;; amdgpu-corpus repo=ROCm/rocThrust kind=compiled arch=gfx950 opt=O3
	.amdgcn_target "amdgcn-amd-amdhsa--gfx950"
	.amdhsa_code_object_version 6
	.section	.text.unlikely.,"ax",@progbits
	.p2align	2                               ; -- Begin function __ockl_dm_alloc
	.type	__ockl_dm_alloc,@function
__ockl_dm_alloc:                        ; @__ockl_dm_alloc
; %bb.0:
	s_waitcnt vmcnt(0) expcnt(0) lgkmcnt(0)
	s_or_saveexec_b64 s[0:1], -1
	scratch_store_dword off, v40, s32       ; 4-byte Folded Spill
	s_mov_b64 exec, s[0:1]
	v_writelane_b32 v40, s34, 0
	v_writelane_b32 v40, s35, 1
	v_writelane_b32 v40, s36, 2
	v_writelane_b32 v40, s37, 3
	v_writelane_b32 v40, s38, 4
	v_writelane_b32 v40, s39, 5
	v_writelane_b32 v40, s48, 6
	v_writelane_b32 v40, s49, 7
	v_writelane_b32 v40, s50, 8
	v_writelane_b32 v40, s51, 9
	v_writelane_b32 v40, s52, 10
	v_writelane_b32 v40, s53, 11
	v_writelane_b32 v40, s54, 12
	v_writelane_b32 v40, s55, 13
	v_writelane_b32 v40, s64, 14
	v_writelane_b32 v40, s65, 15
	v_writelane_b32 v40, s66, 16
	v_writelane_b32 v40, s67, 17
	v_writelane_b32 v40, s68, 18
	v_writelane_b32 v40, s69, 19
	v_writelane_b32 v40, s70, 20
	v_writelane_b32 v40, s30, 21
	s_nop 1
	v_writelane_b32 v40, s31, 22
	v_mov_b32_e32 v3, v1
	v_mov_b32_e32 v2, v0
	v_mov_b64_e32 v[0:1], 0
	v_cmp_ne_u64_e32 vcc, 0, v[2:3]
	s_and_saveexec_b64 s[24:25], vcc
	s_cbranch_execz .LBB0_660
; %bb.1:
	s_mov_b64 s[0:1], 0xc01
	v_cmp_gt_u64_e32 vcc, s[0:1], v[2:3]
	v_mbcnt_lo_u32_b32 v6, -1, 0
                                        ; implicit-def: $vgpr0_vgpr1
	s_and_saveexec_b64 s[0:1], vcc
	s_xor_b64 s[26:27], exec, s[0:1]
	s_cbranch_execz .LBB0_627
; %bb.2:
	s_load_dwordx2 s[28:29], s[8:9], 0x60
	v_max_u32_e32 v0, 16, v2
	v_ffbh_u32_e32 v1, v0
	v_xor_b32_e32 v2, 31, v1
	v_lshlrev_b32_e64 v2, v2, 1
	s_waitcnt lgkmcnt(0)
	s_add_u32 s40, s28, 0x2800
	s_addc_u32 s41, s29, 0
	s_add_u32 s42, s28, 0x1000
	s_addc_u32 s43, s29, 0
	;; [unrolled: 2-line block ×3, first 2 shown]
	s_add_u32 s46, s28, 0x1800
	v_cmp_gt_u32_e32 vcc, v0, v2
	v_lshrrev_b32_e32 v4, 1, v2
	s_addc_u32 s47, s29, 0
	v_cndmask_b32_e64 v3, 0, 1, vcc
	v_or_b32_e32 v2, v4, v2
	v_lshlrev_b32_e32 v1, 1, v1
	s_add_u32 s56, s28, 0x1a800
	v_sub_u32_e32 v1, v3, v1
	v_cmp_gt_u32_e32 vcc, v0, v2
	s_addc_u32 s57, s29, 0
	v_mov_b32_e32 v8, 0
	v_addc_co_u32_e32 v2, vcc, 54, v1, vcc
	s_add_u32 s58, s28, 0x1a808
	v_mov_b32_e32 v3, v8
	s_addc_u32 s59, s29, 0
	v_lshlrev_b64 v[0:1], 7, v[2:3]
	v_lshl_add_u64 v[26:27], s[28:29], 0, v[0:1]
	s_getpc_b64 s[0:1]
	s_add_u32 s0, s0, kinfo@rel32@lo+4
	s_addc_u32 s1, s1, kinfo@rel32@hi+12
	s_movk_i32 s48, 0x1800
	v_mov_b64_e32 v[30:31], s[40:41]
	v_lshl_add_u64 v[34:35], s[42:43], 0, v[0:1]
	v_lshl_add_u64 v[36:37], s[44:45], 0, v[0:1]
	;; [unrolled: 1-line block ×3, first 2 shown]
	v_lshlrev_b64 v[0:1], v2, 1
	v_mov_b32_e32 v115, 1
	v_mad_u64_u32 v[28:29], s[0:1], v2, 28, s[0:1]
	v_mad_u64_u32 v[32:33], s[0:1], v2, s48, v[30:31]
	v_and_b32_e32 v4, 0xbf, v0
	v_mov_b32_e32 v5, v8
	v_mov_b64_e32 v[0:1], 0
	v_cmp_ne_u64_e64 s[0:1], 0, v[4:5]
	v_cmp_ne_u32_e64 s[2:3], 2, v2
	v_mov_b32_e32 v4, v8
	s_mov_b32 s21, 0
	s_mov_b32 s49, 0xff00ff01
	s_movk_i32 s50, 0xff
	s_mov_b32 s51, 0x10100
	s_mov_b64 s[60:61], 0x752f
	s_movk_i32 s52, 0x300
	s_movk_i32 s53, 0x2ff
	v_mov_b32_e32 v48, 0x100
	s_mov_b64 s[62:63], 0x7530
	s_mov_b64 s[72:73], 0x4e1f
	s_mov_b32 s54, 0x200000
	s_mov_b64 s[74:75], 0x4e20
	v_mbcnt_hi_u32_b32 v98, -1, v6
	v_mov_b32_e32 v114, 3
	v_mov_b32_e32 v12, 0x1800
	;; [unrolled: 1-line block ×12, first 2 shown]
.LBB0_3:                                ; =>This Loop Header: Depth=1
                                        ;     Child Loop BB0_6 Depth 2
                                        ;       Child Loop BB0_11 Depth 3
                                        ;         Child Loop BB0_14 Depth 4
                                        ;         Child Loop BB0_37 Depth 4
                                        ;           Child Loop BB0_41 Depth 5
                                        ;           Child Loop BB0_62 Depth 5
                                        ;             Child Loop BB0_80 Depth 6
                                        ;             Child Loop BB0_88 Depth 6
	;; [unrolled: 1-line block ×29, first 2 shown]
                                        ;           Child Loop BB0_297 Depth 5
                                        ;           Child Loop BB0_300 Depth 5
	;; [unrolled: 1-line block ×7, first 2 shown]
                                        ;       Child Loop BB0_322 Depth 3
                                        ;         Child Loop BB0_326 Depth 4
                                        ;         Child Loop BB0_347 Depth 4
                                        ;           Child Loop BB0_365 Depth 5
                                        ;           Child Loop BB0_373 Depth 5
	;; [unrolled: 1-line block ×29, first 2 shown]
                                        ;         Child Loop BB0_582 Depth 4
                                        ;         Child Loop BB0_585 Depth 4
                                        ;         Child Loop BB0_587 Depth 4
                                        ;         Child Loop BB0_589 Depth 4
                                        ;         Child Loop BB0_591 Depth 4
                                        ;         Child Loop BB0_593 Depth 4
                                        ;         Child Loop BB0_595 Depth 4
                                        ;       Child Loop BB0_607 Depth 3
	v_cmp_ne_u32_e32 vcc, 0, v99
	v_mov_b32_e32 v99, v8
	s_and_saveexec_b64 s[76:77], vcc
	s_cbranch_execz .LBB0_625
; %bb.4:                                ;   in Loop: Header=BB0_3 Depth=1
	v_readfirstlane_b32 s4, v2
	v_mov_b32_e32 v99, 1
	s_nop 0
	v_cmp_eq_u32_e32 vcc, s4, v2
	s_and_saveexec_b64 s[78:79], vcc
	s_cbranch_execz .LBB0_624
; %bb.5:                                ;   in Loop: Header=BB0_3 Depth=1
	v_mov_b32_e32 v99, 1
	v_mov_b32_e32 v9, 1
.LBB0_6:                                ;   Parent Loop BB0_3 Depth=1
                                        ; =>  This Loop Header: Depth=2
                                        ;       Child Loop BB0_11 Depth 3
                                        ;         Child Loop BB0_14 Depth 4
                                        ;         Child Loop BB0_37 Depth 4
                                        ;           Child Loop BB0_41 Depth 5
                                        ;           Child Loop BB0_62 Depth 5
                                        ;             Child Loop BB0_80 Depth 6
                                        ;             Child Loop BB0_88 Depth 6
	;; [unrolled: 1-line block ×29, first 2 shown]
                                        ;           Child Loop BB0_297 Depth 5
                                        ;           Child Loop BB0_300 Depth 5
	;; [unrolled: 1-line block ×7, first 2 shown]
                                        ;       Child Loop BB0_322 Depth 3
                                        ;         Child Loop BB0_326 Depth 4
                                        ;         Child Loop BB0_347 Depth 4
                                        ;           Child Loop BB0_365 Depth 5
                                        ;           Child Loop BB0_373 Depth 5
	;; [unrolled: 1-line block ×29, first 2 shown]
                                        ;         Child Loop BB0_582 Depth 4
                                        ;         Child Loop BB0_585 Depth 4
	;; [unrolled: 1-line block ×7, first 2 shown]
                                        ;       Child Loop BB0_607 Depth 3
	v_cmp_ne_u32_e32 vcc, 0, v9
	s_mov_b64 s[4:5], 0
	v_mov_b32_e32 v9, 0
	s_and_saveexec_b64 s[88:89], vcc
	s_cbranch_execz .LBB0_623
; %bb.7:                                ;   in Loop: Header=BB0_6 Depth=2
	v_mbcnt_lo_u32_b32 v7, exec_lo, 0
	v_mbcnt_hi_u32_b32 v7, exec_hi, v7
	v_mov_b32_e32 v6, 0
	v_cmp_eq_u32_e32 vcc, 0, v7
	s_and_saveexec_b64 s[4:5], vcc
	s_cbranch_execz .LBB0_9
; %bb.8:                                ;   in Loop: Header=BB0_6 Depth=2
	global_load_dword v6, v[26:27], off offset:2048 sc1
.LBB0_9:                                ;   in Loop: Header=BB0_6 Depth=2
	s_or_b64 exec, exec, s[4:5]
	s_waitcnt vmcnt(0)
	v_readfirstlane_b32 s55, v6
	s_cmp_gt_u32 s55, 0x100ff
	s_mov_b64 s[4:5], -1
                                        ; implicit-def: $vgpr52_vgpr53
	s_cbranch_scc0 .LBB0_320
; %bb.10:                               ;   in Loop: Header=BB0_6 Depth=2
	v_mbcnt_lo_u32_b32 v6, exec_lo, 0
	v_mbcnt_hi_u32_b32 v100, exec_hi, v6
	s_bcnt1_i32_b64 s64, exec
	v_cmp_eq_u32_e64 s[4:5], 0, v100
	s_mov_b64 s[90:91], 0
	v_mov_b32_e32 v18, v2
                                        ; implicit-def: $vgpr52_vgpr53
.LBB0_11:                               ;   Parent Loop BB0_3 Depth=1
                                        ;     Parent Loop BB0_6 Depth=2
                                        ; =>    This Loop Header: Depth=3
                                        ;         Child Loop BB0_14 Depth 4
                                        ;         Child Loop BB0_37 Depth 4
                                        ;           Child Loop BB0_41 Depth 5
                                        ;           Child Loop BB0_62 Depth 5
                                        ;             Child Loop BB0_80 Depth 6
                                        ;             Child Loop BB0_88 Depth 6
	;; [unrolled: 1-line block ×29, first 2 shown]
                                        ;           Child Loop BB0_297 Depth 5
                                        ;           Child Loop BB0_300 Depth 5
	;; [unrolled: 1-line block ×7, first 2 shown]
	v_mov_b32_e32 v19, v8
	v_lshlrev_b64 v[6:7], 7, v[18:19]
	v_mov_b32_e32 v20, 0
	v_lshl_add_u64 v[6:7], s[28:29], 0, v[6:7]
	s_and_saveexec_b64 s[6:7], s[4:5]
	s_cbranch_execz .LBB0_13
; %bb.12:                               ;   in Loop: Header=BB0_11 Depth=3
	global_load_dword v20, v[6:7], off sc1
.LBB0_13:                               ;   in Loop: Header=BB0_11 Depth=3
	s_or_b64 exec, exec, s[6:7]
	s_getpc_b64 s[6:7]
	s_add_u32 s6, s6, kinfo@rel32@lo+8
	s_addc_u32 s7, s7, kinfo@rel32@hi+16
	v_mad_u64_u32 v[22:23], s[6:7], v18, 28, s[6:7]
	global_load_dword v9, v[22:23], off
	s_waitcnt vmcnt(1)
	v_readfirstlane_b32 s6, v20
	s_mov_b32 s12, 0x10100
	s_nop 0
	v_add_u32_e32 v19, s6, v100
	v_mul_hi_u32 v20, v19, s49
	v_mul_u32_u24_sdwa v20, v20, s12 dst_sel:DWORD dst_unused:UNUSED_PAD src0_sel:WORD_1 src1_sel:DWORD
	v_sub_u32_e32 v19, v19, v20
	v_mad_u64_u32 v[20:21], s[6:7], v18, s48, v[30:31]
.LBB0_14:                               ;   Parent Loop BB0_3 Depth=1
                                        ;     Parent Loop BB0_6 Depth=2
                                        ;       Parent Loop BB0_11 Depth=3
                                        ; =>      This Inner Loop Header: Depth=4
	v_cmp_lt_u32_e32 vcc, s50, v19
	v_mov_b32_e32 v24, v19
	v_mov_b64_e32 v[22:23], v[20:21]
	s_and_saveexec_b64 s[6:7], vcc
	s_cbranch_execz .LBB0_16
; %bb.15:                               ;   in Loop: Header=BB0_14 Depth=4
	v_add_u32_e32 v22, 0xffffff00, v19
	v_lshrrev_b32_e32 v22, 8, v22
	v_mad_u64_u32 v[22:23], s[10:11], v22, 24, v[20:21]
	global_load_dwordx2 v[22:23], v[22:23], off sc1
	v_and_b32_e32 v24, 0xff, v19
.LBB0_16:                               ;   in Loop: Header=BB0_14 Depth=4
	s_or_b64 exec, exec, s[6:7]
	s_waitcnt vmcnt(0)
	v_mad_u64_u32 v[22:23], s[6:7], v24, 24, v[22:23]
	global_load_dword v22, v[22:23], off offset:16 sc1
	s_waitcnt vmcnt(0)
	v_cmp_lt_u32_e32 vcc, v22, v9
	s_cbranch_vccz .LBB0_18
; %bb.17:                               ;   in Loop: Header=BB0_14 Depth=4
	s_ff1_i32_b64 s6, vcc
	s_lshl_b32 s6, s6, 2
	v_mov_b32_e32 v22, s6
	ds_bpermute_b32 v22, v22, v19
	s_branch .LBB0_19
.LBB0_18:                               ;   in Loop: Header=BB0_14 Depth=4
	v_mov_b32_e32 v22, -1
.LBB0_19:                               ;   in Loop: Header=BB0_14 Depth=4
	s_waitcnt lgkmcnt(0)
	v_readfirstlane_b32 s13, v22
	s_cmp_eq_u32 s13, -1
	s_cselect_b64 s[6:7], -1, 0
	s_mov_b64 s[10:11], -1
	s_and_b64 vcc, exec, s[6:7]
                                        ; implicit-def: $vgpr22_vgpr23
	s_cbranch_vccnz .LBB0_23
; %bb.20:                               ;   in Loop: Header=BB0_14 Depth=4
	s_cmpk_lt_u32 s13, 0x100
	v_mov_b64_e32 v[22:23], v[20:21]
	s_cbranch_scc1 .LBB0_22
; %bb.21:                               ;   in Loop: Header=BB0_14 Depth=4
	s_add_i32 s10, s13, 0xffffff00
	s_lshr_b32 s10, s10, 8
	v_mad_u64_u32 v[22:23], s[10:11], s10, 24, v[20:21]
	global_load_dwordx2 v[22:23], v[22:23], off sc1
	s_and_b32 s13, s13, 0xff
.LBB0_22:                               ;   in Loop: Header=BB0_14 Depth=4
	s_waitcnt vmcnt(0)
	v_mad_u64_u32 v[22:23], s[10:11], s13, 24, v[22:23]
	s_mov_b64 s[10:11], 0
.LBB0_23:                               ;   in Loop: Header=BB0_14 Depth=4
	s_and_b64 vcc, exec, s[10:11]
	s_cbranch_vccz .LBB0_27
; %bb.24:                               ;   in Loop: Header=BB0_14 Depth=4
	v_add_u32_e32 v19, s64, v19
	v_mul_hi_u32 v22, v19, s49
	v_mul_u32_u24_sdwa v22, v22, s51 dst_sel:DWORD dst_unused:UNUSED_PAD src0_sel:WORD_1 src1_sel:DWORD
	v_sub_u32_e32 v19, v19, v22
	s_and_saveexec_b64 s[10:11], s[4:5]
	s_cbranch_execz .LBB0_26
; %bb.25:                               ;   in Loop: Header=BB0_14 Depth=4
	global_store_dword v[6:7], v19, off sc1
.LBB0_26:                               ;   in Loop: Header=BB0_14 Depth=4
	s_or_b64 exec, exec, s[10:11]
	s_sub_i32 s12, s12, s64
	s_branch .LBB0_28
.LBB0_27:                               ;   in Loop: Header=BB0_14 Depth=4
	v_mov_b64_e32 v[52:53], v[22:23]
.LBB0_28:                               ;   in Loop: Header=BB0_14 Depth=4
	s_mov_b64 s[10:11], -1
	s_andn2_b64 vcc, exec, s[6:7]
	s_mov_b64 s[6:7], -1
	s_cbranch_vccnz .LBB0_30
; %bb.29:                               ;   in Loop: Header=BB0_14 Depth=4
	s_cmp_lt_i32 s12, 1
	s_mov_b64 s[10:11], 0
	s_cselect_b64 s[6:7], -1, 0
.LBB0_30:                               ;   in Loop: Header=BB0_14 Depth=4
	s_andn2_b64 vcc, exec, s[6:7]
	s_cbranch_vccnz .LBB0_14
; %bb.31:                               ;   in Loop: Header=BB0_11 Depth=3
	s_andn2_b64 vcc, exec, s[10:11]
	s_mov_b64 s[6:7], 0
	s_cbranch_vccz .LBB0_318
; %bb.32:                               ;   in Loop: Header=BB0_11 Depth=3
	v_cmp_eq_u32_e32 vcc, v18, v2
	v_cmp_gt_u32_e64 s[6:7], 14, v18
	s_and_b64 s[10:11], vcc, s[6:7]
	s_mov_b64 s[6:7], 0
	v_mov_b64_e32 v[6:7], 0
	s_and_saveexec_b64 s[92:93], s[10:11]
	s_cbranch_execz .LBB0_317
; %bb.33:                               ;   in Loop: Header=BB0_11 Depth=3
	v_and_b32_e32 v6, -2, v18
	v_mov_b32_e32 v7, 0
	s_and_saveexec_b64 s[6:7], s[4:5]
	s_cbranch_execz .LBB0_35
; %bb.34:                               ;   in Loop: Header=BB0_11 Depth=3
	v_mov_b32_e32 v7, v8
	v_lshlrev_b64 v[18:19], 7, v[6:7]
	v_lshl_add_u64 v[18:19], s[28:29], 0, v[18:19]
	global_load_dword v7, v[18:19], off offset:2304 sc1
.LBB0_35:                               ;   in Loop: Header=BB0_11 Depth=3
	s_or_b64 exec, exec, s[6:7]
	s_waitcnt vmcnt(0)
	v_readfirstlane_b32 s66, v7
	v_add_u32_e32 v18, 2, v6
	s_cmp_gt_u32 s66, 0x100ff
	s_mov_b64 s[6:7], -1
	s_cbranch_scc1 .LBB0_316
; %bb.36:                               ;   in Loop: Header=BB0_11 Depth=3
	v_mbcnt_lo_u32_b32 v7, exec_lo, 0
	v_mbcnt_hi_u32_b32 v101, exec_hi, v7
	v_mov_b32_e32 v7, v8
	s_bcnt1_i32_b64 s65, exec
	v_lshlrev_b64 v[20:21], 7, v[6:7]
	v_mov_b32_e32 v19, v8
	v_lshl_add_u64 v[54:55], s[28:29], 0, v[20:21]
	s_getpc_b64 s[10:11]
	s_add_u32 s10, s10, kinfo@rel32@lo+4
	s_addc_u32 s11, s11, kinfo@rel32@hi+12
	v_mov_b64_e32 v[20:21], s[40:41]
	v_mad_u64_u32 v[64:65], s[10:11], v6, 28, s[10:11]
	v_mad_u64_u32 v[66:67], s[10:11], v18, s48, v[20:21]
	v_lshlrev_b64 v[20:21], 7, v[18:19]
	v_lshl_add_u64 v[68:69], s[42:43], 0, v[20:21]
	v_lshl_add_u64 v[70:71], s[44:45], 0, v[20:21]
	;; [unrolled: 1-line block ×3, first 2 shown]
	v_lshlrev_b64 v[20:21], v18, 1
	v_and_b32_e32 v20, 20, v20
	v_mov_b32_e32 v21, v8
	v_cmp_eq_u32_e64 s[6:7], 0, v101
	v_cmp_ne_u64_e64 s[10:11], 0, v[20:21]
	v_cmp_ne_u32_e64 s[12:13], 0, v6
	v_mov_b32_e32 v20, v8
                                        ; implicit-def: $vgpr52_vgpr53
.LBB0_37:                               ;   Parent Loop BB0_3 Depth=1
                                        ;     Parent Loop BB0_6 Depth=2
                                        ;       Parent Loop BB0_11 Depth=3
                                        ; =>      This Loop Header: Depth=4
                                        ;           Child Loop BB0_41 Depth 5
                                        ;           Child Loop BB0_62 Depth 5
                                        ;             Child Loop BB0_80 Depth 6
                                        ;             Child Loop BB0_88 Depth 6
	;; [unrolled: 1-line block ×29, first 2 shown]
                                        ;           Child Loop BB0_297 Depth 5
                                        ;           Child Loop BB0_300 Depth 5
	;; [unrolled: 1-line block ×7, first 2 shown]
	s_cmp_eq_u32 s66, 0
	s_mov_b64 s[14:15], -1
	s_cbranch_scc1 .LBB0_59
; %bb.38:                               ;   in Loop: Header=BB0_37 Depth=4
	v_mov_b32_e32 v6, 0
	s_and_saveexec_b64 s[16:17], s[6:7]
	s_cbranch_execz .LBB0_40
; %bb.39:                               ;   in Loop: Header=BB0_37 Depth=4
	global_load_dword v6, v[54:55], off offset:256 sc1
.LBB0_40:                               ;   in Loop: Header=BB0_37 Depth=4
	s_or_b64 exec, exec, s[16:17]
	global_load_dword v9, v[64:65], off offset:64
	v_cvt_f32_u32_e32 v7, s66
	s_waitcnt vmcnt(1)
	v_readfirstlane_b32 s16, v6
	s_mov_b32 s20, s66
	v_rcp_iflag_f32_e32 v7, v7
	v_add_u32_e32 v6, s16, v101
	s_sub_i32 s16, 0, s66
	v_mul_f32_e32 v7, 0x4f7ffffe, v7
	v_cvt_u32_f32_e32 v7, v7
	v_mul_lo_u32 v22, s16, v7
	v_mul_hi_u32 v22, v7, v22
	v_add_u32_e32 v22, v7, v22
	v_mul_hi_u32 v7, v6, v22
	v_mul_lo_u32 v7, v7, s66
	v_sub_u32_e32 v6, v6, v7
	v_subrev_u32_e32 v7, s66, v6
	v_cmp_le_u32_e32 vcc, s66, v6
	s_nop 1
	v_cndmask_b32_e32 v6, v6, v7, vcc
	v_subrev_u32_e32 v7, s66, v6
	v_cmp_le_u32_e32 vcc, s66, v6
	s_nop 1
	v_cndmask_b32_e32 v23, v6, v7, vcc
.LBB0_41:                               ;   Parent Loop BB0_3 Depth=1
                                        ;     Parent Loop BB0_6 Depth=2
                                        ;       Parent Loop BB0_11 Depth=3
                                        ;         Parent Loop BB0_37 Depth=4
                                        ; =>        This Inner Loop Header: Depth=5
	v_cmp_lt_u32_e32 vcc, s50, v23
	v_mov_b32_e32 v24, v23
	v_mov_b64_e32 v[6:7], v[66:67]
	s_and_saveexec_b64 s[16:17], vcc
	s_cbranch_execz .LBB0_43
; %bb.42:                               ;   in Loop: Header=BB0_41 Depth=5
	v_add_u32_e32 v6, 0xffffff00, v23
	v_lshrrev_b32_e32 v6, 8, v6
	v_mad_u64_u32 v[6:7], s[18:19], v6, 24, v[66:67]
	global_load_dwordx2 v[6:7], v[6:7], off sc1
	v_and_b32_e32 v24, 0xff, v23
.LBB0_43:                               ;   in Loop: Header=BB0_41 Depth=5
	s_or_b64 exec, exec, s[16:17]
	s_waitcnt vmcnt(0)
	v_mad_u64_u32 v[6:7], s[16:17], v24, 24, v[6:7]
	global_load_dword v6, v[6:7], off offset:16 sc1
	s_waitcnt vmcnt(0)
	v_cmp_lt_u32_e32 vcc, v6, v9
	s_cbranch_vccz .LBB0_45
; %bb.44:                               ;   in Loop: Header=BB0_41 Depth=5
	s_ff1_i32_b64 s16, vcc
	s_lshl_b32 s16, s16, 2
	v_mov_b32_e32 v6, s16
	ds_bpermute_b32 v6, v6, v23
	s_branch .LBB0_46
.LBB0_45:                               ;   in Loop: Header=BB0_41 Depth=5
	v_mov_b32_e32 v6, -1
.LBB0_46:                               ;   in Loop: Header=BB0_41 Depth=5
	s_waitcnt lgkmcnt(0)
	v_readfirstlane_b32 s22, v6
	s_cmp_eq_u32 s22, -1
	s_cselect_b64 s[16:17], -1, 0
	s_mov_b64 s[18:19], -1
	s_and_b64 vcc, exec, s[16:17]
                                        ; implicit-def: $vgpr6_vgpr7
	s_cbranch_vccnz .LBB0_50
; %bb.47:                               ;   in Loop: Header=BB0_41 Depth=5
	s_cmpk_lt_u32 s22, 0x100
	v_mov_b64_e32 v[6:7], v[66:67]
	s_cbranch_scc1 .LBB0_49
; %bb.48:                               ;   in Loop: Header=BB0_41 Depth=5
	s_add_i32 s18, s22, 0xffffff00
	s_lshr_b32 s18, s18, 8
	v_mad_u64_u32 v[6:7], s[18:19], s18, 24, v[66:67]
	global_load_dwordx2 v[6:7], v[6:7], off sc1
	s_and_b32 s22, s22, 0xff
.LBB0_49:                               ;   in Loop: Header=BB0_41 Depth=5
	s_waitcnt vmcnt(0)
	v_mad_u64_u32 v[6:7], s[18:19], s22, 24, v[6:7]
	s_mov_b64 s[18:19], 0
.LBB0_50:                               ;   in Loop: Header=BB0_41 Depth=5
	s_and_b64 vcc, exec, s[18:19]
	s_cbranch_vccz .LBB0_54
; %bb.51:                               ;   in Loop: Header=BB0_41 Depth=5
	v_add_u32_e32 v6, s65, v23
	v_mul_hi_u32 v7, v6, v22
	v_mul_lo_u32 v7, v7, s66
	v_sub_u32_e32 v6, v6, v7
	v_subrev_u32_e32 v7, s66, v6
	v_cmp_le_u32_e32 vcc, s66, v6
	s_nop 1
	v_cndmask_b32_e32 v6, v6, v7, vcc
	v_subrev_u32_e32 v7, s66, v6
	v_cmp_le_u32_e32 vcc, s66, v6
	s_nop 1
	v_cndmask_b32_e32 v23, v6, v7, vcc
	s_and_saveexec_b64 s[18:19], s[6:7]
	s_cbranch_execz .LBB0_53
; %bb.52:                               ;   in Loop: Header=BB0_41 Depth=5
	global_store_dword v[54:55], v23, off offset:256 sc1
.LBB0_53:                               ;   in Loop: Header=BB0_41 Depth=5
	s_or_b64 exec, exec, s[18:19]
	s_sub_i32 s20, s20, s65
	s_branch .LBB0_55
.LBB0_54:                               ;   in Loop: Header=BB0_41 Depth=5
	v_mov_b64_e32 v[52:53], v[6:7]
.LBB0_55:                               ;   in Loop: Header=BB0_41 Depth=5
	s_mov_b64 s[18:19], -1
	s_andn2_b64 vcc, exec, s[16:17]
	s_mov_b64 s[16:17], -1
	s_cbranch_vccnz .LBB0_57
; %bb.56:                               ;   in Loop: Header=BB0_41 Depth=5
	s_cmp_lt_i32 s20, 1
	s_mov_b64 s[18:19], 0
	s_cselect_b64 s[16:17], -1, 0
.LBB0_57:                               ;   in Loop: Header=BB0_41 Depth=5
	s_andn2_b64 vcc, exec, s[16:17]
	s_cbranch_vccnz .LBB0_41
; %bb.58:                               ;   in Loop: Header=BB0_37 Depth=4
	s_xor_b64 s[16:17], s[18:19], -1
	s_branch .LBB0_60
.LBB0_59:                               ;   in Loop: Header=BB0_37 Depth=4
	s_mov_b64 s[16:17], -1
.LBB0_60:                               ;   in Loop: Header=BB0_37 Depth=4
	s_and_b64 vcc, exec, s[16:17]
	s_cbranch_vccz .LBB0_291
; %bb.61:                               ;   in Loop: Header=BB0_37 Depth=4
	v_mbcnt_lo_u32_b32 v6, exec_lo, 0
	v_mbcnt_hi_u32_b32 v6, exec_hi, v6
	v_cmp_eq_u32_e64 s[14:15], 0, v6
                                        ; implicit-def: $vgpr82_vgpr83
.LBB0_62:                               ;   Parent Loop BB0_3 Depth=1
                                        ;     Parent Loop BB0_6 Depth=2
                                        ;       Parent Loop BB0_11 Depth=3
                                        ;         Parent Loop BB0_37 Depth=4
                                        ; =>        This Loop Header: Depth=5
                                        ;             Child Loop BB0_80 Depth 6
                                        ;             Child Loop BB0_88 Depth 6
	;; [unrolled: 1-line block ×29, first 2 shown]
	v_mov_b32_e32 v6, 0
	s_and_saveexec_b64 s[16:17], s[14:15]
	s_cbranch_execz .LBB0_64
; %bb.63:                               ;   in Loop: Header=BB0_62 Depth=5
	global_load_dword v6, v[54:55], off offset:2304 sc1
.LBB0_64:                               ;   in Loop: Header=BB0_62 Depth=5
	s_or_b64 exec, exec, s[16:17]
	s_waitcnt vmcnt(0)
	v_readfirstlane_b32 s67, v6
	s_cmp_eq_u32 s67, 0x10100
	s_cbranch_scc1 .LBB0_174
; %bb.65:                               ;   in Loop: Header=BB0_62 Depth=5
	v_mov_b32_e32 v6, 0
	s_and_saveexec_b64 s[16:17], s[14:15]
	s_cbranch_execz .LBB0_67
; %bb.66:                               ;   in Loop: Header=BB0_62 Depth=5
	v_mov_b32_e32 v49, v8
	global_atomic_cmpswap v6, v[68:69], v[48:49], off sc0
	s_waitcnt vmcnt(0)
	v_cmp_ne_u32_e32 vcc, 0, v6
	s_nop 1
	v_cndmask_b32_e32 v6, v48, v6, vcc
.LBB0_67:                               ;   in Loop: Header=BB0_62 Depth=5
	s_or_b64 exec, exec, s[16:17]
	v_readfirstlane_b32 s68, v6
	s_cmp_lg_u32 s67, s68
	s_cbranch_scc1 .LBB0_175
; %bb.68:                               ;   in Loop: Header=BB0_62 Depth=5
	v_mbcnt_lo_u32_b32 v7, exec_lo, 0
	v_mbcnt_hi_u32_b32 v7, exec_hi, v7
	v_mov_b32_e32 v6, 0
	v_cmp_eq_u32_e64 s[16:17], 0, v7
	s_and_saveexec_b64 s[18:19], s[16:17]
	s_cbranch_execz .LBB0_70
; %bb.69:                               ;   in Loop: Header=BB0_62 Depth=5
	global_load_dword v6, v[68:69], off sc1
.LBB0_70:                               ;   in Loop: Header=BB0_62 Depth=5
	s_or_b64 exec, exec, s[18:19]
	s_waitcnt vmcnt(0)
	v_readfirstlane_b32 s70, v6
	s_cmp_eq_u32 s70, 0x10100
	s_mov_b32 s20, 2
	s_cbranch_scc1 .LBB0_155
; %bb.71:                               ;   in Loop: Header=BB0_62 Depth=5
	v_mov_b32_e32 v6, 1
	s_and_saveexec_b64 s[18:19], s[16:17]
	s_cbranch_execz .LBB0_75
; %bb.72:                               ;   in Loop: Header=BB0_62 Depth=5
	global_load_dwordx2 v[24:25], v[70:71], off sc1
	s_memrealtime s[94:95]
	s_waitcnt lgkmcnt(0)
	v_mov_b32_e32 v7, s95
	s_waitcnt vmcnt(0)
	v_sub_co_u32_e32 v6, vcc, s94, v24
	s_nop 1
	v_subb_co_u32_e32 v7, vcc, v7, v25, vcc
	v_cmp_lt_u64_e32 vcc, s[60:61], v[6:7]
	v_mov_b32_e32 v6, 1
	s_and_saveexec_b64 s[22:23], vcc
	s_cbranch_execz .LBB0_74
; %bb.73:                               ;   in Loop: Header=BB0_62 Depth=5
	v_mov_b32_e32 v22, s94
	v_mov_b32_e32 v23, s95
	global_atomic_cmpswap_x2 v[6:7], v[70:71], v[22:25], off sc0
	s_waitcnt vmcnt(0)
	v_cmp_eq_u64_e32 vcc, v[6:7], v[24:25]
	s_nop 1
	v_cndmask_b32_e64 v6, 1, 2, vcc
.LBB0_74:                               ;   in Loop: Header=BB0_62 Depth=5
	s_or_b64 exec, exec, s[22:23]
.LBB0_75:                               ;   in Loop: Header=BB0_62 Depth=5
	s_or_b64 exec, exec, s[18:19]
	v_readfirstlane_b32 s69, v6
	s_cmp_eq_u32 s69, 1
	s_mov_b32 s20, 1
	s_cbranch_scc1 .LBB0_155
; %bb.76:                               ;   in Loop: Header=BB0_62 Depth=5
	v_mov_b32_e32 v7, 0
	v_mov_b32_e32 v6, v7
	s_and_saveexec_b64 s[94:95], s[16:17]
	s_cbranch_execz .LBB0_105
; %bb.77:                               ;   in Loop: Header=BB0_62 Depth=5
	s_load_dwordx2 s[30:31], s[8:9], 0x50
	v_readfirstlane_b32 s18, v98
	v_mov_b64_e32 v[6:7], 0
	s_nop 0
	v_cmp_eq_u32_e64 s[18:19], s18, v98
	s_and_saveexec_b64 s[22:23], s[18:19]
	s_cbranch_execz .LBB0_83
; %bb.78:                               ;   in Loop: Header=BB0_62 Depth=5
	s_waitcnt lgkmcnt(0)
	global_load_dwordx2 v[24:25], v8, s[30:31] offset:24 sc0 sc1
	s_waitcnt vmcnt(0)
	buffer_inv sc0 sc1
	global_load_dwordx2 v[6:7], v8, s[30:31] offset:40
	global_load_dwordx2 v[22:23], v8, s[30:31]
	s_waitcnt vmcnt(1)
	v_and_b32_e32 v6, v6, v24
	v_and_b32_e32 v7, v7, v25
	v_mul_lo_u32 v7, v7, 24
	v_mul_hi_u32 v9, v6, 24
	v_add_u32_e32 v7, v9, v7
	v_mul_lo_u32 v6, v6, 24
	s_waitcnt vmcnt(0)
	v_lshl_add_u64 v[6:7], v[22:23], 0, v[6:7]
	global_load_dwordx2 v[22:23], v[6:7], off sc0 sc1
	s_waitcnt vmcnt(0)
	global_atomic_cmpswap_x2 v[6:7], v8, v[22:25], s[30:31] offset:24 sc0 sc1
	s_waitcnt vmcnt(0)
	buffer_inv sc0 sc1
	v_cmp_ne_u64_e32 vcc, v[6:7], v[24:25]
	s_and_saveexec_b64 s[34:35], vcc
	s_cbranch_execz .LBB0_82
; %bb.79:                               ;   in Loop: Header=BB0_62 Depth=5
	s_mov_b64 s[36:37], 0
.LBB0_80:                               ;   Parent Loop BB0_3 Depth=1
                                        ;     Parent Loop BB0_6 Depth=2
                                        ;       Parent Loop BB0_11 Depth=3
                                        ;         Parent Loop BB0_37 Depth=4
                                        ;           Parent Loop BB0_62 Depth=5
                                        ; =>          This Inner Loop Header: Depth=6
	s_sleep 1
	global_load_dwordx2 v[22:23], v8, s[30:31] offset:40
	global_load_dwordx2 v[84:85], v8, s[30:31]
	v_mov_b64_e32 v[24:25], v[6:7]
	s_waitcnt vmcnt(1)
	v_and_b32_e32 v6, v22, v24
	s_waitcnt vmcnt(0)
	v_mad_u64_u32 v[6:7], vcc, v6, 24, v[84:85]
	v_and_b32_e32 v9, v23, v25
	v_mov_b32_e32 v22, v7
	v_mad_u64_u32 v[22:23], vcc, v9, 24, v[22:23]
	v_mov_b32_e32 v7, v22
	global_load_dwordx2 v[22:23], v[6:7], off sc0 sc1
	s_waitcnt vmcnt(0)
	global_atomic_cmpswap_x2 v[6:7], v8, v[22:25], s[30:31] offset:24 sc0 sc1
	s_waitcnt vmcnt(0)
	buffer_inv sc0 sc1
	v_cmp_eq_u64_e32 vcc, v[6:7], v[24:25]
	s_or_b64 s[36:37], vcc, s[36:37]
	s_andn2_b64 exec, exec, s[36:37]
	s_cbranch_execnz .LBB0_80
; %bb.81:                               ;   in Loop: Header=BB0_62 Depth=5
	s_or_b64 exec, exec, s[36:37]
.LBB0_82:                               ;   in Loop: Header=BB0_62 Depth=5
	s_or_b64 exec, exec, s[34:35]
.LBB0_83:                               ;   in Loop: Header=BB0_62 Depth=5
	s_or_b64 exec, exec, s[22:23]
	s_waitcnt lgkmcnt(0)
	global_load_dwordx2 v[84:85], v8, s[30:31] offset:40
	global_load_dwordx4 v[22:25], v8, s[30:31]
	v_readfirstlane_b32 s35, v7
	v_readfirstlane_b32 s34, v6
	s_mov_b64 s[22:23], exec
	s_waitcnt vmcnt(1)
	v_readfirstlane_b32 vcc_lo, v84
	v_readfirstlane_b32 vcc_hi, v85
	s_and_b64 vcc, vcc, s[34:35]
	s_mul_i32 s20, vcc_hi, 24
	s_mul_hi_u32 s36, vcc_lo, 24
	s_add_i32 s37, s36, s20
	s_mul_i32 s36, vcc_lo, 24
	s_waitcnt vmcnt(0)
	v_lshl_add_u64 v[6:7], v[22:23], 0, s[36:37]
	s_and_saveexec_b64 s[36:37], s[18:19]
	s_cbranch_execz .LBB0_85
; %bb.84:                               ;   in Loop: Header=BB0_62 Depth=5
	v_mov_b64_e32 v[112:113], s[22:23]
	global_store_dwordx4 v[6:7], v[112:115], off offset:8
.LBB0_85:                               ;   in Loop: Header=BB0_62 Depth=5
	s_or_b64 exec, exec, s[36:37]
	s_lshl_b64 s[22:23], vcc, 12
	v_lshl_add_u64 v[84:85], v[24:25], 0, s[22:23]
	s_mov_b32 s22, s21
	s_mov_b32 s23, s21
	;; [unrolled: 1-line block ×3, first 2 shown]
	v_mov_b64_e32 v[118:119], s[22:23]
	v_lshlrev_b32_e32 v86, 6, v98
	v_readfirstlane_b32 s36, v84
	v_readfirstlane_b32 s37, v85
	v_mov_b64_e32 v[116:117], s[20:21]
	s_nop 3
	global_store_dwordx4 v86, v[10:13], s[36:37]
	global_store_dwordx4 v86, v[116:119], s[36:37] offset:16
	global_store_dwordx4 v86, v[116:119], s[36:37] offset:32
	;; [unrolled: 1-line block ×3, first 2 shown]
	s_and_saveexec_b64 s[22:23], s[18:19]
	s_cbranch_execz .LBB0_93
; %bb.86:                               ;   in Loop: Header=BB0_62 Depth=5
	global_load_dwordx2 v[118:119], v8, s[30:31] offset:32 sc0 sc1
	global_load_dwordx2 v[24:25], v8, s[30:31] offset:40
	v_mov_b32_e32 v116, s34
	v_mov_b32_e32 v117, s35
	s_waitcnt vmcnt(0)
	v_and_b32_e32 v9, s34, v24
	v_and_b32_e32 v24, s35, v25
	v_mul_lo_u32 v25, v24, 24
	v_mul_hi_u32 v49, v9, 24
	v_mul_lo_u32 v24, v9, 24
	v_add_u32_e32 v25, v49, v25
	v_lshl_add_u64 v[96:97], v[22:23], 0, v[24:25]
	global_store_dwordx2 v[96:97], v[118:119], off
	buffer_wbl2 sc0 sc1
	s_waitcnt vmcnt(0)
	global_atomic_cmpswap_x2 v[24:25], v8, v[116:119], s[30:31] offset:32 sc0 sc1
	s_waitcnt vmcnt(0)
	v_cmp_ne_u64_e32 vcc, v[24:25], v[118:119]
	s_and_saveexec_b64 s[36:37], vcc
	s_cbranch_execz .LBB0_89
; %bb.87:                               ;   in Loop: Header=BB0_62 Depth=5
	s_mov_b64 s[38:39], 0
.LBB0_88:                               ;   Parent Loop BB0_3 Depth=1
                                        ;     Parent Loop BB0_6 Depth=2
                                        ;       Parent Loop BB0_11 Depth=3
                                        ;         Parent Loop BB0_37 Depth=4
                                        ;           Parent Loop BB0_62 Depth=5
                                        ; =>          This Inner Loop Header: Depth=6
	s_sleep 1
	global_store_dwordx2 v[96:97], v[24:25], off
	v_mov_b32_e32 v22, s34
	v_mov_b32_e32 v23, s35
	buffer_wbl2 sc0 sc1
	s_waitcnt vmcnt(0)
	global_atomic_cmpswap_x2 v[22:23], v8, v[22:25], s[30:31] offset:32 sc0 sc1
	s_waitcnt vmcnt(0)
	v_cmp_eq_u64_e32 vcc, v[22:23], v[24:25]
	s_or_b64 s[38:39], vcc, s[38:39]
	v_mov_b64_e32 v[24:25], v[22:23]
	s_andn2_b64 exec, exec, s[38:39]
	s_cbranch_execnz .LBB0_88
.LBB0_89:                               ;   in Loop: Header=BB0_62 Depth=5
	s_or_b64 exec, exec, s[36:37]
	global_load_dwordx2 v[22:23], v8, s[30:31] offset:16
	s_mov_b64 s[38:39], exec
	v_mbcnt_lo_u32_b32 v9, s38, 0
	v_mbcnt_hi_u32_b32 v9, s39, v9
	v_cmp_eq_u32_e32 vcc, 0, v9
	s_and_saveexec_b64 s[36:37], vcc
	s_cbranch_execz .LBB0_91
; %bb.90:                               ;   in Loop: Header=BB0_62 Depth=5
	s_bcnt1_i32_b64 s20, s[38:39]
	v_mov_b32_e32 v24, s20
	v_mov_b32_e32 v25, v8
	buffer_wbl2 sc0 sc1
	s_waitcnt vmcnt(0)
	global_atomic_add_x2 v[22:23], v[24:25], off offset:8 sc1
.LBB0_91:                               ;   in Loop: Header=BB0_62 Depth=5
	s_or_b64 exec, exec, s[36:37]
	s_waitcnt vmcnt(0)
	global_load_dwordx2 v[24:25], v[22:23], off offset:16
	s_waitcnt vmcnt(0)
	v_cmp_eq_u64_e32 vcc, 0, v[24:25]
	s_cbranch_vccnz .LBB0_93
; %bb.92:                               ;   in Loop: Header=BB0_62 Depth=5
	global_load_dword v22, v[22:23], off offset:24
	v_mov_b32_e32 v23, v8
	s_waitcnt vmcnt(0)
	v_readfirstlane_b32 s20, v22
	s_and_b32 m0, s20, 0xffffff
	buffer_wbl2 sc0 sc1
	global_store_dwordx2 v[24:25], v[22:23], off sc0 sc1
	s_sendmsg sendmsg(MSG_INTERRUPT)
.LBB0_93:                               ;   in Loop: Header=BB0_62 Depth=5
	s_or_b64 exec, exec, s[22:23]
	v_mov_b32_e32 v87, v8
	v_lshl_add_u64 v[22:23], v[84:85], 0, v[86:87]
.LBB0_94:                               ;   Parent Loop BB0_3 Depth=1
                                        ;     Parent Loop BB0_6 Depth=2
                                        ;       Parent Loop BB0_11 Depth=3
                                        ;         Parent Loop BB0_37 Depth=4
                                        ;           Parent Loop BB0_62 Depth=5
                                        ; =>          This Inner Loop Header: Depth=6
	v_mov_b32_e32 v9, 1
	s_and_saveexec_b64 s[22:23], s[18:19]
	s_cbranch_execz .LBB0_96
; %bb.95:                               ;   in Loop: Header=BB0_94 Depth=6
	global_load_dword v9, v[6:7], off offset:20 sc0 sc1
	s_waitcnt vmcnt(0)
	buffer_inv sc0 sc1
	v_and_b32_e32 v9, 1, v9
.LBB0_96:                               ;   in Loop: Header=BB0_94 Depth=6
	s_or_b64 exec, exec, s[22:23]
	v_readfirstlane_b32 s20, v9
	s_cmp_eq_u32 s20, 0
	s_cbranch_scc1 .LBB0_98
; %bb.97:                               ;   in Loop: Header=BB0_94 Depth=6
	s_mov_b64 s[22:23], 0
	s_sleep 1
	s_branch .LBB0_99
.LBB0_98:                               ;   in Loop: Header=BB0_94 Depth=6
	s_mov_b64 s[22:23], -1
.LBB0_99:                               ;   in Loop: Header=BB0_94 Depth=6
	s_andn2_b64 vcc, exec, s[22:23]
	s_cbranch_vccnz .LBB0_94
; %bb.100:                              ;   in Loop: Header=BB0_62 Depth=5
	global_load_dwordx2 v[6:7], v[22:23], off
	s_and_saveexec_b64 s[22:23], s[18:19]
	s_cbranch_execz .LBB0_104
; %bb.101:                              ;   in Loop: Header=BB0_62 Depth=5
	global_load_dwordx2 v[22:23], v8, s[30:31] offset:40
	global_load_dwordx2 v[118:119], v8, s[30:31] offset:24 sc0 sc1
	global_load_dwordx2 v[24:25], v8, s[30:31]
	s_waitcnt vmcnt(2)
	v_readfirstlane_b32 vcc_lo, v22
	v_readfirstlane_b32 vcc_hi, v23
	s_add_u32 s20, vcc_lo, 1
	s_addc_u32 s36, vcc_hi, 0
	s_add_u32 s18, s20, s34
	s_addc_u32 s19, s36, s35
	s_cmp_eq_u64 s[18:19], 0
	s_cselect_b32 s19, s36, s19
	s_cselect_b32 s18, s20, s18
	s_and_b64 vcc, s[18:19], vcc
	s_mul_i32 s20, vcc_hi, 24
	s_mul_hi_u32 vcc_hi, vcc_lo, 24
	s_mul_i32 vcc_lo, vcc_lo, 24
	s_add_i32 vcc_hi, vcc_hi, s20
	s_waitcnt vmcnt(0)
	v_lshl_add_u64 v[84:85], v[24:25], 0, vcc
	v_mov_b32_e32 v116, s18
	global_store_dwordx2 v[84:85], v[118:119], off
	v_mov_b32_e32 v117, s19
	buffer_wbl2 sc0 sc1
	s_waitcnt vmcnt(0)
	global_atomic_cmpswap_x2 v[24:25], v8, v[116:119], s[30:31] offset:24 sc0 sc1
	s_waitcnt vmcnt(0)
	v_cmp_ne_u64_e32 vcc, v[24:25], v[118:119]
	s_and_b64 exec, exec, vcc
	s_cbranch_execz .LBB0_104
; %bb.102:                              ;   in Loop: Header=BB0_62 Depth=5
	s_mov_b64 s[34:35], 0
.LBB0_103:                              ;   Parent Loop BB0_3 Depth=1
                                        ;     Parent Loop BB0_6 Depth=2
                                        ;       Parent Loop BB0_11 Depth=3
                                        ;         Parent Loop BB0_37 Depth=4
                                        ;           Parent Loop BB0_62 Depth=5
                                        ; =>          This Inner Loop Header: Depth=6
	s_sleep 1
	global_store_dwordx2 v[84:85], v[24:25], off
	v_mov_b32_e32 v22, s18
	v_mov_b32_e32 v23, s19
	buffer_wbl2 sc0 sc1
	s_waitcnt vmcnt(0)
	global_atomic_cmpswap_x2 v[22:23], v8, v[22:25], s[30:31] offset:24 sc0 sc1
	s_waitcnt vmcnt(0)
	v_cmp_eq_u64_e32 vcc, v[22:23], v[24:25]
	s_or_b64 s[34:35], vcc, s[34:35]
	v_mov_b64_e32 v[24:25], v[22:23]
	s_andn2_b64 exec, exec, s[34:35]
	s_cbranch_execnz .LBB0_103
.LBB0_104:                              ;   in Loop: Header=BB0_62 Depth=5
	s_or_b64 exec, exec, s[22:23]
.LBB0_105:                              ;   in Loop: Header=BB0_62 Depth=5
	s_or_b64 exec, exec, s[94:95]
	s_waitcnt vmcnt(0)
	v_readfirstlane_b32 s22, v6
	v_readfirstlane_b32 s23, v7
	s_cmp_eq_u64 s[22:23], 0
	s_cbranch_scc1 .LBB0_154
; %bb.106:                              ;   in Loop: Header=BB0_62 Depth=5
	s_mov_b64 s[94:95], exec
	v_mbcnt_lo_u32_b32 v6, exec_lo, 0
	v_mbcnt_hi_u32_b32 v9, s95, v6
	v_cmp_gt_u32_e32 vcc, s52, v9
	s_and_saveexec_b64 s[18:19], vcc
	s_cbranch_execz .LBB0_109
; %bb.107:                              ;   in Loop: Header=BB0_62 Depth=5
	s_bcnt1_i32_b64 s30, s[94:95]
	v_lshlrev_b32_e32 v6, 3, v9
	v_mov_b32_e32 v7, v8
	v_lshl_add_u64 v[6:7], s[22:23], 0, v[6:7]
	s_lshl_b32 s20, s30, 3
	s_mov_b64 s[94:95], 0
.LBB0_108:                              ;   Parent Loop BB0_3 Depth=1
                                        ;     Parent Loop BB0_6 Depth=2
                                        ;       Parent Loop BB0_11 Depth=3
                                        ;         Parent Loop BB0_37 Depth=4
                                        ;           Parent Loop BB0_62 Depth=5
                                        ; =>          This Inner Loop Header: Depth=6
	v_add_u32_e32 v9, s30, v9
	v_cmp_lt_u32_e32 vcc, s53, v9
	global_store_dwordx2 v[6:7], v[50:51], off
	s_or_b64 s[94:95], vcc, s[94:95]
	v_lshl_add_u64 v[6:7], v[6:7], 0, s[20:21]
	s_andn2_b64 exec, exec, s[94:95]
	s_cbranch_execnz .LBB0_108
.LBB0_109:                              ;   in Loop: Header=BB0_62 Depth=5
	s_or_b64 exec, exec, s[18:19]
.LBB0_110:                              ;   Parent Loop BB0_3 Depth=1
                                        ;     Parent Loop BB0_6 Depth=2
                                        ;       Parent Loop BB0_11 Depth=3
                                        ;         Parent Loop BB0_37 Depth=4
                                        ;           Parent Loop BB0_62 Depth=5
                                        ; =>          This Inner Loop Header: Depth=6
	v_mov_b32_e32 v6, s70
	s_and_saveexec_b64 s[18:19], s[16:17]
	s_cbranch_execz .LBB0_112
; %bb.111:                              ;   in Loop: Header=BB0_110 Depth=6
	global_load_dword v6, v[68:69], off sc1
.LBB0_112:                              ;   in Loop: Header=BB0_110 Depth=6
	s_or_b64 exec, exec, s[18:19]
	s_waitcnt vmcnt(0)
	v_readfirstlane_b32 s70, v6
	s_cmp_lg_u32 s70, 0x10100
	s_mov_b64 s[18:19], -1
	s_cbranch_scc0 .LBB0_119
; %bb.113:                              ;   in Loop: Header=BB0_110 Depth=6
	v_mov_b32_e32 v6, s69
	s_and_saveexec_b64 s[18:19], s[16:17]
	s_cbranch_execz .LBB0_117
; %bb.114:                              ;   in Loop: Header=BB0_110 Depth=6
	s_add_i32 s20, s70, 0xffffff00
	s_lshr_b32 s20, s20, 8
	v_mad_u64_u32 v[22:23], s[94:95], s20, 24, v[66:67]
	v_mov_b32_e32 v6, s22
	v_mov_b32_e32 v7, s23
	;; [unrolled: 1-line block ×3, first 2 shown]
	global_atomic_cmpswap_x2 v[6:7], v[22:23], v[6:9], off sc0
	s_waitcnt vmcnt(0)
	v_cmp_eq_u64_e32 vcc, 0, v[6:7]
	v_mov_b32_e32 v6, s69
	s_and_saveexec_b64 s[94:95], vcc
	s_cbranch_execz .LBB0_116
; %bb.115:                              ;   in Loop: Header=BB0_110 Depth=6
	buffer_wbl2 sc1
	global_atomic_add v[68:69], v48, off
	v_mov_b32_e32 v6, 0
.LBB0_116:                              ;   in Loop: Header=BB0_110 Depth=6
	s_or_b64 exec, exec, s[94:95]
.LBB0_117:                              ;   in Loop: Header=BB0_110 Depth=6
	s_or_b64 exec, exec, s[18:19]
	v_readfirstlane_b32 s18, v6
	s_cmp_eq_u32 s18, 0
	s_cbranch_scc1 .LBB0_120
; %bb.118:                              ;   in Loop: Header=BB0_110 Depth=6
	s_mov_b64 s[94:95], 0
	s_mov_b32 s69, s18
	s_sleep 2
	s_branch .LBB0_121
.LBB0_119:                              ;   in Loop: Header=BB0_110 Depth=6
	s_mov_b64 s[94:95], -1
	s_branch .LBB0_122
.LBB0_120:                              ;   in Loop: Header=BB0_110 Depth=6
	s_mov_b64 s[94:95], -1
.LBB0_121:                              ;   in Loop: Header=BB0_110 Depth=6
	s_mov_b64 s[18:19], 0
.LBB0_122:                              ;   in Loop: Header=BB0_110 Depth=6
	s_and_b64 vcc, exec, s[94:95]
	s_cbranch_vccz .LBB0_110
; %bb.123:                              ;   in Loop: Header=BB0_62 Depth=5
	s_mov_b32 s20, 0
	s_and_b64 vcc, exec, s[18:19]
	s_cbranch_vccz .LBB0_153
; %bb.124:                              ;   in Loop: Header=BB0_62 Depth=5
	s_and_saveexec_b64 s[18:19], s[16:17]
	s_cbranch_execz .LBB0_152
; %bb.125:                              ;   in Loop: Header=BB0_62 Depth=5
	s_load_dwordx2 s[94:95], s[8:9], 0x50
	v_readfirstlane_b32 s16, v98
	v_mov_b64_e32 v[6:7], 0
	s_nop 0
	v_cmp_eq_u32_e64 s[16:17], s16, v98
	s_and_saveexec_b64 s[30:31], s[16:17]
	s_cbranch_execz .LBB0_131
; %bb.126:                              ;   in Loop: Header=BB0_62 Depth=5
	s_waitcnt lgkmcnt(0)
	global_load_dwordx2 v[24:25], v8, s[94:95] offset:24 sc0 sc1
	s_waitcnt vmcnt(0)
	buffer_inv sc0 sc1
	global_load_dwordx2 v[6:7], v8, s[94:95] offset:40
	global_load_dwordx2 v[22:23], v8, s[94:95]
	s_waitcnt vmcnt(1)
	v_and_b32_e32 v6, v6, v24
	v_and_b32_e32 v7, v7, v25
	v_mul_lo_u32 v7, v7, 24
	v_mul_hi_u32 v9, v6, 24
	v_add_u32_e32 v7, v9, v7
	v_mul_lo_u32 v6, v6, 24
	s_waitcnt vmcnt(0)
	v_lshl_add_u64 v[6:7], v[22:23], 0, v[6:7]
	global_load_dwordx2 v[22:23], v[6:7], off sc0 sc1
	s_waitcnt vmcnt(0)
	global_atomic_cmpswap_x2 v[6:7], v8, v[22:25], s[94:95] offset:24 sc0 sc1
	s_waitcnt vmcnt(0)
	buffer_inv sc0 sc1
	v_cmp_ne_u64_e32 vcc, v[6:7], v[24:25]
	s_and_saveexec_b64 s[34:35], vcc
	s_cbranch_execz .LBB0_130
; %bb.127:                              ;   in Loop: Header=BB0_62 Depth=5
	s_mov_b64 s[36:37], 0
.LBB0_128:                              ;   Parent Loop BB0_3 Depth=1
                                        ;     Parent Loop BB0_6 Depth=2
                                        ;       Parent Loop BB0_11 Depth=3
                                        ;         Parent Loop BB0_37 Depth=4
                                        ;           Parent Loop BB0_62 Depth=5
                                        ; =>          This Inner Loop Header: Depth=6
	s_sleep 1
	global_load_dwordx2 v[22:23], v8, s[94:95] offset:40
	global_load_dwordx2 v[84:85], v8, s[94:95]
	v_mov_b64_e32 v[24:25], v[6:7]
	s_waitcnt vmcnt(1)
	v_and_b32_e32 v6, v22, v24
	s_waitcnt vmcnt(0)
	v_mad_u64_u32 v[6:7], vcc, v6, 24, v[84:85]
	v_and_b32_e32 v9, v23, v25
	v_mov_b32_e32 v22, v7
	v_mad_u64_u32 v[22:23], vcc, v9, 24, v[22:23]
	v_mov_b32_e32 v7, v22
	global_load_dwordx2 v[22:23], v[6:7], off sc0 sc1
	s_waitcnt vmcnt(0)
	global_atomic_cmpswap_x2 v[6:7], v8, v[22:25], s[94:95] offset:24 sc0 sc1
	s_waitcnt vmcnt(0)
	buffer_inv sc0 sc1
	v_cmp_eq_u64_e32 vcc, v[6:7], v[24:25]
	s_or_b64 s[36:37], vcc, s[36:37]
	s_andn2_b64 exec, exec, s[36:37]
	s_cbranch_execnz .LBB0_128
; %bb.129:                              ;   in Loop: Header=BB0_62 Depth=5
	s_or_b64 exec, exec, s[36:37]
.LBB0_130:                              ;   in Loop: Header=BB0_62 Depth=5
	s_or_b64 exec, exec, s[34:35]
.LBB0_131:                              ;   in Loop: Header=BB0_62 Depth=5
	s_or_b64 exec, exec, s[30:31]
	s_waitcnt lgkmcnt(0)
	global_load_dwordx2 v[84:85], v8, s[94:95] offset:40
	global_load_dwordx4 v[22:25], v8, s[94:95]
	v_readfirstlane_b32 s31, v7
	v_readfirstlane_b32 s30, v6
	s_mov_b64 vcc, exec
	s_waitcnt vmcnt(1)
	v_readfirstlane_b32 s34, v84
	v_readfirstlane_b32 s35, v85
	s_and_b64 s[34:35], s[34:35], s[30:31]
	s_mul_i32 s20, s35, 24
	s_mul_hi_u32 s36, s34, 24
	s_add_i32 s37, s36, s20
	s_mul_i32 s36, s34, 24
	s_waitcnt vmcnt(0)
	v_lshl_add_u64 v[6:7], v[22:23], 0, s[36:37]
	s_and_saveexec_b64 s[36:37], s[16:17]
	s_cbranch_execz .LBB0_133
; %bb.132:                              ;   in Loop: Header=BB0_62 Depth=5
	v_mov_b64_e32 v[112:113], vcc
	global_store_dwordx4 v[6:7], v[112:115], off offset:8
.LBB0_133:                              ;   in Loop: Header=BB0_62 Depth=5
	s_or_b64 exec, exec, s[36:37]
	s_lshl_b64 vcc, s[34:35], 12
	v_lshl_add_u64 v[24:25], v[24:25], 0, vcc
	v_lshlrev_b32_e32 v9, 6, v98
	v_mov_b64_e32 v[84:85], s[22:23]
	v_readfirstlane_b32 s34, v24
	v_readfirstlane_b32 s35, v25
	s_mov_b32 s22, s21
	s_mov_b32 s23, s21
	s_mov_b32 s20, s21
	s_nop 1
	global_store_dwordx2 v9, v[84:85], s[34:35]
	v_mov_b64_e32 v[86:87], s[22:23]
	v_mov_b64_e32 v[84:85], s[20:21]
	global_store_dwordx4 v9, v[84:87], s[34:35] offset:8
	global_store_dwordx4 v9, v[84:87], s[34:35] offset:24
	;; [unrolled: 1-line block ×3, first 2 shown]
	global_store_dwordx2 v9, v[50:51], s[34:35] offset:56
	s_and_saveexec_b64 s[22:23], s[16:17]
	s_cbranch_execz .LBB0_141
; %bb.134:                              ;   in Loop: Header=BB0_62 Depth=5
	global_load_dwordx2 v[118:119], v8, s[94:95] offset:32 sc0 sc1
	global_load_dwordx2 v[24:25], v8, s[94:95] offset:40
	v_mov_b32_e32 v116, s30
	v_mov_b32_e32 v117, s31
	s_waitcnt vmcnt(0)
	v_and_b32_e32 v9, s30, v24
	v_and_b32_e32 v24, s31, v25
	v_mul_lo_u32 v25, v24, 24
	v_mul_hi_u32 v49, v9, 24
	v_mul_lo_u32 v24, v9, 24
	v_add_u32_e32 v25, v49, v25
	v_lshl_add_u64 v[84:85], v[22:23], 0, v[24:25]
	global_store_dwordx2 v[84:85], v[118:119], off
	buffer_wbl2 sc0 sc1
	s_waitcnt vmcnt(0)
	global_atomic_cmpswap_x2 v[24:25], v8, v[116:119], s[94:95] offset:32 sc0 sc1
	s_waitcnt vmcnt(0)
	v_cmp_ne_u64_e32 vcc, v[24:25], v[118:119]
	s_and_saveexec_b64 s[34:35], vcc
	s_cbranch_execz .LBB0_137
; %bb.135:                              ;   in Loop: Header=BB0_62 Depth=5
	s_mov_b64 s[36:37], 0
.LBB0_136:                              ;   Parent Loop BB0_3 Depth=1
                                        ;     Parent Loop BB0_6 Depth=2
                                        ;       Parent Loop BB0_11 Depth=3
                                        ;         Parent Loop BB0_37 Depth=4
                                        ;           Parent Loop BB0_62 Depth=5
                                        ; =>          This Inner Loop Header: Depth=6
	s_sleep 1
	global_store_dwordx2 v[84:85], v[24:25], off
	v_mov_b32_e32 v22, s30
	v_mov_b32_e32 v23, s31
	buffer_wbl2 sc0 sc1
	s_waitcnt vmcnt(0)
	global_atomic_cmpswap_x2 v[22:23], v8, v[22:25], s[94:95] offset:32 sc0 sc1
	s_waitcnt vmcnt(0)
	v_cmp_eq_u64_e32 vcc, v[22:23], v[24:25]
	s_or_b64 s[36:37], vcc, s[36:37]
	v_mov_b64_e32 v[24:25], v[22:23]
	s_andn2_b64 exec, exec, s[36:37]
	s_cbranch_execnz .LBB0_136
.LBB0_137:                              ;   in Loop: Header=BB0_62 Depth=5
	s_or_b64 exec, exec, s[34:35]
	global_load_dwordx2 v[22:23], v8, s[94:95] offset:16
	s_mov_b64 s[36:37], exec
	v_mbcnt_lo_u32_b32 v9, s36, 0
	v_mbcnt_hi_u32_b32 v9, s37, v9
	v_cmp_eq_u32_e32 vcc, 0, v9
	s_and_saveexec_b64 s[34:35], vcc
	s_cbranch_execz .LBB0_139
; %bb.138:                              ;   in Loop: Header=BB0_62 Depth=5
	s_bcnt1_i32_b64 s20, s[36:37]
	v_mov_b32_e32 v24, s20
	v_mov_b32_e32 v25, v8
	buffer_wbl2 sc0 sc1
	s_waitcnt vmcnt(0)
	global_atomic_add_x2 v[22:23], v[24:25], off offset:8 sc1
.LBB0_139:                              ;   in Loop: Header=BB0_62 Depth=5
	s_or_b64 exec, exec, s[34:35]
	s_waitcnt vmcnt(0)
	global_load_dwordx2 v[24:25], v[22:23], off offset:16
	s_waitcnt vmcnt(0)
	v_cmp_eq_u64_e32 vcc, 0, v[24:25]
	s_cbranch_vccnz .LBB0_141
; %bb.140:                              ;   in Loop: Header=BB0_62 Depth=5
	global_load_dword v22, v[22:23], off offset:24
	v_mov_b32_e32 v23, v8
	s_waitcnt vmcnt(0)
	v_readfirstlane_b32 s20, v22
	s_and_b32 m0, s20, 0xffffff
	buffer_wbl2 sc0 sc1
	global_store_dwordx2 v[24:25], v[22:23], off sc0 sc1
	s_sendmsg sendmsg(MSG_INTERRUPT)
.LBB0_141:                              ;   in Loop: Header=BB0_62 Depth=5
	s_or_b64 exec, exec, s[22:23]
.LBB0_142:                              ;   Parent Loop BB0_3 Depth=1
                                        ;     Parent Loop BB0_6 Depth=2
                                        ;       Parent Loop BB0_11 Depth=3
                                        ;         Parent Loop BB0_37 Depth=4
                                        ;           Parent Loop BB0_62 Depth=5
                                        ; =>          This Inner Loop Header: Depth=6
	v_mov_b32_e32 v9, 1
	s_and_saveexec_b64 s[22:23], s[16:17]
	s_cbranch_execz .LBB0_144
; %bb.143:                              ;   in Loop: Header=BB0_142 Depth=6
	global_load_dword v9, v[6:7], off offset:20 sc0 sc1
	s_waitcnt vmcnt(0)
	buffer_inv sc0 sc1
	v_and_b32_e32 v9, 1, v9
.LBB0_144:                              ;   in Loop: Header=BB0_142 Depth=6
	s_or_b64 exec, exec, s[22:23]
	v_readfirstlane_b32 s20, v9
	s_cmp_eq_u32 s20, 0
	s_cbranch_scc1 .LBB0_146
; %bb.145:                              ;   in Loop: Header=BB0_142 Depth=6
	s_mov_b64 s[22:23], 0
	s_sleep 1
	s_branch .LBB0_147
.LBB0_146:                              ;   in Loop: Header=BB0_142 Depth=6
	s_mov_b64 s[22:23], -1
.LBB0_147:                              ;   in Loop: Header=BB0_142 Depth=6
	s_andn2_b64 vcc, exec, s[22:23]
	s_cbranch_vccnz .LBB0_142
; %bb.148:                              ;   in Loop: Header=BB0_62 Depth=5
	s_and_b64 exec, exec, s[16:17]
	s_cbranch_execz .LBB0_152
; %bb.149:                              ;   in Loop: Header=BB0_62 Depth=5
	global_load_dwordx2 v[6:7], v8, s[94:95] offset:40
	global_load_dwordx2 v[86:87], v8, s[94:95] offset:24 sc0 sc1
	global_load_dwordx2 v[22:23], v8, s[94:95]
	s_waitcnt vmcnt(2)
	v_readfirstlane_b32 s22, v6
	v_readfirstlane_b32 s23, v7
	s_add_u32 s20, s22, 1
	s_addc_u32 vcc_lo, s23, 0
	s_add_u32 s16, s20, s30
	s_addc_u32 s17, vcc_lo, s31
	s_cmp_eq_u64 s[16:17], 0
	s_cselect_b32 s17, vcc_lo, s17
	s_cselect_b32 s16, s20, s16
	s_and_b64 s[22:23], s[16:17], s[22:23]
	s_mul_i32 s20, s23, 24
	s_mul_hi_u32 s23, s22, 24
	s_mul_i32 s22, s22, 24
	s_add_i32 s23, s23, s20
	s_waitcnt vmcnt(0)
	v_lshl_add_u64 v[6:7], v[22:23], 0, s[22:23]
	v_mov_b32_e32 v84, s16
	global_store_dwordx2 v[6:7], v[86:87], off
	v_mov_b32_e32 v85, s17
	buffer_wbl2 sc0 sc1
	s_waitcnt vmcnt(0)
	global_atomic_cmpswap_x2 v[24:25], v8, v[84:87], s[94:95] offset:24 sc0 sc1
	s_waitcnt vmcnt(0)
	v_cmp_ne_u64_e32 vcc, v[24:25], v[86:87]
	s_and_b64 exec, exec, vcc
	s_cbranch_execz .LBB0_152
; %bb.150:                              ;   in Loop: Header=BB0_62 Depth=5
	s_mov_b64 s[22:23], 0
.LBB0_151:                              ;   Parent Loop BB0_3 Depth=1
                                        ;     Parent Loop BB0_6 Depth=2
                                        ;       Parent Loop BB0_11 Depth=3
                                        ;         Parent Loop BB0_37 Depth=4
                                        ;           Parent Loop BB0_62 Depth=5
                                        ; =>          This Inner Loop Header: Depth=6
	s_sleep 1
	global_store_dwordx2 v[6:7], v[24:25], off
	v_mov_b32_e32 v22, s16
	v_mov_b32_e32 v23, s17
	buffer_wbl2 sc0 sc1
	s_waitcnt vmcnt(0)
	global_atomic_cmpswap_x2 v[22:23], v8, v[22:25], s[94:95] offset:24 sc0 sc1
	s_waitcnt vmcnt(0)
	v_cmp_eq_u64_e32 vcc, v[22:23], v[24:25]
	s_or_b64 s[22:23], vcc, s[22:23]
	v_mov_b64_e32 v[24:25], v[22:23]
	s_andn2_b64 exec, exec, s[22:23]
	s_cbranch_execnz .LBB0_151
.LBB0_152:                              ;   in Loop: Header=BB0_62 Depth=5
	s_or_b64 exec, exec, s[18:19]
	s_mov_b32 s20, s69
.LBB0_153:                              ;   in Loop: Header=BB0_62 Depth=5
	s_mov_b32 s69, s20
.LBB0_154:                              ;   in Loop: Header=BB0_62 Depth=5
	s_mov_b32 s20, s69
.LBB0_155:                              ;   in Loop: Header=BB0_62 Depth=5
	s_cmp_eq_u32 s20, 0
	s_cselect_b64 s[16:17], -1, 0
	s_and_b64 vcc, exec, s[16:17]
	s_cbranch_vccnz .LBB0_176
; %bb.156:                              ;   in Loop: Header=BB0_62 Depth=5
	v_mbcnt_lo_u32_b32 v6, exec_lo, 0
	v_mbcnt_hi_u32_b32 v6, exec_hi, v6
	v_cmp_eq_u32_e32 vcc, 0, v6
	s_and_saveexec_b64 s[18:19], vcc
	s_cbranch_execz .LBB0_173
; %bb.157:                              ;   in Loop: Header=BB0_62 Depth=5
	global_load_dwordx2 v[6:7], v[70:71], off sc1
	s_memrealtime s[22:23]
	s_waitcnt lgkmcnt(0)
	v_mov_b32_e32 v9, s23
	s_waitcnt vmcnt(0)
	v_sub_co_u32_e32 v6, vcc, s22, v6
	s_nop 1
	v_subb_co_u32_e32 v7, vcc, v9, v7, vcc
	v_cmp_gt_u64_e32 vcc, s[62:63], v[6:7]
	s_and_b64 exec, exec, vcc
	s_cbranch_execz .LBB0_173
; %bb.158:                              ;   in Loop: Header=BB0_62 Depth=5
	s_memrealtime s[94:95]
	v_readfirstlane_b32 s22, v6
	s_sub_i32 s22, 0x7530, s22
	s_waitcnt lgkmcnt(0)
	s_add_u32 s22, s22, s94
	s_addc_u32 s23, 0, s95
	s_add_u32 vcc_lo, s94, 0x659
	s_addc_u32 vcc_hi, 0, s95
.LBB0_159:                              ;   Parent Loop BB0_3 Depth=1
                                        ;     Parent Loop BB0_6 Depth=2
                                        ;       Parent Loop BB0_11 Depth=3
                                        ;         Parent Loop BB0_37 Depth=4
                                        ;           Parent Loop BB0_62 Depth=5
                                        ; =>          This Inner Loop Header: Depth=6
	v_mov_b64_e32 v[6:7], vcc
	v_cmp_le_u64_e32 vcc, s[22:23], v[6:7]
	s_cbranch_vccnz .LBB0_162
; %bb.160:                              ;   in Loop: Header=BB0_159 Depth=6
	s_sleep 0x7f
	s_memrealtime s[94:95]
	s_waitcnt lgkmcnt(0)
	s_add_u32 vcc_lo, s94, 0x659
	s_addc_u32 vcc_hi, s95, 0
	s_branch .LBB0_159
.LBB0_161:                              ;   in Loop: Header=BB0_162 Depth=6
	s_sleep 63
	s_memrealtime s[94:95]
.LBB0_162:                              ;   Parent Loop BB0_3 Depth=1
                                        ;     Parent Loop BB0_6 Depth=2
                                        ;       Parent Loop BB0_11 Depth=3
                                        ;         Parent Loop BB0_37 Depth=4
                                        ;           Parent Loop BB0_62 Depth=5
                                        ; =>          This Inner Loop Header: Depth=6
	s_waitcnt lgkmcnt(0)
	s_add_u32 vcc_lo, s94, 0x326
	s_addc_u32 vcc_hi, s95, 0
	v_mov_b64_e32 v[6:7], vcc
	v_cmp_le_u64_e32 vcc, s[22:23], v[6:7]
	s_cbranch_vccz .LBB0_161
; %bb.163:                              ;   in Loop: Header=BB0_62 Depth=5
	s_add_u32 vcc_lo, s94, 0x18c
	s_addc_u32 vcc_hi, s95, 0
	v_mov_b64_e32 v[6:7], vcc
	v_cmp_le_u64_e32 vcc, s[22:23], v[6:7]
	s_cbranch_vccnz .LBB0_166
.LBB0_164:                              ;   Parent Loop BB0_3 Depth=1
                                        ;     Parent Loop BB0_6 Depth=2
                                        ;       Parent Loop BB0_11 Depth=3
                                        ;         Parent Loop BB0_37 Depth=4
                                        ;           Parent Loop BB0_62 Depth=5
                                        ; =>          This Inner Loop Header: Depth=6
	s_sleep 31
	s_memrealtime s[94:95]
	s_waitcnt lgkmcnt(0)
	s_add_u32 vcc_lo, s94, 0x18c
	s_addc_u32 vcc_hi, s95, 0
	v_mov_b64_e32 v[6:7], vcc
	v_cmp_gt_u64_e32 vcc, s[22:23], v[6:7]
	s_cbranch_vccnz .LBB0_164
	s_branch .LBB0_166
.LBB0_165:                              ;   in Loop: Header=BB0_166 Depth=6
	s_sleep 15
	s_memrealtime s[94:95]
.LBB0_166:                              ;   Parent Loop BB0_3 Depth=1
                                        ;     Parent Loop BB0_6 Depth=2
                                        ;       Parent Loop BB0_11 Depth=3
                                        ;         Parent Loop BB0_37 Depth=4
                                        ;           Parent Loop BB0_62 Depth=5
                                        ; =>          This Inner Loop Header: Depth=6
	s_waitcnt lgkmcnt(0)
	s_add_u32 vcc_lo, s94, 0xc0
	s_addc_u32 vcc_hi, s95, 0
	v_mov_b64_e32 v[6:7], vcc
	v_cmp_le_u64_e32 vcc, s[22:23], v[6:7]
	s_cbranch_vccz .LBB0_165
	s_branch .LBB0_168
.LBB0_167:                              ;   in Loop: Header=BB0_168 Depth=6
	s_sleep 7
	s_memrealtime s[94:95]
.LBB0_168:                              ;   Parent Loop BB0_3 Depth=1
                                        ;     Parent Loop BB0_6 Depth=2
                                        ;       Parent Loop BB0_11 Depth=3
                                        ;         Parent Loop BB0_37 Depth=4
                                        ;           Parent Loop BB0_62 Depth=5
                                        ; =>          This Inner Loop Header: Depth=6
	s_waitcnt lgkmcnt(0)
	s_add_u32 vcc_lo, s94, 0x59
	s_addc_u32 vcc_hi, s95, 0
	v_mov_b64_e32 v[6:7], vcc
	v_cmp_le_u64_e32 vcc, s[22:23], v[6:7]
	s_cbranch_vccz .LBB0_167
	;; [unrolled: 16-line block ×3, first 2 shown]
; %bb.171:                              ;   in Loop: Header=BB0_62 Depth=5
	v_mov_b64_e32 v[6:7], s[94:95]
	v_cmp_le_u64_e32 vcc, s[22:23], v[6:7]
	s_cbranch_vccnz .LBB0_173
.LBB0_172:                              ;   Parent Loop BB0_3 Depth=1
                                        ;     Parent Loop BB0_6 Depth=2
                                        ;       Parent Loop BB0_11 Depth=3
                                        ;         Parent Loop BB0_37 Depth=4
                                        ;           Parent Loop BB0_62 Depth=5
                                        ; =>          This Inner Loop Header: Depth=6
	s_sleep 1
	s_memrealtime s[94:95]
	s_waitcnt lgkmcnt(0)
	v_mov_b64_e32 v[6:7], s[94:95]
	v_cmp_gt_u64_e32 vcc, s[22:23], v[6:7]
	s_cbranch_vccnz .LBB0_172
.LBB0_173:                              ;   in Loop: Header=BB0_62 Depth=5
	s_or_b64 exec, exec, s[18:19]
	s_cmp_lg_u32 s20, 2
	s_cselect_b64 s[18:19], -1, 0
	v_cndmask_b32_e64 v82, 0, 1, s[18:19]
	v_mov_b32_e32 v83, s21
	s_branch .LBB0_176
.LBB0_174:                              ;   in Loop: Header=BB0_62 Depth=5
	s_mov_b64 s[22:23], 0
	v_mov_b64_e32 v[82:83], 0
	s_branch .LBB0_183
.LBB0_175:                              ;   in Loop: Header=BB0_62 Depth=5
	s_mov_b64 s[16:17], -1
.LBB0_176:                              ;   in Loop: Header=BB0_62 Depth=5
	s_mov_b64 s[22:23], 0
	s_and_b64 vcc, exec, s[16:17]
	s_cbranch_vccz .LBB0_183
; %bb.177:                              ;   in Loop: Header=BB0_62 Depth=5
	v_mov_b32_e32 v6, 1
	s_and_saveexec_b64 s[16:17], s[14:15]
	s_cbranch_execz .LBB0_181
; %bb.178:                              ;   in Loop: Header=BB0_62 Depth=5
	global_load_dwordx2 v[24:25], v[80:81], off sc1
	s_memrealtime s[22:23]
	s_waitcnt lgkmcnt(0)
	v_mov_b32_e32 v7, s23
	s_waitcnt vmcnt(0)
	v_sub_co_u32_e32 v6, vcc, s22, v24
	s_nop 1
	v_subb_co_u32_e32 v7, vcc, v7, v25, vcc
	v_cmp_lt_u64_e32 vcc, s[72:73], v[6:7]
	v_mov_b32_e32 v6, 1
	s_and_saveexec_b64 s[18:19], vcc
	s_cbranch_execz .LBB0_180
; %bb.179:                              ;   in Loop: Header=BB0_62 Depth=5
	v_mov_b32_e32 v22, s22
	v_mov_b32_e32 v23, s23
	global_atomic_cmpswap_x2 v[6:7], v[80:81], v[22:25], off sc0
	s_waitcnt vmcnt(0)
	v_cmp_ne_u64_e32 vcc, v[6:7], v[24:25]
	s_nop 1
	v_cndmask_b32_e64 v6, 0, 1, vcc
.LBB0_180:                              ;   in Loop: Header=BB0_62 Depth=5
	s_or_b64 exec, exec, s[18:19]
.LBB0_181:                              ;   in Loop: Header=BB0_62 Depth=5
	s_or_b64 exec, exec, s[16:17]
	v_readfirstlane_b32 s20, v6
	s_mov_b64 s[22:23], 0
	s_cmp_lg_u64 s[20:21], 0
	v_mov_b64_e32 v[102:103], s[20:21]
	s_cbranch_scc0 .LBB0_184
.LBB0_182:                              ;   in Loop: Header=BB0_62 Depth=5
	v_mov_b64_e32 v[82:83], v[102:103]
.LBB0_183:                              ;   in Loop: Header=BB0_62 Depth=5
	s_xor_b64 s[16:17], s[22:23], -1
	s_andn2_b64 vcc, exec, s[16:17]
	s_cbranch_vccnz .LBB0_62
	s_branch .LBB0_292
.LBB0_184:                              ;   in Loop: Header=BB0_62 Depth=5
	v_mov_b64_e32 v[102:103], 0
	v_mov_b64_e32 v[6:7], 0
	s_and_saveexec_b64 s[18:19], s[14:15]
	s_cbranch_execz .LBB0_219
; %bb.185:                              ;   in Loop: Header=BB0_62 Depth=5
	global_load_dwordx2 v[6:7], v8, s[56:57] sc1
	global_load_dwordx2 v[22:23], v8, s[58:59]
	s_mov_b64 s[16:17], -1
	s_waitcnt vmcnt(0)
	v_cmp_ge_u64_e32 vcc, v[6:7], v[22:23]
                                        ; implicit-def: $vgpr6_vgpr7
	s_cbranch_vccnz .LBB0_189
; %bb.186:                              ;   in Loop: Header=BB0_62 Depth=5
	s_mov_b64 s[22:23], exec
	v_mbcnt_lo_u32_b32 v6, s22, 0
	v_mbcnt_hi_u32_b32 v9, s23, v6
	v_cmp_eq_u32_e32 vcc, 0, v9
                                        ; implicit-def: $vgpr6_vgpr7
	s_and_saveexec_b64 s[16:17], vcc
	s_cbranch_execz .LBB0_188
; %bb.187:                              ;   in Loop: Header=BB0_62 Depth=5
	s_bcnt1_i32_b64 s20, s[22:23]
	s_lshl_b32 s20, s20, 21
	v_mov_b32_e32 v6, s20
	v_mov_b32_e32 v7, v8
	global_atomic_add_x2 v[6:7], v8, v[6:7], s[56:57] sc0
.LBB0_188:                              ;   in Loop: Header=BB0_62 Depth=5
	s_or_b64 exec, exec, s[16:17]
	s_waitcnt vmcnt(0)
	v_readfirstlane_b32 s16, v7
	v_readfirstlane_b32 s17, v6
	s_nop 0
	v_mov_b32_e32 v7, s16
	v_mov_b32_e32 v6, s17
	v_mad_u64_u32 v[6:7], s[16:17], v9, s54, v[6:7]
	v_cmp_ge_u64_e64 s[16:17], v[6:7], v[22:23]
.LBB0_189:                              ;   in Loop: Header=BB0_62 Depth=5
	s_and_saveexec_b64 s[94:95], s[16:17]
	s_cbranch_execz .LBB0_218
; %bb.190:                              ;   in Loop: Header=BB0_62 Depth=5
	s_load_dwordx2 s[30:31], s[8:9], 0x50
	v_readfirstlane_b32 s16, v98
	v_mov_b64_e32 v[6:7], 0
	s_nop 0
	v_cmp_eq_u32_e64 s[16:17], s16, v98
	s_and_saveexec_b64 s[22:23], s[16:17]
	s_cbranch_execz .LBB0_196
; %bb.191:                              ;   in Loop: Header=BB0_62 Depth=5
	s_waitcnt lgkmcnt(0)
	global_load_dwordx2 v[24:25], v8, s[30:31] offset:24 sc0 sc1
	s_waitcnt vmcnt(0)
	buffer_inv sc0 sc1
	global_load_dwordx2 v[6:7], v8, s[30:31] offset:40
	global_load_dwordx2 v[22:23], v8, s[30:31]
	s_waitcnt vmcnt(1)
	v_and_b32_e32 v6, v6, v24
	v_and_b32_e32 v7, v7, v25
	v_mul_lo_u32 v7, v7, 24
	v_mul_hi_u32 v9, v6, 24
	v_add_u32_e32 v7, v9, v7
	v_mul_lo_u32 v6, v6, 24
	s_waitcnt vmcnt(0)
	v_lshl_add_u64 v[6:7], v[22:23], 0, v[6:7]
	global_load_dwordx2 v[22:23], v[6:7], off sc0 sc1
	s_waitcnt vmcnt(0)
	global_atomic_cmpswap_x2 v[6:7], v8, v[22:25], s[30:31] offset:24 sc0 sc1
	s_waitcnt vmcnt(0)
	buffer_inv sc0 sc1
	v_cmp_ne_u64_e32 vcc, v[6:7], v[24:25]
	s_and_saveexec_b64 s[34:35], vcc
	s_cbranch_execz .LBB0_195
; %bb.192:                              ;   in Loop: Header=BB0_62 Depth=5
	s_mov_b64 s[36:37], 0
.LBB0_193:                              ;   Parent Loop BB0_3 Depth=1
                                        ;     Parent Loop BB0_6 Depth=2
                                        ;       Parent Loop BB0_11 Depth=3
                                        ;         Parent Loop BB0_37 Depth=4
                                        ;           Parent Loop BB0_62 Depth=5
                                        ; =>          This Inner Loop Header: Depth=6
	s_sleep 1
	global_load_dwordx2 v[22:23], v8, s[30:31] offset:40
	global_load_dwordx2 v[84:85], v8, s[30:31]
	v_mov_b64_e32 v[24:25], v[6:7]
	s_waitcnt vmcnt(1)
	v_and_b32_e32 v6, v22, v24
	s_waitcnt vmcnt(0)
	v_mad_u64_u32 v[6:7], vcc, v6, 24, v[84:85]
	v_and_b32_e32 v9, v23, v25
	v_mov_b32_e32 v22, v7
	v_mad_u64_u32 v[22:23], vcc, v9, 24, v[22:23]
	v_mov_b32_e32 v7, v22
	global_load_dwordx2 v[22:23], v[6:7], off sc0 sc1
	s_waitcnt vmcnt(0)
	global_atomic_cmpswap_x2 v[6:7], v8, v[22:25], s[30:31] offset:24 sc0 sc1
	s_waitcnt vmcnt(0)
	buffer_inv sc0 sc1
	v_cmp_eq_u64_e32 vcc, v[6:7], v[24:25]
	s_or_b64 s[36:37], vcc, s[36:37]
	s_andn2_b64 exec, exec, s[36:37]
	s_cbranch_execnz .LBB0_193
; %bb.194:                              ;   in Loop: Header=BB0_62 Depth=5
	s_or_b64 exec, exec, s[36:37]
.LBB0_195:                              ;   in Loop: Header=BB0_62 Depth=5
	s_or_b64 exec, exec, s[34:35]
.LBB0_196:                              ;   in Loop: Header=BB0_62 Depth=5
	s_or_b64 exec, exec, s[22:23]
	s_waitcnt lgkmcnt(0)
	global_load_dwordx2 v[84:85], v8, s[30:31] offset:40
	global_load_dwordx4 v[22:25], v8, s[30:31]
	v_readfirstlane_b32 s35, v7
	v_readfirstlane_b32 s34, v6
	s_mov_b64 s[22:23], exec
	s_waitcnt vmcnt(1)
	v_readfirstlane_b32 vcc_lo, v84
	v_readfirstlane_b32 vcc_hi, v85
	s_and_b64 vcc, vcc, s[34:35]
	s_mul_i32 s20, vcc_hi, 24
	s_mul_hi_u32 s36, vcc_lo, 24
	s_add_i32 s37, s36, s20
	s_mul_i32 s36, vcc_lo, 24
	s_waitcnt vmcnt(0)
	v_lshl_add_u64 v[6:7], v[22:23], 0, s[36:37]
	s_and_saveexec_b64 s[36:37], s[16:17]
	s_cbranch_execz .LBB0_198
; %bb.197:                              ;   in Loop: Header=BB0_62 Depth=5
	v_mov_b64_e32 v[112:113], s[22:23]
	global_store_dwordx4 v[6:7], v[112:115], off offset:8
.LBB0_198:                              ;   in Loop: Header=BB0_62 Depth=5
	s_or_b64 exec, exec, s[36:37]
	s_lshl_b64 s[22:23], vcc, 12
	v_lshl_add_u64 v[84:85], v[24:25], 0, s[22:23]
	s_mov_b32 s22, s21
	s_mov_b32 s23, s21
	;; [unrolled: 1-line block ×3, first 2 shown]
	v_mov_b64_e32 v[118:119], s[22:23]
	v_lshlrev_b32_e32 v86, 6, v98
	v_readfirstlane_b32 s36, v84
	v_readfirstlane_b32 s37, v85
	v_mov_b64_e32 v[116:117], s[20:21]
	s_nop 3
	global_store_dwordx4 v86, v[14:17], s[36:37]
	global_store_dwordx4 v86, v[116:119], s[36:37] offset:16
	global_store_dwordx4 v86, v[116:119], s[36:37] offset:32
	;; [unrolled: 1-line block ×3, first 2 shown]
	s_and_saveexec_b64 s[22:23], s[16:17]
	s_cbranch_execz .LBB0_206
; %bb.199:                              ;   in Loop: Header=BB0_62 Depth=5
	global_load_dwordx2 v[118:119], v8, s[30:31] offset:32 sc0 sc1
	global_load_dwordx2 v[24:25], v8, s[30:31] offset:40
	v_mov_b32_e32 v116, s34
	v_mov_b32_e32 v117, s35
	s_waitcnt vmcnt(0)
	v_and_b32_e32 v9, s34, v24
	v_and_b32_e32 v24, s35, v25
	v_mul_lo_u32 v25, v24, 24
	v_mul_hi_u32 v49, v9, 24
	v_mul_lo_u32 v24, v9, 24
	v_add_u32_e32 v25, v49, v25
	v_lshl_add_u64 v[96:97], v[22:23], 0, v[24:25]
	global_store_dwordx2 v[96:97], v[118:119], off
	buffer_wbl2 sc0 sc1
	s_waitcnt vmcnt(0)
	global_atomic_cmpswap_x2 v[24:25], v8, v[116:119], s[30:31] offset:32 sc0 sc1
	s_waitcnt vmcnt(0)
	v_cmp_ne_u64_e32 vcc, v[24:25], v[118:119]
	s_and_saveexec_b64 s[36:37], vcc
	s_cbranch_execz .LBB0_202
; %bb.200:                              ;   in Loop: Header=BB0_62 Depth=5
	s_mov_b64 s[38:39], 0
.LBB0_201:                              ;   Parent Loop BB0_3 Depth=1
                                        ;     Parent Loop BB0_6 Depth=2
                                        ;       Parent Loop BB0_11 Depth=3
                                        ;         Parent Loop BB0_37 Depth=4
                                        ;           Parent Loop BB0_62 Depth=5
                                        ; =>          This Inner Loop Header: Depth=6
	s_sleep 1
	global_store_dwordx2 v[96:97], v[24:25], off
	v_mov_b32_e32 v22, s34
	v_mov_b32_e32 v23, s35
	buffer_wbl2 sc0 sc1
	s_waitcnt vmcnt(0)
	global_atomic_cmpswap_x2 v[22:23], v8, v[22:25], s[30:31] offset:32 sc0 sc1
	s_waitcnt vmcnt(0)
	v_cmp_eq_u64_e32 vcc, v[22:23], v[24:25]
	s_or_b64 s[38:39], vcc, s[38:39]
	v_mov_b64_e32 v[24:25], v[22:23]
	s_andn2_b64 exec, exec, s[38:39]
	s_cbranch_execnz .LBB0_201
.LBB0_202:                              ;   in Loop: Header=BB0_62 Depth=5
	s_or_b64 exec, exec, s[36:37]
	global_load_dwordx2 v[22:23], v8, s[30:31] offset:16
	s_mov_b64 s[38:39], exec
	v_mbcnt_lo_u32_b32 v9, s38, 0
	v_mbcnt_hi_u32_b32 v9, s39, v9
	v_cmp_eq_u32_e32 vcc, 0, v9
	s_and_saveexec_b64 s[36:37], vcc
	s_cbranch_execz .LBB0_204
; %bb.203:                              ;   in Loop: Header=BB0_62 Depth=5
	s_bcnt1_i32_b64 s20, s[38:39]
	v_mov_b32_e32 v24, s20
	v_mov_b32_e32 v25, v8
	buffer_wbl2 sc0 sc1
	s_waitcnt vmcnt(0)
	global_atomic_add_x2 v[22:23], v[24:25], off offset:8 sc1
.LBB0_204:                              ;   in Loop: Header=BB0_62 Depth=5
	s_or_b64 exec, exec, s[36:37]
	s_waitcnt vmcnt(0)
	global_load_dwordx2 v[24:25], v[22:23], off offset:16
	s_waitcnt vmcnt(0)
	v_cmp_eq_u64_e32 vcc, 0, v[24:25]
	s_cbranch_vccnz .LBB0_206
; %bb.205:                              ;   in Loop: Header=BB0_62 Depth=5
	global_load_dword v22, v[22:23], off offset:24
	v_mov_b32_e32 v23, v8
	s_waitcnt vmcnt(0)
	v_readfirstlane_b32 s20, v22
	s_and_b32 m0, s20, 0xffffff
	buffer_wbl2 sc0 sc1
	global_store_dwordx2 v[24:25], v[22:23], off sc0 sc1
	s_sendmsg sendmsg(MSG_INTERRUPT)
.LBB0_206:                              ;   in Loop: Header=BB0_62 Depth=5
	s_or_b64 exec, exec, s[22:23]
	v_mov_b32_e32 v87, v8
	v_lshl_add_u64 v[22:23], v[84:85], 0, v[86:87]
.LBB0_207:                              ;   Parent Loop BB0_3 Depth=1
                                        ;     Parent Loop BB0_6 Depth=2
                                        ;       Parent Loop BB0_11 Depth=3
                                        ;         Parent Loop BB0_37 Depth=4
                                        ;           Parent Loop BB0_62 Depth=5
                                        ; =>          This Inner Loop Header: Depth=6
	v_mov_b32_e32 v9, 1
	s_and_saveexec_b64 s[22:23], s[16:17]
	s_cbranch_execz .LBB0_209
; %bb.208:                              ;   in Loop: Header=BB0_207 Depth=6
	global_load_dword v9, v[6:7], off offset:20 sc0 sc1
	s_waitcnt vmcnt(0)
	buffer_inv sc0 sc1
	v_and_b32_e32 v9, 1, v9
.LBB0_209:                              ;   in Loop: Header=BB0_207 Depth=6
	s_or_b64 exec, exec, s[22:23]
	v_readfirstlane_b32 s20, v9
	s_cmp_eq_u32 s20, 0
	s_cbranch_scc1 .LBB0_211
; %bb.210:                              ;   in Loop: Header=BB0_207 Depth=6
	s_mov_b64 s[22:23], 0
	s_sleep 1
	s_branch .LBB0_212
.LBB0_211:                              ;   in Loop: Header=BB0_207 Depth=6
	s_mov_b64 s[22:23], -1
.LBB0_212:                              ;   in Loop: Header=BB0_207 Depth=6
	s_andn2_b64 vcc, exec, s[22:23]
	s_cbranch_vccnz .LBB0_207
; %bb.213:                              ;   in Loop: Header=BB0_62 Depth=5
	global_load_dwordx2 v[6:7], v[22:23], off
	s_and_saveexec_b64 s[22:23], s[16:17]
	s_cbranch_execz .LBB0_217
; %bb.214:                              ;   in Loop: Header=BB0_62 Depth=5
	global_load_dwordx2 v[22:23], v8, s[30:31] offset:40
	global_load_dwordx2 v[118:119], v8, s[30:31] offset:24 sc0 sc1
	global_load_dwordx2 v[24:25], v8, s[30:31]
	s_waitcnt vmcnt(2)
	v_readfirstlane_b32 vcc_lo, v22
	v_readfirstlane_b32 vcc_hi, v23
	s_add_u32 s20, vcc_lo, 1
	s_addc_u32 s36, vcc_hi, 0
	s_add_u32 s16, s20, s34
	s_addc_u32 s17, s36, s35
	s_cmp_eq_u64 s[16:17], 0
	s_cselect_b32 s17, s36, s17
	s_cselect_b32 s16, s20, s16
	s_and_b64 vcc, s[16:17], vcc
	s_mul_i32 s20, vcc_hi, 24
	s_mul_hi_u32 vcc_hi, vcc_lo, 24
	s_mul_i32 vcc_lo, vcc_lo, 24
	s_add_i32 vcc_hi, vcc_hi, s20
	s_waitcnt vmcnt(0)
	v_lshl_add_u64 v[84:85], v[24:25], 0, vcc
	v_mov_b32_e32 v116, s16
	global_store_dwordx2 v[84:85], v[118:119], off
	v_mov_b32_e32 v117, s17
	buffer_wbl2 sc0 sc1
	s_waitcnt vmcnt(0)
	global_atomic_cmpswap_x2 v[24:25], v8, v[116:119], s[30:31] offset:24 sc0 sc1
	s_waitcnt vmcnt(0)
	v_cmp_ne_u64_e32 vcc, v[24:25], v[118:119]
	s_and_b64 exec, exec, vcc
	s_cbranch_execz .LBB0_217
; %bb.215:                              ;   in Loop: Header=BB0_62 Depth=5
	s_mov_b64 s[34:35], 0
.LBB0_216:                              ;   Parent Loop BB0_3 Depth=1
                                        ;     Parent Loop BB0_6 Depth=2
                                        ;       Parent Loop BB0_11 Depth=3
                                        ;         Parent Loop BB0_37 Depth=4
                                        ;           Parent Loop BB0_62 Depth=5
                                        ; =>          This Inner Loop Header: Depth=6
	s_sleep 1
	global_store_dwordx2 v[84:85], v[24:25], off
	v_mov_b32_e32 v22, s16
	v_mov_b32_e32 v23, s17
	buffer_wbl2 sc0 sc1
	s_waitcnt vmcnt(0)
	global_atomic_cmpswap_x2 v[22:23], v8, v[22:25], s[30:31] offset:24 sc0 sc1
	s_waitcnt vmcnt(0)
	v_cmp_eq_u64_e32 vcc, v[22:23], v[24:25]
	s_or_b64 s[34:35], vcc, s[34:35]
	v_mov_b64_e32 v[24:25], v[22:23]
	s_andn2_b64 exec, exec, s[34:35]
	s_cbranch_execnz .LBB0_216
.LBB0_217:                              ;   in Loop: Header=BB0_62 Depth=5
	s_or_b64 exec, exec, s[22:23]
.LBB0_218:                              ;   in Loop: Header=BB0_62 Depth=5
	s_or_b64 exec, exec, s[94:95]
.LBB0_219:                              ;   in Loop: Header=BB0_62 Depth=5
	s_or_b64 exec, exec, s[18:19]
	s_waitcnt vmcnt(0)
	v_readfirstlane_b32 s18, v6
	v_readfirstlane_b32 s19, v7
	s_cmp_eq_u64 s[18:19], 0
	s_cbranch_scc1 .LBB0_289
; %bb.220:                              ;   in Loop: Header=BB0_62 Depth=5
	global_load_dword v9, v[64:65], off offset:56
	v_mbcnt_lo_u32_b32 v6, exec_lo, 0
	v_mbcnt_hi_u32_b32 v23, exec_hi, v6
	s_bcnt1_i32_b64 s30, exec
	s_waitcnt vmcnt(0)
	v_add_u32_e32 v6, 31, v9
	v_lshrrev_b32_e32 v22, 5, v6
	s_and_saveexec_b64 s[16:17], s[10:11]
	s_xor_b64 s[16:17], exec, s[16:17]
	s_cbranch_execz .LBB0_228
; %bb.221:                              ;   in Loop: Header=BB0_62 Depth=5
	global_load_dword v24, v[64:65], off offset:76
	v_cmp_lt_u32_e32 vcc, v23, v22
	s_and_saveexec_b64 s[22:23], vcc
	s_cbranch_execz .LBB0_224
; %bb.222:                              ;   in Loop: Header=BB0_62 Depth=5
	v_lshlrev_b32_e32 v6, 2, v23
	v_mov_b32_e32 v7, v8
	v_lshl_add_u64 v[6:7], s[18:19], 0, v[6:7]
	v_lshl_add_u64 v[6:7], v[6:7], 0, 16
	s_lshl_b32 s20, s30, 2
	s_mov_b64 s[94:95], 0
	v_mov_b32_e32 v25, v23
.LBB0_223:                              ;   Parent Loop BB0_3 Depth=1
                                        ;     Parent Loop BB0_6 Depth=2
                                        ;       Parent Loop BB0_11 Depth=3
                                        ;         Parent Loop BB0_37 Depth=4
                                        ;           Parent Loop BB0_62 Depth=5
                                        ; =>          This Inner Loop Header: Depth=6
	v_add_u32_e32 v25, s30, v25
	v_cmp_ge_u32_e32 vcc, v25, v22
	global_store_dword v[6:7], v8, off
	s_or_b64 s[94:95], vcc, s[94:95]
	v_lshl_add_u64 v[6:7], v[6:7], 0, s[20:21]
	s_andn2_b64 exec, exec, s[94:95]
	s_cbranch_execnz .LBB0_223
.LBB0_224:                              ;   in Loop: Header=BB0_62 Depth=5
	s_or_b64 exec, exec, s[22:23]
	global_load_dword v6, v[64:65], off offset:72
	s_waitcnt vmcnt(0)
	v_mad_u64_u32 v[6:7], s[22:23], v24, v23, v[6:7]
	v_cmp_lt_u32_e32 vcc, v6, v9
	s_and_saveexec_b64 s[22:23], vcc
	s_cbranch_execz .LBB0_227
; %bb.225:                              ;   in Loop: Header=BB0_62 Depth=5
	v_mul_lo_u32 v7, v24, s30
	s_mov_b64 s[94:95], 0
.LBB0_226:                              ;   Parent Loop BB0_3 Depth=1
                                        ;     Parent Loop BB0_6 Depth=2
                                        ;       Parent Loop BB0_11 Depth=3
                                        ;         Parent Loop BB0_37 Depth=4
                                        ;           Parent Loop BB0_62 Depth=5
                                        ; =>          This Inner Loop Header: Depth=6
	v_lshlrev_b32_e64 v24, v6, 1
	v_lshrrev_b32_e32 v25, 3, v6
	v_add_u32_e32 v6, v6, v7
	v_cmp_ge_u32_e32 vcc, v6, v9
	v_and_b32_e32 v25, 0x1ffffffc, v25
	s_or_b64 s[94:95], vcc, s[94:95]
	global_store_dword v25, v24, s[18:19] offset:16
	s_andn2_b64 exec, exec, s[94:95]
	s_cbranch_execnz .LBB0_226
.LBB0_227:                              ;   in Loop: Header=BB0_62 Depth=5
	s_or_b64 exec, exec, s[22:23]
.LBB0_228:                              ;   in Loop: Header=BB0_62 Depth=5
	s_andn2_saveexec_b64 s[16:17], s[16:17]
	s_cbranch_execz .LBB0_233
; %bb.229:                              ;   in Loop: Header=BB0_62 Depth=5
	v_cmp_lt_u32_e32 vcc, v23, v22
	s_and_saveexec_b64 s[22:23], vcc
	s_cbranch_execz .LBB0_232
; %bb.230:                              ;   in Loop: Header=BB0_62 Depth=5
	global_load_dword v24, v[64:65], off offset:80
	v_lshlrev_b32_e32 v6, 2, v23
	v_mov_b32_e32 v7, v8
	v_lshl_add_u64 v[6:7], s[18:19], 0, v[6:7]
	v_lshl_add_u64 v[6:7], v[6:7], 0, 16
	s_lshl_b32 s20, s30, 2
	s_mov_b64 s[94:95], 0
	v_mov_b32_e32 v25, v23
	s_waitcnt vmcnt(0)
.LBB0_231:                              ;   Parent Loop BB0_3 Depth=1
                                        ;     Parent Loop BB0_6 Depth=2
                                        ;       Parent Loop BB0_11 Depth=3
                                        ;         Parent Loop BB0_37 Depth=4
                                        ;           Parent Loop BB0_62 Depth=5
                                        ; =>          This Inner Loop Header: Depth=6
	v_add_u32_e32 v25, s30, v25
	v_cmp_ge_u32_e32 vcc, v25, v22
	global_store_dword v[6:7], v24, off
	s_or_b64 s[94:95], vcc, s[94:95]
	v_lshl_add_u64 v[6:7], v[6:7], 0, s[20:21]
	s_andn2_b64 exec, exec, s[94:95]
	s_cbranch_execnz .LBB0_231
.LBB0_232:                              ;   in Loop: Header=BB0_62 Depth=5
	s_or_b64 exec, exec, s[22:23]
.LBB0_233:                              ;   in Loop: Header=BB0_62 Depth=5
	s_or_b64 exec, exec, s[16:17]
	v_cmp_eq_u32_e32 vcc, 0, v23
	s_and_saveexec_b64 s[16:17], vcc
	s_cbranch_execz .LBB0_237
; %bb.234:                              ;   in Loop: Header=BB0_62 Depth=5
	s_and_saveexec_b64 s[22:23], s[12:13]
	s_cbranch_execz .LBB0_236
; %bb.235:                              ;   in Loop: Header=BB0_62 Depth=5
	v_add_u32_e32 v6, -1, v22
	v_mov_b32_e32 v7, v8
	v_lshl_add_u64 v[6:7], v[6:7], 2, s[18:19]
	global_load_dword v22, v[6:7], off offset:16
	s_waitcnt vmcnt(0)
	v_lshl_or_b32 v9, -1, v9, v22
	global_store_dword v[6:7], v9, off offset:16
.LBB0_236:                              ;   in Loop: Header=BB0_62 Depth=5
	s_or_b64 exec, exec, s[22:23]
	global_store_dwordx4 v8, v[18:21], s[18:19]
.LBB0_237:                              ;   in Loop: Header=BB0_62 Depth=5
	s_or_b64 exec, exec, s[16:17]
.LBB0_238:                              ;   Parent Loop BB0_3 Depth=1
                                        ;     Parent Loop BB0_6 Depth=2
                                        ;       Parent Loop BB0_11 Depth=3
                                        ;         Parent Loop BB0_37 Depth=4
                                        ;           Parent Loop BB0_62 Depth=5
                                        ; =>          This Inner Loop Header: Depth=6
	v_mov_b32_e32 v6, s67
	s_and_saveexec_b64 s[16:17], s[14:15]
	s_cbranch_execz .LBB0_240
; %bb.239:                              ;   in Loop: Header=BB0_238 Depth=6
	global_load_dword v6, v[54:55], off offset:2304 sc1
.LBB0_240:                              ;   in Loop: Header=BB0_238 Depth=6
	s_or_b64 exec, exec, s[16:17]
	s_waitcnt vmcnt(0)
	v_readfirstlane_b32 s67, v6
	s_cmp_eq_u32 s67, 0x10100
	s_cbranch_scc1 .LBB0_254
; %bb.241:                              ;   in Loop: Header=BB0_238 Depth=6
	v_mov_b32_e32 v6, s68
	s_and_saveexec_b64 s[16:17], s[14:15]
	s_cbranch_execz .LBB0_243
; %bb.242:                              ;   in Loop: Header=BB0_238 Depth=6
	global_load_dword v6, v[68:69], off sc1
.LBB0_243:                              ;   in Loop: Header=BB0_238 Depth=6
	s_or_b64 exec, exec, s[16:17]
	s_waitcnt vmcnt(0)
	v_readfirstlane_b32 s68, v6
	s_mov_b64 s[22:23], -1
	s_cmp_lg_u32 s67, s68
	s_mov_b64 s[94:95], -1
                                        ; implicit-def: $sgpr16_sgpr17
	s_cbranch_scc0 .LBB0_253
; %bb.244:                              ;   in Loop: Header=BB0_238 Depth=6
	v_mov_b32_e32 v6, 0
	v_mov_b32_e32 v7, 0
	s_and_saveexec_b64 s[16:17], s[14:15]
	s_cbranch_execz .LBB0_250
; %bb.245:                              ;   in Loop: Header=BB0_238 Depth=6
	s_cmpk_lt_u32 s67, 0x100
	s_mov_b32 s20, s67
	v_mov_b64_e32 v[6:7], v[66:67]
	s_cbranch_scc1 .LBB0_247
; %bb.246:                              ;   in Loop: Header=BB0_238 Depth=6
	s_add_i32 s20, s67, 0xffffff00
	s_lshr_b32 s20, s20, 8
	v_mad_u64_u32 v[6:7], s[22:23], s20, 24, v[66:67]
	global_load_dwordx2 v[6:7], v[6:7], off sc1
	s_and_b32 s20, s67, 0xff
.LBB0_247:                              ;   in Loop: Header=BB0_238 Depth=6
	s_waitcnt vmcnt(0)
	v_mad_u64_u32 v[22:23], s[22:23], s20, 24, v[6:7]
	v_mov_b32_e32 v6, s67
	global_store_dword v8, v6, s[18:19] offset:4
	v_mov_b32_e32 v6, s18
	v_mov_b32_e32 v7, s19
	v_mov_b32_e32 v9, v8
	global_atomic_cmpswap_x2 v[24:25], v[22:23], v[6:9], off offset:8 sc0
	s_waitcnt vmcnt(0)
	v_cmp_eq_u64_e32 vcc, 0, v[24:25]
	v_mov_b32_e32 v6, 0
	v_mov_b32_e32 v7, 0
	s_and_saveexec_b64 s[22:23], vcc
	s_cbranch_execz .LBB0_249
; %bb.248:                              ;   in Loop: Header=BB0_238 Depth=6
	buffer_wbl2 sc1
	global_atomic_add v[54:55], v115, off offset:2304
	v_mov_b32_e32 v6, v23
	v_mov_b32_e32 v7, v22
.LBB0_249:                              ;   in Loop: Header=BB0_238 Depth=6
	s_or_b64 exec, exec, s[22:23]
.LBB0_250:                              ;   in Loop: Header=BB0_238 Depth=6
	s_or_b64 exec, exec, s[16:17]
	v_readfirstlane_b32 s16, v7
	v_readfirstlane_b32 s17, v6
	s_cmp_lg_u64 s[16:17], 0
	s_cbranch_scc1 .LBB0_252
; %bb.251:                              ;   in Loop: Header=BB0_238 Depth=6
	s_mov_b64 s[94:95], 0
	s_sleep 2
.LBB0_252:                              ;   in Loop: Header=BB0_238 Depth=6
	s_mov_b64 s[22:23], 0
.LBB0_253:                              ;   in Loop: Header=BB0_238 Depth=6
	s_mov_b64 s[30:31], 0
	s_branch .LBB0_255
.LBB0_254:                              ;   in Loop: Header=BB0_238 Depth=6
	s_mov_b64 s[30:31], -1
	s_mov_b64 s[22:23], 0
                                        ; implicit-def: $sgpr68
                                        ; implicit-def: $sgpr16_sgpr17
	s_mov_b64 s[94:95], -1
.LBB0_255:                              ;   in Loop: Header=BB0_238 Depth=6
	s_and_b64 vcc, exec, s[94:95]
	s_cbranch_vccz .LBB0_238
; %bb.256:                              ;   in Loop: Header=BB0_62 Depth=5
	s_and_b64 vcc, exec, s[30:31]
	s_cbranch_vccnz .LBB0_290
; %bb.257:                              ;   in Loop: Header=BB0_62 Depth=5
	s_xor_b64 s[22:23], s[22:23], -1
	s_mov_b64 s[94:95], -1
	s_and_b64 vcc, exec, s[22:23]
	s_cbranch_vccz .LBB0_259
; %bb.258:                              ;   in Loop: Header=BB0_62 Depth=5
	s_mov_b64 s[94:95], 0
.LBB0_259:                              ;   in Loop: Header=BB0_62 Depth=5
	s_mov_b64 s[22:23], 0
	s_andn2_b64 vcc, exec, s[94:95]
	v_mov_b64_e32 v[102:103], s[16:17]
	s_cbranch_vccnz .LBB0_182
; %bb.260:                              ;   in Loop: Header=BB0_62 Depth=5
	s_and_saveexec_b64 s[94:95], s[14:15]
	s_cbranch_execz .LBB0_288
; %bb.261:                              ;   in Loop: Header=BB0_62 Depth=5
	s_load_dwordx2 s[30:31], s[8:9], 0x50
	v_readfirstlane_b32 s16, v98
	v_mov_b64_e32 v[6:7], 0
	s_nop 0
	v_cmp_eq_u32_e64 s[16:17], s16, v98
	s_and_saveexec_b64 s[22:23], s[16:17]
	s_cbranch_execz .LBB0_267
; %bb.262:                              ;   in Loop: Header=BB0_62 Depth=5
	s_waitcnt lgkmcnt(0)
	global_load_dwordx2 v[24:25], v8, s[30:31] offset:24 sc0 sc1
	s_waitcnt vmcnt(0)
	buffer_inv sc0 sc1
	global_load_dwordx2 v[6:7], v8, s[30:31] offset:40
	global_load_dwordx2 v[22:23], v8, s[30:31]
	s_waitcnt vmcnt(1)
	v_and_b32_e32 v6, v6, v24
	v_and_b32_e32 v7, v7, v25
	v_mul_lo_u32 v7, v7, 24
	v_mul_hi_u32 v9, v6, 24
	v_add_u32_e32 v7, v9, v7
	v_mul_lo_u32 v6, v6, 24
	s_waitcnt vmcnt(0)
	v_lshl_add_u64 v[6:7], v[22:23], 0, v[6:7]
	global_load_dwordx2 v[22:23], v[6:7], off sc0 sc1
	s_waitcnt vmcnt(0)
	global_atomic_cmpswap_x2 v[6:7], v8, v[22:25], s[30:31] offset:24 sc0 sc1
	s_waitcnt vmcnt(0)
	buffer_inv sc0 sc1
	v_cmp_ne_u64_e32 vcc, v[6:7], v[24:25]
	s_and_saveexec_b64 s[34:35], vcc
	s_cbranch_execz .LBB0_266
; %bb.263:                              ;   in Loop: Header=BB0_62 Depth=5
	s_mov_b64 s[36:37], 0
.LBB0_264:                              ;   Parent Loop BB0_3 Depth=1
                                        ;     Parent Loop BB0_6 Depth=2
                                        ;       Parent Loop BB0_11 Depth=3
                                        ;         Parent Loop BB0_37 Depth=4
                                        ;           Parent Loop BB0_62 Depth=5
                                        ; =>          This Inner Loop Header: Depth=6
	s_sleep 1
	global_load_dwordx2 v[22:23], v8, s[30:31] offset:40
	global_load_dwordx2 v[84:85], v8, s[30:31]
	v_mov_b64_e32 v[24:25], v[6:7]
	s_waitcnt vmcnt(1)
	v_and_b32_e32 v6, v22, v24
	s_waitcnt vmcnt(0)
	v_mad_u64_u32 v[6:7], vcc, v6, 24, v[84:85]
	v_and_b32_e32 v9, v23, v25
	v_mov_b32_e32 v22, v7
	v_mad_u64_u32 v[22:23], vcc, v9, 24, v[22:23]
	v_mov_b32_e32 v7, v22
	global_load_dwordx2 v[22:23], v[6:7], off sc0 sc1
	s_waitcnt vmcnt(0)
	global_atomic_cmpswap_x2 v[6:7], v8, v[22:25], s[30:31] offset:24 sc0 sc1
	s_waitcnt vmcnt(0)
	buffer_inv sc0 sc1
	v_cmp_eq_u64_e32 vcc, v[6:7], v[24:25]
	s_or_b64 s[36:37], vcc, s[36:37]
	s_andn2_b64 exec, exec, s[36:37]
	s_cbranch_execnz .LBB0_264
; %bb.265:                              ;   in Loop: Header=BB0_62 Depth=5
	s_or_b64 exec, exec, s[36:37]
.LBB0_266:                              ;   in Loop: Header=BB0_62 Depth=5
	s_or_b64 exec, exec, s[34:35]
.LBB0_267:                              ;   in Loop: Header=BB0_62 Depth=5
	s_or_b64 exec, exec, s[22:23]
	s_waitcnt lgkmcnt(0)
	global_load_dwordx2 v[84:85], v8, s[30:31] offset:40
	global_load_dwordx4 v[22:25], v8, s[30:31]
	v_readfirstlane_b32 s35, v7
	v_readfirstlane_b32 s34, v6
	s_mov_b64 s[22:23], exec
	s_waitcnt vmcnt(1)
	v_readfirstlane_b32 vcc_lo, v84
	v_readfirstlane_b32 vcc_hi, v85
	s_and_b64 vcc, vcc, s[34:35]
	s_mul_i32 s20, vcc_hi, 24
	s_mul_hi_u32 s36, vcc_lo, 24
	s_add_i32 s37, s36, s20
	s_mul_i32 s36, vcc_lo, 24
	s_waitcnt vmcnt(0)
	v_lshl_add_u64 v[6:7], v[22:23], 0, s[36:37]
	s_and_saveexec_b64 s[36:37], s[16:17]
	s_cbranch_execz .LBB0_269
; %bb.268:                              ;   in Loop: Header=BB0_62 Depth=5
	v_mov_b64_e32 v[112:113], s[22:23]
	global_store_dwordx4 v[6:7], v[112:115], off offset:8
.LBB0_269:                              ;   in Loop: Header=BB0_62 Depth=5
	s_or_b64 exec, exec, s[36:37]
	s_lshl_b64 s[22:23], vcc, 12
	v_lshl_add_u64 v[24:25], v[24:25], 0, s[22:23]
	v_lshlrev_b32_e32 v9, 6, v98
	v_mov_b64_e32 v[84:85], s[18:19]
	v_readfirstlane_b32 s18, v24
	v_readfirstlane_b32 s19, v25
	s_mov_b32 s22, s21
	s_mov_b32 s23, s21
	;; [unrolled: 1-line block ×3, first 2 shown]
	s_nop 1
	global_store_dwordx2 v9, v[84:85], s[18:19]
	v_mov_b64_e32 v[86:87], s[22:23]
	v_mov_b64_e32 v[84:85], s[20:21]
	global_store_dwordx4 v9, v[84:87], s[18:19] offset:8
	global_store_dwordx4 v9, v[84:87], s[18:19] offset:24
	;; [unrolled: 1-line block ×3, first 2 shown]
	global_store_dwordx2 v9, v[50:51], s[18:19] offset:56
	s_and_saveexec_b64 s[18:19], s[16:17]
	s_cbranch_execz .LBB0_277
; %bb.270:                              ;   in Loop: Header=BB0_62 Depth=5
	global_load_dwordx2 v[118:119], v8, s[30:31] offset:32 sc0 sc1
	global_load_dwordx2 v[24:25], v8, s[30:31] offset:40
	v_mov_b32_e32 v116, s34
	v_mov_b32_e32 v117, s35
	s_waitcnt vmcnt(0)
	v_and_b32_e32 v9, s34, v24
	v_and_b32_e32 v24, s35, v25
	v_mul_lo_u32 v25, v24, 24
	v_mul_hi_u32 v49, v9, 24
	v_mul_lo_u32 v24, v9, 24
	v_add_u32_e32 v25, v49, v25
	v_lshl_add_u64 v[84:85], v[22:23], 0, v[24:25]
	global_store_dwordx2 v[84:85], v[118:119], off
	buffer_wbl2 sc0 sc1
	s_waitcnt vmcnt(0)
	global_atomic_cmpswap_x2 v[24:25], v8, v[116:119], s[30:31] offset:32 sc0 sc1
	s_waitcnt vmcnt(0)
	v_cmp_ne_u64_e32 vcc, v[24:25], v[118:119]
	s_and_saveexec_b64 s[22:23], vcc
	s_cbranch_execz .LBB0_273
; %bb.271:                              ;   in Loop: Header=BB0_62 Depth=5
	s_mov_b64 s[36:37], 0
.LBB0_272:                              ;   Parent Loop BB0_3 Depth=1
                                        ;     Parent Loop BB0_6 Depth=2
                                        ;       Parent Loop BB0_11 Depth=3
                                        ;         Parent Loop BB0_37 Depth=4
                                        ;           Parent Loop BB0_62 Depth=5
                                        ; =>          This Inner Loop Header: Depth=6
	s_sleep 1
	global_store_dwordx2 v[84:85], v[24:25], off
	v_mov_b32_e32 v22, s34
	v_mov_b32_e32 v23, s35
	buffer_wbl2 sc0 sc1
	s_waitcnt vmcnt(0)
	global_atomic_cmpswap_x2 v[22:23], v8, v[22:25], s[30:31] offset:32 sc0 sc1
	s_waitcnt vmcnt(0)
	v_cmp_eq_u64_e32 vcc, v[22:23], v[24:25]
	s_or_b64 s[36:37], vcc, s[36:37]
	v_mov_b64_e32 v[24:25], v[22:23]
	s_andn2_b64 exec, exec, s[36:37]
	s_cbranch_execnz .LBB0_272
.LBB0_273:                              ;   in Loop: Header=BB0_62 Depth=5
	s_or_b64 exec, exec, s[22:23]
	global_load_dwordx2 v[22:23], v8, s[30:31] offset:16
	s_mov_b64 s[36:37], exec
	v_mbcnt_lo_u32_b32 v9, s36, 0
	v_mbcnt_hi_u32_b32 v9, s37, v9
	v_cmp_eq_u32_e32 vcc, 0, v9
	s_and_saveexec_b64 s[22:23], vcc
	s_cbranch_execz .LBB0_275
; %bb.274:                              ;   in Loop: Header=BB0_62 Depth=5
	s_bcnt1_i32_b64 s20, s[36:37]
	v_mov_b32_e32 v24, s20
	v_mov_b32_e32 v25, v8
	buffer_wbl2 sc0 sc1
	s_waitcnt vmcnt(0)
	global_atomic_add_x2 v[22:23], v[24:25], off offset:8 sc1
.LBB0_275:                              ;   in Loop: Header=BB0_62 Depth=5
	s_or_b64 exec, exec, s[22:23]
	s_waitcnt vmcnt(0)
	global_load_dwordx2 v[24:25], v[22:23], off offset:16
	s_waitcnt vmcnt(0)
	v_cmp_eq_u64_e32 vcc, 0, v[24:25]
	s_cbranch_vccnz .LBB0_277
; %bb.276:                              ;   in Loop: Header=BB0_62 Depth=5
	global_load_dword v22, v[22:23], off offset:24
	v_mov_b32_e32 v23, v8
	s_waitcnt vmcnt(0)
	v_readfirstlane_b32 s20, v22
	s_and_b32 m0, s20, 0xffffff
	buffer_wbl2 sc0 sc1
	global_store_dwordx2 v[24:25], v[22:23], off sc0 sc1
	s_sendmsg sendmsg(MSG_INTERRUPT)
.LBB0_277:                              ;   in Loop: Header=BB0_62 Depth=5
	s_or_b64 exec, exec, s[18:19]
.LBB0_278:                              ;   Parent Loop BB0_3 Depth=1
                                        ;     Parent Loop BB0_6 Depth=2
                                        ;       Parent Loop BB0_11 Depth=3
                                        ;         Parent Loop BB0_37 Depth=4
                                        ;           Parent Loop BB0_62 Depth=5
                                        ; =>          This Inner Loop Header: Depth=6
	v_mov_b32_e32 v9, 1
	s_and_saveexec_b64 s[18:19], s[16:17]
	s_cbranch_execz .LBB0_280
; %bb.279:                              ;   in Loop: Header=BB0_278 Depth=6
	global_load_dword v9, v[6:7], off offset:20 sc0 sc1
	s_waitcnt vmcnt(0)
	buffer_inv sc0 sc1
	v_and_b32_e32 v9, 1, v9
.LBB0_280:                              ;   in Loop: Header=BB0_278 Depth=6
	s_or_b64 exec, exec, s[18:19]
	v_readfirstlane_b32 s18, v9
	s_cmp_eq_u32 s18, 0
	s_cbranch_scc1 .LBB0_282
; %bb.281:                              ;   in Loop: Header=BB0_278 Depth=6
	s_mov_b64 s[18:19], 0
	s_sleep 1
	s_branch .LBB0_283
.LBB0_282:                              ;   in Loop: Header=BB0_278 Depth=6
	s_mov_b64 s[18:19], -1
.LBB0_283:                              ;   in Loop: Header=BB0_278 Depth=6
	s_andn2_b64 vcc, exec, s[18:19]
	s_cbranch_vccnz .LBB0_278
; %bb.284:                              ;   in Loop: Header=BB0_62 Depth=5
	s_and_b64 exec, exec, s[16:17]
	s_cbranch_execz .LBB0_288
; %bb.285:                              ;   in Loop: Header=BB0_62 Depth=5
	global_load_dwordx2 v[6:7], v8, s[30:31] offset:40
	global_load_dwordx2 v[86:87], v8, s[30:31] offset:24 sc0 sc1
	global_load_dwordx2 v[22:23], v8, s[30:31]
	s_waitcnt vmcnt(2)
	v_readfirstlane_b32 s18, v6
	v_readfirstlane_b32 s19, v7
	s_add_u32 s20, s18, 1
	s_addc_u32 s22, s19, 0
	s_add_u32 s16, s20, s34
	s_addc_u32 s17, s22, s35
	s_cmp_eq_u64 s[16:17], 0
	s_cselect_b32 s17, s22, s17
	s_cselect_b32 s16, s20, s16
	s_and_b64 s[18:19], s[16:17], s[18:19]
	s_mul_i32 s19, s19, 24
	s_mul_hi_u32 s20, s18, 24
	s_mul_i32 s18, s18, 24
	s_add_i32 s19, s20, s19
	s_waitcnt vmcnt(0)
	v_lshl_add_u64 v[6:7], v[22:23], 0, s[18:19]
	v_mov_b32_e32 v84, s16
	global_store_dwordx2 v[6:7], v[86:87], off
	v_mov_b32_e32 v85, s17
	buffer_wbl2 sc0 sc1
	s_waitcnt vmcnt(0)
	global_atomic_cmpswap_x2 v[24:25], v8, v[84:87], s[30:31] offset:24 sc0 sc1
	s_waitcnt vmcnt(0)
	v_cmp_ne_u64_e32 vcc, v[24:25], v[86:87]
	s_and_b64 exec, exec, vcc
	s_cbranch_execz .LBB0_288
; %bb.286:                              ;   in Loop: Header=BB0_62 Depth=5
	s_mov_b64 s[18:19], 0
.LBB0_287:                              ;   Parent Loop BB0_3 Depth=1
                                        ;     Parent Loop BB0_6 Depth=2
                                        ;       Parent Loop BB0_11 Depth=3
                                        ;         Parent Loop BB0_37 Depth=4
                                        ;           Parent Loop BB0_62 Depth=5
                                        ; =>          This Inner Loop Header: Depth=6
	s_sleep 1
	global_store_dwordx2 v[6:7], v[24:25], off
	v_mov_b32_e32 v22, s16
	v_mov_b32_e32 v23, s17
	buffer_wbl2 sc0 sc1
	s_waitcnt vmcnt(0)
	global_atomic_cmpswap_x2 v[22:23], v8, v[22:25], s[30:31] offset:24 sc0 sc1
	s_waitcnt vmcnt(0)
	v_cmp_eq_u64_e32 vcc, v[22:23], v[24:25]
	s_or_b64 s[18:19], vcc, s[18:19]
	v_mov_b64_e32 v[24:25], v[22:23]
	s_andn2_b64 exec, exec, s[18:19]
	s_cbranch_execnz .LBB0_287
.LBB0_288:                              ;   in Loop: Header=BB0_62 Depth=5
	s_or_b64 exec, exec, s[94:95]
	s_mov_b64 s[22:23], -1
	v_mov_b64_e32 v[102:103], v[82:83]
	s_branch .LBB0_182
.LBB0_289:                              ;   in Loop: Header=BB0_62 Depth=5
	s_mov_b64 s[22:23], 0
	s_branch .LBB0_182
.LBB0_290:                              ;   in Loop: Header=BB0_62 Depth=5
	s_mov_b64 s[22:23], 0
	v_mov_b64_e32 v[102:103], 0
	s_branch .LBB0_182
.LBB0_291:                              ;   in Loop: Header=BB0_37 Depth=4
                                        ; implicit-def: $sgpr66
	s_branch .LBB0_314
.LBB0_292:                              ;   in Loop: Header=BB0_37 Depth=4
	v_cmp_ne_u64_e64 s[14:15], 1, v[82:83]
	s_and_b64 vcc, exec, s[14:15]
	s_cbranch_vccz .LBB0_294
; %bb.293:                              ;   in Loop: Header=BB0_37 Depth=4
	v_mov_b64_e32 v[52:53], v[82:83]
	s_branch .LBB0_314
.LBB0_294:                              ;   in Loop: Header=BB0_37 Depth=4
	v_mbcnt_lo_u32_b32 v6, exec_lo, 0
	v_mbcnt_hi_u32_b32 v6, exec_hi, v6
	v_cmp_eq_u32_e32 vcc, 0, v6
	s_and_saveexec_b64 s[16:17], vcc
	s_cbranch_execz .LBB0_311
; %bb.295:                              ;   in Loop: Header=BB0_37 Depth=4
	global_load_dwordx2 v[6:7], v[80:81], off sc1
	s_memrealtime s[18:19]
	s_waitcnt lgkmcnt(0)
	v_mov_b32_e32 v9, s19
	s_waitcnt vmcnt(0)
	v_sub_co_u32_e32 v6, vcc, s18, v6
	s_nop 1
	v_subb_co_u32_e32 v7, vcc, v9, v7, vcc
	v_cmp_gt_u64_e32 vcc, s[74:75], v[6:7]
	s_and_b64 exec, exec, vcc
	s_cbranch_execz .LBB0_311
; %bb.296:                              ;   in Loop: Header=BB0_37 Depth=4
	s_memrealtime s[22:23]
	v_readfirstlane_b32 s18, v6
	s_sub_i32 s18, 0x4e20, s18
	s_waitcnt lgkmcnt(0)
	s_add_u32 s18, s18, s22
	s_addc_u32 s19, 0, s23
	s_add_u32 s94, s22, 0x659
	s_addc_u32 s95, 0, s23
.LBB0_297:                              ;   Parent Loop BB0_3 Depth=1
                                        ;     Parent Loop BB0_6 Depth=2
                                        ;       Parent Loop BB0_11 Depth=3
                                        ;         Parent Loop BB0_37 Depth=4
                                        ; =>        This Inner Loop Header: Depth=5
	v_mov_b64_e32 v[6:7], s[94:95]
	v_cmp_le_u64_e32 vcc, s[18:19], v[6:7]
	s_cbranch_vccnz .LBB0_300
; %bb.298:                              ;   in Loop: Header=BB0_297 Depth=5
	s_sleep 0x7f
	s_memrealtime s[22:23]
	s_waitcnt lgkmcnt(0)
	s_add_u32 s94, s22, 0x659
	s_addc_u32 s95, s23, 0
	s_branch .LBB0_297
.LBB0_299:                              ;   in Loop: Header=BB0_300 Depth=5
	s_sleep 63
	s_memrealtime s[22:23]
.LBB0_300:                              ;   Parent Loop BB0_3 Depth=1
                                        ;     Parent Loop BB0_6 Depth=2
                                        ;       Parent Loop BB0_11 Depth=3
                                        ;         Parent Loop BB0_37 Depth=4
                                        ; =>        This Inner Loop Header: Depth=5
	s_waitcnt lgkmcnt(0)
	s_add_u32 s94, s22, 0x326
	s_addc_u32 s95, s23, 0
	v_mov_b64_e32 v[6:7], s[94:95]
	v_cmp_le_u64_e32 vcc, s[18:19], v[6:7]
	s_cbranch_vccz .LBB0_299
; %bb.301:                              ;   in Loop: Header=BB0_37 Depth=4
	s_add_u32 s94, s22, 0x18c
	s_addc_u32 s95, s23, 0
	v_mov_b64_e32 v[6:7], s[94:95]
	v_cmp_le_u64_e32 vcc, s[18:19], v[6:7]
	s_cbranch_vccnz .LBB0_304
.LBB0_302:                              ;   Parent Loop BB0_3 Depth=1
                                        ;     Parent Loop BB0_6 Depth=2
                                        ;       Parent Loop BB0_11 Depth=3
                                        ;         Parent Loop BB0_37 Depth=4
                                        ; =>        This Inner Loop Header: Depth=5
	s_sleep 31
	s_memrealtime s[22:23]
	s_waitcnt lgkmcnt(0)
	s_add_u32 s94, s22, 0x18c
	s_addc_u32 s95, s23, 0
	v_mov_b64_e32 v[6:7], s[94:95]
	v_cmp_gt_u64_e32 vcc, s[18:19], v[6:7]
	s_cbranch_vccnz .LBB0_302
	s_branch .LBB0_304
.LBB0_303:                              ;   in Loop: Header=BB0_304 Depth=5
	s_sleep 15
	s_memrealtime s[22:23]
.LBB0_304:                              ;   Parent Loop BB0_3 Depth=1
                                        ;     Parent Loop BB0_6 Depth=2
                                        ;       Parent Loop BB0_11 Depth=3
                                        ;         Parent Loop BB0_37 Depth=4
                                        ; =>        This Inner Loop Header: Depth=5
	s_waitcnt lgkmcnt(0)
	s_add_u32 s94, s22, 0xc0
	s_addc_u32 s95, s23, 0
	v_mov_b64_e32 v[6:7], s[94:95]
	v_cmp_le_u64_e32 vcc, s[18:19], v[6:7]
	s_cbranch_vccz .LBB0_303
	s_branch .LBB0_306
.LBB0_305:                              ;   in Loop: Header=BB0_306 Depth=5
	s_sleep 7
	s_memrealtime s[22:23]
.LBB0_306:                              ;   Parent Loop BB0_3 Depth=1
                                        ;     Parent Loop BB0_6 Depth=2
                                        ;       Parent Loop BB0_11 Depth=3
                                        ;         Parent Loop BB0_37 Depth=4
                                        ; =>        This Inner Loop Header: Depth=5
	s_waitcnt lgkmcnt(0)
	s_add_u32 s94, s22, 0x59
	s_addc_u32 s95, s23, 0
	v_mov_b64_e32 v[6:7], s[94:95]
	v_cmp_le_u64_e32 vcc, s[18:19], v[6:7]
	s_cbranch_vccz .LBB0_305
	;; [unrolled: 15-line block ×3, first 2 shown]
; %bb.309:                              ;   in Loop: Header=BB0_37 Depth=4
	v_mov_b64_e32 v[6:7], s[22:23]
	v_cmp_le_u64_e32 vcc, s[18:19], v[6:7]
	s_cbranch_vccnz .LBB0_311
.LBB0_310:                              ;   Parent Loop BB0_3 Depth=1
                                        ;     Parent Loop BB0_6 Depth=2
                                        ;       Parent Loop BB0_11 Depth=3
                                        ;         Parent Loop BB0_37 Depth=4
                                        ; =>        This Inner Loop Header: Depth=5
	s_sleep 1
	s_memrealtime s[22:23]
	s_waitcnt lgkmcnt(0)
	v_mov_b64_e32 v[6:7], s[22:23]
	v_cmp_gt_u64_e32 vcc, s[18:19], v[6:7]
	s_cbranch_vccnz .LBB0_310
.LBB0_311:                              ;   in Loop: Header=BB0_37 Depth=4
	s_or_b64 exec, exec, s[16:17]
	v_mov_b32_e32 v6, s66
	s_and_saveexec_b64 s[16:17], s[6:7]
	s_cbranch_execz .LBB0_313
; %bb.312:                              ;   in Loop: Header=BB0_37 Depth=4
	global_load_dword v6, v[54:55], off offset:2304 sc1
.LBB0_313:                              ;   in Loop: Header=BB0_37 Depth=4
	s_or_b64 exec, exec, s[16:17]
	s_waitcnt vmcnt(0)
	v_readfirstlane_b32 s66, v6
.LBB0_314:                              ;   in Loop: Header=BB0_37 Depth=4
	s_and_b64 vcc, exec, s[14:15]
	s_cbranch_vccz .LBB0_37
; %bb.315:                              ;   in Loop: Header=BB0_11 Depth=3
	s_mov_b64 s[6:7], 0
	v_mov_b32_e32 v18, v2
.LBB0_316:                              ;   in Loop: Header=BB0_11 Depth=3
	s_and_b64 s[6:7], s[6:7], exec
	v_mov_b64_e32 v[6:7], v[52:53]
.LBB0_317:                              ;   in Loop: Header=BB0_11 Depth=3
	s_or_b64 exec, exec, s[92:93]
	v_mov_b64_e32 v[52:53], v[6:7]
.LBB0_318:                              ;   in Loop: Header=BB0_11 Depth=3
	s_xor_b64 s[6:7], s[6:7], -1
	s_and_b64 s[6:7], exec, s[6:7]
	s_or_b64 s[90:91], s[6:7], s[90:91]
	s_andn2_b64 exec, exec, s[90:91]
	s_cbranch_execnz .LBB0_11
; %bb.319:                              ;   in Loop: Header=BB0_6 Depth=2
	s_or_b64 exec, exec, s[90:91]
	s_mov_b64 s[4:5], 0
.LBB0_320:                              ;   in Loop: Header=BB0_6 Depth=2
	s_and_b64 vcc, exec, s[4:5]
	s_cbranch_vccz .LBB0_600
; %bb.321:                              ;   in Loop: Header=BB0_6 Depth=2
	v_mbcnt_lo_u32_b32 v6, exec_lo, 0
	v_mbcnt_hi_u32_b32 v66, exec_hi, v6
	s_bcnt1_i32_b64 s94, exec
	v_cmp_eq_u32_e64 s[4:5], 0, v66
                                        ; implicit-def: $vgpr52_vgpr53
.LBB0_322:                              ;   Parent Loop BB0_3 Depth=1
                                        ;     Parent Loop BB0_6 Depth=2
                                        ; =>    This Loop Header: Depth=3
                                        ;         Child Loop BB0_326 Depth 4
                                        ;         Child Loop BB0_347 Depth 4
                                        ;           Child Loop BB0_365 Depth 5
                                        ;           Child Loop BB0_373 Depth 5
	;; [unrolled: 1-line block ×29, first 2 shown]
                                        ;         Child Loop BB0_582 Depth 4
                                        ;         Child Loop BB0_585 Depth 4
	;; [unrolled: 1-line block ×7, first 2 shown]
	s_cmp_eq_u32 s55, 0
	s_mov_b64 s[6:7], -1
	s_cbranch_scc1 .LBB0_344
; %bb.323:                              ;   in Loop: Header=BB0_322 Depth=3
	v_mov_b32_e32 v6, 0
	s_and_saveexec_b64 s[10:11], s[4:5]
	s_cbranch_execz .LBB0_325
; %bb.324:                              ;   in Loop: Header=BB0_322 Depth=3
	global_load_dword v6, v[26:27], off sc1
.LBB0_325:                              ;   in Loop: Header=BB0_322 Depth=3
	s_or_b64 exec, exec, s[10:11]
	global_load_dword v9, v[28:29], off offset:8
	v_cvt_f32_u32_e32 v7, s55
	s_waitcnt vmcnt(1)
	v_readfirstlane_b32 s10, v6
	s_mov_b32 s14, s55
	v_rcp_iflag_f32_e32 v7, v7
	v_add_u32_e32 v6, s10, v66
	s_sub_i32 s10, 0, s55
	v_mul_f32_e32 v7, 0x4f7ffffe, v7
	v_cvt_u32_f32_e32 v7, v7
	v_mul_lo_u32 v18, s10, v7
	v_mul_hi_u32 v18, v7, v18
	v_add_u32_e32 v18, v7, v18
	v_mul_hi_u32 v7, v6, v18
	v_mul_lo_u32 v7, v7, s55
	v_sub_u32_e32 v6, v6, v7
	v_subrev_u32_e32 v7, s55, v6
	v_cmp_le_u32_e32 vcc, s55, v6
	s_nop 1
	v_cndmask_b32_e32 v6, v6, v7, vcc
	v_subrev_u32_e32 v7, s55, v6
	v_cmp_le_u32_e32 vcc, s55, v6
	s_nop 1
	v_cndmask_b32_e32 v19, v6, v7, vcc
.LBB0_326:                              ;   Parent Loop BB0_3 Depth=1
                                        ;     Parent Loop BB0_6 Depth=2
                                        ;       Parent Loop BB0_322 Depth=3
                                        ; =>      This Inner Loop Header: Depth=4
	v_cmp_lt_u32_e32 vcc, s50, v19
	v_mov_b32_e32 v20, v19
	v_mov_b64_e32 v[6:7], v[32:33]
	s_and_saveexec_b64 s[10:11], vcc
	s_cbranch_execz .LBB0_328
; %bb.327:                              ;   in Loop: Header=BB0_326 Depth=4
	v_add_u32_e32 v6, 0xffffff00, v19
	v_lshrrev_b32_e32 v6, 8, v6
	v_mad_u64_u32 v[6:7], s[12:13], v6, 24, v[32:33]
	global_load_dwordx2 v[6:7], v[6:7], off sc1
	v_and_b32_e32 v20, 0xff, v19
.LBB0_328:                              ;   in Loop: Header=BB0_326 Depth=4
	s_or_b64 exec, exec, s[10:11]
	s_waitcnt vmcnt(0)
	v_mad_u64_u32 v[6:7], s[10:11], v20, 24, v[6:7]
	global_load_dword v6, v[6:7], off offset:16 sc1
	s_waitcnt vmcnt(0)
	v_cmp_lt_u32_e32 vcc, v6, v9
	s_cbranch_vccz .LBB0_330
; %bb.329:                              ;   in Loop: Header=BB0_326 Depth=4
	s_ff1_i32_b64 s10, vcc
	s_lshl_b32 s10, s10, 2
	v_mov_b32_e32 v6, s10
	ds_bpermute_b32 v6, v6, v19
	s_branch .LBB0_331
.LBB0_330:                              ;   in Loop: Header=BB0_326 Depth=4
	v_mov_b32_e32 v6, -1
.LBB0_331:                              ;   in Loop: Header=BB0_326 Depth=4
	s_waitcnt lgkmcnt(0)
	v_readfirstlane_b32 s15, v6
	s_cmp_eq_u32 s15, -1
	s_cselect_b64 s[10:11], -1, 0
	s_mov_b64 s[12:13], -1
	s_and_b64 vcc, exec, s[10:11]
                                        ; implicit-def: $vgpr6_vgpr7
	s_cbranch_vccnz .LBB0_335
; %bb.332:                              ;   in Loop: Header=BB0_326 Depth=4
	s_cmpk_lt_u32 s15, 0x100
	v_mov_b64_e32 v[6:7], v[32:33]
	s_cbranch_scc1 .LBB0_334
; %bb.333:                              ;   in Loop: Header=BB0_326 Depth=4
	s_add_i32 s12, s15, 0xffffff00
	s_lshr_b32 s12, s12, 8
	v_mad_u64_u32 v[6:7], s[12:13], s12, 24, v[32:33]
	global_load_dwordx2 v[6:7], v[6:7], off sc1
	s_and_b32 s15, s15, 0xff
.LBB0_334:                              ;   in Loop: Header=BB0_326 Depth=4
	s_waitcnt vmcnt(0)
	v_mad_u64_u32 v[6:7], s[12:13], s15, 24, v[6:7]
	s_mov_b64 s[12:13], 0
.LBB0_335:                              ;   in Loop: Header=BB0_326 Depth=4
	s_and_b64 vcc, exec, s[12:13]
	s_cbranch_vccz .LBB0_339
; %bb.336:                              ;   in Loop: Header=BB0_326 Depth=4
	v_add_u32_e32 v6, s94, v19
	v_mul_hi_u32 v7, v6, v18
	v_mul_lo_u32 v7, v7, s55
	v_sub_u32_e32 v6, v6, v7
	v_subrev_u32_e32 v7, s55, v6
	v_cmp_le_u32_e32 vcc, s55, v6
	s_nop 1
	v_cndmask_b32_e32 v6, v6, v7, vcc
	v_subrev_u32_e32 v7, s55, v6
	v_cmp_le_u32_e32 vcc, s55, v6
	s_nop 1
	v_cndmask_b32_e32 v19, v6, v7, vcc
	s_and_saveexec_b64 s[12:13], s[4:5]
	s_cbranch_execz .LBB0_338
; %bb.337:                              ;   in Loop: Header=BB0_326 Depth=4
	global_store_dword v[26:27], v19, off sc1
.LBB0_338:                              ;   in Loop: Header=BB0_326 Depth=4
	s_or_b64 exec, exec, s[12:13]
	s_sub_i32 s14, s14, s94
	s_branch .LBB0_340
.LBB0_339:                              ;   in Loop: Header=BB0_326 Depth=4
	v_mov_b64_e32 v[52:53], v[6:7]
.LBB0_340:                              ;   in Loop: Header=BB0_326 Depth=4
	s_mov_b64 s[12:13], -1
	s_andn2_b64 vcc, exec, s[10:11]
	s_mov_b64 s[10:11], -1
	s_cbranch_vccnz .LBB0_342
; %bb.341:                              ;   in Loop: Header=BB0_326 Depth=4
	s_cmp_lt_i32 s14, 1
	s_mov_b64 s[12:13], 0
	s_cselect_b64 s[10:11], -1, 0
.LBB0_342:                              ;   in Loop: Header=BB0_326 Depth=4
	s_andn2_b64 vcc, exec, s[10:11]
	s_cbranch_vccnz .LBB0_326
; %bb.343:                              ;   in Loop: Header=BB0_322 Depth=3
	s_xor_b64 s[10:11], s[12:13], -1
	s_branch .LBB0_345
.LBB0_344:                              ;   in Loop: Header=BB0_322 Depth=3
	s_mov_b64 s[10:11], -1
.LBB0_345:                              ;   in Loop: Header=BB0_322 Depth=3
	s_and_b64 vcc, exec, s[10:11]
	s_cbranch_vccz .LBB0_576
; %bb.346:                              ;   in Loop: Header=BB0_322 Depth=3
	v_mbcnt_lo_u32_b32 v6, exec_lo, 0
	v_mbcnt_hi_u32_b32 v6, exec_hi, v6
	v_cmp_eq_u32_e64 s[6:7], 0, v6
                                        ; implicit-def: $vgpr22_vgpr23
.LBB0_347:                              ;   Parent Loop BB0_3 Depth=1
                                        ;     Parent Loop BB0_6 Depth=2
                                        ;       Parent Loop BB0_322 Depth=3
                                        ; =>      This Loop Header: Depth=4
                                        ;           Child Loop BB0_365 Depth 5
                                        ;           Child Loop BB0_373 Depth 5
                                        ;           Child Loop BB0_379 Depth 5
                                        ;           Child Loop BB0_388 Depth 5
                                        ;           Child Loop BB0_393 Depth 5
                                        ;           Child Loop BB0_395 Depth 5
                                        ;           Child Loop BB0_413 Depth 5
                                        ;           Child Loop BB0_421 Depth 5
                                        ;           Child Loop BB0_427 Depth 5
                                        ;           Child Loop BB0_436 Depth 5
                                        ;           Child Loop BB0_444 Depth 5
                                        ;           Child Loop BB0_447 Depth 5
                                        ;           Child Loop BB0_449 Depth 5
                                        ;           Child Loop BB0_451 Depth 5
                                        ;           Child Loop BB0_453 Depth 5
                                        ;           Child Loop BB0_455 Depth 5
                                        ;           Child Loop BB0_457 Depth 5
                                        ;           Child Loop BB0_478 Depth 5
                                        ;           Child Loop BB0_486 Depth 5
                                        ;           Child Loop BB0_492 Depth 5
                                        ;           Child Loop BB0_501 Depth 5
                                        ;           Child Loop BB0_508 Depth 5
                                        ;           Child Loop BB0_511 Depth 5
                                        ;           Child Loop BB0_516 Depth 5
                                        ;           Child Loop BB0_523 Depth 5
                                        ;           Child Loop BB0_549 Depth 5
                                        ;           Child Loop BB0_557 Depth 5
                                        ;           Child Loop BB0_563 Depth 5
                                        ;           Child Loop BB0_572 Depth 5
	v_mov_b32_e32 v6, 0
	s_and_saveexec_b64 s[10:11], s[6:7]
	s_cbranch_execz .LBB0_349
; %bb.348:                              ;   in Loop: Header=BB0_347 Depth=4
	global_load_dword v6, v[26:27], off offset:2048 sc1
.LBB0_349:                              ;   in Loop: Header=BB0_347 Depth=4
	s_or_b64 exec, exec, s[10:11]
	s_waitcnt vmcnt(0)
	v_readfirstlane_b32 s95, v6
	s_cmp_eq_u32 s95, 0x10100
	s_cbranch_scc1 .LBB0_459
; %bb.350:                              ;   in Loop: Header=BB0_347 Depth=4
	v_mov_b32_e32 v6, 0
	s_and_saveexec_b64 s[10:11], s[6:7]
	s_cbranch_execz .LBB0_352
; %bb.351:                              ;   in Loop: Header=BB0_347 Depth=4
	v_mov_b32_e32 v49, v8
	global_atomic_cmpswap v6, v[34:35], v[48:49], off sc0
	s_waitcnt vmcnt(0)
	v_cmp_ne_u32_e32 vcc, 0, v6
	s_nop 1
	v_cndmask_b32_e32 v6, v48, v6, vcc
.LBB0_352:                              ;   in Loop: Header=BB0_347 Depth=4
	s_or_b64 exec, exec, s[10:11]
	v_readfirstlane_b32 s30, v6
	s_cmp_lg_u32 s95, s30
	s_cbranch_scc1 .LBB0_460
; %bb.353:                              ;   in Loop: Header=BB0_347 Depth=4
	v_mbcnt_lo_u32_b32 v7, exec_lo, 0
	v_mbcnt_hi_u32_b32 v7, exec_hi, v7
	v_mov_b32_e32 v6, 0
	v_cmp_eq_u32_e64 s[10:11], 0, v7
	s_and_saveexec_b64 s[12:13], s[10:11]
	s_cbranch_execz .LBB0_355
; %bb.354:                              ;   in Loop: Header=BB0_347 Depth=4
	global_load_dword v6, v[34:35], off sc1
.LBB0_355:                              ;   in Loop: Header=BB0_347 Depth=4
	s_or_b64 exec, exec, s[12:13]
	s_waitcnt vmcnt(0)
	v_readfirstlane_b32 s34, v6
	s_cmp_eq_u32 s34, 0x10100
	s_mov_b32 s18, 2
	s_cbranch_scc1 .LBB0_440
; %bb.356:                              ;   in Loop: Header=BB0_347 Depth=4
	v_mov_b32_e32 v6, 1
	s_and_saveexec_b64 s[12:13], s[10:11]
	s_cbranch_execz .LBB0_360
; %bb.357:                              ;   in Loop: Header=BB0_347 Depth=4
	global_load_dwordx2 v[20:21], v[36:37], off sc1
	s_memrealtime s[16:17]
	s_waitcnt lgkmcnt(0)
	v_mov_b32_e32 v7, s17
	s_waitcnt vmcnt(0)
	v_sub_co_u32_e32 v6, vcc, s16, v20
	s_nop 1
	v_subb_co_u32_e32 v7, vcc, v7, v21, vcc
	v_cmp_lt_u64_e32 vcc, s[60:61], v[6:7]
	v_mov_b32_e32 v6, 1
	s_and_saveexec_b64 s[14:15], vcc
	s_cbranch_execz .LBB0_359
; %bb.358:                              ;   in Loop: Header=BB0_347 Depth=4
	v_mov_b32_e32 v18, s16
	v_mov_b32_e32 v19, s17
	global_atomic_cmpswap_x2 v[6:7], v[36:37], v[18:21], off sc0
	s_waitcnt vmcnt(0)
	v_cmp_eq_u64_e32 vcc, v[6:7], v[20:21]
	s_nop 1
	v_cndmask_b32_e64 v6, 1, 2, vcc
.LBB0_359:                              ;   in Loop: Header=BB0_347 Depth=4
	s_or_b64 exec, exec, s[14:15]
.LBB0_360:                              ;   in Loop: Header=BB0_347 Depth=4
	s_or_b64 exec, exec, s[12:13]
	v_readfirstlane_b32 s31, v6
	s_cmp_eq_u32 s31, 1
	s_mov_b32 s18, 1
	s_cbranch_scc1 .LBB0_440
; %bb.361:                              ;   in Loop: Header=BB0_347 Depth=4
	v_mov_b32_e32 v7, 0
	v_mov_b32_e32 v6, v7
	s_and_saveexec_b64 s[14:15], s[10:11]
	s_cbranch_execz .LBB0_390
; %bb.362:                              ;   in Loop: Header=BB0_347 Depth=4
	s_load_dwordx2 s[16:17], s[8:9], 0x50
	v_readfirstlane_b32 s12, v98
	v_mov_b64_e32 v[6:7], 0
	s_nop 0
	v_cmp_eq_u32_e64 s[12:13], s12, v98
	s_and_saveexec_b64 s[18:19], s[12:13]
	s_cbranch_execz .LBB0_368
; %bb.363:                              ;   in Loop: Header=BB0_347 Depth=4
	s_waitcnt lgkmcnt(0)
	global_load_dwordx2 v[20:21], v8, s[16:17] offset:24 sc0 sc1
	s_waitcnt vmcnt(0)
	buffer_inv sc0 sc1
	global_load_dwordx2 v[6:7], v8, s[16:17] offset:40
	global_load_dwordx2 v[18:19], v8, s[16:17]
	s_waitcnt vmcnt(1)
	v_and_b32_e32 v6, v6, v20
	v_and_b32_e32 v7, v7, v21
	v_mul_lo_u32 v7, v7, 24
	v_mul_hi_u32 v9, v6, 24
	v_add_u32_e32 v7, v9, v7
	v_mul_lo_u32 v6, v6, 24
	s_waitcnt vmcnt(0)
	v_lshl_add_u64 v[6:7], v[18:19], 0, v[6:7]
	global_load_dwordx2 v[18:19], v[6:7], off sc0 sc1
	s_waitcnt vmcnt(0)
	global_atomic_cmpswap_x2 v[6:7], v8, v[18:21], s[16:17] offset:24 sc0 sc1
	s_waitcnt vmcnt(0)
	buffer_inv sc0 sc1
	v_cmp_ne_u64_e32 vcc, v[6:7], v[20:21]
	s_and_saveexec_b64 s[22:23], vcc
	s_cbranch_execz .LBB0_367
; %bb.364:                              ;   in Loop: Header=BB0_347 Depth=4
	s_mov_b64 s[90:91], 0
.LBB0_365:                              ;   Parent Loop BB0_3 Depth=1
                                        ;     Parent Loop BB0_6 Depth=2
                                        ;       Parent Loop BB0_322 Depth=3
                                        ;         Parent Loop BB0_347 Depth=4
                                        ; =>        This Inner Loop Header: Depth=5
	s_sleep 1
	global_load_dwordx2 v[18:19], v8, s[16:17] offset:40
	global_load_dwordx2 v[24:25], v8, s[16:17]
	v_mov_b64_e32 v[20:21], v[6:7]
	s_waitcnt vmcnt(1)
	v_and_b32_e32 v6, v18, v20
	s_waitcnt vmcnt(0)
	v_mad_u64_u32 v[6:7], s[92:93], v6, 24, v[24:25]
	v_and_b32_e32 v9, v19, v21
	v_mov_b32_e32 v18, v7
	v_mad_u64_u32 v[18:19], s[92:93], v9, 24, v[18:19]
	v_mov_b32_e32 v7, v18
	global_load_dwordx2 v[18:19], v[6:7], off sc0 sc1
	s_waitcnt vmcnt(0)
	global_atomic_cmpswap_x2 v[6:7], v8, v[18:21], s[16:17] offset:24 sc0 sc1
	s_waitcnt vmcnt(0)
	buffer_inv sc0 sc1
	v_cmp_eq_u64_e32 vcc, v[6:7], v[20:21]
	s_or_b64 s[90:91], vcc, s[90:91]
	s_andn2_b64 exec, exec, s[90:91]
	s_cbranch_execnz .LBB0_365
; %bb.366:                              ;   in Loop: Header=BB0_347 Depth=4
	s_or_b64 exec, exec, s[90:91]
.LBB0_367:                              ;   in Loop: Header=BB0_347 Depth=4
	s_or_b64 exec, exec, s[22:23]
.LBB0_368:                              ;   in Loop: Header=BB0_347 Depth=4
	s_or_b64 exec, exec, s[18:19]
	s_waitcnt lgkmcnt(0)
	global_load_dwordx2 v[24:25], v8, s[16:17] offset:40
	global_load_dwordx4 v[18:21], v8, s[16:17]
	v_readfirstlane_b32 s19, v7
	v_readfirstlane_b32 s18, v6
	s_mov_b64 s[22:23], exec
	s_waitcnt vmcnt(1)
	v_readfirstlane_b32 s90, v24
	v_readfirstlane_b32 s91, v25
	s_and_b64 s[90:91], s[90:91], s[18:19]
	s_mul_i32 s20, s91, 24
	s_mul_hi_u32 s92, s90, 24
	s_add_i32 s93, s92, s20
	s_mul_i32 s92, s90, 24
	s_waitcnt vmcnt(0)
	v_lshl_add_u64 v[6:7], v[18:19], 0, s[92:93]
	s_and_saveexec_b64 s[92:93], s[12:13]
	s_cbranch_execz .LBB0_370
; %bb.369:                              ;   in Loop: Header=BB0_347 Depth=4
	v_mov_b64_e32 v[112:113], s[22:23]
	global_store_dwordx4 v[6:7], v[112:115], off offset:8
.LBB0_370:                              ;   in Loop: Header=BB0_347 Depth=4
	s_or_b64 exec, exec, s[92:93]
	s_lshl_b64 s[22:23], s[90:91], 12
	v_lshl_add_u64 v[24:25], v[20:21], 0, s[22:23]
	s_mov_b32 s22, s21
	s_mov_b32 s23, s21
	s_mov_b32 s20, s21
	v_mov_b64_e32 v[70:71], s[22:23]
	v_lshlrev_b32_e32 v54, 6, v98
	v_readfirstlane_b32 s90, v24
	v_readfirstlane_b32 s91, v25
	v_mov_b64_e32 v[68:69], s[20:21]
	s_nop 3
	global_store_dwordx4 v54, v[10:13], s[90:91]
	global_store_dwordx4 v54, v[68:71], s[90:91] offset:16
	global_store_dwordx4 v54, v[68:71], s[90:91] offset:32
	;; [unrolled: 1-line block ×3, first 2 shown]
	s_and_saveexec_b64 s[22:23], s[12:13]
	s_cbranch_execz .LBB0_378
; %bb.371:                              ;   in Loop: Header=BB0_347 Depth=4
	global_load_dwordx2 v[70:71], v8, s[16:17] offset:32 sc0 sc1
	global_load_dwordx2 v[20:21], v8, s[16:17] offset:40
	v_mov_b32_e32 v68, s18
	v_mov_b32_e32 v69, s19
	s_waitcnt vmcnt(0)
	v_and_b32_e32 v9, s18, v20
	v_and_b32_e32 v20, s19, v21
	v_mul_lo_u32 v21, v20, 24
	v_mul_hi_u32 v49, v9, 24
	v_mul_lo_u32 v20, v9, 24
	v_add_u32_e32 v21, v49, v21
	v_lshl_add_u64 v[64:65], v[18:19], 0, v[20:21]
	global_store_dwordx2 v[64:65], v[70:71], off
	buffer_wbl2 sc0 sc1
	s_waitcnt vmcnt(0)
	global_atomic_cmpswap_x2 v[20:21], v8, v[68:71], s[16:17] offset:32 sc0 sc1
	s_waitcnt vmcnt(0)
	v_cmp_ne_u64_e32 vcc, v[20:21], v[70:71]
	s_and_saveexec_b64 s[90:91], vcc
	s_cbranch_execz .LBB0_374
; %bb.372:                              ;   in Loop: Header=BB0_347 Depth=4
	s_mov_b64 s[92:93], 0
.LBB0_373:                              ;   Parent Loop BB0_3 Depth=1
                                        ;     Parent Loop BB0_6 Depth=2
                                        ;       Parent Loop BB0_322 Depth=3
                                        ;         Parent Loop BB0_347 Depth=4
                                        ; =>        This Inner Loop Header: Depth=5
	s_sleep 1
	global_store_dwordx2 v[64:65], v[20:21], off
	v_mov_b32_e32 v18, s18
	v_mov_b32_e32 v19, s19
	buffer_wbl2 sc0 sc1
	s_waitcnt vmcnt(0)
	global_atomic_cmpswap_x2 v[18:19], v8, v[18:21], s[16:17] offset:32 sc0 sc1
	s_waitcnt vmcnt(0)
	v_cmp_eq_u64_e32 vcc, v[18:19], v[20:21]
	s_or_b64 s[92:93], vcc, s[92:93]
	v_mov_b64_e32 v[20:21], v[18:19]
	s_andn2_b64 exec, exec, s[92:93]
	s_cbranch_execnz .LBB0_373
.LBB0_374:                              ;   in Loop: Header=BB0_347 Depth=4
	s_or_b64 exec, exec, s[90:91]
	global_load_dwordx2 v[18:19], v8, s[16:17] offset:16
	s_mov_b64 s[92:93], exec
	v_mbcnt_lo_u32_b32 v9, s92, 0
	v_mbcnt_hi_u32_b32 v9, s93, v9
	v_cmp_eq_u32_e32 vcc, 0, v9
	s_and_saveexec_b64 s[90:91], vcc
	s_cbranch_execz .LBB0_376
; %bb.375:                              ;   in Loop: Header=BB0_347 Depth=4
	s_bcnt1_i32_b64 s20, s[92:93]
	v_mov_b32_e32 v20, s20
	v_mov_b32_e32 v21, v8
	buffer_wbl2 sc0 sc1
	s_waitcnt vmcnt(0)
	global_atomic_add_x2 v[18:19], v[20:21], off offset:8 sc1
.LBB0_376:                              ;   in Loop: Header=BB0_347 Depth=4
	s_or_b64 exec, exec, s[90:91]
	s_waitcnt vmcnt(0)
	global_load_dwordx2 v[20:21], v[18:19], off offset:16
	s_waitcnt vmcnt(0)
	v_cmp_eq_u64_e32 vcc, 0, v[20:21]
	s_cbranch_vccnz .LBB0_378
; %bb.377:                              ;   in Loop: Header=BB0_347 Depth=4
	global_load_dword v18, v[18:19], off offset:24
	v_mov_b32_e32 v19, v8
	s_waitcnt vmcnt(0)
	v_readfirstlane_b32 s20, v18
	s_and_b32 m0, s20, 0xffffff
	buffer_wbl2 sc0 sc1
	global_store_dwordx2 v[20:21], v[18:19], off sc0 sc1
	s_sendmsg sendmsg(MSG_INTERRUPT)
.LBB0_378:                              ;   in Loop: Header=BB0_347 Depth=4
	s_or_b64 exec, exec, s[22:23]
	v_mov_b32_e32 v55, v8
	v_lshl_add_u64 v[18:19], v[24:25], 0, v[54:55]
.LBB0_379:                              ;   Parent Loop BB0_3 Depth=1
                                        ;     Parent Loop BB0_6 Depth=2
                                        ;       Parent Loop BB0_322 Depth=3
                                        ;         Parent Loop BB0_347 Depth=4
                                        ; =>        This Inner Loop Header: Depth=5
	v_mov_b32_e32 v9, 1
	s_and_saveexec_b64 s[22:23], s[12:13]
	s_cbranch_execz .LBB0_381
; %bb.380:                              ;   in Loop: Header=BB0_379 Depth=5
	global_load_dword v9, v[6:7], off offset:20 sc0 sc1
	s_waitcnt vmcnt(0)
	buffer_inv sc0 sc1
	v_and_b32_e32 v9, 1, v9
.LBB0_381:                              ;   in Loop: Header=BB0_379 Depth=5
	s_or_b64 exec, exec, s[22:23]
	v_readfirstlane_b32 s20, v9
	s_cmp_eq_u32 s20, 0
	s_cbranch_scc1 .LBB0_383
; %bb.382:                              ;   in Loop: Header=BB0_379 Depth=5
	s_mov_b64 s[22:23], 0
	s_sleep 1
	s_branch .LBB0_384
.LBB0_383:                              ;   in Loop: Header=BB0_379 Depth=5
	s_mov_b64 s[22:23], -1
.LBB0_384:                              ;   in Loop: Header=BB0_379 Depth=5
	s_andn2_b64 vcc, exec, s[22:23]
	s_cbranch_vccnz .LBB0_379
; %bb.385:                              ;   in Loop: Header=BB0_347 Depth=4
	global_load_dwordx2 v[6:7], v[18:19], off
	s_and_saveexec_b64 s[22:23], s[12:13]
	s_cbranch_execz .LBB0_389
; %bb.386:                              ;   in Loop: Header=BB0_347 Depth=4
	global_load_dwordx2 v[18:19], v8, s[16:17] offset:40
	global_load_dwordx2 v[70:71], v8, s[16:17] offset:24 sc0 sc1
	global_load_dwordx2 v[20:21], v8, s[16:17]
	s_waitcnt vmcnt(2)
	v_readfirstlane_b32 s90, v18
	v_readfirstlane_b32 s91, v19
	s_add_u32 s20, s90, 1
	s_addc_u32 s92, s91, 0
	s_add_u32 s12, s20, s18
	s_addc_u32 s13, s92, s19
	s_cmp_eq_u64 s[12:13], 0
	s_cselect_b32 s13, s92, s13
	s_cselect_b32 s12, s20, s12
	s_and_b64 s[18:19], s[12:13], s[90:91]
	s_mul_i32 s19, s19, 24
	s_mul_hi_u32 s20, s18, 24
	s_mul_i32 s18, s18, 24
	s_add_i32 s19, s20, s19
	s_waitcnt vmcnt(0)
	v_lshl_add_u64 v[24:25], v[20:21], 0, s[18:19]
	v_mov_b32_e32 v68, s12
	global_store_dwordx2 v[24:25], v[70:71], off
	v_mov_b32_e32 v69, s13
	buffer_wbl2 sc0 sc1
	s_waitcnt vmcnt(0)
	global_atomic_cmpswap_x2 v[20:21], v8, v[68:71], s[16:17] offset:24 sc0 sc1
	s_waitcnt vmcnt(0)
	v_cmp_ne_u64_e32 vcc, v[20:21], v[70:71]
	s_and_b64 exec, exec, vcc
	s_cbranch_execz .LBB0_389
; %bb.387:                              ;   in Loop: Header=BB0_347 Depth=4
	s_mov_b64 s[18:19], 0
.LBB0_388:                              ;   Parent Loop BB0_3 Depth=1
                                        ;     Parent Loop BB0_6 Depth=2
                                        ;       Parent Loop BB0_322 Depth=3
                                        ;         Parent Loop BB0_347 Depth=4
                                        ; =>        This Inner Loop Header: Depth=5
	s_sleep 1
	global_store_dwordx2 v[24:25], v[20:21], off
	v_mov_b32_e32 v18, s12
	v_mov_b32_e32 v19, s13
	buffer_wbl2 sc0 sc1
	s_waitcnt vmcnt(0)
	global_atomic_cmpswap_x2 v[18:19], v8, v[18:21], s[16:17] offset:24 sc0 sc1
	s_waitcnt vmcnt(0)
	v_cmp_eq_u64_e32 vcc, v[18:19], v[20:21]
	s_or_b64 s[18:19], vcc, s[18:19]
	v_mov_b64_e32 v[20:21], v[18:19]
	s_andn2_b64 exec, exec, s[18:19]
	s_cbranch_execnz .LBB0_388
.LBB0_389:                              ;   in Loop: Header=BB0_347 Depth=4
	s_or_b64 exec, exec, s[22:23]
.LBB0_390:                              ;   in Loop: Header=BB0_347 Depth=4
	s_or_b64 exec, exec, s[14:15]
	s_waitcnt vmcnt(0)
	v_readfirstlane_b32 s16, v6
	v_readfirstlane_b32 s17, v7
	s_cmp_eq_u64 s[16:17], 0
	s_cbranch_scc1 .LBB0_439
; %bb.391:                              ;   in Loop: Header=BB0_347 Depth=4
	s_mov_b64 s[14:15], exec
	v_mbcnt_lo_u32_b32 v6, exec_lo, 0
	v_mbcnt_hi_u32_b32 v9, s15, v6
	v_cmp_gt_u32_e32 vcc, s52, v9
	s_and_saveexec_b64 s[12:13], vcc
	s_cbranch_execz .LBB0_394
; %bb.392:                              ;   in Loop: Header=BB0_347 Depth=4
	s_bcnt1_i32_b64 s18, s[14:15]
	v_lshlrev_b32_e32 v6, 3, v9
	v_mov_b32_e32 v7, v8
	v_lshl_add_u64 v[6:7], s[16:17], 0, v[6:7]
	s_lshl_b32 s20, s18, 3
	s_mov_b64 s[14:15], 0
.LBB0_393:                              ;   Parent Loop BB0_3 Depth=1
                                        ;     Parent Loop BB0_6 Depth=2
                                        ;       Parent Loop BB0_322 Depth=3
                                        ;         Parent Loop BB0_347 Depth=4
                                        ; =>        This Inner Loop Header: Depth=5
	v_add_u32_e32 v9, s18, v9
	v_cmp_lt_u32_e32 vcc, s53, v9
	global_store_dwordx2 v[6:7], v[50:51], off
	s_or_b64 s[14:15], vcc, s[14:15]
	v_lshl_add_u64 v[6:7], v[6:7], 0, s[20:21]
	s_andn2_b64 exec, exec, s[14:15]
	s_cbranch_execnz .LBB0_393
.LBB0_394:                              ;   in Loop: Header=BB0_347 Depth=4
	s_or_b64 exec, exec, s[12:13]
.LBB0_395:                              ;   Parent Loop BB0_3 Depth=1
                                        ;     Parent Loop BB0_6 Depth=2
                                        ;       Parent Loop BB0_322 Depth=3
                                        ;         Parent Loop BB0_347 Depth=4
                                        ; =>        This Inner Loop Header: Depth=5
	v_mov_b32_e32 v6, s34
	s_and_saveexec_b64 s[12:13], s[10:11]
	s_cbranch_execz .LBB0_397
; %bb.396:                              ;   in Loop: Header=BB0_395 Depth=5
	global_load_dword v6, v[34:35], off sc1
.LBB0_397:                              ;   in Loop: Header=BB0_395 Depth=5
	s_or_b64 exec, exec, s[12:13]
	s_waitcnt vmcnt(0)
	v_readfirstlane_b32 s34, v6
	s_cmp_lg_u32 s34, 0x10100
	s_mov_b64 s[12:13], -1
	s_cbranch_scc0 .LBB0_404
; %bb.398:                              ;   in Loop: Header=BB0_395 Depth=5
	v_mov_b32_e32 v6, s31
	s_and_saveexec_b64 s[12:13], s[10:11]
	s_cbranch_execz .LBB0_402
; %bb.399:                              ;   in Loop: Header=BB0_395 Depth=5
	s_add_i32 s14, s34, 0xffffff00
	s_lshr_b32 s14, s14, 8
	v_mad_u64_u32 v[18:19], s[14:15], s14, 24, v[32:33]
	v_mov_b32_e32 v6, s16
	v_mov_b32_e32 v7, s17
	;; [unrolled: 1-line block ×3, first 2 shown]
	global_atomic_cmpswap_x2 v[6:7], v[18:19], v[6:9], off sc0
	s_waitcnt vmcnt(0)
	v_cmp_eq_u64_e32 vcc, 0, v[6:7]
	v_mov_b32_e32 v6, s31
	s_and_saveexec_b64 s[14:15], vcc
	s_cbranch_execz .LBB0_401
; %bb.400:                              ;   in Loop: Header=BB0_395 Depth=5
	buffer_wbl2 sc1
	global_atomic_add v[34:35], v48, off
	v_mov_b32_e32 v6, 0
.LBB0_401:                              ;   in Loop: Header=BB0_395 Depth=5
	s_or_b64 exec, exec, s[14:15]
.LBB0_402:                              ;   in Loop: Header=BB0_395 Depth=5
	s_or_b64 exec, exec, s[12:13]
	v_readfirstlane_b32 s12, v6
	s_cmp_eq_u32 s12, 0
	s_cbranch_scc1 .LBB0_405
; %bb.403:                              ;   in Loop: Header=BB0_395 Depth=5
	s_mov_b64 s[14:15], 0
	s_mov_b32 s31, s12
	s_sleep 2
	s_branch .LBB0_406
.LBB0_404:                              ;   in Loop: Header=BB0_395 Depth=5
	s_mov_b64 s[14:15], -1
	s_branch .LBB0_407
.LBB0_405:                              ;   in Loop: Header=BB0_395 Depth=5
	s_mov_b64 s[14:15], -1
.LBB0_406:                              ;   in Loop: Header=BB0_395 Depth=5
	s_mov_b64 s[12:13], 0
.LBB0_407:                              ;   in Loop: Header=BB0_395 Depth=5
	s_and_b64 vcc, exec, s[14:15]
	s_cbranch_vccz .LBB0_395
; %bb.408:                              ;   in Loop: Header=BB0_347 Depth=4
	s_mov_b32 s14, 0
	s_and_b64 vcc, exec, s[12:13]
	s_cbranch_vccz .LBB0_438
; %bb.409:                              ;   in Loop: Header=BB0_347 Depth=4
	s_and_saveexec_b64 s[12:13], s[10:11]
	s_cbranch_execz .LBB0_437
; %bb.410:                              ;   in Loop: Header=BB0_347 Depth=4
	s_load_dwordx2 s[14:15], s[8:9], 0x50
	v_readfirstlane_b32 s10, v98
	v_mov_b64_e32 v[6:7], 0
	s_nop 0
	v_cmp_eq_u32_e64 s[10:11], s10, v98
	s_and_saveexec_b64 s[18:19], s[10:11]
	s_cbranch_execz .LBB0_416
; %bb.411:                              ;   in Loop: Header=BB0_347 Depth=4
	s_waitcnt lgkmcnt(0)
	global_load_dwordx2 v[20:21], v8, s[14:15] offset:24 sc0 sc1
	s_waitcnt vmcnt(0)
	buffer_inv sc0 sc1
	global_load_dwordx2 v[6:7], v8, s[14:15] offset:40
	global_load_dwordx2 v[18:19], v8, s[14:15]
	s_waitcnt vmcnt(1)
	v_and_b32_e32 v6, v6, v20
	v_and_b32_e32 v7, v7, v21
	v_mul_lo_u32 v7, v7, 24
	v_mul_hi_u32 v9, v6, 24
	v_add_u32_e32 v7, v9, v7
	v_mul_lo_u32 v6, v6, 24
	s_waitcnt vmcnt(0)
	v_lshl_add_u64 v[6:7], v[18:19], 0, v[6:7]
	global_load_dwordx2 v[18:19], v[6:7], off sc0 sc1
	s_waitcnt vmcnt(0)
	global_atomic_cmpswap_x2 v[6:7], v8, v[18:21], s[14:15] offset:24 sc0 sc1
	s_waitcnt vmcnt(0)
	buffer_inv sc0 sc1
	v_cmp_ne_u64_e32 vcc, v[6:7], v[20:21]
	s_and_saveexec_b64 s[22:23], vcc
	s_cbranch_execz .LBB0_415
; %bb.412:                              ;   in Loop: Header=BB0_347 Depth=4
	s_mov_b64 s[90:91], 0
.LBB0_413:                              ;   Parent Loop BB0_3 Depth=1
                                        ;     Parent Loop BB0_6 Depth=2
                                        ;       Parent Loop BB0_322 Depth=3
                                        ;         Parent Loop BB0_347 Depth=4
                                        ; =>        This Inner Loop Header: Depth=5
	s_sleep 1
	global_load_dwordx2 v[18:19], v8, s[14:15] offset:40
	global_load_dwordx2 v[24:25], v8, s[14:15]
	v_mov_b64_e32 v[20:21], v[6:7]
	s_waitcnt vmcnt(1)
	v_and_b32_e32 v6, v18, v20
	s_waitcnt vmcnt(0)
	v_mad_u64_u32 v[6:7], s[92:93], v6, 24, v[24:25]
	v_and_b32_e32 v9, v19, v21
	v_mov_b32_e32 v18, v7
	v_mad_u64_u32 v[18:19], s[92:93], v9, 24, v[18:19]
	v_mov_b32_e32 v7, v18
	global_load_dwordx2 v[18:19], v[6:7], off sc0 sc1
	s_waitcnt vmcnt(0)
	global_atomic_cmpswap_x2 v[6:7], v8, v[18:21], s[14:15] offset:24 sc0 sc1
	s_waitcnt vmcnt(0)
	buffer_inv sc0 sc1
	v_cmp_eq_u64_e32 vcc, v[6:7], v[20:21]
	s_or_b64 s[90:91], vcc, s[90:91]
	s_andn2_b64 exec, exec, s[90:91]
	s_cbranch_execnz .LBB0_413
; %bb.414:                              ;   in Loop: Header=BB0_347 Depth=4
	s_or_b64 exec, exec, s[90:91]
.LBB0_415:                              ;   in Loop: Header=BB0_347 Depth=4
	s_or_b64 exec, exec, s[22:23]
.LBB0_416:                              ;   in Loop: Header=BB0_347 Depth=4
	s_or_b64 exec, exec, s[18:19]
	s_waitcnt lgkmcnt(0)
	global_load_dwordx2 v[24:25], v8, s[14:15] offset:40
	global_load_dwordx4 v[18:21], v8, s[14:15]
	v_readfirstlane_b32 s19, v7
	v_readfirstlane_b32 s18, v6
	s_mov_b64 s[22:23], exec
	s_waitcnt vmcnt(1)
	v_readfirstlane_b32 s90, v24
	v_readfirstlane_b32 s91, v25
	s_and_b64 s[90:91], s[90:91], s[18:19]
	s_mul_i32 s20, s91, 24
	s_mul_hi_u32 s92, s90, 24
	s_add_i32 s93, s92, s20
	s_mul_i32 s92, s90, 24
	s_waitcnt vmcnt(0)
	v_lshl_add_u64 v[6:7], v[18:19], 0, s[92:93]
	s_and_saveexec_b64 s[92:93], s[10:11]
	s_cbranch_execz .LBB0_418
; %bb.417:                              ;   in Loop: Header=BB0_347 Depth=4
	v_mov_b64_e32 v[112:113], s[22:23]
	global_store_dwordx4 v[6:7], v[112:115], off offset:8
.LBB0_418:                              ;   in Loop: Header=BB0_347 Depth=4
	s_or_b64 exec, exec, s[92:93]
	s_lshl_b64 s[22:23], s[90:91], 12
	v_lshl_add_u64 v[20:21], v[20:21], 0, s[22:23]
	s_mov_b32 s22, s21
	s_mov_b32 s23, s21
	;; [unrolled: 1-line block ×3, first 2 shown]
	v_mov_b64_e32 v[70:71], s[22:23]
	v_lshlrev_b32_e32 v9, 6, v98
	v_mov_b64_e32 v[24:25], s[16:17]
	v_readfirstlane_b32 s16, v20
	v_readfirstlane_b32 s17, v21
	v_mov_b64_e32 v[68:69], s[20:21]
	s_nop 3
	global_store_dwordx2 v9, v[24:25], s[16:17]
	global_store_dwordx4 v9, v[68:71], s[16:17] offset:8
	global_store_dwordx4 v9, v[68:71], s[16:17] offset:24
	;; [unrolled: 1-line block ×3, first 2 shown]
	global_store_dwordx2 v9, v[50:51], s[16:17] offset:56
	s_and_saveexec_b64 s[16:17], s[10:11]
	s_cbranch_execz .LBB0_426
; %bb.419:                              ;   in Loop: Header=BB0_347 Depth=4
	global_load_dwordx2 v[70:71], v8, s[14:15] offset:32 sc0 sc1
	global_load_dwordx2 v[20:21], v8, s[14:15] offset:40
	v_mov_b32_e32 v68, s18
	v_mov_b32_e32 v69, s19
	s_waitcnt vmcnt(0)
	v_and_b32_e32 v9, s18, v20
	v_and_b32_e32 v20, s19, v21
	v_mul_lo_u32 v21, v20, 24
	v_mul_hi_u32 v24, v9, 24
	v_mul_lo_u32 v20, v9, 24
	v_add_u32_e32 v21, v24, v21
	v_lshl_add_u64 v[24:25], v[18:19], 0, v[20:21]
	global_store_dwordx2 v[24:25], v[70:71], off
	buffer_wbl2 sc0 sc1
	s_waitcnt vmcnt(0)
	global_atomic_cmpswap_x2 v[20:21], v8, v[68:71], s[14:15] offset:32 sc0 sc1
	s_waitcnt vmcnt(0)
	v_cmp_ne_u64_e32 vcc, v[20:21], v[70:71]
	s_and_saveexec_b64 s[22:23], vcc
	s_cbranch_execz .LBB0_422
; %bb.420:                              ;   in Loop: Header=BB0_347 Depth=4
	s_mov_b64 s[90:91], 0
.LBB0_421:                              ;   Parent Loop BB0_3 Depth=1
                                        ;     Parent Loop BB0_6 Depth=2
                                        ;       Parent Loop BB0_322 Depth=3
                                        ;         Parent Loop BB0_347 Depth=4
                                        ; =>        This Inner Loop Header: Depth=5
	s_sleep 1
	global_store_dwordx2 v[24:25], v[20:21], off
	v_mov_b32_e32 v18, s18
	v_mov_b32_e32 v19, s19
	buffer_wbl2 sc0 sc1
	s_waitcnt vmcnt(0)
	global_atomic_cmpswap_x2 v[18:19], v8, v[18:21], s[14:15] offset:32 sc0 sc1
	s_waitcnt vmcnt(0)
	v_cmp_eq_u64_e32 vcc, v[18:19], v[20:21]
	s_or_b64 s[90:91], vcc, s[90:91]
	v_mov_b64_e32 v[20:21], v[18:19]
	s_andn2_b64 exec, exec, s[90:91]
	s_cbranch_execnz .LBB0_421
.LBB0_422:                              ;   in Loop: Header=BB0_347 Depth=4
	s_or_b64 exec, exec, s[22:23]
	global_load_dwordx2 v[18:19], v8, s[14:15] offset:16
	s_mov_b64 s[90:91], exec
	v_mbcnt_lo_u32_b32 v9, s90, 0
	v_mbcnt_hi_u32_b32 v9, s91, v9
	v_cmp_eq_u32_e32 vcc, 0, v9
	s_and_saveexec_b64 s[22:23], vcc
	s_cbranch_execz .LBB0_424
; %bb.423:                              ;   in Loop: Header=BB0_347 Depth=4
	s_bcnt1_i32_b64 s20, s[90:91]
	v_mov_b32_e32 v20, s20
	v_mov_b32_e32 v21, v8
	buffer_wbl2 sc0 sc1
	s_waitcnt vmcnt(0)
	global_atomic_add_x2 v[18:19], v[20:21], off offset:8 sc1
.LBB0_424:                              ;   in Loop: Header=BB0_347 Depth=4
	s_or_b64 exec, exec, s[22:23]
	s_waitcnt vmcnt(0)
	global_load_dwordx2 v[20:21], v[18:19], off offset:16
	s_waitcnt vmcnt(0)
	v_cmp_eq_u64_e32 vcc, 0, v[20:21]
	s_cbranch_vccnz .LBB0_426
; %bb.425:                              ;   in Loop: Header=BB0_347 Depth=4
	global_load_dword v18, v[18:19], off offset:24
	v_mov_b32_e32 v19, v8
	s_waitcnt vmcnt(0)
	v_readfirstlane_b32 s20, v18
	s_and_b32 m0, s20, 0xffffff
	buffer_wbl2 sc0 sc1
	global_store_dwordx2 v[20:21], v[18:19], off sc0 sc1
	s_sendmsg sendmsg(MSG_INTERRUPT)
.LBB0_426:                              ;   in Loop: Header=BB0_347 Depth=4
	s_or_b64 exec, exec, s[16:17]
.LBB0_427:                              ;   Parent Loop BB0_3 Depth=1
                                        ;     Parent Loop BB0_6 Depth=2
                                        ;       Parent Loop BB0_322 Depth=3
                                        ;         Parent Loop BB0_347 Depth=4
                                        ; =>        This Inner Loop Header: Depth=5
	v_mov_b32_e32 v9, 1
	s_and_saveexec_b64 s[16:17], s[10:11]
	s_cbranch_execz .LBB0_429
; %bb.428:                              ;   in Loop: Header=BB0_427 Depth=5
	global_load_dword v9, v[6:7], off offset:20 sc0 sc1
	s_waitcnt vmcnt(0)
	buffer_inv sc0 sc1
	v_and_b32_e32 v9, 1, v9
.LBB0_429:                              ;   in Loop: Header=BB0_427 Depth=5
	s_or_b64 exec, exec, s[16:17]
	v_readfirstlane_b32 s16, v9
	s_cmp_eq_u32 s16, 0
	s_cbranch_scc1 .LBB0_431
; %bb.430:                              ;   in Loop: Header=BB0_427 Depth=5
	s_mov_b64 s[16:17], 0
	s_sleep 1
	s_branch .LBB0_432
.LBB0_431:                              ;   in Loop: Header=BB0_427 Depth=5
	s_mov_b64 s[16:17], -1
.LBB0_432:                              ;   in Loop: Header=BB0_427 Depth=5
	s_andn2_b64 vcc, exec, s[16:17]
	s_cbranch_vccnz .LBB0_427
; %bb.433:                              ;   in Loop: Header=BB0_347 Depth=4
	s_and_b64 exec, exec, s[10:11]
	s_cbranch_execz .LBB0_437
; %bb.434:                              ;   in Loop: Header=BB0_347 Depth=4
	global_load_dwordx2 v[6:7], v8, s[14:15] offset:40
	global_load_dwordx2 v[70:71], v8, s[14:15] offset:24 sc0 sc1
	global_load_dwordx2 v[18:19], v8, s[14:15]
	s_waitcnt vmcnt(2)
	v_readfirstlane_b32 s16, v6
	v_readfirstlane_b32 s17, v7
	s_add_u32 s20, s16, 1
	s_addc_u32 s22, s17, 0
	s_add_u32 s10, s20, s18
	s_addc_u32 s11, s22, s19
	s_cmp_eq_u64 s[10:11], 0
	s_cselect_b32 s11, s22, s11
	s_cselect_b32 s10, s20, s10
	s_and_b64 s[16:17], s[10:11], s[16:17]
	s_mul_i32 s17, s17, 24
	s_mul_hi_u32 s18, s16, 24
	s_mul_i32 s16, s16, 24
	s_add_i32 s17, s18, s17
	s_waitcnt vmcnt(0)
	v_lshl_add_u64 v[6:7], v[18:19], 0, s[16:17]
	v_mov_b32_e32 v68, s10
	global_store_dwordx2 v[6:7], v[70:71], off
	v_mov_b32_e32 v69, s11
	buffer_wbl2 sc0 sc1
	s_waitcnt vmcnt(0)
	global_atomic_cmpswap_x2 v[20:21], v8, v[68:71], s[14:15] offset:24 sc0 sc1
	s_waitcnt vmcnt(0)
	v_cmp_ne_u64_e32 vcc, v[20:21], v[70:71]
	s_and_b64 exec, exec, vcc
	s_cbranch_execz .LBB0_437
; %bb.435:                              ;   in Loop: Header=BB0_347 Depth=4
	s_mov_b64 s[16:17], 0
.LBB0_436:                              ;   Parent Loop BB0_3 Depth=1
                                        ;     Parent Loop BB0_6 Depth=2
                                        ;       Parent Loop BB0_322 Depth=3
                                        ;         Parent Loop BB0_347 Depth=4
                                        ; =>        This Inner Loop Header: Depth=5
	s_sleep 1
	global_store_dwordx2 v[6:7], v[20:21], off
	v_mov_b32_e32 v18, s10
	v_mov_b32_e32 v19, s11
	buffer_wbl2 sc0 sc1
	s_waitcnt vmcnt(0)
	global_atomic_cmpswap_x2 v[18:19], v8, v[18:21], s[14:15] offset:24 sc0 sc1
	s_waitcnt vmcnt(0)
	v_cmp_eq_u64_e32 vcc, v[18:19], v[20:21]
	s_or_b64 s[16:17], vcc, s[16:17]
	v_mov_b64_e32 v[20:21], v[18:19]
	s_andn2_b64 exec, exec, s[16:17]
	s_cbranch_execnz .LBB0_436
.LBB0_437:                              ;   in Loop: Header=BB0_347 Depth=4
	s_or_b64 exec, exec, s[12:13]
	s_mov_b32 s14, s31
.LBB0_438:                              ;   in Loop: Header=BB0_347 Depth=4
	s_mov_b32 s31, s14
.LBB0_439:                              ;   in Loop: Header=BB0_347 Depth=4
	s_mov_b32 s18, s31
.LBB0_440:                              ;   in Loop: Header=BB0_347 Depth=4
	s_cmp_eq_u32 s18, 0
	s_cselect_b64 s[10:11], -1, 0
	s_and_b64 vcc, exec, s[10:11]
	s_cbranch_vccnz .LBB0_461
; %bb.441:                              ;   in Loop: Header=BB0_347 Depth=4
	v_mbcnt_lo_u32_b32 v6, exec_lo, 0
	v_mbcnt_hi_u32_b32 v6, exec_hi, v6
	v_cmp_eq_u32_e32 vcc, 0, v6
	s_and_saveexec_b64 s[12:13], vcc
	s_cbranch_execz .LBB0_458
; %bb.442:                              ;   in Loop: Header=BB0_347 Depth=4
	global_load_dwordx2 v[6:7], v[36:37], off sc1
	s_memrealtime s[14:15]
	s_waitcnt lgkmcnt(0)
	v_mov_b32_e32 v9, s15
	s_waitcnt vmcnt(0)
	v_sub_co_u32_e32 v6, vcc, s14, v6
	s_nop 1
	v_subb_co_u32_e32 v7, vcc, v9, v7, vcc
	v_cmp_gt_u64_e32 vcc, s[62:63], v[6:7]
	s_and_b64 exec, exec, vcc
	s_cbranch_execz .LBB0_458
; %bb.443:                              ;   in Loop: Header=BB0_347 Depth=4
	s_memrealtime s[16:17]
	v_readfirstlane_b32 s14, v6
	s_sub_i32 s14, 0x7530, s14
	s_waitcnt lgkmcnt(0)
	s_add_u32 s14, s14, s16
	s_addc_u32 s15, 0, s17
	s_add_u32 s22, s16, 0x659
	s_addc_u32 s23, 0, s17
.LBB0_444:                              ;   Parent Loop BB0_3 Depth=1
                                        ;     Parent Loop BB0_6 Depth=2
                                        ;       Parent Loop BB0_322 Depth=3
                                        ;         Parent Loop BB0_347 Depth=4
                                        ; =>        This Inner Loop Header: Depth=5
	v_mov_b64_e32 v[6:7], s[22:23]
	v_cmp_le_u64_e32 vcc, s[14:15], v[6:7]
	s_cbranch_vccnz .LBB0_447
; %bb.445:                              ;   in Loop: Header=BB0_444 Depth=5
	s_sleep 0x7f
	s_memrealtime s[16:17]
	s_waitcnt lgkmcnt(0)
	s_add_u32 s22, s16, 0x659
	s_addc_u32 s23, s17, 0
	s_branch .LBB0_444
.LBB0_446:                              ;   in Loop: Header=BB0_447 Depth=5
	s_sleep 63
	s_memrealtime s[16:17]
.LBB0_447:                              ;   Parent Loop BB0_3 Depth=1
                                        ;     Parent Loop BB0_6 Depth=2
                                        ;       Parent Loop BB0_322 Depth=3
                                        ;         Parent Loop BB0_347 Depth=4
                                        ; =>        This Inner Loop Header: Depth=5
	s_waitcnt lgkmcnt(0)
	s_add_u32 s22, s16, 0x326
	s_addc_u32 s23, s17, 0
	v_mov_b64_e32 v[6:7], s[22:23]
	v_cmp_le_u64_e32 vcc, s[14:15], v[6:7]
	s_cbranch_vccz .LBB0_446
; %bb.448:                              ;   in Loop: Header=BB0_347 Depth=4
	s_add_u32 s22, s16, 0x18c
	s_addc_u32 s23, s17, 0
	v_mov_b64_e32 v[6:7], s[22:23]
	v_cmp_le_u64_e32 vcc, s[14:15], v[6:7]
	s_cbranch_vccnz .LBB0_451
.LBB0_449:                              ;   Parent Loop BB0_3 Depth=1
                                        ;     Parent Loop BB0_6 Depth=2
                                        ;       Parent Loop BB0_322 Depth=3
                                        ;         Parent Loop BB0_347 Depth=4
                                        ; =>        This Inner Loop Header: Depth=5
	s_sleep 31
	s_memrealtime s[16:17]
	s_waitcnt lgkmcnt(0)
	s_add_u32 s22, s16, 0x18c
	s_addc_u32 s23, s17, 0
	v_mov_b64_e32 v[6:7], s[22:23]
	v_cmp_gt_u64_e32 vcc, s[14:15], v[6:7]
	s_cbranch_vccnz .LBB0_449
	s_branch .LBB0_451
.LBB0_450:                              ;   in Loop: Header=BB0_451 Depth=5
	s_sleep 15
	s_memrealtime s[16:17]
.LBB0_451:                              ;   Parent Loop BB0_3 Depth=1
                                        ;     Parent Loop BB0_6 Depth=2
                                        ;       Parent Loop BB0_322 Depth=3
                                        ;         Parent Loop BB0_347 Depth=4
                                        ; =>        This Inner Loop Header: Depth=5
	s_waitcnt lgkmcnt(0)
	s_add_u32 s22, s16, 0xc0
	s_addc_u32 s23, s17, 0
	v_mov_b64_e32 v[6:7], s[22:23]
	v_cmp_le_u64_e32 vcc, s[14:15], v[6:7]
	s_cbranch_vccz .LBB0_450
	s_branch .LBB0_453
.LBB0_452:                              ;   in Loop: Header=BB0_453 Depth=5
	s_sleep 7
	s_memrealtime s[16:17]
.LBB0_453:                              ;   Parent Loop BB0_3 Depth=1
                                        ;     Parent Loop BB0_6 Depth=2
                                        ;       Parent Loop BB0_322 Depth=3
                                        ;         Parent Loop BB0_347 Depth=4
                                        ; =>        This Inner Loop Header: Depth=5
	s_waitcnt lgkmcnt(0)
	s_add_u32 s22, s16, 0x59
	s_addc_u32 s23, s17, 0
	v_mov_b64_e32 v[6:7], s[22:23]
	v_cmp_le_u64_e32 vcc, s[14:15], v[6:7]
	s_cbranch_vccz .LBB0_452
	;; [unrolled: 15-line block ×3, first 2 shown]
; %bb.456:                              ;   in Loop: Header=BB0_347 Depth=4
	v_mov_b64_e32 v[6:7], s[16:17]
	v_cmp_le_u64_e32 vcc, s[14:15], v[6:7]
	s_cbranch_vccnz .LBB0_458
.LBB0_457:                              ;   Parent Loop BB0_3 Depth=1
                                        ;     Parent Loop BB0_6 Depth=2
                                        ;       Parent Loop BB0_322 Depth=3
                                        ;         Parent Loop BB0_347 Depth=4
                                        ; =>        This Inner Loop Header: Depth=5
	s_sleep 1
	s_memrealtime s[16:17]
	s_waitcnt lgkmcnt(0)
	v_mov_b64_e32 v[6:7], s[16:17]
	v_cmp_gt_u64_e32 vcc, s[14:15], v[6:7]
	s_cbranch_vccnz .LBB0_457
.LBB0_458:                              ;   in Loop: Header=BB0_347 Depth=4
	s_or_b64 exec, exec, s[12:13]
	s_cmp_lg_u32 s18, 2
	s_cselect_b64 s[12:13], -1, 0
	v_cndmask_b32_e64 v22, 0, 1, s[12:13]
	v_mov_b32_e32 v23, s21
	s_branch .LBB0_461
.LBB0_459:                              ;   in Loop: Header=BB0_347 Depth=4
	s_mov_b64 s[14:15], 0
	v_mov_b64_e32 v[22:23], 0
	s_branch .LBB0_468
.LBB0_460:                              ;   in Loop: Header=BB0_347 Depth=4
	s_mov_b64 s[10:11], -1
.LBB0_461:                              ;   in Loop: Header=BB0_347 Depth=4
	s_mov_b64 s[14:15], 0
	s_and_b64 vcc, exec, s[10:11]
	s_cbranch_vccz .LBB0_468
; %bb.462:                              ;   in Loop: Header=BB0_347 Depth=4
	v_mov_b32_e32 v6, 1
	s_and_saveexec_b64 s[10:11], s[6:7]
	s_cbranch_execz .LBB0_466
; %bb.463:                              ;   in Loop: Header=BB0_347 Depth=4
	global_load_dwordx2 v[20:21], v[38:39], off sc1
	s_memrealtime s[14:15]
	s_waitcnt lgkmcnt(0)
	v_mov_b32_e32 v7, s15
	s_waitcnt vmcnt(0)
	v_sub_co_u32_e32 v6, vcc, s14, v20
	s_nop 1
	v_subb_co_u32_e32 v7, vcc, v7, v21, vcc
	v_cmp_lt_u64_e32 vcc, s[72:73], v[6:7]
	v_mov_b32_e32 v6, 1
	s_and_saveexec_b64 s[12:13], vcc
	s_cbranch_execz .LBB0_465
; %bb.464:                              ;   in Loop: Header=BB0_347 Depth=4
	v_mov_b32_e32 v18, s14
	v_mov_b32_e32 v19, s15
	global_atomic_cmpswap_x2 v[6:7], v[38:39], v[18:21], off sc0
	s_waitcnt vmcnt(0)
	v_cmp_ne_u64_e32 vcc, v[6:7], v[20:21]
	s_nop 1
	v_cndmask_b32_e64 v6, 0, 1, vcc
.LBB0_465:                              ;   in Loop: Header=BB0_347 Depth=4
	s_or_b64 exec, exec, s[12:13]
.LBB0_466:                              ;   in Loop: Header=BB0_347 Depth=4
	s_or_b64 exec, exec, s[10:11]
	v_readfirstlane_b32 s20, v6
	s_mov_b64 s[14:15], 0
	s_cmp_lg_u64 s[20:21], 0
	v_mov_b64_e32 v[68:69], s[20:21]
	s_cbranch_scc0 .LBB0_469
.LBB0_467:                              ;   in Loop: Header=BB0_347 Depth=4
	v_mov_b64_e32 v[22:23], v[68:69]
.LBB0_468:                              ;   in Loop: Header=BB0_347 Depth=4
	s_xor_b64 s[10:11], s[14:15], -1
	s_andn2_b64 vcc, exec, s[10:11]
	s_cbranch_vccnz .LBB0_347
	s_branch .LBB0_577
.LBB0_469:                              ;   in Loop: Header=BB0_347 Depth=4
	v_mov_b64_e32 v[68:69], 0
	v_mov_b64_e32 v[6:7], 0
	s_and_saveexec_b64 s[12:13], s[6:7]
	s_cbranch_execz .LBB0_504
; %bb.470:                              ;   in Loop: Header=BB0_347 Depth=4
	global_load_dwordx2 v[6:7], v8, s[56:57] sc1
	global_load_dwordx2 v[18:19], v8, s[58:59]
	s_mov_b64 s[10:11], -1
	s_waitcnt vmcnt(0)
	v_cmp_ge_u64_e32 vcc, v[6:7], v[18:19]
                                        ; implicit-def: $vgpr6_vgpr7
	s_cbranch_vccnz .LBB0_474
; %bb.471:                              ;   in Loop: Header=BB0_347 Depth=4
	s_mov_b64 s[14:15], exec
	v_mbcnt_lo_u32_b32 v6, s14, 0
	v_mbcnt_hi_u32_b32 v9, s15, v6
	v_cmp_eq_u32_e32 vcc, 0, v9
                                        ; implicit-def: $vgpr6_vgpr7
	s_and_saveexec_b64 s[10:11], vcc
	s_cbranch_execz .LBB0_473
; %bb.472:                              ;   in Loop: Header=BB0_347 Depth=4
	s_bcnt1_i32_b64 s14, s[14:15]
	s_lshl_b32 s14, s14, 21
	v_mov_b32_e32 v6, s14
	v_mov_b32_e32 v7, v8
	global_atomic_add_x2 v[6:7], v8, v[6:7], s[56:57] sc0
.LBB0_473:                              ;   in Loop: Header=BB0_347 Depth=4
	s_or_b64 exec, exec, s[10:11]
	s_waitcnt vmcnt(0)
	v_readfirstlane_b32 s10, v7
	v_readfirstlane_b32 s11, v6
	s_nop 0
	v_mov_b32_e32 v7, s10
	v_mov_b32_e32 v6, s11
	v_mad_u64_u32 v[6:7], s[10:11], v9, s54, v[6:7]
	v_cmp_ge_u64_e64 s[10:11], v[6:7], v[18:19]
.LBB0_474:                              ;   in Loop: Header=BB0_347 Depth=4
	s_and_saveexec_b64 s[14:15], s[10:11]
	s_cbranch_execz .LBB0_503
; %bb.475:                              ;   in Loop: Header=BB0_347 Depth=4
	s_load_dwordx2 s[16:17], s[8:9], 0x50
	v_readfirstlane_b32 s10, v98
	v_mov_b64_e32 v[6:7], 0
	s_nop 0
	v_cmp_eq_u32_e64 s[10:11], s10, v98
	s_and_saveexec_b64 s[18:19], s[10:11]
	s_cbranch_execz .LBB0_481
; %bb.476:                              ;   in Loop: Header=BB0_347 Depth=4
	s_waitcnt lgkmcnt(0)
	global_load_dwordx2 v[20:21], v8, s[16:17] offset:24 sc0 sc1
	s_waitcnt vmcnt(0)
	buffer_inv sc0 sc1
	global_load_dwordx2 v[6:7], v8, s[16:17] offset:40
	global_load_dwordx2 v[18:19], v8, s[16:17]
	s_waitcnt vmcnt(1)
	v_and_b32_e32 v6, v6, v20
	v_and_b32_e32 v7, v7, v21
	v_mul_lo_u32 v7, v7, 24
	v_mul_hi_u32 v9, v6, 24
	v_add_u32_e32 v7, v9, v7
	v_mul_lo_u32 v6, v6, 24
	s_waitcnt vmcnt(0)
	v_lshl_add_u64 v[6:7], v[18:19], 0, v[6:7]
	global_load_dwordx2 v[18:19], v[6:7], off sc0 sc1
	s_waitcnt vmcnt(0)
	global_atomic_cmpswap_x2 v[6:7], v8, v[18:21], s[16:17] offset:24 sc0 sc1
	s_waitcnt vmcnt(0)
	buffer_inv sc0 sc1
	v_cmp_ne_u64_e32 vcc, v[6:7], v[20:21]
	s_and_saveexec_b64 s[22:23], vcc
	s_cbranch_execz .LBB0_480
; %bb.477:                              ;   in Loop: Header=BB0_347 Depth=4
	s_mov_b64 s[90:91], 0
.LBB0_478:                              ;   Parent Loop BB0_3 Depth=1
                                        ;     Parent Loop BB0_6 Depth=2
                                        ;       Parent Loop BB0_322 Depth=3
                                        ;         Parent Loop BB0_347 Depth=4
                                        ; =>        This Inner Loop Header: Depth=5
	s_sleep 1
	global_load_dwordx2 v[18:19], v8, s[16:17] offset:40
	global_load_dwordx2 v[24:25], v8, s[16:17]
	v_mov_b64_e32 v[20:21], v[6:7]
	s_waitcnt vmcnt(1)
	v_and_b32_e32 v6, v18, v20
	s_waitcnt vmcnt(0)
	v_mad_u64_u32 v[6:7], s[92:93], v6, 24, v[24:25]
	v_and_b32_e32 v9, v19, v21
	v_mov_b32_e32 v18, v7
	v_mad_u64_u32 v[18:19], s[92:93], v9, 24, v[18:19]
	v_mov_b32_e32 v7, v18
	global_load_dwordx2 v[18:19], v[6:7], off sc0 sc1
	s_waitcnt vmcnt(0)
	global_atomic_cmpswap_x2 v[6:7], v8, v[18:21], s[16:17] offset:24 sc0 sc1
	s_waitcnt vmcnt(0)
	buffer_inv sc0 sc1
	v_cmp_eq_u64_e32 vcc, v[6:7], v[20:21]
	s_or_b64 s[90:91], vcc, s[90:91]
	s_andn2_b64 exec, exec, s[90:91]
	s_cbranch_execnz .LBB0_478
; %bb.479:                              ;   in Loop: Header=BB0_347 Depth=4
	s_or_b64 exec, exec, s[90:91]
.LBB0_480:                              ;   in Loop: Header=BB0_347 Depth=4
	s_or_b64 exec, exec, s[22:23]
.LBB0_481:                              ;   in Loop: Header=BB0_347 Depth=4
	s_or_b64 exec, exec, s[18:19]
	s_waitcnt lgkmcnt(0)
	global_load_dwordx2 v[24:25], v8, s[16:17] offset:40
	global_load_dwordx4 v[18:21], v8, s[16:17]
	v_readfirstlane_b32 s19, v7
	v_readfirstlane_b32 s18, v6
	s_mov_b64 s[22:23], exec
	s_waitcnt vmcnt(1)
	v_readfirstlane_b32 s90, v24
	v_readfirstlane_b32 s91, v25
	s_and_b64 s[90:91], s[90:91], s[18:19]
	s_mul_i32 s20, s91, 24
	s_mul_hi_u32 s92, s90, 24
	s_add_i32 s93, s92, s20
	s_mul_i32 s92, s90, 24
	s_waitcnt vmcnt(0)
	v_lshl_add_u64 v[6:7], v[18:19], 0, s[92:93]
	s_and_saveexec_b64 s[92:93], s[10:11]
	s_cbranch_execz .LBB0_483
; %bb.482:                              ;   in Loop: Header=BB0_347 Depth=4
	v_mov_b64_e32 v[112:113], s[22:23]
	global_store_dwordx4 v[6:7], v[112:115], off offset:8
.LBB0_483:                              ;   in Loop: Header=BB0_347 Depth=4
	s_or_b64 exec, exec, s[92:93]
	s_lshl_b64 s[22:23], s[90:91], 12
	v_lshl_add_u64 v[24:25], v[20:21], 0, s[22:23]
	s_mov_b32 s22, s21
	s_mov_b32 s23, s21
	;; [unrolled: 1-line block ×3, first 2 shown]
	v_mov_b64_e32 v[82:83], s[22:23]
	v_lshlrev_b32_e32 v54, 6, v98
	v_readfirstlane_b32 s90, v24
	v_readfirstlane_b32 s91, v25
	v_mov_b64_e32 v[80:81], s[20:21]
	s_nop 3
	global_store_dwordx4 v54, v[14:17], s[90:91]
	global_store_dwordx4 v54, v[80:83], s[90:91] offset:16
	global_store_dwordx4 v54, v[80:83], s[90:91] offset:32
	;; [unrolled: 1-line block ×3, first 2 shown]
	s_and_saveexec_b64 s[22:23], s[10:11]
	s_cbranch_execz .LBB0_491
; %bb.484:                              ;   in Loop: Header=BB0_347 Depth=4
	global_load_dwordx2 v[82:83], v8, s[16:17] offset:32 sc0 sc1
	global_load_dwordx2 v[20:21], v8, s[16:17] offset:40
	v_mov_b32_e32 v80, s18
	v_mov_b32_e32 v81, s19
	s_waitcnt vmcnt(0)
	v_and_b32_e32 v9, s18, v20
	v_and_b32_e32 v20, s19, v21
	v_mul_lo_u32 v21, v20, 24
	v_mul_hi_u32 v49, v9, 24
	v_mul_lo_u32 v20, v9, 24
	v_add_u32_e32 v21, v49, v21
	v_lshl_add_u64 v[64:65], v[18:19], 0, v[20:21]
	global_store_dwordx2 v[64:65], v[82:83], off
	buffer_wbl2 sc0 sc1
	s_waitcnt vmcnt(0)
	global_atomic_cmpswap_x2 v[20:21], v8, v[80:83], s[16:17] offset:32 sc0 sc1
	s_waitcnt vmcnt(0)
	v_cmp_ne_u64_e32 vcc, v[20:21], v[82:83]
	s_and_saveexec_b64 s[90:91], vcc
	s_cbranch_execz .LBB0_487
; %bb.485:                              ;   in Loop: Header=BB0_347 Depth=4
	s_mov_b64 s[92:93], 0
.LBB0_486:                              ;   Parent Loop BB0_3 Depth=1
                                        ;     Parent Loop BB0_6 Depth=2
                                        ;       Parent Loop BB0_322 Depth=3
                                        ;         Parent Loop BB0_347 Depth=4
                                        ; =>        This Inner Loop Header: Depth=5
	s_sleep 1
	global_store_dwordx2 v[64:65], v[20:21], off
	v_mov_b32_e32 v18, s18
	v_mov_b32_e32 v19, s19
	buffer_wbl2 sc0 sc1
	s_waitcnt vmcnt(0)
	global_atomic_cmpswap_x2 v[18:19], v8, v[18:21], s[16:17] offset:32 sc0 sc1
	s_waitcnt vmcnt(0)
	v_cmp_eq_u64_e32 vcc, v[18:19], v[20:21]
	s_or_b64 s[92:93], vcc, s[92:93]
	v_mov_b64_e32 v[20:21], v[18:19]
	s_andn2_b64 exec, exec, s[92:93]
	s_cbranch_execnz .LBB0_486
.LBB0_487:                              ;   in Loop: Header=BB0_347 Depth=4
	s_or_b64 exec, exec, s[90:91]
	global_load_dwordx2 v[18:19], v8, s[16:17] offset:16
	s_mov_b64 s[92:93], exec
	v_mbcnt_lo_u32_b32 v9, s92, 0
	v_mbcnt_hi_u32_b32 v9, s93, v9
	v_cmp_eq_u32_e32 vcc, 0, v9
	s_and_saveexec_b64 s[90:91], vcc
	s_cbranch_execz .LBB0_489
; %bb.488:                              ;   in Loop: Header=BB0_347 Depth=4
	s_bcnt1_i32_b64 s20, s[92:93]
	v_mov_b32_e32 v20, s20
	v_mov_b32_e32 v21, v8
	buffer_wbl2 sc0 sc1
	s_waitcnt vmcnt(0)
	global_atomic_add_x2 v[18:19], v[20:21], off offset:8 sc1
.LBB0_489:                              ;   in Loop: Header=BB0_347 Depth=4
	s_or_b64 exec, exec, s[90:91]
	s_waitcnt vmcnt(0)
	global_load_dwordx2 v[20:21], v[18:19], off offset:16
	s_waitcnt vmcnt(0)
	v_cmp_eq_u64_e32 vcc, 0, v[20:21]
	s_cbranch_vccnz .LBB0_491
; %bb.490:                              ;   in Loop: Header=BB0_347 Depth=4
	global_load_dword v18, v[18:19], off offset:24
	v_mov_b32_e32 v19, v8
	s_waitcnt vmcnt(0)
	v_readfirstlane_b32 s20, v18
	s_and_b32 m0, s20, 0xffffff
	buffer_wbl2 sc0 sc1
	global_store_dwordx2 v[20:21], v[18:19], off sc0 sc1
	s_sendmsg sendmsg(MSG_INTERRUPT)
.LBB0_491:                              ;   in Loop: Header=BB0_347 Depth=4
	s_or_b64 exec, exec, s[22:23]
	v_mov_b32_e32 v55, v8
	v_lshl_add_u64 v[18:19], v[24:25], 0, v[54:55]
.LBB0_492:                              ;   Parent Loop BB0_3 Depth=1
                                        ;     Parent Loop BB0_6 Depth=2
                                        ;       Parent Loop BB0_322 Depth=3
                                        ;         Parent Loop BB0_347 Depth=4
                                        ; =>        This Inner Loop Header: Depth=5
	v_mov_b32_e32 v9, 1
	s_and_saveexec_b64 s[22:23], s[10:11]
	s_cbranch_execz .LBB0_494
; %bb.493:                              ;   in Loop: Header=BB0_492 Depth=5
	global_load_dword v9, v[6:7], off offset:20 sc0 sc1
	s_waitcnt vmcnt(0)
	buffer_inv sc0 sc1
	v_and_b32_e32 v9, 1, v9
.LBB0_494:                              ;   in Loop: Header=BB0_492 Depth=5
	s_or_b64 exec, exec, s[22:23]
	v_readfirstlane_b32 s20, v9
	s_cmp_eq_u32 s20, 0
	s_cbranch_scc1 .LBB0_496
; %bb.495:                              ;   in Loop: Header=BB0_492 Depth=5
	s_mov_b64 s[22:23], 0
	s_sleep 1
	s_branch .LBB0_497
.LBB0_496:                              ;   in Loop: Header=BB0_492 Depth=5
	s_mov_b64 s[22:23], -1
.LBB0_497:                              ;   in Loop: Header=BB0_492 Depth=5
	s_andn2_b64 vcc, exec, s[22:23]
	s_cbranch_vccnz .LBB0_492
; %bb.498:                              ;   in Loop: Header=BB0_347 Depth=4
	global_load_dwordx2 v[6:7], v[18:19], off
	s_and_saveexec_b64 s[22:23], s[10:11]
	s_cbranch_execz .LBB0_502
; %bb.499:                              ;   in Loop: Header=BB0_347 Depth=4
	global_load_dwordx2 v[18:19], v8, s[16:17] offset:40
	global_load_dwordx2 v[82:83], v8, s[16:17] offset:24 sc0 sc1
	global_load_dwordx2 v[20:21], v8, s[16:17]
	s_waitcnt vmcnt(2)
	v_readfirstlane_b32 s90, v18
	v_readfirstlane_b32 s91, v19
	s_add_u32 s20, s90, 1
	s_addc_u32 s92, s91, 0
	s_add_u32 s10, s20, s18
	s_addc_u32 s11, s92, s19
	s_cmp_eq_u64 s[10:11], 0
	s_cselect_b32 s11, s92, s11
	s_cselect_b32 s10, s20, s10
	s_and_b64 s[18:19], s[10:11], s[90:91]
	s_mul_i32 s19, s19, 24
	s_mul_hi_u32 s20, s18, 24
	s_mul_i32 s18, s18, 24
	s_add_i32 s19, s20, s19
	s_waitcnt vmcnt(0)
	v_lshl_add_u64 v[24:25], v[20:21], 0, s[18:19]
	v_mov_b32_e32 v80, s10
	global_store_dwordx2 v[24:25], v[82:83], off
	v_mov_b32_e32 v81, s11
	buffer_wbl2 sc0 sc1
	s_waitcnt vmcnt(0)
	global_atomic_cmpswap_x2 v[20:21], v8, v[80:83], s[16:17] offset:24 sc0 sc1
	s_waitcnt vmcnt(0)
	v_cmp_ne_u64_e32 vcc, v[20:21], v[82:83]
	s_and_b64 exec, exec, vcc
	s_cbranch_execz .LBB0_502
; %bb.500:                              ;   in Loop: Header=BB0_347 Depth=4
	s_mov_b64 s[18:19], 0
.LBB0_501:                              ;   Parent Loop BB0_3 Depth=1
                                        ;     Parent Loop BB0_6 Depth=2
                                        ;       Parent Loop BB0_322 Depth=3
                                        ;         Parent Loop BB0_347 Depth=4
                                        ; =>        This Inner Loop Header: Depth=5
	s_sleep 1
	global_store_dwordx2 v[24:25], v[20:21], off
	v_mov_b32_e32 v18, s10
	v_mov_b32_e32 v19, s11
	buffer_wbl2 sc0 sc1
	s_waitcnt vmcnt(0)
	global_atomic_cmpswap_x2 v[18:19], v8, v[18:21], s[16:17] offset:24 sc0 sc1
	s_waitcnt vmcnt(0)
	v_cmp_eq_u64_e32 vcc, v[18:19], v[20:21]
	s_or_b64 s[18:19], vcc, s[18:19]
	v_mov_b64_e32 v[20:21], v[18:19]
	s_andn2_b64 exec, exec, s[18:19]
	s_cbranch_execnz .LBB0_501
.LBB0_502:                              ;   in Loop: Header=BB0_347 Depth=4
	s_or_b64 exec, exec, s[22:23]
.LBB0_503:                              ;   in Loop: Header=BB0_347 Depth=4
	s_or_b64 exec, exec, s[14:15]
.LBB0_504:                              ;   in Loop: Header=BB0_347 Depth=4
	s_or_b64 exec, exec, s[12:13]
	s_waitcnt vmcnt(0)
	v_readfirstlane_b32 s12, v6
	v_readfirstlane_b32 s13, v7
	s_cmp_eq_u64 s[12:13], 0
	s_cbranch_scc1 .LBB0_574
; %bb.505:                              ;   in Loop: Header=BB0_347 Depth=4
	global_load_dword v9, v[28:29], off
	v_mbcnt_lo_u32_b32 v6, exec_lo, 0
	v_mbcnt_hi_u32_b32 v19, exec_hi, v6
	s_bcnt1_i32_b64 s18, exec
	s_waitcnt vmcnt(0)
	v_add_u32_e32 v6, 31, v9
	v_lshrrev_b32_e32 v18, 5, v6
	s_and_saveexec_b64 s[10:11], s[0:1]
	s_xor_b64 s[10:11], exec, s[10:11]
	s_cbranch_execz .LBB0_513
; %bb.506:                              ;   in Loop: Header=BB0_347 Depth=4
	global_load_dword v20, v[28:29], off offset:20
	v_cmp_lt_u32_e32 vcc, v19, v18
	s_and_saveexec_b64 s[14:15], vcc
	s_cbranch_execz .LBB0_509
; %bb.507:                              ;   in Loop: Header=BB0_347 Depth=4
	v_lshlrev_b32_e32 v6, 2, v19
	v_mov_b32_e32 v7, v8
	v_lshl_add_u64 v[6:7], s[12:13], 0, v[6:7]
	v_lshl_add_u64 v[6:7], v[6:7], 0, 16
	s_lshl_b32 s20, s18, 2
	s_mov_b64 s[16:17], 0
	v_mov_b32_e32 v21, v19
.LBB0_508:                              ;   Parent Loop BB0_3 Depth=1
                                        ;     Parent Loop BB0_6 Depth=2
                                        ;       Parent Loop BB0_322 Depth=3
                                        ;         Parent Loop BB0_347 Depth=4
                                        ; =>        This Inner Loop Header: Depth=5
	v_add_u32_e32 v21, s18, v21
	v_cmp_ge_u32_e32 vcc, v21, v18
	global_store_dword v[6:7], v8, off
	s_or_b64 s[16:17], vcc, s[16:17]
	v_lshl_add_u64 v[6:7], v[6:7], 0, s[20:21]
	s_andn2_b64 exec, exec, s[16:17]
	s_cbranch_execnz .LBB0_508
.LBB0_509:                              ;   in Loop: Header=BB0_347 Depth=4
	s_or_b64 exec, exec, s[14:15]
	global_load_dword v6, v[28:29], off offset:16
	s_waitcnt vmcnt(0)
	v_mad_u64_u32 v[6:7], s[14:15], v20, v19, v[6:7]
	v_cmp_lt_u32_e32 vcc, v6, v9
	s_and_saveexec_b64 s[14:15], vcc
	s_cbranch_execz .LBB0_512
; %bb.510:                              ;   in Loop: Header=BB0_347 Depth=4
	v_mul_lo_u32 v7, v20, s18
	s_mov_b64 s[16:17], 0
.LBB0_511:                              ;   Parent Loop BB0_3 Depth=1
                                        ;     Parent Loop BB0_6 Depth=2
                                        ;       Parent Loop BB0_322 Depth=3
                                        ;         Parent Loop BB0_347 Depth=4
                                        ; =>        This Inner Loop Header: Depth=5
	v_lshlrev_b32_e64 v20, v6, 1
	v_lshrrev_b32_e32 v21, 3, v6
	v_add_u32_e32 v6, v6, v7
	v_cmp_ge_u32_e32 vcc, v6, v9
	v_and_b32_e32 v21, 0x1ffffffc, v21
	s_or_b64 s[16:17], vcc, s[16:17]
	global_store_dword v21, v20, s[12:13] offset:16
	s_andn2_b64 exec, exec, s[16:17]
	s_cbranch_execnz .LBB0_511
.LBB0_512:                              ;   in Loop: Header=BB0_347 Depth=4
	s_or_b64 exec, exec, s[14:15]
.LBB0_513:                              ;   in Loop: Header=BB0_347 Depth=4
	s_andn2_saveexec_b64 s[10:11], s[10:11]
	s_cbranch_execz .LBB0_518
; %bb.514:                              ;   in Loop: Header=BB0_347 Depth=4
	v_cmp_lt_u32_e32 vcc, v19, v18
	s_and_saveexec_b64 s[14:15], vcc
	s_cbranch_execz .LBB0_517
; %bb.515:                              ;   in Loop: Header=BB0_347 Depth=4
	global_load_dword v20, v[28:29], off offset:24
	v_lshlrev_b32_e32 v6, 2, v19
	v_mov_b32_e32 v7, v8
	v_lshl_add_u64 v[6:7], s[12:13], 0, v[6:7]
	v_lshl_add_u64 v[6:7], v[6:7], 0, 16
	s_lshl_b32 s20, s18, 2
	s_mov_b64 s[16:17], 0
	v_mov_b32_e32 v21, v19
	s_waitcnt vmcnt(0)
.LBB0_516:                              ;   Parent Loop BB0_3 Depth=1
                                        ;     Parent Loop BB0_6 Depth=2
                                        ;       Parent Loop BB0_322 Depth=3
                                        ;         Parent Loop BB0_347 Depth=4
                                        ; =>        This Inner Loop Header: Depth=5
	v_add_u32_e32 v21, s18, v21
	v_cmp_ge_u32_e32 vcc, v21, v18
	global_store_dword v[6:7], v20, off
	s_or_b64 s[16:17], vcc, s[16:17]
	v_lshl_add_u64 v[6:7], v[6:7], 0, s[20:21]
	s_andn2_b64 exec, exec, s[16:17]
	s_cbranch_execnz .LBB0_516
.LBB0_517:                              ;   in Loop: Header=BB0_347 Depth=4
	s_or_b64 exec, exec, s[14:15]
.LBB0_518:                              ;   in Loop: Header=BB0_347 Depth=4
	s_or_b64 exec, exec, s[10:11]
	v_cmp_eq_u32_e32 vcc, 0, v19
	s_and_saveexec_b64 s[10:11], vcc
	s_cbranch_execz .LBB0_522
; %bb.519:                              ;   in Loop: Header=BB0_347 Depth=4
	s_and_saveexec_b64 s[14:15], s[2:3]
	s_cbranch_execz .LBB0_521
; %bb.520:                              ;   in Loop: Header=BB0_347 Depth=4
	v_add_u32_e32 v6, -1, v18
	v_mov_b32_e32 v7, v8
	v_lshl_add_u64 v[6:7], v[6:7], 2, s[12:13]
	global_load_dword v18, v[6:7], off offset:16
	s_waitcnt vmcnt(0)
	v_lshl_or_b32 v9, -1, v9, v18
	global_store_dword v[6:7], v9, off offset:16
.LBB0_521:                              ;   in Loop: Header=BB0_347 Depth=4
	s_or_b64 exec, exec, s[14:15]
	global_store_dwordx4 v8, v[2:5], s[12:13]
.LBB0_522:                              ;   in Loop: Header=BB0_347 Depth=4
	s_or_b64 exec, exec, s[10:11]
.LBB0_523:                              ;   Parent Loop BB0_3 Depth=1
                                        ;     Parent Loop BB0_6 Depth=2
                                        ;       Parent Loop BB0_322 Depth=3
                                        ;         Parent Loop BB0_347 Depth=4
                                        ; =>        This Inner Loop Header: Depth=5
	v_mov_b32_e32 v6, s95
	s_and_saveexec_b64 s[10:11], s[6:7]
	s_cbranch_execz .LBB0_525
; %bb.524:                              ;   in Loop: Header=BB0_523 Depth=5
	global_load_dword v6, v[26:27], off offset:2048 sc1
.LBB0_525:                              ;   in Loop: Header=BB0_523 Depth=5
	s_or_b64 exec, exec, s[10:11]
	s_waitcnt vmcnt(0)
	v_readfirstlane_b32 s95, v6
	s_cmp_eq_u32 s95, 0x10100
	s_cbranch_scc1 .LBB0_539
; %bb.526:                              ;   in Loop: Header=BB0_523 Depth=5
	v_mov_b32_e32 v6, s30
	s_and_saveexec_b64 s[10:11], s[6:7]
	s_cbranch_execz .LBB0_528
; %bb.527:                              ;   in Loop: Header=BB0_523 Depth=5
	global_load_dword v6, v[34:35], off sc1
.LBB0_528:                              ;   in Loop: Header=BB0_523 Depth=5
	s_or_b64 exec, exec, s[10:11]
	s_waitcnt vmcnt(0)
	v_readfirstlane_b32 s30, v6
	s_mov_b64 s[14:15], -1
	s_cmp_lg_u32 s95, s30
	s_mov_b64 s[16:17], -1
                                        ; implicit-def: $sgpr10_sgpr11
	s_cbranch_scc0 .LBB0_538
; %bb.529:                              ;   in Loop: Header=BB0_523 Depth=5
	v_mov_b32_e32 v6, 0
	v_mov_b32_e32 v7, 0
	s_and_saveexec_b64 s[10:11], s[6:7]
	s_cbranch_execz .LBB0_535
; %bb.530:                              ;   in Loop: Header=BB0_523 Depth=5
	s_cmpk_lt_u32 s95, 0x100
	s_mov_b32 s14, s95
	v_mov_b64_e32 v[6:7], v[32:33]
	s_cbranch_scc1 .LBB0_532
; %bb.531:                              ;   in Loop: Header=BB0_523 Depth=5
	s_add_i32 s14, s95, 0xffffff00
	s_lshr_b32 s14, s14, 8
	v_mad_u64_u32 v[6:7], s[14:15], s14, 24, v[32:33]
	global_load_dwordx2 v[6:7], v[6:7], off sc1
	s_and_b32 s14, s95, 0xff
.LBB0_532:                              ;   in Loop: Header=BB0_523 Depth=5
	s_waitcnt vmcnt(0)
	v_mad_u64_u32 v[18:19], s[14:15], s14, 24, v[6:7]
	v_mov_b32_e32 v6, s95
	global_store_dword v8, v6, s[12:13] offset:4
	v_mov_b32_e32 v6, s12
	v_mov_b32_e32 v7, s13
	;; [unrolled: 1-line block ×3, first 2 shown]
	global_atomic_cmpswap_x2 v[20:21], v[18:19], v[6:9], off offset:8 sc0
	s_waitcnt vmcnt(0)
	v_cmp_eq_u64_e32 vcc, 0, v[20:21]
	v_mov_b32_e32 v6, 0
	v_mov_b32_e32 v7, 0
	s_and_saveexec_b64 s[14:15], vcc
	s_cbranch_execz .LBB0_534
; %bb.533:                              ;   in Loop: Header=BB0_523 Depth=5
	buffer_wbl2 sc1
	global_atomic_add v[26:27], v115, off offset:2048
	v_mov_b32_e32 v6, v19
	v_mov_b32_e32 v7, v18
.LBB0_534:                              ;   in Loop: Header=BB0_523 Depth=5
	s_or_b64 exec, exec, s[14:15]
.LBB0_535:                              ;   in Loop: Header=BB0_523 Depth=5
	s_or_b64 exec, exec, s[10:11]
	v_readfirstlane_b32 s10, v7
	v_readfirstlane_b32 s11, v6
	s_cmp_lg_u64 s[10:11], 0
	s_cbranch_scc1 .LBB0_537
; %bb.536:                              ;   in Loop: Header=BB0_523 Depth=5
	s_mov_b64 s[16:17], 0
	s_sleep 2
.LBB0_537:                              ;   in Loop: Header=BB0_523 Depth=5
	s_mov_b64 s[14:15], 0
.LBB0_538:                              ;   in Loop: Header=BB0_523 Depth=5
	s_mov_b64 s[18:19], 0
	s_branch .LBB0_540
.LBB0_539:                              ;   in Loop: Header=BB0_523 Depth=5
	s_mov_b64 s[18:19], -1
	s_mov_b64 s[14:15], 0
                                        ; implicit-def: $sgpr30
                                        ; implicit-def: $sgpr10_sgpr11
	s_mov_b64 s[16:17], -1
.LBB0_540:                              ;   in Loop: Header=BB0_523 Depth=5
	s_and_b64 vcc, exec, s[16:17]
	s_cbranch_vccz .LBB0_523
; %bb.541:                              ;   in Loop: Header=BB0_347 Depth=4
	s_and_b64 vcc, exec, s[18:19]
	s_cbranch_vccnz .LBB0_575
; %bb.542:                              ;   in Loop: Header=BB0_347 Depth=4
	s_xor_b64 s[14:15], s[14:15], -1
	s_mov_b64 s[16:17], -1
	s_and_b64 vcc, exec, s[14:15]
	s_cbranch_vccz .LBB0_544
; %bb.543:                              ;   in Loop: Header=BB0_347 Depth=4
	s_mov_b64 s[16:17], 0
.LBB0_544:                              ;   in Loop: Header=BB0_347 Depth=4
	s_mov_b64 s[14:15], 0
	s_andn2_b64 vcc, exec, s[16:17]
	v_mov_b64_e32 v[68:69], s[10:11]
	s_cbranch_vccnz .LBB0_467
; %bb.545:                              ;   in Loop: Header=BB0_347 Depth=4
	s_and_saveexec_b64 s[14:15], s[6:7]
	s_cbranch_execz .LBB0_573
; %bb.546:                              ;   in Loop: Header=BB0_347 Depth=4
	s_load_dwordx2 s[16:17], s[8:9], 0x50
	v_readfirstlane_b32 s10, v98
	v_mov_b64_e32 v[6:7], 0
	s_nop 0
	v_cmp_eq_u32_e64 s[10:11], s10, v98
	s_and_saveexec_b64 s[18:19], s[10:11]
	s_cbranch_execz .LBB0_552
; %bb.547:                              ;   in Loop: Header=BB0_347 Depth=4
	s_waitcnt lgkmcnt(0)
	global_load_dwordx2 v[20:21], v8, s[16:17] offset:24 sc0 sc1
	s_waitcnt vmcnt(0)
	buffer_inv sc0 sc1
	global_load_dwordx2 v[6:7], v8, s[16:17] offset:40
	global_load_dwordx2 v[18:19], v8, s[16:17]
	s_waitcnt vmcnt(1)
	v_and_b32_e32 v6, v6, v20
	v_and_b32_e32 v7, v7, v21
	v_mul_lo_u32 v7, v7, 24
	v_mul_hi_u32 v9, v6, 24
	v_add_u32_e32 v7, v9, v7
	v_mul_lo_u32 v6, v6, 24
	s_waitcnt vmcnt(0)
	v_lshl_add_u64 v[6:7], v[18:19], 0, v[6:7]
	global_load_dwordx2 v[18:19], v[6:7], off sc0 sc1
	s_waitcnt vmcnt(0)
	global_atomic_cmpswap_x2 v[6:7], v8, v[18:21], s[16:17] offset:24 sc0 sc1
	s_waitcnt vmcnt(0)
	buffer_inv sc0 sc1
	v_cmp_ne_u64_e32 vcc, v[6:7], v[20:21]
	s_and_saveexec_b64 s[22:23], vcc
	s_cbranch_execz .LBB0_551
; %bb.548:                              ;   in Loop: Header=BB0_347 Depth=4
	s_mov_b64 s[90:91], 0
.LBB0_549:                              ;   Parent Loop BB0_3 Depth=1
                                        ;     Parent Loop BB0_6 Depth=2
                                        ;       Parent Loop BB0_322 Depth=3
                                        ;         Parent Loop BB0_347 Depth=4
                                        ; =>        This Inner Loop Header: Depth=5
	s_sleep 1
	global_load_dwordx2 v[18:19], v8, s[16:17] offset:40
	global_load_dwordx2 v[24:25], v8, s[16:17]
	v_mov_b64_e32 v[20:21], v[6:7]
	s_waitcnt vmcnt(1)
	v_and_b32_e32 v6, v18, v20
	s_waitcnt vmcnt(0)
	v_mad_u64_u32 v[6:7], s[92:93], v6, 24, v[24:25]
	v_and_b32_e32 v9, v19, v21
	v_mov_b32_e32 v18, v7
	v_mad_u64_u32 v[18:19], s[92:93], v9, 24, v[18:19]
	v_mov_b32_e32 v7, v18
	global_load_dwordx2 v[18:19], v[6:7], off sc0 sc1
	s_waitcnt vmcnt(0)
	global_atomic_cmpswap_x2 v[6:7], v8, v[18:21], s[16:17] offset:24 sc0 sc1
	s_waitcnt vmcnt(0)
	buffer_inv sc0 sc1
	v_cmp_eq_u64_e32 vcc, v[6:7], v[20:21]
	s_or_b64 s[90:91], vcc, s[90:91]
	s_andn2_b64 exec, exec, s[90:91]
	s_cbranch_execnz .LBB0_549
; %bb.550:                              ;   in Loop: Header=BB0_347 Depth=4
	s_or_b64 exec, exec, s[90:91]
.LBB0_551:                              ;   in Loop: Header=BB0_347 Depth=4
	s_or_b64 exec, exec, s[22:23]
.LBB0_552:                              ;   in Loop: Header=BB0_347 Depth=4
	s_or_b64 exec, exec, s[18:19]
	s_waitcnt lgkmcnt(0)
	global_load_dwordx2 v[24:25], v8, s[16:17] offset:40
	global_load_dwordx4 v[18:21], v8, s[16:17]
	v_readfirstlane_b32 s19, v7
	v_readfirstlane_b32 s18, v6
	s_mov_b64 s[22:23], exec
	s_waitcnt vmcnt(1)
	v_readfirstlane_b32 s90, v24
	v_readfirstlane_b32 s91, v25
	s_and_b64 s[90:91], s[90:91], s[18:19]
	s_mul_i32 s20, s91, 24
	s_mul_hi_u32 s92, s90, 24
	s_add_i32 s93, s92, s20
	s_mul_i32 s92, s90, 24
	s_waitcnt vmcnt(0)
	v_lshl_add_u64 v[6:7], v[18:19], 0, s[92:93]
	s_and_saveexec_b64 s[92:93], s[10:11]
	s_cbranch_execz .LBB0_554
; %bb.553:                              ;   in Loop: Header=BB0_347 Depth=4
	v_mov_b64_e32 v[112:113], s[22:23]
	global_store_dwordx4 v[6:7], v[112:115], off offset:8
.LBB0_554:                              ;   in Loop: Header=BB0_347 Depth=4
	s_or_b64 exec, exec, s[92:93]
	s_lshl_b64 s[22:23], s[90:91], 12
	v_lshl_add_u64 v[20:21], v[20:21], 0, s[22:23]
	s_mov_b32 s22, s21
	s_mov_b32 s23, s21
	;; [unrolled: 1-line block ×3, first 2 shown]
	v_mov_b64_e32 v[70:71], s[22:23]
	v_lshlrev_b32_e32 v9, 6, v98
	v_mov_b64_e32 v[24:25], s[12:13]
	v_readfirstlane_b32 s12, v20
	v_readfirstlane_b32 s13, v21
	v_mov_b64_e32 v[68:69], s[20:21]
	s_nop 3
	global_store_dwordx2 v9, v[24:25], s[12:13]
	global_store_dwordx4 v9, v[68:71], s[12:13] offset:8
	global_store_dwordx4 v9, v[68:71], s[12:13] offset:24
	;; [unrolled: 1-line block ×3, first 2 shown]
	global_store_dwordx2 v9, v[50:51], s[12:13] offset:56
	s_and_saveexec_b64 s[12:13], s[10:11]
	s_cbranch_execz .LBB0_562
; %bb.555:                              ;   in Loop: Header=BB0_347 Depth=4
	global_load_dwordx2 v[70:71], v8, s[16:17] offset:32 sc0 sc1
	global_load_dwordx2 v[20:21], v8, s[16:17] offset:40
	v_mov_b32_e32 v68, s18
	v_mov_b32_e32 v69, s19
	s_waitcnt vmcnt(0)
	v_and_b32_e32 v9, s18, v20
	v_and_b32_e32 v20, s19, v21
	v_mul_lo_u32 v21, v20, 24
	v_mul_hi_u32 v24, v9, 24
	v_mul_lo_u32 v20, v9, 24
	v_add_u32_e32 v21, v24, v21
	v_lshl_add_u64 v[24:25], v[18:19], 0, v[20:21]
	global_store_dwordx2 v[24:25], v[70:71], off
	buffer_wbl2 sc0 sc1
	s_waitcnt vmcnt(0)
	global_atomic_cmpswap_x2 v[20:21], v8, v[68:71], s[16:17] offset:32 sc0 sc1
	s_waitcnt vmcnt(0)
	v_cmp_ne_u64_e32 vcc, v[20:21], v[70:71]
	s_and_saveexec_b64 s[22:23], vcc
	s_cbranch_execz .LBB0_558
; %bb.556:                              ;   in Loop: Header=BB0_347 Depth=4
	s_mov_b64 s[90:91], 0
.LBB0_557:                              ;   Parent Loop BB0_3 Depth=1
                                        ;     Parent Loop BB0_6 Depth=2
                                        ;       Parent Loop BB0_322 Depth=3
                                        ;         Parent Loop BB0_347 Depth=4
                                        ; =>        This Inner Loop Header: Depth=5
	s_sleep 1
	global_store_dwordx2 v[24:25], v[20:21], off
	v_mov_b32_e32 v18, s18
	v_mov_b32_e32 v19, s19
	buffer_wbl2 sc0 sc1
	s_waitcnt vmcnt(0)
	global_atomic_cmpswap_x2 v[18:19], v8, v[18:21], s[16:17] offset:32 sc0 sc1
	s_waitcnt vmcnt(0)
	v_cmp_eq_u64_e32 vcc, v[18:19], v[20:21]
	s_or_b64 s[90:91], vcc, s[90:91]
	v_mov_b64_e32 v[20:21], v[18:19]
	s_andn2_b64 exec, exec, s[90:91]
	s_cbranch_execnz .LBB0_557
.LBB0_558:                              ;   in Loop: Header=BB0_347 Depth=4
	s_or_b64 exec, exec, s[22:23]
	global_load_dwordx2 v[18:19], v8, s[16:17] offset:16
	s_mov_b64 s[90:91], exec
	v_mbcnt_lo_u32_b32 v9, s90, 0
	v_mbcnt_hi_u32_b32 v9, s91, v9
	v_cmp_eq_u32_e32 vcc, 0, v9
	s_and_saveexec_b64 s[22:23], vcc
	s_cbranch_execz .LBB0_560
; %bb.559:                              ;   in Loop: Header=BB0_347 Depth=4
	s_bcnt1_i32_b64 s20, s[90:91]
	v_mov_b32_e32 v20, s20
	v_mov_b32_e32 v21, v8
	buffer_wbl2 sc0 sc1
	s_waitcnt vmcnt(0)
	global_atomic_add_x2 v[18:19], v[20:21], off offset:8 sc1
.LBB0_560:                              ;   in Loop: Header=BB0_347 Depth=4
	s_or_b64 exec, exec, s[22:23]
	s_waitcnt vmcnt(0)
	global_load_dwordx2 v[20:21], v[18:19], off offset:16
	s_waitcnt vmcnt(0)
	v_cmp_eq_u64_e32 vcc, 0, v[20:21]
	s_cbranch_vccnz .LBB0_562
; %bb.561:                              ;   in Loop: Header=BB0_347 Depth=4
	global_load_dword v18, v[18:19], off offset:24
	v_mov_b32_e32 v19, v8
	s_waitcnt vmcnt(0)
	v_readfirstlane_b32 s20, v18
	s_and_b32 m0, s20, 0xffffff
	buffer_wbl2 sc0 sc1
	global_store_dwordx2 v[20:21], v[18:19], off sc0 sc1
	s_sendmsg sendmsg(MSG_INTERRUPT)
.LBB0_562:                              ;   in Loop: Header=BB0_347 Depth=4
	s_or_b64 exec, exec, s[12:13]
.LBB0_563:                              ;   Parent Loop BB0_3 Depth=1
                                        ;     Parent Loop BB0_6 Depth=2
                                        ;       Parent Loop BB0_322 Depth=3
                                        ;         Parent Loop BB0_347 Depth=4
                                        ; =>        This Inner Loop Header: Depth=5
	v_mov_b32_e32 v9, 1
	s_and_saveexec_b64 s[12:13], s[10:11]
	s_cbranch_execz .LBB0_565
; %bb.564:                              ;   in Loop: Header=BB0_563 Depth=5
	global_load_dword v9, v[6:7], off offset:20 sc0 sc1
	s_waitcnt vmcnt(0)
	buffer_inv sc0 sc1
	v_and_b32_e32 v9, 1, v9
.LBB0_565:                              ;   in Loop: Header=BB0_563 Depth=5
	s_or_b64 exec, exec, s[12:13]
	v_readfirstlane_b32 s12, v9
	s_cmp_eq_u32 s12, 0
	s_cbranch_scc1 .LBB0_567
; %bb.566:                              ;   in Loop: Header=BB0_563 Depth=5
	s_mov_b64 s[12:13], 0
	s_sleep 1
	s_branch .LBB0_568
.LBB0_567:                              ;   in Loop: Header=BB0_563 Depth=5
	s_mov_b64 s[12:13], -1
.LBB0_568:                              ;   in Loop: Header=BB0_563 Depth=5
	s_andn2_b64 vcc, exec, s[12:13]
	s_cbranch_vccnz .LBB0_563
; %bb.569:                              ;   in Loop: Header=BB0_347 Depth=4
	s_and_b64 exec, exec, s[10:11]
	s_cbranch_execz .LBB0_573
; %bb.570:                              ;   in Loop: Header=BB0_347 Depth=4
	global_load_dwordx2 v[6:7], v8, s[16:17] offset:40
	global_load_dwordx2 v[70:71], v8, s[16:17] offset:24 sc0 sc1
	global_load_dwordx2 v[18:19], v8, s[16:17]
	s_waitcnt vmcnt(2)
	v_readfirstlane_b32 s12, v6
	v_readfirstlane_b32 s13, v7
	s_add_u32 s20, s12, 1
	s_addc_u32 s22, s13, 0
	s_add_u32 s10, s20, s18
	s_addc_u32 s11, s22, s19
	s_cmp_eq_u64 s[10:11], 0
	s_cselect_b32 s11, s22, s11
	s_cselect_b32 s10, s20, s10
	s_and_b64 s[12:13], s[10:11], s[12:13]
	s_mul_i32 s13, s13, 24
	s_mul_hi_u32 s18, s12, 24
	s_mul_i32 s12, s12, 24
	s_add_i32 s13, s18, s13
	s_waitcnt vmcnt(0)
	v_lshl_add_u64 v[6:7], v[18:19], 0, s[12:13]
	v_mov_b32_e32 v68, s10
	global_store_dwordx2 v[6:7], v[70:71], off
	v_mov_b32_e32 v69, s11
	buffer_wbl2 sc0 sc1
	s_waitcnt vmcnt(0)
	global_atomic_cmpswap_x2 v[20:21], v8, v[68:71], s[16:17] offset:24 sc0 sc1
	s_waitcnt vmcnt(0)
	v_cmp_ne_u64_e32 vcc, v[20:21], v[70:71]
	s_and_b64 exec, exec, vcc
	s_cbranch_execz .LBB0_573
; %bb.571:                              ;   in Loop: Header=BB0_347 Depth=4
	s_mov_b64 s[12:13], 0
.LBB0_572:                              ;   Parent Loop BB0_3 Depth=1
                                        ;     Parent Loop BB0_6 Depth=2
                                        ;       Parent Loop BB0_322 Depth=3
                                        ;         Parent Loop BB0_347 Depth=4
                                        ; =>        This Inner Loop Header: Depth=5
	s_sleep 1
	global_store_dwordx2 v[6:7], v[20:21], off
	v_mov_b32_e32 v18, s10
	v_mov_b32_e32 v19, s11
	buffer_wbl2 sc0 sc1
	s_waitcnt vmcnt(0)
	global_atomic_cmpswap_x2 v[18:19], v8, v[18:21], s[16:17] offset:24 sc0 sc1
	s_waitcnt vmcnt(0)
	v_cmp_eq_u64_e32 vcc, v[18:19], v[20:21]
	s_or_b64 s[12:13], vcc, s[12:13]
	v_mov_b64_e32 v[20:21], v[18:19]
	s_andn2_b64 exec, exec, s[12:13]
	s_cbranch_execnz .LBB0_572
.LBB0_573:                              ;   in Loop: Header=BB0_347 Depth=4
	s_or_b64 exec, exec, s[14:15]
	s_mov_b64 s[14:15], -1
	v_mov_b64_e32 v[68:69], v[22:23]
	s_branch .LBB0_467
.LBB0_574:                              ;   in Loop: Header=BB0_347 Depth=4
	s_mov_b64 s[14:15], 0
	s_branch .LBB0_467
.LBB0_575:                              ;   in Loop: Header=BB0_347 Depth=4
	s_mov_b64 s[14:15], 0
	v_mov_b64_e32 v[68:69], 0
	s_branch .LBB0_467
.LBB0_576:                              ;   in Loop: Header=BB0_322 Depth=3
                                        ; implicit-def: $sgpr55
	s_branch .LBB0_599
.LBB0_577:                              ;   in Loop: Header=BB0_322 Depth=3
	v_cmp_ne_u64_e64 s[6:7], 1, v[22:23]
	s_and_b64 vcc, exec, s[6:7]
	s_cbranch_vccz .LBB0_579
; %bb.578:                              ;   in Loop: Header=BB0_322 Depth=3
	v_mov_b64_e32 v[52:53], v[22:23]
	s_branch .LBB0_599
.LBB0_579:                              ;   in Loop: Header=BB0_322 Depth=3
	v_mbcnt_lo_u32_b32 v6, exec_lo, 0
	v_mbcnt_hi_u32_b32 v6, exec_hi, v6
	v_cmp_eq_u32_e32 vcc, 0, v6
	s_and_saveexec_b64 s[10:11], vcc
	s_cbranch_execz .LBB0_596
; %bb.580:                              ;   in Loop: Header=BB0_322 Depth=3
	global_load_dwordx2 v[6:7], v[38:39], off sc1
	s_memrealtime s[12:13]
	s_waitcnt lgkmcnt(0)
	v_mov_b32_e32 v9, s13
	s_waitcnt vmcnt(0)
	v_sub_co_u32_e32 v6, vcc, s12, v6
	s_nop 1
	v_subb_co_u32_e32 v7, vcc, v9, v7, vcc
	v_cmp_gt_u64_e32 vcc, s[74:75], v[6:7]
	s_and_b64 exec, exec, vcc
	s_cbranch_execz .LBB0_596
; %bb.581:                              ;   in Loop: Header=BB0_322 Depth=3
	s_memrealtime s[14:15]
	v_readfirstlane_b32 s12, v6
	s_sub_i32 s12, 0x4e20, s12
	s_waitcnt lgkmcnt(0)
	s_add_u32 s12, s12, s14
	s_addc_u32 s13, 0, s15
	s_add_u32 s16, s14, 0x659
	s_addc_u32 s17, 0, s15
.LBB0_582:                              ;   Parent Loop BB0_3 Depth=1
                                        ;     Parent Loop BB0_6 Depth=2
                                        ;       Parent Loop BB0_322 Depth=3
                                        ; =>      This Inner Loop Header: Depth=4
	v_mov_b64_e32 v[6:7], s[16:17]
	v_cmp_le_u64_e32 vcc, s[12:13], v[6:7]
	s_cbranch_vccnz .LBB0_585
; %bb.583:                              ;   in Loop: Header=BB0_582 Depth=4
	s_sleep 0x7f
	s_memrealtime s[14:15]
	s_waitcnt lgkmcnt(0)
	s_add_u32 s16, s14, 0x659
	s_addc_u32 s17, s15, 0
	s_branch .LBB0_582
.LBB0_584:                              ;   in Loop: Header=BB0_585 Depth=4
	s_sleep 63
	s_memrealtime s[14:15]
.LBB0_585:                              ;   Parent Loop BB0_3 Depth=1
                                        ;     Parent Loop BB0_6 Depth=2
                                        ;       Parent Loop BB0_322 Depth=3
                                        ; =>      This Inner Loop Header: Depth=4
	s_waitcnt lgkmcnt(0)
	s_add_u32 s16, s14, 0x326
	s_addc_u32 s17, s15, 0
	v_mov_b64_e32 v[6:7], s[16:17]
	v_cmp_le_u64_e32 vcc, s[12:13], v[6:7]
	s_cbranch_vccz .LBB0_584
; %bb.586:                              ;   in Loop: Header=BB0_322 Depth=3
	s_add_u32 s16, s14, 0x18c
	s_addc_u32 s17, s15, 0
	v_mov_b64_e32 v[6:7], s[16:17]
	v_cmp_le_u64_e32 vcc, s[12:13], v[6:7]
	s_cbranch_vccnz .LBB0_589
.LBB0_587:                              ;   Parent Loop BB0_3 Depth=1
                                        ;     Parent Loop BB0_6 Depth=2
                                        ;       Parent Loop BB0_322 Depth=3
                                        ; =>      This Inner Loop Header: Depth=4
	s_sleep 31
	s_memrealtime s[14:15]
	s_waitcnt lgkmcnt(0)
	s_add_u32 s16, s14, 0x18c
	s_addc_u32 s17, s15, 0
	v_mov_b64_e32 v[6:7], s[16:17]
	v_cmp_gt_u64_e32 vcc, s[12:13], v[6:7]
	s_cbranch_vccnz .LBB0_587
	s_branch .LBB0_589
.LBB0_588:                              ;   in Loop: Header=BB0_589 Depth=4
	s_sleep 15
	s_memrealtime s[14:15]
.LBB0_589:                              ;   Parent Loop BB0_3 Depth=1
                                        ;     Parent Loop BB0_6 Depth=2
                                        ;       Parent Loop BB0_322 Depth=3
                                        ; =>      This Inner Loop Header: Depth=4
	s_waitcnt lgkmcnt(0)
	s_add_u32 s16, s14, 0xc0
	s_addc_u32 s17, s15, 0
	v_mov_b64_e32 v[6:7], s[16:17]
	v_cmp_le_u64_e32 vcc, s[12:13], v[6:7]
	s_cbranch_vccz .LBB0_588
	s_branch .LBB0_591
.LBB0_590:                              ;   in Loop: Header=BB0_591 Depth=4
	s_sleep 7
	s_memrealtime s[14:15]
.LBB0_591:                              ;   Parent Loop BB0_3 Depth=1
                                        ;     Parent Loop BB0_6 Depth=2
                                        ;       Parent Loop BB0_322 Depth=3
                                        ; =>      This Inner Loop Header: Depth=4
	s_waitcnt lgkmcnt(0)
	s_add_u32 s16, s14, 0x59
	s_addc_u32 s17, s15, 0
	v_mov_b64_e32 v[6:7], s[16:17]
	v_cmp_le_u64_e32 vcc, s[12:13], v[6:7]
	s_cbranch_vccz .LBB0_590
	;; [unrolled: 14-line block ×3, first 2 shown]
; %bb.594:                              ;   in Loop: Header=BB0_322 Depth=3
	v_mov_b64_e32 v[6:7], s[14:15]
	v_cmp_le_u64_e32 vcc, s[12:13], v[6:7]
	s_cbranch_vccnz .LBB0_596
.LBB0_595:                              ;   Parent Loop BB0_3 Depth=1
                                        ;     Parent Loop BB0_6 Depth=2
                                        ;       Parent Loop BB0_322 Depth=3
                                        ; =>      This Inner Loop Header: Depth=4
	s_sleep 1
	s_memrealtime s[14:15]
	s_waitcnt lgkmcnt(0)
	v_mov_b64_e32 v[6:7], s[14:15]
	v_cmp_gt_u64_e32 vcc, s[12:13], v[6:7]
	s_cbranch_vccnz .LBB0_595
.LBB0_596:                              ;   in Loop: Header=BB0_322 Depth=3
	s_or_b64 exec, exec, s[10:11]
	v_mov_b32_e32 v6, s55
	s_and_saveexec_b64 s[10:11], s[4:5]
	s_cbranch_execz .LBB0_598
; %bb.597:                              ;   in Loop: Header=BB0_322 Depth=3
	global_load_dword v6, v[26:27], off offset:2048 sc1
.LBB0_598:                              ;   in Loop: Header=BB0_322 Depth=3
	s_or_b64 exec, exec, s[10:11]
	s_waitcnt vmcnt(0)
	v_readfirstlane_b32 s55, v6
.LBB0_599:                              ;   in Loop: Header=BB0_322 Depth=3
	s_and_b64 vcc, exec, s[6:7]
	s_cbranch_vccz .LBB0_322
.LBB0_600:                              ;   in Loop: Header=BB0_6 Depth=2
	v_readfirstlane_b32 s10, v52
	v_readfirstlane_b32 s11, v53
	s_cmp_eq_u64 s[10:11], 0
	s_cbranch_scc1 .LBB0_621
; %bb.601:                              ;   in Loop: Header=BB0_6 Depth=2
	v_mov_b32_e32 v6, 0
	s_nop 1
	global_load_dwordx2 v[0:1], v6, s[10:11] offset:8 sc1
	s_mov_b64 s[4:5], exec
	v_mbcnt_lo_u32_b32 v9, exec_lo, 0
	v_mbcnt_hi_u32_b32 v9, s5, v9
	v_cmp_eq_u32_e32 vcc, 0, v9
	s_waitcnt vmcnt(0)
	global_load_dword v7, v[0:1], off
	s_waitcnt vmcnt(0)
	v_readfirstlane_b32 s16, v7
	s_and_saveexec_b64 s[6:7], vcc
	s_cbranch_execz .LBB0_605
; %bb.602:                              ;   in Loop: Header=BB0_6 Depth=2
	s_mov_b64 s[14:15], exec
	v_mbcnt_lo_u32_b32 v6, s14, 0
	v_mbcnt_hi_u32_b32 v6, s15, v6
	s_bcnt1_i32_b64 s17, s[4:5]
	v_cmp_eq_u32_e64 s[4:5], 0, v6
                                        ; implicit-def: $vgpr7
	s_and_saveexec_b64 s[12:13], s[4:5]
	s_cbranch_execz .LBB0_604
; %bb.603:                              ;   in Loop: Header=BB0_6 Depth=2
	s_bcnt1_i32_b64 s4, s[14:15]
	s_mul_i32 s4, s17, s4
	v_mov_b32_e32 v7, s4
	global_atomic_add v7, v[0:1], v7, off offset:8 sc0
.LBB0_604:                              ;   in Loop: Header=BB0_6 Depth=2
	s_or_b64 exec, exec, s[12:13]
	s_waitcnt vmcnt(0)
	v_readfirstlane_b32 s4, v7
	s_nop 1
	v_mov_b32_e32 v7, s4
	v_mad_u32_u24 v6, s17, v6, v7
.LBB0_605:                              ;   in Loop: Header=BB0_6 Depth=2
	s_or_b64 exec, exec, s[6:7]
	s_mul_i32 s7, s16, 28
	s_getpc_b64 s[4:5]
	s_add_u32 s4, s4, kinfo@rel32@lo+4
	s_addc_u32 s5, s5, kinfo@rel32@hi+12
	s_mul_hi_u32 s6, s16, 28
	s_add_u32 s12, s4, s7
	s_addc_u32 s13, s5, s6
	s_load_dword s6, s[12:13], 0x0
	v_readfirstlane_b32 s4, v6
	v_mov_b64_e32 v[6:7], 0
	s_waitcnt lgkmcnt(0)
	s_add_i32 s5, s6, 31
	s_cmp_lt_u32 s5, 32
	s_cbranch_scc1 .LBB0_615
; %bb.606:                              ;   in Loop: Header=BB0_6 Depth=2
	v_cvt_f32_u32_e32 v6, s6
	v_add_lshl_u32 v7, s4, v9, 5
	s_sub_i32 s4, 0, s6
	s_lshr_b32 s22, s5, 5
	v_rcp_iflag_f32_e32 v6, v6
	v_cvt_f32_u32_e32 v9, s22
	s_lshr_b32 s5, s16, 1
	s_add_i32 s7, s5, 4
	v_mul_f32_e32 v6, 0x4f7ffffe, v6
	v_cvt_u32_f32_e32 v6, v6
	v_rcp_iflag_f32_e32 v9, v9
	s_mov_b64 s[14:15], 0
	v_mul_lo_u32 v18, s4, v6
	v_mul_hi_u32 v18, v6, v18
	v_add_u32_e32 v6, v6, v18
	v_mul_hi_u32 v6, v7, v6
	v_mul_lo_u32 v6, v6, s6
	v_sub_u32_e32 v6, v7, v6
	v_subrev_u32_e32 v7, s6, v6
	v_cmp_le_u32_e64 s[4:5], s6, v6
	s_nop 1
	v_cndmask_b32_e64 v6, v6, v7, s[4:5]
	v_subrev_u32_e32 v7, s6, v6
	v_cmp_le_u32_e64 s[4:5], s6, v6
	s_nop 1
	v_cndmask_b32_e64 v6, v6, v7, s[4:5]
	v_lshrrev_b32_e32 v18, 5, v6
	v_mul_f32_e32 v6, 0x4f7ffffe, v9
	s_lshl_b32 s4, 1, s7
	v_cvt_u32_f32_e32 v6, v6
	s_bfe_i32 s5, s16, 0x10000
	s_lshr_b32 s6, s4, 1
	s_and_b32 s23, s5, s6
	s_add_i32 s23, s23, s4
	s_sub_i32 s4, 0, s22
	v_mul_lo_u32 v7, s4, v6
	v_mul_hi_u32 v7, v6, v7
	s_add_i32 s4, s22, -1
	v_add_u32_e32 v9, v6, v7
	v_mov_b64_e32 v[6:7], 0
	v_mov_b32_e32 v22, s4
.LBB0_607:                              ;   Parent Loop BB0_3 Depth=1
                                        ;     Parent Loop BB0_6 Depth=2
                                        ; =>    This Inner Loop Header: Depth=3
	v_mov_b32_e32 v19, v8
	v_lshl_add_u64 v[20:21], v[18:19], 2, v[0:1]
	global_load_dword v23, v[20:21], off offset:16 sc1
	s_mov_b64 s[18:19], -1
                                        ; implicit-def: $vgpr19
	s_waitcnt vmcnt(0)
	v_cmp_ne_u32_e64 s[4:5], -1, v23
	s_and_saveexec_b64 s[16:17], s[4:5]
	s_cbranch_execz .LBB0_611
; %bb.608:                              ;   in Loop: Header=BB0_607 Depth=3
	v_not_b32_e32 v19, v23
	v_ffbl_b32_e32 v23, v19
	v_lshlrev_b32_e64 v24, v23, 1
	global_atomic_or v20, v[20:21], v24, off offset:16 sc0
	v_mov_b32_e32 v19, 0
	s_waitcnt vmcnt(0)
	v_and_b32_e32 v20, v20, v24
	v_cmp_ne_u32_e64 s[4:5], 0, v20
	v_cmp_eq_u32_e64 s[6:7], 0, v20
	s_and_saveexec_b64 s[18:19], s[6:7]
	s_cbranch_execz .LBB0_610
; %bb.609:                              ;   in Loop: Header=BB0_607 Depth=3
	s_load_dword s20, s[12:13], 0xc
	v_lshl_or_b32 v6, v18, 5, v23
	v_mov_b32_e32 v7, v8
	v_mul_lo_u32 v6, v6, s23
	v_mov_b32_e32 v19, 2
	s_waitcnt lgkmcnt(0)
	v_lshl_add_u64 v[20:21], v[0:1], 0, s[20:21]
	v_lshl_add_u64 v[6:7], v[20:21], 0, v[6:7]
.LBB0_610:                              ;   in Loop: Header=BB0_607 Depth=3
	s_or_b64 exec, exec, s[18:19]
	s_orn2_b64 s[18:19], s[4:5], exec
.LBB0_611:                              ;   in Loop: Header=BB0_607 Depth=3
	s_or_b64 exec, exec, s[16:17]
	s_and_saveexec_b64 s[6:7], s[18:19]
	s_cbranch_execz .LBB0_613
; %bb.612:                              ;   in Loop: Header=BB0_607 Depth=3
	v_add_u32_e32 v18, 1, v18
	v_mul_hi_u32 v19, v18, v9
	v_mul_lo_u32 v19, v19, s22
	v_sub_u32_e32 v18, v18, v19
	v_subrev_u32_e32 v19, s22, v18
	v_cmp_le_u32_e64 s[4:5], s22, v18
	s_nop 1
	v_cndmask_b32_e64 v18, v18, v19, s[4:5]
	v_subrev_u32_e32 v19, s22, v18
	v_cmp_le_u32_e64 s[4:5], s22, v18
	s_nop 1
	v_cndmask_b32_e64 v18, v18, v19, s[4:5]
	v_mov_b32_e32 v19, 0
.LBB0_613:                              ;   in Loop: Header=BB0_607 Depth=3
	s_or_b64 exec, exec, s[6:7]
	v_cmp_ne_u32_e64 s[4:5], 0, v19
	v_subrev_co_u32_e64 v22, s[6:7], 1, v22
	s_or_b64 s[4:5], s[4:5], s[6:7]
	s_and_b64 s[4:5], exec, s[4:5]
	s_or_b64 s[14:15], s[4:5], s[14:15]
	s_andn2_b64 exec, exec, s[14:15]
	s_cbranch_execnz .LBB0_607
; %bb.614:                              ;   in Loop: Header=BB0_6 Depth=2
	s_or_b64 exec, exec, s[14:15]
.LBB0_615:                              ;   in Loop: Header=BB0_6 Depth=2
	v_cmp_ne_u64_e64 s[4:5], 0, v[6:7]
	s_and_saveexec_b64 s[6:7], vcc
	s_cbranch_execz .LBB0_618
; %bb.616:                              ;   in Loop: Header=BB0_6 Depth=2
	s_mov_b64 s[12:13], exec
	v_mbcnt_lo_u32_b32 v0, s12, 0
	v_mbcnt_hi_u32_b32 v0, s13, v0
	v_cmp_eq_u32_e32 vcc, 0, v0
	s_and_b64 s[14:15], exec, vcc
	s_mov_b64 exec, s[14:15]
	s_cbranch_execz .LBB0_618
; %bb.617:                              ;   in Loop: Header=BB0_6 Depth=2
	s_bcnt1_i32_b64 s4, s[4:5]
	s_bcnt1_i32_b64 s5, s[12:13]
	s_mul_i32 s4, s4, s5
	v_mov_b32_e32 v0, s4
	global_atomic_add v8, v0, s[10:11] offset:16
.LBB0_618:                              ;   in Loop: Header=BB0_6 Depth=2
	s_or_b64 exec, exec, s[6:7]
	v_mov_b64_e32 v[0:1], 0
	v_cmp_ne_u64_e32 vcc, 0, v[6:7]
	s_mov_b64 s[4:5], -1
	v_mov_b32_e32 v9, 1
	s_and_saveexec_b64 s[6:7], vcc
; %bb.619:                              ;   in Loop: Header=BB0_6 Depth=2
	v_mov_b32_e32 v9, 0
	s_xor_b64 s[4:5], exec, -1
	v_mov_b64_e32 v[0:1], v[6:7]
	v_mov_b32_e32 v99, 0
; %bb.620:                              ;   in Loop: Header=BB0_6 Depth=2
	s_or_b64 exec, exec, s[6:7]
	s_branch .LBB0_622
.LBB0_621:                              ;   in Loop: Header=BB0_6 Depth=2
	s_mov_b64 s[4:5], 0
	v_mov_b32_e32 v9, 0
	v_mov_b32_e32 v99, 0
.LBB0_622:                              ;   in Loop: Header=BB0_6 Depth=2
	s_and_b64 s[4:5], s[4:5], exec
.LBB0_623:                              ;   in Loop: Header=BB0_6 Depth=2
	s_or_b64 exec, exec, s[88:89]
	v_cndmask_b32_e64 v6, 0, 1, s[4:5]
	v_cmp_ne_u32_e32 vcc, 0, v6
	s_cbranch_vccnz .LBB0_6
.LBB0_624:                              ;   in Loop: Header=BB0_3 Depth=1
	s_or_b64 exec, exec, s[78:79]
.LBB0_625:                              ;   in Loop: Header=BB0_3 Depth=1
	s_or_b64 exec, exec, s[76:77]
	v_cmp_ne_u32_e32 vcc, 0, v99
	s_cbranch_vccnz .LBB0_3
; %bb.626:
                                        ; implicit-def: $vgpr2_vgpr3
                                        ; implicit-def: $vgpr6
.LBB0_627:
	s_andn2_saveexec_b64 s[2:3], s[26:27]
	s_cbranch_execz .LBB0_659
; %bb.628:
	s_load_dwordx2 s[4:5], s[8:9], 0x50
	v_mbcnt_hi_u32_b32 v10, -1, v6
	v_mov_b64_e32 v[0:1], 0
	v_readfirstlane_b32 s0, v10
	s_nop 1
	v_cmp_eq_u32_e64 s[0:1], s0, v10
	s_and_saveexec_b64 s[6:7], s[0:1]
	s_cbranch_execz .LBB0_634
; %bb.629:
	v_mov_b32_e32 v4, 0
	s_waitcnt lgkmcnt(0)
	global_load_dwordx2 v[8:9], v4, s[4:5] offset:24 sc0 sc1
	s_waitcnt vmcnt(0)
	buffer_inv sc0 sc1
	global_load_dwordx2 v[0:1], v4, s[4:5] offset:40
	global_load_dwordx2 v[6:7], v4, s[4:5]
	s_waitcnt vmcnt(1)
	v_and_b32_e32 v0, v0, v8
	v_and_b32_e32 v1, v1, v9
	v_mul_lo_u32 v1, v1, 24
	v_mul_hi_u32 v5, v0, 24
	v_add_u32_e32 v1, v5, v1
	v_mul_lo_u32 v0, v0, 24
	s_waitcnt vmcnt(0)
	v_lshl_add_u64 v[0:1], v[6:7], 0, v[0:1]
	global_load_dwordx2 v[6:7], v[0:1], off sc0 sc1
	s_waitcnt vmcnt(0)
	global_atomic_cmpswap_x2 v[0:1], v4, v[6:9], s[4:5] offset:24 sc0 sc1
	s_waitcnt vmcnt(0)
	buffer_inv sc0 sc1
	v_cmp_ne_u64_e32 vcc, v[0:1], v[8:9]
	s_and_saveexec_b64 s[10:11], vcc
	s_cbranch_execz .LBB0_633
; %bb.630:
	s_mov_b64 s[12:13], 0
.LBB0_631:                              ; =>This Inner Loop Header: Depth=1
	s_sleep 1
	global_load_dwordx2 v[6:7], v4, s[4:5] offset:40
	global_load_dwordx2 v[12:13], v4, s[4:5]
	v_mov_b64_e32 v[8:9], v[0:1]
	s_waitcnt vmcnt(1)
	v_and_b32_e32 v0, v6, v8
	s_waitcnt vmcnt(0)
	v_mad_u64_u32 v[0:1], s[14:15], v0, 24, v[12:13]
	v_and_b32_e32 v5, v7, v9
	v_mov_b32_e32 v6, v1
	v_mad_u64_u32 v[6:7], s[14:15], v5, 24, v[6:7]
	v_mov_b32_e32 v1, v6
	global_load_dwordx2 v[6:7], v[0:1], off sc0 sc1
	s_waitcnt vmcnt(0)
	global_atomic_cmpswap_x2 v[0:1], v4, v[6:9], s[4:5] offset:24 sc0 sc1
	s_waitcnt vmcnt(0)
	buffer_inv sc0 sc1
	v_cmp_eq_u64_e32 vcc, v[0:1], v[8:9]
	s_or_b64 s[12:13], vcc, s[12:13]
	s_andn2_b64 exec, exec, s[12:13]
	s_cbranch_execnz .LBB0_631
; %bb.632:
	s_or_b64 exec, exec, s[12:13]
.LBB0_633:
	s_or_b64 exec, exec, s[10:11]
.LBB0_634:
	s_or_b64 exec, exec, s[6:7]
	v_mov_b32_e32 v11, 0
	s_waitcnt lgkmcnt(0)
	global_load_dwordx2 v[8:9], v11, s[4:5] offset:40
	global_load_dwordx4 v[4:7], v11, s[4:5]
	v_readfirstlane_b32 s7, v1
	v_readfirstlane_b32 s6, v0
	s_mov_b64 s[10:11], exec
	s_waitcnt vmcnt(1)
	v_readfirstlane_b32 s12, v8
	v_readfirstlane_b32 s13, v9
	s_and_b64 s[12:13], s[12:13], s[6:7]
	s_mul_i32 s14, s13, 24
	s_mul_hi_u32 s15, s12, 24
	s_add_i32 s15, s15, s14
	s_mul_i32 s14, s12, 24
	s_waitcnt vmcnt(0)
	v_lshl_add_u64 v[8:9], v[4:5], 0, s[14:15]
	s_and_saveexec_b64 s[14:15], s[0:1]
	s_cbranch_execz .LBB0_636
; %bb.635:
	v_mov_b64_e32 v[12:13], s[10:11]
	v_mov_b32_e32 v14, 3
	v_mov_b32_e32 v15, 1
	global_store_dwordx4 v[8:9], v[12:15], off offset:8
.LBB0_636:
	s_or_b64 exec, exec, s[14:15]
	s_lshl_b64 s[10:11], s[12:13], 12
	v_lshl_add_u64 v[6:7], v[6:7], 0, s[10:11]
	s_mov_b32 s12, 0
	v_lshlrev_b32_e32 v10, 6, v10
	v_mov_b32_e32 v0, v11
	v_mov_b32_e32 v1, v11
	v_readfirstlane_b32 s10, v6
	v_readfirstlane_b32 s11, v7
	s_mov_b32 s13, s12
	s_mov_b32 s14, s12
	;; [unrolled: 1-line block ×3, first 2 shown]
	s_nop 1
	global_store_dwordx4 v10, v[0:3], s[10:11]
	s_nop 1
	v_mov_b64_e32 v[0:1], s[12:13]
	v_mov_b64_e32 v[2:3], s[14:15]
	global_store_dwordx4 v10, v[0:3], s[10:11] offset:16
	global_store_dwordx4 v10, v[0:3], s[10:11] offset:32
	;; [unrolled: 1-line block ×3, first 2 shown]
	s_and_saveexec_b64 s[10:11], s[0:1]
	s_cbranch_execz .LBB0_644
; %bb.637:
	v_mov_b32_e32 v12, 0
	global_load_dwordx2 v[16:17], v12, s[4:5] offset:32 sc0 sc1
	global_load_dwordx2 v[0:1], v12, s[4:5] offset:40
	v_mov_b32_e32 v14, s6
	v_mov_b32_e32 v15, s7
	s_waitcnt vmcnt(0)
	v_and_b32_e32 v0, s6, v0
	v_and_b32_e32 v1, s7, v1
	v_mul_lo_u32 v1, v1, 24
	v_mul_hi_u32 v2, v0, 24
	v_mul_lo_u32 v0, v0, 24
	v_add_u32_e32 v1, v2, v1
	v_lshl_add_u64 v[4:5], v[4:5], 0, v[0:1]
	global_store_dwordx2 v[4:5], v[16:17], off
	buffer_wbl2 sc0 sc1
	s_waitcnt vmcnt(0)
	global_atomic_cmpswap_x2 v[2:3], v12, v[14:17], s[4:5] offset:32 sc0 sc1
	s_waitcnt vmcnt(0)
	v_cmp_ne_u64_e32 vcc, v[2:3], v[16:17]
	s_and_saveexec_b64 s[12:13], vcc
	s_cbranch_execz .LBB0_640
; %bb.638:
	s_mov_b64 s[14:15], 0
.LBB0_639:                              ; =>This Inner Loop Header: Depth=1
	s_sleep 1
	global_store_dwordx2 v[4:5], v[2:3], off
	v_mov_b32_e32 v0, s6
	v_mov_b32_e32 v1, s7
	buffer_wbl2 sc0 sc1
	s_waitcnt vmcnt(0)
	global_atomic_cmpswap_x2 v[0:1], v12, v[0:3], s[4:5] offset:32 sc0 sc1
	s_waitcnt vmcnt(0)
	v_cmp_eq_u64_e32 vcc, v[0:1], v[2:3]
	s_or_b64 s[14:15], vcc, s[14:15]
	v_mov_b64_e32 v[2:3], v[0:1]
	s_andn2_b64 exec, exec, s[14:15]
	s_cbranch_execnz .LBB0_639
.LBB0_640:
	s_or_b64 exec, exec, s[12:13]
	v_mov_b32_e32 v3, 0
	global_load_dwordx2 v[0:1], v3, s[4:5] offset:16
	s_mov_b64 s[12:13], exec
	v_mbcnt_lo_u32_b32 v2, s12, 0
	v_mbcnt_hi_u32_b32 v2, s13, v2
	v_cmp_eq_u32_e32 vcc, 0, v2
	s_and_saveexec_b64 s[14:15], vcc
	s_cbranch_execz .LBB0_642
; %bb.641:
	s_bcnt1_i32_b64 s12, s[12:13]
	v_mov_b32_e32 v2, s12
	buffer_wbl2 sc0 sc1
	s_waitcnt vmcnt(0)
	global_atomic_add_x2 v[0:1], v[2:3], off offset:8 sc1
.LBB0_642:
	s_or_b64 exec, exec, s[14:15]
	s_waitcnt vmcnt(0)
	global_load_dwordx2 v[2:3], v[0:1], off offset:16
	s_waitcnt vmcnt(0)
	v_cmp_eq_u64_e32 vcc, 0, v[2:3]
	s_cbranch_vccnz .LBB0_644
; %bb.643:
	global_load_dword v0, v[0:1], off offset:24
	v_mov_b32_e32 v1, 0
	s_waitcnt vmcnt(0)
	v_readfirstlane_b32 s12, v0
	s_and_b32 m0, s12, 0xffffff
	buffer_wbl2 sc0 sc1
	global_store_dwordx2 v[2:3], v[0:1], off sc0 sc1
	s_sendmsg sendmsg(MSG_INTERRUPT)
.LBB0_644:
	s_or_b64 exec, exec, s[10:11]
	v_lshl_add_u64 v[0:1], v[6:7], 0, v[10:11]
.LBB0_645:                              ; =>This Inner Loop Header: Depth=1
	v_mov_b32_e32 v2, 1
	s_and_saveexec_b64 s[10:11], s[0:1]
	s_cbranch_execz .LBB0_647
; %bb.646:                              ;   in Loop: Header=BB0_645 Depth=1
	global_load_dword v2, v[8:9], off offset:20 sc0 sc1
	s_waitcnt vmcnt(0)
	buffer_inv sc0 sc1
	v_and_b32_e32 v2, 1, v2
.LBB0_647:                              ;   in Loop: Header=BB0_645 Depth=1
	s_or_b64 exec, exec, s[10:11]
	v_readfirstlane_b32 s10, v2
	s_cmp_eq_u32 s10, 0
	s_cbranch_scc1 .LBB0_649
; %bb.648:                              ;   in Loop: Header=BB0_645 Depth=1
	s_mov_b64 s[10:11], 0
	s_sleep 1
	s_branch .LBB0_650
.LBB0_649:                              ;   in Loop: Header=BB0_645 Depth=1
	s_mov_b64 s[10:11], -1
.LBB0_650:                              ;   in Loop: Header=BB0_645 Depth=1
	s_andn2_b64 vcc, exec, s[10:11]
	s_cbranch_vccnz .LBB0_645
; %bb.651:
	global_load_dwordx2 v[0:1], v[0:1], off
	s_and_saveexec_b64 s[10:11], s[0:1]
	s_cbranch_execz .LBB0_654
; %bb.652:
	v_mov_b32_e32 v8, 0
	global_load_dwordx2 v[2:3], v8, s[4:5] offset:40
	global_load_dwordx2 v[12:13], v8, s[4:5] offset:24 sc0 sc1
	global_load_dwordx2 v[4:5], v8, s[4:5]
	s_waitcnt vmcnt(2)
	v_readfirstlane_b32 s12, v2
	v_readfirstlane_b32 s13, v3
	s_add_u32 s14, s12, 1
	s_addc_u32 s15, s13, 0
	s_add_u32 s0, s14, s6
	s_addc_u32 s1, s15, s7
	s_cmp_eq_u64 s[0:1], 0
	s_cselect_b32 s1, s15, s1
	s_cselect_b32 s0, s14, s0
	s_and_b64 s[6:7], s[0:1], s[12:13]
	s_mul_i32 s7, s7, 24
	s_mul_hi_u32 s12, s6, 24
	s_mul_i32 s6, s6, 24
	s_add_i32 s7, s12, s7
	s_waitcnt vmcnt(0)
	v_lshl_add_u64 v[6:7], v[4:5], 0, s[6:7]
	v_mov_b32_e32 v10, s0
	global_store_dwordx2 v[6:7], v[12:13], off
	v_mov_b32_e32 v11, s1
	buffer_wbl2 sc0 sc1
	s_waitcnt vmcnt(0)
	global_atomic_cmpswap_x2 v[4:5], v8, v[10:13], s[4:5] offset:24 sc0 sc1
	s_mov_b64 s[6:7], 0
	s_waitcnt vmcnt(0)
	v_cmp_ne_u64_e32 vcc, v[4:5], v[12:13]
	s_and_b64 exec, exec, vcc
	s_cbranch_execz .LBB0_654
.LBB0_653:                              ; =>This Inner Loop Header: Depth=1
	s_sleep 1
	global_store_dwordx2 v[6:7], v[4:5], off
	v_mov_b32_e32 v2, s0
	v_mov_b32_e32 v3, s1
	buffer_wbl2 sc0 sc1
	s_waitcnt vmcnt(0)
	global_atomic_cmpswap_x2 v[2:3], v8, v[2:5], s[4:5] offset:24 sc0 sc1
	s_waitcnt vmcnt(0)
	v_cmp_eq_u64_e32 vcc, v[2:3], v[4:5]
	s_or_b64 s[6:7], vcc, s[6:7]
	v_mov_b64_e32 v[4:5], v[2:3]
	s_andn2_b64 exec, exec, s[6:7]
	s_cbranch_execnz .LBB0_653
.LBB0_654:
	s_or_b64 exec, exec, s[10:11]
	s_waitcnt vmcnt(0)
	v_cmp_ne_u64_e32 vcc, 0, v[0:1]
	s_and_saveexec_b64 s[0:1], vcc
	s_cbranch_execz .LBB0_658
; %bb.655:
	s_mov_b64 s[4:5], exec
	v_mbcnt_lo_u32_b32 v2, exec_lo, 0
	v_mbcnt_hi_u32_b32 v2, s5, v2
	v_cmp_eq_u32_e32 vcc, 0, v2
	s_and_b64 s[6:7], exec, vcc
	s_mov_b64 exec, s[6:7]
	s_cbranch_execz .LBB0_658
; %bb.656:
	s_mov_b64 s[6:7], exec
	v_mbcnt_lo_u32_b32 v2, s6, 0
	v_mbcnt_hi_u32_b32 v2, s7, v2
	v_cmp_eq_u32_e32 vcc, 0, v2
	s_and_b64 s[10:11], exec, vcc
	s_mov_b64 exec, s[10:11]
	s_cbranch_execz .LBB0_658
; %bb.657:
	s_bcnt1_i32_b64 s10, s[4:5]
	s_load_dwordx2 s[4:5], s[8:9], 0x60
	s_bcnt1_i32_b64 s6, s[6:7]
	s_mul_i32 s10, s10, s6
	v_mov_b32_e32 v4, s10
	v_mov_b32_e32 v5, 0
	;; [unrolled: 1-line block ×3, first 2 shown]
	s_waitcnt lgkmcnt(0)
	global_atomic_add_x2 v2, v[4:5], s[4:5] offset:2184
.LBB0_658:
	s_or_b64 exec, exec, s[0:1]
.LBB0_659:
	s_or_b64 exec, exec, s[2:3]
.LBB0_660:
	s_or_b64 exec, exec, s[24:25]
	v_readlane_b32 s30, v40, 21
	v_readlane_b32 s31, v40, 22
	;; [unrolled: 1-line block ×23, first 2 shown]
	s_or_saveexec_b64 s[0:1], -1
	scratch_load_dword v40, off, s32        ; 4-byte Folded Reload
	s_mov_b64 exec, s[0:1]
	s_waitcnt vmcnt(0) lgkmcnt(0)
	s_setpc_b64 s[30:31]
.Lfunc_end0:
	.size	__ockl_dm_alloc, .Lfunc_end0-__ockl_dm_alloc
                                        ; -- End function
	.set .L__ockl_dm_alloc.num_vgpr, 120
	.set .L__ockl_dm_alloc.num_agpr, 0
	.set .L__ockl_dm_alloc.numbered_sgpr, 96
	.set .L__ockl_dm_alloc.num_named_barrier, 0
	.set .L__ockl_dm_alloc.private_seg_size, 8
	.set .L__ockl_dm_alloc.uses_vcc, 1
	.set .L__ockl_dm_alloc.uses_flat_scratch, 0
	.set .L__ockl_dm_alloc.has_dyn_sized_stack, 0
	.set .L__ockl_dm_alloc.has_recursion, 0
	.set .L__ockl_dm_alloc.has_indirect_call, 0
	.section	.AMDGPU.csdata,"",@progbits
; Function info:
; codeLenInByte = 20176
; TotalNumSgprs: 102
; NumVgprs: 120
; NumAgprs: 0
; TotalNumVgprs: 120
; ScratchSize: 8
; MemoryBound: 1
	.section	.text.unlikely.,"ax",@progbits
	.p2align	2                               ; -- Begin function __ockl_dm_dealloc
	.type	__ockl_dm_dealloc,@function
__ockl_dm_dealloc:                      ; @__ockl_dm_dealloc
; %bb.0:
	s_waitcnt vmcnt(0) expcnt(0) lgkmcnt(0)
	v_and_b32_e32 v2, 0xfff, v0
	v_mov_b32_e32 v3, 0
	v_cmp_ne_u64_e32 vcc, 0, v[2:3]
	s_and_saveexec_b64 s[0:1], vcc
	s_xor_b64 s[4:5], exec, s[0:1]
	s_cbranch_execz .LBB1_14
; %bb.1:
	v_and_b32_e32 v4, 0xffe00000, v0
	v_mov_b32_e32 v5, v1
	buffer_wbl2 sc1
	global_load_dwordx2 v[6:7], v[4:5], off
	s_load_dwordx2 s[0:1], s[8:9], 0x60
	s_movk_i32 s6, 0xff
	s_movk_i32 s7, 0x1800
	s_mov_b64 s[2:3], 0x2800
	v_and_b32_e32 v17, 0x1fffff, v0
	s_waitcnt lgkmcnt(0)
	v_mov_b64_e32 v[8:9], s[0:1]
	s_waitcnt vmcnt(0)
	v_lshrrev_b32_e32 v2, 1, v6
	v_add_u32_e32 v2, 4, v2
	v_lshlrev_b32_e64 v2, v2, 1
	v_bfe_i32 v10, v6, 0, 1
	v_lshrrev_b32_e32 v11, 1, v2
	v_and_b32_e32 v10, v10, v11
	v_add_u32_e32 v15, v10, v2
	v_cvt_f32_u32_e32 v2, v15
	v_cmp_lt_u32_e64 s[0:1], s6, v7
	v_mad_u64_u32 v[8:9], s[6:7], v6, s7, v[8:9]
	v_add_u32_e32 v1, 0xffffff00, v7
	v_lshl_add_u64 v[8:9], v[8:9], 0, s[2:3]
	v_lshrrev_b32_e32 v1, 8, v1
	v_mad_u64_u32 v[10:11], s[2:3], v1, 24, v[8:9]
	v_rcp_iflag_f32_e32 v1, v2
	v_sub_u32_e32 v0, 0, v15
	s_getpc_b64 s[2:3]
	s_add_u32 s2, s2, kinfo@rel32@lo+4
	s_addc_u32 s3, s3, kinfo@rel32@hi+12
	v_and_b32_e32 v16, 0xff, v7
	v_mul_f32_e32 v1, 0x4f7ffffe, v1
	v_cvt_u32_f32_e32 v1, v1
	v_mad_u64_u32 v[12:13], s[2:3], v6, 28, s[2:3]
	v_mov_b32_e32 v2, 1
	v_mul_lo_u32 v0, v0, v1
	v_mul_hi_u32 v0, v1, v0
	v_add_u32_e32 v14, v1, v0
                                        ; implicit-def: $sgpr6_sgpr7
.LBB1_2:                                ; =>This Inner Loop Header: Depth=1
	v_mov_b32_e32 v18, 0
	v_cmp_ne_u32_e32 vcc, 0, v2
	s_andn2_b64 s[6:7], s[6:7], exec
	s_and_saveexec_b64 s[10:11], vcc
	s_cbranch_execz .LBB1_13
; %bb.3:                                ;   in Loop: Header=BB1_2 Depth=1
	v_readfirstlane_b32 s2, v6
	v_readfirstlane_b32 s3, v7
	v_mov_b32_e32 v18, 1
	v_cmp_eq_u32_e32 vcc, s2, v6
	v_cmp_eq_u32_e64 s[2:3], s3, v7
	s_and_b64 s[14:15], vcc, s[2:3]
	s_mov_b64 s[2:3], -1
	s_and_saveexec_b64 s[12:13], s[14:15]
	s_cbranch_execz .LBB1_12
; %bb.4:                                ;   in Loop: Header=BB1_2 Depth=1
	s_mov_b64 s[14:15], exec
	v_mbcnt_lo_u32_b32 v0, exec_lo, 0
	v_mbcnt_hi_u32_b32 v0, s15, v0
	v_mov_b32_e32 v1, 0
	v_cmp_eq_u32_e32 vcc, 0, v0
	v_mov_b32_e32 v0, 0
	s_and_saveexec_b64 s[2:3], vcc
	s_cbranch_execz .LBB1_8
; %bb.5:                                ;   in Loop: Header=BB1_2 Depth=1
	v_mov_b32_e32 v2, v7
	v_mov_b64_e32 v[0:1], v[8:9]
	s_and_saveexec_b64 s[16:17], s[0:1]
	s_cbranch_execz .LBB1_7
; %bb.6:                                ;   in Loop: Header=BB1_2 Depth=1
	global_load_dwordx2 v[0:1], v[10:11], off sc1
	v_mov_b32_e32 v2, v16
.LBB1_7:                                ;   in Loop: Header=BB1_2 Depth=1
	s_or_b64 exec, exec, s[16:17]
	s_waitcnt vmcnt(0)
	v_mad_u64_u32 v[0:1], s[16:17], v2, 24, v[0:1]
.LBB1_8:                                ;   in Loop: Header=BB1_2 Depth=1
	s_or_b64 exec, exec, s[2:3]
	global_load_dword v2, v[12:13], off offset:12
	v_readfirstlane_b32 s16, v0
	v_readfirstlane_b32 s17, v1
	s_waitcnt vmcnt(0)
	v_sub_u32_e32 v2, v17, v2
	v_mul_hi_u32 v18, v2, v14
	v_mul_lo_u32 v19, v18, v15
	v_sub_u32_e32 v2, v2, v19
	v_add_u32_e32 v20, 1, v18
	v_cmp_ge_u32_e64 s[2:3], v2, v15
	v_sub_u32_e32 v19, v2, v15
	s_nop 0
	v_cndmask_b32_e64 v18, v18, v20, s[2:3]
	v_cndmask_b32_e64 v2, v2, v19, s[2:3]
	v_add_u32_e32 v19, 1, v18
	v_cmp_ge_u32_e64 s[2:3], v2, v15
	s_nop 1
	v_cndmask_b32_e64 v2, v18, v19, s[2:3]
	v_lshlrev_b32_e64 v18, v2, 1
	v_lshrrev_b32_e32 v2, 3, v2
	v_and_b32_e32 v2, 0x1ffffffc, v2
	v_not_b32_e32 v20, v18
	v_lshl_add_u64 v[18:19], v[4:5], 0, v[2:3]
	global_atomic_and v[18:19], v20, off offset:16
	s_and_saveexec_b64 s[2:3], vcc
	s_cbranch_execz .LBB1_11
; %bb.9:                                ;   in Loop: Header=BB1_2 Depth=1
	s_mov_b64 s[18:19], exec
	v_mbcnt_lo_u32_b32 v0, s18, 0
	v_mbcnt_hi_u32_b32 v0, s19, v0
	v_cmp_eq_u32_e32 vcc, 0, v0
	s_and_b64 s[20:21], exec, vcc
	s_mov_b64 exec, s[20:21]
	s_cbranch_execz .LBB1_11
; %bb.10:                               ;   in Loop: Header=BB1_2 Depth=1
	s_bcnt1_i32_b64 s14, s[14:15]
	s_bcnt1_i32_b64 s15, s[18:19]
	s_mul_i32 s14, s14, s15
	v_mov_b32_e32 v0, s14
	global_atomic_sub v3, v0, s[16:17] offset:16
.LBB1_11:                               ;   in Loop: Header=BB1_2 Depth=1
	s_or_b64 exec, exec, s[2:3]
	v_mov_b32_e32 v18, 0
	s_xor_b64 s[2:3], exec, -1
.LBB1_12:                               ;   in Loop: Header=BB1_2 Depth=1
	s_or_b64 exec, exec, s[12:13]
	s_andn2_b64 s[6:7], s[6:7], exec
	s_and_b64 s[2:3], s[2:3], exec
	s_or_b64 s[6:7], s[6:7], s[2:3]
.LBB1_13:                               ;   in Loop: Header=BB1_2 Depth=1
	s_or_b64 exec, exec, s[10:11]
	v_cndmask_b32_e64 v2, 0, 1, s[6:7]
	v_cmp_ne_u32_e32 vcc, 0, v2
	v_mov_b32_e32 v2, v18
                                        ; implicit-def: $vgpr0_vgpr1
	s_cbranch_vccnz .LBB1_2
.LBB1_14:
	s_andn2_saveexec_b64 s[2:3], s[4:5]
	s_cbranch_execz .LBB1_46
; %bb.15:
	v_cmp_ne_u64_e32 vcc, 0, v[0:1]
	s_and_saveexec_b64 s[4:5], vcc
	s_cbranch_execz .LBB1_45
; %bb.16:
	s_load_dwordx2 s[6:7], s[8:9], 0x50
	v_mbcnt_lo_u32_b32 v2, -1, 0
	v_mbcnt_hi_u32_b32 v3, -1, v2
	v_mov_b64_e32 v[8:9], 0
	v_readfirstlane_b32 s0, v3
	s_nop 1
	v_cmp_eq_u32_e64 s[0:1], s0, v3
	s_and_saveexec_b64 s[10:11], s[0:1]
	s_cbranch_execz .LBB1_22
; %bb.17:
	v_mov_b32_e32 v2, 0
	s_waitcnt lgkmcnt(0)
	global_load_dwordx2 v[6:7], v2, s[6:7] offset:24 sc0 sc1
	s_waitcnt vmcnt(0)
	buffer_inv sc0 sc1
	global_load_dwordx2 v[4:5], v2, s[6:7] offset:40
	global_load_dwordx2 v[8:9], v2, s[6:7]
	s_waitcnt vmcnt(1)
	v_and_b32_e32 v4, v4, v6
	v_and_b32_e32 v5, v5, v7
	v_mul_lo_u32 v5, v5, 24
	v_mul_hi_u32 v10, v4, 24
	v_add_u32_e32 v5, v10, v5
	v_mul_lo_u32 v4, v4, 24
	s_waitcnt vmcnt(0)
	v_lshl_add_u64 v[4:5], v[8:9], 0, v[4:5]
	global_load_dwordx2 v[4:5], v[4:5], off sc0 sc1
	s_waitcnt vmcnt(0)
	global_atomic_cmpswap_x2 v[8:9], v2, v[4:7], s[6:7] offset:24 sc0 sc1
	s_waitcnt vmcnt(0)
	buffer_inv sc0 sc1
	v_cmp_ne_u64_e32 vcc, v[8:9], v[6:7]
	s_and_saveexec_b64 s[12:13], vcc
	s_cbranch_execz .LBB1_21
; %bb.18:
	s_mov_b64 s[14:15], 0
.LBB1_19:                               ; =>This Inner Loop Header: Depth=1
	s_sleep 1
	global_load_dwordx2 v[4:5], v2, s[6:7] offset:40
	global_load_dwordx2 v[10:11], v2, s[6:7]
	v_mov_b64_e32 v[6:7], v[8:9]
	s_waitcnt vmcnt(1)
	v_and_b32_e32 v4, v4, v6
	v_and_b32_e32 v9, v5, v7
	s_waitcnt vmcnt(0)
	v_mad_u64_u32 v[4:5], s[16:17], v4, 24, v[10:11]
	v_mov_b32_e32 v8, v5
	v_mad_u64_u32 v[8:9], s[16:17], v9, 24, v[8:9]
	v_mov_b32_e32 v5, v8
	global_load_dwordx2 v[4:5], v[4:5], off sc0 sc1
	s_waitcnt vmcnt(0)
	global_atomic_cmpswap_x2 v[8:9], v2, v[4:7], s[6:7] offset:24 sc0 sc1
	s_waitcnt vmcnt(0)
	buffer_inv sc0 sc1
	v_cmp_eq_u64_e32 vcc, v[8:9], v[6:7]
	s_or_b64 s[14:15], vcc, s[14:15]
	s_andn2_b64 exec, exec, s[14:15]
	s_cbranch_execnz .LBB1_19
; %bb.20:
	s_or_b64 exec, exec, s[14:15]
.LBB1_21:
	s_or_b64 exec, exec, s[12:13]
.LBB1_22:
	s_or_b64 exec, exec, s[10:11]
	v_mov_b32_e32 v2, 0
	s_waitcnt lgkmcnt(0)
	global_load_dwordx2 v[10:11], v2, s[6:7] offset:40
	global_load_dwordx4 v[4:7], v2, s[6:7]
	v_readfirstlane_b32 s11, v9
	v_readfirstlane_b32 s10, v8
	s_mov_b64 s[12:13], exec
	s_waitcnt vmcnt(1)
	v_readfirstlane_b32 s14, v10
	v_readfirstlane_b32 s15, v11
	s_and_b64 s[14:15], s[14:15], s[10:11]
	s_mul_i32 s16, s15, 24
	s_mul_hi_u32 s17, s14, 24
	s_add_i32 s17, s17, s16
	s_mul_i32 s16, s14, 24
	s_waitcnt vmcnt(0)
	v_lshl_add_u64 v[8:9], v[4:5], 0, s[16:17]
	s_and_saveexec_b64 s[16:17], s[0:1]
	s_cbranch_execz .LBB1_24
; %bb.23:
	v_mov_b64_e32 v[10:11], s[12:13]
	v_mov_b32_e32 v12, 3
	v_mov_b32_e32 v13, 1
	global_store_dwordx4 v[8:9], v[10:13], off offset:8
.LBB1_24:
	s_or_b64 exec, exec, s[16:17]
	s_lshl_b64 s[12:13], s[14:15], 12
	v_lshl_add_u64 v[6:7], v[6:7], 0, s[12:13]
	s_mov_b32 s12, 0
	v_lshlrev_b32_e32 v10, 6, v3
	v_mov_b32_e32 v3, v2
	v_readfirstlane_b32 s16, v6
	v_readfirstlane_b32 s17, v7
	s_mov_b32 s13, s12
	s_mov_b32 s14, s12
	;; [unrolled: 1-line block ×3, first 2 shown]
	s_nop 1
	global_store_dwordx4 v10, v[0:3], s[16:17]
	s_nop 1
	v_mov_b64_e32 v[0:1], s[12:13]
	v_mov_b64_e32 v[2:3], s[14:15]
	global_store_dwordx4 v10, v[0:3], s[16:17] offset:16
	global_store_dwordx4 v10, v[0:3], s[16:17] offset:32
	;; [unrolled: 1-line block ×3, first 2 shown]
	s_and_saveexec_b64 s[12:13], s[0:1]
	s_cbranch_execz .LBB1_32
; %bb.25:
	v_mov_b32_e32 v6, 0
	global_load_dwordx2 v[12:13], v6, s[6:7] offset:32 sc0 sc1
	global_load_dwordx2 v[0:1], v6, s[6:7] offset:40
	v_mov_b32_e32 v10, s10
	v_mov_b32_e32 v11, s11
	s_waitcnt vmcnt(0)
	v_and_b32_e32 v0, s10, v0
	v_and_b32_e32 v1, s11, v1
	v_mul_lo_u32 v1, v1, 24
	v_mul_hi_u32 v2, v0, 24
	v_mul_lo_u32 v0, v0, 24
	v_add_u32_e32 v1, v2, v1
	v_lshl_add_u64 v[4:5], v[4:5], 0, v[0:1]
	global_store_dwordx2 v[4:5], v[12:13], off
	buffer_wbl2 sc0 sc1
	s_waitcnt vmcnt(0)
	global_atomic_cmpswap_x2 v[2:3], v6, v[10:13], s[6:7] offset:32 sc0 sc1
	s_waitcnt vmcnt(0)
	v_cmp_ne_u64_e32 vcc, v[2:3], v[12:13]
	s_and_saveexec_b64 s[14:15], vcc
	s_cbranch_execz .LBB1_28
; %bb.26:
	s_mov_b64 s[16:17], 0
.LBB1_27:                               ; =>This Inner Loop Header: Depth=1
	s_sleep 1
	global_store_dwordx2 v[4:5], v[2:3], off
	v_mov_b32_e32 v0, s10
	v_mov_b32_e32 v1, s11
	buffer_wbl2 sc0 sc1
	s_waitcnt vmcnt(0)
	global_atomic_cmpswap_x2 v[0:1], v6, v[0:3], s[6:7] offset:32 sc0 sc1
	s_waitcnt vmcnt(0)
	v_cmp_eq_u64_e32 vcc, v[0:1], v[2:3]
	s_or_b64 s[16:17], vcc, s[16:17]
	v_mov_b64_e32 v[2:3], v[0:1]
	s_andn2_b64 exec, exec, s[16:17]
	s_cbranch_execnz .LBB1_27
.LBB1_28:
	s_or_b64 exec, exec, s[14:15]
	v_mov_b32_e32 v3, 0
	global_load_dwordx2 v[0:1], v3, s[6:7] offset:16
	s_mov_b64 s[14:15], exec
	v_mbcnt_lo_u32_b32 v2, s14, 0
	v_mbcnt_hi_u32_b32 v2, s15, v2
	v_cmp_eq_u32_e32 vcc, 0, v2
	s_and_saveexec_b64 s[16:17], vcc
	s_cbranch_execz .LBB1_30
; %bb.29:
	s_bcnt1_i32_b64 s14, s[14:15]
	v_mov_b32_e32 v2, s14
	buffer_wbl2 sc0 sc1
	s_waitcnt vmcnt(0)
	global_atomic_add_x2 v[0:1], v[2:3], off offset:8 sc1
.LBB1_30:
	s_or_b64 exec, exec, s[16:17]
	s_waitcnt vmcnt(0)
	global_load_dwordx2 v[2:3], v[0:1], off offset:16
	s_waitcnt vmcnt(0)
	v_cmp_eq_u64_e32 vcc, 0, v[2:3]
	s_cbranch_vccnz .LBB1_32
; %bb.31:
	global_load_dword v0, v[0:1], off offset:24
	v_mov_b32_e32 v1, 0
	s_waitcnt vmcnt(0)
	v_readfirstlane_b32 s14, v0
	s_and_b32 m0, s14, 0xffffff
	buffer_wbl2 sc0 sc1
	global_store_dwordx2 v[2:3], v[0:1], off sc0 sc1
	s_sendmsg sendmsg(MSG_INTERRUPT)
.LBB1_32:
	s_or_b64 exec, exec, s[12:13]
.LBB1_33:                               ; =>This Inner Loop Header: Depth=1
	v_mov_b32_e32 v0, 1
	s_and_saveexec_b64 s[12:13], s[0:1]
	s_cbranch_execz .LBB1_35
; %bb.34:                               ;   in Loop: Header=BB1_33 Depth=1
	global_load_dword v0, v[8:9], off offset:20 sc0 sc1
	s_waitcnt vmcnt(0)
	buffer_inv sc0 sc1
	v_and_b32_e32 v0, 1, v0
.LBB1_35:                               ;   in Loop: Header=BB1_33 Depth=1
	s_or_b64 exec, exec, s[12:13]
	v_readfirstlane_b32 s12, v0
	s_cmp_eq_u32 s12, 0
	s_cbranch_scc1 .LBB1_37
; %bb.36:                               ;   in Loop: Header=BB1_33 Depth=1
	s_mov_b64 s[12:13], 0
	s_sleep 1
	s_branch .LBB1_38
.LBB1_37:                               ;   in Loop: Header=BB1_33 Depth=1
	s_mov_b64 s[12:13], -1
.LBB1_38:                               ;   in Loop: Header=BB1_33 Depth=1
	s_andn2_b64 vcc, exec, s[12:13]
	s_cbranch_vccnz .LBB1_33
; %bb.39:
	s_and_saveexec_b64 s[12:13], s[0:1]
	s_cbranch_execz .LBB1_42
; %bb.40:
	v_mov_b32_e32 v6, 0
	global_load_dwordx2 v[0:1], v6, s[6:7] offset:40
	global_load_dwordx2 v[10:11], v6, s[6:7] offset:24 sc0 sc1
	global_load_dwordx2 v[2:3], v6, s[6:7]
	s_waitcnt vmcnt(2)
	v_readfirstlane_b32 s14, v0
	v_readfirstlane_b32 s15, v1
	s_add_u32 s16, s14, 1
	s_addc_u32 s17, s15, 0
	s_add_u32 s0, s16, s10
	s_addc_u32 s1, s17, s11
	s_cmp_eq_u64 s[0:1], 0
	s_cselect_b32 s1, s17, s1
	s_cselect_b32 s0, s16, s0
	s_and_b64 s[10:11], s[0:1], s[14:15]
	s_mul_i32 s11, s11, 24
	s_mul_hi_u32 s14, s10, 24
	s_mul_i32 s10, s10, 24
	s_add_i32 s11, s14, s11
	s_waitcnt vmcnt(0)
	v_lshl_add_u64 v[4:5], v[2:3], 0, s[10:11]
	v_mov_b32_e32 v8, s0
	global_store_dwordx2 v[4:5], v[10:11], off
	v_mov_b32_e32 v9, s1
	buffer_wbl2 sc0 sc1
	s_waitcnt vmcnt(0)
	global_atomic_cmpswap_x2 v[2:3], v6, v[8:11], s[6:7] offset:24 sc0 sc1
	s_mov_b64 s[10:11], 0
	s_waitcnt vmcnt(0)
	v_cmp_ne_u64_e32 vcc, v[2:3], v[10:11]
	s_and_b64 exec, exec, vcc
	s_cbranch_execz .LBB1_42
.LBB1_41:                               ; =>This Inner Loop Header: Depth=1
	s_sleep 1
	global_store_dwordx2 v[4:5], v[2:3], off
	v_mov_b32_e32 v0, s0
	v_mov_b32_e32 v1, s1
	buffer_wbl2 sc0 sc1
	s_waitcnt vmcnt(0)
	global_atomic_cmpswap_x2 v[0:1], v6, v[0:3], s[6:7] offset:24 sc0 sc1
	s_waitcnt vmcnt(0)
	v_cmp_eq_u64_e32 vcc, v[0:1], v[2:3]
	s_or_b64 s[10:11], vcc, s[10:11]
	v_mov_b64_e32 v[2:3], v[0:1]
	s_andn2_b64 exec, exec, s[10:11]
	s_cbranch_execnz .LBB1_41
.LBB1_42:
	s_or_b64 exec, exec, s[12:13]
	s_mov_b64 s[0:1], exec
	v_mbcnt_lo_u32_b32 v0, exec_lo, 0
	v_mbcnt_hi_u32_b32 v0, s1, v0
	v_cmp_eq_u32_e32 vcc, 0, v0
	s_and_b64 s[6:7], exec, vcc
	s_mov_b64 exec, s[6:7]
	s_cbranch_execz .LBB1_45
; %bb.43:
	s_mov_b64 s[6:7], exec
	v_mbcnt_lo_u32_b32 v0, s6, 0
	v_mbcnt_hi_u32_b32 v0, s7, v0
	v_cmp_eq_u32_e32 vcc, 0, v0
	s_and_b64 s[10:11], exec, vcc
	s_mov_b64 exec, s[10:11]
	s_cbranch_execz .LBB1_45
; %bb.44:
	s_bcnt1_i32_b64 s10, s[0:1]
	s_load_dwordx2 s[0:1], s[8:9], 0x60
	s_bcnt1_i32_b64 s6, s[6:7]
	s_mul_i32 s10, s10, s6
	v_mov_b32_e32 v2, s10
	v_mov_b32_e32 v3, 0
	;; [unrolled: 1-line block ×3, first 2 shown]
	s_waitcnt lgkmcnt(0)
	global_atomic_sub_x2 v0, v[2:3], s[0:1] offset:2184
.LBB1_45:
	s_or_b64 exec, exec, s[4:5]
.LBB1_46:
	s_or_b64 exec, exec, s[2:3]
	s_waitcnt vmcnt(0) lgkmcnt(0)
	s_setpc_b64 s[30:31]
.Lfunc_end1:
	.size	__ockl_dm_dealloc, .Lfunc_end1-__ockl_dm_dealloc
                                        ; -- End function
	.set .L__ockl_dm_dealloc.num_vgpr, 21
	.set .L__ockl_dm_dealloc.num_agpr, 0
	.set .L__ockl_dm_dealloc.numbered_sgpr, 32
	.set .L__ockl_dm_dealloc.num_named_barrier, 0
	.set .L__ockl_dm_dealloc.private_seg_size, 0
	.set .L__ockl_dm_dealloc.uses_vcc, 1
	.set .L__ockl_dm_dealloc.uses_flat_scratch, 0
	.set .L__ockl_dm_dealloc.has_dyn_sized_stack, 0
	.set .L__ockl_dm_dealloc.has_recursion, 0
	.set .L__ockl_dm_dealloc.has_indirect_call, 0
	.section	.AMDGPU.csdata,"",@progbits
; Function info:
; codeLenInByte = 2020
; TotalNumSgprs: 38
; NumVgprs: 21
; NumAgprs: 0
; TotalNumVgprs: 21
; ScratchSize: 0
; MemoryBound: 1
	.section	.text.unlikely.,"ax",@progbits
	.p2align	2                               ; -- Begin function _ZN6thrust23THRUST_200600_302600_NS6detail19temporary_allocatorIiNS1_5seq_tEE8allocateEm
	.type	_ZN6thrust23THRUST_200600_302600_NS6detail19temporary_allocatorIiNS1_5seq_tEE8allocateEm,@function
_ZN6thrust23THRUST_200600_302600_NS6detail19temporary_allocatorIiNS1_5seq_tEE8allocateEm: ; @_ZN6thrust23THRUST_200600_302600_NS6detail19temporary_allocatorIiNS1_5seq_tEE8allocateEm
; %bb.0:
	s_waitcnt vmcnt(0) expcnt(0) lgkmcnt(0)
	s_mov_b32 s0, s33
	s_mov_b32 s33, s32
	s_or_saveexec_b64 s[2:3], -1
	scratch_store_dword off, v41, s33       ; 4-byte Folded Spill
	s_mov_b64 exec, s[2:3]
	v_writelane_b32 v41, s0, 23
	v_accvgpr_write_b32 a0, v40             ;  Reload Reuse
	s_add_i32 s32, s32, 16
	v_writelane_b32 v41, s34, 0
	v_writelane_b32 v41, s35, 1
	;; [unrolled: 1-line block ×22, first 2 shown]
	s_nop 1
	v_writelane_b32 v41, s31, 22
	v_lshlrev_b64 v[2:3], 2, v[0:1]
	v_alignbit_b32 v1, v1, v0, 30
	s_getpc_b64 s[0:1]
	s_add_u32 s0, s0, __ockl_dm_alloc@rel32@lo+4
	s_addc_u32 s1, s1, __ockl_dm_alloc@rel32@hi+12
	v_mov_b32_e32 v0, v2
	s_swappc_b64 s[30:31], s[0:1]
	v_mov_b64_e32 v[22:23], v[0:1]
	v_cmp_ne_u64_e32 vcc, 0, v[22:23]
	s_and_saveexec_b64 s[0:1], vcc
	s_xor_b64 s[0:1], exec, s[0:1]
	s_andn2_saveexec_b64 s[22:23], s[0:1]
	s_cbranch_execnz .LBB2_2
.LBB2_1:
	s_or_b64 exec, exec, s[22:23]
	v_readlane_b32 s30, v41, 21
	s_waitcnt vmcnt(0)
	v_mov_b64_e32 v[0:1], v[22:23]
	v_readlane_b32 s31, v41, 22
	v_readlane_b32 s70, v41, 20
	;; [unrolled: 1-line block ×22, first 2 shown]
	v_accvgpr_read_b32 v40, a0              ;  Reload Reuse
	s_mov_b32 s32, s33
	v_readlane_b32 s0, v41, 23
	s_or_saveexec_b64 s[2:3], -1
	scratch_load_dword v41, off, s33        ; 4-byte Folded Reload
	s_mov_b64 exec, s[2:3]
	s_mov_b32 s33, s0
	s_waitcnt vmcnt(0) lgkmcnt(0)
	s_setpc_b64 s[30:31]
.LBB2_2:
	s_getpc_b64 s[0:1]
	s_add_u32 s0, s0, __ockl_dm_dealloc@rel32@lo+4
	s_addc_u32 s1, s1, __ockl_dm_dealloc@rel32@hi+12
	v_mov_b64_e32 v[0:1], v[22:23]
	s_swappc_b64 s[30:31], s[0:1]
	s_load_dwordx2 s[2:3], s[8:9], 0x50
	v_mbcnt_lo_u32_b32 v0, -1, 0
	v_mbcnt_hi_u32_b32 v32, -1, v0
	v_mov_b64_e32 v[4:5], 0
	v_readfirstlane_b32 s0, v32
	s_nop 1
	v_cmp_eq_u32_e64 s[0:1], s0, v32
	s_and_saveexec_b64 s[4:5], s[0:1]
	s_cbranch_execz .LBB2_8
; %bb.3:
	v_mov_b32_e32 v0, 0
	s_waitcnt lgkmcnt(0)
	global_load_dwordx2 v[6:7], v0, s[2:3] offset:24 sc0 sc1
	s_waitcnt vmcnt(0)
	buffer_inv sc0 sc1
	global_load_dwordx2 v[2:3], v0, s[2:3] offset:40
	global_load_dwordx2 v[4:5], v0, s[2:3]
	s_waitcnt vmcnt(1)
	v_and_b32_e32 v1, v2, v6
	v_and_b32_e32 v2, v3, v7
	v_mul_lo_u32 v2, v2, 24
	v_mul_hi_u32 v3, v1, 24
	v_add_u32_e32 v3, v3, v2
	v_mul_lo_u32 v2, v1, 24
	s_waitcnt vmcnt(0)
	v_lshl_add_u64 v[2:3], v[4:5], 0, v[2:3]
	global_load_dwordx2 v[4:5], v[2:3], off sc0 sc1
	s_waitcnt vmcnt(0)
	global_atomic_cmpswap_x2 v[4:5], v0, v[4:7], s[2:3] offset:24 sc0 sc1
	s_waitcnt vmcnt(0)
	buffer_inv sc0 sc1
	v_cmp_ne_u64_e32 vcc, v[4:5], v[6:7]
	s_and_saveexec_b64 s[6:7], vcc
	s_cbranch_execz .LBB2_7
; %bb.4:
	s_mov_b64 s[8:9], 0
.LBB2_5:                                ; =>This Inner Loop Header: Depth=1
	s_sleep 1
	global_load_dwordx2 v[2:3], v0, s[2:3] offset:40
	global_load_dwordx2 v[8:9], v0, s[2:3]
	v_mov_b64_e32 v[6:7], v[4:5]
	s_waitcnt vmcnt(1)
	v_and_b32_e32 v2, v2, v6
	v_and_b32_e32 v1, v3, v7
	s_waitcnt vmcnt(0)
	v_mad_u64_u32 v[2:3], s[10:11], v2, 24, v[8:9]
	v_mov_b32_e32 v4, v3
	v_mad_u64_u32 v[4:5], s[10:11], v1, 24, v[4:5]
	v_mov_b32_e32 v3, v4
	global_load_dwordx2 v[4:5], v[2:3], off sc0 sc1
	s_waitcnt vmcnt(0)
	global_atomic_cmpswap_x2 v[4:5], v0, v[4:7], s[2:3] offset:24 sc0 sc1
	s_waitcnt vmcnt(0)
	buffer_inv sc0 sc1
	v_cmp_eq_u64_e32 vcc, v[4:5], v[6:7]
	s_or_b64 s[8:9], vcc, s[8:9]
	s_andn2_b64 exec, exec, s[8:9]
	s_cbranch_execnz .LBB2_5
; %bb.6:
	s_or_b64 exec, exec, s[8:9]
.LBB2_7:
	s_or_b64 exec, exec, s[6:7]
.LBB2_8:
	s_or_b64 exec, exec, s[4:5]
	v_mov_b32_e32 v25, 0
	s_waitcnt lgkmcnt(0)
	global_load_dwordx2 v[6:7], v25, s[2:3] offset:40
	global_load_dwordx4 v[0:3], v25, s[2:3]
	v_readfirstlane_b32 s5, v5
	v_readfirstlane_b32 s4, v4
	s_mov_b64 s[6:7], exec
	s_waitcnt vmcnt(1)
	v_readfirstlane_b32 s8, v6
	v_readfirstlane_b32 s9, v7
	s_and_b64 s[8:9], s[8:9], s[4:5]
	s_mul_i32 s10, s9, 24
	s_mul_hi_u32 s11, s8, 24
	s_add_i32 s11, s11, s10
	s_mul_i32 s10, s8, 24
	s_waitcnt vmcnt(0)
	v_lshl_add_u64 v[4:5], v[0:1], 0, s[10:11]
	s_and_saveexec_b64 s[10:11], s[0:1]
	s_cbranch_execz .LBB2_10
; %bb.9:
	v_mov_b64_e32 v[6:7], s[6:7]
	v_mov_b32_e32 v8, 2
	v_mov_b32_e32 v9, 1
	global_store_dwordx4 v[4:5], v[6:9], off offset:8
.LBB2_10:
	s_or_b64 exec, exec, s[10:11]
	s_lshl_b64 s[6:7], s[8:9], 12
	v_lshl_add_u64 v[6:7], v[2:3], 0, s[6:7]
	s_mov_b32 s8, 0
	v_lshlrev_b32_e32 v24, 6, v32
	v_mov_b32_e32 v8, 33
	v_mov_b32_e32 v9, v25
	;; [unrolled: 1-line block ×4, first 2 shown]
	v_readfirstlane_b32 s6, v6
	v_readfirstlane_b32 s7, v7
	s_mov_b32 s9, s8
	s_mov_b32 s10, s8
	;; [unrolled: 1-line block ×3, first 2 shown]
	s_nop 1
	global_store_dwordx4 v24, v[8:11], s[6:7]
	s_nop 1
	v_mov_b64_e32 v[8:9], s[8:9]
	v_mov_b64_e32 v[10:11], s[10:11]
	global_store_dwordx4 v24, v[8:11], s[6:7] offset:16
	global_store_dwordx4 v24, v[8:11], s[6:7] offset:32
	;; [unrolled: 1-line block ×3, first 2 shown]
	s_and_saveexec_b64 s[6:7], s[0:1]
	s_cbranch_execz .LBB2_18
; %bb.11:
	v_mov_b32_e32 v10, 0
	global_load_dwordx2 v[14:15], v10, s[2:3] offset:32 sc0 sc1
	global_load_dwordx2 v[2:3], v10, s[2:3] offset:40
	v_mov_b32_e32 v12, s4
	v_mov_b32_e32 v13, s5
	s_waitcnt vmcnt(0)
	v_and_b32_e32 v2, s4, v2
	v_and_b32_e32 v3, s5, v3
	v_mul_lo_u32 v3, v3, 24
	v_mul_hi_u32 v8, v2, 24
	v_mul_lo_u32 v2, v2, 24
	v_add_u32_e32 v3, v8, v3
	v_lshl_add_u64 v[8:9], v[0:1], 0, v[2:3]
	global_store_dwordx2 v[8:9], v[14:15], off
	buffer_wbl2 sc0 sc1
	s_waitcnt vmcnt(0)
	global_atomic_cmpswap_x2 v[2:3], v10, v[12:15], s[2:3] offset:32 sc0 sc1
	s_waitcnt vmcnt(0)
	v_cmp_ne_u64_e32 vcc, v[2:3], v[14:15]
	s_and_saveexec_b64 s[8:9], vcc
	s_cbranch_execz .LBB2_14
; %bb.12:
	s_mov_b64 s[10:11], 0
.LBB2_13:                               ; =>This Inner Loop Header: Depth=1
	s_sleep 1
	global_store_dwordx2 v[8:9], v[2:3], off
	v_mov_b32_e32 v0, s4
	v_mov_b32_e32 v1, s5
	buffer_wbl2 sc0 sc1
	s_waitcnt vmcnt(0)
	global_atomic_cmpswap_x2 v[0:1], v10, v[0:3], s[2:3] offset:32 sc0 sc1
	s_waitcnt vmcnt(0)
	v_cmp_eq_u64_e32 vcc, v[0:1], v[2:3]
	s_or_b64 s[10:11], vcc, s[10:11]
	v_mov_b64_e32 v[2:3], v[0:1]
	s_andn2_b64 exec, exec, s[10:11]
	s_cbranch_execnz .LBB2_13
.LBB2_14:
	s_or_b64 exec, exec, s[8:9]
	v_mov_b32_e32 v3, 0
	global_load_dwordx2 v[0:1], v3, s[2:3] offset:16
	s_mov_b64 s[8:9], exec
	v_mbcnt_lo_u32_b32 v2, s8, 0
	v_mbcnt_hi_u32_b32 v2, s9, v2
	v_cmp_eq_u32_e32 vcc, 0, v2
	s_and_saveexec_b64 s[10:11], vcc
	s_cbranch_execz .LBB2_16
; %bb.15:
	s_bcnt1_i32_b64 s8, s[8:9]
	v_mov_b32_e32 v2, s8
	buffer_wbl2 sc0 sc1
	s_waitcnt vmcnt(0)
	global_atomic_add_x2 v[0:1], v[2:3], off offset:8 sc1
.LBB2_16:
	s_or_b64 exec, exec, s[10:11]
	s_waitcnt vmcnt(0)
	global_load_dwordx2 v[2:3], v[0:1], off offset:16
	s_waitcnt vmcnt(0)
	v_cmp_eq_u64_e32 vcc, 0, v[2:3]
	s_cbranch_vccnz .LBB2_18
; %bb.17:
	global_load_dword v0, v[0:1], off offset:24
	v_mov_b32_e32 v1, 0
	s_waitcnt vmcnt(0)
	v_readfirstlane_b32 s8, v0
	s_and_b32 m0, s8, 0xffffff
	buffer_wbl2 sc0 sc1
	global_store_dwordx2 v[2:3], v[0:1], off sc0 sc1
	s_sendmsg sendmsg(MSG_INTERRUPT)
.LBB2_18:
	s_or_b64 exec, exec, s[6:7]
	v_lshl_add_u64 v[0:1], v[6:7], 0, v[24:25]
	s_branch .LBB2_22
.LBB2_19:                               ;   in Loop: Header=BB2_22 Depth=1
	s_or_b64 exec, exec, s[6:7]
	v_readfirstlane_b32 s6, v2
	s_cmp_eq_u32 s6, 0
	s_cbranch_scc1 .LBB2_21
; %bb.20:                               ;   in Loop: Header=BB2_22 Depth=1
	s_sleep 1
	s_cbranch_execnz .LBB2_22
	s_branch .LBB2_24
.LBB2_21:
	s_branch .LBB2_24
.LBB2_22:                               ; =>This Inner Loop Header: Depth=1
	v_mov_b32_e32 v2, 1
	s_and_saveexec_b64 s[6:7], s[0:1]
	s_cbranch_execz .LBB2_19
; %bb.23:                               ;   in Loop: Header=BB2_22 Depth=1
	global_load_dword v2, v[4:5], off offset:20 sc0 sc1
	s_waitcnt vmcnt(0)
	buffer_inv sc0 sc1
	v_and_b32_e32 v2, 1, v2
	s_branch .LBB2_19
.LBB2_24:
	global_load_dwordx2 v[4:5], v[0:1], off
	s_and_saveexec_b64 s[6:7], s[0:1]
	s_cbranch_execz .LBB2_27
; %bb.25:
	v_mov_b32_e32 v8, 0
	global_load_dwordx2 v[0:1], v8, s[2:3] offset:40
	global_load_dwordx2 v[12:13], v8, s[2:3] offset:24 sc0 sc1
	global_load_dwordx2 v[2:3], v8, s[2:3]
	s_waitcnt vmcnt(2)
	v_readfirstlane_b32 s8, v0
	v_readfirstlane_b32 s9, v1
	s_add_u32 s10, s8, 1
	s_addc_u32 s11, s9, 0
	s_add_u32 s0, s10, s4
	s_addc_u32 s1, s11, s5
	s_cmp_eq_u64 s[0:1], 0
	s_cselect_b32 s1, s11, s1
	s_cselect_b32 s0, s10, s0
	s_and_b64 s[4:5], s[0:1], s[8:9]
	s_mul_i32 s5, s5, 24
	s_mul_hi_u32 s8, s4, 24
	s_mul_i32 s4, s4, 24
	s_add_i32 s5, s8, s5
	s_waitcnt vmcnt(0)
	v_lshl_add_u64 v[6:7], v[2:3], 0, s[4:5]
	v_mov_b32_e32 v10, s0
	global_store_dwordx2 v[6:7], v[12:13], off
	v_mov_b32_e32 v11, s1
	buffer_wbl2 sc0 sc1
	s_waitcnt vmcnt(0)
	global_atomic_cmpswap_x2 v[2:3], v8, v[10:13], s[2:3] offset:24 sc0 sc1
	s_mov_b64 s[4:5], 0
	s_waitcnt vmcnt(0)
	v_cmp_ne_u64_e32 vcc, v[2:3], v[12:13]
	s_and_b64 exec, exec, vcc
	s_cbranch_execz .LBB2_27
.LBB2_26:                               ; =>This Inner Loop Header: Depth=1
	s_sleep 1
	global_store_dwordx2 v[6:7], v[2:3], off
	v_mov_b32_e32 v0, s0
	v_mov_b32_e32 v1, s1
	buffer_wbl2 sc0 sc1
	s_waitcnt vmcnt(0)
	global_atomic_cmpswap_x2 v[0:1], v8, v[0:3], s[2:3] offset:24 sc0 sc1
	s_waitcnt vmcnt(0)
	v_cmp_eq_u64_e32 vcc, v[0:1], v[2:3]
	s_or_b64 s[4:5], vcc, s[4:5]
	v_mov_b64_e32 v[2:3], v[0:1]
	s_andn2_b64 exec, exec, s[4:5]
	s_cbranch_execnz .LBB2_26
.LBB2_27:
	s_or_b64 exec, exec, s[6:7]
	s_getpc_b64 s[4:5]
	s_add_u32 s4, s4, .str.10@rel32@lo+4
	s_addc_u32 s5, s5, .str.10@rel32@hi+12
	s_cmp_lg_u64 s[4:5], 0
	s_cbranch_scc0 .LBB2_112
; %bb.28:
	s_waitcnt vmcnt(0)
	v_and_b32_e32 v26, 2, v4
	v_mov_b32_e32 v29, 0
	v_and_b32_e32 v0, -3, v4
	v_mov_b32_e32 v1, v5
	s_mov_b64 s[6:7], 4
	v_mov_b32_e32 v36, 2
	v_mov_b32_e32 v37, 1
	s_branch .LBB2_30
.LBB2_29:                               ;   in Loop: Header=BB2_30 Depth=1
	s_or_b64 exec, exec, s[12:13]
	s_sub_u32 s6, s6, s8
	s_subb_u32 s7, s7, s9
	s_add_u32 s4, s4, s8
	s_addc_u32 s5, s5, s9
	s_cmp_lg_u64 s[6:7], 0
	s_cbranch_scc0 .LBB2_113
.LBB2_30:                               ; =>This Loop Header: Depth=1
                                        ;     Child Loop BB2_33 Depth 2
                                        ;     Child Loop BB2_41 Depth 2
	;; [unrolled: 1-line block ×11, first 2 shown]
	v_cmp_lt_u64_e64 s[0:1], s[6:7], 56
	s_and_b64 s[0:1], s[0:1], exec
	s_cselect_b32 s9, s7, 0
	s_cselect_b32 s8, s6, 56
	v_cmp_gt_u64_e64 s[10:11], s[6:7], 7
	s_add_u32 s0, s4, 8
	s_addc_u32 s1, s5, 0
	s_and_b64 vcc, exec, s[10:11]
	s_cbranch_vccnz .LBB2_34
; %bb.31:                               ;   in Loop: Header=BB2_30 Depth=1
	s_cmp_eq_u64 s[6:7], 0
	s_cbranch_scc1 .LBB2_35
; %bb.32:                               ;   in Loop: Header=BB2_30 Depth=1
	s_lshl_b64 s[0:1], s[8:9], 3
	s_mov_b64 s[10:11], 0
	v_mov_b64_e32 v[2:3], 0
	s_mov_b64 s[12:13], s[4:5]
.LBB2_33:                               ;   Parent Loop BB2_30 Depth=1
                                        ; =>  This Inner Loop Header: Depth=2
	global_load_ubyte v6, v29, s[12:13]
	s_waitcnt vmcnt(0)
	v_and_b32_e32 v28, 0xffff, v6
	v_lshlrev_b64 v[6:7], s10, v[28:29]
	s_add_u32 s10, s10, 8
	s_addc_u32 s11, s11, 0
	s_add_u32 s12, s12, 1
	s_addc_u32 s13, s13, 0
	v_or_b32_e32 v2, v6, v2
	s_cmp_lg_u32 s0, s10
	v_or_b32_e32 v3, v7, v3
	s_cbranch_scc1 .LBB2_33
	s_branch .LBB2_36
.LBB2_34:                               ;   in Loop: Header=BB2_30 Depth=1
	s_mov_b32 s14, 0
	s_branch .LBB2_37
.LBB2_35:                               ;   in Loop: Header=BB2_30 Depth=1
	v_mov_b64_e32 v[2:3], 0
.LBB2_36:                               ;   in Loop: Header=BB2_30 Depth=1
	s_mov_b64 s[0:1], s[4:5]
	s_mov_b32 s14, 0
	s_cbranch_execnz .LBB2_38
.LBB2_37:                               ;   in Loop: Header=BB2_30 Depth=1
	global_load_dwordx2 v[2:3], v29, s[4:5]
	s_add_i32 s14, s8, -8
.LBB2_38:                               ;   in Loop: Header=BB2_30 Depth=1
	s_add_u32 s10, s0, 8
	s_addc_u32 s11, s1, 0
	s_cmp_gt_u32 s14, 7
	s_cbranch_scc1 .LBB2_42
; %bb.39:                               ;   in Loop: Header=BB2_30 Depth=1
	s_cmp_eq_u32 s14, 0
	s_cbranch_scc1 .LBB2_43
; %bb.40:                               ;   in Loop: Header=BB2_30 Depth=1
	s_mov_b64 s[10:11], 0
	v_mov_b64_e32 v[6:7], 0
	s_mov_b64 s[12:13], 0
.LBB2_41:                               ;   Parent Loop BB2_30 Depth=1
                                        ; =>  This Inner Loop Header: Depth=2
	s_add_u32 s16, s0, s12
	s_addc_u32 s17, s1, s13
	global_load_ubyte v8, v29, s[16:17]
	s_add_u32 s12, s12, 1
	s_addc_u32 s13, s13, 0
	s_waitcnt vmcnt(0)
	v_and_b32_e32 v28, 0xffff, v8
	v_lshlrev_b64 v[8:9], s10, v[28:29]
	s_add_u32 s10, s10, 8
	s_addc_u32 s11, s11, 0
	v_or_b32_e32 v6, v8, v6
	s_cmp_lg_u32 s14, s12
	v_or_b32_e32 v7, v9, v7
	s_cbranch_scc1 .LBB2_41
	s_branch .LBB2_44
.LBB2_42:                               ;   in Loop: Header=BB2_30 Depth=1
                                        ; implicit-def: $vgpr6_vgpr7
	s_mov_b32 s15, 0
	s_branch .LBB2_45
.LBB2_43:                               ;   in Loop: Header=BB2_30 Depth=1
	v_mov_b64_e32 v[6:7], 0
.LBB2_44:                               ;   in Loop: Header=BB2_30 Depth=1
	s_mov_b64 s[10:11], s[0:1]
	s_mov_b32 s15, 0
	s_cbranch_execnz .LBB2_46
.LBB2_45:                               ;   in Loop: Header=BB2_30 Depth=1
	global_load_dwordx2 v[6:7], v29, s[0:1]
	s_add_i32 s15, s14, -8
.LBB2_46:                               ;   in Loop: Header=BB2_30 Depth=1
	s_add_u32 s0, s10, 8
	s_addc_u32 s1, s11, 0
	s_cmp_gt_u32 s15, 7
	s_cbranch_scc1 .LBB2_50
; %bb.47:                               ;   in Loop: Header=BB2_30 Depth=1
	s_cmp_eq_u32 s15, 0
	s_cbranch_scc1 .LBB2_51
; %bb.48:                               ;   in Loop: Header=BB2_30 Depth=1
	s_mov_b64 s[0:1], 0
	v_mov_b64_e32 v[8:9], 0
	s_mov_b64 s[12:13], 0
.LBB2_49:                               ;   Parent Loop BB2_30 Depth=1
                                        ; =>  This Inner Loop Header: Depth=2
	s_add_u32 s16, s10, s12
	s_addc_u32 s17, s11, s13
	global_load_ubyte v10, v29, s[16:17]
	s_add_u32 s12, s12, 1
	s_addc_u32 s13, s13, 0
	s_waitcnt vmcnt(0)
	v_and_b32_e32 v28, 0xffff, v10
	v_lshlrev_b64 v[10:11], s0, v[28:29]
	s_add_u32 s0, s0, 8
	s_addc_u32 s1, s1, 0
	v_or_b32_e32 v8, v10, v8
	s_cmp_lg_u32 s15, s12
	v_or_b32_e32 v9, v11, v9
	s_cbranch_scc1 .LBB2_49
	s_branch .LBB2_52
.LBB2_50:                               ;   in Loop: Header=BB2_30 Depth=1
	s_mov_b32 s14, 0
	s_branch .LBB2_53
.LBB2_51:                               ;   in Loop: Header=BB2_30 Depth=1
	v_mov_b64_e32 v[8:9], 0
.LBB2_52:                               ;   in Loop: Header=BB2_30 Depth=1
	s_mov_b64 s[0:1], s[10:11]
	s_mov_b32 s14, 0
	s_cbranch_execnz .LBB2_54
.LBB2_53:                               ;   in Loop: Header=BB2_30 Depth=1
	global_load_dwordx2 v[8:9], v29, s[10:11]
	s_add_i32 s14, s15, -8
.LBB2_54:                               ;   in Loop: Header=BB2_30 Depth=1
	s_add_u32 s10, s0, 8
	s_addc_u32 s11, s1, 0
	s_cmp_gt_u32 s14, 7
	s_cbranch_scc1 .LBB2_58
; %bb.55:                               ;   in Loop: Header=BB2_30 Depth=1
	s_cmp_eq_u32 s14, 0
	s_cbranch_scc1 .LBB2_59
; %bb.56:                               ;   in Loop: Header=BB2_30 Depth=1
	s_mov_b64 s[10:11], 0
	v_mov_b64_e32 v[10:11], 0
	s_mov_b64 s[12:13], 0
.LBB2_57:                               ;   Parent Loop BB2_30 Depth=1
                                        ; =>  This Inner Loop Header: Depth=2
	s_add_u32 s16, s0, s12
	s_addc_u32 s17, s1, s13
	global_load_ubyte v12, v29, s[16:17]
	s_add_u32 s12, s12, 1
	s_addc_u32 s13, s13, 0
	s_waitcnt vmcnt(0)
	v_and_b32_e32 v28, 0xffff, v12
	v_lshlrev_b64 v[12:13], s10, v[28:29]
	s_add_u32 s10, s10, 8
	s_addc_u32 s11, s11, 0
	v_or_b32_e32 v10, v12, v10
	s_cmp_lg_u32 s14, s12
	v_or_b32_e32 v11, v13, v11
	s_cbranch_scc1 .LBB2_57
	s_branch .LBB2_60
.LBB2_58:                               ;   in Loop: Header=BB2_30 Depth=1
                                        ; implicit-def: $vgpr10_vgpr11
	s_mov_b32 s15, 0
	s_branch .LBB2_61
.LBB2_59:                               ;   in Loop: Header=BB2_30 Depth=1
	v_mov_b64_e32 v[10:11], 0
.LBB2_60:                               ;   in Loop: Header=BB2_30 Depth=1
	s_mov_b64 s[10:11], s[0:1]
	s_mov_b32 s15, 0
	s_cbranch_execnz .LBB2_62
.LBB2_61:                               ;   in Loop: Header=BB2_30 Depth=1
	global_load_dwordx2 v[10:11], v29, s[0:1]
	s_add_i32 s15, s14, -8
.LBB2_62:                               ;   in Loop: Header=BB2_30 Depth=1
	s_add_u32 s0, s10, 8
	s_addc_u32 s1, s11, 0
	s_cmp_gt_u32 s15, 7
	s_cbranch_scc1 .LBB2_66
; %bb.63:                               ;   in Loop: Header=BB2_30 Depth=1
	s_cmp_eq_u32 s15, 0
	s_cbranch_scc1 .LBB2_67
; %bb.64:                               ;   in Loop: Header=BB2_30 Depth=1
	s_mov_b64 s[0:1], 0
	v_mov_b64_e32 v[12:13], 0
	s_mov_b64 s[12:13], 0
.LBB2_65:                               ;   Parent Loop BB2_30 Depth=1
                                        ; =>  This Inner Loop Header: Depth=2
	s_add_u32 s16, s10, s12
	s_addc_u32 s17, s11, s13
	global_load_ubyte v14, v29, s[16:17]
	s_add_u32 s12, s12, 1
	s_addc_u32 s13, s13, 0
	s_waitcnt vmcnt(0)
	v_and_b32_e32 v28, 0xffff, v14
	v_lshlrev_b64 v[14:15], s0, v[28:29]
	s_add_u32 s0, s0, 8
	s_addc_u32 s1, s1, 0
	v_or_b32_e32 v12, v14, v12
	s_cmp_lg_u32 s15, s12
	v_or_b32_e32 v13, v15, v13
	s_cbranch_scc1 .LBB2_65
	s_branch .LBB2_68
.LBB2_66:                               ;   in Loop: Header=BB2_30 Depth=1
	s_mov_b32 s14, 0
	s_branch .LBB2_69
.LBB2_67:                               ;   in Loop: Header=BB2_30 Depth=1
	v_mov_b64_e32 v[12:13], 0
.LBB2_68:                               ;   in Loop: Header=BB2_30 Depth=1
	s_mov_b64 s[0:1], s[10:11]
	s_mov_b32 s14, 0
	s_cbranch_execnz .LBB2_70
.LBB2_69:                               ;   in Loop: Header=BB2_30 Depth=1
	global_load_dwordx2 v[12:13], v29, s[10:11]
	s_add_i32 s14, s15, -8
.LBB2_70:                               ;   in Loop: Header=BB2_30 Depth=1
	s_add_u32 s10, s0, 8
	s_addc_u32 s11, s1, 0
	s_cmp_gt_u32 s14, 7
	s_cbranch_scc1 .LBB2_74
; %bb.71:                               ;   in Loop: Header=BB2_30 Depth=1
	s_cmp_eq_u32 s14, 0
	s_cbranch_scc1 .LBB2_75
; %bb.72:                               ;   in Loop: Header=BB2_30 Depth=1
	s_mov_b64 s[10:11], 0
	v_mov_b64_e32 v[14:15], 0
	s_mov_b64 s[12:13], 0
.LBB2_73:                               ;   Parent Loop BB2_30 Depth=1
                                        ; =>  This Inner Loop Header: Depth=2
	s_add_u32 s16, s0, s12
	s_addc_u32 s17, s1, s13
	global_load_ubyte v16, v29, s[16:17]
	s_add_u32 s12, s12, 1
	s_addc_u32 s13, s13, 0
	s_waitcnt vmcnt(0)
	v_and_b32_e32 v28, 0xffff, v16
	v_lshlrev_b64 v[16:17], s10, v[28:29]
	s_add_u32 s10, s10, 8
	s_addc_u32 s11, s11, 0
	v_or_b32_e32 v14, v16, v14
	s_cmp_lg_u32 s14, s12
	v_or_b32_e32 v15, v17, v15
	s_cbranch_scc1 .LBB2_73
	s_branch .LBB2_76
.LBB2_74:                               ;   in Loop: Header=BB2_30 Depth=1
                                        ; implicit-def: $vgpr14_vgpr15
	s_mov_b32 s15, 0
	s_branch .LBB2_77
.LBB2_75:                               ;   in Loop: Header=BB2_30 Depth=1
	v_mov_b64_e32 v[14:15], 0
.LBB2_76:                               ;   in Loop: Header=BB2_30 Depth=1
	s_mov_b64 s[10:11], s[0:1]
	s_mov_b32 s15, 0
	s_cbranch_execnz .LBB2_78
.LBB2_77:                               ;   in Loop: Header=BB2_30 Depth=1
	global_load_dwordx2 v[14:15], v29, s[0:1]
	s_add_i32 s15, s14, -8
.LBB2_78:                               ;   in Loop: Header=BB2_30 Depth=1
	s_cmp_gt_u32 s15, 7
	s_cbranch_scc1 .LBB2_82
; %bb.79:                               ;   in Loop: Header=BB2_30 Depth=1
	s_cmp_eq_u32 s15, 0
	s_cbranch_scc1 .LBB2_83
; %bb.80:                               ;   in Loop: Header=BB2_30 Depth=1
	s_mov_b64 s[0:1], 0
	v_mov_b64_e32 v[16:17], 0
	s_mov_b64 s[12:13], s[10:11]
.LBB2_81:                               ;   Parent Loop BB2_30 Depth=1
                                        ; =>  This Inner Loop Header: Depth=2
	global_load_ubyte v18, v29, s[12:13]
	s_add_i32 s15, s15, -1
	s_waitcnt vmcnt(0)
	v_and_b32_e32 v28, 0xffff, v18
	v_lshlrev_b64 v[18:19], s0, v[28:29]
	s_add_u32 s0, s0, 8
	s_addc_u32 s1, s1, 0
	s_add_u32 s12, s12, 1
	s_addc_u32 s13, s13, 0
	v_or_b32_e32 v16, v18, v16
	s_cmp_lg_u32 s15, 0
	v_or_b32_e32 v17, v19, v17
	s_cbranch_scc1 .LBB2_81
	s_branch .LBB2_84
.LBB2_82:                               ;   in Loop: Header=BB2_30 Depth=1
	s_branch .LBB2_85
.LBB2_83:                               ;   in Loop: Header=BB2_30 Depth=1
	v_mov_b64_e32 v[16:17], 0
.LBB2_84:                               ;   in Loop: Header=BB2_30 Depth=1
	s_cbranch_execnz .LBB2_86
.LBB2_85:                               ;   in Loop: Header=BB2_30 Depth=1
	global_load_dwordx2 v[16:17], v29, s[10:11]
.LBB2_86:                               ;   in Loop: Header=BB2_30 Depth=1
	v_readfirstlane_b32 s0, v32
	v_mov_b64_e32 v[30:31], 0
	s_nop 0
	v_cmp_eq_u32_e64 s[0:1], s0, v32
	s_and_saveexec_b64 s[10:11], s[0:1]
	s_cbranch_execz .LBB2_92
; %bb.87:                               ;   in Loop: Header=BB2_30 Depth=1
	global_load_dwordx2 v[20:21], v29, s[2:3] offset:24 sc0 sc1
	s_waitcnt vmcnt(0)
	buffer_inv sc0 sc1
	global_load_dwordx2 v[18:19], v29, s[2:3] offset:40
	global_load_dwordx2 v[30:31], v29, s[2:3]
	s_waitcnt vmcnt(1)
	v_and_b32_e32 v18, v18, v20
	v_and_b32_e32 v19, v19, v21
	v_mul_lo_u32 v19, v19, 24
	v_mul_hi_u32 v25, v18, 24
	v_add_u32_e32 v19, v25, v19
	v_mul_lo_u32 v18, v18, 24
	s_waitcnt vmcnt(0)
	v_lshl_add_u64 v[18:19], v[30:31], 0, v[18:19]
	global_load_dwordx2 v[18:19], v[18:19], off sc0 sc1
	s_waitcnt vmcnt(0)
	global_atomic_cmpswap_x2 v[30:31], v29, v[18:21], s[2:3] offset:24 sc0 sc1
	s_waitcnt vmcnt(0)
	buffer_inv sc0 sc1
	v_cmp_ne_u64_e32 vcc, v[30:31], v[20:21]
	s_and_saveexec_b64 s[12:13], vcc
	s_cbranch_execz .LBB2_91
; %bb.88:                               ;   in Loop: Header=BB2_30 Depth=1
	s_mov_b64 s[14:15], 0
.LBB2_89:                               ;   Parent Loop BB2_30 Depth=1
                                        ; =>  This Inner Loop Header: Depth=2
	s_sleep 1
	global_load_dwordx2 v[18:19], v29, s[2:3] offset:40
	global_load_dwordx2 v[34:35], v29, s[2:3]
	v_mov_b64_e32 v[20:21], v[30:31]
	s_waitcnt vmcnt(1)
	v_and_b32_e32 v18, v18, v20
	v_and_b32_e32 v25, v19, v21
	s_waitcnt vmcnt(0)
	v_mad_u64_u32 v[18:19], s[16:17], v18, 24, v[34:35]
	v_mov_b32_e32 v28, v19
	v_mad_u64_u32 v[30:31], s[16:17], v25, 24, v[28:29]
	v_mov_b32_e32 v19, v30
	global_load_dwordx2 v[18:19], v[18:19], off sc0 sc1
	s_waitcnt vmcnt(0)
	global_atomic_cmpswap_x2 v[30:31], v29, v[18:21], s[2:3] offset:24 sc0 sc1
	s_waitcnt vmcnt(0)
	buffer_inv sc0 sc1
	v_cmp_eq_u64_e32 vcc, v[30:31], v[20:21]
	s_or_b64 s[14:15], vcc, s[14:15]
	s_andn2_b64 exec, exec, s[14:15]
	s_cbranch_execnz .LBB2_89
; %bb.90:                               ;   in Loop: Header=BB2_30 Depth=1
	s_or_b64 exec, exec, s[14:15]
.LBB2_91:                               ;   in Loop: Header=BB2_30 Depth=1
	s_or_b64 exec, exec, s[12:13]
.LBB2_92:                               ;   in Loop: Header=BB2_30 Depth=1
	s_or_b64 exec, exec, s[10:11]
	global_load_dwordx2 v[34:35], v29, s[2:3] offset:40
	global_load_dwordx4 v[18:21], v29, s[2:3]
	v_readfirstlane_b32 s11, v31
	v_readfirstlane_b32 s10, v30
	s_mov_b64 s[12:13], exec
	s_waitcnt vmcnt(1)
	v_readfirstlane_b32 s14, v34
	v_readfirstlane_b32 s15, v35
	s_and_b64 s[14:15], s[14:15], s[10:11]
	s_mul_i32 s16, s15, 24
	s_mul_hi_u32 s17, s14, 24
	s_add_i32 s17, s17, s16
	s_mul_i32 s16, s14, 24
	s_waitcnt vmcnt(0)
	v_lshl_add_u64 v[30:31], v[18:19], 0, s[16:17]
	s_and_saveexec_b64 s[16:17], s[0:1]
	s_cbranch_execz .LBB2_94
; %bb.93:                               ;   in Loop: Header=BB2_30 Depth=1
	v_mov_b64_e32 v[34:35], s[12:13]
	global_store_dwordx4 v[30:31], v[34:37], off offset:8
.LBB2_94:                               ;   in Loop: Header=BB2_30 Depth=1
	s_or_b64 exec, exec, s[16:17]
	s_lshl_b64 s[12:13], s[14:15], 12
	v_lshl_add_u64 v[20:21], v[20:21], 0, s[12:13]
	v_cmp_lt_u64_e64 vcc, s[6:7], 57
	s_lshl_b32 s12, s8, 2
	s_add_i32 s12, s12, 28
	v_cndmask_b32_e32 v25, 0, v26, vcc
	v_and_b32_e32 v0, 0xffffff1f, v0
	s_and_b32 s12, s12, 0x1e0
	v_or_b32_e32 v0, v0, v25
	v_or_b32_e32 v0, s12, v0
	v_readfirstlane_b32 s12, v20
	v_readfirstlane_b32 s13, v21
	s_nop 4
	global_store_dwordx4 v24, v[0:3], s[12:13]
	global_store_dwordx4 v24, v[6:9], s[12:13] offset:16
	global_store_dwordx4 v24, v[10:13], s[12:13] offset:32
	;; [unrolled: 1-line block ×3, first 2 shown]
	s_and_saveexec_b64 s[12:13], s[0:1]
	s_cbranch_execz .LBB2_102
; %bb.95:                               ;   in Loop: Header=BB2_30 Depth=1
	global_load_dwordx2 v[10:11], v29, s[2:3] offset:32 sc0 sc1
	global_load_dwordx2 v[0:1], v29, s[2:3] offset:40
	v_mov_b32_e32 v8, s10
	v_mov_b32_e32 v9, s11
	s_waitcnt vmcnt(0)
	v_readfirstlane_b32 s14, v0
	v_readfirstlane_b32 s15, v1
	s_and_b64 s[14:15], s[14:15], s[10:11]
	s_mul_i32 s15, s15, 24
	s_mul_hi_u32 s16, s14, 24
	s_mul_i32 s14, s14, 24
	s_add_i32 s15, s16, s15
	v_lshl_add_u64 v[6:7], v[18:19], 0, s[14:15]
	global_store_dwordx2 v[6:7], v[10:11], off
	buffer_wbl2 sc0 sc1
	s_waitcnt vmcnt(0)
	global_atomic_cmpswap_x2 v[2:3], v29, v[8:11], s[2:3] offset:32 sc0 sc1
	s_waitcnt vmcnt(0)
	v_cmp_ne_u64_e32 vcc, v[2:3], v[10:11]
	s_and_saveexec_b64 s[14:15], vcc
	s_cbranch_execz .LBB2_98
; %bb.96:                               ;   in Loop: Header=BB2_30 Depth=1
	s_mov_b64 s[16:17], 0
.LBB2_97:                               ;   Parent Loop BB2_30 Depth=1
                                        ; =>  This Inner Loop Header: Depth=2
	s_sleep 1
	global_store_dwordx2 v[6:7], v[2:3], off
	v_mov_b32_e32 v0, s10
	v_mov_b32_e32 v1, s11
	buffer_wbl2 sc0 sc1
	s_waitcnt vmcnt(0)
	global_atomic_cmpswap_x2 v[0:1], v29, v[0:3], s[2:3] offset:32 sc0 sc1
	s_waitcnt vmcnt(0)
	v_cmp_eq_u64_e32 vcc, v[0:1], v[2:3]
	s_or_b64 s[16:17], vcc, s[16:17]
	v_mov_b64_e32 v[2:3], v[0:1]
	s_andn2_b64 exec, exec, s[16:17]
	s_cbranch_execnz .LBB2_97
.LBB2_98:                               ;   in Loop: Header=BB2_30 Depth=1
	s_or_b64 exec, exec, s[14:15]
	global_load_dwordx2 v[0:1], v29, s[2:3] offset:16
	s_mov_b64 s[16:17], exec
	v_mbcnt_lo_u32_b32 v2, s16, 0
	v_mbcnt_hi_u32_b32 v2, s17, v2
	v_cmp_eq_u32_e32 vcc, 0, v2
	s_and_saveexec_b64 s[14:15], vcc
	s_cbranch_execz .LBB2_100
; %bb.99:                               ;   in Loop: Header=BB2_30 Depth=1
	s_bcnt1_i32_b64 s16, s[16:17]
	v_mov_b32_e32 v28, s16
	buffer_wbl2 sc0 sc1
	s_waitcnt vmcnt(0)
	global_atomic_add_x2 v[0:1], v[28:29], off offset:8 sc1
.LBB2_100:                              ;   in Loop: Header=BB2_30 Depth=1
	s_or_b64 exec, exec, s[14:15]
	s_waitcnt vmcnt(0)
	global_load_dwordx2 v[2:3], v[0:1], off offset:16
	s_waitcnt vmcnt(0)
	v_cmp_eq_u64_e32 vcc, 0, v[2:3]
	s_cbranch_vccnz .LBB2_102
; %bb.101:                              ;   in Loop: Header=BB2_30 Depth=1
	global_load_dword v28, v[0:1], off offset:24
	s_waitcnt vmcnt(0)
	v_readfirstlane_b32 s14, v28
	s_and_b32 m0, s14, 0xffffff
	buffer_wbl2 sc0 sc1
	global_store_dwordx2 v[2:3], v[28:29], off sc0 sc1
	s_sendmsg sendmsg(MSG_INTERRUPT)
.LBB2_102:                              ;   in Loop: Header=BB2_30 Depth=1
	s_or_b64 exec, exec, s[12:13]
	v_mov_b32_e32 v25, v29
	v_lshl_add_u64 v[0:1], v[20:21], 0, v[24:25]
	s_branch .LBB2_106
.LBB2_103:                              ;   in Loop: Header=BB2_106 Depth=2
	s_or_b64 exec, exec, s[12:13]
	v_readfirstlane_b32 s12, v2
	s_cmp_eq_u32 s12, 0
	s_cbranch_scc1 .LBB2_105
; %bb.104:                              ;   in Loop: Header=BB2_106 Depth=2
	s_sleep 1
	s_cbranch_execnz .LBB2_106
	s_branch .LBB2_108
.LBB2_105:                              ;   in Loop: Header=BB2_30 Depth=1
	s_branch .LBB2_108
.LBB2_106:                              ;   Parent Loop BB2_30 Depth=1
                                        ; =>  This Inner Loop Header: Depth=2
	v_mov_b32_e32 v2, 1
	s_and_saveexec_b64 s[12:13], s[0:1]
	s_cbranch_execz .LBB2_103
; %bb.107:                              ;   in Loop: Header=BB2_106 Depth=2
	global_load_dword v2, v[30:31], off offset:20 sc0 sc1
	s_waitcnt vmcnt(0)
	buffer_inv sc0 sc1
	v_and_b32_e32 v2, 1, v2
	s_branch .LBB2_103
.LBB2_108:                              ;   in Loop: Header=BB2_30 Depth=1
	global_load_dwordx2 v[0:1], v[0:1], off
	s_and_saveexec_b64 s[12:13], s[0:1]
	s_cbranch_execz .LBB2_29
; %bb.109:                              ;   in Loop: Header=BB2_30 Depth=1
	global_load_dwordx2 v[2:3], v29, s[2:3] offset:40
	global_load_dwordx2 v[10:11], v29, s[2:3] offset:24 sc0 sc1
	global_load_dwordx2 v[6:7], v29, s[2:3]
	s_waitcnt vmcnt(2)
	v_readfirstlane_b32 s14, v2
	v_readfirstlane_b32 s15, v3
	s_add_u32 s16, s14, 1
	s_addc_u32 s17, s15, 0
	s_add_u32 s0, s16, s10
	s_addc_u32 s1, s17, s11
	s_cmp_eq_u64 s[0:1], 0
	s_cselect_b32 s1, s17, s1
	s_cselect_b32 s0, s16, s0
	s_and_b64 s[10:11], s[0:1], s[14:15]
	s_mul_i32 s11, s11, 24
	s_mul_hi_u32 s14, s10, 24
	s_mul_i32 s10, s10, 24
	s_add_i32 s11, s14, s11
	s_waitcnt vmcnt(0)
	v_lshl_add_u64 v[2:3], v[6:7], 0, s[10:11]
	v_mov_b32_e32 v8, s0
	global_store_dwordx2 v[2:3], v[10:11], off
	v_mov_b32_e32 v9, s1
	buffer_wbl2 sc0 sc1
	s_waitcnt vmcnt(0)
	global_atomic_cmpswap_x2 v[8:9], v29, v[8:11], s[2:3] offset:24 sc0 sc1
	s_waitcnt vmcnt(0)
	v_cmp_ne_u64_e32 vcc, v[8:9], v[10:11]
	s_and_b64 exec, exec, vcc
	s_cbranch_execz .LBB2_29
; %bb.110:                              ;   in Loop: Header=BB2_30 Depth=1
	s_mov_b64 s[10:11], 0
.LBB2_111:                              ;   Parent Loop BB2_30 Depth=1
                                        ; =>  This Inner Loop Header: Depth=2
	s_sleep 1
	global_store_dwordx2 v[2:3], v[8:9], off
	v_mov_b32_e32 v6, s0
	v_mov_b32_e32 v7, s1
	buffer_wbl2 sc0 sc1
	s_waitcnt vmcnt(0)
	global_atomic_cmpswap_x2 v[6:7], v29, v[6:9], s[2:3] offset:24 sc0 sc1
	s_waitcnt vmcnt(0)
	v_cmp_eq_u64_e32 vcc, v[6:7], v[8:9]
	s_or_b64 s[10:11], vcc, s[10:11]
	v_mov_b64_e32 v[8:9], v[6:7]
	s_andn2_b64 exec, exec, s[10:11]
	s_cbranch_execnz .LBB2_111
	s_branch .LBB2_29
.LBB2_112:
	s_mov_b64 s[0:1], -1
                                        ; implicit-def: $vgpr0_vgpr1
	s_branch .LBB2_114
.LBB2_113:
	s_mov_b64 s[0:1], 0
.LBB2_114:
	s_and_b64 vcc, exec, s[0:1]
	s_cbranch_vccz .LBB2_141
; %bb.115:
	v_readfirstlane_b32 s0, v32
	v_mov_b64_e32 v[6:7], 0
	s_nop 0
	v_cmp_eq_u32_e64 s[0:1], s0, v32
	s_and_saveexec_b64 s[4:5], s[0:1]
	s_cbranch_execz .LBB2_121
; %bb.116:
	s_waitcnt vmcnt(0)
	v_mov_b32_e32 v0, 0
	global_load_dwordx2 v[8:9], v0, s[2:3] offset:24 sc0 sc1
	s_waitcnt vmcnt(0)
	buffer_inv sc0 sc1
	global_load_dwordx2 v[2:3], v0, s[2:3] offset:40
	global_load_dwordx2 v[6:7], v0, s[2:3]
	s_waitcnt vmcnt(1)
	v_and_b32_e32 v1, v2, v8
	v_and_b32_e32 v2, v3, v9
	v_mul_lo_u32 v2, v2, 24
	v_mul_hi_u32 v3, v1, 24
	v_add_u32_e32 v3, v3, v2
	v_mul_lo_u32 v2, v1, 24
	s_waitcnt vmcnt(0)
	v_lshl_add_u64 v[2:3], v[6:7], 0, v[2:3]
	global_load_dwordx2 v[6:7], v[2:3], off sc0 sc1
	s_waitcnt vmcnt(0)
	global_atomic_cmpswap_x2 v[6:7], v0, v[6:9], s[2:3] offset:24 sc0 sc1
	s_waitcnt vmcnt(0)
	buffer_inv sc0 sc1
	v_cmp_ne_u64_e32 vcc, v[6:7], v[8:9]
	s_and_saveexec_b64 s[6:7], vcc
	s_cbranch_execz .LBB2_120
; %bb.117:
	s_mov_b64 s[8:9], 0
.LBB2_118:                              ; =>This Inner Loop Header: Depth=1
	s_sleep 1
	global_load_dwordx2 v[2:3], v0, s[2:3] offset:40
	global_load_dwordx2 v[10:11], v0, s[2:3]
	v_mov_b64_e32 v[8:9], v[6:7]
	s_waitcnt vmcnt(1)
	v_and_b32_e32 v2, v2, v8
	v_and_b32_e32 v1, v3, v9
	s_waitcnt vmcnt(0)
	v_mad_u64_u32 v[2:3], s[10:11], v2, 24, v[10:11]
	v_mov_b32_e32 v6, v3
	v_mad_u64_u32 v[6:7], s[10:11], v1, 24, v[6:7]
	v_mov_b32_e32 v3, v6
	global_load_dwordx2 v[6:7], v[2:3], off sc0 sc1
	s_waitcnt vmcnt(0)
	global_atomic_cmpswap_x2 v[6:7], v0, v[6:9], s[2:3] offset:24 sc0 sc1
	s_waitcnt vmcnt(0)
	buffer_inv sc0 sc1
	v_cmp_eq_u64_e32 vcc, v[6:7], v[8:9]
	s_or_b64 s[8:9], vcc, s[8:9]
	s_andn2_b64 exec, exec, s[8:9]
	s_cbranch_execnz .LBB2_118
; %bb.119:
	s_or_b64 exec, exec, s[8:9]
.LBB2_120:
	s_or_b64 exec, exec, s[6:7]
.LBB2_121:
	s_or_b64 exec, exec, s[4:5]
	v_mov_b32_e32 v25, 0
	global_load_dwordx2 v[8:9], v25, s[2:3] offset:40
	global_load_dwordx4 v[0:3], v25, s[2:3]
	v_readfirstlane_b32 s5, v7
	v_readfirstlane_b32 s4, v6
	s_mov_b64 s[6:7], exec
	s_waitcnt vmcnt(1)
	v_readfirstlane_b32 s8, v8
	v_readfirstlane_b32 s9, v9
	s_and_b64 s[8:9], s[8:9], s[4:5]
	s_mul_i32 s10, s9, 24
	s_mul_hi_u32 s11, s8, 24
	s_add_i32 s11, s11, s10
	s_mul_i32 s10, s8, 24
	s_waitcnt vmcnt(0)
	v_lshl_add_u64 v[8:9], v[0:1], 0, s[10:11]
	s_and_saveexec_b64 s[10:11], s[0:1]
	s_cbranch_execz .LBB2_123
; %bb.122:
	v_mov_b64_e32 v[10:11], s[6:7]
	v_mov_b32_e32 v12, 2
	v_mov_b32_e32 v13, 1
	global_store_dwordx4 v[8:9], v[10:13], off offset:8
.LBB2_123:
	s_or_b64 exec, exec, s[10:11]
	s_lshl_b64 s[6:7], s[8:9], 12
	v_lshl_add_u64 v[10:11], v[2:3], 0, s[6:7]
	s_movk_i32 s6, 0xff1f
	s_mov_b32 s8, 0
	v_and_or_b32 v4, v4, s6, 32
	v_mov_b32_e32 v6, v25
	v_mov_b32_e32 v7, v25
	v_readfirstlane_b32 s6, v10
	v_readfirstlane_b32 s7, v11
	s_mov_b32 s9, s8
	s_mov_b32 s10, s8
	;; [unrolled: 1-line block ×3, first 2 shown]
	s_nop 1
	global_store_dwordx4 v24, v[4:7], s[6:7]
	v_mov_b64_e32 v[2:3], s[8:9]
	s_nop 0
	v_mov_b64_e32 v[4:5], s[10:11]
	global_store_dwordx4 v24, v[2:5], s[6:7] offset:16
	global_store_dwordx4 v24, v[2:5], s[6:7] offset:32
	;; [unrolled: 1-line block ×3, first 2 shown]
	s_and_saveexec_b64 s[6:7], s[0:1]
	s_cbranch_execz .LBB2_131
; %bb.124:
	v_mov_b32_e32 v6, 0
	global_load_dwordx2 v[14:15], v6, s[2:3] offset:32 sc0 sc1
	global_load_dwordx2 v[2:3], v6, s[2:3] offset:40
	v_mov_b32_e32 v12, s4
	v_mov_b32_e32 v13, s5
	s_waitcnt vmcnt(0)
	v_readfirstlane_b32 s8, v2
	v_readfirstlane_b32 s9, v3
	s_and_b64 s[8:9], s[8:9], s[4:5]
	s_mul_i32 s9, s9, 24
	s_mul_hi_u32 s10, s8, 24
	s_mul_i32 s8, s8, 24
	s_add_i32 s9, s10, s9
	v_lshl_add_u64 v[4:5], v[0:1], 0, s[8:9]
	global_store_dwordx2 v[4:5], v[14:15], off
	buffer_wbl2 sc0 sc1
	s_waitcnt vmcnt(0)
	global_atomic_cmpswap_x2 v[2:3], v6, v[12:15], s[2:3] offset:32 sc0 sc1
	s_waitcnt vmcnt(0)
	v_cmp_ne_u64_e32 vcc, v[2:3], v[14:15]
	s_and_saveexec_b64 s[8:9], vcc
	s_cbranch_execz .LBB2_127
; %bb.125:
	s_mov_b64 s[10:11], 0
.LBB2_126:                              ; =>This Inner Loop Header: Depth=1
	s_sleep 1
	global_store_dwordx2 v[4:5], v[2:3], off
	v_mov_b32_e32 v0, s4
	v_mov_b32_e32 v1, s5
	buffer_wbl2 sc0 sc1
	s_waitcnt vmcnt(0)
	global_atomic_cmpswap_x2 v[0:1], v6, v[0:3], s[2:3] offset:32 sc0 sc1
	s_waitcnt vmcnt(0)
	v_cmp_eq_u64_e32 vcc, v[0:1], v[2:3]
	s_or_b64 s[10:11], vcc, s[10:11]
	v_mov_b64_e32 v[2:3], v[0:1]
	s_andn2_b64 exec, exec, s[10:11]
	s_cbranch_execnz .LBB2_126
.LBB2_127:
	s_or_b64 exec, exec, s[8:9]
	v_mov_b32_e32 v3, 0
	global_load_dwordx2 v[0:1], v3, s[2:3] offset:16
	s_mov_b64 s[8:9], exec
	v_mbcnt_lo_u32_b32 v2, s8, 0
	v_mbcnt_hi_u32_b32 v2, s9, v2
	v_cmp_eq_u32_e32 vcc, 0, v2
	s_and_saveexec_b64 s[10:11], vcc
	s_cbranch_execz .LBB2_129
; %bb.128:
	s_bcnt1_i32_b64 s8, s[8:9]
	v_mov_b32_e32 v2, s8
	buffer_wbl2 sc0 sc1
	s_waitcnt vmcnt(0)
	global_atomic_add_x2 v[0:1], v[2:3], off offset:8 sc1
.LBB2_129:
	s_or_b64 exec, exec, s[10:11]
	s_waitcnt vmcnt(0)
	global_load_dwordx2 v[2:3], v[0:1], off offset:16
	s_waitcnt vmcnt(0)
	v_cmp_eq_u64_e32 vcc, 0, v[2:3]
	s_cbranch_vccnz .LBB2_131
; %bb.130:
	global_load_dword v0, v[0:1], off offset:24
	v_mov_b32_e32 v1, 0
	s_waitcnt vmcnt(0)
	v_readfirstlane_b32 s8, v0
	s_and_b32 m0, s8, 0xffffff
	buffer_wbl2 sc0 sc1
	global_store_dwordx2 v[2:3], v[0:1], off sc0 sc1
	s_sendmsg sendmsg(MSG_INTERRUPT)
.LBB2_131:
	s_or_b64 exec, exec, s[6:7]
	v_lshl_add_u64 v[0:1], v[10:11], 0, v[24:25]
	s_branch .LBB2_135
.LBB2_132:                              ;   in Loop: Header=BB2_135 Depth=1
	s_or_b64 exec, exec, s[6:7]
	v_readfirstlane_b32 s6, v2
	s_cmp_eq_u32 s6, 0
	s_cbranch_scc1 .LBB2_134
; %bb.133:                              ;   in Loop: Header=BB2_135 Depth=1
	s_sleep 1
	s_cbranch_execnz .LBB2_135
	s_branch .LBB2_137
.LBB2_134:
	s_branch .LBB2_137
.LBB2_135:                              ; =>This Inner Loop Header: Depth=1
	v_mov_b32_e32 v2, 1
	s_and_saveexec_b64 s[6:7], s[0:1]
	s_cbranch_execz .LBB2_132
; %bb.136:                              ;   in Loop: Header=BB2_135 Depth=1
	global_load_dword v2, v[8:9], off offset:20 sc0 sc1
	s_waitcnt vmcnt(0)
	buffer_inv sc0 sc1
	v_and_b32_e32 v2, 1, v2
	s_branch .LBB2_132
.LBB2_137:
	global_load_dwordx2 v[0:1], v[0:1], off
	s_and_saveexec_b64 s[6:7], s[0:1]
	s_cbranch_execz .LBB2_140
; %bb.138:
	v_mov_b32_e32 v8, 0
	global_load_dwordx2 v[2:3], v8, s[2:3] offset:40
	global_load_dwordx2 v[12:13], v8, s[2:3] offset:24 sc0 sc1
	global_load_dwordx2 v[4:5], v8, s[2:3]
	s_waitcnt vmcnt(2)
	v_readfirstlane_b32 s8, v2
	v_readfirstlane_b32 s9, v3
	s_add_u32 s10, s8, 1
	s_addc_u32 s11, s9, 0
	s_add_u32 s0, s10, s4
	s_addc_u32 s1, s11, s5
	s_cmp_eq_u64 s[0:1], 0
	s_cselect_b32 s1, s11, s1
	s_cselect_b32 s0, s10, s0
	s_and_b64 s[4:5], s[0:1], s[8:9]
	s_mul_i32 s5, s5, 24
	s_mul_hi_u32 s8, s4, 24
	s_mul_i32 s4, s4, 24
	s_add_i32 s5, s8, s5
	s_waitcnt vmcnt(0)
	v_lshl_add_u64 v[6:7], v[4:5], 0, s[4:5]
	v_mov_b32_e32 v10, s0
	global_store_dwordx2 v[6:7], v[12:13], off
	v_mov_b32_e32 v11, s1
	buffer_wbl2 sc0 sc1
	s_waitcnt vmcnt(0)
	global_atomic_cmpswap_x2 v[4:5], v8, v[10:13], s[2:3] offset:24 sc0 sc1
	s_mov_b64 s[4:5], 0
	s_waitcnt vmcnt(0)
	v_cmp_ne_u64_e32 vcc, v[4:5], v[12:13]
	s_and_b64 exec, exec, vcc
	s_cbranch_execz .LBB2_140
.LBB2_139:                              ; =>This Inner Loop Header: Depth=1
	s_sleep 1
	global_store_dwordx2 v[6:7], v[4:5], off
	v_mov_b32_e32 v2, s0
	v_mov_b32_e32 v3, s1
	buffer_wbl2 sc0 sc1
	s_waitcnt vmcnt(0)
	global_atomic_cmpswap_x2 v[2:3], v8, v[2:5], s[2:3] offset:24 sc0 sc1
	s_waitcnt vmcnt(0)
	v_cmp_eq_u64_e32 vcc, v[2:3], v[4:5]
	s_or_b64 s[4:5], vcc, s[4:5]
	v_mov_b64_e32 v[4:5], v[2:3]
	s_andn2_b64 exec, exec, s[4:5]
	s_cbranch_execnz .LBB2_139
.LBB2_140:
	s_or_b64 exec, exec, s[6:7]
.LBB2_141:
	s_getpc_b64 s[4:5]
	s_add_u32 s4, s4, .str.9@rel32@lo+4
	s_addc_u32 s5, s5, .str.9@rel32@hi+12
	s_cmp_lg_u64 s[4:5], 0
	s_mov_b64 s[0:1], -1
	s_cbranch_scc0 .LBB2_227
; %bb.142:
	s_waitcnt vmcnt(0)
	v_and_b32_e32 v2, -3, v0
	v_mov_b32_e32 v3, v1
	s_mov_b64 s[6:7], 56
	v_mov_b32_e32 v27, 0
	v_mov_b32_e32 v36, 2
	v_mov_b32_e32 v37, 1
	s_branch .LBB2_144
.LBB2_143:                              ;   in Loop: Header=BB2_144 Depth=1
	s_or_b64 exec, exec, s[12:13]
	s_sub_u32 s6, s6, s8
	s_subb_u32 s7, s7, s9
	s_add_u32 s4, s4, s8
	s_addc_u32 s5, s5, s9
	s_cmp_lg_u64 s[6:7], 0
	s_cbranch_scc0 .LBB2_226
.LBB2_144:                              ; =>This Loop Header: Depth=1
                                        ;     Child Loop BB2_147 Depth 2
                                        ;     Child Loop BB2_155 Depth 2
	;; [unrolled: 1-line block ×11, first 2 shown]
	v_cmp_lt_u64_e64 s[0:1], s[6:7], 56
	s_and_b64 s[0:1], s[0:1], exec
	s_cselect_b32 s9, s7, 0
	s_cselect_b32 s8, s6, 56
	v_cmp_gt_u64_e64 s[10:11], s[6:7], 7
	s_add_u32 s0, s4, 8
	s_addc_u32 s1, s5, 0
	s_and_b64 vcc, exec, s[10:11]
	s_cbranch_vccnz .LBB2_148
; %bb.145:                              ;   in Loop: Header=BB2_144 Depth=1
	s_cmp_eq_u64 s[6:7], 0
	s_cbranch_scc1 .LBB2_149
; %bb.146:                              ;   in Loop: Header=BB2_144 Depth=1
	s_lshl_b64 s[0:1], s[8:9], 3
	s_mov_b64 s[10:11], 0
	s_waitcnt vmcnt(0)
	v_mov_b64_e32 v[4:5], 0
	s_mov_b64 s[12:13], s[4:5]
.LBB2_147:                              ;   Parent Loop BB2_144 Depth=1
                                        ; =>  This Inner Loop Header: Depth=2
	global_load_ubyte v6, v27, s[12:13]
	s_waitcnt vmcnt(0)
	v_and_b32_e32 v26, 0xffff, v6
	v_lshlrev_b64 v[6:7], s10, v[26:27]
	s_add_u32 s10, s10, 8
	s_addc_u32 s11, s11, 0
	s_add_u32 s12, s12, 1
	s_addc_u32 s13, s13, 0
	v_or_b32_e32 v4, v6, v4
	s_cmp_lg_u32 s0, s10
	v_or_b32_e32 v5, v7, v5
	s_cbranch_scc1 .LBB2_147
	s_branch .LBB2_150
.LBB2_148:                              ;   in Loop: Header=BB2_144 Depth=1
	s_mov_b32 s14, 0
	s_branch .LBB2_151
.LBB2_149:                              ;   in Loop: Header=BB2_144 Depth=1
	s_waitcnt vmcnt(0)
	v_mov_b64_e32 v[4:5], 0
.LBB2_150:                              ;   in Loop: Header=BB2_144 Depth=1
	s_mov_b64 s[0:1], s[4:5]
	s_mov_b32 s14, 0
	s_cbranch_execnz .LBB2_152
.LBB2_151:                              ;   in Loop: Header=BB2_144 Depth=1
	global_load_dwordx2 v[4:5], v27, s[4:5]
	s_add_i32 s14, s8, -8
.LBB2_152:                              ;   in Loop: Header=BB2_144 Depth=1
	s_add_u32 s10, s0, 8
	s_addc_u32 s11, s1, 0
	s_cmp_gt_u32 s14, 7
	s_cbranch_scc1 .LBB2_156
; %bb.153:                              ;   in Loop: Header=BB2_144 Depth=1
	s_cmp_eq_u32 s14, 0
	s_cbranch_scc1 .LBB2_157
; %bb.154:                              ;   in Loop: Header=BB2_144 Depth=1
	s_mov_b64 s[10:11], 0
	v_mov_b64_e32 v[6:7], 0
	s_mov_b64 s[12:13], 0
.LBB2_155:                              ;   Parent Loop BB2_144 Depth=1
                                        ; =>  This Inner Loop Header: Depth=2
	s_add_u32 s16, s0, s12
	s_addc_u32 s17, s1, s13
	global_load_ubyte v8, v27, s[16:17]
	s_add_u32 s12, s12, 1
	s_addc_u32 s13, s13, 0
	s_waitcnt vmcnt(0)
	v_and_b32_e32 v26, 0xffff, v8
	v_lshlrev_b64 v[8:9], s10, v[26:27]
	s_add_u32 s10, s10, 8
	s_addc_u32 s11, s11, 0
	v_or_b32_e32 v6, v8, v6
	s_cmp_lg_u32 s14, s12
	v_or_b32_e32 v7, v9, v7
	s_cbranch_scc1 .LBB2_155
	s_branch .LBB2_158
.LBB2_156:                              ;   in Loop: Header=BB2_144 Depth=1
                                        ; implicit-def: $vgpr6_vgpr7
	s_mov_b32 s15, 0
	s_branch .LBB2_159
.LBB2_157:                              ;   in Loop: Header=BB2_144 Depth=1
	v_mov_b64_e32 v[6:7], 0
.LBB2_158:                              ;   in Loop: Header=BB2_144 Depth=1
	s_mov_b64 s[10:11], s[0:1]
	s_mov_b32 s15, 0
	s_cbranch_execnz .LBB2_160
.LBB2_159:                              ;   in Loop: Header=BB2_144 Depth=1
	global_load_dwordx2 v[6:7], v27, s[0:1]
	s_add_i32 s15, s14, -8
.LBB2_160:                              ;   in Loop: Header=BB2_144 Depth=1
	s_add_u32 s0, s10, 8
	s_addc_u32 s1, s11, 0
	s_cmp_gt_u32 s15, 7
	s_cbranch_scc1 .LBB2_164
; %bb.161:                              ;   in Loop: Header=BB2_144 Depth=1
	s_cmp_eq_u32 s15, 0
	s_cbranch_scc1 .LBB2_165
; %bb.162:                              ;   in Loop: Header=BB2_144 Depth=1
	s_mov_b64 s[0:1], 0
	v_mov_b64_e32 v[8:9], 0
	s_mov_b64 s[12:13], 0
.LBB2_163:                              ;   Parent Loop BB2_144 Depth=1
                                        ; =>  This Inner Loop Header: Depth=2
	s_add_u32 s16, s10, s12
	s_addc_u32 s17, s11, s13
	global_load_ubyte v10, v27, s[16:17]
	s_add_u32 s12, s12, 1
	s_addc_u32 s13, s13, 0
	s_waitcnt vmcnt(0)
	v_and_b32_e32 v26, 0xffff, v10
	v_lshlrev_b64 v[10:11], s0, v[26:27]
	s_add_u32 s0, s0, 8
	s_addc_u32 s1, s1, 0
	v_or_b32_e32 v8, v10, v8
	s_cmp_lg_u32 s15, s12
	v_or_b32_e32 v9, v11, v9
	s_cbranch_scc1 .LBB2_163
	s_branch .LBB2_166
.LBB2_164:                              ;   in Loop: Header=BB2_144 Depth=1
	s_mov_b32 s14, 0
	s_branch .LBB2_167
.LBB2_165:                              ;   in Loop: Header=BB2_144 Depth=1
	v_mov_b64_e32 v[8:9], 0
.LBB2_166:                              ;   in Loop: Header=BB2_144 Depth=1
	s_mov_b64 s[0:1], s[10:11]
	s_mov_b32 s14, 0
	s_cbranch_execnz .LBB2_168
.LBB2_167:                              ;   in Loop: Header=BB2_144 Depth=1
	global_load_dwordx2 v[8:9], v27, s[10:11]
	s_add_i32 s14, s15, -8
.LBB2_168:                              ;   in Loop: Header=BB2_144 Depth=1
	s_add_u32 s10, s0, 8
	s_addc_u32 s11, s1, 0
	s_cmp_gt_u32 s14, 7
	s_cbranch_scc1 .LBB2_172
; %bb.169:                              ;   in Loop: Header=BB2_144 Depth=1
	s_cmp_eq_u32 s14, 0
	s_cbranch_scc1 .LBB2_173
; %bb.170:                              ;   in Loop: Header=BB2_144 Depth=1
	s_mov_b64 s[10:11], 0
	v_mov_b64_e32 v[10:11], 0
	s_mov_b64 s[12:13], 0
.LBB2_171:                              ;   Parent Loop BB2_144 Depth=1
                                        ; =>  This Inner Loop Header: Depth=2
	s_add_u32 s16, s0, s12
	s_addc_u32 s17, s1, s13
	global_load_ubyte v12, v27, s[16:17]
	s_add_u32 s12, s12, 1
	s_addc_u32 s13, s13, 0
	s_waitcnt vmcnt(0)
	v_and_b32_e32 v26, 0xffff, v12
	v_lshlrev_b64 v[12:13], s10, v[26:27]
	s_add_u32 s10, s10, 8
	s_addc_u32 s11, s11, 0
	v_or_b32_e32 v10, v12, v10
	s_cmp_lg_u32 s14, s12
	v_or_b32_e32 v11, v13, v11
	s_cbranch_scc1 .LBB2_171
	s_branch .LBB2_174
.LBB2_172:                              ;   in Loop: Header=BB2_144 Depth=1
                                        ; implicit-def: $vgpr10_vgpr11
	s_mov_b32 s15, 0
	s_branch .LBB2_175
.LBB2_173:                              ;   in Loop: Header=BB2_144 Depth=1
	v_mov_b64_e32 v[10:11], 0
.LBB2_174:                              ;   in Loop: Header=BB2_144 Depth=1
	s_mov_b64 s[10:11], s[0:1]
	s_mov_b32 s15, 0
	s_cbranch_execnz .LBB2_176
.LBB2_175:                              ;   in Loop: Header=BB2_144 Depth=1
	global_load_dwordx2 v[10:11], v27, s[0:1]
	s_add_i32 s15, s14, -8
.LBB2_176:                              ;   in Loop: Header=BB2_144 Depth=1
	s_add_u32 s0, s10, 8
	s_addc_u32 s1, s11, 0
	s_cmp_gt_u32 s15, 7
	s_cbranch_scc1 .LBB2_180
; %bb.177:                              ;   in Loop: Header=BB2_144 Depth=1
	s_cmp_eq_u32 s15, 0
	s_cbranch_scc1 .LBB2_181
; %bb.178:                              ;   in Loop: Header=BB2_144 Depth=1
	s_mov_b64 s[0:1], 0
	v_mov_b64_e32 v[12:13], 0
	s_mov_b64 s[12:13], 0
.LBB2_179:                              ;   Parent Loop BB2_144 Depth=1
                                        ; =>  This Inner Loop Header: Depth=2
	s_add_u32 s16, s10, s12
	s_addc_u32 s17, s11, s13
	global_load_ubyte v14, v27, s[16:17]
	s_add_u32 s12, s12, 1
	s_addc_u32 s13, s13, 0
	s_waitcnt vmcnt(0)
	v_and_b32_e32 v26, 0xffff, v14
	v_lshlrev_b64 v[14:15], s0, v[26:27]
	s_add_u32 s0, s0, 8
	s_addc_u32 s1, s1, 0
	v_or_b32_e32 v12, v14, v12
	s_cmp_lg_u32 s15, s12
	v_or_b32_e32 v13, v15, v13
	s_cbranch_scc1 .LBB2_179
	s_branch .LBB2_182
.LBB2_180:                              ;   in Loop: Header=BB2_144 Depth=1
	s_mov_b32 s14, 0
	s_branch .LBB2_183
.LBB2_181:                              ;   in Loop: Header=BB2_144 Depth=1
	v_mov_b64_e32 v[12:13], 0
.LBB2_182:                              ;   in Loop: Header=BB2_144 Depth=1
	s_mov_b64 s[0:1], s[10:11]
	s_mov_b32 s14, 0
	s_cbranch_execnz .LBB2_184
.LBB2_183:                              ;   in Loop: Header=BB2_144 Depth=1
	global_load_dwordx2 v[12:13], v27, s[10:11]
	s_add_i32 s14, s15, -8
.LBB2_184:                              ;   in Loop: Header=BB2_144 Depth=1
	s_add_u32 s10, s0, 8
	s_addc_u32 s11, s1, 0
	s_cmp_gt_u32 s14, 7
	s_cbranch_scc1 .LBB2_188
; %bb.185:                              ;   in Loop: Header=BB2_144 Depth=1
	s_cmp_eq_u32 s14, 0
	s_cbranch_scc1 .LBB2_189
; %bb.186:                              ;   in Loop: Header=BB2_144 Depth=1
	s_mov_b64 s[10:11], 0
	v_mov_b64_e32 v[14:15], 0
	s_mov_b64 s[12:13], 0
.LBB2_187:                              ;   Parent Loop BB2_144 Depth=1
                                        ; =>  This Inner Loop Header: Depth=2
	s_add_u32 s16, s0, s12
	s_addc_u32 s17, s1, s13
	global_load_ubyte v16, v27, s[16:17]
	s_add_u32 s12, s12, 1
	s_addc_u32 s13, s13, 0
	s_waitcnt vmcnt(0)
	v_and_b32_e32 v26, 0xffff, v16
	v_lshlrev_b64 v[16:17], s10, v[26:27]
	s_add_u32 s10, s10, 8
	s_addc_u32 s11, s11, 0
	v_or_b32_e32 v14, v16, v14
	s_cmp_lg_u32 s14, s12
	v_or_b32_e32 v15, v17, v15
	s_cbranch_scc1 .LBB2_187
	s_branch .LBB2_190
.LBB2_188:                              ;   in Loop: Header=BB2_144 Depth=1
                                        ; implicit-def: $vgpr14_vgpr15
	s_mov_b32 s15, 0
	s_branch .LBB2_191
.LBB2_189:                              ;   in Loop: Header=BB2_144 Depth=1
	v_mov_b64_e32 v[14:15], 0
.LBB2_190:                              ;   in Loop: Header=BB2_144 Depth=1
	s_mov_b64 s[10:11], s[0:1]
	s_mov_b32 s15, 0
	s_cbranch_execnz .LBB2_192
.LBB2_191:                              ;   in Loop: Header=BB2_144 Depth=1
	global_load_dwordx2 v[14:15], v27, s[0:1]
	s_add_i32 s15, s14, -8
.LBB2_192:                              ;   in Loop: Header=BB2_144 Depth=1
	s_cmp_gt_u32 s15, 7
	s_cbranch_scc1 .LBB2_196
; %bb.193:                              ;   in Loop: Header=BB2_144 Depth=1
	s_cmp_eq_u32 s15, 0
	s_cbranch_scc1 .LBB2_197
; %bb.194:                              ;   in Loop: Header=BB2_144 Depth=1
	s_mov_b64 s[0:1], 0
	v_mov_b64_e32 v[16:17], 0
	s_mov_b64 s[12:13], s[10:11]
.LBB2_195:                              ;   Parent Loop BB2_144 Depth=1
                                        ; =>  This Inner Loop Header: Depth=2
	global_load_ubyte v18, v27, s[12:13]
	s_add_i32 s15, s15, -1
	s_waitcnt vmcnt(0)
	v_and_b32_e32 v26, 0xffff, v18
	v_lshlrev_b64 v[18:19], s0, v[26:27]
	s_add_u32 s0, s0, 8
	s_addc_u32 s1, s1, 0
	s_add_u32 s12, s12, 1
	s_addc_u32 s13, s13, 0
	v_or_b32_e32 v16, v18, v16
	s_cmp_lg_u32 s15, 0
	v_or_b32_e32 v17, v19, v17
	s_cbranch_scc1 .LBB2_195
	s_branch .LBB2_198
.LBB2_196:                              ;   in Loop: Header=BB2_144 Depth=1
	s_branch .LBB2_199
.LBB2_197:                              ;   in Loop: Header=BB2_144 Depth=1
	v_mov_b64_e32 v[16:17], 0
.LBB2_198:                              ;   in Loop: Header=BB2_144 Depth=1
	s_cbranch_execnz .LBB2_200
.LBB2_199:                              ;   in Loop: Header=BB2_144 Depth=1
	global_load_dwordx2 v[16:17], v27, s[10:11]
.LBB2_200:                              ;   in Loop: Header=BB2_144 Depth=1
	v_readfirstlane_b32 s0, v32
	v_mov_b64_e32 v[28:29], 0
	s_nop 0
	v_cmp_eq_u32_e64 s[0:1], s0, v32
	s_and_saveexec_b64 s[10:11], s[0:1]
	s_cbranch_execz .LBB2_206
; %bb.201:                              ;   in Loop: Header=BB2_144 Depth=1
	global_load_dwordx2 v[20:21], v27, s[2:3] offset:24 sc0 sc1
	s_waitcnt vmcnt(0)
	buffer_inv sc0 sc1
	global_load_dwordx2 v[18:19], v27, s[2:3] offset:40
	global_load_dwordx2 v[28:29], v27, s[2:3]
	s_waitcnt vmcnt(1)
	v_and_b32_e32 v18, v18, v20
	v_and_b32_e32 v19, v19, v21
	v_mul_lo_u32 v19, v19, 24
	v_mul_hi_u32 v25, v18, 24
	v_add_u32_e32 v19, v25, v19
	v_mul_lo_u32 v18, v18, 24
	s_waitcnt vmcnt(0)
	v_lshl_add_u64 v[18:19], v[28:29], 0, v[18:19]
	global_load_dwordx2 v[18:19], v[18:19], off sc0 sc1
	s_waitcnt vmcnt(0)
	global_atomic_cmpswap_x2 v[28:29], v27, v[18:21], s[2:3] offset:24 sc0 sc1
	s_waitcnt vmcnt(0)
	buffer_inv sc0 sc1
	v_cmp_ne_u64_e32 vcc, v[28:29], v[20:21]
	s_and_saveexec_b64 s[12:13], vcc
	s_cbranch_execz .LBB2_205
; %bb.202:                              ;   in Loop: Header=BB2_144 Depth=1
	s_mov_b64 s[14:15], 0
.LBB2_203:                              ;   Parent Loop BB2_144 Depth=1
                                        ; =>  This Inner Loop Header: Depth=2
	s_sleep 1
	global_load_dwordx2 v[18:19], v27, s[2:3] offset:40
	global_load_dwordx2 v[30:31], v27, s[2:3]
	v_mov_b64_e32 v[20:21], v[28:29]
	s_waitcnt vmcnt(1)
	v_and_b32_e32 v18, v18, v20
	v_and_b32_e32 v25, v19, v21
	s_waitcnt vmcnt(0)
	v_mad_u64_u32 v[18:19], s[16:17], v18, 24, v[30:31]
	v_mov_b32_e32 v26, v19
	v_mad_u64_u32 v[28:29], s[16:17], v25, 24, v[26:27]
	v_mov_b32_e32 v19, v28
	global_load_dwordx2 v[18:19], v[18:19], off sc0 sc1
	s_waitcnt vmcnt(0)
	global_atomic_cmpswap_x2 v[28:29], v27, v[18:21], s[2:3] offset:24 sc0 sc1
	s_waitcnt vmcnt(0)
	buffer_inv sc0 sc1
	v_cmp_eq_u64_e32 vcc, v[28:29], v[20:21]
	s_or_b64 s[14:15], vcc, s[14:15]
	s_andn2_b64 exec, exec, s[14:15]
	s_cbranch_execnz .LBB2_203
; %bb.204:                              ;   in Loop: Header=BB2_144 Depth=1
	s_or_b64 exec, exec, s[14:15]
.LBB2_205:                              ;   in Loop: Header=BB2_144 Depth=1
	s_or_b64 exec, exec, s[12:13]
.LBB2_206:                              ;   in Loop: Header=BB2_144 Depth=1
	s_or_b64 exec, exec, s[10:11]
	global_load_dwordx2 v[30:31], v27, s[2:3] offset:40
	global_load_dwordx4 v[18:21], v27, s[2:3]
	v_readfirstlane_b32 s11, v29
	v_readfirstlane_b32 s10, v28
	s_mov_b64 s[12:13], exec
	s_waitcnt vmcnt(1)
	v_readfirstlane_b32 s14, v30
	v_readfirstlane_b32 s15, v31
	s_and_b64 s[14:15], s[14:15], s[10:11]
	s_mul_i32 s16, s15, 24
	s_mul_hi_u32 s17, s14, 24
	s_add_i32 s17, s17, s16
	s_mul_i32 s16, s14, 24
	s_waitcnt vmcnt(0)
	v_lshl_add_u64 v[28:29], v[18:19], 0, s[16:17]
	s_and_saveexec_b64 s[16:17], s[0:1]
	s_cbranch_execz .LBB2_208
; %bb.207:                              ;   in Loop: Header=BB2_144 Depth=1
	v_mov_b64_e32 v[34:35], s[12:13]
	global_store_dwordx4 v[28:29], v[34:37], off offset:8
.LBB2_208:                              ;   in Loop: Header=BB2_144 Depth=1
	s_or_b64 exec, exec, s[16:17]
	s_lshl_b64 s[12:13], s[14:15], 12
	v_lshl_add_u64 v[20:21], v[20:21], 0, s[12:13]
	v_cmp_gt_u64_e64 s[12:13], s[6:7], 56
	s_and_b64 s[12:13], s[12:13], exec
	s_cselect_b32 s12, 0, 2
	s_lshl_b32 s13, s8, 2
	s_add_i32 s13, s13, 28
	v_and_b32_e32 v2, 0xffffff1f, v2
	s_and_b32 s13, s13, 0x1e0
	v_or_b32_e32 v2, s12, v2
	v_or_b32_e32 v2, s13, v2
	v_readfirstlane_b32 s12, v20
	v_readfirstlane_b32 s13, v21
	s_nop 4
	global_store_dwordx4 v24, v[2:5], s[12:13]
	global_store_dwordx4 v24, v[6:9], s[12:13] offset:16
	global_store_dwordx4 v24, v[10:13], s[12:13] offset:32
	;; [unrolled: 1-line block ×3, first 2 shown]
	s_and_saveexec_b64 s[12:13], s[0:1]
	s_cbranch_execz .LBB2_216
; %bb.209:                              ;   in Loop: Header=BB2_144 Depth=1
	global_load_dwordx2 v[10:11], v27, s[2:3] offset:32 sc0 sc1
	global_load_dwordx2 v[2:3], v27, s[2:3] offset:40
	v_mov_b32_e32 v8, s10
	v_mov_b32_e32 v9, s11
	s_waitcnt vmcnt(0)
	v_readfirstlane_b32 s14, v2
	v_readfirstlane_b32 s15, v3
	s_and_b64 s[14:15], s[14:15], s[10:11]
	s_mul_i32 s15, s15, 24
	s_mul_hi_u32 s16, s14, 24
	s_mul_i32 s14, s14, 24
	s_add_i32 s15, s16, s15
	v_lshl_add_u64 v[6:7], v[18:19], 0, s[14:15]
	global_store_dwordx2 v[6:7], v[10:11], off
	buffer_wbl2 sc0 sc1
	s_waitcnt vmcnt(0)
	global_atomic_cmpswap_x2 v[4:5], v27, v[8:11], s[2:3] offset:32 sc0 sc1
	s_waitcnt vmcnt(0)
	v_cmp_ne_u64_e32 vcc, v[4:5], v[10:11]
	s_and_saveexec_b64 s[14:15], vcc
	s_cbranch_execz .LBB2_212
; %bb.210:                              ;   in Loop: Header=BB2_144 Depth=1
	s_mov_b64 s[16:17], 0
.LBB2_211:                              ;   Parent Loop BB2_144 Depth=1
                                        ; =>  This Inner Loop Header: Depth=2
	s_sleep 1
	global_store_dwordx2 v[6:7], v[4:5], off
	v_mov_b32_e32 v2, s10
	v_mov_b32_e32 v3, s11
	buffer_wbl2 sc0 sc1
	s_waitcnt vmcnt(0)
	global_atomic_cmpswap_x2 v[2:3], v27, v[2:5], s[2:3] offset:32 sc0 sc1
	s_waitcnt vmcnt(0)
	v_cmp_eq_u64_e32 vcc, v[2:3], v[4:5]
	s_or_b64 s[16:17], vcc, s[16:17]
	v_mov_b64_e32 v[4:5], v[2:3]
	s_andn2_b64 exec, exec, s[16:17]
	s_cbranch_execnz .LBB2_211
.LBB2_212:                              ;   in Loop: Header=BB2_144 Depth=1
	s_or_b64 exec, exec, s[14:15]
	global_load_dwordx2 v[2:3], v27, s[2:3] offset:16
	s_mov_b64 s[16:17], exec
	v_mbcnt_lo_u32_b32 v4, s16, 0
	v_mbcnt_hi_u32_b32 v4, s17, v4
	v_cmp_eq_u32_e32 vcc, 0, v4
	s_and_saveexec_b64 s[14:15], vcc
	s_cbranch_execz .LBB2_214
; %bb.213:                              ;   in Loop: Header=BB2_144 Depth=1
	s_bcnt1_i32_b64 s16, s[16:17]
	v_mov_b32_e32 v26, s16
	buffer_wbl2 sc0 sc1
	s_waitcnt vmcnt(0)
	global_atomic_add_x2 v[2:3], v[26:27], off offset:8 sc1
.LBB2_214:                              ;   in Loop: Header=BB2_144 Depth=1
	s_or_b64 exec, exec, s[14:15]
	s_waitcnt vmcnt(0)
	global_load_dwordx2 v[4:5], v[2:3], off offset:16
	s_waitcnt vmcnt(0)
	v_cmp_eq_u64_e32 vcc, 0, v[4:5]
	s_cbranch_vccnz .LBB2_216
; %bb.215:                              ;   in Loop: Header=BB2_144 Depth=1
	global_load_dword v26, v[2:3], off offset:24
	s_waitcnt vmcnt(0)
	v_readfirstlane_b32 s14, v26
	s_and_b32 m0, s14, 0xffffff
	buffer_wbl2 sc0 sc1
	global_store_dwordx2 v[4:5], v[26:27], off sc0 sc1
	s_sendmsg sendmsg(MSG_INTERRUPT)
.LBB2_216:                              ;   in Loop: Header=BB2_144 Depth=1
	s_or_b64 exec, exec, s[12:13]
	v_mov_b32_e32 v25, v27
	v_lshl_add_u64 v[2:3], v[20:21], 0, v[24:25]
	s_branch .LBB2_220
.LBB2_217:                              ;   in Loop: Header=BB2_220 Depth=2
	s_or_b64 exec, exec, s[12:13]
	v_readfirstlane_b32 s12, v4
	s_cmp_eq_u32 s12, 0
	s_cbranch_scc1 .LBB2_219
; %bb.218:                              ;   in Loop: Header=BB2_220 Depth=2
	s_sleep 1
	s_cbranch_execnz .LBB2_220
	s_branch .LBB2_222
.LBB2_219:                              ;   in Loop: Header=BB2_144 Depth=1
	s_branch .LBB2_222
.LBB2_220:                              ;   Parent Loop BB2_144 Depth=1
                                        ; =>  This Inner Loop Header: Depth=2
	v_mov_b32_e32 v4, 1
	s_and_saveexec_b64 s[12:13], s[0:1]
	s_cbranch_execz .LBB2_217
; %bb.221:                              ;   in Loop: Header=BB2_220 Depth=2
	global_load_dword v4, v[28:29], off offset:20 sc0 sc1
	s_waitcnt vmcnt(0)
	buffer_inv sc0 sc1
	v_and_b32_e32 v4, 1, v4
	s_branch .LBB2_217
.LBB2_222:                              ;   in Loop: Header=BB2_144 Depth=1
	global_load_dwordx4 v[2:5], v[2:3], off
	s_and_saveexec_b64 s[12:13], s[0:1]
	s_cbranch_execz .LBB2_143
; %bb.223:                              ;   in Loop: Header=BB2_144 Depth=1
	global_load_dwordx2 v[4:5], v27, s[2:3] offset:40
	global_load_dwordx2 v[12:13], v27, s[2:3] offset:24 sc0 sc1
	global_load_dwordx2 v[6:7], v27, s[2:3]
	s_waitcnt vmcnt(2)
	v_readfirstlane_b32 s14, v4
	v_readfirstlane_b32 s15, v5
	s_add_u32 s16, s14, 1
	s_addc_u32 s17, s15, 0
	s_add_u32 s0, s16, s10
	s_addc_u32 s1, s17, s11
	s_cmp_eq_u64 s[0:1], 0
	s_cselect_b32 s1, s17, s1
	s_cselect_b32 s0, s16, s0
	s_and_b64 s[10:11], s[0:1], s[14:15]
	s_mul_i32 s11, s11, 24
	s_mul_hi_u32 s14, s10, 24
	s_mul_i32 s10, s10, 24
	s_add_i32 s11, s14, s11
	s_waitcnt vmcnt(0)
	v_lshl_add_u64 v[8:9], v[6:7], 0, s[10:11]
	v_mov_b32_e32 v10, s0
	global_store_dwordx2 v[8:9], v[12:13], off
	v_mov_b32_e32 v11, s1
	buffer_wbl2 sc0 sc1
	s_waitcnt vmcnt(0)
	global_atomic_cmpswap_x2 v[6:7], v27, v[10:13], s[2:3] offset:24 sc0 sc1
	s_waitcnt vmcnt(0)
	v_cmp_ne_u64_e32 vcc, v[6:7], v[12:13]
	s_and_b64 exec, exec, vcc
	s_cbranch_execz .LBB2_143
; %bb.224:                              ;   in Loop: Header=BB2_144 Depth=1
	s_mov_b64 s[10:11], 0
.LBB2_225:                              ;   Parent Loop BB2_144 Depth=1
                                        ; =>  This Inner Loop Header: Depth=2
	s_sleep 1
	global_store_dwordx2 v[8:9], v[6:7], off
	v_mov_b32_e32 v4, s0
	v_mov_b32_e32 v5, s1
	buffer_wbl2 sc0 sc1
	s_waitcnt vmcnt(0)
	global_atomic_cmpswap_x2 v[4:5], v27, v[4:7], s[2:3] offset:24 sc0 sc1
	s_waitcnt vmcnt(0)
	v_cmp_eq_u64_e32 vcc, v[4:5], v[6:7]
	s_or_b64 s[10:11], vcc, s[10:11]
	v_mov_b64_e32 v[6:7], v[4:5]
	s_andn2_b64 exec, exec, s[10:11]
	s_cbranch_execnz .LBB2_225
	s_branch .LBB2_143
.LBB2_226:
	s_mov_b64 s[0:1], 0
.LBB2_227:
	s_and_b64 vcc, exec, s[0:1]
	s_cbranch_vccz .LBB2_254
; %bb.228:
	v_readfirstlane_b32 s0, v32
	v_mov_b64_e32 v[8:9], 0
	s_nop 0
	v_cmp_eq_u32_e64 s[0:1], s0, v32
	s_and_saveexec_b64 s[4:5], s[0:1]
	s_cbranch_execz .LBB2_234
; %bb.229:
	s_waitcnt vmcnt(0)
	v_mov_b32_e32 v2, 0
	global_load_dwordx2 v[6:7], v2, s[2:3] offset:24 sc0 sc1
	s_waitcnt vmcnt(0)
	buffer_inv sc0 sc1
	global_load_dwordx2 v[4:5], v2, s[2:3] offset:40
	global_load_dwordx2 v[8:9], v2, s[2:3]
	s_waitcnt vmcnt(1)
	v_and_b32_e32 v3, v4, v6
	v_and_b32_e32 v4, v5, v7
	v_mul_lo_u32 v4, v4, 24
	v_mul_hi_u32 v5, v3, 24
	v_add_u32_e32 v5, v5, v4
	v_mul_lo_u32 v4, v3, 24
	s_waitcnt vmcnt(0)
	v_lshl_add_u64 v[4:5], v[8:9], 0, v[4:5]
	global_load_dwordx2 v[4:5], v[4:5], off sc0 sc1
	s_waitcnt vmcnt(0)
	global_atomic_cmpswap_x2 v[8:9], v2, v[4:7], s[2:3] offset:24 sc0 sc1
	s_waitcnt vmcnt(0)
	buffer_inv sc0 sc1
	v_cmp_ne_u64_e32 vcc, v[8:9], v[6:7]
	s_and_saveexec_b64 s[6:7], vcc
	s_cbranch_execz .LBB2_233
; %bb.230:
	s_mov_b64 s[8:9], 0
.LBB2_231:                              ; =>This Inner Loop Header: Depth=1
	s_sleep 1
	global_load_dwordx2 v[4:5], v2, s[2:3] offset:40
	global_load_dwordx2 v[10:11], v2, s[2:3]
	v_mov_b64_e32 v[6:7], v[8:9]
	s_waitcnt vmcnt(1)
	v_and_b32_e32 v4, v4, v6
	v_and_b32_e32 v3, v5, v7
	s_waitcnt vmcnt(0)
	v_mad_u64_u32 v[4:5], s[10:11], v4, 24, v[10:11]
	v_mov_b32_e32 v8, v5
	v_mad_u64_u32 v[8:9], s[10:11], v3, 24, v[8:9]
	v_mov_b32_e32 v5, v8
	global_load_dwordx2 v[4:5], v[4:5], off sc0 sc1
	s_waitcnt vmcnt(0)
	global_atomic_cmpswap_x2 v[8:9], v2, v[4:7], s[2:3] offset:24 sc0 sc1
	s_waitcnt vmcnt(0)
	buffer_inv sc0 sc1
	v_cmp_eq_u64_e32 vcc, v[8:9], v[6:7]
	s_or_b64 s[8:9], vcc, s[8:9]
	s_andn2_b64 exec, exec, s[8:9]
	s_cbranch_execnz .LBB2_231
; %bb.232:
	s_or_b64 exec, exec, s[8:9]
.LBB2_233:
	s_or_b64 exec, exec, s[6:7]
.LBB2_234:
	s_or_b64 exec, exec, s[4:5]
	s_waitcnt vmcnt(0)
	v_mov_b32_e32 v2, 0
	global_load_dwordx2 v[10:11], v2, s[2:3] offset:40
	global_load_dwordx4 v[4:7], v2, s[2:3]
	v_readfirstlane_b32 s5, v9
	v_readfirstlane_b32 s4, v8
	s_mov_b64 s[6:7], exec
	s_waitcnt vmcnt(1)
	v_readfirstlane_b32 s8, v10
	v_readfirstlane_b32 s9, v11
	s_and_b64 s[8:9], s[8:9], s[4:5]
	s_mul_i32 s10, s9, 24
	s_mul_hi_u32 s11, s8, 24
	s_add_i32 s11, s11, s10
	s_mul_i32 s10, s8, 24
	s_waitcnt vmcnt(0)
	v_lshl_add_u64 v[8:9], v[4:5], 0, s[10:11]
	s_and_saveexec_b64 s[10:11], s[0:1]
	s_cbranch_execz .LBB2_236
; %bb.235:
	v_mov_b64_e32 v[10:11], s[6:7]
	v_mov_b32_e32 v12, 2
	v_mov_b32_e32 v13, 1
	global_store_dwordx4 v[8:9], v[10:13], off offset:8
.LBB2_236:
	s_or_b64 exec, exec, s[10:11]
	s_lshl_b64 s[6:7], s[8:9], 12
	v_lshl_add_u64 v[6:7], v[6:7], 0, s[6:7]
	s_movk_i32 s6, 0xff1d
	s_mov_b32 s8, 0
	v_and_or_b32 v0, v0, s6, 34
	v_mov_b32_e32 v3, v2
	v_readfirstlane_b32 s6, v6
	v_readfirstlane_b32 s7, v7
	s_mov_b32 s9, s8
	s_mov_b32 s10, s8
	;; [unrolled: 1-line block ×3, first 2 shown]
	s_nop 1
	global_store_dwordx4 v24, v[0:3], s[6:7]
	s_nop 1
	v_mov_b64_e32 v[0:1], s[8:9]
	v_mov_b64_e32 v[2:3], s[10:11]
	global_store_dwordx4 v24, v[0:3], s[6:7] offset:16
	global_store_dwordx4 v24, v[0:3], s[6:7] offset:32
	;; [unrolled: 1-line block ×3, first 2 shown]
	s_and_saveexec_b64 s[6:7], s[0:1]
	s_cbranch_execz .LBB2_244
; %bb.237:
	v_mov_b32_e32 v6, 0
	global_load_dwordx2 v[12:13], v6, s[2:3] offset:32 sc0 sc1
	global_load_dwordx2 v[0:1], v6, s[2:3] offset:40
	v_mov_b32_e32 v10, s4
	v_mov_b32_e32 v11, s5
	s_waitcnt vmcnt(0)
	v_readfirstlane_b32 s8, v0
	v_readfirstlane_b32 s9, v1
	s_and_b64 s[8:9], s[8:9], s[4:5]
	s_mul_i32 s9, s9, 24
	s_mul_hi_u32 s10, s8, 24
	s_mul_i32 s8, s8, 24
	s_add_i32 s9, s10, s9
	v_lshl_add_u64 v[4:5], v[4:5], 0, s[8:9]
	global_store_dwordx2 v[4:5], v[12:13], off
	buffer_wbl2 sc0 sc1
	s_waitcnt vmcnt(0)
	global_atomic_cmpswap_x2 v[2:3], v6, v[10:13], s[2:3] offset:32 sc0 sc1
	s_waitcnt vmcnt(0)
	v_cmp_ne_u64_e32 vcc, v[2:3], v[12:13]
	s_and_saveexec_b64 s[8:9], vcc
	s_cbranch_execz .LBB2_240
; %bb.238:
	s_mov_b64 s[10:11], 0
.LBB2_239:                              ; =>This Inner Loop Header: Depth=1
	s_sleep 1
	global_store_dwordx2 v[4:5], v[2:3], off
	v_mov_b32_e32 v0, s4
	v_mov_b32_e32 v1, s5
	buffer_wbl2 sc0 sc1
	s_waitcnt vmcnt(0)
	global_atomic_cmpswap_x2 v[0:1], v6, v[0:3], s[2:3] offset:32 sc0 sc1
	s_waitcnt vmcnt(0)
	v_cmp_eq_u64_e32 vcc, v[0:1], v[2:3]
	s_or_b64 s[10:11], vcc, s[10:11]
	v_mov_b64_e32 v[2:3], v[0:1]
	s_andn2_b64 exec, exec, s[10:11]
	s_cbranch_execnz .LBB2_239
.LBB2_240:
	s_or_b64 exec, exec, s[8:9]
	v_mov_b32_e32 v3, 0
	global_load_dwordx2 v[0:1], v3, s[2:3] offset:16
	s_mov_b64 s[8:9], exec
	v_mbcnt_lo_u32_b32 v2, s8, 0
	v_mbcnt_hi_u32_b32 v2, s9, v2
	v_cmp_eq_u32_e32 vcc, 0, v2
	s_and_saveexec_b64 s[10:11], vcc
	s_cbranch_execz .LBB2_242
; %bb.241:
	s_bcnt1_i32_b64 s8, s[8:9]
	v_mov_b32_e32 v2, s8
	buffer_wbl2 sc0 sc1
	s_waitcnt vmcnt(0)
	global_atomic_add_x2 v[0:1], v[2:3], off offset:8 sc1
.LBB2_242:
	s_or_b64 exec, exec, s[10:11]
	s_waitcnt vmcnt(0)
	global_load_dwordx2 v[2:3], v[0:1], off offset:16
	s_waitcnt vmcnt(0)
	v_cmp_eq_u64_e32 vcc, 0, v[2:3]
	s_cbranch_vccnz .LBB2_244
; %bb.243:
	global_load_dword v0, v[0:1], off offset:24
	v_mov_b32_e32 v1, 0
	s_waitcnt vmcnt(0)
	v_readfirstlane_b32 s8, v0
	s_and_b32 m0, s8, 0xffffff
	buffer_wbl2 sc0 sc1
	global_store_dwordx2 v[2:3], v[0:1], off sc0 sc1
	s_sendmsg sendmsg(MSG_INTERRUPT)
.LBB2_244:
	s_or_b64 exec, exec, s[6:7]
	s_branch .LBB2_248
.LBB2_245:                              ;   in Loop: Header=BB2_248 Depth=1
	s_or_b64 exec, exec, s[6:7]
	v_readfirstlane_b32 s6, v0
	s_cmp_eq_u32 s6, 0
	s_cbranch_scc1 .LBB2_247
; %bb.246:                              ;   in Loop: Header=BB2_248 Depth=1
	s_sleep 1
	s_cbranch_execnz .LBB2_248
	s_branch .LBB2_250
.LBB2_247:
	s_branch .LBB2_250
.LBB2_248:                              ; =>This Inner Loop Header: Depth=1
	v_mov_b32_e32 v0, 1
	s_and_saveexec_b64 s[6:7], s[0:1]
	s_cbranch_execz .LBB2_245
; %bb.249:                              ;   in Loop: Header=BB2_248 Depth=1
	global_load_dword v0, v[8:9], off offset:20 sc0 sc1
	s_waitcnt vmcnt(0)
	buffer_inv sc0 sc1
	v_and_b32_e32 v0, 1, v0
	s_branch .LBB2_245
.LBB2_250:
	s_and_saveexec_b64 s[6:7], s[0:1]
	s_cbranch_execz .LBB2_253
; %bb.251:
	v_mov_b32_e32 v6, 0
	global_load_dwordx2 v[0:1], v6, s[2:3] offset:40
	global_load_dwordx2 v[10:11], v6, s[2:3] offset:24 sc0 sc1
	global_load_dwordx2 v[2:3], v6, s[2:3]
	s_waitcnt vmcnt(2)
	v_readfirstlane_b32 s8, v0
	v_readfirstlane_b32 s9, v1
	s_add_u32 s10, s8, 1
	s_addc_u32 s11, s9, 0
	s_add_u32 s0, s10, s4
	s_addc_u32 s1, s11, s5
	s_cmp_eq_u64 s[0:1], 0
	s_cselect_b32 s1, s11, s1
	s_cselect_b32 s0, s10, s0
	s_and_b64 s[4:5], s[0:1], s[8:9]
	s_mul_i32 s5, s5, 24
	s_mul_hi_u32 s8, s4, 24
	s_mul_i32 s4, s4, 24
	s_add_i32 s5, s8, s5
	s_waitcnt vmcnt(0)
	v_lshl_add_u64 v[4:5], v[2:3], 0, s[4:5]
	v_mov_b32_e32 v8, s0
	global_store_dwordx2 v[4:5], v[10:11], off
	v_mov_b32_e32 v9, s1
	buffer_wbl2 sc0 sc1
	s_waitcnt vmcnt(0)
	global_atomic_cmpswap_x2 v[2:3], v6, v[8:11], s[2:3] offset:24 sc0 sc1
	s_mov_b64 s[4:5], 0
	s_waitcnt vmcnt(0)
	v_cmp_ne_u64_e32 vcc, v[2:3], v[10:11]
	s_and_b64 exec, exec, vcc
	s_cbranch_execz .LBB2_253
.LBB2_252:                              ; =>This Inner Loop Header: Depth=1
	s_sleep 1
	global_store_dwordx2 v[4:5], v[2:3], off
	v_mov_b32_e32 v0, s0
	v_mov_b32_e32 v1, s1
	buffer_wbl2 sc0 sc1
	s_waitcnt vmcnt(0)
	global_atomic_cmpswap_x2 v[0:1], v6, v[0:3], s[2:3] offset:24 sc0 sc1
	s_waitcnt vmcnt(0)
	v_cmp_eq_u64_e32 vcc, v[0:1], v[2:3]
	s_or_b64 s[4:5], vcc, s[4:5]
	v_mov_b64_e32 v[2:3], v[0:1]
	s_andn2_b64 exec, exec, s[4:5]
	s_cbranch_execnz .LBB2_252
.LBB2_253:
	s_or_b64 exec, exec, s[6:7]
.LBB2_254:
	s_trap 2
	; divergent unreachable
	s_branch .LBB2_1
.Lfunc_end2:
	.size	_ZN6thrust23THRUST_200600_302600_NS6detail19temporary_allocatorIiNS1_5seq_tEE8allocateEm, .Lfunc_end2-_ZN6thrust23THRUST_200600_302600_NS6detail19temporary_allocatorIiNS1_5seq_tEE8allocateEm
                                        ; -- End function
	.set .L_ZN6thrust23THRUST_200600_302600_NS6detail19temporary_allocatorIiNS1_5seq_tEE8allocateEm.num_vgpr, max(42, .L__ockl_dm_alloc.num_vgpr, .L__ockl_dm_dealloc.num_vgpr)
	.set .L_ZN6thrust23THRUST_200600_302600_NS6detail19temporary_allocatorIiNS1_5seq_tEE8allocateEm.num_agpr, max(1, .L__ockl_dm_alloc.num_agpr, .L__ockl_dm_dealloc.num_agpr)
	.set .L_ZN6thrust23THRUST_200600_302600_NS6detail19temporary_allocatorIiNS1_5seq_tEE8allocateEm.numbered_sgpr, max(71, .L__ockl_dm_alloc.numbered_sgpr, .L__ockl_dm_dealloc.numbered_sgpr)
	.set .L_ZN6thrust23THRUST_200600_302600_NS6detail19temporary_allocatorIiNS1_5seq_tEE8allocateEm.num_named_barrier, max(0, .L__ockl_dm_alloc.num_named_barrier, .L__ockl_dm_dealloc.num_named_barrier)
	.set .L_ZN6thrust23THRUST_200600_302600_NS6detail19temporary_allocatorIiNS1_5seq_tEE8allocateEm.private_seg_size, 16+max(.L__ockl_dm_alloc.private_seg_size, .L__ockl_dm_dealloc.private_seg_size)
	.set .L_ZN6thrust23THRUST_200600_302600_NS6detail19temporary_allocatorIiNS1_5seq_tEE8allocateEm.uses_vcc, or(1, .L__ockl_dm_alloc.uses_vcc, .L__ockl_dm_dealloc.uses_vcc)
	.set .L_ZN6thrust23THRUST_200600_302600_NS6detail19temporary_allocatorIiNS1_5seq_tEE8allocateEm.uses_flat_scratch, or(0, .L__ockl_dm_alloc.uses_flat_scratch, .L__ockl_dm_dealloc.uses_flat_scratch)
	.set .L_ZN6thrust23THRUST_200600_302600_NS6detail19temporary_allocatorIiNS1_5seq_tEE8allocateEm.has_dyn_sized_stack, or(0, .L__ockl_dm_alloc.has_dyn_sized_stack, .L__ockl_dm_dealloc.has_dyn_sized_stack)
	.set .L_ZN6thrust23THRUST_200600_302600_NS6detail19temporary_allocatorIiNS1_5seq_tEE8allocateEm.has_recursion, or(0, .L__ockl_dm_alloc.has_recursion, .L__ockl_dm_dealloc.has_recursion)
	.set .L_ZN6thrust23THRUST_200600_302600_NS6detail19temporary_allocatorIiNS1_5seq_tEE8allocateEm.has_indirect_call, or(0, .L__ockl_dm_alloc.has_indirect_call, .L__ockl_dm_dealloc.has_indirect_call)
	.section	.AMDGPU.csdata,"",@progbits
; Function info:
; codeLenInByte = 8648
; TotalNumSgprs: 102
; NumVgprs: 120
; NumAgprs: 1
; TotalNumVgprs: 121
; ScratchSize: 24
; MemoryBound: 0
	.section	.text.unlikely.,"ax",@progbits
	.p2align	2                               ; -- Begin function _ZN6thrust23THRUST_200600_302600_NS6detail19temporary_allocatorIsNS1_5seq_tEE8allocateEm
	.type	_ZN6thrust23THRUST_200600_302600_NS6detail19temporary_allocatorIsNS1_5seq_tEE8allocateEm,@function
_ZN6thrust23THRUST_200600_302600_NS6detail19temporary_allocatorIsNS1_5seq_tEE8allocateEm: ; @_ZN6thrust23THRUST_200600_302600_NS6detail19temporary_allocatorIsNS1_5seq_tEE8allocateEm
; %bb.0:
	s_waitcnt vmcnt(0) expcnt(0) lgkmcnt(0)
	s_mov_b32 s0, s33
	s_mov_b32 s33, s32
	s_or_saveexec_b64 s[2:3], -1
	scratch_store_dword off, v41, s33       ; 4-byte Folded Spill
	s_mov_b64 exec, s[2:3]
	v_writelane_b32 v41, s0, 23
	v_accvgpr_write_b32 a0, v40             ;  Reload Reuse
	s_add_i32 s32, s32, 16
	v_writelane_b32 v41, s34, 0
	v_writelane_b32 v41, s35, 1
	;; [unrolled: 1-line block ×22, first 2 shown]
	s_nop 1
	v_writelane_b32 v41, s31, 22
	v_lshlrev_b64 v[2:3], 1, v[0:1]
	v_alignbit_b32 v1, v1, v0, 31
	s_getpc_b64 s[0:1]
	s_add_u32 s0, s0, __ockl_dm_alloc@rel32@lo+4
	s_addc_u32 s1, s1, __ockl_dm_alloc@rel32@hi+12
	v_mov_b32_e32 v0, v2
	s_swappc_b64 s[30:31], s[0:1]
	v_mov_b64_e32 v[22:23], v[0:1]
	v_cmp_ne_u64_e32 vcc, 0, v[22:23]
	s_and_saveexec_b64 s[0:1], vcc
	s_xor_b64 s[0:1], exec, s[0:1]
	s_andn2_saveexec_b64 s[22:23], s[0:1]
	s_cbranch_execnz .LBB3_2
.LBB3_1:
	s_or_b64 exec, exec, s[22:23]
	v_readlane_b32 s30, v41, 21
	s_waitcnt vmcnt(0)
	v_mov_b64_e32 v[0:1], v[22:23]
	v_readlane_b32 s31, v41, 22
	v_readlane_b32 s70, v41, 20
	;; [unrolled: 1-line block ×22, first 2 shown]
	v_accvgpr_read_b32 v40, a0              ;  Reload Reuse
	s_mov_b32 s32, s33
	v_readlane_b32 s0, v41, 23
	s_or_saveexec_b64 s[2:3], -1
	scratch_load_dword v41, off, s33        ; 4-byte Folded Reload
	s_mov_b64 exec, s[2:3]
	s_mov_b32 s33, s0
	s_waitcnt vmcnt(0) lgkmcnt(0)
	s_setpc_b64 s[30:31]
.LBB3_2:
	s_getpc_b64 s[0:1]
	s_add_u32 s0, s0, __ockl_dm_dealloc@rel32@lo+4
	s_addc_u32 s1, s1, __ockl_dm_dealloc@rel32@hi+12
	v_mov_b64_e32 v[0:1], v[22:23]
	s_swappc_b64 s[30:31], s[0:1]
	s_load_dwordx2 s[2:3], s[8:9], 0x50
	v_mbcnt_lo_u32_b32 v0, -1, 0
	v_mbcnt_hi_u32_b32 v32, -1, v0
	v_mov_b64_e32 v[4:5], 0
	v_readfirstlane_b32 s0, v32
	s_nop 1
	v_cmp_eq_u32_e64 s[0:1], s0, v32
	s_and_saveexec_b64 s[4:5], s[0:1]
	s_cbranch_execz .LBB3_8
; %bb.3:
	v_mov_b32_e32 v0, 0
	s_waitcnt lgkmcnt(0)
	global_load_dwordx2 v[6:7], v0, s[2:3] offset:24 sc0 sc1
	s_waitcnt vmcnt(0)
	buffer_inv sc0 sc1
	global_load_dwordx2 v[2:3], v0, s[2:3] offset:40
	global_load_dwordx2 v[4:5], v0, s[2:3]
	s_waitcnt vmcnt(1)
	v_and_b32_e32 v1, v2, v6
	v_and_b32_e32 v2, v3, v7
	v_mul_lo_u32 v2, v2, 24
	v_mul_hi_u32 v3, v1, 24
	v_add_u32_e32 v3, v3, v2
	v_mul_lo_u32 v2, v1, 24
	s_waitcnt vmcnt(0)
	v_lshl_add_u64 v[2:3], v[4:5], 0, v[2:3]
	global_load_dwordx2 v[4:5], v[2:3], off sc0 sc1
	s_waitcnt vmcnt(0)
	global_atomic_cmpswap_x2 v[4:5], v0, v[4:7], s[2:3] offset:24 sc0 sc1
	s_waitcnt vmcnt(0)
	buffer_inv sc0 sc1
	v_cmp_ne_u64_e32 vcc, v[4:5], v[6:7]
	s_and_saveexec_b64 s[6:7], vcc
	s_cbranch_execz .LBB3_7
; %bb.4:
	s_mov_b64 s[8:9], 0
.LBB3_5:                                ; =>This Inner Loop Header: Depth=1
	s_sleep 1
	global_load_dwordx2 v[2:3], v0, s[2:3] offset:40
	global_load_dwordx2 v[8:9], v0, s[2:3]
	v_mov_b64_e32 v[6:7], v[4:5]
	s_waitcnt vmcnt(1)
	v_and_b32_e32 v2, v2, v6
	v_and_b32_e32 v1, v3, v7
	s_waitcnt vmcnt(0)
	v_mad_u64_u32 v[2:3], s[10:11], v2, 24, v[8:9]
	v_mov_b32_e32 v4, v3
	v_mad_u64_u32 v[4:5], s[10:11], v1, 24, v[4:5]
	v_mov_b32_e32 v3, v4
	global_load_dwordx2 v[4:5], v[2:3], off sc0 sc1
	s_waitcnt vmcnt(0)
	global_atomic_cmpswap_x2 v[4:5], v0, v[4:7], s[2:3] offset:24 sc0 sc1
	s_waitcnt vmcnt(0)
	buffer_inv sc0 sc1
	v_cmp_eq_u64_e32 vcc, v[4:5], v[6:7]
	s_or_b64 s[8:9], vcc, s[8:9]
	s_andn2_b64 exec, exec, s[8:9]
	s_cbranch_execnz .LBB3_5
; %bb.6:
	s_or_b64 exec, exec, s[8:9]
.LBB3_7:
	s_or_b64 exec, exec, s[6:7]
.LBB3_8:
	s_or_b64 exec, exec, s[4:5]
	v_mov_b32_e32 v25, 0
	s_waitcnt lgkmcnt(0)
	global_load_dwordx2 v[6:7], v25, s[2:3] offset:40
	global_load_dwordx4 v[0:3], v25, s[2:3]
	v_readfirstlane_b32 s5, v5
	v_readfirstlane_b32 s4, v4
	s_mov_b64 s[6:7], exec
	s_waitcnt vmcnt(1)
	v_readfirstlane_b32 s8, v6
	v_readfirstlane_b32 s9, v7
	s_and_b64 s[8:9], s[8:9], s[4:5]
	s_mul_i32 s10, s9, 24
	s_mul_hi_u32 s11, s8, 24
	s_add_i32 s11, s11, s10
	s_mul_i32 s10, s8, 24
	s_waitcnt vmcnt(0)
	v_lshl_add_u64 v[4:5], v[0:1], 0, s[10:11]
	s_and_saveexec_b64 s[10:11], s[0:1]
	s_cbranch_execz .LBB3_10
; %bb.9:
	v_mov_b64_e32 v[6:7], s[6:7]
	v_mov_b32_e32 v8, 2
	v_mov_b32_e32 v9, 1
	global_store_dwordx4 v[4:5], v[6:9], off offset:8
.LBB3_10:
	s_or_b64 exec, exec, s[10:11]
	s_lshl_b64 s[6:7], s[8:9], 12
	v_lshl_add_u64 v[6:7], v[2:3], 0, s[6:7]
	s_mov_b32 s8, 0
	v_lshlrev_b32_e32 v24, 6, v32
	v_mov_b32_e32 v8, 33
	v_mov_b32_e32 v9, v25
	;; [unrolled: 1-line block ×4, first 2 shown]
	v_readfirstlane_b32 s6, v6
	v_readfirstlane_b32 s7, v7
	s_mov_b32 s9, s8
	s_mov_b32 s10, s8
	;; [unrolled: 1-line block ×3, first 2 shown]
	s_nop 1
	global_store_dwordx4 v24, v[8:11], s[6:7]
	s_nop 1
	v_mov_b64_e32 v[8:9], s[8:9]
	v_mov_b64_e32 v[10:11], s[10:11]
	global_store_dwordx4 v24, v[8:11], s[6:7] offset:16
	global_store_dwordx4 v24, v[8:11], s[6:7] offset:32
	;; [unrolled: 1-line block ×3, first 2 shown]
	s_and_saveexec_b64 s[6:7], s[0:1]
	s_cbranch_execz .LBB3_18
; %bb.11:
	v_mov_b32_e32 v10, 0
	global_load_dwordx2 v[14:15], v10, s[2:3] offset:32 sc0 sc1
	global_load_dwordx2 v[2:3], v10, s[2:3] offset:40
	v_mov_b32_e32 v12, s4
	v_mov_b32_e32 v13, s5
	s_waitcnt vmcnt(0)
	v_and_b32_e32 v2, s4, v2
	v_and_b32_e32 v3, s5, v3
	v_mul_lo_u32 v3, v3, 24
	v_mul_hi_u32 v8, v2, 24
	v_mul_lo_u32 v2, v2, 24
	v_add_u32_e32 v3, v8, v3
	v_lshl_add_u64 v[8:9], v[0:1], 0, v[2:3]
	global_store_dwordx2 v[8:9], v[14:15], off
	buffer_wbl2 sc0 sc1
	s_waitcnt vmcnt(0)
	global_atomic_cmpswap_x2 v[2:3], v10, v[12:15], s[2:3] offset:32 sc0 sc1
	s_waitcnt vmcnt(0)
	v_cmp_ne_u64_e32 vcc, v[2:3], v[14:15]
	s_and_saveexec_b64 s[8:9], vcc
	s_cbranch_execz .LBB3_14
; %bb.12:
	s_mov_b64 s[10:11], 0
.LBB3_13:                               ; =>This Inner Loop Header: Depth=1
	s_sleep 1
	global_store_dwordx2 v[8:9], v[2:3], off
	v_mov_b32_e32 v0, s4
	v_mov_b32_e32 v1, s5
	buffer_wbl2 sc0 sc1
	s_waitcnt vmcnt(0)
	global_atomic_cmpswap_x2 v[0:1], v10, v[0:3], s[2:3] offset:32 sc0 sc1
	s_waitcnt vmcnt(0)
	v_cmp_eq_u64_e32 vcc, v[0:1], v[2:3]
	s_or_b64 s[10:11], vcc, s[10:11]
	v_mov_b64_e32 v[2:3], v[0:1]
	s_andn2_b64 exec, exec, s[10:11]
	s_cbranch_execnz .LBB3_13
.LBB3_14:
	s_or_b64 exec, exec, s[8:9]
	v_mov_b32_e32 v3, 0
	global_load_dwordx2 v[0:1], v3, s[2:3] offset:16
	s_mov_b64 s[8:9], exec
	v_mbcnt_lo_u32_b32 v2, s8, 0
	v_mbcnt_hi_u32_b32 v2, s9, v2
	v_cmp_eq_u32_e32 vcc, 0, v2
	s_and_saveexec_b64 s[10:11], vcc
	s_cbranch_execz .LBB3_16
; %bb.15:
	s_bcnt1_i32_b64 s8, s[8:9]
	v_mov_b32_e32 v2, s8
	buffer_wbl2 sc0 sc1
	s_waitcnt vmcnt(0)
	global_atomic_add_x2 v[0:1], v[2:3], off offset:8 sc1
.LBB3_16:
	s_or_b64 exec, exec, s[10:11]
	s_waitcnt vmcnt(0)
	global_load_dwordx2 v[2:3], v[0:1], off offset:16
	s_waitcnt vmcnt(0)
	v_cmp_eq_u64_e32 vcc, 0, v[2:3]
	s_cbranch_vccnz .LBB3_18
; %bb.17:
	global_load_dword v0, v[0:1], off offset:24
	v_mov_b32_e32 v1, 0
	s_waitcnt vmcnt(0)
	v_readfirstlane_b32 s8, v0
	s_and_b32 m0, s8, 0xffffff
	buffer_wbl2 sc0 sc1
	global_store_dwordx2 v[2:3], v[0:1], off sc0 sc1
	s_sendmsg sendmsg(MSG_INTERRUPT)
.LBB3_18:
	s_or_b64 exec, exec, s[6:7]
	v_lshl_add_u64 v[0:1], v[6:7], 0, v[24:25]
	s_branch .LBB3_22
.LBB3_19:                               ;   in Loop: Header=BB3_22 Depth=1
	s_or_b64 exec, exec, s[6:7]
	v_readfirstlane_b32 s6, v2
	s_cmp_eq_u32 s6, 0
	s_cbranch_scc1 .LBB3_21
; %bb.20:                               ;   in Loop: Header=BB3_22 Depth=1
	s_sleep 1
	s_cbranch_execnz .LBB3_22
	s_branch .LBB3_24
.LBB3_21:
	s_branch .LBB3_24
.LBB3_22:                               ; =>This Inner Loop Header: Depth=1
	v_mov_b32_e32 v2, 1
	s_and_saveexec_b64 s[6:7], s[0:1]
	s_cbranch_execz .LBB3_19
; %bb.23:                               ;   in Loop: Header=BB3_22 Depth=1
	global_load_dword v2, v[4:5], off offset:20 sc0 sc1
	s_waitcnt vmcnt(0)
	buffer_inv sc0 sc1
	v_and_b32_e32 v2, 1, v2
	s_branch .LBB3_19
.LBB3_24:
	global_load_dwordx2 v[4:5], v[0:1], off
	s_and_saveexec_b64 s[6:7], s[0:1]
	s_cbranch_execz .LBB3_27
; %bb.25:
	v_mov_b32_e32 v8, 0
	global_load_dwordx2 v[0:1], v8, s[2:3] offset:40
	global_load_dwordx2 v[12:13], v8, s[2:3] offset:24 sc0 sc1
	global_load_dwordx2 v[2:3], v8, s[2:3]
	s_waitcnt vmcnt(2)
	v_readfirstlane_b32 s8, v0
	v_readfirstlane_b32 s9, v1
	s_add_u32 s10, s8, 1
	s_addc_u32 s11, s9, 0
	s_add_u32 s0, s10, s4
	s_addc_u32 s1, s11, s5
	s_cmp_eq_u64 s[0:1], 0
	s_cselect_b32 s1, s11, s1
	s_cselect_b32 s0, s10, s0
	s_and_b64 s[4:5], s[0:1], s[8:9]
	s_mul_i32 s5, s5, 24
	s_mul_hi_u32 s8, s4, 24
	s_mul_i32 s4, s4, 24
	s_add_i32 s5, s8, s5
	s_waitcnt vmcnt(0)
	v_lshl_add_u64 v[6:7], v[2:3], 0, s[4:5]
	v_mov_b32_e32 v10, s0
	global_store_dwordx2 v[6:7], v[12:13], off
	v_mov_b32_e32 v11, s1
	buffer_wbl2 sc0 sc1
	s_waitcnt vmcnt(0)
	global_atomic_cmpswap_x2 v[2:3], v8, v[10:13], s[2:3] offset:24 sc0 sc1
	s_mov_b64 s[4:5], 0
	s_waitcnt vmcnt(0)
	v_cmp_ne_u64_e32 vcc, v[2:3], v[12:13]
	s_and_b64 exec, exec, vcc
	s_cbranch_execz .LBB3_27
.LBB3_26:                               ; =>This Inner Loop Header: Depth=1
	s_sleep 1
	global_store_dwordx2 v[6:7], v[2:3], off
	v_mov_b32_e32 v0, s0
	v_mov_b32_e32 v1, s1
	buffer_wbl2 sc0 sc1
	s_waitcnt vmcnt(0)
	global_atomic_cmpswap_x2 v[0:1], v8, v[0:3], s[2:3] offset:24 sc0 sc1
	s_waitcnt vmcnt(0)
	v_cmp_eq_u64_e32 vcc, v[0:1], v[2:3]
	s_or_b64 s[4:5], vcc, s[4:5]
	v_mov_b64_e32 v[2:3], v[0:1]
	s_andn2_b64 exec, exec, s[4:5]
	s_cbranch_execnz .LBB3_26
.LBB3_27:
	s_or_b64 exec, exec, s[6:7]
	s_getpc_b64 s[4:5]
	s_add_u32 s4, s4, .str.10@rel32@lo+4
	s_addc_u32 s5, s5, .str.10@rel32@hi+12
	s_cmp_lg_u64 s[4:5], 0
	s_cbranch_scc0 .LBB3_112
; %bb.28:
	s_waitcnt vmcnt(0)
	v_and_b32_e32 v26, 2, v4
	v_mov_b32_e32 v29, 0
	v_and_b32_e32 v0, -3, v4
	v_mov_b32_e32 v1, v5
	s_mov_b64 s[6:7], 4
	v_mov_b32_e32 v36, 2
	v_mov_b32_e32 v37, 1
	s_branch .LBB3_30
.LBB3_29:                               ;   in Loop: Header=BB3_30 Depth=1
	s_or_b64 exec, exec, s[12:13]
	s_sub_u32 s6, s6, s8
	s_subb_u32 s7, s7, s9
	s_add_u32 s4, s4, s8
	s_addc_u32 s5, s5, s9
	s_cmp_lg_u64 s[6:7], 0
	s_cbranch_scc0 .LBB3_113
.LBB3_30:                               ; =>This Loop Header: Depth=1
                                        ;     Child Loop BB3_33 Depth 2
                                        ;     Child Loop BB3_41 Depth 2
	;; [unrolled: 1-line block ×11, first 2 shown]
	v_cmp_lt_u64_e64 s[0:1], s[6:7], 56
	s_and_b64 s[0:1], s[0:1], exec
	s_cselect_b32 s9, s7, 0
	s_cselect_b32 s8, s6, 56
	v_cmp_gt_u64_e64 s[10:11], s[6:7], 7
	s_add_u32 s0, s4, 8
	s_addc_u32 s1, s5, 0
	s_and_b64 vcc, exec, s[10:11]
	s_cbranch_vccnz .LBB3_34
; %bb.31:                               ;   in Loop: Header=BB3_30 Depth=1
	s_cmp_eq_u64 s[6:7], 0
	s_cbranch_scc1 .LBB3_35
; %bb.32:                               ;   in Loop: Header=BB3_30 Depth=1
	s_lshl_b64 s[0:1], s[8:9], 3
	s_mov_b64 s[10:11], 0
	v_mov_b64_e32 v[2:3], 0
	s_mov_b64 s[12:13], s[4:5]
.LBB3_33:                               ;   Parent Loop BB3_30 Depth=1
                                        ; =>  This Inner Loop Header: Depth=2
	global_load_ubyte v6, v29, s[12:13]
	s_waitcnt vmcnt(0)
	v_and_b32_e32 v28, 0xffff, v6
	v_lshlrev_b64 v[6:7], s10, v[28:29]
	s_add_u32 s10, s10, 8
	s_addc_u32 s11, s11, 0
	s_add_u32 s12, s12, 1
	s_addc_u32 s13, s13, 0
	v_or_b32_e32 v2, v6, v2
	s_cmp_lg_u32 s0, s10
	v_or_b32_e32 v3, v7, v3
	s_cbranch_scc1 .LBB3_33
	s_branch .LBB3_36
.LBB3_34:                               ;   in Loop: Header=BB3_30 Depth=1
	s_mov_b32 s14, 0
	s_branch .LBB3_37
.LBB3_35:                               ;   in Loop: Header=BB3_30 Depth=1
	v_mov_b64_e32 v[2:3], 0
.LBB3_36:                               ;   in Loop: Header=BB3_30 Depth=1
	s_mov_b64 s[0:1], s[4:5]
	s_mov_b32 s14, 0
	s_cbranch_execnz .LBB3_38
.LBB3_37:                               ;   in Loop: Header=BB3_30 Depth=1
	global_load_dwordx2 v[2:3], v29, s[4:5]
	s_add_i32 s14, s8, -8
.LBB3_38:                               ;   in Loop: Header=BB3_30 Depth=1
	s_add_u32 s10, s0, 8
	s_addc_u32 s11, s1, 0
	s_cmp_gt_u32 s14, 7
	s_cbranch_scc1 .LBB3_42
; %bb.39:                               ;   in Loop: Header=BB3_30 Depth=1
	s_cmp_eq_u32 s14, 0
	s_cbranch_scc1 .LBB3_43
; %bb.40:                               ;   in Loop: Header=BB3_30 Depth=1
	s_mov_b64 s[10:11], 0
	v_mov_b64_e32 v[6:7], 0
	s_mov_b64 s[12:13], 0
.LBB3_41:                               ;   Parent Loop BB3_30 Depth=1
                                        ; =>  This Inner Loop Header: Depth=2
	s_add_u32 s16, s0, s12
	s_addc_u32 s17, s1, s13
	global_load_ubyte v8, v29, s[16:17]
	s_add_u32 s12, s12, 1
	s_addc_u32 s13, s13, 0
	s_waitcnt vmcnt(0)
	v_and_b32_e32 v28, 0xffff, v8
	v_lshlrev_b64 v[8:9], s10, v[28:29]
	s_add_u32 s10, s10, 8
	s_addc_u32 s11, s11, 0
	v_or_b32_e32 v6, v8, v6
	s_cmp_lg_u32 s14, s12
	v_or_b32_e32 v7, v9, v7
	s_cbranch_scc1 .LBB3_41
	s_branch .LBB3_44
.LBB3_42:                               ;   in Loop: Header=BB3_30 Depth=1
                                        ; implicit-def: $vgpr6_vgpr7
	s_mov_b32 s15, 0
	s_branch .LBB3_45
.LBB3_43:                               ;   in Loop: Header=BB3_30 Depth=1
	v_mov_b64_e32 v[6:7], 0
.LBB3_44:                               ;   in Loop: Header=BB3_30 Depth=1
	s_mov_b64 s[10:11], s[0:1]
	s_mov_b32 s15, 0
	s_cbranch_execnz .LBB3_46
.LBB3_45:                               ;   in Loop: Header=BB3_30 Depth=1
	global_load_dwordx2 v[6:7], v29, s[0:1]
	s_add_i32 s15, s14, -8
.LBB3_46:                               ;   in Loop: Header=BB3_30 Depth=1
	s_add_u32 s0, s10, 8
	s_addc_u32 s1, s11, 0
	s_cmp_gt_u32 s15, 7
	s_cbranch_scc1 .LBB3_50
; %bb.47:                               ;   in Loop: Header=BB3_30 Depth=1
	s_cmp_eq_u32 s15, 0
	s_cbranch_scc1 .LBB3_51
; %bb.48:                               ;   in Loop: Header=BB3_30 Depth=1
	s_mov_b64 s[0:1], 0
	v_mov_b64_e32 v[8:9], 0
	s_mov_b64 s[12:13], 0
.LBB3_49:                               ;   Parent Loop BB3_30 Depth=1
                                        ; =>  This Inner Loop Header: Depth=2
	s_add_u32 s16, s10, s12
	s_addc_u32 s17, s11, s13
	global_load_ubyte v10, v29, s[16:17]
	s_add_u32 s12, s12, 1
	s_addc_u32 s13, s13, 0
	s_waitcnt vmcnt(0)
	v_and_b32_e32 v28, 0xffff, v10
	v_lshlrev_b64 v[10:11], s0, v[28:29]
	s_add_u32 s0, s0, 8
	s_addc_u32 s1, s1, 0
	v_or_b32_e32 v8, v10, v8
	s_cmp_lg_u32 s15, s12
	v_or_b32_e32 v9, v11, v9
	s_cbranch_scc1 .LBB3_49
	s_branch .LBB3_52
.LBB3_50:                               ;   in Loop: Header=BB3_30 Depth=1
	s_mov_b32 s14, 0
	s_branch .LBB3_53
.LBB3_51:                               ;   in Loop: Header=BB3_30 Depth=1
	v_mov_b64_e32 v[8:9], 0
.LBB3_52:                               ;   in Loop: Header=BB3_30 Depth=1
	s_mov_b64 s[0:1], s[10:11]
	s_mov_b32 s14, 0
	s_cbranch_execnz .LBB3_54
.LBB3_53:                               ;   in Loop: Header=BB3_30 Depth=1
	global_load_dwordx2 v[8:9], v29, s[10:11]
	s_add_i32 s14, s15, -8
.LBB3_54:                               ;   in Loop: Header=BB3_30 Depth=1
	s_add_u32 s10, s0, 8
	s_addc_u32 s11, s1, 0
	s_cmp_gt_u32 s14, 7
	s_cbranch_scc1 .LBB3_58
; %bb.55:                               ;   in Loop: Header=BB3_30 Depth=1
	s_cmp_eq_u32 s14, 0
	s_cbranch_scc1 .LBB3_59
; %bb.56:                               ;   in Loop: Header=BB3_30 Depth=1
	s_mov_b64 s[10:11], 0
	v_mov_b64_e32 v[10:11], 0
	s_mov_b64 s[12:13], 0
.LBB3_57:                               ;   Parent Loop BB3_30 Depth=1
                                        ; =>  This Inner Loop Header: Depth=2
	s_add_u32 s16, s0, s12
	s_addc_u32 s17, s1, s13
	global_load_ubyte v12, v29, s[16:17]
	s_add_u32 s12, s12, 1
	s_addc_u32 s13, s13, 0
	s_waitcnt vmcnt(0)
	v_and_b32_e32 v28, 0xffff, v12
	v_lshlrev_b64 v[12:13], s10, v[28:29]
	s_add_u32 s10, s10, 8
	s_addc_u32 s11, s11, 0
	v_or_b32_e32 v10, v12, v10
	s_cmp_lg_u32 s14, s12
	v_or_b32_e32 v11, v13, v11
	s_cbranch_scc1 .LBB3_57
	s_branch .LBB3_60
.LBB3_58:                               ;   in Loop: Header=BB3_30 Depth=1
                                        ; implicit-def: $vgpr10_vgpr11
	s_mov_b32 s15, 0
	s_branch .LBB3_61
.LBB3_59:                               ;   in Loop: Header=BB3_30 Depth=1
	v_mov_b64_e32 v[10:11], 0
.LBB3_60:                               ;   in Loop: Header=BB3_30 Depth=1
	s_mov_b64 s[10:11], s[0:1]
	s_mov_b32 s15, 0
	s_cbranch_execnz .LBB3_62
.LBB3_61:                               ;   in Loop: Header=BB3_30 Depth=1
	global_load_dwordx2 v[10:11], v29, s[0:1]
	s_add_i32 s15, s14, -8
.LBB3_62:                               ;   in Loop: Header=BB3_30 Depth=1
	s_add_u32 s0, s10, 8
	s_addc_u32 s1, s11, 0
	s_cmp_gt_u32 s15, 7
	s_cbranch_scc1 .LBB3_66
; %bb.63:                               ;   in Loop: Header=BB3_30 Depth=1
	s_cmp_eq_u32 s15, 0
	s_cbranch_scc1 .LBB3_67
; %bb.64:                               ;   in Loop: Header=BB3_30 Depth=1
	s_mov_b64 s[0:1], 0
	v_mov_b64_e32 v[12:13], 0
	s_mov_b64 s[12:13], 0
.LBB3_65:                               ;   Parent Loop BB3_30 Depth=1
                                        ; =>  This Inner Loop Header: Depth=2
	s_add_u32 s16, s10, s12
	s_addc_u32 s17, s11, s13
	global_load_ubyte v14, v29, s[16:17]
	s_add_u32 s12, s12, 1
	s_addc_u32 s13, s13, 0
	s_waitcnt vmcnt(0)
	v_and_b32_e32 v28, 0xffff, v14
	v_lshlrev_b64 v[14:15], s0, v[28:29]
	s_add_u32 s0, s0, 8
	s_addc_u32 s1, s1, 0
	v_or_b32_e32 v12, v14, v12
	s_cmp_lg_u32 s15, s12
	v_or_b32_e32 v13, v15, v13
	s_cbranch_scc1 .LBB3_65
	s_branch .LBB3_68
.LBB3_66:                               ;   in Loop: Header=BB3_30 Depth=1
	s_mov_b32 s14, 0
	s_branch .LBB3_69
.LBB3_67:                               ;   in Loop: Header=BB3_30 Depth=1
	v_mov_b64_e32 v[12:13], 0
.LBB3_68:                               ;   in Loop: Header=BB3_30 Depth=1
	s_mov_b64 s[0:1], s[10:11]
	s_mov_b32 s14, 0
	s_cbranch_execnz .LBB3_70
.LBB3_69:                               ;   in Loop: Header=BB3_30 Depth=1
	global_load_dwordx2 v[12:13], v29, s[10:11]
	s_add_i32 s14, s15, -8
.LBB3_70:                               ;   in Loop: Header=BB3_30 Depth=1
	s_add_u32 s10, s0, 8
	s_addc_u32 s11, s1, 0
	s_cmp_gt_u32 s14, 7
	s_cbranch_scc1 .LBB3_74
; %bb.71:                               ;   in Loop: Header=BB3_30 Depth=1
	s_cmp_eq_u32 s14, 0
	s_cbranch_scc1 .LBB3_75
; %bb.72:                               ;   in Loop: Header=BB3_30 Depth=1
	s_mov_b64 s[10:11], 0
	v_mov_b64_e32 v[14:15], 0
	s_mov_b64 s[12:13], 0
.LBB3_73:                               ;   Parent Loop BB3_30 Depth=1
                                        ; =>  This Inner Loop Header: Depth=2
	s_add_u32 s16, s0, s12
	s_addc_u32 s17, s1, s13
	global_load_ubyte v16, v29, s[16:17]
	s_add_u32 s12, s12, 1
	s_addc_u32 s13, s13, 0
	s_waitcnt vmcnt(0)
	v_and_b32_e32 v28, 0xffff, v16
	v_lshlrev_b64 v[16:17], s10, v[28:29]
	s_add_u32 s10, s10, 8
	s_addc_u32 s11, s11, 0
	v_or_b32_e32 v14, v16, v14
	s_cmp_lg_u32 s14, s12
	v_or_b32_e32 v15, v17, v15
	s_cbranch_scc1 .LBB3_73
	s_branch .LBB3_76
.LBB3_74:                               ;   in Loop: Header=BB3_30 Depth=1
                                        ; implicit-def: $vgpr14_vgpr15
	s_mov_b32 s15, 0
	s_branch .LBB3_77
.LBB3_75:                               ;   in Loop: Header=BB3_30 Depth=1
	v_mov_b64_e32 v[14:15], 0
.LBB3_76:                               ;   in Loop: Header=BB3_30 Depth=1
	s_mov_b64 s[10:11], s[0:1]
	s_mov_b32 s15, 0
	s_cbranch_execnz .LBB3_78
.LBB3_77:                               ;   in Loop: Header=BB3_30 Depth=1
	global_load_dwordx2 v[14:15], v29, s[0:1]
	s_add_i32 s15, s14, -8
.LBB3_78:                               ;   in Loop: Header=BB3_30 Depth=1
	s_cmp_gt_u32 s15, 7
	s_cbranch_scc1 .LBB3_82
; %bb.79:                               ;   in Loop: Header=BB3_30 Depth=1
	s_cmp_eq_u32 s15, 0
	s_cbranch_scc1 .LBB3_83
; %bb.80:                               ;   in Loop: Header=BB3_30 Depth=1
	s_mov_b64 s[0:1], 0
	v_mov_b64_e32 v[16:17], 0
	s_mov_b64 s[12:13], s[10:11]
.LBB3_81:                               ;   Parent Loop BB3_30 Depth=1
                                        ; =>  This Inner Loop Header: Depth=2
	global_load_ubyte v18, v29, s[12:13]
	s_add_i32 s15, s15, -1
	s_waitcnt vmcnt(0)
	v_and_b32_e32 v28, 0xffff, v18
	v_lshlrev_b64 v[18:19], s0, v[28:29]
	s_add_u32 s0, s0, 8
	s_addc_u32 s1, s1, 0
	s_add_u32 s12, s12, 1
	s_addc_u32 s13, s13, 0
	v_or_b32_e32 v16, v18, v16
	s_cmp_lg_u32 s15, 0
	v_or_b32_e32 v17, v19, v17
	s_cbranch_scc1 .LBB3_81
	s_branch .LBB3_84
.LBB3_82:                               ;   in Loop: Header=BB3_30 Depth=1
	s_branch .LBB3_85
.LBB3_83:                               ;   in Loop: Header=BB3_30 Depth=1
	v_mov_b64_e32 v[16:17], 0
.LBB3_84:                               ;   in Loop: Header=BB3_30 Depth=1
	s_cbranch_execnz .LBB3_86
.LBB3_85:                               ;   in Loop: Header=BB3_30 Depth=1
	global_load_dwordx2 v[16:17], v29, s[10:11]
.LBB3_86:                               ;   in Loop: Header=BB3_30 Depth=1
	v_readfirstlane_b32 s0, v32
	v_mov_b64_e32 v[30:31], 0
	s_nop 0
	v_cmp_eq_u32_e64 s[0:1], s0, v32
	s_and_saveexec_b64 s[10:11], s[0:1]
	s_cbranch_execz .LBB3_92
; %bb.87:                               ;   in Loop: Header=BB3_30 Depth=1
	global_load_dwordx2 v[20:21], v29, s[2:3] offset:24 sc0 sc1
	s_waitcnt vmcnt(0)
	buffer_inv sc0 sc1
	global_load_dwordx2 v[18:19], v29, s[2:3] offset:40
	global_load_dwordx2 v[30:31], v29, s[2:3]
	s_waitcnt vmcnt(1)
	v_and_b32_e32 v18, v18, v20
	v_and_b32_e32 v19, v19, v21
	v_mul_lo_u32 v19, v19, 24
	v_mul_hi_u32 v25, v18, 24
	v_add_u32_e32 v19, v25, v19
	v_mul_lo_u32 v18, v18, 24
	s_waitcnt vmcnt(0)
	v_lshl_add_u64 v[18:19], v[30:31], 0, v[18:19]
	global_load_dwordx2 v[18:19], v[18:19], off sc0 sc1
	s_waitcnt vmcnt(0)
	global_atomic_cmpswap_x2 v[30:31], v29, v[18:21], s[2:3] offset:24 sc0 sc1
	s_waitcnt vmcnt(0)
	buffer_inv sc0 sc1
	v_cmp_ne_u64_e32 vcc, v[30:31], v[20:21]
	s_and_saveexec_b64 s[12:13], vcc
	s_cbranch_execz .LBB3_91
; %bb.88:                               ;   in Loop: Header=BB3_30 Depth=1
	s_mov_b64 s[14:15], 0
.LBB3_89:                               ;   Parent Loop BB3_30 Depth=1
                                        ; =>  This Inner Loop Header: Depth=2
	s_sleep 1
	global_load_dwordx2 v[18:19], v29, s[2:3] offset:40
	global_load_dwordx2 v[34:35], v29, s[2:3]
	v_mov_b64_e32 v[20:21], v[30:31]
	s_waitcnt vmcnt(1)
	v_and_b32_e32 v18, v18, v20
	v_and_b32_e32 v25, v19, v21
	s_waitcnt vmcnt(0)
	v_mad_u64_u32 v[18:19], s[16:17], v18, 24, v[34:35]
	v_mov_b32_e32 v28, v19
	v_mad_u64_u32 v[30:31], s[16:17], v25, 24, v[28:29]
	v_mov_b32_e32 v19, v30
	global_load_dwordx2 v[18:19], v[18:19], off sc0 sc1
	s_waitcnt vmcnt(0)
	global_atomic_cmpswap_x2 v[30:31], v29, v[18:21], s[2:3] offset:24 sc0 sc1
	s_waitcnt vmcnt(0)
	buffer_inv sc0 sc1
	v_cmp_eq_u64_e32 vcc, v[30:31], v[20:21]
	s_or_b64 s[14:15], vcc, s[14:15]
	s_andn2_b64 exec, exec, s[14:15]
	s_cbranch_execnz .LBB3_89
; %bb.90:                               ;   in Loop: Header=BB3_30 Depth=1
	s_or_b64 exec, exec, s[14:15]
.LBB3_91:                               ;   in Loop: Header=BB3_30 Depth=1
	s_or_b64 exec, exec, s[12:13]
.LBB3_92:                               ;   in Loop: Header=BB3_30 Depth=1
	s_or_b64 exec, exec, s[10:11]
	global_load_dwordx2 v[34:35], v29, s[2:3] offset:40
	global_load_dwordx4 v[18:21], v29, s[2:3]
	v_readfirstlane_b32 s11, v31
	v_readfirstlane_b32 s10, v30
	s_mov_b64 s[12:13], exec
	s_waitcnt vmcnt(1)
	v_readfirstlane_b32 s14, v34
	v_readfirstlane_b32 s15, v35
	s_and_b64 s[14:15], s[14:15], s[10:11]
	s_mul_i32 s16, s15, 24
	s_mul_hi_u32 s17, s14, 24
	s_add_i32 s17, s17, s16
	s_mul_i32 s16, s14, 24
	s_waitcnt vmcnt(0)
	v_lshl_add_u64 v[30:31], v[18:19], 0, s[16:17]
	s_and_saveexec_b64 s[16:17], s[0:1]
	s_cbranch_execz .LBB3_94
; %bb.93:                               ;   in Loop: Header=BB3_30 Depth=1
	v_mov_b64_e32 v[34:35], s[12:13]
	global_store_dwordx4 v[30:31], v[34:37], off offset:8
.LBB3_94:                               ;   in Loop: Header=BB3_30 Depth=1
	s_or_b64 exec, exec, s[16:17]
	s_lshl_b64 s[12:13], s[14:15], 12
	v_lshl_add_u64 v[20:21], v[20:21], 0, s[12:13]
	v_cmp_lt_u64_e64 vcc, s[6:7], 57
	s_lshl_b32 s12, s8, 2
	s_add_i32 s12, s12, 28
	v_cndmask_b32_e32 v25, 0, v26, vcc
	v_and_b32_e32 v0, 0xffffff1f, v0
	s_and_b32 s12, s12, 0x1e0
	v_or_b32_e32 v0, v0, v25
	v_or_b32_e32 v0, s12, v0
	v_readfirstlane_b32 s12, v20
	v_readfirstlane_b32 s13, v21
	s_nop 4
	global_store_dwordx4 v24, v[0:3], s[12:13]
	global_store_dwordx4 v24, v[6:9], s[12:13] offset:16
	global_store_dwordx4 v24, v[10:13], s[12:13] offset:32
	;; [unrolled: 1-line block ×3, first 2 shown]
	s_and_saveexec_b64 s[12:13], s[0:1]
	s_cbranch_execz .LBB3_102
; %bb.95:                               ;   in Loop: Header=BB3_30 Depth=1
	global_load_dwordx2 v[10:11], v29, s[2:3] offset:32 sc0 sc1
	global_load_dwordx2 v[0:1], v29, s[2:3] offset:40
	v_mov_b32_e32 v8, s10
	v_mov_b32_e32 v9, s11
	s_waitcnt vmcnt(0)
	v_readfirstlane_b32 s14, v0
	v_readfirstlane_b32 s15, v1
	s_and_b64 s[14:15], s[14:15], s[10:11]
	s_mul_i32 s15, s15, 24
	s_mul_hi_u32 s16, s14, 24
	s_mul_i32 s14, s14, 24
	s_add_i32 s15, s16, s15
	v_lshl_add_u64 v[6:7], v[18:19], 0, s[14:15]
	global_store_dwordx2 v[6:7], v[10:11], off
	buffer_wbl2 sc0 sc1
	s_waitcnt vmcnt(0)
	global_atomic_cmpswap_x2 v[2:3], v29, v[8:11], s[2:3] offset:32 sc0 sc1
	s_waitcnt vmcnt(0)
	v_cmp_ne_u64_e32 vcc, v[2:3], v[10:11]
	s_and_saveexec_b64 s[14:15], vcc
	s_cbranch_execz .LBB3_98
; %bb.96:                               ;   in Loop: Header=BB3_30 Depth=1
	s_mov_b64 s[16:17], 0
.LBB3_97:                               ;   Parent Loop BB3_30 Depth=1
                                        ; =>  This Inner Loop Header: Depth=2
	s_sleep 1
	global_store_dwordx2 v[6:7], v[2:3], off
	v_mov_b32_e32 v0, s10
	v_mov_b32_e32 v1, s11
	buffer_wbl2 sc0 sc1
	s_waitcnt vmcnt(0)
	global_atomic_cmpswap_x2 v[0:1], v29, v[0:3], s[2:3] offset:32 sc0 sc1
	s_waitcnt vmcnt(0)
	v_cmp_eq_u64_e32 vcc, v[0:1], v[2:3]
	s_or_b64 s[16:17], vcc, s[16:17]
	v_mov_b64_e32 v[2:3], v[0:1]
	s_andn2_b64 exec, exec, s[16:17]
	s_cbranch_execnz .LBB3_97
.LBB3_98:                               ;   in Loop: Header=BB3_30 Depth=1
	s_or_b64 exec, exec, s[14:15]
	global_load_dwordx2 v[0:1], v29, s[2:3] offset:16
	s_mov_b64 s[16:17], exec
	v_mbcnt_lo_u32_b32 v2, s16, 0
	v_mbcnt_hi_u32_b32 v2, s17, v2
	v_cmp_eq_u32_e32 vcc, 0, v2
	s_and_saveexec_b64 s[14:15], vcc
	s_cbranch_execz .LBB3_100
; %bb.99:                               ;   in Loop: Header=BB3_30 Depth=1
	s_bcnt1_i32_b64 s16, s[16:17]
	v_mov_b32_e32 v28, s16
	buffer_wbl2 sc0 sc1
	s_waitcnt vmcnt(0)
	global_atomic_add_x2 v[0:1], v[28:29], off offset:8 sc1
.LBB3_100:                              ;   in Loop: Header=BB3_30 Depth=1
	s_or_b64 exec, exec, s[14:15]
	s_waitcnt vmcnt(0)
	global_load_dwordx2 v[2:3], v[0:1], off offset:16
	s_waitcnt vmcnt(0)
	v_cmp_eq_u64_e32 vcc, 0, v[2:3]
	s_cbranch_vccnz .LBB3_102
; %bb.101:                              ;   in Loop: Header=BB3_30 Depth=1
	global_load_dword v28, v[0:1], off offset:24
	s_waitcnt vmcnt(0)
	v_readfirstlane_b32 s14, v28
	s_and_b32 m0, s14, 0xffffff
	buffer_wbl2 sc0 sc1
	global_store_dwordx2 v[2:3], v[28:29], off sc0 sc1
	s_sendmsg sendmsg(MSG_INTERRUPT)
.LBB3_102:                              ;   in Loop: Header=BB3_30 Depth=1
	s_or_b64 exec, exec, s[12:13]
	v_mov_b32_e32 v25, v29
	v_lshl_add_u64 v[0:1], v[20:21], 0, v[24:25]
	s_branch .LBB3_106
.LBB3_103:                              ;   in Loop: Header=BB3_106 Depth=2
	s_or_b64 exec, exec, s[12:13]
	v_readfirstlane_b32 s12, v2
	s_cmp_eq_u32 s12, 0
	s_cbranch_scc1 .LBB3_105
; %bb.104:                              ;   in Loop: Header=BB3_106 Depth=2
	s_sleep 1
	s_cbranch_execnz .LBB3_106
	s_branch .LBB3_108
.LBB3_105:                              ;   in Loop: Header=BB3_30 Depth=1
	s_branch .LBB3_108
.LBB3_106:                              ;   Parent Loop BB3_30 Depth=1
                                        ; =>  This Inner Loop Header: Depth=2
	v_mov_b32_e32 v2, 1
	s_and_saveexec_b64 s[12:13], s[0:1]
	s_cbranch_execz .LBB3_103
; %bb.107:                              ;   in Loop: Header=BB3_106 Depth=2
	global_load_dword v2, v[30:31], off offset:20 sc0 sc1
	s_waitcnt vmcnt(0)
	buffer_inv sc0 sc1
	v_and_b32_e32 v2, 1, v2
	s_branch .LBB3_103
.LBB3_108:                              ;   in Loop: Header=BB3_30 Depth=1
	global_load_dwordx2 v[0:1], v[0:1], off
	s_and_saveexec_b64 s[12:13], s[0:1]
	s_cbranch_execz .LBB3_29
; %bb.109:                              ;   in Loop: Header=BB3_30 Depth=1
	global_load_dwordx2 v[2:3], v29, s[2:3] offset:40
	global_load_dwordx2 v[10:11], v29, s[2:3] offset:24 sc0 sc1
	global_load_dwordx2 v[6:7], v29, s[2:3]
	s_waitcnt vmcnt(2)
	v_readfirstlane_b32 s14, v2
	v_readfirstlane_b32 s15, v3
	s_add_u32 s16, s14, 1
	s_addc_u32 s17, s15, 0
	s_add_u32 s0, s16, s10
	s_addc_u32 s1, s17, s11
	s_cmp_eq_u64 s[0:1], 0
	s_cselect_b32 s1, s17, s1
	s_cselect_b32 s0, s16, s0
	s_and_b64 s[10:11], s[0:1], s[14:15]
	s_mul_i32 s11, s11, 24
	s_mul_hi_u32 s14, s10, 24
	s_mul_i32 s10, s10, 24
	s_add_i32 s11, s14, s11
	s_waitcnt vmcnt(0)
	v_lshl_add_u64 v[2:3], v[6:7], 0, s[10:11]
	v_mov_b32_e32 v8, s0
	global_store_dwordx2 v[2:3], v[10:11], off
	v_mov_b32_e32 v9, s1
	buffer_wbl2 sc0 sc1
	s_waitcnt vmcnt(0)
	global_atomic_cmpswap_x2 v[8:9], v29, v[8:11], s[2:3] offset:24 sc0 sc1
	s_waitcnt vmcnt(0)
	v_cmp_ne_u64_e32 vcc, v[8:9], v[10:11]
	s_and_b64 exec, exec, vcc
	s_cbranch_execz .LBB3_29
; %bb.110:                              ;   in Loop: Header=BB3_30 Depth=1
	s_mov_b64 s[10:11], 0
.LBB3_111:                              ;   Parent Loop BB3_30 Depth=1
                                        ; =>  This Inner Loop Header: Depth=2
	s_sleep 1
	global_store_dwordx2 v[2:3], v[8:9], off
	v_mov_b32_e32 v6, s0
	v_mov_b32_e32 v7, s1
	buffer_wbl2 sc0 sc1
	s_waitcnt vmcnt(0)
	global_atomic_cmpswap_x2 v[6:7], v29, v[6:9], s[2:3] offset:24 sc0 sc1
	s_waitcnt vmcnt(0)
	v_cmp_eq_u64_e32 vcc, v[6:7], v[8:9]
	s_or_b64 s[10:11], vcc, s[10:11]
	v_mov_b64_e32 v[8:9], v[6:7]
	s_andn2_b64 exec, exec, s[10:11]
	s_cbranch_execnz .LBB3_111
	s_branch .LBB3_29
.LBB3_112:
	s_mov_b64 s[0:1], -1
                                        ; implicit-def: $vgpr0_vgpr1
	s_branch .LBB3_114
.LBB3_113:
	s_mov_b64 s[0:1], 0
.LBB3_114:
	s_and_b64 vcc, exec, s[0:1]
	s_cbranch_vccz .LBB3_141
; %bb.115:
	v_readfirstlane_b32 s0, v32
	v_mov_b64_e32 v[6:7], 0
	s_nop 0
	v_cmp_eq_u32_e64 s[0:1], s0, v32
	s_and_saveexec_b64 s[4:5], s[0:1]
	s_cbranch_execz .LBB3_121
; %bb.116:
	s_waitcnt vmcnt(0)
	v_mov_b32_e32 v0, 0
	global_load_dwordx2 v[8:9], v0, s[2:3] offset:24 sc0 sc1
	s_waitcnt vmcnt(0)
	buffer_inv sc0 sc1
	global_load_dwordx2 v[2:3], v0, s[2:3] offset:40
	global_load_dwordx2 v[6:7], v0, s[2:3]
	s_waitcnt vmcnt(1)
	v_and_b32_e32 v1, v2, v8
	v_and_b32_e32 v2, v3, v9
	v_mul_lo_u32 v2, v2, 24
	v_mul_hi_u32 v3, v1, 24
	v_add_u32_e32 v3, v3, v2
	v_mul_lo_u32 v2, v1, 24
	s_waitcnt vmcnt(0)
	v_lshl_add_u64 v[2:3], v[6:7], 0, v[2:3]
	global_load_dwordx2 v[6:7], v[2:3], off sc0 sc1
	s_waitcnt vmcnt(0)
	global_atomic_cmpswap_x2 v[6:7], v0, v[6:9], s[2:3] offset:24 sc0 sc1
	s_waitcnt vmcnt(0)
	buffer_inv sc0 sc1
	v_cmp_ne_u64_e32 vcc, v[6:7], v[8:9]
	s_and_saveexec_b64 s[6:7], vcc
	s_cbranch_execz .LBB3_120
; %bb.117:
	s_mov_b64 s[8:9], 0
.LBB3_118:                              ; =>This Inner Loop Header: Depth=1
	s_sleep 1
	global_load_dwordx2 v[2:3], v0, s[2:3] offset:40
	global_load_dwordx2 v[10:11], v0, s[2:3]
	v_mov_b64_e32 v[8:9], v[6:7]
	s_waitcnt vmcnt(1)
	v_and_b32_e32 v2, v2, v8
	v_and_b32_e32 v1, v3, v9
	s_waitcnt vmcnt(0)
	v_mad_u64_u32 v[2:3], s[10:11], v2, 24, v[10:11]
	v_mov_b32_e32 v6, v3
	v_mad_u64_u32 v[6:7], s[10:11], v1, 24, v[6:7]
	v_mov_b32_e32 v3, v6
	global_load_dwordx2 v[6:7], v[2:3], off sc0 sc1
	s_waitcnt vmcnt(0)
	global_atomic_cmpswap_x2 v[6:7], v0, v[6:9], s[2:3] offset:24 sc0 sc1
	s_waitcnt vmcnt(0)
	buffer_inv sc0 sc1
	v_cmp_eq_u64_e32 vcc, v[6:7], v[8:9]
	s_or_b64 s[8:9], vcc, s[8:9]
	s_andn2_b64 exec, exec, s[8:9]
	s_cbranch_execnz .LBB3_118
; %bb.119:
	s_or_b64 exec, exec, s[8:9]
.LBB3_120:
	s_or_b64 exec, exec, s[6:7]
.LBB3_121:
	s_or_b64 exec, exec, s[4:5]
	v_mov_b32_e32 v25, 0
	global_load_dwordx2 v[8:9], v25, s[2:3] offset:40
	global_load_dwordx4 v[0:3], v25, s[2:3]
	v_readfirstlane_b32 s5, v7
	v_readfirstlane_b32 s4, v6
	s_mov_b64 s[6:7], exec
	s_waitcnt vmcnt(1)
	v_readfirstlane_b32 s8, v8
	v_readfirstlane_b32 s9, v9
	s_and_b64 s[8:9], s[8:9], s[4:5]
	s_mul_i32 s10, s9, 24
	s_mul_hi_u32 s11, s8, 24
	s_add_i32 s11, s11, s10
	s_mul_i32 s10, s8, 24
	s_waitcnt vmcnt(0)
	v_lshl_add_u64 v[8:9], v[0:1], 0, s[10:11]
	s_and_saveexec_b64 s[10:11], s[0:1]
	s_cbranch_execz .LBB3_123
; %bb.122:
	v_mov_b64_e32 v[10:11], s[6:7]
	v_mov_b32_e32 v12, 2
	v_mov_b32_e32 v13, 1
	global_store_dwordx4 v[8:9], v[10:13], off offset:8
.LBB3_123:
	s_or_b64 exec, exec, s[10:11]
	s_lshl_b64 s[6:7], s[8:9], 12
	v_lshl_add_u64 v[10:11], v[2:3], 0, s[6:7]
	s_movk_i32 s6, 0xff1f
	s_mov_b32 s8, 0
	v_and_or_b32 v4, v4, s6, 32
	v_mov_b32_e32 v6, v25
	v_mov_b32_e32 v7, v25
	v_readfirstlane_b32 s6, v10
	v_readfirstlane_b32 s7, v11
	s_mov_b32 s9, s8
	s_mov_b32 s10, s8
	;; [unrolled: 1-line block ×3, first 2 shown]
	s_nop 1
	global_store_dwordx4 v24, v[4:7], s[6:7]
	v_mov_b64_e32 v[2:3], s[8:9]
	s_nop 0
	v_mov_b64_e32 v[4:5], s[10:11]
	global_store_dwordx4 v24, v[2:5], s[6:7] offset:16
	global_store_dwordx4 v24, v[2:5], s[6:7] offset:32
	global_store_dwordx4 v24, v[2:5], s[6:7] offset:48
	s_and_saveexec_b64 s[6:7], s[0:1]
	s_cbranch_execz .LBB3_131
; %bb.124:
	v_mov_b32_e32 v6, 0
	global_load_dwordx2 v[14:15], v6, s[2:3] offset:32 sc0 sc1
	global_load_dwordx2 v[2:3], v6, s[2:3] offset:40
	v_mov_b32_e32 v12, s4
	v_mov_b32_e32 v13, s5
	s_waitcnt vmcnt(0)
	v_readfirstlane_b32 s8, v2
	v_readfirstlane_b32 s9, v3
	s_and_b64 s[8:9], s[8:9], s[4:5]
	s_mul_i32 s9, s9, 24
	s_mul_hi_u32 s10, s8, 24
	s_mul_i32 s8, s8, 24
	s_add_i32 s9, s10, s9
	v_lshl_add_u64 v[4:5], v[0:1], 0, s[8:9]
	global_store_dwordx2 v[4:5], v[14:15], off
	buffer_wbl2 sc0 sc1
	s_waitcnt vmcnt(0)
	global_atomic_cmpswap_x2 v[2:3], v6, v[12:15], s[2:3] offset:32 sc0 sc1
	s_waitcnt vmcnt(0)
	v_cmp_ne_u64_e32 vcc, v[2:3], v[14:15]
	s_and_saveexec_b64 s[8:9], vcc
	s_cbranch_execz .LBB3_127
; %bb.125:
	s_mov_b64 s[10:11], 0
.LBB3_126:                              ; =>This Inner Loop Header: Depth=1
	s_sleep 1
	global_store_dwordx2 v[4:5], v[2:3], off
	v_mov_b32_e32 v0, s4
	v_mov_b32_e32 v1, s5
	buffer_wbl2 sc0 sc1
	s_waitcnt vmcnt(0)
	global_atomic_cmpswap_x2 v[0:1], v6, v[0:3], s[2:3] offset:32 sc0 sc1
	s_waitcnt vmcnt(0)
	v_cmp_eq_u64_e32 vcc, v[0:1], v[2:3]
	s_or_b64 s[10:11], vcc, s[10:11]
	v_mov_b64_e32 v[2:3], v[0:1]
	s_andn2_b64 exec, exec, s[10:11]
	s_cbranch_execnz .LBB3_126
.LBB3_127:
	s_or_b64 exec, exec, s[8:9]
	v_mov_b32_e32 v3, 0
	global_load_dwordx2 v[0:1], v3, s[2:3] offset:16
	s_mov_b64 s[8:9], exec
	v_mbcnt_lo_u32_b32 v2, s8, 0
	v_mbcnt_hi_u32_b32 v2, s9, v2
	v_cmp_eq_u32_e32 vcc, 0, v2
	s_and_saveexec_b64 s[10:11], vcc
	s_cbranch_execz .LBB3_129
; %bb.128:
	s_bcnt1_i32_b64 s8, s[8:9]
	v_mov_b32_e32 v2, s8
	buffer_wbl2 sc0 sc1
	s_waitcnt vmcnt(0)
	global_atomic_add_x2 v[0:1], v[2:3], off offset:8 sc1
.LBB3_129:
	s_or_b64 exec, exec, s[10:11]
	s_waitcnt vmcnt(0)
	global_load_dwordx2 v[2:3], v[0:1], off offset:16
	s_waitcnt vmcnt(0)
	v_cmp_eq_u64_e32 vcc, 0, v[2:3]
	s_cbranch_vccnz .LBB3_131
; %bb.130:
	global_load_dword v0, v[0:1], off offset:24
	v_mov_b32_e32 v1, 0
	s_waitcnt vmcnt(0)
	v_readfirstlane_b32 s8, v0
	s_and_b32 m0, s8, 0xffffff
	buffer_wbl2 sc0 sc1
	global_store_dwordx2 v[2:3], v[0:1], off sc0 sc1
	s_sendmsg sendmsg(MSG_INTERRUPT)
.LBB3_131:
	s_or_b64 exec, exec, s[6:7]
	v_lshl_add_u64 v[0:1], v[10:11], 0, v[24:25]
	s_branch .LBB3_135
.LBB3_132:                              ;   in Loop: Header=BB3_135 Depth=1
	s_or_b64 exec, exec, s[6:7]
	v_readfirstlane_b32 s6, v2
	s_cmp_eq_u32 s6, 0
	s_cbranch_scc1 .LBB3_134
; %bb.133:                              ;   in Loop: Header=BB3_135 Depth=1
	s_sleep 1
	s_cbranch_execnz .LBB3_135
	s_branch .LBB3_137
.LBB3_134:
	s_branch .LBB3_137
.LBB3_135:                              ; =>This Inner Loop Header: Depth=1
	v_mov_b32_e32 v2, 1
	s_and_saveexec_b64 s[6:7], s[0:1]
	s_cbranch_execz .LBB3_132
; %bb.136:                              ;   in Loop: Header=BB3_135 Depth=1
	global_load_dword v2, v[8:9], off offset:20 sc0 sc1
	s_waitcnt vmcnt(0)
	buffer_inv sc0 sc1
	v_and_b32_e32 v2, 1, v2
	s_branch .LBB3_132
.LBB3_137:
	global_load_dwordx2 v[0:1], v[0:1], off
	s_and_saveexec_b64 s[6:7], s[0:1]
	s_cbranch_execz .LBB3_140
; %bb.138:
	v_mov_b32_e32 v8, 0
	global_load_dwordx2 v[2:3], v8, s[2:3] offset:40
	global_load_dwordx2 v[12:13], v8, s[2:3] offset:24 sc0 sc1
	global_load_dwordx2 v[4:5], v8, s[2:3]
	s_waitcnt vmcnt(2)
	v_readfirstlane_b32 s8, v2
	v_readfirstlane_b32 s9, v3
	s_add_u32 s10, s8, 1
	s_addc_u32 s11, s9, 0
	s_add_u32 s0, s10, s4
	s_addc_u32 s1, s11, s5
	s_cmp_eq_u64 s[0:1], 0
	s_cselect_b32 s1, s11, s1
	s_cselect_b32 s0, s10, s0
	s_and_b64 s[4:5], s[0:1], s[8:9]
	s_mul_i32 s5, s5, 24
	s_mul_hi_u32 s8, s4, 24
	s_mul_i32 s4, s4, 24
	s_add_i32 s5, s8, s5
	s_waitcnt vmcnt(0)
	v_lshl_add_u64 v[6:7], v[4:5], 0, s[4:5]
	v_mov_b32_e32 v10, s0
	global_store_dwordx2 v[6:7], v[12:13], off
	v_mov_b32_e32 v11, s1
	buffer_wbl2 sc0 sc1
	s_waitcnt vmcnt(0)
	global_atomic_cmpswap_x2 v[4:5], v8, v[10:13], s[2:3] offset:24 sc0 sc1
	s_mov_b64 s[4:5], 0
	s_waitcnt vmcnt(0)
	v_cmp_ne_u64_e32 vcc, v[4:5], v[12:13]
	s_and_b64 exec, exec, vcc
	s_cbranch_execz .LBB3_140
.LBB3_139:                              ; =>This Inner Loop Header: Depth=1
	s_sleep 1
	global_store_dwordx2 v[6:7], v[4:5], off
	v_mov_b32_e32 v2, s0
	v_mov_b32_e32 v3, s1
	buffer_wbl2 sc0 sc1
	s_waitcnt vmcnt(0)
	global_atomic_cmpswap_x2 v[2:3], v8, v[2:5], s[2:3] offset:24 sc0 sc1
	s_waitcnt vmcnt(0)
	v_cmp_eq_u64_e32 vcc, v[2:3], v[4:5]
	s_or_b64 s[4:5], vcc, s[4:5]
	v_mov_b64_e32 v[4:5], v[2:3]
	s_andn2_b64 exec, exec, s[4:5]
	s_cbranch_execnz .LBB3_139
.LBB3_140:
	s_or_b64 exec, exec, s[6:7]
.LBB3_141:
	s_getpc_b64 s[4:5]
	s_add_u32 s4, s4, .str.9@rel32@lo+4
	s_addc_u32 s5, s5, .str.9@rel32@hi+12
	s_cmp_lg_u64 s[4:5], 0
	s_mov_b64 s[0:1], -1
	s_cbranch_scc0 .LBB3_227
; %bb.142:
	s_waitcnt vmcnt(0)
	v_and_b32_e32 v2, -3, v0
	v_mov_b32_e32 v3, v1
	s_mov_b64 s[6:7], 56
	v_mov_b32_e32 v27, 0
	v_mov_b32_e32 v36, 2
	;; [unrolled: 1-line block ×3, first 2 shown]
	s_branch .LBB3_144
.LBB3_143:                              ;   in Loop: Header=BB3_144 Depth=1
	s_or_b64 exec, exec, s[12:13]
	s_sub_u32 s6, s6, s8
	s_subb_u32 s7, s7, s9
	s_add_u32 s4, s4, s8
	s_addc_u32 s5, s5, s9
	s_cmp_lg_u64 s[6:7], 0
	s_cbranch_scc0 .LBB3_226
.LBB3_144:                              ; =>This Loop Header: Depth=1
                                        ;     Child Loop BB3_147 Depth 2
                                        ;     Child Loop BB3_155 Depth 2
	;; [unrolled: 1-line block ×11, first 2 shown]
	v_cmp_lt_u64_e64 s[0:1], s[6:7], 56
	s_and_b64 s[0:1], s[0:1], exec
	s_cselect_b32 s9, s7, 0
	s_cselect_b32 s8, s6, 56
	v_cmp_gt_u64_e64 s[10:11], s[6:7], 7
	s_add_u32 s0, s4, 8
	s_addc_u32 s1, s5, 0
	s_and_b64 vcc, exec, s[10:11]
	s_cbranch_vccnz .LBB3_148
; %bb.145:                              ;   in Loop: Header=BB3_144 Depth=1
	s_cmp_eq_u64 s[6:7], 0
	s_cbranch_scc1 .LBB3_149
; %bb.146:                              ;   in Loop: Header=BB3_144 Depth=1
	s_lshl_b64 s[0:1], s[8:9], 3
	s_mov_b64 s[10:11], 0
	s_waitcnt vmcnt(0)
	v_mov_b64_e32 v[4:5], 0
	s_mov_b64 s[12:13], s[4:5]
.LBB3_147:                              ;   Parent Loop BB3_144 Depth=1
                                        ; =>  This Inner Loop Header: Depth=2
	global_load_ubyte v6, v27, s[12:13]
	s_waitcnt vmcnt(0)
	v_and_b32_e32 v26, 0xffff, v6
	v_lshlrev_b64 v[6:7], s10, v[26:27]
	s_add_u32 s10, s10, 8
	s_addc_u32 s11, s11, 0
	s_add_u32 s12, s12, 1
	s_addc_u32 s13, s13, 0
	v_or_b32_e32 v4, v6, v4
	s_cmp_lg_u32 s0, s10
	v_or_b32_e32 v5, v7, v5
	s_cbranch_scc1 .LBB3_147
	s_branch .LBB3_150
.LBB3_148:                              ;   in Loop: Header=BB3_144 Depth=1
	s_mov_b32 s14, 0
	s_branch .LBB3_151
.LBB3_149:                              ;   in Loop: Header=BB3_144 Depth=1
	s_waitcnt vmcnt(0)
	v_mov_b64_e32 v[4:5], 0
.LBB3_150:                              ;   in Loop: Header=BB3_144 Depth=1
	s_mov_b64 s[0:1], s[4:5]
	s_mov_b32 s14, 0
	s_cbranch_execnz .LBB3_152
.LBB3_151:                              ;   in Loop: Header=BB3_144 Depth=1
	global_load_dwordx2 v[4:5], v27, s[4:5]
	s_add_i32 s14, s8, -8
.LBB3_152:                              ;   in Loop: Header=BB3_144 Depth=1
	s_add_u32 s10, s0, 8
	s_addc_u32 s11, s1, 0
	s_cmp_gt_u32 s14, 7
	s_cbranch_scc1 .LBB3_156
; %bb.153:                              ;   in Loop: Header=BB3_144 Depth=1
	s_cmp_eq_u32 s14, 0
	s_cbranch_scc1 .LBB3_157
; %bb.154:                              ;   in Loop: Header=BB3_144 Depth=1
	s_mov_b64 s[10:11], 0
	v_mov_b64_e32 v[6:7], 0
	s_mov_b64 s[12:13], 0
.LBB3_155:                              ;   Parent Loop BB3_144 Depth=1
                                        ; =>  This Inner Loop Header: Depth=2
	s_add_u32 s16, s0, s12
	s_addc_u32 s17, s1, s13
	global_load_ubyte v8, v27, s[16:17]
	s_add_u32 s12, s12, 1
	s_addc_u32 s13, s13, 0
	s_waitcnt vmcnt(0)
	v_and_b32_e32 v26, 0xffff, v8
	v_lshlrev_b64 v[8:9], s10, v[26:27]
	s_add_u32 s10, s10, 8
	s_addc_u32 s11, s11, 0
	v_or_b32_e32 v6, v8, v6
	s_cmp_lg_u32 s14, s12
	v_or_b32_e32 v7, v9, v7
	s_cbranch_scc1 .LBB3_155
	s_branch .LBB3_158
.LBB3_156:                              ;   in Loop: Header=BB3_144 Depth=1
                                        ; implicit-def: $vgpr6_vgpr7
	s_mov_b32 s15, 0
	s_branch .LBB3_159
.LBB3_157:                              ;   in Loop: Header=BB3_144 Depth=1
	v_mov_b64_e32 v[6:7], 0
.LBB3_158:                              ;   in Loop: Header=BB3_144 Depth=1
	s_mov_b64 s[10:11], s[0:1]
	s_mov_b32 s15, 0
	s_cbranch_execnz .LBB3_160
.LBB3_159:                              ;   in Loop: Header=BB3_144 Depth=1
	global_load_dwordx2 v[6:7], v27, s[0:1]
	s_add_i32 s15, s14, -8
.LBB3_160:                              ;   in Loop: Header=BB3_144 Depth=1
	s_add_u32 s0, s10, 8
	s_addc_u32 s1, s11, 0
	s_cmp_gt_u32 s15, 7
	s_cbranch_scc1 .LBB3_164
; %bb.161:                              ;   in Loop: Header=BB3_144 Depth=1
	s_cmp_eq_u32 s15, 0
	s_cbranch_scc1 .LBB3_165
; %bb.162:                              ;   in Loop: Header=BB3_144 Depth=1
	s_mov_b64 s[0:1], 0
	v_mov_b64_e32 v[8:9], 0
	s_mov_b64 s[12:13], 0
.LBB3_163:                              ;   Parent Loop BB3_144 Depth=1
                                        ; =>  This Inner Loop Header: Depth=2
	s_add_u32 s16, s10, s12
	s_addc_u32 s17, s11, s13
	global_load_ubyte v10, v27, s[16:17]
	s_add_u32 s12, s12, 1
	s_addc_u32 s13, s13, 0
	s_waitcnt vmcnt(0)
	v_and_b32_e32 v26, 0xffff, v10
	v_lshlrev_b64 v[10:11], s0, v[26:27]
	s_add_u32 s0, s0, 8
	s_addc_u32 s1, s1, 0
	v_or_b32_e32 v8, v10, v8
	s_cmp_lg_u32 s15, s12
	v_or_b32_e32 v9, v11, v9
	s_cbranch_scc1 .LBB3_163
	s_branch .LBB3_166
.LBB3_164:                              ;   in Loop: Header=BB3_144 Depth=1
	s_mov_b32 s14, 0
	s_branch .LBB3_167
.LBB3_165:                              ;   in Loop: Header=BB3_144 Depth=1
	v_mov_b64_e32 v[8:9], 0
.LBB3_166:                              ;   in Loop: Header=BB3_144 Depth=1
	s_mov_b64 s[0:1], s[10:11]
	s_mov_b32 s14, 0
	s_cbranch_execnz .LBB3_168
.LBB3_167:                              ;   in Loop: Header=BB3_144 Depth=1
	global_load_dwordx2 v[8:9], v27, s[10:11]
	s_add_i32 s14, s15, -8
.LBB3_168:                              ;   in Loop: Header=BB3_144 Depth=1
	s_add_u32 s10, s0, 8
	s_addc_u32 s11, s1, 0
	s_cmp_gt_u32 s14, 7
	s_cbranch_scc1 .LBB3_172
; %bb.169:                              ;   in Loop: Header=BB3_144 Depth=1
	s_cmp_eq_u32 s14, 0
	s_cbranch_scc1 .LBB3_173
; %bb.170:                              ;   in Loop: Header=BB3_144 Depth=1
	s_mov_b64 s[10:11], 0
	v_mov_b64_e32 v[10:11], 0
	s_mov_b64 s[12:13], 0
.LBB3_171:                              ;   Parent Loop BB3_144 Depth=1
                                        ; =>  This Inner Loop Header: Depth=2
	s_add_u32 s16, s0, s12
	s_addc_u32 s17, s1, s13
	global_load_ubyte v12, v27, s[16:17]
	s_add_u32 s12, s12, 1
	s_addc_u32 s13, s13, 0
	s_waitcnt vmcnt(0)
	v_and_b32_e32 v26, 0xffff, v12
	v_lshlrev_b64 v[12:13], s10, v[26:27]
	s_add_u32 s10, s10, 8
	s_addc_u32 s11, s11, 0
	v_or_b32_e32 v10, v12, v10
	s_cmp_lg_u32 s14, s12
	v_or_b32_e32 v11, v13, v11
	s_cbranch_scc1 .LBB3_171
	s_branch .LBB3_174
.LBB3_172:                              ;   in Loop: Header=BB3_144 Depth=1
                                        ; implicit-def: $vgpr10_vgpr11
	s_mov_b32 s15, 0
	s_branch .LBB3_175
.LBB3_173:                              ;   in Loop: Header=BB3_144 Depth=1
	v_mov_b64_e32 v[10:11], 0
.LBB3_174:                              ;   in Loop: Header=BB3_144 Depth=1
	s_mov_b64 s[10:11], s[0:1]
	s_mov_b32 s15, 0
	s_cbranch_execnz .LBB3_176
.LBB3_175:                              ;   in Loop: Header=BB3_144 Depth=1
	global_load_dwordx2 v[10:11], v27, s[0:1]
	s_add_i32 s15, s14, -8
.LBB3_176:                              ;   in Loop: Header=BB3_144 Depth=1
	s_add_u32 s0, s10, 8
	s_addc_u32 s1, s11, 0
	s_cmp_gt_u32 s15, 7
	s_cbranch_scc1 .LBB3_180
; %bb.177:                              ;   in Loop: Header=BB3_144 Depth=1
	s_cmp_eq_u32 s15, 0
	s_cbranch_scc1 .LBB3_181
; %bb.178:                              ;   in Loop: Header=BB3_144 Depth=1
	s_mov_b64 s[0:1], 0
	v_mov_b64_e32 v[12:13], 0
	s_mov_b64 s[12:13], 0
.LBB3_179:                              ;   Parent Loop BB3_144 Depth=1
                                        ; =>  This Inner Loop Header: Depth=2
	s_add_u32 s16, s10, s12
	s_addc_u32 s17, s11, s13
	global_load_ubyte v14, v27, s[16:17]
	s_add_u32 s12, s12, 1
	s_addc_u32 s13, s13, 0
	s_waitcnt vmcnt(0)
	v_and_b32_e32 v26, 0xffff, v14
	v_lshlrev_b64 v[14:15], s0, v[26:27]
	s_add_u32 s0, s0, 8
	s_addc_u32 s1, s1, 0
	v_or_b32_e32 v12, v14, v12
	s_cmp_lg_u32 s15, s12
	v_or_b32_e32 v13, v15, v13
	s_cbranch_scc1 .LBB3_179
	s_branch .LBB3_182
.LBB3_180:                              ;   in Loop: Header=BB3_144 Depth=1
	s_mov_b32 s14, 0
	s_branch .LBB3_183
.LBB3_181:                              ;   in Loop: Header=BB3_144 Depth=1
	v_mov_b64_e32 v[12:13], 0
.LBB3_182:                              ;   in Loop: Header=BB3_144 Depth=1
	s_mov_b64 s[0:1], s[10:11]
	s_mov_b32 s14, 0
	s_cbranch_execnz .LBB3_184
.LBB3_183:                              ;   in Loop: Header=BB3_144 Depth=1
	global_load_dwordx2 v[12:13], v27, s[10:11]
	s_add_i32 s14, s15, -8
.LBB3_184:                              ;   in Loop: Header=BB3_144 Depth=1
	s_add_u32 s10, s0, 8
	s_addc_u32 s11, s1, 0
	s_cmp_gt_u32 s14, 7
	s_cbranch_scc1 .LBB3_188
; %bb.185:                              ;   in Loop: Header=BB3_144 Depth=1
	s_cmp_eq_u32 s14, 0
	s_cbranch_scc1 .LBB3_189
; %bb.186:                              ;   in Loop: Header=BB3_144 Depth=1
	s_mov_b64 s[10:11], 0
	v_mov_b64_e32 v[14:15], 0
	s_mov_b64 s[12:13], 0
.LBB3_187:                              ;   Parent Loop BB3_144 Depth=1
                                        ; =>  This Inner Loop Header: Depth=2
	s_add_u32 s16, s0, s12
	s_addc_u32 s17, s1, s13
	global_load_ubyte v16, v27, s[16:17]
	s_add_u32 s12, s12, 1
	s_addc_u32 s13, s13, 0
	s_waitcnt vmcnt(0)
	v_and_b32_e32 v26, 0xffff, v16
	v_lshlrev_b64 v[16:17], s10, v[26:27]
	s_add_u32 s10, s10, 8
	s_addc_u32 s11, s11, 0
	v_or_b32_e32 v14, v16, v14
	s_cmp_lg_u32 s14, s12
	v_or_b32_e32 v15, v17, v15
	s_cbranch_scc1 .LBB3_187
	s_branch .LBB3_190
.LBB3_188:                              ;   in Loop: Header=BB3_144 Depth=1
                                        ; implicit-def: $vgpr14_vgpr15
	s_mov_b32 s15, 0
	s_branch .LBB3_191
.LBB3_189:                              ;   in Loop: Header=BB3_144 Depth=1
	v_mov_b64_e32 v[14:15], 0
.LBB3_190:                              ;   in Loop: Header=BB3_144 Depth=1
	s_mov_b64 s[10:11], s[0:1]
	s_mov_b32 s15, 0
	s_cbranch_execnz .LBB3_192
.LBB3_191:                              ;   in Loop: Header=BB3_144 Depth=1
	global_load_dwordx2 v[14:15], v27, s[0:1]
	s_add_i32 s15, s14, -8
.LBB3_192:                              ;   in Loop: Header=BB3_144 Depth=1
	s_cmp_gt_u32 s15, 7
	s_cbranch_scc1 .LBB3_196
; %bb.193:                              ;   in Loop: Header=BB3_144 Depth=1
	s_cmp_eq_u32 s15, 0
	s_cbranch_scc1 .LBB3_197
; %bb.194:                              ;   in Loop: Header=BB3_144 Depth=1
	s_mov_b64 s[0:1], 0
	v_mov_b64_e32 v[16:17], 0
	s_mov_b64 s[12:13], s[10:11]
.LBB3_195:                              ;   Parent Loop BB3_144 Depth=1
                                        ; =>  This Inner Loop Header: Depth=2
	global_load_ubyte v18, v27, s[12:13]
	s_add_i32 s15, s15, -1
	s_waitcnt vmcnt(0)
	v_and_b32_e32 v26, 0xffff, v18
	v_lshlrev_b64 v[18:19], s0, v[26:27]
	s_add_u32 s0, s0, 8
	s_addc_u32 s1, s1, 0
	s_add_u32 s12, s12, 1
	s_addc_u32 s13, s13, 0
	v_or_b32_e32 v16, v18, v16
	s_cmp_lg_u32 s15, 0
	v_or_b32_e32 v17, v19, v17
	s_cbranch_scc1 .LBB3_195
	s_branch .LBB3_198
.LBB3_196:                              ;   in Loop: Header=BB3_144 Depth=1
	s_branch .LBB3_199
.LBB3_197:                              ;   in Loop: Header=BB3_144 Depth=1
	v_mov_b64_e32 v[16:17], 0
.LBB3_198:                              ;   in Loop: Header=BB3_144 Depth=1
	s_cbranch_execnz .LBB3_200
.LBB3_199:                              ;   in Loop: Header=BB3_144 Depth=1
	global_load_dwordx2 v[16:17], v27, s[10:11]
.LBB3_200:                              ;   in Loop: Header=BB3_144 Depth=1
	v_readfirstlane_b32 s0, v32
	v_mov_b64_e32 v[28:29], 0
	s_nop 0
	v_cmp_eq_u32_e64 s[0:1], s0, v32
	s_and_saveexec_b64 s[10:11], s[0:1]
	s_cbranch_execz .LBB3_206
; %bb.201:                              ;   in Loop: Header=BB3_144 Depth=1
	global_load_dwordx2 v[20:21], v27, s[2:3] offset:24 sc0 sc1
	s_waitcnt vmcnt(0)
	buffer_inv sc0 sc1
	global_load_dwordx2 v[18:19], v27, s[2:3] offset:40
	global_load_dwordx2 v[28:29], v27, s[2:3]
	s_waitcnt vmcnt(1)
	v_and_b32_e32 v18, v18, v20
	v_and_b32_e32 v19, v19, v21
	v_mul_lo_u32 v19, v19, 24
	v_mul_hi_u32 v25, v18, 24
	v_add_u32_e32 v19, v25, v19
	v_mul_lo_u32 v18, v18, 24
	s_waitcnt vmcnt(0)
	v_lshl_add_u64 v[18:19], v[28:29], 0, v[18:19]
	global_load_dwordx2 v[18:19], v[18:19], off sc0 sc1
	s_waitcnt vmcnt(0)
	global_atomic_cmpswap_x2 v[28:29], v27, v[18:21], s[2:3] offset:24 sc0 sc1
	s_waitcnt vmcnt(0)
	buffer_inv sc0 sc1
	v_cmp_ne_u64_e32 vcc, v[28:29], v[20:21]
	s_and_saveexec_b64 s[12:13], vcc
	s_cbranch_execz .LBB3_205
; %bb.202:                              ;   in Loop: Header=BB3_144 Depth=1
	s_mov_b64 s[14:15], 0
.LBB3_203:                              ;   Parent Loop BB3_144 Depth=1
                                        ; =>  This Inner Loop Header: Depth=2
	s_sleep 1
	global_load_dwordx2 v[18:19], v27, s[2:3] offset:40
	global_load_dwordx2 v[30:31], v27, s[2:3]
	v_mov_b64_e32 v[20:21], v[28:29]
	s_waitcnt vmcnt(1)
	v_and_b32_e32 v18, v18, v20
	v_and_b32_e32 v25, v19, v21
	s_waitcnt vmcnt(0)
	v_mad_u64_u32 v[18:19], s[16:17], v18, 24, v[30:31]
	v_mov_b32_e32 v26, v19
	v_mad_u64_u32 v[28:29], s[16:17], v25, 24, v[26:27]
	v_mov_b32_e32 v19, v28
	global_load_dwordx2 v[18:19], v[18:19], off sc0 sc1
	s_waitcnt vmcnt(0)
	global_atomic_cmpswap_x2 v[28:29], v27, v[18:21], s[2:3] offset:24 sc0 sc1
	s_waitcnt vmcnt(0)
	buffer_inv sc0 sc1
	v_cmp_eq_u64_e32 vcc, v[28:29], v[20:21]
	s_or_b64 s[14:15], vcc, s[14:15]
	s_andn2_b64 exec, exec, s[14:15]
	s_cbranch_execnz .LBB3_203
; %bb.204:                              ;   in Loop: Header=BB3_144 Depth=1
	s_or_b64 exec, exec, s[14:15]
.LBB3_205:                              ;   in Loop: Header=BB3_144 Depth=1
	s_or_b64 exec, exec, s[12:13]
.LBB3_206:                              ;   in Loop: Header=BB3_144 Depth=1
	s_or_b64 exec, exec, s[10:11]
	global_load_dwordx2 v[30:31], v27, s[2:3] offset:40
	global_load_dwordx4 v[18:21], v27, s[2:3]
	v_readfirstlane_b32 s11, v29
	v_readfirstlane_b32 s10, v28
	s_mov_b64 s[12:13], exec
	s_waitcnt vmcnt(1)
	v_readfirstlane_b32 s14, v30
	v_readfirstlane_b32 s15, v31
	s_and_b64 s[14:15], s[14:15], s[10:11]
	s_mul_i32 s16, s15, 24
	s_mul_hi_u32 s17, s14, 24
	s_add_i32 s17, s17, s16
	s_mul_i32 s16, s14, 24
	s_waitcnt vmcnt(0)
	v_lshl_add_u64 v[28:29], v[18:19], 0, s[16:17]
	s_and_saveexec_b64 s[16:17], s[0:1]
	s_cbranch_execz .LBB3_208
; %bb.207:                              ;   in Loop: Header=BB3_144 Depth=1
	v_mov_b64_e32 v[34:35], s[12:13]
	global_store_dwordx4 v[28:29], v[34:37], off offset:8
.LBB3_208:                              ;   in Loop: Header=BB3_144 Depth=1
	s_or_b64 exec, exec, s[16:17]
	s_lshl_b64 s[12:13], s[14:15], 12
	v_lshl_add_u64 v[20:21], v[20:21], 0, s[12:13]
	v_cmp_gt_u64_e64 s[12:13], s[6:7], 56
	s_and_b64 s[12:13], s[12:13], exec
	s_cselect_b32 s12, 0, 2
	s_lshl_b32 s13, s8, 2
	s_add_i32 s13, s13, 28
	v_and_b32_e32 v2, 0xffffff1f, v2
	s_and_b32 s13, s13, 0x1e0
	v_or_b32_e32 v2, s12, v2
	v_or_b32_e32 v2, s13, v2
	v_readfirstlane_b32 s12, v20
	v_readfirstlane_b32 s13, v21
	s_nop 4
	global_store_dwordx4 v24, v[2:5], s[12:13]
	global_store_dwordx4 v24, v[6:9], s[12:13] offset:16
	global_store_dwordx4 v24, v[10:13], s[12:13] offset:32
	;; [unrolled: 1-line block ×3, first 2 shown]
	s_and_saveexec_b64 s[12:13], s[0:1]
	s_cbranch_execz .LBB3_216
; %bb.209:                              ;   in Loop: Header=BB3_144 Depth=1
	global_load_dwordx2 v[10:11], v27, s[2:3] offset:32 sc0 sc1
	global_load_dwordx2 v[2:3], v27, s[2:3] offset:40
	v_mov_b32_e32 v8, s10
	v_mov_b32_e32 v9, s11
	s_waitcnt vmcnt(0)
	v_readfirstlane_b32 s14, v2
	v_readfirstlane_b32 s15, v3
	s_and_b64 s[14:15], s[14:15], s[10:11]
	s_mul_i32 s15, s15, 24
	s_mul_hi_u32 s16, s14, 24
	s_mul_i32 s14, s14, 24
	s_add_i32 s15, s16, s15
	v_lshl_add_u64 v[6:7], v[18:19], 0, s[14:15]
	global_store_dwordx2 v[6:7], v[10:11], off
	buffer_wbl2 sc0 sc1
	s_waitcnt vmcnt(0)
	global_atomic_cmpswap_x2 v[4:5], v27, v[8:11], s[2:3] offset:32 sc0 sc1
	s_waitcnt vmcnt(0)
	v_cmp_ne_u64_e32 vcc, v[4:5], v[10:11]
	s_and_saveexec_b64 s[14:15], vcc
	s_cbranch_execz .LBB3_212
; %bb.210:                              ;   in Loop: Header=BB3_144 Depth=1
	s_mov_b64 s[16:17], 0
.LBB3_211:                              ;   Parent Loop BB3_144 Depth=1
                                        ; =>  This Inner Loop Header: Depth=2
	s_sleep 1
	global_store_dwordx2 v[6:7], v[4:5], off
	v_mov_b32_e32 v2, s10
	v_mov_b32_e32 v3, s11
	buffer_wbl2 sc0 sc1
	s_waitcnt vmcnt(0)
	global_atomic_cmpswap_x2 v[2:3], v27, v[2:5], s[2:3] offset:32 sc0 sc1
	s_waitcnt vmcnt(0)
	v_cmp_eq_u64_e32 vcc, v[2:3], v[4:5]
	s_or_b64 s[16:17], vcc, s[16:17]
	v_mov_b64_e32 v[4:5], v[2:3]
	s_andn2_b64 exec, exec, s[16:17]
	s_cbranch_execnz .LBB3_211
.LBB3_212:                              ;   in Loop: Header=BB3_144 Depth=1
	s_or_b64 exec, exec, s[14:15]
	global_load_dwordx2 v[2:3], v27, s[2:3] offset:16
	s_mov_b64 s[16:17], exec
	v_mbcnt_lo_u32_b32 v4, s16, 0
	v_mbcnt_hi_u32_b32 v4, s17, v4
	v_cmp_eq_u32_e32 vcc, 0, v4
	s_and_saveexec_b64 s[14:15], vcc
	s_cbranch_execz .LBB3_214
; %bb.213:                              ;   in Loop: Header=BB3_144 Depth=1
	s_bcnt1_i32_b64 s16, s[16:17]
	v_mov_b32_e32 v26, s16
	buffer_wbl2 sc0 sc1
	s_waitcnt vmcnt(0)
	global_atomic_add_x2 v[2:3], v[26:27], off offset:8 sc1
.LBB3_214:                              ;   in Loop: Header=BB3_144 Depth=1
	s_or_b64 exec, exec, s[14:15]
	s_waitcnt vmcnt(0)
	global_load_dwordx2 v[4:5], v[2:3], off offset:16
	s_waitcnt vmcnt(0)
	v_cmp_eq_u64_e32 vcc, 0, v[4:5]
	s_cbranch_vccnz .LBB3_216
; %bb.215:                              ;   in Loop: Header=BB3_144 Depth=1
	global_load_dword v26, v[2:3], off offset:24
	s_waitcnt vmcnt(0)
	v_readfirstlane_b32 s14, v26
	s_and_b32 m0, s14, 0xffffff
	buffer_wbl2 sc0 sc1
	global_store_dwordx2 v[4:5], v[26:27], off sc0 sc1
	s_sendmsg sendmsg(MSG_INTERRUPT)
.LBB3_216:                              ;   in Loop: Header=BB3_144 Depth=1
	s_or_b64 exec, exec, s[12:13]
	v_mov_b32_e32 v25, v27
	v_lshl_add_u64 v[2:3], v[20:21], 0, v[24:25]
	s_branch .LBB3_220
.LBB3_217:                              ;   in Loop: Header=BB3_220 Depth=2
	s_or_b64 exec, exec, s[12:13]
	v_readfirstlane_b32 s12, v4
	s_cmp_eq_u32 s12, 0
	s_cbranch_scc1 .LBB3_219
; %bb.218:                              ;   in Loop: Header=BB3_220 Depth=2
	s_sleep 1
	s_cbranch_execnz .LBB3_220
	s_branch .LBB3_222
.LBB3_219:                              ;   in Loop: Header=BB3_144 Depth=1
	s_branch .LBB3_222
.LBB3_220:                              ;   Parent Loop BB3_144 Depth=1
                                        ; =>  This Inner Loop Header: Depth=2
	v_mov_b32_e32 v4, 1
	s_and_saveexec_b64 s[12:13], s[0:1]
	s_cbranch_execz .LBB3_217
; %bb.221:                              ;   in Loop: Header=BB3_220 Depth=2
	global_load_dword v4, v[28:29], off offset:20 sc0 sc1
	s_waitcnt vmcnt(0)
	buffer_inv sc0 sc1
	v_and_b32_e32 v4, 1, v4
	s_branch .LBB3_217
.LBB3_222:                              ;   in Loop: Header=BB3_144 Depth=1
	global_load_dwordx4 v[2:5], v[2:3], off
	s_and_saveexec_b64 s[12:13], s[0:1]
	s_cbranch_execz .LBB3_143
; %bb.223:                              ;   in Loop: Header=BB3_144 Depth=1
	global_load_dwordx2 v[4:5], v27, s[2:3] offset:40
	global_load_dwordx2 v[12:13], v27, s[2:3] offset:24 sc0 sc1
	global_load_dwordx2 v[6:7], v27, s[2:3]
	s_waitcnt vmcnt(2)
	v_readfirstlane_b32 s14, v4
	v_readfirstlane_b32 s15, v5
	s_add_u32 s16, s14, 1
	s_addc_u32 s17, s15, 0
	s_add_u32 s0, s16, s10
	s_addc_u32 s1, s17, s11
	s_cmp_eq_u64 s[0:1], 0
	s_cselect_b32 s1, s17, s1
	s_cselect_b32 s0, s16, s0
	s_and_b64 s[10:11], s[0:1], s[14:15]
	s_mul_i32 s11, s11, 24
	s_mul_hi_u32 s14, s10, 24
	s_mul_i32 s10, s10, 24
	s_add_i32 s11, s14, s11
	s_waitcnt vmcnt(0)
	v_lshl_add_u64 v[8:9], v[6:7], 0, s[10:11]
	v_mov_b32_e32 v10, s0
	global_store_dwordx2 v[8:9], v[12:13], off
	v_mov_b32_e32 v11, s1
	buffer_wbl2 sc0 sc1
	s_waitcnt vmcnt(0)
	global_atomic_cmpswap_x2 v[6:7], v27, v[10:13], s[2:3] offset:24 sc0 sc1
	s_waitcnt vmcnt(0)
	v_cmp_ne_u64_e32 vcc, v[6:7], v[12:13]
	s_and_b64 exec, exec, vcc
	s_cbranch_execz .LBB3_143
; %bb.224:                              ;   in Loop: Header=BB3_144 Depth=1
	s_mov_b64 s[10:11], 0
.LBB3_225:                              ;   Parent Loop BB3_144 Depth=1
                                        ; =>  This Inner Loop Header: Depth=2
	s_sleep 1
	global_store_dwordx2 v[8:9], v[6:7], off
	v_mov_b32_e32 v4, s0
	v_mov_b32_e32 v5, s1
	buffer_wbl2 sc0 sc1
	s_waitcnt vmcnt(0)
	global_atomic_cmpswap_x2 v[4:5], v27, v[4:7], s[2:3] offset:24 sc0 sc1
	s_waitcnt vmcnt(0)
	v_cmp_eq_u64_e32 vcc, v[4:5], v[6:7]
	s_or_b64 s[10:11], vcc, s[10:11]
	v_mov_b64_e32 v[6:7], v[4:5]
	s_andn2_b64 exec, exec, s[10:11]
	s_cbranch_execnz .LBB3_225
	s_branch .LBB3_143
.LBB3_226:
	s_mov_b64 s[0:1], 0
.LBB3_227:
	s_and_b64 vcc, exec, s[0:1]
	s_cbranch_vccz .LBB3_254
; %bb.228:
	v_readfirstlane_b32 s0, v32
	v_mov_b64_e32 v[8:9], 0
	s_nop 0
	v_cmp_eq_u32_e64 s[0:1], s0, v32
	s_and_saveexec_b64 s[4:5], s[0:1]
	s_cbranch_execz .LBB3_234
; %bb.229:
	s_waitcnt vmcnt(0)
	v_mov_b32_e32 v2, 0
	global_load_dwordx2 v[6:7], v2, s[2:3] offset:24 sc0 sc1
	s_waitcnt vmcnt(0)
	buffer_inv sc0 sc1
	global_load_dwordx2 v[4:5], v2, s[2:3] offset:40
	global_load_dwordx2 v[8:9], v2, s[2:3]
	s_waitcnt vmcnt(1)
	v_and_b32_e32 v3, v4, v6
	v_and_b32_e32 v4, v5, v7
	v_mul_lo_u32 v4, v4, 24
	v_mul_hi_u32 v5, v3, 24
	v_add_u32_e32 v5, v5, v4
	v_mul_lo_u32 v4, v3, 24
	s_waitcnt vmcnt(0)
	v_lshl_add_u64 v[4:5], v[8:9], 0, v[4:5]
	global_load_dwordx2 v[4:5], v[4:5], off sc0 sc1
	s_waitcnt vmcnt(0)
	global_atomic_cmpswap_x2 v[8:9], v2, v[4:7], s[2:3] offset:24 sc0 sc1
	s_waitcnt vmcnt(0)
	buffer_inv sc0 sc1
	v_cmp_ne_u64_e32 vcc, v[8:9], v[6:7]
	s_and_saveexec_b64 s[6:7], vcc
	s_cbranch_execz .LBB3_233
; %bb.230:
	s_mov_b64 s[8:9], 0
.LBB3_231:                              ; =>This Inner Loop Header: Depth=1
	s_sleep 1
	global_load_dwordx2 v[4:5], v2, s[2:3] offset:40
	global_load_dwordx2 v[10:11], v2, s[2:3]
	v_mov_b64_e32 v[6:7], v[8:9]
	s_waitcnt vmcnt(1)
	v_and_b32_e32 v4, v4, v6
	v_and_b32_e32 v3, v5, v7
	s_waitcnt vmcnt(0)
	v_mad_u64_u32 v[4:5], s[10:11], v4, 24, v[10:11]
	v_mov_b32_e32 v8, v5
	v_mad_u64_u32 v[8:9], s[10:11], v3, 24, v[8:9]
	v_mov_b32_e32 v5, v8
	global_load_dwordx2 v[4:5], v[4:5], off sc0 sc1
	s_waitcnt vmcnt(0)
	global_atomic_cmpswap_x2 v[8:9], v2, v[4:7], s[2:3] offset:24 sc0 sc1
	s_waitcnt vmcnt(0)
	buffer_inv sc0 sc1
	v_cmp_eq_u64_e32 vcc, v[8:9], v[6:7]
	s_or_b64 s[8:9], vcc, s[8:9]
	s_andn2_b64 exec, exec, s[8:9]
	s_cbranch_execnz .LBB3_231
; %bb.232:
	s_or_b64 exec, exec, s[8:9]
.LBB3_233:
	s_or_b64 exec, exec, s[6:7]
.LBB3_234:
	s_or_b64 exec, exec, s[4:5]
	s_waitcnt vmcnt(0)
	v_mov_b32_e32 v2, 0
	global_load_dwordx2 v[10:11], v2, s[2:3] offset:40
	global_load_dwordx4 v[4:7], v2, s[2:3]
	v_readfirstlane_b32 s5, v9
	v_readfirstlane_b32 s4, v8
	s_mov_b64 s[6:7], exec
	s_waitcnt vmcnt(1)
	v_readfirstlane_b32 s8, v10
	v_readfirstlane_b32 s9, v11
	s_and_b64 s[8:9], s[8:9], s[4:5]
	s_mul_i32 s10, s9, 24
	s_mul_hi_u32 s11, s8, 24
	s_add_i32 s11, s11, s10
	s_mul_i32 s10, s8, 24
	s_waitcnt vmcnt(0)
	v_lshl_add_u64 v[8:9], v[4:5], 0, s[10:11]
	s_and_saveexec_b64 s[10:11], s[0:1]
	s_cbranch_execz .LBB3_236
; %bb.235:
	v_mov_b64_e32 v[10:11], s[6:7]
	v_mov_b32_e32 v12, 2
	v_mov_b32_e32 v13, 1
	global_store_dwordx4 v[8:9], v[10:13], off offset:8
.LBB3_236:
	s_or_b64 exec, exec, s[10:11]
	s_lshl_b64 s[6:7], s[8:9], 12
	v_lshl_add_u64 v[6:7], v[6:7], 0, s[6:7]
	s_movk_i32 s6, 0xff1d
	s_mov_b32 s8, 0
	v_and_or_b32 v0, v0, s6, 34
	v_mov_b32_e32 v3, v2
	v_readfirstlane_b32 s6, v6
	v_readfirstlane_b32 s7, v7
	s_mov_b32 s9, s8
	s_mov_b32 s10, s8
	;; [unrolled: 1-line block ×3, first 2 shown]
	s_nop 1
	global_store_dwordx4 v24, v[0:3], s[6:7]
	s_nop 1
	v_mov_b64_e32 v[0:1], s[8:9]
	v_mov_b64_e32 v[2:3], s[10:11]
	global_store_dwordx4 v24, v[0:3], s[6:7] offset:16
	global_store_dwordx4 v24, v[0:3], s[6:7] offset:32
	;; [unrolled: 1-line block ×3, first 2 shown]
	s_and_saveexec_b64 s[6:7], s[0:1]
	s_cbranch_execz .LBB3_244
; %bb.237:
	v_mov_b32_e32 v6, 0
	global_load_dwordx2 v[12:13], v6, s[2:3] offset:32 sc0 sc1
	global_load_dwordx2 v[0:1], v6, s[2:3] offset:40
	v_mov_b32_e32 v10, s4
	v_mov_b32_e32 v11, s5
	s_waitcnt vmcnt(0)
	v_readfirstlane_b32 s8, v0
	v_readfirstlane_b32 s9, v1
	s_and_b64 s[8:9], s[8:9], s[4:5]
	s_mul_i32 s9, s9, 24
	s_mul_hi_u32 s10, s8, 24
	s_mul_i32 s8, s8, 24
	s_add_i32 s9, s10, s9
	v_lshl_add_u64 v[4:5], v[4:5], 0, s[8:9]
	global_store_dwordx2 v[4:5], v[12:13], off
	buffer_wbl2 sc0 sc1
	s_waitcnt vmcnt(0)
	global_atomic_cmpswap_x2 v[2:3], v6, v[10:13], s[2:3] offset:32 sc0 sc1
	s_waitcnt vmcnt(0)
	v_cmp_ne_u64_e32 vcc, v[2:3], v[12:13]
	s_and_saveexec_b64 s[8:9], vcc
	s_cbranch_execz .LBB3_240
; %bb.238:
	s_mov_b64 s[10:11], 0
.LBB3_239:                              ; =>This Inner Loop Header: Depth=1
	s_sleep 1
	global_store_dwordx2 v[4:5], v[2:3], off
	v_mov_b32_e32 v0, s4
	v_mov_b32_e32 v1, s5
	buffer_wbl2 sc0 sc1
	s_waitcnt vmcnt(0)
	global_atomic_cmpswap_x2 v[0:1], v6, v[0:3], s[2:3] offset:32 sc0 sc1
	s_waitcnt vmcnt(0)
	v_cmp_eq_u64_e32 vcc, v[0:1], v[2:3]
	s_or_b64 s[10:11], vcc, s[10:11]
	v_mov_b64_e32 v[2:3], v[0:1]
	s_andn2_b64 exec, exec, s[10:11]
	s_cbranch_execnz .LBB3_239
.LBB3_240:
	s_or_b64 exec, exec, s[8:9]
	v_mov_b32_e32 v3, 0
	global_load_dwordx2 v[0:1], v3, s[2:3] offset:16
	s_mov_b64 s[8:9], exec
	v_mbcnt_lo_u32_b32 v2, s8, 0
	v_mbcnt_hi_u32_b32 v2, s9, v2
	v_cmp_eq_u32_e32 vcc, 0, v2
	s_and_saveexec_b64 s[10:11], vcc
	s_cbranch_execz .LBB3_242
; %bb.241:
	s_bcnt1_i32_b64 s8, s[8:9]
	v_mov_b32_e32 v2, s8
	buffer_wbl2 sc0 sc1
	s_waitcnt vmcnt(0)
	global_atomic_add_x2 v[0:1], v[2:3], off offset:8 sc1
.LBB3_242:
	s_or_b64 exec, exec, s[10:11]
	s_waitcnt vmcnt(0)
	global_load_dwordx2 v[2:3], v[0:1], off offset:16
	s_waitcnt vmcnt(0)
	v_cmp_eq_u64_e32 vcc, 0, v[2:3]
	s_cbranch_vccnz .LBB3_244
; %bb.243:
	global_load_dword v0, v[0:1], off offset:24
	v_mov_b32_e32 v1, 0
	s_waitcnt vmcnt(0)
	v_readfirstlane_b32 s8, v0
	s_and_b32 m0, s8, 0xffffff
	buffer_wbl2 sc0 sc1
	global_store_dwordx2 v[2:3], v[0:1], off sc0 sc1
	s_sendmsg sendmsg(MSG_INTERRUPT)
.LBB3_244:
	s_or_b64 exec, exec, s[6:7]
	s_branch .LBB3_248
.LBB3_245:                              ;   in Loop: Header=BB3_248 Depth=1
	s_or_b64 exec, exec, s[6:7]
	v_readfirstlane_b32 s6, v0
	s_cmp_eq_u32 s6, 0
	s_cbranch_scc1 .LBB3_247
; %bb.246:                              ;   in Loop: Header=BB3_248 Depth=1
	s_sleep 1
	s_cbranch_execnz .LBB3_248
	s_branch .LBB3_250
.LBB3_247:
	s_branch .LBB3_250
.LBB3_248:                              ; =>This Inner Loop Header: Depth=1
	v_mov_b32_e32 v0, 1
	s_and_saveexec_b64 s[6:7], s[0:1]
	s_cbranch_execz .LBB3_245
; %bb.249:                              ;   in Loop: Header=BB3_248 Depth=1
	global_load_dword v0, v[8:9], off offset:20 sc0 sc1
	s_waitcnt vmcnt(0)
	buffer_inv sc0 sc1
	v_and_b32_e32 v0, 1, v0
	s_branch .LBB3_245
.LBB3_250:
	s_and_saveexec_b64 s[6:7], s[0:1]
	s_cbranch_execz .LBB3_253
; %bb.251:
	v_mov_b32_e32 v6, 0
	global_load_dwordx2 v[0:1], v6, s[2:3] offset:40
	global_load_dwordx2 v[10:11], v6, s[2:3] offset:24 sc0 sc1
	global_load_dwordx2 v[2:3], v6, s[2:3]
	s_waitcnt vmcnt(2)
	v_readfirstlane_b32 s8, v0
	v_readfirstlane_b32 s9, v1
	s_add_u32 s10, s8, 1
	s_addc_u32 s11, s9, 0
	s_add_u32 s0, s10, s4
	s_addc_u32 s1, s11, s5
	s_cmp_eq_u64 s[0:1], 0
	s_cselect_b32 s1, s11, s1
	s_cselect_b32 s0, s10, s0
	s_and_b64 s[4:5], s[0:1], s[8:9]
	s_mul_i32 s5, s5, 24
	s_mul_hi_u32 s8, s4, 24
	s_mul_i32 s4, s4, 24
	s_add_i32 s5, s8, s5
	s_waitcnt vmcnt(0)
	v_lshl_add_u64 v[4:5], v[2:3], 0, s[4:5]
	v_mov_b32_e32 v8, s0
	global_store_dwordx2 v[4:5], v[10:11], off
	v_mov_b32_e32 v9, s1
	buffer_wbl2 sc0 sc1
	s_waitcnt vmcnt(0)
	global_atomic_cmpswap_x2 v[2:3], v6, v[8:11], s[2:3] offset:24 sc0 sc1
	s_mov_b64 s[4:5], 0
	s_waitcnt vmcnt(0)
	v_cmp_ne_u64_e32 vcc, v[2:3], v[10:11]
	s_and_b64 exec, exec, vcc
	s_cbranch_execz .LBB3_253
.LBB3_252:                              ; =>This Inner Loop Header: Depth=1
	s_sleep 1
	global_store_dwordx2 v[4:5], v[2:3], off
	v_mov_b32_e32 v0, s0
	v_mov_b32_e32 v1, s1
	buffer_wbl2 sc0 sc1
	s_waitcnt vmcnt(0)
	global_atomic_cmpswap_x2 v[0:1], v6, v[0:3], s[2:3] offset:24 sc0 sc1
	s_waitcnt vmcnt(0)
	v_cmp_eq_u64_e32 vcc, v[0:1], v[2:3]
	s_or_b64 s[4:5], vcc, s[4:5]
	v_mov_b64_e32 v[2:3], v[0:1]
	s_andn2_b64 exec, exec, s[4:5]
	s_cbranch_execnz .LBB3_252
.LBB3_253:
	s_or_b64 exec, exec, s[6:7]
.LBB3_254:
	s_trap 2
	; divergent unreachable
	s_branch .LBB3_1
.Lfunc_end3:
	.size	_ZN6thrust23THRUST_200600_302600_NS6detail19temporary_allocatorIsNS1_5seq_tEE8allocateEm, .Lfunc_end3-_ZN6thrust23THRUST_200600_302600_NS6detail19temporary_allocatorIsNS1_5seq_tEE8allocateEm
                                        ; -- End function
	.set .L_ZN6thrust23THRUST_200600_302600_NS6detail19temporary_allocatorIsNS1_5seq_tEE8allocateEm.num_vgpr, max(42, .L__ockl_dm_alloc.num_vgpr, .L__ockl_dm_dealloc.num_vgpr)
	.set .L_ZN6thrust23THRUST_200600_302600_NS6detail19temporary_allocatorIsNS1_5seq_tEE8allocateEm.num_agpr, max(1, .L__ockl_dm_alloc.num_agpr, .L__ockl_dm_dealloc.num_agpr)
	.set .L_ZN6thrust23THRUST_200600_302600_NS6detail19temporary_allocatorIsNS1_5seq_tEE8allocateEm.numbered_sgpr, max(71, .L__ockl_dm_alloc.numbered_sgpr, .L__ockl_dm_dealloc.numbered_sgpr)
	.set .L_ZN6thrust23THRUST_200600_302600_NS6detail19temporary_allocatorIsNS1_5seq_tEE8allocateEm.num_named_barrier, max(0, .L__ockl_dm_alloc.num_named_barrier, .L__ockl_dm_dealloc.num_named_barrier)
	.set .L_ZN6thrust23THRUST_200600_302600_NS6detail19temporary_allocatorIsNS1_5seq_tEE8allocateEm.private_seg_size, 16+max(.L__ockl_dm_alloc.private_seg_size, .L__ockl_dm_dealloc.private_seg_size)
	.set .L_ZN6thrust23THRUST_200600_302600_NS6detail19temporary_allocatorIsNS1_5seq_tEE8allocateEm.uses_vcc, or(1, .L__ockl_dm_alloc.uses_vcc, .L__ockl_dm_dealloc.uses_vcc)
	.set .L_ZN6thrust23THRUST_200600_302600_NS6detail19temporary_allocatorIsNS1_5seq_tEE8allocateEm.uses_flat_scratch, or(0, .L__ockl_dm_alloc.uses_flat_scratch, .L__ockl_dm_dealloc.uses_flat_scratch)
	.set .L_ZN6thrust23THRUST_200600_302600_NS6detail19temporary_allocatorIsNS1_5seq_tEE8allocateEm.has_dyn_sized_stack, or(0, .L__ockl_dm_alloc.has_dyn_sized_stack, .L__ockl_dm_dealloc.has_dyn_sized_stack)
	.set .L_ZN6thrust23THRUST_200600_302600_NS6detail19temporary_allocatorIsNS1_5seq_tEE8allocateEm.has_recursion, or(0, .L__ockl_dm_alloc.has_recursion, .L__ockl_dm_dealloc.has_recursion)
	.set .L_ZN6thrust23THRUST_200600_302600_NS6detail19temporary_allocatorIsNS1_5seq_tEE8allocateEm.has_indirect_call, or(0, .L__ockl_dm_alloc.has_indirect_call, .L__ockl_dm_dealloc.has_indirect_call)
	.section	.AMDGPU.csdata,"",@progbits
; Function info:
; codeLenInByte = 8648
; TotalNumSgprs: 102
; NumVgprs: 120
; NumAgprs: 1
; TotalNumVgprs: 121
; ScratchSize: 24
; MemoryBound: 0
	.text
	.protected	_Z15SortByKeyKerneliPiPs ; -- Begin function _Z15SortByKeyKerneliPiPs
	.globl	_Z15SortByKeyKerneliPiPs
	.p2align	8
	.type	_Z15SortByKeyKerneliPiPs,@function
_Z15SortByKeyKerneliPiPs:               ; @_Z15SortByKeyKerneliPiPs
; %bb.0:
	v_cmp_eq_u32_e32 vcc, 0, v0
	s_mov_b32 s32, 0
	s_and_saveexec_b64 s[2:3], vcc
	s_cbranch_execz .LBB4_99
; %bb.1:
	s_load_dword s82, s[0:1], 0x0
	s_load_dwordx4 s[84:87], s[0:1], 0x8
	v_not_b32_e32 v0, 31
	v_mov_b32_e32 v1, -1
	s_waitcnt lgkmcnt(0)
	s_ashr_i32 s83, s82, 31
	s_lshl_b64 s[2:3], s[82:83], 2
	s_add_u32 s71, s84, s2
	s_addc_u32 s83, s85, s3
	s_sub_u32 s2, 0, s2
	s_subb_u32 s3, 0, s3
	s_ashr_i64 s[96:97], s[2:3], 2
	v_cmp_lt_i64_e32 vcc, s[96:97], v[0:1]
	s_mov_b64 s[2:3], -1
	s_cbranch_vccnz .LBB4_29
; %bb.2:
	s_and_b64 vcc, exec, s[2:3]
	s_cbranch_vccz .LBB4_99
; %bb.3:
	s_cmp_lt_i32 s82, 1
	s_cbranch_scc1 .LBB4_99
; %bb.4:
	s_add_u32 s0, s86, 2
	s_addc_u32 s1, s87, 0
	s_add_u32 s2, s86, -6
	s_addc_u32 s3, s87, -1
	v_mov_b32_e32 v0, 0
	s_branch .LBB4_6
.LBB4_5:                                ;   in Loop: Header=BB4_6 Depth=1
	s_add_u32 s86, s86, 64
	s_addc_u32 s87, s87, 0
	s_add_u32 s0, s0, 64
	s_addc_u32 s1, s1, 0
	v_cmp_lt_i64_e64 s[6:7], s[6:7], 1
	s_add_u32 s2, s2, 64
	s_addc_u32 s3, s3, 0
	s_and_b64 vcc, exec, s[6:7]
	s_mov_b64 s[84:85], s[4:5]
	s_cbranch_vccnz .LBB4_99
.LBB4_6:                                ; =>This Loop Header: Depth=1
                                        ;     Child Loop BB4_9 Depth 2
                                        ;       Child Loop BB4_11 Depth 3
                                        ;       Child Loop BB4_17 Depth 3
	;; [unrolled: 1-line block ×5, first 2 shown]
	s_add_u32 s4, s84, 0x80
	s_addc_u32 s5, s85, 0
	s_sub_u32 s6, s71, s4
	s_subb_u32 s7, s83, s5
	v_cmp_gt_i64_e64 s[8:9], s[6:7], 0
	s_and_b64 s[8:9], s[8:9], exec
	s_cselect_b32 s9, s5, s83
	s_cselect_b32 s8, s4, s71
	s_cmp_eq_u64 s[84:85], s[8:9]
	s_cselect_b64 s[12:13], -1, 0
	s_add_u32 s10, s84, 4
	s_addc_u32 s11, s85, 0
	s_cmp_eq_u64 s[10:11], s[8:9]
	s_cselect_b64 s[14:15], -1, 0
	s_or_b64 s[12:13], s[12:13], s[14:15]
	s_and_b64 vcc, exec, s[12:13]
	s_cbranch_vccnz .LBB4_5
; %bb.7:                                ;   in Loop: Header=BB4_6 Depth=1
	s_mov_b64 s[12:13], 0
	s_mov_b64 s[14:15], 1
	;; [unrolled: 1-line block ×6, first 2 shown]
	s_branch .LBB4_9
.LBB4_8:                                ;   in Loop: Header=BB4_9 Depth=2
	s_add_u32 s10, s10, 4
	s_addc_u32 s11, s11, 0
	s_add_u32 s20, s20, 2
	s_addc_u32 s21, s21, 0
	;; [unrolled: 2-line block ×5, first 2 shown]
	s_cmp_lg_u64 s[10:11], s[8:9]
	s_mov_b64 s[24:25], s[22:23]
	global_store_dword v0, v1, s[26:27]
	s_waitcnt vmcnt(1)
	global_store_short v0, v2, s[28:29]
	s_cbranch_scc0 .LBB4_5
.LBB4_9:                                ;   Parent Loop BB4_6 Depth=1
                                        ; =>  This Loop Header: Depth=2
                                        ;       Child Loop BB4_11 Depth 3
                                        ;       Child Loop BB4_17 Depth 3
	;; [unrolled: 1-line block ×5, first 2 shown]
	global_load_dword v1, v0, s[10:11]
	global_load_dword v3, v0, s[84:85]
	global_load_ushort v2, v0, s[24:25] offset:2
	s_add_u32 s12, s12, 1
	s_addc_u32 s13, s13, 0
	s_add_u32 s22, s24, 2
	s_addc_u32 s23, s25, 0
	s_mov_b64 s[30:31], -1
                                        ; implicit-def: $sgpr28_sgpr29
                                        ; implicit-def: $sgpr26_sgpr27
	s_waitcnt vmcnt(1)
	v_cmp_lt_i32_e32 vcc, v1, v3
	s_cbranch_vccnz .LBB4_14
; %bb.10:                               ;   in Loop: Header=BB4_9 Depth=2
	global_load_dword v3, v0, s[18:19]
	s_mov_b64 s[28:29], s[22:23]
	s_mov_b64 s[26:27], s[10:11]
	;; [unrolled: 1-line block ×3, first 2 shown]
	s_waitcnt vmcnt(0)
	v_cmp_ge_i32_e32 vcc, v1, v3
	s_cbranch_vccnz .LBB4_13
.LBB4_11:                               ;   Parent Loop BB4_6 Depth=1
                                        ;     Parent Loop BB4_9 Depth=2
                                        ; =>    This Inner Loop Header: Depth=3
	global_store_dword v0, v3, s[26:27]
	global_load_dword v3, v0, s[26:27] offset:-8
	s_nop 0
	global_load_ushort v4, v0, s[30:31] offset:-2
	s_mov_b64 s[28:29], s[30:31]
	s_add_u32 s30, s28, -2
	s_addc_u32 s31, s29, -1
	s_add_u32 s26, s26, -4
	s_addc_u32 s27, s27, -1
	s_waitcnt vmcnt(1)
	v_cmp_lt_i32_e32 vcc, v1, v3
	s_waitcnt vmcnt(0)
	global_store_short v0, v4, s[28:29]
	s_cbranch_vccnz .LBB4_11
; %bb.12:                               ;   in Loop: Header=BB4_9 Depth=2
	s_mov_b64 s[28:29], s[30:31]
.LBB4_13:                               ;   in Loop: Header=BB4_9 Depth=2
	s_mov_b64 s[30:31], 0
.LBB4_14:                               ;   in Loop: Header=BB4_9 Depth=2
	s_andn2_b64 vcc, exec, s[30:31]
	s_cbranch_vccnz .LBB4_8
; %bb.15:                               ;   in Loop: Header=BB4_9 Depth=2
	s_add_u32 s30, s18, 8
	v_cmp_lt_u64_e64 s[26:27], s[12:13], 2
	s_addc_u32 s31, s19, 0
	s_and_b64 vcc, exec, s[26:27]
	s_cbranch_vccnz .LBB4_19
; %bb.16:                               ;   in Loop: Header=BB4_9 Depth=2
	s_and_b32 s26, s14, -2
	s_mov_b32 s27, s15
	s_mov_b64 s[28:29], s[18:19]
.LBB4_17:                               ;   Parent Loop BB4_6 Depth=1
                                        ;     Parent Loop BB4_9 Depth=2
                                        ; =>    This Inner Loop Header: Depth=3
	global_load_dwordx2 v[4:5], v0, s[28:29] offset:-4
	s_add_u32 s26, s26, -2
	s_addc_u32 s27, s27, -1
	s_waitcnt vmcnt(0)
	global_store_dwordx2 v0, v[4:5], s[28:29]
	s_add_u32 s28, s28, -8
	s_addc_u32 s29, s29, -1
	s_cmp_lg_u64 s[26:27], 0
	s_cbranch_scc1 .LBB4_17
; %bb.18:                               ;   in Loop: Header=BB4_9 Depth=2
	s_and_b32 s28, s12, -2
	s_mov_b32 s29, s13
	s_lshl_b64 s[26:27], s[28:29], 2
	s_sub_u32 s30, 0, s26
	s_subb_u32 s31, 0, s27
	s_add_u32 s26, s10, s30
	s_addc_u32 s27, s11, s31
	s_add_u32 s30, s18, s30
	s_addc_u32 s31, s19, s31
	;; [unrolled: 2-line block ×3, first 2 shown]
	s_cmp_lg_u64 s[12:13], s[28:29]
	s_cselect_b64 s[28:29], -1, 0
	s_and_b64 vcc, exec, s[28:29]
	s_cbranch_vccnz .LBB4_20
	s_branch .LBB4_22
.LBB4_19:                               ;   in Loop: Header=BB4_9 Depth=2
	s_mov_b64 s[26:27], s[10:11]
	s_cbranch_execz .LBB4_22
.LBB4_20:                               ;   in Loop: Header=BB4_9 Depth=2
	s_add_u32 s28, s30, -4
	s_addc_u32 s29, s31, -1
.LBB4_21:                               ;   Parent Loop BB4_6 Depth=1
                                        ;     Parent Loop BB4_9 Depth=2
                                        ; =>    This Inner Loop Header: Depth=3
	global_load_dword v3, v0, s[26:27] offset:-4
	s_add_u32 s26, s26, -4
	s_addc_u32 s27, s27, -1
	s_waitcnt vmcnt(0)
	global_store_dword v0, v3, s[28:29]
	s_add_u32 s28, s28, -4
	s_addc_u32 s29, s29, -1
	s_cmp_lg_u64 s[26:27], s[84:85]
	s_cbranch_scc1 .LBB4_21
.LBB4_22:                               ;   in Loop: Header=BB4_9 Depth=2
	s_add_u32 s30, s24, 4
	v_cmp_lt_u64_e64 s[26:27], s[12:13], 4
	s_addc_u32 s31, s25, 0
	s_and_b64 vcc, exec, s[26:27]
	s_cbranch_vccnz .LBB4_26
; %bb.23:                               ;   in Loop: Header=BB4_9 Depth=2
	s_and_b32 s26, s14, -4
	s_mov_b32 s27, s15
	s_mov_b64 s[28:29], s[16:17]
.LBB4_24:                               ;   Parent Loop BB4_6 Depth=1
                                        ;     Parent Loop BB4_9 Depth=2
                                        ; =>    This Inner Loop Header: Depth=3
	global_load_dwordx2 v[4:5], v0, s[28:29]
	s_add_u32 s26, s26, -4
	s_addc_u32 s27, s27, -1
	s_waitcnt vmcnt(0)
	global_store_dwordx2 v0, v[4:5], s[28:29] offset:2
	s_add_u32 s28, s28, -8
	s_addc_u32 s29, s29, -1
	s_cmp_lg_u64 s[26:27], 0
	s_cbranch_scc1 .LBB4_24
; %bb.25:                               ;   in Loop: Header=BB4_9 Depth=2
	s_and_b32 s26, s12, -4
	s_mov_b32 s27, s13
	s_lshl_b64 s[28:29], s[26:27], 1
	s_sub_u32 s28, 0, s28
	s_subb_u32 s29, 0, s29
	s_add_u32 s28, s24, s28
	s_addc_u32 s29, s25, s29
	s_add_u32 s24, s28, 2
	s_addc_u32 s25, s29, 0
	;; [unrolled: 2-line block ×3, first 2 shown]
	s_cmp_lg_u64 s[12:13], s[26:27]
	s_cselect_b64 s[26:27], -1, 0
	s_and_b64 vcc, exec, s[26:27]
	s_mov_b64 s[28:29], s[86:87]
	s_mov_b64 s[26:27], s[84:85]
	s_cbranch_vccz .LBB4_8
	s_branch .LBB4_27
.LBB4_26:                               ;   in Loop: Header=BB4_9 Depth=2
	s_mov_b64 s[24:25], s[22:23]
	s_mov_b64 s[28:29], s[86:87]
	s_mov_b64 s[26:27], s[84:85]
	s_cbranch_execz .LBB4_8
.LBB4_27:                               ;   in Loop: Header=BB4_9 Depth=2
	s_add_u32 s30, s30, -2
	s_addc_u32 s31, s31, -1
.LBB4_28:                               ;   Parent Loop BB4_6 Depth=1
                                        ;     Parent Loop BB4_9 Depth=2
                                        ; =>    This Inner Loop Header: Depth=3
	global_load_ushort v3, v0, s[24:25] offset:-2
	s_add_u32 s24, s24, -2
	s_addc_u32 s25, s25, -1
	s_mov_b64 s[28:29], s[86:87]
	s_mov_b64 s[26:27], s[84:85]
	s_waitcnt vmcnt(0)
	global_store_short v0, v3, s[30:31]
	s_add_u32 s30, s30, -2
	s_addc_u32 s31, s31, -1
	s_cmp_eq_u64 s[24:25], s[86:87]
	s_cbranch_scc0 .LBB4_28
	s_branch .LBB4_8
.LBB4_29:
	s_sub_u32 s98, 0, s96
	s_subb_u32 s99, 0, s97
	s_add_u32 s80, s0, 24
                                        ; implicit-def: $vgpr40 : SGPR spill to VGPR lane
	v_mov_b32_e32 v0, s98
	v_writelane_b32 v40, s0, 0
	s_addc_u32 s81, s1, 0
	s_mov_b64 s[8:9], s[80:81]
	v_writelane_b32 v40, s1, 1
	s_getpc_b64 s[0:1]
	s_add_u32 s0, s0, _ZN6thrust23THRUST_200600_302600_NS6detail19temporary_allocatorIiNS1_5seq_tEE8allocateEm@rel32@lo+4
	s_addc_u32 s1, s1, _ZN6thrust23THRUST_200600_302600_NS6detail19temporary_allocatorIiNS1_5seq_tEE8allocateEm@rel32@hi+12
	v_mov_b32_e32 v1, s99
	s_swappc_b64 s[30:31], s[0:1]
	v_mov_b32_e32 v42, v0
	v_mov_b32_e32 v43, v1
	s_getpc_b64 s[0:1]
	s_add_u32 s0, s0, _ZN6thrust23THRUST_200600_302600_NS6detail19temporary_allocatorIsNS1_5seq_tEE8allocateEm@rel32@lo+4
	s_addc_u32 s1, s1, _ZN6thrust23THRUST_200600_302600_NS6detail19temporary_allocatorIsNS1_5seq_tEE8allocateEm@rel32@hi+12
	s_mov_b64 s[8:9], s[80:81]
	v_mov_b32_e32 v0, s98
	v_mov_b32_e32 v1, s99
	s_swappc_b64 s[30:31], s[0:1]
	s_cmp_gt_i32 s82, 0
	s_cselect_b64 s[0:1], -1, 0
	s_cmp_lt_i32 s82, 1
	s_cbranch_scc1 .LBB4_55
; %bb.30:
	s_add_u32 s2, s86, 2
	s_addc_u32 s3, s87, 0
	s_add_u32 s4, s86, -6
	s_addc_u32 s5, s87, -1
	v_mov_b32_e32 v2, 0
	s_mov_b64 s[10:11], s[84:85]
	s_mov_b64 s[6:7], s[86:87]
	s_branch .LBB4_32
.LBB4_31:                               ;   in Loop: Header=BB4_32 Depth=1
	s_add_u32 s6, s6, 64
	s_addc_u32 s7, s7, 0
	s_add_u32 s2, s2, 64
	s_addc_u32 s3, s3, 0
	s_add_u32 s4, s4, 64
	s_addc_u32 s5, s5, 0
	s_andn2_b64 vcc, exec, s[12:13]
	s_mov_b64 s[10:11], s[8:9]
	s_cbranch_vccz .LBB4_55
.LBB4_32:                               ; =>This Loop Header: Depth=1
                                        ;     Child Loop BB4_35 Depth 2
                                        ;       Child Loop BB4_37 Depth 3
                                        ;       Child Loop BB4_43 Depth 3
	;; [unrolled: 1-line block ×5, first 2 shown]
	s_add_u32 s8, s10, 0x80
	s_addc_u32 s9, s11, 0
	s_sub_u32 s14, s71, s8
	s_subb_u32 s15, s83, s9
	v_cmp_lt_i64_e64 s[12:13], s[14:15], 1
	v_cmp_gt_i64_e64 s[14:15], s[14:15], 0
	s_and_b64 s[14:15], s[14:15], exec
	s_cselect_b32 s15, s9, s83
	s_cselect_b32 s14, s8, s71
	s_cmp_eq_u64 s[10:11], s[14:15]
	s_cselect_b64 s[18:19], -1, 0
	s_add_u32 s16, s10, 4
	s_addc_u32 s17, s11, 0
	s_cmp_eq_u64 s[16:17], s[14:15]
	s_cselect_b64 s[20:21], -1, 0
	s_or_b64 s[18:19], s[18:19], s[20:21]
	s_and_b64 vcc, exec, s[18:19]
	s_cbranch_vccnz .LBB4_31
; %bb.33:                               ;   in Loop: Header=BB4_32 Depth=1
	s_mov_b64 s[18:19], 0
	s_mov_b64 s[20:21], 1
	;; [unrolled: 1-line block ×6, first 2 shown]
	s_branch .LBB4_35
.LBB4_34:                               ;   in Loop: Header=BB4_35 Depth=2
	s_add_u32 s16, s16, 4
	s_addc_u32 s17, s17, 0
	s_add_u32 s26, s26, 2
	s_addc_u32 s27, s27, 0
	;; [unrolled: 2-line block ×5, first 2 shown]
	s_cmp_lg_u64 s[16:17], s[14:15]
	s_mov_b64 s[30:31], s[28:29]
	global_store_dword v2, v3, s[34:35]
	s_waitcnt vmcnt(1)
	global_store_short v2, v4, s[36:37]
	s_cbranch_scc0 .LBB4_31
.LBB4_35:                               ;   Parent Loop BB4_32 Depth=1
                                        ; =>  This Loop Header: Depth=2
                                        ;       Child Loop BB4_37 Depth 3
                                        ;       Child Loop BB4_43 Depth 3
	;; [unrolled: 1-line block ×5, first 2 shown]
	global_load_dword v3, v2, s[16:17]
	global_load_dword v5, v2, s[10:11]
	global_load_ushort v4, v2, s[30:31] offset:2
	s_add_u32 s18, s18, 1
	s_addc_u32 s19, s19, 0
	s_add_u32 s28, s30, 2
	s_addc_u32 s29, s31, 0
	s_mov_b64 s[38:39], -1
                                        ; implicit-def: $sgpr36_sgpr37
                                        ; implicit-def: $sgpr34_sgpr35
	s_waitcnt vmcnt(1)
	v_cmp_lt_i32_e32 vcc, v3, v5
	s_cbranch_vccnz .LBB4_40
; %bb.36:                               ;   in Loop: Header=BB4_35 Depth=2
	global_load_dword v5, v2, s[24:25]
	s_mov_b64 s[36:37], s[28:29]
	s_mov_b64 s[34:35], s[16:17]
	;; [unrolled: 1-line block ×3, first 2 shown]
	s_waitcnt vmcnt(0)
	v_cmp_ge_i32_e32 vcc, v3, v5
	s_cbranch_vccnz .LBB4_39
.LBB4_37:                               ;   Parent Loop BB4_32 Depth=1
                                        ;     Parent Loop BB4_35 Depth=2
                                        ; =>    This Inner Loop Header: Depth=3
	global_store_dword v2, v5, s[34:35]
	global_load_dword v5, v2, s[34:35] offset:-8
	s_nop 0
	global_load_ushort v6, v2, s[38:39] offset:-2
	s_mov_b64 s[36:37], s[38:39]
	s_add_u32 s38, s36, -2
	s_addc_u32 s39, s37, -1
	s_add_u32 s34, s34, -4
	s_addc_u32 s35, s35, -1
	s_waitcnt vmcnt(1)
	v_cmp_lt_i32_e32 vcc, v3, v5
	s_waitcnt vmcnt(0)
	global_store_short v2, v6, s[36:37]
	s_cbranch_vccnz .LBB4_37
; %bb.38:                               ;   in Loop: Header=BB4_35 Depth=2
	s_mov_b64 s[36:37], s[38:39]
.LBB4_39:                               ;   in Loop: Header=BB4_35 Depth=2
	s_mov_b64 s[38:39], 0
.LBB4_40:                               ;   in Loop: Header=BB4_35 Depth=2
	s_andn2_b64 vcc, exec, s[38:39]
	s_cbranch_vccnz .LBB4_34
; %bb.41:                               ;   in Loop: Header=BB4_35 Depth=2
	s_add_u32 s33, s24, 8
	v_cmp_lt_u64_e64 s[34:35], s[18:19], 2
	s_addc_u32 s38, s25, 0
	s_and_b64 vcc, exec, s[34:35]
	s_cbranch_vccnz .LBB4_45
; %bb.42:                               ;   in Loop: Header=BB4_35 Depth=2
	s_and_b32 s34, s20, -2
	s_mov_b32 s35, s21
	s_mov_b64 s[36:37], s[24:25]
.LBB4_43:                               ;   Parent Loop BB4_32 Depth=1
                                        ;     Parent Loop BB4_35 Depth=2
                                        ; =>    This Inner Loop Header: Depth=3
	global_load_dwordx2 v[6:7], v2, s[36:37] offset:-4
	s_add_u32 s34, s34, -2
	s_addc_u32 s35, s35, -1
	s_waitcnt vmcnt(0)
	global_store_dwordx2 v2, v[6:7], s[36:37]
	s_add_u32 s36, s36, -8
	s_addc_u32 s37, s37, -1
	s_cmp_lg_u64 s[34:35], 0
	s_cbranch_scc1 .LBB4_43
; %bb.44:                               ;   in Loop: Header=BB4_35 Depth=2
	s_and_b32 s36, s18, -2
	s_mov_b32 s37, s19
	s_lshl_b64 s[34:35], s[36:37], 2
	s_sub_u32 s33, 0, s34
	s_subb_u32 s38, 0, s35
	s_add_u32 s34, s16, s33
	s_addc_u32 s35, s17, s38
	s_add_u32 s33, s24, s33
	s_addc_u32 s38, s25, s38
	;; [unrolled: 2-line block ×3, first 2 shown]
	s_cmp_lg_u64 s[18:19], s[36:37]
	s_cselect_b64 s[36:37], -1, 0
	s_and_b64 vcc, exec, s[36:37]
	s_cbranch_vccnz .LBB4_46
	s_branch .LBB4_48
.LBB4_45:                               ;   in Loop: Header=BB4_35 Depth=2
	s_mov_b64 s[34:35], s[16:17]
	s_cbranch_execz .LBB4_48
.LBB4_46:                               ;   in Loop: Header=BB4_35 Depth=2
	s_add_u32 s36, s33, -4
	s_addc_u32 s37, s38, -1
.LBB4_47:                               ;   Parent Loop BB4_32 Depth=1
                                        ;     Parent Loop BB4_35 Depth=2
                                        ; =>    This Inner Loop Header: Depth=3
	global_load_dword v5, v2, s[34:35] offset:-4
	s_add_u32 s34, s34, -4
	s_addc_u32 s35, s35, -1
	s_waitcnt vmcnt(0)
	global_store_dword v2, v5, s[36:37]
	s_add_u32 s36, s36, -4
	s_addc_u32 s37, s37, -1
	s_cmp_lg_u64 s[34:35], s[10:11]
	s_cbranch_scc1 .LBB4_47
.LBB4_48:                               ;   in Loop: Header=BB4_35 Depth=2
	s_add_u32 s33, s30, 4
	v_cmp_lt_u64_e64 s[34:35], s[18:19], 4
	s_addc_u32 s39, s31, 0
	s_and_b64 vcc, exec, s[34:35]
	s_cbranch_vccnz .LBB4_52
; %bb.49:                               ;   in Loop: Header=BB4_35 Depth=2
	s_and_b32 s34, s20, -4
	s_mov_b32 s35, s21
	s_mov_b64 s[36:37], s[22:23]
.LBB4_50:                               ;   Parent Loop BB4_32 Depth=1
                                        ;     Parent Loop BB4_35 Depth=2
                                        ; =>    This Inner Loop Header: Depth=3
	global_load_dwordx2 v[6:7], v2, s[36:37]
	s_add_u32 s34, s34, -4
	s_addc_u32 s35, s35, -1
	s_waitcnt vmcnt(0)
	global_store_dwordx2 v2, v[6:7], s[36:37] offset:2
	s_add_u32 s36, s36, -8
	s_addc_u32 s37, s37, -1
	s_cmp_lg_u64 s[34:35], 0
	s_cbranch_scc1 .LBB4_50
; %bb.51:                               ;   in Loop: Header=BB4_35 Depth=2
	s_and_b32 s34, s18, -4
	s_mov_b32 s35, s19
	s_lshl_b64 s[36:37], s[34:35], 1
	s_sub_u32 s33, 0, s36
	s_subb_u32 s36, 0, s37
	s_add_u32 s33, s30, s33
	s_addc_u32 s36, s31, s36
	s_add_u32 s30, s33, 2
	s_addc_u32 s31, s36, 0
	;; [unrolled: 2-line block ×3, first 2 shown]
	s_cmp_lg_u64 s[18:19], s[34:35]
	s_cselect_b64 s[34:35], -1, 0
	s_and_b64 vcc, exec, s[34:35]
	s_mov_b64 s[36:37], s[6:7]
	s_mov_b64 s[34:35], s[10:11]
	s_cbranch_vccz .LBB4_34
	s_branch .LBB4_53
.LBB4_52:                               ;   in Loop: Header=BB4_35 Depth=2
	s_mov_b64 s[30:31], s[28:29]
	s_mov_b64 s[36:37], s[6:7]
	;; [unrolled: 1-line block ×3, first 2 shown]
	s_cbranch_execz .LBB4_34
.LBB4_53:                               ;   in Loop: Header=BB4_35 Depth=2
	s_add_u32 s38, s33, -2
	s_addc_u32 s39, s39, -1
.LBB4_54:                               ;   Parent Loop BB4_32 Depth=1
                                        ;     Parent Loop BB4_35 Depth=2
                                        ; =>    This Inner Loop Header: Depth=3
	global_load_ushort v5, v2, s[30:31] offset:-2
	s_add_u32 s30, s30, -2
	s_addc_u32 s31, s31, -1
	s_mov_b64 s[36:37], s[6:7]
	s_mov_b64 s[34:35], s[10:11]
	s_waitcnt vmcnt(0)
	global_store_short v2, v5, s[38:39]
	s_add_u32 s38, s38, -2
	s_addc_u32 s39, s39, -1
	s_cmp_eq_u64 s[30:31], s[6:7]
	s_cbranch_scc0 .LBB4_54
	s_branch .LBB4_34
.LBB4_55:
	v_cndmask_b32_e64 v4, 0, 1, s[0:1]
	v_readlane_b32 s4, v40, 0
	v_lshl_add_u64 v[2:3], s[98:99], 2, v[42:43]
	s_mov_b64 s[2:3], -1
	s_mov_b64 s[6:7], 32
	v_cmp_ne_u32_e64 s[0:1], 1, v4
	v_mov_b32_e32 v30, 0
	v_readlane_b32 s5, v40, 1
	s_branch .LBB4_57
.LBB4_56:                               ;   in Loop: Header=BB4_57 Depth=1
	v_mov_b64_e32 v[4:5], s[98:99]
	v_cmp_lt_i64_e32 vcc, s[6:7], v[4:5]
	s_xor_b64 s[2:3], s[8:9], -1
	s_cbranch_vccz .LBB4_93
.LBB4_57:                               ; =>This Loop Header: Depth=1
                                        ;     Child Loop BB4_61 Depth 2
                                        ;       Child Loop BB4_66 Depth 3
                                        ;       Child Loop BB4_72 Depth 3
	;; [unrolled: 1-line block ×3, first 2 shown]
                                        ;     Child Loop BB4_82 Depth 2
                                        ;       Child Loop BB4_83 Depth 3
                                        ;       Child Loop BB4_90 Depth 3
	;; [unrolled: 1-line block ×3, first 2 shown]
	s_mov_b64 s[10:11], s[6:7]
	s_mov_b64 s[8:9], s[2:3]
	s_lshl_b64 s[6:7], s[6:7], 1
	s_andn2_b64 vcc, exec, s[2:3]
	s_mov_b64 s[2:3], -1
	s_cbranch_vccz .LBB4_78
; %bb.58:                               ;   in Loop: Header=BB4_57 Depth=1
	s_and_b64 vcc, exec, s[0:1]
	s_cbranch_vccnz .LBB4_77
; %bb.59:                               ;   in Loop: Header=BB4_57 Depth=1
	s_lshl_b64 s[14:15], s[10:11], 2
	s_mov_b64 s[12:13], 0
	s_lshl_b64 s[16:17], s[6:7], 1
	s_lshl_b64 s[18:19], s[6:7], 2
	v_mov_b64_e32 v[8:9], v[42:43]
	v_mov_b64_e32 v[4:5], v[0:1]
	s_mov_b64 s[20:21], s[84:85]
	s_mov_b64 s[22:23], s[86:87]
	s_branch .LBB4_61
.LBB4_60:                               ;   in Loop: Header=BB4_61 Depth=2
	s_or_b64 exec, exec, s[2:3]
	v_lshl_add_u64 v[8:9], v[6:7], 0, s[14:15]
	s_add_u32 s20, s20, s18
	s_addc_u32 s21, s21, s19
	v_sub_co_u32_e32 v6, vcc, v8, v2
	s_add_u32 s22, s22, s16
	s_nop 0
	v_subb_co_u32_e32 v7, vcc, v9, v3, vcc
	s_addc_u32 s23, s23, s17
	v_cmp_lt_i64_e32 vcc, -1, v[6:7]
	s_or_b64 s[12:13], vcc, s[12:13]
	v_lshl_add_u64 v[4:5], v[4:5], 0, s[16:17]
	s_andn2_b64 exec, exec, s[12:13]
	s_cbranch_execz .LBB4_76
.LBB4_61:                               ;   Parent Loop BB4_57 Depth=1
                                        ; =>  This Loop Header: Depth=2
                                        ;       Child Loop BB4_66 Depth 3
                                        ;       Child Loop BB4_72 Depth 3
	;; [unrolled: 1-line block ×3, first 2 shown]
	v_lshl_add_u64 v[6:7], v[8:9], 0, s[14:15]
	v_sub_co_u32_e32 v10, vcc, v6, v2
	v_mov_b64_e32 v[20:21], s[20:21]
	s_nop 0
	v_subb_co_u32_e32 v11, vcc, v7, v3, vcc
	v_cmp_gt_i64_e32 vcc, 0, v[10:11]
	v_mov_b64_e32 v[22:23], s[22:23]
	v_mov_b64_e32 v[18:19], v[4:5]
	v_cndmask_b32_e32 v13, v3, v7, vcc
	v_cndmask_b32_e32 v12, v2, v6, vcc
	v_lshl_add_u64 v[10:11], v[12:13], 0, s[14:15]
	v_sub_co_u32_e32 v14, vcc, v10, v2
	s_nop 1
	v_subb_co_u32_e32 v15, vcc, v11, v3, vcc
	v_cmp_gt_i64_e32 vcc, 0, v[14:15]
	s_nop 1
	v_cndmask_b32_e32 v11, v3, v11, vcc
	v_cndmask_b32_e32 v10, v2, v10, vcc
	v_sub_co_u32_e32 v14, vcc, v12, v8
	v_cmp_ne_u64_e64 s[2:3], v[12:13], v[10:11]
	s_nop 0
	v_subb_co_u32_e32 v15, vcc, v13, v9, vcc
	v_ashrrev_i64 v[14:15], 1, v[14:15]
	v_cmp_ne_u64_e32 vcc, v[8:9], v[12:13]
	v_lshl_add_u64 v[16:17], v[4:5], 0, v[14:15]
	s_and_b64 s[2:3], vcc, s[2:3]
	v_mov_b64_e32 v[14:15], v[12:13]
	s_and_saveexec_b64 s[24:25], s[2:3]
	s_cbranch_execnz .LBB4_64
; %bb.62:                               ;   in Loop: Header=BB4_61 Depth=2
	s_or_b64 exec, exec, s[24:25]
	v_cmp_ne_u64_e32 vcc, v[8:9], v[12:13]
	s_and_saveexec_b64 s[2:3], vcc
	s_cbranch_execnz .LBB4_71
.LBB4_63:                               ;   in Loop: Header=BB4_61 Depth=2
	s_or_b64 exec, exec, s[2:3]
	v_cmp_ne_u64_e32 vcc, v[14:15], v[10:11]
	s_and_saveexec_b64 s[2:3], vcc
	s_cbranch_execz .LBB4_60
	s_branch .LBB4_74
.LBB4_64:                               ;   in Loop: Header=BB4_61 Depth=2
	s_mov_b64 s[26:27], 0
	v_mov_b64_e32 v[28:29], v[12:13]
	v_mov_b64_e32 v[26:27], v[4:5]
	s_mov_b64 s[28:29], s[20:21]
	s_mov_b64 s[30:31], s[22:23]
	s_branch .LBB4_66
.LBB4_65:                               ;   in Loop: Header=BB4_66 Depth=3
	s_or_b64 exec, exec, s[2:3]
	global_load_ushort v16, v[20:21], off
	v_cmp_eq_u64_e32 vcc, v[8:9], v[12:13]
	global_store_dword v30, v22, s[28:29]
	s_add_u32 s28, s28, 4
	s_addc_u32 s29, s29, 0
	v_cmp_eq_u64_e64 s[2:3], v[14:15], v[10:11]
	v_mov_b64_e32 v[28:29], v[14:15]
	v_mov_b64_e32 v[20:21], s[28:29]
	;; [unrolled: 1-line block ×3, first 2 shown]
	s_waitcnt vmcnt(1)
	global_store_short v30, v16, s[30:31]
	s_add_u32 s30, s30, 2
	s_addc_u32 s31, s31, 0
	s_or_b64 s[2:3], vcc, s[2:3]
	s_and_b64 s[2:3], exec, s[2:3]
	v_mov_b64_e32 v[22:23], s[30:31]
	s_or_b64 s[26:27], s[2:3], s[26:27]
	v_mov_b64_e32 v[16:17], v[24:25]
	s_andn2_b64 exec, exec, s[26:27]
	s_cbranch_execz .LBB4_70
.LBB4_66:                               ;   Parent Loop BB4_57 Depth=1
                                        ;     Parent Loop BB4_61 Depth=2
                                        ; =>    This Inner Loop Header: Depth=3
	global_load_dword v23, v[28:29], off
	global_load_dword v22, v[8:9], off
	v_lshl_add_u64 v[24:25], v[16:17], 0, 2
	v_lshl_add_u64 v[14:15], v[28:29], 0, 4
                                        ; implicit-def: $vgpr18_vgpr19
	s_waitcnt vmcnt(0)
	v_cmp_ge_i32_e32 vcc, v23, v22
	s_and_saveexec_b64 s[2:3], vcc
	s_xor_b64 s[2:3], exec, s[2:3]
; %bb.67:                               ;   in Loop: Header=BB4_66 Depth=3
	v_lshl_add_u64 v[8:9], v[8:9], 0, 4
	v_lshl_add_u64 v[18:19], v[26:27], 0, 2
	v_mov_b64_e32 v[14:15], v[28:29]
	v_mov_b64_e32 v[24:25], v[16:17]
                                        ; implicit-def: $vgpr23
; %bb.68:                               ;   in Loop: Header=BB4_66 Depth=3
	s_or_saveexec_b64 s[2:3], s[2:3]
	v_mov_b64_e32 v[20:21], v[26:27]
	s_xor_b64 exec, exec, s[2:3]
	s_cbranch_execz .LBB4_65
; %bb.69:                               ;   in Loop: Header=BB4_66 Depth=3
	v_mov_b32_e32 v22, v23
	v_mov_b64_e32 v[20:21], v[16:17]
	v_mov_b64_e32 v[18:19], v[26:27]
	s_branch .LBB4_65
.LBB4_70:                               ;   in Loop: Header=BB4_61 Depth=2
	s_or_b64 exec, exec, s[26:27]
	v_mov_b64_e32 v[16:17], v[24:25]
	s_or_b64 exec, exec, s[24:25]
	v_cmp_ne_u64_e32 vcc, v[8:9], v[12:13]
	s_and_saveexec_b64 s[2:3], vcc
	s_cbranch_execz .LBB4_63
.LBB4_71:                               ;   in Loop: Header=BB4_61 Depth=2
	s_mov_b64 s[24:25], 0
.LBB4_72:                               ;   Parent Loop BB4_57 Depth=1
                                        ;     Parent Loop BB4_61 Depth=2
                                        ; =>    This Inner Loop Header: Depth=3
	global_load_dword v24, v[8:9], off
	global_load_ushort v25, v[18:19], off
	v_lshl_add_u64 v[8:9], v[8:9], 0, 4
	v_cmp_eq_u64_e32 vcc, v[8:9], v[12:13]
	v_lshl_add_u64 v[18:19], v[18:19], 0, 2
	s_or_b64 s[24:25], vcc, s[24:25]
	s_waitcnt vmcnt(1)
	global_store_dword v[20:21], v24, off
	s_waitcnt vmcnt(1)
	global_store_short v[22:23], v25, off
	v_lshl_add_u64 v[20:21], v[20:21], 0, 4
	v_lshl_add_u64 v[22:23], v[22:23], 0, 2
	s_andn2_b64 exec, exec, s[24:25]
	s_cbranch_execnz .LBB4_72
; %bb.73:                               ;   in Loop: Header=BB4_61 Depth=2
	s_or_b64 exec, exec, s[24:25]
	s_or_b64 exec, exec, s[2:3]
	v_cmp_ne_u64_e32 vcc, v[14:15], v[10:11]
	s_and_saveexec_b64 s[2:3], vcc
	s_cbranch_execz .LBB4_60
.LBB4_74:                               ;   in Loop: Header=BB4_61 Depth=2
	s_mov_b64 s[24:25], 0
.LBB4_75:                               ;   Parent Loop BB4_57 Depth=1
                                        ;     Parent Loop BB4_61 Depth=2
                                        ; =>    This Inner Loop Header: Depth=3
	global_load_dword v8, v[14:15], off
	global_load_ushort v9, v[16:17], off
	v_lshl_add_u64 v[14:15], v[14:15], 0, 4
	v_cmp_eq_u64_e32 vcc, v[14:15], v[10:11]
	v_lshl_add_u64 v[16:17], v[16:17], 0, 2
	s_or_b64 s[24:25], vcc, s[24:25]
	s_waitcnt vmcnt(1)
	global_store_dword v[20:21], v8, off
	s_waitcnt vmcnt(1)
	global_store_short v[22:23], v9, off
	v_lshl_add_u64 v[20:21], v[20:21], 0, 4
	v_lshl_add_u64 v[22:23], v[22:23], 0, 2
	s_andn2_b64 exec, exec, s[24:25]
	s_cbranch_execnz .LBB4_75
	s_branch .LBB4_60
.LBB4_76:                               ;   in Loop: Header=BB4_57 Depth=1
	s_or_b64 exec, exec, s[12:13]
.LBB4_77:                               ;   in Loop: Header=BB4_57 Depth=1
	s_mov_b64 s[2:3], 0
.LBB4_78:                               ;   in Loop: Header=BB4_57 Depth=1
	s_andn2_b64 vcc, exec, s[2:3]
	s_cbranch_vccnz .LBB4_56
; %bb.79:                               ;   in Loop: Header=BB4_57 Depth=1
	s_and_b64 vcc, exec, s[0:1]
	s_cbranch_vccnz .LBB4_56
; %bb.80:                               ;   in Loop: Header=BB4_57 Depth=1
	s_lshl_b64 s[2:3], s[10:11], 2
	s_mov_b64 s[12:13], s[84:85]
	s_mov_b64 s[10:11], s[86:87]
	v_mov_b64_e32 v[4:5], v[42:43]
	v_mov_b64_e32 v[6:7], v[0:1]
	s_branch .LBB4_82
.LBB4_81:                               ;   in Loop: Header=BB4_82 Depth=2
	s_add_u32 s12, s33, s2
	s_addc_u32 s13, s34, s3
	s_lshl_b64 s[14:15], s[6:7], 1
	s_add_u32 s10, s10, s14
	s_addc_u32 s11, s11, s15
	v_lshl_add_u64 v[6:7], v[6:7], 0, s[14:15]
	s_sub_u32 s14, s71, s12
	s_subb_u32 s15, s83, s13
	v_cmp_lt_i64_e64 s[14:15], s[14:15], 1
	v_lshl_add_u64 v[4:5], s[6:7], 2, v[4:5]
	s_and_b64 vcc, exec, s[14:15]
	s_cbranch_vccnz .LBB4_56
.LBB4_82:                               ;   Parent Loop BB4_57 Depth=1
                                        ; =>  This Loop Header: Depth=2
                                        ;       Child Loop BB4_83 Depth 3
                                        ;       Child Loop BB4_90 Depth 3
                                        ;       Child Loop BB4_92 Depth 3
	s_add_u32 s33, s12, s2
	s_addc_u32 s34, s13, s3
	s_sub_u32 s14, s71, s33
	s_subb_u32 s15, s83, s34
	v_cmp_gt_i64_e64 s[14:15], s[14:15], 0
	s_and_b64 s[14:15], s[14:15], exec
	s_cselect_b32 s18, s33, s71
	s_cselect_b32 s19, s34, s83
	s_add_u32 s16, s18, s2
	s_addc_u32 s17, s19, s3
	s_sub_u32 s14, s71, s16
	s_subb_u32 s15, s83, s17
	v_cmp_gt_i64_e64 s[14:15], s[14:15], 0
	s_and_b64 s[14:15], s[14:15], exec
	s_cselect_b32 s15, s17, s83
	s_cselect_b32 s14, s16, s71
	s_sub_u32 s16, s12, s18
	s_subb_u32 s17, s13, s19
	s_ashr_i64 s[16:17], s[16:17], 1
	s_sub_u32 s20, s10, s16
	s_subb_u32 s21, s11, s17
	s_cmp_lg_u64 s[12:13], s[18:19]
	s_cselect_b64 s[16:17], -1, 0
	s_cmp_lg_u64 s[18:19], s[14:15]
	s_cselect_b64 s[22:23], -1, 0
	s_and_b64 s[16:17], s[16:17], s[22:23]
	s_andn2_b64 vcc, exec, s[16:17]
	s_mov_b64 s[16:17], s[18:19]
	s_mov_b64 s[22:23], s[10:11]
	v_mov_b64_e32 v[8:9], v[4:5]
	v_mov_b64_e32 v[10:11], v[6:7]
	s_mov_b64 s[24:25], s[20:21]
	s_cbranch_vccnz .LBB4_89
.LBB4_83:                               ;   Parent Loop BB4_57 Depth=1
                                        ;     Parent Loop BB4_82 Depth=2
                                        ; =>    This Inner Loop Header: Depth=3
	global_load_dword v12, v30, s[16:17]
	global_load_dword v13, v30, s[12:13]
	s_add_u32 s20, s24, 2
	s_addc_u32 s21, s25, 0
	s_add_u32 s28, s16, 4
	s_addc_u32 s29, s17, 0
	s_waitcnt vmcnt(0)
	v_cmp_lt_i32_e32 vcc, v12, v13
	s_cbranch_vccnz .LBB4_85
; %bb.84:                               ;   in Loop: Header=BB4_83 Depth=3
	s_add_u32 s26, s12, 4
	s_addc_u32 s27, s13, 0
	s_add_u32 s28, s22, 2
	s_addc_u32 s29, s23, 0
	s_mov_b64 s[20:21], s[24:25]
	s_cbranch_execnz .LBB4_86
	s_branch .LBB4_87
.LBB4_85:                               ;   in Loop: Header=BB4_83 Depth=3
                                        ; implicit-def: $sgpr26_sgpr27
	s_mov_b64 s[16:17], s[28:29]
                                        ; implicit-def: $sgpr28_sgpr29
	s_branch .LBB4_87
.LBB4_86:                               ;   in Loop: Header=BB4_83 Depth=3
	v_mov_b32_e32 v12, v13
	s_mov_b64 s[24:25], s[22:23]
	s_mov_b64 s[22:23], s[28:29]
	;; [unrolled: 1-line block ×3, first 2 shown]
.LBB4_87:                               ;   in Loop: Header=BB4_83 Depth=3
	global_load_ushort v13, v30, s[24:25]
	s_cmp_lg_u64 s[12:13], s[18:19]
	s_cselect_b64 s[24:25], -1, 0
	s_cmp_lg_u64 s[16:17], s[14:15]
	s_cselect_b64 s[26:27], -1, 0
	s_and_b64 s[24:25], s[24:25], s[26:27]
	global_store_dword v[8:9], v12, off
	v_lshl_add_u64 v[8:9], v[8:9], 0, 4
	s_andn2_b64 vcc, exec, s[24:25]
	s_waitcnt vmcnt(1)
	global_store_short v[10:11], v13, off
	v_lshl_add_u64 v[10:11], v[10:11], 0, 2
	s_cbranch_vccnz .LBB4_89
; %bb.88:                               ;   in Loop: Header=BB4_83 Depth=3
	s_mov_b64 s[24:25], s[20:21]
	s_branch .LBB4_83
.LBB4_89:                               ;   in Loop: Header=BB4_82 Depth=2
	s_cmp_eq_u64 s[12:13], s[18:19]
	s_cbranch_scc1 .LBB4_91
.LBB4_90:                               ;   Parent Loop BB4_57 Depth=1
                                        ;     Parent Loop BB4_82 Depth=2
                                        ; =>    This Inner Loop Header: Depth=3
	global_load_dword v12, v30, s[12:13]
	global_load_ushort v13, v30, s[22:23]
	s_add_u32 s12, s12, 4
	s_addc_u32 s13, s13, 0
	s_add_u32 s22, s22, 2
	s_addc_u32 s23, s23, 0
	s_cmp_eq_u64 s[12:13], s[18:19]
	s_waitcnt vmcnt(1)
	global_store_dword v[8:9], v12, off
	s_waitcnt vmcnt(1)
	global_store_short v[10:11], v13, off
	v_lshl_add_u64 v[8:9], v[8:9], 0, 4
	v_lshl_add_u64 v[10:11], v[10:11], 0, 2
	s_cbranch_scc0 .LBB4_90
.LBB4_91:                               ;   in Loop: Header=BB4_82 Depth=2
	s_cmp_eq_u64 s[16:17], s[14:15]
	s_cbranch_scc1 .LBB4_81
.LBB4_92:                               ;   Parent Loop BB4_57 Depth=1
                                        ;     Parent Loop BB4_82 Depth=2
                                        ; =>    This Inner Loop Header: Depth=3
	global_load_dword v12, v30, s[16:17]
	global_load_ushort v13, v30, s[20:21]
	s_add_u32 s16, s16, 4
	s_addc_u32 s17, s17, 0
	s_add_u32 s20, s20, 2
	s_addc_u32 s21, s21, 0
	s_cmp_lg_u64 s[16:17], s[14:15]
	s_waitcnt vmcnt(1)
	global_store_dword v[8:9], v12, off
	s_waitcnt vmcnt(1)
	global_store_short v[10:11], v13, off
	v_lshl_add_u64 v[8:9], v[8:9], 0, 4
	v_lshl_add_u64 v[10:11], v[10:11], 0, 2
	s_cbranch_scc1 .LBB4_92
	s_branch .LBB4_81
.LBB4_93:
	s_andn2_b64 vcc, exec, s[8:9]
	s_cbranch_vccnz .LBB4_98
; %bb.94:
	s_sub_u32 s0, 1, s96
	s_subb_u32 s1, 0, s97
	v_mov_b32_e32 v4, 0
	s_mov_b64 s[2:3], s[0:1]
	s_mov_b64 s[6:7], s[84:85]
	v_mov_b64_e32 v[2:3], v[42:43]
.LBB4_95:                               ; =>This Inner Loop Header: Depth=1
	global_load_dword v5, v[2:3], off
	v_lshl_add_u64 v[2:3], v[2:3], 0, 4
	s_waitcnt vmcnt(0)
	global_store_dword v4, v5, s[6:7]
	s_add_u32 s6, s6, 4
	s_addc_u32 s7, s7, 0
	s_add_u32 s2, s2, -1
	s_addc_u32 s3, s3, -1
	v_cmp_gt_u64_e64 s[8:9], s[2:3], 1
	s_and_b64 vcc, exec, s[8:9]
	s_cbranch_vccnz .LBB4_95
; %bb.96:
	v_mov_b32_e32 v4, 0
	s_mov_b64 s[2:3], s[86:87]
	v_mov_b64_e32 v[2:3], v[0:1]
.LBB4_97:                               ; =>This Inner Loop Header: Depth=1
	global_load_ushort v5, v[2:3], off
	v_lshl_add_u64 v[2:3], v[2:3], 0, 2
	s_waitcnt vmcnt(0)
	global_store_short v4, v5, s[2:3]
	s_add_u32 s2, s2, 2
	s_addc_u32 s3, s3, 0
	s_add_u32 s0, s0, -1
	s_addc_u32 s1, s1, -1
	v_cmp_gt_u64_e64 s[6:7], s[0:1], 1
	s_and_b64 vcc, exec, s[6:7]
	s_cbranch_vccnz .LBB4_97
.LBB4_98:
	s_add_u32 s8, s4, 24
	s_addc_u32 s9, s5, 0
	s_getpc_b64 s[22:23]
	s_add_u32 s22, s22, __ockl_dm_dealloc@rel32@lo+4
	s_addc_u32 s23, s23, __ockl_dm_dealloc@rel32@hi+12
	s_swappc_b64 s[30:31], s[22:23]
	v_mov_b32_e32 v0, v42
	v_mov_b32_e32 v1, v43
	s_swappc_b64 s[30:31], s[22:23]
.LBB4_99:
	s_endpgm
	.section	.rodata,"a",@progbits
	.p2align	6, 0x0
	.amdhsa_kernel _Z15SortByKeyKerneliPiPs
		.amdhsa_group_segment_fixed_size 0
		.amdhsa_private_segment_fixed_size 24
		.amdhsa_kernarg_size 280
		.amdhsa_user_sgpr_count 2
		.amdhsa_user_sgpr_dispatch_ptr 0
		.amdhsa_user_sgpr_queue_ptr 0
		.amdhsa_user_sgpr_kernarg_segment_ptr 1
		.amdhsa_user_sgpr_dispatch_id 0
		.amdhsa_user_sgpr_kernarg_preload_length 0
		.amdhsa_user_sgpr_kernarg_preload_offset 0
		.amdhsa_user_sgpr_private_segment_size 0
		.amdhsa_uses_dynamic_stack 0
		.amdhsa_enable_private_segment 1
		.amdhsa_system_sgpr_workgroup_id_x 1
		.amdhsa_system_sgpr_workgroup_id_y 0
		.amdhsa_system_sgpr_workgroup_id_z 0
		.amdhsa_system_sgpr_workgroup_info 0
		.amdhsa_system_vgpr_workitem_id 0
		.amdhsa_next_free_vgpr 121
		.amdhsa_next_free_sgpr 100
		.amdhsa_accum_offset 120
		.amdhsa_reserve_vcc 1
		.amdhsa_float_round_mode_32 0
		.amdhsa_float_round_mode_16_64 0
		.amdhsa_float_denorm_mode_32 3
		.amdhsa_float_denorm_mode_16_64 3
		.amdhsa_dx10_clamp 1
		.amdhsa_ieee_mode 1
		.amdhsa_fp16_overflow 0
		.amdhsa_tg_split 0
		.amdhsa_exception_fp_ieee_invalid_op 0
		.amdhsa_exception_fp_denorm_src 0
		.amdhsa_exception_fp_ieee_div_zero 0
		.amdhsa_exception_fp_ieee_overflow 0
		.amdhsa_exception_fp_ieee_underflow 0
		.amdhsa_exception_fp_ieee_inexact 0
		.amdhsa_exception_int_div_zero 0
	.end_amdhsa_kernel
	.text
.Lfunc_end4:
	.size	_Z15SortByKeyKerneliPiPs, .Lfunc_end4-_Z15SortByKeyKerneliPiPs
                                        ; -- End function
	.set _Z15SortByKeyKerneliPiPs.num_vgpr, max(44, .L_ZN6thrust23THRUST_200600_302600_NS6detail19temporary_allocatorIiNS1_5seq_tEE8allocateEm.num_vgpr, .L_ZN6thrust23THRUST_200600_302600_NS6detail19temporary_allocatorIsNS1_5seq_tEE8allocateEm.num_vgpr, .L__ockl_dm_dealloc.num_vgpr)
	.set _Z15SortByKeyKerneliPiPs.num_agpr, max(0, .L_ZN6thrust23THRUST_200600_302600_NS6detail19temporary_allocatorIiNS1_5seq_tEE8allocateEm.num_agpr, .L_ZN6thrust23THRUST_200600_302600_NS6detail19temporary_allocatorIsNS1_5seq_tEE8allocateEm.num_agpr, .L__ockl_dm_dealloc.num_agpr)
	.set _Z15SortByKeyKerneliPiPs.numbered_sgpr, max(100, .L_ZN6thrust23THRUST_200600_302600_NS6detail19temporary_allocatorIiNS1_5seq_tEE8allocateEm.numbered_sgpr, .L_ZN6thrust23THRUST_200600_302600_NS6detail19temporary_allocatorIsNS1_5seq_tEE8allocateEm.numbered_sgpr, .L__ockl_dm_dealloc.numbered_sgpr)
	.set _Z15SortByKeyKerneliPiPs.num_named_barrier, max(0, .L_ZN6thrust23THRUST_200600_302600_NS6detail19temporary_allocatorIiNS1_5seq_tEE8allocateEm.num_named_barrier, .L_ZN6thrust23THRUST_200600_302600_NS6detail19temporary_allocatorIsNS1_5seq_tEE8allocateEm.num_named_barrier, .L__ockl_dm_dealloc.num_named_barrier)
	.set _Z15SortByKeyKerneliPiPs.private_seg_size, 0+max(.L_ZN6thrust23THRUST_200600_302600_NS6detail19temporary_allocatorIiNS1_5seq_tEE8allocateEm.private_seg_size, .L_ZN6thrust23THRUST_200600_302600_NS6detail19temporary_allocatorIsNS1_5seq_tEE8allocateEm.private_seg_size, .L__ockl_dm_dealloc.private_seg_size)
	.set _Z15SortByKeyKerneliPiPs.uses_vcc, or(1, .L_ZN6thrust23THRUST_200600_302600_NS6detail19temporary_allocatorIiNS1_5seq_tEE8allocateEm.uses_vcc, .L_ZN6thrust23THRUST_200600_302600_NS6detail19temporary_allocatorIsNS1_5seq_tEE8allocateEm.uses_vcc, .L__ockl_dm_dealloc.uses_vcc)
	.set _Z15SortByKeyKerneliPiPs.uses_flat_scratch, or(0, .L_ZN6thrust23THRUST_200600_302600_NS6detail19temporary_allocatorIiNS1_5seq_tEE8allocateEm.uses_flat_scratch, .L_ZN6thrust23THRUST_200600_302600_NS6detail19temporary_allocatorIsNS1_5seq_tEE8allocateEm.uses_flat_scratch, .L__ockl_dm_dealloc.uses_flat_scratch)
	.set _Z15SortByKeyKerneliPiPs.has_dyn_sized_stack, or(0, .L_ZN6thrust23THRUST_200600_302600_NS6detail19temporary_allocatorIiNS1_5seq_tEE8allocateEm.has_dyn_sized_stack, .L_ZN6thrust23THRUST_200600_302600_NS6detail19temporary_allocatorIsNS1_5seq_tEE8allocateEm.has_dyn_sized_stack, .L__ockl_dm_dealloc.has_dyn_sized_stack)
	.set _Z15SortByKeyKerneliPiPs.has_recursion, or(0, .L_ZN6thrust23THRUST_200600_302600_NS6detail19temporary_allocatorIiNS1_5seq_tEE8allocateEm.has_recursion, .L_ZN6thrust23THRUST_200600_302600_NS6detail19temporary_allocatorIsNS1_5seq_tEE8allocateEm.has_recursion, .L__ockl_dm_dealloc.has_recursion)
	.set _Z15SortByKeyKerneliPiPs.has_indirect_call, or(0, .L_ZN6thrust23THRUST_200600_302600_NS6detail19temporary_allocatorIiNS1_5seq_tEE8allocateEm.has_indirect_call, .L_ZN6thrust23THRUST_200600_302600_NS6detail19temporary_allocatorIsNS1_5seq_tEE8allocateEm.has_indirect_call, .L__ockl_dm_dealloc.has_indirect_call)
	.section	.AMDGPU.csdata,"",@progbits
; Kernel info:
; codeLenInByte = 3600
; TotalNumSgprs: 106
; NumVgprs: 120
; NumAgprs: 1
; TotalNumVgprs: 121
; ScratchSize: 24
; MemoryBound: 0
; FloatMode: 240
; IeeeMode: 1
; LDSByteSize: 0 bytes/workgroup (compile time only)
; SGPRBlocks: 13
; VGPRBlocks: 15
; NumSGPRsForWavesPerEU: 106
; NumVGPRsForWavesPerEU: 121
; AccumOffset: 120
; Occupancy: 4
; WaveLimiterHint : 1
; COMPUTE_PGM_RSRC2:SCRATCH_EN: 1
; COMPUTE_PGM_RSRC2:USER_SGPR: 2
; COMPUTE_PGM_RSRC2:TRAP_HANDLER: 0
; COMPUTE_PGM_RSRC2:TGID_X_EN: 1
; COMPUTE_PGM_RSRC2:TGID_Y_EN: 0
; COMPUTE_PGM_RSRC2:TGID_Z_EN: 0
; COMPUTE_PGM_RSRC2:TIDIG_COMP_CNT: 0
; COMPUTE_PGM_RSRC3_GFX90A:ACCUM_OFFSET: 29
; COMPUTE_PGM_RSRC3_GFX90A:TG_SPLIT: 0
	.section	.text._ZN6thrust23THRUST_200600_302600_NS11hip_rocprim14__parallel_for6kernelILj256ENS1_20__uninitialized_fill7functorINS0_10device_ptrIiEEiEEmLj1EEEvT0_T1_SA_,"axG",@progbits,_ZN6thrust23THRUST_200600_302600_NS11hip_rocprim14__parallel_for6kernelILj256ENS1_20__uninitialized_fill7functorINS0_10device_ptrIiEEiEEmLj1EEEvT0_T1_SA_,comdat
	.protected	_ZN6thrust23THRUST_200600_302600_NS11hip_rocprim14__parallel_for6kernelILj256ENS1_20__uninitialized_fill7functorINS0_10device_ptrIiEEiEEmLj1EEEvT0_T1_SA_ ; -- Begin function _ZN6thrust23THRUST_200600_302600_NS11hip_rocprim14__parallel_for6kernelILj256ENS1_20__uninitialized_fill7functorINS0_10device_ptrIiEEiEEmLj1EEEvT0_T1_SA_
	.globl	_ZN6thrust23THRUST_200600_302600_NS11hip_rocprim14__parallel_for6kernelILj256ENS1_20__uninitialized_fill7functorINS0_10device_ptrIiEEiEEmLj1EEEvT0_T1_SA_
	.p2align	8
	.type	_ZN6thrust23THRUST_200600_302600_NS11hip_rocprim14__parallel_for6kernelILj256ENS1_20__uninitialized_fill7functorINS0_10device_ptrIiEEiEEmLj1EEEvT0_T1_SA_,@function
_ZN6thrust23THRUST_200600_302600_NS11hip_rocprim14__parallel_for6kernelILj256ENS1_20__uninitialized_fill7functorINS0_10device_ptrIiEEiEEmLj1EEEvT0_T1_SA_: ; @_ZN6thrust23THRUST_200600_302600_NS11hip_rocprim14__parallel_for6kernelILj256ENS1_20__uninitialized_fill7functorINS0_10device_ptrIiEEiEEmLj1EEEvT0_T1_SA_
; %bb.0:
	s_load_dwordx4 s[12:15], s[0:1], 0x10
	s_load_dwordx2 s[4:5], s[0:1], 0x0
	s_load_dword s8, s[0:1], 0x8
	s_lshl_b32 s0, s2, 8
	v_mov_b64_e32 v[2:3], 0xff
	s_waitcnt lgkmcnt(0)
	s_add_u32 s0, s14, s0
	s_addc_u32 s1, s15, 0
	s_sub_u32 s2, s12, s0
	s_subb_u32 s3, s13, s1
	v_cmp_gt_u64_e32 vcc, s[2:3], v[2:3]
	s_mov_b64 s[6:7], -1
	s_cbranch_vccz .LBB5_3
; %bb.1:
	s_andn2_b64 vcc, exec, s[6:7]
	s_cbranch_vccz .LBB5_6
.LBB5_2:
	s_endpgm
.LBB5_3:
	v_cmp_gt_u32_e32 vcc, s2, v0
	s_and_saveexec_b64 s[2:3], vcc
	s_cbranch_execz .LBB5_5
; %bb.4:
	s_lshl_b64 s[6:7], s[0:1], 2
	s_add_u32 s6, s4, s6
	s_addc_u32 s7, s5, s7
	v_lshlrev_b32_e32 v2, 2, v0
	v_mov_b32_e32 v3, 0
	v_lshl_add_u64 v[2:3], s[6:7], 0, v[2:3]
	v_mov_b32_e32 v1, s8
	flat_store_dword v[2:3], v1
.LBB5_5:
	s_or_b64 exec, exec, s[2:3]
	s_cbranch_execnz .LBB5_2
.LBB5_6:
	s_lshl_b64 s[0:1], s[0:1], 2
	s_add_u32 s0, s4, s0
	s_addc_u32 s1, s5, s1
	v_lshlrev_b32_e32 v0, 2, v0
	v_mov_b32_e32 v1, 0
	v_lshl_add_u64 v[0:1], s[0:1], 0, v[0:1]
	v_mov_b32_e32 v2, s8
	flat_store_dword v[0:1], v2
	s_endpgm
	.section	.rodata,"a",@progbits
	.p2align	6, 0x0
	.amdhsa_kernel _ZN6thrust23THRUST_200600_302600_NS11hip_rocprim14__parallel_for6kernelILj256ENS1_20__uninitialized_fill7functorINS0_10device_ptrIiEEiEEmLj1EEEvT0_T1_SA_
		.amdhsa_group_segment_fixed_size 0
		.amdhsa_private_segment_fixed_size 0
		.amdhsa_kernarg_size 32
		.amdhsa_user_sgpr_count 2
		.amdhsa_user_sgpr_dispatch_ptr 0
		.amdhsa_user_sgpr_queue_ptr 0
		.amdhsa_user_sgpr_kernarg_segment_ptr 1
		.amdhsa_user_sgpr_dispatch_id 0
		.amdhsa_user_sgpr_kernarg_preload_length 0
		.amdhsa_user_sgpr_kernarg_preload_offset 0
		.amdhsa_user_sgpr_private_segment_size 0
		.amdhsa_uses_dynamic_stack 0
		.amdhsa_enable_private_segment 0
		.amdhsa_system_sgpr_workgroup_id_x 1
		.amdhsa_system_sgpr_workgroup_id_y 0
		.amdhsa_system_sgpr_workgroup_id_z 0
		.amdhsa_system_sgpr_workgroup_info 0
		.amdhsa_system_vgpr_workitem_id 0
		.amdhsa_next_free_vgpr 4
		.amdhsa_next_free_sgpr 16
		.amdhsa_accum_offset 4
		.amdhsa_reserve_vcc 1
		.amdhsa_float_round_mode_32 0
		.amdhsa_float_round_mode_16_64 0
		.amdhsa_float_denorm_mode_32 3
		.amdhsa_float_denorm_mode_16_64 3
		.amdhsa_dx10_clamp 1
		.amdhsa_ieee_mode 1
		.amdhsa_fp16_overflow 0
		.amdhsa_tg_split 0
		.amdhsa_exception_fp_ieee_invalid_op 0
		.amdhsa_exception_fp_denorm_src 0
		.amdhsa_exception_fp_ieee_div_zero 0
		.amdhsa_exception_fp_ieee_overflow 0
		.amdhsa_exception_fp_ieee_underflow 0
		.amdhsa_exception_fp_ieee_inexact 0
		.amdhsa_exception_int_div_zero 0
	.end_amdhsa_kernel
	.section	.text._ZN6thrust23THRUST_200600_302600_NS11hip_rocprim14__parallel_for6kernelILj256ENS1_20__uninitialized_fill7functorINS0_10device_ptrIiEEiEEmLj1EEEvT0_T1_SA_,"axG",@progbits,_ZN6thrust23THRUST_200600_302600_NS11hip_rocprim14__parallel_for6kernelILj256ENS1_20__uninitialized_fill7functorINS0_10device_ptrIiEEiEEmLj1EEEvT0_T1_SA_,comdat
.Lfunc_end5:
	.size	_ZN6thrust23THRUST_200600_302600_NS11hip_rocprim14__parallel_for6kernelILj256ENS1_20__uninitialized_fill7functorINS0_10device_ptrIiEEiEEmLj1EEEvT0_T1_SA_, .Lfunc_end5-_ZN6thrust23THRUST_200600_302600_NS11hip_rocprim14__parallel_for6kernelILj256ENS1_20__uninitialized_fill7functorINS0_10device_ptrIiEEiEEmLj1EEEvT0_T1_SA_
                                        ; -- End function
	.set _ZN6thrust23THRUST_200600_302600_NS11hip_rocprim14__parallel_for6kernelILj256ENS1_20__uninitialized_fill7functorINS0_10device_ptrIiEEiEEmLj1EEEvT0_T1_SA_.num_vgpr, 4
	.set _ZN6thrust23THRUST_200600_302600_NS11hip_rocprim14__parallel_for6kernelILj256ENS1_20__uninitialized_fill7functorINS0_10device_ptrIiEEiEEmLj1EEEvT0_T1_SA_.num_agpr, 0
	.set _ZN6thrust23THRUST_200600_302600_NS11hip_rocprim14__parallel_for6kernelILj256ENS1_20__uninitialized_fill7functorINS0_10device_ptrIiEEiEEmLj1EEEvT0_T1_SA_.numbered_sgpr, 16
	.set _ZN6thrust23THRUST_200600_302600_NS11hip_rocprim14__parallel_for6kernelILj256ENS1_20__uninitialized_fill7functorINS0_10device_ptrIiEEiEEmLj1EEEvT0_T1_SA_.num_named_barrier, 0
	.set _ZN6thrust23THRUST_200600_302600_NS11hip_rocprim14__parallel_for6kernelILj256ENS1_20__uninitialized_fill7functorINS0_10device_ptrIiEEiEEmLj1EEEvT0_T1_SA_.private_seg_size, 0
	.set _ZN6thrust23THRUST_200600_302600_NS11hip_rocprim14__parallel_for6kernelILj256ENS1_20__uninitialized_fill7functorINS0_10device_ptrIiEEiEEmLj1EEEvT0_T1_SA_.uses_vcc, 1
	.set _ZN6thrust23THRUST_200600_302600_NS11hip_rocprim14__parallel_for6kernelILj256ENS1_20__uninitialized_fill7functorINS0_10device_ptrIiEEiEEmLj1EEEvT0_T1_SA_.uses_flat_scratch, 0
	.set _ZN6thrust23THRUST_200600_302600_NS11hip_rocprim14__parallel_for6kernelILj256ENS1_20__uninitialized_fill7functorINS0_10device_ptrIiEEiEEmLj1EEEvT0_T1_SA_.has_dyn_sized_stack, 0
	.set _ZN6thrust23THRUST_200600_302600_NS11hip_rocprim14__parallel_for6kernelILj256ENS1_20__uninitialized_fill7functorINS0_10device_ptrIiEEiEEmLj1EEEvT0_T1_SA_.has_recursion, 0
	.set _ZN6thrust23THRUST_200600_302600_NS11hip_rocprim14__parallel_for6kernelILj256ENS1_20__uninitialized_fill7functorINS0_10device_ptrIiEEiEEmLj1EEEvT0_T1_SA_.has_indirect_call, 0
	.section	.AMDGPU.csdata,"",@progbits
; Kernel info:
; codeLenInByte = 184
; TotalNumSgprs: 22
; NumVgprs: 4
; NumAgprs: 0
; TotalNumVgprs: 4
; ScratchSize: 0
; MemoryBound: 0
; FloatMode: 240
; IeeeMode: 1
; LDSByteSize: 0 bytes/workgroup (compile time only)
; SGPRBlocks: 2
; VGPRBlocks: 0
; NumSGPRsForWavesPerEU: 22
; NumVGPRsForWavesPerEU: 4
; AccumOffset: 4
; Occupancy: 8
; WaveLimiterHint : 0
; COMPUTE_PGM_RSRC2:SCRATCH_EN: 0
; COMPUTE_PGM_RSRC2:USER_SGPR: 2
; COMPUTE_PGM_RSRC2:TRAP_HANDLER: 0
; COMPUTE_PGM_RSRC2:TGID_X_EN: 1
; COMPUTE_PGM_RSRC2:TGID_Y_EN: 0
; COMPUTE_PGM_RSRC2:TGID_Z_EN: 0
; COMPUTE_PGM_RSRC2:TIDIG_COMP_CNT: 0
; COMPUTE_PGM_RSRC3_GFX90A:ACCUM_OFFSET: 0
; COMPUTE_PGM_RSRC3_GFX90A:TG_SPLIT: 0
	.section	.text._ZN6thrust23THRUST_200600_302600_NS11hip_rocprim14__parallel_for6kernelILj256ENS1_20__uninitialized_fill7functorINS0_10device_ptrIdEEdEEmLj1EEEvT0_T1_SA_,"axG",@progbits,_ZN6thrust23THRUST_200600_302600_NS11hip_rocprim14__parallel_for6kernelILj256ENS1_20__uninitialized_fill7functorINS0_10device_ptrIdEEdEEmLj1EEEvT0_T1_SA_,comdat
	.protected	_ZN6thrust23THRUST_200600_302600_NS11hip_rocprim14__parallel_for6kernelILj256ENS1_20__uninitialized_fill7functorINS0_10device_ptrIdEEdEEmLj1EEEvT0_T1_SA_ ; -- Begin function _ZN6thrust23THRUST_200600_302600_NS11hip_rocprim14__parallel_for6kernelILj256ENS1_20__uninitialized_fill7functorINS0_10device_ptrIdEEdEEmLj1EEEvT0_T1_SA_
	.globl	_ZN6thrust23THRUST_200600_302600_NS11hip_rocprim14__parallel_for6kernelILj256ENS1_20__uninitialized_fill7functorINS0_10device_ptrIdEEdEEmLj1EEEvT0_T1_SA_
	.p2align	8
	.type	_ZN6thrust23THRUST_200600_302600_NS11hip_rocprim14__parallel_for6kernelILj256ENS1_20__uninitialized_fill7functorINS0_10device_ptrIdEEdEEmLj1EEEvT0_T1_SA_,@function
_ZN6thrust23THRUST_200600_302600_NS11hip_rocprim14__parallel_for6kernelILj256ENS1_20__uninitialized_fill7functorINS0_10device_ptrIdEEdEEmLj1EEEvT0_T1_SA_: ; @_ZN6thrust23THRUST_200600_302600_NS11hip_rocprim14__parallel_for6kernelILj256ENS1_20__uninitialized_fill7functorINS0_10device_ptrIdEEdEEmLj1EEEvT0_T1_SA_
; %bb.0:
	s_load_dwordx8 s[4:11], s[0:1], 0x0
	s_lshl_b32 s0, s2, 8
	v_mov_b64_e32 v[2:3], 0xff
	s_mov_b64 s[2:3], -1
	s_waitcnt lgkmcnt(0)
	s_add_u32 s0, s10, s0
	s_addc_u32 s1, s11, 0
	s_sub_u32 s8, s8, s0
	s_subb_u32 s9, s9, s1
	v_cmp_gt_u64_e32 vcc, s[8:9], v[2:3]
	s_cbranch_vccz .LBB6_3
; %bb.1:
	s_andn2_b64 vcc, exec, s[2:3]
	s_cbranch_vccz .LBB6_6
.LBB6_2:
	s_endpgm
.LBB6_3:
	v_cmp_gt_u32_e32 vcc, s8, v0
	s_and_saveexec_b64 s[2:3], vcc
	s_cbranch_execz .LBB6_5
; %bb.4:
	s_lshl_b64 s[8:9], s[0:1], 3
	s_add_u32 s8, s4, s8
	s_addc_u32 s9, s5, s9
	v_lshlrev_b32_e32 v2, 3, v0
	v_mov_b32_e32 v3, 0
	v_lshl_add_u64 v[2:3], s[8:9], 0, v[2:3]
	v_mov_b64_e32 v[4:5], s[6:7]
	flat_store_dwordx2 v[2:3], v[4:5]
.LBB6_5:
	s_or_b64 exec, exec, s[2:3]
	s_cbranch_execnz .LBB6_2
.LBB6_6:
	s_lshl_b64 s[0:1], s[0:1], 3
	s_add_u32 s0, s4, s0
	s_addc_u32 s1, s5, s1
	v_lshlrev_b32_e32 v0, 3, v0
	v_mov_b32_e32 v1, 0
	v_lshl_add_u64 v[0:1], s[0:1], 0, v[0:1]
	v_mov_b64_e32 v[2:3], s[6:7]
	flat_store_dwordx2 v[0:1], v[2:3]
	s_endpgm
	.section	.rodata,"a",@progbits
	.p2align	6, 0x0
	.amdhsa_kernel _ZN6thrust23THRUST_200600_302600_NS11hip_rocprim14__parallel_for6kernelILj256ENS1_20__uninitialized_fill7functorINS0_10device_ptrIdEEdEEmLj1EEEvT0_T1_SA_
		.amdhsa_group_segment_fixed_size 0
		.amdhsa_private_segment_fixed_size 0
		.amdhsa_kernarg_size 32
		.amdhsa_user_sgpr_count 2
		.amdhsa_user_sgpr_dispatch_ptr 0
		.amdhsa_user_sgpr_queue_ptr 0
		.amdhsa_user_sgpr_kernarg_segment_ptr 1
		.amdhsa_user_sgpr_dispatch_id 0
		.amdhsa_user_sgpr_kernarg_preload_length 0
		.amdhsa_user_sgpr_kernarg_preload_offset 0
		.amdhsa_user_sgpr_private_segment_size 0
		.amdhsa_uses_dynamic_stack 0
		.amdhsa_enable_private_segment 0
		.amdhsa_system_sgpr_workgroup_id_x 1
		.amdhsa_system_sgpr_workgroup_id_y 0
		.amdhsa_system_sgpr_workgroup_id_z 0
		.amdhsa_system_sgpr_workgroup_info 0
		.amdhsa_system_vgpr_workitem_id 0
		.amdhsa_next_free_vgpr 6
		.amdhsa_next_free_sgpr 12
		.amdhsa_accum_offset 8
		.amdhsa_reserve_vcc 1
		.amdhsa_float_round_mode_32 0
		.amdhsa_float_round_mode_16_64 0
		.amdhsa_float_denorm_mode_32 3
		.amdhsa_float_denorm_mode_16_64 3
		.amdhsa_dx10_clamp 1
		.amdhsa_ieee_mode 1
		.amdhsa_fp16_overflow 0
		.amdhsa_tg_split 0
		.amdhsa_exception_fp_ieee_invalid_op 0
		.amdhsa_exception_fp_denorm_src 0
		.amdhsa_exception_fp_ieee_div_zero 0
		.amdhsa_exception_fp_ieee_overflow 0
		.amdhsa_exception_fp_ieee_underflow 0
		.amdhsa_exception_fp_ieee_inexact 0
		.amdhsa_exception_int_div_zero 0
	.end_amdhsa_kernel
	.section	.text._ZN6thrust23THRUST_200600_302600_NS11hip_rocprim14__parallel_for6kernelILj256ENS1_20__uninitialized_fill7functorINS0_10device_ptrIdEEdEEmLj1EEEvT0_T1_SA_,"axG",@progbits,_ZN6thrust23THRUST_200600_302600_NS11hip_rocprim14__parallel_for6kernelILj256ENS1_20__uninitialized_fill7functorINS0_10device_ptrIdEEdEEmLj1EEEvT0_T1_SA_,comdat
.Lfunc_end6:
	.size	_ZN6thrust23THRUST_200600_302600_NS11hip_rocprim14__parallel_for6kernelILj256ENS1_20__uninitialized_fill7functorINS0_10device_ptrIdEEdEEmLj1EEEvT0_T1_SA_, .Lfunc_end6-_ZN6thrust23THRUST_200600_302600_NS11hip_rocprim14__parallel_for6kernelILj256ENS1_20__uninitialized_fill7functorINS0_10device_ptrIdEEdEEmLj1EEEvT0_T1_SA_
                                        ; -- End function
	.set _ZN6thrust23THRUST_200600_302600_NS11hip_rocprim14__parallel_for6kernelILj256ENS1_20__uninitialized_fill7functorINS0_10device_ptrIdEEdEEmLj1EEEvT0_T1_SA_.num_vgpr, 6
	.set _ZN6thrust23THRUST_200600_302600_NS11hip_rocprim14__parallel_for6kernelILj256ENS1_20__uninitialized_fill7functorINS0_10device_ptrIdEEdEEmLj1EEEvT0_T1_SA_.num_agpr, 0
	.set _ZN6thrust23THRUST_200600_302600_NS11hip_rocprim14__parallel_for6kernelILj256ENS1_20__uninitialized_fill7functorINS0_10device_ptrIdEEdEEmLj1EEEvT0_T1_SA_.numbered_sgpr, 12
	.set _ZN6thrust23THRUST_200600_302600_NS11hip_rocprim14__parallel_for6kernelILj256ENS1_20__uninitialized_fill7functorINS0_10device_ptrIdEEdEEmLj1EEEvT0_T1_SA_.num_named_barrier, 0
	.set _ZN6thrust23THRUST_200600_302600_NS11hip_rocprim14__parallel_for6kernelILj256ENS1_20__uninitialized_fill7functorINS0_10device_ptrIdEEdEEmLj1EEEvT0_T1_SA_.private_seg_size, 0
	.set _ZN6thrust23THRUST_200600_302600_NS11hip_rocprim14__parallel_for6kernelILj256ENS1_20__uninitialized_fill7functorINS0_10device_ptrIdEEdEEmLj1EEEvT0_T1_SA_.uses_vcc, 1
	.set _ZN6thrust23THRUST_200600_302600_NS11hip_rocprim14__parallel_for6kernelILj256ENS1_20__uninitialized_fill7functorINS0_10device_ptrIdEEdEEmLj1EEEvT0_T1_SA_.uses_flat_scratch, 0
	.set _ZN6thrust23THRUST_200600_302600_NS11hip_rocprim14__parallel_for6kernelILj256ENS1_20__uninitialized_fill7functorINS0_10device_ptrIdEEdEEmLj1EEEvT0_T1_SA_.has_dyn_sized_stack, 0
	.set _ZN6thrust23THRUST_200600_302600_NS11hip_rocprim14__parallel_for6kernelILj256ENS1_20__uninitialized_fill7functorINS0_10device_ptrIdEEdEEmLj1EEEvT0_T1_SA_.has_recursion, 0
	.set _ZN6thrust23THRUST_200600_302600_NS11hip_rocprim14__parallel_for6kernelILj256ENS1_20__uninitialized_fill7functorINS0_10device_ptrIdEEdEEmLj1EEEvT0_T1_SA_.has_indirect_call, 0
	.section	.AMDGPU.csdata,"",@progbits
; Kernel info:
; codeLenInByte = 168
; TotalNumSgprs: 18
; NumVgprs: 6
; NumAgprs: 0
; TotalNumVgprs: 6
; ScratchSize: 0
; MemoryBound: 0
; FloatMode: 240
; IeeeMode: 1
; LDSByteSize: 0 bytes/workgroup (compile time only)
; SGPRBlocks: 2
; VGPRBlocks: 0
; NumSGPRsForWavesPerEU: 18
; NumVGPRsForWavesPerEU: 6
; AccumOffset: 8
; Occupancy: 8
; WaveLimiterHint : 0
; COMPUTE_PGM_RSRC2:SCRATCH_EN: 0
; COMPUTE_PGM_RSRC2:USER_SGPR: 2
; COMPUTE_PGM_RSRC2:TRAP_HANDLER: 0
; COMPUTE_PGM_RSRC2:TGID_X_EN: 1
; COMPUTE_PGM_RSRC2:TGID_Y_EN: 0
; COMPUTE_PGM_RSRC2:TGID_Z_EN: 0
; COMPUTE_PGM_RSRC2:TIDIG_COMP_CNT: 0
; COMPUTE_PGM_RSRC3_GFX90A:ACCUM_OFFSET: 1
; COMPUTE_PGM_RSRC3_GFX90A:TG_SPLIT: 0
	.section	.text._ZN7rocprim17ROCPRIM_400000_NS6detail17trampoline_kernelINS0_13kernel_configILj256ELj4ELj4294967295EEENS1_37radix_sort_block_sort_config_selectorIddEEZNS1_21radix_sort_block_sortIS4_Lb0EN6thrust23THRUST_200600_302600_NS6detail15normal_iteratorINS9_10device_ptrIdEEEESE_SE_SE_NS0_19identity_decomposerEEE10hipError_tT1_T2_T3_T4_jRjT5_jjP12ihipStream_tbEUlT_E_NS1_11comp_targetILNS1_3genE0ELNS1_11target_archE4294967295ELNS1_3gpuE0ELNS1_3repE0EEENS1_44radix_sort_block_sort_config_static_selectorELNS0_4arch9wavefront6targetE1EEEvSH_,"axG",@progbits,_ZN7rocprim17ROCPRIM_400000_NS6detail17trampoline_kernelINS0_13kernel_configILj256ELj4ELj4294967295EEENS1_37radix_sort_block_sort_config_selectorIddEEZNS1_21radix_sort_block_sortIS4_Lb0EN6thrust23THRUST_200600_302600_NS6detail15normal_iteratorINS9_10device_ptrIdEEEESE_SE_SE_NS0_19identity_decomposerEEE10hipError_tT1_T2_T3_T4_jRjT5_jjP12ihipStream_tbEUlT_E_NS1_11comp_targetILNS1_3genE0ELNS1_11target_archE4294967295ELNS1_3gpuE0ELNS1_3repE0EEENS1_44radix_sort_block_sort_config_static_selectorELNS0_4arch9wavefront6targetE1EEEvSH_,comdat
	.protected	_ZN7rocprim17ROCPRIM_400000_NS6detail17trampoline_kernelINS0_13kernel_configILj256ELj4ELj4294967295EEENS1_37radix_sort_block_sort_config_selectorIddEEZNS1_21radix_sort_block_sortIS4_Lb0EN6thrust23THRUST_200600_302600_NS6detail15normal_iteratorINS9_10device_ptrIdEEEESE_SE_SE_NS0_19identity_decomposerEEE10hipError_tT1_T2_T3_T4_jRjT5_jjP12ihipStream_tbEUlT_E_NS1_11comp_targetILNS1_3genE0ELNS1_11target_archE4294967295ELNS1_3gpuE0ELNS1_3repE0EEENS1_44radix_sort_block_sort_config_static_selectorELNS0_4arch9wavefront6targetE1EEEvSH_ ; -- Begin function _ZN7rocprim17ROCPRIM_400000_NS6detail17trampoline_kernelINS0_13kernel_configILj256ELj4ELj4294967295EEENS1_37radix_sort_block_sort_config_selectorIddEEZNS1_21radix_sort_block_sortIS4_Lb0EN6thrust23THRUST_200600_302600_NS6detail15normal_iteratorINS9_10device_ptrIdEEEESE_SE_SE_NS0_19identity_decomposerEEE10hipError_tT1_T2_T3_T4_jRjT5_jjP12ihipStream_tbEUlT_E_NS1_11comp_targetILNS1_3genE0ELNS1_11target_archE4294967295ELNS1_3gpuE0ELNS1_3repE0EEENS1_44radix_sort_block_sort_config_static_selectorELNS0_4arch9wavefront6targetE1EEEvSH_
	.globl	_ZN7rocprim17ROCPRIM_400000_NS6detail17trampoline_kernelINS0_13kernel_configILj256ELj4ELj4294967295EEENS1_37radix_sort_block_sort_config_selectorIddEEZNS1_21radix_sort_block_sortIS4_Lb0EN6thrust23THRUST_200600_302600_NS6detail15normal_iteratorINS9_10device_ptrIdEEEESE_SE_SE_NS0_19identity_decomposerEEE10hipError_tT1_T2_T3_T4_jRjT5_jjP12ihipStream_tbEUlT_E_NS1_11comp_targetILNS1_3genE0ELNS1_11target_archE4294967295ELNS1_3gpuE0ELNS1_3repE0EEENS1_44radix_sort_block_sort_config_static_selectorELNS0_4arch9wavefront6targetE1EEEvSH_
	.p2align	8
	.type	_ZN7rocprim17ROCPRIM_400000_NS6detail17trampoline_kernelINS0_13kernel_configILj256ELj4ELj4294967295EEENS1_37radix_sort_block_sort_config_selectorIddEEZNS1_21radix_sort_block_sortIS4_Lb0EN6thrust23THRUST_200600_302600_NS6detail15normal_iteratorINS9_10device_ptrIdEEEESE_SE_SE_NS0_19identity_decomposerEEE10hipError_tT1_T2_T3_T4_jRjT5_jjP12ihipStream_tbEUlT_E_NS1_11comp_targetILNS1_3genE0ELNS1_11target_archE4294967295ELNS1_3gpuE0ELNS1_3repE0EEENS1_44radix_sort_block_sort_config_static_selectorELNS0_4arch9wavefront6targetE1EEEvSH_,@function
_ZN7rocprim17ROCPRIM_400000_NS6detail17trampoline_kernelINS0_13kernel_configILj256ELj4ELj4294967295EEENS1_37radix_sort_block_sort_config_selectorIddEEZNS1_21radix_sort_block_sortIS4_Lb0EN6thrust23THRUST_200600_302600_NS6detail15normal_iteratorINS9_10device_ptrIdEEEESE_SE_SE_NS0_19identity_decomposerEEE10hipError_tT1_T2_T3_T4_jRjT5_jjP12ihipStream_tbEUlT_E_NS1_11comp_targetILNS1_3genE0ELNS1_11target_archE4294967295ELNS1_3gpuE0ELNS1_3repE0EEENS1_44radix_sort_block_sort_config_static_selectorELNS0_4arch9wavefront6targetE1EEEvSH_: ; @_ZN7rocprim17ROCPRIM_400000_NS6detail17trampoline_kernelINS0_13kernel_configILj256ELj4ELj4294967295EEENS1_37radix_sort_block_sort_config_selectorIddEEZNS1_21radix_sort_block_sortIS4_Lb0EN6thrust23THRUST_200600_302600_NS6detail15normal_iteratorINS9_10device_ptrIdEEEESE_SE_SE_NS0_19identity_decomposerEEE10hipError_tT1_T2_T3_T4_jRjT5_jjP12ihipStream_tbEUlT_E_NS1_11comp_targetILNS1_3genE0ELNS1_11target_archE4294967295ELNS1_3gpuE0ELNS1_3repE0EEENS1_44radix_sort_block_sort_config_static_selectorELNS0_4arch9wavefront6targetE1EEEvSH_
; %bb.0:
	s_load_dword s8, s[0:1], 0x20
	s_load_dwordx8 s[36:43], s[0:1], 0x0
	s_lshl_b32 s4, s2, 10
	s_mov_b32 s5, 0
	v_mbcnt_lo_u32_b32 v1, -1, 0
	s_waitcnt lgkmcnt(0)
	s_lshr_b32 s3, s8, 10
	s_cmp_lg_u32 s2, s3
	v_and_b32_e32 v10, 0x3ff, v0
	s_cselect_b64 s[30:31], -1, 0
	s_lshl_b64 s[28:29], s[4:5], 3
	v_mbcnt_hi_u32_b32 v18, -1, v1
	s_add_u32 s6, s36, s28
	v_and_b32_e32 v1, 63, v18
	v_lshlrev_b32_e32 v2, 2, v10
	s_addc_u32 s7, s37, s29
	v_and_b32_e32 v11, 0x300, v2
	v_mov_b32_e32 v15, 0
	v_lshlrev_b32_e32 v14, 3, v1
	v_lshl_add_u64 v[2:3], s[6:7], 0, v[14:15]
	v_lshlrev_b32_e32 v12, 3, v11
	v_mov_b32_e32 v13, v15
	s_cmp_eq_u32 s2, s3
	v_lshl_add_u64 v[16:17], v[2:3], 0, v[12:13]
	s_cbranch_scc1 .LBB7_2
; %bb.1:
	s_add_u32 s2, s40, s28
	s_addc_u32 s3, s41, s29
	v_lshl_add_u64 v[20:21], s[2:3], 0, v[14:15]
	global_load_dwordx2 v[2:3], v[16:17], off
	global_load_dwordx2 v[4:5], v[16:17], off offset:512
	global_load_dwordx2 v[6:7], v[16:17], off offset:1024
	;; [unrolled: 1-line block ×3, first 2 shown]
	v_lshl_add_u64 v[20:21], v[20:21], 0, v[12:13]
	global_load_dwordx2 v[42:43], v[20:21], off
	global_load_dwordx2 v[44:45], v[20:21], off offset:512
	global_load_dwordx2 v[46:47], v[20:21], off offset:1024
	s_mov_b64 s[6:7], -1
	s_load_dwordx2 s[34:35], s[0:1], 0x28
	s_sub_i32 s33, s8, s4
	s_cbranch_execz .LBB7_3
	s_branch .LBB7_16
.LBB7_2:
	s_mov_b64 s[6:7], 0
                                        ; implicit-def: $vgpr2_vgpr3_vgpr4_vgpr5_vgpr6_vgpr7_vgpr8_vgpr9
                                        ; implicit-def: $vgpr42_vgpr43
                                        ; implicit-def: $vgpr46_vgpr47
	s_load_dwordx2 s[34:35], s[0:1], 0x28
	s_sub_i32 s33, s8, s4
.LBB7_3:
	v_or_b32_e32 v11, v1, v11
	s_waitcnt vmcnt(6)
	v_mov_b32_e32 v2, -1
	v_bfrev_b32_e32 v3, -2
	v_cmp_gt_u32_e32 vcc, s33, v11
	s_waitcnt vmcnt(5)
	v_mov_b32_e32 v4, v2
	v_mov_b32_e32 v5, v3
	s_waitcnt vmcnt(4)
	v_mov_b32_e32 v6, v2
	v_mov_b32_e32 v7, v3
	s_waitcnt vmcnt(3)
	v_mov_b32_e32 v8, v2
	v_mov_b32_e32 v9, v3
	s_and_saveexec_b64 s[2:3], vcc
	s_cbranch_execz .LBB7_5
; %bb.4:
	global_load_dwordx2 v[20:21], v[16:17], off
	v_mov_b32_e32 v22, v2
	v_mov_b32_e32 v23, v3
	;; [unrolled: 1-line block ×6, first 2 shown]
	s_waitcnt vmcnt(0)
	v_mov_b64_e32 v[2:3], v[20:21]
	v_mov_b64_e32 v[4:5], v[22:23]
	v_mov_b64_e32 v[6:7], v[24:25]
	v_mov_b64_e32 v[8:9], v[26:27]
.LBB7_5:
	s_or_b64 exec, exec, s[2:3]
	v_or_b32_e32 v13, 64, v11
	v_cmp_gt_u32_e64 s[2:3], s33, v13
	s_and_saveexec_b64 s[4:5], s[2:3]
	s_cbranch_execz .LBB7_7
; %bb.6:
	global_load_dwordx2 v[4:5], v[16:17], off offset:512
.LBB7_7:
	s_or_b64 exec, exec, s[4:5]
	v_or_b32_e32 v13, 0x80, v11
	v_cmp_gt_u32_e64 s[4:5], s33, v13
	s_and_saveexec_b64 s[6:7], s[4:5]
	s_cbranch_execz .LBB7_9
; %bb.8:
	global_load_dwordx2 v[6:7], v[16:17], off offset:1024
.LBB7_9:
	;; [unrolled: 8-line block ×3, first 2 shown]
	s_or_b64 exec, exec, s[8:9]
	s_add_u32 s8, s40, s28
	s_addc_u32 s9, s41, s29
	v_mov_b32_e32 v15, 0
	v_lshl_add_u64 v[16:17], s[8:9], 0, v[14:15]
	v_mov_b32_e32 v13, v15
	v_lshl_add_u64 v[16:17], v[16:17], 0, v[12:13]
                                        ; implicit-def: $vgpr42_vgpr43
	s_and_saveexec_b64 s[8:9], vcc
	s_cbranch_execnz .LBB7_55
; %bb.12:
	s_or_b64 exec, exec, s[8:9]
	s_and_saveexec_b64 s[8:9], s[2:3]
	s_cbranch_execnz .LBB7_56
.LBB7_13:
	s_or_b64 exec, exec, s[8:9]
                                        ; implicit-def: $vgpr46_vgpr47
	s_and_saveexec_b64 s[2:3], s[4:5]
	s_cbranch_execz .LBB7_15
.LBB7_14:
	global_load_dwordx2 v[46:47], v[16:17], off offset:1024
.LBB7_15:
	s_or_b64 exec, exec, s[2:3]
.LBB7_16:
	s_and_saveexec_b64 s[2:3], s[6:7]
	s_cbranch_execz .LBB7_18
; %bb.17:
	s_add_u32 s4, s40, s28
	s_addc_u32 s5, s41, s29
	v_mov_b32_e32 v15, 0
	v_lshl_add_u64 v[16:17], s[4:5], 0, v[14:15]
	v_mov_b32_e32 v13, v15
	v_lshl_add_u64 v[14:15], v[16:17], 0, v[12:13]
	global_load_dwordx2 v[48:49], v[14:15], off offset:1536
.LBB7_18:
	s_or_b64 exec, exec, s[2:3]
	v_bfrev_b32_e32 v11, 1
	s_waitcnt vmcnt(6)
	v_cmp_lt_i64_e32 vcc, -1, v[2:3]
	s_load_dword s2, s[0:1], 0x3c
	v_ashrrev_i32_e32 v14, 31, v3
	v_cndmask_b32_e32 v13, -1, v11, vcc
	s_waitcnt vmcnt(0)
	v_cmp_lt_i64_e32 vcc, -1, v[4:5]
	v_xor_b32_e32 v3, v13, v3
	s_waitcnt lgkmcnt(0)
	s_add_i32 s40, s35, s34
	v_cndmask_b32_e32 v13, -1, v11, vcc
	v_cmp_lt_i64_e32 vcc, -1, v[6:7]
	v_xor_b32_e32 v2, v14, v2
	v_ashrrev_i32_e32 v14, 31, v5
	v_xor_b32_e32 v5, v13, v5
	v_cndmask_b32_e32 v13, -1, v11, vcc
	v_cmp_lt_i64_e32 vcc, -1, v[8:9]
	v_xor_b32_e32 v4, v14, v4
	v_ashrrev_i32_e32 v14, 31, v7
	v_xor_b32_e32 v7, v13, v7
	v_cndmask_b32_e32 v13, -1, v11, vcc
	s_getpc_b64 s[0:1]
	s_add_u32 s0, s0, _ZN7rocprim17ROCPRIM_400000_NS16block_radix_sortIdLj256ELj4EdLj1ELj1ELj0ELNS0_26block_radix_rank_algorithmE1ELNS0_18block_padding_hintE2ELNS0_4arch9wavefront6targetE1EE19radix_bits_per_passE@rel32@lo+4
	s_addc_u32 s1, s1, _ZN7rocprim17ROCPRIM_400000_NS16block_radix_sortIdLj256ELj4EdLj1ELj1ELj0ELNS0_26block_radix_rank_algorithmE1ELNS0_18block_padding_hintE2ELNS0_4arch9wavefront6targetE1EE19radix_bits_per_passE@rel32@hi+12
	v_xor_b32_e32 v6, v14, v6
	v_ashrrev_i32_e32 v14, 31, v9
	v_xor_b32_e32 v9, v13, v9
	s_load_dword s41, s[0:1], 0x0
	s_lshr_b32 s0, s2, 16
	v_bfe_u32 v13, v0, 10, 10
	v_bfe_u32 v0, v0, 20, 10
	s_and_b32 s1, s2, 0xffff
	v_mad_u32_u24 v0, v0, s0, v13
	v_xor_b32_e32 v8, v14, v8
	v_mad_u64_u32 v[14:15], s[0:1], v0, s1, v[10:11]
	v_lshrrev_b32_e32 v0, 4, v14
	v_and_b32_e32 v35, 0xffffffc, v0
	v_and_b32_e32 v0, 15, v18
	v_cmp_eq_u32_e64 s[0:1], 0, v0
	v_cmp_lt_u32_e64 s[2:3], 1, v0
	v_cmp_lt_u32_e64 s[4:5], 3, v0
	;; [unrolled: 1-line block ×3, first 2 shown]
	v_and_b32_e32 v0, 16, v18
	v_cmp_eq_u32_e64 s[8:9], 0, v0
	v_and_b32_e32 v0, 0x3c0, v10
	v_min_u32_e32 v0, 0xc0, v0
	v_or_b32_e32 v0, 63, v0
	v_cmp_eq_u32_e64 s[12:13], v10, v0
	v_subrev_co_u32_e64 v0, s[18:19], 1, v18
	v_and_b32_e32 v13, 64, v18
	v_cmp_lt_i32_e32 vcc, v0, v13
	s_mov_b32 s26, 0
	s_mov_b32 s36, -1
	v_cndmask_b32_e32 v0, v0, v18, vcc
	v_lshlrev_b32_e32 v36, 2, v0
	v_lshrrev_b32_e32 v0, 4, v10
	v_lshlrev_b32_e32 v34, 4, v10
	v_and_b32_e32 v37, 60, v0
	v_mul_i32_i24_e32 v0, -12, v10
	v_and_b32_e32 v13, 3, v18
	s_mov_b32 s27, s26
	s_mov_b32 s44, s26
	s_mov_b32 s45, s26
	s_brev_b32 s37, -2
	v_cmp_lt_u32_e64 s[10:11], 31, v18
	v_cmp_gt_u32_e64 s[14:15], 4, v10
	v_cmp_lt_u32_e64 s[16:17], 63, v10
	v_cmp_eq_u32_e64 s[20:21], 0, v10
	v_cmp_eq_u32_e64 s[22:23], 0, v13
	v_cmp_lt_u32_e64 s[24:25], 1, v13
	v_add_u32_e32 v38, -4, v37
	v_lshl_add_u32 v39, v1, 3, v12
	v_mov_b64_e32 v[12:13], s[26:27]
	v_mov_b64_e32 v[14:15], s[44:45]
	v_mov_b32_e32 v25, 0
	v_add_u32_e32 v40, v34, v0
	s_branch .LBB7_20
.LBB7_19:                               ;   in Loop: Header=BB7_20 Depth=1
	s_andn2_b64 vcc, exec, s[26:27]
	s_cbranch_vccz .LBB7_36
.LBB7_20:                               ; =>This Inner Loop Header: Depth=1
	v_mov_b64_e32 v[32:33], v[2:3]
	v_cmp_ne_u64_e32 vcc, s[36:37], v[32:33]
	s_waitcnt lgkmcnt(0)
	s_min_u32 s26, s41, s35
	s_lshl_b32 s44, -1, s26
	v_cndmask_b32_e32 v1, v11, v33, vcc
	v_cndmask_b32_e32 v0, 0, v32, vcc
	v_lshrrev_b64 v[0:1], s34, v[0:1]
	v_bitop3_b32 v2, v0, s44, v0 bitop3:0x30
	v_and_b32_e32 v24, 1, v2
	v_lshl_add_u64 v[0:1], v[24:25], 0, -1
	v_cmp_ne_u32_e32 vcc, 0, v24
	v_mov_b64_e32 v[30:31], v[4:5]
	v_lshlrev_b32_e32 v3, 4, v2
	v_xor_b32_e32 v1, vcc_hi, v1
	v_xor_b32_e32 v0, vcc_lo, v0
	v_and_b32_e32 v4, exec_hi, v1
	v_and_b32_e32 v5, exec_lo, v0
	v_lshlrev_b32_e32 v1, 30, v2
	v_mov_b32_e32 v0, v25
	v_cmp_gt_i64_e32 vcc, 0, v[0:1]
	v_not_b32_e32 v0, v1
	v_ashrrev_i32_e32 v0, 31, v0
	v_xor_b32_e32 v1, vcc_hi, v0
	v_xor_b32_e32 v0, vcc_lo, v0
	v_and_b32_e32 v4, v4, v1
	v_and_b32_e32 v5, v5, v0
	v_lshlrev_b32_e32 v1, 29, v2
	v_mov_b32_e32 v0, v25
	v_cmp_gt_i64_e32 vcc, 0, v[0:1]
	v_not_b32_e32 v0, v1
	v_ashrrev_i32_e32 v0, 31, v0
	v_xor_b32_e32 v1, vcc_hi, v0
	v_xor_b32_e32 v0, vcc_lo, v0
	v_and_b32_e32 v4, v4, v1
	v_and_b32_e32 v5, v5, v0
	;; [unrolled: 9-line block ×7, first 2 shown]
	v_mbcnt_lo_u32_b32 v2, v0, 0
	v_mbcnt_hi_u32_b32 v4, v1, v2
	v_cmp_eq_u32_e32 vcc, 0, v4
	v_cmp_ne_u64_e64 s[26:27], 0, v[0:1]
	v_mov_b64_e32 v[26:27], v[8:9]
	v_mov_b64_e32 v[28:29], v[6:7]
	;; [unrolled: 1-line block ×6, first 2 shown]
	s_and_b64 s[46:47], s[26:27], vcc
	v_add_u32_e32 v5, v35, v3
	ds_write2_b64 v34, v[12:13], v[14:15] offset0:2 offset1:3
	s_waitcnt lgkmcnt(0)
	s_barrier
	; wave barrier
	s_and_saveexec_b64 s[26:27], s[46:47]
; %bb.21:                               ;   in Loop: Header=BB7_20 Depth=1
	v_bcnt_u32_b32 v0, v0, 0
	v_bcnt_u32_b32 v0, v1, v0
	ds_write_b32 v5, v0 offset:16
; %bb.22:                               ;   in Loop: Header=BB7_20 Depth=1
	s_or_b64 exec, exec, s[26:27]
	v_cmp_ne_u64_e32 vcc, s[36:37], v[30:31]
	s_not_b32 s44, s44
	s_nop 0
	v_cndmask_b32_e32 v1, v11, v31, vcc
	v_cndmask_b32_e32 v0, 0, v30, vcc
	v_lshrrev_b64 v[0:1], s34, v[0:1]
	v_and_b32_e32 v2, s44, v0
	v_lshlrev_b32_e32 v0, 4, v2
	v_and_b32_e32 v24, 1, v2
	v_add_u32_e32 v7, v35, v0
	v_lshl_add_u64 v[0:1], v[24:25], 0, -1
	v_cmp_ne_u32_e32 vcc, 0, v24
	; wave barrier
	ds_read_b32 v6, v7 offset:16
	s_nop 0
	v_xor_b32_e32 v1, vcc_hi, v1
	v_xor_b32_e32 v0, vcc_lo, v0
	v_and_b32_e32 v3, exec_hi, v1
	v_and_b32_e32 v8, exec_lo, v0
	v_lshlrev_b32_e32 v1, 30, v2
	v_mov_b32_e32 v0, v25
	v_cmp_gt_i64_e32 vcc, 0, v[0:1]
	v_not_b32_e32 v0, v1
	v_ashrrev_i32_e32 v0, 31, v0
	v_xor_b32_e32 v1, vcc_hi, v0
	v_xor_b32_e32 v0, vcc_lo, v0
	v_and_b32_e32 v3, v3, v1
	v_and_b32_e32 v8, v8, v0
	v_lshlrev_b32_e32 v1, 29, v2
	v_mov_b32_e32 v0, v25
	v_cmp_gt_i64_e32 vcc, 0, v[0:1]
	v_not_b32_e32 v0, v1
	v_ashrrev_i32_e32 v0, 31, v0
	v_xor_b32_e32 v1, vcc_hi, v0
	v_xor_b32_e32 v0, vcc_lo, v0
	v_and_b32_e32 v3, v3, v1
	v_and_b32_e32 v8, v8, v0
	;; [unrolled: 9-line block ×7, first 2 shown]
	v_mbcnt_lo_u32_b32 v2, v0, 0
	v_mbcnt_hi_u32_b32 v8, v1, v2
	v_cmp_eq_u32_e32 vcc, 0, v8
	v_cmp_ne_u64_e64 s[26:27], 0, v[0:1]
	s_and_b64 s[46:47], s[26:27], vcc
	; wave barrier
	s_and_saveexec_b64 s[26:27], s[46:47]
	s_cbranch_execz .LBB7_24
; %bb.23:                               ;   in Loop: Header=BB7_20 Depth=1
	v_bcnt_u32_b32 v0, v0, 0
	v_bcnt_u32_b32 v0, v1, v0
	s_waitcnt lgkmcnt(0)
	v_add_u32_e32 v0, v6, v0
	ds_write_b32 v7, v0 offset:16
.LBB7_24:                               ;   in Loop: Header=BB7_20 Depth=1
	s_or_b64 exec, exec, s[26:27]
	v_cmp_ne_u64_e32 vcc, s[36:37], v[28:29]
	; wave barrier
	s_nop 1
	v_cndmask_b32_e32 v1, v11, v29, vcc
	v_cndmask_b32_e32 v0, 0, v28, vcc
	v_lshrrev_b64 v[0:1], s34, v[0:1]
	v_and_b32_e32 v2, s44, v0
	v_lshlrev_b32_e32 v0, 4, v2
	v_and_b32_e32 v24, 1, v2
	v_add_u32_e32 v41, v35, v0
	v_lshl_add_u64 v[0:1], v[24:25], 0, -1
	v_cmp_ne_u32_e32 vcc, 0, v24
	ds_read_b32 v9, v41 offset:16
	s_nop 0
	v_xor_b32_e32 v1, vcc_hi, v1
	v_xor_b32_e32 v0, vcc_lo, v0
	v_and_b32_e32 v3, exec_hi, v1
	v_and_b32_e32 v24, exec_lo, v0
	v_lshlrev_b32_e32 v1, 30, v2
	v_mov_b32_e32 v0, v25
	v_cmp_gt_i64_e32 vcc, 0, v[0:1]
	v_not_b32_e32 v0, v1
	v_ashrrev_i32_e32 v0, 31, v0
	v_xor_b32_e32 v1, vcc_hi, v0
	v_xor_b32_e32 v0, vcc_lo, v0
	v_and_b32_e32 v3, v3, v1
	v_and_b32_e32 v24, v24, v0
	v_lshlrev_b32_e32 v1, 29, v2
	v_mov_b32_e32 v0, v25
	v_cmp_gt_i64_e32 vcc, 0, v[0:1]
	v_not_b32_e32 v0, v1
	v_ashrrev_i32_e32 v0, 31, v0
	v_xor_b32_e32 v1, vcc_hi, v0
	v_xor_b32_e32 v0, vcc_lo, v0
	v_and_b32_e32 v3, v3, v1
	v_and_b32_e32 v24, v24, v0
	v_lshlrev_b32_e32 v1, 28, v2
	v_mov_b32_e32 v0, v25
	v_cmp_gt_i64_e32 vcc, 0, v[0:1]
	v_not_b32_e32 v0, v1
	v_ashrrev_i32_e32 v0, 31, v0
	v_xor_b32_e32 v1, vcc_hi, v0
	v_xor_b32_e32 v0, vcc_lo, v0
	v_and_b32_e32 v3, v3, v1
	v_and_b32_e32 v24, v24, v0
	v_lshlrev_b32_e32 v1, 27, v2
	v_mov_b32_e32 v0, v25
	v_cmp_gt_i64_e32 vcc, 0, v[0:1]
	v_not_b32_e32 v0, v1
	v_ashrrev_i32_e32 v0, 31, v0
	v_xor_b32_e32 v1, vcc_hi, v0
	v_xor_b32_e32 v0, vcc_lo, v0
	v_and_b32_e32 v3, v3, v1
	v_and_b32_e32 v24, v24, v0
	v_lshlrev_b32_e32 v1, 26, v2
	v_mov_b32_e32 v0, v25
	v_cmp_gt_i64_e32 vcc, 0, v[0:1]
	v_not_b32_e32 v0, v1
	v_ashrrev_i32_e32 v0, 31, v0
	v_xor_b32_e32 v1, vcc_hi, v0
	v_xor_b32_e32 v0, vcc_lo, v0
	v_and_b32_e32 v3, v3, v1
	v_and_b32_e32 v24, v24, v0
	v_lshlrev_b32_e32 v1, 25, v2
	v_mov_b32_e32 v0, v25
	v_cmp_gt_i64_e32 vcc, 0, v[0:1]
	v_not_b32_e32 v0, v1
	v_ashrrev_i32_e32 v0, 31, v0
	v_xor_b32_e32 v1, vcc_hi, v0
	v_xor_b32_e32 v0, vcc_lo, v0
	v_and_b32_e32 v3, v3, v1
	v_and_b32_e32 v24, v24, v0
	v_lshlrev_b32_e32 v1, 24, v2
	v_mov_b32_e32 v0, v25
	v_cmp_gt_i64_e32 vcc, 0, v[0:1]
	v_not_b32_e32 v0, v1
	v_ashrrev_i32_e32 v0, 31, v0
	v_xor_b32_e32 v1, vcc_hi, v0
	v_xor_b32_e32 v0, vcc_lo, v0
	v_and_b32_e32 v0, v24, v0
	v_and_b32_e32 v1, v3, v1
	v_mbcnt_lo_u32_b32 v2, v0, 0
	v_mbcnt_hi_u32_b32 v42, v1, v2
	v_cmp_eq_u32_e32 vcc, 0, v42
	v_cmp_ne_u64_e64 s[26:27], 0, v[0:1]
	s_and_b64 s[46:47], s[26:27], vcc
	; wave barrier
	s_and_saveexec_b64 s[26:27], s[46:47]
	s_cbranch_execz .LBB7_26
; %bb.25:                               ;   in Loop: Header=BB7_20 Depth=1
	v_bcnt_u32_b32 v0, v0, 0
	v_bcnt_u32_b32 v0, v1, v0
	s_waitcnt lgkmcnt(0)
	v_add_u32_e32 v0, v9, v0
	ds_write_b32 v41, v0 offset:16
.LBB7_26:                               ;   in Loop: Header=BB7_20 Depth=1
	s_or_b64 exec, exec, s[26:27]
	v_cmp_ne_u64_e32 vcc, s[36:37], v[26:27]
	; wave barrier
	s_nop 1
	v_cndmask_b32_e32 v1, v11, v27, vcc
	v_cndmask_b32_e32 v0, 0, v26, vcc
	v_lshrrev_b64 v[0:1], s34, v[0:1]
	v_and_b32_e32 v2, s44, v0
	v_lshlrev_b32_e32 v0, 4, v2
	v_and_b32_e32 v24, 1, v2
	v_add_u32_e32 v44, v35, v0
	v_lshl_add_u64 v[0:1], v[24:25], 0, -1
	v_cmp_ne_u32_e32 vcc, 0, v24
	ds_read_b32 v43, v44 offset:16
	s_nop 0
	v_xor_b32_e32 v1, vcc_hi, v1
	v_xor_b32_e32 v0, vcc_lo, v0
	v_and_b32_e32 v3, exec_hi, v1
	v_and_b32_e32 v24, exec_lo, v0
	v_lshlrev_b32_e32 v1, 30, v2
	v_mov_b32_e32 v0, v25
	v_cmp_gt_i64_e32 vcc, 0, v[0:1]
	v_not_b32_e32 v0, v1
	v_ashrrev_i32_e32 v0, 31, v0
	v_xor_b32_e32 v1, vcc_hi, v0
	v_xor_b32_e32 v0, vcc_lo, v0
	v_and_b32_e32 v3, v3, v1
	v_and_b32_e32 v24, v24, v0
	v_lshlrev_b32_e32 v1, 29, v2
	v_mov_b32_e32 v0, v25
	v_cmp_gt_i64_e32 vcc, 0, v[0:1]
	v_not_b32_e32 v0, v1
	v_ashrrev_i32_e32 v0, 31, v0
	v_xor_b32_e32 v1, vcc_hi, v0
	v_xor_b32_e32 v0, vcc_lo, v0
	v_and_b32_e32 v3, v3, v1
	v_and_b32_e32 v24, v24, v0
	;; [unrolled: 9-line block ×7, first 2 shown]
	v_mbcnt_lo_u32_b32 v2, v0, 0
	v_mbcnt_hi_u32_b32 v24, v1, v2
	v_cmp_eq_u32_e32 vcc, 0, v24
	v_cmp_ne_u64_e64 s[26:27], 0, v[0:1]
	s_and_b64 s[44:45], s[26:27], vcc
	; wave barrier
	s_and_saveexec_b64 s[26:27], s[44:45]
	s_cbranch_execz .LBB7_28
; %bb.27:                               ;   in Loop: Header=BB7_20 Depth=1
	v_bcnt_u32_b32 v0, v0, 0
	v_bcnt_u32_b32 v0, v1, v0
	s_waitcnt lgkmcnt(0)
	v_add_u32_e32 v0, v43, v0
	ds_write_b32 v44, v0 offset:16
.LBB7_28:                               ;   in Loop: Header=BB7_20 Depth=1
	s_or_b64 exec, exec, s[26:27]
	; wave barrier
	s_waitcnt lgkmcnt(0)
	s_barrier
	ds_read2_b64 v[0:3], v34 offset0:2 offset1:3
	s_waitcnt lgkmcnt(0)
	v_add_u32_e32 v45, v1, v0
	v_add3_u32 v3, v45, v2, v3
	s_nop 1
	v_mov_b32_dpp v45, v3 row_shr:1 row_mask:0xf bank_mask:0xf
	v_cndmask_b32_e64 v45, v45, 0, s[0:1]
	v_add_u32_e32 v3, v45, v3
	s_nop 1
	v_mov_b32_dpp v45, v3 row_shr:2 row_mask:0xf bank_mask:0xf
	v_cndmask_b32_e64 v45, 0, v45, s[2:3]
	v_add_u32_e32 v3, v3, v45
	;; [unrolled: 4-line block ×4, first 2 shown]
	s_nop 1
	v_mov_b32_dpp v45, v3 row_bcast:15 row_mask:0xf bank_mask:0xf
	v_cndmask_b32_e64 v45, v45, 0, s[8:9]
	v_add_u32_e32 v3, v3, v45
	s_nop 1
	v_mov_b32_dpp v45, v3 row_bcast:31 row_mask:0xf bank_mask:0xf
	v_cndmask_b32_e64 v45, 0, v45, s[10:11]
	v_add_u32_e32 v3, v3, v45
	s_and_saveexec_b64 s[26:27], s[12:13]
; %bb.29:                               ;   in Loop: Header=BB7_20 Depth=1
	ds_write_b32 v37, v3
; %bb.30:                               ;   in Loop: Header=BB7_20 Depth=1
	s_or_b64 exec, exec, s[26:27]
	s_waitcnt lgkmcnt(0)
	s_barrier
	s_and_saveexec_b64 s[26:27], s[14:15]
	s_cbranch_execz .LBB7_32
; %bb.31:                               ;   in Loop: Header=BB7_20 Depth=1
	ds_read_b32 v45, v40
	s_waitcnt lgkmcnt(0)
	s_nop 0
	v_mov_b32_dpp v46, v45 row_shr:1 row_mask:0xf bank_mask:0xf
	v_cndmask_b32_e64 v46, v46, 0, s[22:23]
	v_add_u32_e32 v45, v46, v45
	s_nop 1
	v_mov_b32_dpp v46, v45 row_shr:2 row_mask:0xf bank_mask:0xf
	v_cndmask_b32_e64 v46, 0, v46, s[24:25]
	v_add_u32_e32 v45, v45, v46
	ds_write_b32 v40, v45
.LBB7_32:                               ;   in Loop: Header=BB7_20 Depth=1
	s_or_b64 exec, exec, s[26:27]
	v_mov_b32_e32 v45, 0
	s_waitcnt lgkmcnt(0)
	s_barrier
	s_and_saveexec_b64 s[26:27], s[16:17]
; %bb.33:                               ;   in Loop: Header=BB7_20 Depth=1
	ds_read_b32 v45, v38
; %bb.34:                               ;   in Loop: Header=BB7_20 Depth=1
	s_or_b64 exec, exec, s[26:27]
	s_waitcnt lgkmcnt(0)
	v_add_u32_e32 v3, v45, v3
	ds_bpermute_b32 v3, v36, v3
	v_lshlrev_b32_e32 v4, 3, v4
	s_add_i32 s34, s34, 8
	s_cmp_ge_u32 s34, s40
	s_mov_b64 s[26:27], -1
	s_waitcnt lgkmcnt(0)
	v_cndmask_b32_e64 v3, v3, v45, s[18:19]
	v_cndmask_b32_e64 v46, v3, 0, s[20:21]
	v_add_u32_e32 v47, v46, v0
	v_add_u32_e32 v0, v47, v1
	;; [unrolled: 1-line block ×3, first 2 shown]
	ds_write2_b64 v34, v[46:47], v[0:1] offset0:2 offset1:3
	s_waitcnt lgkmcnt(0)
	s_barrier
	ds_read_b32 v0, v5 offset:16
	ds_read_b32 v1, v7 offset:16
	;; [unrolled: 1-line block ×4, first 2 shown]
	v_lshlrev_b32_e32 v5, 3, v6
	s_waitcnt lgkmcnt(3)
	v_lshl_add_u32 v0, v0, 3, v4
	v_lshlrev_b32_e32 v4, 3, v8
	s_waitcnt lgkmcnt(2)
	v_lshlrev_b32_e32 v1, 3, v1
	v_add3_u32 v1, v4, v5, v1
	v_lshlrev_b32_e32 v4, 3, v42
	v_lshlrev_b32_e32 v5, 3, v9
	s_waitcnt lgkmcnt(1)
	v_lshlrev_b32_e32 v2, 3, v2
	v_add3_u32 v41, v4, v5, v2
	v_lshlrev_b32_e32 v2, 3, v24
	v_lshlrev_b32_e32 v4, 3, v43
	s_waitcnt lgkmcnt(0)
	v_lshlrev_b32_e32 v3, 3, v3
	v_add3_u32 v24, v2, v4, v3
                                        ; implicit-def: $vgpr8_vgpr9
                                        ; implicit-def: $vgpr4_vgpr5
                                        ; implicit-def: $vgpr42_vgpr43
                                        ; implicit-def: $vgpr46_vgpr47
	s_cbranch_scc1 .LBB7_19
; %bb.35:                               ;   in Loop: Header=BB7_20 Depth=1
	s_barrier
	ds_write_b64 v0, v[32:33]
	ds_write_b64 v1, v[30:31]
	;; [unrolled: 1-line block ×4, first 2 shown]
	s_waitcnt lgkmcnt(0)
	s_barrier
	ds_read2st64_b64 v[2:5], v39 offset1:1
	ds_read2st64_b64 v[6:9], v39 offset0:2 offset1:3
	s_waitcnt lgkmcnt(0)
	s_barrier
	ds_write_b64 v0, v[22:23]
	ds_write_b64 v1, v[20:21]
	;; [unrolled: 1-line block ×4, first 2 shown]
	s_waitcnt lgkmcnt(0)
	s_barrier
	ds_read2st64_b64 v[42:45], v39 offset1:1
	ds_read2st64_b64 v[46:49], v39 offset0:2 offset1:3
	s_add_i32 s35, s35, -8
	s_mov_b64 s[26:27], 0
	s_waitcnt lgkmcnt(0)
	s_barrier
	s_branch .LBB7_19
.LBB7_36:
	v_lshlrev_b32_e32 v8, 3, v10
	s_barrier
	ds_write_b64 v0, v[32:33]
	ds_write_b64 v1, v[30:31]
	;; [unrolled: 1-line block ×4, first 2 shown]
	s_waitcnt lgkmcnt(0)
	s_barrier
	ds_read2st64_b64 v[12:15], v8 offset1:4
	ds_read2st64_b64 v[26:29], v8 offset0:8 offset1:12
	s_waitcnt lgkmcnt(0)
	s_barrier
	ds_write_b64 v0, v[22:23]
	ds_write_b64 v1, v[20:21]
	;; [unrolled: 1-line block ×4, first 2 shown]
	v_bfrev_b32_e32 v9, 1
	v_cmp_lt_i64_e32 vcc, -1, v[12:13]
	v_ashrrev_i32_e32 v16, 31, v13
	v_not_b32_e32 v16, v16
	v_cndmask_b32_e64 v11, v9, -1, vcc
	v_cmp_lt_i64_e32 vcc, -1, v[14:15]
	s_waitcnt lgkmcnt(0)
	s_barrier
	ds_read2st64_b64 v[4:7], v8 offset1:4
	ds_read2st64_b64 v[0:3], v8 offset0:8 offset1:12
	v_xor_b32_e32 v21, v11, v13
	v_xor_b32_e32 v20, v16, v12
	v_cndmask_b32_e64 v11, v9, -1, vcc
	v_ashrrev_i32_e32 v12, 31, v15
	v_cmp_lt_i64_e32 vcc, -1, v[26:27]
	v_not_b32_e32 v12, v12
	v_xor_b32_e32 v19, v11, v15
	v_cndmask_b32_e64 v11, v9, -1, vcc
	v_cmp_lt_i64_e32 vcc, -1, v[28:29]
	v_xor_b32_e32 v18, v12, v14
	v_ashrrev_i32_e32 v12, 31, v27
	v_xor_b32_e32 v15, v11, v27
	v_cndmask_b32_e64 v9, v9, -1, vcc
	v_ashrrev_i32_e32 v11, 31, v29
	s_add_u32 s2, s38, s28
	v_not_b32_e32 v12, v12
	v_not_b32_e32 v11, v11
	v_xor_b32_e32 v13, v9, v29
	s_addc_u32 s3, s39, s29
	v_mov_b32_e32 v9, 0
	s_mov_b64 s[0:1], -1
	v_xor_b32_e32 v14, v12, v26
	v_xor_b32_e32 v12, v11, v28
	v_lshl_add_u64 v[16:17], s[2:3], 0, v[8:9]
	s_andn2_b64 vcc, exec, s[30:31]
	s_mov_b64 s[6:7], 0
	s_cbranch_vccz .LBB7_40
; %bb.37:
	s_andn2_b64 vcc, exec, s[0:1]
	s_cbranch_vccz .LBB7_41
.LBB7_38:
	s_and_saveexec_b64 s[0:1], s[6:7]
	s_cbranch_execnz .LBB7_54
.LBB7_39:
	s_endpgm
.LBB7_40:
	v_add_co_u32_e32 v22, vcc, 0x1000, v16
	s_add_u32 s0, s42, s28
	s_nop 0
	v_addc_co_u32_e32 v23, vcc, 0, v17, vcc
	s_addc_u32 s1, s43, s29
	global_store_dwordx2 v[16:17], v[20:21], off
	global_store_dwordx2 v[16:17], v[18:19], off offset:2048
	global_store_dwordx2 v[22:23], v[14:15], off
	global_store_dwordx2 v[22:23], v[12:13], off offset:2048
	v_lshl_add_u64 v[22:23], s[0:1], 0, v[8:9]
	v_add_co_u32_e32 v22, vcc, 0x1000, v22
	s_waitcnt lgkmcnt(1)
	global_store_dwordx2 v8, v[4:5], s[0:1]
	global_store_dwordx2 v8, v[6:7], s[0:1] offset:2048
	v_addc_co_u32_e32 v23, vcc, 0, v23, vcc
	s_mov_b64 s[6:7], -1
	s_waitcnt lgkmcnt(0)
	global_store_dwordx2 v[22:23], v[0:1], off
	s_cbranch_execnz .LBB7_38
.LBB7_41:
	v_cmp_gt_u32_e64 s[0:1], s33, v10
	s_and_saveexec_b64 s[2:3], s[0:1]
	s_cbranch_execz .LBB7_43
; %bb.42:
	global_store_dwordx2 v[16:17], v[20:21], off
.LBB7_43:
	s_or_b64 exec, exec, s[2:3]
	v_add_u32_e32 v9, 0x100, v10
	v_cmp_gt_u32_e64 s[2:3], s33, v9
	s_and_saveexec_b64 s[4:5], s[2:3]
	s_cbranch_execz .LBB7_45
; %bb.44:
	global_store_dwordx2 v[16:17], v[18:19], off offset:2048
.LBB7_45:
	s_or_b64 exec, exec, s[4:5]
	v_add_u32_e32 v9, 0x200, v10
	v_cmp_gt_u32_e64 s[4:5], s33, v9
	s_and_saveexec_b64 s[6:7], s[4:5]
	s_cbranch_execz .LBB7_47
; %bb.46:
	v_add_co_u32_e32 v18, vcc, 0x1000, v16
	s_nop 1
	v_addc_co_u32_e32 v19, vcc, 0, v17, vcc
	global_store_dwordx2 v[18:19], v[14:15], off
.LBB7_47:
	s_or_b64 exec, exec, s[6:7]
	v_add_u32_e32 v9, 0x300, v10
	v_cmp_gt_u32_e64 s[6:7], s33, v9
	s_and_saveexec_b64 s[8:9], s[6:7]
	s_cbranch_execz .LBB7_49
; %bb.48:
	v_add_co_u32_e32 v10, vcc, 0x1000, v16
	s_nop 1
	v_addc_co_u32_e32 v11, vcc, 0, v17, vcc
	global_store_dwordx2 v[10:11], v[12:13], off offset:2048
.LBB7_49:
	s_or_b64 exec, exec, s[8:9]
	s_add_u32 s8, s42, s28
	s_addc_u32 s9, s43, s29
	v_mov_b32_e32 v9, 0
	v_lshl_add_u64 v[10:11], s[8:9], 0, v[8:9]
	s_and_saveexec_b64 s[8:9], s[0:1]
	s_cbranch_execnz .LBB7_57
; %bb.50:
	s_or_b64 exec, exec, s[8:9]
	s_and_saveexec_b64 s[0:1], s[2:3]
	s_cbranch_execnz .LBB7_58
.LBB7_51:
	s_or_b64 exec, exec, s[0:1]
	s_and_saveexec_b64 s[0:1], s[4:5]
	s_cbranch_execz .LBB7_53
.LBB7_52:
	s_waitcnt lgkmcnt(1)
	v_add_co_u32_e32 v4, vcc, 0x1000, v10
	s_nop 1
	v_addc_co_u32_e32 v5, vcc, 0, v11, vcc
	s_waitcnt lgkmcnt(0)
	global_store_dwordx2 v[4:5], v[0:1], off
.LBB7_53:
	s_or_b64 exec, exec, s[0:1]
	s_and_saveexec_b64 s[0:1], s[6:7]
	s_cbranch_execz .LBB7_39
.LBB7_54:
	s_add_u32 s0, s42, s28
	s_addc_u32 s1, s43, s29
	v_mov_b32_e32 v9, 0
	s_waitcnt lgkmcnt(0)
	v_lshl_add_u64 v[0:1], s[0:1], 0, v[8:9]
	v_add_co_u32_e32 v0, vcc, 0x1000, v0
	s_nop 1
	v_addc_co_u32_e32 v1, vcc, 0, v1, vcc
	global_store_dwordx2 v[0:1], v[2:3], off offset:2048
	s_endpgm
.LBB7_55:
	global_load_dwordx2 v[42:43], v[16:17], off
	s_or_b64 exec, exec, s[8:9]
	s_and_saveexec_b64 s[8:9], s[2:3]
	s_cbranch_execz .LBB7_13
.LBB7_56:
	global_load_dwordx2 v[44:45], v[16:17], off offset:512
	s_or_b64 exec, exec, s[8:9]
                                        ; implicit-def: $vgpr46_vgpr47
	s_and_saveexec_b64 s[2:3], s[4:5]
	s_cbranch_execnz .LBB7_14
	s_branch .LBB7_15
.LBB7_57:
	s_waitcnt lgkmcnt(1)
	global_store_dwordx2 v[10:11], v[4:5], off
	s_or_b64 exec, exec, s[8:9]
	s_and_saveexec_b64 s[0:1], s[2:3]
	s_cbranch_execz .LBB7_51
.LBB7_58:
	s_waitcnt lgkmcnt(1)
	global_store_dwordx2 v[10:11], v[6:7], off offset:2048
	s_or_b64 exec, exec, s[0:1]
	s_and_saveexec_b64 s[0:1], s[4:5]
	s_cbranch_execnz .LBB7_52
	s_branch .LBB7_53
	.section	.rodata,"a",@progbits
	.p2align	6, 0x0
	.amdhsa_kernel _ZN7rocprim17ROCPRIM_400000_NS6detail17trampoline_kernelINS0_13kernel_configILj256ELj4ELj4294967295EEENS1_37radix_sort_block_sort_config_selectorIddEEZNS1_21radix_sort_block_sortIS4_Lb0EN6thrust23THRUST_200600_302600_NS6detail15normal_iteratorINS9_10device_ptrIdEEEESE_SE_SE_NS0_19identity_decomposerEEE10hipError_tT1_T2_T3_T4_jRjT5_jjP12ihipStream_tbEUlT_E_NS1_11comp_targetILNS1_3genE0ELNS1_11target_archE4294967295ELNS1_3gpuE0ELNS1_3repE0EEENS1_44radix_sort_block_sort_config_static_selectorELNS0_4arch9wavefront6targetE1EEEvSH_
		.amdhsa_group_segment_fixed_size 8192
		.amdhsa_private_segment_fixed_size 0
		.amdhsa_kernarg_size 304
		.amdhsa_user_sgpr_count 2
		.amdhsa_user_sgpr_dispatch_ptr 0
		.amdhsa_user_sgpr_queue_ptr 0
		.amdhsa_user_sgpr_kernarg_segment_ptr 1
		.amdhsa_user_sgpr_dispatch_id 0
		.amdhsa_user_sgpr_kernarg_preload_length 0
		.amdhsa_user_sgpr_kernarg_preload_offset 0
		.amdhsa_user_sgpr_private_segment_size 0
		.amdhsa_uses_dynamic_stack 0
		.amdhsa_enable_private_segment 0
		.amdhsa_system_sgpr_workgroup_id_x 1
		.amdhsa_system_sgpr_workgroup_id_y 0
		.amdhsa_system_sgpr_workgroup_id_z 0
		.amdhsa_system_sgpr_workgroup_info 0
		.amdhsa_system_vgpr_workitem_id 2
		.amdhsa_next_free_vgpr 50
		.amdhsa_next_free_sgpr 48
		.amdhsa_accum_offset 52
		.amdhsa_reserve_vcc 1
		.amdhsa_float_round_mode_32 0
		.amdhsa_float_round_mode_16_64 0
		.amdhsa_float_denorm_mode_32 3
		.amdhsa_float_denorm_mode_16_64 3
		.amdhsa_dx10_clamp 1
		.amdhsa_ieee_mode 1
		.amdhsa_fp16_overflow 0
		.amdhsa_tg_split 0
		.amdhsa_exception_fp_ieee_invalid_op 0
		.amdhsa_exception_fp_denorm_src 0
		.amdhsa_exception_fp_ieee_div_zero 0
		.amdhsa_exception_fp_ieee_overflow 0
		.amdhsa_exception_fp_ieee_underflow 0
		.amdhsa_exception_fp_ieee_inexact 0
		.amdhsa_exception_int_div_zero 0
	.end_amdhsa_kernel
	.section	.text._ZN7rocprim17ROCPRIM_400000_NS6detail17trampoline_kernelINS0_13kernel_configILj256ELj4ELj4294967295EEENS1_37radix_sort_block_sort_config_selectorIddEEZNS1_21radix_sort_block_sortIS4_Lb0EN6thrust23THRUST_200600_302600_NS6detail15normal_iteratorINS9_10device_ptrIdEEEESE_SE_SE_NS0_19identity_decomposerEEE10hipError_tT1_T2_T3_T4_jRjT5_jjP12ihipStream_tbEUlT_E_NS1_11comp_targetILNS1_3genE0ELNS1_11target_archE4294967295ELNS1_3gpuE0ELNS1_3repE0EEENS1_44radix_sort_block_sort_config_static_selectorELNS0_4arch9wavefront6targetE1EEEvSH_,"axG",@progbits,_ZN7rocprim17ROCPRIM_400000_NS6detail17trampoline_kernelINS0_13kernel_configILj256ELj4ELj4294967295EEENS1_37radix_sort_block_sort_config_selectorIddEEZNS1_21radix_sort_block_sortIS4_Lb0EN6thrust23THRUST_200600_302600_NS6detail15normal_iteratorINS9_10device_ptrIdEEEESE_SE_SE_NS0_19identity_decomposerEEE10hipError_tT1_T2_T3_T4_jRjT5_jjP12ihipStream_tbEUlT_E_NS1_11comp_targetILNS1_3genE0ELNS1_11target_archE4294967295ELNS1_3gpuE0ELNS1_3repE0EEENS1_44radix_sort_block_sort_config_static_selectorELNS0_4arch9wavefront6targetE1EEEvSH_,comdat
.Lfunc_end7:
	.size	_ZN7rocprim17ROCPRIM_400000_NS6detail17trampoline_kernelINS0_13kernel_configILj256ELj4ELj4294967295EEENS1_37radix_sort_block_sort_config_selectorIddEEZNS1_21radix_sort_block_sortIS4_Lb0EN6thrust23THRUST_200600_302600_NS6detail15normal_iteratorINS9_10device_ptrIdEEEESE_SE_SE_NS0_19identity_decomposerEEE10hipError_tT1_T2_T3_T4_jRjT5_jjP12ihipStream_tbEUlT_E_NS1_11comp_targetILNS1_3genE0ELNS1_11target_archE4294967295ELNS1_3gpuE0ELNS1_3repE0EEENS1_44radix_sort_block_sort_config_static_selectorELNS0_4arch9wavefront6targetE1EEEvSH_, .Lfunc_end7-_ZN7rocprim17ROCPRIM_400000_NS6detail17trampoline_kernelINS0_13kernel_configILj256ELj4ELj4294967295EEENS1_37radix_sort_block_sort_config_selectorIddEEZNS1_21radix_sort_block_sortIS4_Lb0EN6thrust23THRUST_200600_302600_NS6detail15normal_iteratorINS9_10device_ptrIdEEEESE_SE_SE_NS0_19identity_decomposerEEE10hipError_tT1_T2_T3_T4_jRjT5_jjP12ihipStream_tbEUlT_E_NS1_11comp_targetILNS1_3genE0ELNS1_11target_archE4294967295ELNS1_3gpuE0ELNS1_3repE0EEENS1_44radix_sort_block_sort_config_static_selectorELNS0_4arch9wavefront6targetE1EEEvSH_
                                        ; -- End function
	.set _ZN7rocprim17ROCPRIM_400000_NS6detail17trampoline_kernelINS0_13kernel_configILj256ELj4ELj4294967295EEENS1_37radix_sort_block_sort_config_selectorIddEEZNS1_21radix_sort_block_sortIS4_Lb0EN6thrust23THRUST_200600_302600_NS6detail15normal_iteratorINS9_10device_ptrIdEEEESE_SE_SE_NS0_19identity_decomposerEEE10hipError_tT1_T2_T3_T4_jRjT5_jjP12ihipStream_tbEUlT_E_NS1_11comp_targetILNS1_3genE0ELNS1_11target_archE4294967295ELNS1_3gpuE0ELNS1_3repE0EEENS1_44radix_sort_block_sort_config_static_selectorELNS0_4arch9wavefront6targetE1EEEvSH_.num_vgpr, 50
	.set _ZN7rocprim17ROCPRIM_400000_NS6detail17trampoline_kernelINS0_13kernel_configILj256ELj4ELj4294967295EEENS1_37radix_sort_block_sort_config_selectorIddEEZNS1_21radix_sort_block_sortIS4_Lb0EN6thrust23THRUST_200600_302600_NS6detail15normal_iteratorINS9_10device_ptrIdEEEESE_SE_SE_NS0_19identity_decomposerEEE10hipError_tT1_T2_T3_T4_jRjT5_jjP12ihipStream_tbEUlT_E_NS1_11comp_targetILNS1_3genE0ELNS1_11target_archE4294967295ELNS1_3gpuE0ELNS1_3repE0EEENS1_44radix_sort_block_sort_config_static_selectorELNS0_4arch9wavefront6targetE1EEEvSH_.num_agpr, 0
	.set _ZN7rocprim17ROCPRIM_400000_NS6detail17trampoline_kernelINS0_13kernel_configILj256ELj4ELj4294967295EEENS1_37radix_sort_block_sort_config_selectorIddEEZNS1_21radix_sort_block_sortIS4_Lb0EN6thrust23THRUST_200600_302600_NS6detail15normal_iteratorINS9_10device_ptrIdEEEESE_SE_SE_NS0_19identity_decomposerEEE10hipError_tT1_T2_T3_T4_jRjT5_jjP12ihipStream_tbEUlT_E_NS1_11comp_targetILNS1_3genE0ELNS1_11target_archE4294967295ELNS1_3gpuE0ELNS1_3repE0EEENS1_44radix_sort_block_sort_config_static_selectorELNS0_4arch9wavefront6targetE1EEEvSH_.numbered_sgpr, 48
	.set _ZN7rocprim17ROCPRIM_400000_NS6detail17trampoline_kernelINS0_13kernel_configILj256ELj4ELj4294967295EEENS1_37radix_sort_block_sort_config_selectorIddEEZNS1_21radix_sort_block_sortIS4_Lb0EN6thrust23THRUST_200600_302600_NS6detail15normal_iteratorINS9_10device_ptrIdEEEESE_SE_SE_NS0_19identity_decomposerEEE10hipError_tT1_T2_T3_T4_jRjT5_jjP12ihipStream_tbEUlT_E_NS1_11comp_targetILNS1_3genE0ELNS1_11target_archE4294967295ELNS1_3gpuE0ELNS1_3repE0EEENS1_44radix_sort_block_sort_config_static_selectorELNS0_4arch9wavefront6targetE1EEEvSH_.num_named_barrier, 0
	.set _ZN7rocprim17ROCPRIM_400000_NS6detail17trampoline_kernelINS0_13kernel_configILj256ELj4ELj4294967295EEENS1_37radix_sort_block_sort_config_selectorIddEEZNS1_21radix_sort_block_sortIS4_Lb0EN6thrust23THRUST_200600_302600_NS6detail15normal_iteratorINS9_10device_ptrIdEEEESE_SE_SE_NS0_19identity_decomposerEEE10hipError_tT1_T2_T3_T4_jRjT5_jjP12ihipStream_tbEUlT_E_NS1_11comp_targetILNS1_3genE0ELNS1_11target_archE4294967295ELNS1_3gpuE0ELNS1_3repE0EEENS1_44radix_sort_block_sort_config_static_selectorELNS0_4arch9wavefront6targetE1EEEvSH_.private_seg_size, 0
	.set _ZN7rocprim17ROCPRIM_400000_NS6detail17trampoline_kernelINS0_13kernel_configILj256ELj4ELj4294967295EEENS1_37radix_sort_block_sort_config_selectorIddEEZNS1_21radix_sort_block_sortIS4_Lb0EN6thrust23THRUST_200600_302600_NS6detail15normal_iteratorINS9_10device_ptrIdEEEESE_SE_SE_NS0_19identity_decomposerEEE10hipError_tT1_T2_T3_T4_jRjT5_jjP12ihipStream_tbEUlT_E_NS1_11comp_targetILNS1_3genE0ELNS1_11target_archE4294967295ELNS1_3gpuE0ELNS1_3repE0EEENS1_44radix_sort_block_sort_config_static_selectorELNS0_4arch9wavefront6targetE1EEEvSH_.uses_vcc, 1
	.set _ZN7rocprim17ROCPRIM_400000_NS6detail17trampoline_kernelINS0_13kernel_configILj256ELj4ELj4294967295EEENS1_37radix_sort_block_sort_config_selectorIddEEZNS1_21radix_sort_block_sortIS4_Lb0EN6thrust23THRUST_200600_302600_NS6detail15normal_iteratorINS9_10device_ptrIdEEEESE_SE_SE_NS0_19identity_decomposerEEE10hipError_tT1_T2_T3_T4_jRjT5_jjP12ihipStream_tbEUlT_E_NS1_11comp_targetILNS1_3genE0ELNS1_11target_archE4294967295ELNS1_3gpuE0ELNS1_3repE0EEENS1_44radix_sort_block_sort_config_static_selectorELNS0_4arch9wavefront6targetE1EEEvSH_.uses_flat_scratch, 0
	.set _ZN7rocprim17ROCPRIM_400000_NS6detail17trampoline_kernelINS0_13kernel_configILj256ELj4ELj4294967295EEENS1_37radix_sort_block_sort_config_selectorIddEEZNS1_21radix_sort_block_sortIS4_Lb0EN6thrust23THRUST_200600_302600_NS6detail15normal_iteratorINS9_10device_ptrIdEEEESE_SE_SE_NS0_19identity_decomposerEEE10hipError_tT1_T2_T3_T4_jRjT5_jjP12ihipStream_tbEUlT_E_NS1_11comp_targetILNS1_3genE0ELNS1_11target_archE4294967295ELNS1_3gpuE0ELNS1_3repE0EEENS1_44radix_sort_block_sort_config_static_selectorELNS0_4arch9wavefront6targetE1EEEvSH_.has_dyn_sized_stack, 0
	.set _ZN7rocprim17ROCPRIM_400000_NS6detail17trampoline_kernelINS0_13kernel_configILj256ELj4ELj4294967295EEENS1_37radix_sort_block_sort_config_selectorIddEEZNS1_21radix_sort_block_sortIS4_Lb0EN6thrust23THRUST_200600_302600_NS6detail15normal_iteratorINS9_10device_ptrIdEEEESE_SE_SE_NS0_19identity_decomposerEEE10hipError_tT1_T2_T3_T4_jRjT5_jjP12ihipStream_tbEUlT_E_NS1_11comp_targetILNS1_3genE0ELNS1_11target_archE4294967295ELNS1_3gpuE0ELNS1_3repE0EEENS1_44radix_sort_block_sort_config_static_selectorELNS0_4arch9wavefront6targetE1EEEvSH_.has_recursion, 0
	.set _ZN7rocprim17ROCPRIM_400000_NS6detail17trampoline_kernelINS0_13kernel_configILj256ELj4ELj4294967295EEENS1_37radix_sort_block_sort_config_selectorIddEEZNS1_21radix_sort_block_sortIS4_Lb0EN6thrust23THRUST_200600_302600_NS6detail15normal_iteratorINS9_10device_ptrIdEEEESE_SE_SE_NS0_19identity_decomposerEEE10hipError_tT1_T2_T3_T4_jRjT5_jjP12ihipStream_tbEUlT_E_NS1_11comp_targetILNS1_3genE0ELNS1_11target_archE4294967295ELNS1_3gpuE0ELNS1_3repE0EEENS1_44radix_sort_block_sort_config_static_selectorELNS0_4arch9wavefront6targetE1EEEvSH_.has_indirect_call, 0
	.section	.AMDGPU.csdata,"",@progbits
; Kernel info:
; codeLenInByte = 4180
; TotalNumSgprs: 54
; NumVgprs: 50
; NumAgprs: 0
; TotalNumVgprs: 50
; ScratchSize: 0
; MemoryBound: 1
; FloatMode: 240
; IeeeMode: 1
; LDSByteSize: 8192 bytes/workgroup (compile time only)
; SGPRBlocks: 6
; VGPRBlocks: 6
; NumSGPRsForWavesPerEU: 54
; NumVGPRsForWavesPerEU: 50
; AccumOffset: 52
; Occupancy: 8
; WaveLimiterHint : 1
; COMPUTE_PGM_RSRC2:SCRATCH_EN: 0
; COMPUTE_PGM_RSRC2:USER_SGPR: 2
; COMPUTE_PGM_RSRC2:TRAP_HANDLER: 0
; COMPUTE_PGM_RSRC2:TGID_X_EN: 1
; COMPUTE_PGM_RSRC2:TGID_Y_EN: 0
; COMPUTE_PGM_RSRC2:TGID_Z_EN: 0
; COMPUTE_PGM_RSRC2:TIDIG_COMP_CNT: 2
; COMPUTE_PGM_RSRC3_GFX90A:ACCUM_OFFSET: 12
; COMPUTE_PGM_RSRC3_GFX90A:TG_SPLIT: 0
	.section	.text._ZN7rocprim17ROCPRIM_400000_NS6detail17trampoline_kernelINS0_13kernel_configILj256ELj4ELj4294967295EEENS1_37radix_sort_block_sort_config_selectorIddEEZNS1_21radix_sort_block_sortIS4_Lb0EN6thrust23THRUST_200600_302600_NS6detail15normal_iteratorINS9_10device_ptrIdEEEESE_SE_SE_NS0_19identity_decomposerEEE10hipError_tT1_T2_T3_T4_jRjT5_jjP12ihipStream_tbEUlT_E_NS1_11comp_targetILNS1_3genE5ELNS1_11target_archE942ELNS1_3gpuE9ELNS1_3repE0EEENS1_44radix_sort_block_sort_config_static_selectorELNS0_4arch9wavefront6targetE1EEEvSH_,"axG",@progbits,_ZN7rocprim17ROCPRIM_400000_NS6detail17trampoline_kernelINS0_13kernel_configILj256ELj4ELj4294967295EEENS1_37radix_sort_block_sort_config_selectorIddEEZNS1_21radix_sort_block_sortIS4_Lb0EN6thrust23THRUST_200600_302600_NS6detail15normal_iteratorINS9_10device_ptrIdEEEESE_SE_SE_NS0_19identity_decomposerEEE10hipError_tT1_T2_T3_T4_jRjT5_jjP12ihipStream_tbEUlT_E_NS1_11comp_targetILNS1_3genE5ELNS1_11target_archE942ELNS1_3gpuE9ELNS1_3repE0EEENS1_44radix_sort_block_sort_config_static_selectorELNS0_4arch9wavefront6targetE1EEEvSH_,comdat
	.protected	_ZN7rocprim17ROCPRIM_400000_NS6detail17trampoline_kernelINS0_13kernel_configILj256ELj4ELj4294967295EEENS1_37radix_sort_block_sort_config_selectorIddEEZNS1_21radix_sort_block_sortIS4_Lb0EN6thrust23THRUST_200600_302600_NS6detail15normal_iteratorINS9_10device_ptrIdEEEESE_SE_SE_NS0_19identity_decomposerEEE10hipError_tT1_T2_T3_T4_jRjT5_jjP12ihipStream_tbEUlT_E_NS1_11comp_targetILNS1_3genE5ELNS1_11target_archE942ELNS1_3gpuE9ELNS1_3repE0EEENS1_44radix_sort_block_sort_config_static_selectorELNS0_4arch9wavefront6targetE1EEEvSH_ ; -- Begin function _ZN7rocprim17ROCPRIM_400000_NS6detail17trampoline_kernelINS0_13kernel_configILj256ELj4ELj4294967295EEENS1_37radix_sort_block_sort_config_selectorIddEEZNS1_21radix_sort_block_sortIS4_Lb0EN6thrust23THRUST_200600_302600_NS6detail15normal_iteratorINS9_10device_ptrIdEEEESE_SE_SE_NS0_19identity_decomposerEEE10hipError_tT1_T2_T3_T4_jRjT5_jjP12ihipStream_tbEUlT_E_NS1_11comp_targetILNS1_3genE5ELNS1_11target_archE942ELNS1_3gpuE9ELNS1_3repE0EEENS1_44radix_sort_block_sort_config_static_selectorELNS0_4arch9wavefront6targetE1EEEvSH_
	.globl	_ZN7rocprim17ROCPRIM_400000_NS6detail17trampoline_kernelINS0_13kernel_configILj256ELj4ELj4294967295EEENS1_37radix_sort_block_sort_config_selectorIddEEZNS1_21radix_sort_block_sortIS4_Lb0EN6thrust23THRUST_200600_302600_NS6detail15normal_iteratorINS9_10device_ptrIdEEEESE_SE_SE_NS0_19identity_decomposerEEE10hipError_tT1_T2_T3_T4_jRjT5_jjP12ihipStream_tbEUlT_E_NS1_11comp_targetILNS1_3genE5ELNS1_11target_archE942ELNS1_3gpuE9ELNS1_3repE0EEENS1_44radix_sort_block_sort_config_static_selectorELNS0_4arch9wavefront6targetE1EEEvSH_
	.p2align	8
	.type	_ZN7rocprim17ROCPRIM_400000_NS6detail17trampoline_kernelINS0_13kernel_configILj256ELj4ELj4294967295EEENS1_37radix_sort_block_sort_config_selectorIddEEZNS1_21radix_sort_block_sortIS4_Lb0EN6thrust23THRUST_200600_302600_NS6detail15normal_iteratorINS9_10device_ptrIdEEEESE_SE_SE_NS0_19identity_decomposerEEE10hipError_tT1_T2_T3_T4_jRjT5_jjP12ihipStream_tbEUlT_E_NS1_11comp_targetILNS1_3genE5ELNS1_11target_archE942ELNS1_3gpuE9ELNS1_3repE0EEENS1_44radix_sort_block_sort_config_static_selectorELNS0_4arch9wavefront6targetE1EEEvSH_,@function
_ZN7rocprim17ROCPRIM_400000_NS6detail17trampoline_kernelINS0_13kernel_configILj256ELj4ELj4294967295EEENS1_37radix_sort_block_sort_config_selectorIddEEZNS1_21radix_sort_block_sortIS4_Lb0EN6thrust23THRUST_200600_302600_NS6detail15normal_iteratorINS9_10device_ptrIdEEEESE_SE_SE_NS0_19identity_decomposerEEE10hipError_tT1_T2_T3_T4_jRjT5_jjP12ihipStream_tbEUlT_E_NS1_11comp_targetILNS1_3genE5ELNS1_11target_archE942ELNS1_3gpuE9ELNS1_3repE0EEENS1_44radix_sort_block_sort_config_static_selectorELNS0_4arch9wavefront6targetE1EEEvSH_: ; @_ZN7rocprim17ROCPRIM_400000_NS6detail17trampoline_kernelINS0_13kernel_configILj256ELj4ELj4294967295EEENS1_37radix_sort_block_sort_config_selectorIddEEZNS1_21radix_sort_block_sortIS4_Lb0EN6thrust23THRUST_200600_302600_NS6detail15normal_iteratorINS9_10device_ptrIdEEEESE_SE_SE_NS0_19identity_decomposerEEE10hipError_tT1_T2_T3_T4_jRjT5_jjP12ihipStream_tbEUlT_E_NS1_11comp_targetILNS1_3genE5ELNS1_11target_archE942ELNS1_3gpuE9ELNS1_3repE0EEENS1_44radix_sort_block_sort_config_static_selectorELNS0_4arch9wavefront6targetE1EEEvSH_
; %bb.0:
	.section	.rodata,"a",@progbits
	.p2align	6, 0x0
	.amdhsa_kernel _ZN7rocprim17ROCPRIM_400000_NS6detail17trampoline_kernelINS0_13kernel_configILj256ELj4ELj4294967295EEENS1_37radix_sort_block_sort_config_selectorIddEEZNS1_21radix_sort_block_sortIS4_Lb0EN6thrust23THRUST_200600_302600_NS6detail15normal_iteratorINS9_10device_ptrIdEEEESE_SE_SE_NS0_19identity_decomposerEEE10hipError_tT1_T2_T3_T4_jRjT5_jjP12ihipStream_tbEUlT_E_NS1_11comp_targetILNS1_3genE5ELNS1_11target_archE942ELNS1_3gpuE9ELNS1_3repE0EEENS1_44radix_sort_block_sort_config_static_selectorELNS0_4arch9wavefront6targetE1EEEvSH_
		.amdhsa_group_segment_fixed_size 0
		.amdhsa_private_segment_fixed_size 0
		.amdhsa_kernarg_size 48
		.amdhsa_user_sgpr_count 2
		.amdhsa_user_sgpr_dispatch_ptr 0
		.amdhsa_user_sgpr_queue_ptr 0
		.amdhsa_user_sgpr_kernarg_segment_ptr 1
		.amdhsa_user_sgpr_dispatch_id 0
		.amdhsa_user_sgpr_kernarg_preload_length 0
		.amdhsa_user_sgpr_kernarg_preload_offset 0
		.amdhsa_user_sgpr_private_segment_size 0
		.amdhsa_uses_dynamic_stack 0
		.amdhsa_enable_private_segment 0
		.amdhsa_system_sgpr_workgroup_id_x 1
		.amdhsa_system_sgpr_workgroup_id_y 0
		.amdhsa_system_sgpr_workgroup_id_z 0
		.amdhsa_system_sgpr_workgroup_info 0
		.amdhsa_system_vgpr_workitem_id 0
		.amdhsa_next_free_vgpr 1
		.amdhsa_next_free_sgpr 0
		.amdhsa_accum_offset 4
		.amdhsa_reserve_vcc 0
		.amdhsa_float_round_mode_32 0
		.amdhsa_float_round_mode_16_64 0
		.amdhsa_float_denorm_mode_32 3
		.amdhsa_float_denorm_mode_16_64 3
		.amdhsa_dx10_clamp 1
		.amdhsa_ieee_mode 1
		.amdhsa_fp16_overflow 0
		.amdhsa_tg_split 0
		.amdhsa_exception_fp_ieee_invalid_op 0
		.amdhsa_exception_fp_denorm_src 0
		.amdhsa_exception_fp_ieee_div_zero 0
		.amdhsa_exception_fp_ieee_overflow 0
		.amdhsa_exception_fp_ieee_underflow 0
		.amdhsa_exception_fp_ieee_inexact 0
		.amdhsa_exception_int_div_zero 0
	.end_amdhsa_kernel
	.section	.text._ZN7rocprim17ROCPRIM_400000_NS6detail17trampoline_kernelINS0_13kernel_configILj256ELj4ELj4294967295EEENS1_37radix_sort_block_sort_config_selectorIddEEZNS1_21radix_sort_block_sortIS4_Lb0EN6thrust23THRUST_200600_302600_NS6detail15normal_iteratorINS9_10device_ptrIdEEEESE_SE_SE_NS0_19identity_decomposerEEE10hipError_tT1_T2_T3_T4_jRjT5_jjP12ihipStream_tbEUlT_E_NS1_11comp_targetILNS1_3genE5ELNS1_11target_archE942ELNS1_3gpuE9ELNS1_3repE0EEENS1_44radix_sort_block_sort_config_static_selectorELNS0_4arch9wavefront6targetE1EEEvSH_,"axG",@progbits,_ZN7rocprim17ROCPRIM_400000_NS6detail17trampoline_kernelINS0_13kernel_configILj256ELj4ELj4294967295EEENS1_37radix_sort_block_sort_config_selectorIddEEZNS1_21radix_sort_block_sortIS4_Lb0EN6thrust23THRUST_200600_302600_NS6detail15normal_iteratorINS9_10device_ptrIdEEEESE_SE_SE_NS0_19identity_decomposerEEE10hipError_tT1_T2_T3_T4_jRjT5_jjP12ihipStream_tbEUlT_E_NS1_11comp_targetILNS1_3genE5ELNS1_11target_archE942ELNS1_3gpuE9ELNS1_3repE0EEENS1_44radix_sort_block_sort_config_static_selectorELNS0_4arch9wavefront6targetE1EEEvSH_,comdat
.Lfunc_end8:
	.size	_ZN7rocprim17ROCPRIM_400000_NS6detail17trampoline_kernelINS0_13kernel_configILj256ELj4ELj4294967295EEENS1_37radix_sort_block_sort_config_selectorIddEEZNS1_21radix_sort_block_sortIS4_Lb0EN6thrust23THRUST_200600_302600_NS6detail15normal_iteratorINS9_10device_ptrIdEEEESE_SE_SE_NS0_19identity_decomposerEEE10hipError_tT1_T2_T3_T4_jRjT5_jjP12ihipStream_tbEUlT_E_NS1_11comp_targetILNS1_3genE5ELNS1_11target_archE942ELNS1_3gpuE9ELNS1_3repE0EEENS1_44radix_sort_block_sort_config_static_selectorELNS0_4arch9wavefront6targetE1EEEvSH_, .Lfunc_end8-_ZN7rocprim17ROCPRIM_400000_NS6detail17trampoline_kernelINS0_13kernel_configILj256ELj4ELj4294967295EEENS1_37radix_sort_block_sort_config_selectorIddEEZNS1_21radix_sort_block_sortIS4_Lb0EN6thrust23THRUST_200600_302600_NS6detail15normal_iteratorINS9_10device_ptrIdEEEESE_SE_SE_NS0_19identity_decomposerEEE10hipError_tT1_T2_T3_T4_jRjT5_jjP12ihipStream_tbEUlT_E_NS1_11comp_targetILNS1_3genE5ELNS1_11target_archE942ELNS1_3gpuE9ELNS1_3repE0EEENS1_44radix_sort_block_sort_config_static_selectorELNS0_4arch9wavefront6targetE1EEEvSH_
                                        ; -- End function
	.set _ZN7rocprim17ROCPRIM_400000_NS6detail17trampoline_kernelINS0_13kernel_configILj256ELj4ELj4294967295EEENS1_37radix_sort_block_sort_config_selectorIddEEZNS1_21radix_sort_block_sortIS4_Lb0EN6thrust23THRUST_200600_302600_NS6detail15normal_iteratorINS9_10device_ptrIdEEEESE_SE_SE_NS0_19identity_decomposerEEE10hipError_tT1_T2_T3_T4_jRjT5_jjP12ihipStream_tbEUlT_E_NS1_11comp_targetILNS1_3genE5ELNS1_11target_archE942ELNS1_3gpuE9ELNS1_3repE0EEENS1_44radix_sort_block_sort_config_static_selectorELNS0_4arch9wavefront6targetE1EEEvSH_.num_vgpr, 0
	.set _ZN7rocprim17ROCPRIM_400000_NS6detail17trampoline_kernelINS0_13kernel_configILj256ELj4ELj4294967295EEENS1_37radix_sort_block_sort_config_selectorIddEEZNS1_21radix_sort_block_sortIS4_Lb0EN6thrust23THRUST_200600_302600_NS6detail15normal_iteratorINS9_10device_ptrIdEEEESE_SE_SE_NS0_19identity_decomposerEEE10hipError_tT1_T2_T3_T4_jRjT5_jjP12ihipStream_tbEUlT_E_NS1_11comp_targetILNS1_3genE5ELNS1_11target_archE942ELNS1_3gpuE9ELNS1_3repE0EEENS1_44radix_sort_block_sort_config_static_selectorELNS0_4arch9wavefront6targetE1EEEvSH_.num_agpr, 0
	.set _ZN7rocprim17ROCPRIM_400000_NS6detail17trampoline_kernelINS0_13kernel_configILj256ELj4ELj4294967295EEENS1_37radix_sort_block_sort_config_selectorIddEEZNS1_21radix_sort_block_sortIS4_Lb0EN6thrust23THRUST_200600_302600_NS6detail15normal_iteratorINS9_10device_ptrIdEEEESE_SE_SE_NS0_19identity_decomposerEEE10hipError_tT1_T2_T3_T4_jRjT5_jjP12ihipStream_tbEUlT_E_NS1_11comp_targetILNS1_3genE5ELNS1_11target_archE942ELNS1_3gpuE9ELNS1_3repE0EEENS1_44radix_sort_block_sort_config_static_selectorELNS0_4arch9wavefront6targetE1EEEvSH_.numbered_sgpr, 0
	.set _ZN7rocprim17ROCPRIM_400000_NS6detail17trampoline_kernelINS0_13kernel_configILj256ELj4ELj4294967295EEENS1_37radix_sort_block_sort_config_selectorIddEEZNS1_21radix_sort_block_sortIS4_Lb0EN6thrust23THRUST_200600_302600_NS6detail15normal_iteratorINS9_10device_ptrIdEEEESE_SE_SE_NS0_19identity_decomposerEEE10hipError_tT1_T2_T3_T4_jRjT5_jjP12ihipStream_tbEUlT_E_NS1_11comp_targetILNS1_3genE5ELNS1_11target_archE942ELNS1_3gpuE9ELNS1_3repE0EEENS1_44radix_sort_block_sort_config_static_selectorELNS0_4arch9wavefront6targetE1EEEvSH_.num_named_barrier, 0
	.set _ZN7rocprim17ROCPRIM_400000_NS6detail17trampoline_kernelINS0_13kernel_configILj256ELj4ELj4294967295EEENS1_37radix_sort_block_sort_config_selectorIddEEZNS1_21radix_sort_block_sortIS4_Lb0EN6thrust23THRUST_200600_302600_NS6detail15normal_iteratorINS9_10device_ptrIdEEEESE_SE_SE_NS0_19identity_decomposerEEE10hipError_tT1_T2_T3_T4_jRjT5_jjP12ihipStream_tbEUlT_E_NS1_11comp_targetILNS1_3genE5ELNS1_11target_archE942ELNS1_3gpuE9ELNS1_3repE0EEENS1_44radix_sort_block_sort_config_static_selectorELNS0_4arch9wavefront6targetE1EEEvSH_.private_seg_size, 0
	.set _ZN7rocprim17ROCPRIM_400000_NS6detail17trampoline_kernelINS0_13kernel_configILj256ELj4ELj4294967295EEENS1_37radix_sort_block_sort_config_selectorIddEEZNS1_21radix_sort_block_sortIS4_Lb0EN6thrust23THRUST_200600_302600_NS6detail15normal_iteratorINS9_10device_ptrIdEEEESE_SE_SE_NS0_19identity_decomposerEEE10hipError_tT1_T2_T3_T4_jRjT5_jjP12ihipStream_tbEUlT_E_NS1_11comp_targetILNS1_3genE5ELNS1_11target_archE942ELNS1_3gpuE9ELNS1_3repE0EEENS1_44radix_sort_block_sort_config_static_selectorELNS0_4arch9wavefront6targetE1EEEvSH_.uses_vcc, 0
	.set _ZN7rocprim17ROCPRIM_400000_NS6detail17trampoline_kernelINS0_13kernel_configILj256ELj4ELj4294967295EEENS1_37radix_sort_block_sort_config_selectorIddEEZNS1_21radix_sort_block_sortIS4_Lb0EN6thrust23THRUST_200600_302600_NS6detail15normal_iteratorINS9_10device_ptrIdEEEESE_SE_SE_NS0_19identity_decomposerEEE10hipError_tT1_T2_T3_T4_jRjT5_jjP12ihipStream_tbEUlT_E_NS1_11comp_targetILNS1_3genE5ELNS1_11target_archE942ELNS1_3gpuE9ELNS1_3repE0EEENS1_44radix_sort_block_sort_config_static_selectorELNS0_4arch9wavefront6targetE1EEEvSH_.uses_flat_scratch, 0
	.set _ZN7rocprim17ROCPRIM_400000_NS6detail17trampoline_kernelINS0_13kernel_configILj256ELj4ELj4294967295EEENS1_37radix_sort_block_sort_config_selectorIddEEZNS1_21radix_sort_block_sortIS4_Lb0EN6thrust23THRUST_200600_302600_NS6detail15normal_iteratorINS9_10device_ptrIdEEEESE_SE_SE_NS0_19identity_decomposerEEE10hipError_tT1_T2_T3_T4_jRjT5_jjP12ihipStream_tbEUlT_E_NS1_11comp_targetILNS1_3genE5ELNS1_11target_archE942ELNS1_3gpuE9ELNS1_3repE0EEENS1_44radix_sort_block_sort_config_static_selectorELNS0_4arch9wavefront6targetE1EEEvSH_.has_dyn_sized_stack, 0
	.set _ZN7rocprim17ROCPRIM_400000_NS6detail17trampoline_kernelINS0_13kernel_configILj256ELj4ELj4294967295EEENS1_37radix_sort_block_sort_config_selectorIddEEZNS1_21radix_sort_block_sortIS4_Lb0EN6thrust23THRUST_200600_302600_NS6detail15normal_iteratorINS9_10device_ptrIdEEEESE_SE_SE_NS0_19identity_decomposerEEE10hipError_tT1_T2_T3_T4_jRjT5_jjP12ihipStream_tbEUlT_E_NS1_11comp_targetILNS1_3genE5ELNS1_11target_archE942ELNS1_3gpuE9ELNS1_3repE0EEENS1_44radix_sort_block_sort_config_static_selectorELNS0_4arch9wavefront6targetE1EEEvSH_.has_recursion, 0
	.set _ZN7rocprim17ROCPRIM_400000_NS6detail17trampoline_kernelINS0_13kernel_configILj256ELj4ELj4294967295EEENS1_37radix_sort_block_sort_config_selectorIddEEZNS1_21radix_sort_block_sortIS4_Lb0EN6thrust23THRUST_200600_302600_NS6detail15normal_iteratorINS9_10device_ptrIdEEEESE_SE_SE_NS0_19identity_decomposerEEE10hipError_tT1_T2_T3_T4_jRjT5_jjP12ihipStream_tbEUlT_E_NS1_11comp_targetILNS1_3genE5ELNS1_11target_archE942ELNS1_3gpuE9ELNS1_3repE0EEENS1_44radix_sort_block_sort_config_static_selectorELNS0_4arch9wavefront6targetE1EEEvSH_.has_indirect_call, 0
	.section	.AMDGPU.csdata,"",@progbits
; Kernel info:
; codeLenInByte = 0
; TotalNumSgprs: 6
; NumVgprs: 0
; NumAgprs: 0
; TotalNumVgprs: 0
; ScratchSize: 0
; MemoryBound: 0
; FloatMode: 240
; IeeeMode: 1
; LDSByteSize: 0 bytes/workgroup (compile time only)
; SGPRBlocks: 0
; VGPRBlocks: 0
; NumSGPRsForWavesPerEU: 6
; NumVGPRsForWavesPerEU: 1
; AccumOffset: 4
; Occupancy: 8
; WaveLimiterHint : 0
; COMPUTE_PGM_RSRC2:SCRATCH_EN: 0
; COMPUTE_PGM_RSRC2:USER_SGPR: 2
; COMPUTE_PGM_RSRC2:TRAP_HANDLER: 0
; COMPUTE_PGM_RSRC2:TGID_X_EN: 1
; COMPUTE_PGM_RSRC2:TGID_Y_EN: 0
; COMPUTE_PGM_RSRC2:TGID_Z_EN: 0
; COMPUTE_PGM_RSRC2:TIDIG_COMP_CNT: 0
; COMPUTE_PGM_RSRC3_GFX90A:ACCUM_OFFSET: 0
; COMPUTE_PGM_RSRC3_GFX90A:TG_SPLIT: 0
	.section	.text._ZN7rocprim17ROCPRIM_400000_NS6detail17trampoline_kernelINS0_13kernel_configILj256ELj4ELj4294967295EEENS1_37radix_sort_block_sort_config_selectorIddEEZNS1_21radix_sort_block_sortIS4_Lb0EN6thrust23THRUST_200600_302600_NS6detail15normal_iteratorINS9_10device_ptrIdEEEESE_SE_SE_NS0_19identity_decomposerEEE10hipError_tT1_T2_T3_T4_jRjT5_jjP12ihipStream_tbEUlT_E_NS1_11comp_targetILNS1_3genE4ELNS1_11target_archE910ELNS1_3gpuE8ELNS1_3repE0EEENS1_44radix_sort_block_sort_config_static_selectorELNS0_4arch9wavefront6targetE1EEEvSH_,"axG",@progbits,_ZN7rocprim17ROCPRIM_400000_NS6detail17trampoline_kernelINS0_13kernel_configILj256ELj4ELj4294967295EEENS1_37radix_sort_block_sort_config_selectorIddEEZNS1_21radix_sort_block_sortIS4_Lb0EN6thrust23THRUST_200600_302600_NS6detail15normal_iteratorINS9_10device_ptrIdEEEESE_SE_SE_NS0_19identity_decomposerEEE10hipError_tT1_T2_T3_T4_jRjT5_jjP12ihipStream_tbEUlT_E_NS1_11comp_targetILNS1_3genE4ELNS1_11target_archE910ELNS1_3gpuE8ELNS1_3repE0EEENS1_44radix_sort_block_sort_config_static_selectorELNS0_4arch9wavefront6targetE1EEEvSH_,comdat
	.protected	_ZN7rocprim17ROCPRIM_400000_NS6detail17trampoline_kernelINS0_13kernel_configILj256ELj4ELj4294967295EEENS1_37radix_sort_block_sort_config_selectorIddEEZNS1_21radix_sort_block_sortIS4_Lb0EN6thrust23THRUST_200600_302600_NS6detail15normal_iteratorINS9_10device_ptrIdEEEESE_SE_SE_NS0_19identity_decomposerEEE10hipError_tT1_T2_T3_T4_jRjT5_jjP12ihipStream_tbEUlT_E_NS1_11comp_targetILNS1_3genE4ELNS1_11target_archE910ELNS1_3gpuE8ELNS1_3repE0EEENS1_44radix_sort_block_sort_config_static_selectorELNS0_4arch9wavefront6targetE1EEEvSH_ ; -- Begin function _ZN7rocprim17ROCPRIM_400000_NS6detail17trampoline_kernelINS0_13kernel_configILj256ELj4ELj4294967295EEENS1_37radix_sort_block_sort_config_selectorIddEEZNS1_21radix_sort_block_sortIS4_Lb0EN6thrust23THRUST_200600_302600_NS6detail15normal_iteratorINS9_10device_ptrIdEEEESE_SE_SE_NS0_19identity_decomposerEEE10hipError_tT1_T2_T3_T4_jRjT5_jjP12ihipStream_tbEUlT_E_NS1_11comp_targetILNS1_3genE4ELNS1_11target_archE910ELNS1_3gpuE8ELNS1_3repE0EEENS1_44radix_sort_block_sort_config_static_selectorELNS0_4arch9wavefront6targetE1EEEvSH_
	.globl	_ZN7rocprim17ROCPRIM_400000_NS6detail17trampoline_kernelINS0_13kernel_configILj256ELj4ELj4294967295EEENS1_37radix_sort_block_sort_config_selectorIddEEZNS1_21radix_sort_block_sortIS4_Lb0EN6thrust23THRUST_200600_302600_NS6detail15normal_iteratorINS9_10device_ptrIdEEEESE_SE_SE_NS0_19identity_decomposerEEE10hipError_tT1_T2_T3_T4_jRjT5_jjP12ihipStream_tbEUlT_E_NS1_11comp_targetILNS1_3genE4ELNS1_11target_archE910ELNS1_3gpuE8ELNS1_3repE0EEENS1_44radix_sort_block_sort_config_static_selectorELNS0_4arch9wavefront6targetE1EEEvSH_
	.p2align	8
	.type	_ZN7rocprim17ROCPRIM_400000_NS6detail17trampoline_kernelINS0_13kernel_configILj256ELj4ELj4294967295EEENS1_37radix_sort_block_sort_config_selectorIddEEZNS1_21radix_sort_block_sortIS4_Lb0EN6thrust23THRUST_200600_302600_NS6detail15normal_iteratorINS9_10device_ptrIdEEEESE_SE_SE_NS0_19identity_decomposerEEE10hipError_tT1_T2_T3_T4_jRjT5_jjP12ihipStream_tbEUlT_E_NS1_11comp_targetILNS1_3genE4ELNS1_11target_archE910ELNS1_3gpuE8ELNS1_3repE0EEENS1_44radix_sort_block_sort_config_static_selectorELNS0_4arch9wavefront6targetE1EEEvSH_,@function
_ZN7rocprim17ROCPRIM_400000_NS6detail17trampoline_kernelINS0_13kernel_configILj256ELj4ELj4294967295EEENS1_37radix_sort_block_sort_config_selectorIddEEZNS1_21radix_sort_block_sortIS4_Lb0EN6thrust23THRUST_200600_302600_NS6detail15normal_iteratorINS9_10device_ptrIdEEEESE_SE_SE_NS0_19identity_decomposerEEE10hipError_tT1_T2_T3_T4_jRjT5_jjP12ihipStream_tbEUlT_E_NS1_11comp_targetILNS1_3genE4ELNS1_11target_archE910ELNS1_3gpuE8ELNS1_3repE0EEENS1_44radix_sort_block_sort_config_static_selectorELNS0_4arch9wavefront6targetE1EEEvSH_: ; @_ZN7rocprim17ROCPRIM_400000_NS6detail17trampoline_kernelINS0_13kernel_configILj256ELj4ELj4294967295EEENS1_37radix_sort_block_sort_config_selectorIddEEZNS1_21radix_sort_block_sortIS4_Lb0EN6thrust23THRUST_200600_302600_NS6detail15normal_iteratorINS9_10device_ptrIdEEEESE_SE_SE_NS0_19identity_decomposerEEE10hipError_tT1_T2_T3_T4_jRjT5_jjP12ihipStream_tbEUlT_E_NS1_11comp_targetILNS1_3genE4ELNS1_11target_archE910ELNS1_3gpuE8ELNS1_3repE0EEENS1_44radix_sort_block_sort_config_static_selectorELNS0_4arch9wavefront6targetE1EEEvSH_
; %bb.0:
	.section	.rodata,"a",@progbits
	.p2align	6, 0x0
	.amdhsa_kernel _ZN7rocprim17ROCPRIM_400000_NS6detail17trampoline_kernelINS0_13kernel_configILj256ELj4ELj4294967295EEENS1_37radix_sort_block_sort_config_selectorIddEEZNS1_21radix_sort_block_sortIS4_Lb0EN6thrust23THRUST_200600_302600_NS6detail15normal_iteratorINS9_10device_ptrIdEEEESE_SE_SE_NS0_19identity_decomposerEEE10hipError_tT1_T2_T3_T4_jRjT5_jjP12ihipStream_tbEUlT_E_NS1_11comp_targetILNS1_3genE4ELNS1_11target_archE910ELNS1_3gpuE8ELNS1_3repE0EEENS1_44radix_sort_block_sort_config_static_selectorELNS0_4arch9wavefront6targetE1EEEvSH_
		.amdhsa_group_segment_fixed_size 0
		.amdhsa_private_segment_fixed_size 0
		.amdhsa_kernarg_size 48
		.amdhsa_user_sgpr_count 2
		.amdhsa_user_sgpr_dispatch_ptr 0
		.amdhsa_user_sgpr_queue_ptr 0
		.amdhsa_user_sgpr_kernarg_segment_ptr 1
		.amdhsa_user_sgpr_dispatch_id 0
		.amdhsa_user_sgpr_kernarg_preload_length 0
		.amdhsa_user_sgpr_kernarg_preload_offset 0
		.amdhsa_user_sgpr_private_segment_size 0
		.amdhsa_uses_dynamic_stack 0
		.amdhsa_enable_private_segment 0
		.amdhsa_system_sgpr_workgroup_id_x 1
		.amdhsa_system_sgpr_workgroup_id_y 0
		.amdhsa_system_sgpr_workgroup_id_z 0
		.amdhsa_system_sgpr_workgroup_info 0
		.amdhsa_system_vgpr_workitem_id 0
		.amdhsa_next_free_vgpr 1
		.amdhsa_next_free_sgpr 0
		.amdhsa_accum_offset 4
		.amdhsa_reserve_vcc 0
		.amdhsa_float_round_mode_32 0
		.amdhsa_float_round_mode_16_64 0
		.amdhsa_float_denorm_mode_32 3
		.amdhsa_float_denorm_mode_16_64 3
		.amdhsa_dx10_clamp 1
		.amdhsa_ieee_mode 1
		.amdhsa_fp16_overflow 0
		.amdhsa_tg_split 0
		.amdhsa_exception_fp_ieee_invalid_op 0
		.amdhsa_exception_fp_denorm_src 0
		.amdhsa_exception_fp_ieee_div_zero 0
		.amdhsa_exception_fp_ieee_overflow 0
		.amdhsa_exception_fp_ieee_underflow 0
		.amdhsa_exception_fp_ieee_inexact 0
		.amdhsa_exception_int_div_zero 0
	.end_amdhsa_kernel
	.section	.text._ZN7rocprim17ROCPRIM_400000_NS6detail17trampoline_kernelINS0_13kernel_configILj256ELj4ELj4294967295EEENS1_37radix_sort_block_sort_config_selectorIddEEZNS1_21radix_sort_block_sortIS4_Lb0EN6thrust23THRUST_200600_302600_NS6detail15normal_iteratorINS9_10device_ptrIdEEEESE_SE_SE_NS0_19identity_decomposerEEE10hipError_tT1_T2_T3_T4_jRjT5_jjP12ihipStream_tbEUlT_E_NS1_11comp_targetILNS1_3genE4ELNS1_11target_archE910ELNS1_3gpuE8ELNS1_3repE0EEENS1_44radix_sort_block_sort_config_static_selectorELNS0_4arch9wavefront6targetE1EEEvSH_,"axG",@progbits,_ZN7rocprim17ROCPRIM_400000_NS6detail17trampoline_kernelINS0_13kernel_configILj256ELj4ELj4294967295EEENS1_37radix_sort_block_sort_config_selectorIddEEZNS1_21radix_sort_block_sortIS4_Lb0EN6thrust23THRUST_200600_302600_NS6detail15normal_iteratorINS9_10device_ptrIdEEEESE_SE_SE_NS0_19identity_decomposerEEE10hipError_tT1_T2_T3_T4_jRjT5_jjP12ihipStream_tbEUlT_E_NS1_11comp_targetILNS1_3genE4ELNS1_11target_archE910ELNS1_3gpuE8ELNS1_3repE0EEENS1_44radix_sort_block_sort_config_static_selectorELNS0_4arch9wavefront6targetE1EEEvSH_,comdat
.Lfunc_end9:
	.size	_ZN7rocprim17ROCPRIM_400000_NS6detail17trampoline_kernelINS0_13kernel_configILj256ELj4ELj4294967295EEENS1_37radix_sort_block_sort_config_selectorIddEEZNS1_21radix_sort_block_sortIS4_Lb0EN6thrust23THRUST_200600_302600_NS6detail15normal_iteratorINS9_10device_ptrIdEEEESE_SE_SE_NS0_19identity_decomposerEEE10hipError_tT1_T2_T3_T4_jRjT5_jjP12ihipStream_tbEUlT_E_NS1_11comp_targetILNS1_3genE4ELNS1_11target_archE910ELNS1_3gpuE8ELNS1_3repE0EEENS1_44radix_sort_block_sort_config_static_selectorELNS0_4arch9wavefront6targetE1EEEvSH_, .Lfunc_end9-_ZN7rocprim17ROCPRIM_400000_NS6detail17trampoline_kernelINS0_13kernel_configILj256ELj4ELj4294967295EEENS1_37radix_sort_block_sort_config_selectorIddEEZNS1_21radix_sort_block_sortIS4_Lb0EN6thrust23THRUST_200600_302600_NS6detail15normal_iteratorINS9_10device_ptrIdEEEESE_SE_SE_NS0_19identity_decomposerEEE10hipError_tT1_T2_T3_T4_jRjT5_jjP12ihipStream_tbEUlT_E_NS1_11comp_targetILNS1_3genE4ELNS1_11target_archE910ELNS1_3gpuE8ELNS1_3repE0EEENS1_44radix_sort_block_sort_config_static_selectorELNS0_4arch9wavefront6targetE1EEEvSH_
                                        ; -- End function
	.set _ZN7rocprim17ROCPRIM_400000_NS6detail17trampoline_kernelINS0_13kernel_configILj256ELj4ELj4294967295EEENS1_37radix_sort_block_sort_config_selectorIddEEZNS1_21radix_sort_block_sortIS4_Lb0EN6thrust23THRUST_200600_302600_NS6detail15normal_iteratorINS9_10device_ptrIdEEEESE_SE_SE_NS0_19identity_decomposerEEE10hipError_tT1_T2_T3_T4_jRjT5_jjP12ihipStream_tbEUlT_E_NS1_11comp_targetILNS1_3genE4ELNS1_11target_archE910ELNS1_3gpuE8ELNS1_3repE0EEENS1_44radix_sort_block_sort_config_static_selectorELNS0_4arch9wavefront6targetE1EEEvSH_.num_vgpr, 0
	.set _ZN7rocprim17ROCPRIM_400000_NS6detail17trampoline_kernelINS0_13kernel_configILj256ELj4ELj4294967295EEENS1_37radix_sort_block_sort_config_selectorIddEEZNS1_21radix_sort_block_sortIS4_Lb0EN6thrust23THRUST_200600_302600_NS6detail15normal_iteratorINS9_10device_ptrIdEEEESE_SE_SE_NS0_19identity_decomposerEEE10hipError_tT1_T2_T3_T4_jRjT5_jjP12ihipStream_tbEUlT_E_NS1_11comp_targetILNS1_3genE4ELNS1_11target_archE910ELNS1_3gpuE8ELNS1_3repE0EEENS1_44radix_sort_block_sort_config_static_selectorELNS0_4arch9wavefront6targetE1EEEvSH_.num_agpr, 0
	.set _ZN7rocprim17ROCPRIM_400000_NS6detail17trampoline_kernelINS0_13kernel_configILj256ELj4ELj4294967295EEENS1_37radix_sort_block_sort_config_selectorIddEEZNS1_21radix_sort_block_sortIS4_Lb0EN6thrust23THRUST_200600_302600_NS6detail15normal_iteratorINS9_10device_ptrIdEEEESE_SE_SE_NS0_19identity_decomposerEEE10hipError_tT1_T2_T3_T4_jRjT5_jjP12ihipStream_tbEUlT_E_NS1_11comp_targetILNS1_3genE4ELNS1_11target_archE910ELNS1_3gpuE8ELNS1_3repE0EEENS1_44radix_sort_block_sort_config_static_selectorELNS0_4arch9wavefront6targetE1EEEvSH_.numbered_sgpr, 0
	.set _ZN7rocprim17ROCPRIM_400000_NS6detail17trampoline_kernelINS0_13kernel_configILj256ELj4ELj4294967295EEENS1_37radix_sort_block_sort_config_selectorIddEEZNS1_21radix_sort_block_sortIS4_Lb0EN6thrust23THRUST_200600_302600_NS6detail15normal_iteratorINS9_10device_ptrIdEEEESE_SE_SE_NS0_19identity_decomposerEEE10hipError_tT1_T2_T3_T4_jRjT5_jjP12ihipStream_tbEUlT_E_NS1_11comp_targetILNS1_3genE4ELNS1_11target_archE910ELNS1_3gpuE8ELNS1_3repE0EEENS1_44radix_sort_block_sort_config_static_selectorELNS0_4arch9wavefront6targetE1EEEvSH_.num_named_barrier, 0
	.set _ZN7rocprim17ROCPRIM_400000_NS6detail17trampoline_kernelINS0_13kernel_configILj256ELj4ELj4294967295EEENS1_37radix_sort_block_sort_config_selectorIddEEZNS1_21radix_sort_block_sortIS4_Lb0EN6thrust23THRUST_200600_302600_NS6detail15normal_iteratorINS9_10device_ptrIdEEEESE_SE_SE_NS0_19identity_decomposerEEE10hipError_tT1_T2_T3_T4_jRjT5_jjP12ihipStream_tbEUlT_E_NS1_11comp_targetILNS1_3genE4ELNS1_11target_archE910ELNS1_3gpuE8ELNS1_3repE0EEENS1_44radix_sort_block_sort_config_static_selectorELNS0_4arch9wavefront6targetE1EEEvSH_.private_seg_size, 0
	.set _ZN7rocprim17ROCPRIM_400000_NS6detail17trampoline_kernelINS0_13kernel_configILj256ELj4ELj4294967295EEENS1_37radix_sort_block_sort_config_selectorIddEEZNS1_21radix_sort_block_sortIS4_Lb0EN6thrust23THRUST_200600_302600_NS6detail15normal_iteratorINS9_10device_ptrIdEEEESE_SE_SE_NS0_19identity_decomposerEEE10hipError_tT1_T2_T3_T4_jRjT5_jjP12ihipStream_tbEUlT_E_NS1_11comp_targetILNS1_3genE4ELNS1_11target_archE910ELNS1_3gpuE8ELNS1_3repE0EEENS1_44radix_sort_block_sort_config_static_selectorELNS0_4arch9wavefront6targetE1EEEvSH_.uses_vcc, 0
	.set _ZN7rocprim17ROCPRIM_400000_NS6detail17trampoline_kernelINS0_13kernel_configILj256ELj4ELj4294967295EEENS1_37radix_sort_block_sort_config_selectorIddEEZNS1_21radix_sort_block_sortIS4_Lb0EN6thrust23THRUST_200600_302600_NS6detail15normal_iteratorINS9_10device_ptrIdEEEESE_SE_SE_NS0_19identity_decomposerEEE10hipError_tT1_T2_T3_T4_jRjT5_jjP12ihipStream_tbEUlT_E_NS1_11comp_targetILNS1_3genE4ELNS1_11target_archE910ELNS1_3gpuE8ELNS1_3repE0EEENS1_44radix_sort_block_sort_config_static_selectorELNS0_4arch9wavefront6targetE1EEEvSH_.uses_flat_scratch, 0
	.set _ZN7rocprim17ROCPRIM_400000_NS6detail17trampoline_kernelINS0_13kernel_configILj256ELj4ELj4294967295EEENS1_37radix_sort_block_sort_config_selectorIddEEZNS1_21radix_sort_block_sortIS4_Lb0EN6thrust23THRUST_200600_302600_NS6detail15normal_iteratorINS9_10device_ptrIdEEEESE_SE_SE_NS0_19identity_decomposerEEE10hipError_tT1_T2_T3_T4_jRjT5_jjP12ihipStream_tbEUlT_E_NS1_11comp_targetILNS1_3genE4ELNS1_11target_archE910ELNS1_3gpuE8ELNS1_3repE0EEENS1_44radix_sort_block_sort_config_static_selectorELNS0_4arch9wavefront6targetE1EEEvSH_.has_dyn_sized_stack, 0
	.set _ZN7rocprim17ROCPRIM_400000_NS6detail17trampoline_kernelINS0_13kernel_configILj256ELj4ELj4294967295EEENS1_37radix_sort_block_sort_config_selectorIddEEZNS1_21radix_sort_block_sortIS4_Lb0EN6thrust23THRUST_200600_302600_NS6detail15normal_iteratorINS9_10device_ptrIdEEEESE_SE_SE_NS0_19identity_decomposerEEE10hipError_tT1_T2_T3_T4_jRjT5_jjP12ihipStream_tbEUlT_E_NS1_11comp_targetILNS1_3genE4ELNS1_11target_archE910ELNS1_3gpuE8ELNS1_3repE0EEENS1_44radix_sort_block_sort_config_static_selectorELNS0_4arch9wavefront6targetE1EEEvSH_.has_recursion, 0
	.set _ZN7rocprim17ROCPRIM_400000_NS6detail17trampoline_kernelINS0_13kernel_configILj256ELj4ELj4294967295EEENS1_37radix_sort_block_sort_config_selectorIddEEZNS1_21radix_sort_block_sortIS4_Lb0EN6thrust23THRUST_200600_302600_NS6detail15normal_iteratorINS9_10device_ptrIdEEEESE_SE_SE_NS0_19identity_decomposerEEE10hipError_tT1_T2_T3_T4_jRjT5_jjP12ihipStream_tbEUlT_E_NS1_11comp_targetILNS1_3genE4ELNS1_11target_archE910ELNS1_3gpuE8ELNS1_3repE0EEENS1_44radix_sort_block_sort_config_static_selectorELNS0_4arch9wavefront6targetE1EEEvSH_.has_indirect_call, 0
	.section	.AMDGPU.csdata,"",@progbits
; Kernel info:
; codeLenInByte = 0
; TotalNumSgprs: 6
; NumVgprs: 0
; NumAgprs: 0
; TotalNumVgprs: 0
; ScratchSize: 0
; MemoryBound: 0
; FloatMode: 240
; IeeeMode: 1
; LDSByteSize: 0 bytes/workgroup (compile time only)
; SGPRBlocks: 0
; VGPRBlocks: 0
; NumSGPRsForWavesPerEU: 6
; NumVGPRsForWavesPerEU: 1
; AccumOffset: 4
; Occupancy: 8
; WaveLimiterHint : 0
; COMPUTE_PGM_RSRC2:SCRATCH_EN: 0
; COMPUTE_PGM_RSRC2:USER_SGPR: 2
; COMPUTE_PGM_RSRC2:TRAP_HANDLER: 0
; COMPUTE_PGM_RSRC2:TGID_X_EN: 1
; COMPUTE_PGM_RSRC2:TGID_Y_EN: 0
; COMPUTE_PGM_RSRC2:TGID_Z_EN: 0
; COMPUTE_PGM_RSRC2:TIDIG_COMP_CNT: 0
; COMPUTE_PGM_RSRC3_GFX90A:ACCUM_OFFSET: 0
; COMPUTE_PGM_RSRC3_GFX90A:TG_SPLIT: 0
	.section	.text._ZN7rocprim17ROCPRIM_400000_NS6detail17trampoline_kernelINS0_13kernel_configILj256ELj4ELj4294967295EEENS1_37radix_sort_block_sort_config_selectorIddEEZNS1_21radix_sort_block_sortIS4_Lb0EN6thrust23THRUST_200600_302600_NS6detail15normal_iteratorINS9_10device_ptrIdEEEESE_SE_SE_NS0_19identity_decomposerEEE10hipError_tT1_T2_T3_T4_jRjT5_jjP12ihipStream_tbEUlT_E_NS1_11comp_targetILNS1_3genE3ELNS1_11target_archE908ELNS1_3gpuE7ELNS1_3repE0EEENS1_44radix_sort_block_sort_config_static_selectorELNS0_4arch9wavefront6targetE1EEEvSH_,"axG",@progbits,_ZN7rocprim17ROCPRIM_400000_NS6detail17trampoline_kernelINS0_13kernel_configILj256ELj4ELj4294967295EEENS1_37radix_sort_block_sort_config_selectorIddEEZNS1_21radix_sort_block_sortIS4_Lb0EN6thrust23THRUST_200600_302600_NS6detail15normal_iteratorINS9_10device_ptrIdEEEESE_SE_SE_NS0_19identity_decomposerEEE10hipError_tT1_T2_T3_T4_jRjT5_jjP12ihipStream_tbEUlT_E_NS1_11comp_targetILNS1_3genE3ELNS1_11target_archE908ELNS1_3gpuE7ELNS1_3repE0EEENS1_44radix_sort_block_sort_config_static_selectorELNS0_4arch9wavefront6targetE1EEEvSH_,comdat
	.protected	_ZN7rocprim17ROCPRIM_400000_NS6detail17trampoline_kernelINS0_13kernel_configILj256ELj4ELj4294967295EEENS1_37radix_sort_block_sort_config_selectorIddEEZNS1_21radix_sort_block_sortIS4_Lb0EN6thrust23THRUST_200600_302600_NS6detail15normal_iteratorINS9_10device_ptrIdEEEESE_SE_SE_NS0_19identity_decomposerEEE10hipError_tT1_T2_T3_T4_jRjT5_jjP12ihipStream_tbEUlT_E_NS1_11comp_targetILNS1_3genE3ELNS1_11target_archE908ELNS1_3gpuE7ELNS1_3repE0EEENS1_44radix_sort_block_sort_config_static_selectorELNS0_4arch9wavefront6targetE1EEEvSH_ ; -- Begin function _ZN7rocprim17ROCPRIM_400000_NS6detail17trampoline_kernelINS0_13kernel_configILj256ELj4ELj4294967295EEENS1_37radix_sort_block_sort_config_selectorIddEEZNS1_21radix_sort_block_sortIS4_Lb0EN6thrust23THRUST_200600_302600_NS6detail15normal_iteratorINS9_10device_ptrIdEEEESE_SE_SE_NS0_19identity_decomposerEEE10hipError_tT1_T2_T3_T4_jRjT5_jjP12ihipStream_tbEUlT_E_NS1_11comp_targetILNS1_3genE3ELNS1_11target_archE908ELNS1_3gpuE7ELNS1_3repE0EEENS1_44radix_sort_block_sort_config_static_selectorELNS0_4arch9wavefront6targetE1EEEvSH_
	.globl	_ZN7rocprim17ROCPRIM_400000_NS6detail17trampoline_kernelINS0_13kernel_configILj256ELj4ELj4294967295EEENS1_37radix_sort_block_sort_config_selectorIddEEZNS1_21radix_sort_block_sortIS4_Lb0EN6thrust23THRUST_200600_302600_NS6detail15normal_iteratorINS9_10device_ptrIdEEEESE_SE_SE_NS0_19identity_decomposerEEE10hipError_tT1_T2_T3_T4_jRjT5_jjP12ihipStream_tbEUlT_E_NS1_11comp_targetILNS1_3genE3ELNS1_11target_archE908ELNS1_3gpuE7ELNS1_3repE0EEENS1_44radix_sort_block_sort_config_static_selectorELNS0_4arch9wavefront6targetE1EEEvSH_
	.p2align	8
	.type	_ZN7rocprim17ROCPRIM_400000_NS6detail17trampoline_kernelINS0_13kernel_configILj256ELj4ELj4294967295EEENS1_37radix_sort_block_sort_config_selectorIddEEZNS1_21radix_sort_block_sortIS4_Lb0EN6thrust23THRUST_200600_302600_NS6detail15normal_iteratorINS9_10device_ptrIdEEEESE_SE_SE_NS0_19identity_decomposerEEE10hipError_tT1_T2_T3_T4_jRjT5_jjP12ihipStream_tbEUlT_E_NS1_11comp_targetILNS1_3genE3ELNS1_11target_archE908ELNS1_3gpuE7ELNS1_3repE0EEENS1_44radix_sort_block_sort_config_static_selectorELNS0_4arch9wavefront6targetE1EEEvSH_,@function
_ZN7rocprim17ROCPRIM_400000_NS6detail17trampoline_kernelINS0_13kernel_configILj256ELj4ELj4294967295EEENS1_37radix_sort_block_sort_config_selectorIddEEZNS1_21radix_sort_block_sortIS4_Lb0EN6thrust23THRUST_200600_302600_NS6detail15normal_iteratorINS9_10device_ptrIdEEEESE_SE_SE_NS0_19identity_decomposerEEE10hipError_tT1_T2_T3_T4_jRjT5_jjP12ihipStream_tbEUlT_E_NS1_11comp_targetILNS1_3genE3ELNS1_11target_archE908ELNS1_3gpuE7ELNS1_3repE0EEENS1_44radix_sort_block_sort_config_static_selectorELNS0_4arch9wavefront6targetE1EEEvSH_: ; @_ZN7rocprim17ROCPRIM_400000_NS6detail17trampoline_kernelINS0_13kernel_configILj256ELj4ELj4294967295EEENS1_37radix_sort_block_sort_config_selectorIddEEZNS1_21radix_sort_block_sortIS4_Lb0EN6thrust23THRUST_200600_302600_NS6detail15normal_iteratorINS9_10device_ptrIdEEEESE_SE_SE_NS0_19identity_decomposerEEE10hipError_tT1_T2_T3_T4_jRjT5_jjP12ihipStream_tbEUlT_E_NS1_11comp_targetILNS1_3genE3ELNS1_11target_archE908ELNS1_3gpuE7ELNS1_3repE0EEENS1_44radix_sort_block_sort_config_static_selectorELNS0_4arch9wavefront6targetE1EEEvSH_
; %bb.0:
	.section	.rodata,"a",@progbits
	.p2align	6, 0x0
	.amdhsa_kernel _ZN7rocprim17ROCPRIM_400000_NS6detail17trampoline_kernelINS0_13kernel_configILj256ELj4ELj4294967295EEENS1_37radix_sort_block_sort_config_selectorIddEEZNS1_21radix_sort_block_sortIS4_Lb0EN6thrust23THRUST_200600_302600_NS6detail15normal_iteratorINS9_10device_ptrIdEEEESE_SE_SE_NS0_19identity_decomposerEEE10hipError_tT1_T2_T3_T4_jRjT5_jjP12ihipStream_tbEUlT_E_NS1_11comp_targetILNS1_3genE3ELNS1_11target_archE908ELNS1_3gpuE7ELNS1_3repE0EEENS1_44radix_sort_block_sort_config_static_selectorELNS0_4arch9wavefront6targetE1EEEvSH_
		.amdhsa_group_segment_fixed_size 0
		.amdhsa_private_segment_fixed_size 0
		.amdhsa_kernarg_size 48
		.amdhsa_user_sgpr_count 2
		.amdhsa_user_sgpr_dispatch_ptr 0
		.amdhsa_user_sgpr_queue_ptr 0
		.amdhsa_user_sgpr_kernarg_segment_ptr 1
		.amdhsa_user_sgpr_dispatch_id 0
		.amdhsa_user_sgpr_kernarg_preload_length 0
		.amdhsa_user_sgpr_kernarg_preload_offset 0
		.amdhsa_user_sgpr_private_segment_size 0
		.amdhsa_uses_dynamic_stack 0
		.amdhsa_enable_private_segment 0
		.amdhsa_system_sgpr_workgroup_id_x 1
		.amdhsa_system_sgpr_workgroup_id_y 0
		.amdhsa_system_sgpr_workgroup_id_z 0
		.amdhsa_system_sgpr_workgroup_info 0
		.amdhsa_system_vgpr_workitem_id 0
		.amdhsa_next_free_vgpr 1
		.amdhsa_next_free_sgpr 0
		.amdhsa_accum_offset 4
		.amdhsa_reserve_vcc 0
		.amdhsa_float_round_mode_32 0
		.amdhsa_float_round_mode_16_64 0
		.amdhsa_float_denorm_mode_32 3
		.amdhsa_float_denorm_mode_16_64 3
		.amdhsa_dx10_clamp 1
		.amdhsa_ieee_mode 1
		.amdhsa_fp16_overflow 0
		.amdhsa_tg_split 0
		.amdhsa_exception_fp_ieee_invalid_op 0
		.amdhsa_exception_fp_denorm_src 0
		.amdhsa_exception_fp_ieee_div_zero 0
		.amdhsa_exception_fp_ieee_overflow 0
		.amdhsa_exception_fp_ieee_underflow 0
		.amdhsa_exception_fp_ieee_inexact 0
		.amdhsa_exception_int_div_zero 0
	.end_amdhsa_kernel
	.section	.text._ZN7rocprim17ROCPRIM_400000_NS6detail17trampoline_kernelINS0_13kernel_configILj256ELj4ELj4294967295EEENS1_37radix_sort_block_sort_config_selectorIddEEZNS1_21radix_sort_block_sortIS4_Lb0EN6thrust23THRUST_200600_302600_NS6detail15normal_iteratorINS9_10device_ptrIdEEEESE_SE_SE_NS0_19identity_decomposerEEE10hipError_tT1_T2_T3_T4_jRjT5_jjP12ihipStream_tbEUlT_E_NS1_11comp_targetILNS1_3genE3ELNS1_11target_archE908ELNS1_3gpuE7ELNS1_3repE0EEENS1_44radix_sort_block_sort_config_static_selectorELNS0_4arch9wavefront6targetE1EEEvSH_,"axG",@progbits,_ZN7rocprim17ROCPRIM_400000_NS6detail17trampoline_kernelINS0_13kernel_configILj256ELj4ELj4294967295EEENS1_37radix_sort_block_sort_config_selectorIddEEZNS1_21radix_sort_block_sortIS4_Lb0EN6thrust23THRUST_200600_302600_NS6detail15normal_iteratorINS9_10device_ptrIdEEEESE_SE_SE_NS0_19identity_decomposerEEE10hipError_tT1_T2_T3_T4_jRjT5_jjP12ihipStream_tbEUlT_E_NS1_11comp_targetILNS1_3genE3ELNS1_11target_archE908ELNS1_3gpuE7ELNS1_3repE0EEENS1_44radix_sort_block_sort_config_static_selectorELNS0_4arch9wavefront6targetE1EEEvSH_,comdat
.Lfunc_end10:
	.size	_ZN7rocprim17ROCPRIM_400000_NS6detail17trampoline_kernelINS0_13kernel_configILj256ELj4ELj4294967295EEENS1_37radix_sort_block_sort_config_selectorIddEEZNS1_21radix_sort_block_sortIS4_Lb0EN6thrust23THRUST_200600_302600_NS6detail15normal_iteratorINS9_10device_ptrIdEEEESE_SE_SE_NS0_19identity_decomposerEEE10hipError_tT1_T2_T3_T4_jRjT5_jjP12ihipStream_tbEUlT_E_NS1_11comp_targetILNS1_3genE3ELNS1_11target_archE908ELNS1_3gpuE7ELNS1_3repE0EEENS1_44radix_sort_block_sort_config_static_selectorELNS0_4arch9wavefront6targetE1EEEvSH_, .Lfunc_end10-_ZN7rocprim17ROCPRIM_400000_NS6detail17trampoline_kernelINS0_13kernel_configILj256ELj4ELj4294967295EEENS1_37radix_sort_block_sort_config_selectorIddEEZNS1_21radix_sort_block_sortIS4_Lb0EN6thrust23THRUST_200600_302600_NS6detail15normal_iteratorINS9_10device_ptrIdEEEESE_SE_SE_NS0_19identity_decomposerEEE10hipError_tT1_T2_T3_T4_jRjT5_jjP12ihipStream_tbEUlT_E_NS1_11comp_targetILNS1_3genE3ELNS1_11target_archE908ELNS1_3gpuE7ELNS1_3repE0EEENS1_44radix_sort_block_sort_config_static_selectorELNS0_4arch9wavefront6targetE1EEEvSH_
                                        ; -- End function
	.set _ZN7rocprim17ROCPRIM_400000_NS6detail17trampoline_kernelINS0_13kernel_configILj256ELj4ELj4294967295EEENS1_37radix_sort_block_sort_config_selectorIddEEZNS1_21radix_sort_block_sortIS4_Lb0EN6thrust23THRUST_200600_302600_NS6detail15normal_iteratorINS9_10device_ptrIdEEEESE_SE_SE_NS0_19identity_decomposerEEE10hipError_tT1_T2_T3_T4_jRjT5_jjP12ihipStream_tbEUlT_E_NS1_11comp_targetILNS1_3genE3ELNS1_11target_archE908ELNS1_3gpuE7ELNS1_3repE0EEENS1_44radix_sort_block_sort_config_static_selectorELNS0_4arch9wavefront6targetE1EEEvSH_.num_vgpr, 0
	.set _ZN7rocprim17ROCPRIM_400000_NS6detail17trampoline_kernelINS0_13kernel_configILj256ELj4ELj4294967295EEENS1_37radix_sort_block_sort_config_selectorIddEEZNS1_21radix_sort_block_sortIS4_Lb0EN6thrust23THRUST_200600_302600_NS6detail15normal_iteratorINS9_10device_ptrIdEEEESE_SE_SE_NS0_19identity_decomposerEEE10hipError_tT1_T2_T3_T4_jRjT5_jjP12ihipStream_tbEUlT_E_NS1_11comp_targetILNS1_3genE3ELNS1_11target_archE908ELNS1_3gpuE7ELNS1_3repE0EEENS1_44radix_sort_block_sort_config_static_selectorELNS0_4arch9wavefront6targetE1EEEvSH_.num_agpr, 0
	.set _ZN7rocprim17ROCPRIM_400000_NS6detail17trampoline_kernelINS0_13kernel_configILj256ELj4ELj4294967295EEENS1_37radix_sort_block_sort_config_selectorIddEEZNS1_21radix_sort_block_sortIS4_Lb0EN6thrust23THRUST_200600_302600_NS6detail15normal_iteratorINS9_10device_ptrIdEEEESE_SE_SE_NS0_19identity_decomposerEEE10hipError_tT1_T2_T3_T4_jRjT5_jjP12ihipStream_tbEUlT_E_NS1_11comp_targetILNS1_3genE3ELNS1_11target_archE908ELNS1_3gpuE7ELNS1_3repE0EEENS1_44radix_sort_block_sort_config_static_selectorELNS0_4arch9wavefront6targetE1EEEvSH_.numbered_sgpr, 0
	.set _ZN7rocprim17ROCPRIM_400000_NS6detail17trampoline_kernelINS0_13kernel_configILj256ELj4ELj4294967295EEENS1_37radix_sort_block_sort_config_selectorIddEEZNS1_21radix_sort_block_sortIS4_Lb0EN6thrust23THRUST_200600_302600_NS6detail15normal_iteratorINS9_10device_ptrIdEEEESE_SE_SE_NS0_19identity_decomposerEEE10hipError_tT1_T2_T3_T4_jRjT5_jjP12ihipStream_tbEUlT_E_NS1_11comp_targetILNS1_3genE3ELNS1_11target_archE908ELNS1_3gpuE7ELNS1_3repE0EEENS1_44radix_sort_block_sort_config_static_selectorELNS0_4arch9wavefront6targetE1EEEvSH_.num_named_barrier, 0
	.set _ZN7rocprim17ROCPRIM_400000_NS6detail17trampoline_kernelINS0_13kernel_configILj256ELj4ELj4294967295EEENS1_37radix_sort_block_sort_config_selectorIddEEZNS1_21radix_sort_block_sortIS4_Lb0EN6thrust23THRUST_200600_302600_NS6detail15normal_iteratorINS9_10device_ptrIdEEEESE_SE_SE_NS0_19identity_decomposerEEE10hipError_tT1_T2_T3_T4_jRjT5_jjP12ihipStream_tbEUlT_E_NS1_11comp_targetILNS1_3genE3ELNS1_11target_archE908ELNS1_3gpuE7ELNS1_3repE0EEENS1_44radix_sort_block_sort_config_static_selectorELNS0_4arch9wavefront6targetE1EEEvSH_.private_seg_size, 0
	.set _ZN7rocprim17ROCPRIM_400000_NS6detail17trampoline_kernelINS0_13kernel_configILj256ELj4ELj4294967295EEENS1_37radix_sort_block_sort_config_selectorIddEEZNS1_21radix_sort_block_sortIS4_Lb0EN6thrust23THRUST_200600_302600_NS6detail15normal_iteratorINS9_10device_ptrIdEEEESE_SE_SE_NS0_19identity_decomposerEEE10hipError_tT1_T2_T3_T4_jRjT5_jjP12ihipStream_tbEUlT_E_NS1_11comp_targetILNS1_3genE3ELNS1_11target_archE908ELNS1_3gpuE7ELNS1_3repE0EEENS1_44radix_sort_block_sort_config_static_selectorELNS0_4arch9wavefront6targetE1EEEvSH_.uses_vcc, 0
	.set _ZN7rocprim17ROCPRIM_400000_NS6detail17trampoline_kernelINS0_13kernel_configILj256ELj4ELj4294967295EEENS1_37radix_sort_block_sort_config_selectorIddEEZNS1_21radix_sort_block_sortIS4_Lb0EN6thrust23THRUST_200600_302600_NS6detail15normal_iteratorINS9_10device_ptrIdEEEESE_SE_SE_NS0_19identity_decomposerEEE10hipError_tT1_T2_T3_T4_jRjT5_jjP12ihipStream_tbEUlT_E_NS1_11comp_targetILNS1_3genE3ELNS1_11target_archE908ELNS1_3gpuE7ELNS1_3repE0EEENS1_44radix_sort_block_sort_config_static_selectorELNS0_4arch9wavefront6targetE1EEEvSH_.uses_flat_scratch, 0
	.set _ZN7rocprim17ROCPRIM_400000_NS6detail17trampoline_kernelINS0_13kernel_configILj256ELj4ELj4294967295EEENS1_37radix_sort_block_sort_config_selectorIddEEZNS1_21radix_sort_block_sortIS4_Lb0EN6thrust23THRUST_200600_302600_NS6detail15normal_iteratorINS9_10device_ptrIdEEEESE_SE_SE_NS0_19identity_decomposerEEE10hipError_tT1_T2_T3_T4_jRjT5_jjP12ihipStream_tbEUlT_E_NS1_11comp_targetILNS1_3genE3ELNS1_11target_archE908ELNS1_3gpuE7ELNS1_3repE0EEENS1_44radix_sort_block_sort_config_static_selectorELNS0_4arch9wavefront6targetE1EEEvSH_.has_dyn_sized_stack, 0
	.set _ZN7rocprim17ROCPRIM_400000_NS6detail17trampoline_kernelINS0_13kernel_configILj256ELj4ELj4294967295EEENS1_37radix_sort_block_sort_config_selectorIddEEZNS1_21radix_sort_block_sortIS4_Lb0EN6thrust23THRUST_200600_302600_NS6detail15normal_iteratorINS9_10device_ptrIdEEEESE_SE_SE_NS0_19identity_decomposerEEE10hipError_tT1_T2_T3_T4_jRjT5_jjP12ihipStream_tbEUlT_E_NS1_11comp_targetILNS1_3genE3ELNS1_11target_archE908ELNS1_3gpuE7ELNS1_3repE0EEENS1_44radix_sort_block_sort_config_static_selectorELNS0_4arch9wavefront6targetE1EEEvSH_.has_recursion, 0
	.set _ZN7rocprim17ROCPRIM_400000_NS6detail17trampoline_kernelINS0_13kernel_configILj256ELj4ELj4294967295EEENS1_37radix_sort_block_sort_config_selectorIddEEZNS1_21radix_sort_block_sortIS4_Lb0EN6thrust23THRUST_200600_302600_NS6detail15normal_iteratorINS9_10device_ptrIdEEEESE_SE_SE_NS0_19identity_decomposerEEE10hipError_tT1_T2_T3_T4_jRjT5_jjP12ihipStream_tbEUlT_E_NS1_11comp_targetILNS1_3genE3ELNS1_11target_archE908ELNS1_3gpuE7ELNS1_3repE0EEENS1_44radix_sort_block_sort_config_static_selectorELNS0_4arch9wavefront6targetE1EEEvSH_.has_indirect_call, 0
	.section	.AMDGPU.csdata,"",@progbits
; Kernel info:
; codeLenInByte = 0
; TotalNumSgprs: 6
; NumVgprs: 0
; NumAgprs: 0
; TotalNumVgprs: 0
; ScratchSize: 0
; MemoryBound: 0
; FloatMode: 240
; IeeeMode: 1
; LDSByteSize: 0 bytes/workgroup (compile time only)
; SGPRBlocks: 0
; VGPRBlocks: 0
; NumSGPRsForWavesPerEU: 6
; NumVGPRsForWavesPerEU: 1
; AccumOffset: 4
; Occupancy: 8
; WaveLimiterHint : 0
; COMPUTE_PGM_RSRC2:SCRATCH_EN: 0
; COMPUTE_PGM_RSRC2:USER_SGPR: 2
; COMPUTE_PGM_RSRC2:TRAP_HANDLER: 0
; COMPUTE_PGM_RSRC2:TGID_X_EN: 1
; COMPUTE_PGM_RSRC2:TGID_Y_EN: 0
; COMPUTE_PGM_RSRC2:TGID_Z_EN: 0
; COMPUTE_PGM_RSRC2:TIDIG_COMP_CNT: 0
; COMPUTE_PGM_RSRC3_GFX90A:ACCUM_OFFSET: 0
; COMPUTE_PGM_RSRC3_GFX90A:TG_SPLIT: 0
	.section	.text._ZN7rocprim17ROCPRIM_400000_NS6detail17trampoline_kernelINS0_13kernel_configILj256ELj4ELj4294967295EEENS1_37radix_sort_block_sort_config_selectorIddEEZNS1_21radix_sort_block_sortIS4_Lb0EN6thrust23THRUST_200600_302600_NS6detail15normal_iteratorINS9_10device_ptrIdEEEESE_SE_SE_NS0_19identity_decomposerEEE10hipError_tT1_T2_T3_T4_jRjT5_jjP12ihipStream_tbEUlT_E_NS1_11comp_targetILNS1_3genE2ELNS1_11target_archE906ELNS1_3gpuE6ELNS1_3repE0EEENS1_44radix_sort_block_sort_config_static_selectorELNS0_4arch9wavefront6targetE1EEEvSH_,"axG",@progbits,_ZN7rocprim17ROCPRIM_400000_NS6detail17trampoline_kernelINS0_13kernel_configILj256ELj4ELj4294967295EEENS1_37radix_sort_block_sort_config_selectorIddEEZNS1_21radix_sort_block_sortIS4_Lb0EN6thrust23THRUST_200600_302600_NS6detail15normal_iteratorINS9_10device_ptrIdEEEESE_SE_SE_NS0_19identity_decomposerEEE10hipError_tT1_T2_T3_T4_jRjT5_jjP12ihipStream_tbEUlT_E_NS1_11comp_targetILNS1_3genE2ELNS1_11target_archE906ELNS1_3gpuE6ELNS1_3repE0EEENS1_44radix_sort_block_sort_config_static_selectorELNS0_4arch9wavefront6targetE1EEEvSH_,comdat
	.protected	_ZN7rocprim17ROCPRIM_400000_NS6detail17trampoline_kernelINS0_13kernel_configILj256ELj4ELj4294967295EEENS1_37radix_sort_block_sort_config_selectorIddEEZNS1_21radix_sort_block_sortIS4_Lb0EN6thrust23THRUST_200600_302600_NS6detail15normal_iteratorINS9_10device_ptrIdEEEESE_SE_SE_NS0_19identity_decomposerEEE10hipError_tT1_T2_T3_T4_jRjT5_jjP12ihipStream_tbEUlT_E_NS1_11comp_targetILNS1_3genE2ELNS1_11target_archE906ELNS1_3gpuE6ELNS1_3repE0EEENS1_44radix_sort_block_sort_config_static_selectorELNS0_4arch9wavefront6targetE1EEEvSH_ ; -- Begin function _ZN7rocprim17ROCPRIM_400000_NS6detail17trampoline_kernelINS0_13kernel_configILj256ELj4ELj4294967295EEENS1_37radix_sort_block_sort_config_selectorIddEEZNS1_21radix_sort_block_sortIS4_Lb0EN6thrust23THRUST_200600_302600_NS6detail15normal_iteratorINS9_10device_ptrIdEEEESE_SE_SE_NS0_19identity_decomposerEEE10hipError_tT1_T2_T3_T4_jRjT5_jjP12ihipStream_tbEUlT_E_NS1_11comp_targetILNS1_3genE2ELNS1_11target_archE906ELNS1_3gpuE6ELNS1_3repE0EEENS1_44radix_sort_block_sort_config_static_selectorELNS0_4arch9wavefront6targetE1EEEvSH_
	.globl	_ZN7rocprim17ROCPRIM_400000_NS6detail17trampoline_kernelINS0_13kernel_configILj256ELj4ELj4294967295EEENS1_37radix_sort_block_sort_config_selectorIddEEZNS1_21radix_sort_block_sortIS4_Lb0EN6thrust23THRUST_200600_302600_NS6detail15normal_iteratorINS9_10device_ptrIdEEEESE_SE_SE_NS0_19identity_decomposerEEE10hipError_tT1_T2_T3_T4_jRjT5_jjP12ihipStream_tbEUlT_E_NS1_11comp_targetILNS1_3genE2ELNS1_11target_archE906ELNS1_3gpuE6ELNS1_3repE0EEENS1_44radix_sort_block_sort_config_static_selectorELNS0_4arch9wavefront6targetE1EEEvSH_
	.p2align	8
	.type	_ZN7rocprim17ROCPRIM_400000_NS6detail17trampoline_kernelINS0_13kernel_configILj256ELj4ELj4294967295EEENS1_37radix_sort_block_sort_config_selectorIddEEZNS1_21radix_sort_block_sortIS4_Lb0EN6thrust23THRUST_200600_302600_NS6detail15normal_iteratorINS9_10device_ptrIdEEEESE_SE_SE_NS0_19identity_decomposerEEE10hipError_tT1_T2_T3_T4_jRjT5_jjP12ihipStream_tbEUlT_E_NS1_11comp_targetILNS1_3genE2ELNS1_11target_archE906ELNS1_3gpuE6ELNS1_3repE0EEENS1_44radix_sort_block_sort_config_static_selectorELNS0_4arch9wavefront6targetE1EEEvSH_,@function
_ZN7rocprim17ROCPRIM_400000_NS6detail17trampoline_kernelINS0_13kernel_configILj256ELj4ELj4294967295EEENS1_37radix_sort_block_sort_config_selectorIddEEZNS1_21radix_sort_block_sortIS4_Lb0EN6thrust23THRUST_200600_302600_NS6detail15normal_iteratorINS9_10device_ptrIdEEEESE_SE_SE_NS0_19identity_decomposerEEE10hipError_tT1_T2_T3_T4_jRjT5_jjP12ihipStream_tbEUlT_E_NS1_11comp_targetILNS1_3genE2ELNS1_11target_archE906ELNS1_3gpuE6ELNS1_3repE0EEENS1_44radix_sort_block_sort_config_static_selectorELNS0_4arch9wavefront6targetE1EEEvSH_: ; @_ZN7rocprim17ROCPRIM_400000_NS6detail17trampoline_kernelINS0_13kernel_configILj256ELj4ELj4294967295EEENS1_37radix_sort_block_sort_config_selectorIddEEZNS1_21radix_sort_block_sortIS4_Lb0EN6thrust23THRUST_200600_302600_NS6detail15normal_iteratorINS9_10device_ptrIdEEEESE_SE_SE_NS0_19identity_decomposerEEE10hipError_tT1_T2_T3_T4_jRjT5_jjP12ihipStream_tbEUlT_E_NS1_11comp_targetILNS1_3genE2ELNS1_11target_archE906ELNS1_3gpuE6ELNS1_3repE0EEENS1_44radix_sort_block_sort_config_static_selectorELNS0_4arch9wavefront6targetE1EEEvSH_
; %bb.0:
	.section	.rodata,"a",@progbits
	.p2align	6, 0x0
	.amdhsa_kernel _ZN7rocprim17ROCPRIM_400000_NS6detail17trampoline_kernelINS0_13kernel_configILj256ELj4ELj4294967295EEENS1_37radix_sort_block_sort_config_selectorIddEEZNS1_21radix_sort_block_sortIS4_Lb0EN6thrust23THRUST_200600_302600_NS6detail15normal_iteratorINS9_10device_ptrIdEEEESE_SE_SE_NS0_19identity_decomposerEEE10hipError_tT1_T2_T3_T4_jRjT5_jjP12ihipStream_tbEUlT_E_NS1_11comp_targetILNS1_3genE2ELNS1_11target_archE906ELNS1_3gpuE6ELNS1_3repE0EEENS1_44radix_sort_block_sort_config_static_selectorELNS0_4arch9wavefront6targetE1EEEvSH_
		.amdhsa_group_segment_fixed_size 0
		.amdhsa_private_segment_fixed_size 0
		.amdhsa_kernarg_size 48
		.amdhsa_user_sgpr_count 2
		.amdhsa_user_sgpr_dispatch_ptr 0
		.amdhsa_user_sgpr_queue_ptr 0
		.amdhsa_user_sgpr_kernarg_segment_ptr 1
		.amdhsa_user_sgpr_dispatch_id 0
		.amdhsa_user_sgpr_kernarg_preload_length 0
		.amdhsa_user_sgpr_kernarg_preload_offset 0
		.amdhsa_user_sgpr_private_segment_size 0
		.amdhsa_uses_dynamic_stack 0
		.amdhsa_enable_private_segment 0
		.amdhsa_system_sgpr_workgroup_id_x 1
		.amdhsa_system_sgpr_workgroup_id_y 0
		.amdhsa_system_sgpr_workgroup_id_z 0
		.amdhsa_system_sgpr_workgroup_info 0
		.amdhsa_system_vgpr_workitem_id 0
		.amdhsa_next_free_vgpr 1
		.amdhsa_next_free_sgpr 0
		.amdhsa_accum_offset 4
		.amdhsa_reserve_vcc 0
		.amdhsa_float_round_mode_32 0
		.amdhsa_float_round_mode_16_64 0
		.amdhsa_float_denorm_mode_32 3
		.amdhsa_float_denorm_mode_16_64 3
		.amdhsa_dx10_clamp 1
		.amdhsa_ieee_mode 1
		.amdhsa_fp16_overflow 0
		.amdhsa_tg_split 0
		.amdhsa_exception_fp_ieee_invalid_op 0
		.amdhsa_exception_fp_denorm_src 0
		.amdhsa_exception_fp_ieee_div_zero 0
		.amdhsa_exception_fp_ieee_overflow 0
		.amdhsa_exception_fp_ieee_underflow 0
		.amdhsa_exception_fp_ieee_inexact 0
		.amdhsa_exception_int_div_zero 0
	.end_amdhsa_kernel
	.section	.text._ZN7rocprim17ROCPRIM_400000_NS6detail17trampoline_kernelINS0_13kernel_configILj256ELj4ELj4294967295EEENS1_37radix_sort_block_sort_config_selectorIddEEZNS1_21radix_sort_block_sortIS4_Lb0EN6thrust23THRUST_200600_302600_NS6detail15normal_iteratorINS9_10device_ptrIdEEEESE_SE_SE_NS0_19identity_decomposerEEE10hipError_tT1_T2_T3_T4_jRjT5_jjP12ihipStream_tbEUlT_E_NS1_11comp_targetILNS1_3genE2ELNS1_11target_archE906ELNS1_3gpuE6ELNS1_3repE0EEENS1_44radix_sort_block_sort_config_static_selectorELNS0_4arch9wavefront6targetE1EEEvSH_,"axG",@progbits,_ZN7rocprim17ROCPRIM_400000_NS6detail17trampoline_kernelINS0_13kernel_configILj256ELj4ELj4294967295EEENS1_37radix_sort_block_sort_config_selectorIddEEZNS1_21radix_sort_block_sortIS4_Lb0EN6thrust23THRUST_200600_302600_NS6detail15normal_iteratorINS9_10device_ptrIdEEEESE_SE_SE_NS0_19identity_decomposerEEE10hipError_tT1_T2_T3_T4_jRjT5_jjP12ihipStream_tbEUlT_E_NS1_11comp_targetILNS1_3genE2ELNS1_11target_archE906ELNS1_3gpuE6ELNS1_3repE0EEENS1_44radix_sort_block_sort_config_static_selectorELNS0_4arch9wavefront6targetE1EEEvSH_,comdat
.Lfunc_end11:
	.size	_ZN7rocprim17ROCPRIM_400000_NS6detail17trampoline_kernelINS0_13kernel_configILj256ELj4ELj4294967295EEENS1_37radix_sort_block_sort_config_selectorIddEEZNS1_21radix_sort_block_sortIS4_Lb0EN6thrust23THRUST_200600_302600_NS6detail15normal_iteratorINS9_10device_ptrIdEEEESE_SE_SE_NS0_19identity_decomposerEEE10hipError_tT1_T2_T3_T4_jRjT5_jjP12ihipStream_tbEUlT_E_NS1_11comp_targetILNS1_3genE2ELNS1_11target_archE906ELNS1_3gpuE6ELNS1_3repE0EEENS1_44radix_sort_block_sort_config_static_selectorELNS0_4arch9wavefront6targetE1EEEvSH_, .Lfunc_end11-_ZN7rocprim17ROCPRIM_400000_NS6detail17trampoline_kernelINS0_13kernel_configILj256ELj4ELj4294967295EEENS1_37radix_sort_block_sort_config_selectorIddEEZNS1_21radix_sort_block_sortIS4_Lb0EN6thrust23THRUST_200600_302600_NS6detail15normal_iteratorINS9_10device_ptrIdEEEESE_SE_SE_NS0_19identity_decomposerEEE10hipError_tT1_T2_T3_T4_jRjT5_jjP12ihipStream_tbEUlT_E_NS1_11comp_targetILNS1_3genE2ELNS1_11target_archE906ELNS1_3gpuE6ELNS1_3repE0EEENS1_44radix_sort_block_sort_config_static_selectorELNS0_4arch9wavefront6targetE1EEEvSH_
                                        ; -- End function
	.set _ZN7rocprim17ROCPRIM_400000_NS6detail17trampoline_kernelINS0_13kernel_configILj256ELj4ELj4294967295EEENS1_37radix_sort_block_sort_config_selectorIddEEZNS1_21radix_sort_block_sortIS4_Lb0EN6thrust23THRUST_200600_302600_NS6detail15normal_iteratorINS9_10device_ptrIdEEEESE_SE_SE_NS0_19identity_decomposerEEE10hipError_tT1_T2_T3_T4_jRjT5_jjP12ihipStream_tbEUlT_E_NS1_11comp_targetILNS1_3genE2ELNS1_11target_archE906ELNS1_3gpuE6ELNS1_3repE0EEENS1_44radix_sort_block_sort_config_static_selectorELNS0_4arch9wavefront6targetE1EEEvSH_.num_vgpr, 0
	.set _ZN7rocprim17ROCPRIM_400000_NS6detail17trampoline_kernelINS0_13kernel_configILj256ELj4ELj4294967295EEENS1_37radix_sort_block_sort_config_selectorIddEEZNS1_21radix_sort_block_sortIS4_Lb0EN6thrust23THRUST_200600_302600_NS6detail15normal_iteratorINS9_10device_ptrIdEEEESE_SE_SE_NS0_19identity_decomposerEEE10hipError_tT1_T2_T3_T4_jRjT5_jjP12ihipStream_tbEUlT_E_NS1_11comp_targetILNS1_3genE2ELNS1_11target_archE906ELNS1_3gpuE6ELNS1_3repE0EEENS1_44radix_sort_block_sort_config_static_selectorELNS0_4arch9wavefront6targetE1EEEvSH_.num_agpr, 0
	.set _ZN7rocprim17ROCPRIM_400000_NS6detail17trampoline_kernelINS0_13kernel_configILj256ELj4ELj4294967295EEENS1_37radix_sort_block_sort_config_selectorIddEEZNS1_21radix_sort_block_sortIS4_Lb0EN6thrust23THRUST_200600_302600_NS6detail15normal_iteratorINS9_10device_ptrIdEEEESE_SE_SE_NS0_19identity_decomposerEEE10hipError_tT1_T2_T3_T4_jRjT5_jjP12ihipStream_tbEUlT_E_NS1_11comp_targetILNS1_3genE2ELNS1_11target_archE906ELNS1_3gpuE6ELNS1_3repE0EEENS1_44radix_sort_block_sort_config_static_selectorELNS0_4arch9wavefront6targetE1EEEvSH_.numbered_sgpr, 0
	.set _ZN7rocprim17ROCPRIM_400000_NS6detail17trampoline_kernelINS0_13kernel_configILj256ELj4ELj4294967295EEENS1_37radix_sort_block_sort_config_selectorIddEEZNS1_21radix_sort_block_sortIS4_Lb0EN6thrust23THRUST_200600_302600_NS6detail15normal_iteratorINS9_10device_ptrIdEEEESE_SE_SE_NS0_19identity_decomposerEEE10hipError_tT1_T2_T3_T4_jRjT5_jjP12ihipStream_tbEUlT_E_NS1_11comp_targetILNS1_3genE2ELNS1_11target_archE906ELNS1_3gpuE6ELNS1_3repE0EEENS1_44radix_sort_block_sort_config_static_selectorELNS0_4arch9wavefront6targetE1EEEvSH_.num_named_barrier, 0
	.set _ZN7rocprim17ROCPRIM_400000_NS6detail17trampoline_kernelINS0_13kernel_configILj256ELj4ELj4294967295EEENS1_37radix_sort_block_sort_config_selectorIddEEZNS1_21radix_sort_block_sortIS4_Lb0EN6thrust23THRUST_200600_302600_NS6detail15normal_iteratorINS9_10device_ptrIdEEEESE_SE_SE_NS0_19identity_decomposerEEE10hipError_tT1_T2_T3_T4_jRjT5_jjP12ihipStream_tbEUlT_E_NS1_11comp_targetILNS1_3genE2ELNS1_11target_archE906ELNS1_3gpuE6ELNS1_3repE0EEENS1_44radix_sort_block_sort_config_static_selectorELNS0_4arch9wavefront6targetE1EEEvSH_.private_seg_size, 0
	.set _ZN7rocprim17ROCPRIM_400000_NS6detail17trampoline_kernelINS0_13kernel_configILj256ELj4ELj4294967295EEENS1_37radix_sort_block_sort_config_selectorIddEEZNS1_21radix_sort_block_sortIS4_Lb0EN6thrust23THRUST_200600_302600_NS6detail15normal_iteratorINS9_10device_ptrIdEEEESE_SE_SE_NS0_19identity_decomposerEEE10hipError_tT1_T2_T3_T4_jRjT5_jjP12ihipStream_tbEUlT_E_NS1_11comp_targetILNS1_3genE2ELNS1_11target_archE906ELNS1_3gpuE6ELNS1_3repE0EEENS1_44radix_sort_block_sort_config_static_selectorELNS0_4arch9wavefront6targetE1EEEvSH_.uses_vcc, 0
	.set _ZN7rocprim17ROCPRIM_400000_NS6detail17trampoline_kernelINS0_13kernel_configILj256ELj4ELj4294967295EEENS1_37radix_sort_block_sort_config_selectorIddEEZNS1_21radix_sort_block_sortIS4_Lb0EN6thrust23THRUST_200600_302600_NS6detail15normal_iteratorINS9_10device_ptrIdEEEESE_SE_SE_NS0_19identity_decomposerEEE10hipError_tT1_T2_T3_T4_jRjT5_jjP12ihipStream_tbEUlT_E_NS1_11comp_targetILNS1_3genE2ELNS1_11target_archE906ELNS1_3gpuE6ELNS1_3repE0EEENS1_44radix_sort_block_sort_config_static_selectorELNS0_4arch9wavefront6targetE1EEEvSH_.uses_flat_scratch, 0
	.set _ZN7rocprim17ROCPRIM_400000_NS6detail17trampoline_kernelINS0_13kernel_configILj256ELj4ELj4294967295EEENS1_37radix_sort_block_sort_config_selectorIddEEZNS1_21radix_sort_block_sortIS4_Lb0EN6thrust23THRUST_200600_302600_NS6detail15normal_iteratorINS9_10device_ptrIdEEEESE_SE_SE_NS0_19identity_decomposerEEE10hipError_tT1_T2_T3_T4_jRjT5_jjP12ihipStream_tbEUlT_E_NS1_11comp_targetILNS1_3genE2ELNS1_11target_archE906ELNS1_3gpuE6ELNS1_3repE0EEENS1_44radix_sort_block_sort_config_static_selectorELNS0_4arch9wavefront6targetE1EEEvSH_.has_dyn_sized_stack, 0
	.set _ZN7rocprim17ROCPRIM_400000_NS6detail17trampoline_kernelINS0_13kernel_configILj256ELj4ELj4294967295EEENS1_37radix_sort_block_sort_config_selectorIddEEZNS1_21radix_sort_block_sortIS4_Lb0EN6thrust23THRUST_200600_302600_NS6detail15normal_iteratorINS9_10device_ptrIdEEEESE_SE_SE_NS0_19identity_decomposerEEE10hipError_tT1_T2_T3_T4_jRjT5_jjP12ihipStream_tbEUlT_E_NS1_11comp_targetILNS1_3genE2ELNS1_11target_archE906ELNS1_3gpuE6ELNS1_3repE0EEENS1_44radix_sort_block_sort_config_static_selectorELNS0_4arch9wavefront6targetE1EEEvSH_.has_recursion, 0
	.set _ZN7rocprim17ROCPRIM_400000_NS6detail17trampoline_kernelINS0_13kernel_configILj256ELj4ELj4294967295EEENS1_37radix_sort_block_sort_config_selectorIddEEZNS1_21radix_sort_block_sortIS4_Lb0EN6thrust23THRUST_200600_302600_NS6detail15normal_iteratorINS9_10device_ptrIdEEEESE_SE_SE_NS0_19identity_decomposerEEE10hipError_tT1_T2_T3_T4_jRjT5_jjP12ihipStream_tbEUlT_E_NS1_11comp_targetILNS1_3genE2ELNS1_11target_archE906ELNS1_3gpuE6ELNS1_3repE0EEENS1_44radix_sort_block_sort_config_static_selectorELNS0_4arch9wavefront6targetE1EEEvSH_.has_indirect_call, 0
	.section	.AMDGPU.csdata,"",@progbits
; Kernel info:
; codeLenInByte = 0
; TotalNumSgprs: 6
; NumVgprs: 0
; NumAgprs: 0
; TotalNumVgprs: 0
; ScratchSize: 0
; MemoryBound: 0
; FloatMode: 240
; IeeeMode: 1
; LDSByteSize: 0 bytes/workgroup (compile time only)
; SGPRBlocks: 0
; VGPRBlocks: 0
; NumSGPRsForWavesPerEU: 6
; NumVGPRsForWavesPerEU: 1
; AccumOffset: 4
; Occupancy: 8
; WaveLimiterHint : 0
; COMPUTE_PGM_RSRC2:SCRATCH_EN: 0
; COMPUTE_PGM_RSRC2:USER_SGPR: 2
; COMPUTE_PGM_RSRC2:TRAP_HANDLER: 0
; COMPUTE_PGM_RSRC2:TGID_X_EN: 1
; COMPUTE_PGM_RSRC2:TGID_Y_EN: 0
; COMPUTE_PGM_RSRC2:TGID_Z_EN: 0
; COMPUTE_PGM_RSRC2:TIDIG_COMP_CNT: 0
; COMPUTE_PGM_RSRC3_GFX90A:ACCUM_OFFSET: 0
; COMPUTE_PGM_RSRC3_GFX90A:TG_SPLIT: 0
	.section	.text._ZN7rocprim17ROCPRIM_400000_NS6detail17trampoline_kernelINS0_13kernel_configILj256ELj4ELj4294967295EEENS1_37radix_sort_block_sort_config_selectorIddEEZNS1_21radix_sort_block_sortIS4_Lb0EN6thrust23THRUST_200600_302600_NS6detail15normal_iteratorINS9_10device_ptrIdEEEESE_SE_SE_NS0_19identity_decomposerEEE10hipError_tT1_T2_T3_T4_jRjT5_jjP12ihipStream_tbEUlT_E_NS1_11comp_targetILNS1_3genE10ELNS1_11target_archE1201ELNS1_3gpuE5ELNS1_3repE0EEENS1_44radix_sort_block_sort_config_static_selectorELNS0_4arch9wavefront6targetE1EEEvSH_,"axG",@progbits,_ZN7rocprim17ROCPRIM_400000_NS6detail17trampoline_kernelINS0_13kernel_configILj256ELj4ELj4294967295EEENS1_37radix_sort_block_sort_config_selectorIddEEZNS1_21radix_sort_block_sortIS4_Lb0EN6thrust23THRUST_200600_302600_NS6detail15normal_iteratorINS9_10device_ptrIdEEEESE_SE_SE_NS0_19identity_decomposerEEE10hipError_tT1_T2_T3_T4_jRjT5_jjP12ihipStream_tbEUlT_E_NS1_11comp_targetILNS1_3genE10ELNS1_11target_archE1201ELNS1_3gpuE5ELNS1_3repE0EEENS1_44radix_sort_block_sort_config_static_selectorELNS0_4arch9wavefront6targetE1EEEvSH_,comdat
	.protected	_ZN7rocprim17ROCPRIM_400000_NS6detail17trampoline_kernelINS0_13kernel_configILj256ELj4ELj4294967295EEENS1_37radix_sort_block_sort_config_selectorIddEEZNS1_21radix_sort_block_sortIS4_Lb0EN6thrust23THRUST_200600_302600_NS6detail15normal_iteratorINS9_10device_ptrIdEEEESE_SE_SE_NS0_19identity_decomposerEEE10hipError_tT1_T2_T3_T4_jRjT5_jjP12ihipStream_tbEUlT_E_NS1_11comp_targetILNS1_3genE10ELNS1_11target_archE1201ELNS1_3gpuE5ELNS1_3repE0EEENS1_44radix_sort_block_sort_config_static_selectorELNS0_4arch9wavefront6targetE1EEEvSH_ ; -- Begin function _ZN7rocprim17ROCPRIM_400000_NS6detail17trampoline_kernelINS0_13kernel_configILj256ELj4ELj4294967295EEENS1_37radix_sort_block_sort_config_selectorIddEEZNS1_21radix_sort_block_sortIS4_Lb0EN6thrust23THRUST_200600_302600_NS6detail15normal_iteratorINS9_10device_ptrIdEEEESE_SE_SE_NS0_19identity_decomposerEEE10hipError_tT1_T2_T3_T4_jRjT5_jjP12ihipStream_tbEUlT_E_NS1_11comp_targetILNS1_3genE10ELNS1_11target_archE1201ELNS1_3gpuE5ELNS1_3repE0EEENS1_44radix_sort_block_sort_config_static_selectorELNS0_4arch9wavefront6targetE1EEEvSH_
	.globl	_ZN7rocprim17ROCPRIM_400000_NS6detail17trampoline_kernelINS0_13kernel_configILj256ELj4ELj4294967295EEENS1_37radix_sort_block_sort_config_selectorIddEEZNS1_21radix_sort_block_sortIS4_Lb0EN6thrust23THRUST_200600_302600_NS6detail15normal_iteratorINS9_10device_ptrIdEEEESE_SE_SE_NS0_19identity_decomposerEEE10hipError_tT1_T2_T3_T4_jRjT5_jjP12ihipStream_tbEUlT_E_NS1_11comp_targetILNS1_3genE10ELNS1_11target_archE1201ELNS1_3gpuE5ELNS1_3repE0EEENS1_44radix_sort_block_sort_config_static_selectorELNS0_4arch9wavefront6targetE1EEEvSH_
	.p2align	8
	.type	_ZN7rocprim17ROCPRIM_400000_NS6detail17trampoline_kernelINS0_13kernel_configILj256ELj4ELj4294967295EEENS1_37radix_sort_block_sort_config_selectorIddEEZNS1_21radix_sort_block_sortIS4_Lb0EN6thrust23THRUST_200600_302600_NS6detail15normal_iteratorINS9_10device_ptrIdEEEESE_SE_SE_NS0_19identity_decomposerEEE10hipError_tT1_T2_T3_T4_jRjT5_jjP12ihipStream_tbEUlT_E_NS1_11comp_targetILNS1_3genE10ELNS1_11target_archE1201ELNS1_3gpuE5ELNS1_3repE0EEENS1_44radix_sort_block_sort_config_static_selectorELNS0_4arch9wavefront6targetE1EEEvSH_,@function
_ZN7rocprim17ROCPRIM_400000_NS6detail17trampoline_kernelINS0_13kernel_configILj256ELj4ELj4294967295EEENS1_37radix_sort_block_sort_config_selectorIddEEZNS1_21radix_sort_block_sortIS4_Lb0EN6thrust23THRUST_200600_302600_NS6detail15normal_iteratorINS9_10device_ptrIdEEEESE_SE_SE_NS0_19identity_decomposerEEE10hipError_tT1_T2_T3_T4_jRjT5_jjP12ihipStream_tbEUlT_E_NS1_11comp_targetILNS1_3genE10ELNS1_11target_archE1201ELNS1_3gpuE5ELNS1_3repE0EEENS1_44radix_sort_block_sort_config_static_selectorELNS0_4arch9wavefront6targetE1EEEvSH_: ; @_ZN7rocprim17ROCPRIM_400000_NS6detail17trampoline_kernelINS0_13kernel_configILj256ELj4ELj4294967295EEENS1_37radix_sort_block_sort_config_selectorIddEEZNS1_21radix_sort_block_sortIS4_Lb0EN6thrust23THRUST_200600_302600_NS6detail15normal_iteratorINS9_10device_ptrIdEEEESE_SE_SE_NS0_19identity_decomposerEEE10hipError_tT1_T2_T3_T4_jRjT5_jjP12ihipStream_tbEUlT_E_NS1_11comp_targetILNS1_3genE10ELNS1_11target_archE1201ELNS1_3gpuE5ELNS1_3repE0EEENS1_44radix_sort_block_sort_config_static_selectorELNS0_4arch9wavefront6targetE1EEEvSH_
; %bb.0:
	.section	.rodata,"a",@progbits
	.p2align	6, 0x0
	.amdhsa_kernel _ZN7rocprim17ROCPRIM_400000_NS6detail17trampoline_kernelINS0_13kernel_configILj256ELj4ELj4294967295EEENS1_37radix_sort_block_sort_config_selectorIddEEZNS1_21radix_sort_block_sortIS4_Lb0EN6thrust23THRUST_200600_302600_NS6detail15normal_iteratorINS9_10device_ptrIdEEEESE_SE_SE_NS0_19identity_decomposerEEE10hipError_tT1_T2_T3_T4_jRjT5_jjP12ihipStream_tbEUlT_E_NS1_11comp_targetILNS1_3genE10ELNS1_11target_archE1201ELNS1_3gpuE5ELNS1_3repE0EEENS1_44radix_sort_block_sort_config_static_selectorELNS0_4arch9wavefront6targetE1EEEvSH_
		.amdhsa_group_segment_fixed_size 0
		.amdhsa_private_segment_fixed_size 0
		.amdhsa_kernarg_size 48
		.amdhsa_user_sgpr_count 2
		.amdhsa_user_sgpr_dispatch_ptr 0
		.amdhsa_user_sgpr_queue_ptr 0
		.amdhsa_user_sgpr_kernarg_segment_ptr 1
		.amdhsa_user_sgpr_dispatch_id 0
		.amdhsa_user_sgpr_kernarg_preload_length 0
		.amdhsa_user_sgpr_kernarg_preload_offset 0
		.amdhsa_user_sgpr_private_segment_size 0
		.amdhsa_uses_dynamic_stack 0
		.amdhsa_enable_private_segment 0
		.amdhsa_system_sgpr_workgroup_id_x 1
		.amdhsa_system_sgpr_workgroup_id_y 0
		.amdhsa_system_sgpr_workgroup_id_z 0
		.amdhsa_system_sgpr_workgroup_info 0
		.amdhsa_system_vgpr_workitem_id 0
		.amdhsa_next_free_vgpr 1
		.amdhsa_next_free_sgpr 0
		.amdhsa_accum_offset 4
		.amdhsa_reserve_vcc 0
		.amdhsa_float_round_mode_32 0
		.amdhsa_float_round_mode_16_64 0
		.amdhsa_float_denorm_mode_32 3
		.amdhsa_float_denorm_mode_16_64 3
		.amdhsa_dx10_clamp 1
		.amdhsa_ieee_mode 1
		.amdhsa_fp16_overflow 0
		.amdhsa_tg_split 0
		.amdhsa_exception_fp_ieee_invalid_op 0
		.amdhsa_exception_fp_denorm_src 0
		.amdhsa_exception_fp_ieee_div_zero 0
		.amdhsa_exception_fp_ieee_overflow 0
		.amdhsa_exception_fp_ieee_underflow 0
		.amdhsa_exception_fp_ieee_inexact 0
		.amdhsa_exception_int_div_zero 0
	.end_amdhsa_kernel
	.section	.text._ZN7rocprim17ROCPRIM_400000_NS6detail17trampoline_kernelINS0_13kernel_configILj256ELj4ELj4294967295EEENS1_37radix_sort_block_sort_config_selectorIddEEZNS1_21radix_sort_block_sortIS4_Lb0EN6thrust23THRUST_200600_302600_NS6detail15normal_iteratorINS9_10device_ptrIdEEEESE_SE_SE_NS0_19identity_decomposerEEE10hipError_tT1_T2_T3_T4_jRjT5_jjP12ihipStream_tbEUlT_E_NS1_11comp_targetILNS1_3genE10ELNS1_11target_archE1201ELNS1_3gpuE5ELNS1_3repE0EEENS1_44radix_sort_block_sort_config_static_selectorELNS0_4arch9wavefront6targetE1EEEvSH_,"axG",@progbits,_ZN7rocprim17ROCPRIM_400000_NS6detail17trampoline_kernelINS0_13kernel_configILj256ELj4ELj4294967295EEENS1_37radix_sort_block_sort_config_selectorIddEEZNS1_21radix_sort_block_sortIS4_Lb0EN6thrust23THRUST_200600_302600_NS6detail15normal_iteratorINS9_10device_ptrIdEEEESE_SE_SE_NS0_19identity_decomposerEEE10hipError_tT1_T2_T3_T4_jRjT5_jjP12ihipStream_tbEUlT_E_NS1_11comp_targetILNS1_3genE10ELNS1_11target_archE1201ELNS1_3gpuE5ELNS1_3repE0EEENS1_44radix_sort_block_sort_config_static_selectorELNS0_4arch9wavefront6targetE1EEEvSH_,comdat
.Lfunc_end12:
	.size	_ZN7rocprim17ROCPRIM_400000_NS6detail17trampoline_kernelINS0_13kernel_configILj256ELj4ELj4294967295EEENS1_37radix_sort_block_sort_config_selectorIddEEZNS1_21radix_sort_block_sortIS4_Lb0EN6thrust23THRUST_200600_302600_NS6detail15normal_iteratorINS9_10device_ptrIdEEEESE_SE_SE_NS0_19identity_decomposerEEE10hipError_tT1_T2_T3_T4_jRjT5_jjP12ihipStream_tbEUlT_E_NS1_11comp_targetILNS1_3genE10ELNS1_11target_archE1201ELNS1_3gpuE5ELNS1_3repE0EEENS1_44radix_sort_block_sort_config_static_selectorELNS0_4arch9wavefront6targetE1EEEvSH_, .Lfunc_end12-_ZN7rocprim17ROCPRIM_400000_NS6detail17trampoline_kernelINS0_13kernel_configILj256ELj4ELj4294967295EEENS1_37radix_sort_block_sort_config_selectorIddEEZNS1_21radix_sort_block_sortIS4_Lb0EN6thrust23THRUST_200600_302600_NS6detail15normal_iteratorINS9_10device_ptrIdEEEESE_SE_SE_NS0_19identity_decomposerEEE10hipError_tT1_T2_T3_T4_jRjT5_jjP12ihipStream_tbEUlT_E_NS1_11comp_targetILNS1_3genE10ELNS1_11target_archE1201ELNS1_3gpuE5ELNS1_3repE0EEENS1_44radix_sort_block_sort_config_static_selectorELNS0_4arch9wavefront6targetE1EEEvSH_
                                        ; -- End function
	.set _ZN7rocprim17ROCPRIM_400000_NS6detail17trampoline_kernelINS0_13kernel_configILj256ELj4ELj4294967295EEENS1_37radix_sort_block_sort_config_selectorIddEEZNS1_21radix_sort_block_sortIS4_Lb0EN6thrust23THRUST_200600_302600_NS6detail15normal_iteratorINS9_10device_ptrIdEEEESE_SE_SE_NS0_19identity_decomposerEEE10hipError_tT1_T2_T3_T4_jRjT5_jjP12ihipStream_tbEUlT_E_NS1_11comp_targetILNS1_3genE10ELNS1_11target_archE1201ELNS1_3gpuE5ELNS1_3repE0EEENS1_44radix_sort_block_sort_config_static_selectorELNS0_4arch9wavefront6targetE1EEEvSH_.num_vgpr, 0
	.set _ZN7rocprim17ROCPRIM_400000_NS6detail17trampoline_kernelINS0_13kernel_configILj256ELj4ELj4294967295EEENS1_37radix_sort_block_sort_config_selectorIddEEZNS1_21radix_sort_block_sortIS4_Lb0EN6thrust23THRUST_200600_302600_NS6detail15normal_iteratorINS9_10device_ptrIdEEEESE_SE_SE_NS0_19identity_decomposerEEE10hipError_tT1_T2_T3_T4_jRjT5_jjP12ihipStream_tbEUlT_E_NS1_11comp_targetILNS1_3genE10ELNS1_11target_archE1201ELNS1_3gpuE5ELNS1_3repE0EEENS1_44radix_sort_block_sort_config_static_selectorELNS0_4arch9wavefront6targetE1EEEvSH_.num_agpr, 0
	.set _ZN7rocprim17ROCPRIM_400000_NS6detail17trampoline_kernelINS0_13kernel_configILj256ELj4ELj4294967295EEENS1_37radix_sort_block_sort_config_selectorIddEEZNS1_21radix_sort_block_sortIS4_Lb0EN6thrust23THRUST_200600_302600_NS6detail15normal_iteratorINS9_10device_ptrIdEEEESE_SE_SE_NS0_19identity_decomposerEEE10hipError_tT1_T2_T3_T4_jRjT5_jjP12ihipStream_tbEUlT_E_NS1_11comp_targetILNS1_3genE10ELNS1_11target_archE1201ELNS1_3gpuE5ELNS1_3repE0EEENS1_44radix_sort_block_sort_config_static_selectorELNS0_4arch9wavefront6targetE1EEEvSH_.numbered_sgpr, 0
	.set _ZN7rocprim17ROCPRIM_400000_NS6detail17trampoline_kernelINS0_13kernel_configILj256ELj4ELj4294967295EEENS1_37radix_sort_block_sort_config_selectorIddEEZNS1_21radix_sort_block_sortIS4_Lb0EN6thrust23THRUST_200600_302600_NS6detail15normal_iteratorINS9_10device_ptrIdEEEESE_SE_SE_NS0_19identity_decomposerEEE10hipError_tT1_T2_T3_T4_jRjT5_jjP12ihipStream_tbEUlT_E_NS1_11comp_targetILNS1_3genE10ELNS1_11target_archE1201ELNS1_3gpuE5ELNS1_3repE0EEENS1_44radix_sort_block_sort_config_static_selectorELNS0_4arch9wavefront6targetE1EEEvSH_.num_named_barrier, 0
	.set _ZN7rocprim17ROCPRIM_400000_NS6detail17trampoline_kernelINS0_13kernel_configILj256ELj4ELj4294967295EEENS1_37radix_sort_block_sort_config_selectorIddEEZNS1_21radix_sort_block_sortIS4_Lb0EN6thrust23THRUST_200600_302600_NS6detail15normal_iteratorINS9_10device_ptrIdEEEESE_SE_SE_NS0_19identity_decomposerEEE10hipError_tT1_T2_T3_T4_jRjT5_jjP12ihipStream_tbEUlT_E_NS1_11comp_targetILNS1_3genE10ELNS1_11target_archE1201ELNS1_3gpuE5ELNS1_3repE0EEENS1_44radix_sort_block_sort_config_static_selectorELNS0_4arch9wavefront6targetE1EEEvSH_.private_seg_size, 0
	.set _ZN7rocprim17ROCPRIM_400000_NS6detail17trampoline_kernelINS0_13kernel_configILj256ELj4ELj4294967295EEENS1_37radix_sort_block_sort_config_selectorIddEEZNS1_21radix_sort_block_sortIS4_Lb0EN6thrust23THRUST_200600_302600_NS6detail15normal_iteratorINS9_10device_ptrIdEEEESE_SE_SE_NS0_19identity_decomposerEEE10hipError_tT1_T2_T3_T4_jRjT5_jjP12ihipStream_tbEUlT_E_NS1_11comp_targetILNS1_3genE10ELNS1_11target_archE1201ELNS1_3gpuE5ELNS1_3repE0EEENS1_44radix_sort_block_sort_config_static_selectorELNS0_4arch9wavefront6targetE1EEEvSH_.uses_vcc, 0
	.set _ZN7rocprim17ROCPRIM_400000_NS6detail17trampoline_kernelINS0_13kernel_configILj256ELj4ELj4294967295EEENS1_37radix_sort_block_sort_config_selectorIddEEZNS1_21radix_sort_block_sortIS4_Lb0EN6thrust23THRUST_200600_302600_NS6detail15normal_iteratorINS9_10device_ptrIdEEEESE_SE_SE_NS0_19identity_decomposerEEE10hipError_tT1_T2_T3_T4_jRjT5_jjP12ihipStream_tbEUlT_E_NS1_11comp_targetILNS1_3genE10ELNS1_11target_archE1201ELNS1_3gpuE5ELNS1_3repE0EEENS1_44radix_sort_block_sort_config_static_selectorELNS0_4arch9wavefront6targetE1EEEvSH_.uses_flat_scratch, 0
	.set _ZN7rocprim17ROCPRIM_400000_NS6detail17trampoline_kernelINS0_13kernel_configILj256ELj4ELj4294967295EEENS1_37radix_sort_block_sort_config_selectorIddEEZNS1_21radix_sort_block_sortIS4_Lb0EN6thrust23THRUST_200600_302600_NS6detail15normal_iteratorINS9_10device_ptrIdEEEESE_SE_SE_NS0_19identity_decomposerEEE10hipError_tT1_T2_T3_T4_jRjT5_jjP12ihipStream_tbEUlT_E_NS1_11comp_targetILNS1_3genE10ELNS1_11target_archE1201ELNS1_3gpuE5ELNS1_3repE0EEENS1_44radix_sort_block_sort_config_static_selectorELNS0_4arch9wavefront6targetE1EEEvSH_.has_dyn_sized_stack, 0
	.set _ZN7rocprim17ROCPRIM_400000_NS6detail17trampoline_kernelINS0_13kernel_configILj256ELj4ELj4294967295EEENS1_37radix_sort_block_sort_config_selectorIddEEZNS1_21radix_sort_block_sortIS4_Lb0EN6thrust23THRUST_200600_302600_NS6detail15normal_iteratorINS9_10device_ptrIdEEEESE_SE_SE_NS0_19identity_decomposerEEE10hipError_tT1_T2_T3_T4_jRjT5_jjP12ihipStream_tbEUlT_E_NS1_11comp_targetILNS1_3genE10ELNS1_11target_archE1201ELNS1_3gpuE5ELNS1_3repE0EEENS1_44radix_sort_block_sort_config_static_selectorELNS0_4arch9wavefront6targetE1EEEvSH_.has_recursion, 0
	.set _ZN7rocprim17ROCPRIM_400000_NS6detail17trampoline_kernelINS0_13kernel_configILj256ELj4ELj4294967295EEENS1_37radix_sort_block_sort_config_selectorIddEEZNS1_21radix_sort_block_sortIS4_Lb0EN6thrust23THRUST_200600_302600_NS6detail15normal_iteratorINS9_10device_ptrIdEEEESE_SE_SE_NS0_19identity_decomposerEEE10hipError_tT1_T2_T3_T4_jRjT5_jjP12ihipStream_tbEUlT_E_NS1_11comp_targetILNS1_3genE10ELNS1_11target_archE1201ELNS1_3gpuE5ELNS1_3repE0EEENS1_44radix_sort_block_sort_config_static_selectorELNS0_4arch9wavefront6targetE1EEEvSH_.has_indirect_call, 0
	.section	.AMDGPU.csdata,"",@progbits
; Kernel info:
; codeLenInByte = 0
; TotalNumSgprs: 6
; NumVgprs: 0
; NumAgprs: 0
; TotalNumVgprs: 0
; ScratchSize: 0
; MemoryBound: 0
; FloatMode: 240
; IeeeMode: 1
; LDSByteSize: 0 bytes/workgroup (compile time only)
; SGPRBlocks: 0
; VGPRBlocks: 0
; NumSGPRsForWavesPerEU: 6
; NumVGPRsForWavesPerEU: 1
; AccumOffset: 4
; Occupancy: 8
; WaveLimiterHint : 0
; COMPUTE_PGM_RSRC2:SCRATCH_EN: 0
; COMPUTE_PGM_RSRC2:USER_SGPR: 2
; COMPUTE_PGM_RSRC2:TRAP_HANDLER: 0
; COMPUTE_PGM_RSRC2:TGID_X_EN: 1
; COMPUTE_PGM_RSRC2:TGID_Y_EN: 0
; COMPUTE_PGM_RSRC2:TGID_Z_EN: 0
; COMPUTE_PGM_RSRC2:TIDIG_COMP_CNT: 0
; COMPUTE_PGM_RSRC3_GFX90A:ACCUM_OFFSET: 0
; COMPUTE_PGM_RSRC3_GFX90A:TG_SPLIT: 0
	.section	.text._ZN7rocprim17ROCPRIM_400000_NS6detail17trampoline_kernelINS0_13kernel_configILj256ELj4ELj4294967295EEENS1_37radix_sort_block_sort_config_selectorIddEEZNS1_21radix_sort_block_sortIS4_Lb0EN6thrust23THRUST_200600_302600_NS6detail15normal_iteratorINS9_10device_ptrIdEEEESE_SE_SE_NS0_19identity_decomposerEEE10hipError_tT1_T2_T3_T4_jRjT5_jjP12ihipStream_tbEUlT_E_NS1_11comp_targetILNS1_3genE10ELNS1_11target_archE1200ELNS1_3gpuE4ELNS1_3repE0EEENS1_44radix_sort_block_sort_config_static_selectorELNS0_4arch9wavefront6targetE1EEEvSH_,"axG",@progbits,_ZN7rocprim17ROCPRIM_400000_NS6detail17trampoline_kernelINS0_13kernel_configILj256ELj4ELj4294967295EEENS1_37radix_sort_block_sort_config_selectorIddEEZNS1_21radix_sort_block_sortIS4_Lb0EN6thrust23THRUST_200600_302600_NS6detail15normal_iteratorINS9_10device_ptrIdEEEESE_SE_SE_NS0_19identity_decomposerEEE10hipError_tT1_T2_T3_T4_jRjT5_jjP12ihipStream_tbEUlT_E_NS1_11comp_targetILNS1_3genE10ELNS1_11target_archE1200ELNS1_3gpuE4ELNS1_3repE0EEENS1_44radix_sort_block_sort_config_static_selectorELNS0_4arch9wavefront6targetE1EEEvSH_,comdat
	.protected	_ZN7rocprim17ROCPRIM_400000_NS6detail17trampoline_kernelINS0_13kernel_configILj256ELj4ELj4294967295EEENS1_37radix_sort_block_sort_config_selectorIddEEZNS1_21radix_sort_block_sortIS4_Lb0EN6thrust23THRUST_200600_302600_NS6detail15normal_iteratorINS9_10device_ptrIdEEEESE_SE_SE_NS0_19identity_decomposerEEE10hipError_tT1_T2_T3_T4_jRjT5_jjP12ihipStream_tbEUlT_E_NS1_11comp_targetILNS1_3genE10ELNS1_11target_archE1200ELNS1_3gpuE4ELNS1_3repE0EEENS1_44radix_sort_block_sort_config_static_selectorELNS0_4arch9wavefront6targetE1EEEvSH_ ; -- Begin function _ZN7rocprim17ROCPRIM_400000_NS6detail17trampoline_kernelINS0_13kernel_configILj256ELj4ELj4294967295EEENS1_37radix_sort_block_sort_config_selectorIddEEZNS1_21radix_sort_block_sortIS4_Lb0EN6thrust23THRUST_200600_302600_NS6detail15normal_iteratorINS9_10device_ptrIdEEEESE_SE_SE_NS0_19identity_decomposerEEE10hipError_tT1_T2_T3_T4_jRjT5_jjP12ihipStream_tbEUlT_E_NS1_11comp_targetILNS1_3genE10ELNS1_11target_archE1200ELNS1_3gpuE4ELNS1_3repE0EEENS1_44radix_sort_block_sort_config_static_selectorELNS0_4arch9wavefront6targetE1EEEvSH_
	.globl	_ZN7rocprim17ROCPRIM_400000_NS6detail17trampoline_kernelINS0_13kernel_configILj256ELj4ELj4294967295EEENS1_37radix_sort_block_sort_config_selectorIddEEZNS1_21radix_sort_block_sortIS4_Lb0EN6thrust23THRUST_200600_302600_NS6detail15normal_iteratorINS9_10device_ptrIdEEEESE_SE_SE_NS0_19identity_decomposerEEE10hipError_tT1_T2_T3_T4_jRjT5_jjP12ihipStream_tbEUlT_E_NS1_11comp_targetILNS1_3genE10ELNS1_11target_archE1200ELNS1_3gpuE4ELNS1_3repE0EEENS1_44radix_sort_block_sort_config_static_selectorELNS0_4arch9wavefront6targetE1EEEvSH_
	.p2align	8
	.type	_ZN7rocprim17ROCPRIM_400000_NS6detail17trampoline_kernelINS0_13kernel_configILj256ELj4ELj4294967295EEENS1_37radix_sort_block_sort_config_selectorIddEEZNS1_21radix_sort_block_sortIS4_Lb0EN6thrust23THRUST_200600_302600_NS6detail15normal_iteratorINS9_10device_ptrIdEEEESE_SE_SE_NS0_19identity_decomposerEEE10hipError_tT1_T2_T3_T4_jRjT5_jjP12ihipStream_tbEUlT_E_NS1_11comp_targetILNS1_3genE10ELNS1_11target_archE1200ELNS1_3gpuE4ELNS1_3repE0EEENS1_44radix_sort_block_sort_config_static_selectorELNS0_4arch9wavefront6targetE1EEEvSH_,@function
_ZN7rocprim17ROCPRIM_400000_NS6detail17trampoline_kernelINS0_13kernel_configILj256ELj4ELj4294967295EEENS1_37radix_sort_block_sort_config_selectorIddEEZNS1_21radix_sort_block_sortIS4_Lb0EN6thrust23THRUST_200600_302600_NS6detail15normal_iteratorINS9_10device_ptrIdEEEESE_SE_SE_NS0_19identity_decomposerEEE10hipError_tT1_T2_T3_T4_jRjT5_jjP12ihipStream_tbEUlT_E_NS1_11comp_targetILNS1_3genE10ELNS1_11target_archE1200ELNS1_3gpuE4ELNS1_3repE0EEENS1_44radix_sort_block_sort_config_static_selectorELNS0_4arch9wavefront6targetE1EEEvSH_: ; @_ZN7rocprim17ROCPRIM_400000_NS6detail17trampoline_kernelINS0_13kernel_configILj256ELj4ELj4294967295EEENS1_37radix_sort_block_sort_config_selectorIddEEZNS1_21radix_sort_block_sortIS4_Lb0EN6thrust23THRUST_200600_302600_NS6detail15normal_iteratorINS9_10device_ptrIdEEEESE_SE_SE_NS0_19identity_decomposerEEE10hipError_tT1_T2_T3_T4_jRjT5_jjP12ihipStream_tbEUlT_E_NS1_11comp_targetILNS1_3genE10ELNS1_11target_archE1200ELNS1_3gpuE4ELNS1_3repE0EEENS1_44radix_sort_block_sort_config_static_selectorELNS0_4arch9wavefront6targetE1EEEvSH_
; %bb.0:
	.section	.rodata,"a",@progbits
	.p2align	6, 0x0
	.amdhsa_kernel _ZN7rocprim17ROCPRIM_400000_NS6detail17trampoline_kernelINS0_13kernel_configILj256ELj4ELj4294967295EEENS1_37radix_sort_block_sort_config_selectorIddEEZNS1_21radix_sort_block_sortIS4_Lb0EN6thrust23THRUST_200600_302600_NS6detail15normal_iteratorINS9_10device_ptrIdEEEESE_SE_SE_NS0_19identity_decomposerEEE10hipError_tT1_T2_T3_T4_jRjT5_jjP12ihipStream_tbEUlT_E_NS1_11comp_targetILNS1_3genE10ELNS1_11target_archE1200ELNS1_3gpuE4ELNS1_3repE0EEENS1_44radix_sort_block_sort_config_static_selectorELNS0_4arch9wavefront6targetE1EEEvSH_
		.amdhsa_group_segment_fixed_size 0
		.amdhsa_private_segment_fixed_size 0
		.amdhsa_kernarg_size 48
		.amdhsa_user_sgpr_count 2
		.amdhsa_user_sgpr_dispatch_ptr 0
		.amdhsa_user_sgpr_queue_ptr 0
		.amdhsa_user_sgpr_kernarg_segment_ptr 1
		.amdhsa_user_sgpr_dispatch_id 0
		.amdhsa_user_sgpr_kernarg_preload_length 0
		.amdhsa_user_sgpr_kernarg_preload_offset 0
		.amdhsa_user_sgpr_private_segment_size 0
		.amdhsa_uses_dynamic_stack 0
		.amdhsa_enable_private_segment 0
		.amdhsa_system_sgpr_workgroup_id_x 1
		.amdhsa_system_sgpr_workgroup_id_y 0
		.amdhsa_system_sgpr_workgroup_id_z 0
		.amdhsa_system_sgpr_workgroup_info 0
		.amdhsa_system_vgpr_workitem_id 0
		.amdhsa_next_free_vgpr 1
		.amdhsa_next_free_sgpr 0
		.amdhsa_accum_offset 4
		.amdhsa_reserve_vcc 0
		.amdhsa_float_round_mode_32 0
		.amdhsa_float_round_mode_16_64 0
		.amdhsa_float_denorm_mode_32 3
		.amdhsa_float_denorm_mode_16_64 3
		.amdhsa_dx10_clamp 1
		.amdhsa_ieee_mode 1
		.amdhsa_fp16_overflow 0
		.amdhsa_tg_split 0
		.amdhsa_exception_fp_ieee_invalid_op 0
		.amdhsa_exception_fp_denorm_src 0
		.amdhsa_exception_fp_ieee_div_zero 0
		.amdhsa_exception_fp_ieee_overflow 0
		.amdhsa_exception_fp_ieee_underflow 0
		.amdhsa_exception_fp_ieee_inexact 0
		.amdhsa_exception_int_div_zero 0
	.end_amdhsa_kernel
	.section	.text._ZN7rocprim17ROCPRIM_400000_NS6detail17trampoline_kernelINS0_13kernel_configILj256ELj4ELj4294967295EEENS1_37radix_sort_block_sort_config_selectorIddEEZNS1_21radix_sort_block_sortIS4_Lb0EN6thrust23THRUST_200600_302600_NS6detail15normal_iteratorINS9_10device_ptrIdEEEESE_SE_SE_NS0_19identity_decomposerEEE10hipError_tT1_T2_T3_T4_jRjT5_jjP12ihipStream_tbEUlT_E_NS1_11comp_targetILNS1_3genE10ELNS1_11target_archE1200ELNS1_3gpuE4ELNS1_3repE0EEENS1_44radix_sort_block_sort_config_static_selectorELNS0_4arch9wavefront6targetE1EEEvSH_,"axG",@progbits,_ZN7rocprim17ROCPRIM_400000_NS6detail17trampoline_kernelINS0_13kernel_configILj256ELj4ELj4294967295EEENS1_37radix_sort_block_sort_config_selectorIddEEZNS1_21radix_sort_block_sortIS4_Lb0EN6thrust23THRUST_200600_302600_NS6detail15normal_iteratorINS9_10device_ptrIdEEEESE_SE_SE_NS0_19identity_decomposerEEE10hipError_tT1_T2_T3_T4_jRjT5_jjP12ihipStream_tbEUlT_E_NS1_11comp_targetILNS1_3genE10ELNS1_11target_archE1200ELNS1_3gpuE4ELNS1_3repE0EEENS1_44radix_sort_block_sort_config_static_selectorELNS0_4arch9wavefront6targetE1EEEvSH_,comdat
.Lfunc_end13:
	.size	_ZN7rocprim17ROCPRIM_400000_NS6detail17trampoline_kernelINS0_13kernel_configILj256ELj4ELj4294967295EEENS1_37radix_sort_block_sort_config_selectorIddEEZNS1_21radix_sort_block_sortIS4_Lb0EN6thrust23THRUST_200600_302600_NS6detail15normal_iteratorINS9_10device_ptrIdEEEESE_SE_SE_NS0_19identity_decomposerEEE10hipError_tT1_T2_T3_T4_jRjT5_jjP12ihipStream_tbEUlT_E_NS1_11comp_targetILNS1_3genE10ELNS1_11target_archE1200ELNS1_3gpuE4ELNS1_3repE0EEENS1_44radix_sort_block_sort_config_static_selectorELNS0_4arch9wavefront6targetE1EEEvSH_, .Lfunc_end13-_ZN7rocprim17ROCPRIM_400000_NS6detail17trampoline_kernelINS0_13kernel_configILj256ELj4ELj4294967295EEENS1_37radix_sort_block_sort_config_selectorIddEEZNS1_21radix_sort_block_sortIS4_Lb0EN6thrust23THRUST_200600_302600_NS6detail15normal_iteratorINS9_10device_ptrIdEEEESE_SE_SE_NS0_19identity_decomposerEEE10hipError_tT1_T2_T3_T4_jRjT5_jjP12ihipStream_tbEUlT_E_NS1_11comp_targetILNS1_3genE10ELNS1_11target_archE1200ELNS1_3gpuE4ELNS1_3repE0EEENS1_44radix_sort_block_sort_config_static_selectorELNS0_4arch9wavefront6targetE1EEEvSH_
                                        ; -- End function
	.set _ZN7rocprim17ROCPRIM_400000_NS6detail17trampoline_kernelINS0_13kernel_configILj256ELj4ELj4294967295EEENS1_37radix_sort_block_sort_config_selectorIddEEZNS1_21radix_sort_block_sortIS4_Lb0EN6thrust23THRUST_200600_302600_NS6detail15normal_iteratorINS9_10device_ptrIdEEEESE_SE_SE_NS0_19identity_decomposerEEE10hipError_tT1_T2_T3_T4_jRjT5_jjP12ihipStream_tbEUlT_E_NS1_11comp_targetILNS1_3genE10ELNS1_11target_archE1200ELNS1_3gpuE4ELNS1_3repE0EEENS1_44radix_sort_block_sort_config_static_selectorELNS0_4arch9wavefront6targetE1EEEvSH_.num_vgpr, 0
	.set _ZN7rocprim17ROCPRIM_400000_NS6detail17trampoline_kernelINS0_13kernel_configILj256ELj4ELj4294967295EEENS1_37radix_sort_block_sort_config_selectorIddEEZNS1_21radix_sort_block_sortIS4_Lb0EN6thrust23THRUST_200600_302600_NS6detail15normal_iteratorINS9_10device_ptrIdEEEESE_SE_SE_NS0_19identity_decomposerEEE10hipError_tT1_T2_T3_T4_jRjT5_jjP12ihipStream_tbEUlT_E_NS1_11comp_targetILNS1_3genE10ELNS1_11target_archE1200ELNS1_3gpuE4ELNS1_3repE0EEENS1_44radix_sort_block_sort_config_static_selectorELNS0_4arch9wavefront6targetE1EEEvSH_.num_agpr, 0
	.set _ZN7rocprim17ROCPRIM_400000_NS6detail17trampoline_kernelINS0_13kernel_configILj256ELj4ELj4294967295EEENS1_37radix_sort_block_sort_config_selectorIddEEZNS1_21radix_sort_block_sortIS4_Lb0EN6thrust23THRUST_200600_302600_NS6detail15normal_iteratorINS9_10device_ptrIdEEEESE_SE_SE_NS0_19identity_decomposerEEE10hipError_tT1_T2_T3_T4_jRjT5_jjP12ihipStream_tbEUlT_E_NS1_11comp_targetILNS1_3genE10ELNS1_11target_archE1200ELNS1_3gpuE4ELNS1_3repE0EEENS1_44radix_sort_block_sort_config_static_selectorELNS0_4arch9wavefront6targetE1EEEvSH_.numbered_sgpr, 0
	.set _ZN7rocprim17ROCPRIM_400000_NS6detail17trampoline_kernelINS0_13kernel_configILj256ELj4ELj4294967295EEENS1_37radix_sort_block_sort_config_selectorIddEEZNS1_21radix_sort_block_sortIS4_Lb0EN6thrust23THRUST_200600_302600_NS6detail15normal_iteratorINS9_10device_ptrIdEEEESE_SE_SE_NS0_19identity_decomposerEEE10hipError_tT1_T2_T3_T4_jRjT5_jjP12ihipStream_tbEUlT_E_NS1_11comp_targetILNS1_3genE10ELNS1_11target_archE1200ELNS1_3gpuE4ELNS1_3repE0EEENS1_44radix_sort_block_sort_config_static_selectorELNS0_4arch9wavefront6targetE1EEEvSH_.num_named_barrier, 0
	.set _ZN7rocprim17ROCPRIM_400000_NS6detail17trampoline_kernelINS0_13kernel_configILj256ELj4ELj4294967295EEENS1_37radix_sort_block_sort_config_selectorIddEEZNS1_21radix_sort_block_sortIS4_Lb0EN6thrust23THRUST_200600_302600_NS6detail15normal_iteratorINS9_10device_ptrIdEEEESE_SE_SE_NS0_19identity_decomposerEEE10hipError_tT1_T2_T3_T4_jRjT5_jjP12ihipStream_tbEUlT_E_NS1_11comp_targetILNS1_3genE10ELNS1_11target_archE1200ELNS1_3gpuE4ELNS1_3repE0EEENS1_44radix_sort_block_sort_config_static_selectorELNS0_4arch9wavefront6targetE1EEEvSH_.private_seg_size, 0
	.set _ZN7rocprim17ROCPRIM_400000_NS6detail17trampoline_kernelINS0_13kernel_configILj256ELj4ELj4294967295EEENS1_37radix_sort_block_sort_config_selectorIddEEZNS1_21radix_sort_block_sortIS4_Lb0EN6thrust23THRUST_200600_302600_NS6detail15normal_iteratorINS9_10device_ptrIdEEEESE_SE_SE_NS0_19identity_decomposerEEE10hipError_tT1_T2_T3_T4_jRjT5_jjP12ihipStream_tbEUlT_E_NS1_11comp_targetILNS1_3genE10ELNS1_11target_archE1200ELNS1_3gpuE4ELNS1_3repE0EEENS1_44radix_sort_block_sort_config_static_selectorELNS0_4arch9wavefront6targetE1EEEvSH_.uses_vcc, 0
	.set _ZN7rocprim17ROCPRIM_400000_NS6detail17trampoline_kernelINS0_13kernel_configILj256ELj4ELj4294967295EEENS1_37radix_sort_block_sort_config_selectorIddEEZNS1_21radix_sort_block_sortIS4_Lb0EN6thrust23THRUST_200600_302600_NS6detail15normal_iteratorINS9_10device_ptrIdEEEESE_SE_SE_NS0_19identity_decomposerEEE10hipError_tT1_T2_T3_T4_jRjT5_jjP12ihipStream_tbEUlT_E_NS1_11comp_targetILNS1_3genE10ELNS1_11target_archE1200ELNS1_3gpuE4ELNS1_3repE0EEENS1_44radix_sort_block_sort_config_static_selectorELNS0_4arch9wavefront6targetE1EEEvSH_.uses_flat_scratch, 0
	.set _ZN7rocprim17ROCPRIM_400000_NS6detail17trampoline_kernelINS0_13kernel_configILj256ELj4ELj4294967295EEENS1_37radix_sort_block_sort_config_selectorIddEEZNS1_21radix_sort_block_sortIS4_Lb0EN6thrust23THRUST_200600_302600_NS6detail15normal_iteratorINS9_10device_ptrIdEEEESE_SE_SE_NS0_19identity_decomposerEEE10hipError_tT1_T2_T3_T4_jRjT5_jjP12ihipStream_tbEUlT_E_NS1_11comp_targetILNS1_3genE10ELNS1_11target_archE1200ELNS1_3gpuE4ELNS1_3repE0EEENS1_44radix_sort_block_sort_config_static_selectorELNS0_4arch9wavefront6targetE1EEEvSH_.has_dyn_sized_stack, 0
	.set _ZN7rocprim17ROCPRIM_400000_NS6detail17trampoline_kernelINS0_13kernel_configILj256ELj4ELj4294967295EEENS1_37radix_sort_block_sort_config_selectorIddEEZNS1_21radix_sort_block_sortIS4_Lb0EN6thrust23THRUST_200600_302600_NS6detail15normal_iteratorINS9_10device_ptrIdEEEESE_SE_SE_NS0_19identity_decomposerEEE10hipError_tT1_T2_T3_T4_jRjT5_jjP12ihipStream_tbEUlT_E_NS1_11comp_targetILNS1_3genE10ELNS1_11target_archE1200ELNS1_3gpuE4ELNS1_3repE0EEENS1_44radix_sort_block_sort_config_static_selectorELNS0_4arch9wavefront6targetE1EEEvSH_.has_recursion, 0
	.set _ZN7rocprim17ROCPRIM_400000_NS6detail17trampoline_kernelINS0_13kernel_configILj256ELj4ELj4294967295EEENS1_37radix_sort_block_sort_config_selectorIddEEZNS1_21radix_sort_block_sortIS4_Lb0EN6thrust23THRUST_200600_302600_NS6detail15normal_iteratorINS9_10device_ptrIdEEEESE_SE_SE_NS0_19identity_decomposerEEE10hipError_tT1_T2_T3_T4_jRjT5_jjP12ihipStream_tbEUlT_E_NS1_11comp_targetILNS1_3genE10ELNS1_11target_archE1200ELNS1_3gpuE4ELNS1_3repE0EEENS1_44radix_sort_block_sort_config_static_selectorELNS0_4arch9wavefront6targetE1EEEvSH_.has_indirect_call, 0
	.section	.AMDGPU.csdata,"",@progbits
; Kernel info:
; codeLenInByte = 0
; TotalNumSgprs: 6
; NumVgprs: 0
; NumAgprs: 0
; TotalNumVgprs: 0
; ScratchSize: 0
; MemoryBound: 0
; FloatMode: 240
; IeeeMode: 1
; LDSByteSize: 0 bytes/workgroup (compile time only)
; SGPRBlocks: 0
; VGPRBlocks: 0
; NumSGPRsForWavesPerEU: 6
; NumVGPRsForWavesPerEU: 1
; AccumOffset: 4
; Occupancy: 8
; WaveLimiterHint : 0
; COMPUTE_PGM_RSRC2:SCRATCH_EN: 0
; COMPUTE_PGM_RSRC2:USER_SGPR: 2
; COMPUTE_PGM_RSRC2:TRAP_HANDLER: 0
; COMPUTE_PGM_RSRC2:TGID_X_EN: 1
; COMPUTE_PGM_RSRC2:TGID_Y_EN: 0
; COMPUTE_PGM_RSRC2:TGID_Z_EN: 0
; COMPUTE_PGM_RSRC2:TIDIG_COMP_CNT: 0
; COMPUTE_PGM_RSRC3_GFX90A:ACCUM_OFFSET: 0
; COMPUTE_PGM_RSRC3_GFX90A:TG_SPLIT: 0
	.section	.text._ZN7rocprim17ROCPRIM_400000_NS6detail17trampoline_kernelINS0_13kernel_configILj256ELj4ELj4294967295EEENS1_37radix_sort_block_sort_config_selectorIddEEZNS1_21radix_sort_block_sortIS4_Lb0EN6thrust23THRUST_200600_302600_NS6detail15normal_iteratorINS9_10device_ptrIdEEEESE_SE_SE_NS0_19identity_decomposerEEE10hipError_tT1_T2_T3_T4_jRjT5_jjP12ihipStream_tbEUlT_E_NS1_11comp_targetILNS1_3genE9ELNS1_11target_archE1100ELNS1_3gpuE3ELNS1_3repE0EEENS1_44radix_sort_block_sort_config_static_selectorELNS0_4arch9wavefront6targetE1EEEvSH_,"axG",@progbits,_ZN7rocprim17ROCPRIM_400000_NS6detail17trampoline_kernelINS0_13kernel_configILj256ELj4ELj4294967295EEENS1_37radix_sort_block_sort_config_selectorIddEEZNS1_21radix_sort_block_sortIS4_Lb0EN6thrust23THRUST_200600_302600_NS6detail15normal_iteratorINS9_10device_ptrIdEEEESE_SE_SE_NS0_19identity_decomposerEEE10hipError_tT1_T2_T3_T4_jRjT5_jjP12ihipStream_tbEUlT_E_NS1_11comp_targetILNS1_3genE9ELNS1_11target_archE1100ELNS1_3gpuE3ELNS1_3repE0EEENS1_44radix_sort_block_sort_config_static_selectorELNS0_4arch9wavefront6targetE1EEEvSH_,comdat
	.protected	_ZN7rocprim17ROCPRIM_400000_NS6detail17trampoline_kernelINS0_13kernel_configILj256ELj4ELj4294967295EEENS1_37radix_sort_block_sort_config_selectorIddEEZNS1_21radix_sort_block_sortIS4_Lb0EN6thrust23THRUST_200600_302600_NS6detail15normal_iteratorINS9_10device_ptrIdEEEESE_SE_SE_NS0_19identity_decomposerEEE10hipError_tT1_T2_T3_T4_jRjT5_jjP12ihipStream_tbEUlT_E_NS1_11comp_targetILNS1_3genE9ELNS1_11target_archE1100ELNS1_3gpuE3ELNS1_3repE0EEENS1_44radix_sort_block_sort_config_static_selectorELNS0_4arch9wavefront6targetE1EEEvSH_ ; -- Begin function _ZN7rocprim17ROCPRIM_400000_NS6detail17trampoline_kernelINS0_13kernel_configILj256ELj4ELj4294967295EEENS1_37radix_sort_block_sort_config_selectorIddEEZNS1_21radix_sort_block_sortIS4_Lb0EN6thrust23THRUST_200600_302600_NS6detail15normal_iteratorINS9_10device_ptrIdEEEESE_SE_SE_NS0_19identity_decomposerEEE10hipError_tT1_T2_T3_T4_jRjT5_jjP12ihipStream_tbEUlT_E_NS1_11comp_targetILNS1_3genE9ELNS1_11target_archE1100ELNS1_3gpuE3ELNS1_3repE0EEENS1_44radix_sort_block_sort_config_static_selectorELNS0_4arch9wavefront6targetE1EEEvSH_
	.globl	_ZN7rocprim17ROCPRIM_400000_NS6detail17trampoline_kernelINS0_13kernel_configILj256ELj4ELj4294967295EEENS1_37radix_sort_block_sort_config_selectorIddEEZNS1_21radix_sort_block_sortIS4_Lb0EN6thrust23THRUST_200600_302600_NS6detail15normal_iteratorINS9_10device_ptrIdEEEESE_SE_SE_NS0_19identity_decomposerEEE10hipError_tT1_T2_T3_T4_jRjT5_jjP12ihipStream_tbEUlT_E_NS1_11comp_targetILNS1_3genE9ELNS1_11target_archE1100ELNS1_3gpuE3ELNS1_3repE0EEENS1_44radix_sort_block_sort_config_static_selectorELNS0_4arch9wavefront6targetE1EEEvSH_
	.p2align	8
	.type	_ZN7rocprim17ROCPRIM_400000_NS6detail17trampoline_kernelINS0_13kernel_configILj256ELj4ELj4294967295EEENS1_37radix_sort_block_sort_config_selectorIddEEZNS1_21radix_sort_block_sortIS4_Lb0EN6thrust23THRUST_200600_302600_NS6detail15normal_iteratorINS9_10device_ptrIdEEEESE_SE_SE_NS0_19identity_decomposerEEE10hipError_tT1_T2_T3_T4_jRjT5_jjP12ihipStream_tbEUlT_E_NS1_11comp_targetILNS1_3genE9ELNS1_11target_archE1100ELNS1_3gpuE3ELNS1_3repE0EEENS1_44radix_sort_block_sort_config_static_selectorELNS0_4arch9wavefront6targetE1EEEvSH_,@function
_ZN7rocprim17ROCPRIM_400000_NS6detail17trampoline_kernelINS0_13kernel_configILj256ELj4ELj4294967295EEENS1_37radix_sort_block_sort_config_selectorIddEEZNS1_21radix_sort_block_sortIS4_Lb0EN6thrust23THRUST_200600_302600_NS6detail15normal_iteratorINS9_10device_ptrIdEEEESE_SE_SE_NS0_19identity_decomposerEEE10hipError_tT1_T2_T3_T4_jRjT5_jjP12ihipStream_tbEUlT_E_NS1_11comp_targetILNS1_3genE9ELNS1_11target_archE1100ELNS1_3gpuE3ELNS1_3repE0EEENS1_44radix_sort_block_sort_config_static_selectorELNS0_4arch9wavefront6targetE1EEEvSH_: ; @_ZN7rocprim17ROCPRIM_400000_NS6detail17trampoline_kernelINS0_13kernel_configILj256ELj4ELj4294967295EEENS1_37radix_sort_block_sort_config_selectorIddEEZNS1_21radix_sort_block_sortIS4_Lb0EN6thrust23THRUST_200600_302600_NS6detail15normal_iteratorINS9_10device_ptrIdEEEESE_SE_SE_NS0_19identity_decomposerEEE10hipError_tT1_T2_T3_T4_jRjT5_jjP12ihipStream_tbEUlT_E_NS1_11comp_targetILNS1_3genE9ELNS1_11target_archE1100ELNS1_3gpuE3ELNS1_3repE0EEENS1_44radix_sort_block_sort_config_static_selectorELNS0_4arch9wavefront6targetE1EEEvSH_
; %bb.0:
	.section	.rodata,"a",@progbits
	.p2align	6, 0x0
	.amdhsa_kernel _ZN7rocprim17ROCPRIM_400000_NS6detail17trampoline_kernelINS0_13kernel_configILj256ELj4ELj4294967295EEENS1_37radix_sort_block_sort_config_selectorIddEEZNS1_21radix_sort_block_sortIS4_Lb0EN6thrust23THRUST_200600_302600_NS6detail15normal_iteratorINS9_10device_ptrIdEEEESE_SE_SE_NS0_19identity_decomposerEEE10hipError_tT1_T2_T3_T4_jRjT5_jjP12ihipStream_tbEUlT_E_NS1_11comp_targetILNS1_3genE9ELNS1_11target_archE1100ELNS1_3gpuE3ELNS1_3repE0EEENS1_44radix_sort_block_sort_config_static_selectorELNS0_4arch9wavefront6targetE1EEEvSH_
		.amdhsa_group_segment_fixed_size 0
		.amdhsa_private_segment_fixed_size 0
		.amdhsa_kernarg_size 48
		.amdhsa_user_sgpr_count 2
		.amdhsa_user_sgpr_dispatch_ptr 0
		.amdhsa_user_sgpr_queue_ptr 0
		.amdhsa_user_sgpr_kernarg_segment_ptr 1
		.amdhsa_user_sgpr_dispatch_id 0
		.amdhsa_user_sgpr_kernarg_preload_length 0
		.amdhsa_user_sgpr_kernarg_preload_offset 0
		.amdhsa_user_sgpr_private_segment_size 0
		.amdhsa_uses_dynamic_stack 0
		.amdhsa_enable_private_segment 0
		.amdhsa_system_sgpr_workgroup_id_x 1
		.amdhsa_system_sgpr_workgroup_id_y 0
		.amdhsa_system_sgpr_workgroup_id_z 0
		.amdhsa_system_sgpr_workgroup_info 0
		.amdhsa_system_vgpr_workitem_id 0
		.amdhsa_next_free_vgpr 1
		.amdhsa_next_free_sgpr 0
		.amdhsa_accum_offset 4
		.amdhsa_reserve_vcc 0
		.amdhsa_float_round_mode_32 0
		.amdhsa_float_round_mode_16_64 0
		.amdhsa_float_denorm_mode_32 3
		.amdhsa_float_denorm_mode_16_64 3
		.amdhsa_dx10_clamp 1
		.amdhsa_ieee_mode 1
		.amdhsa_fp16_overflow 0
		.amdhsa_tg_split 0
		.amdhsa_exception_fp_ieee_invalid_op 0
		.amdhsa_exception_fp_denorm_src 0
		.amdhsa_exception_fp_ieee_div_zero 0
		.amdhsa_exception_fp_ieee_overflow 0
		.amdhsa_exception_fp_ieee_underflow 0
		.amdhsa_exception_fp_ieee_inexact 0
		.amdhsa_exception_int_div_zero 0
	.end_amdhsa_kernel
	.section	.text._ZN7rocprim17ROCPRIM_400000_NS6detail17trampoline_kernelINS0_13kernel_configILj256ELj4ELj4294967295EEENS1_37radix_sort_block_sort_config_selectorIddEEZNS1_21radix_sort_block_sortIS4_Lb0EN6thrust23THRUST_200600_302600_NS6detail15normal_iteratorINS9_10device_ptrIdEEEESE_SE_SE_NS0_19identity_decomposerEEE10hipError_tT1_T2_T3_T4_jRjT5_jjP12ihipStream_tbEUlT_E_NS1_11comp_targetILNS1_3genE9ELNS1_11target_archE1100ELNS1_3gpuE3ELNS1_3repE0EEENS1_44radix_sort_block_sort_config_static_selectorELNS0_4arch9wavefront6targetE1EEEvSH_,"axG",@progbits,_ZN7rocprim17ROCPRIM_400000_NS6detail17trampoline_kernelINS0_13kernel_configILj256ELj4ELj4294967295EEENS1_37radix_sort_block_sort_config_selectorIddEEZNS1_21radix_sort_block_sortIS4_Lb0EN6thrust23THRUST_200600_302600_NS6detail15normal_iteratorINS9_10device_ptrIdEEEESE_SE_SE_NS0_19identity_decomposerEEE10hipError_tT1_T2_T3_T4_jRjT5_jjP12ihipStream_tbEUlT_E_NS1_11comp_targetILNS1_3genE9ELNS1_11target_archE1100ELNS1_3gpuE3ELNS1_3repE0EEENS1_44radix_sort_block_sort_config_static_selectorELNS0_4arch9wavefront6targetE1EEEvSH_,comdat
.Lfunc_end14:
	.size	_ZN7rocprim17ROCPRIM_400000_NS6detail17trampoline_kernelINS0_13kernel_configILj256ELj4ELj4294967295EEENS1_37radix_sort_block_sort_config_selectorIddEEZNS1_21radix_sort_block_sortIS4_Lb0EN6thrust23THRUST_200600_302600_NS6detail15normal_iteratorINS9_10device_ptrIdEEEESE_SE_SE_NS0_19identity_decomposerEEE10hipError_tT1_T2_T3_T4_jRjT5_jjP12ihipStream_tbEUlT_E_NS1_11comp_targetILNS1_3genE9ELNS1_11target_archE1100ELNS1_3gpuE3ELNS1_3repE0EEENS1_44radix_sort_block_sort_config_static_selectorELNS0_4arch9wavefront6targetE1EEEvSH_, .Lfunc_end14-_ZN7rocprim17ROCPRIM_400000_NS6detail17trampoline_kernelINS0_13kernel_configILj256ELj4ELj4294967295EEENS1_37radix_sort_block_sort_config_selectorIddEEZNS1_21radix_sort_block_sortIS4_Lb0EN6thrust23THRUST_200600_302600_NS6detail15normal_iteratorINS9_10device_ptrIdEEEESE_SE_SE_NS0_19identity_decomposerEEE10hipError_tT1_T2_T3_T4_jRjT5_jjP12ihipStream_tbEUlT_E_NS1_11comp_targetILNS1_3genE9ELNS1_11target_archE1100ELNS1_3gpuE3ELNS1_3repE0EEENS1_44radix_sort_block_sort_config_static_selectorELNS0_4arch9wavefront6targetE1EEEvSH_
                                        ; -- End function
	.set _ZN7rocprim17ROCPRIM_400000_NS6detail17trampoline_kernelINS0_13kernel_configILj256ELj4ELj4294967295EEENS1_37radix_sort_block_sort_config_selectorIddEEZNS1_21radix_sort_block_sortIS4_Lb0EN6thrust23THRUST_200600_302600_NS6detail15normal_iteratorINS9_10device_ptrIdEEEESE_SE_SE_NS0_19identity_decomposerEEE10hipError_tT1_T2_T3_T4_jRjT5_jjP12ihipStream_tbEUlT_E_NS1_11comp_targetILNS1_3genE9ELNS1_11target_archE1100ELNS1_3gpuE3ELNS1_3repE0EEENS1_44radix_sort_block_sort_config_static_selectorELNS0_4arch9wavefront6targetE1EEEvSH_.num_vgpr, 0
	.set _ZN7rocprim17ROCPRIM_400000_NS6detail17trampoline_kernelINS0_13kernel_configILj256ELj4ELj4294967295EEENS1_37radix_sort_block_sort_config_selectorIddEEZNS1_21radix_sort_block_sortIS4_Lb0EN6thrust23THRUST_200600_302600_NS6detail15normal_iteratorINS9_10device_ptrIdEEEESE_SE_SE_NS0_19identity_decomposerEEE10hipError_tT1_T2_T3_T4_jRjT5_jjP12ihipStream_tbEUlT_E_NS1_11comp_targetILNS1_3genE9ELNS1_11target_archE1100ELNS1_3gpuE3ELNS1_3repE0EEENS1_44radix_sort_block_sort_config_static_selectorELNS0_4arch9wavefront6targetE1EEEvSH_.num_agpr, 0
	.set _ZN7rocprim17ROCPRIM_400000_NS6detail17trampoline_kernelINS0_13kernel_configILj256ELj4ELj4294967295EEENS1_37radix_sort_block_sort_config_selectorIddEEZNS1_21radix_sort_block_sortIS4_Lb0EN6thrust23THRUST_200600_302600_NS6detail15normal_iteratorINS9_10device_ptrIdEEEESE_SE_SE_NS0_19identity_decomposerEEE10hipError_tT1_T2_T3_T4_jRjT5_jjP12ihipStream_tbEUlT_E_NS1_11comp_targetILNS1_3genE9ELNS1_11target_archE1100ELNS1_3gpuE3ELNS1_3repE0EEENS1_44radix_sort_block_sort_config_static_selectorELNS0_4arch9wavefront6targetE1EEEvSH_.numbered_sgpr, 0
	.set _ZN7rocprim17ROCPRIM_400000_NS6detail17trampoline_kernelINS0_13kernel_configILj256ELj4ELj4294967295EEENS1_37radix_sort_block_sort_config_selectorIddEEZNS1_21radix_sort_block_sortIS4_Lb0EN6thrust23THRUST_200600_302600_NS6detail15normal_iteratorINS9_10device_ptrIdEEEESE_SE_SE_NS0_19identity_decomposerEEE10hipError_tT1_T2_T3_T4_jRjT5_jjP12ihipStream_tbEUlT_E_NS1_11comp_targetILNS1_3genE9ELNS1_11target_archE1100ELNS1_3gpuE3ELNS1_3repE0EEENS1_44radix_sort_block_sort_config_static_selectorELNS0_4arch9wavefront6targetE1EEEvSH_.num_named_barrier, 0
	.set _ZN7rocprim17ROCPRIM_400000_NS6detail17trampoline_kernelINS0_13kernel_configILj256ELj4ELj4294967295EEENS1_37radix_sort_block_sort_config_selectorIddEEZNS1_21radix_sort_block_sortIS4_Lb0EN6thrust23THRUST_200600_302600_NS6detail15normal_iteratorINS9_10device_ptrIdEEEESE_SE_SE_NS0_19identity_decomposerEEE10hipError_tT1_T2_T3_T4_jRjT5_jjP12ihipStream_tbEUlT_E_NS1_11comp_targetILNS1_3genE9ELNS1_11target_archE1100ELNS1_3gpuE3ELNS1_3repE0EEENS1_44radix_sort_block_sort_config_static_selectorELNS0_4arch9wavefront6targetE1EEEvSH_.private_seg_size, 0
	.set _ZN7rocprim17ROCPRIM_400000_NS6detail17trampoline_kernelINS0_13kernel_configILj256ELj4ELj4294967295EEENS1_37radix_sort_block_sort_config_selectorIddEEZNS1_21radix_sort_block_sortIS4_Lb0EN6thrust23THRUST_200600_302600_NS6detail15normal_iteratorINS9_10device_ptrIdEEEESE_SE_SE_NS0_19identity_decomposerEEE10hipError_tT1_T2_T3_T4_jRjT5_jjP12ihipStream_tbEUlT_E_NS1_11comp_targetILNS1_3genE9ELNS1_11target_archE1100ELNS1_3gpuE3ELNS1_3repE0EEENS1_44radix_sort_block_sort_config_static_selectorELNS0_4arch9wavefront6targetE1EEEvSH_.uses_vcc, 0
	.set _ZN7rocprim17ROCPRIM_400000_NS6detail17trampoline_kernelINS0_13kernel_configILj256ELj4ELj4294967295EEENS1_37radix_sort_block_sort_config_selectorIddEEZNS1_21radix_sort_block_sortIS4_Lb0EN6thrust23THRUST_200600_302600_NS6detail15normal_iteratorINS9_10device_ptrIdEEEESE_SE_SE_NS0_19identity_decomposerEEE10hipError_tT1_T2_T3_T4_jRjT5_jjP12ihipStream_tbEUlT_E_NS1_11comp_targetILNS1_3genE9ELNS1_11target_archE1100ELNS1_3gpuE3ELNS1_3repE0EEENS1_44radix_sort_block_sort_config_static_selectorELNS0_4arch9wavefront6targetE1EEEvSH_.uses_flat_scratch, 0
	.set _ZN7rocprim17ROCPRIM_400000_NS6detail17trampoline_kernelINS0_13kernel_configILj256ELj4ELj4294967295EEENS1_37radix_sort_block_sort_config_selectorIddEEZNS1_21radix_sort_block_sortIS4_Lb0EN6thrust23THRUST_200600_302600_NS6detail15normal_iteratorINS9_10device_ptrIdEEEESE_SE_SE_NS0_19identity_decomposerEEE10hipError_tT1_T2_T3_T4_jRjT5_jjP12ihipStream_tbEUlT_E_NS1_11comp_targetILNS1_3genE9ELNS1_11target_archE1100ELNS1_3gpuE3ELNS1_3repE0EEENS1_44radix_sort_block_sort_config_static_selectorELNS0_4arch9wavefront6targetE1EEEvSH_.has_dyn_sized_stack, 0
	.set _ZN7rocprim17ROCPRIM_400000_NS6detail17trampoline_kernelINS0_13kernel_configILj256ELj4ELj4294967295EEENS1_37radix_sort_block_sort_config_selectorIddEEZNS1_21radix_sort_block_sortIS4_Lb0EN6thrust23THRUST_200600_302600_NS6detail15normal_iteratorINS9_10device_ptrIdEEEESE_SE_SE_NS0_19identity_decomposerEEE10hipError_tT1_T2_T3_T4_jRjT5_jjP12ihipStream_tbEUlT_E_NS1_11comp_targetILNS1_3genE9ELNS1_11target_archE1100ELNS1_3gpuE3ELNS1_3repE0EEENS1_44radix_sort_block_sort_config_static_selectorELNS0_4arch9wavefront6targetE1EEEvSH_.has_recursion, 0
	.set _ZN7rocprim17ROCPRIM_400000_NS6detail17trampoline_kernelINS0_13kernel_configILj256ELj4ELj4294967295EEENS1_37radix_sort_block_sort_config_selectorIddEEZNS1_21radix_sort_block_sortIS4_Lb0EN6thrust23THRUST_200600_302600_NS6detail15normal_iteratorINS9_10device_ptrIdEEEESE_SE_SE_NS0_19identity_decomposerEEE10hipError_tT1_T2_T3_T4_jRjT5_jjP12ihipStream_tbEUlT_E_NS1_11comp_targetILNS1_3genE9ELNS1_11target_archE1100ELNS1_3gpuE3ELNS1_3repE0EEENS1_44radix_sort_block_sort_config_static_selectorELNS0_4arch9wavefront6targetE1EEEvSH_.has_indirect_call, 0
	.section	.AMDGPU.csdata,"",@progbits
; Kernel info:
; codeLenInByte = 0
; TotalNumSgprs: 6
; NumVgprs: 0
; NumAgprs: 0
; TotalNumVgprs: 0
; ScratchSize: 0
; MemoryBound: 0
; FloatMode: 240
; IeeeMode: 1
; LDSByteSize: 0 bytes/workgroup (compile time only)
; SGPRBlocks: 0
; VGPRBlocks: 0
; NumSGPRsForWavesPerEU: 6
; NumVGPRsForWavesPerEU: 1
; AccumOffset: 4
; Occupancy: 8
; WaveLimiterHint : 0
; COMPUTE_PGM_RSRC2:SCRATCH_EN: 0
; COMPUTE_PGM_RSRC2:USER_SGPR: 2
; COMPUTE_PGM_RSRC2:TRAP_HANDLER: 0
; COMPUTE_PGM_RSRC2:TGID_X_EN: 1
; COMPUTE_PGM_RSRC2:TGID_Y_EN: 0
; COMPUTE_PGM_RSRC2:TGID_Z_EN: 0
; COMPUTE_PGM_RSRC2:TIDIG_COMP_CNT: 0
; COMPUTE_PGM_RSRC3_GFX90A:ACCUM_OFFSET: 0
; COMPUTE_PGM_RSRC3_GFX90A:TG_SPLIT: 0
	.section	.text._ZN7rocprim17ROCPRIM_400000_NS6detail17trampoline_kernelINS0_13kernel_configILj256ELj4ELj4294967295EEENS1_37radix_sort_block_sort_config_selectorIddEEZNS1_21radix_sort_block_sortIS4_Lb0EN6thrust23THRUST_200600_302600_NS6detail15normal_iteratorINS9_10device_ptrIdEEEESE_SE_SE_NS0_19identity_decomposerEEE10hipError_tT1_T2_T3_T4_jRjT5_jjP12ihipStream_tbEUlT_E_NS1_11comp_targetILNS1_3genE8ELNS1_11target_archE1030ELNS1_3gpuE2ELNS1_3repE0EEENS1_44radix_sort_block_sort_config_static_selectorELNS0_4arch9wavefront6targetE1EEEvSH_,"axG",@progbits,_ZN7rocprim17ROCPRIM_400000_NS6detail17trampoline_kernelINS0_13kernel_configILj256ELj4ELj4294967295EEENS1_37radix_sort_block_sort_config_selectorIddEEZNS1_21radix_sort_block_sortIS4_Lb0EN6thrust23THRUST_200600_302600_NS6detail15normal_iteratorINS9_10device_ptrIdEEEESE_SE_SE_NS0_19identity_decomposerEEE10hipError_tT1_T2_T3_T4_jRjT5_jjP12ihipStream_tbEUlT_E_NS1_11comp_targetILNS1_3genE8ELNS1_11target_archE1030ELNS1_3gpuE2ELNS1_3repE0EEENS1_44radix_sort_block_sort_config_static_selectorELNS0_4arch9wavefront6targetE1EEEvSH_,comdat
	.protected	_ZN7rocprim17ROCPRIM_400000_NS6detail17trampoline_kernelINS0_13kernel_configILj256ELj4ELj4294967295EEENS1_37radix_sort_block_sort_config_selectorIddEEZNS1_21radix_sort_block_sortIS4_Lb0EN6thrust23THRUST_200600_302600_NS6detail15normal_iteratorINS9_10device_ptrIdEEEESE_SE_SE_NS0_19identity_decomposerEEE10hipError_tT1_T2_T3_T4_jRjT5_jjP12ihipStream_tbEUlT_E_NS1_11comp_targetILNS1_3genE8ELNS1_11target_archE1030ELNS1_3gpuE2ELNS1_3repE0EEENS1_44radix_sort_block_sort_config_static_selectorELNS0_4arch9wavefront6targetE1EEEvSH_ ; -- Begin function _ZN7rocprim17ROCPRIM_400000_NS6detail17trampoline_kernelINS0_13kernel_configILj256ELj4ELj4294967295EEENS1_37radix_sort_block_sort_config_selectorIddEEZNS1_21radix_sort_block_sortIS4_Lb0EN6thrust23THRUST_200600_302600_NS6detail15normal_iteratorINS9_10device_ptrIdEEEESE_SE_SE_NS0_19identity_decomposerEEE10hipError_tT1_T2_T3_T4_jRjT5_jjP12ihipStream_tbEUlT_E_NS1_11comp_targetILNS1_3genE8ELNS1_11target_archE1030ELNS1_3gpuE2ELNS1_3repE0EEENS1_44radix_sort_block_sort_config_static_selectorELNS0_4arch9wavefront6targetE1EEEvSH_
	.globl	_ZN7rocprim17ROCPRIM_400000_NS6detail17trampoline_kernelINS0_13kernel_configILj256ELj4ELj4294967295EEENS1_37radix_sort_block_sort_config_selectorIddEEZNS1_21radix_sort_block_sortIS4_Lb0EN6thrust23THRUST_200600_302600_NS6detail15normal_iteratorINS9_10device_ptrIdEEEESE_SE_SE_NS0_19identity_decomposerEEE10hipError_tT1_T2_T3_T4_jRjT5_jjP12ihipStream_tbEUlT_E_NS1_11comp_targetILNS1_3genE8ELNS1_11target_archE1030ELNS1_3gpuE2ELNS1_3repE0EEENS1_44radix_sort_block_sort_config_static_selectorELNS0_4arch9wavefront6targetE1EEEvSH_
	.p2align	8
	.type	_ZN7rocprim17ROCPRIM_400000_NS6detail17trampoline_kernelINS0_13kernel_configILj256ELj4ELj4294967295EEENS1_37radix_sort_block_sort_config_selectorIddEEZNS1_21radix_sort_block_sortIS4_Lb0EN6thrust23THRUST_200600_302600_NS6detail15normal_iteratorINS9_10device_ptrIdEEEESE_SE_SE_NS0_19identity_decomposerEEE10hipError_tT1_T2_T3_T4_jRjT5_jjP12ihipStream_tbEUlT_E_NS1_11comp_targetILNS1_3genE8ELNS1_11target_archE1030ELNS1_3gpuE2ELNS1_3repE0EEENS1_44radix_sort_block_sort_config_static_selectorELNS0_4arch9wavefront6targetE1EEEvSH_,@function
_ZN7rocprim17ROCPRIM_400000_NS6detail17trampoline_kernelINS0_13kernel_configILj256ELj4ELj4294967295EEENS1_37radix_sort_block_sort_config_selectorIddEEZNS1_21radix_sort_block_sortIS4_Lb0EN6thrust23THRUST_200600_302600_NS6detail15normal_iteratorINS9_10device_ptrIdEEEESE_SE_SE_NS0_19identity_decomposerEEE10hipError_tT1_T2_T3_T4_jRjT5_jjP12ihipStream_tbEUlT_E_NS1_11comp_targetILNS1_3genE8ELNS1_11target_archE1030ELNS1_3gpuE2ELNS1_3repE0EEENS1_44radix_sort_block_sort_config_static_selectorELNS0_4arch9wavefront6targetE1EEEvSH_: ; @_ZN7rocprim17ROCPRIM_400000_NS6detail17trampoline_kernelINS0_13kernel_configILj256ELj4ELj4294967295EEENS1_37radix_sort_block_sort_config_selectorIddEEZNS1_21radix_sort_block_sortIS4_Lb0EN6thrust23THRUST_200600_302600_NS6detail15normal_iteratorINS9_10device_ptrIdEEEESE_SE_SE_NS0_19identity_decomposerEEE10hipError_tT1_T2_T3_T4_jRjT5_jjP12ihipStream_tbEUlT_E_NS1_11comp_targetILNS1_3genE8ELNS1_11target_archE1030ELNS1_3gpuE2ELNS1_3repE0EEENS1_44radix_sort_block_sort_config_static_selectorELNS0_4arch9wavefront6targetE1EEEvSH_
; %bb.0:
	.section	.rodata,"a",@progbits
	.p2align	6, 0x0
	.amdhsa_kernel _ZN7rocprim17ROCPRIM_400000_NS6detail17trampoline_kernelINS0_13kernel_configILj256ELj4ELj4294967295EEENS1_37radix_sort_block_sort_config_selectorIddEEZNS1_21radix_sort_block_sortIS4_Lb0EN6thrust23THRUST_200600_302600_NS6detail15normal_iteratorINS9_10device_ptrIdEEEESE_SE_SE_NS0_19identity_decomposerEEE10hipError_tT1_T2_T3_T4_jRjT5_jjP12ihipStream_tbEUlT_E_NS1_11comp_targetILNS1_3genE8ELNS1_11target_archE1030ELNS1_3gpuE2ELNS1_3repE0EEENS1_44radix_sort_block_sort_config_static_selectorELNS0_4arch9wavefront6targetE1EEEvSH_
		.amdhsa_group_segment_fixed_size 0
		.amdhsa_private_segment_fixed_size 0
		.amdhsa_kernarg_size 48
		.amdhsa_user_sgpr_count 2
		.amdhsa_user_sgpr_dispatch_ptr 0
		.amdhsa_user_sgpr_queue_ptr 0
		.amdhsa_user_sgpr_kernarg_segment_ptr 1
		.amdhsa_user_sgpr_dispatch_id 0
		.amdhsa_user_sgpr_kernarg_preload_length 0
		.amdhsa_user_sgpr_kernarg_preload_offset 0
		.amdhsa_user_sgpr_private_segment_size 0
		.amdhsa_uses_dynamic_stack 0
		.amdhsa_enable_private_segment 0
		.amdhsa_system_sgpr_workgroup_id_x 1
		.amdhsa_system_sgpr_workgroup_id_y 0
		.amdhsa_system_sgpr_workgroup_id_z 0
		.amdhsa_system_sgpr_workgroup_info 0
		.amdhsa_system_vgpr_workitem_id 0
		.amdhsa_next_free_vgpr 1
		.amdhsa_next_free_sgpr 0
		.amdhsa_accum_offset 4
		.amdhsa_reserve_vcc 0
		.amdhsa_float_round_mode_32 0
		.amdhsa_float_round_mode_16_64 0
		.amdhsa_float_denorm_mode_32 3
		.amdhsa_float_denorm_mode_16_64 3
		.amdhsa_dx10_clamp 1
		.amdhsa_ieee_mode 1
		.amdhsa_fp16_overflow 0
		.amdhsa_tg_split 0
		.amdhsa_exception_fp_ieee_invalid_op 0
		.amdhsa_exception_fp_denorm_src 0
		.amdhsa_exception_fp_ieee_div_zero 0
		.amdhsa_exception_fp_ieee_overflow 0
		.amdhsa_exception_fp_ieee_underflow 0
		.amdhsa_exception_fp_ieee_inexact 0
		.amdhsa_exception_int_div_zero 0
	.end_amdhsa_kernel
	.section	.text._ZN7rocprim17ROCPRIM_400000_NS6detail17trampoline_kernelINS0_13kernel_configILj256ELj4ELj4294967295EEENS1_37radix_sort_block_sort_config_selectorIddEEZNS1_21radix_sort_block_sortIS4_Lb0EN6thrust23THRUST_200600_302600_NS6detail15normal_iteratorINS9_10device_ptrIdEEEESE_SE_SE_NS0_19identity_decomposerEEE10hipError_tT1_T2_T3_T4_jRjT5_jjP12ihipStream_tbEUlT_E_NS1_11comp_targetILNS1_3genE8ELNS1_11target_archE1030ELNS1_3gpuE2ELNS1_3repE0EEENS1_44radix_sort_block_sort_config_static_selectorELNS0_4arch9wavefront6targetE1EEEvSH_,"axG",@progbits,_ZN7rocprim17ROCPRIM_400000_NS6detail17trampoline_kernelINS0_13kernel_configILj256ELj4ELj4294967295EEENS1_37radix_sort_block_sort_config_selectorIddEEZNS1_21radix_sort_block_sortIS4_Lb0EN6thrust23THRUST_200600_302600_NS6detail15normal_iteratorINS9_10device_ptrIdEEEESE_SE_SE_NS0_19identity_decomposerEEE10hipError_tT1_T2_T3_T4_jRjT5_jjP12ihipStream_tbEUlT_E_NS1_11comp_targetILNS1_3genE8ELNS1_11target_archE1030ELNS1_3gpuE2ELNS1_3repE0EEENS1_44radix_sort_block_sort_config_static_selectorELNS0_4arch9wavefront6targetE1EEEvSH_,comdat
.Lfunc_end15:
	.size	_ZN7rocprim17ROCPRIM_400000_NS6detail17trampoline_kernelINS0_13kernel_configILj256ELj4ELj4294967295EEENS1_37radix_sort_block_sort_config_selectorIddEEZNS1_21radix_sort_block_sortIS4_Lb0EN6thrust23THRUST_200600_302600_NS6detail15normal_iteratorINS9_10device_ptrIdEEEESE_SE_SE_NS0_19identity_decomposerEEE10hipError_tT1_T2_T3_T4_jRjT5_jjP12ihipStream_tbEUlT_E_NS1_11comp_targetILNS1_3genE8ELNS1_11target_archE1030ELNS1_3gpuE2ELNS1_3repE0EEENS1_44radix_sort_block_sort_config_static_selectorELNS0_4arch9wavefront6targetE1EEEvSH_, .Lfunc_end15-_ZN7rocprim17ROCPRIM_400000_NS6detail17trampoline_kernelINS0_13kernel_configILj256ELj4ELj4294967295EEENS1_37radix_sort_block_sort_config_selectorIddEEZNS1_21radix_sort_block_sortIS4_Lb0EN6thrust23THRUST_200600_302600_NS6detail15normal_iteratorINS9_10device_ptrIdEEEESE_SE_SE_NS0_19identity_decomposerEEE10hipError_tT1_T2_T3_T4_jRjT5_jjP12ihipStream_tbEUlT_E_NS1_11comp_targetILNS1_3genE8ELNS1_11target_archE1030ELNS1_3gpuE2ELNS1_3repE0EEENS1_44radix_sort_block_sort_config_static_selectorELNS0_4arch9wavefront6targetE1EEEvSH_
                                        ; -- End function
	.set _ZN7rocprim17ROCPRIM_400000_NS6detail17trampoline_kernelINS0_13kernel_configILj256ELj4ELj4294967295EEENS1_37radix_sort_block_sort_config_selectorIddEEZNS1_21radix_sort_block_sortIS4_Lb0EN6thrust23THRUST_200600_302600_NS6detail15normal_iteratorINS9_10device_ptrIdEEEESE_SE_SE_NS0_19identity_decomposerEEE10hipError_tT1_T2_T3_T4_jRjT5_jjP12ihipStream_tbEUlT_E_NS1_11comp_targetILNS1_3genE8ELNS1_11target_archE1030ELNS1_3gpuE2ELNS1_3repE0EEENS1_44radix_sort_block_sort_config_static_selectorELNS0_4arch9wavefront6targetE1EEEvSH_.num_vgpr, 0
	.set _ZN7rocprim17ROCPRIM_400000_NS6detail17trampoline_kernelINS0_13kernel_configILj256ELj4ELj4294967295EEENS1_37radix_sort_block_sort_config_selectorIddEEZNS1_21radix_sort_block_sortIS4_Lb0EN6thrust23THRUST_200600_302600_NS6detail15normal_iteratorINS9_10device_ptrIdEEEESE_SE_SE_NS0_19identity_decomposerEEE10hipError_tT1_T2_T3_T4_jRjT5_jjP12ihipStream_tbEUlT_E_NS1_11comp_targetILNS1_3genE8ELNS1_11target_archE1030ELNS1_3gpuE2ELNS1_3repE0EEENS1_44radix_sort_block_sort_config_static_selectorELNS0_4arch9wavefront6targetE1EEEvSH_.num_agpr, 0
	.set _ZN7rocprim17ROCPRIM_400000_NS6detail17trampoline_kernelINS0_13kernel_configILj256ELj4ELj4294967295EEENS1_37radix_sort_block_sort_config_selectorIddEEZNS1_21radix_sort_block_sortIS4_Lb0EN6thrust23THRUST_200600_302600_NS6detail15normal_iteratorINS9_10device_ptrIdEEEESE_SE_SE_NS0_19identity_decomposerEEE10hipError_tT1_T2_T3_T4_jRjT5_jjP12ihipStream_tbEUlT_E_NS1_11comp_targetILNS1_3genE8ELNS1_11target_archE1030ELNS1_3gpuE2ELNS1_3repE0EEENS1_44radix_sort_block_sort_config_static_selectorELNS0_4arch9wavefront6targetE1EEEvSH_.numbered_sgpr, 0
	.set _ZN7rocprim17ROCPRIM_400000_NS6detail17trampoline_kernelINS0_13kernel_configILj256ELj4ELj4294967295EEENS1_37radix_sort_block_sort_config_selectorIddEEZNS1_21radix_sort_block_sortIS4_Lb0EN6thrust23THRUST_200600_302600_NS6detail15normal_iteratorINS9_10device_ptrIdEEEESE_SE_SE_NS0_19identity_decomposerEEE10hipError_tT1_T2_T3_T4_jRjT5_jjP12ihipStream_tbEUlT_E_NS1_11comp_targetILNS1_3genE8ELNS1_11target_archE1030ELNS1_3gpuE2ELNS1_3repE0EEENS1_44radix_sort_block_sort_config_static_selectorELNS0_4arch9wavefront6targetE1EEEvSH_.num_named_barrier, 0
	.set _ZN7rocprim17ROCPRIM_400000_NS6detail17trampoline_kernelINS0_13kernel_configILj256ELj4ELj4294967295EEENS1_37radix_sort_block_sort_config_selectorIddEEZNS1_21radix_sort_block_sortIS4_Lb0EN6thrust23THRUST_200600_302600_NS6detail15normal_iteratorINS9_10device_ptrIdEEEESE_SE_SE_NS0_19identity_decomposerEEE10hipError_tT1_T2_T3_T4_jRjT5_jjP12ihipStream_tbEUlT_E_NS1_11comp_targetILNS1_3genE8ELNS1_11target_archE1030ELNS1_3gpuE2ELNS1_3repE0EEENS1_44radix_sort_block_sort_config_static_selectorELNS0_4arch9wavefront6targetE1EEEvSH_.private_seg_size, 0
	.set _ZN7rocprim17ROCPRIM_400000_NS6detail17trampoline_kernelINS0_13kernel_configILj256ELj4ELj4294967295EEENS1_37radix_sort_block_sort_config_selectorIddEEZNS1_21radix_sort_block_sortIS4_Lb0EN6thrust23THRUST_200600_302600_NS6detail15normal_iteratorINS9_10device_ptrIdEEEESE_SE_SE_NS0_19identity_decomposerEEE10hipError_tT1_T2_T3_T4_jRjT5_jjP12ihipStream_tbEUlT_E_NS1_11comp_targetILNS1_3genE8ELNS1_11target_archE1030ELNS1_3gpuE2ELNS1_3repE0EEENS1_44radix_sort_block_sort_config_static_selectorELNS0_4arch9wavefront6targetE1EEEvSH_.uses_vcc, 0
	.set _ZN7rocprim17ROCPRIM_400000_NS6detail17trampoline_kernelINS0_13kernel_configILj256ELj4ELj4294967295EEENS1_37radix_sort_block_sort_config_selectorIddEEZNS1_21radix_sort_block_sortIS4_Lb0EN6thrust23THRUST_200600_302600_NS6detail15normal_iteratorINS9_10device_ptrIdEEEESE_SE_SE_NS0_19identity_decomposerEEE10hipError_tT1_T2_T3_T4_jRjT5_jjP12ihipStream_tbEUlT_E_NS1_11comp_targetILNS1_3genE8ELNS1_11target_archE1030ELNS1_3gpuE2ELNS1_3repE0EEENS1_44radix_sort_block_sort_config_static_selectorELNS0_4arch9wavefront6targetE1EEEvSH_.uses_flat_scratch, 0
	.set _ZN7rocprim17ROCPRIM_400000_NS6detail17trampoline_kernelINS0_13kernel_configILj256ELj4ELj4294967295EEENS1_37radix_sort_block_sort_config_selectorIddEEZNS1_21radix_sort_block_sortIS4_Lb0EN6thrust23THRUST_200600_302600_NS6detail15normal_iteratorINS9_10device_ptrIdEEEESE_SE_SE_NS0_19identity_decomposerEEE10hipError_tT1_T2_T3_T4_jRjT5_jjP12ihipStream_tbEUlT_E_NS1_11comp_targetILNS1_3genE8ELNS1_11target_archE1030ELNS1_3gpuE2ELNS1_3repE0EEENS1_44radix_sort_block_sort_config_static_selectorELNS0_4arch9wavefront6targetE1EEEvSH_.has_dyn_sized_stack, 0
	.set _ZN7rocprim17ROCPRIM_400000_NS6detail17trampoline_kernelINS0_13kernel_configILj256ELj4ELj4294967295EEENS1_37radix_sort_block_sort_config_selectorIddEEZNS1_21radix_sort_block_sortIS4_Lb0EN6thrust23THRUST_200600_302600_NS6detail15normal_iteratorINS9_10device_ptrIdEEEESE_SE_SE_NS0_19identity_decomposerEEE10hipError_tT1_T2_T3_T4_jRjT5_jjP12ihipStream_tbEUlT_E_NS1_11comp_targetILNS1_3genE8ELNS1_11target_archE1030ELNS1_3gpuE2ELNS1_3repE0EEENS1_44radix_sort_block_sort_config_static_selectorELNS0_4arch9wavefront6targetE1EEEvSH_.has_recursion, 0
	.set _ZN7rocprim17ROCPRIM_400000_NS6detail17trampoline_kernelINS0_13kernel_configILj256ELj4ELj4294967295EEENS1_37radix_sort_block_sort_config_selectorIddEEZNS1_21radix_sort_block_sortIS4_Lb0EN6thrust23THRUST_200600_302600_NS6detail15normal_iteratorINS9_10device_ptrIdEEEESE_SE_SE_NS0_19identity_decomposerEEE10hipError_tT1_T2_T3_T4_jRjT5_jjP12ihipStream_tbEUlT_E_NS1_11comp_targetILNS1_3genE8ELNS1_11target_archE1030ELNS1_3gpuE2ELNS1_3repE0EEENS1_44radix_sort_block_sort_config_static_selectorELNS0_4arch9wavefront6targetE1EEEvSH_.has_indirect_call, 0
	.section	.AMDGPU.csdata,"",@progbits
; Kernel info:
; codeLenInByte = 0
; TotalNumSgprs: 6
; NumVgprs: 0
; NumAgprs: 0
; TotalNumVgprs: 0
; ScratchSize: 0
; MemoryBound: 0
; FloatMode: 240
; IeeeMode: 1
; LDSByteSize: 0 bytes/workgroup (compile time only)
; SGPRBlocks: 0
; VGPRBlocks: 0
; NumSGPRsForWavesPerEU: 6
; NumVGPRsForWavesPerEU: 1
; AccumOffset: 4
; Occupancy: 8
; WaveLimiterHint : 0
; COMPUTE_PGM_RSRC2:SCRATCH_EN: 0
; COMPUTE_PGM_RSRC2:USER_SGPR: 2
; COMPUTE_PGM_RSRC2:TRAP_HANDLER: 0
; COMPUTE_PGM_RSRC2:TGID_X_EN: 1
; COMPUTE_PGM_RSRC2:TGID_Y_EN: 0
; COMPUTE_PGM_RSRC2:TGID_Z_EN: 0
; COMPUTE_PGM_RSRC2:TIDIG_COMP_CNT: 0
; COMPUTE_PGM_RSRC3_GFX90A:ACCUM_OFFSET: 0
; COMPUTE_PGM_RSRC3_GFX90A:TG_SPLIT: 0
	.section	.text._ZN7rocprim17ROCPRIM_400000_NS6detail44device_merge_sort_compile_time_verifier_archINS1_11comp_targetILNS1_3genE0ELNS1_11target_archE4294967295ELNS1_3gpuE0ELNS1_3repE0EEES8_NS1_28merge_sort_block_sort_configILj256ELj4ELNS0_20block_sort_algorithmE0EEENS0_14default_configENS1_37merge_sort_block_sort_config_selectorIddEENS1_38merge_sort_block_merge_config_selectorIddEEEEvv,"axG",@progbits,_ZN7rocprim17ROCPRIM_400000_NS6detail44device_merge_sort_compile_time_verifier_archINS1_11comp_targetILNS1_3genE0ELNS1_11target_archE4294967295ELNS1_3gpuE0ELNS1_3repE0EEES8_NS1_28merge_sort_block_sort_configILj256ELj4ELNS0_20block_sort_algorithmE0EEENS0_14default_configENS1_37merge_sort_block_sort_config_selectorIddEENS1_38merge_sort_block_merge_config_selectorIddEEEEvv,comdat
	.protected	_ZN7rocprim17ROCPRIM_400000_NS6detail44device_merge_sort_compile_time_verifier_archINS1_11comp_targetILNS1_3genE0ELNS1_11target_archE4294967295ELNS1_3gpuE0ELNS1_3repE0EEES8_NS1_28merge_sort_block_sort_configILj256ELj4ELNS0_20block_sort_algorithmE0EEENS0_14default_configENS1_37merge_sort_block_sort_config_selectorIddEENS1_38merge_sort_block_merge_config_selectorIddEEEEvv ; -- Begin function _ZN7rocprim17ROCPRIM_400000_NS6detail44device_merge_sort_compile_time_verifier_archINS1_11comp_targetILNS1_3genE0ELNS1_11target_archE4294967295ELNS1_3gpuE0ELNS1_3repE0EEES8_NS1_28merge_sort_block_sort_configILj256ELj4ELNS0_20block_sort_algorithmE0EEENS0_14default_configENS1_37merge_sort_block_sort_config_selectorIddEENS1_38merge_sort_block_merge_config_selectorIddEEEEvv
	.globl	_ZN7rocprim17ROCPRIM_400000_NS6detail44device_merge_sort_compile_time_verifier_archINS1_11comp_targetILNS1_3genE0ELNS1_11target_archE4294967295ELNS1_3gpuE0ELNS1_3repE0EEES8_NS1_28merge_sort_block_sort_configILj256ELj4ELNS0_20block_sort_algorithmE0EEENS0_14default_configENS1_37merge_sort_block_sort_config_selectorIddEENS1_38merge_sort_block_merge_config_selectorIddEEEEvv
	.p2align	8
	.type	_ZN7rocprim17ROCPRIM_400000_NS6detail44device_merge_sort_compile_time_verifier_archINS1_11comp_targetILNS1_3genE0ELNS1_11target_archE4294967295ELNS1_3gpuE0ELNS1_3repE0EEES8_NS1_28merge_sort_block_sort_configILj256ELj4ELNS0_20block_sort_algorithmE0EEENS0_14default_configENS1_37merge_sort_block_sort_config_selectorIddEENS1_38merge_sort_block_merge_config_selectorIddEEEEvv,@function
_ZN7rocprim17ROCPRIM_400000_NS6detail44device_merge_sort_compile_time_verifier_archINS1_11comp_targetILNS1_3genE0ELNS1_11target_archE4294967295ELNS1_3gpuE0ELNS1_3repE0EEES8_NS1_28merge_sort_block_sort_configILj256ELj4ELNS0_20block_sort_algorithmE0EEENS0_14default_configENS1_37merge_sort_block_sort_config_selectorIddEENS1_38merge_sort_block_merge_config_selectorIddEEEEvv: ; @_ZN7rocprim17ROCPRIM_400000_NS6detail44device_merge_sort_compile_time_verifier_archINS1_11comp_targetILNS1_3genE0ELNS1_11target_archE4294967295ELNS1_3gpuE0ELNS1_3repE0EEES8_NS1_28merge_sort_block_sort_configILj256ELj4ELNS0_20block_sort_algorithmE0EEENS0_14default_configENS1_37merge_sort_block_sort_config_selectorIddEENS1_38merge_sort_block_merge_config_selectorIddEEEEvv
; %bb.0:
	s_endpgm
	.section	.rodata,"a",@progbits
	.p2align	6, 0x0
	.amdhsa_kernel _ZN7rocprim17ROCPRIM_400000_NS6detail44device_merge_sort_compile_time_verifier_archINS1_11comp_targetILNS1_3genE0ELNS1_11target_archE4294967295ELNS1_3gpuE0ELNS1_3repE0EEES8_NS1_28merge_sort_block_sort_configILj256ELj4ELNS0_20block_sort_algorithmE0EEENS0_14default_configENS1_37merge_sort_block_sort_config_selectorIddEENS1_38merge_sort_block_merge_config_selectorIddEEEEvv
		.amdhsa_group_segment_fixed_size 0
		.amdhsa_private_segment_fixed_size 0
		.amdhsa_kernarg_size 0
		.amdhsa_user_sgpr_count 0
		.amdhsa_user_sgpr_dispatch_ptr 0
		.amdhsa_user_sgpr_queue_ptr 0
		.amdhsa_user_sgpr_kernarg_segment_ptr 0
		.amdhsa_user_sgpr_dispatch_id 0
		.amdhsa_user_sgpr_kernarg_preload_length 0
		.amdhsa_user_sgpr_kernarg_preload_offset 0
		.amdhsa_user_sgpr_private_segment_size 0
		.amdhsa_uses_dynamic_stack 0
		.amdhsa_enable_private_segment 0
		.amdhsa_system_sgpr_workgroup_id_x 1
		.amdhsa_system_sgpr_workgroup_id_y 0
		.amdhsa_system_sgpr_workgroup_id_z 0
		.amdhsa_system_sgpr_workgroup_info 0
		.amdhsa_system_vgpr_workitem_id 0
		.amdhsa_next_free_vgpr 1
		.amdhsa_next_free_sgpr 0
		.amdhsa_accum_offset 4
		.amdhsa_reserve_vcc 0
		.amdhsa_float_round_mode_32 0
		.amdhsa_float_round_mode_16_64 0
		.amdhsa_float_denorm_mode_32 3
		.amdhsa_float_denorm_mode_16_64 3
		.amdhsa_dx10_clamp 1
		.amdhsa_ieee_mode 1
		.amdhsa_fp16_overflow 0
		.amdhsa_tg_split 0
		.amdhsa_exception_fp_ieee_invalid_op 0
		.amdhsa_exception_fp_denorm_src 0
		.amdhsa_exception_fp_ieee_div_zero 0
		.amdhsa_exception_fp_ieee_overflow 0
		.amdhsa_exception_fp_ieee_underflow 0
		.amdhsa_exception_fp_ieee_inexact 0
		.amdhsa_exception_int_div_zero 0
	.end_amdhsa_kernel
	.section	.text._ZN7rocprim17ROCPRIM_400000_NS6detail44device_merge_sort_compile_time_verifier_archINS1_11comp_targetILNS1_3genE0ELNS1_11target_archE4294967295ELNS1_3gpuE0ELNS1_3repE0EEES8_NS1_28merge_sort_block_sort_configILj256ELj4ELNS0_20block_sort_algorithmE0EEENS0_14default_configENS1_37merge_sort_block_sort_config_selectorIddEENS1_38merge_sort_block_merge_config_selectorIddEEEEvv,"axG",@progbits,_ZN7rocprim17ROCPRIM_400000_NS6detail44device_merge_sort_compile_time_verifier_archINS1_11comp_targetILNS1_3genE0ELNS1_11target_archE4294967295ELNS1_3gpuE0ELNS1_3repE0EEES8_NS1_28merge_sort_block_sort_configILj256ELj4ELNS0_20block_sort_algorithmE0EEENS0_14default_configENS1_37merge_sort_block_sort_config_selectorIddEENS1_38merge_sort_block_merge_config_selectorIddEEEEvv,comdat
.Lfunc_end16:
	.size	_ZN7rocprim17ROCPRIM_400000_NS6detail44device_merge_sort_compile_time_verifier_archINS1_11comp_targetILNS1_3genE0ELNS1_11target_archE4294967295ELNS1_3gpuE0ELNS1_3repE0EEES8_NS1_28merge_sort_block_sort_configILj256ELj4ELNS0_20block_sort_algorithmE0EEENS0_14default_configENS1_37merge_sort_block_sort_config_selectorIddEENS1_38merge_sort_block_merge_config_selectorIddEEEEvv, .Lfunc_end16-_ZN7rocprim17ROCPRIM_400000_NS6detail44device_merge_sort_compile_time_verifier_archINS1_11comp_targetILNS1_3genE0ELNS1_11target_archE4294967295ELNS1_3gpuE0ELNS1_3repE0EEES8_NS1_28merge_sort_block_sort_configILj256ELj4ELNS0_20block_sort_algorithmE0EEENS0_14default_configENS1_37merge_sort_block_sort_config_selectorIddEENS1_38merge_sort_block_merge_config_selectorIddEEEEvv
                                        ; -- End function
	.set _ZN7rocprim17ROCPRIM_400000_NS6detail44device_merge_sort_compile_time_verifier_archINS1_11comp_targetILNS1_3genE0ELNS1_11target_archE4294967295ELNS1_3gpuE0ELNS1_3repE0EEES8_NS1_28merge_sort_block_sort_configILj256ELj4ELNS0_20block_sort_algorithmE0EEENS0_14default_configENS1_37merge_sort_block_sort_config_selectorIddEENS1_38merge_sort_block_merge_config_selectorIddEEEEvv.num_vgpr, 0
	.set _ZN7rocprim17ROCPRIM_400000_NS6detail44device_merge_sort_compile_time_verifier_archINS1_11comp_targetILNS1_3genE0ELNS1_11target_archE4294967295ELNS1_3gpuE0ELNS1_3repE0EEES8_NS1_28merge_sort_block_sort_configILj256ELj4ELNS0_20block_sort_algorithmE0EEENS0_14default_configENS1_37merge_sort_block_sort_config_selectorIddEENS1_38merge_sort_block_merge_config_selectorIddEEEEvv.num_agpr, 0
	.set _ZN7rocprim17ROCPRIM_400000_NS6detail44device_merge_sort_compile_time_verifier_archINS1_11comp_targetILNS1_3genE0ELNS1_11target_archE4294967295ELNS1_3gpuE0ELNS1_3repE0EEES8_NS1_28merge_sort_block_sort_configILj256ELj4ELNS0_20block_sort_algorithmE0EEENS0_14default_configENS1_37merge_sort_block_sort_config_selectorIddEENS1_38merge_sort_block_merge_config_selectorIddEEEEvv.numbered_sgpr, 0
	.set _ZN7rocprim17ROCPRIM_400000_NS6detail44device_merge_sort_compile_time_verifier_archINS1_11comp_targetILNS1_3genE0ELNS1_11target_archE4294967295ELNS1_3gpuE0ELNS1_3repE0EEES8_NS1_28merge_sort_block_sort_configILj256ELj4ELNS0_20block_sort_algorithmE0EEENS0_14default_configENS1_37merge_sort_block_sort_config_selectorIddEENS1_38merge_sort_block_merge_config_selectorIddEEEEvv.num_named_barrier, 0
	.set _ZN7rocprim17ROCPRIM_400000_NS6detail44device_merge_sort_compile_time_verifier_archINS1_11comp_targetILNS1_3genE0ELNS1_11target_archE4294967295ELNS1_3gpuE0ELNS1_3repE0EEES8_NS1_28merge_sort_block_sort_configILj256ELj4ELNS0_20block_sort_algorithmE0EEENS0_14default_configENS1_37merge_sort_block_sort_config_selectorIddEENS1_38merge_sort_block_merge_config_selectorIddEEEEvv.private_seg_size, 0
	.set _ZN7rocprim17ROCPRIM_400000_NS6detail44device_merge_sort_compile_time_verifier_archINS1_11comp_targetILNS1_3genE0ELNS1_11target_archE4294967295ELNS1_3gpuE0ELNS1_3repE0EEES8_NS1_28merge_sort_block_sort_configILj256ELj4ELNS0_20block_sort_algorithmE0EEENS0_14default_configENS1_37merge_sort_block_sort_config_selectorIddEENS1_38merge_sort_block_merge_config_selectorIddEEEEvv.uses_vcc, 0
	.set _ZN7rocprim17ROCPRIM_400000_NS6detail44device_merge_sort_compile_time_verifier_archINS1_11comp_targetILNS1_3genE0ELNS1_11target_archE4294967295ELNS1_3gpuE0ELNS1_3repE0EEES8_NS1_28merge_sort_block_sort_configILj256ELj4ELNS0_20block_sort_algorithmE0EEENS0_14default_configENS1_37merge_sort_block_sort_config_selectorIddEENS1_38merge_sort_block_merge_config_selectorIddEEEEvv.uses_flat_scratch, 0
	.set _ZN7rocprim17ROCPRIM_400000_NS6detail44device_merge_sort_compile_time_verifier_archINS1_11comp_targetILNS1_3genE0ELNS1_11target_archE4294967295ELNS1_3gpuE0ELNS1_3repE0EEES8_NS1_28merge_sort_block_sort_configILj256ELj4ELNS0_20block_sort_algorithmE0EEENS0_14default_configENS1_37merge_sort_block_sort_config_selectorIddEENS1_38merge_sort_block_merge_config_selectorIddEEEEvv.has_dyn_sized_stack, 0
	.set _ZN7rocprim17ROCPRIM_400000_NS6detail44device_merge_sort_compile_time_verifier_archINS1_11comp_targetILNS1_3genE0ELNS1_11target_archE4294967295ELNS1_3gpuE0ELNS1_3repE0EEES8_NS1_28merge_sort_block_sort_configILj256ELj4ELNS0_20block_sort_algorithmE0EEENS0_14default_configENS1_37merge_sort_block_sort_config_selectorIddEENS1_38merge_sort_block_merge_config_selectorIddEEEEvv.has_recursion, 0
	.set _ZN7rocprim17ROCPRIM_400000_NS6detail44device_merge_sort_compile_time_verifier_archINS1_11comp_targetILNS1_3genE0ELNS1_11target_archE4294967295ELNS1_3gpuE0ELNS1_3repE0EEES8_NS1_28merge_sort_block_sort_configILj256ELj4ELNS0_20block_sort_algorithmE0EEENS0_14default_configENS1_37merge_sort_block_sort_config_selectorIddEENS1_38merge_sort_block_merge_config_selectorIddEEEEvv.has_indirect_call, 0
	.section	.AMDGPU.csdata,"",@progbits
; Kernel info:
; codeLenInByte = 4
; TotalNumSgprs: 6
; NumVgprs: 0
; NumAgprs: 0
; TotalNumVgprs: 0
; ScratchSize: 0
; MemoryBound: 0
; FloatMode: 240
; IeeeMode: 1
; LDSByteSize: 0 bytes/workgroup (compile time only)
; SGPRBlocks: 0
; VGPRBlocks: 0
; NumSGPRsForWavesPerEU: 6
; NumVGPRsForWavesPerEU: 1
; AccumOffset: 4
; Occupancy: 8
; WaveLimiterHint : 0
; COMPUTE_PGM_RSRC2:SCRATCH_EN: 0
; COMPUTE_PGM_RSRC2:USER_SGPR: 0
; COMPUTE_PGM_RSRC2:TRAP_HANDLER: 0
; COMPUTE_PGM_RSRC2:TGID_X_EN: 1
; COMPUTE_PGM_RSRC2:TGID_Y_EN: 0
; COMPUTE_PGM_RSRC2:TGID_Z_EN: 0
; COMPUTE_PGM_RSRC2:TIDIG_COMP_CNT: 0
; COMPUTE_PGM_RSRC3_GFX90A:ACCUM_OFFSET: 0
; COMPUTE_PGM_RSRC3_GFX90A:TG_SPLIT: 0
	.section	.text._ZN7rocprim17ROCPRIM_400000_NS6detail44device_merge_sort_compile_time_verifier_archINS1_11comp_targetILNS1_3genE5ELNS1_11target_archE942ELNS1_3gpuE9ELNS1_3repE0EEES8_NS1_28merge_sort_block_sort_configILj256ELj4ELNS0_20block_sort_algorithmE0EEENS0_14default_configENS1_37merge_sort_block_sort_config_selectorIddEENS1_38merge_sort_block_merge_config_selectorIddEEEEvv,"axG",@progbits,_ZN7rocprim17ROCPRIM_400000_NS6detail44device_merge_sort_compile_time_verifier_archINS1_11comp_targetILNS1_3genE5ELNS1_11target_archE942ELNS1_3gpuE9ELNS1_3repE0EEES8_NS1_28merge_sort_block_sort_configILj256ELj4ELNS0_20block_sort_algorithmE0EEENS0_14default_configENS1_37merge_sort_block_sort_config_selectorIddEENS1_38merge_sort_block_merge_config_selectorIddEEEEvv,comdat
	.protected	_ZN7rocprim17ROCPRIM_400000_NS6detail44device_merge_sort_compile_time_verifier_archINS1_11comp_targetILNS1_3genE5ELNS1_11target_archE942ELNS1_3gpuE9ELNS1_3repE0EEES8_NS1_28merge_sort_block_sort_configILj256ELj4ELNS0_20block_sort_algorithmE0EEENS0_14default_configENS1_37merge_sort_block_sort_config_selectorIddEENS1_38merge_sort_block_merge_config_selectorIddEEEEvv ; -- Begin function _ZN7rocprim17ROCPRIM_400000_NS6detail44device_merge_sort_compile_time_verifier_archINS1_11comp_targetILNS1_3genE5ELNS1_11target_archE942ELNS1_3gpuE9ELNS1_3repE0EEES8_NS1_28merge_sort_block_sort_configILj256ELj4ELNS0_20block_sort_algorithmE0EEENS0_14default_configENS1_37merge_sort_block_sort_config_selectorIddEENS1_38merge_sort_block_merge_config_selectorIddEEEEvv
	.globl	_ZN7rocprim17ROCPRIM_400000_NS6detail44device_merge_sort_compile_time_verifier_archINS1_11comp_targetILNS1_3genE5ELNS1_11target_archE942ELNS1_3gpuE9ELNS1_3repE0EEES8_NS1_28merge_sort_block_sort_configILj256ELj4ELNS0_20block_sort_algorithmE0EEENS0_14default_configENS1_37merge_sort_block_sort_config_selectorIddEENS1_38merge_sort_block_merge_config_selectorIddEEEEvv
	.p2align	8
	.type	_ZN7rocprim17ROCPRIM_400000_NS6detail44device_merge_sort_compile_time_verifier_archINS1_11comp_targetILNS1_3genE5ELNS1_11target_archE942ELNS1_3gpuE9ELNS1_3repE0EEES8_NS1_28merge_sort_block_sort_configILj256ELj4ELNS0_20block_sort_algorithmE0EEENS0_14default_configENS1_37merge_sort_block_sort_config_selectorIddEENS1_38merge_sort_block_merge_config_selectorIddEEEEvv,@function
_ZN7rocprim17ROCPRIM_400000_NS6detail44device_merge_sort_compile_time_verifier_archINS1_11comp_targetILNS1_3genE5ELNS1_11target_archE942ELNS1_3gpuE9ELNS1_3repE0EEES8_NS1_28merge_sort_block_sort_configILj256ELj4ELNS0_20block_sort_algorithmE0EEENS0_14default_configENS1_37merge_sort_block_sort_config_selectorIddEENS1_38merge_sort_block_merge_config_selectorIddEEEEvv: ; @_ZN7rocprim17ROCPRIM_400000_NS6detail44device_merge_sort_compile_time_verifier_archINS1_11comp_targetILNS1_3genE5ELNS1_11target_archE942ELNS1_3gpuE9ELNS1_3repE0EEES8_NS1_28merge_sort_block_sort_configILj256ELj4ELNS0_20block_sort_algorithmE0EEENS0_14default_configENS1_37merge_sort_block_sort_config_selectorIddEENS1_38merge_sort_block_merge_config_selectorIddEEEEvv
; %bb.0:
	s_endpgm
	.section	.rodata,"a",@progbits
	.p2align	6, 0x0
	.amdhsa_kernel _ZN7rocprim17ROCPRIM_400000_NS6detail44device_merge_sort_compile_time_verifier_archINS1_11comp_targetILNS1_3genE5ELNS1_11target_archE942ELNS1_3gpuE9ELNS1_3repE0EEES8_NS1_28merge_sort_block_sort_configILj256ELj4ELNS0_20block_sort_algorithmE0EEENS0_14default_configENS1_37merge_sort_block_sort_config_selectorIddEENS1_38merge_sort_block_merge_config_selectorIddEEEEvv
		.amdhsa_group_segment_fixed_size 0
		.amdhsa_private_segment_fixed_size 0
		.amdhsa_kernarg_size 0
		.amdhsa_user_sgpr_count 0
		.amdhsa_user_sgpr_dispatch_ptr 0
		.amdhsa_user_sgpr_queue_ptr 0
		.amdhsa_user_sgpr_kernarg_segment_ptr 0
		.amdhsa_user_sgpr_dispatch_id 0
		.amdhsa_user_sgpr_kernarg_preload_length 0
		.amdhsa_user_sgpr_kernarg_preload_offset 0
		.amdhsa_user_sgpr_private_segment_size 0
		.amdhsa_uses_dynamic_stack 0
		.amdhsa_enable_private_segment 0
		.amdhsa_system_sgpr_workgroup_id_x 1
		.amdhsa_system_sgpr_workgroup_id_y 0
		.amdhsa_system_sgpr_workgroup_id_z 0
		.amdhsa_system_sgpr_workgroup_info 0
		.amdhsa_system_vgpr_workitem_id 0
		.amdhsa_next_free_vgpr 1
		.amdhsa_next_free_sgpr 0
		.amdhsa_accum_offset 4
		.amdhsa_reserve_vcc 0
		.amdhsa_float_round_mode_32 0
		.amdhsa_float_round_mode_16_64 0
		.amdhsa_float_denorm_mode_32 3
		.amdhsa_float_denorm_mode_16_64 3
		.amdhsa_dx10_clamp 1
		.amdhsa_ieee_mode 1
		.amdhsa_fp16_overflow 0
		.amdhsa_tg_split 0
		.amdhsa_exception_fp_ieee_invalid_op 0
		.amdhsa_exception_fp_denorm_src 0
		.amdhsa_exception_fp_ieee_div_zero 0
		.amdhsa_exception_fp_ieee_overflow 0
		.amdhsa_exception_fp_ieee_underflow 0
		.amdhsa_exception_fp_ieee_inexact 0
		.amdhsa_exception_int_div_zero 0
	.end_amdhsa_kernel
	.section	.text._ZN7rocprim17ROCPRIM_400000_NS6detail44device_merge_sort_compile_time_verifier_archINS1_11comp_targetILNS1_3genE5ELNS1_11target_archE942ELNS1_3gpuE9ELNS1_3repE0EEES8_NS1_28merge_sort_block_sort_configILj256ELj4ELNS0_20block_sort_algorithmE0EEENS0_14default_configENS1_37merge_sort_block_sort_config_selectorIddEENS1_38merge_sort_block_merge_config_selectorIddEEEEvv,"axG",@progbits,_ZN7rocprim17ROCPRIM_400000_NS6detail44device_merge_sort_compile_time_verifier_archINS1_11comp_targetILNS1_3genE5ELNS1_11target_archE942ELNS1_3gpuE9ELNS1_3repE0EEES8_NS1_28merge_sort_block_sort_configILj256ELj4ELNS0_20block_sort_algorithmE0EEENS0_14default_configENS1_37merge_sort_block_sort_config_selectorIddEENS1_38merge_sort_block_merge_config_selectorIddEEEEvv,comdat
.Lfunc_end17:
	.size	_ZN7rocprim17ROCPRIM_400000_NS6detail44device_merge_sort_compile_time_verifier_archINS1_11comp_targetILNS1_3genE5ELNS1_11target_archE942ELNS1_3gpuE9ELNS1_3repE0EEES8_NS1_28merge_sort_block_sort_configILj256ELj4ELNS0_20block_sort_algorithmE0EEENS0_14default_configENS1_37merge_sort_block_sort_config_selectorIddEENS1_38merge_sort_block_merge_config_selectorIddEEEEvv, .Lfunc_end17-_ZN7rocprim17ROCPRIM_400000_NS6detail44device_merge_sort_compile_time_verifier_archINS1_11comp_targetILNS1_3genE5ELNS1_11target_archE942ELNS1_3gpuE9ELNS1_3repE0EEES8_NS1_28merge_sort_block_sort_configILj256ELj4ELNS0_20block_sort_algorithmE0EEENS0_14default_configENS1_37merge_sort_block_sort_config_selectorIddEENS1_38merge_sort_block_merge_config_selectorIddEEEEvv
                                        ; -- End function
	.set _ZN7rocprim17ROCPRIM_400000_NS6detail44device_merge_sort_compile_time_verifier_archINS1_11comp_targetILNS1_3genE5ELNS1_11target_archE942ELNS1_3gpuE9ELNS1_3repE0EEES8_NS1_28merge_sort_block_sort_configILj256ELj4ELNS0_20block_sort_algorithmE0EEENS0_14default_configENS1_37merge_sort_block_sort_config_selectorIddEENS1_38merge_sort_block_merge_config_selectorIddEEEEvv.num_vgpr, 0
	.set _ZN7rocprim17ROCPRIM_400000_NS6detail44device_merge_sort_compile_time_verifier_archINS1_11comp_targetILNS1_3genE5ELNS1_11target_archE942ELNS1_3gpuE9ELNS1_3repE0EEES8_NS1_28merge_sort_block_sort_configILj256ELj4ELNS0_20block_sort_algorithmE0EEENS0_14default_configENS1_37merge_sort_block_sort_config_selectorIddEENS1_38merge_sort_block_merge_config_selectorIddEEEEvv.num_agpr, 0
	.set _ZN7rocprim17ROCPRIM_400000_NS6detail44device_merge_sort_compile_time_verifier_archINS1_11comp_targetILNS1_3genE5ELNS1_11target_archE942ELNS1_3gpuE9ELNS1_3repE0EEES8_NS1_28merge_sort_block_sort_configILj256ELj4ELNS0_20block_sort_algorithmE0EEENS0_14default_configENS1_37merge_sort_block_sort_config_selectorIddEENS1_38merge_sort_block_merge_config_selectorIddEEEEvv.numbered_sgpr, 0
	.set _ZN7rocprim17ROCPRIM_400000_NS6detail44device_merge_sort_compile_time_verifier_archINS1_11comp_targetILNS1_3genE5ELNS1_11target_archE942ELNS1_3gpuE9ELNS1_3repE0EEES8_NS1_28merge_sort_block_sort_configILj256ELj4ELNS0_20block_sort_algorithmE0EEENS0_14default_configENS1_37merge_sort_block_sort_config_selectorIddEENS1_38merge_sort_block_merge_config_selectorIddEEEEvv.num_named_barrier, 0
	.set _ZN7rocprim17ROCPRIM_400000_NS6detail44device_merge_sort_compile_time_verifier_archINS1_11comp_targetILNS1_3genE5ELNS1_11target_archE942ELNS1_3gpuE9ELNS1_3repE0EEES8_NS1_28merge_sort_block_sort_configILj256ELj4ELNS0_20block_sort_algorithmE0EEENS0_14default_configENS1_37merge_sort_block_sort_config_selectorIddEENS1_38merge_sort_block_merge_config_selectorIddEEEEvv.private_seg_size, 0
	.set _ZN7rocprim17ROCPRIM_400000_NS6detail44device_merge_sort_compile_time_verifier_archINS1_11comp_targetILNS1_3genE5ELNS1_11target_archE942ELNS1_3gpuE9ELNS1_3repE0EEES8_NS1_28merge_sort_block_sort_configILj256ELj4ELNS0_20block_sort_algorithmE0EEENS0_14default_configENS1_37merge_sort_block_sort_config_selectorIddEENS1_38merge_sort_block_merge_config_selectorIddEEEEvv.uses_vcc, 0
	.set _ZN7rocprim17ROCPRIM_400000_NS6detail44device_merge_sort_compile_time_verifier_archINS1_11comp_targetILNS1_3genE5ELNS1_11target_archE942ELNS1_3gpuE9ELNS1_3repE0EEES8_NS1_28merge_sort_block_sort_configILj256ELj4ELNS0_20block_sort_algorithmE0EEENS0_14default_configENS1_37merge_sort_block_sort_config_selectorIddEENS1_38merge_sort_block_merge_config_selectorIddEEEEvv.uses_flat_scratch, 0
	.set _ZN7rocprim17ROCPRIM_400000_NS6detail44device_merge_sort_compile_time_verifier_archINS1_11comp_targetILNS1_3genE5ELNS1_11target_archE942ELNS1_3gpuE9ELNS1_3repE0EEES8_NS1_28merge_sort_block_sort_configILj256ELj4ELNS0_20block_sort_algorithmE0EEENS0_14default_configENS1_37merge_sort_block_sort_config_selectorIddEENS1_38merge_sort_block_merge_config_selectorIddEEEEvv.has_dyn_sized_stack, 0
	.set _ZN7rocprim17ROCPRIM_400000_NS6detail44device_merge_sort_compile_time_verifier_archINS1_11comp_targetILNS1_3genE5ELNS1_11target_archE942ELNS1_3gpuE9ELNS1_3repE0EEES8_NS1_28merge_sort_block_sort_configILj256ELj4ELNS0_20block_sort_algorithmE0EEENS0_14default_configENS1_37merge_sort_block_sort_config_selectorIddEENS1_38merge_sort_block_merge_config_selectorIddEEEEvv.has_recursion, 0
	.set _ZN7rocprim17ROCPRIM_400000_NS6detail44device_merge_sort_compile_time_verifier_archINS1_11comp_targetILNS1_3genE5ELNS1_11target_archE942ELNS1_3gpuE9ELNS1_3repE0EEES8_NS1_28merge_sort_block_sort_configILj256ELj4ELNS0_20block_sort_algorithmE0EEENS0_14default_configENS1_37merge_sort_block_sort_config_selectorIddEENS1_38merge_sort_block_merge_config_selectorIddEEEEvv.has_indirect_call, 0
	.section	.AMDGPU.csdata,"",@progbits
; Kernel info:
; codeLenInByte = 4
; TotalNumSgprs: 6
; NumVgprs: 0
; NumAgprs: 0
; TotalNumVgprs: 0
; ScratchSize: 0
; MemoryBound: 0
; FloatMode: 240
; IeeeMode: 1
; LDSByteSize: 0 bytes/workgroup (compile time only)
; SGPRBlocks: 0
; VGPRBlocks: 0
; NumSGPRsForWavesPerEU: 6
; NumVGPRsForWavesPerEU: 1
; AccumOffset: 4
; Occupancy: 8
; WaveLimiterHint : 0
; COMPUTE_PGM_RSRC2:SCRATCH_EN: 0
; COMPUTE_PGM_RSRC2:USER_SGPR: 0
; COMPUTE_PGM_RSRC2:TRAP_HANDLER: 0
; COMPUTE_PGM_RSRC2:TGID_X_EN: 1
; COMPUTE_PGM_RSRC2:TGID_Y_EN: 0
; COMPUTE_PGM_RSRC2:TGID_Z_EN: 0
; COMPUTE_PGM_RSRC2:TIDIG_COMP_CNT: 0
; COMPUTE_PGM_RSRC3_GFX90A:ACCUM_OFFSET: 0
; COMPUTE_PGM_RSRC3_GFX90A:TG_SPLIT: 0
	.section	.text._ZN7rocprim17ROCPRIM_400000_NS6detail44device_merge_sort_compile_time_verifier_archINS1_11comp_targetILNS1_3genE4ELNS1_11target_archE910ELNS1_3gpuE8ELNS1_3repE0EEES8_NS1_28merge_sort_block_sort_configILj256ELj4ELNS0_20block_sort_algorithmE0EEENS0_14default_configENS1_37merge_sort_block_sort_config_selectorIddEENS1_38merge_sort_block_merge_config_selectorIddEEEEvv,"axG",@progbits,_ZN7rocprim17ROCPRIM_400000_NS6detail44device_merge_sort_compile_time_verifier_archINS1_11comp_targetILNS1_3genE4ELNS1_11target_archE910ELNS1_3gpuE8ELNS1_3repE0EEES8_NS1_28merge_sort_block_sort_configILj256ELj4ELNS0_20block_sort_algorithmE0EEENS0_14default_configENS1_37merge_sort_block_sort_config_selectorIddEENS1_38merge_sort_block_merge_config_selectorIddEEEEvv,comdat
	.protected	_ZN7rocprim17ROCPRIM_400000_NS6detail44device_merge_sort_compile_time_verifier_archINS1_11comp_targetILNS1_3genE4ELNS1_11target_archE910ELNS1_3gpuE8ELNS1_3repE0EEES8_NS1_28merge_sort_block_sort_configILj256ELj4ELNS0_20block_sort_algorithmE0EEENS0_14default_configENS1_37merge_sort_block_sort_config_selectorIddEENS1_38merge_sort_block_merge_config_selectorIddEEEEvv ; -- Begin function _ZN7rocprim17ROCPRIM_400000_NS6detail44device_merge_sort_compile_time_verifier_archINS1_11comp_targetILNS1_3genE4ELNS1_11target_archE910ELNS1_3gpuE8ELNS1_3repE0EEES8_NS1_28merge_sort_block_sort_configILj256ELj4ELNS0_20block_sort_algorithmE0EEENS0_14default_configENS1_37merge_sort_block_sort_config_selectorIddEENS1_38merge_sort_block_merge_config_selectorIddEEEEvv
	.globl	_ZN7rocprim17ROCPRIM_400000_NS6detail44device_merge_sort_compile_time_verifier_archINS1_11comp_targetILNS1_3genE4ELNS1_11target_archE910ELNS1_3gpuE8ELNS1_3repE0EEES8_NS1_28merge_sort_block_sort_configILj256ELj4ELNS0_20block_sort_algorithmE0EEENS0_14default_configENS1_37merge_sort_block_sort_config_selectorIddEENS1_38merge_sort_block_merge_config_selectorIddEEEEvv
	.p2align	8
	.type	_ZN7rocprim17ROCPRIM_400000_NS6detail44device_merge_sort_compile_time_verifier_archINS1_11comp_targetILNS1_3genE4ELNS1_11target_archE910ELNS1_3gpuE8ELNS1_3repE0EEES8_NS1_28merge_sort_block_sort_configILj256ELj4ELNS0_20block_sort_algorithmE0EEENS0_14default_configENS1_37merge_sort_block_sort_config_selectorIddEENS1_38merge_sort_block_merge_config_selectorIddEEEEvv,@function
_ZN7rocprim17ROCPRIM_400000_NS6detail44device_merge_sort_compile_time_verifier_archINS1_11comp_targetILNS1_3genE4ELNS1_11target_archE910ELNS1_3gpuE8ELNS1_3repE0EEES8_NS1_28merge_sort_block_sort_configILj256ELj4ELNS0_20block_sort_algorithmE0EEENS0_14default_configENS1_37merge_sort_block_sort_config_selectorIddEENS1_38merge_sort_block_merge_config_selectorIddEEEEvv: ; @_ZN7rocprim17ROCPRIM_400000_NS6detail44device_merge_sort_compile_time_verifier_archINS1_11comp_targetILNS1_3genE4ELNS1_11target_archE910ELNS1_3gpuE8ELNS1_3repE0EEES8_NS1_28merge_sort_block_sort_configILj256ELj4ELNS0_20block_sort_algorithmE0EEENS0_14default_configENS1_37merge_sort_block_sort_config_selectorIddEENS1_38merge_sort_block_merge_config_selectorIddEEEEvv
; %bb.0:
	s_endpgm
	.section	.rodata,"a",@progbits
	.p2align	6, 0x0
	.amdhsa_kernel _ZN7rocprim17ROCPRIM_400000_NS6detail44device_merge_sort_compile_time_verifier_archINS1_11comp_targetILNS1_3genE4ELNS1_11target_archE910ELNS1_3gpuE8ELNS1_3repE0EEES8_NS1_28merge_sort_block_sort_configILj256ELj4ELNS0_20block_sort_algorithmE0EEENS0_14default_configENS1_37merge_sort_block_sort_config_selectorIddEENS1_38merge_sort_block_merge_config_selectorIddEEEEvv
		.amdhsa_group_segment_fixed_size 0
		.amdhsa_private_segment_fixed_size 0
		.amdhsa_kernarg_size 0
		.amdhsa_user_sgpr_count 0
		.amdhsa_user_sgpr_dispatch_ptr 0
		.amdhsa_user_sgpr_queue_ptr 0
		.amdhsa_user_sgpr_kernarg_segment_ptr 0
		.amdhsa_user_sgpr_dispatch_id 0
		.amdhsa_user_sgpr_kernarg_preload_length 0
		.amdhsa_user_sgpr_kernarg_preload_offset 0
		.amdhsa_user_sgpr_private_segment_size 0
		.amdhsa_uses_dynamic_stack 0
		.amdhsa_enable_private_segment 0
		.amdhsa_system_sgpr_workgroup_id_x 1
		.amdhsa_system_sgpr_workgroup_id_y 0
		.amdhsa_system_sgpr_workgroup_id_z 0
		.amdhsa_system_sgpr_workgroup_info 0
		.amdhsa_system_vgpr_workitem_id 0
		.amdhsa_next_free_vgpr 1
		.amdhsa_next_free_sgpr 0
		.amdhsa_accum_offset 4
		.amdhsa_reserve_vcc 0
		.amdhsa_float_round_mode_32 0
		.amdhsa_float_round_mode_16_64 0
		.amdhsa_float_denorm_mode_32 3
		.amdhsa_float_denorm_mode_16_64 3
		.amdhsa_dx10_clamp 1
		.amdhsa_ieee_mode 1
		.amdhsa_fp16_overflow 0
		.amdhsa_tg_split 0
		.amdhsa_exception_fp_ieee_invalid_op 0
		.amdhsa_exception_fp_denorm_src 0
		.amdhsa_exception_fp_ieee_div_zero 0
		.amdhsa_exception_fp_ieee_overflow 0
		.amdhsa_exception_fp_ieee_underflow 0
		.amdhsa_exception_fp_ieee_inexact 0
		.amdhsa_exception_int_div_zero 0
	.end_amdhsa_kernel
	.section	.text._ZN7rocprim17ROCPRIM_400000_NS6detail44device_merge_sort_compile_time_verifier_archINS1_11comp_targetILNS1_3genE4ELNS1_11target_archE910ELNS1_3gpuE8ELNS1_3repE0EEES8_NS1_28merge_sort_block_sort_configILj256ELj4ELNS0_20block_sort_algorithmE0EEENS0_14default_configENS1_37merge_sort_block_sort_config_selectorIddEENS1_38merge_sort_block_merge_config_selectorIddEEEEvv,"axG",@progbits,_ZN7rocprim17ROCPRIM_400000_NS6detail44device_merge_sort_compile_time_verifier_archINS1_11comp_targetILNS1_3genE4ELNS1_11target_archE910ELNS1_3gpuE8ELNS1_3repE0EEES8_NS1_28merge_sort_block_sort_configILj256ELj4ELNS0_20block_sort_algorithmE0EEENS0_14default_configENS1_37merge_sort_block_sort_config_selectorIddEENS1_38merge_sort_block_merge_config_selectorIddEEEEvv,comdat
.Lfunc_end18:
	.size	_ZN7rocprim17ROCPRIM_400000_NS6detail44device_merge_sort_compile_time_verifier_archINS1_11comp_targetILNS1_3genE4ELNS1_11target_archE910ELNS1_3gpuE8ELNS1_3repE0EEES8_NS1_28merge_sort_block_sort_configILj256ELj4ELNS0_20block_sort_algorithmE0EEENS0_14default_configENS1_37merge_sort_block_sort_config_selectorIddEENS1_38merge_sort_block_merge_config_selectorIddEEEEvv, .Lfunc_end18-_ZN7rocprim17ROCPRIM_400000_NS6detail44device_merge_sort_compile_time_verifier_archINS1_11comp_targetILNS1_3genE4ELNS1_11target_archE910ELNS1_3gpuE8ELNS1_3repE0EEES8_NS1_28merge_sort_block_sort_configILj256ELj4ELNS0_20block_sort_algorithmE0EEENS0_14default_configENS1_37merge_sort_block_sort_config_selectorIddEENS1_38merge_sort_block_merge_config_selectorIddEEEEvv
                                        ; -- End function
	.set _ZN7rocprim17ROCPRIM_400000_NS6detail44device_merge_sort_compile_time_verifier_archINS1_11comp_targetILNS1_3genE4ELNS1_11target_archE910ELNS1_3gpuE8ELNS1_3repE0EEES8_NS1_28merge_sort_block_sort_configILj256ELj4ELNS0_20block_sort_algorithmE0EEENS0_14default_configENS1_37merge_sort_block_sort_config_selectorIddEENS1_38merge_sort_block_merge_config_selectorIddEEEEvv.num_vgpr, 0
	.set _ZN7rocprim17ROCPRIM_400000_NS6detail44device_merge_sort_compile_time_verifier_archINS1_11comp_targetILNS1_3genE4ELNS1_11target_archE910ELNS1_3gpuE8ELNS1_3repE0EEES8_NS1_28merge_sort_block_sort_configILj256ELj4ELNS0_20block_sort_algorithmE0EEENS0_14default_configENS1_37merge_sort_block_sort_config_selectorIddEENS1_38merge_sort_block_merge_config_selectorIddEEEEvv.num_agpr, 0
	.set _ZN7rocprim17ROCPRIM_400000_NS6detail44device_merge_sort_compile_time_verifier_archINS1_11comp_targetILNS1_3genE4ELNS1_11target_archE910ELNS1_3gpuE8ELNS1_3repE0EEES8_NS1_28merge_sort_block_sort_configILj256ELj4ELNS0_20block_sort_algorithmE0EEENS0_14default_configENS1_37merge_sort_block_sort_config_selectorIddEENS1_38merge_sort_block_merge_config_selectorIddEEEEvv.numbered_sgpr, 0
	.set _ZN7rocprim17ROCPRIM_400000_NS6detail44device_merge_sort_compile_time_verifier_archINS1_11comp_targetILNS1_3genE4ELNS1_11target_archE910ELNS1_3gpuE8ELNS1_3repE0EEES8_NS1_28merge_sort_block_sort_configILj256ELj4ELNS0_20block_sort_algorithmE0EEENS0_14default_configENS1_37merge_sort_block_sort_config_selectorIddEENS1_38merge_sort_block_merge_config_selectorIddEEEEvv.num_named_barrier, 0
	.set _ZN7rocprim17ROCPRIM_400000_NS6detail44device_merge_sort_compile_time_verifier_archINS1_11comp_targetILNS1_3genE4ELNS1_11target_archE910ELNS1_3gpuE8ELNS1_3repE0EEES8_NS1_28merge_sort_block_sort_configILj256ELj4ELNS0_20block_sort_algorithmE0EEENS0_14default_configENS1_37merge_sort_block_sort_config_selectorIddEENS1_38merge_sort_block_merge_config_selectorIddEEEEvv.private_seg_size, 0
	.set _ZN7rocprim17ROCPRIM_400000_NS6detail44device_merge_sort_compile_time_verifier_archINS1_11comp_targetILNS1_3genE4ELNS1_11target_archE910ELNS1_3gpuE8ELNS1_3repE0EEES8_NS1_28merge_sort_block_sort_configILj256ELj4ELNS0_20block_sort_algorithmE0EEENS0_14default_configENS1_37merge_sort_block_sort_config_selectorIddEENS1_38merge_sort_block_merge_config_selectorIddEEEEvv.uses_vcc, 0
	.set _ZN7rocprim17ROCPRIM_400000_NS6detail44device_merge_sort_compile_time_verifier_archINS1_11comp_targetILNS1_3genE4ELNS1_11target_archE910ELNS1_3gpuE8ELNS1_3repE0EEES8_NS1_28merge_sort_block_sort_configILj256ELj4ELNS0_20block_sort_algorithmE0EEENS0_14default_configENS1_37merge_sort_block_sort_config_selectorIddEENS1_38merge_sort_block_merge_config_selectorIddEEEEvv.uses_flat_scratch, 0
	.set _ZN7rocprim17ROCPRIM_400000_NS6detail44device_merge_sort_compile_time_verifier_archINS1_11comp_targetILNS1_3genE4ELNS1_11target_archE910ELNS1_3gpuE8ELNS1_3repE0EEES8_NS1_28merge_sort_block_sort_configILj256ELj4ELNS0_20block_sort_algorithmE0EEENS0_14default_configENS1_37merge_sort_block_sort_config_selectorIddEENS1_38merge_sort_block_merge_config_selectorIddEEEEvv.has_dyn_sized_stack, 0
	.set _ZN7rocprim17ROCPRIM_400000_NS6detail44device_merge_sort_compile_time_verifier_archINS1_11comp_targetILNS1_3genE4ELNS1_11target_archE910ELNS1_3gpuE8ELNS1_3repE0EEES8_NS1_28merge_sort_block_sort_configILj256ELj4ELNS0_20block_sort_algorithmE0EEENS0_14default_configENS1_37merge_sort_block_sort_config_selectorIddEENS1_38merge_sort_block_merge_config_selectorIddEEEEvv.has_recursion, 0
	.set _ZN7rocprim17ROCPRIM_400000_NS6detail44device_merge_sort_compile_time_verifier_archINS1_11comp_targetILNS1_3genE4ELNS1_11target_archE910ELNS1_3gpuE8ELNS1_3repE0EEES8_NS1_28merge_sort_block_sort_configILj256ELj4ELNS0_20block_sort_algorithmE0EEENS0_14default_configENS1_37merge_sort_block_sort_config_selectorIddEENS1_38merge_sort_block_merge_config_selectorIddEEEEvv.has_indirect_call, 0
	.section	.AMDGPU.csdata,"",@progbits
; Kernel info:
; codeLenInByte = 4
; TotalNumSgprs: 6
; NumVgprs: 0
; NumAgprs: 0
; TotalNumVgprs: 0
; ScratchSize: 0
; MemoryBound: 0
; FloatMode: 240
; IeeeMode: 1
; LDSByteSize: 0 bytes/workgroup (compile time only)
; SGPRBlocks: 0
; VGPRBlocks: 0
; NumSGPRsForWavesPerEU: 6
; NumVGPRsForWavesPerEU: 1
; AccumOffset: 4
; Occupancy: 8
; WaveLimiterHint : 0
; COMPUTE_PGM_RSRC2:SCRATCH_EN: 0
; COMPUTE_PGM_RSRC2:USER_SGPR: 0
; COMPUTE_PGM_RSRC2:TRAP_HANDLER: 0
; COMPUTE_PGM_RSRC2:TGID_X_EN: 1
; COMPUTE_PGM_RSRC2:TGID_Y_EN: 0
; COMPUTE_PGM_RSRC2:TGID_Z_EN: 0
; COMPUTE_PGM_RSRC2:TIDIG_COMP_CNT: 0
; COMPUTE_PGM_RSRC3_GFX90A:ACCUM_OFFSET: 0
; COMPUTE_PGM_RSRC3_GFX90A:TG_SPLIT: 0
	.section	.text._ZN7rocprim17ROCPRIM_400000_NS6detail44device_merge_sort_compile_time_verifier_archINS1_11comp_targetILNS1_3genE3ELNS1_11target_archE908ELNS1_3gpuE7ELNS1_3repE0EEES8_NS1_28merge_sort_block_sort_configILj256ELj4ELNS0_20block_sort_algorithmE0EEENS0_14default_configENS1_37merge_sort_block_sort_config_selectorIddEENS1_38merge_sort_block_merge_config_selectorIddEEEEvv,"axG",@progbits,_ZN7rocprim17ROCPRIM_400000_NS6detail44device_merge_sort_compile_time_verifier_archINS1_11comp_targetILNS1_3genE3ELNS1_11target_archE908ELNS1_3gpuE7ELNS1_3repE0EEES8_NS1_28merge_sort_block_sort_configILj256ELj4ELNS0_20block_sort_algorithmE0EEENS0_14default_configENS1_37merge_sort_block_sort_config_selectorIddEENS1_38merge_sort_block_merge_config_selectorIddEEEEvv,comdat
	.protected	_ZN7rocprim17ROCPRIM_400000_NS6detail44device_merge_sort_compile_time_verifier_archINS1_11comp_targetILNS1_3genE3ELNS1_11target_archE908ELNS1_3gpuE7ELNS1_3repE0EEES8_NS1_28merge_sort_block_sort_configILj256ELj4ELNS0_20block_sort_algorithmE0EEENS0_14default_configENS1_37merge_sort_block_sort_config_selectorIddEENS1_38merge_sort_block_merge_config_selectorIddEEEEvv ; -- Begin function _ZN7rocprim17ROCPRIM_400000_NS6detail44device_merge_sort_compile_time_verifier_archINS1_11comp_targetILNS1_3genE3ELNS1_11target_archE908ELNS1_3gpuE7ELNS1_3repE0EEES8_NS1_28merge_sort_block_sort_configILj256ELj4ELNS0_20block_sort_algorithmE0EEENS0_14default_configENS1_37merge_sort_block_sort_config_selectorIddEENS1_38merge_sort_block_merge_config_selectorIddEEEEvv
	.globl	_ZN7rocprim17ROCPRIM_400000_NS6detail44device_merge_sort_compile_time_verifier_archINS1_11comp_targetILNS1_3genE3ELNS1_11target_archE908ELNS1_3gpuE7ELNS1_3repE0EEES8_NS1_28merge_sort_block_sort_configILj256ELj4ELNS0_20block_sort_algorithmE0EEENS0_14default_configENS1_37merge_sort_block_sort_config_selectorIddEENS1_38merge_sort_block_merge_config_selectorIddEEEEvv
	.p2align	8
	.type	_ZN7rocprim17ROCPRIM_400000_NS6detail44device_merge_sort_compile_time_verifier_archINS1_11comp_targetILNS1_3genE3ELNS1_11target_archE908ELNS1_3gpuE7ELNS1_3repE0EEES8_NS1_28merge_sort_block_sort_configILj256ELj4ELNS0_20block_sort_algorithmE0EEENS0_14default_configENS1_37merge_sort_block_sort_config_selectorIddEENS1_38merge_sort_block_merge_config_selectorIddEEEEvv,@function
_ZN7rocprim17ROCPRIM_400000_NS6detail44device_merge_sort_compile_time_verifier_archINS1_11comp_targetILNS1_3genE3ELNS1_11target_archE908ELNS1_3gpuE7ELNS1_3repE0EEES8_NS1_28merge_sort_block_sort_configILj256ELj4ELNS0_20block_sort_algorithmE0EEENS0_14default_configENS1_37merge_sort_block_sort_config_selectorIddEENS1_38merge_sort_block_merge_config_selectorIddEEEEvv: ; @_ZN7rocprim17ROCPRIM_400000_NS6detail44device_merge_sort_compile_time_verifier_archINS1_11comp_targetILNS1_3genE3ELNS1_11target_archE908ELNS1_3gpuE7ELNS1_3repE0EEES8_NS1_28merge_sort_block_sort_configILj256ELj4ELNS0_20block_sort_algorithmE0EEENS0_14default_configENS1_37merge_sort_block_sort_config_selectorIddEENS1_38merge_sort_block_merge_config_selectorIddEEEEvv
; %bb.0:
	s_endpgm
	.section	.rodata,"a",@progbits
	.p2align	6, 0x0
	.amdhsa_kernel _ZN7rocprim17ROCPRIM_400000_NS6detail44device_merge_sort_compile_time_verifier_archINS1_11comp_targetILNS1_3genE3ELNS1_11target_archE908ELNS1_3gpuE7ELNS1_3repE0EEES8_NS1_28merge_sort_block_sort_configILj256ELj4ELNS0_20block_sort_algorithmE0EEENS0_14default_configENS1_37merge_sort_block_sort_config_selectorIddEENS1_38merge_sort_block_merge_config_selectorIddEEEEvv
		.amdhsa_group_segment_fixed_size 0
		.amdhsa_private_segment_fixed_size 0
		.amdhsa_kernarg_size 0
		.amdhsa_user_sgpr_count 0
		.amdhsa_user_sgpr_dispatch_ptr 0
		.amdhsa_user_sgpr_queue_ptr 0
		.amdhsa_user_sgpr_kernarg_segment_ptr 0
		.amdhsa_user_sgpr_dispatch_id 0
		.amdhsa_user_sgpr_kernarg_preload_length 0
		.amdhsa_user_sgpr_kernarg_preload_offset 0
		.amdhsa_user_sgpr_private_segment_size 0
		.amdhsa_uses_dynamic_stack 0
		.amdhsa_enable_private_segment 0
		.amdhsa_system_sgpr_workgroup_id_x 1
		.amdhsa_system_sgpr_workgroup_id_y 0
		.amdhsa_system_sgpr_workgroup_id_z 0
		.amdhsa_system_sgpr_workgroup_info 0
		.amdhsa_system_vgpr_workitem_id 0
		.amdhsa_next_free_vgpr 1
		.amdhsa_next_free_sgpr 0
		.amdhsa_accum_offset 4
		.amdhsa_reserve_vcc 0
		.amdhsa_float_round_mode_32 0
		.amdhsa_float_round_mode_16_64 0
		.amdhsa_float_denorm_mode_32 3
		.amdhsa_float_denorm_mode_16_64 3
		.amdhsa_dx10_clamp 1
		.amdhsa_ieee_mode 1
		.amdhsa_fp16_overflow 0
		.amdhsa_tg_split 0
		.amdhsa_exception_fp_ieee_invalid_op 0
		.amdhsa_exception_fp_denorm_src 0
		.amdhsa_exception_fp_ieee_div_zero 0
		.amdhsa_exception_fp_ieee_overflow 0
		.amdhsa_exception_fp_ieee_underflow 0
		.amdhsa_exception_fp_ieee_inexact 0
		.amdhsa_exception_int_div_zero 0
	.end_amdhsa_kernel
	.section	.text._ZN7rocprim17ROCPRIM_400000_NS6detail44device_merge_sort_compile_time_verifier_archINS1_11comp_targetILNS1_3genE3ELNS1_11target_archE908ELNS1_3gpuE7ELNS1_3repE0EEES8_NS1_28merge_sort_block_sort_configILj256ELj4ELNS0_20block_sort_algorithmE0EEENS0_14default_configENS1_37merge_sort_block_sort_config_selectorIddEENS1_38merge_sort_block_merge_config_selectorIddEEEEvv,"axG",@progbits,_ZN7rocprim17ROCPRIM_400000_NS6detail44device_merge_sort_compile_time_verifier_archINS1_11comp_targetILNS1_3genE3ELNS1_11target_archE908ELNS1_3gpuE7ELNS1_3repE0EEES8_NS1_28merge_sort_block_sort_configILj256ELj4ELNS0_20block_sort_algorithmE0EEENS0_14default_configENS1_37merge_sort_block_sort_config_selectorIddEENS1_38merge_sort_block_merge_config_selectorIddEEEEvv,comdat
.Lfunc_end19:
	.size	_ZN7rocprim17ROCPRIM_400000_NS6detail44device_merge_sort_compile_time_verifier_archINS1_11comp_targetILNS1_3genE3ELNS1_11target_archE908ELNS1_3gpuE7ELNS1_3repE0EEES8_NS1_28merge_sort_block_sort_configILj256ELj4ELNS0_20block_sort_algorithmE0EEENS0_14default_configENS1_37merge_sort_block_sort_config_selectorIddEENS1_38merge_sort_block_merge_config_selectorIddEEEEvv, .Lfunc_end19-_ZN7rocprim17ROCPRIM_400000_NS6detail44device_merge_sort_compile_time_verifier_archINS1_11comp_targetILNS1_3genE3ELNS1_11target_archE908ELNS1_3gpuE7ELNS1_3repE0EEES8_NS1_28merge_sort_block_sort_configILj256ELj4ELNS0_20block_sort_algorithmE0EEENS0_14default_configENS1_37merge_sort_block_sort_config_selectorIddEENS1_38merge_sort_block_merge_config_selectorIddEEEEvv
                                        ; -- End function
	.set _ZN7rocprim17ROCPRIM_400000_NS6detail44device_merge_sort_compile_time_verifier_archINS1_11comp_targetILNS1_3genE3ELNS1_11target_archE908ELNS1_3gpuE7ELNS1_3repE0EEES8_NS1_28merge_sort_block_sort_configILj256ELj4ELNS0_20block_sort_algorithmE0EEENS0_14default_configENS1_37merge_sort_block_sort_config_selectorIddEENS1_38merge_sort_block_merge_config_selectorIddEEEEvv.num_vgpr, 0
	.set _ZN7rocprim17ROCPRIM_400000_NS6detail44device_merge_sort_compile_time_verifier_archINS1_11comp_targetILNS1_3genE3ELNS1_11target_archE908ELNS1_3gpuE7ELNS1_3repE0EEES8_NS1_28merge_sort_block_sort_configILj256ELj4ELNS0_20block_sort_algorithmE0EEENS0_14default_configENS1_37merge_sort_block_sort_config_selectorIddEENS1_38merge_sort_block_merge_config_selectorIddEEEEvv.num_agpr, 0
	.set _ZN7rocprim17ROCPRIM_400000_NS6detail44device_merge_sort_compile_time_verifier_archINS1_11comp_targetILNS1_3genE3ELNS1_11target_archE908ELNS1_3gpuE7ELNS1_3repE0EEES8_NS1_28merge_sort_block_sort_configILj256ELj4ELNS0_20block_sort_algorithmE0EEENS0_14default_configENS1_37merge_sort_block_sort_config_selectorIddEENS1_38merge_sort_block_merge_config_selectorIddEEEEvv.numbered_sgpr, 0
	.set _ZN7rocprim17ROCPRIM_400000_NS6detail44device_merge_sort_compile_time_verifier_archINS1_11comp_targetILNS1_3genE3ELNS1_11target_archE908ELNS1_3gpuE7ELNS1_3repE0EEES8_NS1_28merge_sort_block_sort_configILj256ELj4ELNS0_20block_sort_algorithmE0EEENS0_14default_configENS1_37merge_sort_block_sort_config_selectorIddEENS1_38merge_sort_block_merge_config_selectorIddEEEEvv.num_named_barrier, 0
	.set _ZN7rocprim17ROCPRIM_400000_NS6detail44device_merge_sort_compile_time_verifier_archINS1_11comp_targetILNS1_3genE3ELNS1_11target_archE908ELNS1_3gpuE7ELNS1_3repE0EEES8_NS1_28merge_sort_block_sort_configILj256ELj4ELNS0_20block_sort_algorithmE0EEENS0_14default_configENS1_37merge_sort_block_sort_config_selectorIddEENS1_38merge_sort_block_merge_config_selectorIddEEEEvv.private_seg_size, 0
	.set _ZN7rocprim17ROCPRIM_400000_NS6detail44device_merge_sort_compile_time_verifier_archINS1_11comp_targetILNS1_3genE3ELNS1_11target_archE908ELNS1_3gpuE7ELNS1_3repE0EEES8_NS1_28merge_sort_block_sort_configILj256ELj4ELNS0_20block_sort_algorithmE0EEENS0_14default_configENS1_37merge_sort_block_sort_config_selectorIddEENS1_38merge_sort_block_merge_config_selectorIddEEEEvv.uses_vcc, 0
	.set _ZN7rocprim17ROCPRIM_400000_NS6detail44device_merge_sort_compile_time_verifier_archINS1_11comp_targetILNS1_3genE3ELNS1_11target_archE908ELNS1_3gpuE7ELNS1_3repE0EEES8_NS1_28merge_sort_block_sort_configILj256ELj4ELNS0_20block_sort_algorithmE0EEENS0_14default_configENS1_37merge_sort_block_sort_config_selectorIddEENS1_38merge_sort_block_merge_config_selectorIddEEEEvv.uses_flat_scratch, 0
	.set _ZN7rocprim17ROCPRIM_400000_NS6detail44device_merge_sort_compile_time_verifier_archINS1_11comp_targetILNS1_3genE3ELNS1_11target_archE908ELNS1_3gpuE7ELNS1_3repE0EEES8_NS1_28merge_sort_block_sort_configILj256ELj4ELNS0_20block_sort_algorithmE0EEENS0_14default_configENS1_37merge_sort_block_sort_config_selectorIddEENS1_38merge_sort_block_merge_config_selectorIddEEEEvv.has_dyn_sized_stack, 0
	.set _ZN7rocprim17ROCPRIM_400000_NS6detail44device_merge_sort_compile_time_verifier_archINS1_11comp_targetILNS1_3genE3ELNS1_11target_archE908ELNS1_3gpuE7ELNS1_3repE0EEES8_NS1_28merge_sort_block_sort_configILj256ELj4ELNS0_20block_sort_algorithmE0EEENS0_14default_configENS1_37merge_sort_block_sort_config_selectorIddEENS1_38merge_sort_block_merge_config_selectorIddEEEEvv.has_recursion, 0
	.set _ZN7rocprim17ROCPRIM_400000_NS6detail44device_merge_sort_compile_time_verifier_archINS1_11comp_targetILNS1_3genE3ELNS1_11target_archE908ELNS1_3gpuE7ELNS1_3repE0EEES8_NS1_28merge_sort_block_sort_configILj256ELj4ELNS0_20block_sort_algorithmE0EEENS0_14default_configENS1_37merge_sort_block_sort_config_selectorIddEENS1_38merge_sort_block_merge_config_selectorIddEEEEvv.has_indirect_call, 0
	.section	.AMDGPU.csdata,"",@progbits
; Kernel info:
; codeLenInByte = 4
; TotalNumSgprs: 6
; NumVgprs: 0
; NumAgprs: 0
; TotalNumVgprs: 0
; ScratchSize: 0
; MemoryBound: 0
; FloatMode: 240
; IeeeMode: 1
; LDSByteSize: 0 bytes/workgroup (compile time only)
; SGPRBlocks: 0
; VGPRBlocks: 0
; NumSGPRsForWavesPerEU: 6
; NumVGPRsForWavesPerEU: 1
; AccumOffset: 4
; Occupancy: 8
; WaveLimiterHint : 0
; COMPUTE_PGM_RSRC2:SCRATCH_EN: 0
; COMPUTE_PGM_RSRC2:USER_SGPR: 0
; COMPUTE_PGM_RSRC2:TRAP_HANDLER: 0
; COMPUTE_PGM_RSRC2:TGID_X_EN: 1
; COMPUTE_PGM_RSRC2:TGID_Y_EN: 0
; COMPUTE_PGM_RSRC2:TGID_Z_EN: 0
; COMPUTE_PGM_RSRC2:TIDIG_COMP_CNT: 0
; COMPUTE_PGM_RSRC3_GFX90A:ACCUM_OFFSET: 0
; COMPUTE_PGM_RSRC3_GFX90A:TG_SPLIT: 0
	.section	.text._ZN7rocprim17ROCPRIM_400000_NS6detail44device_merge_sort_compile_time_verifier_archINS1_11comp_targetILNS1_3genE2ELNS1_11target_archE906ELNS1_3gpuE6ELNS1_3repE0EEES8_NS1_28merge_sort_block_sort_configILj256ELj4ELNS0_20block_sort_algorithmE0EEENS0_14default_configENS1_37merge_sort_block_sort_config_selectorIddEENS1_38merge_sort_block_merge_config_selectorIddEEEEvv,"axG",@progbits,_ZN7rocprim17ROCPRIM_400000_NS6detail44device_merge_sort_compile_time_verifier_archINS1_11comp_targetILNS1_3genE2ELNS1_11target_archE906ELNS1_3gpuE6ELNS1_3repE0EEES8_NS1_28merge_sort_block_sort_configILj256ELj4ELNS0_20block_sort_algorithmE0EEENS0_14default_configENS1_37merge_sort_block_sort_config_selectorIddEENS1_38merge_sort_block_merge_config_selectorIddEEEEvv,comdat
	.protected	_ZN7rocprim17ROCPRIM_400000_NS6detail44device_merge_sort_compile_time_verifier_archINS1_11comp_targetILNS1_3genE2ELNS1_11target_archE906ELNS1_3gpuE6ELNS1_3repE0EEES8_NS1_28merge_sort_block_sort_configILj256ELj4ELNS0_20block_sort_algorithmE0EEENS0_14default_configENS1_37merge_sort_block_sort_config_selectorIddEENS1_38merge_sort_block_merge_config_selectorIddEEEEvv ; -- Begin function _ZN7rocprim17ROCPRIM_400000_NS6detail44device_merge_sort_compile_time_verifier_archINS1_11comp_targetILNS1_3genE2ELNS1_11target_archE906ELNS1_3gpuE6ELNS1_3repE0EEES8_NS1_28merge_sort_block_sort_configILj256ELj4ELNS0_20block_sort_algorithmE0EEENS0_14default_configENS1_37merge_sort_block_sort_config_selectorIddEENS1_38merge_sort_block_merge_config_selectorIddEEEEvv
	.globl	_ZN7rocprim17ROCPRIM_400000_NS6detail44device_merge_sort_compile_time_verifier_archINS1_11comp_targetILNS1_3genE2ELNS1_11target_archE906ELNS1_3gpuE6ELNS1_3repE0EEES8_NS1_28merge_sort_block_sort_configILj256ELj4ELNS0_20block_sort_algorithmE0EEENS0_14default_configENS1_37merge_sort_block_sort_config_selectorIddEENS1_38merge_sort_block_merge_config_selectorIddEEEEvv
	.p2align	8
	.type	_ZN7rocprim17ROCPRIM_400000_NS6detail44device_merge_sort_compile_time_verifier_archINS1_11comp_targetILNS1_3genE2ELNS1_11target_archE906ELNS1_3gpuE6ELNS1_3repE0EEES8_NS1_28merge_sort_block_sort_configILj256ELj4ELNS0_20block_sort_algorithmE0EEENS0_14default_configENS1_37merge_sort_block_sort_config_selectorIddEENS1_38merge_sort_block_merge_config_selectorIddEEEEvv,@function
_ZN7rocprim17ROCPRIM_400000_NS6detail44device_merge_sort_compile_time_verifier_archINS1_11comp_targetILNS1_3genE2ELNS1_11target_archE906ELNS1_3gpuE6ELNS1_3repE0EEES8_NS1_28merge_sort_block_sort_configILj256ELj4ELNS0_20block_sort_algorithmE0EEENS0_14default_configENS1_37merge_sort_block_sort_config_selectorIddEENS1_38merge_sort_block_merge_config_selectorIddEEEEvv: ; @_ZN7rocprim17ROCPRIM_400000_NS6detail44device_merge_sort_compile_time_verifier_archINS1_11comp_targetILNS1_3genE2ELNS1_11target_archE906ELNS1_3gpuE6ELNS1_3repE0EEES8_NS1_28merge_sort_block_sort_configILj256ELj4ELNS0_20block_sort_algorithmE0EEENS0_14default_configENS1_37merge_sort_block_sort_config_selectorIddEENS1_38merge_sort_block_merge_config_selectorIddEEEEvv
; %bb.0:
	s_endpgm
	.section	.rodata,"a",@progbits
	.p2align	6, 0x0
	.amdhsa_kernel _ZN7rocprim17ROCPRIM_400000_NS6detail44device_merge_sort_compile_time_verifier_archINS1_11comp_targetILNS1_3genE2ELNS1_11target_archE906ELNS1_3gpuE6ELNS1_3repE0EEES8_NS1_28merge_sort_block_sort_configILj256ELj4ELNS0_20block_sort_algorithmE0EEENS0_14default_configENS1_37merge_sort_block_sort_config_selectorIddEENS1_38merge_sort_block_merge_config_selectorIddEEEEvv
		.amdhsa_group_segment_fixed_size 0
		.amdhsa_private_segment_fixed_size 0
		.amdhsa_kernarg_size 0
		.amdhsa_user_sgpr_count 0
		.amdhsa_user_sgpr_dispatch_ptr 0
		.amdhsa_user_sgpr_queue_ptr 0
		.amdhsa_user_sgpr_kernarg_segment_ptr 0
		.amdhsa_user_sgpr_dispatch_id 0
		.amdhsa_user_sgpr_kernarg_preload_length 0
		.amdhsa_user_sgpr_kernarg_preload_offset 0
		.amdhsa_user_sgpr_private_segment_size 0
		.amdhsa_uses_dynamic_stack 0
		.amdhsa_enable_private_segment 0
		.amdhsa_system_sgpr_workgroup_id_x 1
		.amdhsa_system_sgpr_workgroup_id_y 0
		.amdhsa_system_sgpr_workgroup_id_z 0
		.amdhsa_system_sgpr_workgroup_info 0
		.amdhsa_system_vgpr_workitem_id 0
		.amdhsa_next_free_vgpr 1
		.amdhsa_next_free_sgpr 0
		.amdhsa_accum_offset 4
		.amdhsa_reserve_vcc 0
		.amdhsa_float_round_mode_32 0
		.amdhsa_float_round_mode_16_64 0
		.amdhsa_float_denorm_mode_32 3
		.amdhsa_float_denorm_mode_16_64 3
		.amdhsa_dx10_clamp 1
		.amdhsa_ieee_mode 1
		.amdhsa_fp16_overflow 0
		.amdhsa_tg_split 0
		.amdhsa_exception_fp_ieee_invalid_op 0
		.amdhsa_exception_fp_denorm_src 0
		.amdhsa_exception_fp_ieee_div_zero 0
		.amdhsa_exception_fp_ieee_overflow 0
		.amdhsa_exception_fp_ieee_underflow 0
		.amdhsa_exception_fp_ieee_inexact 0
		.amdhsa_exception_int_div_zero 0
	.end_amdhsa_kernel
	.section	.text._ZN7rocprim17ROCPRIM_400000_NS6detail44device_merge_sort_compile_time_verifier_archINS1_11comp_targetILNS1_3genE2ELNS1_11target_archE906ELNS1_3gpuE6ELNS1_3repE0EEES8_NS1_28merge_sort_block_sort_configILj256ELj4ELNS0_20block_sort_algorithmE0EEENS0_14default_configENS1_37merge_sort_block_sort_config_selectorIddEENS1_38merge_sort_block_merge_config_selectorIddEEEEvv,"axG",@progbits,_ZN7rocprim17ROCPRIM_400000_NS6detail44device_merge_sort_compile_time_verifier_archINS1_11comp_targetILNS1_3genE2ELNS1_11target_archE906ELNS1_3gpuE6ELNS1_3repE0EEES8_NS1_28merge_sort_block_sort_configILj256ELj4ELNS0_20block_sort_algorithmE0EEENS0_14default_configENS1_37merge_sort_block_sort_config_selectorIddEENS1_38merge_sort_block_merge_config_selectorIddEEEEvv,comdat
.Lfunc_end20:
	.size	_ZN7rocprim17ROCPRIM_400000_NS6detail44device_merge_sort_compile_time_verifier_archINS1_11comp_targetILNS1_3genE2ELNS1_11target_archE906ELNS1_3gpuE6ELNS1_3repE0EEES8_NS1_28merge_sort_block_sort_configILj256ELj4ELNS0_20block_sort_algorithmE0EEENS0_14default_configENS1_37merge_sort_block_sort_config_selectorIddEENS1_38merge_sort_block_merge_config_selectorIddEEEEvv, .Lfunc_end20-_ZN7rocprim17ROCPRIM_400000_NS6detail44device_merge_sort_compile_time_verifier_archINS1_11comp_targetILNS1_3genE2ELNS1_11target_archE906ELNS1_3gpuE6ELNS1_3repE0EEES8_NS1_28merge_sort_block_sort_configILj256ELj4ELNS0_20block_sort_algorithmE0EEENS0_14default_configENS1_37merge_sort_block_sort_config_selectorIddEENS1_38merge_sort_block_merge_config_selectorIddEEEEvv
                                        ; -- End function
	.set _ZN7rocprim17ROCPRIM_400000_NS6detail44device_merge_sort_compile_time_verifier_archINS1_11comp_targetILNS1_3genE2ELNS1_11target_archE906ELNS1_3gpuE6ELNS1_3repE0EEES8_NS1_28merge_sort_block_sort_configILj256ELj4ELNS0_20block_sort_algorithmE0EEENS0_14default_configENS1_37merge_sort_block_sort_config_selectorIddEENS1_38merge_sort_block_merge_config_selectorIddEEEEvv.num_vgpr, 0
	.set _ZN7rocprim17ROCPRIM_400000_NS6detail44device_merge_sort_compile_time_verifier_archINS1_11comp_targetILNS1_3genE2ELNS1_11target_archE906ELNS1_3gpuE6ELNS1_3repE0EEES8_NS1_28merge_sort_block_sort_configILj256ELj4ELNS0_20block_sort_algorithmE0EEENS0_14default_configENS1_37merge_sort_block_sort_config_selectorIddEENS1_38merge_sort_block_merge_config_selectorIddEEEEvv.num_agpr, 0
	.set _ZN7rocprim17ROCPRIM_400000_NS6detail44device_merge_sort_compile_time_verifier_archINS1_11comp_targetILNS1_3genE2ELNS1_11target_archE906ELNS1_3gpuE6ELNS1_3repE0EEES8_NS1_28merge_sort_block_sort_configILj256ELj4ELNS0_20block_sort_algorithmE0EEENS0_14default_configENS1_37merge_sort_block_sort_config_selectorIddEENS1_38merge_sort_block_merge_config_selectorIddEEEEvv.numbered_sgpr, 0
	.set _ZN7rocprim17ROCPRIM_400000_NS6detail44device_merge_sort_compile_time_verifier_archINS1_11comp_targetILNS1_3genE2ELNS1_11target_archE906ELNS1_3gpuE6ELNS1_3repE0EEES8_NS1_28merge_sort_block_sort_configILj256ELj4ELNS0_20block_sort_algorithmE0EEENS0_14default_configENS1_37merge_sort_block_sort_config_selectorIddEENS1_38merge_sort_block_merge_config_selectorIddEEEEvv.num_named_barrier, 0
	.set _ZN7rocprim17ROCPRIM_400000_NS6detail44device_merge_sort_compile_time_verifier_archINS1_11comp_targetILNS1_3genE2ELNS1_11target_archE906ELNS1_3gpuE6ELNS1_3repE0EEES8_NS1_28merge_sort_block_sort_configILj256ELj4ELNS0_20block_sort_algorithmE0EEENS0_14default_configENS1_37merge_sort_block_sort_config_selectorIddEENS1_38merge_sort_block_merge_config_selectorIddEEEEvv.private_seg_size, 0
	.set _ZN7rocprim17ROCPRIM_400000_NS6detail44device_merge_sort_compile_time_verifier_archINS1_11comp_targetILNS1_3genE2ELNS1_11target_archE906ELNS1_3gpuE6ELNS1_3repE0EEES8_NS1_28merge_sort_block_sort_configILj256ELj4ELNS0_20block_sort_algorithmE0EEENS0_14default_configENS1_37merge_sort_block_sort_config_selectorIddEENS1_38merge_sort_block_merge_config_selectorIddEEEEvv.uses_vcc, 0
	.set _ZN7rocprim17ROCPRIM_400000_NS6detail44device_merge_sort_compile_time_verifier_archINS1_11comp_targetILNS1_3genE2ELNS1_11target_archE906ELNS1_3gpuE6ELNS1_3repE0EEES8_NS1_28merge_sort_block_sort_configILj256ELj4ELNS0_20block_sort_algorithmE0EEENS0_14default_configENS1_37merge_sort_block_sort_config_selectorIddEENS1_38merge_sort_block_merge_config_selectorIddEEEEvv.uses_flat_scratch, 0
	.set _ZN7rocprim17ROCPRIM_400000_NS6detail44device_merge_sort_compile_time_verifier_archINS1_11comp_targetILNS1_3genE2ELNS1_11target_archE906ELNS1_3gpuE6ELNS1_3repE0EEES8_NS1_28merge_sort_block_sort_configILj256ELj4ELNS0_20block_sort_algorithmE0EEENS0_14default_configENS1_37merge_sort_block_sort_config_selectorIddEENS1_38merge_sort_block_merge_config_selectorIddEEEEvv.has_dyn_sized_stack, 0
	.set _ZN7rocprim17ROCPRIM_400000_NS6detail44device_merge_sort_compile_time_verifier_archINS1_11comp_targetILNS1_3genE2ELNS1_11target_archE906ELNS1_3gpuE6ELNS1_3repE0EEES8_NS1_28merge_sort_block_sort_configILj256ELj4ELNS0_20block_sort_algorithmE0EEENS0_14default_configENS1_37merge_sort_block_sort_config_selectorIddEENS1_38merge_sort_block_merge_config_selectorIddEEEEvv.has_recursion, 0
	.set _ZN7rocprim17ROCPRIM_400000_NS6detail44device_merge_sort_compile_time_verifier_archINS1_11comp_targetILNS1_3genE2ELNS1_11target_archE906ELNS1_3gpuE6ELNS1_3repE0EEES8_NS1_28merge_sort_block_sort_configILj256ELj4ELNS0_20block_sort_algorithmE0EEENS0_14default_configENS1_37merge_sort_block_sort_config_selectorIddEENS1_38merge_sort_block_merge_config_selectorIddEEEEvv.has_indirect_call, 0
	.section	.AMDGPU.csdata,"",@progbits
; Kernel info:
; codeLenInByte = 4
; TotalNumSgprs: 6
; NumVgprs: 0
; NumAgprs: 0
; TotalNumVgprs: 0
; ScratchSize: 0
; MemoryBound: 0
; FloatMode: 240
; IeeeMode: 1
; LDSByteSize: 0 bytes/workgroup (compile time only)
; SGPRBlocks: 0
; VGPRBlocks: 0
; NumSGPRsForWavesPerEU: 6
; NumVGPRsForWavesPerEU: 1
; AccumOffset: 4
; Occupancy: 8
; WaveLimiterHint : 0
; COMPUTE_PGM_RSRC2:SCRATCH_EN: 0
; COMPUTE_PGM_RSRC2:USER_SGPR: 0
; COMPUTE_PGM_RSRC2:TRAP_HANDLER: 0
; COMPUTE_PGM_RSRC2:TGID_X_EN: 1
; COMPUTE_PGM_RSRC2:TGID_Y_EN: 0
; COMPUTE_PGM_RSRC2:TGID_Z_EN: 0
; COMPUTE_PGM_RSRC2:TIDIG_COMP_CNT: 0
; COMPUTE_PGM_RSRC3_GFX90A:ACCUM_OFFSET: 0
; COMPUTE_PGM_RSRC3_GFX90A:TG_SPLIT: 0
	.section	.text._ZN7rocprim17ROCPRIM_400000_NS6detail44device_merge_sort_compile_time_verifier_archINS1_11comp_targetILNS1_3genE10ELNS1_11target_archE1201ELNS1_3gpuE5ELNS1_3repE0EEES8_NS1_28merge_sort_block_sort_configILj256ELj4ELNS0_20block_sort_algorithmE0EEENS0_14default_configENS1_37merge_sort_block_sort_config_selectorIddEENS1_38merge_sort_block_merge_config_selectorIddEEEEvv,"axG",@progbits,_ZN7rocprim17ROCPRIM_400000_NS6detail44device_merge_sort_compile_time_verifier_archINS1_11comp_targetILNS1_3genE10ELNS1_11target_archE1201ELNS1_3gpuE5ELNS1_3repE0EEES8_NS1_28merge_sort_block_sort_configILj256ELj4ELNS0_20block_sort_algorithmE0EEENS0_14default_configENS1_37merge_sort_block_sort_config_selectorIddEENS1_38merge_sort_block_merge_config_selectorIddEEEEvv,comdat
	.protected	_ZN7rocprim17ROCPRIM_400000_NS6detail44device_merge_sort_compile_time_verifier_archINS1_11comp_targetILNS1_3genE10ELNS1_11target_archE1201ELNS1_3gpuE5ELNS1_3repE0EEES8_NS1_28merge_sort_block_sort_configILj256ELj4ELNS0_20block_sort_algorithmE0EEENS0_14default_configENS1_37merge_sort_block_sort_config_selectorIddEENS1_38merge_sort_block_merge_config_selectorIddEEEEvv ; -- Begin function _ZN7rocprim17ROCPRIM_400000_NS6detail44device_merge_sort_compile_time_verifier_archINS1_11comp_targetILNS1_3genE10ELNS1_11target_archE1201ELNS1_3gpuE5ELNS1_3repE0EEES8_NS1_28merge_sort_block_sort_configILj256ELj4ELNS0_20block_sort_algorithmE0EEENS0_14default_configENS1_37merge_sort_block_sort_config_selectorIddEENS1_38merge_sort_block_merge_config_selectorIddEEEEvv
	.globl	_ZN7rocprim17ROCPRIM_400000_NS6detail44device_merge_sort_compile_time_verifier_archINS1_11comp_targetILNS1_3genE10ELNS1_11target_archE1201ELNS1_3gpuE5ELNS1_3repE0EEES8_NS1_28merge_sort_block_sort_configILj256ELj4ELNS0_20block_sort_algorithmE0EEENS0_14default_configENS1_37merge_sort_block_sort_config_selectorIddEENS1_38merge_sort_block_merge_config_selectorIddEEEEvv
	.p2align	8
	.type	_ZN7rocprim17ROCPRIM_400000_NS6detail44device_merge_sort_compile_time_verifier_archINS1_11comp_targetILNS1_3genE10ELNS1_11target_archE1201ELNS1_3gpuE5ELNS1_3repE0EEES8_NS1_28merge_sort_block_sort_configILj256ELj4ELNS0_20block_sort_algorithmE0EEENS0_14default_configENS1_37merge_sort_block_sort_config_selectorIddEENS1_38merge_sort_block_merge_config_selectorIddEEEEvv,@function
_ZN7rocprim17ROCPRIM_400000_NS6detail44device_merge_sort_compile_time_verifier_archINS1_11comp_targetILNS1_3genE10ELNS1_11target_archE1201ELNS1_3gpuE5ELNS1_3repE0EEES8_NS1_28merge_sort_block_sort_configILj256ELj4ELNS0_20block_sort_algorithmE0EEENS0_14default_configENS1_37merge_sort_block_sort_config_selectorIddEENS1_38merge_sort_block_merge_config_selectorIddEEEEvv: ; @_ZN7rocprim17ROCPRIM_400000_NS6detail44device_merge_sort_compile_time_verifier_archINS1_11comp_targetILNS1_3genE10ELNS1_11target_archE1201ELNS1_3gpuE5ELNS1_3repE0EEES8_NS1_28merge_sort_block_sort_configILj256ELj4ELNS0_20block_sort_algorithmE0EEENS0_14default_configENS1_37merge_sort_block_sort_config_selectorIddEENS1_38merge_sort_block_merge_config_selectorIddEEEEvv
; %bb.0:
	s_endpgm
	.section	.rodata,"a",@progbits
	.p2align	6, 0x0
	.amdhsa_kernel _ZN7rocprim17ROCPRIM_400000_NS6detail44device_merge_sort_compile_time_verifier_archINS1_11comp_targetILNS1_3genE10ELNS1_11target_archE1201ELNS1_3gpuE5ELNS1_3repE0EEES8_NS1_28merge_sort_block_sort_configILj256ELj4ELNS0_20block_sort_algorithmE0EEENS0_14default_configENS1_37merge_sort_block_sort_config_selectorIddEENS1_38merge_sort_block_merge_config_selectorIddEEEEvv
		.amdhsa_group_segment_fixed_size 0
		.amdhsa_private_segment_fixed_size 0
		.amdhsa_kernarg_size 0
		.amdhsa_user_sgpr_count 0
		.amdhsa_user_sgpr_dispatch_ptr 0
		.amdhsa_user_sgpr_queue_ptr 0
		.amdhsa_user_sgpr_kernarg_segment_ptr 0
		.amdhsa_user_sgpr_dispatch_id 0
		.amdhsa_user_sgpr_kernarg_preload_length 0
		.amdhsa_user_sgpr_kernarg_preload_offset 0
		.amdhsa_user_sgpr_private_segment_size 0
		.amdhsa_uses_dynamic_stack 0
		.amdhsa_enable_private_segment 0
		.amdhsa_system_sgpr_workgroup_id_x 1
		.amdhsa_system_sgpr_workgroup_id_y 0
		.amdhsa_system_sgpr_workgroup_id_z 0
		.amdhsa_system_sgpr_workgroup_info 0
		.amdhsa_system_vgpr_workitem_id 0
		.amdhsa_next_free_vgpr 1
		.amdhsa_next_free_sgpr 0
		.amdhsa_accum_offset 4
		.amdhsa_reserve_vcc 0
		.amdhsa_float_round_mode_32 0
		.amdhsa_float_round_mode_16_64 0
		.amdhsa_float_denorm_mode_32 3
		.amdhsa_float_denorm_mode_16_64 3
		.amdhsa_dx10_clamp 1
		.amdhsa_ieee_mode 1
		.amdhsa_fp16_overflow 0
		.amdhsa_tg_split 0
		.amdhsa_exception_fp_ieee_invalid_op 0
		.amdhsa_exception_fp_denorm_src 0
		.amdhsa_exception_fp_ieee_div_zero 0
		.amdhsa_exception_fp_ieee_overflow 0
		.amdhsa_exception_fp_ieee_underflow 0
		.amdhsa_exception_fp_ieee_inexact 0
		.amdhsa_exception_int_div_zero 0
	.end_amdhsa_kernel
	.section	.text._ZN7rocprim17ROCPRIM_400000_NS6detail44device_merge_sort_compile_time_verifier_archINS1_11comp_targetILNS1_3genE10ELNS1_11target_archE1201ELNS1_3gpuE5ELNS1_3repE0EEES8_NS1_28merge_sort_block_sort_configILj256ELj4ELNS0_20block_sort_algorithmE0EEENS0_14default_configENS1_37merge_sort_block_sort_config_selectorIddEENS1_38merge_sort_block_merge_config_selectorIddEEEEvv,"axG",@progbits,_ZN7rocprim17ROCPRIM_400000_NS6detail44device_merge_sort_compile_time_verifier_archINS1_11comp_targetILNS1_3genE10ELNS1_11target_archE1201ELNS1_3gpuE5ELNS1_3repE0EEES8_NS1_28merge_sort_block_sort_configILj256ELj4ELNS0_20block_sort_algorithmE0EEENS0_14default_configENS1_37merge_sort_block_sort_config_selectorIddEENS1_38merge_sort_block_merge_config_selectorIddEEEEvv,comdat
.Lfunc_end21:
	.size	_ZN7rocprim17ROCPRIM_400000_NS6detail44device_merge_sort_compile_time_verifier_archINS1_11comp_targetILNS1_3genE10ELNS1_11target_archE1201ELNS1_3gpuE5ELNS1_3repE0EEES8_NS1_28merge_sort_block_sort_configILj256ELj4ELNS0_20block_sort_algorithmE0EEENS0_14default_configENS1_37merge_sort_block_sort_config_selectorIddEENS1_38merge_sort_block_merge_config_selectorIddEEEEvv, .Lfunc_end21-_ZN7rocprim17ROCPRIM_400000_NS6detail44device_merge_sort_compile_time_verifier_archINS1_11comp_targetILNS1_3genE10ELNS1_11target_archE1201ELNS1_3gpuE5ELNS1_3repE0EEES8_NS1_28merge_sort_block_sort_configILj256ELj4ELNS0_20block_sort_algorithmE0EEENS0_14default_configENS1_37merge_sort_block_sort_config_selectorIddEENS1_38merge_sort_block_merge_config_selectorIddEEEEvv
                                        ; -- End function
	.set _ZN7rocprim17ROCPRIM_400000_NS6detail44device_merge_sort_compile_time_verifier_archINS1_11comp_targetILNS1_3genE10ELNS1_11target_archE1201ELNS1_3gpuE5ELNS1_3repE0EEES8_NS1_28merge_sort_block_sort_configILj256ELj4ELNS0_20block_sort_algorithmE0EEENS0_14default_configENS1_37merge_sort_block_sort_config_selectorIddEENS1_38merge_sort_block_merge_config_selectorIddEEEEvv.num_vgpr, 0
	.set _ZN7rocprim17ROCPRIM_400000_NS6detail44device_merge_sort_compile_time_verifier_archINS1_11comp_targetILNS1_3genE10ELNS1_11target_archE1201ELNS1_3gpuE5ELNS1_3repE0EEES8_NS1_28merge_sort_block_sort_configILj256ELj4ELNS0_20block_sort_algorithmE0EEENS0_14default_configENS1_37merge_sort_block_sort_config_selectorIddEENS1_38merge_sort_block_merge_config_selectorIddEEEEvv.num_agpr, 0
	.set _ZN7rocprim17ROCPRIM_400000_NS6detail44device_merge_sort_compile_time_verifier_archINS1_11comp_targetILNS1_3genE10ELNS1_11target_archE1201ELNS1_3gpuE5ELNS1_3repE0EEES8_NS1_28merge_sort_block_sort_configILj256ELj4ELNS0_20block_sort_algorithmE0EEENS0_14default_configENS1_37merge_sort_block_sort_config_selectorIddEENS1_38merge_sort_block_merge_config_selectorIddEEEEvv.numbered_sgpr, 0
	.set _ZN7rocprim17ROCPRIM_400000_NS6detail44device_merge_sort_compile_time_verifier_archINS1_11comp_targetILNS1_3genE10ELNS1_11target_archE1201ELNS1_3gpuE5ELNS1_3repE0EEES8_NS1_28merge_sort_block_sort_configILj256ELj4ELNS0_20block_sort_algorithmE0EEENS0_14default_configENS1_37merge_sort_block_sort_config_selectorIddEENS1_38merge_sort_block_merge_config_selectorIddEEEEvv.num_named_barrier, 0
	.set _ZN7rocprim17ROCPRIM_400000_NS6detail44device_merge_sort_compile_time_verifier_archINS1_11comp_targetILNS1_3genE10ELNS1_11target_archE1201ELNS1_3gpuE5ELNS1_3repE0EEES8_NS1_28merge_sort_block_sort_configILj256ELj4ELNS0_20block_sort_algorithmE0EEENS0_14default_configENS1_37merge_sort_block_sort_config_selectorIddEENS1_38merge_sort_block_merge_config_selectorIddEEEEvv.private_seg_size, 0
	.set _ZN7rocprim17ROCPRIM_400000_NS6detail44device_merge_sort_compile_time_verifier_archINS1_11comp_targetILNS1_3genE10ELNS1_11target_archE1201ELNS1_3gpuE5ELNS1_3repE0EEES8_NS1_28merge_sort_block_sort_configILj256ELj4ELNS0_20block_sort_algorithmE0EEENS0_14default_configENS1_37merge_sort_block_sort_config_selectorIddEENS1_38merge_sort_block_merge_config_selectorIddEEEEvv.uses_vcc, 0
	.set _ZN7rocprim17ROCPRIM_400000_NS6detail44device_merge_sort_compile_time_verifier_archINS1_11comp_targetILNS1_3genE10ELNS1_11target_archE1201ELNS1_3gpuE5ELNS1_3repE0EEES8_NS1_28merge_sort_block_sort_configILj256ELj4ELNS0_20block_sort_algorithmE0EEENS0_14default_configENS1_37merge_sort_block_sort_config_selectorIddEENS1_38merge_sort_block_merge_config_selectorIddEEEEvv.uses_flat_scratch, 0
	.set _ZN7rocprim17ROCPRIM_400000_NS6detail44device_merge_sort_compile_time_verifier_archINS1_11comp_targetILNS1_3genE10ELNS1_11target_archE1201ELNS1_3gpuE5ELNS1_3repE0EEES8_NS1_28merge_sort_block_sort_configILj256ELj4ELNS0_20block_sort_algorithmE0EEENS0_14default_configENS1_37merge_sort_block_sort_config_selectorIddEENS1_38merge_sort_block_merge_config_selectorIddEEEEvv.has_dyn_sized_stack, 0
	.set _ZN7rocprim17ROCPRIM_400000_NS6detail44device_merge_sort_compile_time_verifier_archINS1_11comp_targetILNS1_3genE10ELNS1_11target_archE1201ELNS1_3gpuE5ELNS1_3repE0EEES8_NS1_28merge_sort_block_sort_configILj256ELj4ELNS0_20block_sort_algorithmE0EEENS0_14default_configENS1_37merge_sort_block_sort_config_selectorIddEENS1_38merge_sort_block_merge_config_selectorIddEEEEvv.has_recursion, 0
	.set _ZN7rocprim17ROCPRIM_400000_NS6detail44device_merge_sort_compile_time_verifier_archINS1_11comp_targetILNS1_3genE10ELNS1_11target_archE1201ELNS1_3gpuE5ELNS1_3repE0EEES8_NS1_28merge_sort_block_sort_configILj256ELj4ELNS0_20block_sort_algorithmE0EEENS0_14default_configENS1_37merge_sort_block_sort_config_selectorIddEENS1_38merge_sort_block_merge_config_selectorIddEEEEvv.has_indirect_call, 0
	.section	.AMDGPU.csdata,"",@progbits
; Kernel info:
; codeLenInByte = 4
; TotalNumSgprs: 6
; NumVgprs: 0
; NumAgprs: 0
; TotalNumVgprs: 0
; ScratchSize: 0
; MemoryBound: 0
; FloatMode: 240
; IeeeMode: 1
; LDSByteSize: 0 bytes/workgroup (compile time only)
; SGPRBlocks: 0
; VGPRBlocks: 0
; NumSGPRsForWavesPerEU: 6
; NumVGPRsForWavesPerEU: 1
; AccumOffset: 4
; Occupancy: 8
; WaveLimiterHint : 0
; COMPUTE_PGM_RSRC2:SCRATCH_EN: 0
; COMPUTE_PGM_RSRC2:USER_SGPR: 0
; COMPUTE_PGM_RSRC2:TRAP_HANDLER: 0
; COMPUTE_PGM_RSRC2:TGID_X_EN: 1
; COMPUTE_PGM_RSRC2:TGID_Y_EN: 0
; COMPUTE_PGM_RSRC2:TGID_Z_EN: 0
; COMPUTE_PGM_RSRC2:TIDIG_COMP_CNT: 0
; COMPUTE_PGM_RSRC3_GFX90A:ACCUM_OFFSET: 0
; COMPUTE_PGM_RSRC3_GFX90A:TG_SPLIT: 0
	.section	.text._ZN7rocprim17ROCPRIM_400000_NS6detail44device_merge_sort_compile_time_verifier_archINS1_11comp_targetILNS1_3genE10ELNS1_11target_archE1200ELNS1_3gpuE4ELNS1_3repE0EEENS3_ILS4_10ELS5_1201ELS6_5ELS7_0EEENS1_28merge_sort_block_sort_configILj256ELj4ELNS0_20block_sort_algorithmE0EEENS0_14default_configENS1_37merge_sort_block_sort_config_selectorIddEENS1_38merge_sort_block_merge_config_selectorIddEEEEvv,"axG",@progbits,_ZN7rocprim17ROCPRIM_400000_NS6detail44device_merge_sort_compile_time_verifier_archINS1_11comp_targetILNS1_3genE10ELNS1_11target_archE1200ELNS1_3gpuE4ELNS1_3repE0EEENS3_ILS4_10ELS5_1201ELS6_5ELS7_0EEENS1_28merge_sort_block_sort_configILj256ELj4ELNS0_20block_sort_algorithmE0EEENS0_14default_configENS1_37merge_sort_block_sort_config_selectorIddEENS1_38merge_sort_block_merge_config_selectorIddEEEEvv,comdat
	.protected	_ZN7rocprim17ROCPRIM_400000_NS6detail44device_merge_sort_compile_time_verifier_archINS1_11comp_targetILNS1_3genE10ELNS1_11target_archE1200ELNS1_3gpuE4ELNS1_3repE0EEENS3_ILS4_10ELS5_1201ELS6_5ELS7_0EEENS1_28merge_sort_block_sort_configILj256ELj4ELNS0_20block_sort_algorithmE0EEENS0_14default_configENS1_37merge_sort_block_sort_config_selectorIddEENS1_38merge_sort_block_merge_config_selectorIddEEEEvv ; -- Begin function _ZN7rocprim17ROCPRIM_400000_NS6detail44device_merge_sort_compile_time_verifier_archINS1_11comp_targetILNS1_3genE10ELNS1_11target_archE1200ELNS1_3gpuE4ELNS1_3repE0EEENS3_ILS4_10ELS5_1201ELS6_5ELS7_0EEENS1_28merge_sort_block_sort_configILj256ELj4ELNS0_20block_sort_algorithmE0EEENS0_14default_configENS1_37merge_sort_block_sort_config_selectorIddEENS1_38merge_sort_block_merge_config_selectorIddEEEEvv
	.globl	_ZN7rocprim17ROCPRIM_400000_NS6detail44device_merge_sort_compile_time_verifier_archINS1_11comp_targetILNS1_3genE10ELNS1_11target_archE1200ELNS1_3gpuE4ELNS1_3repE0EEENS3_ILS4_10ELS5_1201ELS6_5ELS7_0EEENS1_28merge_sort_block_sort_configILj256ELj4ELNS0_20block_sort_algorithmE0EEENS0_14default_configENS1_37merge_sort_block_sort_config_selectorIddEENS1_38merge_sort_block_merge_config_selectorIddEEEEvv
	.p2align	8
	.type	_ZN7rocprim17ROCPRIM_400000_NS6detail44device_merge_sort_compile_time_verifier_archINS1_11comp_targetILNS1_3genE10ELNS1_11target_archE1200ELNS1_3gpuE4ELNS1_3repE0EEENS3_ILS4_10ELS5_1201ELS6_5ELS7_0EEENS1_28merge_sort_block_sort_configILj256ELj4ELNS0_20block_sort_algorithmE0EEENS0_14default_configENS1_37merge_sort_block_sort_config_selectorIddEENS1_38merge_sort_block_merge_config_selectorIddEEEEvv,@function
_ZN7rocprim17ROCPRIM_400000_NS6detail44device_merge_sort_compile_time_verifier_archINS1_11comp_targetILNS1_3genE10ELNS1_11target_archE1200ELNS1_3gpuE4ELNS1_3repE0EEENS3_ILS4_10ELS5_1201ELS6_5ELS7_0EEENS1_28merge_sort_block_sort_configILj256ELj4ELNS0_20block_sort_algorithmE0EEENS0_14default_configENS1_37merge_sort_block_sort_config_selectorIddEENS1_38merge_sort_block_merge_config_selectorIddEEEEvv: ; @_ZN7rocprim17ROCPRIM_400000_NS6detail44device_merge_sort_compile_time_verifier_archINS1_11comp_targetILNS1_3genE10ELNS1_11target_archE1200ELNS1_3gpuE4ELNS1_3repE0EEENS3_ILS4_10ELS5_1201ELS6_5ELS7_0EEENS1_28merge_sort_block_sort_configILj256ELj4ELNS0_20block_sort_algorithmE0EEENS0_14default_configENS1_37merge_sort_block_sort_config_selectorIddEENS1_38merge_sort_block_merge_config_selectorIddEEEEvv
; %bb.0:
	s_endpgm
	.section	.rodata,"a",@progbits
	.p2align	6, 0x0
	.amdhsa_kernel _ZN7rocprim17ROCPRIM_400000_NS6detail44device_merge_sort_compile_time_verifier_archINS1_11comp_targetILNS1_3genE10ELNS1_11target_archE1200ELNS1_3gpuE4ELNS1_3repE0EEENS3_ILS4_10ELS5_1201ELS6_5ELS7_0EEENS1_28merge_sort_block_sort_configILj256ELj4ELNS0_20block_sort_algorithmE0EEENS0_14default_configENS1_37merge_sort_block_sort_config_selectorIddEENS1_38merge_sort_block_merge_config_selectorIddEEEEvv
		.amdhsa_group_segment_fixed_size 0
		.amdhsa_private_segment_fixed_size 0
		.amdhsa_kernarg_size 0
		.amdhsa_user_sgpr_count 0
		.amdhsa_user_sgpr_dispatch_ptr 0
		.amdhsa_user_sgpr_queue_ptr 0
		.amdhsa_user_sgpr_kernarg_segment_ptr 0
		.amdhsa_user_sgpr_dispatch_id 0
		.amdhsa_user_sgpr_kernarg_preload_length 0
		.amdhsa_user_sgpr_kernarg_preload_offset 0
		.amdhsa_user_sgpr_private_segment_size 0
		.amdhsa_uses_dynamic_stack 0
		.amdhsa_enable_private_segment 0
		.amdhsa_system_sgpr_workgroup_id_x 1
		.amdhsa_system_sgpr_workgroup_id_y 0
		.amdhsa_system_sgpr_workgroup_id_z 0
		.amdhsa_system_sgpr_workgroup_info 0
		.amdhsa_system_vgpr_workitem_id 0
		.amdhsa_next_free_vgpr 1
		.amdhsa_next_free_sgpr 0
		.amdhsa_accum_offset 4
		.amdhsa_reserve_vcc 0
		.amdhsa_float_round_mode_32 0
		.amdhsa_float_round_mode_16_64 0
		.amdhsa_float_denorm_mode_32 3
		.amdhsa_float_denorm_mode_16_64 3
		.amdhsa_dx10_clamp 1
		.amdhsa_ieee_mode 1
		.amdhsa_fp16_overflow 0
		.amdhsa_tg_split 0
		.amdhsa_exception_fp_ieee_invalid_op 0
		.amdhsa_exception_fp_denorm_src 0
		.amdhsa_exception_fp_ieee_div_zero 0
		.amdhsa_exception_fp_ieee_overflow 0
		.amdhsa_exception_fp_ieee_underflow 0
		.amdhsa_exception_fp_ieee_inexact 0
		.amdhsa_exception_int_div_zero 0
	.end_amdhsa_kernel
	.section	.text._ZN7rocprim17ROCPRIM_400000_NS6detail44device_merge_sort_compile_time_verifier_archINS1_11comp_targetILNS1_3genE10ELNS1_11target_archE1200ELNS1_3gpuE4ELNS1_3repE0EEENS3_ILS4_10ELS5_1201ELS6_5ELS7_0EEENS1_28merge_sort_block_sort_configILj256ELj4ELNS0_20block_sort_algorithmE0EEENS0_14default_configENS1_37merge_sort_block_sort_config_selectorIddEENS1_38merge_sort_block_merge_config_selectorIddEEEEvv,"axG",@progbits,_ZN7rocprim17ROCPRIM_400000_NS6detail44device_merge_sort_compile_time_verifier_archINS1_11comp_targetILNS1_3genE10ELNS1_11target_archE1200ELNS1_3gpuE4ELNS1_3repE0EEENS3_ILS4_10ELS5_1201ELS6_5ELS7_0EEENS1_28merge_sort_block_sort_configILj256ELj4ELNS0_20block_sort_algorithmE0EEENS0_14default_configENS1_37merge_sort_block_sort_config_selectorIddEENS1_38merge_sort_block_merge_config_selectorIddEEEEvv,comdat
.Lfunc_end22:
	.size	_ZN7rocprim17ROCPRIM_400000_NS6detail44device_merge_sort_compile_time_verifier_archINS1_11comp_targetILNS1_3genE10ELNS1_11target_archE1200ELNS1_3gpuE4ELNS1_3repE0EEENS3_ILS4_10ELS5_1201ELS6_5ELS7_0EEENS1_28merge_sort_block_sort_configILj256ELj4ELNS0_20block_sort_algorithmE0EEENS0_14default_configENS1_37merge_sort_block_sort_config_selectorIddEENS1_38merge_sort_block_merge_config_selectorIddEEEEvv, .Lfunc_end22-_ZN7rocprim17ROCPRIM_400000_NS6detail44device_merge_sort_compile_time_verifier_archINS1_11comp_targetILNS1_3genE10ELNS1_11target_archE1200ELNS1_3gpuE4ELNS1_3repE0EEENS3_ILS4_10ELS5_1201ELS6_5ELS7_0EEENS1_28merge_sort_block_sort_configILj256ELj4ELNS0_20block_sort_algorithmE0EEENS0_14default_configENS1_37merge_sort_block_sort_config_selectorIddEENS1_38merge_sort_block_merge_config_selectorIddEEEEvv
                                        ; -- End function
	.set _ZN7rocprim17ROCPRIM_400000_NS6detail44device_merge_sort_compile_time_verifier_archINS1_11comp_targetILNS1_3genE10ELNS1_11target_archE1200ELNS1_3gpuE4ELNS1_3repE0EEENS3_ILS4_10ELS5_1201ELS6_5ELS7_0EEENS1_28merge_sort_block_sort_configILj256ELj4ELNS0_20block_sort_algorithmE0EEENS0_14default_configENS1_37merge_sort_block_sort_config_selectorIddEENS1_38merge_sort_block_merge_config_selectorIddEEEEvv.num_vgpr, 0
	.set _ZN7rocprim17ROCPRIM_400000_NS6detail44device_merge_sort_compile_time_verifier_archINS1_11comp_targetILNS1_3genE10ELNS1_11target_archE1200ELNS1_3gpuE4ELNS1_3repE0EEENS3_ILS4_10ELS5_1201ELS6_5ELS7_0EEENS1_28merge_sort_block_sort_configILj256ELj4ELNS0_20block_sort_algorithmE0EEENS0_14default_configENS1_37merge_sort_block_sort_config_selectorIddEENS1_38merge_sort_block_merge_config_selectorIddEEEEvv.num_agpr, 0
	.set _ZN7rocprim17ROCPRIM_400000_NS6detail44device_merge_sort_compile_time_verifier_archINS1_11comp_targetILNS1_3genE10ELNS1_11target_archE1200ELNS1_3gpuE4ELNS1_3repE0EEENS3_ILS4_10ELS5_1201ELS6_5ELS7_0EEENS1_28merge_sort_block_sort_configILj256ELj4ELNS0_20block_sort_algorithmE0EEENS0_14default_configENS1_37merge_sort_block_sort_config_selectorIddEENS1_38merge_sort_block_merge_config_selectorIddEEEEvv.numbered_sgpr, 0
	.set _ZN7rocprim17ROCPRIM_400000_NS6detail44device_merge_sort_compile_time_verifier_archINS1_11comp_targetILNS1_3genE10ELNS1_11target_archE1200ELNS1_3gpuE4ELNS1_3repE0EEENS3_ILS4_10ELS5_1201ELS6_5ELS7_0EEENS1_28merge_sort_block_sort_configILj256ELj4ELNS0_20block_sort_algorithmE0EEENS0_14default_configENS1_37merge_sort_block_sort_config_selectorIddEENS1_38merge_sort_block_merge_config_selectorIddEEEEvv.num_named_barrier, 0
	.set _ZN7rocprim17ROCPRIM_400000_NS6detail44device_merge_sort_compile_time_verifier_archINS1_11comp_targetILNS1_3genE10ELNS1_11target_archE1200ELNS1_3gpuE4ELNS1_3repE0EEENS3_ILS4_10ELS5_1201ELS6_5ELS7_0EEENS1_28merge_sort_block_sort_configILj256ELj4ELNS0_20block_sort_algorithmE0EEENS0_14default_configENS1_37merge_sort_block_sort_config_selectorIddEENS1_38merge_sort_block_merge_config_selectorIddEEEEvv.private_seg_size, 0
	.set _ZN7rocprim17ROCPRIM_400000_NS6detail44device_merge_sort_compile_time_verifier_archINS1_11comp_targetILNS1_3genE10ELNS1_11target_archE1200ELNS1_3gpuE4ELNS1_3repE0EEENS3_ILS4_10ELS5_1201ELS6_5ELS7_0EEENS1_28merge_sort_block_sort_configILj256ELj4ELNS0_20block_sort_algorithmE0EEENS0_14default_configENS1_37merge_sort_block_sort_config_selectorIddEENS1_38merge_sort_block_merge_config_selectorIddEEEEvv.uses_vcc, 0
	.set _ZN7rocprim17ROCPRIM_400000_NS6detail44device_merge_sort_compile_time_verifier_archINS1_11comp_targetILNS1_3genE10ELNS1_11target_archE1200ELNS1_3gpuE4ELNS1_3repE0EEENS3_ILS4_10ELS5_1201ELS6_5ELS7_0EEENS1_28merge_sort_block_sort_configILj256ELj4ELNS0_20block_sort_algorithmE0EEENS0_14default_configENS1_37merge_sort_block_sort_config_selectorIddEENS1_38merge_sort_block_merge_config_selectorIddEEEEvv.uses_flat_scratch, 0
	.set _ZN7rocprim17ROCPRIM_400000_NS6detail44device_merge_sort_compile_time_verifier_archINS1_11comp_targetILNS1_3genE10ELNS1_11target_archE1200ELNS1_3gpuE4ELNS1_3repE0EEENS3_ILS4_10ELS5_1201ELS6_5ELS7_0EEENS1_28merge_sort_block_sort_configILj256ELj4ELNS0_20block_sort_algorithmE0EEENS0_14default_configENS1_37merge_sort_block_sort_config_selectorIddEENS1_38merge_sort_block_merge_config_selectorIddEEEEvv.has_dyn_sized_stack, 0
	.set _ZN7rocprim17ROCPRIM_400000_NS6detail44device_merge_sort_compile_time_verifier_archINS1_11comp_targetILNS1_3genE10ELNS1_11target_archE1200ELNS1_3gpuE4ELNS1_3repE0EEENS3_ILS4_10ELS5_1201ELS6_5ELS7_0EEENS1_28merge_sort_block_sort_configILj256ELj4ELNS0_20block_sort_algorithmE0EEENS0_14default_configENS1_37merge_sort_block_sort_config_selectorIddEENS1_38merge_sort_block_merge_config_selectorIddEEEEvv.has_recursion, 0
	.set _ZN7rocprim17ROCPRIM_400000_NS6detail44device_merge_sort_compile_time_verifier_archINS1_11comp_targetILNS1_3genE10ELNS1_11target_archE1200ELNS1_3gpuE4ELNS1_3repE0EEENS3_ILS4_10ELS5_1201ELS6_5ELS7_0EEENS1_28merge_sort_block_sort_configILj256ELj4ELNS0_20block_sort_algorithmE0EEENS0_14default_configENS1_37merge_sort_block_sort_config_selectorIddEENS1_38merge_sort_block_merge_config_selectorIddEEEEvv.has_indirect_call, 0
	.section	.AMDGPU.csdata,"",@progbits
; Kernel info:
; codeLenInByte = 4
; TotalNumSgprs: 6
; NumVgprs: 0
; NumAgprs: 0
; TotalNumVgprs: 0
; ScratchSize: 0
; MemoryBound: 0
; FloatMode: 240
; IeeeMode: 1
; LDSByteSize: 0 bytes/workgroup (compile time only)
; SGPRBlocks: 0
; VGPRBlocks: 0
; NumSGPRsForWavesPerEU: 6
; NumVGPRsForWavesPerEU: 1
; AccumOffset: 4
; Occupancy: 8
; WaveLimiterHint : 0
; COMPUTE_PGM_RSRC2:SCRATCH_EN: 0
; COMPUTE_PGM_RSRC2:USER_SGPR: 0
; COMPUTE_PGM_RSRC2:TRAP_HANDLER: 0
; COMPUTE_PGM_RSRC2:TGID_X_EN: 1
; COMPUTE_PGM_RSRC2:TGID_Y_EN: 0
; COMPUTE_PGM_RSRC2:TGID_Z_EN: 0
; COMPUTE_PGM_RSRC2:TIDIG_COMP_CNT: 0
; COMPUTE_PGM_RSRC3_GFX90A:ACCUM_OFFSET: 0
; COMPUTE_PGM_RSRC3_GFX90A:TG_SPLIT: 0
	.section	.text._ZN7rocprim17ROCPRIM_400000_NS6detail44device_merge_sort_compile_time_verifier_archINS1_11comp_targetILNS1_3genE9ELNS1_11target_archE1100ELNS1_3gpuE3ELNS1_3repE0EEES8_NS1_28merge_sort_block_sort_configILj256ELj4ELNS0_20block_sort_algorithmE0EEENS0_14default_configENS1_37merge_sort_block_sort_config_selectorIddEENS1_38merge_sort_block_merge_config_selectorIddEEEEvv,"axG",@progbits,_ZN7rocprim17ROCPRIM_400000_NS6detail44device_merge_sort_compile_time_verifier_archINS1_11comp_targetILNS1_3genE9ELNS1_11target_archE1100ELNS1_3gpuE3ELNS1_3repE0EEES8_NS1_28merge_sort_block_sort_configILj256ELj4ELNS0_20block_sort_algorithmE0EEENS0_14default_configENS1_37merge_sort_block_sort_config_selectorIddEENS1_38merge_sort_block_merge_config_selectorIddEEEEvv,comdat
	.protected	_ZN7rocprim17ROCPRIM_400000_NS6detail44device_merge_sort_compile_time_verifier_archINS1_11comp_targetILNS1_3genE9ELNS1_11target_archE1100ELNS1_3gpuE3ELNS1_3repE0EEES8_NS1_28merge_sort_block_sort_configILj256ELj4ELNS0_20block_sort_algorithmE0EEENS0_14default_configENS1_37merge_sort_block_sort_config_selectorIddEENS1_38merge_sort_block_merge_config_selectorIddEEEEvv ; -- Begin function _ZN7rocprim17ROCPRIM_400000_NS6detail44device_merge_sort_compile_time_verifier_archINS1_11comp_targetILNS1_3genE9ELNS1_11target_archE1100ELNS1_3gpuE3ELNS1_3repE0EEES8_NS1_28merge_sort_block_sort_configILj256ELj4ELNS0_20block_sort_algorithmE0EEENS0_14default_configENS1_37merge_sort_block_sort_config_selectorIddEENS1_38merge_sort_block_merge_config_selectorIddEEEEvv
	.globl	_ZN7rocprim17ROCPRIM_400000_NS6detail44device_merge_sort_compile_time_verifier_archINS1_11comp_targetILNS1_3genE9ELNS1_11target_archE1100ELNS1_3gpuE3ELNS1_3repE0EEES8_NS1_28merge_sort_block_sort_configILj256ELj4ELNS0_20block_sort_algorithmE0EEENS0_14default_configENS1_37merge_sort_block_sort_config_selectorIddEENS1_38merge_sort_block_merge_config_selectorIddEEEEvv
	.p2align	8
	.type	_ZN7rocprim17ROCPRIM_400000_NS6detail44device_merge_sort_compile_time_verifier_archINS1_11comp_targetILNS1_3genE9ELNS1_11target_archE1100ELNS1_3gpuE3ELNS1_3repE0EEES8_NS1_28merge_sort_block_sort_configILj256ELj4ELNS0_20block_sort_algorithmE0EEENS0_14default_configENS1_37merge_sort_block_sort_config_selectorIddEENS1_38merge_sort_block_merge_config_selectorIddEEEEvv,@function
_ZN7rocprim17ROCPRIM_400000_NS6detail44device_merge_sort_compile_time_verifier_archINS1_11comp_targetILNS1_3genE9ELNS1_11target_archE1100ELNS1_3gpuE3ELNS1_3repE0EEES8_NS1_28merge_sort_block_sort_configILj256ELj4ELNS0_20block_sort_algorithmE0EEENS0_14default_configENS1_37merge_sort_block_sort_config_selectorIddEENS1_38merge_sort_block_merge_config_selectorIddEEEEvv: ; @_ZN7rocprim17ROCPRIM_400000_NS6detail44device_merge_sort_compile_time_verifier_archINS1_11comp_targetILNS1_3genE9ELNS1_11target_archE1100ELNS1_3gpuE3ELNS1_3repE0EEES8_NS1_28merge_sort_block_sort_configILj256ELj4ELNS0_20block_sort_algorithmE0EEENS0_14default_configENS1_37merge_sort_block_sort_config_selectorIddEENS1_38merge_sort_block_merge_config_selectorIddEEEEvv
; %bb.0:
	s_endpgm
	.section	.rodata,"a",@progbits
	.p2align	6, 0x0
	.amdhsa_kernel _ZN7rocprim17ROCPRIM_400000_NS6detail44device_merge_sort_compile_time_verifier_archINS1_11comp_targetILNS1_3genE9ELNS1_11target_archE1100ELNS1_3gpuE3ELNS1_3repE0EEES8_NS1_28merge_sort_block_sort_configILj256ELj4ELNS0_20block_sort_algorithmE0EEENS0_14default_configENS1_37merge_sort_block_sort_config_selectorIddEENS1_38merge_sort_block_merge_config_selectorIddEEEEvv
		.amdhsa_group_segment_fixed_size 0
		.amdhsa_private_segment_fixed_size 0
		.amdhsa_kernarg_size 0
		.amdhsa_user_sgpr_count 0
		.amdhsa_user_sgpr_dispatch_ptr 0
		.amdhsa_user_sgpr_queue_ptr 0
		.amdhsa_user_sgpr_kernarg_segment_ptr 0
		.amdhsa_user_sgpr_dispatch_id 0
		.amdhsa_user_sgpr_kernarg_preload_length 0
		.amdhsa_user_sgpr_kernarg_preload_offset 0
		.amdhsa_user_sgpr_private_segment_size 0
		.amdhsa_uses_dynamic_stack 0
		.amdhsa_enable_private_segment 0
		.amdhsa_system_sgpr_workgroup_id_x 1
		.amdhsa_system_sgpr_workgroup_id_y 0
		.amdhsa_system_sgpr_workgroup_id_z 0
		.amdhsa_system_sgpr_workgroup_info 0
		.amdhsa_system_vgpr_workitem_id 0
		.amdhsa_next_free_vgpr 1
		.amdhsa_next_free_sgpr 0
		.amdhsa_accum_offset 4
		.amdhsa_reserve_vcc 0
		.amdhsa_float_round_mode_32 0
		.amdhsa_float_round_mode_16_64 0
		.amdhsa_float_denorm_mode_32 3
		.amdhsa_float_denorm_mode_16_64 3
		.amdhsa_dx10_clamp 1
		.amdhsa_ieee_mode 1
		.amdhsa_fp16_overflow 0
		.amdhsa_tg_split 0
		.amdhsa_exception_fp_ieee_invalid_op 0
		.amdhsa_exception_fp_denorm_src 0
		.amdhsa_exception_fp_ieee_div_zero 0
		.amdhsa_exception_fp_ieee_overflow 0
		.amdhsa_exception_fp_ieee_underflow 0
		.amdhsa_exception_fp_ieee_inexact 0
		.amdhsa_exception_int_div_zero 0
	.end_amdhsa_kernel
	.section	.text._ZN7rocprim17ROCPRIM_400000_NS6detail44device_merge_sort_compile_time_verifier_archINS1_11comp_targetILNS1_3genE9ELNS1_11target_archE1100ELNS1_3gpuE3ELNS1_3repE0EEES8_NS1_28merge_sort_block_sort_configILj256ELj4ELNS0_20block_sort_algorithmE0EEENS0_14default_configENS1_37merge_sort_block_sort_config_selectorIddEENS1_38merge_sort_block_merge_config_selectorIddEEEEvv,"axG",@progbits,_ZN7rocprim17ROCPRIM_400000_NS6detail44device_merge_sort_compile_time_verifier_archINS1_11comp_targetILNS1_3genE9ELNS1_11target_archE1100ELNS1_3gpuE3ELNS1_3repE0EEES8_NS1_28merge_sort_block_sort_configILj256ELj4ELNS0_20block_sort_algorithmE0EEENS0_14default_configENS1_37merge_sort_block_sort_config_selectorIddEENS1_38merge_sort_block_merge_config_selectorIddEEEEvv,comdat
.Lfunc_end23:
	.size	_ZN7rocprim17ROCPRIM_400000_NS6detail44device_merge_sort_compile_time_verifier_archINS1_11comp_targetILNS1_3genE9ELNS1_11target_archE1100ELNS1_3gpuE3ELNS1_3repE0EEES8_NS1_28merge_sort_block_sort_configILj256ELj4ELNS0_20block_sort_algorithmE0EEENS0_14default_configENS1_37merge_sort_block_sort_config_selectorIddEENS1_38merge_sort_block_merge_config_selectorIddEEEEvv, .Lfunc_end23-_ZN7rocprim17ROCPRIM_400000_NS6detail44device_merge_sort_compile_time_verifier_archINS1_11comp_targetILNS1_3genE9ELNS1_11target_archE1100ELNS1_3gpuE3ELNS1_3repE0EEES8_NS1_28merge_sort_block_sort_configILj256ELj4ELNS0_20block_sort_algorithmE0EEENS0_14default_configENS1_37merge_sort_block_sort_config_selectorIddEENS1_38merge_sort_block_merge_config_selectorIddEEEEvv
                                        ; -- End function
	.set _ZN7rocprim17ROCPRIM_400000_NS6detail44device_merge_sort_compile_time_verifier_archINS1_11comp_targetILNS1_3genE9ELNS1_11target_archE1100ELNS1_3gpuE3ELNS1_3repE0EEES8_NS1_28merge_sort_block_sort_configILj256ELj4ELNS0_20block_sort_algorithmE0EEENS0_14default_configENS1_37merge_sort_block_sort_config_selectorIddEENS1_38merge_sort_block_merge_config_selectorIddEEEEvv.num_vgpr, 0
	.set _ZN7rocprim17ROCPRIM_400000_NS6detail44device_merge_sort_compile_time_verifier_archINS1_11comp_targetILNS1_3genE9ELNS1_11target_archE1100ELNS1_3gpuE3ELNS1_3repE0EEES8_NS1_28merge_sort_block_sort_configILj256ELj4ELNS0_20block_sort_algorithmE0EEENS0_14default_configENS1_37merge_sort_block_sort_config_selectorIddEENS1_38merge_sort_block_merge_config_selectorIddEEEEvv.num_agpr, 0
	.set _ZN7rocprim17ROCPRIM_400000_NS6detail44device_merge_sort_compile_time_verifier_archINS1_11comp_targetILNS1_3genE9ELNS1_11target_archE1100ELNS1_3gpuE3ELNS1_3repE0EEES8_NS1_28merge_sort_block_sort_configILj256ELj4ELNS0_20block_sort_algorithmE0EEENS0_14default_configENS1_37merge_sort_block_sort_config_selectorIddEENS1_38merge_sort_block_merge_config_selectorIddEEEEvv.numbered_sgpr, 0
	.set _ZN7rocprim17ROCPRIM_400000_NS6detail44device_merge_sort_compile_time_verifier_archINS1_11comp_targetILNS1_3genE9ELNS1_11target_archE1100ELNS1_3gpuE3ELNS1_3repE0EEES8_NS1_28merge_sort_block_sort_configILj256ELj4ELNS0_20block_sort_algorithmE0EEENS0_14default_configENS1_37merge_sort_block_sort_config_selectorIddEENS1_38merge_sort_block_merge_config_selectorIddEEEEvv.num_named_barrier, 0
	.set _ZN7rocprim17ROCPRIM_400000_NS6detail44device_merge_sort_compile_time_verifier_archINS1_11comp_targetILNS1_3genE9ELNS1_11target_archE1100ELNS1_3gpuE3ELNS1_3repE0EEES8_NS1_28merge_sort_block_sort_configILj256ELj4ELNS0_20block_sort_algorithmE0EEENS0_14default_configENS1_37merge_sort_block_sort_config_selectorIddEENS1_38merge_sort_block_merge_config_selectorIddEEEEvv.private_seg_size, 0
	.set _ZN7rocprim17ROCPRIM_400000_NS6detail44device_merge_sort_compile_time_verifier_archINS1_11comp_targetILNS1_3genE9ELNS1_11target_archE1100ELNS1_3gpuE3ELNS1_3repE0EEES8_NS1_28merge_sort_block_sort_configILj256ELj4ELNS0_20block_sort_algorithmE0EEENS0_14default_configENS1_37merge_sort_block_sort_config_selectorIddEENS1_38merge_sort_block_merge_config_selectorIddEEEEvv.uses_vcc, 0
	.set _ZN7rocprim17ROCPRIM_400000_NS6detail44device_merge_sort_compile_time_verifier_archINS1_11comp_targetILNS1_3genE9ELNS1_11target_archE1100ELNS1_3gpuE3ELNS1_3repE0EEES8_NS1_28merge_sort_block_sort_configILj256ELj4ELNS0_20block_sort_algorithmE0EEENS0_14default_configENS1_37merge_sort_block_sort_config_selectorIddEENS1_38merge_sort_block_merge_config_selectorIddEEEEvv.uses_flat_scratch, 0
	.set _ZN7rocprim17ROCPRIM_400000_NS6detail44device_merge_sort_compile_time_verifier_archINS1_11comp_targetILNS1_3genE9ELNS1_11target_archE1100ELNS1_3gpuE3ELNS1_3repE0EEES8_NS1_28merge_sort_block_sort_configILj256ELj4ELNS0_20block_sort_algorithmE0EEENS0_14default_configENS1_37merge_sort_block_sort_config_selectorIddEENS1_38merge_sort_block_merge_config_selectorIddEEEEvv.has_dyn_sized_stack, 0
	.set _ZN7rocprim17ROCPRIM_400000_NS6detail44device_merge_sort_compile_time_verifier_archINS1_11comp_targetILNS1_3genE9ELNS1_11target_archE1100ELNS1_3gpuE3ELNS1_3repE0EEES8_NS1_28merge_sort_block_sort_configILj256ELj4ELNS0_20block_sort_algorithmE0EEENS0_14default_configENS1_37merge_sort_block_sort_config_selectorIddEENS1_38merge_sort_block_merge_config_selectorIddEEEEvv.has_recursion, 0
	.set _ZN7rocprim17ROCPRIM_400000_NS6detail44device_merge_sort_compile_time_verifier_archINS1_11comp_targetILNS1_3genE9ELNS1_11target_archE1100ELNS1_3gpuE3ELNS1_3repE0EEES8_NS1_28merge_sort_block_sort_configILj256ELj4ELNS0_20block_sort_algorithmE0EEENS0_14default_configENS1_37merge_sort_block_sort_config_selectorIddEENS1_38merge_sort_block_merge_config_selectorIddEEEEvv.has_indirect_call, 0
	.section	.AMDGPU.csdata,"",@progbits
; Kernel info:
; codeLenInByte = 4
; TotalNumSgprs: 6
; NumVgprs: 0
; NumAgprs: 0
; TotalNumVgprs: 0
; ScratchSize: 0
; MemoryBound: 0
; FloatMode: 240
; IeeeMode: 1
; LDSByteSize: 0 bytes/workgroup (compile time only)
; SGPRBlocks: 0
; VGPRBlocks: 0
; NumSGPRsForWavesPerEU: 6
; NumVGPRsForWavesPerEU: 1
; AccumOffset: 4
; Occupancy: 8
; WaveLimiterHint : 0
; COMPUTE_PGM_RSRC2:SCRATCH_EN: 0
; COMPUTE_PGM_RSRC2:USER_SGPR: 0
; COMPUTE_PGM_RSRC2:TRAP_HANDLER: 0
; COMPUTE_PGM_RSRC2:TGID_X_EN: 1
; COMPUTE_PGM_RSRC2:TGID_Y_EN: 0
; COMPUTE_PGM_RSRC2:TGID_Z_EN: 0
; COMPUTE_PGM_RSRC2:TIDIG_COMP_CNT: 0
; COMPUTE_PGM_RSRC3_GFX90A:ACCUM_OFFSET: 0
; COMPUTE_PGM_RSRC3_GFX90A:TG_SPLIT: 0
	.section	.text._ZN7rocprim17ROCPRIM_400000_NS6detail44device_merge_sort_compile_time_verifier_archINS1_11comp_targetILNS1_3genE8ELNS1_11target_archE1030ELNS1_3gpuE2ELNS1_3repE0EEES8_NS1_28merge_sort_block_sort_configILj256ELj4ELNS0_20block_sort_algorithmE0EEENS0_14default_configENS1_37merge_sort_block_sort_config_selectorIddEENS1_38merge_sort_block_merge_config_selectorIddEEEEvv,"axG",@progbits,_ZN7rocprim17ROCPRIM_400000_NS6detail44device_merge_sort_compile_time_verifier_archINS1_11comp_targetILNS1_3genE8ELNS1_11target_archE1030ELNS1_3gpuE2ELNS1_3repE0EEES8_NS1_28merge_sort_block_sort_configILj256ELj4ELNS0_20block_sort_algorithmE0EEENS0_14default_configENS1_37merge_sort_block_sort_config_selectorIddEENS1_38merge_sort_block_merge_config_selectorIddEEEEvv,comdat
	.protected	_ZN7rocprim17ROCPRIM_400000_NS6detail44device_merge_sort_compile_time_verifier_archINS1_11comp_targetILNS1_3genE8ELNS1_11target_archE1030ELNS1_3gpuE2ELNS1_3repE0EEES8_NS1_28merge_sort_block_sort_configILj256ELj4ELNS0_20block_sort_algorithmE0EEENS0_14default_configENS1_37merge_sort_block_sort_config_selectorIddEENS1_38merge_sort_block_merge_config_selectorIddEEEEvv ; -- Begin function _ZN7rocprim17ROCPRIM_400000_NS6detail44device_merge_sort_compile_time_verifier_archINS1_11comp_targetILNS1_3genE8ELNS1_11target_archE1030ELNS1_3gpuE2ELNS1_3repE0EEES8_NS1_28merge_sort_block_sort_configILj256ELj4ELNS0_20block_sort_algorithmE0EEENS0_14default_configENS1_37merge_sort_block_sort_config_selectorIddEENS1_38merge_sort_block_merge_config_selectorIddEEEEvv
	.globl	_ZN7rocprim17ROCPRIM_400000_NS6detail44device_merge_sort_compile_time_verifier_archINS1_11comp_targetILNS1_3genE8ELNS1_11target_archE1030ELNS1_3gpuE2ELNS1_3repE0EEES8_NS1_28merge_sort_block_sort_configILj256ELj4ELNS0_20block_sort_algorithmE0EEENS0_14default_configENS1_37merge_sort_block_sort_config_selectorIddEENS1_38merge_sort_block_merge_config_selectorIddEEEEvv
	.p2align	8
	.type	_ZN7rocprim17ROCPRIM_400000_NS6detail44device_merge_sort_compile_time_verifier_archINS1_11comp_targetILNS1_3genE8ELNS1_11target_archE1030ELNS1_3gpuE2ELNS1_3repE0EEES8_NS1_28merge_sort_block_sort_configILj256ELj4ELNS0_20block_sort_algorithmE0EEENS0_14default_configENS1_37merge_sort_block_sort_config_selectorIddEENS1_38merge_sort_block_merge_config_selectorIddEEEEvv,@function
_ZN7rocprim17ROCPRIM_400000_NS6detail44device_merge_sort_compile_time_verifier_archINS1_11comp_targetILNS1_3genE8ELNS1_11target_archE1030ELNS1_3gpuE2ELNS1_3repE0EEES8_NS1_28merge_sort_block_sort_configILj256ELj4ELNS0_20block_sort_algorithmE0EEENS0_14default_configENS1_37merge_sort_block_sort_config_selectorIddEENS1_38merge_sort_block_merge_config_selectorIddEEEEvv: ; @_ZN7rocprim17ROCPRIM_400000_NS6detail44device_merge_sort_compile_time_verifier_archINS1_11comp_targetILNS1_3genE8ELNS1_11target_archE1030ELNS1_3gpuE2ELNS1_3repE0EEES8_NS1_28merge_sort_block_sort_configILj256ELj4ELNS0_20block_sort_algorithmE0EEENS0_14default_configENS1_37merge_sort_block_sort_config_selectorIddEENS1_38merge_sort_block_merge_config_selectorIddEEEEvv
; %bb.0:
	s_endpgm
	.section	.rodata,"a",@progbits
	.p2align	6, 0x0
	.amdhsa_kernel _ZN7rocprim17ROCPRIM_400000_NS6detail44device_merge_sort_compile_time_verifier_archINS1_11comp_targetILNS1_3genE8ELNS1_11target_archE1030ELNS1_3gpuE2ELNS1_3repE0EEES8_NS1_28merge_sort_block_sort_configILj256ELj4ELNS0_20block_sort_algorithmE0EEENS0_14default_configENS1_37merge_sort_block_sort_config_selectorIddEENS1_38merge_sort_block_merge_config_selectorIddEEEEvv
		.amdhsa_group_segment_fixed_size 0
		.amdhsa_private_segment_fixed_size 0
		.amdhsa_kernarg_size 0
		.amdhsa_user_sgpr_count 0
		.amdhsa_user_sgpr_dispatch_ptr 0
		.amdhsa_user_sgpr_queue_ptr 0
		.amdhsa_user_sgpr_kernarg_segment_ptr 0
		.amdhsa_user_sgpr_dispatch_id 0
		.amdhsa_user_sgpr_kernarg_preload_length 0
		.amdhsa_user_sgpr_kernarg_preload_offset 0
		.amdhsa_user_sgpr_private_segment_size 0
		.amdhsa_uses_dynamic_stack 0
		.amdhsa_enable_private_segment 0
		.amdhsa_system_sgpr_workgroup_id_x 1
		.amdhsa_system_sgpr_workgroup_id_y 0
		.amdhsa_system_sgpr_workgroup_id_z 0
		.amdhsa_system_sgpr_workgroup_info 0
		.amdhsa_system_vgpr_workitem_id 0
		.amdhsa_next_free_vgpr 1
		.amdhsa_next_free_sgpr 0
		.amdhsa_accum_offset 4
		.amdhsa_reserve_vcc 0
		.amdhsa_float_round_mode_32 0
		.amdhsa_float_round_mode_16_64 0
		.amdhsa_float_denorm_mode_32 3
		.amdhsa_float_denorm_mode_16_64 3
		.amdhsa_dx10_clamp 1
		.amdhsa_ieee_mode 1
		.amdhsa_fp16_overflow 0
		.amdhsa_tg_split 0
		.amdhsa_exception_fp_ieee_invalid_op 0
		.amdhsa_exception_fp_denorm_src 0
		.amdhsa_exception_fp_ieee_div_zero 0
		.amdhsa_exception_fp_ieee_overflow 0
		.amdhsa_exception_fp_ieee_underflow 0
		.amdhsa_exception_fp_ieee_inexact 0
		.amdhsa_exception_int_div_zero 0
	.end_amdhsa_kernel
	.section	.text._ZN7rocprim17ROCPRIM_400000_NS6detail44device_merge_sort_compile_time_verifier_archINS1_11comp_targetILNS1_3genE8ELNS1_11target_archE1030ELNS1_3gpuE2ELNS1_3repE0EEES8_NS1_28merge_sort_block_sort_configILj256ELj4ELNS0_20block_sort_algorithmE0EEENS0_14default_configENS1_37merge_sort_block_sort_config_selectorIddEENS1_38merge_sort_block_merge_config_selectorIddEEEEvv,"axG",@progbits,_ZN7rocprim17ROCPRIM_400000_NS6detail44device_merge_sort_compile_time_verifier_archINS1_11comp_targetILNS1_3genE8ELNS1_11target_archE1030ELNS1_3gpuE2ELNS1_3repE0EEES8_NS1_28merge_sort_block_sort_configILj256ELj4ELNS0_20block_sort_algorithmE0EEENS0_14default_configENS1_37merge_sort_block_sort_config_selectorIddEENS1_38merge_sort_block_merge_config_selectorIddEEEEvv,comdat
.Lfunc_end24:
	.size	_ZN7rocprim17ROCPRIM_400000_NS6detail44device_merge_sort_compile_time_verifier_archINS1_11comp_targetILNS1_3genE8ELNS1_11target_archE1030ELNS1_3gpuE2ELNS1_3repE0EEES8_NS1_28merge_sort_block_sort_configILj256ELj4ELNS0_20block_sort_algorithmE0EEENS0_14default_configENS1_37merge_sort_block_sort_config_selectorIddEENS1_38merge_sort_block_merge_config_selectorIddEEEEvv, .Lfunc_end24-_ZN7rocprim17ROCPRIM_400000_NS6detail44device_merge_sort_compile_time_verifier_archINS1_11comp_targetILNS1_3genE8ELNS1_11target_archE1030ELNS1_3gpuE2ELNS1_3repE0EEES8_NS1_28merge_sort_block_sort_configILj256ELj4ELNS0_20block_sort_algorithmE0EEENS0_14default_configENS1_37merge_sort_block_sort_config_selectorIddEENS1_38merge_sort_block_merge_config_selectorIddEEEEvv
                                        ; -- End function
	.set _ZN7rocprim17ROCPRIM_400000_NS6detail44device_merge_sort_compile_time_verifier_archINS1_11comp_targetILNS1_3genE8ELNS1_11target_archE1030ELNS1_3gpuE2ELNS1_3repE0EEES8_NS1_28merge_sort_block_sort_configILj256ELj4ELNS0_20block_sort_algorithmE0EEENS0_14default_configENS1_37merge_sort_block_sort_config_selectorIddEENS1_38merge_sort_block_merge_config_selectorIddEEEEvv.num_vgpr, 0
	.set _ZN7rocprim17ROCPRIM_400000_NS6detail44device_merge_sort_compile_time_verifier_archINS1_11comp_targetILNS1_3genE8ELNS1_11target_archE1030ELNS1_3gpuE2ELNS1_3repE0EEES8_NS1_28merge_sort_block_sort_configILj256ELj4ELNS0_20block_sort_algorithmE0EEENS0_14default_configENS1_37merge_sort_block_sort_config_selectorIddEENS1_38merge_sort_block_merge_config_selectorIddEEEEvv.num_agpr, 0
	.set _ZN7rocprim17ROCPRIM_400000_NS6detail44device_merge_sort_compile_time_verifier_archINS1_11comp_targetILNS1_3genE8ELNS1_11target_archE1030ELNS1_3gpuE2ELNS1_3repE0EEES8_NS1_28merge_sort_block_sort_configILj256ELj4ELNS0_20block_sort_algorithmE0EEENS0_14default_configENS1_37merge_sort_block_sort_config_selectorIddEENS1_38merge_sort_block_merge_config_selectorIddEEEEvv.numbered_sgpr, 0
	.set _ZN7rocprim17ROCPRIM_400000_NS6detail44device_merge_sort_compile_time_verifier_archINS1_11comp_targetILNS1_3genE8ELNS1_11target_archE1030ELNS1_3gpuE2ELNS1_3repE0EEES8_NS1_28merge_sort_block_sort_configILj256ELj4ELNS0_20block_sort_algorithmE0EEENS0_14default_configENS1_37merge_sort_block_sort_config_selectorIddEENS1_38merge_sort_block_merge_config_selectorIddEEEEvv.num_named_barrier, 0
	.set _ZN7rocprim17ROCPRIM_400000_NS6detail44device_merge_sort_compile_time_verifier_archINS1_11comp_targetILNS1_3genE8ELNS1_11target_archE1030ELNS1_3gpuE2ELNS1_3repE0EEES8_NS1_28merge_sort_block_sort_configILj256ELj4ELNS0_20block_sort_algorithmE0EEENS0_14default_configENS1_37merge_sort_block_sort_config_selectorIddEENS1_38merge_sort_block_merge_config_selectorIddEEEEvv.private_seg_size, 0
	.set _ZN7rocprim17ROCPRIM_400000_NS6detail44device_merge_sort_compile_time_verifier_archINS1_11comp_targetILNS1_3genE8ELNS1_11target_archE1030ELNS1_3gpuE2ELNS1_3repE0EEES8_NS1_28merge_sort_block_sort_configILj256ELj4ELNS0_20block_sort_algorithmE0EEENS0_14default_configENS1_37merge_sort_block_sort_config_selectorIddEENS1_38merge_sort_block_merge_config_selectorIddEEEEvv.uses_vcc, 0
	.set _ZN7rocprim17ROCPRIM_400000_NS6detail44device_merge_sort_compile_time_verifier_archINS1_11comp_targetILNS1_3genE8ELNS1_11target_archE1030ELNS1_3gpuE2ELNS1_3repE0EEES8_NS1_28merge_sort_block_sort_configILj256ELj4ELNS0_20block_sort_algorithmE0EEENS0_14default_configENS1_37merge_sort_block_sort_config_selectorIddEENS1_38merge_sort_block_merge_config_selectorIddEEEEvv.uses_flat_scratch, 0
	.set _ZN7rocprim17ROCPRIM_400000_NS6detail44device_merge_sort_compile_time_verifier_archINS1_11comp_targetILNS1_3genE8ELNS1_11target_archE1030ELNS1_3gpuE2ELNS1_3repE0EEES8_NS1_28merge_sort_block_sort_configILj256ELj4ELNS0_20block_sort_algorithmE0EEENS0_14default_configENS1_37merge_sort_block_sort_config_selectorIddEENS1_38merge_sort_block_merge_config_selectorIddEEEEvv.has_dyn_sized_stack, 0
	.set _ZN7rocprim17ROCPRIM_400000_NS6detail44device_merge_sort_compile_time_verifier_archINS1_11comp_targetILNS1_3genE8ELNS1_11target_archE1030ELNS1_3gpuE2ELNS1_3repE0EEES8_NS1_28merge_sort_block_sort_configILj256ELj4ELNS0_20block_sort_algorithmE0EEENS0_14default_configENS1_37merge_sort_block_sort_config_selectorIddEENS1_38merge_sort_block_merge_config_selectorIddEEEEvv.has_recursion, 0
	.set _ZN7rocprim17ROCPRIM_400000_NS6detail44device_merge_sort_compile_time_verifier_archINS1_11comp_targetILNS1_3genE8ELNS1_11target_archE1030ELNS1_3gpuE2ELNS1_3repE0EEES8_NS1_28merge_sort_block_sort_configILj256ELj4ELNS0_20block_sort_algorithmE0EEENS0_14default_configENS1_37merge_sort_block_sort_config_selectorIddEENS1_38merge_sort_block_merge_config_selectorIddEEEEvv.has_indirect_call, 0
	.section	.AMDGPU.csdata,"",@progbits
; Kernel info:
; codeLenInByte = 4
; TotalNumSgprs: 6
; NumVgprs: 0
; NumAgprs: 0
; TotalNumVgprs: 0
; ScratchSize: 0
; MemoryBound: 0
; FloatMode: 240
; IeeeMode: 1
; LDSByteSize: 0 bytes/workgroup (compile time only)
; SGPRBlocks: 0
; VGPRBlocks: 0
; NumSGPRsForWavesPerEU: 6
; NumVGPRsForWavesPerEU: 1
; AccumOffset: 4
; Occupancy: 8
; WaveLimiterHint : 0
; COMPUTE_PGM_RSRC2:SCRATCH_EN: 0
; COMPUTE_PGM_RSRC2:USER_SGPR: 0
; COMPUTE_PGM_RSRC2:TRAP_HANDLER: 0
; COMPUTE_PGM_RSRC2:TGID_X_EN: 1
; COMPUTE_PGM_RSRC2:TGID_Y_EN: 0
; COMPUTE_PGM_RSRC2:TGID_Z_EN: 0
; COMPUTE_PGM_RSRC2:TIDIG_COMP_CNT: 0
; COMPUTE_PGM_RSRC3_GFX90A:ACCUM_OFFSET: 0
; COMPUTE_PGM_RSRC3_GFX90A:TG_SPLIT: 0
	.section	.text._ZN7rocprim17ROCPRIM_400000_NS6detail17trampoline_kernelINS0_14default_configENS1_38merge_sort_block_merge_config_selectorIddEEZZNS1_27merge_sort_block_merge_implIS3_N6thrust23THRUST_200600_302600_NS6detail15normal_iteratorINS8_10device_ptrIdEEEESD_jNS1_19radix_merge_compareILb0ELb0EdNS0_19identity_decomposerEEEEE10hipError_tT0_T1_T2_jT3_P12ihipStream_tbPNSt15iterator_traitsISI_E10value_typeEPNSO_ISJ_E10value_typeEPSK_NS1_7vsmem_tEENKUlT_SI_SJ_SK_E_clIPdSD_S10_SD_EESH_SX_SI_SJ_SK_EUlSX_E_NS1_11comp_targetILNS1_3genE0ELNS1_11target_archE4294967295ELNS1_3gpuE0ELNS1_3repE0EEENS1_48merge_mergepath_partition_config_static_selectorELNS0_4arch9wavefront6targetE1EEEvSJ_,"axG",@progbits,_ZN7rocprim17ROCPRIM_400000_NS6detail17trampoline_kernelINS0_14default_configENS1_38merge_sort_block_merge_config_selectorIddEEZZNS1_27merge_sort_block_merge_implIS3_N6thrust23THRUST_200600_302600_NS6detail15normal_iteratorINS8_10device_ptrIdEEEESD_jNS1_19radix_merge_compareILb0ELb0EdNS0_19identity_decomposerEEEEE10hipError_tT0_T1_T2_jT3_P12ihipStream_tbPNSt15iterator_traitsISI_E10value_typeEPNSO_ISJ_E10value_typeEPSK_NS1_7vsmem_tEENKUlT_SI_SJ_SK_E_clIPdSD_S10_SD_EESH_SX_SI_SJ_SK_EUlSX_E_NS1_11comp_targetILNS1_3genE0ELNS1_11target_archE4294967295ELNS1_3gpuE0ELNS1_3repE0EEENS1_48merge_mergepath_partition_config_static_selectorELNS0_4arch9wavefront6targetE1EEEvSJ_,comdat
	.protected	_ZN7rocprim17ROCPRIM_400000_NS6detail17trampoline_kernelINS0_14default_configENS1_38merge_sort_block_merge_config_selectorIddEEZZNS1_27merge_sort_block_merge_implIS3_N6thrust23THRUST_200600_302600_NS6detail15normal_iteratorINS8_10device_ptrIdEEEESD_jNS1_19radix_merge_compareILb0ELb0EdNS0_19identity_decomposerEEEEE10hipError_tT0_T1_T2_jT3_P12ihipStream_tbPNSt15iterator_traitsISI_E10value_typeEPNSO_ISJ_E10value_typeEPSK_NS1_7vsmem_tEENKUlT_SI_SJ_SK_E_clIPdSD_S10_SD_EESH_SX_SI_SJ_SK_EUlSX_E_NS1_11comp_targetILNS1_3genE0ELNS1_11target_archE4294967295ELNS1_3gpuE0ELNS1_3repE0EEENS1_48merge_mergepath_partition_config_static_selectorELNS0_4arch9wavefront6targetE1EEEvSJ_ ; -- Begin function _ZN7rocprim17ROCPRIM_400000_NS6detail17trampoline_kernelINS0_14default_configENS1_38merge_sort_block_merge_config_selectorIddEEZZNS1_27merge_sort_block_merge_implIS3_N6thrust23THRUST_200600_302600_NS6detail15normal_iteratorINS8_10device_ptrIdEEEESD_jNS1_19radix_merge_compareILb0ELb0EdNS0_19identity_decomposerEEEEE10hipError_tT0_T1_T2_jT3_P12ihipStream_tbPNSt15iterator_traitsISI_E10value_typeEPNSO_ISJ_E10value_typeEPSK_NS1_7vsmem_tEENKUlT_SI_SJ_SK_E_clIPdSD_S10_SD_EESH_SX_SI_SJ_SK_EUlSX_E_NS1_11comp_targetILNS1_3genE0ELNS1_11target_archE4294967295ELNS1_3gpuE0ELNS1_3repE0EEENS1_48merge_mergepath_partition_config_static_selectorELNS0_4arch9wavefront6targetE1EEEvSJ_
	.globl	_ZN7rocprim17ROCPRIM_400000_NS6detail17trampoline_kernelINS0_14default_configENS1_38merge_sort_block_merge_config_selectorIddEEZZNS1_27merge_sort_block_merge_implIS3_N6thrust23THRUST_200600_302600_NS6detail15normal_iteratorINS8_10device_ptrIdEEEESD_jNS1_19radix_merge_compareILb0ELb0EdNS0_19identity_decomposerEEEEE10hipError_tT0_T1_T2_jT3_P12ihipStream_tbPNSt15iterator_traitsISI_E10value_typeEPNSO_ISJ_E10value_typeEPSK_NS1_7vsmem_tEENKUlT_SI_SJ_SK_E_clIPdSD_S10_SD_EESH_SX_SI_SJ_SK_EUlSX_E_NS1_11comp_targetILNS1_3genE0ELNS1_11target_archE4294967295ELNS1_3gpuE0ELNS1_3repE0EEENS1_48merge_mergepath_partition_config_static_selectorELNS0_4arch9wavefront6targetE1EEEvSJ_
	.p2align	8
	.type	_ZN7rocprim17ROCPRIM_400000_NS6detail17trampoline_kernelINS0_14default_configENS1_38merge_sort_block_merge_config_selectorIddEEZZNS1_27merge_sort_block_merge_implIS3_N6thrust23THRUST_200600_302600_NS6detail15normal_iteratorINS8_10device_ptrIdEEEESD_jNS1_19radix_merge_compareILb0ELb0EdNS0_19identity_decomposerEEEEE10hipError_tT0_T1_T2_jT3_P12ihipStream_tbPNSt15iterator_traitsISI_E10value_typeEPNSO_ISJ_E10value_typeEPSK_NS1_7vsmem_tEENKUlT_SI_SJ_SK_E_clIPdSD_S10_SD_EESH_SX_SI_SJ_SK_EUlSX_E_NS1_11comp_targetILNS1_3genE0ELNS1_11target_archE4294967295ELNS1_3gpuE0ELNS1_3repE0EEENS1_48merge_mergepath_partition_config_static_selectorELNS0_4arch9wavefront6targetE1EEEvSJ_,@function
_ZN7rocprim17ROCPRIM_400000_NS6detail17trampoline_kernelINS0_14default_configENS1_38merge_sort_block_merge_config_selectorIddEEZZNS1_27merge_sort_block_merge_implIS3_N6thrust23THRUST_200600_302600_NS6detail15normal_iteratorINS8_10device_ptrIdEEEESD_jNS1_19radix_merge_compareILb0ELb0EdNS0_19identity_decomposerEEEEE10hipError_tT0_T1_T2_jT3_P12ihipStream_tbPNSt15iterator_traitsISI_E10value_typeEPNSO_ISJ_E10value_typeEPSK_NS1_7vsmem_tEENKUlT_SI_SJ_SK_E_clIPdSD_S10_SD_EESH_SX_SI_SJ_SK_EUlSX_E_NS1_11comp_targetILNS1_3genE0ELNS1_11target_archE4294967295ELNS1_3gpuE0ELNS1_3repE0EEENS1_48merge_mergepath_partition_config_static_selectorELNS0_4arch9wavefront6targetE1EEEvSJ_: ; @_ZN7rocprim17ROCPRIM_400000_NS6detail17trampoline_kernelINS0_14default_configENS1_38merge_sort_block_merge_config_selectorIddEEZZNS1_27merge_sort_block_merge_implIS3_N6thrust23THRUST_200600_302600_NS6detail15normal_iteratorINS8_10device_ptrIdEEEESD_jNS1_19radix_merge_compareILb0ELb0EdNS0_19identity_decomposerEEEEE10hipError_tT0_T1_T2_jT3_P12ihipStream_tbPNSt15iterator_traitsISI_E10value_typeEPNSO_ISJ_E10value_typeEPSK_NS1_7vsmem_tEENKUlT_SI_SJ_SK_E_clIPdSD_S10_SD_EESH_SX_SI_SJ_SK_EUlSX_E_NS1_11comp_targetILNS1_3genE0ELNS1_11target_archE4294967295ELNS1_3gpuE0ELNS1_3repE0EEENS1_48merge_mergepath_partition_config_static_selectorELNS0_4arch9wavefront6targetE1EEEvSJ_
; %bb.0:
	s_load_dword s3, s[0:1], 0x0
	v_lshl_or_b32 v0, s2, 7, v0
	s_waitcnt lgkmcnt(0)
	v_cmp_gt_u32_e32 vcc, s3, v0
	s_and_saveexec_b64 s[2:3], vcc
	s_cbranch_execz .LBB25_6
; %bb.1:
	s_load_dwordx2 s[4:5], s[0:1], 0x4
	s_load_dwordx2 s[2:3], s[0:1], 0x20
	s_waitcnt lgkmcnt(0)
	s_lshr_b32 s6, s4, 9
	s_and_b32 s6, s6, 0x7ffffe
	s_add_i32 s7, s6, -1
	s_sub_i32 s6, 0, s6
	v_and_b32_e32 v1, s6, v0
	v_lshlrev_b32_e32 v1, 10, v1
	v_min_u32_e32 v2, s5, v1
	v_add_u32_e32 v1, s4, v1
	v_min_u32_e32 v4, s5, v1
	v_add_u32_e32 v1, s4, v4
	v_and_b32_e32 v3, s7, v0
	v_min_u32_e32 v1, s5, v1
	v_sub_u32_e32 v5, v1, v2
	v_lshlrev_b32_e32 v3, 10, v3
	v_min_u32_e32 v10, v5, v3
	v_sub_u32_e32 v3, v4, v2
	v_sub_u32_e32 v1, v1, v4
	v_sub_u32_e64 v1, v10, v1 clamp
	v_min_u32_e32 v11, v10, v3
	v_cmp_lt_u32_e32 vcc, v1, v11
	s_and_saveexec_b64 s[4:5], vcc
	s_cbranch_execz .LBB25_5
; %bb.2:
	s_load_dwordx2 s[0:1], s[0:1], 0x10
	v_mov_b32_e32 v5, 0
	v_mov_b32_e32 v3, v5
	s_waitcnt lgkmcnt(0)
	v_lshl_add_u64 v[6:7], v[2:3], 3, s[0:1]
	v_lshl_add_u64 v[8:9], v[4:5], 3, s[0:1]
	s_mov_b64 s[0:1], 0
.LBB25_3:                               ; =>This Inner Loop Header: Depth=1
	v_add_u32_e32 v3, v11, v1
	v_lshrrev_b32_e32 v4, 1, v3
	v_mov_b32_e32 v13, v5
	v_xad_u32 v12, v4, -1, v10
	v_lshl_add_u64 v[14:15], v[4:5], 3, v[6:7]
	v_lshl_add_u64 v[12:13], v[12:13], 3, v[8:9]
	global_load_dwordx2 v[16:17], v[14:15], off
	global_load_dwordx2 v[18:19], v[12:13], off
	v_add_u32_e32 v3, 1, v4
	s_waitcnt vmcnt(1)
	v_add_f64 v[12:13], v[16:17], 0
	s_waitcnt vmcnt(0)
	v_add_f64 v[14:15], v[18:19], 0
	v_ashrrev_i32_e32 v16, 31, v13
	v_or_b32_e32 v17, 0x80000000, v16
	v_xor_b32_e32 v12, v16, v12
	v_ashrrev_i32_e32 v16, 31, v15
	v_xor_b32_e32 v13, v17, v13
	v_or_b32_e32 v17, 0x80000000, v16
	v_xor_b32_e32 v14, v16, v14
	v_xor_b32_e32 v15, v17, v15
	v_cmp_gt_u64_e32 vcc, v[12:13], v[14:15]
	s_nop 1
	v_cndmask_b32_e32 v11, v11, v4, vcc
	v_cndmask_b32_e32 v1, v3, v1, vcc
	v_cmp_ge_u32_e32 vcc, v1, v11
	s_or_b64 s[0:1], vcc, s[0:1]
	s_andn2_b64 exec, exec, s[0:1]
	s_cbranch_execnz .LBB25_3
; %bb.4:
	s_or_b64 exec, exec, s[0:1]
.LBB25_5:
	s_or_b64 exec, exec, s[4:5]
	v_add_u32_e32 v2, v1, v2
	v_mov_b32_e32 v1, 0
	v_lshl_add_u64 v[0:1], v[0:1], 2, s[2:3]
	global_store_dword v[0:1], v2, off
.LBB25_6:
	s_endpgm
	.section	.rodata,"a",@progbits
	.p2align	6, 0x0
	.amdhsa_kernel _ZN7rocprim17ROCPRIM_400000_NS6detail17trampoline_kernelINS0_14default_configENS1_38merge_sort_block_merge_config_selectorIddEEZZNS1_27merge_sort_block_merge_implIS3_N6thrust23THRUST_200600_302600_NS6detail15normal_iteratorINS8_10device_ptrIdEEEESD_jNS1_19radix_merge_compareILb0ELb0EdNS0_19identity_decomposerEEEEE10hipError_tT0_T1_T2_jT3_P12ihipStream_tbPNSt15iterator_traitsISI_E10value_typeEPNSO_ISJ_E10value_typeEPSK_NS1_7vsmem_tEENKUlT_SI_SJ_SK_E_clIPdSD_S10_SD_EESH_SX_SI_SJ_SK_EUlSX_E_NS1_11comp_targetILNS1_3genE0ELNS1_11target_archE4294967295ELNS1_3gpuE0ELNS1_3repE0EEENS1_48merge_mergepath_partition_config_static_selectorELNS0_4arch9wavefront6targetE1EEEvSJ_
		.amdhsa_group_segment_fixed_size 0
		.amdhsa_private_segment_fixed_size 0
		.amdhsa_kernarg_size 40
		.amdhsa_user_sgpr_count 2
		.amdhsa_user_sgpr_dispatch_ptr 0
		.amdhsa_user_sgpr_queue_ptr 0
		.amdhsa_user_sgpr_kernarg_segment_ptr 1
		.amdhsa_user_sgpr_dispatch_id 0
		.amdhsa_user_sgpr_kernarg_preload_length 0
		.amdhsa_user_sgpr_kernarg_preload_offset 0
		.amdhsa_user_sgpr_private_segment_size 0
		.amdhsa_uses_dynamic_stack 0
		.amdhsa_enable_private_segment 0
		.amdhsa_system_sgpr_workgroup_id_x 1
		.amdhsa_system_sgpr_workgroup_id_y 0
		.amdhsa_system_sgpr_workgroup_id_z 0
		.amdhsa_system_sgpr_workgroup_info 0
		.amdhsa_system_vgpr_workitem_id 0
		.amdhsa_next_free_vgpr 20
		.amdhsa_next_free_sgpr 8
		.amdhsa_accum_offset 20
		.amdhsa_reserve_vcc 1
		.amdhsa_float_round_mode_32 0
		.amdhsa_float_round_mode_16_64 0
		.amdhsa_float_denorm_mode_32 3
		.amdhsa_float_denorm_mode_16_64 3
		.amdhsa_dx10_clamp 1
		.amdhsa_ieee_mode 1
		.amdhsa_fp16_overflow 0
		.amdhsa_tg_split 0
		.amdhsa_exception_fp_ieee_invalid_op 0
		.amdhsa_exception_fp_denorm_src 0
		.amdhsa_exception_fp_ieee_div_zero 0
		.amdhsa_exception_fp_ieee_overflow 0
		.amdhsa_exception_fp_ieee_underflow 0
		.amdhsa_exception_fp_ieee_inexact 0
		.amdhsa_exception_int_div_zero 0
	.end_amdhsa_kernel
	.section	.text._ZN7rocprim17ROCPRIM_400000_NS6detail17trampoline_kernelINS0_14default_configENS1_38merge_sort_block_merge_config_selectorIddEEZZNS1_27merge_sort_block_merge_implIS3_N6thrust23THRUST_200600_302600_NS6detail15normal_iteratorINS8_10device_ptrIdEEEESD_jNS1_19radix_merge_compareILb0ELb0EdNS0_19identity_decomposerEEEEE10hipError_tT0_T1_T2_jT3_P12ihipStream_tbPNSt15iterator_traitsISI_E10value_typeEPNSO_ISJ_E10value_typeEPSK_NS1_7vsmem_tEENKUlT_SI_SJ_SK_E_clIPdSD_S10_SD_EESH_SX_SI_SJ_SK_EUlSX_E_NS1_11comp_targetILNS1_3genE0ELNS1_11target_archE4294967295ELNS1_3gpuE0ELNS1_3repE0EEENS1_48merge_mergepath_partition_config_static_selectorELNS0_4arch9wavefront6targetE1EEEvSJ_,"axG",@progbits,_ZN7rocprim17ROCPRIM_400000_NS6detail17trampoline_kernelINS0_14default_configENS1_38merge_sort_block_merge_config_selectorIddEEZZNS1_27merge_sort_block_merge_implIS3_N6thrust23THRUST_200600_302600_NS6detail15normal_iteratorINS8_10device_ptrIdEEEESD_jNS1_19radix_merge_compareILb0ELb0EdNS0_19identity_decomposerEEEEE10hipError_tT0_T1_T2_jT3_P12ihipStream_tbPNSt15iterator_traitsISI_E10value_typeEPNSO_ISJ_E10value_typeEPSK_NS1_7vsmem_tEENKUlT_SI_SJ_SK_E_clIPdSD_S10_SD_EESH_SX_SI_SJ_SK_EUlSX_E_NS1_11comp_targetILNS1_3genE0ELNS1_11target_archE4294967295ELNS1_3gpuE0ELNS1_3repE0EEENS1_48merge_mergepath_partition_config_static_selectorELNS0_4arch9wavefront6targetE1EEEvSJ_,comdat
.Lfunc_end25:
	.size	_ZN7rocprim17ROCPRIM_400000_NS6detail17trampoline_kernelINS0_14default_configENS1_38merge_sort_block_merge_config_selectorIddEEZZNS1_27merge_sort_block_merge_implIS3_N6thrust23THRUST_200600_302600_NS6detail15normal_iteratorINS8_10device_ptrIdEEEESD_jNS1_19radix_merge_compareILb0ELb0EdNS0_19identity_decomposerEEEEE10hipError_tT0_T1_T2_jT3_P12ihipStream_tbPNSt15iterator_traitsISI_E10value_typeEPNSO_ISJ_E10value_typeEPSK_NS1_7vsmem_tEENKUlT_SI_SJ_SK_E_clIPdSD_S10_SD_EESH_SX_SI_SJ_SK_EUlSX_E_NS1_11comp_targetILNS1_3genE0ELNS1_11target_archE4294967295ELNS1_3gpuE0ELNS1_3repE0EEENS1_48merge_mergepath_partition_config_static_selectorELNS0_4arch9wavefront6targetE1EEEvSJ_, .Lfunc_end25-_ZN7rocprim17ROCPRIM_400000_NS6detail17trampoline_kernelINS0_14default_configENS1_38merge_sort_block_merge_config_selectorIddEEZZNS1_27merge_sort_block_merge_implIS3_N6thrust23THRUST_200600_302600_NS6detail15normal_iteratorINS8_10device_ptrIdEEEESD_jNS1_19radix_merge_compareILb0ELb0EdNS0_19identity_decomposerEEEEE10hipError_tT0_T1_T2_jT3_P12ihipStream_tbPNSt15iterator_traitsISI_E10value_typeEPNSO_ISJ_E10value_typeEPSK_NS1_7vsmem_tEENKUlT_SI_SJ_SK_E_clIPdSD_S10_SD_EESH_SX_SI_SJ_SK_EUlSX_E_NS1_11comp_targetILNS1_3genE0ELNS1_11target_archE4294967295ELNS1_3gpuE0ELNS1_3repE0EEENS1_48merge_mergepath_partition_config_static_selectorELNS0_4arch9wavefront6targetE1EEEvSJ_
                                        ; -- End function
	.set _ZN7rocprim17ROCPRIM_400000_NS6detail17trampoline_kernelINS0_14default_configENS1_38merge_sort_block_merge_config_selectorIddEEZZNS1_27merge_sort_block_merge_implIS3_N6thrust23THRUST_200600_302600_NS6detail15normal_iteratorINS8_10device_ptrIdEEEESD_jNS1_19radix_merge_compareILb0ELb0EdNS0_19identity_decomposerEEEEE10hipError_tT0_T1_T2_jT3_P12ihipStream_tbPNSt15iterator_traitsISI_E10value_typeEPNSO_ISJ_E10value_typeEPSK_NS1_7vsmem_tEENKUlT_SI_SJ_SK_E_clIPdSD_S10_SD_EESH_SX_SI_SJ_SK_EUlSX_E_NS1_11comp_targetILNS1_3genE0ELNS1_11target_archE4294967295ELNS1_3gpuE0ELNS1_3repE0EEENS1_48merge_mergepath_partition_config_static_selectorELNS0_4arch9wavefront6targetE1EEEvSJ_.num_vgpr, 20
	.set _ZN7rocprim17ROCPRIM_400000_NS6detail17trampoline_kernelINS0_14default_configENS1_38merge_sort_block_merge_config_selectorIddEEZZNS1_27merge_sort_block_merge_implIS3_N6thrust23THRUST_200600_302600_NS6detail15normal_iteratorINS8_10device_ptrIdEEEESD_jNS1_19radix_merge_compareILb0ELb0EdNS0_19identity_decomposerEEEEE10hipError_tT0_T1_T2_jT3_P12ihipStream_tbPNSt15iterator_traitsISI_E10value_typeEPNSO_ISJ_E10value_typeEPSK_NS1_7vsmem_tEENKUlT_SI_SJ_SK_E_clIPdSD_S10_SD_EESH_SX_SI_SJ_SK_EUlSX_E_NS1_11comp_targetILNS1_3genE0ELNS1_11target_archE4294967295ELNS1_3gpuE0ELNS1_3repE0EEENS1_48merge_mergepath_partition_config_static_selectorELNS0_4arch9wavefront6targetE1EEEvSJ_.num_agpr, 0
	.set _ZN7rocprim17ROCPRIM_400000_NS6detail17trampoline_kernelINS0_14default_configENS1_38merge_sort_block_merge_config_selectorIddEEZZNS1_27merge_sort_block_merge_implIS3_N6thrust23THRUST_200600_302600_NS6detail15normal_iteratorINS8_10device_ptrIdEEEESD_jNS1_19radix_merge_compareILb0ELb0EdNS0_19identity_decomposerEEEEE10hipError_tT0_T1_T2_jT3_P12ihipStream_tbPNSt15iterator_traitsISI_E10value_typeEPNSO_ISJ_E10value_typeEPSK_NS1_7vsmem_tEENKUlT_SI_SJ_SK_E_clIPdSD_S10_SD_EESH_SX_SI_SJ_SK_EUlSX_E_NS1_11comp_targetILNS1_3genE0ELNS1_11target_archE4294967295ELNS1_3gpuE0ELNS1_3repE0EEENS1_48merge_mergepath_partition_config_static_selectorELNS0_4arch9wavefront6targetE1EEEvSJ_.numbered_sgpr, 8
	.set _ZN7rocprim17ROCPRIM_400000_NS6detail17trampoline_kernelINS0_14default_configENS1_38merge_sort_block_merge_config_selectorIddEEZZNS1_27merge_sort_block_merge_implIS3_N6thrust23THRUST_200600_302600_NS6detail15normal_iteratorINS8_10device_ptrIdEEEESD_jNS1_19radix_merge_compareILb0ELb0EdNS0_19identity_decomposerEEEEE10hipError_tT0_T1_T2_jT3_P12ihipStream_tbPNSt15iterator_traitsISI_E10value_typeEPNSO_ISJ_E10value_typeEPSK_NS1_7vsmem_tEENKUlT_SI_SJ_SK_E_clIPdSD_S10_SD_EESH_SX_SI_SJ_SK_EUlSX_E_NS1_11comp_targetILNS1_3genE0ELNS1_11target_archE4294967295ELNS1_3gpuE0ELNS1_3repE0EEENS1_48merge_mergepath_partition_config_static_selectorELNS0_4arch9wavefront6targetE1EEEvSJ_.num_named_barrier, 0
	.set _ZN7rocprim17ROCPRIM_400000_NS6detail17trampoline_kernelINS0_14default_configENS1_38merge_sort_block_merge_config_selectorIddEEZZNS1_27merge_sort_block_merge_implIS3_N6thrust23THRUST_200600_302600_NS6detail15normal_iteratorINS8_10device_ptrIdEEEESD_jNS1_19radix_merge_compareILb0ELb0EdNS0_19identity_decomposerEEEEE10hipError_tT0_T1_T2_jT3_P12ihipStream_tbPNSt15iterator_traitsISI_E10value_typeEPNSO_ISJ_E10value_typeEPSK_NS1_7vsmem_tEENKUlT_SI_SJ_SK_E_clIPdSD_S10_SD_EESH_SX_SI_SJ_SK_EUlSX_E_NS1_11comp_targetILNS1_3genE0ELNS1_11target_archE4294967295ELNS1_3gpuE0ELNS1_3repE0EEENS1_48merge_mergepath_partition_config_static_selectorELNS0_4arch9wavefront6targetE1EEEvSJ_.private_seg_size, 0
	.set _ZN7rocprim17ROCPRIM_400000_NS6detail17trampoline_kernelINS0_14default_configENS1_38merge_sort_block_merge_config_selectorIddEEZZNS1_27merge_sort_block_merge_implIS3_N6thrust23THRUST_200600_302600_NS6detail15normal_iteratorINS8_10device_ptrIdEEEESD_jNS1_19radix_merge_compareILb0ELb0EdNS0_19identity_decomposerEEEEE10hipError_tT0_T1_T2_jT3_P12ihipStream_tbPNSt15iterator_traitsISI_E10value_typeEPNSO_ISJ_E10value_typeEPSK_NS1_7vsmem_tEENKUlT_SI_SJ_SK_E_clIPdSD_S10_SD_EESH_SX_SI_SJ_SK_EUlSX_E_NS1_11comp_targetILNS1_3genE0ELNS1_11target_archE4294967295ELNS1_3gpuE0ELNS1_3repE0EEENS1_48merge_mergepath_partition_config_static_selectorELNS0_4arch9wavefront6targetE1EEEvSJ_.uses_vcc, 1
	.set _ZN7rocprim17ROCPRIM_400000_NS6detail17trampoline_kernelINS0_14default_configENS1_38merge_sort_block_merge_config_selectorIddEEZZNS1_27merge_sort_block_merge_implIS3_N6thrust23THRUST_200600_302600_NS6detail15normal_iteratorINS8_10device_ptrIdEEEESD_jNS1_19radix_merge_compareILb0ELb0EdNS0_19identity_decomposerEEEEE10hipError_tT0_T1_T2_jT3_P12ihipStream_tbPNSt15iterator_traitsISI_E10value_typeEPNSO_ISJ_E10value_typeEPSK_NS1_7vsmem_tEENKUlT_SI_SJ_SK_E_clIPdSD_S10_SD_EESH_SX_SI_SJ_SK_EUlSX_E_NS1_11comp_targetILNS1_3genE0ELNS1_11target_archE4294967295ELNS1_3gpuE0ELNS1_3repE0EEENS1_48merge_mergepath_partition_config_static_selectorELNS0_4arch9wavefront6targetE1EEEvSJ_.uses_flat_scratch, 0
	.set _ZN7rocprim17ROCPRIM_400000_NS6detail17trampoline_kernelINS0_14default_configENS1_38merge_sort_block_merge_config_selectorIddEEZZNS1_27merge_sort_block_merge_implIS3_N6thrust23THRUST_200600_302600_NS6detail15normal_iteratorINS8_10device_ptrIdEEEESD_jNS1_19radix_merge_compareILb0ELb0EdNS0_19identity_decomposerEEEEE10hipError_tT0_T1_T2_jT3_P12ihipStream_tbPNSt15iterator_traitsISI_E10value_typeEPNSO_ISJ_E10value_typeEPSK_NS1_7vsmem_tEENKUlT_SI_SJ_SK_E_clIPdSD_S10_SD_EESH_SX_SI_SJ_SK_EUlSX_E_NS1_11comp_targetILNS1_3genE0ELNS1_11target_archE4294967295ELNS1_3gpuE0ELNS1_3repE0EEENS1_48merge_mergepath_partition_config_static_selectorELNS0_4arch9wavefront6targetE1EEEvSJ_.has_dyn_sized_stack, 0
	.set _ZN7rocprim17ROCPRIM_400000_NS6detail17trampoline_kernelINS0_14default_configENS1_38merge_sort_block_merge_config_selectorIddEEZZNS1_27merge_sort_block_merge_implIS3_N6thrust23THRUST_200600_302600_NS6detail15normal_iteratorINS8_10device_ptrIdEEEESD_jNS1_19radix_merge_compareILb0ELb0EdNS0_19identity_decomposerEEEEE10hipError_tT0_T1_T2_jT3_P12ihipStream_tbPNSt15iterator_traitsISI_E10value_typeEPNSO_ISJ_E10value_typeEPSK_NS1_7vsmem_tEENKUlT_SI_SJ_SK_E_clIPdSD_S10_SD_EESH_SX_SI_SJ_SK_EUlSX_E_NS1_11comp_targetILNS1_3genE0ELNS1_11target_archE4294967295ELNS1_3gpuE0ELNS1_3repE0EEENS1_48merge_mergepath_partition_config_static_selectorELNS0_4arch9wavefront6targetE1EEEvSJ_.has_recursion, 0
	.set _ZN7rocprim17ROCPRIM_400000_NS6detail17trampoline_kernelINS0_14default_configENS1_38merge_sort_block_merge_config_selectorIddEEZZNS1_27merge_sort_block_merge_implIS3_N6thrust23THRUST_200600_302600_NS6detail15normal_iteratorINS8_10device_ptrIdEEEESD_jNS1_19radix_merge_compareILb0ELb0EdNS0_19identity_decomposerEEEEE10hipError_tT0_T1_T2_jT3_P12ihipStream_tbPNSt15iterator_traitsISI_E10value_typeEPNSO_ISJ_E10value_typeEPSK_NS1_7vsmem_tEENKUlT_SI_SJ_SK_E_clIPdSD_S10_SD_EESH_SX_SI_SJ_SK_EUlSX_E_NS1_11comp_targetILNS1_3genE0ELNS1_11target_archE4294967295ELNS1_3gpuE0ELNS1_3repE0EEENS1_48merge_mergepath_partition_config_static_selectorELNS0_4arch9wavefront6targetE1EEEvSJ_.has_indirect_call, 0
	.section	.AMDGPU.csdata,"",@progbits
; Kernel info:
; codeLenInByte = 376
; TotalNumSgprs: 14
; NumVgprs: 20
; NumAgprs: 0
; TotalNumVgprs: 20
; ScratchSize: 0
; MemoryBound: 0
; FloatMode: 240
; IeeeMode: 1
; LDSByteSize: 0 bytes/workgroup (compile time only)
; SGPRBlocks: 1
; VGPRBlocks: 2
; NumSGPRsForWavesPerEU: 14
; NumVGPRsForWavesPerEU: 20
; AccumOffset: 20
; Occupancy: 8
; WaveLimiterHint : 0
; COMPUTE_PGM_RSRC2:SCRATCH_EN: 0
; COMPUTE_PGM_RSRC2:USER_SGPR: 2
; COMPUTE_PGM_RSRC2:TRAP_HANDLER: 0
; COMPUTE_PGM_RSRC2:TGID_X_EN: 1
; COMPUTE_PGM_RSRC2:TGID_Y_EN: 0
; COMPUTE_PGM_RSRC2:TGID_Z_EN: 0
; COMPUTE_PGM_RSRC2:TIDIG_COMP_CNT: 0
; COMPUTE_PGM_RSRC3_GFX90A:ACCUM_OFFSET: 4
; COMPUTE_PGM_RSRC3_GFX90A:TG_SPLIT: 0
	.section	.text._ZN7rocprim17ROCPRIM_400000_NS6detail17trampoline_kernelINS0_14default_configENS1_38merge_sort_block_merge_config_selectorIddEEZZNS1_27merge_sort_block_merge_implIS3_N6thrust23THRUST_200600_302600_NS6detail15normal_iteratorINS8_10device_ptrIdEEEESD_jNS1_19radix_merge_compareILb0ELb0EdNS0_19identity_decomposerEEEEE10hipError_tT0_T1_T2_jT3_P12ihipStream_tbPNSt15iterator_traitsISI_E10value_typeEPNSO_ISJ_E10value_typeEPSK_NS1_7vsmem_tEENKUlT_SI_SJ_SK_E_clIPdSD_S10_SD_EESH_SX_SI_SJ_SK_EUlSX_E_NS1_11comp_targetILNS1_3genE10ELNS1_11target_archE1201ELNS1_3gpuE5ELNS1_3repE0EEENS1_48merge_mergepath_partition_config_static_selectorELNS0_4arch9wavefront6targetE1EEEvSJ_,"axG",@progbits,_ZN7rocprim17ROCPRIM_400000_NS6detail17trampoline_kernelINS0_14default_configENS1_38merge_sort_block_merge_config_selectorIddEEZZNS1_27merge_sort_block_merge_implIS3_N6thrust23THRUST_200600_302600_NS6detail15normal_iteratorINS8_10device_ptrIdEEEESD_jNS1_19radix_merge_compareILb0ELb0EdNS0_19identity_decomposerEEEEE10hipError_tT0_T1_T2_jT3_P12ihipStream_tbPNSt15iterator_traitsISI_E10value_typeEPNSO_ISJ_E10value_typeEPSK_NS1_7vsmem_tEENKUlT_SI_SJ_SK_E_clIPdSD_S10_SD_EESH_SX_SI_SJ_SK_EUlSX_E_NS1_11comp_targetILNS1_3genE10ELNS1_11target_archE1201ELNS1_3gpuE5ELNS1_3repE0EEENS1_48merge_mergepath_partition_config_static_selectorELNS0_4arch9wavefront6targetE1EEEvSJ_,comdat
	.protected	_ZN7rocprim17ROCPRIM_400000_NS6detail17trampoline_kernelINS0_14default_configENS1_38merge_sort_block_merge_config_selectorIddEEZZNS1_27merge_sort_block_merge_implIS3_N6thrust23THRUST_200600_302600_NS6detail15normal_iteratorINS8_10device_ptrIdEEEESD_jNS1_19radix_merge_compareILb0ELb0EdNS0_19identity_decomposerEEEEE10hipError_tT0_T1_T2_jT3_P12ihipStream_tbPNSt15iterator_traitsISI_E10value_typeEPNSO_ISJ_E10value_typeEPSK_NS1_7vsmem_tEENKUlT_SI_SJ_SK_E_clIPdSD_S10_SD_EESH_SX_SI_SJ_SK_EUlSX_E_NS1_11comp_targetILNS1_3genE10ELNS1_11target_archE1201ELNS1_3gpuE5ELNS1_3repE0EEENS1_48merge_mergepath_partition_config_static_selectorELNS0_4arch9wavefront6targetE1EEEvSJ_ ; -- Begin function _ZN7rocprim17ROCPRIM_400000_NS6detail17trampoline_kernelINS0_14default_configENS1_38merge_sort_block_merge_config_selectorIddEEZZNS1_27merge_sort_block_merge_implIS3_N6thrust23THRUST_200600_302600_NS6detail15normal_iteratorINS8_10device_ptrIdEEEESD_jNS1_19radix_merge_compareILb0ELb0EdNS0_19identity_decomposerEEEEE10hipError_tT0_T1_T2_jT3_P12ihipStream_tbPNSt15iterator_traitsISI_E10value_typeEPNSO_ISJ_E10value_typeEPSK_NS1_7vsmem_tEENKUlT_SI_SJ_SK_E_clIPdSD_S10_SD_EESH_SX_SI_SJ_SK_EUlSX_E_NS1_11comp_targetILNS1_3genE10ELNS1_11target_archE1201ELNS1_3gpuE5ELNS1_3repE0EEENS1_48merge_mergepath_partition_config_static_selectorELNS0_4arch9wavefront6targetE1EEEvSJ_
	.globl	_ZN7rocprim17ROCPRIM_400000_NS6detail17trampoline_kernelINS0_14default_configENS1_38merge_sort_block_merge_config_selectorIddEEZZNS1_27merge_sort_block_merge_implIS3_N6thrust23THRUST_200600_302600_NS6detail15normal_iteratorINS8_10device_ptrIdEEEESD_jNS1_19radix_merge_compareILb0ELb0EdNS0_19identity_decomposerEEEEE10hipError_tT0_T1_T2_jT3_P12ihipStream_tbPNSt15iterator_traitsISI_E10value_typeEPNSO_ISJ_E10value_typeEPSK_NS1_7vsmem_tEENKUlT_SI_SJ_SK_E_clIPdSD_S10_SD_EESH_SX_SI_SJ_SK_EUlSX_E_NS1_11comp_targetILNS1_3genE10ELNS1_11target_archE1201ELNS1_3gpuE5ELNS1_3repE0EEENS1_48merge_mergepath_partition_config_static_selectorELNS0_4arch9wavefront6targetE1EEEvSJ_
	.p2align	8
	.type	_ZN7rocprim17ROCPRIM_400000_NS6detail17trampoline_kernelINS0_14default_configENS1_38merge_sort_block_merge_config_selectorIddEEZZNS1_27merge_sort_block_merge_implIS3_N6thrust23THRUST_200600_302600_NS6detail15normal_iteratorINS8_10device_ptrIdEEEESD_jNS1_19radix_merge_compareILb0ELb0EdNS0_19identity_decomposerEEEEE10hipError_tT0_T1_T2_jT3_P12ihipStream_tbPNSt15iterator_traitsISI_E10value_typeEPNSO_ISJ_E10value_typeEPSK_NS1_7vsmem_tEENKUlT_SI_SJ_SK_E_clIPdSD_S10_SD_EESH_SX_SI_SJ_SK_EUlSX_E_NS1_11comp_targetILNS1_3genE10ELNS1_11target_archE1201ELNS1_3gpuE5ELNS1_3repE0EEENS1_48merge_mergepath_partition_config_static_selectorELNS0_4arch9wavefront6targetE1EEEvSJ_,@function
_ZN7rocprim17ROCPRIM_400000_NS6detail17trampoline_kernelINS0_14default_configENS1_38merge_sort_block_merge_config_selectorIddEEZZNS1_27merge_sort_block_merge_implIS3_N6thrust23THRUST_200600_302600_NS6detail15normal_iteratorINS8_10device_ptrIdEEEESD_jNS1_19radix_merge_compareILb0ELb0EdNS0_19identity_decomposerEEEEE10hipError_tT0_T1_T2_jT3_P12ihipStream_tbPNSt15iterator_traitsISI_E10value_typeEPNSO_ISJ_E10value_typeEPSK_NS1_7vsmem_tEENKUlT_SI_SJ_SK_E_clIPdSD_S10_SD_EESH_SX_SI_SJ_SK_EUlSX_E_NS1_11comp_targetILNS1_3genE10ELNS1_11target_archE1201ELNS1_3gpuE5ELNS1_3repE0EEENS1_48merge_mergepath_partition_config_static_selectorELNS0_4arch9wavefront6targetE1EEEvSJ_: ; @_ZN7rocprim17ROCPRIM_400000_NS6detail17trampoline_kernelINS0_14default_configENS1_38merge_sort_block_merge_config_selectorIddEEZZNS1_27merge_sort_block_merge_implIS3_N6thrust23THRUST_200600_302600_NS6detail15normal_iteratorINS8_10device_ptrIdEEEESD_jNS1_19radix_merge_compareILb0ELb0EdNS0_19identity_decomposerEEEEE10hipError_tT0_T1_T2_jT3_P12ihipStream_tbPNSt15iterator_traitsISI_E10value_typeEPNSO_ISJ_E10value_typeEPSK_NS1_7vsmem_tEENKUlT_SI_SJ_SK_E_clIPdSD_S10_SD_EESH_SX_SI_SJ_SK_EUlSX_E_NS1_11comp_targetILNS1_3genE10ELNS1_11target_archE1201ELNS1_3gpuE5ELNS1_3repE0EEENS1_48merge_mergepath_partition_config_static_selectorELNS0_4arch9wavefront6targetE1EEEvSJ_
; %bb.0:
	.section	.rodata,"a",@progbits
	.p2align	6, 0x0
	.amdhsa_kernel _ZN7rocprim17ROCPRIM_400000_NS6detail17trampoline_kernelINS0_14default_configENS1_38merge_sort_block_merge_config_selectorIddEEZZNS1_27merge_sort_block_merge_implIS3_N6thrust23THRUST_200600_302600_NS6detail15normal_iteratorINS8_10device_ptrIdEEEESD_jNS1_19radix_merge_compareILb0ELb0EdNS0_19identity_decomposerEEEEE10hipError_tT0_T1_T2_jT3_P12ihipStream_tbPNSt15iterator_traitsISI_E10value_typeEPNSO_ISJ_E10value_typeEPSK_NS1_7vsmem_tEENKUlT_SI_SJ_SK_E_clIPdSD_S10_SD_EESH_SX_SI_SJ_SK_EUlSX_E_NS1_11comp_targetILNS1_3genE10ELNS1_11target_archE1201ELNS1_3gpuE5ELNS1_3repE0EEENS1_48merge_mergepath_partition_config_static_selectorELNS0_4arch9wavefront6targetE1EEEvSJ_
		.amdhsa_group_segment_fixed_size 0
		.amdhsa_private_segment_fixed_size 0
		.amdhsa_kernarg_size 40
		.amdhsa_user_sgpr_count 2
		.amdhsa_user_sgpr_dispatch_ptr 0
		.amdhsa_user_sgpr_queue_ptr 0
		.amdhsa_user_sgpr_kernarg_segment_ptr 1
		.amdhsa_user_sgpr_dispatch_id 0
		.amdhsa_user_sgpr_kernarg_preload_length 0
		.amdhsa_user_sgpr_kernarg_preload_offset 0
		.amdhsa_user_sgpr_private_segment_size 0
		.amdhsa_uses_dynamic_stack 0
		.amdhsa_enable_private_segment 0
		.amdhsa_system_sgpr_workgroup_id_x 1
		.amdhsa_system_sgpr_workgroup_id_y 0
		.amdhsa_system_sgpr_workgroup_id_z 0
		.amdhsa_system_sgpr_workgroup_info 0
		.amdhsa_system_vgpr_workitem_id 0
		.amdhsa_next_free_vgpr 1
		.amdhsa_next_free_sgpr 0
		.amdhsa_accum_offset 4
		.amdhsa_reserve_vcc 0
		.amdhsa_float_round_mode_32 0
		.amdhsa_float_round_mode_16_64 0
		.amdhsa_float_denorm_mode_32 3
		.amdhsa_float_denorm_mode_16_64 3
		.amdhsa_dx10_clamp 1
		.amdhsa_ieee_mode 1
		.amdhsa_fp16_overflow 0
		.amdhsa_tg_split 0
		.amdhsa_exception_fp_ieee_invalid_op 0
		.amdhsa_exception_fp_denorm_src 0
		.amdhsa_exception_fp_ieee_div_zero 0
		.amdhsa_exception_fp_ieee_overflow 0
		.amdhsa_exception_fp_ieee_underflow 0
		.amdhsa_exception_fp_ieee_inexact 0
		.amdhsa_exception_int_div_zero 0
	.end_amdhsa_kernel
	.section	.text._ZN7rocprim17ROCPRIM_400000_NS6detail17trampoline_kernelINS0_14default_configENS1_38merge_sort_block_merge_config_selectorIddEEZZNS1_27merge_sort_block_merge_implIS3_N6thrust23THRUST_200600_302600_NS6detail15normal_iteratorINS8_10device_ptrIdEEEESD_jNS1_19radix_merge_compareILb0ELb0EdNS0_19identity_decomposerEEEEE10hipError_tT0_T1_T2_jT3_P12ihipStream_tbPNSt15iterator_traitsISI_E10value_typeEPNSO_ISJ_E10value_typeEPSK_NS1_7vsmem_tEENKUlT_SI_SJ_SK_E_clIPdSD_S10_SD_EESH_SX_SI_SJ_SK_EUlSX_E_NS1_11comp_targetILNS1_3genE10ELNS1_11target_archE1201ELNS1_3gpuE5ELNS1_3repE0EEENS1_48merge_mergepath_partition_config_static_selectorELNS0_4arch9wavefront6targetE1EEEvSJ_,"axG",@progbits,_ZN7rocprim17ROCPRIM_400000_NS6detail17trampoline_kernelINS0_14default_configENS1_38merge_sort_block_merge_config_selectorIddEEZZNS1_27merge_sort_block_merge_implIS3_N6thrust23THRUST_200600_302600_NS6detail15normal_iteratorINS8_10device_ptrIdEEEESD_jNS1_19radix_merge_compareILb0ELb0EdNS0_19identity_decomposerEEEEE10hipError_tT0_T1_T2_jT3_P12ihipStream_tbPNSt15iterator_traitsISI_E10value_typeEPNSO_ISJ_E10value_typeEPSK_NS1_7vsmem_tEENKUlT_SI_SJ_SK_E_clIPdSD_S10_SD_EESH_SX_SI_SJ_SK_EUlSX_E_NS1_11comp_targetILNS1_3genE10ELNS1_11target_archE1201ELNS1_3gpuE5ELNS1_3repE0EEENS1_48merge_mergepath_partition_config_static_selectorELNS0_4arch9wavefront6targetE1EEEvSJ_,comdat
.Lfunc_end26:
	.size	_ZN7rocprim17ROCPRIM_400000_NS6detail17trampoline_kernelINS0_14default_configENS1_38merge_sort_block_merge_config_selectorIddEEZZNS1_27merge_sort_block_merge_implIS3_N6thrust23THRUST_200600_302600_NS6detail15normal_iteratorINS8_10device_ptrIdEEEESD_jNS1_19radix_merge_compareILb0ELb0EdNS0_19identity_decomposerEEEEE10hipError_tT0_T1_T2_jT3_P12ihipStream_tbPNSt15iterator_traitsISI_E10value_typeEPNSO_ISJ_E10value_typeEPSK_NS1_7vsmem_tEENKUlT_SI_SJ_SK_E_clIPdSD_S10_SD_EESH_SX_SI_SJ_SK_EUlSX_E_NS1_11comp_targetILNS1_3genE10ELNS1_11target_archE1201ELNS1_3gpuE5ELNS1_3repE0EEENS1_48merge_mergepath_partition_config_static_selectorELNS0_4arch9wavefront6targetE1EEEvSJ_, .Lfunc_end26-_ZN7rocprim17ROCPRIM_400000_NS6detail17trampoline_kernelINS0_14default_configENS1_38merge_sort_block_merge_config_selectorIddEEZZNS1_27merge_sort_block_merge_implIS3_N6thrust23THRUST_200600_302600_NS6detail15normal_iteratorINS8_10device_ptrIdEEEESD_jNS1_19radix_merge_compareILb0ELb0EdNS0_19identity_decomposerEEEEE10hipError_tT0_T1_T2_jT3_P12ihipStream_tbPNSt15iterator_traitsISI_E10value_typeEPNSO_ISJ_E10value_typeEPSK_NS1_7vsmem_tEENKUlT_SI_SJ_SK_E_clIPdSD_S10_SD_EESH_SX_SI_SJ_SK_EUlSX_E_NS1_11comp_targetILNS1_3genE10ELNS1_11target_archE1201ELNS1_3gpuE5ELNS1_3repE0EEENS1_48merge_mergepath_partition_config_static_selectorELNS0_4arch9wavefront6targetE1EEEvSJ_
                                        ; -- End function
	.set _ZN7rocprim17ROCPRIM_400000_NS6detail17trampoline_kernelINS0_14default_configENS1_38merge_sort_block_merge_config_selectorIddEEZZNS1_27merge_sort_block_merge_implIS3_N6thrust23THRUST_200600_302600_NS6detail15normal_iteratorINS8_10device_ptrIdEEEESD_jNS1_19radix_merge_compareILb0ELb0EdNS0_19identity_decomposerEEEEE10hipError_tT0_T1_T2_jT3_P12ihipStream_tbPNSt15iterator_traitsISI_E10value_typeEPNSO_ISJ_E10value_typeEPSK_NS1_7vsmem_tEENKUlT_SI_SJ_SK_E_clIPdSD_S10_SD_EESH_SX_SI_SJ_SK_EUlSX_E_NS1_11comp_targetILNS1_3genE10ELNS1_11target_archE1201ELNS1_3gpuE5ELNS1_3repE0EEENS1_48merge_mergepath_partition_config_static_selectorELNS0_4arch9wavefront6targetE1EEEvSJ_.num_vgpr, 0
	.set _ZN7rocprim17ROCPRIM_400000_NS6detail17trampoline_kernelINS0_14default_configENS1_38merge_sort_block_merge_config_selectorIddEEZZNS1_27merge_sort_block_merge_implIS3_N6thrust23THRUST_200600_302600_NS6detail15normal_iteratorINS8_10device_ptrIdEEEESD_jNS1_19radix_merge_compareILb0ELb0EdNS0_19identity_decomposerEEEEE10hipError_tT0_T1_T2_jT3_P12ihipStream_tbPNSt15iterator_traitsISI_E10value_typeEPNSO_ISJ_E10value_typeEPSK_NS1_7vsmem_tEENKUlT_SI_SJ_SK_E_clIPdSD_S10_SD_EESH_SX_SI_SJ_SK_EUlSX_E_NS1_11comp_targetILNS1_3genE10ELNS1_11target_archE1201ELNS1_3gpuE5ELNS1_3repE0EEENS1_48merge_mergepath_partition_config_static_selectorELNS0_4arch9wavefront6targetE1EEEvSJ_.num_agpr, 0
	.set _ZN7rocprim17ROCPRIM_400000_NS6detail17trampoline_kernelINS0_14default_configENS1_38merge_sort_block_merge_config_selectorIddEEZZNS1_27merge_sort_block_merge_implIS3_N6thrust23THRUST_200600_302600_NS6detail15normal_iteratorINS8_10device_ptrIdEEEESD_jNS1_19radix_merge_compareILb0ELb0EdNS0_19identity_decomposerEEEEE10hipError_tT0_T1_T2_jT3_P12ihipStream_tbPNSt15iterator_traitsISI_E10value_typeEPNSO_ISJ_E10value_typeEPSK_NS1_7vsmem_tEENKUlT_SI_SJ_SK_E_clIPdSD_S10_SD_EESH_SX_SI_SJ_SK_EUlSX_E_NS1_11comp_targetILNS1_3genE10ELNS1_11target_archE1201ELNS1_3gpuE5ELNS1_3repE0EEENS1_48merge_mergepath_partition_config_static_selectorELNS0_4arch9wavefront6targetE1EEEvSJ_.numbered_sgpr, 0
	.set _ZN7rocprim17ROCPRIM_400000_NS6detail17trampoline_kernelINS0_14default_configENS1_38merge_sort_block_merge_config_selectorIddEEZZNS1_27merge_sort_block_merge_implIS3_N6thrust23THRUST_200600_302600_NS6detail15normal_iteratorINS8_10device_ptrIdEEEESD_jNS1_19radix_merge_compareILb0ELb0EdNS0_19identity_decomposerEEEEE10hipError_tT0_T1_T2_jT3_P12ihipStream_tbPNSt15iterator_traitsISI_E10value_typeEPNSO_ISJ_E10value_typeEPSK_NS1_7vsmem_tEENKUlT_SI_SJ_SK_E_clIPdSD_S10_SD_EESH_SX_SI_SJ_SK_EUlSX_E_NS1_11comp_targetILNS1_3genE10ELNS1_11target_archE1201ELNS1_3gpuE5ELNS1_3repE0EEENS1_48merge_mergepath_partition_config_static_selectorELNS0_4arch9wavefront6targetE1EEEvSJ_.num_named_barrier, 0
	.set _ZN7rocprim17ROCPRIM_400000_NS6detail17trampoline_kernelINS0_14default_configENS1_38merge_sort_block_merge_config_selectorIddEEZZNS1_27merge_sort_block_merge_implIS3_N6thrust23THRUST_200600_302600_NS6detail15normal_iteratorINS8_10device_ptrIdEEEESD_jNS1_19radix_merge_compareILb0ELb0EdNS0_19identity_decomposerEEEEE10hipError_tT0_T1_T2_jT3_P12ihipStream_tbPNSt15iterator_traitsISI_E10value_typeEPNSO_ISJ_E10value_typeEPSK_NS1_7vsmem_tEENKUlT_SI_SJ_SK_E_clIPdSD_S10_SD_EESH_SX_SI_SJ_SK_EUlSX_E_NS1_11comp_targetILNS1_3genE10ELNS1_11target_archE1201ELNS1_3gpuE5ELNS1_3repE0EEENS1_48merge_mergepath_partition_config_static_selectorELNS0_4arch9wavefront6targetE1EEEvSJ_.private_seg_size, 0
	.set _ZN7rocprim17ROCPRIM_400000_NS6detail17trampoline_kernelINS0_14default_configENS1_38merge_sort_block_merge_config_selectorIddEEZZNS1_27merge_sort_block_merge_implIS3_N6thrust23THRUST_200600_302600_NS6detail15normal_iteratorINS8_10device_ptrIdEEEESD_jNS1_19radix_merge_compareILb0ELb0EdNS0_19identity_decomposerEEEEE10hipError_tT0_T1_T2_jT3_P12ihipStream_tbPNSt15iterator_traitsISI_E10value_typeEPNSO_ISJ_E10value_typeEPSK_NS1_7vsmem_tEENKUlT_SI_SJ_SK_E_clIPdSD_S10_SD_EESH_SX_SI_SJ_SK_EUlSX_E_NS1_11comp_targetILNS1_3genE10ELNS1_11target_archE1201ELNS1_3gpuE5ELNS1_3repE0EEENS1_48merge_mergepath_partition_config_static_selectorELNS0_4arch9wavefront6targetE1EEEvSJ_.uses_vcc, 0
	.set _ZN7rocprim17ROCPRIM_400000_NS6detail17trampoline_kernelINS0_14default_configENS1_38merge_sort_block_merge_config_selectorIddEEZZNS1_27merge_sort_block_merge_implIS3_N6thrust23THRUST_200600_302600_NS6detail15normal_iteratorINS8_10device_ptrIdEEEESD_jNS1_19radix_merge_compareILb0ELb0EdNS0_19identity_decomposerEEEEE10hipError_tT0_T1_T2_jT3_P12ihipStream_tbPNSt15iterator_traitsISI_E10value_typeEPNSO_ISJ_E10value_typeEPSK_NS1_7vsmem_tEENKUlT_SI_SJ_SK_E_clIPdSD_S10_SD_EESH_SX_SI_SJ_SK_EUlSX_E_NS1_11comp_targetILNS1_3genE10ELNS1_11target_archE1201ELNS1_3gpuE5ELNS1_3repE0EEENS1_48merge_mergepath_partition_config_static_selectorELNS0_4arch9wavefront6targetE1EEEvSJ_.uses_flat_scratch, 0
	.set _ZN7rocprim17ROCPRIM_400000_NS6detail17trampoline_kernelINS0_14default_configENS1_38merge_sort_block_merge_config_selectorIddEEZZNS1_27merge_sort_block_merge_implIS3_N6thrust23THRUST_200600_302600_NS6detail15normal_iteratorINS8_10device_ptrIdEEEESD_jNS1_19radix_merge_compareILb0ELb0EdNS0_19identity_decomposerEEEEE10hipError_tT0_T1_T2_jT3_P12ihipStream_tbPNSt15iterator_traitsISI_E10value_typeEPNSO_ISJ_E10value_typeEPSK_NS1_7vsmem_tEENKUlT_SI_SJ_SK_E_clIPdSD_S10_SD_EESH_SX_SI_SJ_SK_EUlSX_E_NS1_11comp_targetILNS1_3genE10ELNS1_11target_archE1201ELNS1_3gpuE5ELNS1_3repE0EEENS1_48merge_mergepath_partition_config_static_selectorELNS0_4arch9wavefront6targetE1EEEvSJ_.has_dyn_sized_stack, 0
	.set _ZN7rocprim17ROCPRIM_400000_NS6detail17trampoline_kernelINS0_14default_configENS1_38merge_sort_block_merge_config_selectorIddEEZZNS1_27merge_sort_block_merge_implIS3_N6thrust23THRUST_200600_302600_NS6detail15normal_iteratorINS8_10device_ptrIdEEEESD_jNS1_19radix_merge_compareILb0ELb0EdNS0_19identity_decomposerEEEEE10hipError_tT0_T1_T2_jT3_P12ihipStream_tbPNSt15iterator_traitsISI_E10value_typeEPNSO_ISJ_E10value_typeEPSK_NS1_7vsmem_tEENKUlT_SI_SJ_SK_E_clIPdSD_S10_SD_EESH_SX_SI_SJ_SK_EUlSX_E_NS1_11comp_targetILNS1_3genE10ELNS1_11target_archE1201ELNS1_3gpuE5ELNS1_3repE0EEENS1_48merge_mergepath_partition_config_static_selectorELNS0_4arch9wavefront6targetE1EEEvSJ_.has_recursion, 0
	.set _ZN7rocprim17ROCPRIM_400000_NS6detail17trampoline_kernelINS0_14default_configENS1_38merge_sort_block_merge_config_selectorIddEEZZNS1_27merge_sort_block_merge_implIS3_N6thrust23THRUST_200600_302600_NS6detail15normal_iteratorINS8_10device_ptrIdEEEESD_jNS1_19radix_merge_compareILb0ELb0EdNS0_19identity_decomposerEEEEE10hipError_tT0_T1_T2_jT3_P12ihipStream_tbPNSt15iterator_traitsISI_E10value_typeEPNSO_ISJ_E10value_typeEPSK_NS1_7vsmem_tEENKUlT_SI_SJ_SK_E_clIPdSD_S10_SD_EESH_SX_SI_SJ_SK_EUlSX_E_NS1_11comp_targetILNS1_3genE10ELNS1_11target_archE1201ELNS1_3gpuE5ELNS1_3repE0EEENS1_48merge_mergepath_partition_config_static_selectorELNS0_4arch9wavefront6targetE1EEEvSJ_.has_indirect_call, 0
	.section	.AMDGPU.csdata,"",@progbits
; Kernel info:
; codeLenInByte = 0
; TotalNumSgprs: 6
; NumVgprs: 0
; NumAgprs: 0
; TotalNumVgprs: 0
; ScratchSize: 0
; MemoryBound: 0
; FloatMode: 240
; IeeeMode: 1
; LDSByteSize: 0 bytes/workgroup (compile time only)
; SGPRBlocks: 0
; VGPRBlocks: 0
; NumSGPRsForWavesPerEU: 6
; NumVGPRsForWavesPerEU: 1
; AccumOffset: 4
; Occupancy: 8
; WaveLimiterHint : 0
; COMPUTE_PGM_RSRC2:SCRATCH_EN: 0
; COMPUTE_PGM_RSRC2:USER_SGPR: 2
; COMPUTE_PGM_RSRC2:TRAP_HANDLER: 0
; COMPUTE_PGM_RSRC2:TGID_X_EN: 1
; COMPUTE_PGM_RSRC2:TGID_Y_EN: 0
; COMPUTE_PGM_RSRC2:TGID_Z_EN: 0
; COMPUTE_PGM_RSRC2:TIDIG_COMP_CNT: 0
; COMPUTE_PGM_RSRC3_GFX90A:ACCUM_OFFSET: 0
; COMPUTE_PGM_RSRC3_GFX90A:TG_SPLIT: 0
	.section	.text._ZN7rocprim17ROCPRIM_400000_NS6detail17trampoline_kernelINS0_14default_configENS1_38merge_sort_block_merge_config_selectorIddEEZZNS1_27merge_sort_block_merge_implIS3_N6thrust23THRUST_200600_302600_NS6detail15normal_iteratorINS8_10device_ptrIdEEEESD_jNS1_19radix_merge_compareILb0ELb0EdNS0_19identity_decomposerEEEEE10hipError_tT0_T1_T2_jT3_P12ihipStream_tbPNSt15iterator_traitsISI_E10value_typeEPNSO_ISJ_E10value_typeEPSK_NS1_7vsmem_tEENKUlT_SI_SJ_SK_E_clIPdSD_S10_SD_EESH_SX_SI_SJ_SK_EUlSX_E_NS1_11comp_targetILNS1_3genE5ELNS1_11target_archE942ELNS1_3gpuE9ELNS1_3repE0EEENS1_48merge_mergepath_partition_config_static_selectorELNS0_4arch9wavefront6targetE1EEEvSJ_,"axG",@progbits,_ZN7rocprim17ROCPRIM_400000_NS6detail17trampoline_kernelINS0_14default_configENS1_38merge_sort_block_merge_config_selectorIddEEZZNS1_27merge_sort_block_merge_implIS3_N6thrust23THRUST_200600_302600_NS6detail15normal_iteratorINS8_10device_ptrIdEEEESD_jNS1_19radix_merge_compareILb0ELb0EdNS0_19identity_decomposerEEEEE10hipError_tT0_T1_T2_jT3_P12ihipStream_tbPNSt15iterator_traitsISI_E10value_typeEPNSO_ISJ_E10value_typeEPSK_NS1_7vsmem_tEENKUlT_SI_SJ_SK_E_clIPdSD_S10_SD_EESH_SX_SI_SJ_SK_EUlSX_E_NS1_11comp_targetILNS1_3genE5ELNS1_11target_archE942ELNS1_3gpuE9ELNS1_3repE0EEENS1_48merge_mergepath_partition_config_static_selectorELNS0_4arch9wavefront6targetE1EEEvSJ_,comdat
	.protected	_ZN7rocprim17ROCPRIM_400000_NS6detail17trampoline_kernelINS0_14default_configENS1_38merge_sort_block_merge_config_selectorIddEEZZNS1_27merge_sort_block_merge_implIS3_N6thrust23THRUST_200600_302600_NS6detail15normal_iteratorINS8_10device_ptrIdEEEESD_jNS1_19radix_merge_compareILb0ELb0EdNS0_19identity_decomposerEEEEE10hipError_tT0_T1_T2_jT3_P12ihipStream_tbPNSt15iterator_traitsISI_E10value_typeEPNSO_ISJ_E10value_typeEPSK_NS1_7vsmem_tEENKUlT_SI_SJ_SK_E_clIPdSD_S10_SD_EESH_SX_SI_SJ_SK_EUlSX_E_NS1_11comp_targetILNS1_3genE5ELNS1_11target_archE942ELNS1_3gpuE9ELNS1_3repE0EEENS1_48merge_mergepath_partition_config_static_selectorELNS0_4arch9wavefront6targetE1EEEvSJ_ ; -- Begin function _ZN7rocprim17ROCPRIM_400000_NS6detail17trampoline_kernelINS0_14default_configENS1_38merge_sort_block_merge_config_selectorIddEEZZNS1_27merge_sort_block_merge_implIS3_N6thrust23THRUST_200600_302600_NS6detail15normal_iteratorINS8_10device_ptrIdEEEESD_jNS1_19radix_merge_compareILb0ELb0EdNS0_19identity_decomposerEEEEE10hipError_tT0_T1_T2_jT3_P12ihipStream_tbPNSt15iterator_traitsISI_E10value_typeEPNSO_ISJ_E10value_typeEPSK_NS1_7vsmem_tEENKUlT_SI_SJ_SK_E_clIPdSD_S10_SD_EESH_SX_SI_SJ_SK_EUlSX_E_NS1_11comp_targetILNS1_3genE5ELNS1_11target_archE942ELNS1_3gpuE9ELNS1_3repE0EEENS1_48merge_mergepath_partition_config_static_selectorELNS0_4arch9wavefront6targetE1EEEvSJ_
	.globl	_ZN7rocprim17ROCPRIM_400000_NS6detail17trampoline_kernelINS0_14default_configENS1_38merge_sort_block_merge_config_selectorIddEEZZNS1_27merge_sort_block_merge_implIS3_N6thrust23THRUST_200600_302600_NS6detail15normal_iteratorINS8_10device_ptrIdEEEESD_jNS1_19radix_merge_compareILb0ELb0EdNS0_19identity_decomposerEEEEE10hipError_tT0_T1_T2_jT3_P12ihipStream_tbPNSt15iterator_traitsISI_E10value_typeEPNSO_ISJ_E10value_typeEPSK_NS1_7vsmem_tEENKUlT_SI_SJ_SK_E_clIPdSD_S10_SD_EESH_SX_SI_SJ_SK_EUlSX_E_NS1_11comp_targetILNS1_3genE5ELNS1_11target_archE942ELNS1_3gpuE9ELNS1_3repE0EEENS1_48merge_mergepath_partition_config_static_selectorELNS0_4arch9wavefront6targetE1EEEvSJ_
	.p2align	8
	.type	_ZN7rocprim17ROCPRIM_400000_NS6detail17trampoline_kernelINS0_14default_configENS1_38merge_sort_block_merge_config_selectorIddEEZZNS1_27merge_sort_block_merge_implIS3_N6thrust23THRUST_200600_302600_NS6detail15normal_iteratorINS8_10device_ptrIdEEEESD_jNS1_19radix_merge_compareILb0ELb0EdNS0_19identity_decomposerEEEEE10hipError_tT0_T1_T2_jT3_P12ihipStream_tbPNSt15iterator_traitsISI_E10value_typeEPNSO_ISJ_E10value_typeEPSK_NS1_7vsmem_tEENKUlT_SI_SJ_SK_E_clIPdSD_S10_SD_EESH_SX_SI_SJ_SK_EUlSX_E_NS1_11comp_targetILNS1_3genE5ELNS1_11target_archE942ELNS1_3gpuE9ELNS1_3repE0EEENS1_48merge_mergepath_partition_config_static_selectorELNS0_4arch9wavefront6targetE1EEEvSJ_,@function
_ZN7rocprim17ROCPRIM_400000_NS6detail17trampoline_kernelINS0_14default_configENS1_38merge_sort_block_merge_config_selectorIddEEZZNS1_27merge_sort_block_merge_implIS3_N6thrust23THRUST_200600_302600_NS6detail15normal_iteratorINS8_10device_ptrIdEEEESD_jNS1_19radix_merge_compareILb0ELb0EdNS0_19identity_decomposerEEEEE10hipError_tT0_T1_T2_jT3_P12ihipStream_tbPNSt15iterator_traitsISI_E10value_typeEPNSO_ISJ_E10value_typeEPSK_NS1_7vsmem_tEENKUlT_SI_SJ_SK_E_clIPdSD_S10_SD_EESH_SX_SI_SJ_SK_EUlSX_E_NS1_11comp_targetILNS1_3genE5ELNS1_11target_archE942ELNS1_3gpuE9ELNS1_3repE0EEENS1_48merge_mergepath_partition_config_static_selectorELNS0_4arch9wavefront6targetE1EEEvSJ_: ; @_ZN7rocprim17ROCPRIM_400000_NS6detail17trampoline_kernelINS0_14default_configENS1_38merge_sort_block_merge_config_selectorIddEEZZNS1_27merge_sort_block_merge_implIS3_N6thrust23THRUST_200600_302600_NS6detail15normal_iteratorINS8_10device_ptrIdEEEESD_jNS1_19radix_merge_compareILb0ELb0EdNS0_19identity_decomposerEEEEE10hipError_tT0_T1_T2_jT3_P12ihipStream_tbPNSt15iterator_traitsISI_E10value_typeEPNSO_ISJ_E10value_typeEPSK_NS1_7vsmem_tEENKUlT_SI_SJ_SK_E_clIPdSD_S10_SD_EESH_SX_SI_SJ_SK_EUlSX_E_NS1_11comp_targetILNS1_3genE5ELNS1_11target_archE942ELNS1_3gpuE9ELNS1_3repE0EEENS1_48merge_mergepath_partition_config_static_selectorELNS0_4arch9wavefront6targetE1EEEvSJ_
; %bb.0:
	.section	.rodata,"a",@progbits
	.p2align	6, 0x0
	.amdhsa_kernel _ZN7rocprim17ROCPRIM_400000_NS6detail17trampoline_kernelINS0_14default_configENS1_38merge_sort_block_merge_config_selectorIddEEZZNS1_27merge_sort_block_merge_implIS3_N6thrust23THRUST_200600_302600_NS6detail15normal_iteratorINS8_10device_ptrIdEEEESD_jNS1_19radix_merge_compareILb0ELb0EdNS0_19identity_decomposerEEEEE10hipError_tT0_T1_T2_jT3_P12ihipStream_tbPNSt15iterator_traitsISI_E10value_typeEPNSO_ISJ_E10value_typeEPSK_NS1_7vsmem_tEENKUlT_SI_SJ_SK_E_clIPdSD_S10_SD_EESH_SX_SI_SJ_SK_EUlSX_E_NS1_11comp_targetILNS1_3genE5ELNS1_11target_archE942ELNS1_3gpuE9ELNS1_3repE0EEENS1_48merge_mergepath_partition_config_static_selectorELNS0_4arch9wavefront6targetE1EEEvSJ_
		.amdhsa_group_segment_fixed_size 0
		.amdhsa_private_segment_fixed_size 0
		.amdhsa_kernarg_size 40
		.amdhsa_user_sgpr_count 2
		.amdhsa_user_sgpr_dispatch_ptr 0
		.amdhsa_user_sgpr_queue_ptr 0
		.amdhsa_user_sgpr_kernarg_segment_ptr 1
		.amdhsa_user_sgpr_dispatch_id 0
		.amdhsa_user_sgpr_kernarg_preload_length 0
		.amdhsa_user_sgpr_kernarg_preload_offset 0
		.amdhsa_user_sgpr_private_segment_size 0
		.amdhsa_uses_dynamic_stack 0
		.amdhsa_enable_private_segment 0
		.amdhsa_system_sgpr_workgroup_id_x 1
		.amdhsa_system_sgpr_workgroup_id_y 0
		.amdhsa_system_sgpr_workgroup_id_z 0
		.amdhsa_system_sgpr_workgroup_info 0
		.amdhsa_system_vgpr_workitem_id 0
		.amdhsa_next_free_vgpr 1
		.amdhsa_next_free_sgpr 0
		.amdhsa_accum_offset 4
		.amdhsa_reserve_vcc 0
		.amdhsa_float_round_mode_32 0
		.amdhsa_float_round_mode_16_64 0
		.amdhsa_float_denorm_mode_32 3
		.amdhsa_float_denorm_mode_16_64 3
		.amdhsa_dx10_clamp 1
		.amdhsa_ieee_mode 1
		.amdhsa_fp16_overflow 0
		.amdhsa_tg_split 0
		.amdhsa_exception_fp_ieee_invalid_op 0
		.amdhsa_exception_fp_denorm_src 0
		.amdhsa_exception_fp_ieee_div_zero 0
		.amdhsa_exception_fp_ieee_overflow 0
		.amdhsa_exception_fp_ieee_underflow 0
		.amdhsa_exception_fp_ieee_inexact 0
		.amdhsa_exception_int_div_zero 0
	.end_amdhsa_kernel
	.section	.text._ZN7rocprim17ROCPRIM_400000_NS6detail17trampoline_kernelINS0_14default_configENS1_38merge_sort_block_merge_config_selectorIddEEZZNS1_27merge_sort_block_merge_implIS3_N6thrust23THRUST_200600_302600_NS6detail15normal_iteratorINS8_10device_ptrIdEEEESD_jNS1_19radix_merge_compareILb0ELb0EdNS0_19identity_decomposerEEEEE10hipError_tT0_T1_T2_jT3_P12ihipStream_tbPNSt15iterator_traitsISI_E10value_typeEPNSO_ISJ_E10value_typeEPSK_NS1_7vsmem_tEENKUlT_SI_SJ_SK_E_clIPdSD_S10_SD_EESH_SX_SI_SJ_SK_EUlSX_E_NS1_11comp_targetILNS1_3genE5ELNS1_11target_archE942ELNS1_3gpuE9ELNS1_3repE0EEENS1_48merge_mergepath_partition_config_static_selectorELNS0_4arch9wavefront6targetE1EEEvSJ_,"axG",@progbits,_ZN7rocprim17ROCPRIM_400000_NS6detail17trampoline_kernelINS0_14default_configENS1_38merge_sort_block_merge_config_selectorIddEEZZNS1_27merge_sort_block_merge_implIS3_N6thrust23THRUST_200600_302600_NS6detail15normal_iteratorINS8_10device_ptrIdEEEESD_jNS1_19radix_merge_compareILb0ELb0EdNS0_19identity_decomposerEEEEE10hipError_tT0_T1_T2_jT3_P12ihipStream_tbPNSt15iterator_traitsISI_E10value_typeEPNSO_ISJ_E10value_typeEPSK_NS1_7vsmem_tEENKUlT_SI_SJ_SK_E_clIPdSD_S10_SD_EESH_SX_SI_SJ_SK_EUlSX_E_NS1_11comp_targetILNS1_3genE5ELNS1_11target_archE942ELNS1_3gpuE9ELNS1_3repE0EEENS1_48merge_mergepath_partition_config_static_selectorELNS0_4arch9wavefront6targetE1EEEvSJ_,comdat
.Lfunc_end27:
	.size	_ZN7rocprim17ROCPRIM_400000_NS6detail17trampoline_kernelINS0_14default_configENS1_38merge_sort_block_merge_config_selectorIddEEZZNS1_27merge_sort_block_merge_implIS3_N6thrust23THRUST_200600_302600_NS6detail15normal_iteratorINS8_10device_ptrIdEEEESD_jNS1_19radix_merge_compareILb0ELb0EdNS0_19identity_decomposerEEEEE10hipError_tT0_T1_T2_jT3_P12ihipStream_tbPNSt15iterator_traitsISI_E10value_typeEPNSO_ISJ_E10value_typeEPSK_NS1_7vsmem_tEENKUlT_SI_SJ_SK_E_clIPdSD_S10_SD_EESH_SX_SI_SJ_SK_EUlSX_E_NS1_11comp_targetILNS1_3genE5ELNS1_11target_archE942ELNS1_3gpuE9ELNS1_3repE0EEENS1_48merge_mergepath_partition_config_static_selectorELNS0_4arch9wavefront6targetE1EEEvSJ_, .Lfunc_end27-_ZN7rocprim17ROCPRIM_400000_NS6detail17trampoline_kernelINS0_14default_configENS1_38merge_sort_block_merge_config_selectorIddEEZZNS1_27merge_sort_block_merge_implIS3_N6thrust23THRUST_200600_302600_NS6detail15normal_iteratorINS8_10device_ptrIdEEEESD_jNS1_19radix_merge_compareILb0ELb0EdNS0_19identity_decomposerEEEEE10hipError_tT0_T1_T2_jT3_P12ihipStream_tbPNSt15iterator_traitsISI_E10value_typeEPNSO_ISJ_E10value_typeEPSK_NS1_7vsmem_tEENKUlT_SI_SJ_SK_E_clIPdSD_S10_SD_EESH_SX_SI_SJ_SK_EUlSX_E_NS1_11comp_targetILNS1_3genE5ELNS1_11target_archE942ELNS1_3gpuE9ELNS1_3repE0EEENS1_48merge_mergepath_partition_config_static_selectorELNS0_4arch9wavefront6targetE1EEEvSJ_
                                        ; -- End function
	.set _ZN7rocprim17ROCPRIM_400000_NS6detail17trampoline_kernelINS0_14default_configENS1_38merge_sort_block_merge_config_selectorIddEEZZNS1_27merge_sort_block_merge_implIS3_N6thrust23THRUST_200600_302600_NS6detail15normal_iteratorINS8_10device_ptrIdEEEESD_jNS1_19radix_merge_compareILb0ELb0EdNS0_19identity_decomposerEEEEE10hipError_tT0_T1_T2_jT3_P12ihipStream_tbPNSt15iterator_traitsISI_E10value_typeEPNSO_ISJ_E10value_typeEPSK_NS1_7vsmem_tEENKUlT_SI_SJ_SK_E_clIPdSD_S10_SD_EESH_SX_SI_SJ_SK_EUlSX_E_NS1_11comp_targetILNS1_3genE5ELNS1_11target_archE942ELNS1_3gpuE9ELNS1_3repE0EEENS1_48merge_mergepath_partition_config_static_selectorELNS0_4arch9wavefront6targetE1EEEvSJ_.num_vgpr, 0
	.set _ZN7rocprim17ROCPRIM_400000_NS6detail17trampoline_kernelINS0_14default_configENS1_38merge_sort_block_merge_config_selectorIddEEZZNS1_27merge_sort_block_merge_implIS3_N6thrust23THRUST_200600_302600_NS6detail15normal_iteratorINS8_10device_ptrIdEEEESD_jNS1_19radix_merge_compareILb0ELb0EdNS0_19identity_decomposerEEEEE10hipError_tT0_T1_T2_jT3_P12ihipStream_tbPNSt15iterator_traitsISI_E10value_typeEPNSO_ISJ_E10value_typeEPSK_NS1_7vsmem_tEENKUlT_SI_SJ_SK_E_clIPdSD_S10_SD_EESH_SX_SI_SJ_SK_EUlSX_E_NS1_11comp_targetILNS1_3genE5ELNS1_11target_archE942ELNS1_3gpuE9ELNS1_3repE0EEENS1_48merge_mergepath_partition_config_static_selectorELNS0_4arch9wavefront6targetE1EEEvSJ_.num_agpr, 0
	.set _ZN7rocprim17ROCPRIM_400000_NS6detail17trampoline_kernelINS0_14default_configENS1_38merge_sort_block_merge_config_selectorIddEEZZNS1_27merge_sort_block_merge_implIS3_N6thrust23THRUST_200600_302600_NS6detail15normal_iteratorINS8_10device_ptrIdEEEESD_jNS1_19radix_merge_compareILb0ELb0EdNS0_19identity_decomposerEEEEE10hipError_tT0_T1_T2_jT3_P12ihipStream_tbPNSt15iterator_traitsISI_E10value_typeEPNSO_ISJ_E10value_typeEPSK_NS1_7vsmem_tEENKUlT_SI_SJ_SK_E_clIPdSD_S10_SD_EESH_SX_SI_SJ_SK_EUlSX_E_NS1_11comp_targetILNS1_3genE5ELNS1_11target_archE942ELNS1_3gpuE9ELNS1_3repE0EEENS1_48merge_mergepath_partition_config_static_selectorELNS0_4arch9wavefront6targetE1EEEvSJ_.numbered_sgpr, 0
	.set _ZN7rocprim17ROCPRIM_400000_NS6detail17trampoline_kernelINS0_14default_configENS1_38merge_sort_block_merge_config_selectorIddEEZZNS1_27merge_sort_block_merge_implIS3_N6thrust23THRUST_200600_302600_NS6detail15normal_iteratorINS8_10device_ptrIdEEEESD_jNS1_19radix_merge_compareILb0ELb0EdNS0_19identity_decomposerEEEEE10hipError_tT0_T1_T2_jT3_P12ihipStream_tbPNSt15iterator_traitsISI_E10value_typeEPNSO_ISJ_E10value_typeEPSK_NS1_7vsmem_tEENKUlT_SI_SJ_SK_E_clIPdSD_S10_SD_EESH_SX_SI_SJ_SK_EUlSX_E_NS1_11comp_targetILNS1_3genE5ELNS1_11target_archE942ELNS1_3gpuE9ELNS1_3repE0EEENS1_48merge_mergepath_partition_config_static_selectorELNS0_4arch9wavefront6targetE1EEEvSJ_.num_named_barrier, 0
	.set _ZN7rocprim17ROCPRIM_400000_NS6detail17trampoline_kernelINS0_14default_configENS1_38merge_sort_block_merge_config_selectorIddEEZZNS1_27merge_sort_block_merge_implIS3_N6thrust23THRUST_200600_302600_NS6detail15normal_iteratorINS8_10device_ptrIdEEEESD_jNS1_19radix_merge_compareILb0ELb0EdNS0_19identity_decomposerEEEEE10hipError_tT0_T1_T2_jT3_P12ihipStream_tbPNSt15iterator_traitsISI_E10value_typeEPNSO_ISJ_E10value_typeEPSK_NS1_7vsmem_tEENKUlT_SI_SJ_SK_E_clIPdSD_S10_SD_EESH_SX_SI_SJ_SK_EUlSX_E_NS1_11comp_targetILNS1_3genE5ELNS1_11target_archE942ELNS1_3gpuE9ELNS1_3repE0EEENS1_48merge_mergepath_partition_config_static_selectorELNS0_4arch9wavefront6targetE1EEEvSJ_.private_seg_size, 0
	.set _ZN7rocprim17ROCPRIM_400000_NS6detail17trampoline_kernelINS0_14default_configENS1_38merge_sort_block_merge_config_selectorIddEEZZNS1_27merge_sort_block_merge_implIS3_N6thrust23THRUST_200600_302600_NS6detail15normal_iteratorINS8_10device_ptrIdEEEESD_jNS1_19radix_merge_compareILb0ELb0EdNS0_19identity_decomposerEEEEE10hipError_tT0_T1_T2_jT3_P12ihipStream_tbPNSt15iterator_traitsISI_E10value_typeEPNSO_ISJ_E10value_typeEPSK_NS1_7vsmem_tEENKUlT_SI_SJ_SK_E_clIPdSD_S10_SD_EESH_SX_SI_SJ_SK_EUlSX_E_NS1_11comp_targetILNS1_3genE5ELNS1_11target_archE942ELNS1_3gpuE9ELNS1_3repE0EEENS1_48merge_mergepath_partition_config_static_selectorELNS0_4arch9wavefront6targetE1EEEvSJ_.uses_vcc, 0
	.set _ZN7rocprim17ROCPRIM_400000_NS6detail17trampoline_kernelINS0_14default_configENS1_38merge_sort_block_merge_config_selectorIddEEZZNS1_27merge_sort_block_merge_implIS3_N6thrust23THRUST_200600_302600_NS6detail15normal_iteratorINS8_10device_ptrIdEEEESD_jNS1_19radix_merge_compareILb0ELb0EdNS0_19identity_decomposerEEEEE10hipError_tT0_T1_T2_jT3_P12ihipStream_tbPNSt15iterator_traitsISI_E10value_typeEPNSO_ISJ_E10value_typeEPSK_NS1_7vsmem_tEENKUlT_SI_SJ_SK_E_clIPdSD_S10_SD_EESH_SX_SI_SJ_SK_EUlSX_E_NS1_11comp_targetILNS1_3genE5ELNS1_11target_archE942ELNS1_3gpuE9ELNS1_3repE0EEENS1_48merge_mergepath_partition_config_static_selectorELNS0_4arch9wavefront6targetE1EEEvSJ_.uses_flat_scratch, 0
	.set _ZN7rocprim17ROCPRIM_400000_NS6detail17trampoline_kernelINS0_14default_configENS1_38merge_sort_block_merge_config_selectorIddEEZZNS1_27merge_sort_block_merge_implIS3_N6thrust23THRUST_200600_302600_NS6detail15normal_iteratorINS8_10device_ptrIdEEEESD_jNS1_19radix_merge_compareILb0ELb0EdNS0_19identity_decomposerEEEEE10hipError_tT0_T1_T2_jT3_P12ihipStream_tbPNSt15iterator_traitsISI_E10value_typeEPNSO_ISJ_E10value_typeEPSK_NS1_7vsmem_tEENKUlT_SI_SJ_SK_E_clIPdSD_S10_SD_EESH_SX_SI_SJ_SK_EUlSX_E_NS1_11comp_targetILNS1_3genE5ELNS1_11target_archE942ELNS1_3gpuE9ELNS1_3repE0EEENS1_48merge_mergepath_partition_config_static_selectorELNS0_4arch9wavefront6targetE1EEEvSJ_.has_dyn_sized_stack, 0
	.set _ZN7rocprim17ROCPRIM_400000_NS6detail17trampoline_kernelINS0_14default_configENS1_38merge_sort_block_merge_config_selectorIddEEZZNS1_27merge_sort_block_merge_implIS3_N6thrust23THRUST_200600_302600_NS6detail15normal_iteratorINS8_10device_ptrIdEEEESD_jNS1_19radix_merge_compareILb0ELb0EdNS0_19identity_decomposerEEEEE10hipError_tT0_T1_T2_jT3_P12ihipStream_tbPNSt15iterator_traitsISI_E10value_typeEPNSO_ISJ_E10value_typeEPSK_NS1_7vsmem_tEENKUlT_SI_SJ_SK_E_clIPdSD_S10_SD_EESH_SX_SI_SJ_SK_EUlSX_E_NS1_11comp_targetILNS1_3genE5ELNS1_11target_archE942ELNS1_3gpuE9ELNS1_3repE0EEENS1_48merge_mergepath_partition_config_static_selectorELNS0_4arch9wavefront6targetE1EEEvSJ_.has_recursion, 0
	.set _ZN7rocprim17ROCPRIM_400000_NS6detail17trampoline_kernelINS0_14default_configENS1_38merge_sort_block_merge_config_selectorIddEEZZNS1_27merge_sort_block_merge_implIS3_N6thrust23THRUST_200600_302600_NS6detail15normal_iteratorINS8_10device_ptrIdEEEESD_jNS1_19radix_merge_compareILb0ELb0EdNS0_19identity_decomposerEEEEE10hipError_tT0_T1_T2_jT3_P12ihipStream_tbPNSt15iterator_traitsISI_E10value_typeEPNSO_ISJ_E10value_typeEPSK_NS1_7vsmem_tEENKUlT_SI_SJ_SK_E_clIPdSD_S10_SD_EESH_SX_SI_SJ_SK_EUlSX_E_NS1_11comp_targetILNS1_3genE5ELNS1_11target_archE942ELNS1_3gpuE9ELNS1_3repE0EEENS1_48merge_mergepath_partition_config_static_selectorELNS0_4arch9wavefront6targetE1EEEvSJ_.has_indirect_call, 0
	.section	.AMDGPU.csdata,"",@progbits
; Kernel info:
; codeLenInByte = 0
; TotalNumSgprs: 6
; NumVgprs: 0
; NumAgprs: 0
; TotalNumVgprs: 0
; ScratchSize: 0
; MemoryBound: 0
; FloatMode: 240
; IeeeMode: 1
; LDSByteSize: 0 bytes/workgroup (compile time only)
; SGPRBlocks: 0
; VGPRBlocks: 0
; NumSGPRsForWavesPerEU: 6
; NumVGPRsForWavesPerEU: 1
; AccumOffset: 4
; Occupancy: 8
; WaveLimiterHint : 0
; COMPUTE_PGM_RSRC2:SCRATCH_EN: 0
; COMPUTE_PGM_RSRC2:USER_SGPR: 2
; COMPUTE_PGM_RSRC2:TRAP_HANDLER: 0
; COMPUTE_PGM_RSRC2:TGID_X_EN: 1
; COMPUTE_PGM_RSRC2:TGID_Y_EN: 0
; COMPUTE_PGM_RSRC2:TGID_Z_EN: 0
; COMPUTE_PGM_RSRC2:TIDIG_COMP_CNT: 0
; COMPUTE_PGM_RSRC3_GFX90A:ACCUM_OFFSET: 0
; COMPUTE_PGM_RSRC3_GFX90A:TG_SPLIT: 0
	.section	.text._ZN7rocprim17ROCPRIM_400000_NS6detail17trampoline_kernelINS0_14default_configENS1_38merge_sort_block_merge_config_selectorIddEEZZNS1_27merge_sort_block_merge_implIS3_N6thrust23THRUST_200600_302600_NS6detail15normal_iteratorINS8_10device_ptrIdEEEESD_jNS1_19radix_merge_compareILb0ELb0EdNS0_19identity_decomposerEEEEE10hipError_tT0_T1_T2_jT3_P12ihipStream_tbPNSt15iterator_traitsISI_E10value_typeEPNSO_ISJ_E10value_typeEPSK_NS1_7vsmem_tEENKUlT_SI_SJ_SK_E_clIPdSD_S10_SD_EESH_SX_SI_SJ_SK_EUlSX_E_NS1_11comp_targetILNS1_3genE4ELNS1_11target_archE910ELNS1_3gpuE8ELNS1_3repE0EEENS1_48merge_mergepath_partition_config_static_selectorELNS0_4arch9wavefront6targetE1EEEvSJ_,"axG",@progbits,_ZN7rocprim17ROCPRIM_400000_NS6detail17trampoline_kernelINS0_14default_configENS1_38merge_sort_block_merge_config_selectorIddEEZZNS1_27merge_sort_block_merge_implIS3_N6thrust23THRUST_200600_302600_NS6detail15normal_iteratorINS8_10device_ptrIdEEEESD_jNS1_19radix_merge_compareILb0ELb0EdNS0_19identity_decomposerEEEEE10hipError_tT0_T1_T2_jT3_P12ihipStream_tbPNSt15iterator_traitsISI_E10value_typeEPNSO_ISJ_E10value_typeEPSK_NS1_7vsmem_tEENKUlT_SI_SJ_SK_E_clIPdSD_S10_SD_EESH_SX_SI_SJ_SK_EUlSX_E_NS1_11comp_targetILNS1_3genE4ELNS1_11target_archE910ELNS1_3gpuE8ELNS1_3repE0EEENS1_48merge_mergepath_partition_config_static_selectorELNS0_4arch9wavefront6targetE1EEEvSJ_,comdat
	.protected	_ZN7rocprim17ROCPRIM_400000_NS6detail17trampoline_kernelINS0_14default_configENS1_38merge_sort_block_merge_config_selectorIddEEZZNS1_27merge_sort_block_merge_implIS3_N6thrust23THRUST_200600_302600_NS6detail15normal_iteratorINS8_10device_ptrIdEEEESD_jNS1_19radix_merge_compareILb0ELb0EdNS0_19identity_decomposerEEEEE10hipError_tT0_T1_T2_jT3_P12ihipStream_tbPNSt15iterator_traitsISI_E10value_typeEPNSO_ISJ_E10value_typeEPSK_NS1_7vsmem_tEENKUlT_SI_SJ_SK_E_clIPdSD_S10_SD_EESH_SX_SI_SJ_SK_EUlSX_E_NS1_11comp_targetILNS1_3genE4ELNS1_11target_archE910ELNS1_3gpuE8ELNS1_3repE0EEENS1_48merge_mergepath_partition_config_static_selectorELNS0_4arch9wavefront6targetE1EEEvSJ_ ; -- Begin function _ZN7rocprim17ROCPRIM_400000_NS6detail17trampoline_kernelINS0_14default_configENS1_38merge_sort_block_merge_config_selectorIddEEZZNS1_27merge_sort_block_merge_implIS3_N6thrust23THRUST_200600_302600_NS6detail15normal_iteratorINS8_10device_ptrIdEEEESD_jNS1_19radix_merge_compareILb0ELb0EdNS0_19identity_decomposerEEEEE10hipError_tT0_T1_T2_jT3_P12ihipStream_tbPNSt15iterator_traitsISI_E10value_typeEPNSO_ISJ_E10value_typeEPSK_NS1_7vsmem_tEENKUlT_SI_SJ_SK_E_clIPdSD_S10_SD_EESH_SX_SI_SJ_SK_EUlSX_E_NS1_11comp_targetILNS1_3genE4ELNS1_11target_archE910ELNS1_3gpuE8ELNS1_3repE0EEENS1_48merge_mergepath_partition_config_static_selectorELNS0_4arch9wavefront6targetE1EEEvSJ_
	.globl	_ZN7rocprim17ROCPRIM_400000_NS6detail17trampoline_kernelINS0_14default_configENS1_38merge_sort_block_merge_config_selectorIddEEZZNS1_27merge_sort_block_merge_implIS3_N6thrust23THRUST_200600_302600_NS6detail15normal_iteratorINS8_10device_ptrIdEEEESD_jNS1_19radix_merge_compareILb0ELb0EdNS0_19identity_decomposerEEEEE10hipError_tT0_T1_T2_jT3_P12ihipStream_tbPNSt15iterator_traitsISI_E10value_typeEPNSO_ISJ_E10value_typeEPSK_NS1_7vsmem_tEENKUlT_SI_SJ_SK_E_clIPdSD_S10_SD_EESH_SX_SI_SJ_SK_EUlSX_E_NS1_11comp_targetILNS1_3genE4ELNS1_11target_archE910ELNS1_3gpuE8ELNS1_3repE0EEENS1_48merge_mergepath_partition_config_static_selectorELNS0_4arch9wavefront6targetE1EEEvSJ_
	.p2align	8
	.type	_ZN7rocprim17ROCPRIM_400000_NS6detail17trampoline_kernelINS0_14default_configENS1_38merge_sort_block_merge_config_selectorIddEEZZNS1_27merge_sort_block_merge_implIS3_N6thrust23THRUST_200600_302600_NS6detail15normal_iteratorINS8_10device_ptrIdEEEESD_jNS1_19radix_merge_compareILb0ELb0EdNS0_19identity_decomposerEEEEE10hipError_tT0_T1_T2_jT3_P12ihipStream_tbPNSt15iterator_traitsISI_E10value_typeEPNSO_ISJ_E10value_typeEPSK_NS1_7vsmem_tEENKUlT_SI_SJ_SK_E_clIPdSD_S10_SD_EESH_SX_SI_SJ_SK_EUlSX_E_NS1_11comp_targetILNS1_3genE4ELNS1_11target_archE910ELNS1_3gpuE8ELNS1_3repE0EEENS1_48merge_mergepath_partition_config_static_selectorELNS0_4arch9wavefront6targetE1EEEvSJ_,@function
_ZN7rocprim17ROCPRIM_400000_NS6detail17trampoline_kernelINS0_14default_configENS1_38merge_sort_block_merge_config_selectorIddEEZZNS1_27merge_sort_block_merge_implIS3_N6thrust23THRUST_200600_302600_NS6detail15normal_iteratorINS8_10device_ptrIdEEEESD_jNS1_19radix_merge_compareILb0ELb0EdNS0_19identity_decomposerEEEEE10hipError_tT0_T1_T2_jT3_P12ihipStream_tbPNSt15iterator_traitsISI_E10value_typeEPNSO_ISJ_E10value_typeEPSK_NS1_7vsmem_tEENKUlT_SI_SJ_SK_E_clIPdSD_S10_SD_EESH_SX_SI_SJ_SK_EUlSX_E_NS1_11comp_targetILNS1_3genE4ELNS1_11target_archE910ELNS1_3gpuE8ELNS1_3repE0EEENS1_48merge_mergepath_partition_config_static_selectorELNS0_4arch9wavefront6targetE1EEEvSJ_: ; @_ZN7rocprim17ROCPRIM_400000_NS6detail17trampoline_kernelINS0_14default_configENS1_38merge_sort_block_merge_config_selectorIddEEZZNS1_27merge_sort_block_merge_implIS3_N6thrust23THRUST_200600_302600_NS6detail15normal_iteratorINS8_10device_ptrIdEEEESD_jNS1_19radix_merge_compareILb0ELb0EdNS0_19identity_decomposerEEEEE10hipError_tT0_T1_T2_jT3_P12ihipStream_tbPNSt15iterator_traitsISI_E10value_typeEPNSO_ISJ_E10value_typeEPSK_NS1_7vsmem_tEENKUlT_SI_SJ_SK_E_clIPdSD_S10_SD_EESH_SX_SI_SJ_SK_EUlSX_E_NS1_11comp_targetILNS1_3genE4ELNS1_11target_archE910ELNS1_3gpuE8ELNS1_3repE0EEENS1_48merge_mergepath_partition_config_static_selectorELNS0_4arch9wavefront6targetE1EEEvSJ_
; %bb.0:
	.section	.rodata,"a",@progbits
	.p2align	6, 0x0
	.amdhsa_kernel _ZN7rocprim17ROCPRIM_400000_NS6detail17trampoline_kernelINS0_14default_configENS1_38merge_sort_block_merge_config_selectorIddEEZZNS1_27merge_sort_block_merge_implIS3_N6thrust23THRUST_200600_302600_NS6detail15normal_iteratorINS8_10device_ptrIdEEEESD_jNS1_19radix_merge_compareILb0ELb0EdNS0_19identity_decomposerEEEEE10hipError_tT0_T1_T2_jT3_P12ihipStream_tbPNSt15iterator_traitsISI_E10value_typeEPNSO_ISJ_E10value_typeEPSK_NS1_7vsmem_tEENKUlT_SI_SJ_SK_E_clIPdSD_S10_SD_EESH_SX_SI_SJ_SK_EUlSX_E_NS1_11comp_targetILNS1_3genE4ELNS1_11target_archE910ELNS1_3gpuE8ELNS1_3repE0EEENS1_48merge_mergepath_partition_config_static_selectorELNS0_4arch9wavefront6targetE1EEEvSJ_
		.amdhsa_group_segment_fixed_size 0
		.amdhsa_private_segment_fixed_size 0
		.amdhsa_kernarg_size 40
		.amdhsa_user_sgpr_count 2
		.amdhsa_user_sgpr_dispatch_ptr 0
		.amdhsa_user_sgpr_queue_ptr 0
		.amdhsa_user_sgpr_kernarg_segment_ptr 1
		.amdhsa_user_sgpr_dispatch_id 0
		.amdhsa_user_sgpr_kernarg_preload_length 0
		.amdhsa_user_sgpr_kernarg_preload_offset 0
		.amdhsa_user_sgpr_private_segment_size 0
		.amdhsa_uses_dynamic_stack 0
		.amdhsa_enable_private_segment 0
		.amdhsa_system_sgpr_workgroup_id_x 1
		.amdhsa_system_sgpr_workgroup_id_y 0
		.amdhsa_system_sgpr_workgroup_id_z 0
		.amdhsa_system_sgpr_workgroup_info 0
		.amdhsa_system_vgpr_workitem_id 0
		.amdhsa_next_free_vgpr 1
		.amdhsa_next_free_sgpr 0
		.amdhsa_accum_offset 4
		.amdhsa_reserve_vcc 0
		.amdhsa_float_round_mode_32 0
		.amdhsa_float_round_mode_16_64 0
		.amdhsa_float_denorm_mode_32 3
		.amdhsa_float_denorm_mode_16_64 3
		.amdhsa_dx10_clamp 1
		.amdhsa_ieee_mode 1
		.amdhsa_fp16_overflow 0
		.amdhsa_tg_split 0
		.amdhsa_exception_fp_ieee_invalid_op 0
		.amdhsa_exception_fp_denorm_src 0
		.amdhsa_exception_fp_ieee_div_zero 0
		.amdhsa_exception_fp_ieee_overflow 0
		.amdhsa_exception_fp_ieee_underflow 0
		.amdhsa_exception_fp_ieee_inexact 0
		.amdhsa_exception_int_div_zero 0
	.end_amdhsa_kernel
	.section	.text._ZN7rocprim17ROCPRIM_400000_NS6detail17trampoline_kernelINS0_14default_configENS1_38merge_sort_block_merge_config_selectorIddEEZZNS1_27merge_sort_block_merge_implIS3_N6thrust23THRUST_200600_302600_NS6detail15normal_iteratorINS8_10device_ptrIdEEEESD_jNS1_19radix_merge_compareILb0ELb0EdNS0_19identity_decomposerEEEEE10hipError_tT0_T1_T2_jT3_P12ihipStream_tbPNSt15iterator_traitsISI_E10value_typeEPNSO_ISJ_E10value_typeEPSK_NS1_7vsmem_tEENKUlT_SI_SJ_SK_E_clIPdSD_S10_SD_EESH_SX_SI_SJ_SK_EUlSX_E_NS1_11comp_targetILNS1_3genE4ELNS1_11target_archE910ELNS1_3gpuE8ELNS1_3repE0EEENS1_48merge_mergepath_partition_config_static_selectorELNS0_4arch9wavefront6targetE1EEEvSJ_,"axG",@progbits,_ZN7rocprim17ROCPRIM_400000_NS6detail17trampoline_kernelINS0_14default_configENS1_38merge_sort_block_merge_config_selectorIddEEZZNS1_27merge_sort_block_merge_implIS3_N6thrust23THRUST_200600_302600_NS6detail15normal_iteratorINS8_10device_ptrIdEEEESD_jNS1_19radix_merge_compareILb0ELb0EdNS0_19identity_decomposerEEEEE10hipError_tT0_T1_T2_jT3_P12ihipStream_tbPNSt15iterator_traitsISI_E10value_typeEPNSO_ISJ_E10value_typeEPSK_NS1_7vsmem_tEENKUlT_SI_SJ_SK_E_clIPdSD_S10_SD_EESH_SX_SI_SJ_SK_EUlSX_E_NS1_11comp_targetILNS1_3genE4ELNS1_11target_archE910ELNS1_3gpuE8ELNS1_3repE0EEENS1_48merge_mergepath_partition_config_static_selectorELNS0_4arch9wavefront6targetE1EEEvSJ_,comdat
.Lfunc_end28:
	.size	_ZN7rocprim17ROCPRIM_400000_NS6detail17trampoline_kernelINS0_14default_configENS1_38merge_sort_block_merge_config_selectorIddEEZZNS1_27merge_sort_block_merge_implIS3_N6thrust23THRUST_200600_302600_NS6detail15normal_iteratorINS8_10device_ptrIdEEEESD_jNS1_19radix_merge_compareILb0ELb0EdNS0_19identity_decomposerEEEEE10hipError_tT0_T1_T2_jT3_P12ihipStream_tbPNSt15iterator_traitsISI_E10value_typeEPNSO_ISJ_E10value_typeEPSK_NS1_7vsmem_tEENKUlT_SI_SJ_SK_E_clIPdSD_S10_SD_EESH_SX_SI_SJ_SK_EUlSX_E_NS1_11comp_targetILNS1_3genE4ELNS1_11target_archE910ELNS1_3gpuE8ELNS1_3repE0EEENS1_48merge_mergepath_partition_config_static_selectorELNS0_4arch9wavefront6targetE1EEEvSJ_, .Lfunc_end28-_ZN7rocprim17ROCPRIM_400000_NS6detail17trampoline_kernelINS0_14default_configENS1_38merge_sort_block_merge_config_selectorIddEEZZNS1_27merge_sort_block_merge_implIS3_N6thrust23THRUST_200600_302600_NS6detail15normal_iteratorINS8_10device_ptrIdEEEESD_jNS1_19radix_merge_compareILb0ELb0EdNS0_19identity_decomposerEEEEE10hipError_tT0_T1_T2_jT3_P12ihipStream_tbPNSt15iterator_traitsISI_E10value_typeEPNSO_ISJ_E10value_typeEPSK_NS1_7vsmem_tEENKUlT_SI_SJ_SK_E_clIPdSD_S10_SD_EESH_SX_SI_SJ_SK_EUlSX_E_NS1_11comp_targetILNS1_3genE4ELNS1_11target_archE910ELNS1_3gpuE8ELNS1_3repE0EEENS1_48merge_mergepath_partition_config_static_selectorELNS0_4arch9wavefront6targetE1EEEvSJ_
                                        ; -- End function
	.set _ZN7rocprim17ROCPRIM_400000_NS6detail17trampoline_kernelINS0_14default_configENS1_38merge_sort_block_merge_config_selectorIddEEZZNS1_27merge_sort_block_merge_implIS3_N6thrust23THRUST_200600_302600_NS6detail15normal_iteratorINS8_10device_ptrIdEEEESD_jNS1_19radix_merge_compareILb0ELb0EdNS0_19identity_decomposerEEEEE10hipError_tT0_T1_T2_jT3_P12ihipStream_tbPNSt15iterator_traitsISI_E10value_typeEPNSO_ISJ_E10value_typeEPSK_NS1_7vsmem_tEENKUlT_SI_SJ_SK_E_clIPdSD_S10_SD_EESH_SX_SI_SJ_SK_EUlSX_E_NS1_11comp_targetILNS1_3genE4ELNS1_11target_archE910ELNS1_3gpuE8ELNS1_3repE0EEENS1_48merge_mergepath_partition_config_static_selectorELNS0_4arch9wavefront6targetE1EEEvSJ_.num_vgpr, 0
	.set _ZN7rocprim17ROCPRIM_400000_NS6detail17trampoline_kernelINS0_14default_configENS1_38merge_sort_block_merge_config_selectorIddEEZZNS1_27merge_sort_block_merge_implIS3_N6thrust23THRUST_200600_302600_NS6detail15normal_iteratorINS8_10device_ptrIdEEEESD_jNS1_19radix_merge_compareILb0ELb0EdNS0_19identity_decomposerEEEEE10hipError_tT0_T1_T2_jT3_P12ihipStream_tbPNSt15iterator_traitsISI_E10value_typeEPNSO_ISJ_E10value_typeEPSK_NS1_7vsmem_tEENKUlT_SI_SJ_SK_E_clIPdSD_S10_SD_EESH_SX_SI_SJ_SK_EUlSX_E_NS1_11comp_targetILNS1_3genE4ELNS1_11target_archE910ELNS1_3gpuE8ELNS1_3repE0EEENS1_48merge_mergepath_partition_config_static_selectorELNS0_4arch9wavefront6targetE1EEEvSJ_.num_agpr, 0
	.set _ZN7rocprim17ROCPRIM_400000_NS6detail17trampoline_kernelINS0_14default_configENS1_38merge_sort_block_merge_config_selectorIddEEZZNS1_27merge_sort_block_merge_implIS3_N6thrust23THRUST_200600_302600_NS6detail15normal_iteratorINS8_10device_ptrIdEEEESD_jNS1_19radix_merge_compareILb0ELb0EdNS0_19identity_decomposerEEEEE10hipError_tT0_T1_T2_jT3_P12ihipStream_tbPNSt15iterator_traitsISI_E10value_typeEPNSO_ISJ_E10value_typeEPSK_NS1_7vsmem_tEENKUlT_SI_SJ_SK_E_clIPdSD_S10_SD_EESH_SX_SI_SJ_SK_EUlSX_E_NS1_11comp_targetILNS1_3genE4ELNS1_11target_archE910ELNS1_3gpuE8ELNS1_3repE0EEENS1_48merge_mergepath_partition_config_static_selectorELNS0_4arch9wavefront6targetE1EEEvSJ_.numbered_sgpr, 0
	.set _ZN7rocprim17ROCPRIM_400000_NS6detail17trampoline_kernelINS0_14default_configENS1_38merge_sort_block_merge_config_selectorIddEEZZNS1_27merge_sort_block_merge_implIS3_N6thrust23THRUST_200600_302600_NS6detail15normal_iteratorINS8_10device_ptrIdEEEESD_jNS1_19radix_merge_compareILb0ELb0EdNS0_19identity_decomposerEEEEE10hipError_tT0_T1_T2_jT3_P12ihipStream_tbPNSt15iterator_traitsISI_E10value_typeEPNSO_ISJ_E10value_typeEPSK_NS1_7vsmem_tEENKUlT_SI_SJ_SK_E_clIPdSD_S10_SD_EESH_SX_SI_SJ_SK_EUlSX_E_NS1_11comp_targetILNS1_3genE4ELNS1_11target_archE910ELNS1_3gpuE8ELNS1_3repE0EEENS1_48merge_mergepath_partition_config_static_selectorELNS0_4arch9wavefront6targetE1EEEvSJ_.num_named_barrier, 0
	.set _ZN7rocprim17ROCPRIM_400000_NS6detail17trampoline_kernelINS0_14default_configENS1_38merge_sort_block_merge_config_selectorIddEEZZNS1_27merge_sort_block_merge_implIS3_N6thrust23THRUST_200600_302600_NS6detail15normal_iteratorINS8_10device_ptrIdEEEESD_jNS1_19radix_merge_compareILb0ELb0EdNS0_19identity_decomposerEEEEE10hipError_tT0_T1_T2_jT3_P12ihipStream_tbPNSt15iterator_traitsISI_E10value_typeEPNSO_ISJ_E10value_typeEPSK_NS1_7vsmem_tEENKUlT_SI_SJ_SK_E_clIPdSD_S10_SD_EESH_SX_SI_SJ_SK_EUlSX_E_NS1_11comp_targetILNS1_3genE4ELNS1_11target_archE910ELNS1_3gpuE8ELNS1_3repE0EEENS1_48merge_mergepath_partition_config_static_selectorELNS0_4arch9wavefront6targetE1EEEvSJ_.private_seg_size, 0
	.set _ZN7rocprim17ROCPRIM_400000_NS6detail17trampoline_kernelINS0_14default_configENS1_38merge_sort_block_merge_config_selectorIddEEZZNS1_27merge_sort_block_merge_implIS3_N6thrust23THRUST_200600_302600_NS6detail15normal_iteratorINS8_10device_ptrIdEEEESD_jNS1_19radix_merge_compareILb0ELb0EdNS0_19identity_decomposerEEEEE10hipError_tT0_T1_T2_jT3_P12ihipStream_tbPNSt15iterator_traitsISI_E10value_typeEPNSO_ISJ_E10value_typeEPSK_NS1_7vsmem_tEENKUlT_SI_SJ_SK_E_clIPdSD_S10_SD_EESH_SX_SI_SJ_SK_EUlSX_E_NS1_11comp_targetILNS1_3genE4ELNS1_11target_archE910ELNS1_3gpuE8ELNS1_3repE0EEENS1_48merge_mergepath_partition_config_static_selectorELNS0_4arch9wavefront6targetE1EEEvSJ_.uses_vcc, 0
	.set _ZN7rocprim17ROCPRIM_400000_NS6detail17trampoline_kernelINS0_14default_configENS1_38merge_sort_block_merge_config_selectorIddEEZZNS1_27merge_sort_block_merge_implIS3_N6thrust23THRUST_200600_302600_NS6detail15normal_iteratorINS8_10device_ptrIdEEEESD_jNS1_19radix_merge_compareILb0ELb0EdNS0_19identity_decomposerEEEEE10hipError_tT0_T1_T2_jT3_P12ihipStream_tbPNSt15iterator_traitsISI_E10value_typeEPNSO_ISJ_E10value_typeEPSK_NS1_7vsmem_tEENKUlT_SI_SJ_SK_E_clIPdSD_S10_SD_EESH_SX_SI_SJ_SK_EUlSX_E_NS1_11comp_targetILNS1_3genE4ELNS1_11target_archE910ELNS1_3gpuE8ELNS1_3repE0EEENS1_48merge_mergepath_partition_config_static_selectorELNS0_4arch9wavefront6targetE1EEEvSJ_.uses_flat_scratch, 0
	.set _ZN7rocprim17ROCPRIM_400000_NS6detail17trampoline_kernelINS0_14default_configENS1_38merge_sort_block_merge_config_selectorIddEEZZNS1_27merge_sort_block_merge_implIS3_N6thrust23THRUST_200600_302600_NS6detail15normal_iteratorINS8_10device_ptrIdEEEESD_jNS1_19radix_merge_compareILb0ELb0EdNS0_19identity_decomposerEEEEE10hipError_tT0_T1_T2_jT3_P12ihipStream_tbPNSt15iterator_traitsISI_E10value_typeEPNSO_ISJ_E10value_typeEPSK_NS1_7vsmem_tEENKUlT_SI_SJ_SK_E_clIPdSD_S10_SD_EESH_SX_SI_SJ_SK_EUlSX_E_NS1_11comp_targetILNS1_3genE4ELNS1_11target_archE910ELNS1_3gpuE8ELNS1_3repE0EEENS1_48merge_mergepath_partition_config_static_selectorELNS0_4arch9wavefront6targetE1EEEvSJ_.has_dyn_sized_stack, 0
	.set _ZN7rocprim17ROCPRIM_400000_NS6detail17trampoline_kernelINS0_14default_configENS1_38merge_sort_block_merge_config_selectorIddEEZZNS1_27merge_sort_block_merge_implIS3_N6thrust23THRUST_200600_302600_NS6detail15normal_iteratorINS8_10device_ptrIdEEEESD_jNS1_19radix_merge_compareILb0ELb0EdNS0_19identity_decomposerEEEEE10hipError_tT0_T1_T2_jT3_P12ihipStream_tbPNSt15iterator_traitsISI_E10value_typeEPNSO_ISJ_E10value_typeEPSK_NS1_7vsmem_tEENKUlT_SI_SJ_SK_E_clIPdSD_S10_SD_EESH_SX_SI_SJ_SK_EUlSX_E_NS1_11comp_targetILNS1_3genE4ELNS1_11target_archE910ELNS1_3gpuE8ELNS1_3repE0EEENS1_48merge_mergepath_partition_config_static_selectorELNS0_4arch9wavefront6targetE1EEEvSJ_.has_recursion, 0
	.set _ZN7rocprim17ROCPRIM_400000_NS6detail17trampoline_kernelINS0_14default_configENS1_38merge_sort_block_merge_config_selectorIddEEZZNS1_27merge_sort_block_merge_implIS3_N6thrust23THRUST_200600_302600_NS6detail15normal_iteratorINS8_10device_ptrIdEEEESD_jNS1_19radix_merge_compareILb0ELb0EdNS0_19identity_decomposerEEEEE10hipError_tT0_T1_T2_jT3_P12ihipStream_tbPNSt15iterator_traitsISI_E10value_typeEPNSO_ISJ_E10value_typeEPSK_NS1_7vsmem_tEENKUlT_SI_SJ_SK_E_clIPdSD_S10_SD_EESH_SX_SI_SJ_SK_EUlSX_E_NS1_11comp_targetILNS1_3genE4ELNS1_11target_archE910ELNS1_3gpuE8ELNS1_3repE0EEENS1_48merge_mergepath_partition_config_static_selectorELNS0_4arch9wavefront6targetE1EEEvSJ_.has_indirect_call, 0
	.section	.AMDGPU.csdata,"",@progbits
; Kernel info:
; codeLenInByte = 0
; TotalNumSgprs: 6
; NumVgprs: 0
; NumAgprs: 0
; TotalNumVgprs: 0
; ScratchSize: 0
; MemoryBound: 0
; FloatMode: 240
; IeeeMode: 1
; LDSByteSize: 0 bytes/workgroup (compile time only)
; SGPRBlocks: 0
; VGPRBlocks: 0
; NumSGPRsForWavesPerEU: 6
; NumVGPRsForWavesPerEU: 1
; AccumOffset: 4
; Occupancy: 8
; WaveLimiterHint : 0
; COMPUTE_PGM_RSRC2:SCRATCH_EN: 0
; COMPUTE_PGM_RSRC2:USER_SGPR: 2
; COMPUTE_PGM_RSRC2:TRAP_HANDLER: 0
; COMPUTE_PGM_RSRC2:TGID_X_EN: 1
; COMPUTE_PGM_RSRC2:TGID_Y_EN: 0
; COMPUTE_PGM_RSRC2:TGID_Z_EN: 0
; COMPUTE_PGM_RSRC2:TIDIG_COMP_CNT: 0
; COMPUTE_PGM_RSRC3_GFX90A:ACCUM_OFFSET: 0
; COMPUTE_PGM_RSRC3_GFX90A:TG_SPLIT: 0
	.section	.text._ZN7rocprim17ROCPRIM_400000_NS6detail17trampoline_kernelINS0_14default_configENS1_38merge_sort_block_merge_config_selectorIddEEZZNS1_27merge_sort_block_merge_implIS3_N6thrust23THRUST_200600_302600_NS6detail15normal_iteratorINS8_10device_ptrIdEEEESD_jNS1_19radix_merge_compareILb0ELb0EdNS0_19identity_decomposerEEEEE10hipError_tT0_T1_T2_jT3_P12ihipStream_tbPNSt15iterator_traitsISI_E10value_typeEPNSO_ISJ_E10value_typeEPSK_NS1_7vsmem_tEENKUlT_SI_SJ_SK_E_clIPdSD_S10_SD_EESH_SX_SI_SJ_SK_EUlSX_E_NS1_11comp_targetILNS1_3genE3ELNS1_11target_archE908ELNS1_3gpuE7ELNS1_3repE0EEENS1_48merge_mergepath_partition_config_static_selectorELNS0_4arch9wavefront6targetE1EEEvSJ_,"axG",@progbits,_ZN7rocprim17ROCPRIM_400000_NS6detail17trampoline_kernelINS0_14default_configENS1_38merge_sort_block_merge_config_selectorIddEEZZNS1_27merge_sort_block_merge_implIS3_N6thrust23THRUST_200600_302600_NS6detail15normal_iteratorINS8_10device_ptrIdEEEESD_jNS1_19radix_merge_compareILb0ELb0EdNS0_19identity_decomposerEEEEE10hipError_tT0_T1_T2_jT3_P12ihipStream_tbPNSt15iterator_traitsISI_E10value_typeEPNSO_ISJ_E10value_typeEPSK_NS1_7vsmem_tEENKUlT_SI_SJ_SK_E_clIPdSD_S10_SD_EESH_SX_SI_SJ_SK_EUlSX_E_NS1_11comp_targetILNS1_3genE3ELNS1_11target_archE908ELNS1_3gpuE7ELNS1_3repE0EEENS1_48merge_mergepath_partition_config_static_selectorELNS0_4arch9wavefront6targetE1EEEvSJ_,comdat
	.protected	_ZN7rocprim17ROCPRIM_400000_NS6detail17trampoline_kernelINS0_14default_configENS1_38merge_sort_block_merge_config_selectorIddEEZZNS1_27merge_sort_block_merge_implIS3_N6thrust23THRUST_200600_302600_NS6detail15normal_iteratorINS8_10device_ptrIdEEEESD_jNS1_19radix_merge_compareILb0ELb0EdNS0_19identity_decomposerEEEEE10hipError_tT0_T1_T2_jT3_P12ihipStream_tbPNSt15iterator_traitsISI_E10value_typeEPNSO_ISJ_E10value_typeEPSK_NS1_7vsmem_tEENKUlT_SI_SJ_SK_E_clIPdSD_S10_SD_EESH_SX_SI_SJ_SK_EUlSX_E_NS1_11comp_targetILNS1_3genE3ELNS1_11target_archE908ELNS1_3gpuE7ELNS1_3repE0EEENS1_48merge_mergepath_partition_config_static_selectorELNS0_4arch9wavefront6targetE1EEEvSJ_ ; -- Begin function _ZN7rocprim17ROCPRIM_400000_NS6detail17trampoline_kernelINS0_14default_configENS1_38merge_sort_block_merge_config_selectorIddEEZZNS1_27merge_sort_block_merge_implIS3_N6thrust23THRUST_200600_302600_NS6detail15normal_iteratorINS8_10device_ptrIdEEEESD_jNS1_19radix_merge_compareILb0ELb0EdNS0_19identity_decomposerEEEEE10hipError_tT0_T1_T2_jT3_P12ihipStream_tbPNSt15iterator_traitsISI_E10value_typeEPNSO_ISJ_E10value_typeEPSK_NS1_7vsmem_tEENKUlT_SI_SJ_SK_E_clIPdSD_S10_SD_EESH_SX_SI_SJ_SK_EUlSX_E_NS1_11comp_targetILNS1_3genE3ELNS1_11target_archE908ELNS1_3gpuE7ELNS1_3repE0EEENS1_48merge_mergepath_partition_config_static_selectorELNS0_4arch9wavefront6targetE1EEEvSJ_
	.globl	_ZN7rocprim17ROCPRIM_400000_NS6detail17trampoline_kernelINS0_14default_configENS1_38merge_sort_block_merge_config_selectorIddEEZZNS1_27merge_sort_block_merge_implIS3_N6thrust23THRUST_200600_302600_NS6detail15normal_iteratorINS8_10device_ptrIdEEEESD_jNS1_19radix_merge_compareILb0ELb0EdNS0_19identity_decomposerEEEEE10hipError_tT0_T1_T2_jT3_P12ihipStream_tbPNSt15iterator_traitsISI_E10value_typeEPNSO_ISJ_E10value_typeEPSK_NS1_7vsmem_tEENKUlT_SI_SJ_SK_E_clIPdSD_S10_SD_EESH_SX_SI_SJ_SK_EUlSX_E_NS1_11comp_targetILNS1_3genE3ELNS1_11target_archE908ELNS1_3gpuE7ELNS1_3repE0EEENS1_48merge_mergepath_partition_config_static_selectorELNS0_4arch9wavefront6targetE1EEEvSJ_
	.p2align	8
	.type	_ZN7rocprim17ROCPRIM_400000_NS6detail17trampoline_kernelINS0_14default_configENS1_38merge_sort_block_merge_config_selectorIddEEZZNS1_27merge_sort_block_merge_implIS3_N6thrust23THRUST_200600_302600_NS6detail15normal_iteratorINS8_10device_ptrIdEEEESD_jNS1_19radix_merge_compareILb0ELb0EdNS0_19identity_decomposerEEEEE10hipError_tT0_T1_T2_jT3_P12ihipStream_tbPNSt15iterator_traitsISI_E10value_typeEPNSO_ISJ_E10value_typeEPSK_NS1_7vsmem_tEENKUlT_SI_SJ_SK_E_clIPdSD_S10_SD_EESH_SX_SI_SJ_SK_EUlSX_E_NS1_11comp_targetILNS1_3genE3ELNS1_11target_archE908ELNS1_3gpuE7ELNS1_3repE0EEENS1_48merge_mergepath_partition_config_static_selectorELNS0_4arch9wavefront6targetE1EEEvSJ_,@function
_ZN7rocprim17ROCPRIM_400000_NS6detail17trampoline_kernelINS0_14default_configENS1_38merge_sort_block_merge_config_selectorIddEEZZNS1_27merge_sort_block_merge_implIS3_N6thrust23THRUST_200600_302600_NS6detail15normal_iteratorINS8_10device_ptrIdEEEESD_jNS1_19radix_merge_compareILb0ELb0EdNS0_19identity_decomposerEEEEE10hipError_tT0_T1_T2_jT3_P12ihipStream_tbPNSt15iterator_traitsISI_E10value_typeEPNSO_ISJ_E10value_typeEPSK_NS1_7vsmem_tEENKUlT_SI_SJ_SK_E_clIPdSD_S10_SD_EESH_SX_SI_SJ_SK_EUlSX_E_NS1_11comp_targetILNS1_3genE3ELNS1_11target_archE908ELNS1_3gpuE7ELNS1_3repE0EEENS1_48merge_mergepath_partition_config_static_selectorELNS0_4arch9wavefront6targetE1EEEvSJ_: ; @_ZN7rocprim17ROCPRIM_400000_NS6detail17trampoline_kernelINS0_14default_configENS1_38merge_sort_block_merge_config_selectorIddEEZZNS1_27merge_sort_block_merge_implIS3_N6thrust23THRUST_200600_302600_NS6detail15normal_iteratorINS8_10device_ptrIdEEEESD_jNS1_19radix_merge_compareILb0ELb0EdNS0_19identity_decomposerEEEEE10hipError_tT0_T1_T2_jT3_P12ihipStream_tbPNSt15iterator_traitsISI_E10value_typeEPNSO_ISJ_E10value_typeEPSK_NS1_7vsmem_tEENKUlT_SI_SJ_SK_E_clIPdSD_S10_SD_EESH_SX_SI_SJ_SK_EUlSX_E_NS1_11comp_targetILNS1_3genE3ELNS1_11target_archE908ELNS1_3gpuE7ELNS1_3repE0EEENS1_48merge_mergepath_partition_config_static_selectorELNS0_4arch9wavefront6targetE1EEEvSJ_
; %bb.0:
	.section	.rodata,"a",@progbits
	.p2align	6, 0x0
	.amdhsa_kernel _ZN7rocprim17ROCPRIM_400000_NS6detail17trampoline_kernelINS0_14default_configENS1_38merge_sort_block_merge_config_selectorIddEEZZNS1_27merge_sort_block_merge_implIS3_N6thrust23THRUST_200600_302600_NS6detail15normal_iteratorINS8_10device_ptrIdEEEESD_jNS1_19radix_merge_compareILb0ELb0EdNS0_19identity_decomposerEEEEE10hipError_tT0_T1_T2_jT3_P12ihipStream_tbPNSt15iterator_traitsISI_E10value_typeEPNSO_ISJ_E10value_typeEPSK_NS1_7vsmem_tEENKUlT_SI_SJ_SK_E_clIPdSD_S10_SD_EESH_SX_SI_SJ_SK_EUlSX_E_NS1_11comp_targetILNS1_3genE3ELNS1_11target_archE908ELNS1_3gpuE7ELNS1_3repE0EEENS1_48merge_mergepath_partition_config_static_selectorELNS0_4arch9wavefront6targetE1EEEvSJ_
		.amdhsa_group_segment_fixed_size 0
		.amdhsa_private_segment_fixed_size 0
		.amdhsa_kernarg_size 40
		.amdhsa_user_sgpr_count 2
		.amdhsa_user_sgpr_dispatch_ptr 0
		.amdhsa_user_sgpr_queue_ptr 0
		.amdhsa_user_sgpr_kernarg_segment_ptr 1
		.amdhsa_user_sgpr_dispatch_id 0
		.amdhsa_user_sgpr_kernarg_preload_length 0
		.amdhsa_user_sgpr_kernarg_preload_offset 0
		.amdhsa_user_sgpr_private_segment_size 0
		.amdhsa_uses_dynamic_stack 0
		.amdhsa_enable_private_segment 0
		.amdhsa_system_sgpr_workgroup_id_x 1
		.amdhsa_system_sgpr_workgroup_id_y 0
		.amdhsa_system_sgpr_workgroup_id_z 0
		.amdhsa_system_sgpr_workgroup_info 0
		.amdhsa_system_vgpr_workitem_id 0
		.amdhsa_next_free_vgpr 1
		.amdhsa_next_free_sgpr 0
		.amdhsa_accum_offset 4
		.amdhsa_reserve_vcc 0
		.amdhsa_float_round_mode_32 0
		.amdhsa_float_round_mode_16_64 0
		.amdhsa_float_denorm_mode_32 3
		.amdhsa_float_denorm_mode_16_64 3
		.amdhsa_dx10_clamp 1
		.amdhsa_ieee_mode 1
		.amdhsa_fp16_overflow 0
		.amdhsa_tg_split 0
		.amdhsa_exception_fp_ieee_invalid_op 0
		.amdhsa_exception_fp_denorm_src 0
		.amdhsa_exception_fp_ieee_div_zero 0
		.amdhsa_exception_fp_ieee_overflow 0
		.amdhsa_exception_fp_ieee_underflow 0
		.amdhsa_exception_fp_ieee_inexact 0
		.amdhsa_exception_int_div_zero 0
	.end_amdhsa_kernel
	.section	.text._ZN7rocprim17ROCPRIM_400000_NS6detail17trampoline_kernelINS0_14default_configENS1_38merge_sort_block_merge_config_selectorIddEEZZNS1_27merge_sort_block_merge_implIS3_N6thrust23THRUST_200600_302600_NS6detail15normal_iteratorINS8_10device_ptrIdEEEESD_jNS1_19radix_merge_compareILb0ELb0EdNS0_19identity_decomposerEEEEE10hipError_tT0_T1_T2_jT3_P12ihipStream_tbPNSt15iterator_traitsISI_E10value_typeEPNSO_ISJ_E10value_typeEPSK_NS1_7vsmem_tEENKUlT_SI_SJ_SK_E_clIPdSD_S10_SD_EESH_SX_SI_SJ_SK_EUlSX_E_NS1_11comp_targetILNS1_3genE3ELNS1_11target_archE908ELNS1_3gpuE7ELNS1_3repE0EEENS1_48merge_mergepath_partition_config_static_selectorELNS0_4arch9wavefront6targetE1EEEvSJ_,"axG",@progbits,_ZN7rocprim17ROCPRIM_400000_NS6detail17trampoline_kernelINS0_14default_configENS1_38merge_sort_block_merge_config_selectorIddEEZZNS1_27merge_sort_block_merge_implIS3_N6thrust23THRUST_200600_302600_NS6detail15normal_iteratorINS8_10device_ptrIdEEEESD_jNS1_19radix_merge_compareILb0ELb0EdNS0_19identity_decomposerEEEEE10hipError_tT0_T1_T2_jT3_P12ihipStream_tbPNSt15iterator_traitsISI_E10value_typeEPNSO_ISJ_E10value_typeEPSK_NS1_7vsmem_tEENKUlT_SI_SJ_SK_E_clIPdSD_S10_SD_EESH_SX_SI_SJ_SK_EUlSX_E_NS1_11comp_targetILNS1_3genE3ELNS1_11target_archE908ELNS1_3gpuE7ELNS1_3repE0EEENS1_48merge_mergepath_partition_config_static_selectorELNS0_4arch9wavefront6targetE1EEEvSJ_,comdat
.Lfunc_end29:
	.size	_ZN7rocprim17ROCPRIM_400000_NS6detail17trampoline_kernelINS0_14default_configENS1_38merge_sort_block_merge_config_selectorIddEEZZNS1_27merge_sort_block_merge_implIS3_N6thrust23THRUST_200600_302600_NS6detail15normal_iteratorINS8_10device_ptrIdEEEESD_jNS1_19radix_merge_compareILb0ELb0EdNS0_19identity_decomposerEEEEE10hipError_tT0_T1_T2_jT3_P12ihipStream_tbPNSt15iterator_traitsISI_E10value_typeEPNSO_ISJ_E10value_typeEPSK_NS1_7vsmem_tEENKUlT_SI_SJ_SK_E_clIPdSD_S10_SD_EESH_SX_SI_SJ_SK_EUlSX_E_NS1_11comp_targetILNS1_3genE3ELNS1_11target_archE908ELNS1_3gpuE7ELNS1_3repE0EEENS1_48merge_mergepath_partition_config_static_selectorELNS0_4arch9wavefront6targetE1EEEvSJ_, .Lfunc_end29-_ZN7rocprim17ROCPRIM_400000_NS6detail17trampoline_kernelINS0_14default_configENS1_38merge_sort_block_merge_config_selectorIddEEZZNS1_27merge_sort_block_merge_implIS3_N6thrust23THRUST_200600_302600_NS6detail15normal_iteratorINS8_10device_ptrIdEEEESD_jNS1_19radix_merge_compareILb0ELb0EdNS0_19identity_decomposerEEEEE10hipError_tT0_T1_T2_jT3_P12ihipStream_tbPNSt15iterator_traitsISI_E10value_typeEPNSO_ISJ_E10value_typeEPSK_NS1_7vsmem_tEENKUlT_SI_SJ_SK_E_clIPdSD_S10_SD_EESH_SX_SI_SJ_SK_EUlSX_E_NS1_11comp_targetILNS1_3genE3ELNS1_11target_archE908ELNS1_3gpuE7ELNS1_3repE0EEENS1_48merge_mergepath_partition_config_static_selectorELNS0_4arch9wavefront6targetE1EEEvSJ_
                                        ; -- End function
	.set _ZN7rocprim17ROCPRIM_400000_NS6detail17trampoline_kernelINS0_14default_configENS1_38merge_sort_block_merge_config_selectorIddEEZZNS1_27merge_sort_block_merge_implIS3_N6thrust23THRUST_200600_302600_NS6detail15normal_iteratorINS8_10device_ptrIdEEEESD_jNS1_19radix_merge_compareILb0ELb0EdNS0_19identity_decomposerEEEEE10hipError_tT0_T1_T2_jT3_P12ihipStream_tbPNSt15iterator_traitsISI_E10value_typeEPNSO_ISJ_E10value_typeEPSK_NS1_7vsmem_tEENKUlT_SI_SJ_SK_E_clIPdSD_S10_SD_EESH_SX_SI_SJ_SK_EUlSX_E_NS1_11comp_targetILNS1_3genE3ELNS1_11target_archE908ELNS1_3gpuE7ELNS1_3repE0EEENS1_48merge_mergepath_partition_config_static_selectorELNS0_4arch9wavefront6targetE1EEEvSJ_.num_vgpr, 0
	.set _ZN7rocprim17ROCPRIM_400000_NS6detail17trampoline_kernelINS0_14default_configENS1_38merge_sort_block_merge_config_selectorIddEEZZNS1_27merge_sort_block_merge_implIS3_N6thrust23THRUST_200600_302600_NS6detail15normal_iteratorINS8_10device_ptrIdEEEESD_jNS1_19radix_merge_compareILb0ELb0EdNS0_19identity_decomposerEEEEE10hipError_tT0_T1_T2_jT3_P12ihipStream_tbPNSt15iterator_traitsISI_E10value_typeEPNSO_ISJ_E10value_typeEPSK_NS1_7vsmem_tEENKUlT_SI_SJ_SK_E_clIPdSD_S10_SD_EESH_SX_SI_SJ_SK_EUlSX_E_NS1_11comp_targetILNS1_3genE3ELNS1_11target_archE908ELNS1_3gpuE7ELNS1_3repE0EEENS1_48merge_mergepath_partition_config_static_selectorELNS0_4arch9wavefront6targetE1EEEvSJ_.num_agpr, 0
	.set _ZN7rocprim17ROCPRIM_400000_NS6detail17trampoline_kernelINS0_14default_configENS1_38merge_sort_block_merge_config_selectorIddEEZZNS1_27merge_sort_block_merge_implIS3_N6thrust23THRUST_200600_302600_NS6detail15normal_iteratorINS8_10device_ptrIdEEEESD_jNS1_19radix_merge_compareILb0ELb0EdNS0_19identity_decomposerEEEEE10hipError_tT0_T1_T2_jT3_P12ihipStream_tbPNSt15iterator_traitsISI_E10value_typeEPNSO_ISJ_E10value_typeEPSK_NS1_7vsmem_tEENKUlT_SI_SJ_SK_E_clIPdSD_S10_SD_EESH_SX_SI_SJ_SK_EUlSX_E_NS1_11comp_targetILNS1_3genE3ELNS1_11target_archE908ELNS1_3gpuE7ELNS1_3repE0EEENS1_48merge_mergepath_partition_config_static_selectorELNS0_4arch9wavefront6targetE1EEEvSJ_.numbered_sgpr, 0
	.set _ZN7rocprim17ROCPRIM_400000_NS6detail17trampoline_kernelINS0_14default_configENS1_38merge_sort_block_merge_config_selectorIddEEZZNS1_27merge_sort_block_merge_implIS3_N6thrust23THRUST_200600_302600_NS6detail15normal_iteratorINS8_10device_ptrIdEEEESD_jNS1_19radix_merge_compareILb0ELb0EdNS0_19identity_decomposerEEEEE10hipError_tT0_T1_T2_jT3_P12ihipStream_tbPNSt15iterator_traitsISI_E10value_typeEPNSO_ISJ_E10value_typeEPSK_NS1_7vsmem_tEENKUlT_SI_SJ_SK_E_clIPdSD_S10_SD_EESH_SX_SI_SJ_SK_EUlSX_E_NS1_11comp_targetILNS1_3genE3ELNS1_11target_archE908ELNS1_3gpuE7ELNS1_3repE0EEENS1_48merge_mergepath_partition_config_static_selectorELNS0_4arch9wavefront6targetE1EEEvSJ_.num_named_barrier, 0
	.set _ZN7rocprim17ROCPRIM_400000_NS6detail17trampoline_kernelINS0_14default_configENS1_38merge_sort_block_merge_config_selectorIddEEZZNS1_27merge_sort_block_merge_implIS3_N6thrust23THRUST_200600_302600_NS6detail15normal_iteratorINS8_10device_ptrIdEEEESD_jNS1_19radix_merge_compareILb0ELb0EdNS0_19identity_decomposerEEEEE10hipError_tT0_T1_T2_jT3_P12ihipStream_tbPNSt15iterator_traitsISI_E10value_typeEPNSO_ISJ_E10value_typeEPSK_NS1_7vsmem_tEENKUlT_SI_SJ_SK_E_clIPdSD_S10_SD_EESH_SX_SI_SJ_SK_EUlSX_E_NS1_11comp_targetILNS1_3genE3ELNS1_11target_archE908ELNS1_3gpuE7ELNS1_3repE0EEENS1_48merge_mergepath_partition_config_static_selectorELNS0_4arch9wavefront6targetE1EEEvSJ_.private_seg_size, 0
	.set _ZN7rocprim17ROCPRIM_400000_NS6detail17trampoline_kernelINS0_14default_configENS1_38merge_sort_block_merge_config_selectorIddEEZZNS1_27merge_sort_block_merge_implIS3_N6thrust23THRUST_200600_302600_NS6detail15normal_iteratorINS8_10device_ptrIdEEEESD_jNS1_19radix_merge_compareILb0ELb0EdNS0_19identity_decomposerEEEEE10hipError_tT0_T1_T2_jT3_P12ihipStream_tbPNSt15iterator_traitsISI_E10value_typeEPNSO_ISJ_E10value_typeEPSK_NS1_7vsmem_tEENKUlT_SI_SJ_SK_E_clIPdSD_S10_SD_EESH_SX_SI_SJ_SK_EUlSX_E_NS1_11comp_targetILNS1_3genE3ELNS1_11target_archE908ELNS1_3gpuE7ELNS1_3repE0EEENS1_48merge_mergepath_partition_config_static_selectorELNS0_4arch9wavefront6targetE1EEEvSJ_.uses_vcc, 0
	.set _ZN7rocprim17ROCPRIM_400000_NS6detail17trampoline_kernelINS0_14default_configENS1_38merge_sort_block_merge_config_selectorIddEEZZNS1_27merge_sort_block_merge_implIS3_N6thrust23THRUST_200600_302600_NS6detail15normal_iteratorINS8_10device_ptrIdEEEESD_jNS1_19radix_merge_compareILb0ELb0EdNS0_19identity_decomposerEEEEE10hipError_tT0_T1_T2_jT3_P12ihipStream_tbPNSt15iterator_traitsISI_E10value_typeEPNSO_ISJ_E10value_typeEPSK_NS1_7vsmem_tEENKUlT_SI_SJ_SK_E_clIPdSD_S10_SD_EESH_SX_SI_SJ_SK_EUlSX_E_NS1_11comp_targetILNS1_3genE3ELNS1_11target_archE908ELNS1_3gpuE7ELNS1_3repE0EEENS1_48merge_mergepath_partition_config_static_selectorELNS0_4arch9wavefront6targetE1EEEvSJ_.uses_flat_scratch, 0
	.set _ZN7rocprim17ROCPRIM_400000_NS6detail17trampoline_kernelINS0_14default_configENS1_38merge_sort_block_merge_config_selectorIddEEZZNS1_27merge_sort_block_merge_implIS3_N6thrust23THRUST_200600_302600_NS6detail15normal_iteratorINS8_10device_ptrIdEEEESD_jNS1_19radix_merge_compareILb0ELb0EdNS0_19identity_decomposerEEEEE10hipError_tT0_T1_T2_jT3_P12ihipStream_tbPNSt15iterator_traitsISI_E10value_typeEPNSO_ISJ_E10value_typeEPSK_NS1_7vsmem_tEENKUlT_SI_SJ_SK_E_clIPdSD_S10_SD_EESH_SX_SI_SJ_SK_EUlSX_E_NS1_11comp_targetILNS1_3genE3ELNS1_11target_archE908ELNS1_3gpuE7ELNS1_3repE0EEENS1_48merge_mergepath_partition_config_static_selectorELNS0_4arch9wavefront6targetE1EEEvSJ_.has_dyn_sized_stack, 0
	.set _ZN7rocprim17ROCPRIM_400000_NS6detail17trampoline_kernelINS0_14default_configENS1_38merge_sort_block_merge_config_selectorIddEEZZNS1_27merge_sort_block_merge_implIS3_N6thrust23THRUST_200600_302600_NS6detail15normal_iteratorINS8_10device_ptrIdEEEESD_jNS1_19radix_merge_compareILb0ELb0EdNS0_19identity_decomposerEEEEE10hipError_tT0_T1_T2_jT3_P12ihipStream_tbPNSt15iterator_traitsISI_E10value_typeEPNSO_ISJ_E10value_typeEPSK_NS1_7vsmem_tEENKUlT_SI_SJ_SK_E_clIPdSD_S10_SD_EESH_SX_SI_SJ_SK_EUlSX_E_NS1_11comp_targetILNS1_3genE3ELNS1_11target_archE908ELNS1_3gpuE7ELNS1_3repE0EEENS1_48merge_mergepath_partition_config_static_selectorELNS0_4arch9wavefront6targetE1EEEvSJ_.has_recursion, 0
	.set _ZN7rocprim17ROCPRIM_400000_NS6detail17trampoline_kernelINS0_14default_configENS1_38merge_sort_block_merge_config_selectorIddEEZZNS1_27merge_sort_block_merge_implIS3_N6thrust23THRUST_200600_302600_NS6detail15normal_iteratorINS8_10device_ptrIdEEEESD_jNS1_19radix_merge_compareILb0ELb0EdNS0_19identity_decomposerEEEEE10hipError_tT0_T1_T2_jT3_P12ihipStream_tbPNSt15iterator_traitsISI_E10value_typeEPNSO_ISJ_E10value_typeEPSK_NS1_7vsmem_tEENKUlT_SI_SJ_SK_E_clIPdSD_S10_SD_EESH_SX_SI_SJ_SK_EUlSX_E_NS1_11comp_targetILNS1_3genE3ELNS1_11target_archE908ELNS1_3gpuE7ELNS1_3repE0EEENS1_48merge_mergepath_partition_config_static_selectorELNS0_4arch9wavefront6targetE1EEEvSJ_.has_indirect_call, 0
	.section	.AMDGPU.csdata,"",@progbits
; Kernel info:
; codeLenInByte = 0
; TotalNumSgprs: 6
; NumVgprs: 0
; NumAgprs: 0
; TotalNumVgprs: 0
; ScratchSize: 0
; MemoryBound: 0
; FloatMode: 240
; IeeeMode: 1
; LDSByteSize: 0 bytes/workgroup (compile time only)
; SGPRBlocks: 0
; VGPRBlocks: 0
; NumSGPRsForWavesPerEU: 6
; NumVGPRsForWavesPerEU: 1
; AccumOffset: 4
; Occupancy: 8
; WaveLimiterHint : 0
; COMPUTE_PGM_RSRC2:SCRATCH_EN: 0
; COMPUTE_PGM_RSRC2:USER_SGPR: 2
; COMPUTE_PGM_RSRC2:TRAP_HANDLER: 0
; COMPUTE_PGM_RSRC2:TGID_X_EN: 1
; COMPUTE_PGM_RSRC2:TGID_Y_EN: 0
; COMPUTE_PGM_RSRC2:TGID_Z_EN: 0
; COMPUTE_PGM_RSRC2:TIDIG_COMP_CNT: 0
; COMPUTE_PGM_RSRC3_GFX90A:ACCUM_OFFSET: 0
; COMPUTE_PGM_RSRC3_GFX90A:TG_SPLIT: 0
	.section	.text._ZN7rocprim17ROCPRIM_400000_NS6detail17trampoline_kernelINS0_14default_configENS1_38merge_sort_block_merge_config_selectorIddEEZZNS1_27merge_sort_block_merge_implIS3_N6thrust23THRUST_200600_302600_NS6detail15normal_iteratorINS8_10device_ptrIdEEEESD_jNS1_19radix_merge_compareILb0ELb0EdNS0_19identity_decomposerEEEEE10hipError_tT0_T1_T2_jT3_P12ihipStream_tbPNSt15iterator_traitsISI_E10value_typeEPNSO_ISJ_E10value_typeEPSK_NS1_7vsmem_tEENKUlT_SI_SJ_SK_E_clIPdSD_S10_SD_EESH_SX_SI_SJ_SK_EUlSX_E_NS1_11comp_targetILNS1_3genE2ELNS1_11target_archE906ELNS1_3gpuE6ELNS1_3repE0EEENS1_48merge_mergepath_partition_config_static_selectorELNS0_4arch9wavefront6targetE1EEEvSJ_,"axG",@progbits,_ZN7rocprim17ROCPRIM_400000_NS6detail17trampoline_kernelINS0_14default_configENS1_38merge_sort_block_merge_config_selectorIddEEZZNS1_27merge_sort_block_merge_implIS3_N6thrust23THRUST_200600_302600_NS6detail15normal_iteratorINS8_10device_ptrIdEEEESD_jNS1_19radix_merge_compareILb0ELb0EdNS0_19identity_decomposerEEEEE10hipError_tT0_T1_T2_jT3_P12ihipStream_tbPNSt15iterator_traitsISI_E10value_typeEPNSO_ISJ_E10value_typeEPSK_NS1_7vsmem_tEENKUlT_SI_SJ_SK_E_clIPdSD_S10_SD_EESH_SX_SI_SJ_SK_EUlSX_E_NS1_11comp_targetILNS1_3genE2ELNS1_11target_archE906ELNS1_3gpuE6ELNS1_3repE0EEENS1_48merge_mergepath_partition_config_static_selectorELNS0_4arch9wavefront6targetE1EEEvSJ_,comdat
	.protected	_ZN7rocprim17ROCPRIM_400000_NS6detail17trampoline_kernelINS0_14default_configENS1_38merge_sort_block_merge_config_selectorIddEEZZNS1_27merge_sort_block_merge_implIS3_N6thrust23THRUST_200600_302600_NS6detail15normal_iteratorINS8_10device_ptrIdEEEESD_jNS1_19radix_merge_compareILb0ELb0EdNS0_19identity_decomposerEEEEE10hipError_tT0_T1_T2_jT3_P12ihipStream_tbPNSt15iterator_traitsISI_E10value_typeEPNSO_ISJ_E10value_typeEPSK_NS1_7vsmem_tEENKUlT_SI_SJ_SK_E_clIPdSD_S10_SD_EESH_SX_SI_SJ_SK_EUlSX_E_NS1_11comp_targetILNS1_3genE2ELNS1_11target_archE906ELNS1_3gpuE6ELNS1_3repE0EEENS1_48merge_mergepath_partition_config_static_selectorELNS0_4arch9wavefront6targetE1EEEvSJ_ ; -- Begin function _ZN7rocprim17ROCPRIM_400000_NS6detail17trampoline_kernelINS0_14default_configENS1_38merge_sort_block_merge_config_selectorIddEEZZNS1_27merge_sort_block_merge_implIS3_N6thrust23THRUST_200600_302600_NS6detail15normal_iteratorINS8_10device_ptrIdEEEESD_jNS1_19radix_merge_compareILb0ELb0EdNS0_19identity_decomposerEEEEE10hipError_tT0_T1_T2_jT3_P12ihipStream_tbPNSt15iterator_traitsISI_E10value_typeEPNSO_ISJ_E10value_typeEPSK_NS1_7vsmem_tEENKUlT_SI_SJ_SK_E_clIPdSD_S10_SD_EESH_SX_SI_SJ_SK_EUlSX_E_NS1_11comp_targetILNS1_3genE2ELNS1_11target_archE906ELNS1_3gpuE6ELNS1_3repE0EEENS1_48merge_mergepath_partition_config_static_selectorELNS0_4arch9wavefront6targetE1EEEvSJ_
	.globl	_ZN7rocprim17ROCPRIM_400000_NS6detail17trampoline_kernelINS0_14default_configENS1_38merge_sort_block_merge_config_selectorIddEEZZNS1_27merge_sort_block_merge_implIS3_N6thrust23THRUST_200600_302600_NS6detail15normal_iteratorINS8_10device_ptrIdEEEESD_jNS1_19radix_merge_compareILb0ELb0EdNS0_19identity_decomposerEEEEE10hipError_tT0_T1_T2_jT3_P12ihipStream_tbPNSt15iterator_traitsISI_E10value_typeEPNSO_ISJ_E10value_typeEPSK_NS1_7vsmem_tEENKUlT_SI_SJ_SK_E_clIPdSD_S10_SD_EESH_SX_SI_SJ_SK_EUlSX_E_NS1_11comp_targetILNS1_3genE2ELNS1_11target_archE906ELNS1_3gpuE6ELNS1_3repE0EEENS1_48merge_mergepath_partition_config_static_selectorELNS0_4arch9wavefront6targetE1EEEvSJ_
	.p2align	8
	.type	_ZN7rocprim17ROCPRIM_400000_NS6detail17trampoline_kernelINS0_14default_configENS1_38merge_sort_block_merge_config_selectorIddEEZZNS1_27merge_sort_block_merge_implIS3_N6thrust23THRUST_200600_302600_NS6detail15normal_iteratorINS8_10device_ptrIdEEEESD_jNS1_19radix_merge_compareILb0ELb0EdNS0_19identity_decomposerEEEEE10hipError_tT0_T1_T2_jT3_P12ihipStream_tbPNSt15iterator_traitsISI_E10value_typeEPNSO_ISJ_E10value_typeEPSK_NS1_7vsmem_tEENKUlT_SI_SJ_SK_E_clIPdSD_S10_SD_EESH_SX_SI_SJ_SK_EUlSX_E_NS1_11comp_targetILNS1_3genE2ELNS1_11target_archE906ELNS1_3gpuE6ELNS1_3repE0EEENS1_48merge_mergepath_partition_config_static_selectorELNS0_4arch9wavefront6targetE1EEEvSJ_,@function
_ZN7rocprim17ROCPRIM_400000_NS6detail17trampoline_kernelINS0_14default_configENS1_38merge_sort_block_merge_config_selectorIddEEZZNS1_27merge_sort_block_merge_implIS3_N6thrust23THRUST_200600_302600_NS6detail15normal_iteratorINS8_10device_ptrIdEEEESD_jNS1_19radix_merge_compareILb0ELb0EdNS0_19identity_decomposerEEEEE10hipError_tT0_T1_T2_jT3_P12ihipStream_tbPNSt15iterator_traitsISI_E10value_typeEPNSO_ISJ_E10value_typeEPSK_NS1_7vsmem_tEENKUlT_SI_SJ_SK_E_clIPdSD_S10_SD_EESH_SX_SI_SJ_SK_EUlSX_E_NS1_11comp_targetILNS1_3genE2ELNS1_11target_archE906ELNS1_3gpuE6ELNS1_3repE0EEENS1_48merge_mergepath_partition_config_static_selectorELNS0_4arch9wavefront6targetE1EEEvSJ_: ; @_ZN7rocprim17ROCPRIM_400000_NS6detail17trampoline_kernelINS0_14default_configENS1_38merge_sort_block_merge_config_selectorIddEEZZNS1_27merge_sort_block_merge_implIS3_N6thrust23THRUST_200600_302600_NS6detail15normal_iteratorINS8_10device_ptrIdEEEESD_jNS1_19radix_merge_compareILb0ELb0EdNS0_19identity_decomposerEEEEE10hipError_tT0_T1_T2_jT3_P12ihipStream_tbPNSt15iterator_traitsISI_E10value_typeEPNSO_ISJ_E10value_typeEPSK_NS1_7vsmem_tEENKUlT_SI_SJ_SK_E_clIPdSD_S10_SD_EESH_SX_SI_SJ_SK_EUlSX_E_NS1_11comp_targetILNS1_3genE2ELNS1_11target_archE906ELNS1_3gpuE6ELNS1_3repE0EEENS1_48merge_mergepath_partition_config_static_selectorELNS0_4arch9wavefront6targetE1EEEvSJ_
; %bb.0:
	.section	.rodata,"a",@progbits
	.p2align	6, 0x0
	.amdhsa_kernel _ZN7rocprim17ROCPRIM_400000_NS6detail17trampoline_kernelINS0_14default_configENS1_38merge_sort_block_merge_config_selectorIddEEZZNS1_27merge_sort_block_merge_implIS3_N6thrust23THRUST_200600_302600_NS6detail15normal_iteratorINS8_10device_ptrIdEEEESD_jNS1_19radix_merge_compareILb0ELb0EdNS0_19identity_decomposerEEEEE10hipError_tT0_T1_T2_jT3_P12ihipStream_tbPNSt15iterator_traitsISI_E10value_typeEPNSO_ISJ_E10value_typeEPSK_NS1_7vsmem_tEENKUlT_SI_SJ_SK_E_clIPdSD_S10_SD_EESH_SX_SI_SJ_SK_EUlSX_E_NS1_11comp_targetILNS1_3genE2ELNS1_11target_archE906ELNS1_3gpuE6ELNS1_3repE0EEENS1_48merge_mergepath_partition_config_static_selectorELNS0_4arch9wavefront6targetE1EEEvSJ_
		.amdhsa_group_segment_fixed_size 0
		.amdhsa_private_segment_fixed_size 0
		.amdhsa_kernarg_size 40
		.amdhsa_user_sgpr_count 2
		.amdhsa_user_sgpr_dispatch_ptr 0
		.amdhsa_user_sgpr_queue_ptr 0
		.amdhsa_user_sgpr_kernarg_segment_ptr 1
		.amdhsa_user_sgpr_dispatch_id 0
		.amdhsa_user_sgpr_kernarg_preload_length 0
		.amdhsa_user_sgpr_kernarg_preload_offset 0
		.amdhsa_user_sgpr_private_segment_size 0
		.amdhsa_uses_dynamic_stack 0
		.amdhsa_enable_private_segment 0
		.amdhsa_system_sgpr_workgroup_id_x 1
		.amdhsa_system_sgpr_workgroup_id_y 0
		.amdhsa_system_sgpr_workgroup_id_z 0
		.amdhsa_system_sgpr_workgroup_info 0
		.amdhsa_system_vgpr_workitem_id 0
		.amdhsa_next_free_vgpr 1
		.amdhsa_next_free_sgpr 0
		.amdhsa_accum_offset 4
		.amdhsa_reserve_vcc 0
		.amdhsa_float_round_mode_32 0
		.amdhsa_float_round_mode_16_64 0
		.amdhsa_float_denorm_mode_32 3
		.amdhsa_float_denorm_mode_16_64 3
		.amdhsa_dx10_clamp 1
		.amdhsa_ieee_mode 1
		.amdhsa_fp16_overflow 0
		.amdhsa_tg_split 0
		.amdhsa_exception_fp_ieee_invalid_op 0
		.amdhsa_exception_fp_denorm_src 0
		.amdhsa_exception_fp_ieee_div_zero 0
		.amdhsa_exception_fp_ieee_overflow 0
		.amdhsa_exception_fp_ieee_underflow 0
		.amdhsa_exception_fp_ieee_inexact 0
		.amdhsa_exception_int_div_zero 0
	.end_amdhsa_kernel
	.section	.text._ZN7rocprim17ROCPRIM_400000_NS6detail17trampoline_kernelINS0_14default_configENS1_38merge_sort_block_merge_config_selectorIddEEZZNS1_27merge_sort_block_merge_implIS3_N6thrust23THRUST_200600_302600_NS6detail15normal_iteratorINS8_10device_ptrIdEEEESD_jNS1_19radix_merge_compareILb0ELb0EdNS0_19identity_decomposerEEEEE10hipError_tT0_T1_T2_jT3_P12ihipStream_tbPNSt15iterator_traitsISI_E10value_typeEPNSO_ISJ_E10value_typeEPSK_NS1_7vsmem_tEENKUlT_SI_SJ_SK_E_clIPdSD_S10_SD_EESH_SX_SI_SJ_SK_EUlSX_E_NS1_11comp_targetILNS1_3genE2ELNS1_11target_archE906ELNS1_3gpuE6ELNS1_3repE0EEENS1_48merge_mergepath_partition_config_static_selectorELNS0_4arch9wavefront6targetE1EEEvSJ_,"axG",@progbits,_ZN7rocprim17ROCPRIM_400000_NS6detail17trampoline_kernelINS0_14default_configENS1_38merge_sort_block_merge_config_selectorIddEEZZNS1_27merge_sort_block_merge_implIS3_N6thrust23THRUST_200600_302600_NS6detail15normal_iteratorINS8_10device_ptrIdEEEESD_jNS1_19radix_merge_compareILb0ELb0EdNS0_19identity_decomposerEEEEE10hipError_tT0_T1_T2_jT3_P12ihipStream_tbPNSt15iterator_traitsISI_E10value_typeEPNSO_ISJ_E10value_typeEPSK_NS1_7vsmem_tEENKUlT_SI_SJ_SK_E_clIPdSD_S10_SD_EESH_SX_SI_SJ_SK_EUlSX_E_NS1_11comp_targetILNS1_3genE2ELNS1_11target_archE906ELNS1_3gpuE6ELNS1_3repE0EEENS1_48merge_mergepath_partition_config_static_selectorELNS0_4arch9wavefront6targetE1EEEvSJ_,comdat
.Lfunc_end30:
	.size	_ZN7rocprim17ROCPRIM_400000_NS6detail17trampoline_kernelINS0_14default_configENS1_38merge_sort_block_merge_config_selectorIddEEZZNS1_27merge_sort_block_merge_implIS3_N6thrust23THRUST_200600_302600_NS6detail15normal_iteratorINS8_10device_ptrIdEEEESD_jNS1_19radix_merge_compareILb0ELb0EdNS0_19identity_decomposerEEEEE10hipError_tT0_T1_T2_jT3_P12ihipStream_tbPNSt15iterator_traitsISI_E10value_typeEPNSO_ISJ_E10value_typeEPSK_NS1_7vsmem_tEENKUlT_SI_SJ_SK_E_clIPdSD_S10_SD_EESH_SX_SI_SJ_SK_EUlSX_E_NS1_11comp_targetILNS1_3genE2ELNS1_11target_archE906ELNS1_3gpuE6ELNS1_3repE0EEENS1_48merge_mergepath_partition_config_static_selectorELNS0_4arch9wavefront6targetE1EEEvSJ_, .Lfunc_end30-_ZN7rocprim17ROCPRIM_400000_NS6detail17trampoline_kernelINS0_14default_configENS1_38merge_sort_block_merge_config_selectorIddEEZZNS1_27merge_sort_block_merge_implIS3_N6thrust23THRUST_200600_302600_NS6detail15normal_iteratorINS8_10device_ptrIdEEEESD_jNS1_19radix_merge_compareILb0ELb0EdNS0_19identity_decomposerEEEEE10hipError_tT0_T1_T2_jT3_P12ihipStream_tbPNSt15iterator_traitsISI_E10value_typeEPNSO_ISJ_E10value_typeEPSK_NS1_7vsmem_tEENKUlT_SI_SJ_SK_E_clIPdSD_S10_SD_EESH_SX_SI_SJ_SK_EUlSX_E_NS1_11comp_targetILNS1_3genE2ELNS1_11target_archE906ELNS1_3gpuE6ELNS1_3repE0EEENS1_48merge_mergepath_partition_config_static_selectorELNS0_4arch9wavefront6targetE1EEEvSJ_
                                        ; -- End function
	.set _ZN7rocprim17ROCPRIM_400000_NS6detail17trampoline_kernelINS0_14default_configENS1_38merge_sort_block_merge_config_selectorIddEEZZNS1_27merge_sort_block_merge_implIS3_N6thrust23THRUST_200600_302600_NS6detail15normal_iteratorINS8_10device_ptrIdEEEESD_jNS1_19radix_merge_compareILb0ELb0EdNS0_19identity_decomposerEEEEE10hipError_tT0_T1_T2_jT3_P12ihipStream_tbPNSt15iterator_traitsISI_E10value_typeEPNSO_ISJ_E10value_typeEPSK_NS1_7vsmem_tEENKUlT_SI_SJ_SK_E_clIPdSD_S10_SD_EESH_SX_SI_SJ_SK_EUlSX_E_NS1_11comp_targetILNS1_3genE2ELNS1_11target_archE906ELNS1_3gpuE6ELNS1_3repE0EEENS1_48merge_mergepath_partition_config_static_selectorELNS0_4arch9wavefront6targetE1EEEvSJ_.num_vgpr, 0
	.set _ZN7rocprim17ROCPRIM_400000_NS6detail17trampoline_kernelINS0_14default_configENS1_38merge_sort_block_merge_config_selectorIddEEZZNS1_27merge_sort_block_merge_implIS3_N6thrust23THRUST_200600_302600_NS6detail15normal_iteratorINS8_10device_ptrIdEEEESD_jNS1_19radix_merge_compareILb0ELb0EdNS0_19identity_decomposerEEEEE10hipError_tT0_T1_T2_jT3_P12ihipStream_tbPNSt15iterator_traitsISI_E10value_typeEPNSO_ISJ_E10value_typeEPSK_NS1_7vsmem_tEENKUlT_SI_SJ_SK_E_clIPdSD_S10_SD_EESH_SX_SI_SJ_SK_EUlSX_E_NS1_11comp_targetILNS1_3genE2ELNS1_11target_archE906ELNS1_3gpuE6ELNS1_3repE0EEENS1_48merge_mergepath_partition_config_static_selectorELNS0_4arch9wavefront6targetE1EEEvSJ_.num_agpr, 0
	.set _ZN7rocprim17ROCPRIM_400000_NS6detail17trampoline_kernelINS0_14default_configENS1_38merge_sort_block_merge_config_selectorIddEEZZNS1_27merge_sort_block_merge_implIS3_N6thrust23THRUST_200600_302600_NS6detail15normal_iteratorINS8_10device_ptrIdEEEESD_jNS1_19radix_merge_compareILb0ELb0EdNS0_19identity_decomposerEEEEE10hipError_tT0_T1_T2_jT3_P12ihipStream_tbPNSt15iterator_traitsISI_E10value_typeEPNSO_ISJ_E10value_typeEPSK_NS1_7vsmem_tEENKUlT_SI_SJ_SK_E_clIPdSD_S10_SD_EESH_SX_SI_SJ_SK_EUlSX_E_NS1_11comp_targetILNS1_3genE2ELNS1_11target_archE906ELNS1_3gpuE6ELNS1_3repE0EEENS1_48merge_mergepath_partition_config_static_selectorELNS0_4arch9wavefront6targetE1EEEvSJ_.numbered_sgpr, 0
	.set _ZN7rocprim17ROCPRIM_400000_NS6detail17trampoline_kernelINS0_14default_configENS1_38merge_sort_block_merge_config_selectorIddEEZZNS1_27merge_sort_block_merge_implIS3_N6thrust23THRUST_200600_302600_NS6detail15normal_iteratorINS8_10device_ptrIdEEEESD_jNS1_19radix_merge_compareILb0ELb0EdNS0_19identity_decomposerEEEEE10hipError_tT0_T1_T2_jT3_P12ihipStream_tbPNSt15iterator_traitsISI_E10value_typeEPNSO_ISJ_E10value_typeEPSK_NS1_7vsmem_tEENKUlT_SI_SJ_SK_E_clIPdSD_S10_SD_EESH_SX_SI_SJ_SK_EUlSX_E_NS1_11comp_targetILNS1_3genE2ELNS1_11target_archE906ELNS1_3gpuE6ELNS1_3repE0EEENS1_48merge_mergepath_partition_config_static_selectorELNS0_4arch9wavefront6targetE1EEEvSJ_.num_named_barrier, 0
	.set _ZN7rocprim17ROCPRIM_400000_NS6detail17trampoline_kernelINS0_14default_configENS1_38merge_sort_block_merge_config_selectorIddEEZZNS1_27merge_sort_block_merge_implIS3_N6thrust23THRUST_200600_302600_NS6detail15normal_iteratorINS8_10device_ptrIdEEEESD_jNS1_19radix_merge_compareILb0ELb0EdNS0_19identity_decomposerEEEEE10hipError_tT0_T1_T2_jT3_P12ihipStream_tbPNSt15iterator_traitsISI_E10value_typeEPNSO_ISJ_E10value_typeEPSK_NS1_7vsmem_tEENKUlT_SI_SJ_SK_E_clIPdSD_S10_SD_EESH_SX_SI_SJ_SK_EUlSX_E_NS1_11comp_targetILNS1_3genE2ELNS1_11target_archE906ELNS1_3gpuE6ELNS1_3repE0EEENS1_48merge_mergepath_partition_config_static_selectorELNS0_4arch9wavefront6targetE1EEEvSJ_.private_seg_size, 0
	.set _ZN7rocprim17ROCPRIM_400000_NS6detail17trampoline_kernelINS0_14default_configENS1_38merge_sort_block_merge_config_selectorIddEEZZNS1_27merge_sort_block_merge_implIS3_N6thrust23THRUST_200600_302600_NS6detail15normal_iteratorINS8_10device_ptrIdEEEESD_jNS1_19radix_merge_compareILb0ELb0EdNS0_19identity_decomposerEEEEE10hipError_tT0_T1_T2_jT3_P12ihipStream_tbPNSt15iterator_traitsISI_E10value_typeEPNSO_ISJ_E10value_typeEPSK_NS1_7vsmem_tEENKUlT_SI_SJ_SK_E_clIPdSD_S10_SD_EESH_SX_SI_SJ_SK_EUlSX_E_NS1_11comp_targetILNS1_3genE2ELNS1_11target_archE906ELNS1_3gpuE6ELNS1_3repE0EEENS1_48merge_mergepath_partition_config_static_selectorELNS0_4arch9wavefront6targetE1EEEvSJ_.uses_vcc, 0
	.set _ZN7rocprim17ROCPRIM_400000_NS6detail17trampoline_kernelINS0_14default_configENS1_38merge_sort_block_merge_config_selectorIddEEZZNS1_27merge_sort_block_merge_implIS3_N6thrust23THRUST_200600_302600_NS6detail15normal_iteratorINS8_10device_ptrIdEEEESD_jNS1_19radix_merge_compareILb0ELb0EdNS0_19identity_decomposerEEEEE10hipError_tT0_T1_T2_jT3_P12ihipStream_tbPNSt15iterator_traitsISI_E10value_typeEPNSO_ISJ_E10value_typeEPSK_NS1_7vsmem_tEENKUlT_SI_SJ_SK_E_clIPdSD_S10_SD_EESH_SX_SI_SJ_SK_EUlSX_E_NS1_11comp_targetILNS1_3genE2ELNS1_11target_archE906ELNS1_3gpuE6ELNS1_3repE0EEENS1_48merge_mergepath_partition_config_static_selectorELNS0_4arch9wavefront6targetE1EEEvSJ_.uses_flat_scratch, 0
	.set _ZN7rocprim17ROCPRIM_400000_NS6detail17trampoline_kernelINS0_14default_configENS1_38merge_sort_block_merge_config_selectorIddEEZZNS1_27merge_sort_block_merge_implIS3_N6thrust23THRUST_200600_302600_NS6detail15normal_iteratorINS8_10device_ptrIdEEEESD_jNS1_19radix_merge_compareILb0ELb0EdNS0_19identity_decomposerEEEEE10hipError_tT0_T1_T2_jT3_P12ihipStream_tbPNSt15iterator_traitsISI_E10value_typeEPNSO_ISJ_E10value_typeEPSK_NS1_7vsmem_tEENKUlT_SI_SJ_SK_E_clIPdSD_S10_SD_EESH_SX_SI_SJ_SK_EUlSX_E_NS1_11comp_targetILNS1_3genE2ELNS1_11target_archE906ELNS1_3gpuE6ELNS1_3repE0EEENS1_48merge_mergepath_partition_config_static_selectorELNS0_4arch9wavefront6targetE1EEEvSJ_.has_dyn_sized_stack, 0
	.set _ZN7rocprim17ROCPRIM_400000_NS6detail17trampoline_kernelINS0_14default_configENS1_38merge_sort_block_merge_config_selectorIddEEZZNS1_27merge_sort_block_merge_implIS3_N6thrust23THRUST_200600_302600_NS6detail15normal_iteratorINS8_10device_ptrIdEEEESD_jNS1_19radix_merge_compareILb0ELb0EdNS0_19identity_decomposerEEEEE10hipError_tT0_T1_T2_jT3_P12ihipStream_tbPNSt15iterator_traitsISI_E10value_typeEPNSO_ISJ_E10value_typeEPSK_NS1_7vsmem_tEENKUlT_SI_SJ_SK_E_clIPdSD_S10_SD_EESH_SX_SI_SJ_SK_EUlSX_E_NS1_11comp_targetILNS1_3genE2ELNS1_11target_archE906ELNS1_3gpuE6ELNS1_3repE0EEENS1_48merge_mergepath_partition_config_static_selectorELNS0_4arch9wavefront6targetE1EEEvSJ_.has_recursion, 0
	.set _ZN7rocprim17ROCPRIM_400000_NS6detail17trampoline_kernelINS0_14default_configENS1_38merge_sort_block_merge_config_selectorIddEEZZNS1_27merge_sort_block_merge_implIS3_N6thrust23THRUST_200600_302600_NS6detail15normal_iteratorINS8_10device_ptrIdEEEESD_jNS1_19radix_merge_compareILb0ELb0EdNS0_19identity_decomposerEEEEE10hipError_tT0_T1_T2_jT3_P12ihipStream_tbPNSt15iterator_traitsISI_E10value_typeEPNSO_ISJ_E10value_typeEPSK_NS1_7vsmem_tEENKUlT_SI_SJ_SK_E_clIPdSD_S10_SD_EESH_SX_SI_SJ_SK_EUlSX_E_NS1_11comp_targetILNS1_3genE2ELNS1_11target_archE906ELNS1_3gpuE6ELNS1_3repE0EEENS1_48merge_mergepath_partition_config_static_selectorELNS0_4arch9wavefront6targetE1EEEvSJ_.has_indirect_call, 0
	.section	.AMDGPU.csdata,"",@progbits
; Kernel info:
; codeLenInByte = 0
; TotalNumSgprs: 6
; NumVgprs: 0
; NumAgprs: 0
; TotalNumVgprs: 0
; ScratchSize: 0
; MemoryBound: 0
; FloatMode: 240
; IeeeMode: 1
; LDSByteSize: 0 bytes/workgroup (compile time only)
; SGPRBlocks: 0
; VGPRBlocks: 0
; NumSGPRsForWavesPerEU: 6
; NumVGPRsForWavesPerEU: 1
; AccumOffset: 4
; Occupancy: 8
; WaveLimiterHint : 0
; COMPUTE_PGM_RSRC2:SCRATCH_EN: 0
; COMPUTE_PGM_RSRC2:USER_SGPR: 2
; COMPUTE_PGM_RSRC2:TRAP_HANDLER: 0
; COMPUTE_PGM_RSRC2:TGID_X_EN: 1
; COMPUTE_PGM_RSRC2:TGID_Y_EN: 0
; COMPUTE_PGM_RSRC2:TGID_Z_EN: 0
; COMPUTE_PGM_RSRC2:TIDIG_COMP_CNT: 0
; COMPUTE_PGM_RSRC3_GFX90A:ACCUM_OFFSET: 0
; COMPUTE_PGM_RSRC3_GFX90A:TG_SPLIT: 0
	.section	.text._ZN7rocprim17ROCPRIM_400000_NS6detail17trampoline_kernelINS0_14default_configENS1_38merge_sort_block_merge_config_selectorIddEEZZNS1_27merge_sort_block_merge_implIS3_N6thrust23THRUST_200600_302600_NS6detail15normal_iteratorINS8_10device_ptrIdEEEESD_jNS1_19radix_merge_compareILb0ELb0EdNS0_19identity_decomposerEEEEE10hipError_tT0_T1_T2_jT3_P12ihipStream_tbPNSt15iterator_traitsISI_E10value_typeEPNSO_ISJ_E10value_typeEPSK_NS1_7vsmem_tEENKUlT_SI_SJ_SK_E_clIPdSD_S10_SD_EESH_SX_SI_SJ_SK_EUlSX_E_NS1_11comp_targetILNS1_3genE9ELNS1_11target_archE1100ELNS1_3gpuE3ELNS1_3repE0EEENS1_48merge_mergepath_partition_config_static_selectorELNS0_4arch9wavefront6targetE1EEEvSJ_,"axG",@progbits,_ZN7rocprim17ROCPRIM_400000_NS6detail17trampoline_kernelINS0_14default_configENS1_38merge_sort_block_merge_config_selectorIddEEZZNS1_27merge_sort_block_merge_implIS3_N6thrust23THRUST_200600_302600_NS6detail15normal_iteratorINS8_10device_ptrIdEEEESD_jNS1_19radix_merge_compareILb0ELb0EdNS0_19identity_decomposerEEEEE10hipError_tT0_T1_T2_jT3_P12ihipStream_tbPNSt15iterator_traitsISI_E10value_typeEPNSO_ISJ_E10value_typeEPSK_NS1_7vsmem_tEENKUlT_SI_SJ_SK_E_clIPdSD_S10_SD_EESH_SX_SI_SJ_SK_EUlSX_E_NS1_11comp_targetILNS1_3genE9ELNS1_11target_archE1100ELNS1_3gpuE3ELNS1_3repE0EEENS1_48merge_mergepath_partition_config_static_selectorELNS0_4arch9wavefront6targetE1EEEvSJ_,comdat
	.protected	_ZN7rocprim17ROCPRIM_400000_NS6detail17trampoline_kernelINS0_14default_configENS1_38merge_sort_block_merge_config_selectorIddEEZZNS1_27merge_sort_block_merge_implIS3_N6thrust23THRUST_200600_302600_NS6detail15normal_iteratorINS8_10device_ptrIdEEEESD_jNS1_19radix_merge_compareILb0ELb0EdNS0_19identity_decomposerEEEEE10hipError_tT0_T1_T2_jT3_P12ihipStream_tbPNSt15iterator_traitsISI_E10value_typeEPNSO_ISJ_E10value_typeEPSK_NS1_7vsmem_tEENKUlT_SI_SJ_SK_E_clIPdSD_S10_SD_EESH_SX_SI_SJ_SK_EUlSX_E_NS1_11comp_targetILNS1_3genE9ELNS1_11target_archE1100ELNS1_3gpuE3ELNS1_3repE0EEENS1_48merge_mergepath_partition_config_static_selectorELNS0_4arch9wavefront6targetE1EEEvSJ_ ; -- Begin function _ZN7rocprim17ROCPRIM_400000_NS6detail17trampoline_kernelINS0_14default_configENS1_38merge_sort_block_merge_config_selectorIddEEZZNS1_27merge_sort_block_merge_implIS3_N6thrust23THRUST_200600_302600_NS6detail15normal_iteratorINS8_10device_ptrIdEEEESD_jNS1_19radix_merge_compareILb0ELb0EdNS0_19identity_decomposerEEEEE10hipError_tT0_T1_T2_jT3_P12ihipStream_tbPNSt15iterator_traitsISI_E10value_typeEPNSO_ISJ_E10value_typeEPSK_NS1_7vsmem_tEENKUlT_SI_SJ_SK_E_clIPdSD_S10_SD_EESH_SX_SI_SJ_SK_EUlSX_E_NS1_11comp_targetILNS1_3genE9ELNS1_11target_archE1100ELNS1_3gpuE3ELNS1_3repE0EEENS1_48merge_mergepath_partition_config_static_selectorELNS0_4arch9wavefront6targetE1EEEvSJ_
	.globl	_ZN7rocprim17ROCPRIM_400000_NS6detail17trampoline_kernelINS0_14default_configENS1_38merge_sort_block_merge_config_selectorIddEEZZNS1_27merge_sort_block_merge_implIS3_N6thrust23THRUST_200600_302600_NS6detail15normal_iteratorINS8_10device_ptrIdEEEESD_jNS1_19radix_merge_compareILb0ELb0EdNS0_19identity_decomposerEEEEE10hipError_tT0_T1_T2_jT3_P12ihipStream_tbPNSt15iterator_traitsISI_E10value_typeEPNSO_ISJ_E10value_typeEPSK_NS1_7vsmem_tEENKUlT_SI_SJ_SK_E_clIPdSD_S10_SD_EESH_SX_SI_SJ_SK_EUlSX_E_NS1_11comp_targetILNS1_3genE9ELNS1_11target_archE1100ELNS1_3gpuE3ELNS1_3repE0EEENS1_48merge_mergepath_partition_config_static_selectorELNS0_4arch9wavefront6targetE1EEEvSJ_
	.p2align	8
	.type	_ZN7rocprim17ROCPRIM_400000_NS6detail17trampoline_kernelINS0_14default_configENS1_38merge_sort_block_merge_config_selectorIddEEZZNS1_27merge_sort_block_merge_implIS3_N6thrust23THRUST_200600_302600_NS6detail15normal_iteratorINS8_10device_ptrIdEEEESD_jNS1_19radix_merge_compareILb0ELb0EdNS0_19identity_decomposerEEEEE10hipError_tT0_T1_T2_jT3_P12ihipStream_tbPNSt15iterator_traitsISI_E10value_typeEPNSO_ISJ_E10value_typeEPSK_NS1_7vsmem_tEENKUlT_SI_SJ_SK_E_clIPdSD_S10_SD_EESH_SX_SI_SJ_SK_EUlSX_E_NS1_11comp_targetILNS1_3genE9ELNS1_11target_archE1100ELNS1_3gpuE3ELNS1_3repE0EEENS1_48merge_mergepath_partition_config_static_selectorELNS0_4arch9wavefront6targetE1EEEvSJ_,@function
_ZN7rocprim17ROCPRIM_400000_NS6detail17trampoline_kernelINS0_14default_configENS1_38merge_sort_block_merge_config_selectorIddEEZZNS1_27merge_sort_block_merge_implIS3_N6thrust23THRUST_200600_302600_NS6detail15normal_iteratorINS8_10device_ptrIdEEEESD_jNS1_19radix_merge_compareILb0ELb0EdNS0_19identity_decomposerEEEEE10hipError_tT0_T1_T2_jT3_P12ihipStream_tbPNSt15iterator_traitsISI_E10value_typeEPNSO_ISJ_E10value_typeEPSK_NS1_7vsmem_tEENKUlT_SI_SJ_SK_E_clIPdSD_S10_SD_EESH_SX_SI_SJ_SK_EUlSX_E_NS1_11comp_targetILNS1_3genE9ELNS1_11target_archE1100ELNS1_3gpuE3ELNS1_3repE0EEENS1_48merge_mergepath_partition_config_static_selectorELNS0_4arch9wavefront6targetE1EEEvSJ_: ; @_ZN7rocprim17ROCPRIM_400000_NS6detail17trampoline_kernelINS0_14default_configENS1_38merge_sort_block_merge_config_selectorIddEEZZNS1_27merge_sort_block_merge_implIS3_N6thrust23THRUST_200600_302600_NS6detail15normal_iteratorINS8_10device_ptrIdEEEESD_jNS1_19radix_merge_compareILb0ELb0EdNS0_19identity_decomposerEEEEE10hipError_tT0_T1_T2_jT3_P12ihipStream_tbPNSt15iterator_traitsISI_E10value_typeEPNSO_ISJ_E10value_typeEPSK_NS1_7vsmem_tEENKUlT_SI_SJ_SK_E_clIPdSD_S10_SD_EESH_SX_SI_SJ_SK_EUlSX_E_NS1_11comp_targetILNS1_3genE9ELNS1_11target_archE1100ELNS1_3gpuE3ELNS1_3repE0EEENS1_48merge_mergepath_partition_config_static_selectorELNS0_4arch9wavefront6targetE1EEEvSJ_
; %bb.0:
	.section	.rodata,"a",@progbits
	.p2align	6, 0x0
	.amdhsa_kernel _ZN7rocprim17ROCPRIM_400000_NS6detail17trampoline_kernelINS0_14default_configENS1_38merge_sort_block_merge_config_selectorIddEEZZNS1_27merge_sort_block_merge_implIS3_N6thrust23THRUST_200600_302600_NS6detail15normal_iteratorINS8_10device_ptrIdEEEESD_jNS1_19radix_merge_compareILb0ELb0EdNS0_19identity_decomposerEEEEE10hipError_tT0_T1_T2_jT3_P12ihipStream_tbPNSt15iterator_traitsISI_E10value_typeEPNSO_ISJ_E10value_typeEPSK_NS1_7vsmem_tEENKUlT_SI_SJ_SK_E_clIPdSD_S10_SD_EESH_SX_SI_SJ_SK_EUlSX_E_NS1_11comp_targetILNS1_3genE9ELNS1_11target_archE1100ELNS1_3gpuE3ELNS1_3repE0EEENS1_48merge_mergepath_partition_config_static_selectorELNS0_4arch9wavefront6targetE1EEEvSJ_
		.amdhsa_group_segment_fixed_size 0
		.amdhsa_private_segment_fixed_size 0
		.amdhsa_kernarg_size 40
		.amdhsa_user_sgpr_count 2
		.amdhsa_user_sgpr_dispatch_ptr 0
		.amdhsa_user_sgpr_queue_ptr 0
		.amdhsa_user_sgpr_kernarg_segment_ptr 1
		.amdhsa_user_sgpr_dispatch_id 0
		.amdhsa_user_sgpr_kernarg_preload_length 0
		.amdhsa_user_sgpr_kernarg_preload_offset 0
		.amdhsa_user_sgpr_private_segment_size 0
		.amdhsa_uses_dynamic_stack 0
		.amdhsa_enable_private_segment 0
		.amdhsa_system_sgpr_workgroup_id_x 1
		.amdhsa_system_sgpr_workgroup_id_y 0
		.amdhsa_system_sgpr_workgroup_id_z 0
		.amdhsa_system_sgpr_workgroup_info 0
		.amdhsa_system_vgpr_workitem_id 0
		.amdhsa_next_free_vgpr 1
		.amdhsa_next_free_sgpr 0
		.amdhsa_accum_offset 4
		.amdhsa_reserve_vcc 0
		.amdhsa_float_round_mode_32 0
		.amdhsa_float_round_mode_16_64 0
		.amdhsa_float_denorm_mode_32 3
		.amdhsa_float_denorm_mode_16_64 3
		.amdhsa_dx10_clamp 1
		.amdhsa_ieee_mode 1
		.amdhsa_fp16_overflow 0
		.amdhsa_tg_split 0
		.amdhsa_exception_fp_ieee_invalid_op 0
		.amdhsa_exception_fp_denorm_src 0
		.amdhsa_exception_fp_ieee_div_zero 0
		.amdhsa_exception_fp_ieee_overflow 0
		.amdhsa_exception_fp_ieee_underflow 0
		.amdhsa_exception_fp_ieee_inexact 0
		.amdhsa_exception_int_div_zero 0
	.end_amdhsa_kernel
	.section	.text._ZN7rocprim17ROCPRIM_400000_NS6detail17trampoline_kernelINS0_14default_configENS1_38merge_sort_block_merge_config_selectorIddEEZZNS1_27merge_sort_block_merge_implIS3_N6thrust23THRUST_200600_302600_NS6detail15normal_iteratorINS8_10device_ptrIdEEEESD_jNS1_19radix_merge_compareILb0ELb0EdNS0_19identity_decomposerEEEEE10hipError_tT0_T1_T2_jT3_P12ihipStream_tbPNSt15iterator_traitsISI_E10value_typeEPNSO_ISJ_E10value_typeEPSK_NS1_7vsmem_tEENKUlT_SI_SJ_SK_E_clIPdSD_S10_SD_EESH_SX_SI_SJ_SK_EUlSX_E_NS1_11comp_targetILNS1_3genE9ELNS1_11target_archE1100ELNS1_3gpuE3ELNS1_3repE0EEENS1_48merge_mergepath_partition_config_static_selectorELNS0_4arch9wavefront6targetE1EEEvSJ_,"axG",@progbits,_ZN7rocprim17ROCPRIM_400000_NS6detail17trampoline_kernelINS0_14default_configENS1_38merge_sort_block_merge_config_selectorIddEEZZNS1_27merge_sort_block_merge_implIS3_N6thrust23THRUST_200600_302600_NS6detail15normal_iteratorINS8_10device_ptrIdEEEESD_jNS1_19radix_merge_compareILb0ELb0EdNS0_19identity_decomposerEEEEE10hipError_tT0_T1_T2_jT3_P12ihipStream_tbPNSt15iterator_traitsISI_E10value_typeEPNSO_ISJ_E10value_typeEPSK_NS1_7vsmem_tEENKUlT_SI_SJ_SK_E_clIPdSD_S10_SD_EESH_SX_SI_SJ_SK_EUlSX_E_NS1_11comp_targetILNS1_3genE9ELNS1_11target_archE1100ELNS1_3gpuE3ELNS1_3repE0EEENS1_48merge_mergepath_partition_config_static_selectorELNS0_4arch9wavefront6targetE1EEEvSJ_,comdat
.Lfunc_end31:
	.size	_ZN7rocprim17ROCPRIM_400000_NS6detail17trampoline_kernelINS0_14default_configENS1_38merge_sort_block_merge_config_selectorIddEEZZNS1_27merge_sort_block_merge_implIS3_N6thrust23THRUST_200600_302600_NS6detail15normal_iteratorINS8_10device_ptrIdEEEESD_jNS1_19radix_merge_compareILb0ELb0EdNS0_19identity_decomposerEEEEE10hipError_tT0_T1_T2_jT3_P12ihipStream_tbPNSt15iterator_traitsISI_E10value_typeEPNSO_ISJ_E10value_typeEPSK_NS1_7vsmem_tEENKUlT_SI_SJ_SK_E_clIPdSD_S10_SD_EESH_SX_SI_SJ_SK_EUlSX_E_NS1_11comp_targetILNS1_3genE9ELNS1_11target_archE1100ELNS1_3gpuE3ELNS1_3repE0EEENS1_48merge_mergepath_partition_config_static_selectorELNS0_4arch9wavefront6targetE1EEEvSJ_, .Lfunc_end31-_ZN7rocprim17ROCPRIM_400000_NS6detail17trampoline_kernelINS0_14default_configENS1_38merge_sort_block_merge_config_selectorIddEEZZNS1_27merge_sort_block_merge_implIS3_N6thrust23THRUST_200600_302600_NS6detail15normal_iteratorINS8_10device_ptrIdEEEESD_jNS1_19radix_merge_compareILb0ELb0EdNS0_19identity_decomposerEEEEE10hipError_tT0_T1_T2_jT3_P12ihipStream_tbPNSt15iterator_traitsISI_E10value_typeEPNSO_ISJ_E10value_typeEPSK_NS1_7vsmem_tEENKUlT_SI_SJ_SK_E_clIPdSD_S10_SD_EESH_SX_SI_SJ_SK_EUlSX_E_NS1_11comp_targetILNS1_3genE9ELNS1_11target_archE1100ELNS1_3gpuE3ELNS1_3repE0EEENS1_48merge_mergepath_partition_config_static_selectorELNS0_4arch9wavefront6targetE1EEEvSJ_
                                        ; -- End function
	.set _ZN7rocprim17ROCPRIM_400000_NS6detail17trampoline_kernelINS0_14default_configENS1_38merge_sort_block_merge_config_selectorIddEEZZNS1_27merge_sort_block_merge_implIS3_N6thrust23THRUST_200600_302600_NS6detail15normal_iteratorINS8_10device_ptrIdEEEESD_jNS1_19radix_merge_compareILb0ELb0EdNS0_19identity_decomposerEEEEE10hipError_tT0_T1_T2_jT3_P12ihipStream_tbPNSt15iterator_traitsISI_E10value_typeEPNSO_ISJ_E10value_typeEPSK_NS1_7vsmem_tEENKUlT_SI_SJ_SK_E_clIPdSD_S10_SD_EESH_SX_SI_SJ_SK_EUlSX_E_NS1_11comp_targetILNS1_3genE9ELNS1_11target_archE1100ELNS1_3gpuE3ELNS1_3repE0EEENS1_48merge_mergepath_partition_config_static_selectorELNS0_4arch9wavefront6targetE1EEEvSJ_.num_vgpr, 0
	.set _ZN7rocprim17ROCPRIM_400000_NS6detail17trampoline_kernelINS0_14default_configENS1_38merge_sort_block_merge_config_selectorIddEEZZNS1_27merge_sort_block_merge_implIS3_N6thrust23THRUST_200600_302600_NS6detail15normal_iteratorINS8_10device_ptrIdEEEESD_jNS1_19radix_merge_compareILb0ELb0EdNS0_19identity_decomposerEEEEE10hipError_tT0_T1_T2_jT3_P12ihipStream_tbPNSt15iterator_traitsISI_E10value_typeEPNSO_ISJ_E10value_typeEPSK_NS1_7vsmem_tEENKUlT_SI_SJ_SK_E_clIPdSD_S10_SD_EESH_SX_SI_SJ_SK_EUlSX_E_NS1_11comp_targetILNS1_3genE9ELNS1_11target_archE1100ELNS1_3gpuE3ELNS1_3repE0EEENS1_48merge_mergepath_partition_config_static_selectorELNS0_4arch9wavefront6targetE1EEEvSJ_.num_agpr, 0
	.set _ZN7rocprim17ROCPRIM_400000_NS6detail17trampoline_kernelINS0_14default_configENS1_38merge_sort_block_merge_config_selectorIddEEZZNS1_27merge_sort_block_merge_implIS3_N6thrust23THRUST_200600_302600_NS6detail15normal_iteratorINS8_10device_ptrIdEEEESD_jNS1_19radix_merge_compareILb0ELb0EdNS0_19identity_decomposerEEEEE10hipError_tT0_T1_T2_jT3_P12ihipStream_tbPNSt15iterator_traitsISI_E10value_typeEPNSO_ISJ_E10value_typeEPSK_NS1_7vsmem_tEENKUlT_SI_SJ_SK_E_clIPdSD_S10_SD_EESH_SX_SI_SJ_SK_EUlSX_E_NS1_11comp_targetILNS1_3genE9ELNS1_11target_archE1100ELNS1_3gpuE3ELNS1_3repE0EEENS1_48merge_mergepath_partition_config_static_selectorELNS0_4arch9wavefront6targetE1EEEvSJ_.numbered_sgpr, 0
	.set _ZN7rocprim17ROCPRIM_400000_NS6detail17trampoline_kernelINS0_14default_configENS1_38merge_sort_block_merge_config_selectorIddEEZZNS1_27merge_sort_block_merge_implIS3_N6thrust23THRUST_200600_302600_NS6detail15normal_iteratorINS8_10device_ptrIdEEEESD_jNS1_19radix_merge_compareILb0ELb0EdNS0_19identity_decomposerEEEEE10hipError_tT0_T1_T2_jT3_P12ihipStream_tbPNSt15iterator_traitsISI_E10value_typeEPNSO_ISJ_E10value_typeEPSK_NS1_7vsmem_tEENKUlT_SI_SJ_SK_E_clIPdSD_S10_SD_EESH_SX_SI_SJ_SK_EUlSX_E_NS1_11comp_targetILNS1_3genE9ELNS1_11target_archE1100ELNS1_3gpuE3ELNS1_3repE0EEENS1_48merge_mergepath_partition_config_static_selectorELNS0_4arch9wavefront6targetE1EEEvSJ_.num_named_barrier, 0
	.set _ZN7rocprim17ROCPRIM_400000_NS6detail17trampoline_kernelINS0_14default_configENS1_38merge_sort_block_merge_config_selectorIddEEZZNS1_27merge_sort_block_merge_implIS3_N6thrust23THRUST_200600_302600_NS6detail15normal_iteratorINS8_10device_ptrIdEEEESD_jNS1_19radix_merge_compareILb0ELb0EdNS0_19identity_decomposerEEEEE10hipError_tT0_T1_T2_jT3_P12ihipStream_tbPNSt15iterator_traitsISI_E10value_typeEPNSO_ISJ_E10value_typeEPSK_NS1_7vsmem_tEENKUlT_SI_SJ_SK_E_clIPdSD_S10_SD_EESH_SX_SI_SJ_SK_EUlSX_E_NS1_11comp_targetILNS1_3genE9ELNS1_11target_archE1100ELNS1_3gpuE3ELNS1_3repE0EEENS1_48merge_mergepath_partition_config_static_selectorELNS0_4arch9wavefront6targetE1EEEvSJ_.private_seg_size, 0
	.set _ZN7rocprim17ROCPRIM_400000_NS6detail17trampoline_kernelINS0_14default_configENS1_38merge_sort_block_merge_config_selectorIddEEZZNS1_27merge_sort_block_merge_implIS3_N6thrust23THRUST_200600_302600_NS6detail15normal_iteratorINS8_10device_ptrIdEEEESD_jNS1_19radix_merge_compareILb0ELb0EdNS0_19identity_decomposerEEEEE10hipError_tT0_T1_T2_jT3_P12ihipStream_tbPNSt15iterator_traitsISI_E10value_typeEPNSO_ISJ_E10value_typeEPSK_NS1_7vsmem_tEENKUlT_SI_SJ_SK_E_clIPdSD_S10_SD_EESH_SX_SI_SJ_SK_EUlSX_E_NS1_11comp_targetILNS1_3genE9ELNS1_11target_archE1100ELNS1_3gpuE3ELNS1_3repE0EEENS1_48merge_mergepath_partition_config_static_selectorELNS0_4arch9wavefront6targetE1EEEvSJ_.uses_vcc, 0
	.set _ZN7rocprim17ROCPRIM_400000_NS6detail17trampoline_kernelINS0_14default_configENS1_38merge_sort_block_merge_config_selectorIddEEZZNS1_27merge_sort_block_merge_implIS3_N6thrust23THRUST_200600_302600_NS6detail15normal_iteratorINS8_10device_ptrIdEEEESD_jNS1_19radix_merge_compareILb0ELb0EdNS0_19identity_decomposerEEEEE10hipError_tT0_T1_T2_jT3_P12ihipStream_tbPNSt15iterator_traitsISI_E10value_typeEPNSO_ISJ_E10value_typeEPSK_NS1_7vsmem_tEENKUlT_SI_SJ_SK_E_clIPdSD_S10_SD_EESH_SX_SI_SJ_SK_EUlSX_E_NS1_11comp_targetILNS1_3genE9ELNS1_11target_archE1100ELNS1_3gpuE3ELNS1_3repE0EEENS1_48merge_mergepath_partition_config_static_selectorELNS0_4arch9wavefront6targetE1EEEvSJ_.uses_flat_scratch, 0
	.set _ZN7rocprim17ROCPRIM_400000_NS6detail17trampoline_kernelINS0_14default_configENS1_38merge_sort_block_merge_config_selectorIddEEZZNS1_27merge_sort_block_merge_implIS3_N6thrust23THRUST_200600_302600_NS6detail15normal_iteratorINS8_10device_ptrIdEEEESD_jNS1_19radix_merge_compareILb0ELb0EdNS0_19identity_decomposerEEEEE10hipError_tT0_T1_T2_jT3_P12ihipStream_tbPNSt15iterator_traitsISI_E10value_typeEPNSO_ISJ_E10value_typeEPSK_NS1_7vsmem_tEENKUlT_SI_SJ_SK_E_clIPdSD_S10_SD_EESH_SX_SI_SJ_SK_EUlSX_E_NS1_11comp_targetILNS1_3genE9ELNS1_11target_archE1100ELNS1_3gpuE3ELNS1_3repE0EEENS1_48merge_mergepath_partition_config_static_selectorELNS0_4arch9wavefront6targetE1EEEvSJ_.has_dyn_sized_stack, 0
	.set _ZN7rocprim17ROCPRIM_400000_NS6detail17trampoline_kernelINS0_14default_configENS1_38merge_sort_block_merge_config_selectorIddEEZZNS1_27merge_sort_block_merge_implIS3_N6thrust23THRUST_200600_302600_NS6detail15normal_iteratorINS8_10device_ptrIdEEEESD_jNS1_19radix_merge_compareILb0ELb0EdNS0_19identity_decomposerEEEEE10hipError_tT0_T1_T2_jT3_P12ihipStream_tbPNSt15iterator_traitsISI_E10value_typeEPNSO_ISJ_E10value_typeEPSK_NS1_7vsmem_tEENKUlT_SI_SJ_SK_E_clIPdSD_S10_SD_EESH_SX_SI_SJ_SK_EUlSX_E_NS1_11comp_targetILNS1_3genE9ELNS1_11target_archE1100ELNS1_3gpuE3ELNS1_3repE0EEENS1_48merge_mergepath_partition_config_static_selectorELNS0_4arch9wavefront6targetE1EEEvSJ_.has_recursion, 0
	.set _ZN7rocprim17ROCPRIM_400000_NS6detail17trampoline_kernelINS0_14default_configENS1_38merge_sort_block_merge_config_selectorIddEEZZNS1_27merge_sort_block_merge_implIS3_N6thrust23THRUST_200600_302600_NS6detail15normal_iteratorINS8_10device_ptrIdEEEESD_jNS1_19radix_merge_compareILb0ELb0EdNS0_19identity_decomposerEEEEE10hipError_tT0_T1_T2_jT3_P12ihipStream_tbPNSt15iterator_traitsISI_E10value_typeEPNSO_ISJ_E10value_typeEPSK_NS1_7vsmem_tEENKUlT_SI_SJ_SK_E_clIPdSD_S10_SD_EESH_SX_SI_SJ_SK_EUlSX_E_NS1_11comp_targetILNS1_3genE9ELNS1_11target_archE1100ELNS1_3gpuE3ELNS1_3repE0EEENS1_48merge_mergepath_partition_config_static_selectorELNS0_4arch9wavefront6targetE1EEEvSJ_.has_indirect_call, 0
	.section	.AMDGPU.csdata,"",@progbits
; Kernel info:
; codeLenInByte = 0
; TotalNumSgprs: 6
; NumVgprs: 0
; NumAgprs: 0
; TotalNumVgprs: 0
; ScratchSize: 0
; MemoryBound: 0
; FloatMode: 240
; IeeeMode: 1
; LDSByteSize: 0 bytes/workgroup (compile time only)
; SGPRBlocks: 0
; VGPRBlocks: 0
; NumSGPRsForWavesPerEU: 6
; NumVGPRsForWavesPerEU: 1
; AccumOffset: 4
; Occupancy: 8
; WaveLimiterHint : 0
; COMPUTE_PGM_RSRC2:SCRATCH_EN: 0
; COMPUTE_PGM_RSRC2:USER_SGPR: 2
; COMPUTE_PGM_RSRC2:TRAP_HANDLER: 0
; COMPUTE_PGM_RSRC2:TGID_X_EN: 1
; COMPUTE_PGM_RSRC2:TGID_Y_EN: 0
; COMPUTE_PGM_RSRC2:TGID_Z_EN: 0
; COMPUTE_PGM_RSRC2:TIDIG_COMP_CNT: 0
; COMPUTE_PGM_RSRC3_GFX90A:ACCUM_OFFSET: 0
; COMPUTE_PGM_RSRC3_GFX90A:TG_SPLIT: 0
	.section	.text._ZN7rocprim17ROCPRIM_400000_NS6detail17trampoline_kernelINS0_14default_configENS1_38merge_sort_block_merge_config_selectorIddEEZZNS1_27merge_sort_block_merge_implIS3_N6thrust23THRUST_200600_302600_NS6detail15normal_iteratorINS8_10device_ptrIdEEEESD_jNS1_19radix_merge_compareILb0ELb0EdNS0_19identity_decomposerEEEEE10hipError_tT0_T1_T2_jT3_P12ihipStream_tbPNSt15iterator_traitsISI_E10value_typeEPNSO_ISJ_E10value_typeEPSK_NS1_7vsmem_tEENKUlT_SI_SJ_SK_E_clIPdSD_S10_SD_EESH_SX_SI_SJ_SK_EUlSX_E_NS1_11comp_targetILNS1_3genE8ELNS1_11target_archE1030ELNS1_3gpuE2ELNS1_3repE0EEENS1_48merge_mergepath_partition_config_static_selectorELNS0_4arch9wavefront6targetE1EEEvSJ_,"axG",@progbits,_ZN7rocprim17ROCPRIM_400000_NS6detail17trampoline_kernelINS0_14default_configENS1_38merge_sort_block_merge_config_selectorIddEEZZNS1_27merge_sort_block_merge_implIS3_N6thrust23THRUST_200600_302600_NS6detail15normal_iteratorINS8_10device_ptrIdEEEESD_jNS1_19radix_merge_compareILb0ELb0EdNS0_19identity_decomposerEEEEE10hipError_tT0_T1_T2_jT3_P12ihipStream_tbPNSt15iterator_traitsISI_E10value_typeEPNSO_ISJ_E10value_typeEPSK_NS1_7vsmem_tEENKUlT_SI_SJ_SK_E_clIPdSD_S10_SD_EESH_SX_SI_SJ_SK_EUlSX_E_NS1_11comp_targetILNS1_3genE8ELNS1_11target_archE1030ELNS1_3gpuE2ELNS1_3repE0EEENS1_48merge_mergepath_partition_config_static_selectorELNS0_4arch9wavefront6targetE1EEEvSJ_,comdat
	.protected	_ZN7rocprim17ROCPRIM_400000_NS6detail17trampoline_kernelINS0_14default_configENS1_38merge_sort_block_merge_config_selectorIddEEZZNS1_27merge_sort_block_merge_implIS3_N6thrust23THRUST_200600_302600_NS6detail15normal_iteratorINS8_10device_ptrIdEEEESD_jNS1_19radix_merge_compareILb0ELb0EdNS0_19identity_decomposerEEEEE10hipError_tT0_T1_T2_jT3_P12ihipStream_tbPNSt15iterator_traitsISI_E10value_typeEPNSO_ISJ_E10value_typeEPSK_NS1_7vsmem_tEENKUlT_SI_SJ_SK_E_clIPdSD_S10_SD_EESH_SX_SI_SJ_SK_EUlSX_E_NS1_11comp_targetILNS1_3genE8ELNS1_11target_archE1030ELNS1_3gpuE2ELNS1_3repE0EEENS1_48merge_mergepath_partition_config_static_selectorELNS0_4arch9wavefront6targetE1EEEvSJ_ ; -- Begin function _ZN7rocprim17ROCPRIM_400000_NS6detail17trampoline_kernelINS0_14default_configENS1_38merge_sort_block_merge_config_selectorIddEEZZNS1_27merge_sort_block_merge_implIS3_N6thrust23THRUST_200600_302600_NS6detail15normal_iteratorINS8_10device_ptrIdEEEESD_jNS1_19radix_merge_compareILb0ELb0EdNS0_19identity_decomposerEEEEE10hipError_tT0_T1_T2_jT3_P12ihipStream_tbPNSt15iterator_traitsISI_E10value_typeEPNSO_ISJ_E10value_typeEPSK_NS1_7vsmem_tEENKUlT_SI_SJ_SK_E_clIPdSD_S10_SD_EESH_SX_SI_SJ_SK_EUlSX_E_NS1_11comp_targetILNS1_3genE8ELNS1_11target_archE1030ELNS1_3gpuE2ELNS1_3repE0EEENS1_48merge_mergepath_partition_config_static_selectorELNS0_4arch9wavefront6targetE1EEEvSJ_
	.globl	_ZN7rocprim17ROCPRIM_400000_NS6detail17trampoline_kernelINS0_14default_configENS1_38merge_sort_block_merge_config_selectorIddEEZZNS1_27merge_sort_block_merge_implIS3_N6thrust23THRUST_200600_302600_NS6detail15normal_iteratorINS8_10device_ptrIdEEEESD_jNS1_19radix_merge_compareILb0ELb0EdNS0_19identity_decomposerEEEEE10hipError_tT0_T1_T2_jT3_P12ihipStream_tbPNSt15iterator_traitsISI_E10value_typeEPNSO_ISJ_E10value_typeEPSK_NS1_7vsmem_tEENKUlT_SI_SJ_SK_E_clIPdSD_S10_SD_EESH_SX_SI_SJ_SK_EUlSX_E_NS1_11comp_targetILNS1_3genE8ELNS1_11target_archE1030ELNS1_3gpuE2ELNS1_3repE0EEENS1_48merge_mergepath_partition_config_static_selectorELNS0_4arch9wavefront6targetE1EEEvSJ_
	.p2align	8
	.type	_ZN7rocprim17ROCPRIM_400000_NS6detail17trampoline_kernelINS0_14default_configENS1_38merge_sort_block_merge_config_selectorIddEEZZNS1_27merge_sort_block_merge_implIS3_N6thrust23THRUST_200600_302600_NS6detail15normal_iteratorINS8_10device_ptrIdEEEESD_jNS1_19radix_merge_compareILb0ELb0EdNS0_19identity_decomposerEEEEE10hipError_tT0_T1_T2_jT3_P12ihipStream_tbPNSt15iterator_traitsISI_E10value_typeEPNSO_ISJ_E10value_typeEPSK_NS1_7vsmem_tEENKUlT_SI_SJ_SK_E_clIPdSD_S10_SD_EESH_SX_SI_SJ_SK_EUlSX_E_NS1_11comp_targetILNS1_3genE8ELNS1_11target_archE1030ELNS1_3gpuE2ELNS1_3repE0EEENS1_48merge_mergepath_partition_config_static_selectorELNS0_4arch9wavefront6targetE1EEEvSJ_,@function
_ZN7rocprim17ROCPRIM_400000_NS6detail17trampoline_kernelINS0_14default_configENS1_38merge_sort_block_merge_config_selectorIddEEZZNS1_27merge_sort_block_merge_implIS3_N6thrust23THRUST_200600_302600_NS6detail15normal_iteratorINS8_10device_ptrIdEEEESD_jNS1_19radix_merge_compareILb0ELb0EdNS0_19identity_decomposerEEEEE10hipError_tT0_T1_T2_jT3_P12ihipStream_tbPNSt15iterator_traitsISI_E10value_typeEPNSO_ISJ_E10value_typeEPSK_NS1_7vsmem_tEENKUlT_SI_SJ_SK_E_clIPdSD_S10_SD_EESH_SX_SI_SJ_SK_EUlSX_E_NS1_11comp_targetILNS1_3genE8ELNS1_11target_archE1030ELNS1_3gpuE2ELNS1_3repE0EEENS1_48merge_mergepath_partition_config_static_selectorELNS0_4arch9wavefront6targetE1EEEvSJ_: ; @_ZN7rocprim17ROCPRIM_400000_NS6detail17trampoline_kernelINS0_14default_configENS1_38merge_sort_block_merge_config_selectorIddEEZZNS1_27merge_sort_block_merge_implIS3_N6thrust23THRUST_200600_302600_NS6detail15normal_iteratorINS8_10device_ptrIdEEEESD_jNS1_19radix_merge_compareILb0ELb0EdNS0_19identity_decomposerEEEEE10hipError_tT0_T1_T2_jT3_P12ihipStream_tbPNSt15iterator_traitsISI_E10value_typeEPNSO_ISJ_E10value_typeEPSK_NS1_7vsmem_tEENKUlT_SI_SJ_SK_E_clIPdSD_S10_SD_EESH_SX_SI_SJ_SK_EUlSX_E_NS1_11comp_targetILNS1_3genE8ELNS1_11target_archE1030ELNS1_3gpuE2ELNS1_3repE0EEENS1_48merge_mergepath_partition_config_static_selectorELNS0_4arch9wavefront6targetE1EEEvSJ_
; %bb.0:
	.section	.rodata,"a",@progbits
	.p2align	6, 0x0
	.amdhsa_kernel _ZN7rocprim17ROCPRIM_400000_NS6detail17trampoline_kernelINS0_14default_configENS1_38merge_sort_block_merge_config_selectorIddEEZZNS1_27merge_sort_block_merge_implIS3_N6thrust23THRUST_200600_302600_NS6detail15normal_iteratorINS8_10device_ptrIdEEEESD_jNS1_19radix_merge_compareILb0ELb0EdNS0_19identity_decomposerEEEEE10hipError_tT0_T1_T2_jT3_P12ihipStream_tbPNSt15iterator_traitsISI_E10value_typeEPNSO_ISJ_E10value_typeEPSK_NS1_7vsmem_tEENKUlT_SI_SJ_SK_E_clIPdSD_S10_SD_EESH_SX_SI_SJ_SK_EUlSX_E_NS1_11comp_targetILNS1_3genE8ELNS1_11target_archE1030ELNS1_3gpuE2ELNS1_3repE0EEENS1_48merge_mergepath_partition_config_static_selectorELNS0_4arch9wavefront6targetE1EEEvSJ_
		.amdhsa_group_segment_fixed_size 0
		.amdhsa_private_segment_fixed_size 0
		.amdhsa_kernarg_size 40
		.amdhsa_user_sgpr_count 2
		.amdhsa_user_sgpr_dispatch_ptr 0
		.amdhsa_user_sgpr_queue_ptr 0
		.amdhsa_user_sgpr_kernarg_segment_ptr 1
		.amdhsa_user_sgpr_dispatch_id 0
		.amdhsa_user_sgpr_kernarg_preload_length 0
		.amdhsa_user_sgpr_kernarg_preload_offset 0
		.amdhsa_user_sgpr_private_segment_size 0
		.amdhsa_uses_dynamic_stack 0
		.amdhsa_enable_private_segment 0
		.amdhsa_system_sgpr_workgroup_id_x 1
		.amdhsa_system_sgpr_workgroup_id_y 0
		.amdhsa_system_sgpr_workgroup_id_z 0
		.amdhsa_system_sgpr_workgroup_info 0
		.amdhsa_system_vgpr_workitem_id 0
		.amdhsa_next_free_vgpr 1
		.amdhsa_next_free_sgpr 0
		.amdhsa_accum_offset 4
		.amdhsa_reserve_vcc 0
		.amdhsa_float_round_mode_32 0
		.amdhsa_float_round_mode_16_64 0
		.amdhsa_float_denorm_mode_32 3
		.amdhsa_float_denorm_mode_16_64 3
		.amdhsa_dx10_clamp 1
		.amdhsa_ieee_mode 1
		.amdhsa_fp16_overflow 0
		.amdhsa_tg_split 0
		.amdhsa_exception_fp_ieee_invalid_op 0
		.amdhsa_exception_fp_denorm_src 0
		.amdhsa_exception_fp_ieee_div_zero 0
		.amdhsa_exception_fp_ieee_overflow 0
		.amdhsa_exception_fp_ieee_underflow 0
		.amdhsa_exception_fp_ieee_inexact 0
		.amdhsa_exception_int_div_zero 0
	.end_amdhsa_kernel
	.section	.text._ZN7rocprim17ROCPRIM_400000_NS6detail17trampoline_kernelINS0_14default_configENS1_38merge_sort_block_merge_config_selectorIddEEZZNS1_27merge_sort_block_merge_implIS3_N6thrust23THRUST_200600_302600_NS6detail15normal_iteratorINS8_10device_ptrIdEEEESD_jNS1_19radix_merge_compareILb0ELb0EdNS0_19identity_decomposerEEEEE10hipError_tT0_T1_T2_jT3_P12ihipStream_tbPNSt15iterator_traitsISI_E10value_typeEPNSO_ISJ_E10value_typeEPSK_NS1_7vsmem_tEENKUlT_SI_SJ_SK_E_clIPdSD_S10_SD_EESH_SX_SI_SJ_SK_EUlSX_E_NS1_11comp_targetILNS1_3genE8ELNS1_11target_archE1030ELNS1_3gpuE2ELNS1_3repE0EEENS1_48merge_mergepath_partition_config_static_selectorELNS0_4arch9wavefront6targetE1EEEvSJ_,"axG",@progbits,_ZN7rocprim17ROCPRIM_400000_NS6detail17trampoline_kernelINS0_14default_configENS1_38merge_sort_block_merge_config_selectorIddEEZZNS1_27merge_sort_block_merge_implIS3_N6thrust23THRUST_200600_302600_NS6detail15normal_iteratorINS8_10device_ptrIdEEEESD_jNS1_19radix_merge_compareILb0ELb0EdNS0_19identity_decomposerEEEEE10hipError_tT0_T1_T2_jT3_P12ihipStream_tbPNSt15iterator_traitsISI_E10value_typeEPNSO_ISJ_E10value_typeEPSK_NS1_7vsmem_tEENKUlT_SI_SJ_SK_E_clIPdSD_S10_SD_EESH_SX_SI_SJ_SK_EUlSX_E_NS1_11comp_targetILNS1_3genE8ELNS1_11target_archE1030ELNS1_3gpuE2ELNS1_3repE0EEENS1_48merge_mergepath_partition_config_static_selectorELNS0_4arch9wavefront6targetE1EEEvSJ_,comdat
.Lfunc_end32:
	.size	_ZN7rocprim17ROCPRIM_400000_NS6detail17trampoline_kernelINS0_14default_configENS1_38merge_sort_block_merge_config_selectorIddEEZZNS1_27merge_sort_block_merge_implIS3_N6thrust23THRUST_200600_302600_NS6detail15normal_iteratorINS8_10device_ptrIdEEEESD_jNS1_19radix_merge_compareILb0ELb0EdNS0_19identity_decomposerEEEEE10hipError_tT0_T1_T2_jT3_P12ihipStream_tbPNSt15iterator_traitsISI_E10value_typeEPNSO_ISJ_E10value_typeEPSK_NS1_7vsmem_tEENKUlT_SI_SJ_SK_E_clIPdSD_S10_SD_EESH_SX_SI_SJ_SK_EUlSX_E_NS1_11comp_targetILNS1_3genE8ELNS1_11target_archE1030ELNS1_3gpuE2ELNS1_3repE0EEENS1_48merge_mergepath_partition_config_static_selectorELNS0_4arch9wavefront6targetE1EEEvSJ_, .Lfunc_end32-_ZN7rocprim17ROCPRIM_400000_NS6detail17trampoline_kernelINS0_14default_configENS1_38merge_sort_block_merge_config_selectorIddEEZZNS1_27merge_sort_block_merge_implIS3_N6thrust23THRUST_200600_302600_NS6detail15normal_iteratorINS8_10device_ptrIdEEEESD_jNS1_19radix_merge_compareILb0ELb0EdNS0_19identity_decomposerEEEEE10hipError_tT0_T1_T2_jT3_P12ihipStream_tbPNSt15iterator_traitsISI_E10value_typeEPNSO_ISJ_E10value_typeEPSK_NS1_7vsmem_tEENKUlT_SI_SJ_SK_E_clIPdSD_S10_SD_EESH_SX_SI_SJ_SK_EUlSX_E_NS1_11comp_targetILNS1_3genE8ELNS1_11target_archE1030ELNS1_3gpuE2ELNS1_3repE0EEENS1_48merge_mergepath_partition_config_static_selectorELNS0_4arch9wavefront6targetE1EEEvSJ_
                                        ; -- End function
	.set _ZN7rocprim17ROCPRIM_400000_NS6detail17trampoline_kernelINS0_14default_configENS1_38merge_sort_block_merge_config_selectorIddEEZZNS1_27merge_sort_block_merge_implIS3_N6thrust23THRUST_200600_302600_NS6detail15normal_iteratorINS8_10device_ptrIdEEEESD_jNS1_19radix_merge_compareILb0ELb0EdNS0_19identity_decomposerEEEEE10hipError_tT0_T1_T2_jT3_P12ihipStream_tbPNSt15iterator_traitsISI_E10value_typeEPNSO_ISJ_E10value_typeEPSK_NS1_7vsmem_tEENKUlT_SI_SJ_SK_E_clIPdSD_S10_SD_EESH_SX_SI_SJ_SK_EUlSX_E_NS1_11comp_targetILNS1_3genE8ELNS1_11target_archE1030ELNS1_3gpuE2ELNS1_3repE0EEENS1_48merge_mergepath_partition_config_static_selectorELNS0_4arch9wavefront6targetE1EEEvSJ_.num_vgpr, 0
	.set _ZN7rocprim17ROCPRIM_400000_NS6detail17trampoline_kernelINS0_14default_configENS1_38merge_sort_block_merge_config_selectorIddEEZZNS1_27merge_sort_block_merge_implIS3_N6thrust23THRUST_200600_302600_NS6detail15normal_iteratorINS8_10device_ptrIdEEEESD_jNS1_19radix_merge_compareILb0ELb0EdNS0_19identity_decomposerEEEEE10hipError_tT0_T1_T2_jT3_P12ihipStream_tbPNSt15iterator_traitsISI_E10value_typeEPNSO_ISJ_E10value_typeEPSK_NS1_7vsmem_tEENKUlT_SI_SJ_SK_E_clIPdSD_S10_SD_EESH_SX_SI_SJ_SK_EUlSX_E_NS1_11comp_targetILNS1_3genE8ELNS1_11target_archE1030ELNS1_3gpuE2ELNS1_3repE0EEENS1_48merge_mergepath_partition_config_static_selectorELNS0_4arch9wavefront6targetE1EEEvSJ_.num_agpr, 0
	.set _ZN7rocprim17ROCPRIM_400000_NS6detail17trampoline_kernelINS0_14default_configENS1_38merge_sort_block_merge_config_selectorIddEEZZNS1_27merge_sort_block_merge_implIS3_N6thrust23THRUST_200600_302600_NS6detail15normal_iteratorINS8_10device_ptrIdEEEESD_jNS1_19radix_merge_compareILb0ELb0EdNS0_19identity_decomposerEEEEE10hipError_tT0_T1_T2_jT3_P12ihipStream_tbPNSt15iterator_traitsISI_E10value_typeEPNSO_ISJ_E10value_typeEPSK_NS1_7vsmem_tEENKUlT_SI_SJ_SK_E_clIPdSD_S10_SD_EESH_SX_SI_SJ_SK_EUlSX_E_NS1_11comp_targetILNS1_3genE8ELNS1_11target_archE1030ELNS1_3gpuE2ELNS1_3repE0EEENS1_48merge_mergepath_partition_config_static_selectorELNS0_4arch9wavefront6targetE1EEEvSJ_.numbered_sgpr, 0
	.set _ZN7rocprim17ROCPRIM_400000_NS6detail17trampoline_kernelINS0_14default_configENS1_38merge_sort_block_merge_config_selectorIddEEZZNS1_27merge_sort_block_merge_implIS3_N6thrust23THRUST_200600_302600_NS6detail15normal_iteratorINS8_10device_ptrIdEEEESD_jNS1_19radix_merge_compareILb0ELb0EdNS0_19identity_decomposerEEEEE10hipError_tT0_T1_T2_jT3_P12ihipStream_tbPNSt15iterator_traitsISI_E10value_typeEPNSO_ISJ_E10value_typeEPSK_NS1_7vsmem_tEENKUlT_SI_SJ_SK_E_clIPdSD_S10_SD_EESH_SX_SI_SJ_SK_EUlSX_E_NS1_11comp_targetILNS1_3genE8ELNS1_11target_archE1030ELNS1_3gpuE2ELNS1_3repE0EEENS1_48merge_mergepath_partition_config_static_selectorELNS0_4arch9wavefront6targetE1EEEvSJ_.num_named_barrier, 0
	.set _ZN7rocprim17ROCPRIM_400000_NS6detail17trampoline_kernelINS0_14default_configENS1_38merge_sort_block_merge_config_selectorIddEEZZNS1_27merge_sort_block_merge_implIS3_N6thrust23THRUST_200600_302600_NS6detail15normal_iteratorINS8_10device_ptrIdEEEESD_jNS1_19radix_merge_compareILb0ELb0EdNS0_19identity_decomposerEEEEE10hipError_tT0_T1_T2_jT3_P12ihipStream_tbPNSt15iterator_traitsISI_E10value_typeEPNSO_ISJ_E10value_typeEPSK_NS1_7vsmem_tEENKUlT_SI_SJ_SK_E_clIPdSD_S10_SD_EESH_SX_SI_SJ_SK_EUlSX_E_NS1_11comp_targetILNS1_3genE8ELNS1_11target_archE1030ELNS1_3gpuE2ELNS1_3repE0EEENS1_48merge_mergepath_partition_config_static_selectorELNS0_4arch9wavefront6targetE1EEEvSJ_.private_seg_size, 0
	.set _ZN7rocprim17ROCPRIM_400000_NS6detail17trampoline_kernelINS0_14default_configENS1_38merge_sort_block_merge_config_selectorIddEEZZNS1_27merge_sort_block_merge_implIS3_N6thrust23THRUST_200600_302600_NS6detail15normal_iteratorINS8_10device_ptrIdEEEESD_jNS1_19radix_merge_compareILb0ELb0EdNS0_19identity_decomposerEEEEE10hipError_tT0_T1_T2_jT3_P12ihipStream_tbPNSt15iterator_traitsISI_E10value_typeEPNSO_ISJ_E10value_typeEPSK_NS1_7vsmem_tEENKUlT_SI_SJ_SK_E_clIPdSD_S10_SD_EESH_SX_SI_SJ_SK_EUlSX_E_NS1_11comp_targetILNS1_3genE8ELNS1_11target_archE1030ELNS1_3gpuE2ELNS1_3repE0EEENS1_48merge_mergepath_partition_config_static_selectorELNS0_4arch9wavefront6targetE1EEEvSJ_.uses_vcc, 0
	.set _ZN7rocprim17ROCPRIM_400000_NS6detail17trampoline_kernelINS0_14default_configENS1_38merge_sort_block_merge_config_selectorIddEEZZNS1_27merge_sort_block_merge_implIS3_N6thrust23THRUST_200600_302600_NS6detail15normal_iteratorINS8_10device_ptrIdEEEESD_jNS1_19radix_merge_compareILb0ELb0EdNS0_19identity_decomposerEEEEE10hipError_tT0_T1_T2_jT3_P12ihipStream_tbPNSt15iterator_traitsISI_E10value_typeEPNSO_ISJ_E10value_typeEPSK_NS1_7vsmem_tEENKUlT_SI_SJ_SK_E_clIPdSD_S10_SD_EESH_SX_SI_SJ_SK_EUlSX_E_NS1_11comp_targetILNS1_3genE8ELNS1_11target_archE1030ELNS1_3gpuE2ELNS1_3repE0EEENS1_48merge_mergepath_partition_config_static_selectorELNS0_4arch9wavefront6targetE1EEEvSJ_.uses_flat_scratch, 0
	.set _ZN7rocprim17ROCPRIM_400000_NS6detail17trampoline_kernelINS0_14default_configENS1_38merge_sort_block_merge_config_selectorIddEEZZNS1_27merge_sort_block_merge_implIS3_N6thrust23THRUST_200600_302600_NS6detail15normal_iteratorINS8_10device_ptrIdEEEESD_jNS1_19radix_merge_compareILb0ELb0EdNS0_19identity_decomposerEEEEE10hipError_tT0_T1_T2_jT3_P12ihipStream_tbPNSt15iterator_traitsISI_E10value_typeEPNSO_ISJ_E10value_typeEPSK_NS1_7vsmem_tEENKUlT_SI_SJ_SK_E_clIPdSD_S10_SD_EESH_SX_SI_SJ_SK_EUlSX_E_NS1_11comp_targetILNS1_3genE8ELNS1_11target_archE1030ELNS1_3gpuE2ELNS1_3repE0EEENS1_48merge_mergepath_partition_config_static_selectorELNS0_4arch9wavefront6targetE1EEEvSJ_.has_dyn_sized_stack, 0
	.set _ZN7rocprim17ROCPRIM_400000_NS6detail17trampoline_kernelINS0_14default_configENS1_38merge_sort_block_merge_config_selectorIddEEZZNS1_27merge_sort_block_merge_implIS3_N6thrust23THRUST_200600_302600_NS6detail15normal_iteratorINS8_10device_ptrIdEEEESD_jNS1_19radix_merge_compareILb0ELb0EdNS0_19identity_decomposerEEEEE10hipError_tT0_T1_T2_jT3_P12ihipStream_tbPNSt15iterator_traitsISI_E10value_typeEPNSO_ISJ_E10value_typeEPSK_NS1_7vsmem_tEENKUlT_SI_SJ_SK_E_clIPdSD_S10_SD_EESH_SX_SI_SJ_SK_EUlSX_E_NS1_11comp_targetILNS1_3genE8ELNS1_11target_archE1030ELNS1_3gpuE2ELNS1_3repE0EEENS1_48merge_mergepath_partition_config_static_selectorELNS0_4arch9wavefront6targetE1EEEvSJ_.has_recursion, 0
	.set _ZN7rocprim17ROCPRIM_400000_NS6detail17trampoline_kernelINS0_14default_configENS1_38merge_sort_block_merge_config_selectorIddEEZZNS1_27merge_sort_block_merge_implIS3_N6thrust23THRUST_200600_302600_NS6detail15normal_iteratorINS8_10device_ptrIdEEEESD_jNS1_19radix_merge_compareILb0ELb0EdNS0_19identity_decomposerEEEEE10hipError_tT0_T1_T2_jT3_P12ihipStream_tbPNSt15iterator_traitsISI_E10value_typeEPNSO_ISJ_E10value_typeEPSK_NS1_7vsmem_tEENKUlT_SI_SJ_SK_E_clIPdSD_S10_SD_EESH_SX_SI_SJ_SK_EUlSX_E_NS1_11comp_targetILNS1_3genE8ELNS1_11target_archE1030ELNS1_3gpuE2ELNS1_3repE0EEENS1_48merge_mergepath_partition_config_static_selectorELNS0_4arch9wavefront6targetE1EEEvSJ_.has_indirect_call, 0
	.section	.AMDGPU.csdata,"",@progbits
; Kernel info:
; codeLenInByte = 0
; TotalNumSgprs: 6
; NumVgprs: 0
; NumAgprs: 0
; TotalNumVgprs: 0
; ScratchSize: 0
; MemoryBound: 0
; FloatMode: 240
; IeeeMode: 1
; LDSByteSize: 0 bytes/workgroup (compile time only)
; SGPRBlocks: 0
; VGPRBlocks: 0
; NumSGPRsForWavesPerEU: 6
; NumVGPRsForWavesPerEU: 1
; AccumOffset: 4
; Occupancy: 8
; WaveLimiterHint : 0
; COMPUTE_PGM_RSRC2:SCRATCH_EN: 0
; COMPUTE_PGM_RSRC2:USER_SGPR: 2
; COMPUTE_PGM_RSRC2:TRAP_HANDLER: 0
; COMPUTE_PGM_RSRC2:TGID_X_EN: 1
; COMPUTE_PGM_RSRC2:TGID_Y_EN: 0
; COMPUTE_PGM_RSRC2:TGID_Z_EN: 0
; COMPUTE_PGM_RSRC2:TIDIG_COMP_CNT: 0
; COMPUTE_PGM_RSRC3_GFX90A:ACCUM_OFFSET: 0
; COMPUTE_PGM_RSRC3_GFX90A:TG_SPLIT: 0
	.section	.text._ZN7rocprim17ROCPRIM_400000_NS6detail17trampoline_kernelINS0_14default_configENS1_38merge_sort_block_merge_config_selectorIddEEZZNS1_27merge_sort_block_merge_implIS3_N6thrust23THRUST_200600_302600_NS6detail15normal_iteratorINS8_10device_ptrIdEEEESD_jNS1_19radix_merge_compareILb0ELb0EdNS0_19identity_decomposerEEEEE10hipError_tT0_T1_T2_jT3_P12ihipStream_tbPNSt15iterator_traitsISI_E10value_typeEPNSO_ISJ_E10value_typeEPSK_NS1_7vsmem_tEENKUlT_SI_SJ_SK_E_clIPdSD_S10_SD_EESH_SX_SI_SJ_SK_EUlSX_E0_NS1_11comp_targetILNS1_3genE0ELNS1_11target_archE4294967295ELNS1_3gpuE0ELNS1_3repE0EEENS1_38merge_mergepath_config_static_selectorELNS0_4arch9wavefront6targetE1EEEvSJ_,"axG",@progbits,_ZN7rocprim17ROCPRIM_400000_NS6detail17trampoline_kernelINS0_14default_configENS1_38merge_sort_block_merge_config_selectorIddEEZZNS1_27merge_sort_block_merge_implIS3_N6thrust23THRUST_200600_302600_NS6detail15normal_iteratorINS8_10device_ptrIdEEEESD_jNS1_19radix_merge_compareILb0ELb0EdNS0_19identity_decomposerEEEEE10hipError_tT0_T1_T2_jT3_P12ihipStream_tbPNSt15iterator_traitsISI_E10value_typeEPNSO_ISJ_E10value_typeEPSK_NS1_7vsmem_tEENKUlT_SI_SJ_SK_E_clIPdSD_S10_SD_EESH_SX_SI_SJ_SK_EUlSX_E0_NS1_11comp_targetILNS1_3genE0ELNS1_11target_archE4294967295ELNS1_3gpuE0ELNS1_3repE0EEENS1_38merge_mergepath_config_static_selectorELNS0_4arch9wavefront6targetE1EEEvSJ_,comdat
	.protected	_ZN7rocprim17ROCPRIM_400000_NS6detail17trampoline_kernelINS0_14default_configENS1_38merge_sort_block_merge_config_selectorIddEEZZNS1_27merge_sort_block_merge_implIS3_N6thrust23THRUST_200600_302600_NS6detail15normal_iteratorINS8_10device_ptrIdEEEESD_jNS1_19radix_merge_compareILb0ELb0EdNS0_19identity_decomposerEEEEE10hipError_tT0_T1_T2_jT3_P12ihipStream_tbPNSt15iterator_traitsISI_E10value_typeEPNSO_ISJ_E10value_typeEPSK_NS1_7vsmem_tEENKUlT_SI_SJ_SK_E_clIPdSD_S10_SD_EESH_SX_SI_SJ_SK_EUlSX_E0_NS1_11comp_targetILNS1_3genE0ELNS1_11target_archE4294967295ELNS1_3gpuE0ELNS1_3repE0EEENS1_38merge_mergepath_config_static_selectorELNS0_4arch9wavefront6targetE1EEEvSJ_ ; -- Begin function _ZN7rocprim17ROCPRIM_400000_NS6detail17trampoline_kernelINS0_14default_configENS1_38merge_sort_block_merge_config_selectorIddEEZZNS1_27merge_sort_block_merge_implIS3_N6thrust23THRUST_200600_302600_NS6detail15normal_iteratorINS8_10device_ptrIdEEEESD_jNS1_19radix_merge_compareILb0ELb0EdNS0_19identity_decomposerEEEEE10hipError_tT0_T1_T2_jT3_P12ihipStream_tbPNSt15iterator_traitsISI_E10value_typeEPNSO_ISJ_E10value_typeEPSK_NS1_7vsmem_tEENKUlT_SI_SJ_SK_E_clIPdSD_S10_SD_EESH_SX_SI_SJ_SK_EUlSX_E0_NS1_11comp_targetILNS1_3genE0ELNS1_11target_archE4294967295ELNS1_3gpuE0ELNS1_3repE0EEENS1_38merge_mergepath_config_static_selectorELNS0_4arch9wavefront6targetE1EEEvSJ_
	.globl	_ZN7rocprim17ROCPRIM_400000_NS6detail17trampoline_kernelINS0_14default_configENS1_38merge_sort_block_merge_config_selectorIddEEZZNS1_27merge_sort_block_merge_implIS3_N6thrust23THRUST_200600_302600_NS6detail15normal_iteratorINS8_10device_ptrIdEEEESD_jNS1_19radix_merge_compareILb0ELb0EdNS0_19identity_decomposerEEEEE10hipError_tT0_T1_T2_jT3_P12ihipStream_tbPNSt15iterator_traitsISI_E10value_typeEPNSO_ISJ_E10value_typeEPSK_NS1_7vsmem_tEENKUlT_SI_SJ_SK_E_clIPdSD_S10_SD_EESH_SX_SI_SJ_SK_EUlSX_E0_NS1_11comp_targetILNS1_3genE0ELNS1_11target_archE4294967295ELNS1_3gpuE0ELNS1_3repE0EEENS1_38merge_mergepath_config_static_selectorELNS0_4arch9wavefront6targetE1EEEvSJ_
	.p2align	8
	.type	_ZN7rocprim17ROCPRIM_400000_NS6detail17trampoline_kernelINS0_14default_configENS1_38merge_sort_block_merge_config_selectorIddEEZZNS1_27merge_sort_block_merge_implIS3_N6thrust23THRUST_200600_302600_NS6detail15normal_iteratorINS8_10device_ptrIdEEEESD_jNS1_19radix_merge_compareILb0ELb0EdNS0_19identity_decomposerEEEEE10hipError_tT0_T1_T2_jT3_P12ihipStream_tbPNSt15iterator_traitsISI_E10value_typeEPNSO_ISJ_E10value_typeEPSK_NS1_7vsmem_tEENKUlT_SI_SJ_SK_E_clIPdSD_S10_SD_EESH_SX_SI_SJ_SK_EUlSX_E0_NS1_11comp_targetILNS1_3genE0ELNS1_11target_archE4294967295ELNS1_3gpuE0ELNS1_3repE0EEENS1_38merge_mergepath_config_static_selectorELNS0_4arch9wavefront6targetE1EEEvSJ_,@function
_ZN7rocprim17ROCPRIM_400000_NS6detail17trampoline_kernelINS0_14default_configENS1_38merge_sort_block_merge_config_selectorIddEEZZNS1_27merge_sort_block_merge_implIS3_N6thrust23THRUST_200600_302600_NS6detail15normal_iteratorINS8_10device_ptrIdEEEESD_jNS1_19radix_merge_compareILb0ELb0EdNS0_19identity_decomposerEEEEE10hipError_tT0_T1_T2_jT3_P12ihipStream_tbPNSt15iterator_traitsISI_E10value_typeEPNSO_ISJ_E10value_typeEPSK_NS1_7vsmem_tEENKUlT_SI_SJ_SK_E_clIPdSD_S10_SD_EESH_SX_SI_SJ_SK_EUlSX_E0_NS1_11comp_targetILNS1_3genE0ELNS1_11target_archE4294967295ELNS1_3gpuE0ELNS1_3repE0EEENS1_38merge_mergepath_config_static_selectorELNS0_4arch9wavefront6targetE1EEEvSJ_: ; @_ZN7rocprim17ROCPRIM_400000_NS6detail17trampoline_kernelINS0_14default_configENS1_38merge_sort_block_merge_config_selectorIddEEZZNS1_27merge_sort_block_merge_implIS3_N6thrust23THRUST_200600_302600_NS6detail15normal_iteratorINS8_10device_ptrIdEEEESD_jNS1_19radix_merge_compareILb0ELb0EdNS0_19identity_decomposerEEEEE10hipError_tT0_T1_T2_jT3_P12ihipStream_tbPNSt15iterator_traitsISI_E10value_typeEPNSO_ISJ_E10value_typeEPSK_NS1_7vsmem_tEENKUlT_SI_SJ_SK_E_clIPdSD_S10_SD_EESH_SX_SI_SJ_SK_EUlSX_E0_NS1_11comp_targetILNS1_3genE0ELNS1_11target_archE4294967295ELNS1_3gpuE0ELNS1_3repE0EEENS1_38merge_mergepath_config_static_selectorELNS0_4arch9wavefront6targetE1EEEvSJ_
; %bb.0:
	s_load_dwordx2 s[6:7], s[0:1], 0x40
	s_load_dword s5, s[0:1], 0x30
	s_waitcnt lgkmcnt(0)
	s_mul_i32 s4, s7, s4
	s_add_i32 s3, s4, s3
	s_mul_i32 s3, s3, s6
	s_add_i32 s18, s3, s2
	s_cmp_ge_u32 s18, s5
	s_cbranch_scc1 .LBB33_26
; %bb.1:
	s_load_dwordx2 s[12:13], s[0:1], 0x28
	s_load_dwordx8 s[4:11], s[0:1], 0x8
	s_load_dwordx2 s[2:3], s[0:1], 0x38
	s_mov_b32 s19, 0
	v_mov_b32_e32 v3, 0
	s_waitcnt lgkmcnt(0)
	s_lshr_b32 s0, s12, 10
	s_cmp_lg_u32 s18, s0
	s_cselect_b64 s[14:15], -1, 0
	s_lshl_b64 s[0:1], s[18:19], 2
	s_add_u32 s2, s2, s0
	s_addc_u32 s3, s3, s1
	s_load_dwordx2 s[0:1], s[2:3], 0x0
	s_lshr_b32 s2, s13, 9
	s_and_b32 s2, s2, 0x7ffffe
	s_sub_i32 s3, 0, s2
	s_and_b32 s16, s18, s3
	s_lshl_b32 s17, s16, 10
	s_lshl_b32 s2, s18, 10
	;; [unrolled: 1-line block ×3, first 2 shown]
	s_sub_i32 s20, s2, s17
	s_add_i32 s21, s16, s13
	s_add_i32 s20, s21, s20
	s_waitcnt lgkmcnt(0)
	s_sub_i32 s16, s20, s0
	s_sub_i32 s20, s20, s1
	;; [unrolled: 1-line block ×3, first 2 shown]
	s_min_u32 s16, s12, s16
	s_addk_i32 s20, 0x400
	s_or_b32 s3, s18, s3
	s_min_u32 s18, s12, s17
	s_add_i32 s17, s17, s13
	s_cmp_eq_u32 s3, -1
	s_cselect_b32 s3, s17, s20
	s_cselect_b32 s1, s18, s1
	s_min_u32 s3, s3, s12
	s_sub_i32 s13, s1, s0
	s_sub_i32 s22, s3, s16
	s_add_i32 s3, s22, s13
	v_cmp_gt_u32_e32 vcc, s3, v0
	s_mov_b32 s1, s19
	s_mov_b32 s17, s19
	s_or_b64 s[18:19], s[14:15], vcc
                                        ; implicit-def: $vgpr4_vgpr5
	s_and_saveexec_b64 s[20:21], s[18:19]
	s_xor_b64 s[20:21], exec, s[20:21]
	s_cbranch_execz .LBB33_3
; %bb.2:
	s_lshl_b64 s[24:25], s[0:1], 3
	s_add_u32 s24, s4, s24
	s_addc_u32 s25, s5, s25
	v_lshlrev_b32_e32 v2, 3, v0
	v_lshl_add_u64 v[4:5], s[24:25], 0, v[2:3]
	s_lshl_b64 s[24:25], s[16:17], 3
	s_add_u32 s4, s4, s24
	v_subrev_co_u32_e32 v2, vcc, s13, v0
	s_addc_u32 s5, s5, s25
	v_lshl_add_u64 v[2:3], v[2:3], 3, s[4:5]
	v_cndmask_b32_e32 v3, v3, v5, vcc
	v_cndmask_b32_e32 v2, v2, v4, vcc
	global_load_dwordx2 v[4:5], v[2:3], off
.LBB33_3:
	s_andn2_saveexec_b64 s[4:5], s[20:21]
; %bb.4:
                                        ; implicit-def: $vgpr4_vgpr5
; %bb.5:
	s_or_b64 exec, exec, s[4:5]
	v_lshlrev_b32_e32 v2, 3, v0
	s_waitcnt vmcnt(0)
	ds_write_b64 v2, v[4:5]
                                        ; implicit-def: $vgpr6_vgpr7
	s_and_saveexec_b64 s[4:5], s[18:19]
	s_cbranch_execz .LBB33_7
; %bb.6:
	s_lshl_b64 s[0:1], s[0:1], 3
	s_add_u32 s0, s8, s0
	s_addc_u32 s1, s9, s1
	v_mov_b32_e32 v3, 0
	v_lshl_add_u64 v[6:7], s[0:1], 0, v[2:3]
	s_lshl_b64 s[0:1], s[16:17], 3
	s_add_u32 s0, s8, s0
	v_subrev_co_u32_e32 v8, vcc, s13, v0
	s_addc_u32 s1, s9, s1
	v_mov_b32_e32 v9, v3
	v_lshl_add_u64 v[8:9], v[8:9], 3, s[0:1]
	v_cndmask_b32_e32 v7, v9, v7, vcc
	v_cndmask_b32_e32 v6, v8, v6, vcc
	global_load_dwordx2 v[6:7], v[6:7], off
.LBB33_7:
	s_or_b64 exec, exec, s[4:5]
	v_min_u32_e32 v3, s3, v0
	v_sub_u32_e64 v1, v3, s22 clamp
	v_min_u32_e32 v8, s13, v3
	v_cmp_lt_u32_e32 vcc, v1, v8
	s_waitcnt lgkmcnt(0)
	s_barrier
	s_and_saveexec_b64 s[0:1], vcc
	s_cbranch_execz .LBB33_11
; %bb.8:
	v_lshlrev_b32_e32 v9, 3, v3
	v_lshl_add_u32 v9, s13, 3, v9
	s_mov_b64 s[4:5], 0
.LBB33_9:                               ; =>This Inner Loop Header: Depth=1
	v_add_u32_e32 v10, v8, v1
	v_lshrrev_b32_e32 v14, 1, v10
	v_not_b32_e32 v10, v14
	v_lshlrev_b32_e32 v11, 3, v14
	v_lshl_add_u32 v12, v10, 3, v9
	ds_read_b64 v[10:11], v11
	ds_read_b64 v[12:13], v12
	v_add_u32_e32 v15, 1, v14
	s_waitcnt lgkmcnt(1)
	v_add_f64 v[10:11], v[10:11], 0
	s_waitcnt lgkmcnt(0)
	v_add_f64 v[12:13], v[12:13], 0
	v_ashrrev_i32_e32 v16, 31, v11
	v_or_b32_e32 v17, 0x80000000, v16
	v_xor_b32_e32 v10, v16, v10
	v_ashrrev_i32_e32 v16, 31, v13
	v_xor_b32_e32 v11, v17, v11
	v_or_b32_e32 v17, 0x80000000, v16
	v_xor_b32_e32 v12, v16, v12
	v_xor_b32_e32 v13, v17, v13
	v_cmp_gt_u64_e32 vcc, v[10:11], v[12:13]
	s_nop 1
	v_cndmask_b32_e32 v8, v8, v14, vcc
	v_cndmask_b32_e32 v1, v15, v1, vcc
	v_cmp_ge_u32_e32 vcc, v1, v8
	s_or_b64 s[4:5], vcc, s[4:5]
	s_andn2_b64 exec, exec, s[4:5]
	s_cbranch_execnz .LBB33_9
; %bb.10:
	s_or_b64 exec, exec, s[4:5]
.LBB33_11:
	s_or_b64 exec, exec, s[0:1]
	v_sub_u32_e32 v3, v3, v1
	v_add_u32_e32 v3, s13, v3
	v_cmp_ge_u32_e32 vcc, s13, v1
	v_cmp_ge_u32_e64 s[0:1], s3, v3
	s_or_b64 s[0:1], vcc, s[0:1]
	v_mov_b32_e32 v10, 0
	s_and_saveexec_b64 s[4:5], s[0:1]
	s_cbranch_execz .LBB33_19
; %bb.12:
	v_cmp_le_u32_e32 vcc, s13, v1
	v_cmp_gt_u32_e64 s[0:1], s13, v1
                                        ; implicit-def: $vgpr4_vgpr5
	s_and_saveexec_b64 s[8:9], s[0:1]
; %bb.13:
	v_lshlrev_b32_e32 v4, 3, v1
	ds_read_b64 v[4:5], v4
; %bb.14:
	s_or_b64 exec, exec, s[8:9]
	v_cmp_le_u32_e64 s[8:9], s3, v3
	v_cmp_gt_u32_e64 s[0:1], s3, v3
                                        ; implicit-def: $vgpr8_vgpr9
	s_and_saveexec_b64 s[16:17], s[0:1]
; %bb.15:
	v_lshlrev_b32_e32 v8, 3, v3
	ds_read_b64 v[8:9], v8
; %bb.16:
	s_or_b64 exec, exec, s[16:17]
	s_nor_b64 s[16:17], vcc, s[8:9]
	s_and_saveexec_b64 s[0:1], s[16:17]
	s_cbranch_execz .LBB33_18
; %bb.17:
	s_waitcnt lgkmcnt(0)
	v_add_f64 v[10:11], v[4:5], 0
	v_add_f64 v[12:13], v[8:9], 0
	v_ashrrev_i32_e32 v14, 31, v13
	v_ashrrev_i32_e32 v15, 31, v11
	v_or_b32_e32 v16, 0x80000000, v15
	v_or_b32_e32 v17, 0x80000000, v14
	v_xor_b32_e32 v13, v17, v13
	v_xor_b32_e32 v12, v14, v12
	;; [unrolled: 1-line block ×4, first 2 shown]
	v_cmp_le_u64_e32 vcc, v[10:11], v[12:13]
	s_andn2_b64 s[8:9], s[8:9], exec
	s_and_b64 s[16:17], vcc, exec
	s_or_b64 s[8:9], s[8:9], s[16:17]
.LBB33_18:
	s_or_b64 exec, exec, s[0:1]
	v_cndmask_b32_e64 v10, v3, v1, s[8:9]
	s_waitcnt lgkmcnt(0)
	v_cndmask_b32_e64 v5, v9, v5, s[8:9]
	v_cndmask_b32_e64 v4, v8, v4, s[8:9]
.LBB33_19:
	s_or_b64 exec, exec, s[4:5]
	v_lshlrev_b32_e32 v1, 3, v10
	s_barrier
	s_waitcnt vmcnt(0)
	ds_write_b64 v2, v[6:7]
	s_waitcnt lgkmcnt(0)
	s_barrier
	ds_read_b64 v[6:7], v1
	s_mov_b32 s3, 0
	s_mov_b64 s[0:1], -1
	s_and_b64 vcc, exec, s[14:15]
	s_waitcnt lgkmcnt(0)
	s_barrier
	s_barrier
	ds_write_b64 v2, v[4:5]
	s_waitcnt lgkmcnt(0)
	s_cbranch_vccz .LBB33_21
; %bb.20:
	s_barrier
	ds_read_b64 v[4:5], v2
	s_lshl_b64 s[0:1], s[2:3], 3
	s_add_u32 s4, s6, s0
	s_addc_u32 s5, s7, s1
	s_add_u32 s0, s10, s0
	s_waitcnt lgkmcnt(0)
	global_store_dwordx2 v2, v[4:5], s[4:5]
	s_barrier
	ds_write_b64 v2, v[6:7]
	s_waitcnt lgkmcnt(0)
	s_barrier
	ds_read_b64 v[4:5], v2
	s_addc_u32 s1, s11, s1
	s_waitcnt lgkmcnt(0)
	global_store_dwordx2 v2, v[4:5], s[0:1]
	s_mov_b64 s[0:1], 0
.LBB33_21:
	s_andn2_b64 vcc, exec, s[0:1]
	s_cbranch_vccnz .LBB33_26
; %bb.22:
	s_sub_i32 s0, s12, s2
	v_cmp_gt_u32_e32 vcc, s0, v0
	s_barrier
	s_and_saveexec_b64 s[0:1], vcc
	s_cbranch_execz .LBB33_24
; %bb.23:
	ds_read_b64 v[0:1], v2
	s_lshl_b64 s[4:5], s[2:3], 3
	s_add_u32 s4, s6, s4
	s_addc_u32 s5, s7, s5
	s_waitcnt lgkmcnt(0)
	global_store_dwordx2 v2, v[0:1], s[4:5]
.LBB33_24:
	s_or_b64 exec, exec, s[0:1]
	s_barrier
	ds_write_b64 v2, v[6:7]
	s_waitcnt lgkmcnt(0)
	s_barrier
	s_and_saveexec_b64 s[0:1], vcc
	s_cbranch_execz .LBB33_26
; %bb.25:
	ds_read_b64 v[0:1], v2
	s_lshl_b64 s[0:1], s[2:3], 3
	s_add_u32 s0, s10, s0
	s_addc_u32 s1, s11, s1
	s_waitcnt lgkmcnt(0)
	global_store_dwordx2 v2, v[0:1], s[0:1]
.LBB33_26:
	s_endpgm
	.section	.rodata,"a",@progbits
	.p2align	6, 0x0
	.amdhsa_kernel _ZN7rocprim17ROCPRIM_400000_NS6detail17trampoline_kernelINS0_14default_configENS1_38merge_sort_block_merge_config_selectorIddEEZZNS1_27merge_sort_block_merge_implIS3_N6thrust23THRUST_200600_302600_NS6detail15normal_iteratorINS8_10device_ptrIdEEEESD_jNS1_19radix_merge_compareILb0ELb0EdNS0_19identity_decomposerEEEEE10hipError_tT0_T1_T2_jT3_P12ihipStream_tbPNSt15iterator_traitsISI_E10value_typeEPNSO_ISJ_E10value_typeEPSK_NS1_7vsmem_tEENKUlT_SI_SJ_SK_E_clIPdSD_S10_SD_EESH_SX_SI_SJ_SK_EUlSX_E0_NS1_11comp_targetILNS1_3genE0ELNS1_11target_archE4294967295ELNS1_3gpuE0ELNS1_3repE0EEENS1_38merge_mergepath_config_static_selectorELNS0_4arch9wavefront6targetE1EEEvSJ_
		.amdhsa_group_segment_fixed_size 8208
		.amdhsa_private_segment_fixed_size 0
		.amdhsa_kernarg_size 320
		.amdhsa_user_sgpr_count 2
		.amdhsa_user_sgpr_dispatch_ptr 0
		.amdhsa_user_sgpr_queue_ptr 0
		.amdhsa_user_sgpr_kernarg_segment_ptr 1
		.amdhsa_user_sgpr_dispatch_id 0
		.amdhsa_user_sgpr_kernarg_preload_length 0
		.amdhsa_user_sgpr_kernarg_preload_offset 0
		.amdhsa_user_sgpr_private_segment_size 0
		.amdhsa_uses_dynamic_stack 0
		.amdhsa_enable_private_segment 0
		.amdhsa_system_sgpr_workgroup_id_x 1
		.amdhsa_system_sgpr_workgroup_id_y 1
		.amdhsa_system_sgpr_workgroup_id_z 1
		.amdhsa_system_sgpr_workgroup_info 0
		.amdhsa_system_vgpr_workitem_id 0
		.amdhsa_next_free_vgpr 18
		.amdhsa_next_free_sgpr 26
		.amdhsa_accum_offset 20
		.amdhsa_reserve_vcc 1
		.amdhsa_float_round_mode_32 0
		.amdhsa_float_round_mode_16_64 0
		.amdhsa_float_denorm_mode_32 3
		.amdhsa_float_denorm_mode_16_64 3
		.amdhsa_dx10_clamp 1
		.amdhsa_ieee_mode 1
		.amdhsa_fp16_overflow 0
		.amdhsa_tg_split 0
		.amdhsa_exception_fp_ieee_invalid_op 0
		.amdhsa_exception_fp_denorm_src 0
		.amdhsa_exception_fp_ieee_div_zero 0
		.amdhsa_exception_fp_ieee_overflow 0
		.amdhsa_exception_fp_ieee_underflow 0
		.amdhsa_exception_fp_ieee_inexact 0
		.amdhsa_exception_int_div_zero 0
	.end_amdhsa_kernel
	.section	.text._ZN7rocprim17ROCPRIM_400000_NS6detail17trampoline_kernelINS0_14default_configENS1_38merge_sort_block_merge_config_selectorIddEEZZNS1_27merge_sort_block_merge_implIS3_N6thrust23THRUST_200600_302600_NS6detail15normal_iteratorINS8_10device_ptrIdEEEESD_jNS1_19radix_merge_compareILb0ELb0EdNS0_19identity_decomposerEEEEE10hipError_tT0_T1_T2_jT3_P12ihipStream_tbPNSt15iterator_traitsISI_E10value_typeEPNSO_ISJ_E10value_typeEPSK_NS1_7vsmem_tEENKUlT_SI_SJ_SK_E_clIPdSD_S10_SD_EESH_SX_SI_SJ_SK_EUlSX_E0_NS1_11comp_targetILNS1_3genE0ELNS1_11target_archE4294967295ELNS1_3gpuE0ELNS1_3repE0EEENS1_38merge_mergepath_config_static_selectorELNS0_4arch9wavefront6targetE1EEEvSJ_,"axG",@progbits,_ZN7rocprim17ROCPRIM_400000_NS6detail17trampoline_kernelINS0_14default_configENS1_38merge_sort_block_merge_config_selectorIddEEZZNS1_27merge_sort_block_merge_implIS3_N6thrust23THRUST_200600_302600_NS6detail15normal_iteratorINS8_10device_ptrIdEEEESD_jNS1_19radix_merge_compareILb0ELb0EdNS0_19identity_decomposerEEEEE10hipError_tT0_T1_T2_jT3_P12ihipStream_tbPNSt15iterator_traitsISI_E10value_typeEPNSO_ISJ_E10value_typeEPSK_NS1_7vsmem_tEENKUlT_SI_SJ_SK_E_clIPdSD_S10_SD_EESH_SX_SI_SJ_SK_EUlSX_E0_NS1_11comp_targetILNS1_3genE0ELNS1_11target_archE4294967295ELNS1_3gpuE0ELNS1_3repE0EEENS1_38merge_mergepath_config_static_selectorELNS0_4arch9wavefront6targetE1EEEvSJ_,comdat
.Lfunc_end33:
	.size	_ZN7rocprim17ROCPRIM_400000_NS6detail17trampoline_kernelINS0_14default_configENS1_38merge_sort_block_merge_config_selectorIddEEZZNS1_27merge_sort_block_merge_implIS3_N6thrust23THRUST_200600_302600_NS6detail15normal_iteratorINS8_10device_ptrIdEEEESD_jNS1_19radix_merge_compareILb0ELb0EdNS0_19identity_decomposerEEEEE10hipError_tT0_T1_T2_jT3_P12ihipStream_tbPNSt15iterator_traitsISI_E10value_typeEPNSO_ISJ_E10value_typeEPSK_NS1_7vsmem_tEENKUlT_SI_SJ_SK_E_clIPdSD_S10_SD_EESH_SX_SI_SJ_SK_EUlSX_E0_NS1_11comp_targetILNS1_3genE0ELNS1_11target_archE4294967295ELNS1_3gpuE0ELNS1_3repE0EEENS1_38merge_mergepath_config_static_selectorELNS0_4arch9wavefront6targetE1EEEvSJ_, .Lfunc_end33-_ZN7rocprim17ROCPRIM_400000_NS6detail17trampoline_kernelINS0_14default_configENS1_38merge_sort_block_merge_config_selectorIddEEZZNS1_27merge_sort_block_merge_implIS3_N6thrust23THRUST_200600_302600_NS6detail15normal_iteratorINS8_10device_ptrIdEEEESD_jNS1_19radix_merge_compareILb0ELb0EdNS0_19identity_decomposerEEEEE10hipError_tT0_T1_T2_jT3_P12ihipStream_tbPNSt15iterator_traitsISI_E10value_typeEPNSO_ISJ_E10value_typeEPSK_NS1_7vsmem_tEENKUlT_SI_SJ_SK_E_clIPdSD_S10_SD_EESH_SX_SI_SJ_SK_EUlSX_E0_NS1_11comp_targetILNS1_3genE0ELNS1_11target_archE4294967295ELNS1_3gpuE0ELNS1_3repE0EEENS1_38merge_mergepath_config_static_selectorELNS0_4arch9wavefront6targetE1EEEvSJ_
                                        ; -- End function
	.set _ZN7rocprim17ROCPRIM_400000_NS6detail17trampoline_kernelINS0_14default_configENS1_38merge_sort_block_merge_config_selectorIddEEZZNS1_27merge_sort_block_merge_implIS3_N6thrust23THRUST_200600_302600_NS6detail15normal_iteratorINS8_10device_ptrIdEEEESD_jNS1_19radix_merge_compareILb0ELb0EdNS0_19identity_decomposerEEEEE10hipError_tT0_T1_T2_jT3_P12ihipStream_tbPNSt15iterator_traitsISI_E10value_typeEPNSO_ISJ_E10value_typeEPSK_NS1_7vsmem_tEENKUlT_SI_SJ_SK_E_clIPdSD_S10_SD_EESH_SX_SI_SJ_SK_EUlSX_E0_NS1_11comp_targetILNS1_3genE0ELNS1_11target_archE4294967295ELNS1_3gpuE0ELNS1_3repE0EEENS1_38merge_mergepath_config_static_selectorELNS0_4arch9wavefront6targetE1EEEvSJ_.num_vgpr, 18
	.set _ZN7rocprim17ROCPRIM_400000_NS6detail17trampoline_kernelINS0_14default_configENS1_38merge_sort_block_merge_config_selectorIddEEZZNS1_27merge_sort_block_merge_implIS3_N6thrust23THRUST_200600_302600_NS6detail15normal_iteratorINS8_10device_ptrIdEEEESD_jNS1_19radix_merge_compareILb0ELb0EdNS0_19identity_decomposerEEEEE10hipError_tT0_T1_T2_jT3_P12ihipStream_tbPNSt15iterator_traitsISI_E10value_typeEPNSO_ISJ_E10value_typeEPSK_NS1_7vsmem_tEENKUlT_SI_SJ_SK_E_clIPdSD_S10_SD_EESH_SX_SI_SJ_SK_EUlSX_E0_NS1_11comp_targetILNS1_3genE0ELNS1_11target_archE4294967295ELNS1_3gpuE0ELNS1_3repE0EEENS1_38merge_mergepath_config_static_selectorELNS0_4arch9wavefront6targetE1EEEvSJ_.num_agpr, 0
	.set _ZN7rocprim17ROCPRIM_400000_NS6detail17trampoline_kernelINS0_14default_configENS1_38merge_sort_block_merge_config_selectorIddEEZZNS1_27merge_sort_block_merge_implIS3_N6thrust23THRUST_200600_302600_NS6detail15normal_iteratorINS8_10device_ptrIdEEEESD_jNS1_19radix_merge_compareILb0ELb0EdNS0_19identity_decomposerEEEEE10hipError_tT0_T1_T2_jT3_P12ihipStream_tbPNSt15iterator_traitsISI_E10value_typeEPNSO_ISJ_E10value_typeEPSK_NS1_7vsmem_tEENKUlT_SI_SJ_SK_E_clIPdSD_S10_SD_EESH_SX_SI_SJ_SK_EUlSX_E0_NS1_11comp_targetILNS1_3genE0ELNS1_11target_archE4294967295ELNS1_3gpuE0ELNS1_3repE0EEENS1_38merge_mergepath_config_static_selectorELNS0_4arch9wavefront6targetE1EEEvSJ_.numbered_sgpr, 26
	.set _ZN7rocprim17ROCPRIM_400000_NS6detail17trampoline_kernelINS0_14default_configENS1_38merge_sort_block_merge_config_selectorIddEEZZNS1_27merge_sort_block_merge_implIS3_N6thrust23THRUST_200600_302600_NS6detail15normal_iteratorINS8_10device_ptrIdEEEESD_jNS1_19radix_merge_compareILb0ELb0EdNS0_19identity_decomposerEEEEE10hipError_tT0_T1_T2_jT3_P12ihipStream_tbPNSt15iterator_traitsISI_E10value_typeEPNSO_ISJ_E10value_typeEPSK_NS1_7vsmem_tEENKUlT_SI_SJ_SK_E_clIPdSD_S10_SD_EESH_SX_SI_SJ_SK_EUlSX_E0_NS1_11comp_targetILNS1_3genE0ELNS1_11target_archE4294967295ELNS1_3gpuE0ELNS1_3repE0EEENS1_38merge_mergepath_config_static_selectorELNS0_4arch9wavefront6targetE1EEEvSJ_.num_named_barrier, 0
	.set _ZN7rocprim17ROCPRIM_400000_NS6detail17trampoline_kernelINS0_14default_configENS1_38merge_sort_block_merge_config_selectorIddEEZZNS1_27merge_sort_block_merge_implIS3_N6thrust23THRUST_200600_302600_NS6detail15normal_iteratorINS8_10device_ptrIdEEEESD_jNS1_19radix_merge_compareILb0ELb0EdNS0_19identity_decomposerEEEEE10hipError_tT0_T1_T2_jT3_P12ihipStream_tbPNSt15iterator_traitsISI_E10value_typeEPNSO_ISJ_E10value_typeEPSK_NS1_7vsmem_tEENKUlT_SI_SJ_SK_E_clIPdSD_S10_SD_EESH_SX_SI_SJ_SK_EUlSX_E0_NS1_11comp_targetILNS1_3genE0ELNS1_11target_archE4294967295ELNS1_3gpuE0ELNS1_3repE0EEENS1_38merge_mergepath_config_static_selectorELNS0_4arch9wavefront6targetE1EEEvSJ_.private_seg_size, 0
	.set _ZN7rocprim17ROCPRIM_400000_NS6detail17trampoline_kernelINS0_14default_configENS1_38merge_sort_block_merge_config_selectorIddEEZZNS1_27merge_sort_block_merge_implIS3_N6thrust23THRUST_200600_302600_NS6detail15normal_iteratorINS8_10device_ptrIdEEEESD_jNS1_19radix_merge_compareILb0ELb0EdNS0_19identity_decomposerEEEEE10hipError_tT0_T1_T2_jT3_P12ihipStream_tbPNSt15iterator_traitsISI_E10value_typeEPNSO_ISJ_E10value_typeEPSK_NS1_7vsmem_tEENKUlT_SI_SJ_SK_E_clIPdSD_S10_SD_EESH_SX_SI_SJ_SK_EUlSX_E0_NS1_11comp_targetILNS1_3genE0ELNS1_11target_archE4294967295ELNS1_3gpuE0ELNS1_3repE0EEENS1_38merge_mergepath_config_static_selectorELNS0_4arch9wavefront6targetE1EEEvSJ_.uses_vcc, 1
	.set _ZN7rocprim17ROCPRIM_400000_NS6detail17trampoline_kernelINS0_14default_configENS1_38merge_sort_block_merge_config_selectorIddEEZZNS1_27merge_sort_block_merge_implIS3_N6thrust23THRUST_200600_302600_NS6detail15normal_iteratorINS8_10device_ptrIdEEEESD_jNS1_19radix_merge_compareILb0ELb0EdNS0_19identity_decomposerEEEEE10hipError_tT0_T1_T2_jT3_P12ihipStream_tbPNSt15iterator_traitsISI_E10value_typeEPNSO_ISJ_E10value_typeEPSK_NS1_7vsmem_tEENKUlT_SI_SJ_SK_E_clIPdSD_S10_SD_EESH_SX_SI_SJ_SK_EUlSX_E0_NS1_11comp_targetILNS1_3genE0ELNS1_11target_archE4294967295ELNS1_3gpuE0ELNS1_3repE0EEENS1_38merge_mergepath_config_static_selectorELNS0_4arch9wavefront6targetE1EEEvSJ_.uses_flat_scratch, 0
	.set _ZN7rocprim17ROCPRIM_400000_NS6detail17trampoline_kernelINS0_14default_configENS1_38merge_sort_block_merge_config_selectorIddEEZZNS1_27merge_sort_block_merge_implIS3_N6thrust23THRUST_200600_302600_NS6detail15normal_iteratorINS8_10device_ptrIdEEEESD_jNS1_19radix_merge_compareILb0ELb0EdNS0_19identity_decomposerEEEEE10hipError_tT0_T1_T2_jT3_P12ihipStream_tbPNSt15iterator_traitsISI_E10value_typeEPNSO_ISJ_E10value_typeEPSK_NS1_7vsmem_tEENKUlT_SI_SJ_SK_E_clIPdSD_S10_SD_EESH_SX_SI_SJ_SK_EUlSX_E0_NS1_11comp_targetILNS1_3genE0ELNS1_11target_archE4294967295ELNS1_3gpuE0ELNS1_3repE0EEENS1_38merge_mergepath_config_static_selectorELNS0_4arch9wavefront6targetE1EEEvSJ_.has_dyn_sized_stack, 0
	.set _ZN7rocprim17ROCPRIM_400000_NS6detail17trampoline_kernelINS0_14default_configENS1_38merge_sort_block_merge_config_selectorIddEEZZNS1_27merge_sort_block_merge_implIS3_N6thrust23THRUST_200600_302600_NS6detail15normal_iteratorINS8_10device_ptrIdEEEESD_jNS1_19radix_merge_compareILb0ELb0EdNS0_19identity_decomposerEEEEE10hipError_tT0_T1_T2_jT3_P12ihipStream_tbPNSt15iterator_traitsISI_E10value_typeEPNSO_ISJ_E10value_typeEPSK_NS1_7vsmem_tEENKUlT_SI_SJ_SK_E_clIPdSD_S10_SD_EESH_SX_SI_SJ_SK_EUlSX_E0_NS1_11comp_targetILNS1_3genE0ELNS1_11target_archE4294967295ELNS1_3gpuE0ELNS1_3repE0EEENS1_38merge_mergepath_config_static_selectorELNS0_4arch9wavefront6targetE1EEEvSJ_.has_recursion, 0
	.set _ZN7rocprim17ROCPRIM_400000_NS6detail17trampoline_kernelINS0_14default_configENS1_38merge_sort_block_merge_config_selectorIddEEZZNS1_27merge_sort_block_merge_implIS3_N6thrust23THRUST_200600_302600_NS6detail15normal_iteratorINS8_10device_ptrIdEEEESD_jNS1_19radix_merge_compareILb0ELb0EdNS0_19identity_decomposerEEEEE10hipError_tT0_T1_T2_jT3_P12ihipStream_tbPNSt15iterator_traitsISI_E10value_typeEPNSO_ISJ_E10value_typeEPSK_NS1_7vsmem_tEENKUlT_SI_SJ_SK_E_clIPdSD_S10_SD_EESH_SX_SI_SJ_SK_EUlSX_E0_NS1_11comp_targetILNS1_3genE0ELNS1_11target_archE4294967295ELNS1_3gpuE0ELNS1_3repE0EEENS1_38merge_mergepath_config_static_selectorELNS0_4arch9wavefront6targetE1EEEvSJ_.has_indirect_call, 0
	.section	.AMDGPU.csdata,"",@progbits
; Kernel info:
; codeLenInByte = 1136
; TotalNumSgprs: 32
; NumVgprs: 18
; NumAgprs: 0
; TotalNumVgprs: 18
; ScratchSize: 0
; MemoryBound: 0
; FloatMode: 240
; IeeeMode: 1
; LDSByteSize: 8208 bytes/workgroup (compile time only)
; SGPRBlocks: 3
; VGPRBlocks: 2
; NumSGPRsForWavesPerEU: 32
; NumVGPRsForWavesPerEU: 18
; AccumOffset: 20
; Occupancy: 8
; WaveLimiterHint : 1
; COMPUTE_PGM_RSRC2:SCRATCH_EN: 0
; COMPUTE_PGM_RSRC2:USER_SGPR: 2
; COMPUTE_PGM_RSRC2:TRAP_HANDLER: 0
; COMPUTE_PGM_RSRC2:TGID_X_EN: 1
; COMPUTE_PGM_RSRC2:TGID_Y_EN: 1
; COMPUTE_PGM_RSRC2:TGID_Z_EN: 1
; COMPUTE_PGM_RSRC2:TIDIG_COMP_CNT: 0
; COMPUTE_PGM_RSRC3_GFX90A:ACCUM_OFFSET: 4
; COMPUTE_PGM_RSRC3_GFX90A:TG_SPLIT: 0
	.section	.text._ZN7rocprim17ROCPRIM_400000_NS6detail17trampoline_kernelINS0_14default_configENS1_38merge_sort_block_merge_config_selectorIddEEZZNS1_27merge_sort_block_merge_implIS3_N6thrust23THRUST_200600_302600_NS6detail15normal_iteratorINS8_10device_ptrIdEEEESD_jNS1_19radix_merge_compareILb0ELb0EdNS0_19identity_decomposerEEEEE10hipError_tT0_T1_T2_jT3_P12ihipStream_tbPNSt15iterator_traitsISI_E10value_typeEPNSO_ISJ_E10value_typeEPSK_NS1_7vsmem_tEENKUlT_SI_SJ_SK_E_clIPdSD_S10_SD_EESH_SX_SI_SJ_SK_EUlSX_E0_NS1_11comp_targetILNS1_3genE10ELNS1_11target_archE1201ELNS1_3gpuE5ELNS1_3repE0EEENS1_38merge_mergepath_config_static_selectorELNS0_4arch9wavefront6targetE1EEEvSJ_,"axG",@progbits,_ZN7rocprim17ROCPRIM_400000_NS6detail17trampoline_kernelINS0_14default_configENS1_38merge_sort_block_merge_config_selectorIddEEZZNS1_27merge_sort_block_merge_implIS3_N6thrust23THRUST_200600_302600_NS6detail15normal_iteratorINS8_10device_ptrIdEEEESD_jNS1_19radix_merge_compareILb0ELb0EdNS0_19identity_decomposerEEEEE10hipError_tT0_T1_T2_jT3_P12ihipStream_tbPNSt15iterator_traitsISI_E10value_typeEPNSO_ISJ_E10value_typeEPSK_NS1_7vsmem_tEENKUlT_SI_SJ_SK_E_clIPdSD_S10_SD_EESH_SX_SI_SJ_SK_EUlSX_E0_NS1_11comp_targetILNS1_3genE10ELNS1_11target_archE1201ELNS1_3gpuE5ELNS1_3repE0EEENS1_38merge_mergepath_config_static_selectorELNS0_4arch9wavefront6targetE1EEEvSJ_,comdat
	.protected	_ZN7rocprim17ROCPRIM_400000_NS6detail17trampoline_kernelINS0_14default_configENS1_38merge_sort_block_merge_config_selectorIddEEZZNS1_27merge_sort_block_merge_implIS3_N6thrust23THRUST_200600_302600_NS6detail15normal_iteratorINS8_10device_ptrIdEEEESD_jNS1_19radix_merge_compareILb0ELb0EdNS0_19identity_decomposerEEEEE10hipError_tT0_T1_T2_jT3_P12ihipStream_tbPNSt15iterator_traitsISI_E10value_typeEPNSO_ISJ_E10value_typeEPSK_NS1_7vsmem_tEENKUlT_SI_SJ_SK_E_clIPdSD_S10_SD_EESH_SX_SI_SJ_SK_EUlSX_E0_NS1_11comp_targetILNS1_3genE10ELNS1_11target_archE1201ELNS1_3gpuE5ELNS1_3repE0EEENS1_38merge_mergepath_config_static_selectorELNS0_4arch9wavefront6targetE1EEEvSJ_ ; -- Begin function _ZN7rocprim17ROCPRIM_400000_NS6detail17trampoline_kernelINS0_14default_configENS1_38merge_sort_block_merge_config_selectorIddEEZZNS1_27merge_sort_block_merge_implIS3_N6thrust23THRUST_200600_302600_NS6detail15normal_iteratorINS8_10device_ptrIdEEEESD_jNS1_19radix_merge_compareILb0ELb0EdNS0_19identity_decomposerEEEEE10hipError_tT0_T1_T2_jT3_P12ihipStream_tbPNSt15iterator_traitsISI_E10value_typeEPNSO_ISJ_E10value_typeEPSK_NS1_7vsmem_tEENKUlT_SI_SJ_SK_E_clIPdSD_S10_SD_EESH_SX_SI_SJ_SK_EUlSX_E0_NS1_11comp_targetILNS1_3genE10ELNS1_11target_archE1201ELNS1_3gpuE5ELNS1_3repE0EEENS1_38merge_mergepath_config_static_selectorELNS0_4arch9wavefront6targetE1EEEvSJ_
	.globl	_ZN7rocprim17ROCPRIM_400000_NS6detail17trampoline_kernelINS0_14default_configENS1_38merge_sort_block_merge_config_selectorIddEEZZNS1_27merge_sort_block_merge_implIS3_N6thrust23THRUST_200600_302600_NS6detail15normal_iteratorINS8_10device_ptrIdEEEESD_jNS1_19radix_merge_compareILb0ELb0EdNS0_19identity_decomposerEEEEE10hipError_tT0_T1_T2_jT3_P12ihipStream_tbPNSt15iterator_traitsISI_E10value_typeEPNSO_ISJ_E10value_typeEPSK_NS1_7vsmem_tEENKUlT_SI_SJ_SK_E_clIPdSD_S10_SD_EESH_SX_SI_SJ_SK_EUlSX_E0_NS1_11comp_targetILNS1_3genE10ELNS1_11target_archE1201ELNS1_3gpuE5ELNS1_3repE0EEENS1_38merge_mergepath_config_static_selectorELNS0_4arch9wavefront6targetE1EEEvSJ_
	.p2align	8
	.type	_ZN7rocprim17ROCPRIM_400000_NS6detail17trampoline_kernelINS0_14default_configENS1_38merge_sort_block_merge_config_selectorIddEEZZNS1_27merge_sort_block_merge_implIS3_N6thrust23THRUST_200600_302600_NS6detail15normal_iteratorINS8_10device_ptrIdEEEESD_jNS1_19radix_merge_compareILb0ELb0EdNS0_19identity_decomposerEEEEE10hipError_tT0_T1_T2_jT3_P12ihipStream_tbPNSt15iterator_traitsISI_E10value_typeEPNSO_ISJ_E10value_typeEPSK_NS1_7vsmem_tEENKUlT_SI_SJ_SK_E_clIPdSD_S10_SD_EESH_SX_SI_SJ_SK_EUlSX_E0_NS1_11comp_targetILNS1_3genE10ELNS1_11target_archE1201ELNS1_3gpuE5ELNS1_3repE0EEENS1_38merge_mergepath_config_static_selectorELNS0_4arch9wavefront6targetE1EEEvSJ_,@function
_ZN7rocprim17ROCPRIM_400000_NS6detail17trampoline_kernelINS0_14default_configENS1_38merge_sort_block_merge_config_selectorIddEEZZNS1_27merge_sort_block_merge_implIS3_N6thrust23THRUST_200600_302600_NS6detail15normal_iteratorINS8_10device_ptrIdEEEESD_jNS1_19radix_merge_compareILb0ELb0EdNS0_19identity_decomposerEEEEE10hipError_tT0_T1_T2_jT3_P12ihipStream_tbPNSt15iterator_traitsISI_E10value_typeEPNSO_ISJ_E10value_typeEPSK_NS1_7vsmem_tEENKUlT_SI_SJ_SK_E_clIPdSD_S10_SD_EESH_SX_SI_SJ_SK_EUlSX_E0_NS1_11comp_targetILNS1_3genE10ELNS1_11target_archE1201ELNS1_3gpuE5ELNS1_3repE0EEENS1_38merge_mergepath_config_static_selectorELNS0_4arch9wavefront6targetE1EEEvSJ_: ; @_ZN7rocprim17ROCPRIM_400000_NS6detail17trampoline_kernelINS0_14default_configENS1_38merge_sort_block_merge_config_selectorIddEEZZNS1_27merge_sort_block_merge_implIS3_N6thrust23THRUST_200600_302600_NS6detail15normal_iteratorINS8_10device_ptrIdEEEESD_jNS1_19radix_merge_compareILb0ELb0EdNS0_19identity_decomposerEEEEE10hipError_tT0_T1_T2_jT3_P12ihipStream_tbPNSt15iterator_traitsISI_E10value_typeEPNSO_ISJ_E10value_typeEPSK_NS1_7vsmem_tEENKUlT_SI_SJ_SK_E_clIPdSD_S10_SD_EESH_SX_SI_SJ_SK_EUlSX_E0_NS1_11comp_targetILNS1_3genE10ELNS1_11target_archE1201ELNS1_3gpuE5ELNS1_3repE0EEENS1_38merge_mergepath_config_static_selectorELNS0_4arch9wavefront6targetE1EEEvSJ_
; %bb.0:
	.section	.rodata,"a",@progbits
	.p2align	6, 0x0
	.amdhsa_kernel _ZN7rocprim17ROCPRIM_400000_NS6detail17trampoline_kernelINS0_14default_configENS1_38merge_sort_block_merge_config_selectorIddEEZZNS1_27merge_sort_block_merge_implIS3_N6thrust23THRUST_200600_302600_NS6detail15normal_iteratorINS8_10device_ptrIdEEEESD_jNS1_19radix_merge_compareILb0ELb0EdNS0_19identity_decomposerEEEEE10hipError_tT0_T1_T2_jT3_P12ihipStream_tbPNSt15iterator_traitsISI_E10value_typeEPNSO_ISJ_E10value_typeEPSK_NS1_7vsmem_tEENKUlT_SI_SJ_SK_E_clIPdSD_S10_SD_EESH_SX_SI_SJ_SK_EUlSX_E0_NS1_11comp_targetILNS1_3genE10ELNS1_11target_archE1201ELNS1_3gpuE5ELNS1_3repE0EEENS1_38merge_mergepath_config_static_selectorELNS0_4arch9wavefront6targetE1EEEvSJ_
		.amdhsa_group_segment_fixed_size 0
		.amdhsa_private_segment_fixed_size 0
		.amdhsa_kernarg_size 64
		.amdhsa_user_sgpr_count 2
		.amdhsa_user_sgpr_dispatch_ptr 0
		.amdhsa_user_sgpr_queue_ptr 0
		.amdhsa_user_sgpr_kernarg_segment_ptr 1
		.amdhsa_user_sgpr_dispatch_id 0
		.amdhsa_user_sgpr_kernarg_preload_length 0
		.amdhsa_user_sgpr_kernarg_preload_offset 0
		.amdhsa_user_sgpr_private_segment_size 0
		.amdhsa_uses_dynamic_stack 0
		.amdhsa_enable_private_segment 0
		.amdhsa_system_sgpr_workgroup_id_x 1
		.amdhsa_system_sgpr_workgroup_id_y 0
		.amdhsa_system_sgpr_workgroup_id_z 0
		.amdhsa_system_sgpr_workgroup_info 0
		.amdhsa_system_vgpr_workitem_id 0
		.amdhsa_next_free_vgpr 1
		.amdhsa_next_free_sgpr 0
		.amdhsa_accum_offset 4
		.amdhsa_reserve_vcc 0
		.amdhsa_float_round_mode_32 0
		.amdhsa_float_round_mode_16_64 0
		.amdhsa_float_denorm_mode_32 3
		.amdhsa_float_denorm_mode_16_64 3
		.amdhsa_dx10_clamp 1
		.amdhsa_ieee_mode 1
		.amdhsa_fp16_overflow 0
		.amdhsa_tg_split 0
		.amdhsa_exception_fp_ieee_invalid_op 0
		.amdhsa_exception_fp_denorm_src 0
		.amdhsa_exception_fp_ieee_div_zero 0
		.amdhsa_exception_fp_ieee_overflow 0
		.amdhsa_exception_fp_ieee_underflow 0
		.amdhsa_exception_fp_ieee_inexact 0
		.amdhsa_exception_int_div_zero 0
	.end_amdhsa_kernel
	.section	.text._ZN7rocprim17ROCPRIM_400000_NS6detail17trampoline_kernelINS0_14default_configENS1_38merge_sort_block_merge_config_selectorIddEEZZNS1_27merge_sort_block_merge_implIS3_N6thrust23THRUST_200600_302600_NS6detail15normal_iteratorINS8_10device_ptrIdEEEESD_jNS1_19radix_merge_compareILb0ELb0EdNS0_19identity_decomposerEEEEE10hipError_tT0_T1_T2_jT3_P12ihipStream_tbPNSt15iterator_traitsISI_E10value_typeEPNSO_ISJ_E10value_typeEPSK_NS1_7vsmem_tEENKUlT_SI_SJ_SK_E_clIPdSD_S10_SD_EESH_SX_SI_SJ_SK_EUlSX_E0_NS1_11comp_targetILNS1_3genE10ELNS1_11target_archE1201ELNS1_3gpuE5ELNS1_3repE0EEENS1_38merge_mergepath_config_static_selectorELNS0_4arch9wavefront6targetE1EEEvSJ_,"axG",@progbits,_ZN7rocprim17ROCPRIM_400000_NS6detail17trampoline_kernelINS0_14default_configENS1_38merge_sort_block_merge_config_selectorIddEEZZNS1_27merge_sort_block_merge_implIS3_N6thrust23THRUST_200600_302600_NS6detail15normal_iteratorINS8_10device_ptrIdEEEESD_jNS1_19radix_merge_compareILb0ELb0EdNS0_19identity_decomposerEEEEE10hipError_tT0_T1_T2_jT3_P12ihipStream_tbPNSt15iterator_traitsISI_E10value_typeEPNSO_ISJ_E10value_typeEPSK_NS1_7vsmem_tEENKUlT_SI_SJ_SK_E_clIPdSD_S10_SD_EESH_SX_SI_SJ_SK_EUlSX_E0_NS1_11comp_targetILNS1_3genE10ELNS1_11target_archE1201ELNS1_3gpuE5ELNS1_3repE0EEENS1_38merge_mergepath_config_static_selectorELNS0_4arch9wavefront6targetE1EEEvSJ_,comdat
.Lfunc_end34:
	.size	_ZN7rocprim17ROCPRIM_400000_NS6detail17trampoline_kernelINS0_14default_configENS1_38merge_sort_block_merge_config_selectorIddEEZZNS1_27merge_sort_block_merge_implIS3_N6thrust23THRUST_200600_302600_NS6detail15normal_iteratorINS8_10device_ptrIdEEEESD_jNS1_19radix_merge_compareILb0ELb0EdNS0_19identity_decomposerEEEEE10hipError_tT0_T1_T2_jT3_P12ihipStream_tbPNSt15iterator_traitsISI_E10value_typeEPNSO_ISJ_E10value_typeEPSK_NS1_7vsmem_tEENKUlT_SI_SJ_SK_E_clIPdSD_S10_SD_EESH_SX_SI_SJ_SK_EUlSX_E0_NS1_11comp_targetILNS1_3genE10ELNS1_11target_archE1201ELNS1_3gpuE5ELNS1_3repE0EEENS1_38merge_mergepath_config_static_selectorELNS0_4arch9wavefront6targetE1EEEvSJ_, .Lfunc_end34-_ZN7rocprim17ROCPRIM_400000_NS6detail17trampoline_kernelINS0_14default_configENS1_38merge_sort_block_merge_config_selectorIddEEZZNS1_27merge_sort_block_merge_implIS3_N6thrust23THRUST_200600_302600_NS6detail15normal_iteratorINS8_10device_ptrIdEEEESD_jNS1_19radix_merge_compareILb0ELb0EdNS0_19identity_decomposerEEEEE10hipError_tT0_T1_T2_jT3_P12ihipStream_tbPNSt15iterator_traitsISI_E10value_typeEPNSO_ISJ_E10value_typeEPSK_NS1_7vsmem_tEENKUlT_SI_SJ_SK_E_clIPdSD_S10_SD_EESH_SX_SI_SJ_SK_EUlSX_E0_NS1_11comp_targetILNS1_3genE10ELNS1_11target_archE1201ELNS1_3gpuE5ELNS1_3repE0EEENS1_38merge_mergepath_config_static_selectorELNS0_4arch9wavefront6targetE1EEEvSJ_
                                        ; -- End function
	.set _ZN7rocprim17ROCPRIM_400000_NS6detail17trampoline_kernelINS0_14default_configENS1_38merge_sort_block_merge_config_selectorIddEEZZNS1_27merge_sort_block_merge_implIS3_N6thrust23THRUST_200600_302600_NS6detail15normal_iteratorINS8_10device_ptrIdEEEESD_jNS1_19radix_merge_compareILb0ELb0EdNS0_19identity_decomposerEEEEE10hipError_tT0_T1_T2_jT3_P12ihipStream_tbPNSt15iterator_traitsISI_E10value_typeEPNSO_ISJ_E10value_typeEPSK_NS1_7vsmem_tEENKUlT_SI_SJ_SK_E_clIPdSD_S10_SD_EESH_SX_SI_SJ_SK_EUlSX_E0_NS1_11comp_targetILNS1_3genE10ELNS1_11target_archE1201ELNS1_3gpuE5ELNS1_3repE0EEENS1_38merge_mergepath_config_static_selectorELNS0_4arch9wavefront6targetE1EEEvSJ_.num_vgpr, 0
	.set _ZN7rocprim17ROCPRIM_400000_NS6detail17trampoline_kernelINS0_14default_configENS1_38merge_sort_block_merge_config_selectorIddEEZZNS1_27merge_sort_block_merge_implIS3_N6thrust23THRUST_200600_302600_NS6detail15normal_iteratorINS8_10device_ptrIdEEEESD_jNS1_19radix_merge_compareILb0ELb0EdNS0_19identity_decomposerEEEEE10hipError_tT0_T1_T2_jT3_P12ihipStream_tbPNSt15iterator_traitsISI_E10value_typeEPNSO_ISJ_E10value_typeEPSK_NS1_7vsmem_tEENKUlT_SI_SJ_SK_E_clIPdSD_S10_SD_EESH_SX_SI_SJ_SK_EUlSX_E0_NS1_11comp_targetILNS1_3genE10ELNS1_11target_archE1201ELNS1_3gpuE5ELNS1_3repE0EEENS1_38merge_mergepath_config_static_selectorELNS0_4arch9wavefront6targetE1EEEvSJ_.num_agpr, 0
	.set _ZN7rocprim17ROCPRIM_400000_NS6detail17trampoline_kernelINS0_14default_configENS1_38merge_sort_block_merge_config_selectorIddEEZZNS1_27merge_sort_block_merge_implIS3_N6thrust23THRUST_200600_302600_NS6detail15normal_iteratorINS8_10device_ptrIdEEEESD_jNS1_19radix_merge_compareILb0ELb0EdNS0_19identity_decomposerEEEEE10hipError_tT0_T1_T2_jT3_P12ihipStream_tbPNSt15iterator_traitsISI_E10value_typeEPNSO_ISJ_E10value_typeEPSK_NS1_7vsmem_tEENKUlT_SI_SJ_SK_E_clIPdSD_S10_SD_EESH_SX_SI_SJ_SK_EUlSX_E0_NS1_11comp_targetILNS1_3genE10ELNS1_11target_archE1201ELNS1_3gpuE5ELNS1_3repE0EEENS1_38merge_mergepath_config_static_selectorELNS0_4arch9wavefront6targetE1EEEvSJ_.numbered_sgpr, 0
	.set _ZN7rocprim17ROCPRIM_400000_NS6detail17trampoline_kernelINS0_14default_configENS1_38merge_sort_block_merge_config_selectorIddEEZZNS1_27merge_sort_block_merge_implIS3_N6thrust23THRUST_200600_302600_NS6detail15normal_iteratorINS8_10device_ptrIdEEEESD_jNS1_19radix_merge_compareILb0ELb0EdNS0_19identity_decomposerEEEEE10hipError_tT0_T1_T2_jT3_P12ihipStream_tbPNSt15iterator_traitsISI_E10value_typeEPNSO_ISJ_E10value_typeEPSK_NS1_7vsmem_tEENKUlT_SI_SJ_SK_E_clIPdSD_S10_SD_EESH_SX_SI_SJ_SK_EUlSX_E0_NS1_11comp_targetILNS1_3genE10ELNS1_11target_archE1201ELNS1_3gpuE5ELNS1_3repE0EEENS1_38merge_mergepath_config_static_selectorELNS0_4arch9wavefront6targetE1EEEvSJ_.num_named_barrier, 0
	.set _ZN7rocprim17ROCPRIM_400000_NS6detail17trampoline_kernelINS0_14default_configENS1_38merge_sort_block_merge_config_selectorIddEEZZNS1_27merge_sort_block_merge_implIS3_N6thrust23THRUST_200600_302600_NS6detail15normal_iteratorINS8_10device_ptrIdEEEESD_jNS1_19radix_merge_compareILb0ELb0EdNS0_19identity_decomposerEEEEE10hipError_tT0_T1_T2_jT3_P12ihipStream_tbPNSt15iterator_traitsISI_E10value_typeEPNSO_ISJ_E10value_typeEPSK_NS1_7vsmem_tEENKUlT_SI_SJ_SK_E_clIPdSD_S10_SD_EESH_SX_SI_SJ_SK_EUlSX_E0_NS1_11comp_targetILNS1_3genE10ELNS1_11target_archE1201ELNS1_3gpuE5ELNS1_3repE0EEENS1_38merge_mergepath_config_static_selectorELNS0_4arch9wavefront6targetE1EEEvSJ_.private_seg_size, 0
	.set _ZN7rocprim17ROCPRIM_400000_NS6detail17trampoline_kernelINS0_14default_configENS1_38merge_sort_block_merge_config_selectorIddEEZZNS1_27merge_sort_block_merge_implIS3_N6thrust23THRUST_200600_302600_NS6detail15normal_iteratorINS8_10device_ptrIdEEEESD_jNS1_19radix_merge_compareILb0ELb0EdNS0_19identity_decomposerEEEEE10hipError_tT0_T1_T2_jT3_P12ihipStream_tbPNSt15iterator_traitsISI_E10value_typeEPNSO_ISJ_E10value_typeEPSK_NS1_7vsmem_tEENKUlT_SI_SJ_SK_E_clIPdSD_S10_SD_EESH_SX_SI_SJ_SK_EUlSX_E0_NS1_11comp_targetILNS1_3genE10ELNS1_11target_archE1201ELNS1_3gpuE5ELNS1_3repE0EEENS1_38merge_mergepath_config_static_selectorELNS0_4arch9wavefront6targetE1EEEvSJ_.uses_vcc, 0
	.set _ZN7rocprim17ROCPRIM_400000_NS6detail17trampoline_kernelINS0_14default_configENS1_38merge_sort_block_merge_config_selectorIddEEZZNS1_27merge_sort_block_merge_implIS3_N6thrust23THRUST_200600_302600_NS6detail15normal_iteratorINS8_10device_ptrIdEEEESD_jNS1_19radix_merge_compareILb0ELb0EdNS0_19identity_decomposerEEEEE10hipError_tT0_T1_T2_jT3_P12ihipStream_tbPNSt15iterator_traitsISI_E10value_typeEPNSO_ISJ_E10value_typeEPSK_NS1_7vsmem_tEENKUlT_SI_SJ_SK_E_clIPdSD_S10_SD_EESH_SX_SI_SJ_SK_EUlSX_E0_NS1_11comp_targetILNS1_3genE10ELNS1_11target_archE1201ELNS1_3gpuE5ELNS1_3repE0EEENS1_38merge_mergepath_config_static_selectorELNS0_4arch9wavefront6targetE1EEEvSJ_.uses_flat_scratch, 0
	.set _ZN7rocprim17ROCPRIM_400000_NS6detail17trampoline_kernelINS0_14default_configENS1_38merge_sort_block_merge_config_selectorIddEEZZNS1_27merge_sort_block_merge_implIS3_N6thrust23THRUST_200600_302600_NS6detail15normal_iteratorINS8_10device_ptrIdEEEESD_jNS1_19radix_merge_compareILb0ELb0EdNS0_19identity_decomposerEEEEE10hipError_tT0_T1_T2_jT3_P12ihipStream_tbPNSt15iterator_traitsISI_E10value_typeEPNSO_ISJ_E10value_typeEPSK_NS1_7vsmem_tEENKUlT_SI_SJ_SK_E_clIPdSD_S10_SD_EESH_SX_SI_SJ_SK_EUlSX_E0_NS1_11comp_targetILNS1_3genE10ELNS1_11target_archE1201ELNS1_3gpuE5ELNS1_3repE0EEENS1_38merge_mergepath_config_static_selectorELNS0_4arch9wavefront6targetE1EEEvSJ_.has_dyn_sized_stack, 0
	.set _ZN7rocprim17ROCPRIM_400000_NS6detail17trampoline_kernelINS0_14default_configENS1_38merge_sort_block_merge_config_selectorIddEEZZNS1_27merge_sort_block_merge_implIS3_N6thrust23THRUST_200600_302600_NS6detail15normal_iteratorINS8_10device_ptrIdEEEESD_jNS1_19radix_merge_compareILb0ELb0EdNS0_19identity_decomposerEEEEE10hipError_tT0_T1_T2_jT3_P12ihipStream_tbPNSt15iterator_traitsISI_E10value_typeEPNSO_ISJ_E10value_typeEPSK_NS1_7vsmem_tEENKUlT_SI_SJ_SK_E_clIPdSD_S10_SD_EESH_SX_SI_SJ_SK_EUlSX_E0_NS1_11comp_targetILNS1_3genE10ELNS1_11target_archE1201ELNS1_3gpuE5ELNS1_3repE0EEENS1_38merge_mergepath_config_static_selectorELNS0_4arch9wavefront6targetE1EEEvSJ_.has_recursion, 0
	.set _ZN7rocprim17ROCPRIM_400000_NS6detail17trampoline_kernelINS0_14default_configENS1_38merge_sort_block_merge_config_selectorIddEEZZNS1_27merge_sort_block_merge_implIS3_N6thrust23THRUST_200600_302600_NS6detail15normal_iteratorINS8_10device_ptrIdEEEESD_jNS1_19radix_merge_compareILb0ELb0EdNS0_19identity_decomposerEEEEE10hipError_tT0_T1_T2_jT3_P12ihipStream_tbPNSt15iterator_traitsISI_E10value_typeEPNSO_ISJ_E10value_typeEPSK_NS1_7vsmem_tEENKUlT_SI_SJ_SK_E_clIPdSD_S10_SD_EESH_SX_SI_SJ_SK_EUlSX_E0_NS1_11comp_targetILNS1_3genE10ELNS1_11target_archE1201ELNS1_3gpuE5ELNS1_3repE0EEENS1_38merge_mergepath_config_static_selectorELNS0_4arch9wavefront6targetE1EEEvSJ_.has_indirect_call, 0
	.section	.AMDGPU.csdata,"",@progbits
; Kernel info:
; codeLenInByte = 0
; TotalNumSgprs: 6
; NumVgprs: 0
; NumAgprs: 0
; TotalNumVgprs: 0
; ScratchSize: 0
; MemoryBound: 0
; FloatMode: 240
; IeeeMode: 1
; LDSByteSize: 0 bytes/workgroup (compile time only)
; SGPRBlocks: 0
; VGPRBlocks: 0
; NumSGPRsForWavesPerEU: 6
; NumVGPRsForWavesPerEU: 1
; AccumOffset: 4
; Occupancy: 8
; WaveLimiterHint : 0
; COMPUTE_PGM_RSRC2:SCRATCH_EN: 0
; COMPUTE_PGM_RSRC2:USER_SGPR: 2
; COMPUTE_PGM_RSRC2:TRAP_HANDLER: 0
; COMPUTE_PGM_RSRC2:TGID_X_EN: 1
; COMPUTE_PGM_RSRC2:TGID_Y_EN: 0
; COMPUTE_PGM_RSRC2:TGID_Z_EN: 0
; COMPUTE_PGM_RSRC2:TIDIG_COMP_CNT: 0
; COMPUTE_PGM_RSRC3_GFX90A:ACCUM_OFFSET: 0
; COMPUTE_PGM_RSRC3_GFX90A:TG_SPLIT: 0
	.section	.text._ZN7rocprim17ROCPRIM_400000_NS6detail17trampoline_kernelINS0_14default_configENS1_38merge_sort_block_merge_config_selectorIddEEZZNS1_27merge_sort_block_merge_implIS3_N6thrust23THRUST_200600_302600_NS6detail15normal_iteratorINS8_10device_ptrIdEEEESD_jNS1_19radix_merge_compareILb0ELb0EdNS0_19identity_decomposerEEEEE10hipError_tT0_T1_T2_jT3_P12ihipStream_tbPNSt15iterator_traitsISI_E10value_typeEPNSO_ISJ_E10value_typeEPSK_NS1_7vsmem_tEENKUlT_SI_SJ_SK_E_clIPdSD_S10_SD_EESH_SX_SI_SJ_SK_EUlSX_E0_NS1_11comp_targetILNS1_3genE5ELNS1_11target_archE942ELNS1_3gpuE9ELNS1_3repE0EEENS1_38merge_mergepath_config_static_selectorELNS0_4arch9wavefront6targetE1EEEvSJ_,"axG",@progbits,_ZN7rocprim17ROCPRIM_400000_NS6detail17trampoline_kernelINS0_14default_configENS1_38merge_sort_block_merge_config_selectorIddEEZZNS1_27merge_sort_block_merge_implIS3_N6thrust23THRUST_200600_302600_NS6detail15normal_iteratorINS8_10device_ptrIdEEEESD_jNS1_19radix_merge_compareILb0ELb0EdNS0_19identity_decomposerEEEEE10hipError_tT0_T1_T2_jT3_P12ihipStream_tbPNSt15iterator_traitsISI_E10value_typeEPNSO_ISJ_E10value_typeEPSK_NS1_7vsmem_tEENKUlT_SI_SJ_SK_E_clIPdSD_S10_SD_EESH_SX_SI_SJ_SK_EUlSX_E0_NS1_11comp_targetILNS1_3genE5ELNS1_11target_archE942ELNS1_3gpuE9ELNS1_3repE0EEENS1_38merge_mergepath_config_static_selectorELNS0_4arch9wavefront6targetE1EEEvSJ_,comdat
	.protected	_ZN7rocprim17ROCPRIM_400000_NS6detail17trampoline_kernelINS0_14default_configENS1_38merge_sort_block_merge_config_selectorIddEEZZNS1_27merge_sort_block_merge_implIS3_N6thrust23THRUST_200600_302600_NS6detail15normal_iteratorINS8_10device_ptrIdEEEESD_jNS1_19radix_merge_compareILb0ELb0EdNS0_19identity_decomposerEEEEE10hipError_tT0_T1_T2_jT3_P12ihipStream_tbPNSt15iterator_traitsISI_E10value_typeEPNSO_ISJ_E10value_typeEPSK_NS1_7vsmem_tEENKUlT_SI_SJ_SK_E_clIPdSD_S10_SD_EESH_SX_SI_SJ_SK_EUlSX_E0_NS1_11comp_targetILNS1_3genE5ELNS1_11target_archE942ELNS1_3gpuE9ELNS1_3repE0EEENS1_38merge_mergepath_config_static_selectorELNS0_4arch9wavefront6targetE1EEEvSJ_ ; -- Begin function _ZN7rocprim17ROCPRIM_400000_NS6detail17trampoline_kernelINS0_14default_configENS1_38merge_sort_block_merge_config_selectorIddEEZZNS1_27merge_sort_block_merge_implIS3_N6thrust23THRUST_200600_302600_NS6detail15normal_iteratorINS8_10device_ptrIdEEEESD_jNS1_19radix_merge_compareILb0ELb0EdNS0_19identity_decomposerEEEEE10hipError_tT0_T1_T2_jT3_P12ihipStream_tbPNSt15iterator_traitsISI_E10value_typeEPNSO_ISJ_E10value_typeEPSK_NS1_7vsmem_tEENKUlT_SI_SJ_SK_E_clIPdSD_S10_SD_EESH_SX_SI_SJ_SK_EUlSX_E0_NS1_11comp_targetILNS1_3genE5ELNS1_11target_archE942ELNS1_3gpuE9ELNS1_3repE0EEENS1_38merge_mergepath_config_static_selectorELNS0_4arch9wavefront6targetE1EEEvSJ_
	.globl	_ZN7rocprim17ROCPRIM_400000_NS6detail17trampoline_kernelINS0_14default_configENS1_38merge_sort_block_merge_config_selectorIddEEZZNS1_27merge_sort_block_merge_implIS3_N6thrust23THRUST_200600_302600_NS6detail15normal_iteratorINS8_10device_ptrIdEEEESD_jNS1_19radix_merge_compareILb0ELb0EdNS0_19identity_decomposerEEEEE10hipError_tT0_T1_T2_jT3_P12ihipStream_tbPNSt15iterator_traitsISI_E10value_typeEPNSO_ISJ_E10value_typeEPSK_NS1_7vsmem_tEENKUlT_SI_SJ_SK_E_clIPdSD_S10_SD_EESH_SX_SI_SJ_SK_EUlSX_E0_NS1_11comp_targetILNS1_3genE5ELNS1_11target_archE942ELNS1_3gpuE9ELNS1_3repE0EEENS1_38merge_mergepath_config_static_selectorELNS0_4arch9wavefront6targetE1EEEvSJ_
	.p2align	8
	.type	_ZN7rocprim17ROCPRIM_400000_NS6detail17trampoline_kernelINS0_14default_configENS1_38merge_sort_block_merge_config_selectorIddEEZZNS1_27merge_sort_block_merge_implIS3_N6thrust23THRUST_200600_302600_NS6detail15normal_iteratorINS8_10device_ptrIdEEEESD_jNS1_19radix_merge_compareILb0ELb0EdNS0_19identity_decomposerEEEEE10hipError_tT0_T1_T2_jT3_P12ihipStream_tbPNSt15iterator_traitsISI_E10value_typeEPNSO_ISJ_E10value_typeEPSK_NS1_7vsmem_tEENKUlT_SI_SJ_SK_E_clIPdSD_S10_SD_EESH_SX_SI_SJ_SK_EUlSX_E0_NS1_11comp_targetILNS1_3genE5ELNS1_11target_archE942ELNS1_3gpuE9ELNS1_3repE0EEENS1_38merge_mergepath_config_static_selectorELNS0_4arch9wavefront6targetE1EEEvSJ_,@function
_ZN7rocprim17ROCPRIM_400000_NS6detail17trampoline_kernelINS0_14default_configENS1_38merge_sort_block_merge_config_selectorIddEEZZNS1_27merge_sort_block_merge_implIS3_N6thrust23THRUST_200600_302600_NS6detail15normal_iteratorINS8_10device_ptrIdEEEESD_jNS1_19radix_merge_compareILb0ELb0EdNS0_19identity_decomposerEEEEE10hipError_tT0_T1_T2_jT3_P12ihipStream_tbPNSt15iterator_traitsISI_E10value_typeEPNSO_ISJ_E10value_typeEPSK_NS1_7vsmem_tEENKUlT_SI_SJ_SK_E_clIPdSD_S10_SD_EESH_SX_SI_SJ_SK_EUlSX_E0_NS1_11comp_targetILNS1_3genE5ELNS1_11target_archE942ELNS1_3gpuE9ELNS1_3repE0EEENS1_38merge_mergepath_config_static_selectorELNS0_4arch9wavefront6targetE1EEEvSJ_: ; @_ZN7rocprim17ROCPRIM_400000_NS6detail17trampoline_kernelINS0_14default_configENS1_38merge_sort_block_merge_config_selectorIddEEZZNS1_27merge_sort_block_merge_implIS3_N6thrust23THRUST_200600_302600_NS6detail15normal_iteratorINS8_10device_ptrIdEEEESD_jNS1_19radix_merge_compareILb0ELb0EdNS0_19identity_decomposerEEEEE10hipError_tT0_T1_T2_jT3_P12ihipStream_tbPNSt15iterator_traitsISI_E10value_typeEPNSO_ISJ_E10value_typeEPSK_NS1_7vsmem_tEENKUlT_SI_SJ_SK_E_clIPdSD_S10_SD_EESH_SX_SI_SJ_SK_EUlSX_E0_NS1_11comp_targetILNS1_3genE5ELNS1_11target_archE942ELNS1_3gpuE9ELNS1_3repE0EEENS1_38merge_mergepath_config_static_selectorELNS0_4arch9wavefront6targetE1EEEvSJ_
; %bb.0:
	.section	.rodata,"a",@progbits
	.p2align	6, 0x0
	.amdhsa_kernel _ZN7rocprim17ROCPRIM_400000_NS6detail17trampoline_kernelINS0_14default_configENS1_38merge_sort_block_merge_config_selectorIddEEZZNS1_27merge_sort_block_merge_implIS3_N6thrust23THRUST_200600_302600_NS6detail15normal_iteratorINS8_10device_ptrIdEEEESD_jNS1_19radix_merge_compareILb0ELb0EdNS0_19identity_decomposerEEEEE10hipError_tT0_T1_T2_jT3_P12ihipStream_tbPNSt15iterator_traitsISI_E10value_typeEPNSO_ISJ_E10value_typeEPSK_NS1_7vsmem_tEENKUlT_SI_SJ_SK_E_clIPdSD_S10_SD_EESH_SX_SI_SJ_SK_EUlSX_E0_NS1_11comp_targetILNS1_3genE5ELNS1_11target_archE942ELNS1_3gpuE9ELNS1_3repE0EEENS1_38merge_mergepath_config_static_selectorELNS0_4arch9wavefront6targetE1EEEvSJ_
		.amdhsa_group_segment_fixed_size 0
		.amdhsa_private_segment_fixed_size 0
		.amdhsa_kernarg_size 64
		.amdhsa_user_sgpr_count 2
		.amdhsa_user_sgpr_dispatch_ptr 0
		.amdhsa_user_sgpr_queue_ptr 0
		.amdhsa_user_sgpr_kernarg_segment_ptr 1
		.amdhsa_user_sgpr_dispatch_id 0
		.amdhsa_user_sgpr_kernarg_preload_length 0
		.amdhsa_user_sgpr_kernarg_preload_offset 0
		.amdhsa_user_sgpr_private_segment_size 0
		.amdhsa_uses_dynamic_stack 0
		.amdhsa_enable_private_segment 0
		.amdhsa_system_sgpr_workgroup_id_x 1
		.amdhsa_system_sgpr_workgroup_id_y 0
		.amdhsa_system_sgpr_workgroup_id_z 0
		.amdhsa_system_sgpr_workgroup_info 0
		.amdhsa_system_vgpr_workitem_id 0
		.amdhsa_next_free_vgpr 1
		.amdhsa_next_free_sgpr 0
		.amdhsa_accum_offset 4
		.amdhsa_reserve_vcc 0
		.amdhsa_float_round_mode_32 0
		.amdhsa_float_round_mode_16_64 0
		.amdhsa_float_denorm_mode_32 3
		.amdhsa_float_denorm_mode_16_64 3
		.amdhsa_dx10_clamp 1
		.amdhsa_ieee_mode 1
		.amdhsa_fp16_overflow 0
		.amdhsa_tg_split 0
		.amdhsa_exception_fp_ieee_invalid_op 0
		.amdhsa_exception_fp_denorm_src 0
		.amdhsa_exception_fp_ieee_div_zero 0
		.amdhsa_exception_fp_ieee_overflow 0
		.amdhsa_exception_fp_ieee_underflow 0
		.amdhsa_exception_fp_ieee_inexact 0
		.amdhsa_exception_int_div_zero 0
	.end_amdhsa_kernel
	.section	.text._ZN7rocprim17ROCPRIM_400000_NS6detail17trampoline_kernelINS0_14default_configENS1_38merge_sort_block_merge_config_selectorIddEEZZNS1_27merge_sort_block_merge_implIS3_N6thrust23THRUST_200600_302600_NS6detail15normal_iteratorINS8_10device_ptrIdEEEESD_jNS1_19radix_merge_compareILb0ELb0EdNS0_19identity_decomposerEEEEE10hipError_tT0_T1_T2_jT3_P12ihipStream_tbPNSt15iterator_traitsISI_E10value_typeEPNSO_ISJ_E10value_typeEPSK_NS1_7vsmem_tEENKUlT_SI_SJ_SK_E_clIPdSD_S10_SD_EESH_SX_SI_SJ_SK_EUlSX_E0_NS1_11comp_targetILNS1_3genE5ELNS1_11target_archE942ELNS1_3gpuE9ELNS1_3repE0EEENS1_38merge_mergepath_config_static_selectorELNS0_4arch9wavefront6targetE1EEEvSJ_,"axG",@progbits,_ZN7rocprim17ROCPRIM_400000_NS6detail17trampoline_kernelINS0_14default_configENS1_38merge_sort_block_merge_config_selectorIddEEZZNS1_27merge_sort_block_merge_implIS3_N6thrust23THRUST_200600_302600_NS6detail15normal_iteratorINS8_10device_ptrIdEEEESD_jNS1_19radix_merge_compareILb0ELb0EdNS0_19identity_decomposerEEEEE10hipError_tT0_T1_T2_jT3_P12ihipStream_tbPNSt15iterator_traitsISI_E10value_typeEPNSO_ISJ_E10value_typeEPSK_NS1_7vsmem_tEENKUlT_SI_SJ_SK_E_clIPdSD_S10_SD_EESH_SX_SI_SJ_SK_EUlSX_E0_NS1_11comp_targetILNS1_3genE5ELNS1_11target_archE942ELNS1_3gpuE9ELNS1_3repE0EEENS1_38merge_mergepath_config_static_selectorELNS0_4arch9wavefront6targetE1EEEvSJ_,comdat
.Lfunc_end35:
	.size	_ZN7rocprim17ROCPRIM_400000_NS6detail17trampoline_kernelINS0_14default_configENS1_38merge_sort_block_merge_config_selectorIddEEZZNS1_27merge_sort_block_merge_implIS3_N6thrust23THRUST_200600_302600_NS6detail15normal_iteratorINS8_10device_ptrIdEEEESD_jNS1_19radix_merge_compareILb0ELb0EdNS0_19identity_decomposerEEEEE10hipError_tT0_T1_T2_jT3_P12ihipStream_tbPNSt15iterator_traitsISI_E10value_typeEPNSO_ISJ_E10value_typeEPSK_NS1_7vsmem_tEENKUlT_SI_SJ_SK_E_clIPdSD_S10_SD_EESH_SX_SI_SJ_SK_EUlSX_E0_NS1_11comp_targetILNS1_3genE5ELNS1_11target_archE942ELNS1_3gpuE9ELNS1_3repE0EEENS1_38merge_mergepath_config_static_selectorELNS0_4arch9wavefront6targetE1EEEvSJ_, .Lfunc_end35-_ZN7rocprim17ROCPRIM_400000_NS6detail17trampoline_kernelINS0_14default_configENS1_38merge_sort_block_merge_config_selectorIddEEZZNS1_27merge_sort_block_merge_implIS3_N6thrust23THRUST_200600_302600_NS6detail15normal_iteratorINS8_10device_ptrIdEEEESD_jNS1_19radix_merge_compareILb0ELb0EdNS0_19identity_decomposerEEEEE10hipError_tT0_T1_T2_jT3_P12ihipStream_tbPNSt15iterator_traitsISI_E10value_typeEPNSO_ISJ_E10value_typeEPSK_NS1_7vsmem_tEENKUlT_SI_SJ_SK_E_clIPdSD_S10_SD_EESH_SX_SI_SJ_SK_EUlSX_E0_NS1_11comp_targetILNS1_3genE5ELNS1_11target_archE942ELNS1_3gpuE9ELNS1_3repE0EEENS1_38merge_mergepath_config_static_selectorELNS0_4arch9wavefront6targetE1EEEvSJ_
                                        ; -- End function
	.set _ZN7rocprim17ROCPRIM_400000_NS6detail17trampoline_kernelINS0_14default_configENS1_38merge_sort_block_merge_config_selectorIddEEZZNS1_27merge_sort_block_merge_implIS3_N6thrust23THRUST_200600_302600_NS6detail15normal_iteratorINS8_10device_ptrIdEEEESD_jNS1_19radix_merge_compareILb0ELb0EdNS0_19identity_decomposerEEEEE10hipError_tT0_T1_T2_jT3_P12ihipStream_tbPNSt15iterator_traitsISI_E10value_typeEPNSO_ISJ_E10value_typeEPSK_NS1_7vsmem_tEENKUlT_SI_SJ_SK_E_clIPdSD_S10_SD_EESH_SX_SI_SJ_SK_EUlSX_E0_NS1_11comp_targetILNS1_3genE5ELNS1_11target_archE942ELNS1_3gpuE9ELNS1_3repE0EEENS1_38merge_mergepath_config_static_selectorELNS0_4arch9wavefront6targetE1EEEvSJ_.num_vgpr, 0
	.set _ZN7rocprim17ROCPRIM_400000_NS6detail17trampoline_kernelINS0_14default_configENS1_38merge_sort_block_merge_config_selectorIddEEZZNS1_27merge_sort_block_merge_implIS3_N6thrust23THRUST_200600_302600_NS6detail15normal_iteratorINS8_10device_ptrIdEEEESD_jNS1_19radix_merge_compareILb0ELb0EdNS0_19identity_decomposerEEEEE10hipError_tT0_T1_T2_jT3_P12ihipStream_tbPNSt15iterator_traitsISI_E10value_typeEPNSO_ISJ_E10value_typeEPSK_NS1_7vsmem_tEENKUlT_SI_SJ_SK_E_clIPdSD_S10_SD_EESH_SX_SI_SJ_SK_EUlSX_E0_NS1_11comp_targetILNS1_3genE5ELNS1_11target_archE942ELNS1_3gpuE9ELNS1_3repE0EEENS1_38merge_mergepath_config_static_selectorELNS0_4arch9wavefront6targetE1EEEvSJ_.num_agpr, 0
	.set _ZN7rocprim17ROCPRIM_400000_NS6detail17trampoline_kernelINS0_14default_configENS1_38merge_sort_block_merge_config_selectorIddEEZZNS1_27merge_sort_block_merge_implIS3_N6thrust23THRUST_200600_302600_NS6detail15normal_iteratorINS8_10device_ptrIdEEEESD_jNS1_19radix_merge_compareILb0ELb0EdNS0_19identity_decomposerEEEEE10hipError_tT0_T1_T2_jT3_P12ihipStream_tbPNSt15iterator_traitsISI_E10value_typeEPNSO_ISJ_E10value_typeEPSK_NS1_7vsmem_tEENKUlT_SI_SJ_SK_E_clIPdSD_S10_SD_EESH_SX_SI_SJ_SK_EUlSX_E0_NS1_11comp_targetILNS1_3genE5ELNS1_11target_archE942ELNS1_3gpuE9ELNS1_3repE0EEENS1_38merge_mergepath_config_static_selectorELNS0_4arch9wavefront6targetE1EEEvSJ_.numbered_sgpr, 0
	.set _ZN7rocprim17ROCPRIM_400000_NS6detail17trampoline_kernelINS0_14default_configENS1_38merge_sort_block_merge_config_selectorIddEEZZNS1_27merge_sort_block_merge_implIS3_N6thrust23THRUST_200600_302600_NS6detail15normal_iteratorINS8_10device_ptrIdEEEESD_jNS1_19radix_merge_compareILb0ELb0EdNS0_19identity_decomposerEEEEE10hipError_tT0_T1_T2_jT3_P12ihipStream_tbPNSt15iterator_traitsISI_E10value_typeEPNSO_ISJ_E10value_typeEPSK_NS1_7vsmem_tEENKUlT_SI_SJ_SK_E_clIPdSD_S10_SD_EESH_SX_SI_SJ_SK_EUlSX_E0_NS1_11comp_targetILNS1_3genE5ELNS1_11target_archE942ELNS1_3gpuE9ELNS1_3repE0EEENS1_38merge_mergepath_config_static_selectorELNS0_4arch9wavefront6targetE1EEEvSJ_.num_named_barrier, 0
	.set _ZN7rocprim17ROCPRIM_400000_NS6detail17trampoline_kernelINS0_14default_configENS1_38merge_sort_block_merge_config_selectorIddEEZZNS1_27merge_sort_block_merge_implIS3_N6thrust23THRUST_200600_302600_NS6detail15normal_iteratorINS8_10device_ptrIdEEEESD_jNS1_19radix_merge_compareILb0ELb0EdNS0_19identity_decomposerEEEEE10hipError_tT0_T1_T2_jT3_P12ihipStream_tbPNSt15iterator_traitsISI_E10value_typeEPNSO_ISJ_E10value_typeEPSK_NS1_7vsmem_tEENKUlT_SI_SJ_SK_E_clIPdSD_S10_SD_EESH_SX_SI_SJ_SK_EUlSX_E0_NS1_11comp_targetILNS1_3genE5ELNS1_11target_archE942ELNS1_3gpuE9ELNS1_3repE0EEENS1_38merge_mergepath_config_static_selectorELNS0_4arch9wavefront6targetE1EEEvSJ_.private_seg_size, 0
	.set _ZN7rocprim17ROCPRIM_400000_NS6detail17trampoline_kernelINS0_14default_configENS1_38merge_sort_block_merge_config_selectorIddEEZZNS1_27merge_sort_block_merge_implIS3_N6thrust23THRUST_200600_302600_NS6detail15normal_iteratorINS8_10device_ptrIdEEEESD_jNS1_19radix_merge_compareILb0ELb0EdNS0_19identity_decomposerEEEEE10hipError_tT0_T1_T2_jT3_P12ihipStream_tbPNSt15iterator_traitsISI_E10value_typeEPNSO_ISJ_E10value_typeEPSK_NS1_7vsmem_tEENKUlT_SI_SJ_SK_E_clIPdSD_S10_SD_EESH_SX_SI_SJ_SK_EUlSX_E0_NS1_11comp_targetILNS1_3genE5ELNS1_11target_archE942ELNS1_3gpuE9ELNS1_3repE0EEENS1_38merge_mergepath_config_static_selectorELNS0_4arch9wavefront6targetE1EEEvSJ_.uses_vcc, 0
	.set _ZN7rocprim17ROCPRIM_400000_NS6detail17trampoline_kernelINS0_14default_configENS1_38merge_sort_block_merge_config_selectorIddEEZZNS1_27merge_sort_block_merge_implIS3_N6thrust23THRUST_200600_302600_NS6detail15normal_iteratorINS8_10device_ptrIdEEEESD_jNS1_19radix_merge_compareILb0ELb0EdNS0_19identity_decomposerEEEEE10hipError_tT0_T1_T2_jT3_P12ihipStream_tbPNSt15iterator_traitsISI_E10value_typeEPNSO_ISJ_E10value_typeEPSK_NS1_7vsmem_tEENKUlT_SI_SJ_SK_E_clIPdSD_S10_SD_EESH_SX_SI_SJ_SK_EUlSX_E0_NS1_11comp_targetILNS1_3genE5ELNS1_11target_archE942ELNS1_3gpuE9ELNS1_3repE0EEENS1_38merge_mergepath_config_static_selectorELNS0_4arch9wavefront6targetE1EEEvSJ_.uses_flat_scratch, 0
	.set _ZN7rocprim17ROCPRIM_400000_NS6detail17trampoline_kernelINS0_14default_configENS1_38merge_sort_block_merge_config_selectorIddEEZZNS1_27merge_sort_block_merge_implIS3_N6thrust23THRUST_200600_302600_NS6detail15normal_iteratorINS8_10device_ptrIdEEEESD_jNS1_19radix_merge_compareILb0ELb0EdNS0_19identity_decomposerEEEEE10hipError_tT0_T1_T2_jT3_P12ihipStream_tbPNSt15iterator_traitsISI_E10value_typeEPNSO_ISJ_E10value_typeEPSK_NS1_7vsmem_tEENKUlT_SI_SJ_SK_E_clIPdSD_S10_SD_EESH_SX_SI_SJ_SK_EUlSX_E0_NS1_11comp_targetILNS1_3genE5ELNS1_11target_archE942ELNS1_3gpuE9ELNS1_3repE0EEENS1_38merge_mergepath_config_static_selectorELNS0_4arch9wavefront6targetE1EEEvSJ_.has_dyn_sized_stack, 0
	.set _ZN7rocprim17ROCPRIM_400000_NS6detail17trampoline_kernelINS0_14default_configENS1_38merge_sort_block_merge_config_selectorIddEEZZNS1_27merge_sort_block_merge_implIS3_N6thrust23THRUST_200600_302600_NS6detail15normal_iteratorINS8_10device_ptrIdEEEESD_jNS1_19radix_merge_compareILb0ELb0EdNS0_19identity_decomposerEEEEE10hipError_tT0_T1_T2_jT3_P12ihipStream_tbPNSt15iterator_traitsISI_E10value_typeEPNSO_ISJ_E10value_typeEPSK_NS1_7vsmem_tEENKUlT_SI_SJ_SK_E_clIPdSD_S10_SD_EESH_SX_SI_SJ_SK_EUlSX_E0_NS1_11comp_targetILNS1_3genE5ELNS1_11target_archE942ELNS1_3gpuE9ELNS1_3repE0EEENS1_38merge_mergepath_config_static_selectorELNS0_4arch9wavefront6targetE1EEEvSJ_.has_recursion, 0
	.set _ZN7rocprim17ROCPRIM_400000_NS6detail17trampoline_kernelINS0_14default_configENS1_38merge_sort_block_merge_config_selectorIddEEZZNS1_27merge_sort_block_merge_implIS3_N6thrust23THRUST_200600_302600_NS6detail15normal_iteratorINS8_10device_ptrIdEEEESD_jNS1_19radix_merge_compareILb0ELb0EdNS0_19identity_decomposerEEEEE10hipError_tT0_T1_T2_jT3_P12ihipStream_tbPNSt15iterator_traitsISI_E10value_typeEPNSO_ISJ_E10value_typeEPSK_NS1_7vsmem_tEENKUlT_SI_SJ_SK_E_clIPdSD_S10_SD_EESH_SX_SI_SJ_SK_EUlSX_E0_NS1_11comp_targetILNS1_3genE5ELNS1_11target_archE942ELNS1_3gpuE9ELNS1_3repE0EEENS1_38merge_mergepath_config_static_selectorELNS0_4arch9wavefront6targetE1EEEvSJ_.has_indirect_call, 0
	.section	.AMDGPU.csdata,"",@progbits
; Kernel info:
; codeLenInByte = 0
; TotalNumSgprs: 6
; NumVgprs: 0
; NumAgprs: 0
; TotalNumVgprs: 0
; ScratchSize: 0
; MemoryBound: 0
; FloatMode: 240
; IeeeMode: 1
; LDSByteSize: 0 bytes/workgroup (compile time only)
; SGPRBlocks: 0
; VGPRBlocks: 0
; NumSGPRsForWavesPerEU: 6
; NumVGPRsForWavesPerEU: 1
; AccumOffset: 4
; Occupancy: 8
; WaveLimiterHint : 0
; COMPUTE_PGM_RSRC2:SCRATCH_EN: 0
; COMPUTE_PGM_RSRC2:USER_SGPR: 2
; COMPUTE_PGM_RSRC2:TRAP_HANDLER: 0
; COMPUTE_PGM_RSRC2:TGID_X_EN: 1
; COMPUTE_PGM_RSRC2:TGID_Y_EN: 0
; COMPUTE_PGM_RSRC2:TGID_Z_EN: 0
; COMPUTE_PGM_RSRC2:TIDIG_COMP_CNT: 0
; COMPUTE_PGM_RSRC3_GFX90A:ACCUM_OFFSET: 0
; COMPUTE_PGM_RSRC3_GFX90A:TG_SPLIT: 0
	.section	.text._ZN7rocprim17ROCPRIM_400000_NS6detail17trampoline_kernelINS0_14default_configENS1_38merge_sort_block_merge_config_selectorIddEEZZNS1_27merge_sort_block_merge_implIS3_N6thrust23THRUST_200600_302600_NS6detail15normal_iteratorINS8_10device_ptrIdEEEESD_jNS1_19radix_merge_compareILb0ELb0EdNS0_19identity_decomposerEEEEE10hipError_tT0_T1_T2_jT3_P12ihipStream_tbPNSt15iterator_traitsISI_E10value_typeEPNSO_ISJ_E10value_typeEPSK_NS1_7vsmem_tEENKUlT_SI_SJ_SK_E_clIPdSD_S10_SD_EESH_SX_SI_SJ_SK_EUlSX_E0_NS1_11comp_targetILNS1_3genE4ELNS1_11target_archE910ELNS1_3gpuE8ELNS1_3repE0EEENS1_38merge_mergepath_config_static_selectorELNS0_4arch9wavefront6targetE1EEEvSJ_,"axG",@progbits,_ZN7rocprim17ROCPRIM_400000_NS6detail17trampoline_kernelINS0_14default_configENS1_38merge_sort_block_merge_config_selectorIddEEZZNS1_27merge_sort_block_merge_implIS3_N6thrust23THRUST_200600_302600_NS6detail15normal_iteratorINS8_10device_ptrIdEEEESD_jNS1_19radix_merge_compareILb0ELb0EdNS0_19identity_decomposerEEEEE10hipError_tT0_T1_T2_jT3_P12ihipStream_tbPNSt15iterator_traitsISI_E10value_typeEPNSO_ISJ_E10value_typeEPSK_NS1_7vsmem_tEENKUlT_SI_SJ_SK_E_clIPdSD_S10_SD_EESH_SX_SI_SJ_SK_EUlSX_E0_NS1_11comp_targetILNS1_3genE4ELNS1_11target_archE910ELNS1_3gpuE8ELNS1_3repE0EEENS1_38merge_mergepath_config_static_selectorELNS0_4arch9wavefront6targetE1EEEvSJ_,comdat
	.protected	_ZN7rocprim17ROCPRIM_400000_NS6detail17trampoline_kernelINS0_14default_configENS1_38merge_sort_block_merge_config_selectorIddEEZZNS1_27merge_sort_block_merge_implIS3_N6thrust23THRUST_200600_302600_NS6detail15normal_iteratorINS8_10device_ptrIdEEEESD_jNS1_19radix_merge_compareILb0ELb0EdNS0_19identity_decomposerEEEEE10hipError_tT0_T1_T2_jT3_P12ihipStream_tbPNSt15iterator_traitsISI_E10value_typeEPNSO_ISJ_E10value_typeEPSK_NS1_7vsmem_tEENKUlT_SI_SJ_SK_E_clIPdSD_S10_SD_EESH_SX_SI_SJ_SK_EUlSX_E0_NS1_11comp_targetILNS1_3genE4ELNS1_11target_archE910ELNS1_3gpuE8ELNS1_3repE0EEENS1_38merge_mergepath_config_static_selectorELNS0_4arch9wavefront6targetE1EEEvSJ_ ; -- Begin function _ZN7rocprim17ROCPRIM_400000_NS6detail17trampoline_kernelINS0_14default_configENS1_38merge_sort_block_merge_config_selectorIddEEZZNS1_27merge_sort_block_merge_implIS3_N6thrust23THRUST_200600_302600_NS6detail15normal_iteratorINS8_10device_ptrIdEEEESD_jNS1_19radix_merge_compareILb0ELb0EdNS0_19identity_decomposerEEEEE10hipError_tT0_T1_T2_jT3_P12ihipStream_tbPNSt15iterator_traitsISI_E10value_typeEPNSO_ISJ_E10value_typeEPSK_NS1_7vsmem_tEENKUlT_SI_SJ_SK_E_clIPdSD_S10_SD_EESH_SX_SI_SJ_SK_EUlSX_E0_NS1_11comp_targetILNS1_3genE4ELNS1_11target_archE910ELNS1_3gpuE8ELNS1_3repE0EEENS1_38merge_mergepath_config_static_selectorELNS0_4arch9wavefront6targetE1EEEvSJ_
	.globl	_ZN7rocprim17ROCPRIM_400000_NS6detail17trampoline_kernelINS0_14default_configENS1_38merge_sort_block_merge_config_selectorIddEEZZNS1_27merge_sort_block_merge_implIS3_N6thrust23THRUST_200600_302600_NS6detail15normal_iteratorINS8_10device_ptrIdEEEESD_jNS1_19radix_merge_compareILb0ELb0EdNS0_19identity_decomposerEEEEE10hipError_tT0_T1_T2_jT3_P12ihipStream_tbPNSt15iterator_traitsISI_E10value_typeEPNSO_ISJ_E10value_typeEPSK_NS1_7vsmem_tEENKUlT_SI_SJ_SK_E_clIPdSD_S10_SD_EESH_SX_SI_SJ_SK_EUlSX_E0_NS1_11comp_targetILNS1_3genE4ELNS1_11target_archE910ELNS1_3gpuE8ELNS1_3repE0EEENS1_38merge_mergepath_config_static_selectorELNS0_4arch9wavefront6targetE1EEEvSJ_
	.p2align	8
	.type	_ZN7rocprim17ROCPRIM_400000_NS6detail17trampoline_kernelINS0_14default_configENS1_38merge_sort_block_merge_config_selectorIddEEZZNS1_27merge_sort_block_merge_implIS3_N6thrust23THRUST_200600_302600_NS6detail15normal_iteratorINS8_10device_ptrIdEEEESD_jNS1_19radix_merge_compareILb0ELb0EdNS0_19identity_decomposerEEEEE10hipError_tT0_T1_T2_jT3_P12ihipStream_tbPNSt15iterator_traitsISI_E10value_typeEPNSO_ISJ_E10value_typeEPSK_NS1_7vsmem_tEENKUlT_SI_SJ_SK_E_clIPdSD_S10_SD_EESH_SX_SI_SJ_SK_EUlSX_E0_NS1_11comp_targetILNS1_3genE4ELNS1_11target_archE910ELNS1_3gpuE8ELNS1_3repE0EEENS1_38merge_mergepath_config_static_selectorELNS0_4arch9wavefront6targetE1EEEvSJ_,@function
_ZN7rocprim17ROCPRIM_400000_NS6detail17trampoline_kernelINS0_14default_configENS1_38merge_sort_block_merge_config_selectorIddEEZZNS1_27merge_sort_block_merge_implIS3_N6thrust23THRUST_200600_302600_NS6detail15normal_iteratorINS8_10device_ptrIdEEEESD_jNS1_19radix_merge_compareILb0ELb0EdNS0_19identity_decomposerEEEEE10hipError_tT0_T1_T2_jT3_P12ihipStream_tbPNSt15iterator_traitsISI_E10value_typeEPNSO_ISJ_E10value_typeEPSK_NS1_7vsmem_tEENKUlT_SI_SJ_SK_E_clIPdSD_S10_SD_EESH_SX_SI_SJ_SK_EUlSX_E0_NS1_11comp_targetILNS1_3genE4ELNS1_11target_archE910ELNS1_3gpuE8ELNS1_3repE0EEENS1_38merge_mergepath_config_static_selectorELNS0_4arch9wavefront6targetE1EEEvSJ_: ; @_ZN7rocprim17ROCPRIM_400000_NS6detail17trampoline_kernelINS0_14default_configENS1_38merge_sort_block_merge_config_selectorIddEEZZNS1_27merge_sort_block_merge_implIS3_N6thrust23THRUST_200600_302600_NS6detail15normal_iteratorINS8_10device_ptrIdEEEESD_jNS1_19radix_merge_compareILb0ELb0EdNS0_19identity_decomposerEEEEE10hipError_tT0_T1_T2_jT3_P12ihipStream_tbPNSt15iterator_traitsISI_E10value_typeEPNSO_ISJ_E10value_typeEPSK_NS1_7vsmem_tEENKUlT_SI_SJ_SK_E_clIPdSD_S10_SD_EESH_SX_SI_SJ_SK_EUlSX_E0_NS1_11comp_targetILNS1_3genE4ELNS1_11target_archE910ELNS1_3gpuE8ELNS1_3repE0EEENS1_38merge_mergepath_config_static_selectorELNS0_4arch9wavefront6targetE1EEEvSJ_
; %bb.0:
	.section	.rodata,"a",@progbits
	.p2align	6, 0x0
	.amdhsa_kernel _ZN7rocprim17ROCPRIM_400000_NS6detail17trampoline_kernelINS0_14default_configENS1_38merge_sort_block_merge_config_selectorIddEEZZNS1_27merge_sort_block_merge_implIS3_N6thrust23THRUST_200600_302600_NS6detail15normal_iteratorINS8_10device_ptrIdEEEESD_jNS1_19radix_merge_compareILb0ELb0EdNS0_19identity_decomposerEEEEE10hipError_tT0_T1_T2_jT3_P12ihipStream_tbPNSt15iterator_traitsISI_E10value_typeEPNSO_ISJ_E10value_typeEPSK_NS1_7vsmem_tEENKUlT_SI_SJ_SK_E_clIPdSD_S10_SD_EESH_SX_SI_SJ_SK_EUlSX_E0_NS1_11comp_targetILNS1_3genE4ELNS1_11target_archE910ELNS1_3gpuE8ELNS1_3repE0EEENS1_38merge_mergepath_config_static_selectorELNS0_4arch9wavefront6targetE1EEEvSJ_
		.amdhsa_group_segment_fixed_size 0
		.amdhsa_private_segment_fixed_size 0
		.amdhsa_kernarg_size 64
		.amdhsa_user_sgpr_count 2
		.amdhsa_user_sgpr_dispatch_ptr 0
		.amdhsa_user_sgpr_queue_ptr 0
		.amdhsa_user_sgpr_kernarg_segment_ptr 1
		.amdhsa_user_sgpr_dispatch_id 0
		.amdhsa_user_sgpr_kernarg_preload_length 0
		.amdhsa_user_sgpr_kernarg_preload_offset 0
		.amdhsa_user_sgpr_private_segment_size 0
		.amdhsa_uses_dynamic_stack 0
		.amdhsa_enable_private_segment 0
		.amdhsa_system_sgpr_workgroup_id_x 1
		.amdhsa_system_sgpr_workgroup_id_y 0
		.amdhsa_system_sgpr_workgroup_id_z 0
		.amdhsa_system_sgpr_workgroup_info 0
		.amdhsa_system_vgpr_workitem_id 0
		.amdhsa_next_free_vgpr 1
		.amdhsa_next_free_sgpr 0
		.amdhsa_accum_offset 4
		.amdhsa_reserve_vcc 0
		.amdhsa_float_round_mode_32 0
		.amdhsa_float_round_mode_16_64 0
		.amdhsa_float_denorm_mode_32 3
		.amdhsa_float_denorm_mode_16_64 3
		.amdhsa_dx10_clamp 1
		.amdhsa_ieee_mode 1
		.amdhsa_fp16_overflow 0
		.amdhsa_tg_split 0
		.amdhsa_exception_fp_ieee_invalid_op 0
		.amdhsa_exception_fp_denorm_src 0
		.amdhsa_exception_fp_ieee_div_zero 0
		.amdhsa_exception_fp_ieee_overflow 0
		.amdhsa_exception_fp_ieee_underflow 0
		.amdhsa_exception_fp_ieee_inexact 0
		.amdhsa_exception_int_div_zero 0
	.end_amdhsa_kernel
	.section	.text._ZN7rocprim17ROCPRIM_400000_NS6detail17trampoline_kernelINS0_14default_configENS1_38merge_sort_block_merge_config_selectorIddEEZZNS1_27merge_sort_block_merge_implIS3_N6thrust23THRUST_200600_302600_NS6detail15normal_iteratorINS8_10device_ptrIdEEEESD_jNS1_19radix_merge_compareILb0ELb0EdNS0_19identity_decomposerEEEEE10hipError_tT0_T1_T2_jT3_P12ihipStream_tbPNSt15iterator_traitsISI_E10value_typeEPNSO_ISJ_E10value_typeEPSK_NS1_7vsmem_tEENKUlT_SI_SJ_SK_E_clIPdSD_S10_SD_EESH_SX_SI_SJ_SK_EUlSX_E0_NS1_11comp_targetILNS1_3genE4ELNS1_11target_archE910ELNS1_3gpuE8ELNS1_3repE0EEENS1_38merge_mergepath_config_static_selectorELNS0_4arch9wavefront6targetE1EEEvSJ_,"axG",@progbits,_ZN7rocprim17ROCPRIM_400000_NS6detail17trampoline_kernelINS0_14default_configENS1_38merge_sort_block_merge_config_selectorIddEEZZNS1_27merge_sort_block_merge_implIS3_N6thrust23THRUST_200600_302600_NS6detail15normal_iteratorINS8_10device_ptrIdEEEESD_jNS1_19radix_merge_compareILb0ELb0EdNS0_19identity_decomposerEEEEE10hipError_tT0_T1_T2_jT3_P12ihipStream_tbPNSt15iterator_traitsISI_E10value_typeEPNSO_ISJ_E10value_typeEPSK_NS1_7vsmem_tEENKUlT_SI_SJ_SK_E_clIPdSD_S10_SD_EESH_SX_SI_SJ_SK_EUlSX_E0_NS1_11comp_targetILNS1_3genE4ELNS1_11target_archE910ELNS1_3gpuE8ELNS1_3repE0EEENS1_38merge_mergepath_config_static_selectorELNS0_4arch9wavefront6targetE1EEEvSJ_,comdat
.Lfunc_end36:
	.size	_ZN7rocprim17ROCPRIM_400000_NS6detail17trampoline_kernelINS0_14default_configENS1_38merge_sort_block_merge_config_selectorIddEEZZNS1_27merge_sort_block_merge_implIS3_N6thrust23THRUST_200600_302600_NS6detail15normal_iteratorINS8_10device_ptrIdEEEESD_jNS1_19radix_merge_compareILb0ELb0EdNS0_19identity_decomposerEEEEE10hipError_tT0_T1_T2_jT3_P12ihipStream_tbPNSt15iterator_traitsISI_E10value_typeEPNSO_ISJ_E10value_typeEPSK_NS1_7vsmem_tEENKUlT_SI_SJ_SK_E_clIPdSD_S10_SD_EESH_SX_SI_SJ_SK_EUlSX_E0_NS1_11comp_targetILNS1_3genE4ELNS1_11target_archE910ELNS1_3gpuE8ELNS1_3repE0EEENS1_38merge_mergepath_config_static_selectorELNS0_4arch9wavefront6targetE1EEEvSJ_, .Lfunc_end36-_ZN7rocprim17ROCPRIM_400000_NS6detail17trampoline_kernelINS0_14default_configENS1_38merge_sort_block_merge_config_selectorIddEEZZNS1_27merge_sort_block_merge_implIS3_N6thrust23THRUST_200600_302600_NS6detail15normal_iteratorINS8_10device_ptrIdEEEESD_jNS1_19radix_merge_compareILb0ELb0EdNS0_19identity_decomposerEEEEE10hipError_tT0_T1_T2_jT3_P12ihipStream_tbPNSt15iterator_traitsISI_E10value_typeEPNSO_ISJ_E10value_typeEPSK_NS1_7vsmem_tEENKUlT_SI_SJ_SK_E_clIPdSD_S10_SD_EESH_SX_SI_SJ_SK_EUlSX_E0_NS1_11comp_targetILNS1_3genE4ELNS1_11target_archE910ELNS1_3gpuE8ELNS1_3repE0EEENS1_38merge_mergepath_config_static_selectorELNS0_4arch9wavefront6targetE1EEEvSJ_
                                        ; -- End function
	.set _ZN7rocprim17ROCPRIM_400000_NS6detail17trampoline_kernelINS0_14default_configENS1_38merge_sort_block_merge_config_selectorIddEEZZNS1_27merge_sort_block_merge_implIS3_N6thrust23THRUST_200600_302600_NS6detail15normal_iteratorINS8_10device_ptrIdEEEESD_jNS1_19radix_merge_compareILb0ELb0EdNS0_19identity_decomposerEEEEE10hipError_tT0_T1_T2_jT3_P12ihipStream_tbPNSt15iterator_traitsISI_E10value_typeEPNSO_ISJ_E10value_typeEPSK_NS1_7vsmem_tEENKUlT_SI_SJ_SK_E_clIPdSD_S10_SD_EESH_SX_SI_SJ_SK_EUlSX_E0_NS1_11comp_targetILNS1_3genE4ELNS1_11target_archE910ELNS1_3gpuE8ELNS1_3repE0EEENS1_38merge_mergepath_config_static_selectorELNS0_4arch9wavefront6targetE1EEEvSJ_.num_vgpr, 0
	.set _ZN7rocprim17ROCPRIM_400000_NS6detail17trampoline_kernelINS0_14default_configENS1_38merge_sort_block_merge_config_selectorIddEEZZNS1_27merge_sort_block_merge_implIS3_N6thrust23THRUST_200600_302600_NS6detail15normal_iteratorINS8_10device_ptrIdEEEESD_jNS1_19radix_merge_compareILb0ELb0EdNS0_19identity_decomposerEEEEE10hipError_tT0_T1_T2_jT3_P12ihipStream_tbPNSt15iterator_traitsISI_E10value_typeEPNSO_ISJ_E10value_typeEPSK_NS1_7vsmem_tEENKUlT_SI_SJ_SK_E_clIPdSD_S10_SD_EESH_SX_SI_SJ_SK_EUlSX_E0_NS1_11comp_targetILNS1_3genE4ELNS1_11target_archE910ELNS1_3gpuE8ELNS1_3repE0EEENS1_38merge_mergepath_config_static_selectorELNS0_4arch9wavefront6targetE1EEEvSJ_.num_agpr, 0
	.set _ZN7rocprim17ROCPRIM_400000_NS6detail17trampoline_kernelINS0_14default_configENS1_38merge_sort_block_merge_config_selectorIddEEZZNS1_27merge_sort_block_merge_implIS3_N6thrust23THRUST_200600_302600_NS6detail15normal_iteratorINS8_10device_ptrIdEEEESD_jNS1_19radix_merge_compareILb0ELb0EdNS0_19identity_decomposerEEEEE10hipError_tT0_T1_T2_jT3_P12ihipStream_tbPNSt15iterator_traitsISI_E10value_typeEPNSO_ISJ_E10value_typeEPSK_NS1_7vsmem_tEENKUlT_SI_SJ_SK_E_clIPdSD_S10_SD_EESH_SX_SI_SJ_SK_EUlSX_E0_NS1_11comp_targetILNS1_3genE4ELNS1_11target_archE910ELNS1_3gpuE8ELNS1_3repE0EEENS1_38merge_mergepath_config_static_selectorELNS0_4arch9wavefront6targetE1EEEvSJ_.numbered_sgpr, 0
	.set _ZN7rocprim17ROCPRIM_400000_NS6detail17trampoline_kernelINS0_14default_configENS1_38merge_sort_block_merge_config_selectorIddEEZZNS1_27merge_sort_block_merge_implIS3_N6thrust23THRUST_200600_302600_NS6detail15normal_iteratorINS8_10device_ptrIdEEEESD_jNS1_19radix_merge_compareILb0ELb0EdNS0_19identity_decomposerEEEEE10hipError_tT0_T1_T2_jT3_P12ihipStream_tbPNSt15iterator_traitsISI_E10value_typeEPNSO_ISJ_E10value_typeEPSK_NS1_7vsmem_tEENKUlT_SI_SJ_SK_E_clIPdSD_S10_SD_EESH_SX_SI_SJ_SK_EUlSX_E0_NS1_11comp_targetILNS1_3genE4ELNS1_11target_archE910ELNS1_3gpuE8ELNS1_3repE0EEENS1_38merge_mergepath_config_static_selectorELNS0_4arch9wavefront6targetE1EEEvSJ_.num_named_barrier, 0
	.set _ZN7rocprim17ROCPRIM_400000_NS6detail17trampoline_kernelINS0_14default_configENS1_38merge_sort_block_merge_config_selectorIddEEZZNS1_27merge_sort_block_merge_implIS3_N6thrust23THRUST_200600_302600_NS6detail15normal_iteratorINS8_10device_ptrIdEEEESD_jNS1_19radix_merge_compareILb0ELb0EdNS0_19identity_decomposerEEEEE10hipError_tT0_T1_T2_jT3_P12ihipStream_tbPNSt15iterator_traitsISI_E10value_typeEPNSO_ISJ_E10value_typeEPSK_NS1_7vsmem_tEENKUlT_SI_SJ_SK_E_clIPdSD_S10_SD_EESH_SX_SI_SJ_SK_EUlSX_E0_NS1_11comp_targetILNS1_3genE4ELNS1_11target_archE910ELNS1_3gpuE8ELNS1_3repE0EEENS1_38merge_mergepath_config_static_selectorELNS0_4arch9wavefront6targetE1EEEvSJ_.private_seg_size, 0
	.set _ZN7rocprim17ROCPRIM_400000_NS6detail17trampoline_kernelINS0_14default_configENS1_38merge_sort_block_merge_config_selectorIddEEZZNS1_27merge_sort_block_merge_implIS3_N6thrust23THRUST_200600_302600_NS6detail15normal_iteratorINS8_10device_ptrIdEEEESD_jNS1_19radix_merge_compareILb0ELb0EdNS0_19identity_decomposerEEEEE10hipError_tT0_T1_T2_jT3_P12ihipStream_tbPNSt15iterator_traitsISI_E10value_typeEPNSO_ISJ_E10value_typeEPSK_NS1_7vsmem_tEENKUlT_SI_SJ_SK_E_clIPdSD_S10_SD_EESH_SX_SI_SJ_SK_EUlSX_E0_NS1_11comp_targetILNS1_3genE4ELNS1_11target_archE910ELNS1_3gpuE8ELNS1_3repE0EEENS1_38merge_mergepath_config_static_selectorELNS0_4arch9wavefront6targetE1EEEvSJ_.uses_vcc, 0
	.set _ZN7rocprim17ROCPRIM_400000_NS6detail17trampoline_kernelINS0_14default_configENS1_38merge_sort_block_merge_config_selectorIddEEZZNS1_27merge_sort_block_merge_implIS3_N6thrust23THRUST_200600_302600_NS6detail15normal_iteratorINS8_10device_ptrIdEEEESD_jNS1_19radix_merge_compareILb0ELb0EdNS0_19identity_decomposerEEEEE10hipError_tT0_T1_T2_jT3_P12ihipStream_tbPNSt15iterator_traitsISI_E10value_typeEPNSO_ISJ_E10value_typeEPSK_NS1_7vsmem_tEENKUlT_SI_SJ_SK_E_clIPdSD_S10_SD_EESH_SX_SI_SJ_SK_EUlSX_E0_NS1_11comp_targetILNS1_3genE4ELNS1_11target_archE910ELNS1_3gpuE8ELNS1_3repE0EEENS1_38merge_mergepath_config_static_selectorELNS0_4arch9wavefront6targetE1EEEvSJ_.uses_flat_scratch, 0
	.set _ZN7rocprim17ROCPRIM_400000_NS6detail17trampoline_kernelINS0_14default_configENS1_38merge_sort_block_merge_config_selectorIddEEZZNS1_27merge_sort_block_merge_implIS3_N6thrust23THRUST_200600_302600_NS6detail15normal_iteratorINS8_10device_ptrIdEEEESD_jNS1_19radix_merge_compareILb0ELb0EdNS0_19identity_decomposerEEEEE10hipError_tT0_T1_T2_jT3_P12ihipStream_tbPNSt15iterator_traitsISI_E10value_typeEPNSO_ISJ_E10value_typeEPSK_NS1_7vsmem_tEENKUlT_SI_SJ_SK_E_clIPdSD_S10_SD_EESH_SX_SI_SJ_SK_EUlSX_E0_NS1_11comp_targetILNS1_3genE4ELNS1_11target_archE910ELNS1_3gpuE8ELNS1_3repE0EEENS1_38merge_mergepath_config_static_selectorELNS0_4arch9wavefront6targetE1EEEvSJ_.has_dyn_sized_stack, 0
	.set _ZN7rocprim17ROCPRIM_400000_NS6detail17trampoline_kernelINS0_14default_configENS1_38merge_sort_block_merge_config_selectorIddEEZZNS1_27merge_sort_block_merge_implIS3_N6thrust23THRUST_200600_302600_NS6detail15normal_iteratorINS8_10device_ptrIdEEEESD_jNS1_19radix_merge_compareILb0ELb0EdNS0_19identity_decomposerEEEEE10hipError_tT0_T1_T2_jT3_P12ihipStream_tbPNSt15iterator_traitsISI_E10value_typeEPNSO_ISJ_E10value_typeEPSK_NS1_7vsmem_tEENKUlT_SI_SJ_SK_E_clIPdSD_S10_SD_EESH_SX_SI_SJ_SK_EUlSX_E0_NS1_11comp_targetILNS1_3genE4ELNS1_11target_archE910ELNS1_3gpuE8ELNS1_3repE0EEENS1_38merge_mergepath_config_static_selectorELNS0_4arch9wavefront6targetE1EEEvSJ_.has_recursion, 0
	.set _ZN7rocprim17ROCPRIM_400000_NS6detail17trampoline_kernelINS0_14default_configENS1_38merge_sort_block_merge_config_selectorIddEEZZNS1_27merge_sort_block_merge_implIS3_N6thrust23THRUST_200600_302600_NS6detail15normal_iteratorINS8_10device_ptrIdEEEESD_jNS1_19radix_merge_compareILb0ELb0EdNS0_19identity_decomposerEEEEE10hipError_tT0_T1_T2_jT3_P12ihipStream_tbPNSt15iterator_traitsISI_E10value_typeEPNSO_ISJ_E10value_typeEPSK_NS1_7vsmem_tEENKUlT_SI_SJ_SK_E_clIPdSD_S10_SD_EESH_SX_SI_SJ_SK_EUlSX_E0_NS1_11comp_targetILNS1_3genE4ELNS1_11target_archE910ELNS1_3gpuE8ELNS1_3repE0EEENS1_38merge_mergepath_config_static_selectorELNS0_4arch9wavefront6targetE1EEEvSJ_.has_indirect_call, 0
	.section	.AMDGPU.csdata,"",@progbits
; Kernel info:
; codeLenInByte = 0
; TotalNumSgprs: 6
; NumVgprs: 0
; NumAgprs: 0
; TotalNumVgprs: 0
; ScratchSize: 0
; MemoryBound: 0
; FloatMode: 240
; IeeeMode: 1
; LDSByteSize: 0 bytes/workgroup (compile time only)
; SGPRBlocks: 0
; VGPRBlocks: 0
; NumSGPRsForWavesPerEU: 6
; NumVGPRsForWavesPerEU: 1
; AccumOffset: 4
; Occupancy: 8
; WaveLimiterHint : 0
; COMPUTE_PGM_RSRC2:SCRATCH_EN: 0
; COMPUTE_PGM_RSRC2:USER_SGPR: 2
; COMPUTE_PGM_RSRC2:TRAP_HANDLER: 0
; COMPUTE_PGM_RSRC2:TGID_X_EN: 1
; COMPUTE_PGM_RSRC2:TGID_Y_EN: 0
; COMPUTE_PGM_RSRC2:TGID_Z_EN: 0
; COMPUTE_PGM_RSRC2:TIDIG_COMP_CNT: 0
; COMPUTE_PGM_RSRC3_GFX90A:ACCUM_OFFSET: 0
; COMPUTE_PGM_RSRC3_GFX90A:TG_SPLIT: 0
	.section	.text._ZN7rocprim17ROCPRIM_400000_NS6detail17trampoline_kernelINS0_14default_configENS1_38merge_sort_block_merge_config_selectorIddEEZZNS1_27merge_sort_block_merge_implIS3_N6thrust23THRUST_200600_302600_NS6detail15normal_iteratorINS8_10device_ptrIdEEEESD_jNS1_19radix_merge_compareILb0ELb0EdNS0_19identity_decomposerEEEEE10hipError_tT0_T1_T2_jT3_P12ihipStream_tbPNSt15iterator_traitsISI_E10value_typeEPNSO_ISJ_E10value_typeEPSK_NS1_7vsmem_tEENKUlT_SI_SJ_SK_E_clIPdSD_S10_SD_EESH_SX_SI_SJ_SK_EUlSX_E0_NS1_11comp_targetILNS1_3genE3ELNS1_11target_archE908ELNS1_3gpuE7ELNS1_3repE0EEENS1_38merge_mergepath_config_static_selectorELNS0_4arch9wavefront6targetE1EEEvSJ_,"axG",@progbits,_ZN7rocprim17ROCPRIM_400000_NS6detail17trampoline_kernelINS0_14default_configENS1_38merge_sort_block_merge_config_selectorIddEEZZNS1_27merge_sort_block_merge_implIS3_N6thrust23THRUST_200600_302600_NS6detail15normal_iteratorINS8_10device_ptrIdEEEESD_jNS1_19radix_merge_compareILb0ELb0EdNS0_19identity_decomposerEEEEE10hipError_tT0_T1_T2_jT3_P12ihipStream_tbPNSt15iterator_traitsISI_E10value_typeEPNSO_ISJ_E10value_typeEPSK_NS1_7vsmem_tEENKUlT_SI_SJ_SK_E_clIPdSD_S10_SD_EESH_SX_SI_SJ_SK_EUlSX_E0_NS1_11comp_targetILNS1_3genE3ELNS1_11target_archE908ELNS1_3gpuE7ELNS1_3repE0EEENS1_38merge_mergepath_config_static_selectorELNS0_4arch9wavefront6targetE1EEEvSJ_,comdat
	.protected	_ZN7rocprim17ROCPRIM_400000_NS6detail17trampoline_kernelINS0_14default_configENS1_38merge_sort_block_merge_config_selectorIddEEZZNS1_27merge_sort_block_merge_implIS3_N6thrust23THRUST_200600_302600_NS6detail15normal_iteratorINS8_10device_ptrIdEEEESD_jNS1_19radix_merge_compareILb0ELb0EdNS0_19identity_decomposerEEEEE10hipError_tT0_T1_T2_jT3_P12ihipStream_tbPNSt15iterator_traitsISI_E10value_typeEPNSO_ISJ_E10value_typeEPSK_NS1_7vsmem_tEENKUlT_SI_SJ_SK_E_clIPdSD_S10_SD_EESH_SX_SI_SJ_SK_EUlSX_E0_NS1_11comp_targetILNS1_3genE3ELNS1_11target_archE908ELNS1_3gpuE7ELNS1_3repE0EEENS1_38merge_mergepath_config_static_selectorELNS0_4arch9wavefront6targetE1EEEvSJ_ ; -- Begin function _ZN7rocprim17ROCPRIM_400000_NS6detail17trampoline_kernelINS0_14default_configENS1_38merge_sort_block_merge_config_selectorIddEEZZNS1_27merge_sort_block_merge_implIS3_N6thrust23THRUST_200600_302600_NS6detail15normal_iteratorINS8_10device_ptrIdEEEESD_jNS1_19radix_merge_compareILb0ELb0EdNS0_19identity_decomposerEEEEE10hipError_tT0_T1_T2_jT3_P12ihipStream_tbPNSt15iterator_traitsISI_E10value_typeEPNSO_ISJ_E10value_typeEPSK_NS1_7vsmem_tEENKUlT_SI_SJ_SK_E_clIPdSD_S10_SD_EESH_SX_SI_SJ_SK_EUlSX_E0_NS1_11comp_targetILNS1_3genE3ELNS1_11target_archE908ELNS1_3gpuE7ELNS1_3repE0EEENS1_38merge_mergepath_config_static_selectorELNS0_4arch9wavefront6targetE1EEEvSJ_
	.globl	_ZN7rocprim17ROCPRIM_400000_NS6detail17trampoline_kernelINS0_14default_configENS1_38merge_sort_block_merge_config_selectorIddEEZZNS1_27merge_sort_block_merge_implIS3_N6thrust23THRUST_200600_302600_NS6detail15normal_iteratorINS8_10device_ptrIdEEEESD_jNS1_19radix_merge_compareILb0ELb0EdNS0_19identity_decomposerEEEEE10hipError_tT0_T1_T2_jT3_P12ihipStream_tbPNSt15iterator_traitsISI_E10value_typeEPNSO_ISJ_E10value_typeEPSK_NS1_7vsmem_tEENKUlT_SI_SJ_SK_E_clIPdSD_S10_SD_EESH_SX_SI_SJ_SK_EUlSX_E0_NS1_11comp_targetILNS1_3genE3ELNS1_11target_archE908ELNS1_3gpuE7ELNS1_3repE0EEENS1_38merge_mergepath_config_static_selectorELNS0_4arch9wavefront6targetE1EEEvSJ_
	.p2align	8
	.type	_ZN7rocprim17ROCPRIM_400000_NS6detail17trampoline_kernelINS0_14default_configENS1_38merge_sort_block_merge_config_selectorIddEEZZNS1_27merge_sort_block_merge_implIS3_N6thrust23THRUST_200600_302600_NS6detail15normal_iteratorINS8_10device_ptrIdEEEESD_jNS1_19radix_merge_compareILb0ELb0EdNS0_19identity_decomposerEEEEE10hipError_tT0_T1_T2_jT3_P12ihipStream_tbPNSt15iterator_traitsISI_E10value_typeEPNSO_ISJ_E10value_typeEPSK_NS1_7vsmem_tEENKUlT_SI_SJ_SK_E_clIPdSD_S10_SD_EESH_SX_SI_SJ_SK_EUlSX_E0_NS1_11comp_targetILNS1_3genE3ELNS1_11target_archE908ELNS1_3gpuE7ELNS1_3repE0EEENS1_38merge_mergepath_config_static_selectorELNS0_4arch9wavefront6targetE1EEEvSJ_,@function
_ZN7rocprim17ROCPRIM_400000_NS6detail17trampoline_kernelINS0_14default_configENS1_38merge_sort_block_merge_config_selectorIddEEZZNS1_27merge_sort_block_merge_implIS3_N6thrust23THRUST_200600_302600_NS6detail15normal_iteratorINS8_10device_ptrIdEEEESD_jNS1_19radix_merge_compareILb0ELb0EdNS0_19identity_decomposerEEEEE10hipError_tT0_T1_T2_jT3_P12ihipStream_tbPNSt15iterator_traitsISI_E10value_typeEPNSO_ISJ_E10value_typeEPSK_NS1_7vsmem_tEENKUlT_SI_SJ_SK_E_clIPdSD_S10_SD_EESH_SX_SI_SJ_SK_EUlSX_E0_NS1_11comp_targetILNS1_3genE3ELNS1_11target_archE908ELNS1_3gpuE7ELNS1_3repE0EEENS1_38merge_mergepath_config_static_selectorELNS0_4arch9wavefront6targetE1EEEvSJ_: ; @_ZN7rocprim17ROCPRIM_400000_NS6detail17trampoline_kernelINS0_14default_configENS1_38merge_sort_block_merge_config_selectorIddEEZZNS1_27merge_sort_block_merge_implIS3_N6thrust23THRUST_200600_302600_NS6detail15normal_iteratorINS8_10device_ptrIdEEEESD_jNS1_19radix_merge_compareILb0ELb0EdNS0_19identity_decomposerEEEEE10hipError_tT0_T1_T2_jT3_P12ihipStream_tbPNSt15iterator_traitsISI_E10value_typeEPNSO_ISJ_E10value_typeEPSK_NS1_7vsmem_tEENKUlT_SI_SJ_SK_E_clIPdSD_S10_SD_EESH_SX_SI_SJ_SK_EUlSX_E0_NS1_11comp_targetILNS1_3genE3ELNS1_11target_archE908ELNS1_3gpuE7ELNS1_3repE0EEENS1_38merge_mergepath_config_static_selectorELNS0_4arch9wavefront6targetE1EEEvSJ_
; %bb.0:
	.section	.rodata,"a",@progbits
	.p2align	6, 0x0
	.amdhsa_kernel _ZN7rocprim17ROCPRIM_400000_NS6detail17trampoline_kernelINS0_14default_configENS1_38merge_sort_block_merge_config_selectorIddEEZZNS1_27merge_sort_block_merge_implIS3_N6thrust23THRUST_200600_302600_NS6detail15normal_iteratorINS8_10device_ptrIdEEEESD_jNS1_19radix_merge_compareILb0ELb0EdNS0_19identity_decomposerEEEEE10hipError_tT0_T1_T2_jT3_P12ihipStream_tbPNSt15iterator_traitsISI_E10value_typeEPNSO_ISJ_E10value_typeEPSK_NS1_7vsmem_tEENKUlT_SI_SJ_SK_E_clIPdSD_S10_SD_EESH_SX_SI_SJ_SK_EUlSX_E0_NS1_11comp_targetILNS1_3genE3ELNS1_11target_archE908ELNS1_3gpuE7ELNS1_3repE0EEENS1_38merge_mergepath_config_static_selectorELNS0_4arch9wavefront6targetE1EEEvSJ_
		.amdhsa_group_segment_fixed_size 0
		.amdhsa_private_segment_fixed_size 0
		.amdhsa_kernarg_size 64
		.amdhsa_user_sgpr_count 2
		.amdhsa_user_sgpr_dispatch_ptr 0
		.amdhsa_user_sgpr_queue_ptr 0
		.amdhsa_user_sgpr_kernarg_segment_ptr 1
		.amdhsa_user_sgpr_dispatch_id 0
		.amdhsa_user_sgpr_kernarg_preload_length 0
		.amdhsa_user_sgpr_kernarg_preload_offset 0
		.amdhsa_user_sgpr_private_segment_size 0
		.amdhsa_uses_dynamic_stack 0
		.amdhsa_enable_private_segment 0
		.amdhsa_system_sgpr_workgroup_id_x 1
		.amdhsa_system_sgpr_workgroup_id_y 0
		.amdhsa_system_sgpr_workgroup_id_z 0
		.amdhsa_system_sgpr_workgroup_info 0
		.amdhsa_system_vgpr_workitem_id 0
		.amdhsa_next_free_vgpr 1
		.amdhsa_next_free_sgpr 0
		.amdhsa_accum_offset 4
		.amdhsa_reserve_vcc 0
		.amdhsa_float_round_mode_32 0
		.amdhsa_float_round_mode_16_64 0
		.amdhsa_float_denorm_mode_32 3
		.amdhsa_float_denorm_mode_16_64 3
		.amdhsa_dx10_clamp 1
		.amdhsa_ieee_mode 1
		.amdhsa_fp16_overflow 0
		.amdhsa_tg_split 0
		.amdhsa_exception_fp_ieee_invalid_op 0
		.amdhsa_exception_fp_denorm_src 0
		.amdhsa_exception_fp_ieee_div_zero 0
		.amdhsa_exception_fp_ieee_overflow 0
		.amdhsa_exception_fp_ieee_underflow 0
		.amdhsa_exception_fp_ieee_inexact 0
		.amdhsa_exception_int_div_zero 0
	.end_amdhsa_kernel
	.section	.text._ZN7rocprim17ROCPRIM_400000_NS6detail17trampoline_kernelINS0_14default_configENS1_38merge_sort_block_merge_config_selectorIddEEZZNS1_27merge_sort_block_merge_implIS3_N6thrust23THRUST_200600_302600_NS6detail15normal_iteratorINS8_10device_ptrIdEEEESD_jNS1_19radix_merge_compareILb0ELb0EdNS0_19identity_decomposerEEEEE10hipError_tT0_T1_T2_jT3_P12ihipStream_tbPNSt15iterator_traitsISI_E10value_typeEPNSO_ISJ_E10value_typeEPSK_NS1_7vsmem_tEENKUlT_SI_SJ_SK_E_clIPdSD_S10_SD_EESH_SX_SI_SJ_SK_EUlSX_E0_NS1_11comp_targetILNS1_3genE3ELNS1_11target_archE908ELNS1_3gpuE7ELNS1_3repE0EEENS1_38merge_mergepath_config_static_selectorELNS0_4arch9wavefront6targetE1EEEvSJ_,"axG",@progbits,_ZN7rocprim17ROCPRIM_400000_NS6detail17trampoline_kernelINS0_14default_configENS1_38merge_sort_block_merge_config_selectorIddEEZZNS1_27merge_sort_block_merge_implIS3_N6thrust23THRUST_200600_302600_NS6detail15normal_iteratorINS8_10device_ptrIdEEEESD_jNS1_19radix_merge_compareILb0ELb0EdNS0_19identity_decomposerEEEEE10hipError_tT0_T1_T2_jT3_P12ihipStream_tbPNSt15iterator_traitsISI_E10value_typeEPNSO_ISJ_E10value_typeEPSK_NS1_7vsmem_tEENKUlT_SI_SJ_SK_E_clIPdSD_S10_SD_EESH_SX_SI_SJ_SK_EUlSX_E0_NS1_11comp_targetILNS1_3genE3ELNS1_11target_archE908ELNS1_3gpuE7ELNS1_3repE0EEENS1_38merge_mergepath_config_static_selectorELNS0_4arch9wavefront6targetE1EEEvSJ_,comdat
.Lfunc_end37:
	.size	_ZN7rocprim17ROCPRIM_400000_NS6detail17trampoline_kernelINS0_14default_configENS1_38merge_sort_block_merge_config_selectorIddEEZZNS1_27merge_sort_block_merge_implIS3_N6thrust23THRUST_200600_302600_NS6detail15normal_iteratorINS8_10device_ptrIdEEEESD_jNS1_19radix_merge_compareILb0ELb0EdNS0_19identity_decomposerEEEEE10hipError_tT0_T1_T2_jT3_P12ihipStream_tbPNSt15iterator_traitsISI_E10value_typeEPNSO_ISJ_E10value_typeEPSK_NS1_7vsmem_tEENKUlT_SI_SJ_SK_E_clIPdSD_S10_SD_EESH_SX_SI_SJ_SK_EUlSX_E0_NS1_11comp_targetILNS1_3genE3ELNS1_11target_archE908ELNS1_3gpuE7ELNS1_3repE0EEENS1_38merge_mergepath_config_static_selectorELNS0_4arch9wavefront6targetE1EEEvSJ_, .Lfunc_end37-_ZN7rocprim17ROCPRIM_400000_NS6detail17trampoline_kernelINS0_14default_configENS1_38merge_sort_block_merge_config_selectorIddEEZZNS1_27merge_sort_block_merge_implIS3_N6thrust23THRUST_200600_302600_NS6detail15normal_iteratorINS8_10device_ptrIdEEEESD_jNS1_19radix_merge_compareILb0ELb0EdNS0_19identity_decomposerEEEEE10hipError_tT0_T1_T2_jT3_P12ihipStream_tbPNSt15iterator_traitsISI_E10value_typeEPNSO_ISJ_E10value_typeEPSK_NS1_7vsmem_tEENKUlT_SI_SJ_SK_E_clIPdSD_S10_SD_EESH_SX_SI_SJ_SK_EUlSX_E0_NS1_11comp_targetILNS1_3genE3ELNS1_11target_archE908ELNS1_3gpuE7ELNS1_3repE0EEENS1_38merge_mergepath_config_static_selectorELNS0_4arch9wavefront6targetE1EEEvSJ_
                                        ; -- End function
	.set _ZN7rocprim17ROCPRIM_400000_NS6detail17trampoline_kernelINS0_14default_configENS1_38merge_sort_block_merge_config_selectorIddEEZZNS1_27merge_sort_block_merge_implIS3_N6thrust23THRUST_200600_302600_NS6detail15normal_iteratorINS8_10device_ptrIdEEEESD_jNS1_19radix_merge_compareILb0ELb0EdNS0_19identity_decomposerEEEEE10hipError_tT0_T1_T2_jT3_P12ihipStream_tbPNSt15iterator_traitsISI_E10value_typeEPNSO_ISJ_E10value_typeEPSK_NS1_7vsmem_tEENKUlT_SI_SJ_SK_E_clIPdSD_S10_SD_EESH_SX_SI_SJ_SK_EUlSX_E0_NS1_11comp_targetILNS1_3genE3ELNS1_11target_archE908ELNS1_3gpuE7ELNS1_3repE0EEENS1_38merge_mergepath_config_static_selectorELNS0_4arch9wavefront6targetE1EEEvSJ_.num_vgpr, 0
	.set _ZN7rocprim17ROCPRIM_400000_NS6detail17trampoline_kernelINS0_14default_configENS1_38merge_sort_block_merge_config_selectorIddEEZZNS1_27merge_sort_block_merge_implIS3_N6thrust23THRUST_200600_302600_NS6detail15normal_iteratorINS8_10device_ptrIdEEEESD_jNS1_19radix_merge_compareILb0ELb0EdNS0_19identity_decomposerEEEEE10hipError_tT0_T1_T2_jT3_P12ihipStream_tbPNSt15iterator_traitsISI_E10value_typeEPNSO_ISJ_E10value_typeEPSK_NS1_7vsmem_tEENKUlT_SI_SJ_SK_E_clIPdSD_S10_SD_EESH_SX_SI_SJ_SK_EUlSX_E0_NS1_11comp_targetILNS1_3genE3ELNS1_11target_archE908ELNS1_3gpuE7ELNS1_3repE0EEENS1_38merge_mergepath_config_static_selectorELNS0_4arch9wavefront6targetE1EEEvSJ_.num_agpr, 0
	.set _ZN7rocprim17ROCPRIM_400000_NS6detail17trampoline_kernelINS0_14default_configENS1_38merge_sort_block_merge_config_selectorIddEEZZNS1_27merge_sort_block_merge_implIS3_N6thrust23THRUST_200600_302600_NS6detail15normal_iteratorINS8_10device_ptrIdEEEESD_jNS1_19radix_merge_compareILb0ELb0EdNS0_19identity_decomposerEEEEE10hipError_tT0_T1_T2_jT3_P12ihipStream_tbPNSt15iterator_traitsISI_E10value_typeEPNSO_ISJ_E10value_typeEPSK_NS1_7vsmem_tEENKUlT_SI_SJ_SK_E_clIPdSD_S10_SD_EESH_SX_SI_SJ_SK_EUlSX_E0_NS1_11comp_targetILNS1_3genE3ELNS1_11target_archE908ELNS1_3gpuE7ELNS1_3repE0EEENS1_38merge_mergepath_config_static_selectorELNS0_4arch9wavefront6targetE1EEEvSJ_.numbered_sgpr, 0
	.set _ZN7rocprim17ROCPRIM_400000_NS6detail17trampoline_kernelINS0_14default_configENS1_38merge_sort_block_merge_config_selectorIddEEZZNS1_27merge_sort_block_merge_implIS3_N6thrust23THRUST_200600_302600_NS6detail15normal_iteratorINS8_10device_ptrIdEEEESD_jNS1_19radix_merge_compareILb0ELb0EdNS0_19identity_decomposerEEEEE10hipError_tT0_T1_T2_jT3_P12ihipStream_tbPNSt15iterator_traitsISI_E10value_typeEPNSO_ISJ_E10value_typeEPSK_NS1_7vsmem_tEENKUlT_SI_SJ_SK_E_clIPdSD_S10_SD_EESH_SX_SI_SJ_SK_EUlSX_E0_NS1_11comp_targetILNS1_3genE3ELNS1_11target_archE908ELNS1_3gpuE7ELNS1_3repE0EEENS1_38merge_mergepath_config_static_selectorELNS0_4arch9wavefront6targetE1EEEvSJ_.num_named_barrier, 0
	.set _ZN7rocprim17ROCPRIM_400000_NS6detail17trampoline_kernelINS0_14default_configENS1_38merge_sort_block_merge_config_selectorIddEEZZNS1_27merge_sort_block_merge_implIS3_N6thrust23THRUST_200600_302600_NS6detail15normal_iteratorINS8_10device_ptrIdEEEESD_jNS1_19radix_merge_compareILb0ELb0EdNS0_19identity_decomposerEEEEE10hipError_tT0_T1_T2_jT3_P12ihipStream_tbPNSt15iterator_traitsISI_E10value_typeEPNSO_ISJ_E10value_typeEPSK_NS1_7vsmem_tEENKUlT_SI_SJ_SK_E_clIPdSD_S10_SD_EESH_SX_SI_SJ_SK_EUlSX_E0_NS1_11comp_targetILNS1_3genE3ELNS1_11target_archE908ELNS1_3gpuE7ELNS1_3repE0EEENS1_38merge_mergepath_config_static_selectorELNS0_4arch9wavefront6targetE1EEEvSJ_.private_seg_size, 0
	.set _ZN7rocprim17ROCPRIM_400000_NS6detail17trampoline_kernelINS0_14default_configENS1_38merge_sort_block_merge_config_selectorIddEEZZNS1_27merge_sort_block_merge_implIS3_N6thrust23THRUST_200600_302600_NS6detail15normal_iteratorINS8_10device_ptrIdEEEESD_jNS1_19radix_merge_compareILb0ELb0EdNS0_19identity_decomposerEEEEE10hipError_tT0_T1_T2_jT3_P12ihipStream_tbPNSt15iterator_traitsISI_E10value_typeEPNSO_ISJ_E10value_typeEPSK_NS1_7vsmem_tEENKUlT_SI_SJ_SK_E_clIPdSD_S10_SD_EESH_SX_SI_SJ_SK_EUlSX_E0_NS1_11comp_targetILNS1_3genE3ELNS1_11target_archE908ELNS1_3gpuE7ELNS1_3repE0EEENS1_38merge_mergepath_config_static_selectorELNS0_4arch9wavefront6targetE1EEEvSJ_.uses_vcc, 0
	.set _ZN7rocprim17ROCPRIM_400000_NS6detail17trampoline_kernelINS0_14default_configENS1_38merge_sort_block_merge_config_selectorIddEEZZNS1_27merge_sort_block_merge_implIS3_N6thrust23THRUST_200600_302600_NS6detail15normal_iteratorINS8_10device_ptrIdEEEESD_jNS1_19radix_merge_compareILb0ELb0EdNS0_19identity_decomposerEEEEE10hipError_tT0_T1_T2_jT3_P12ihipStream_tbPNSt15iterator_traitsISI_E10value_typeEPNSO_ISJ_E10value_typeEPSK_NS1_7vsmem_tEENKUlT_SI_SJ_SK_E_clIPdSD_S10_SD_EESH_SX_SI_SJ_SK_EUlSX_E0_NS1_11comp_targetILNS1_3genE3ELNS1_11target_archE908ELNS1_3gpuE7ELNS1_3repE0EEENS1_38merge_mergepath_config_static_selectorELNS0_4arch9wavefront6targetE1EEEvSJ_.uses_flat_scratch, 0
	.set _ZN7rocprim17ROCPRIM_400000_NS6detail17trampoline_kernelINS0_14default_configENS1_38merge_sort_block_merge_config_selectorIddEEZZNS1_27merge_sort_block_merge_implIS3_N6thrust23THRUST_200600_302600_NS6detail15normal_iteratorINS8_10device_ptrIdEEEESD_jNS1_19radix_merge_compareILb0ELb0EdNS0_19identity_decomposerEEEEE10hipError_tT0_T1_T2_jT3_P12ihipStream_tbPNSt15iterator_traitsISI_E10value_typeEPNSO_ISJ_E10value_typeEPSK_NS1_7vsmem_tEENKUlT_SI_SJ_SK_E_clIPdSD_S10_SD_EESH_SX_SI_SJ_SK_EUlSX_E0_NS1_11comp_targetILNS1_3genE3ELNS1_11target_archE908ELNS1_3gpuE7ELNS1_3repE0EEENS1_38merge_mergepath_config_static_selectorELNS0_4arch9wavefront6targetE1EEEvSJ_.has_dyn_sized_stack, 0
	.set _ZN7rocprim17ROCPRIM_400000_NS6detail17trampoline_kernelINS0_14default_configENS1_38merge_sort_block_merge_config_selectorIddEEZZNS1_27merge_sort_block_merge_implIS3_N6thrust23THRUST_200600_302600_NS6detail15normal_iteratorINS8_10device_ptrIdEEEESD_jNS1_19radix_merge_compareILb0ELb0EdNS0_19identity_decomposerEEEEE10hipError_tT0_T1_T2_jT3_P12ihipStream_tbPNSt15iterator_traitsISI_E10value_typeEPNSO_ISJ_E10value_typeEPSK_NS1_7vsmem_tEENKUlT_SI_SJ_SK_E_clIPdSD_S10_SD_EESH_SX_SI_SJ_SK_EUlSX_E0_NS1_11comp_targetILNS1_3genE3ELNS1_11target_archE908ELNS1_3gpuE7ELNS1_3repE0EEENS1_38merge_mergepath_config_static_selectorELNS0_4arch9wavefront6targetE1EEEvSJ_.has_recursion, 0
	.set _ZN7rocprim17ROCPRIM_400000_NS6detail17trampoline_kernelINS0_14default_configENS1_38merge_sort_block_merge_config_selectorIddEEZZNS1_27merge_sort_block_merge_implIS3_N6thrust23THRUST_200600_302600_NS6detail15normal_iteratorINS8_10device_ptrIdEEEESD_jNS1_19radix_merge_compareILb0ELb0EdNS0_19identity_decomposerEEEEE10hipError_tT0_T1_T2_jT3_P12ihipStream_tbPNSt15iterator_traitsISI_E10value_typeEPNSO_ISJ_E10value_typeEPSK_NS1_7vsmem_tEENKUlT_SI_SJ_SK_E_clIPdSD_S10_SD_EESH_SX_SI_SJ_SK_EUlSX_E0_NS1_11comp_targetILNS1_3genE3ELNS1_11target_archE908ELNS1_3gpuE7ELNS1_3repE0EEENS1_38merge_mergepath_config_static_selectorELNS0_4arch9wavefront6targetE1EEEvSJ_.has_indirect_call, 0
	.section	.AMDGPU.csdata,"",@progbits
; Kernel info:
; codeLenInByte = 0
; TotalNumSgprs: 6
; NumVgprs: 0
; NumAgprs: 0
; TotalNumVgprs: 0
; ScratchSize: 0
; MemoryBound: 0
; FloatMode: 240
; IeeeMode: 1
; LDSByteSize: 0 bytes/workgroup (compile time only)
; SGPRBlocks: 0
; VGPRBlocks: 0
; NumSGPRsForWavesPerEU: 6
; NumVGPRsForWavesPerEU: 1
; AccumOffset: 4
; Occupancy: 8
; WaveLimiterHint : 0
; COMPUTE_PGM_RSRC2:SCRATCH_EN: 0
; COMPUTE_PGM_RSRC2:USER_SGPR: 2
; COMPUTE_PGM_RSRC2:TRAP_HANDLER: 0
; COMPUTE_PGM_RSRC2:TGID_X_EN: 1
; COMPUTE_PGM_RSRC2:TGID_Y_EN: 0
; COMPUTE_PGM_RSRC2:TGID_Z_EN: 0
; COMPUTE_PGM_RSRC2:TIDIG_COMP_CNT: 0
; COMPUTE_PGM_RSRC3_GFX90A:ACCUM_OFFSET: 0
; COMPUTE_PGM_RSRC3_GFX90A:TG_SPLIT: 0
	.section	.text._ZN7rocprim17ROCPRIM_400000_NS6detail17trampoline_kernelINS0_14default_configENS1_38merge_sort_block_merge_config_selectorIddEEZZNS1_27merge_sort_block_merge_implIS3_N6thrust23THRUST_200600_302600_NS6detail15normal_iteratorINS8_10device_ptrIdEEEESD_jNS1_19radix_merge_compareILb0ELb0EdNS0_19identity_decomposerEEEEE10hipError_tT0_T1_T2_jT3_P12ihipStream_tbPNSt15iterator_traitsISI_E10value_typeEPNSO_ISJ_E10value_typeEPSK_NS1_7vsmem_tEENKUlT_SI_SJ_SK_E_clIPdSD_S10_SD_EESH_SX_SI_SJ_SK_EUlSX_E0_NS1_11comp_targetILNS1_3genE2ELNS1_11target_archE906ELNS1_3gpuE6ELNS1_3repE0EEENS1_38merge_mergepath_config_static_selectorELNS0_4arch9wavefront6targetE1EEEvSJ_,"axG",@progbits,_ZN7rocprim17ROCPRIM_400000_NS6detail17trampoline_kernelINS0_14default_configENS1_38merge_sort_block_merge_config_selectorIddEEZZNS1_27merge_sort_block_merge_implIS3_N6thrust23THRUST_200600_302600_NS6detail15normal_iteratorINS8_10device_ptrIdEEEESD_jNS1_19radix_merge_compareILb0ELb0EdNS0_19identity_decomposerEEEEE10hipError_tT0_T1_T2_jT3_P12ihipStream_tbPNSt15iterator_traitsISI_E10value_typeEPNSO_ISJ_E10value_typeEPSK_NS1_7vsmem_tEENKUlT_SI_SJ_SK_E_clIPdSD_S10_SD_EESH_SX_SI_SJ_SK_EUlSX_E0_NS1_11comp_targetILNS1_3genE2ELNS1_11target_archE906ELNS1_3gpuE6ELNS1_3repE0EEENS1_38merge_mergepath_config_static_selectorELNS0_4arch9wavefront6targetE1EEEvSJ_,comdat
	.protected	_ZN7rocprim17ROCPRIM_400000_NS6detail17trampoline_kernelINS0_14default_configENS1_38merge_sort_block_merge_config_selectorIddEEZZNS1_27merge_sort_block_merge_implIS3_N6thrust23THRUST_200600_302600_NS6detail15normal_iteratorINS8_10device_ptrIdEEEESD_jNS1_19radix_merge_compareILb0ELb0EdNS0_19identity_decomposerEEEEE10hipError_tT0_T1_T2_jT3_P12ihipStream_tbPNSt15iterator_traitsISI_E10value_typeEPNSO_ISJ_E10value_typeEPSK_NS1_7vsmem_tEENKUlT_SI_SJ_SK_E_clIPdSD_S10_SD_EESH_SX_SI_SJ_SK_EUlSX_E0_NS1_11comp_targetILNS1_3genE2ELNS1_11target_archE906ELNS1_3gpuE6ELNS1_3repE0EEENS1_38merge_mergepath_config_static_selectorELNS0_4arch9wavefront6targetE1EEEvSJ_ ; -- Begin function _ZN7rocprim17ROCPRIM_400000_NS6detail17trampoline_kernelINS0_14default_configENS1_38merge_sort_block_merge_config_selectorIddEEZZNS1_27merge_sort_block_merge_implIS3_N6thrust23THRUST_200600_302600_NS6detail15normal_iteratorINS8_10device_ptrIdEEEESD_jNS1_19radix_merge_compareILb0ELb0EdNS0_19identity_decomposerEEEEE10hipError_tT0_T1_T2_jT3_P12ihipStream_tbPNSt15iterator_traitsISI_E10value_typeEPNSO_ISJ_E10value_typeEPSK_NS1_7vsmem_tEENKUlT_SI_SJ_SK_E_clIPdSD_S10_SD_EESH_SX_SI_SJ_SK_EUlSX_E0_NS1_11comp_targetILNS1_3genE2ELNS1_11target_archE906ELNS1_3gpuE6ELNS1_3repE0EEENS1_38merge_mergepath_config_static_selectorELNS0_4arch9wavefront6targetE1EEEvSJ_
	.globl	_ZN7rocprim17ROCPRIM_400000_NS6detail17trampoline_kernelINS0_14default_configENS1_38merge_sort_block_merge_config_selectorIddEEZZNS1_27merge_sort_block_merge_implIS3_N6thrust23THRUST_200600_302600_NS6detail15normal_iteratorINS8_10device_ptrIdEEEESD_jNS1_19radix_merge_compareILb0ELb0EdNS0_19identity_decomposerEEEEE10hipError_tT0_T1_T2_jT3_P12ihipStream_tbPNSt15iterator_traitsISI_E10value_typeEPNSO_ISJ_E10value_typeEPSK_NS1_7vsmem_tEENKUlT_SI_SJ_SK_E_clIPdSD_S10_SD_EESH_SX_SI_SJ_SK_EUlSX_E0_NS1_11comp_targetILNS1_3genE2ELNS1_11target_archE906ELNS1_3gpuE6ELNS1_3repE0EEENS1_38merge_mergepath_config_static_selectorELNS0_4arch9wavefront6targetE1EEEvSJ_
	.p2align	8
	.type	_ZN7rocprim17ROCPRIM_400000_NS6detail17trampoline_kernelINS0_14default_configENS1_38merge_sort_block_merge_config_selectorIddEEZZNS1_27merge_sort_block_merge_implIS3_N6thrust23THRUST_200600_302600_NS6detail15normal_iteratorINS8_10device_ptrIdEEEESD_jNS1_19radix_merge_compareILb0ELb0EdNS0_19identity_decomposerEEEEE10hipError_tT0_T1_T2_jT3_P12ihipStream_tbPNSt15iterator_traitsISI_E10value_typeEPNSO_ISJ_E10value_typeEPSK_NS1_7vsmem_tEENKUlT_SI_SJ_SK_E_clIPdSD_S10_SD_EESH_SX_SI_SJ_SK_EUlSX_E0_NS1_11comp_targetILNS1_3genE2ELNS1_11target_archE906ELNS1_3gpuE6ELNS1_3repE0EEENS1_38merge_mergepath_config_static_selectorELNS0_4arch9wavefront6targetE1EEEvSJ_,@function
_ZN7rocprim17ROCPRIM_400000_NS6detail17trampoline_kernelINS0_14default_configENS1_38merge_sort_block_merge_config_selectorIddEEZZNS1_27merge_sort_block_merge_implIS3_N6thrust23THRUST_200600_302600_NS6detail15normal_iteratorINS8_10device_ptrIdEEEESD_jNS1_19radix_merge_compareILb0ELb0EdNS0_19identity_decomposerEEEEE10hipError_tT0_T1_T2_jT3_P12ihipStream_tbPNSt15iterator_traitsISI_E10value_typeEPNSO_ISJ_E10value_typeEPSK_NS1_7vsmem_tEENKUlT_SI_SJ_SK_E_clIPdSD_S10_SD_EESH_SX_SI_SJ_SK_EUlSX_E0_NS1_11comp_targetILNS1_3genE2ELNS1_11target_archE906ELNS1_3gpuE6ELNS1_3repE0EEENS1_38merge_mergepath_config_static_selectorELNS0_4arch9wavefront6targetE1EEEvSJ_: ; @_ZN7rocprim17ROCPRIM_400000_NS6detail17trampoline_kernelINS0_14default_configENS1_38merge_sort_block_merge_config_selectorIddEEZZNS1_27merge_sort_block_merge_implIS3_N6thrust23THRUST_200600_302600_NS6detail15normal_iteratorINS8_10device_ptrIdEEEESD_jNS1_19radix_merge_compareILb0ELb0EdNS0_19identity_decomposerEEEEE10hipError_tT0_T1_T2_jT3_P12ihipStream_tbPNSt15iterator_traitsISI_E10value_typeEPNSO_ISJ_E10value_typeEPSK_NS1_7vsmem_tEENKUlT_SI_SJ_SK_E_clIPdSD_S10_SD_EESH_SX_SI_SJ_SK_EUlSX_E0_NS1_11comp_targetILNS1_3genE2ELNS1_11target_archE906ELNS1_3gpuE6ELNS1_3repE0EEENS1_38merge_mergepath_config_static_selectorELNS0_4arch9wavefront6targetE1EEEvSJ_
; %bb.0:
	.section	.rodata,"a",@progbits
	.p2align	6, 0x0
	.amdhsa_kernel _ZN7rocprim17ROCPRIM_400000_NS6detail17trampoline_kernelINS0_14default_configENS1_38merge_sort_block_merge_config_selectorIddEEZZNS1_27merge_sort_block_merge_implIS3_N6thrust23THRUST_200600_302600_NS6detail15normal_iteratorINS8_10device_ptrIdEEEESD_jNS1_19radix_merge_compareILb0ELb0EdNS0_19identity_decomposerEEEEE10hipError_tT0_T1_T2_jT3_P12ihipStream_tbPNSt15iterator_traitsISI_E10value_typeEPNSO_ISJ_E10value_typeEPSK_NS1_7vsmem_tEENKUlT_SI_SJ_SK_E_clIPdSD_S10_SD_EESH_SX_SI_SJ_SK_EUlSX_E0_NS1_11comp_targetILNS1_3genE2ELNS1_11target_archE906ELNS1_3gpuE6ELNS1_3repE0EEENS1_38merge_mergepath_config_static_selectorELNS0_4arch9wavefront6targetE1EEEvSJ_
		.amdhsa_group_segment_fixed_size 0
		.amdhsa_private_segment_fixed_size 0
		.amdhsa_kernarg_size 64
		.amdhsa_user_sgpr_count 2
		.amdhsa_user_sgpr_dispatch_ptr 0
		.amdhsa_user_sgpr_queue_ptr 0
		.amdhsa_user_sgpr_kernarg_segment_ptr 1
		.amdhsa_user_sgpr_dispatch_id 0
		.amdhsa_user_sgpr_kernarg_preload_length 0
		.amdhsa_user_sgpr_kernarg_preload_offset 0
		.amdhsa_user_sgpr_private_segment_size 0
		.amdhsa_uses_dynamic_stack 0
		.amdhsa_enable_private_segment 0
		.amdhsa_system_sgpr_workgroup_id_x 1
		.amdhsa_system_sgpr_workgroup_id_y 0
		.amdhsa_system_sgpr_workgroup_id_z 0
		.amdhsa_system_sgpr_workgroup_info 0
		.amdhsa_system_vgpr_workitem_id 0
		.amdhsa_next_free_vgpr 1
		.amdhsa_next_free_sgpr 0
		.amdhsa_accum_offset 4
		.amdhsa_reserve_vcc 0
		.amdhsa_float_round_mode_32 0
		.amdhsa_float_round_mode_16_64 0
		.amdhsa_float_denorm_mode_32 3
		.amdhsa_float_denorm_mode_16_64 3
		.amdhsa_dx10_clamp 1
		.amdhsa_ieee_mode 1
		.amdhsa_fp16_overflow 0
		.amdhsa_tg_split 0
		.amdhsa_exception_fp_ieee_invalid_op 0
		.amdhsa_exception_fp_denorm_src 0
		.amdhsa_exception_fp_ieee_div_zero 0
		.amdhsa_exception_fp_ieee_overflow 0
		.amdhsa_exception_fp_ieee_underflow 0
		.amdhsa_exception_fp_ieee_inexact 0
		.amdhsa_exception_int_div_zero 0
	.end_amdhsa_kernel
	.section	.text._ZN7rocprim17ROCPRIM_400000_NS6detail17trampoline_kernelINS0_14default_configENS1_38merge_sort_block_merge_config_selectorIddEEZZNS1_27merge_sort_block_merge_implIS3_N6thrust23THRUST_200600_302600_NS6detail15normal_iteratorINS8_10device_ptrIdEEEESD_jNS1_19radix_merge_compareILb0ELb0EdNS0_19identity_decomposerEEEEE10hipError_tT0_T1_T2_jT3_P12ihipStream_tbPNSt15iterator_traitsISI_E10value_typeEPNSO_ISJ_E10value_typeEPSK_NS1_7vsmem_tEENKUlT_SI_SJ_SK_E_clIPdSD_S10_SD_EESH_SX_SI_SJ_SK_EUlSX_E0_NS1_11comp_targetILNS1_3genE2ELNS1_11target_archE906ELNS1_3gpuE6ELNS1_3repE0EEENS1_38merge_mergepath_config_static_selectorELNS0_4arch9wavefront6targetE1EEEvSJ_,"axG",@progbits,_ZN7rocprim17ROCPRIM_400000_NS6detail17trampoline_kernelINS0_14default_configENS1_38merge_sort_block_merge_config_selectorIddEEZZNS1_27merge_sort_block_merge_implIS3_N6thrust23THRUST_200600_302600_NS6detail15normal_iteratorINS8_10device_ptrIdEEEESD_jNS1_19radix_merge_compareILb0ELb0EdNS0_19identity_decomposerEEEEE10hipError_tT0_T1_T2_jT3_P12ihipStream_tbPNSt15iterator_traitsISI_E10value_typeEPNSO_ISJ_E10value_typeEPSK_NS1_7vsmem_tEENKUlT_SI_SJ_SK_E_clIPdSD_S10_SD_EESH_SX_SI_SJ_SK_EUlSX_E0_NS1_11comp_targetILNS1_3genE2ELNS1_11target_archE906ELNS1_3gpuE6ELNS1_3repE0EEENS1_38merge_mergepath_config_static_selectorELNS0_4arch9wavefront6targetE1EEEvSJ_,comdat
.Lfunc_end38:
	.size	_ZN7rocprim17ROCPRIM_400000_NS6detail17trampoline_kernelINS0_14default_configENS1_38merge_sort_block_merge_config_selectorIddEEZZNS1_27merge_sort_block_merge_implIS3_N6thrust23THRUST_200600_302600_NS6detail15normal_iteratorINS8_10device_ptrIdEEEESD_jNS1_19radix_merge_compareILb0ELb0EdNS0_19identity_decomposerEEEEE10hipError_tT0_T1_T2_jT3_P12ihipStream_tbPNSt15iterator_traitsISI_E10value_typeEPNSO_ISJ_E10value_typeEPSK_NS1_7vsmem_tEENKUlT_SI_SJ_SK_E_clIPdSD_S10_SD_EESH_SX_SI_SJ_SK_EUlSX_E0_NS1_11comp_targetILNS1_3genE2ELNS1_11target_archE906ELNS1_3gpuE6ELNS1_3repE0EEENS1_38merge_mergepath_config_static_selectorELNS0_4arch9wavefront6targetE1EEEvSJ_, .Lfunc_end38-_ZN7rocprim17ROCPRIM_400000_NS6detail17trampoline_kernelINS0_14default_configENS1_38merge_sort_block_merge_config_selectorIddEEZZNS1_27merge_sort_block_merge_implIS3_N6thrust23THRUST_200600_302600_NS6detail15normal_iteratorINS8_10device_ptrIdEEEESD_jNS1_19radix_merge_compareILb0ELb0EdNS0_19identity_decomposerEEEEE10hipError_tT0_T1_T2_jT3_P12ihipStream_tbPNSt15iterator_traitsISI_E10value_typeEPNSO_ISJ_E10value_typeEPSK_NS1_7vsmem_tEENKUlT_SI_SJ_SK_E_clIPdSD_S10_SD_EESH_SX_SI_SJ_SK_EUlSX_E0_NS1_11comp_targetILNS1_3genE2ELNS1_11target_archE906ELNS1_3gpuE6ELNS1_3repE0EEENS1_38merge_mergepath_config_static_selectorELNS0_4arch9wavefront6targetE1EEEvSJ_
                                        ; -- End function
	.set _ZN7rocprim17ROCPRIM_400000_NS6detail17trampoline_kernelINS0_14default_configENS1_38merge_sort_block_merge_config_selectorIddEEZZNS1_27merge_sort_block_merge_implIS3_N6thrust23THRUST_200600_302600_NS6detail15normal_iteratorINS8_10device_ptrIdEEEESD_jNS1_19radix_merge_compareILb0ELb0EdNS0_19identity_decomposerEEEEE10hipError_tT0_T1_T2_jT3_P12ihipStream_tbPNSt15iterator_traitsISI_E10value_typeEPNSO_ISJ_E10value_typeEPSK_NS1_7vsmem_tEENKUlT_SI_SJ_SK_E_clIPdSD_S10_SD_EESH_SX_SI_SJ_SK_EUlSX_E0_NS1_11comp_targetILNS1_3genE2ELNS1_11target_archE906ELNS1_3gpuE6ELNS1_3repE0EEENS1_38merge_mergepath_config_static_selectorELNS0_4arch9wavefront6targetE1EEEvSJ_.num_vgpr, 0
	.set _ZN7rocprim17ROCPRIM_400000_NS6detail17trampoline_kernelINS0_14default_configENS1_38merge_sort_block_merge_config_selectorIddEEZZNS1_27merge_sort_block_merge_implIS3_N6thrust23THRUST_200600_302600_NS6detail15normal_iteratorINS8_10device_ptrIdEEEESD_jNS1_19radix_merge_compareILb0ELb0EdNS0_19identity_decomposerEEEEE10hipError_tT0_T1_T2_jT3_P12ihipStream_tbPNSt15iterator_traitsISI_E10value_typeEPNSO_ISJ_E10value_typeEPSK_NS1_7vsmem_tEENKUlT_SI_SJ_SK_E_clIPdSD_S10_SD_EESH_SX_SI_SJ_SK_EUlSX_E0_NS1_11comp_targetILNS1_3genE2ELNS1_11target_archE906ELNS1_3gpuE6ELNS1_3repE0EEENS1_38merge_mergepath_config_static_selectorELNS0_4arch9wavefront6targetE1EEEvSJ_.num_agpr, 0
	.set _ZN7rocprim17ROCPRIM_400000_NS6detail17trampoline_kernelINS0_14default_configENS1_38merge_sort_block_merge_config_selectorIddEEZZNS1_27merge_sort_block_merge_implIS3_N6thrust23THRUST_200600_302600_NS6detail15normal_iteratorINS8_10device_ptrIdEEEESD_jNS1_19radix_merge_compareILb0ELb0EdNS0_19identity_decomposerEEEEE10hipError_tT0_T1_T2_jT3_P12ihipStream_tbPNSt15iterator_traitsISI_E10value_typeEPNSO_ISJ_E10value_typeEPSK_NS1_7vsmem_tEENKUlT_SI_SJ_SK_E_clIPdSD_S10_SD_EESH_SX_SI_SJ_SK_EUlSX_E0_NS1_11comp_targetILNS1_3genE2ELNS1_11target_archE906ELNS1_3gpuE6ELNS1_3repE0EEENS1_38merge_mergepath_config_static_selectorELNS0_4arch9wavefront6targetE1EEEvSJ_.numbered_sgpr, 0
	.set _ZN7rocprim17ROCPRIM_400000_NS6detail17trampoline_kernelINS0_14default_configENS1_38merge_sort_block_merge_config_selectorIddEEZZNS1_27merge_sort_block_merge_implIS3_N6thrust23THRUST_200600_302600_NS6detail15normal_iteratorINS8_10device_ptrIdEEEESD_jNS1_19radix_merge_compareILb0ELb0EdNS0_19identity_decomposerEEEEE10hipError_tT0_T1_T2_jT3_P12ihipStream_tbPNSt15iterator_traitsISI_E10value_typeEPNSO_ISJ_E10value_typeEPSK_NS1_7vsmem_tEENKUlT_SI_SJ_SK_E_clIPdSD_S10_SD_EESH_SX_SI_SJ_SK_EUlSX_E0_NS1_11comp_targetILNS1_3genE2ELNS1_11target_archE906ELNS1_3gpuE6ELNS1_3repE0EEENS1_38merge_mergepath_config_static_selectorELNS0_4arch9wavefront6targetE1EEEvSJ_.num_named_barrier, 0
	.set _ZN7rocprim17ROCPRIM_400000_NS6detail17trampoline_kernelINS0_14default_configENS1_38merge_sort_block_merge_config_selectorIddEEZZNS1_27merge_sort_block_merge_implIS3_N6thrust23THRUST_200600_302600_NS6detail15normal_iteratorINS8_10device_ptrIdEEEESD_jNS1_19radix_merge_compareILb0ELb0EdNS0_19identity_decomposerEEEEE10hipError_tT0_T1_T2_jT3_P12ihipStream_tbPNSt15iterator_traitsISI_E10value_typeEPNSO_ISJ_E10value_typeEPSK_NS1_7vsmem_tEENKUlT_SI_SJ_SK_E_clIPdSD_S10_SD_EESH_SX_SI_SJ_SK_EUlSX_E0_NS1_11comp_targetILNS1_3genE2ELNS1_11target_archE906ELNS1_3gpuE6ELNS1_3repE0EEENS1_38merge_mergepath_config_static_selectorELNS0_4arch9wavefront6targetE1EEEvSJ_.private_seg_size, 0
	.set _ZN7rocprim17ROCPRIM_400000_NS6detail17trampoline_kernelINS0_14default_configENS1_38merge_sort_block_merge_config_selectorIddEEZZNS1_27merge_sort_block_merge_implIS3_N6thrust23THRUST_200600_302600_NS6detail15normal_iteratorINS8_10device_ptrIdEEEESD_jNS1_19radix_merge_compareILb0ELb0EdNS0_19identity_decomposerEEEEE10hipError_tT0_T1_T2_jT3_P12ihipStream_tbPNSt15iterator_traitsISI_E10value_typeEPNSO_ISJ_E10value_typeEPSK_NS1_7vsmem_tEENKUlT_SI_SJ_SK_E_clIPdSD_S10_SD_EESH_SX_SI_SJ_SK_EUlSX_E0_NS1_11comp_targetILNS1_3genE2ELNS1_11target_archE906ELNS1_3gpuE6ELNS1_3repE0EEENS1_38merge_mergepath_config_static_selectorELNS0_4arch9wavefront6targetE1EEEvSJ_.uses_vcc, 0
	.set _ZN7rocprim17ROCPRIM_400000_NS6detail17trampoline_kernelINS0_14default_configENS1_38merge_sort_block_merge_config_selectorIddEEZZNS1_27merge_sort_block_merge_implIS3_N6thrust23THRUST_200600_302600_NS6detail15normal_iteratorINS8_10device_ptrIdEEEESD_jNS1_19radix_merge_compareILb0ELb0EdNS0_19identity_decomposerEEEEE10hipError_tT0_T1_T2_jT3_P12ihipStream_tbPNSt15iterator_traitsISI_E10value_typeEPNSO_ISJ_E10value_typeEPSK_NS1_7vsmem_tEENKUlT_SI_SJ_SK_E_clIPdSD_S10_SD_EESH_SX_SI_SJ_SK_EUlSX_E0_NS1_11comp_targetILNS1_3genE2ELNS1_11target_archE906ELNS1_3gpuE6ELNS1_3repE0EEENS1_38merge_mergepath_config_static_selectorELNS0_4arch9wavefront6targetE1EEEvSJ_.uses_flat_scratch, 0
	.set _ZN7rocprim17ROCPRIM_400000_NS6detail17trampoline_kernelINS0_14default_configENS1_38merge_sort_block_merge_config_selectorIddEEZZNS1_27merge_sort_block_merge_implIS3_N6thrust23THRUST_200600_302600_NS6detail15normal_iteratorINS8_10device_ptrIdEEEESD_jNS1_19radix_merge_compareILb0ELb0EdNS0_19identity_decomposerEEEEE10hipError_tT0_T1_T2_jT3_P12ihipStream_tbPNSt15iterator_traitsISI_E10value_typeEPNSO_ISJ_E10value_typeEPSK_NS1_7vsmem_tEENKUlT_SI_SJ_SK_E_clIPdSD_S10_SD_EESH_SX_SI_SJ_SK_EUlSX_E0_NS1_11comp_targetILNS1_3genE2ELNS1_11target_archE906ELNS1_3gpuE6ELNS1_3repE0EEENS1_38merge_mergepath_config_static_selectorELNS0_4arch9wavefront6targetE1EEEvSJ_.has_dyn_sized_stack, 0
	.set _ZN7rocprim17ROCPRIM_400000_NS6detail17trampoline_kernelINS0_14default_configENS1_38merge_sort_block_merge_config_selectorIddEEZZNS1_27merge_sort_block_merge_implIS3_N6thrust23THRUST_200600_302600_NS6detail15normal_iteratorINS8_10device_ptrIdEEEESD_jNS1_19radix_merge_compareILb0ELb0EdNS0_19identity_decomposerEEEEE10hipError_tT0_T1_T2_jT3_P12ihipStream_tbPNSt15iterator_traitsISI_E10value_typeEPNSO_ISJ_E10value_typeEPSK_NS1_7vsmem_tEENKUlT_SI_SJ_SK_E_clIPdSD_S10_SD_EESH_SX_SI_SJ_SK_EUlSX_E0_NS1_11comp_targetILNS1_3genE2ELNS1_11target_archE906ELNS1_3gpuE6ELNS1_3repE0EEENS1_38merge_mergepath_config_static_selectorELNS0_4arch9wavefront6targetE1EEEvSJ_.has_recursion, 0
	.set _ZN7rocprim17ROCPRIM_400000_NS6detail17trampoline_kernelINS0_14default_configENS1_38merge_sort_block_merge_config_selectorIddEEZZNS1_27merge_sort_block_merge_implIS3_N6thrust23THRUST_200600_302600_NS6detail15normal_iteratorINS8_10device_ptrIdEEEESD_jNS1_19radix_merge_compareILb0ELb0EdNS0_19identity_decomposerEEEEE10hipError_tT0_T1_T2_jT3_P12ihipStream_tbPNSt15iterator_traitsISI_E10value_typeEPNSO_ISJ_E10value_typeEPSK_NS1_7vsmem_tEENKUlT_SI_SJ_SK_E_clIPdSD_S10_SD_EESH_SX_SI_SJ_SK_EUlSX_E0_NS1_11comp_targetILNS1_3genE2ELNS1_11target_archE906ELNS1_3gpuE6ELNS1_3repE0EEENS1_38merge_mergepath_config_static_selectorELNS0_4arch9wavefront6targetE1EEEvSJ_.has_indirect_call, 0
	.section	.AMDGPU.csdata,"",@progbits
; Kernel info:
; codeLenInByte = 0
; TotalNumSgprs: 6
; NumVgprs: 0
; NumAgprs: 0
; TotalNumVgprs: 0
; ScratchSize: 0
; MemoryBound: 0
; FloatMode: 240
; IeeeMode: 1
; LDSByteSize: 0 bytes/workgroup (compile time only)
; SGPRBlocks: 0
; VGPRBlocks: 0
; NumSGPRsForWavesPerEU: 6
; NumVGPRsForWavesPerEU: 1
; AccumOffset: 4
; Occupancy: 8
; WaveLimiterHint : 0
; COMPUTE_PGM_RSRC2:SCRATCH_EN: 0
; COMPUTE_PGM_RSRC2:USER_SGPR: 2
; COMPUTE_PGM_RSRC2:TRAP_HANDLER: 0
; COMPUTE_PGM_RSRC2:TGID_X_EN: 1
; COMPUTE_PGM_RSRC2:TGID_Y_EN: 0
; COMPUTE_PGM_RSRC2:TGID_Z_EN: 0
; COMPUTE_PGM_RSRC2:TIDIG_COMP_CNT: 0
; COMPUTE_PGM_RSRC3_GFX90A:ACCUM_OFFSET: 0
; COMPUTE_PGM_RSRC3_GFX90A:TG_SPLIT: 0
	.section	.text._ZN7rocprim17ROCPRIM_400000_NS6detail17trampoline_kernelINS0_14default_configENS1_38merge_sort_block_merge_config_selectorIddEEZZNS1_27merge_sort_block_merge_implIS3_N6thrust23THRUST_200600_302600_NS6detail15normal_iteratorINS8_10device_ptrIdEEEESD_jNS1_19radix_merge_compareILb0ELb0EdNS0_19identity_decomposerEEEEE10hipError_tT0_T1_T2_jT3_P12ihipStream_tbPNSt15iterator_traitsISI_E10value_typeEPNSO_ISJ_E10value_typeEPSK_NS1_7vsmem_tEENKUlT_SI_SJ_SK_E_clIPdSD_S10_SD_EESH_SX_SI_SJ_SK_EUlSX_E0_NS1_11comp_targetILNS1_3genE9ELNS1_11target_archE1100ELNS1_3gpuE3ELNS1_3repE0EEENS1_38merge_mergepath_config_static_selectorELNS0_4arch9wavefront6targetE1EEEvSJ_,"axG",@progbits,_ZN7rocprim17ROCPRIM_400000_NS6detail17trampoline_kernelINS0_14default_configENS1_38merge_sort_block_merge_config_selectorIddEEZZNS1_27merge_sort_block_merge_implIS3_N6thrust23THRUST_200600_302600_NS6detail15normal_iteratorINS8_10device_ptrIdEEEESD_jNS1_19radix_merge_compareILb0ELb0EdNS0_19identity_decomposerEEEEE10hipError_tT0_T1_T2_jT3_P12ihipStream_tbPNSt15iterator_traitsISI_E10value_typeEPNSO_ISJ_E10value_typeEPSK_NS1_7vsmem_tEENKUlT_SI_SJ_SK_E_clIPdSD_S10_SD_EESH_SX_SI_SJ_SK_EUlSX_E0_NS1_11comp_targetILNS1_3genE9ELNS1_11target_archE1100ELNS1_3gpuE3ELNS1_3repE0EEENS1_38merge_mergepath_config_static_selectorELNS0_4arch9wavefront6targetE1EEEvSJ_,comdat
	.protected	_ZN7rocprim17ROCPRIM_400000_NS6detail17trampoline_kernelINS0_14default_configENS1_38merge_sort_block_merge_config_selectorIddEEZZNS1_27merge_sort_block_merge_implIS3_N6thrust23THRUST_200600_302600_NS6detail15normal_iteratorINS8_10device_ptrIdEEEESD_jNS1_19radix_merge_compareILb0ELb0EdNS0_19identity_decomposerEEEEE10hipError_tT0_T1_T2_jT3_P12ihipStream_tbPNSt15iterator_traitsISI_E10value_typeEPNSO_ISJ_E10value_typeEPSK_NS1_7vsmem_tEENKUlT_SI_SJ_SK_E_clIPdSD_S10_SD_EESH_SX_SI_SJ_SK_EUlSX_E0_NS1_11comp_targetILNS1_3genE9ELNS1_11target_archE1100ELNS1_3gpuE3ELNS1_3repE0EEENS1_38merge_mergepath_config_static_selectorELNS0_4arch9wavefront6targetE1EEEvSJ_ ; -- Begin function _ZN7rocprim17ROCPRIM_400000_NS6detail17trampoline_kernelINS0_14default_configENS1_38merge_sort_block_merge_config_selectorIddEEZZNS1_27merge_sort_block_merge_implIS3_N6thrust23THRUST_200600_302600_NS6detail15normal_iteratorINS8_10device_ptrIdEEEESD_jNS1_19radix_merge_compareILb0ELb0EdNS0_19identity_decomposerEEEEE10hipError_tT0_T1_T2_jT3_P12ihipStream_tbPNSt15iterator_traitsISI_E10value_typeEPNSO_ISJ_E10value_typeEPSK_NS1_7vsmem_tEENKUlT_SI_SJ_SK_E_clIPdSD_S10_SD_EESH_SX_SI_SJ_SK_EUlSX_E0_NS1_11comp_targetILNS1_3genE9ELNS1_11target_archE1100ELNS1_3gpuE3ELNS1_3repE0EEENS1_38merge_mergepath_config_static_selectorELNS0_4arch9wavefront6targetE1EEEvSJ_
	.globl	_ZN7rocprim17ROCPRIM_400000_NS6detail17trampoline_kernelINS0_14default_configENS1_38merge_sort_block_merge_config_selectorIddEEZZNS1_27merge_sort_block_merge_implIS3_N6thrust23THRUST_200600_302600_NS6detail15normal_iteratorINS8_10device_ptrIdEEEESD_jNS1_19radix_merge_compareILb0ELb0EdNS0_19identity_decomposerEEEEE10hipError_tT0_T1_T2_jT3_P12ihipStream_tbPNSt15iterator_traitsISI_E10value_typeEPNSO_ISJ_E10value_typeEPSK_NS1_7vsmem_tEENKUlT_SI_SJ_SK_E_clIPdSD_S10_SD_EESH_SX_SI_SJ_SK_EUlSX_E0_NS1_11comp_targetILNS1_3genE9ELNS1_11target_archE1100ELNS1_3gpuE3ELNS1_3repE0EEENS1_38merge_mergepath_config_static_selectorELNS0_4arch9wavefront6targetE1EEEvSJ_
	.p2align	8
	.type	_ZN7rocprim17ROCPRIM_400000_NS6detail17trampoline_kernelINS0_14default_configENS1_38merge_sort_block_merge_config_selectorIddEEZZNS1_27merge_sort_block_merge_implIS3_N6thrust23THRUST_200600_302600_NS6detail15normal_iteratorINS8_10device_ptrIdEEEESD_jNS1_19radix_merge_compareILb0ELb0EdNS0_19identity_decomposerEEEEE10hipError_tT0_T1_T2_jT3_P12ihipStream_tbPNSt15iterator_traitsISI_E10value_typeEPNSO_ISJ_E10value_typeEPSK_NS1_7vsmem_tEENKUlT_SI_SJ_SK_E_clIPdSD_S10_SD_EESH_SX_SI_SJ_SK_EUlSX_E0_NS1_11comp_targetILNS1_3genE9ELNS1_11target_archE1100ELNS1_3gpuE3ELNS1_3repE0EEENS1_38merge_mergepath_config_static_selectorELNS0_4arch9wavefront6targetE1EEEvSJ_,@function
_ZN7rocprim17ROCPRIM_400000_NS6detail17trampoline_kernelINS0_14default_configENS1_38merge_sort_block_merge_config_selectorIddEEZZNS1_27merge_sort_block_merge_implIS3_N6thrust23THRUST_200600_302600_NS6detail15normal_iteratorINS8_10device_ptrIdEEEESD_jNS1_19radix_merge_compareILb0ELb0EdNS0_19identity_decomposerEEEEE10hipError_tT0_T1_T2_jT3_P12ihipStream_tbPNSt15iterator_traitsISI_E10value_typeEPNSO_ISJ_E10value_typeEPSK_NS1_7vsmem_tEENKUlT_SI_SJ_SK_E_clIPdSD_S10_SD_EESH_SX_SI_SJ_SK_EUlSX_E0_NS1_11comp_targetILNS1_3genE9ELNS1_11target_archE1100ELNS1_3gpuE3ELNS1_3repE0EEENS1_38merge_mergepath_config_static_selectorELNS0_4arch9wavefront6targetE1EEEvSJ_: ; @_ZN7rocprim17ROCPRIM_400000_NS6detail17trampoline_kernelINS0_14default_configENS1_38merge_sort_block_merge_config_selectorIddEEZZNS1_27merge_sort_block_merge_implIS3_N6thrust23THRUST_200600_302600_NS6detail15normal_iteratorINS8_10device_ptrIdEEEESD_jNS1_19radix_merge_compareILb0ELb0EdNS0_19identity_decomposerEEEEE10hipError_tT0_T1_T2_jT3_P12ihipStream_tbPNSt15iterator_traitsISI_E10value_typeEPNSO_ISJ_E10value_typeEPSK_NS1_7vsmem_tEENKUlT_SI_SJ_SK_E_clIPdSD_S10_SD_EESH_SX_SI_SJ_SK_EUlSX_E0_NS1_11comp_targetILNS1_3genE9ELNS1_11target_archE1100ELNS1_3gpuE3ELNS1_3repE0EEENS1_38merge_mergepath_config_static_selectorELNS0_4arch9wavefront6targetE1EEEvSJ_
; %bb.0:
	.section	.rodata,"a",@progbits
	.p2align	6, 0x0
	.amdhsa_kernel _ZN7rocprim17ROCPRIM_400000_NS6detail17trampoline_kernelINS0_14default_configENS1_38merge_sort_block_merge_config_selectorIddEEZZNS1_27merge_sort_block_merge_implIS3_N6thrust23THRUST_200600_302600_NS6detail15normal_iteratorINS8_10device_ptrIdEEEESD_jNS1_19radix_merge_compareILb0ELb0EdNS0_19identity_decomposerEEEEE10hipError_tT0_T1_T2_jT3_P12ihipStream_tbPNSt15iterator_traitsISI_E10value_typeEPNSO_ISJ_E10value_typeEPSK_NS1_7vsmem_tEENKUlT_SI_SJ_SK_E_clIPdSD_S10_SD_EESH_SX_SI_SJ_SK_EUlSX_E0_NS1_11comp_targetILNS1_3genE9ELNS1_11target_archE1100ELNS1_3gpuE3ELNS1_3repE0EEENS1_38merge_mergepath_config_static_selectorELNS0_4arch9wavefront6targetE1EEEvSJ_
		.amdhsa_group_segment_fixed_size 0
		.amdhsa_private_segment_fixed_size 0
		.amdhsa_kernarg_size 64
		.amdhsa_user_sgpr_count 2
		.amdhsa_user_sgpr_dispatch_ptr 0
		.amdhsa_user_sgpr_queue_ptr 0
		.amdhsa_user_sgpr_kernarg_segment_ptr 1
		.amdhsa_user_sgpr_dispatch_id 0
		.amdhsa_user_sgpr_kernarg_preload_length 0
		.amdhsa_user_sgpr_kernarg_preload_offset 0
		.amdhsa_user_sgpr_private_segment_size 0
		.amdhsa_uses_dynamic_stack 0
		.amdhsa_enable_private_segment 0
		.amdhsa_system_sgpr_workgroup_id_x 1
		.amdhsa_system_sgpr_workgroup_id_y 0
		.amdhsa_system_sgpr_workgroup_id_z 0
		.amdhsa_system_sgpr_workgroup_info 0
		.amdhsa_system_vgpr_workitem_id 0
		.amdhsa_next_free_vgpr 1
		.amdhsa_next_free_sgpr 0
		.amdhsa_accum_offset 4
		.amdhsa_reserve_vcc 0
		.amdhsa_float_round_mode_32 0
		.amdhsa_float_round_mode_16_64 0
		.amdhsa_float_denorm_mode_32 3
		.amdhsa_float_denorm_mode_16_64 3
		.amdhsa_dx10_clamp 1
		.amdhsa_ieee_mode 1
		.amdhsa_fp16_overflow 0
		.amdhsa_tg_split 0
		.amdhsa_exception_fp_ieee_invalid_op 0
		.amdhsa_exception_fp_denorm_src 0
		.amdhsa_exception_fp_ieee_div_zero 0
		.amdhsa_exception_fp_ieee_overflow 0
		.amdhsa_exception_fp_ieee_underflow 0
		.amdhsa_exception_fp_ieee_inexact 0
		.amdhsa_exception_int_div_zero 0
	.end_amdhsa_kernel
	.section	.text._ZN7rocprim17ROCPRIM_400000_NS6detail17trampoline_kernelINS0_14default_configENS1_38merge_sort_block_merge_config_selectorIddEEZZNS1_27merge_sort_block_merge_implIS3_N6thrust23THRUST_200600_302600_NS6detail15normal_iteratorINS8_10device_ptrIdEEEESD_jNS1_19radix_merge_compareILb0ELb0EdNS0_19identity_decomposerEEEEE10hipError_tT0_T1_T2_jT3_P12ihipStream_tbPNSt15iterator_traitsISI_E10value_typeEPNSO_ISJ_E10value_typeEPSK_NS1_7vsmem_tEENKUlT_SI_SJ_SK_E_clIPdSD_S10_SD_EESH_SX_SI_SJ_SK_EUlSX_E0_NS1_11comp_targetILNS1_3genE9ELNS1_11target_archE1100ELNS1_3gpuE3ELNS1_3repE0EEENS1_38merge_mergepath_config_static_selectorELNS0_4arch9wavefront6targetE1EEEvSJ_,"axG",@progbits,_ZN7rocprim17ROCPRIM_400000_NS6detail17trampoline_kernelINS0_14default_configENS1_38merge_sort_block_merge_config_selectorIddEEZZNS1_27merge_sort_block_merge_implIS3_N6thrust23THRUST_200600_302600_NS6detail15normal_iteratorINS8_10device_ptrIdEEEESD_jNS1_19radix_merge_compareILb0ELb0EdNS0_19identity_decomposerEEEEE10hipError_tT0_T1_T2_jT3_P12ihipStream_tbPNSt15iterator_traitsISI_E10value_typeEPNSO_ISJ_E10value_typeEPSK_NS1_7vsmem_tEENKUlT_SI_SJ_SK_E_clIPdSD_S10_SD_EESH_SX_SI_SJ_SK_EUlSX_E0_NS1_11comp_targetILNS1_3genE9ELNS1_11target_archE1100ELNS1_3gpuE3ELNS1_3repE0EEENS1_38merge_mergepath_config_static_selectorELNS0_4arch9wavefront6targetE1EEEvSJ_,comdat
.Lfunc_end39:
	.size	_ZN7rocprim17ROCPRIM_400000_NS6detail17trampoline_kernelINS0_14default_configENS1_38merge_sort_block_merge_config_selectorIddEEZZNS1_27merge_sort_block_merge_implIS3_N6thrust23THRUST_200600_302600_NS6detail15normal_iteratorINS8_10device_ptrIdEEEESD_jNS1_19radix_merge_compareILb0ELb0EdNS0_19identity_decomposerEEEEE10hipError_tT0_T1_T2_jT3_P12ihipStream_tbPNSt15iterator_traitsISI_E10value_typeEPNSO_ISJ_E10value_typeEPSK_NS1_7vsmem_tEENKUlT_SI_SJ_SK_E_clIPdSD_S10_SD_EESH_SX_SI_SJ_SK_EUlSX_E0_NS1_11comp_targetILNS1_3genE9ELNS1_11target_archE1100ELNS1_3gpuE3ELNS1_3repE0EEENS1_38merge_mergepath_config_static_selectorELNS0_4arch9wavefront6targetE1EEEvSJ_, .Lfunc_end39-_ZN7rocprim17ROCPRIM_400000_NS6detail17trampoline_kernelINS0_14default_configENS1_38merge_sort_block_merge_config_selectorIddEEZZNS1_27merge_sort_block_merge_implIS3_N6thrust23THRUST_200600_302600_NS6detail15normal_iteratorINS8_10device_ptrIdEEEESD_jNS1_19radix_merge_compareILb0ELb0EdNS0_19identity_decomposerEEEEE10hipError_tT0_T1_T2_jT3_P12ihipStream_tbPNSt15iterator_traitsISI_E10value_typeEPNSO_ISJ_E10value_typeEPSK_NS1_7vsmem_tEENKUlT_SI_SJ_SK_E_clIPdSD_S10_SD_EESH_SX_SI_SJ_SK_EUlSX_E0_NS1_11comp_targetILNS1_3genE9ELNS1_11target_archE1100ELNS1_3gpuE3ELNS1_3repE0EEENS1_38merge_mergepath_config_static_selectorELNS0_4arch9wavefront6targetE1EEEvSJ_
                                        ; -- End function
	.set _ZN7rocprim17ROCPRIM_400000_NS6detail17trampoline_kernelINS0_14default_configENS1_38merge_sort_block_merge_config_selectorIddEEZZNS1_27merge_sort_block_merge_implIS3_N6thrust23THRUST_200600_302600_NS6detail15normal_iteratorINS8_10device_ptrIdEEEESD_jNS1_19radix_merge_compareILb0ELb0EdNS0_19identity_decomposerEEEEE10hipError_tT0_T1_T2_jT3_P12ihipStream_tbPNSt15iterator_traitsISI_E10value_typeEPNSO_ISJ_E10value_typeEPSK_NS1_7vsmem_tEENKUlT_SI_SJ_SK_E_clIPdSD_S10_SD_EESH_SX_SI_SJ_SK_EUlSX_E0_NS1_11comp_targetILNS1_3genE9ELNS1_11target_archE1100ELNS1_3gpuE3ELNS1_3repE0EEENS1_38merge_mergepath_config_static_selectorELNS0_4arch9wavefront6targetE1EEEvSJ_.num_vgpr, 0
	.set _ZN7rocprim17ROCPRIM_400000_NS6detail17trampoline_kernelINS0_14default_configENS1_38merge_sort_block_merge_config_selectorIddEEZZNS1_27merge_sort_block_merge_implIS3_N6thrust23THRUST_200600_302600_NS6detail15normal_iteratorINS8_10device_ptrIdEEEESD_jNS1_19radix_merge_compareILb0ELb0EdNS0_19identity_decomposerEEEEE10hipError_tT0_T1_T2_jT3_P12ihipStream_tbPNSt15iterator_traitsISI_E10value_typeEPNSO_ISJ_E10value_typeEPSK_NS1_7vsmem_tEENKUlT_SI_SJ_SK_E_clIPdSD_S10_SD_EESH_SX_SI_SJ_SK_EUlSX_E0_NS1_11comp_targetILNS1_3genE9ELNS1_11target_archE1100ELNS1_3gpuE3ELNS1_3repE0EEENS1_38merge_mergepath_config_static_selectorELNS0_4arch9wavefront6targetE1EEEvSJ_.num_agpr, 0
	.set _ZN7rocprim17ROCPRIM_400000_NS6detail17trampoline_kernelINS0_14default_configENS1_38merge_sort_block_merge_config_selectorIddEEZZNS1_27merge_sort_block_merge_implIS3_N6thrust23THRUST_200600_302600_NS6detail15normal_iteratorINS8_10device_ptrIdEEEESD_jNS1_19radix_merge_compareILb0ELb0EdNS0_19identity_decomposerEEEEE10hipError_tT0_T1_T2_jT3_P12ihipStream_tbPNSt15iterator_traitsISI_E10value_typeEPNSO_ISJ_E10value_typeEPSK_NS1_7vsmem_tEENKUlT_SI_SJ_SK_E_clIPdSD_S10_SD_EESH_SX_SI_SJ_SK_EUlSX_E0_NS1_11comp_targetILNS1_3genE9ELNS1_11target_archE1100ELNS1_3gpuE3ELNS1_3repE0EEENS1_38merge_mergepath_config_static_selectorELNS0_4arch9wavefront6targetE1EEEvSJ_.numbered_sgpr, 0
	.set _ZN7rocprim17ROCPRIM_400000_NS6detail17trampoline_kernelINS0_14default_configENS1_38merge_sort_block_merge_config_selectorIddEEZZNS1_27merge_sort_block_merge_implIS3_N6thrust23THRUST_200600_302600_NS6detail15normal_iteratorINS8_10device_ptrIdEEEESD_jNS1_19radix_merge_compareILb0ELb0EdNS0_19identity_decomposerEEEEE10hipError_tT0_T1_T2_jT3_P12ihipStream_tbPNSt15iterator_traitsISI_E10value_typeEPNSO_ISJ_E10value_typeEPSK_NS1_7vsmem_tEENKUlT_SI_SJ_SK_E_clIPdSD_S10_SD_EESH_SX_SI_SJ_SK_EUlSX_E0_NS1_11comp_targetILNS1_3genE9ELNS1_11target_archE1100ELNS1_3gpuE3ELNS1_3repE0EEENS1_38merge_mergepath_config_static_selectorELNS0_4arch9wavefront6targetE1EEEvSJ_.num_named_barrier, 0
	.set _ZN7rocprim17ROCPRIM_400000_NS6detail17trampoline_kernelINS0_14default_configENS1_38merge_sort_block_merge_config_selectorIddEEZZNS1_27merge_sort_block_merge_implIS3_N6thrust23THRUST_200600_302600_NS6detail15normal_iteratorINS8_10device_ptrIdEEEESD_jNS1_19radix_merge_compareILb0ELb0EdNS0_19identity_decomposerEEEEE10hipError_tT0_T1_T2_jT3_P12ihipStream_tbPNSt15iterator_traitsISI_E10value_typeEPNSO_ISJ_E10value_typeEPSK_NS1_7vsmem_tEENKUlT_SI_SJ_SK_E_clIPdSD_S10_SD_EESH_SX_SI_SJ_SK_EUlSX_E0_NS1_11comp_targetILNS1_3genE9ELNS1_11target_archE1100ELNS1_3gpuE3ELNS1_3repE0EEENS1_38merge_mergepath_config_static_selectorELNS0_4arch9wavefront6targetE1EEEvSJ_.private_seg_size, 0
	.set _ZN7rocprim17ROCPRIM_400000_NS6detail17trampoline_kernelINS0_14default_configENS1_38merge_sort_block_merge_config_selectorIddEEZZNS1_27merge_sort_block_merge_implIS3_N6thrust23THRUST_200600_302600_NS6detail15normal_iteratorINS8_10device_ptrIdEEEESD_jNS1_19radix_merge_compareILb0ELb0EdNS0_19identity_decomposerEEEEE10hipError_tT0_T1_T2_jT3_P12ihipStream_tbPNSt15iterator_traitsISI_E10value_typeEPNSO_ISJ_E10value_typeEPSK_NS1_7vsmem_tEENKUlT_SI_SJ_SK_E_clIPdSD_S10_SD_EESH_SX_SI_SJ_SK_EUlSX_E0_NS1_11comp_targetILNS1_3genE9ELNS1_11target_archE1100ELNS1_3gpuE3ELNS1_3repE0EEENS1_38merge_mergepath_config_static_selectorELNS0_4arch9wavefront6targetE1EEEvSJ_.uses_vcc, 0
	.set _ZN7rocprim17ROCPRIM_400000_NS6detail17trampoline_kernelINS0_14default_configENS1_38merge_sort_block_merge_config_selectorIddEEZZNS1_27merge_sort_block_merge_implIS3_N6thrust23THRUST_200600_302600_NS6detail15normal_iteratorINS8_10device_ptrIdEEEESD_jNS1_19radix_merge_compareILb0ELb0EdNS0_19identity_decomposerEEEEE10hipError_tT0_T1_T2_jT3_P12ihipStream_tbPNSt15iterator_traitsISI_E10value_typeEPNSO_ISJ_E10value_typeEPSK_NS1_7vsmem_tEENKUlT_SI_SJ_SK_E_clIPdSD_S10_SD_EESH_SX_SI_SJ_SK_EUlSX_E0_NS1_11comp_targetILNS1_3genE9ELNS1_11target_archE1100ELNS1_3gpuE3ELNS1_3repE0EEENS1_38merge_mergepath_config_static_selectorELNS0_4arch9wavefront6targetE1EEEvSJ_.uses_flat_scratch, 0
	.set _ZN7rocprim17ROCPRIM_400000_NS6detail17trampoline_kernelINS0_14default_configENS1_38merge_sort_block_merge_config_selectorIddEEZZNS1_27merge_sort_block_merge_implIS3_N6thrust23THRUST_200600_302600_NS6detail15normal_iteratorINS8_10device_ptrIdEEEESD_jNS1_19radix_merge_compareILb0ELb0EdNS0_19identity_decomposerEEEEE10hipError_tT0_T1_T2_jT3_P12ihipStream_tbPNSt15iterator_traitsISI_E10value_typeEPNSO_ISJ_E10value_typeEPSK_NS1_7vsmem_tEENKUlT_SI_SJ_SK_E_clIPdSD_S10_SD_EESH_SX_SI_SJ_SK_EUlSX_E0_NS1_11comp_targetILNS1_3genE9ELNS1_11target_archE1100ELNS1_3gpuE3ELNS1_3repE0EEENS1_38merge_mergepath_config_static_selectorELNS0_4arch9wavefront6targetE1EEEvSJ_.has_dyn_sized_stack, 0
	.set _ZN7rocprim17ROCPRIM_400000_NS6detail17trampoline_kernelINS0_14default_configENS1_38merge_sort_block_merge_config_selectorIddEEZZNS1_27merge_sort_block_merge_implIS3_N6thrust23THRUST_200600_302600_NS6detail15normal_iteratorINS8_10device_ptrIdEEEESD_jNS1_19radix_merge_compareILb0ELb0EdNS0_19identity_decomposerEEEEE10hipError_tT0_T1_T2_jT3_P12ihipStream_tbPNSt15iterator_traitsISI_E10value_typeEPNSO_ISJ_E10value_typeEPSK_NS1_7vsmem_tEENKUlT_SI_SJ_SK_E_clIPdSD_S10_SD_EESH_SX_SI_SJ_SK_EUlSX_E0_NS1_11comp_targetILNS1_3genE9ELNS1_11target_archE1100ELNS1_3gpuE3ELNS1_3repE0EEENS1_38merge_mergepath_config_static_selectorELNS0_4arch9wavefront6targetE1EEEvSJ_.has_recursion, 0
	.set _ZN7rocprim17ROCPRIM_400000_NS6detail17trampoline_kernelINS0_14default_configENS1_38merge_sort_block_merge_config_selectorIddEEZZNS1_27merge_sort_block_merge_implIS3_N6thrust23THRUST_200600_302600_NS6detail15normal_iteratorINS8_10device_ptrIdEEEESD_jNS1_19radix_merge_compareILb0ELb0EdNS0_19identity_decomposerEEEEE10hipError_tT0_T1_T2_jT3_P12ihipStream_tbPNSt15iterator_traitsISI_E10value_typeEPNSO_ISJ_E10value_typeEPSK_NS1_7vsmem_tEENKUlT_SI_SJ_SK_E_clIPdSD_S10_SD_EESH_SX_SI_SJ_SK_EUlSX_E0_NS1_11comp_targetILNS1_3genE9ELNS1_11target_archE1100ELNS1_3gpuE3ELNS1_3repE0EEENS1_38merge_mergepath_config_static_selectorELNS0_4arch9wavefront6targetE1EEEvSJ_.has_indirect_call, 0
	.section	.AMDGPU.csdata,"",@progbits
; Kernel info:
; codeLenInByte = 0
; TotalNumSgprs: 6
; NumVgprs: 0
; NumAgprs: 0
; TotalNumVgprs: 0
; ScratchSize: 0
; MemoryBound: 0
; FloatMode: 240
; IeeeMode: 1
; LDSByteSize: 0 bytes/workgroup (compile time only)
; SGPRBlocks: 0
; VGPRBlocks: 0
; NumSGPRsForWavesPerEU: 6
; NumVGPRsForWavesPerEU: 1
; AccumOffset: 4
; Occupancy: 8
; WaveLimiterHint : 0
; COMPUTE_PGM_RSRC2:SCRATCH_EN: 0
; COMPUTE_PGM_RSRC2:USER_SGPR: 2
; COMPUTE_PGM_RSRC2:TRAP_HANDLER: 0
; COMPUTE_PGM_RSRC2:TGID_X_EN: 1
; COMPUTE_PGM_RSRC2:TGID_Y_EN: 0
; COMPUTE_PGM_RSRC2:TGID_Z_EN: 0
; COMPUTE_PGM_RSRC2:TIDIG_COMP_CNT: 0
; COMPUTE_PGM_RSRC3_GFX90A:ACCUM_OFFSET: 0
; COMPUTE_PGM_RSRC3_GFX90A:TG_SPLIT: 0
	.section	.text._ZN7rocprim17ROCPRIM_400000_NS6detail17trampoline_kernelINS0_14default_configENS1_38merge_sort_block_merge_config_selectorIddEEZZNS1_27merge_sort_block_merge_implIS3_N6thrust23THRUST_200600_302600_NS6detail15normal_iteratorINS8_10device_ptrIdEEEESD_jNS1_19radix_merge_compareILb0ELb0EdNS0_19identity_decomposerEEEEE10hipError_tT0_T1_T2_jT3_P12ihipStream_tbPNSt15iterator_traitsISI_E10value_typeEPNSO_ISJ_E10value_typeEPSK_NS1_7vsmem_tEENKUlT_SI_SJ_SK_E_clIPdSD_S10_SD_EESH_SX_SI_SJ_SK_EUlSX_E0_NS1_11comp_targetILNS1_3genE8ELNS1_11target_archE1030ELNS1_3gpuE2ELNS1_3repE0EEENS1_38merge_mergepath_config_static_selectorELNS0_4arch9wavefront6targetE1EEEvSJ_,"axG",@progbits,_ZN7rocprim17ROCPRIM_400000_NS6detail17trampoline_kernelINS0_14default_configENS1_38merge_sort_block_merge_config_selectorIddEEZZNS1_27merge_sort_block_merge_implIS3_N6thrust23THRUST_200600_302600_NS6detail15normal_iteratorINS8_10device_ptrIdEEEESD_jNS1_19radix_merge_compareILb0ELb0EdNS0_19identity_decomposerEEEEE10hipError_tT0_T1_T2_jT3_P12ihipStream_tbPNSt15iterator_traitsISI_E10value_typeEPNSO_ISJ_E10value_typeEPSK_NS1_7vsmem_tEENKUlT_SI_SJ_SK_E_clIPdSD_S10_SD_EESH_SX_SI_SJ_SK_EUlSX_E0_NS1_11comp_targetILNS1_3genE8ELNS1_11target_archE1030ELNS1_3gpuE2ELNS1_3repE0EEENS1_38merge_mergepath_config_static_selectorELNS0_4arch9wavefront6targetE1EEEvSJ_,comdat
	.protected	_ZN7rocprim17ROCPRIM_400000_NS6detail17trampoline_kernelINS0_14default_configENS1_38merge_sort_block_merge_config_selectorIddEEZZNS1_27merge_sort_block_merge_implIS3_N6thrust23THRUST_200600_302600_NS6detail15normal_iteratorINS8_10device_ptrIdEEEESD_jNS1_19radix_merge_compareILb0ELb0EdNS0_19identity_decomposerEEEEE10hipError_tT0_T1_T2_jT3_P12ihipStream_tbPNSt15iterator_traitsISI_E10value_typeEPNSO_ISJ_E10value_typeEPSK_NS1_7vsmem_tEENKUlT_SI_SJ_SK_E_clIPdSD_S10_SD_EESH_SX_SI_SJ_SK_EUlSX_E0_NS1_11comp_targetILNS1_3genE8ELNS1_11target_archE1030ELNS1_3gpuE2ELNS1_3repE0EEENS1_38merge_mergepath_config_static_selectorELNS0_4arch9wavefront6targetE1EEEvSJ_ ; -- Begin function _ZN7rocprim17ROCPRIM_400000_NS6detail17trampoline_kernelINS0_14default_configENS1_38merge_sort_block_merge_config_selectorIddEEZZNS1_27merge_sort_block_merge_implIS3_N6thrust23THRUST_200600_302600_NS6detail15normal_iteratorINS8_10device_ptrIdEEEESD_jNS1_19radix_merge_compareILb0ELb0EdNS0_19identity_decomposerEEEEE10hipError_tT0_T1_T2_jT3_P12ihipStream_tbPNSt15iterator_traitsISI_E10value_typeEPNSO_ISJ_E10value_typeEPSK_NS1_7vsmem_tEENKUlT_SI_SJ_SK_E_clIPdSD_S10_SD_EESH_SX_SI_SJ_SK_EUlSX_E0_NS1_11comp_targetILNS1_3genE8ELNS1_11target_archE1030ELNS1_3gpuE2ELNS1_3repE0EEENS1_38merge_mergepath_config_static_selectorELNS0_4arch9wavefront6targetE1EEEvSJ_
	.globl	_ZN7rocprim17ROCPRIM_400000_NS6detail17trampoline_kernelINS0_14default_configENS1_38merge_sort_block_merge_config_selectorIddEEZZNS1_27merge_sort_block_merge_implIS3_N6thrust23THRUST_200600_302600_NS6detail15normal_iteratorINS8_10device_ptrIdEEEESD_jNS1_19radix_merge_compareILb0ELb0EdNS0_19identity_decomposerEEEEE10hipError_tT0_T1_T2_jT3_P12ihipStream_tbPNSt15iterator_traitsISI_E10value_typeEPNSO_ISJ_E10value_typeEPSK_NS1_7vsmem_tEENKUlT_SI_SJ_SK_E_clIPdSD_S10_SD_EESH_SX_SI_SJ_SK_EUlSX_E0_NS1_11comp_targetILNS1_3genE8ELNS1_11target_archE1030ELNS1_3gpuE2ELNS1_3repE0EEENS1_38merge_mergepath_config_static_selectorELNS0_4arch9wavefront6targetE1EEEvSJ_
	.p2align	8
	.type	_ZN7rocprim17ROCPRIM_400000_NS6detail17trampoline_kernelINS0_14default_configENS1_38merge_sort_block_merge_config_selectorIddEEZZNS1_27merge_sort_block_merge_implIS3_N6thrust23THRUST_200600_302600_NS6detail15normal_iteratorINS8_10device_ptrIdEEEESD_jNS1_19radix_merge_compareILb0ELb0EdNS0_19identity_decomposerEEEEE10hipError_tT0_T1_T2_jT3_P12ihipStream_tbPNSt15iterator_traitsISI_E10value_typeEPNSO_ISJ_E10value_typeEPSK_NS1_7vsmem_tEENKUlT_SI_SJ_SK_E_clIPdSD_S10_SD_EESH_SX_SI_SJ_SK_EUlSX_E0_NS1_11comp_targetILNS1_3genE8ELNS1_11target_archE1030ELNS1_3gpuE2ELNS1_3repE0EEENS1_38merge_mergepath_config_static_selectorELNS0_4arch9wavefront6targetE1EEEvSJ_,@function
_ZN7rocprim17ROCPRIM_400000_NS6detail17trampoline_kernelINS0_14default_configENS1_38merge_sort_block_merge_config_selectorIddEEZZNS1_27merge_sort_block_merge_implIS3_N6thrust23THRUST_200600_302600_NS6detail15normal_iteratorINS8_10device_ptrIdEEEESD_jNS1_19radix_merge_compareILb0ELb0EdNS0_19identity_decomposerEEEEE10hipError_tT0_T1_T2_jT3_P12ihipStream_tbPNSt15iterator_traitsISI_E10value_typeEPNSO_ISJ_E10value_typeEPSK_NS1_7vsmem_tEENKUlT_SI_SJ_SK_E_clIPdSD_S10_SD_EESH_SX_SI_SJ_SK_EUlSX_E0_NS1_11comp_targetILNS1_3genE8ELNS1_11target_archE1030ELNS1_3gpuE2ELNS1_3repE0EEENS1_38merge_mergepath_config_static_selectorELNS0_4arch9wavefront6targetE1EEEvSJ_: ; @_ZN7rocprim17ROCPRIM_400000_NS6detail17trampoline_kernelINS0_14default_configENS1_38merge_sort_block_merge_config_selectorIddEEZZNS1_27merge_sort_block_merge_implIS3_N6thrust23THRUST_200600_302600_NS6detail15normal_iteratorINS8_10device_ptrIdEEEESD_jNS1_19radix_merge_compareILb0ELb0EdNS0_19identity_decomposerEEEEE10hipError_tT0_T1_T2_jT3_P12ihipStream_tbPNSt15iterator_traitsISI_E10value_typeEPNSO_ISJ_E10value_typeEPSK_NS1_7vsmem_tEENKUlT_SI_SJ_SK_E_clIPdSD_S10_SD_EESH_SX_SI_SJ_SK_EUlSX_E0_NS1_11comp_targetILNS1_3genE8ELNS1_11target_archE1030ELNS1_3gpuE2ELNS1_3repE0EEENS1_38merge_mergepath_config_static_selectorELNS0_4arch9wavefront6targetE1EEEvSJ_
; %bb.0:
	.section	.rodata,"a",@progbits
	.p2align	6, 0x0
	.amdhsa_kernel _ZN7rocprim17ROCPRIM_400000_NS6detail17trampoline_kernelINS0_14default_configENS1_38merge_sort_block_merge_config_selectorIddEEZZNS1_27merge_sort_block_merge_implIS3_N6thrust23THRUST_200600_302600_NS6detail15normal_iteratorINS8_10device_ptrIdEEEESD_jNS1_19radix_merge_compareILb0ELb0EdNS0_19identity_decomposerEEEEE10hipError_tT0_T1_T2_jT3_P12ihipStream_tbPNSt15iterator_traitsISI_E10value_typeEPNSO_ISJ_E10value_typeEPSK_NS1_7vsmem_tEENKUlT_SI_SJ_SK_E_clIPdSD_S10_SD_EESH_SX_SI_SJ_SK_EUlSX_E0_NS1_11comp_targetILNS1_3genE8ELNS1_11target_archE1030ELNS1_3gpuE2ELNS1_3repE0EEENS1_38merge_mergepath_config_static_selectorELNS0_4arch9wavefront6targetE1EEEvSJ_
		.amdhsa_group_segment_fixed_size 0
		.amdhsa_private_segment_fixed_size 0
		.amdhsa_kernarg_size 64
		.amdhsa_user_sgpr_count 2
		.amdhsa_user_sgpr_dispatch_ptr 0
		.amdhsa_user_sgpr_queue_ptr 0
		.amdhsa_user_sgpr_kernarg_segment_ptr 1
		.amdhsa_user_sgpr_dispatch_id 0
		.amdhsa_user_sgpr_kernarg_preload_length 0
		.amdhsa_user_sgpr_kernarg_preload_offset 0
		.amdhsa_user_sgpr_private_segment_size 0
		.amdhsa_uses_dynamic_stack 0
		.amdhsa_enable_private_segment 0
		.amdhsa_system_sgpr_workgroup_id_x 1
		.amdhsa_system_sgpr_workgroup_id_y 0
		.amdhsa_system_sgpr_workgroup_id_z 0
		.amdhsa_system_sgpr_workgroup_info 0
		.amdhsa_system_vgpr_workitem_id 0
		.amdhsa_next_free_vgpr 1
		.amdhsa_next_free_sgpr 0
		.amdhsa_accum_offset 4
		.amdhsa_reserve_vcc 0
		.amdhsa_float_round_mode_32 0
		.amdhsa_float_round_mode_16_64 0
		.amdhsa_float_denorm_mode_32 3
		.amdhsa_float_denorm_mode_16_64 3
		.amdhsa_dx10_clamp 1
		.amdhsa_ieee_mode 1
		.amdhsa_fp16_overflow 0
		.amdhsa_tg_split 0
		.amdhsa_exception_fp_ieee_invalid_op 0
		.amdhsa_exception_fp_denorm_src 0
		.amdhsa_exception_fp_ieee_div_zero 0
		.amdhsa_exception_fp_ieee_overflow 0
		.amdhsa_exception_fp_ieee_underflow 0
		.amdhsa_exception_fp_ieee_inexact 0
		.amdhsa_exception_int_div_zero 0
	.end_amdhsa_kernel
	.section	.text._ZN7rocprim17ROCPRIM_400000_NS6detail17trampoline_kernelINS0_14default_configENS1_38merge_sort_block_merge_config_selectorIddEEZZNS1_27merge_sort_block_merge_implIS3_N6thrust23THRUST_200600_302600_NS6detail15normal_iteratorINS8_10device_ptrIdEEEESD_jNS1_19radix_merge_compareILb0ELb0EdNS0_19identity_decomposerEEEEE10hipError_tT0_T1_T2_jT3_P12ihipStream_tbPNSt15iterator_traitsISI_E10value_typeEPNSO_ISJ_E10value_typeEPSK_NS1_7vsmem_tEENKUlT_SI_SJ_SK_E_clIPdSD_S10_SD_EESH_SX_SI_SJ_SK_EUlSX_E0_NS1_11comp_targetILNS1_3genE8ELNS1_11target_archE1030ELNS1_3gpuE2ELNS1_3repE0EEENS1_38merge_mergepath_config_static_selectorELNS0_4arch9wavefront6targetE1EEEvSJ_,"axG",@progbits,_ZN7rocprim17ROCPRIM_400000_NS6detail17trampoline_kernelINS0_14default_configENS1_38merge_sort_block_merge_config_selectorIddEEZZNS1_27merge_sort_block_merge_implIS3_N6thrust23THRUST_200600_302600_NS6detail15normal_iteratorINS8_10device_ptrIdEEEESD_jNS1_19radix_merge_compareILb0ELb0EdNS0_19identity_decomposerEEEEE10hipError_tT0_T1_T2_jT3_P12ihipStream_tbPNSt15iterator_traitsISI_E10value_typeEPNSO_ISJ_E10value_typeEPSK_NS1_7vsmem_tEENKUlT_SI_SJ_SK_E_clIPdSD_S10_SD_EESH_SX_SI_SJ_SK_EUlSX_E0_NS1_11comp_targetILNS1_3genE8ELNS1_11target_archE1030ELNS1_3gpuE2ELNS1_3repE0EEENS1_38merge_mergepath_config_static_selectorELNS0_4arch9wavefront6targetE1EEEvSJ_,comdat
.Lfunc_end40:
	.size	_ZN7rocprim17ROCPRIM_400000_NS6detail17trampoline_kernelINS0_14default_configENS1_38merge_sort_block_merge_config_selectorIddEEZZNS1_27merge_sort_block_merge_implIS3_N6thrust23THRUST_200600_302600_NS6detail15normal_iteratorINS8_10device_ptrIdEEEESD_jNS1_19radix_merge_compareILb0ELb0EdNS0_19identity_decomposerEEEEE10hipError_tT0_T1_T2_jT3_P12ihipStream_tbPNSt15iterator_traitsISI_E10value_typeEPNSO_ISJ_E10value_typeEPSK_NS1_7vsmem_tEENKUlT_SI_SJ_SK_E_clIPdSD_S10_SD_EESH_SX_SI_SJ_SK_EUlSX_E0_NS1_11comp_targetILNS1_3genE8ELNS1_11target_archE1030ELNS1_3gpuE2ELNS1_3repE0EEENS1_38merge_mergepath_config_static_selectorELNS0_4arch9wavefront6targetE1EEEvSJ_, .Lfunc_end40-_ZN7rocprim17ROCPRIM_400000_NS6detail17trampoline_kernelINS0_14default_configENS1_38merge_sort_block_merge_config_selectorIddEEZZNS1_27merge_sort_block_merge_implIS3_N6thrust23THRUST_200600_302600_NS6detail15normal_iteratorINS8_10device_ptrIdEEEESD_jNS1_19radix_merge_compareILb0ELb0EdNS0_19identity_decomposerEEEEE10hipError_tT0_T1_T2_jT3_P12ihipStream_tbPNSt15iterator_traitsISI_E10value_typeEPNSO_ISJ_E10value_typeEPSK_NS1_7vsmem_tEENKUlT_SI_SJ_SK_E_clIPdSD_S10_SD_EESH_SX_SI_SJ_SK_EUlSX_E0_NS1_11comp_targetILNS1_3genE8ELNS1_11target_archE1030ELNS1_3gpuE2ELNS1_3repE0EEENS1_38merge_mergepath_config_static_selectorELNS0_4arch9wavefront6targetE1EEEvSJ_
                                        ; -- End function
	.set _ZN7rocprim17ROCPRIM_400000_NS6detail17trampoline_kernelINS0_14default_configENS1_38merge_sort_block_merge_config_selectorIddEEZZNS1_27merge_sort_block_merge_implIS3_N6thrust23THRUST_200600_302600_NS6detail15normal_iteratorINS8_10device_ptrIdEEEESD_jNS1_19radix_merge_compareILb0ELb0EdNS0_19identity_decomposerEEEEE10hipError_tT0_T1_T2_jT3_P12ihipStream_tbPNSt15iterator_traitsISI_E10value_typeEPNSO_ISJ_E10value_typeEPSK_NS1_7vsmem_tEENKUlT_SI_SJ_SK_E_clIPdSD_S10_SD_EESH_SX_SI_SJ_SK_EUlSX_E0_NS1_11comp_targetILNS1_3genE8ELNS1_11target_archE1030ELNS1_3gpuE2ELNS1_3repE0EEENS1_38merge_mergepath_config_static_selectorELNS0_4arch9wavefront6targetE1EEEvSJ_.num_vgpr, 0
	.set _ZN7rocprim17ROCPRIM_400000_NS6detail17trampoline_kernelINS0_14default_configENS1_38merge_sort_block_merge_config_selectorIddEEZZNS1_27merge_sort_block_merge_implIS3_N6thrust23THRUST_200600_302600_NS6detail15normal_iteratorINS8_10device_ptrIdEEEESD_jNS1_19radix_merge_compareILb0ELb0EdNS0_19identity_decomposerEEEEE10hipError_tT0_T1_T2_jT3_P12ihipStream_tbPNSt15iterator_traitsISI_E10value_typeEPNSO_ISJ_E10value_typeEPSK_NS1_7vsmem_tEENKUlT_SI_SJ_SK_E_clIPdSD_S10_SD_EESH_SX_SI_SJ_SK_EUlSX_E0_NS1_11comp_targetILNS1_3genE8ELNS1_11target_archE1030ELNS1_3gpuE2ELNS1_3repE0EEENS1_38merge_mergepath_config_static_selectorELNS0_4arch9wavefront6targetE1EEEvSJ_.num_agpr, 0
	.set _ZN7rocprim17ROCPRIM_400000_NS6detail17trampoline_kernelINS0_14default_configENS1_38merge_sort_block_merge_config_selectorIddEEZZNS1_27merge_sort_block_merge_implIS3_N6thrust23THRUST_200600_302600_NS6detail15normal_iteratorINS8_10device_ptrIdEEEESD_jNS1_19radix_merge_compareILb0ELb0EdNS0_19identity_decomposerEEEEE10hipError_tT0_T1_T2_jT3_P12ihipStream_tbPNSt15iterator_traitsISI_E10value_typeEPNSO_ISJ_E10value_typeEPSK_NS1_7vsmem_tEENKUlT_SI_SJ_SK_E_clIPdSD_S10_SD_EESH_SX_SI_SJ_SK_EUlSX_E0_NS1_11comp_targetILNS1_3genE8ELNS1_11target_archE1030ELNS1_3gpuE2ELNS1_3repE0EEENS1_38merge_mergepath_config_static_selectorELNS0_4arch9wavefront6targetE1EEEvSJ_.numbered_sgpr, 0
	.set _ZN7rocprim17ROCPRIM_400000_NS6detail17trampoline_kernelINS0_14default_configENS1_38merge_sort_block_merge_config_selectorIddEEZZNS1_27merge_sort_block_merge_implIS3_N6thrust23THRUST_200600_302600_NS6detail15normal_iteratorINS8_10device_ptrIdEEEESD_jNS1_19radix_merge_compareILb0ELb0EdNS0_19identity_decomposerEEEEE10hipError_tT0_T1_T2_jT3_P12ihipStream_tbPNSt15iterator_traitsISI_E10value_typeEPNSO_ISJ_E10value_typeEPSK_NS1_7vsmem_tEENKUlT_SI_SJ_SK_E_clIPdSD_S10_SD_EESH_SX_SI_SJ_SK_EUlSX_E0_NS1_11comp_targetILNS1_3genE8ELNS1_11target_archE1030ELNS1_3gpuE2ELNS1_3repE0EEENS1_38merge_mergepath_config_static_selectorELNS0_4arch9wavefront6targetE1EEEvSJ_.num_named_barrier, 0
	.set _ZN7rocprim17ROCPRIM_400000_NS6detail17trampoline_kernelINS0_14default_configENS1_38merge_sort_block_merge_config_selectorIddEEZZNS1_27merge_sort_block_merge_implIS3_N6thrust23THRUST_200600_302600_NS6detail15normal_iteratorINS8_10device_ptrIdEEEESD_jNS1_19radix_merge_compareILb0ELb0EdNS0_19identity_decomposerEEEEE10hipError_tT0_T1_T2_jT3_P12ihipStream_tbPNSt15iterator_traitsISI_E10value_typeEPNSO_ISJ_E10value_typeEPSK_NS1_7vsmem_tEENKUlT_SI_SJ_SK_E_clIPdSD_S10_SD_EESH_SX_SI_SJ_SK_EUlSX_E0_NS1_11comp_targetILNS1_3genE8ELNS1_11target_archE1030ELNS1_3gpuE2ELNS1_3repE0EEENS1_38merge_mergepath_config_static_selectorELNS0_4arch9wavefront6targetE1EEEvSJ_.private_seg_size, 0
	.set _ZN7rocprim17ROCPRIM_400000_NS6detail17trampoline_kernelINS0_14default_configENS1_38merge_sort_block_merge_config_selectorIddEEZZNS1_27merge_sort_block_merge_implIS3_N6thrust23THRUST_200600_302600_NS6detail15normal_iteratorINS8_10device_ptrIdEEEESD_jNS1_19radix_merge_compareILb0ELb0EdNS0_19identity_decomposerEEEEE10hipError_tT0_T1_T2_jT3_P12ihipStream_tbPNSt15iterator_traitsISI_E10value_typeEPNSO_ISJ_E10value_typeEPSK_NS1_7vsmem_tEENKUlT_SI_SJ_SK_E_clIPdSD_S10_SD_EESH_SX_SI_SJ_SK_EUlSX_E0_NS1_11comp_targetILNS1_3genE8ELNS1_11target_archE1030ELNS1_3gpuE2ELNS1_3repE0EEENS1_38merge_mergepath_config_static_selectorELNS0_4arch9wavefront6targetE1EEEvSJ_.uses_vcc, 0
	.set _ZN7rocprim17ROCPRIM_400000_NS6detail17trampoline_kernelINS0_14default_configENS1_38merge_sort_block_merge_config_selectorIddEEZZNS1_27merge_sort_block_merge_implIS3_N6thrust23THRUST_200600_302600_NS6detail15normal_iteratorINS8_10device_ptrIdEEEESD_jNS1_19radix_merge_compareILb0ELb0EdNS0_19identity_decomposerEEEEE10hipError_tT0_T1_T2_jT3_P12ihipStream_tbPNSt15iterator_traitsISI_E10value_typeEPNSO_ISJ_E10value_typeEPSK_NS1_7vsmem_tEENKUlT_SI_SJ_SK_E_clIPdSD_S10_SD_EESH_SX_SI_SJ_SK_EUlSX_E0_NS1_11comp_targetILNS1_3genE8ELNS1_11target_archE1030ELNS1_3gpuE2ELNS1_3repE0EEENS1_38merge_mergepath_config_static_selectorELNS0_4arch9wavefront6targetE1EEEvSJ_.uses_flat_scratch, 0
	.set _ZN7rocprim17ROCPRIM_400000_NS6detail17trampoline_kernelINS0_14default_configENS1_38merge_sort_block_merge_config_selectorIddEEZZNS1_27merge_sort_block_merge_implIS3_N6thrust23THRUST_200600_302600_NS6detail15normal_iteratorINS8_10device_ptrIdEEEESD_jNS1_19radix_merge_compareILb0ELb0EdNS0_19identity_decomposerEEEEE10hipError_tT0_T1_T2_jT3_P12ihipStream_tbPNSt15iterator_traitsISI_E10value_typeEPNSO_ISJ_E10value_typeEPSK_NS1_7vsmem_tEENKUlT_SI_SJ_SK_E_clIPdSD_S10_SD_EESH_SX_SI_SJ_SK_EUlSX_E0_NS1_11comp_targetILNS1_3genE8ELNS1_11target_archE1030ELNS1_3gpuE2ELNS1_3repE0EEENS1_38merge_mergepath_config_static_selectorELNS0_4arch9wavefront6targetE1EEEvSJ_.has_dyn_sized_stack, 0
	.set _ZN7rocprim17ROCPRIM_400000_NS6detail17trampoline_kernelINS0_14default_configENS1_38merge_sort_block_merge_config_selectorIddEEZZNS1_27merge_sort_block_merge_implIS3_N6thrust23THRUST_200600_302600_NS6detail15normal_iteratorINS8_10device_ptrIdEEEESD_jNS1_19radix_merge_compareILb0ELb0EdNS0_19identity_decomposerEEEEE10hipError_tT0_T1_T2_jT3_P12ihipStream_tbPNSt15iterator_traitsISI_E10value_typeEPNSO_ISJ_E10value_typeEPSK_NS1_7vsmem_tEENKUlT_SI_SJ_SK_E_clIPdSD_S10_SD_EESH_SX_SI_SJ_SK_EUlSX_E0_NS1_11comp_targetILNS1_3genE8ELNS1_11target_archE1030ELNS1_3gpuE2ELNS1_3repE0EEENS1_38merge_mergepath_config_static_selectorELNS0_4arch9wavefront6targetE1EEEvSJ_.has_recursion, 0
	.set _ZN7rocprim17ROCPRIM_400000_NS6detail17trampoline_kernelINS0_14default_configENS1_38merge_sort_block_merge_config_selectorIddEEZZNS1_27merge_sort_block_merge_implIS3_N6thrust23THRUST_200600_302600_NS6detail15normal_iteratorINS8_10device_ptrIdEEEESD_jNS1_19radix_merge_compareILb0ELb0EdNS0_19identity_decomposerEEEEE10hipError_tT0_T1_T2_jT3_P12ihipStream_tbPNSt15iterator_traitsISI_E10value_typeEPNSO_ISJ_E10value_typeEPSK_NS1_7vsmem_tEENKUlT_SI_SJ_SK_E_clIPdSD_S10_SD_EESH_SX_SI_SJ_SK_EUlSX_E0_NS1_11comp_targetILNS1_3genE8ELNS1_11target_archE1030ELNS1_3gpuE2ELNS1_3repE0EEENS1_38merge_mergepath_config_static_selectorELNS0_4arch9wavefront6targetE1EEEvSJ_.has_indirect_call, 0
	.section	.AMDGPU.csdata,"",@progbits
; Kernel info:
; codeLenInByte = 0
; TotalNumSgprs: 6
; NumVgprs: 0
; NumAgprs: 0
; TotalNumVgprs: 0
; ScratchSize: 0
; MemoryBound: 0
; FloatMode: 240
; IeeeMode: 1
; LDSByteSize: 0 bytes/workgroup (compile time only)
; SGPRBlocks: 0
; VGPRBlocks: 0
; NumSGPRsForWavesPerEU: 6
; NumVGPRsForWavesPerEU: 1
; AccumOffset: 4
; Occupancy: 8
; WaveLimiterHint : 0
; COMPUTE_PGM_RSRC2:SCRATCH_EN: 0
; COMPUTE_PGM_RSRC2:USER_SGPR: 2
; COMPUTE_PGM_RSRC2:TRAP_HANDLER: 0
; COMPUTE_PGM_RSRC2:TGID_X_EN: 1
; COMPUTE_PGM_RSRC2:TGID_Y_EN: 0
; COMPUTE_PGM_RSRC2:TGID_Z_EN: 0
; COMPUTE_PGM_RSRC2:TIDIG_COMP_CNT: 0
; COMPUTE_PGM_RSRC3_GFX90A:ACCUM_OFFSET: 0
; COMPUTE_PGM_RSRC3_GFX90A:TG_SPLIT: 0
	.section	.text._ZN7rocprim17ROCPRIM_400000_NS6detail17trampoline_kernelINS0_14default_configENS1_38merge_sort_block_merge_config_selectorIddEEZZNS1_27merge_sort_block_merge_implIS3_N6thrust23THRUST_200600_302600_NS6detail15normal_iteratorINS8_10device_ptrIdEEEESD_jNS1_19radix_merge_compareILb0ELb0EdNS0_19identity_decomposerEEEEE10hipError_tT0_T1_T2_jT3_P12ihipStream_tbPNSt15iterator_traitsISI_E10value_typeEPNSO_ISJ_E10value_typeEPSK_NS1_7vsmem_tEENKUlT_SI_SJ_SK_E_clIPdSD_S10_SD_EESH_SX_SI_SJ_SK_EUlSX_E1_NS1_11comp_targetILNS1_3genE0ELNS1_11target_archE4294967295ELNS1_3gpuE0ELNS1_3repE0EEENS1_36merge_oddeven_config_static_selectorELNS0_4arch9wavefront6targetE1EEEvSJ_,"axG",@progbits,_ZN7rocprim17ROCPRIM_400000_NS6detail17trampoline_kernelINS0_14default_configENS1_38merge_sort_block_merge_config_selectorIddEEZZNS1_27merge_sort_block_merge_implIS3_N6thrust23THRUST_200600_302600_NS6detail15normal_iteratorINS8_10device_ptrIdEEEESD_jNS1_19radix_merge_compareILb0ELb0EdNS0_19identity_decomposerEEEEE10hipError_tT0_T1_T2_jT3_P12ihipStream_tbPNSt15iterator_traitsISI_E10value_typeEPNSO_ISJ_E10value_typeEPSK_NS1_7vsmem_tEENKUlT_SI_SJ_SK_E_clIPdSD_S10_SD_EESH_SX_SI_SJ_SK_EUlSX_E1_NS1_11comp_targetILNS1_3genE0ELNS1_11target_archE4294967295ELNS1_3gpuE0ELNS1_3repE0EEENS1_36merge_oddeven_config_static_selectorELNS0_4arch9wavefront6targetE1EEEvSJ_,comdat
	.protected	_ZN7rocprim17ROCPRIM_400000_NS6detail17trampoline_kernelINS0_14default_configENS1_38merge_sort_block_merge_config_selectorIddEEZZNS1_27merge_sort_block_merge_implIS3_N6thrust23THRUST_200600_302600_NS6detail15normal_iteratorINS8_10device_ptrIdEEEESD_jNS1_19radix_merge_compareILb0ELb0EdNS0_19identity_decomposerEEEEE10hipError_tT0_T1_T2_jT3_P12ihipStream_tbPNSt15iterator_traitsISI_E10value_typeEPNSO_ISJ_E10value_typeEPSK_NS1_7vsmem_tEENKUlT_SI_SJ_SK_E_clIPdSD_S10_SD_EESH_SX_SI_SJ_SK_EUlSX_E1_NS1_11comp_targetILNS1_3genE0ELNS1_11target_archE4294967295ELNS1_3gpuE0ELNS1_3repE0EEENS1_36merge_oddeven_config_static_selectorELNS0_4arch9wavefront6targetE1EEEvSJ_ ; -- Begin function _ZN7rocprim17ROCPRIM_400000_NS6detail17trampoline_kernelINS0_14default_configENS1_38merge_sort_block_merge_config_selectorIddEEZZNS1_27merge_sort_block_merge_implIS3_N6thrust23THRUST_200600_302600_NS6detail15normal_iteratorINS8_10device_ptrIdEEEESD_jNS1_19radix_merge_compareILb0ELb0EdNS0_19identity_decomposerEEEEE10hipError_tT0_T1_T2_jT3_P12ihipStream_tbPNSt15iterator_traitsISI_E10value_typeEPNSO_ISJ_E10value_typeEPSK_NS1_7vsmem_tEENKUlT_SI_SJ_SK_E_clIPdSD_S10_SD_EESH_SX_SI_SJ_SK_EUlSX_E1_NS1_11comp_targetILNS1_3genE0ELNS1_11target_archE4294967295ELNS1_3gpuE0ELNS1_3repE0EEENS1_36merge_oddeven_config_static_selectorELNS0_4arch9wavefront6targetE1EEEvSJ_
	.globl	_ZN7rocprim17ROCPRIM_400000_NS6detail17trampoline_kernelINS0_14default_configENS1_38merge_sort_block_merge_config_selectorIddEEZZNS1_27merge_sort_block_merge_implIS3_N6thrust23THRUST_200600_302600_NS6detail15normal_iteratorINS8_10device_ptrIdEEEESD_jNS1_19radix_merge_compareILb0ELb0EdNS0_19identity_decomposerEEEEE10hipError_tT0_T1_T2_jT3_P12ihipStream_tbPNSt15iterator_traitsISI_E10value_typeEPNSO_ISJ_E10value_typeEPSK_NS1_7vsmem_tEENKUlT_SI_SJ_SK_E_clIPdSD_S10_SD_EESH_SX_SI_SJ_SK_EUlSX_E1_NS1_11comp_targetILNS1_3genE0ELNS1_11target_archE4294967295ELNS1_3gpuE0ELNS1_3repE0EEENS1_36merge_oddeven_config_static_selectorELNS0_4arch9wavefront6targetE1EEEvSJ_
	.p2align	8
	.type	_ZN7rocprim17ROCPRIM_400000_NS6detail17trampoline_kernelINS0_14default_configENS1_38merge_sort_block_merge_config_selectorIddEEZZNS1_27merge_sort_block_merge_implIS3_N6thrust23THRUST_200600_302600_NS6detail15normal_iteratorINS8_10device_ptrIdEEEESD_jNS1_19radix_merge_compareILb0ELb0EdNS0_19identity_decomposerEEEEE10hipError_tT0_T1_T2_jT3_P12ihipStream_tbPNSt15iterator_traitsISI_E10value_typeEPNSO_ISJ_E10value_typeEPSK_NS1_7vsmem_tEENKUlT_SI_SJ_SK_E_clIPdSD_S10_SD_EESH_SX_SI_SJ_SK_EUlSX_E1_NS1_11comp_targetILNS1_3genE0ELNS1_11target_archE4294967295ELNS1_3gpuE0ELNS1_3repE0EEENS1_36merge_oddeven_config_static_selectorELNS0_4arch9wavefront6targetE1EEEvSJ_,@function
_ZN7rocprim17ROCPRIM_400000_NS6detail17trampoline_kernelINS0_14default_configENS1_38merge_sort_block_merge_config_selectorIddEEZZNS1_27merge_sort_block_merge_implIS3_N6thrust23THRUST_200600_302600_NS6detail15normal_iteratorINS8_10device_ptrIdEEEESD_jNS1_19radix_merge_compareILb0ELb0EdNS0_19identity_decomposerEEEEE10hipError_tT0_T1_T2_jT3_P12ihipStream_tbPNSt15iterator_traitsISI_E10value_typeEPNSO_ISJ_E10value_typeEPSK_NS1_7vsmem_tEENKUlT_SI_SJ_SK_E_clIPdSD_S10_SD_EESH_SX_SI_SJ_SK_EUlSX_E1_NS1_11comp_targetILNS1_3genE0ELNS1_11target_archE4294967295ELNS1_3gpuE0ELNS1_3repE0EEENS1_36merge_oddeven_config_static_selectorELNS0_4arch9wavefront6targetE1EEEvSJ_: ; @_ZN7rocprim17ROCPRIM_400000_NS6detail17trampoline_kernelINS0_14default_configENS1_38merge_sort_block_merge_config_selectorIddEEZZNS1_27merge_sort_block_merge_implIS3_N6thrust23THRUST_200600_302600_NS6detail15normal_iteratorINS8_10device_ptrIdEEEESD_jNS1_19radix_merge_compareILb0ELb0EdNS0_19identity_decomposerEEEEE10hipError_tT0_T1_T2_jT3_P12ihipStream_tbPNSt15iterator_traitsISI_E10value_typeEPNSO_ISJ_E10value_typeEPSK_NS1_7vsmem_tEENKUlT_SI_SJ_SK_E_clIPdSD_S10_SD_EESH_SX_SI_SJ_SK_EUlSX_E1_NS1_11comp_targetILNS1_3genE0ELNS1_11target_archE4294967295ELNS1_3gpuE0ELNS1_3repE0EEENS1_36merge_oddeven_config_static_selectorELNS0_4arch9wavefront6targetE1EEEvSJ_
; %bb.0:
	s_load_dword s18, s[0:1], 0x20
	s_waitcnt lgkmcnt(0)
	s_lshr_b32 s3, s18, 8
	s_cmp_eq_u32 s2, s3
	s_cselect_b64 s[6:7], -1, 0
	s_cmp_lg_u32 s2, s3
	s_cselect_b64 s[8:9], -1, 0
	s_lshl_b32 s16, s2, 8
	s_sub_i32 s3, s18, s16
	v_cmp_gt_u32_e64 s[4:5], s3, v0
	s_or_b64 s[8:9], s[8:9], s[4:5]
	s_and_saveexec_b64 s[10:11], s[8:9]
	s_cbranch_execz .LBB41_24
; %bb.1:
	s_load_dwordx8 s[8:15], s[0:1], 0x0
	s_mov_b32 s17, 0
	s_lshl_b64 s[20:21], s[16:17], 3
	v_lshlrev_b32_e32 v1, 3, v0
	s_load_dword s17, s[0:1], 0x24
	s_waitcnt lgkmcnt(0)
	s_add_u32 s22, s8, s20
	s_addc_u32 s23, s9, s21
	s_add_u32 s12, s12, s20
	s_addc_u32 s13, s13, s21
	global_load_dwordx2 v[2:3], v1, s[12:13]
	global_load_dwordx2 v[4:5], v1, s[22:23]
	s_lshr_b32 s0, s17, 8
	s_sub_i32 s1, 0, s0
	s_and_b32 s1, s2, s1
	s_and_b32 s0, s1, s0
	s_lshl_b32 s19, s1, 8
	s_sub_i32 s12, 0, s17
	s_cmp_eq_u32 s0, 0
	s_cselect_b64 s[0:1], -1, 0
	s_and_b64 s[2:3], s[0:1], exec
	s_cselect_b32 s12, s17, s12
	s_add_i32 s12, s12, s19
	s_mov_b64 s[2:3], -1
	s_cmp_gt_u32 s18, s12
	v_add_u32_e32 v0, s16, v0
	s_cbranch_scc1 .LBB41_9
; %bb.2:
	s_and_b64 vcc, exec, s[6:7]
	s_cbranch_vccz .LBB41_6
; %bb.3:
	v_cmp_gt_u32_e32 vcc, s18, v0
	s_and_saveexec_b64 s[2:3], vcc
	s_cbranch_execz .LBB41_5
; %bb.4:
	v_mov_b32_e32 v1, 0
	v_lshlrev_b64 v[6:7], 3, v[0:1]
	v_lshl_add_u64 v[8:9], s[10:11], 0, v[6:7]
	v_lshl_add_u64 v[6:7], s[14:15], 0, v[6:7]
	s_waitcnt vmcnt(0)
	global_store_dwordx2 v[8:9], v[4:5], off
	global_store_dwordx2 v[6:7], v[2:3], off
.LBB41_5:
	s_or_b64 exec, exec, s[2:3]
	s_mov_b64 s[2:3], 0
.LBB41_6:
	s_andn2_b64 vcc, exec, s[2:3]
	s_cbranch_vccnz .LBB41_8
; %bb.7:
	v_mov_b32_e32 v1, 0
	v_lshlrev_b64 v[6:7], 3, v[0:1]
	v_lshl_add_u64 v[8:9], s[10:11], 0, v[6:7]
	v_lshl_add_u64 v[6:7], s[14:15], 0, v[6:7]
	s_waitcnt vmcnt(0)
	global_store_dwordx2 v[8:9], v[4:5], off
	global_store_dwordx2 v[6:7], v[2:3], off
.LBB41_8:
	s_mov_b64 s[2:3], 0
.LBB41_9:
	s_andn2_b64 vcc, exec, s[2:3]
	s_cbranch_vccnz .LBB41_24
; %bb.10:
	s_min_u32 s13, s12, s18
	s_add_i32 s2, s13, s17
	s_min_u32 s16, s2, s18
	s_min_u32 s2, s19, s13
	s_add_i32 s19, s19, s13
	v_subrev_u32_e32 v0, s19, v0
	v_add_u32_e32 v8, s2, v0
	s_waitcnt vmcnt(0)
	v_add_f64 v[0:1], v[4:5], 0
	v_ashrrev_i32_e32 v6, 31, v1
	v_or_b32_e32 v7, 0x80000000, v6
	v_xor_b32_e32 v1, v7, v1
	v_xor_b32_e32 v0, v6, v0
	s_mov_b64 s[2:3], -1
	s_and_b64 vcc, exec, s[6:7]
	s_cbranch_vccz .LBB41_18
; %bb.11:
	s_and_saveexec_b64 s[2:3], s[4:5]
	s_cbranch_execz .LBB41_17
; %bb.12:
	s_cmp_ge_u32 s12, s16
	v_mov_b32_e32 v9, s13
	s_cbranch_scc1 .LBB41_16
; %bb.13:
	s_mov_b64 s[4:5], 0
	v_mov_b32_e32 v10, s16
	v_mov_b32_e32 v9, s13
	;; [unrolled: 1-line block ×3, first 2 shown]
.LBB41_14:                              ; =>This Inner Loop Header: Depth=1
	v_add_u32_e32 v6, v9, v10
	v_lshrrev_b32_e32 v6, 1, v6
	v_lshl_add_u64 v[12:13], v[6:7], 3, s[8:9]
	global_load_dwordx2 v[12:13], v[12:13], off
	v_add_u32_e32 v11, 1, v6
	s_waitcnt vmcnt(0)
	v_add_f64 v[12:13], v[12:13], 0
	v_ashrrev_i32_e32 v14, 31, v13
	v_or_b32_e32 v15, 0x80000000, v14
	v_xor_b32_e32 v12, v14, v12
	v_xor_b32_e32 v13, v15, v13
	v_cmp_gt_u64_e32 vcc, v[0:1], v[12:13]
	s_nop 1
	v_cndmask_b32_e64 v14, 0, 1, vcc
	v_cmp_le_u64_e32 vcc, v[12:13], v[0:1]
	s_nop 1
	v_cndmask_b32_e64 v12, 0, 1, vcc
	v_cndmask_b32_e64 v12, v12, v14, s[0:1]
	v_and_b32_e32 v12, 1, v12
	v_cmp_eq_u32_e32 vcc, 1, v12
	s_nop 1
	v_cndmask_b32_e32 v10, v6, v10, vcc
	v_cndmask_b32_e32 v9, v9, v11, vcc
	v_cmp_ge_u32_e32 vcc, v9, v10
	s_or_b64 s[4:5], vcc, s[4:5]
	s_andn2_b64 exec, exec, s[4:5]
	s_cbranch_execnz .LBB41_14
; %bb.15:
	s_or_b64 exec, exec, s[4:5]
.LBB41_16:
	v_add_u32_e32 v6, v9, v8
	v_mov_b32_e32 v7, 0
	v_lshlrev_b64 v[6:7], 3, v[6:7]
	v_lshl_add_u64 v[10:11], s[10:11], 0, v[6:7]
	v_lshl_add_u64 v[6:7], s[14:15], 0, v[6:7]
	global_store_dwordx2 v[10:11], v[4:5], off
	global_store_dwordx2 v[6:7], v[2:3], off
.LBB41_17:
	s_or_b64 exec, exec, s[2:3]
	s_mov_b64 s[2:3], 0
.LBB41_18:
	s_andn2_b64 vcc, exec, s[2:3]
	s_cbranch_vccnz .LBB41_24
; %bb.19:
	s_cmp_ge_u32 s12, s16
	v_mov_b32_e32 v9, s13
	s_cbranch_scc1 .LBB41_23
; %bb.20:
	s_mov_b64 s[2:3], 0
	v_mov_b32_e32 v10, s16
	v_mov_b32_e32 v9, s13
	;; [unrolled: 1-line block ×3, first 2 shown]
.LBB41_21:                              ; =>This Inner Loop Header: Depth=1
	v_add_u32_e32 v6, v9, v10
	v_lshrrev_b32_e32 v6, 1, v6
	v_lshl_add_u64 v[12:13], v[6:7], 3, s[8:9]
	global_load_dwordx2 v[12:13], v[12:13], off
	v_add_u32_e32 v11, 1, v6
	s_waitcnt vmcnt(0)
	v_add_f64 v[12:13], v[12:13], 0
	v_ashrrev_i32_e32 v14, 31, v13
	v_or_b32_e32 v15, 0x80000000, v14
	v_xor_b32_e32 v12, v14, v12
	v_xor_b32_e32 v13, v15, v13
	v_cmp_gt_u64_e32 vcc, v[0:1], v[12:13]
	s_nop 1
	v_cndmask_b32_e64 v14, 0, 1, vcc
	v_cmp_le_u64_e32 vcc, v[12:13], v[0:1]
	s_nop 1
	v_cndmask_b32_e64 v12, 0, 1, vcc
	v_cndmask_b32_e64 v12, v12, v14, s[0:1]
	v_and_b32_e32 v12, 1, v12
	v_cmp_eq_u32_e32 vcc, 1, v12
	s_nop 1
	v_cndmask_b32_e32 v10, v6, v10, vcc
	v_cndmask_b32_e32 v9, v9, v11, vcc
	v_cmp_ge_u32_e32 vcc, v9, v10
	s_or_b64 s[2:3], vcc, s[2:3]
	s_andn2_b64 exec, exec, s[2:3]
	s_cbranch_execnz .LBB41_21
; %bb.22:
	s_or_b64 exec, exec, s[2:3]
.LBB41_23:
	v_add_u32_e32 v0, v9, v8
	v_mov_b32_e32 v1, 0
	v_lshlrev_b64 v[0:1], 3, v[0:1]
	v_lshl_add_u64 v[6:7], s[10:11], 0, v[0:1]
	v_lshl_add_u64 v[0:1], s[14:15], 0, v[0:1]
	global_store_dwordx2 v[6:7], v[4:5], off
	global_store_dwordx2 v[0:1], v[2:3], off
.LBB41_24:
	s_endpgm
	.section	.rodata,"a",@progbits
	.p2align	6, 0x0
	.amdhsa_kernel _ZN7rocprim17ROCPRIM_400000_NS6detail17trampoline_kernelINS0_14default_configENS1_38merge_sort_block_merge_config_selectorIddEEZZNS1_27merge_sort_block_merge_implIS3_N6thrust23THRUST_200600_302600_NS6detail15normal_iteratorINS8_10device_ptrIdEEEESD_jNS1_19radix_merge_compareILb0ELb0EdNS0_19identity_decomposerEEEEE10hipError_tT0_T1_T2_jT3_P12ihipStream_tbPNSt15iterator_traitsISI_E10value_typeEPNSO_ISJ_E10value_typeEPSK_NS1_7vsmem_tEENKUlT_SI_SJ_SK_E_clIPdSD_S10_SD_EESH_SX_SI_SJ_SK_EUlSX_E1_NS1_11comp_targetILNS1_3genE0ELNS1_11target_archE4294967295ELNS1_3gpuE0ELNS1_3repE0EEENS1_36merge_oddeven_config_static_selectorELNS0_4arch9wavefront6targetE1EEEvSJ_
		.amdhsa_group_segment_fixed_size 0
		.amdhsa_private_segment_fixed_size 0
		.amdhsa_kernarg_size 48
		.amdhsa_user_sgpr_count 2
		.amdhsa_user_sgpr_dispatch_ptr 0
		.amdhsa_user_sgpr_queue_ptr 0
		.amdhsa_user_sgpr_kernarg_segment_ptr 1
		.amdhsa_user_sgpr_dispatch_id 0
		.amdhsa_user_sgpr_kernarg_preload_length 0
		.amdhsa_user_sgpr_kernarg_preload_offset 0
		.amdhsa_user_sgpr_private_segment_size 0
		.amdhsa_uses_dynamic_stack 0
		.amdhsa_enable_private_segment 0
		.amdhsa_system_sgpr_workgroup_id_x 1
		.amdhsa_system_sgpr_workgroup_id_y 0
		.amdhsa_system_sgpr_workgroup_id_z 0
		.amdhsa_system_sgpr_workgroup_info 0
		.amdhsa_system_vgpr_workitem_id 0
		.amdhsa_next_free_vgpr 16
		.amdhsa_next_free_sgpr 24
		.amdhsa_accum_offset 16
		.amdhsa_reserve_vcc 1
		.amdhsa_float_round_mode_32 0
		.amdhsa_float_round_mode_16_64 0
		.amdhsa_float_denorm_mode_32 3
		.amdhsa_float_denorm_mode_16_64 3
		.amdhsa_dx10_clamp 1
		.amdhsa_ieee_mode 1
		.amdhsa_fp16_overflow 0
		.amdhsa_tg_split 0
		.amdhsa_exception_fp_ieee_invalid_op 0
		.amdhsa_exception_fp_denorm_src 0
		.amdhsa_exception_fp_ieee_div_zero 0
		.amdhsa_exception_fp_ieee_overflow 0
		.amdhsa_exception_fp_ieee_underflow 0
		.amdhsa_exception_fp_ieee_inexact 0
		.amdhsa_exception_int_div_zero 0
	.end_amdhsa_kernel
	.section	.text._ZN7rocprim17ROCPRIM_400000_NS6detail17trampoline_kernelINS0_14default_configENS1_38merge_sort_block_merge_config_selectorIddEEZZNS1_27merge_sort_block_merge_implIS3_N6thrust23THRUST_200600_302600_NS6detail15normal_iteratorINS8_10device_ptrIdEEEESD_jNS1_19radix_merge_compareILb0ELb0EdNS0_19identity_decomposerEEEEE10hipError_tT0_T1_T2_jT3_P12ihipStream_tbPNSt15iterator_traitsISI_E10value_typeEPNSO_ISJ_E10value_typeEPSK_NS1_7vsmem_tEENKUlT_SI_SJ_SK_E_clIPdSD_S10_SD_EESH_SX_SI_SJ_SK_EUlSX_E1_NS1_11comp_targetILNS1_3genE0ELNS1_11target_archE4294967295ELNS1_3gpuE0ELNS1_3repE0EEENS1_36merge_oddeven_config_static_selectorELNS0_4arch9wavefront6targetE1EEEvSJ_,"axG",@progbits,_ZN7rocprim17ROCPRIM_400000_NS6detail17trampoline_kernelINS0_14default_configENS1_38merge_sort_block_merge_config_selectorIddEEZZNS1_27merge_sort_block_merge_implIS3_N6thrust23THRUST_200600_302600_NS6detail15normal_iteratorINS8_10device_ptrIdEEEESD_jNS1_19radix_merge_compareILb0ELb0EdNS0_19identity_decomposerEEEEE10hipError_tT0_T1_T2_jT3_P12ihipStream_tbPNSt15iterator_traitsISI_E10value_typeEPNSO_ISJ_E10value_typeEPSK_NS1_7vsmem_tEENKUlT_SI_SJ_SK_E_clIPdSD_S10_SD_EESH_SX_SI_SJ_SK_EUlSX_E1_NS1_11comp_targetILNS1_3genE0ELNS1_11target_archE4294967295ELNS1_3gpuE0ELNS1_3repE0EEENS1_36merge_oddeven_config_static_selectorELNS0_4arch9wavefront6targetE1EEEvSJ_,comdat
.Lfunc_end41:
	.size	_ZN7rocprim17ROCPRIM_400000_NS6detail17trampoline_kernelINS0_14default_configENS1_38merge_sort_block_merge_config_selectorIddEEZZNS1_27merge_sort_block_merge_implIS3_N6thrust23THRUST_200600_302600_NS6detail15normal_iteratorINS8_10device_ptrIdEEEESD_jNS1_19radix_merge_compareILb0ELb0EdNS0_19identity_decomposerEEEEE10hipError_tT0_T1_T2_jT3_P12ihipStream_tbPNSt15iterator_traitsISI_E10value_typeEPNSO_ISJ_E10value_typeEPSK_NS1_7vsmem_tEENKUlT_SI_SJ_SK_E_clIPdSD_S10_SD_EESH_SX_SI_SJ_SK_EUlSX_E1_NS1_11comp_targetILNS1_3genE0ELNS1_11target_archE4294967295ELNS1_3gpuE0ELNS1_3repE0EEENS1_36merge_oddeven_config_static_selectorELNS0_4arch9wavefront6targetE1EEEvSJ_, .Lfunc_end41-_ZN7rocprim17ROCPRIM_400000_NS6detail17trampoline_kernelINS0_14default_configENS1_38merge_sort_block_merge_config_selectorIddEEZZNS1_27merge_sort_block_merge_implIS3_N6thrust23THRUST_200600_302600_NS6detail15normal_iteratorINS8_10device_ptrIdEEEESD_jNS1_19radix_merge_compareILb0ELb0EdNS0_19identity_decomposerEEEEE10hipError_tT0_T1_T2_jT3_P12ihipStream_tbPNSt15iterator_traitsISI_E10value_typeEPNSO_ISJ_E10value_typeEPSK_NS1_7vsmem_tEENKUlT_SI_SJ_SK_E_clIPdSD_S10_SD_EESH_SX_SI_SJ_SK_EUlSX_E1_NS1_11comp_targetILNS1_3genE0ELNS1_11target_archE4294967295ELNS1_3gpuE0ELNS1_3repE0EEENS1_36merge_oddeven_config_static_selectorELNS0_4arch9wavefront6targetE1EEEvSJ_
                                        ; -- End function
	.set _ZN7rocprim17ROCPRIM_400000_NS6detail17trampoline_kernelINS0_14default_configENS1_38merge_sort_block_merge_config_selectorIddEEZZNS1_27merge_sort_block_merge_implIS3_N6thrust23THRUST_200600_302600_NS6detail15normal_iteratorINS8_10device_ptrIdEEEESD_jNS1_19radix_merge_compareILb0ELb0EdNS0_19identity_decomposerEEEEE10hipError_tT0_T1_T2_jT3_P12ihipStream_tbPNSt15iterator_traitsISI_E10value_typeEPNSO_ISJ_E10value_typeEPSK_NS1_7vsmem_tEENKUlT_SI_SJ_SK_E_clIPdSD_S10_SD_EESH_SX_SI_SJ_SK_EUlSX_E1_NS1_11comp_targetILNS1_3genE0ELNS1_11target_archE4294967295ELNS1_3gpuE0ELNS1_3repE0EEENS1_36merge_oddeven_config_static_selectorELNS0_4arch9wavefront6targetE1EEEvSJ_.num_vgpr, 16
	.set _ZN7rocprim17ROCPRIM_400000_NS6detail17trampoline_kernelINS0_14default_configENS1_38merge_sort_block_merge_config_selectorIddEEZZNS1_27merge_sort_block_merge_implIS3_N6thrust23THRUST_200600_302600_NS6detail15normal_iteratorINS8_10device_ptrIdEEEESD_jNS1_19radix_merge_compareILb0ELb0EdNS0_19identity_decomposerEEEEE10hipError_tT0_T1_T2_jT3_P12ihipStream_tbPNSt15iterator_traitsISI_E10value_typeEPNSO_ISJ_E10value_typeEPSK_NS1_7vsmem_tEENKUlT_SI_SJ_SK_E_clIPdSD_S10_SD_EESH_SX_SI_SJ_SK_EUlSX_E1_NS1_11comp_targetILNS1_3genE0ELNS1_11target_archE4294967295ELNS1_3gpuE0ELNS1_3repE0EEENS1_36merge_oddeven_config_static_selectorELNS0_4arch9wavefront6targetE1EEEvSJ_.num_agpr, 0
	.set _ZN7rocprim17ROCPRIM_400000_NS6detail17trampoline_kernelINS0_14default_configENS1_38merge_sort_block_merge_config_selectorIddEEZZNS1_27merge_sort_block_merge_implIS3_N6thrust23THRUST_200600_302600_NS6detail15normal_iteratorINS8_10device_ptrIdEEEESD_jNS1_19radix_merge_compareILb0ELb0EdNS0_19identity_decomposerEEEEE10hipError_tT0_T1_T2_jT3_P12ihipStream_tbPNSt15iterator_traitsISI_E10value_typeEPNSO_ISJ_E10value_typeEPSK_NS1_7vsmem_tEENKUlT_SI_SJ_SK_E_clIPdSD_S10_SD_EESH_SX_SI_SJ_SK_EUlSX_E1_NS1_11comp_targetILNS1_3genE0ELNS1_11target_archE4294967295ELNS1_3gpuE0ELNS1_3repE0EEENS1_36merge_oddeven_config_static_selectorELNS0_4arch9wavefront6targetE1EEEvSJ_.numbered_sgpr, 24
	.set _ZN7rocprim17ROCPRIM_400000_NS6detail17trampoline_kernelINS0_14default_configENS1_38merge_sort_block_merge_config_selectorIddEEZZNS1_27merge_sort_block_merge_implIS3_N6thrust23THRUST_200600_302600_NS6detail15normal_iteratorINS8_10device_ptrIdEEEESD_jNS1_19radix_merge_compareILb0ELb0EdNS0_19identity_decomposerEEEEE10hipError_tT0_T1_T2_jT3_P12ihipStream_tbPNSt15iterator_traitsISI_E10value_typeEPNSO_ISJ_E10value_typeEPSK_NS1_7vsmem_tEENKUlT_SI_SJ_SK_E_clIPdSD_S10_SD_EESH_SX_SI_SJ_SK_EUlSX_E1_NS1_11comp_targetILNS1_3genE0ELNS1_11target_archE4294967295ELNS1_3gpuE0ELNS1_3repE0EEENS1_36merge_oddeven_config_static_selectorELNS0_4arch9wavefront6targetE1EEEvSJ_.num_named_barrier, 0
	.set _ZN7rocprim17ROCPRIM_400000_NS6detail17trampoline_kernelINS0_14default_configENS1_38merge_sort_block_merge_config_selectorIddEEZZNS1_27merge_sort_block_merge_implIS3_N6thrust23THRUST_200600_302600_NS6detail15normal_iteratorINS8_10device_ptrIdEEEESD_jNS1_19radix_merge_compareILb0ELb0EdNS0_19identity_decomposerEEEEE10hipError_tT0_T1_T2_jT3_P12ihipStream_tbPNSt15iterator_traitsISI_E10value_typeEPNSO_ISJ_E10value_typeEPSK_NS1_7vsmem_tEENKUlT_SI_SJ_SK_E_clIPdSD_S10_SD_EESH_SX_SI_SJ_SK_EUlSX_E1_NS1_11comp_targetILNS1_3genE0ELNS1_11target_archE4294967295ELNS1_3gpuE0ELNS1_3repE0EEENS1_36merge_oddeven_config_static_selectorELNS0_4arch9wavefront6targetE1EEEvSJ_.private_seg_size, 0
	.set _ZN7rocprim17ROCPRIM_400000_NS6detail17trampoline_kernelINS0_14default_configENS1_38merge_sort_block_merge_config_selectorIddEEZZNS1_27merge_sort_block_merge_implIS3_N6thrust23THRUST_200600_302600_NS6detail15normal_iteratorINS8_10device_ptrIdEEEESD_jNS1_19radix_merge_compareILb0ELb0EdNS0_19identity_decomposerEEEEE10hipError_tT0_T1_T2_jT3_P12ihipStream_tbPNSt15iterator_traitsISI_E10value_typeEPNSO_ISJ_E10value_typeEPSK_NS1_7vsmem_tEENKUlT_SI_SJ_SK_E_clIPdSD_S10_SD_EESH_SX_SI_SJ_SK_EUlSX_E1_NS1_11comp_targetILNS1_3genE0ELNS1_11target_archE4294967295ELNS1_3gpuE0ELNS1_3repE0EEENS1_36merge_oddeven_config_static_selectorELNS0_4arch9wavefront6targetE1EEEvSJ_.uses_vcc, 1
	.set _ZN7rocprim17ROCPRIM_400000_NS6detail17trampoline_kernelINS0_14default_configENS1_38merge_sort_block_merge_config_selectorIddEEZZNS1_27merge_sort_block_merge_implIS3_N6thrust23THRUST_200600_302600_NS6detail15normal_iteratorINS8_10device_ptrIdEEEESD_jNS1_19radix_merge_compareILb0ELb0EdNS0_19identity_decomposerEEEEE10hipError_tT0_T1_T2_jT3_P12ihipStream_tbPNSt15iterator_traitsISI_E10value_typeEPNSO_ISJ_E10value_typeEPSK_NS1_7vsmem_tEENKUlT_SI_SJ_SK_E_clIPdSD_S10_SD_EESH_SX_SI_SJ_SK_EUlSX_E1_NS1_11comp_targetILNS1_3genE0ELNS1_11target_archE4294967295ELNS1_3gpuE0ELNS1_3repE0EEENS1_36merge_oddeven_config_static_selectorELNS0_4arch9wavefront6targetE1EEEvSJ_.uses_flat_scratch, 0
	.set _ZN7rocprim17ROCPRIM_400000_NS6detail17trampoline_kernelINS0_14default_configENS1_38merge_sort_block_merge_config_selectorIddEEZZNS1_27merge_sort_block_merge_implIS3_N6thrust23THRUST_200600_302600_NS6detail15normal_iteratorINS8_10device_ptrIdEEEESD_jNS1_19radix_merge_compareILb0ELb0EdNS0_19identity_decomposerEEEEE10hipError_tT0_T1_T2_jT3_P12ihipStream_tbPNSt15iterator_traitsISI_E10value_typeEPNSO_ISJ_E10value_typeEPSK_NS1_7vsmem_tEENKUlT_SI_SJ_SK_E_clIPdSD_S10_SD_EESH_SX_SI_SJ_SK_EUlSX_E1_NS1_11comp_targetILNS1_3genE0ELNS1_11target_archE4294967295ELNS1_3gpuE0ELNS1_3repE0EEENS1_36merge_oddeven_config_static_selectorELNS0_4arch9wavefront6targetE1EEEvSJ_.has_dyn_sized_stack, 0
	.set _ZN7rocprim17ROCPRIM_400000_NS6detail17trampoline_kernelINS0_14default_configENS1_38merge_sort_block_merge_config_selectorIddEEZZNS1_27merge_sort_block_merge_implIS3_N6thrust23THRUST_200600_302600_NS6detail15normal_iteratorINS8_10device_ptrIdEEEESD_jNS1_19radix_merge_compareILb0ELb0EdNS0_19identity_decomposerEEEEE10hipError_tT0_T1_T2_jT3_P12ihipStream_tbPNSt15iterator_traitsISI_E10value_typeEPNSO_ISJ_E10value_typeEPSK_NS1_7vsmem_tEENKUlT_SI_SJ_SK_E_clIPdSD_S10_SD_EESH_SX_SI_SJ_SK_EUlSX_E1_NS1_11comp_targetILNS1_3genE0ELNS1_11target_archE4294967295ELNS1_3gpuE0ELNS1_3repE0EEENS1_36merge_oddeven_config_static_selectorELNS0_4arch9wavefront6targetE1EEEvSJ_.has_recursion, 0
	.set _ZN7rocprim17ROCPRIM_400000_NS6detail17trampoline_kernelINS0_14default_configENS1_38merge_sort_block_merge_config_selectorIddEEZZNS1_27merge_sort_block_merge_implIS3_N6thrust23THRUST_200600_302600_NS6detail15normal_iteratorINS8_10device_ptrIdEEEESD_jNS1_19radix_merge_compareILb0ELb0EdNS0_19identity_decomposerEEEEE10hipError_tT0_T1_T2_jT3_P12ihipStream_tbPNSt15iterator_traitsISI_E10value_typeEPNSO_ISJ_E10value_typeEPSK_NS1_7vsmem_tEENKUlT_SI_SJ_SK_E_clIPdSD_S10_SD_EESH_SX_SI_SJ_SK_EUlSX_E1_NS1_11comp_targetILNS1_3genE0ELNS1_11target_archE4294967295ELNS1_3gpuE0ELNS1_3repE0EEENS1_36merge_oddeven_config_static_selectorELNS0_4arch9wavefront6targetE1EEEvSJ_.has_indirect_call, 0
	.section	.AMDGPU.csdata,"",@progbits
; Kernel info:
; codeLenInByte = 860
; TotalNumSgprs: 30
; NumVgprs: 16
; NumAgprs: 0
; TotalNumVgprs: 16
; ScratchSize: 0
; MemoryBound: 0
; FloatMode: 240
; IeeeMode: 1
; LDSByteSize: 0 bytes/workgroup (compile time only)
; SGPRBlocks: 3
; VGPRBlocks: 1
; NumSGPRsForWavesPerEU: 30
; NumVGPRsForWavesPerEU: 16
; AccumOffset: 16
; Occupancy: 8
; WaveLimiterHint : 0
; COMPUTE_PGM_RSRC2:SCRATCH_EN: 0
; COMPUTE_PGM_RSRC2:USER_SGPR: 2
; COMPUTE_PGM_RSRC2:TRAP_HANDLER: 0
; COMPUTE_PGM_RSRC2:TGID_X_EN: 1
; COMPUTE_PGM_RSRC2:TGID_Y_EN: 0
; COMPUTE_PGM_RSRC2:TGID_Z_EN: 0
; COMPUTE_PGM_RSRC2:TIDIG_COMP_CNT: 0
; COMPUTE_PGM_RSRC3_GFX90A:ACCUM_OFFSET: 3
; COMPUTE_PGM_RSRC3_GFX90A:TG_SPLIT: 0
	.section	.text._ZN7rocprim17ROCPRIM_400000_NS6detail17trampoline_kernelINS0_14default_configENS1_38merge_sort_block_merge_config_selectorIddEEZZNS1_27merge_sort_block_merge_implIS3_N6thrust23THRUST_200600_302600_NS6detail15normal_iteratorINS8_10device_ptrIdEEEESD_jNS1_19radix_merge_compareILb0ELb0EdNS0_19identity_decomposerEEEEE10hipError_tT0_T1_T2_jT3_P12ihipStream_tbPNSt15iterator_traitsISI_E10value_typeEPNSO_ISJ_E10value_typeEPSK_NS1_7vsmem_tEENKUlT_SI_SJ_SK_E_clIPdSD_S10_SD_EESH_SX_SI_SJ_SK_EUlSX_E1_NS1_11comp_targetILNS1_3genE10ELNS1_11target_archE1201ELNS1_3gpuE5ELNS1_3repE0EEENS1_36merge_oddeven_config_static_selectorELNS0_4arch9wavefront6targetE1EEEvSJ_,"axG",@progbits,_ZN7rocprim17ROCPRIM_400000_NS6detail17trampoline_kernelINS0_14default_configENS1_38merge_sort_block_merge_config_selectorIddEEZZNS1_27merge_sort_block_merge_implIS3_N6thrust23THRUST_200600_302600_NS6detail15normal_iteratorINS8_10device_ptrIdEEEESD_jNS1_19radix_merge_compareILb0ELb0EdNS0_19identity_decomposerEEEEE10hipError_tT0_T1_T2_jT3_P12ihipStream_tbPNSt15iterator_traitsISI_E10value_typeEPNSO_ISJ_E10value_typeEPSK_NS1_7vsmem_tEENKUlT_SI_SJ_SK_E_clIPdSD_S10_SD_EESH_SX_SI_SJ_SK_EUlSX_E1_NS1_11comp_targetILNS1_3genE10ELNS1_11target_archE1201ELNS1_3gpuE5ELNS1_3repE0EEENS1_36merge_oddeven_config_static_selectorELNS0_4arch9wavefront6targetE1EEEvSJ_,comdat
	.protected	_ZN7rocprim17ROCPRIM_400000_NS6detail17trampoline_kernelINS0_14default_configENS1_38merge_sort_block_merge_config_selectorIddEEZZNS1_27merge_sort_block_merge_implIS3_N6thrust23THRUST_200600_302600_NS6detail15normal_iteratorINS8_10device_ptrIdEEEESD_jNS1_19radix_merge_compareILb0ELb0EdNS0_19identity_decomposerEEEEE10hipError_tT0_T1_T2_jT3_P12ihipStream_tbPNSt15iterator_traitsISI_E10value_typeEPNSO_ISJ_E10value_typeEPSK_NS1_7vsmem_tEENKUlT_SI_SJ_SK_E_clIPdSD_S10_SD_EESH_SX_SI_SJ_SK_EUlSX_E1_NS1_11comp_targetILNS1_3genE10ELNS1_11target_archE1201ELNS1_3gpuE5ELNS1_3repE0EEENS1_36merge_oddeven_config_static_selectorELNS0_4arch9wavefront6targetE1EEEvSJ_ ; -- Begin function _ZN7rocprim17ROCPRIM_400000_NS6detail17trampoline_kernelINS0_14default_configENS1_38merge_sort_block_merge_config_selectorIddEEZZNS1_27merge_sort_block_merge_implIS3_N6thrust23THRUST_200600_302600_NS6detail15normal_iteratorINS8_10device_ptrIdEEEESD_jNS1_19radix_merge_compareILb0ELb0EdNS0_19identity_decomposerEEEEE10hipError_tT0_T1_T2_jT3_P12ihipStream_tbPNSt15iterator_traitsISI_E10value_typeEPNSO_ISJ_E10value_typeEPSK_NS1_7vsmem_tEENKUlT_SI_SJ_SK_E_clIPdSD_S10_SD_EESH_SX_SI_SJ_SK_EUlSX_E1_NS1_11comp_targetILNS1_3genE10ELNS1_11target_archE1201ELNS1_3gpuE5ELNS1_3repE0EEENS1_36merge_oddeven_config_static_selectorELNS0_4arch9wavefront6targetE1EEEvSJ_
	.globl	_ZN7rocprim17ROCPRIM_400000_NS6detail17trampoline_kernelINS0_14default_configENS1_38merge_sort_block_merge_config_selectorIddEEZZNS1_27merge_sort_block_merge_implIS3_N6thrust23THRUST_200600_302600_NS6detail15normal_iteratorINS8_10device_ptrIdEEEESD_jNS1_19radix_merge_compareILb0ELb0EdNS0_19identity_decomposerEEEEE10hipError_tT0_T1_T2_jT3_P12ihipStream_tbPNSt15iterator_traitsISI_E10value_typeEPNSO_ISJ_E10value_typeEPSK_NS1_7vsmem_tEENKUlT_SI_SJ_SK_E_clIPdSD_S10_SD_EESH_SX_SI_SJ_SK_EUlSX_E1_NS1_11comp_targetILNS1_3genE10ELNS1_11target_archE1201ELNS1_3gpuE5ELNS1_3repE0EEENS1_36merge_oddeven_config_static_selectorELNS0_4arch9wavefront6targetE1EEEvSJ_
	.p2align	8
	.type	_ZN7rocprim17ROCPRIM_400000_NS6detail17trampoline_kernelINS0_14default_configENS1_38merge_sort_block_merge_config_selectorIddEEZZNS1_27merge_sort_block_merge_implIS3_N6thrust23THRUST_200600_302600_NS6detail15normal_iteratorINS8_10device_ptrIdEEEESD_jNS1_19radix_merge_compareILb0ELb0EdNS0_19identity_decomposerEEEEE10hipError_tT0_T1_T2_jT3_P12ihipStream_tbPNSt15iterator_traitsISI_E10value_typeEPNSO_ISJ_E10value_typeEPSK_NS1_7vsmem_tEENKUlT_SI_SJ_SK_E_clIPdSD_S10_SD_EESH_SX_SI_SJ_SK_EUlSX_E1_NS1_11comp_targetILNS1_3genE10ELNS1_11target_archE1201ELNS1_3gpuE5ELNS1_3repE0EEENS1_36merge_oddeven_config_static_selectorELNS0_4arch9wavefront6targetE1EEEvSJ_,@function
_ZN7rocprim17ROCPRIM_400000_NS6detail17trampoline_kernelINS0_14default_configENS1_38merge_sort_block_merge_config_selectorIddEEZZNS1_27merge_sort_block_merge_implIS3_N6thrust23THRUST_200600_302600_NS6detail15normal_iteratorINS8_10device_ptrIdEEEESD_jNS1_19radix_merge_compareILb0ELb0EdNS0_19identity_decomposerEEEEE10hipError_tT0_T1_T2_jT3_P12ihipStream_tbPNSt15iterator_traitsISI_E10value_typeEPNSO_ISJ_E10value_typeEPSK_NS1_7vsmem_tEENKUlT_SI_SJ_SK_E_clIPdSD_S10_SD_EESH_SX_SI_SJ_SK_EUlSX_E1_NS1_11comp_targetILNS1_3genE10ELNS1_11target_archE1201ELNS1_3gpuE5ELNS1_3repE0EEENS1_36merge_oddeven_config_static_selectorELNS0_4arch9wavefront6targetE1EEEvSJ_: ; @_ZN7rocprim17ROCPRIM_400000_NS6detail17trampoline_kernelINS0_14default_configENS1_38merge_sort_block_merge_config_selectorIddEEZZNS1_27merge_sort_block_merge_implIS3_N6thrust23THRUST_200600_302600_NS6detail15normal_iteratorINS8_10device_ptrIdEEEESD_jNS1_19radix_merge_compareILb0ELb0EdNS0_19identity_decomposerEEEEE10hipError_tT0_T1_T2_jT3_P12ihipStream_tbPNSt15iterator_traitsISI_E10value_typeEPNSO_ISJ_E10value_typeEPSK_NS1_7vsmem_tEENKUlT_SI_SJ_SK_E_clIPdSD_S10_SD_EESH_SX_SI_SJ_SK_EUlSX_E1_NS1_11comp_targetILNS1_3genE10ELNS1_11target_archE1201ELNS1_3gpuE5ELNS1_3repE0EEENS1_36merge_oddeven_config_static_selectorELNS0_4arch9wavefront6targetE1EEEvSJ_
; %bb.0:
	.section	.rodata,"a",@progbits
	.p2align	6, 0x0
	.amdhsa_kernel _ZN7rocprim17ROCPRIM_400000_NS6detail17trampoline_kernelINS0_14default_configENS1_38merge_sort_block_merge_config_selectorIddEEZZNS1_27merge_sort_block_merge_implIS3_N6thrust23THRUST_200600_302600_NS6detail15normal_iteratorINS8_10device_ptrIdEEEESD_jNS1_19radix_merge_compareILb0ELb0EdNS0_19identity_decomposerEEEEE10hipError_tT0_T1_T2_jT3_P12ihipStream_tbPNSt15iterator_traitsISI_E10value_typeEPNSO_ISJ_E10value_typeEPSK_NS1_7vsmem_tEENKUlT_SI_SJ_SK_E_clIPdSD_S10_SD_EESH_SX_SI_SJ_SK_EUlSX_E1_NS1_11comp_targetILNS1_3genE10ELNS1_11target_archE1201ELNS1_3gpuE5ELNS1_3repE0EEENS1_36merge_oddeven_config_static_selectorELNS0_4arch9wavefront6targetE1EEEvSJ_
		.amdhsa_group_segment_fixed_size 0
		.amdhsa_private_segment_fixed_size 0
		.amdhsa_kernarg_size 48
		.amdhsa_user_sgpr_count 2
		.amdhsa_user_sgpr_dispatch_ptr 0
		.amdhsa_user_sgpr_queue_ptr 0
		.amdhsa_user_sgpr_kernarg_segment_ptr 1
		.amdhsa_user_sgpr_dispatch_id 0
		.amdhsa_user_sgpr_kernarg_preload_length 0
		.amdhsa_user_sgpr_kernarg_preload_offset 0
		.amdhsa_user_sgpr_private_segment_size 0
		.amdhsa_uses_dynamic_stack 0
		.amdhsa_enable_private_segment 0
		.amdhsa_system_sgpr_workgroup_id_x 1
		.amdhsa_system_sgpr_workgroup_id_y 0
		.amdhsa_system_sgpr_workgroup_id_z 0
		.amdhsa_system_sgpr_workgroup_info 0
		.amdhsa_system_vgpr_workitem_id 0
		.amdhsa_next_free_vgpr 1
		.amdhsa_next_free_sgpr 0
		.amdhsa_accum_offset 4
		.amdhsa_reserve_vcc 0
		.amdhsa_float_round_mode_32 0
		.amdhsa_float_round_mode_16_64 0
		.amdhsa_float_denorm_mode_32 3
		.amdhsa_float_denorm_mode_16_64 3
		.amdhsa_dx10_clamp 1
		.amdhsa_ieee_mode 1
		.amdhsa_fp16_overflow 0
		.amdhsa_tg_split 0
		.amdhsa_exception_fp_ieee_invalid_op 0
		.amdhsa_exception_fp_denorm_src 0
		.amdhsa_exception_fp_ieee_div_zero 0
		.amdhsa_exception_fp_ieee_overflow 0
		.amdhsa_exception_fp_ieee_underflow 0
		.amdhsa_exception_fp_ieee_inexact 0
		.amdhsa_exception_int_div_zero 0
	.end_amdhsa_kernel
	.section	.text._ZN7rocprim17ROCPRIM_400000_NS6detail17trampoline_kernelINS0_14default_configENS1_38merge_sort_block_merge_config_selectorIddEEZZNS1_27merge_sort_block_merge_implIS3_N6thrust23THRUST_200600_302600_NS6detail15normal_iteratorINS8_10device_ptrIdEEEESD_jNS1_19radix_merge_compareILb0ELb0EdNS0_19identity_decomposerEEEEE10hipError_tT0_T1_T2_jT3_P12ihipStream_tbPNSt15iterator_traitsISI_E10value_typeEPNSO_ISJ_E10value_typeEPSK_NS1_7vsmem_tEENKUlT_SI_SJ_SK_E_clIPdSD_S10_SD_EESH_SX_SI_SJ_SK_EUlSX_E1_NS1_11comp_targetILNS1_3genE10ELNS1_11target_archE1201ELNS1_3gpuE5ELNS1_3repE0EEENS1_36merge_oddeven_config_static_selectorELNS0_4arch9wavefront6targetE1EEEvSJ_,"axG",@progbits,_ZN7rocprim17ROCPRIM_400000_NS6detail17trampoline_kernelINS0_14default_configENS1_38merge_sort_block_merge_config_selectorIddEEZZNS1_27merge_sort_block_merge_implIS3_N6thrust23THRUST_200600_302600_NS6detail15normal_iteratorINS8_10device_ptrIdEEEESD_jNS1_19radix_merge_compareILb0ELb0EdNS0_19identity_decomposerEEEEE10hipError_tT0_T1_T2_jT3_P12ihipStream_tbPNSt15iterator_traitsISI_E10value_typeEPNSO_ISJ_E10value_typeEPSK_NS1_7vsmem_tEENKUlT_SI_SJ_SK_E_clIPdSD_S10_SD_EESH_SX_SI_SJ_SK_EUlSX_E1_NS1_11comp_targetILNS1_3genE10ELNS1_11target_archE1201ELNS1_3gpuE5ELNS1_3repE0EEENS1_36merge_oddeven_config_static_selectorELNS0_4arch9wavefront6targetE1EEEvSJ_,comdat
.Lfunc_end42:
	.size	_ZN7rocprim17ROCPRIM_400000_NS6detail17trampoline_kernelINS0_14default_configENS1_38merge_sort_block_merge_config_selectorIddEEZZNS1_27merge_sort_block_merge_implIS3_N6thrust23THRUST_200600_302600_NS6detail15normal_iteratorINS8_10device_ptrIdEEEESD_jNS1_19radix_merge_compareILb0ELb0EdNS0_19identity_decomposerEEEEE10hipError_tT0_T1_T2_jT3_P12ihipStream_tbPNSt15iterator_traitsISI_E10value_typeEPNSO_ISJ_E10value_typeEPSK_NS1_7vsmem_tEENKUlT_SI_SJ_SK_E_clIPdSD_S10_SD_EESH_SX_SI_SJ_SK_EUlSX_E1_NS1_11comp_targetILNS1_3genE10ELNS1_11target_archE1201ELNS1_3gpuE5ELNS1_3repE0EEENS1_36merge_oddeven_config_static_selectorELNS0_4arch9wavefront6targetE1EEEvSJ_, .Lfunc_end42-_ZN7rocprim17ROCPRIM_400000_NS6detail17trampoline_kernelINS0_14default_configENS1_38merge_sort_block_merge_config_selectorIddEEZZNS1_27merge_sort_block_merge_implIS3_N6thrust23THRUST_200600_302600_NS6detail15normal_iteratorINS8_10device_ptrIdEEEESD_jNS1_19radix_merge_compareILb0ELb0EdNS0_19identity_decomposerEEEEE10hipError_tT0_T1_T2_jT3_P12ihipStream_tbPNSt15iterator_traitsISI_E10value_typeEPNSO_ISJ_E10value_typeEPSK_NS1_7vsmem_tEENKUlT_SI_SJ_SK_E_clIPdSD_S10_SD_EESH_SX_SI_SJ_SK_EUlSX_E1_NS1_11comp_targetILNS1_3genE10ELNS1_11target_archE1201ELNS1_3gpuE5ELNS1_3repE0EEENS1_36merge_oddeven_config_static_selectorELNS0_4arch9wavefront6targetE1EEEvSJ_
                                        ; -- End function
	.set _ZN7rocprim17ROCPRIM_400000_NS6detail17trampoline_kernelINS0_14default_configENS1_38merge_sort_block_merge_config_selectorIddEEZZNS1_27merge_sort_block_merge_implIS3_N6thrust23THRUST_200600_302600_NS6detail15normal_iteratorINS8_10device_ptrIdEEEESD_jNS1_19radix_merge_compareILb0ELb0EdNS0_19identity_decomposerEEEEE10hipError_tT0_T1_T2_jT3_P12ihipStream_tbPNSt15iterator_traitsISI_E10value_typeEPNSO_ISJ_E10value_typeEPSK_NS1_7vsmem_tEENKUlT_SI_SJ_SK_E_clIPdSD_S10_SD_EESH_SX_SI_SJ_SK_EUlSX_E1_NS1_11comp_targetILNS1_3genE10ELNS1_11target_archE1201ELNS1_3gpuE5ELNS1_3repE0EEENS1_36merge_oddeven_config_static_selectorELNS0_4arch9wavefront6targetE1EEEvSJ_.num_vgpr, 0
	.set _ZN7rocprim17ROCPRIM_400000_NS6detail17trampoline_kernelINS0_14default_configENS1_38merge_sort_block_merge_config_selectorIddEEZZNS1_27merge_sort_block_merge_implIS3_N6thrust23THRUST_200600_302600_NS6detail15normal_iteratorINS8_10device_ptrIdEEEESD_jNS1_19radix_merge_compareILb0ELb0EdNS0_19identity_decomposerEEEEE10hipError_tT0_T1_T2_jT3_P12ihipStream_tbPNSt15iterator_traitsISI_E10value_typeEPNSO_ISJ_E10value_typeEPSK_NS1_7vsmem_tEENKUlT_SI_SJ_SK_E_clIPdSD_S10_SD_EESH_SX_SI_SJ_SK_EUlSX_E1_NS1_11comp_targetILNS1_3genE10ELNS1_11target_archE1201ELNS1_3gpuE5ELNS1_3repE0EEENS1_36merge_oddeven_config_static_selectorELNS0_4arch9wavefront6targetE1EEEvSJ_.num_agpr, 0
	.set _ZN7rocprim17ROCPRIM_400000_NS6detail17trampoline_kernelINS0_14default_configENS1_38merge_sort_block_merge_config_selectorIddEEZZNS1_27merge_sort_block_merge_implIS3_N6thrust23THRUST_200600_302600_NS6detail15normal_iteratorINS8_10device_ptrIdEEEESD_jNS1_19radix_merge_compareILb0ELb0EdNS0_19identity_decomposerEEEEE10hipError_tT0_T1_T2_jT3_P12ihipStream_tbPNSt15iterator_traitsISI_E10value_typeEPNSO_ISJ_E10value_typeEPSK_NS1_7vsmem_tEENKUlT_SI_SJ_SK_E_clIPdSD_S10_SD_EESH_SX_SI_SJ_SK_EUlSX_E1_NS1_11comp_targetILNS1_3genE10ELNS1_11target_archE1201ELNS1_3gpuE5ELNS1_3repE0EEENS1_36merge_oddeven_config_static_selectorELNS0_4arch9wavefront6targetE1EEEvSJ_.numbered_sgpr, 0
	.set _ZN7rocprim17ROCPRIM_400000_NS6detail17trampoline_kernelINS0_14default_configENS1_38merge_sort_block_merge_config_selectorIddEEZZNS1_27merge_sort_block_merge_implIS3_N6thrust23THRUST_200600_302600_NS6detail15normal_iteratorINS8_10device_ptrIdEEEESD_jNS1_19radix_merge_compareILb0ELb0EdNS0_19identity_decomposerEEEEE10hipError_tT0_T1_T2_jT3_P12ihipStream_tbPNSt15iterator_traitsISI_E10value_typeEPNSO_ISJ_E10value_typeEPSK_NS1_7vsmem_tEENKUlT_SI_SJ_SK_E_clIPdSD_S10_SD_EESH_SX_SI_SJ_SK_EUlSX_E1_NS1_11comp_targetILNS1_3genE10ELNS1_11target_archE1201ELNS1_3gpuE5ELNS1_3repE0EEENS1_36merge_oddeven_config_static_selectorELNS0_4arch9wavefront6targetE1EEEvSJ_.num_named_barrier, 0
	.set _ZN7rocprim17ROCPRIM_400000_NS6detail17trampoline_kernelINS0_14default_configENS1_38merge_sort_block_merge_config_selectorIddEEZZNS1_27merge_sort_block_merge_implIS3_N6thrust23THRUST_200600_302600_NS6detail15normal_iteratorINS8_10device_ptrIdEEEESD_jNS1_19radix_merge_compareILb0ELb0EdNS0_19identity_decomposerEEEEE10hipError_tT0_T1_T2_jT3_P12ihipStream_tbPNSt15iterator_traitsISI_E10value_typeEPNSO_ISJ_E10value_typeEPSK_NS1_7vsmem_tEENKUlT_SI_SJ_SK_E_clIPdSD_S10_SD_EESH_SX_SI_SJ_SK_EUlSX_E1_NS1_11comp_targetILNS1_3genE10ELNS1_11target_archE1201ELNS1_3gpuE5ELNS1_3repE0EEENS1_36merge_oddeven_config_static_selectorELNS0_4arch9wavefront6targetE1EEEvSJ_.private_seg_size, 0
	.set _ZN7rocprim17ROCPRIM_400000_NS6detail17trampoline_kernelINS0_14default_configENS1_38merge_sort_block_merge_config_selectorIddEEZZNS1_27merge_sort_block_merge_implIS3_N6thrust23THRUST_200600_302600_NS6detail15normal_iteratorINS8_10device_ptrIdEEEESD_jNS1_19radix_merge_compareILb0ELb0EdNS0_19identity_decomposerEEEEE10hipError_tT0_T1_T2_jT3_P12ihipStream_tbPNSt15iterator_traitsISI_E10value_typeEPNSO_ISJ_E10value_typeEPSK_NS1_7vsmem_tEENKUlT_SI_SJ_SK_E_clIPdSD_S10_SD_EESH_SX_SI_SJ_SK_EUlSX_E1_NS1_11comp_targetILNS1_3genE10ELNS1_11target_archE1201ELNS1_3gpuE5ELNS1_3repE0EEENS1_36merge_oddeven_config_static_selectorELNS0_4arch9wavefront6targetE1EEEvSJ_.uses_vcc, 0
	.set _ZN7rocprim17ROCPRIM_400000_NS6detail17trampoline_kernelINS0_14default_configENS1_38merge_sort_block_merge_config_selectorIddEEZZNS1_27merge_sort_block_merge_implIS3_N6thrust23THRUST_200600_302600_NS6detail15normal_iteratorINS8_10device_ptrIdEEEESD_jNS1_19radix_merge_compareILb0ELb0EdNS0_19identity_decomposerEEEEE10hipError_tT0_T1_T2_jT3_P12ihipStream_tbPNSt15iterator_traitsISI_E10value_typeEPNSO_ISJ_E10value_typeEPSK_NS1_7vsmem_tEENKUlT_SI_SJ_SK_E_clIPdSD_S10_SD_EESH_SX_SI_SJ_SK_EUlSX_E1_NS1_11comp_targetILNS1_3genE10ELNS1_11target_archE1201ELNS1_3gpuE5ELNS1_3repE0EEENS1_36merge_oddeven_config_static_selectorELNS0_4arch9wavefront6targetE1EEEvSJ_.uses_flat_scratch, 0
	.set _ZN7rocprim17ROCPRIM_400000_NS6detail17trampoline_kernelINS0_14default_configENS1_38merge_sort_block_merge_config_selectorIddEEZZNS1_27merge_sort_block_merge_implIS3_N6thrust23THRUST_200600_302600_NS6detail15normal_iteratorINS8_10device_ptrIdEEEESD_jNS1_19radix_merge_compareILb0ELb0EdNS0_19identity_decomposerEEEEE10hipError_tT0_T1_T2_jT3_P12ihipStream_tbPNSt15iterator_traitsISI_E10value_typeEPNSO_ISJ_E10value_typeEPSK_NS1_7vsmem_tEENKUlT_SI_SJ_SK_E_clIPdSD_S10_SD_EESH_SX_SI_SJ_SK_EUlSX_E1_NS1_11comp_targetILNS1_3genE10ELNS1_11target_archE1201ELNS1_3gpuE5ELNS1_3repE0EEENS1_36merge_oddeven_config_static_selectorELNS0_4arch9wavefront6targetE1EEEvSJ_.has_dyn_sized_stack, 0
	.set _ZN7rocprim17ROCPRIM_400000_NS6detail17trampoline_kernelINS0_14default_configENS1_38merge_sort_block_merge_config_selectorIddEEZZNS1_27merge_sort_block_merge_implIS3_N6thrust23THRUST_200600_302600_NS6detail15normal_iteratorINS8_10device_ptrIdEEEESD_jNS1_19radix_merge_compareILb0ELb0EdNS0_19identity_decomposerEEEEE10hipError_tT0_T1_T2_jT3_P12ihipStream_tbPNSt15iterator_traitsISI_E10value_typeEPNSO_ISJ_E10value_typeEPSK_NS1_7vsmem_tEENKUlT_SI_SJ_SK_E_clIPdSD_S10_SD_EESH_SX_SI_SJ_SK_EUlSX_E1_NS1_11comp_targetILNS1_3genE10ELNS1_11target_archE1201ELNS1_3gpuE5ELNS1_3repE0EEENS1_36merge_oddeven_config_static_selectorELNS0_4arch9wavefront6targetE1EEEvSJ_.has_recursion, 0
	.set _ZN7rocprim17ROCPRIM_400000_NS6detail17trampoline_kernelINS0_14default_configENS1_38merge_sort_block_merge_config_selectorIddEEZZNS1_27merge_sort_block_merge_implIS3_N6thrust23THRUST_200600_302600_NS6detail15normal_iteratorINS8_10device_ptrIdEEEESD_jNS1_19radix_merge_compareILb0ELb0EdNS0_19identity_decomposerEEEEE10hipError_tT0_T1_T2_jT3_P12ihipStream_tbPNSt15iterator_traitsISI_E10value_typeEPNSO_ISJ_E10value_typeEPSK_NS1_7vsmem_tEENKUlT_SI_SJ_SK_E_clIPdSD_S10_SD_EESH_SX_SI_SJ_SK_EUlSX_E1_NS1_11comp_targetILNS1_3genE10ELNS1_11target_archE1201ELNS1_3gpuE5ELNS1_3repE0EEENS1_36merge_oddeven_config_static_selectorELNS0_4arch9wavefront6targetE1EEEvSJ_.has_indirect_call, 0
	.section	.AMDGPU.csdata,"",@progbits
; Kernel info:
; codeLenInByte = 0
; TotalNumSgprs: 6
; NumVgprs: 0
; NumAgprs: 0
; TotalNumVgprs: 0
; ScratchSize: 0
; MemoryBound: 0
; FloatMode: 240
; IeeeMode: 1
; LDSByteSize: 0 bytes/workgroup (compile time only)
; SGPRBlocks: 0
; VGPRBlocks: 0
; NumSGPRsForWavesPerEU: 6
; NumVGPRsForWavesPerEU: 1
; AccumOffset: 4
; Occupancy: 8
; WaveLimiterHint : 0
; COMPUTE_PGM_RSRC2:SCRATCH_EN: 0
; COMPUTE_PGM_RSRC2:USER_SGPR: 2
; COMPUTE_PGM_RSRC2:TRAP_HANDLER: 0
; COMPUTE_PGM_RSRC2:TGID_X_EN: 1
; COMPUTE_PGM_RSRC2:TGID_Y_EN: 0
; COMPUTE_PGM_RSRC2:TGID_Z_EN: 0
; COMPUTE_PGM_RSRC2:TIDIG_COMP_CNT: 0
; COMPUTE_PGM_RSRC3_GFX90A:ACCUM_OFFSET: 0
; COMPUTE_PGM_RSRC3_GFX90A:TG_SPLIT: 0
	.section	.text._ZN7rocprim17ROCPRIM_400000_NS6detail17trampoline_kernelINS0_14default_configENS1_38merge_sort_block_merge_config_selectorIddEEZZNS1_27merge_sort_block_merge_implIS3_N6thrust23THRUST_200600_302600_NS6detail15normal_iteratorINS8_10device_ptrIdEEEESD_jNS1_19radix_merge_compareILb0ELb0EdNS0_19identity_decomposerEEEEE10hipError_tT0_T1_T2_jT3_P12ihipStream_tbPNSt15iterator_traitsISI_E10value_typeEPNSO_ISJ_E10value_typeEPSK_NS1_7vsmem_tEENKUlT_SI_SJ_SK_E_clIPdSD_S10_SD_EESH_SX_SI_SJ_SK_EUlSX_E1_NS1_11comp_targetILNS1_3genE5ELNS1_11target_archE942ELNS1_3gpuE9ELNS1_3repE0EEENS1_36merge_oddeven_config_static_selectorELNS0_4arch9wavefront6targetE1EEEvSJ_,"axG",@progbits,_ZN7rocprim17ROCPRIM_400000_NS6detail17trampoline_kernelINS0_14default_configENS1_38merge_sort_block_merge_config_selectorIddEEZZNS1_27merge_sort_block_merge_implIS3_N6thrust23THRUST_200600_302600_NS6detail15normal_iteratorINS8_10device_ptrIdEEEESD_jNS1_19radix_merge_compareILb0ELb0EdNS0_19identity_decomposerEEEEE10hipError_tT0_T1_T2_jT3_P12ihipStream_tbPNSt15iterator_traitsISI_E10value_typeEPNSO_ISJ_E10value_typeEPSK_NS1_7vsmem_tEENKUlT_SI_SJ_SK_E_clIPdSD_S10_SD_EESH_SX_SI_SJ_SK_EUlSX_E1_NS1_11comp_targetILNS1_3genE5ELNS1_11target_archE942ELNS1_3gpuE9ELNS1_3repE0EEENS1_36merge_oddeven_config_static_selectorELNS0_4arch9wavefront6targetE1EEEvSJ_,comdat
	.protected	_ZN7rocprim17ROCPRIM_400000_NS6detail17trampoline_kernelINS0_14default_configENS1_38merge_sort_block_merge_config_selectorIddEEZZNS1_27merge_sort_block_merge_implIS3_N6thrust23THRUST_200600_302600_NS6detail15normal_iteratorINS8_10device_ptrIdEEEESD_jNS1_19radix_merge_compareILb0ELb0EdNS0_19identity_decomposerEEEEE10hipError_tT0_T1_T2_jT3_P12ihipStream_tbPNSt15iterator_traitsISI_E10value_typeEPNSO_ISJ_E10value_typeEPSK_NS1_7vsmem_tEENKUlT_SI_SJ_SK_E_clIPdSD_S10_SD_EESH_SX_SI_SJ_SK_EUlSX_E1_NS1_11comp_targetILNS1_3genE5ELNS1_11target_archE942ELNS1_3gpuE9ELNS1_3repE0EEENS1_36merge_oddeven_config_static_selectorELNS0_4arch9wavefront6targetE1EEEvSJ_ ; -- Begin function _ZN7rocprim17ROCPRIM_400000_NS6detail17trampoline_kernelINS0_14default_configENS1_38merge_sort_block_merge_config_selectorIddEEZZNS1_27merge_sort_block_merge_implIS3_N6thrust23THRUST_200600_302600_NS6detail15normal_iteratorINS8_10device_ptrIdEEEESD_jNS1_19radix_merge_compareILb0ELb0EdNS0_19identity_decomposerEEEEE10hipError_tT0_T1_T2_jT3_P12ihipStream_tbPNSt15iterator_traitsISI_E10value_typeEPNSO_ISJ_E10value_typeEPSK_NS1_7vsmem_tEENKUlT_SI_SJ_SK_E_clIPdSD_S10_SD_EESH_SX_SI_SJ_SK_EUlSX_E1_NS1_11comp_targetILNS1_3genE5ELNS1_11target_archE942ELNS1_3gpuE9ELNS1_3repE0EEENS1_36merge_oddeven_config_static_selectorELNS0_4arch9wavefront6targetE1EEEvSJ_
	.globl	_ZN7rocprim17ROCPRIM_400000_NS6detail17trampoline_kernelINS0_14default_configENS1_38merge_sort_block_merge_config_selectorIddEEZZNS1_27merge_sort_block_merge_implIS3_N6thrust23THRUST_200600_302600_NS6detail15normal_iteratorINS8_10device_ptrIdEEEESD_jNS1_19radix_merge_compareILb0ELb0EdNS0_19identity_decomposerEEEEE10hipError_tT0_T1_T2_jT3_P12ihipStream_tbPNSt15iterator_traitsISI_E10value_typeEPNSO_ISJ_E10value_typeEPSK_NS1_7vsmem_tEENKUlT_SI_SJ_SK_E_clIPdSD_S10_SD_EESH_SX_SI_SJ_SK_EUlSX_E1_NS1_11comp_targetILNS1_3genE5ELNS1_11target_archE942ELNS1_3gpuE9ELNS1_3repE0EEENS1_36merge_oddeven_config_static_selectorELNS0_4arch9wavefront6targetE1EEEvSJ_
	.p2align	8
	.type	_ZN7rocprim17ROCPRIM_400000_NS6detail17trampoline_kernelINS0_14default_configENS1_38merge_sort_block_merge_config_selectorIddEEZZNS1_27merge_sort_block_merge_implIS3_N6thrust23THRUST_200600_302600_NS6detail15normal_iteratorINS8_10device_ptrIdEEEESD_jNS1_19radix_merge_compareILb0ELb0EdNS0_19identity_decomposerEEEEE10hipError_tT0_T1_T2_jT3_P12ihipStream_tbPNSt15iterator_traitsISI_E10value_typeEPNSO_ISJ_E10value_typeEPSK_NS1_7vsmem_tEENKUlT_SI_SJ_SK_E_clIPdSD_S10_SD_EESH_SX_SI_SJ_SK_EUlSX_E1_NS1_11comp_targetILNS1_3genE5ELNS1_11target_archE942ELNS1_3gpuE9ELNS1_3repE0EEENS1_36merge_oddeven_config_static_selectorELNS0_4arch9wavefront6targetE1EEEvSJ_,@function
_ZN7rocprim17ROCPRIM_400000_NS6detail17trampoline_kernelINS0_14default_configENS1_38merge_sort_block_merge_config_selectorIddEEZZNS1_27merge_sort_block_merge_implIS3_N6thrust23THRUST_200600_302600_NS6detail15normal_iteratorINS8_10device_ptrIdEEEESD_jNS1_19radix_merge_compareILb0ELb0EdNS0_19identity_decomposerEEEEE10hipError_tT0_T1_T2_jT3_P12ihipStream_tbPNSt15iterator_traitsISI_E10value_typeEPNSO_ISJ_E10value_typeEPSK_NS1_7vsmem_tEENKUlT_SI_SJ_SK_E_clIPdSD_S10_SD_EESH_SX_SI_SJ_SK_EUlSX_E1_NS1_11comp_targetILNS1_3genE5ELNS1_11target_archE942ELNS1_3gpuE9ELNS1_3repE0EEENS1_36merge_oddeven_config_static_selectorELNS0_4arch9wavefront6targetE1EEEvSJ_: ; @_ZN7rocprim17ROCPRIM_400000_NS6detail17trampoline_kernelINS0_14default_configENS1_38merge_sort_block_merge_config_selectorIddEEZZNS1_27merge_sort_block_merge_implIS3_N6thrust23THRUST_200600_302600_NS6detail15normal_iteratorINS8_10device_ptrIdEEEESD_jNS1_19radix_merge_compareILb0ELb0EdNS0_19identity_decomposerEEEEE10hipError_tT0_T1_T2_jT3_P12ihipStream_tbPNSt15iterator_traitsISI_E10value_typeEPNSO_ISJ_E10value_typeEPSK_NS1_7vsmem_tEENKUlT_SI_SJ_SK_E_clIPdSD_S10_SD_EESH_SX_SI_SJ_SK_EUlSX_E1_NS1_11comp_targetILNS1_3genE5ELNS1_11target_archE942ELNS1_3gpuE9ELNS1_3repE0EEENS1_36merge_oddeven_config_static_selectorELNS0_4arch9wavefront6targetE1EEEvSJ_
; %bb.0:
	.section	.rodata,"a",@progbits
	.p2align	6, 0x0
	.amdhsa_kernel _ZN7rocprim17ROCPRIM_400000_NS6detail17trampoline_kernelINS0_14default_configENS1_38merge_sort_block_merge_config_selectorIddEEZZNS1_27merge_sort_block_merge_implIS3_N6thrust23THRUST_200600_302600_NS6detail15normal_iteratorINS8_10device_ptrIdEEEESD_jNS1_19radix_merge_compareILb0ELb0EdNS0_19identity_decomposerEEEEE10hipError_tT0_T1_T2_jT3_P12ihipStream_tbPNSt15iterator_traitsISI_E10value_typeEPNSO_ISJ_E10value_typeEPSK_NS1_7vsmem_tEENKUlT_SI_SJ_SK_E_clIPdSD_S10_SD_EESH_SX_SI_SJ_SK_EUlSX_E1_NS1_11comp_targetILNS1_3genE5ELNS1_11target_archE942ELNS1_3gpuE9ELNS1_3repE0EEENS1_36merge_oddeven_config_static_selectorELNS0_4arch9wavefront6targetE1EEEvSJ_
		.amdhsa_group_segment_fixed_size 0
		.amdhsa_private_segment_fixed_size 0
		.amdhsa_kernarg_size 48
		.amdhsa_user_sgpr_count 2
		.amdhsa_user_sgpr_dispatch_ptr 0
		.amdhsa_user_sgpr_queue_ptr 0
		.amdhsa_user_sgpr_kernarg_segment_ptr 1
		.amdhsa_user_sgpr_dispatch_id 0
		.amdhsa_user_sgpr_kernarg_preload_length 0
		.amdhsa_user_sgpr_kernarg_preload_offset 0
		.amdhsa_user_sgpr_private_segment_size 0
		.amdhsa_uses_dynamic_stack 0
		.amdhsa_enable_private_segment 0
		.amdhsa_system_sgpr_workgroup_id_x 1
		.amdhsa_system_sgpr_workgroup_id_y 0
		.amdhsa_system_sgpr_workgroup_id_z 0
		.amdhsa_system_sgpr_workgroup_info 0
		.amdhsa_system_vgpr_workitem_id 0
		.amdhsa_next_free_vgpr 1
		.amdhsa_next_free_sgpr 0
		.amdhsa_accum_offset 4
		.amdhsa_reserve_vcc 0
		.amdhsa_float_round_mode_32 0
		.amdhsa_float_round_mode_16_64 0
		.amdhsa_float_denorm_mode_32 3
		.amdhsa_float_denorm_mode_16_64 3
		.amdhsa_dx10_clamp 1
		.amdhsa_ieee_mode 1
		.amdhsa_fp16_overflow 0
		.amdhsa_tg_split 0
		.amdhsa_exception_fp_ieee_invalid_op 0
		.amdhsa_exception_fp_denorm_src 0
		.amdhsa_exception_fp_ieee_div_zero 0
		.amdhsa_exception_fp_ieee_overflow 0
		.amdhsa_exception_fp_ieee_underflow 0
		.amdhsa_exception_fp_ieee_inexact 0
		.amdhsa_exception_int_div_zero 0
	.end_amdhsa_kernel
	.section	.text._ZN7rocprim17ROCPRIM_400000_NS6detail17trampoline_kernelINS0_14default_configENS1_38merge_sort_block_merge_config_selectorIddEEZZNS1_27merge_sort_block_merge_implIS3_N6thrust23THRUST_200600_302600_NS6detail15normal_iteratorINS8_10device_ptrIdEEEESD_jNS1_19radix_merge_compareILb0ELb0EdNS0_19identity_decomposerEEEEE10hipError_tT0_T1_T2_jT3_P12ihipStream_tbPNSt15iterator_traitsISI_E10value_typeEPNSO_ISJ_E10value_typeEPSK_NS1_7vsmem_tEENKUlT_SI_SJ_SK_E_clIPdSD_S10_SD_EESH_SX_SI_SJ_SK_EUlSX_E1_NS1_11comp_targetILNS1_3genE5ELNS1_11target_archE942ELNS1_3gpuE9ELNS1_3repE0EEENS1_36merge_oddeven_config_static_selectorELNS0_4arch9wavefront6targetE1EEEvSJ_,"axG",@progbits,_ZN7rocprim17ROCPRIM_400000_NS6detail17trampoline_kernelINS0_14default_configENS1_38merge_sort_block_merge_config_selectorIddEEZZNS1_27merge_sort_block_merge_implIS3_N6thrust23THRUST_200600_302600_NS6detail15normal_iteratorINS8_10device_ptrIdEEEESD_jNS1_19radix_merge_compareILb0ELb0EdNS0_19identity_decomposerEEEEE10hipError_tT0_T1_T2_jT3_P12ihipStream_tbPNSt15iterator_traitsISI_E10value_typeEPNSO_ISJ_E10value_typeEPSK_NS1_7vsmem_tEENKUlT_SI_SJ_SK_E_clIPdSD_S10_SD_EESH_SX_SI_SJ_SK_EUlSX_E1_NS1_11comp_targetILNS1_3genE5ELNS1_11target_archE942ELNS1_3gpuE9ELNS1_3repE0EEENS1_36merge_oddeven_config_static_selectorELNS0_4arch9wavefront6targetE1EEEvSJ_,comdat
.Lfunc_end43:
	.size	_ZN7rocprim17ROCPRIM_400000_NS6detail17trampoline_kernelINS0_14default_configENS1_38merge_sort_block_merge_config_selectorIddEEZZNS1_27merge_sort_block_merge_implIS3_N6thrust23THRUST_200600_302600_NS6detail15normal_iteratorINS8_10device_ptrIdEEEESD_jNS1_19radix_merge_compareILb0ELb0EdNS0_19identity_decomposerEEEEE10hipError_tT0_T1_T2_jT3_P12ihipStream_tbPNSt15iterator_traitsISI_E10value_typeEPNSO_ISJ_E10value_typeEPSK_NS1_7vsmem_tEENKUlT_SI_SJ_SK_E_clIPdSD_S10_SD_EESH_SX_SI_SJ_SK_EUlSX_E1_NS1_11comp_targetILNS1_3genE5ELNS1_11target_archE942ELNS1_3gpuE9ELNS1_3repE0EEENS1_36merge_oddeven_config_static_selectorELNS0_4arch9wavefront6targetE1EEEvSJ_, .Lfunc_end43-_ZN7rocprim17ROCPRIM_400000_NS6detail17trampoline_kernelINS0_14default_configENS1_38merge_sort_block_merge_config_selectorIddEEZZNS1_27merge_sort_block_merge_implIS3_N6thrust23THRUST_200600_302600_NS6detail15normal_iteratorINS8_10device_ptrIdEEEESD_jNS1_19radix_merge_compareILb0ELb0EdNS0_19identity_decomposerEEEEE10hipError_tT0_T1_T2_jT3_P12ihipStream_tbPNSt15iterator_traitsISI_E10value_typeEPNSO_ISJ_E10value_typeEPSK_NS1_7vsmem_tEENKUlT_SI_SJ_SK_E_clIPdSD_S10_SD_EESH_SX_SI_SJ_SK_EUlSX_E1_NS1_11comp_targetILNS1_3genE5ELNS1_11target_archE942ELNS1_3gpuE9ELNS1_3repE0EEENS1_36merge_oddeven_config_static_selectorELNS0_4arch9wavefront6targetE1EEEvSJ_
                                        ; -- End function
	.set _ZN7rocprim17ROCPRIM_400000_NS6detail17trampoline_kernelINS0_14default_configENS1_38merge_sort_block_merge_config_selectorIddEEZZNS1_27merge_sort_block_merge_implIS3_N6thrust23THRUST_200600_302600_NS6detail15normal_iteratorINS8_10device_ptrIdEEEESD_jNS1_19radix_merge_compareILb0ELb0EdNS0_19identity_decomposerEEEEE10hipError_tT0_T1_T2_jT3_P12ihipStream_tbPNSt15iterator_traitsISI_E10value_typeEPNSO_ISJ_E10value_typeEPSK_NS1_7vsmem_tEENKUlT_SI_SJ_SK_E_clIPdSD_S10_SD_EESH_SX_SI_SJ_SK_EUlSX_E1_NS1_11comp_targetILNS1_3genE5ELNS1_11target_archE942ELNS1_3gpuE9ELNS1_3repE0EEENS1_36merge_oddeven_config_static_selectorELNS0_4arch9wavefront6targetE1EEEvSJ_.num_vgpr, 0
	.set _ZN7rocprim17ROCPRIM_400000_NS6detail17trampoline_kernelINS0_14default_configENS1_38merge_sort_block_merge_config_selectorIddEEZZNS1_27merge_sort_block_merge_implIS3_N6thrust23THRUST_200600_302600_NS6detail15normal_iteratorINS8_10device_ptrIdEEEESD_jNS1_19radix_merge_compareILb0ELb0EdNS0_19identity_decomposerEEEEE10hipError_tT0_T1_T2_jT3_P12ihipStream_tbPNSt15iterator_traitsISI_E10value_typeEPNSO_ISJ_E10value_typeEPSK_NS1_7vsmem_tEENKUlT_SI_SJ_SK_E_clIPdSD_S10_SD_EESH_SX_SI_SJ_SK_EUlSX_E1_NS1_11comp_targetILNS1_3genE5ELNS1_11target_archE942ELNS1_3gpuE9ELNS1_3repE0EEENS1_36merge_oddeven_config_static_selectorELNS0_4arch9wavefront6targetE1EEEvSJ_.num_agpr, 0
	.set _ZN7rocprim17ROCPRIM_400000_NS6detail17trampoline_kernelINS0_14default_configENS1_38merge_sort_block_merge_config_selectorIddEEZZNS1_27merge_sort_block_merge_implIS3_N6thrust23THRUST_200600_302600_NS6detail15normal_iteratorINS8_10device_ptrIdEEEESD_jNS1_19radix_merge_compareILb0ELb0EdNS0_19identity_decomposerEEEEE10hipError_tT0_T1_T2_jT3_P12ihipStream_tbPNSt15iterator_traitsISI_E10value_typeEPNSO_ISJ_E10value_typeEPSK_NS1_7vsmem_tEENKUlT_SI_SJ_SK_E_clIPdSD_S10_SD_EESH_SX_SI_SJ_SK_EUlSX_E1_NS1_11comp_targetILNS1_3genE5ELNS1_11target_archE942ELNS1_3gpuE9ELNS1_3repE0EEENS1_36merge_oddeven_config_static_selectorELNS0_4arch9wavefront6targetE1EEEvSJ_.numbered_sgpr, 0
	.set _ZN7rocprim17ROCPRIM_400000_NS6detail17trampoline_kernelINS0_14default_configENS1_38merge_sort_block_merge_config_selectorIddEEZZNS1_27merge_sort_block_merge_implIS3_N6thrust23THRUST_200600_302600_NS6detail15normal_iteratorINS8_10device_ptrIdEEEESD_jNS1_19radix_merge_compareILb0ELb0EdNS0_19identity_decomposerEEEEE10hipError_tT0_T1_T2_jT3_P12ihipStream_tbPNSt15iterator_traitsISI_E10value_typeEPNSO_ISJ_E10value_typeEPSK_NS1_7vsmem_tEENKUlT_SI_SJ_SK_E_clIPdSD_S10_SD_EESH_SX_SI_SJ_SK_EUlSX_E1_NS1_11comp_targetILNS1_3genE5ELNS1_11target_archE942ELNS1_3gpuE9ELNS1_3repE0EEENS1_36merge_oddeven_config_static_selectorELNS0_4arch9wavefront6targetE1EEEvSJ_.num_named_barrier, 0
	.set _ZN7rocprim17ROCPRIM_400000_NS6detail17trampoline_kernelINS0_14default_configENS1_38merge_sort_block_merge_config_selectorIddEEZZNS1_27merge_sort_block_merge_implIS3_N6thrust23THRUST_200600_302600_NS6detail15normal_iteratorINS8_10device_ptrIdEEEESD_jNS1_19radix_merge_compareILb0ELb0EdNS0_19identity_decomposerEEEEE10hipError_tT0_T1_T2_jT3_P12ihipStream_tbPNSt15iterator_traitsISI_E10value_typeEPNSO_ISJ_E10value_typeEPSK_NS1_7vsmem_tEENKUlT_SI_SJ_SK_E_clIPdSD_S10_SD_EESH_SX_SI_SJ_SK_EUlSX_E1_NS1_11comp_targetILNS1_3genE5ELNS1_11target_archE942ELNS1_3gpuE9ELNS1_3repE0EEENS1_36merge_oddeven_config_static_selectorELNS0_4arch9wavefront6targetE1EEEvSJ_.private_seg_size, 0
	.set _ZN7rocprim17ROCPRIM_400000_NS6detail17trampoline_kernelINS0_14default_configENS1_38merge_sort_block_merge_config_selectorIddEEZZNS1_27merge_sort_block_merge_implIS3_N6thrust23THRUST_200600_302600_NS6detail15normal_iteratorINS8_10device_ptrIdEEEESD_jNS1_19radix_merge_compareILb0ELb0EdNS0_19identity_decomposerEEEEE10hipError_tT0_T1_T2_jT3_P12ihipStream_tbPNSt15iterator_traitsISI_E10value_typeEPNSO_ISJ_E10value_typeEPSK_NS1_7vsmem_tEENKUlT_SI_SJ_SK_E_clIPdSD_S10_SD_EESH_SX_SI_SJ_SK_EUlSX_E1_NS1_11comp_targetILNS1_3genE5ELNS1_11target_archE942ELNS1_3gpuE9ELNS1_3repE0EEENS1_36merge_oddeven_config_static_selectorELNS0_4arch9wavefront6targetE1EEEvSJ_.uses_vcc, 0
	.set _ZN7rocprim17ROCPRIM_400000_NS6detail17trampoline_kernelINS0_14default_configENS1_38merge_sort_block_merge_config_selectorIddEEZZNS1_27merge_sort_block_merge_implIS3_N6thrust23THRUST_200600_302600_NS6detail15normal_iteratorINS8_10device_ptrIdEEEESD_jNS1_19radix_merge_compareILb0ELb0EdNS0_19identity_decomposerEEEEE10hipError_tT0_T1_T2_jT3_P12ihipStream_tbPNSt15iterator_traitsISI_E10value_typeEPNSO_ISJ_E10value_typeEPSK_NS1_7vsmem_tEENKUlT_SI_SJ_SK_E_clIPdSD_S10_SD_EESH_SX_SI_SJ_SK_EUlSX_E1_NS1_11comp_targetILNS1_3genE5ELNS1_11target_archE942ELNS1_3gpuE9ELNS1_3repE0EEENS1_36merge_oddeven_config_static_selectorELNS0_4arch9wavefront6targetE1EEEvSJ_.uses_flat_scratch, 0
	.set _ZN7rocprim17ROCPRIM_400000_NS6detail17trampoline_kernelINS0_14default_configENS1_38merge_sort_block_merge_config_selectorIddEEZZNS1_27merge_sort_block_merge_implIS3_N6thrust23THRUST_200600_302600_NS6detail15normal_iteratorINS8_10device_ptrIdEEEESD_jNS1_19radix_merge_compareILb0ELb0EdNS0_19identity_decomposerEEEEE10hipError_tT0_T1_T2_jT3_P12ihipStream_tbPNSt15iterator_traitsISI_E10value_typeEPNSO_ISJ_E10value_typeEPSK_NS1_7vsmem_tEENKUlT_SI_SJ_SK_E_clIPdSD_S10_SD_EESH_SX_SI_SJ_SK_EUlSX_E1_NS1_11comp_targetILNS1_3genE5ELNS1_11target_archE942ELNS1_3gpuE9ELNS1_3repE0EEENS1_36merge_oddeven_config_static_selectorELNS0_4arch9wavefront6targetE1EEEvSJ_.has_dyn_sized_stack, 0
	.set _ZN7rocprim17ROCPRIM_400000_NS6detail17trampoline_kernelINS0_14default_configENS1_38merge_sort_block_merge_config_selectorIddEEZZNS1_27merge_sort_block_merge_implIS3_N6thrust23THRUST_200600_302600_NS6detail15normal_iteratorINS8_10device_ptrIdEEEESD_jNS1_19radix_merge_compareILb0ELb0EdNS0_19identity_decomposerEEEEE10hipError_tT0_T1_T2_jT3_P12ihipStream_tbPNSt15iterator_traitsISI_E10value_typeEPNSO_ISJ_E10value_typeEPSK_NS1_7vsmem_tEENKUlT_SI_SJ_SK_E_clIPdSD_S10_SD_EESH_SX_SI_SJ_SK_EUlSX_E1_NS1_11comp_targetILNS1_3genE5ELNS1_11target_archE942ELNS1_3gpuE9ELNS1_3repE0EEENS1_36merge_oddeven_config_static_selectorELNS0_4arch9wavefront6targetE1EEEvSJ_.has_recursion, 0
	.set _ZN7rocprim17ROCPRIM_400000_NS6detail17trampoline_kernelINS0_14default_configENS1_38merge_sort_block_merge_config_selectorIddEEZZNS1_27merge_sort_block_merge_implIS3_N6thrust23THRUST_200600_302600_NS6detail15normal_iteratorINS8_10device_ptrIdEEEESD_jNS1_19radix_merge_compareILb0ELb0EdNS0_19identity_decomposerEEEEE10hipError_tT0_T1_T2_jT3_P12ihipStream_tbPNSt15iterator_traitsISI_E10value_typeEPNSO_ISJ_E10value_typeEPSK_NS1_7vsmem_tEENKUlT_SI_SJ_SK_E_clIPdSD_S10_SD_EESH_SX_SI_SJ_SK_EUlSX_E1_NS1_11comp_targetILNS1_3genE5ELNS1_11target_archE942ELNS1_3gpuE9ELNS1_3repE0EEENS1_36merge_oddeven_config_static_selectorELNS0_4arch9wavefront6targetE1EEEvSJ_.has_indirect_call, 0
	.section	.AMDGPU.csdata,"",@progbits
; Kernel info:
; codeLenInByte = 0
; TotalNumSgprs: 6
; NumVgprs: 0
; NumAgprs: 0
; TotalNumVgprs: 0
; ScratchSize: 0
; MemoryBound: 0
; FloatMode: 240
; IeeeMode: 1
; LDSByteSize: 0 bytes/workgroup (compile time only)
; SGPRBlocks: 0
; VGPRBlocks: 0
; NumSGPRsForWavesPerEU: 6
; NumVGPRsForWavesPerEU: 1
; AccumOffset: 4
; Occupancy: 8
; WaveLimiterHint : 0
; COMPUTE_PGM_RSRC2:SCRATCH_EN: 0
; COMPUTE_PGM_RSRC2:USER_SGPR: 2
; COMPUTE_PGM_RSRC2:TRAP_HANDLER: 0
; COMPUTE_PGM_RSRC2:TGID_X_EN: 1
; COMPUTE_PGM_RSRC2:TGID_Y_EN: 0
; COMPUTE_PGM_RSRC2:TGID_Z_EN: 0
; COMPUTE_PGM_RSRC2:TIDIG_COMP_CNT: 0
; COMPUTE_PGM_RSRC3_GFX90A:ACCUM_OFFSET: 0
; COMPUTE_PGM_RSRC3_GFX90A:TG_SPLIT: 0
	.section	.text._ZN7rocprim17ROCPRIM_400000_NS6detail17trampoline_kernelINS0_14default_configENS1_38merge_sort_block_merge_config_selectorIddEEZZNS1_27merge_sort_block_merge_implIS3_N6thrust23THRUST_200600_302600_NS6detail15normal_iteratorINS8_10device_ptrIdEEEESD_jNS1_19radix_merge_compareILb0ELb0EdNS0_19identity_decomposerEEEEE10hipError_tT0_T1_T2_jT3_P12ihipStream_tbPNSt15iterator_traitsISI_E10value_typeEPNSO_ISJ_E10value_typeEPSK_NS1_7vsmem_tEENKUlT_SI_SJ_SK_E_clIPdSD_S10_SD_EESH_SX_SI_SJ_SK_EUlSX_E1_NS1_11comp_targetILNS1_3genE4ELNS1_11target_archE910ELNS1_3gpuE8ELNS1_3repE0EEENS1_36merge_oddeven_config_static_selectorELNS0_4arch9wavefront6targetE1EEEvSJ_,"axG",@progbits,_ZN7rocprim17ROCPRIM_400000_NS6detail17trampoline_kernelINS0_14default_configENS1_38merge_sort_block_merge_config_selectorIddEEZZNS1_27merge_sort_block_merge_implIS3_N6thrust23THRUST_200600_302600_NS6detail15normal_iteratorINS8_10device_ptrIdEEEESD_jNS1_19radix_merge_compareILb0ELb0EdNS0_19identity_decomposerEEEEE10hipError_tT0_T1_T2_jT3_P12ihipStream_tbPNSt15iterator_traitsISI_E10value_typeEPNSO_ISJ_E10value_typeEPSK_NS1_7vsmem_tEENKUlT_SI_SJ_SK_E_clIPdSD_S10_SD_EESH_SX_SI_SJ_SK_EUlSX_E1_NS1_11comp_targetILNS1_3genE4ELNS1_11target_archE910ELNS1_3gpuE8ELNS1_3repE0EEENS1_36merge_oddeven_config_static_selectorELNS0_4arch9wavefront6targetE1EEEvSJ_,comdat
	.protected	_ZN7rocprim17ROCPRIM_400000_NS6detail17trampoline_kernelINS0_14default_configENS1_38merge_sort_block_merge_config_selectorIddEEZZNS1_27merge_sort_block_merge_implIS3_N6thrust23THRUST_200600_302600_NS6detail15normal_iteratorINS8_10device_ptrIdEEEESD_jNS1_19radix_merge_compareILb0ELb0EdNS0_19identity_decomposerEEEEE10hipError_tT0_T1_T2_jT3_P12ihipStream_tbPNSt15iterator_traitsISI_E10value_typeEPNSO_ISJ_E10value_typeEPSK_NS1_7vsmem_tEENKUlT_SI_SJ_SK_E_clIPdSD_S10_SD_EESH_SX_SI_SJ_SK_EUlSX_E1_NS1_11comp_targetILNS1_3genE4ELNS1_11target_archE910ELNS1_3gpuE8ELNS1_3repE0EEENS1_36merge_oddeven_config_static_selectorELNS0_4arch9wavefront6targetE1EEEvSJ_ ; -- Begin function _ZN7rocprim17ROCPRIM_400000_NS6detail17trampoline_kernelINS0_14default_configENS1_38merge_sort_block_merge_config_selectorIddEEZZNS1_27merge_sort_block_merge_implIS3_N6thrust23THRUST_200600_302600_NS6detail15normal_iteratorINS8_10device_ptrIdEEEESD_jNS1_19radix_merge_compareILb0ELb0EdNS0_19identity_decomposerEEEEE10hipError_tT0_T1_T2_jT3_P12ihipStream_tbPNSt15iterator_traitsISI_E10value_typeEPNSO_ISJ_E10value_typeEPSK_NS1_7vsmem_tEENKUlT_SI_SJ_SK_E_clIPdSD_S10_SD_EESH_SX_SI_SJ_SK_EUlSX_E1_NS1_11comp_targetILNS1_3genE4ELNS1_11target_archE910ELNS1_3gpuE8ELNS1_3repE0EEENS1_36merge_oddeven_config_static_selectorELNS0_4arch9wavefront6targetE1EEEvSJ_
	.globl	_ZN7rocprim17ROCPRIM_400000_NS6detail17trampoline_kernelINS0_14default_configENS1_38merge_sort_block_merge_config_selectorIddEEZZNS1_27merge_sort_block_merge_implIS3_N6thrust23THRUST_200600_302600_NS6detail15normal_iteratorINS8_10device_ptrIdEEEESD_jNS1_19radix_merge_compareILb0ELb0EdNS0_19identity_decomposerEEEEE10hipError_tT0_T1_T2_jT3_P12ihipStream_tbPNSt15iterator_traitsISI_E10value_typeEPNSO_ISJ_E10value_typeEPSK_NS1_7vsmem_tEENKUlT_SI_SJ_SK_E_clIPdSD_S10_SD_EESH_SX_SI_SJ_SK_EUlSX_E1_NS1_11comp_targetILNS1_3genE4ELNS1_11target_archE910ELNS1_3gpuE8ELNS1_3repE0EEENS1_36merge_oddeven_config_static_selectorELNS0_4arch9wavefront6targetE1EEEvSJ_
	.p2align	8
	.type	_ZN7rocprim17ROCPRIM_400000_NS6detail17trampoline_kernelINS0_14default_configENS1_38merge_sort_block_merge_config_selectorIddEEZZNS1_27merge_sort_block_merge_implIS3_N6thrust23THRUST_200600_302600_NS6detail15normal_iteratorINS8_10device_ptrIdEEEESD_jNS1_19radix_merge_compareILb0ELb0EdNS0_19identity_decomposerEEEEE10hipError_tT0_T1_T2_jT3_P12ihipStream_tbPNSt15iterator_traitsISI_E10value_typeEPNSO_ISJ_E10value_typeEPSK_NS1_7vsmem_tEENKUlT_SI_SJ_SK_E_clIPdSD_S10_SD_EESH_SX_SI_SJ_SK_EUlSX_E1_NS1_11comp_targetILNS1_3genE4ELNS1_11target_archE910ELNS1_3gpuE8ELNS1_3repE0EEENS1_36merge_oddeven_config_static_selectorELNS0_4arch9wavefront6targetE1EEEvSJ_,@function
_ZN7rocprim17ROCPRIM_400000_NS6detail17trampoline_kernelINS0_14default_configENS1_38merge_sort_block_merge_config_selectorIddEEZZNS1_27merge_sort_block_merge_implIS3_N6thrust23THRUST_200600_302600_NS6detail15normal_iteratorINS8_10device_ptrIdEEEESD_jNS1_19radix_merge_compareILb0ELb0EdNS0_19identity_decomposerEEEEE10hipError_tT0_T1_T2_jT3_P12ihipStream_tbPNSt15iterator_traitsISI_E10value_typeEPNSO_ISJ_E10value_typeEPSK_NS1_7vsmem_tEENKUlT_SI_SJ_SK_E_clIPdSD_S10_SD_EESH_SX_SI_SJ_SK_EUlSX_E1_NS1_11comp_targetILNS1_3genE4ELNS1_11target_archE910ELNS1_3gpuE8ELNS1_3repE0EEENS1_36merge_oddeven_config_static_selectorELNS0_4arch9wavefront6targetE1EEEvSJ_: ; @_ZN7rocprim17ROCPRIM_400000_NS6detail17trampoline_kernelINS0_14default_configENS1_38merge_sort_block_merge_config_selectorIddEEZZNS1_27merge_sort_block_merge_implIS3_N6thrust23THRUST_200600_302600_NS6detail15normal_iteratorINS8_10device_ptrIdEEEESD_jNS1_19radix_merge_compareILb0ELb0EdNS0_19identity_decomposerEEEEE10hipError_tT0_T1_T2_jT3_P12ihipStream_tbPNSt15iterator_traitsISI_E10value_typeEPNSO_ISJ_E10value_typeEPSK_NS1_7vsmem_tEENKUlT_SI_SJ_SK_E_clIPdSD_S10_SD_EESH_SX_SI_SJ_SK_EUlSX_E1_NS1_11comp_targetILNS1_3genE4ELNS1_11target_archE910ELNS1_3gpuE8ELNS1_3repE0EEENS1_36merge_oddeven_config_static_selectorELNS0_4arch9wavefront6targetE1EEEvSJ_
; %bb.0:
	.section	.rodata,"a",@progbits
	.p2align	6, 0x0
	.amdhsa_kernel _ZN7rocprim17ROCPRIM_400000_NS6detail17trampoline_kernelINS0_14default_configENS1_38merge_sort_block_merge_config_selectorIddEEZZNS1_27merge_sort_block_merge_implIS3_N6thrust23THRUST_200600_302600_NS6detail15normal_iteratorINS8_10device_ptrIdEEEESD_jNS1_19radix_merge_compareILb0ELb0EdNS0_19identity_decomposerEEEEE10hipError_tT0_T1_T2_jT3_P12ihipStream_tbPNSt15iterator_traitsISI_E10value_typeEPNSO_ISJ_E10value_typeEPSK_NS1_7vsmem_tEENKUlT_SI_SJ_SK_E_clIPdSD_S10_SD_EESH_SX_SI_SJ_SK_EUlSX_E1_NS1_11comp_targetILNS1_3genE4ELNS1_11target_archE910ELNS1_3gpuE8ELNS1_3repE0EEENS1_36merge_oddeven_config_static_selectorELNS0_4arch9wavefront6targetE1EEEvSJ_
		.amdhsa_group_segment_fixed_size 0
		.amdhsa_private_segment_fixed_size 0
		.amdhsa_kernarg_size 48
		.amdhsa_user_sgpr_count 2
		.amdhsa_user_sgpr_dispatch_ptr 0
		.amdhsa_user_sgpr_queue_ptr 0
		.amdhsa_user_sgpr_kernarg_segment_ptr 1
		.amdhsa_user_sgpr_dispatch_id 0
		.amdhsa_user_sgpr_kernarg_preload_length 0
		.amdhsa_user_sgpr_kernarg_preload_offset 0
		.amdhsa_user_sgpr_private_segment_size 0
		.amdhsa_uses_dynamic_stack 0
		.amdhsa_enable_private_segment 0
		.amdhsa_system_sgpr_workgroup_id_x 1
		.amdhsa_system_sgpr_workgroup_id_y 0
		.amdhsa_system_sgpr_workgroup_id_z 0
		.amdhsa_system_sgpr_workgroup_info 0
		.amdhsa_system_vgpr_workitem_id 0
		.amdhsa_next_free_vgpr 1
		.amdhsa_next_free_sgpr 0
		.amdhsa_accum_offset 4
		.amdhsa_reserve_vcc 0
		.amdhsa_float_round_mode_32 0
		.amdhsa_float_round_mode_16_64 0
		.amdhsa_float_denorm_mode_32 3
		.amdhsa_float_denorm_mode_16_64 3
		.amdhsa_dx10_clamp 1
		.amdhsa_ieee_mode 1
		.amdhsa_fp16_overflow 0
		.amdhsa_tg_split 0
		.amdhsa_exception_fp_ieee_invalid_op 0
		.amdhsa_exception_fp_denorm_src 0
		.amdhsa_exception_fp_ieee_div_zero 0
		.amdhsa_exception_fp_ieee_overflow 0
		.amdhsa_exception_fp_ieee_underflow 0
		.amdhsa_exception_fp_ieee_inexact 0
		.amdhsa_exception_int_div_zero 0
	.end_amdhsa_kernel
	.section	.text._ZN7rocprim17ROCPRIM_400000_NS6detail17trampoline_kernelINS0_14default_configENS1_38merge_sort_block_merge_config_selectorIddEEZZNS1_27merge_sort_block_merge_implIS3_N6thrust23THRUST_200600_302600_NS6detail15normal_iteratorINS8_10device_ptrIdEEEESD_jNS1_19radix_merge_compareILb0ELb0EdNS0_19identity_decomposerEEEEE10hipError_tT0_T1_T2_jT3_P12ihipStream_tbPNSt15iterator_traitsISI_E10value_typeEPNSO_ISJ_E10value_typeEPSK_NS1_7vsmem_tEENKUlT_SI_SJ_SK_E_clIPdSD_S10_SD_EESH_SX_SI_SJ_SK_EUlSX_E1_NS1_11comp_targetILNS1_3genE4ELNS1_11target_archE910ELNS1_3gpuE8ELNS1_3repE0EEENS1_36merge_oddeven_config_static_selectorELNS0_4arch9wavefront6targetE1EEEvSJ_,"axG",@progbits,_ZN7rocprim17ROCPRIM_400000_NS6detail17trampoline_kernelINS0_14default_configENS1_38merge_sort_block_merge_config_selectorIddEEZZNS1_27merge_sort_block_merge_implIS3_N6thrust23THRUST_200600_302600_NS6detail15normal_iteratorINS8_10device_ptrIdEEEESD_jNS1_19radix_merge_compareILb0ELb0EdNS0_19identity_decomposerEEEEE10hipError_tT0_T1_T2_jT3_P12ihipStream_tbPNSt15iterator_traitsISI_E10value_typeEPNSO_ISJ_E10value_typeEPSK_NS1_7vsmem_tEENKUlT_SI_SJ_SK_E_clIPdSD_S10_SD_EESH_SX_SI_SJ_SK_EUlSX_E1_NS1_11comp_targetILNS1_3genE4ELNS1_11target_archE910ELNS1_3gpuE8ELNS1_3repE0EEENS1_36merge_oddeven_config_static_selectorELNS0_4arch9wavefront6targetE1EEEvSJ_,comdat
.Lfunc_end44:
	.size	_ZN7rocprim17ROCPRIM_400000_NS6detail17trampoline_kernelINS0_14default_configENS1_38merge_sort_block_merge_config_selectorIddEEZZNS1_27merge_sort_block_merge_implIS3_N6thrust23THRUST_200600_302600_NS6detail15normal_iteratorINS8_10device_ptrIdEEEESD_jNS1_19radix_merge_compareILb0ELb0EdNS0_19identity_decomposerEEEEE10hipError_tT0_T1_T2_jT3_P12ihipStream_tbPNSt15iterator_traitsISI_E10value_typeEPNSO_ISJ_E10value_typeEPSK_NS1_7vsmem_tEENKUlT_SI_SJ_SK_E_clIPdSD_S10_SD_EESH_SX_SI_SJ_SK_EUlSX_E1_NS1_11comp_targetILNS1_3genE4ELNS1_11target_archE910ELNS1_3gpuE8ELNS1_3repE0EEENS1_36merge_oddeven_config_static_selectorELNS0_4arch9wavefront6targetE1EEEvSJ_, .Lfunc_end44-_ZN7rocprim17ROCPRIM_400000_NS6detail17trampoline_kernelINS0_14default_configENS1_38merge_sort_block_merge_config_selectorIddEEZZNS1_27merge_sort_block_merge_implIS3_N6thrust23THRUST_200600_302600_NS6detail15normal_iteratorINS8_10device_ptrIdEEEESD_jNS1_19radix_merge_compareILb0ELb0EdNS0_19identity_decomposerEEEEE10hipError_tT0_T1_T2_jT3_P12ihipStream_tbPNSt15iterator_traitsISI_E10value_typeEPNSO_ISJ_E10value_typeEPSK_NS1_7vsmem_tEENKUlT_SI_SJ_SK_E_clIPdSD_S10_SD_EESH_SX_SI_SJ_SK_EUlSX_E1_NS1_11comp_targetILNS1_3genE4ELNS1_11target_archE910ELNS1_3gpuE8ELNS1_3repE0EEENS1_36merge_oddeven_config_static_selectorELNS0_4arch9wavefront6targetE1EEEvSJ_
                                        ; -- End function
	.set _ZN7rocprim17ROCPRIM_400000_NS6detail17trampoline_kernelINS0_14default_configENS1_38merge_sort_block_merge_config_selectorIddEEZZNS1_27merge_sort_block_merge_implIS3_N6thrust23THRUST_200600_302600_NS6detail15normal_iteratorINS8_10device_ptrIdEEEESD_jNS1_19radix_merge_compareILb0ELb0EdNS0_19identity_decomposerEEEEE10hipError_tT0_T1_T2_jT3_P12ihipStream_tbPNSt15iterator_traitsISI_E10value_typeEPNSO_ISJ_E10value_typeEPSK_NS1_7vsmem_tEENKUlT_SI_SJ_SK_E_clIPdSD_S10_SD_EESH_SX_SI_SJ_SK_EUlSX_E1_NS1_11comp_targetILNS1_3genE4ELNS1_11target_archE910ELNS1_3gpuE8ELNS1_3repE0EEENS1_36merge_oddeven_config_static_selectorELNS0_4arch9wavefront6targetE1EEEvSJ_.num_vgpr, 0
	.set _ZN7rocprim17ROCPRIM_400000_NS6detail17trampoline_kernelINS0_14default_configENS1_38merge_sort_block_merge_config_selectorIddEEZZNS1_27merge_sort_block_merge_implIS3_N6thrust23THRUST_200600_302600_NS6detail15normal_iteratorINS8_10device_ptrIdEEEESD_jNS1_19radix_merge_compareILb0ELb0EdNS0_19identity_decomposerEEEEE10hipError_tT0_T1_T2_jT3_P12ihipStream_tbPNSt15iterator_traitsISI_E10value_typeEPNSO_ISJ_E10value_typeEPSK_NS1_7vsmem_tEENKUlT_SI_SJ_SK_E_clIPdSD_S10_SD_EESH_SX_SI_SJ_SK_EUlSX_E1_NS1_11comp_targetILNS1_3genE4ELNS1_11target_archE910ELNS1_3gpuE8ELNS1_3repE0EEENS1_36merge_oddeven_config_static_selectorELNS0_4arch9wavefront6targetE1EEEvSJ_.num_agpr, 0
	.set _ZN7rocprim17ROCPRIM_400000_NS6detail17trampoline_kernelINS0_14default_configENS1_38merge_sort_block_merge_config_selectorIddEEZZNS1_27merge_sort_block_merge_implIS3_N6thrust23THRUST_200600_302600_NS6detail15normal_iteratorINS8_10device_ptrIdEEEESD_jNS1_19radix_merge_compareILb0ELb0EdNS0_19identity_decomposerEEEEE10hipError_tT0_T1_T2_jT3_P12ihipStream_tbPNSt15iterator_traitsISI_E10value_typeEPNSO_ISJ_E10value_typeEPSK_NS1_7vsmem_tEENKUlT_SI_SJ_SK_E_clIPdSD_S10_SD_EESH_SX_SI_SJ_SK_EUlSX_E1_NS1_11comp_targetILNS1_3genE4ELNS1_11target_archE910ELNS1_3gpuE8ELNS1_3repE0EEENS1_36merge_oddeven_config_static_selectorELNS0_4arch9wavefront6targetE1EEEvSJ_.numbered_sgpr, 0
	.set _ZN7rocprim17ROCPRIM_400000_NS6detail17trampoline_kernelINS0_14default_configENS1_38merge_sort_block_merge_config_selectorIddEEZZNS1_27merge_sort_block_merge_implIS3_N6thrust23THRUST_200600_302600_NS6detail15normal_iteratorINS8_10device_ptrIdEEEESD_jNS1_19radix_merge_compareILb0ELb0EdNS0_19identity_decomposerEEEEE10hipError_tT0_T1_T2_jT3_P12ihipStream_tbPNSt15iterator_traitsISI_E10value_typeEPNSO_ISJ_E10value_typeEPSK_NS1_7vsmem_tEENKUlT_SI_SJ_SK_E_clIPdSD_S10_SD_EESH_SX_SI_SJ_SK_EUlSX_E1_NS1_11comp_targetILNS1_3genE4ELNS1_11target_archE910ELNS1_3gpuE8ELNS1_3repE0EEENS1_36merge_oddeven_config_static_selectorELNS0_4arch9wavefront6targetE1EEEvSJ_.num_named_barrier, 0
	.set _ZN7rocprim17ROCPRIM_400000_NS6detail17trampoline_kernelINS0_14default_configENS1_38merge_sort_block_merge_config_selectorIddEEZZNS1_27merge_sort_block_merge_implIS3_N6thrust23THRUST_200600_302600_NS6detail15normal_iteratorINS8_10device_ptrIdEEEESD_jNS1_19radix_merge_compareILb0ELb0EdNS0_19identity_decomposerEEEEE10hipError_tT0_T1_T2_jT3_P12ihipStream_tbPNSt15iterator_traitsISI_E10value_typeEPNSO_ISJ_E10value_typeEPSK_NS1_7vsmem_tEENKUlT_SI_SJ_SK_E_clIPdSD_S10_SD_EESH_SX_SI_SJ_SK_EUlSX_E1_NS1_11comp_targetILNS1_3genE4ELNS1_11target_archE910ELNS1_3gpuE8ELNS1_3repE0EEENS1_36merge_oddeven_config_static_selectorELNS0_4arch9wavefront6targetE1EEEvSJ_.private_seg_size, 0
	.set _ZN7rocprim17ROCPRIM_400000_NS6detail17trampoline_kernelINS0_14default_configENS1_38merge_sort_block_merge_config_selectorIddEEZZNS1_27merge_sort_block_merge_implIS3_N6thrust23THRUST_200600_302600_NS6detail15normal_iteratorINS8_10device_ptrIdEEEESD_jNS1_19radix_merge_compareILb0ELb0EdNS0_19identity_decomposerEEEEE10hipError_tT0_T1_T2_jT3_P12ihipStream_tbPNSt15iterator_traitsISI_E10value_typeEPNSO_ISJ_E10value_typeEPSK_NS1_7vsmem_tEENKUlT_SI_SJ_SK_E_clIPdSD_S10_SD_EESH_SX_SI_SJ_SK_EUlSX_E1_NS1_11comp_targetILNS1_3genE4ELNS1_11target_archE910ELNS1_3gpuE8ELNS1_3repE0EEENS1_36merge_oddeven_config_static_selectorELNS0_4arch9wavefront6targetE1EEEvSJ_.uses_vcc, 0
	.set _ZN7rocprim17ROCPRIM_400000_NS6detail17trampoline_kernelINS0_14default_configENS1_38merge_sort_block_merge_config_selectorIddEEZZNS1_27merge_sort_block_merge_implIS3_N6thrust23THRUST_200600_302600_NS6detail15normal_iteratorINS8_10device_ptrIdEEEESD_jNS1_19radix_merge_compareILb0ELb0EdNS0_19identity_decomposerEEEEE10hipError_tT0_T1_T2_jT3_P12ihipStream_tbPNSt15iterator_traitsISI_E10value_typeEPNSO_ISJ_E10value_typeEPSK_NS1_7vsmem_tEENKUlT_SI_SJ_SK_E_clIPdSD_S10_SD_EESH_SX_SI_SJ_SK_EUlSX_E1_NS1_11comp_targetILNS1_3genE4ELNS1_11target_archE910ELNS1_3gpuE8ELNS1_3repE0EEENS1_36merge_oddeven_config_static_selectorELNS0_4arch9wavefront6targetE1EEEvSJ_.uses_flat_scratch, 0
	.set _ZN7rocprim17ROCPRIM_400000_NS6detail17trampoline_kernelINS0_14default_configENS1_38merge_sort_block_merge_config_selectorIddEEZZNS1_27merge_sort_block_merge_implIS3_N6thrust23THRUST_200600_302600_NS6detail15normal_iteratorINS8_10device_ptrIdEEEESD_jNS1_19radix_merge_compareILb0ELb0EdNS0_19identity_decomposerEEEEE10hipError_tT0_T1_T2_jT3_P12ihipStream_tbPNSt15iterator_traitsISI_E10value_typeEPNSO_ISJ_E10value_typeEPSK_NS1_7vsmem_tEENKUlT_SI_SJ_SK_E_clIPdSD_S10_SD_EESH_SX_SI_SJ_SK_EUlSX_E1_NS1_11comp_targetILNS1_3genE4ELNS1_11target_archE910ELNS1_3gpuE8ELNS1_3repE0EEENS1_36merge_oddeven_config_static_selectorELNS0_4arch9wavefront6targetE1EEEvSJ_.has_dyn_sized_stack, 0
	.set _ZN7rocprim17ROCPRIM_400000_NS6detail17trampoline_kernelINS0_14default_configENS1_38merge_sort_block_merge_config_selectorIddEEZZNS1_27merge_sort_block_merge_implIS3_N6thrust23THRUST_200600_302600_NS6detail15normal_iteratorINS8_10device_ptrIdEEEESD_jNS1_19radix_merge_compareILb0ELb0EdNS0_19identity_decomposerEEEEE10hipError_tT0_T1_T2_jT3_P12ihipStream_tbPNSt15iterator_traitsISI_E10value_typeEPNSO_ISJ_E10value_typeEPSK_NS1_7vsmem_tEENKUlT_SI_SJ_SK_E_clIPdSD_S10_SD_EESH_SX_SI_SJ_SK_EUlSX_E1_NS1_11comp_targetILNS1_3genE4ELNS1_11target_archE910ELNS1_3gpuE8ELNS1_3repE0EEENS1_36merge_oddeven_config_static_selectorELNS0_4arch9wavefront6targetE1EEEvSJ_.has_recursion, 0
	.set _ZN7rocprim17ROCPRIM_400000_NS6detail17trampoline_kernelINS0_14default_configENS1_38merge_sort_block_merge_config_selectorIddEEZZNS1_27merge_sort_block_merge_implIS3_N6thrust23THRUST_200600_302600_NS6detail15normal_iteratorINS8_10device_ptrIdEEEESD_jNS1_19radix_merge_compareILb0ELb0EdNS0_19identity_decomposerEEEEE10hipError_tT0_T1_T2_jT3_P12ihipStream_tbPNSt15iterator_traitsISI_E10value_typeEPNSO_ISJ_E10value_typeEPSK_NS1_7vsmem_tEENKUlT_SI_SJ_SK_E_clIPdSD_S10_SD_EESH_SX_SI_SJ_SK_EUlSX_E1_NS1_11comp_targetILNS1_3genE4ELNS1_11target_archE910ELNS1_3gpuE8ELNS1_3repE0EEENS1_36merge_oddeven_config_static_selectorELNS0_4arch9wavefront6targetE1EEEvSJ_.has_indirect_call, 0
	.section	.AMDGPU.csdata,"",@progbits
; Kernel info:
; codeLenInByte = 0
; TotalNumSgprs: 6
; NumVgprs: 0
; NumAgprs: 0
; TotalNumVgprs: 0
; ScratchSize: 0
; MemoryBound: 0
; FloatMode: 240
; IeeeMode: 1
; LDSByteSize: 0 bytes/workgroup (compile time only)
; SGPRBlocks: 0
; VGPRBlocks: 0
; NumSGPRsForWavesPerEU: 6
; NumVGPRsForWavesPerEU: 1
; AccumOffset: 4
; Occupancy: 8
; WaveLimiterHint : 0
; COMPUTE_PGM_RSRC2:SCRATCH_EN: 0
; COMPUTE_PGM_RSRC2:USER_SGPR: 2
; COMPUTE_PGM_RSRC2:TRAP_HANDLER: 0
; COMPUTE_PGM_RSRC2:TGID_X_EN: 1
; COMPUTE_PGM_RSRC2:TGID_Y_EN: 0
; COMPUTE_PGM_RSRC2:TGID_Z_EN: 0
; COMPUTE_PGM_RSRC2:TIDIG_COMP_CNT: 0
; COMPUTE_PGM_RSRC3_GFX90A:ACCUM_OFFSET: 0
; COMPUTE_PGM_RSRC3_GFX90A:TG_SPLIT: 0
	.section	.text._ZN7rocprim17ROCPRIM_400000_NS6detail17trampoline_kernelINS0_14default_configENS1_38merge_sort_block_merge_config_selectorIddEEZZNS1_27merge_sort_block_merge_implIS3_N6thrust23THRUST_200600_302600_NS6detail15normal_iteratorINS8_10device_ptrIdEEEESD_jNS1_19radix_merge_compareILb0ELb0EdNS0_19identity_decomposerEEEEE10hipError_tT0_T1_T2_jT3_P12ihipStream_tbPNSt15iterator_traitsISI_E10value_typeEPNSO_ISJ_E10value_typeEPSK_NS1_7vsmem_tEENKUlT_SI_SJ_SK_E_clIPdSD_S10_SD_EESH_SX_SI_SJ_SK_EUlSX_E1_NS1_11comp_targetILNS1_3genE3ELNS1_11target_archE908ELNS1_3gpuE7ELNS1_3repE0EEENS1_36merge_oddeven_config_static_selectorELNS0_4arch9wavefront6targetE1EEEvSJ_,"axG",@progbits,_ZN7rocprim17ROCPRIM_400000_NS6detail17trampoline_kernelINS0_14default_configENS1_38merge_sort_block_merge_config_selectorIddEEZZNS1_27merge_sort_block_merge_implIS3_N6thrust23THRUST_200600_302600_NS6detail15normal_iteratorINS8_10device_ptrIdEEEESD_jNS1_19radix_merge_compareILb0ELb0EdNS0_19identity_decomposerEEEEE10hipError_tT0_T1_T2_jT3_P12ihipStream_tbPNSt15iterator_traitsISI_E10value_typeEPNSO_ISJ_E10value_typeEPSK_NS1_7vsmem_tEENKUlT_SI_SJ_SK_E_clIPdSD_S10_SD_EESH_SX_SI_SJ_SK_EUlSX_E1_NS1_11comp_targetILNS1_3genE3ELNS1_11target_archE908ELNS1_3gpuE7ELNS1_3repE0EEENS1_36merge_oddeven_config_static_selectorELNS0_4arch9wavefront6targetE1EEEvSJ_,comdat
	.protected	_ZN7rocprim17ROCPRIM_400000_NS6detail17trampoline_kernelINS0_14default_configENS1_38merge_sort_block_merge_config_selectorIddEEZZNS1_27merge_sort_block_merge_implIS3_N6thrust23THRUST_200600_302600_NS6detail15normal_iteratorINS8_10device_ptrIdEEEESD_jNS1_19radix_merge_compareILb0ELb0EdNS0_19identity_decomposerEEEEE10hipError_tT0_T1_T2_jT3_P12ihipStream_tbPNSt15iterator_traitsISI_E10value_typeEPNSO_ISJ_E10value_typeEPSK_NS1_7vsmem_tEENKUlT_SI_SJ_SK_E_clIPdSD_S10_SD_EESH_SX_SI_SJ_SK_EUlSX_E1_NS1_11comp_targetILNS1_3genE3ELNS1_11target_archE908ELNS1_3gpuE7ELNS1_3repE0EEENS1_36merge_oddeven_config_static_selectorELNS0_4arch9wavefront6targetE1EEEvSJ_ ; -- Begin function _ZN7rocprim17ROCPRIM_400000_NS6detail17trampoline_kernelINS0_14default_configENS1_38merge_sort_block_merge_config_selectorIddEEZZNS1_27merge_sort_block_merge_implIS3_N6thrust23THRUST_200600_302600_NS6detail15normal_iteratorINS8_10device_ptrIdEEEESD_jNS1_19radix_merge_compareILb0ELb0EdNS0_19identity_decomposerEEEEE10hipError_tT0_T1_T2_jT3_P12ihipStream_tbPNSt15iterator_traitsISI_E10value_typeEPNSO_ISJ_E10value_typeEPSK_NS1_7vsmem_tEENKUlT_SI_SJ_SK_E_clIPdSD_S10_SD_EESH_SX_SI_SJ_SK_EUlSX_E1_NS1_11comp_targetILNS1_3genE3ELNS1_11target_archE908ELNS1_3gpuE7ELNS1_3repE0EEENS1_36merge_oddeven_config_static_selectorELNS0_4arch9wavefront6targetE1EEEvSJ_
	.globl	_ZN7rocprim17ROCPRIM_400000_NS6detail17trampoline_kernelINS0_14default_configENS1_38merge_sort_block_merge_config_selectorIddEEZZNS1_27merge_sort_block_merge_implIS3_N6thrust23THRUST_200600_302600_NS6detail15normal_iteratorINS8_10device_ptrIdEEEESD_jNS1_19radix_merge_compareILb0ELb0EdNS0_19identity_decomposerEEEEE10hipError_tT0_T1_T2_jT3_P12ihipStream_tbPNSt15iterator_traitsISI_E10value_typeEPNSO_ISJ_E10value_typeEPSK_NS1_7vsmem_tEENKUlT_SI_SJ_SK_E_clIPdSD_S10_SD_EESH_SX_SI_SJ_SK_EUlSX_E1_NS1_11comp_targetILNS1_3genE3ELNS1_11target_archE908ELNS1_3gpuE7ELNS1_3repE0EEENS1_36merge_oddeven_config_static_selectorELNS0_4arch9wavefront6targetE1EEEvSJ_
	.p2align	8
	.type	_ZN7rocprim17ROCPRIM_400000_NS6detail17trampoline_kernelINS0_14default_configENS1_38merge_sort_block_merge_config_selectorIddEEZZNS1_27merge_sort_block_merge_implIS3_N6thrust23THRUST_200600_302600_NS6detail15normal_iteratorINS8_10device_ptrIdEEEESD_jNS1_19radix_merge_compareILb0ELb0EdNS0_19identity_decomposerEEEEE10hipError_tT0_T1_T2_jT3_P12ihipStream_tbPNSt15iterator_traitsISI_E10value_typeEPNSO_ISJ_E10value_typeEPSK_NS1_7vsmem_tEENKUlT_SI_SJ_SK_E_clIPdSD_S10_SD_EESH_SX_SI_SJ_SK_EUlSX_E1_NS1_11comp_targetILNS1_3genE3ELNS1_11target_archE908ELNS1_3gpuE7ELNS1_3repE0EEENS1_36merge_oddeven_config_static_selectorELNS0_4arch9wavefront6targetE1EEEvSJ_,@function
_ZN7rocprim17ROCPRIM_400000_NS6detail17trampoline_kernelINS0_14default_configENS1_38merge_sort_block_merge_config_selectorIddEEZZNS1_27merge_sort_block_merge_implIS3_N6thrust23THRUST_200600_302600_NS6detail15normal_iteratorINS8_10device_ptrIdEEEESD_jNS1_19radix_merge_compareILb0ELb0EdNS0_19identity_decomposerEEEEE10hipError_tT0_T1_T2_jT3_P12ihipStream_tbPNSt15iterator_traitsISI_E10value_typeEPNSO_ISJ_E10value_typeEPSK_NS1_7vsmem_tEENKUlT_SI_SJ_SK_E_clIPdSD_S10_SD_EESH_SX_SI_SJ_SK_EUlSX_E1_NS1_11comp_targetILNS1_3genE3ELNS1_11target_archE908ELNS1_3gpuE7ELNS1_3repE0EEENS1_36merge_oddeven_config_static_selectorELNS0_4arch9wavefront6targetE1EEEvSJ_: ; @_ZN7rocprim17ROCPRIM_400000_NS6detail17trampoline_kernelINS0_14default_configENS1_38merge_sort_block_merge_config_selectorIddEEZZNS1_27merge_sort_block_merge_implIS3_N6thrust23THRUST_200600_302600_NS6detail15normal_iteratorINS8_10device_ptrIdEEEESD_jNS1_19radix_merge_compareILb0ELb0EdNS0_19identity_decomposerEEEEE10hipError_tT0_T1_T2_jT3_P12ihipStream_tbPNSt15iterator_traitsISI_E10value_typeEPNSO_ISJ_E10value_typeEPSK_NS1_7vsmem_tEENKUlT_SI_SJ_SK_E_clIPdSD_S10_SD_EESH_SX_SI_SJ_SK_EUlSX_E1_NS1_11comp_targetILNS1_3genE3ELNS1_11target_archE908ELNS1_3gpuE7ELNS1_3repE0EEENS1_36merge_oddeven_config_static_selectorELNS0_4arch9wavefront6targetE1EEEvSJ_
; %bb.0:
	.section	.rodata,"a",@progbits
	.p2align	6, 0x0
	.amdhsa_kernel _ZN7rocprim17ROCPRIM_400000_NS6detail17trampoline_kernelINS0_14default_configENS1_38merge_sort_block_merge_config_selectorIddEEZZNS1_27merge_sort_block_merge_implIS3_N6thrust23THRUST_200600_302600_NS6detail15normal_iteratorINS8_10device_ptrIdEEEESD_jNS1_19radix_merge_compareILb0ELb0EdNS0_19identity_decomposerEEEEE10hipError_tT0_T1_T2_jT3_P12ihipStream_tbPNSt15iterator_traitsISI_E10value_typeEPNSO_ISJ_E10value_typeEPSK_NS1_7vsmem_tEENKUlT_SI_SJ_SK_E_clIPdSD_S10_SD_EESH_SX_SI_SJ_SK_EUlSX_E1_NS1_11comp_targetILNS1_3genE3ELNS1_11target_archE908ELNS1_3gpuE7ELNS1_3repE0EEENS1_36merge_oddeven_config_static_selectorELNS0_4arch9wavefront6targetE1EEEvSJ_
		.amdhsa_group_segment_fixed_size 0
		.amdhsa_private_segment_fixed_size 0
		.amdhsa_kernarg_size 48
		.amdhsa_user_sgpr_count 2
		.amdhsa_user_sgpr_dispatch_ptr 0
		.amdhsa_user_sgpr_queue_ptr 0
		.amdhsa_user_sgpr_kernarg_segment_ptr 1
		.amdhsa_user_sgpr_dispatch_id 0
		.amdhsa_user_sgpr_kernarg_preload_length 0
		.amdhsa_user_sgpr_kernarg_preload_offset 0
		.amdhsa_user_sgpr_private_segment_size 0
		.amdhsa_uses_dynamic_stack 0
		.amdhsa_enable_private_segment 0
		.amdhsa_system_sgpr_workgroup_id_x 1
		.amdhsa_system_sgpr_workgroup_id_y 0
		.amdhsa_system_sgpr_workgroup_id_z 0
		.amdhsa_system_sgpr_workgroup_info 0
		.amdhsa_system_vgpr_workitem_id 0
		.amdhsa_next_free_vgpr 1
		.amdhsa_next_free_sgpr 0
		.amdhsa_accum_offset 4
		.amdhsa_reserve_vcc 0
		.amdhsa_float_round_mode_32 0
		.amdhsa_float_round_mode_16_64 0
		.amdhsa_float_denorm_mode_32 3
		.amdhsa_float_denorm_mode_16_64 3
		.amdhsa_dx10_clamp 1
		.amdhsa_ieee_mode 1
		.amdhsa_fp16_overflow 0
		.amdhsa_tg_split 0
		.amdhsa_exception_fp_ieee_invalid_op 0
		.amdhsa_exception_fp_denorm_src 0
		.amdhsa_exception_fp_ieee_div_zero 0
		.amdhsa_exception_fp_ieee_overflow 0
		.amdhsa_exception_fp_ieee_underflow 0
		.amdhsa_exception_fp_ieee_inexact 0
		.amdhsa_exception_int_div_zero 0
	.end_amdhsa_kernel
	.section	.text._ZN7rocprim17ROCPRIM_400000_NS6detail17trampoline_kernelINS0_14default_configENS1_38merge_sort_block_merge_config_selectorIddEEZZNS1_27merge_sort_block_merge_implIS3_N6thrust23THRUST_200600_302600_NS6detail15normal_iteratorINS8_10device_ptrIdEEEESD_jNS1_19radix_merge_compareILb0ELb0EdNS0_19identity_decomposerEEEEE10hipError_tT0_T1_T2_jT3_P12ihipStream_tbPNSt15iterator_traitsISI_E10value_typeEPNSO_ISJ_E10value_typeEPSK_NS1_7vsmem_tEENKUlT_SI_SJ_SK_E_clIPdSD_S10_SD_EESH_SX_SI_SJ_SK_EUlSX_E1_NS1_11comp_targetILNS1_3genE3ELNS1_11target_archE908ELNS1_3gpuE7ELNS1_3repE0EEENS1_36merge_oddeven_config_static_selectorELNS0_4arch9wavefront6targetE1EEEvSJ_,"axG",@progbits,_ZN7rocprim17ROCPRIM_400000_NS6detail17trampoline_kernelINS0_14default_configENS1_38merge_sort_block_merge_config_selectorIddEEZZNS1_27merge_sort_block_merge_implIS3_N6thrust23THRUST_200600_302600_NS6detail15normal_iteratorINS8_10device_ptrIdEEEESD_jNS1_19radix_merge_compareILb0ELb0EdNS0_19identity_decomposerEEEEE10hipError_tT0_T1_T2_jT3_P12ihipStream_tbPNSt15iterator_traitsISI_E10value_typeEPNSO_ISJ_E10value_typeEPSK_NS1_7vsmem_tEENKUlT_SI_SJ_SK_E_clIPdSD_S10_SD_EESH_SX_SI_SJ_SK_EUlSX_E1_NS1_11comp_targetILNS1_3genE3ELNS1_11target_archE908ELNS1_3gpuE7ELNS1_3repE0EEENS1_36merge_oddeven_config_static_selectorELNS0_4arch9wavefront6targetE1EEEvSJ_,comdat
.Lfunc_end45:
	.size	_ZN7rocprim17ROCPRIM_400000_NS6detail17trampoline_kernelINS0_14default_configENS1_38merge_sort_block_merge_config_selectorIddEEZZNS1_27merge_sort_block_merge_implIS3_N6thrust23THRUST_200600_302600_NS6detail15normal_iteratorINS8_10device_ptrIdEEEESD_jNS1_19radix_merge_compareILb0ELb0EdNS0_19identity_decomposerEEEEE10hipError_tT0_T1_T2_jT3_P12ihipStream_tbPNSt15iterator_traitsISI_E10value_typeEPNSO_ISJ_E10value_typeEPSK_NS1_7vsmem_tEENKUlT_SI_SJ_SK_E_clIPdSD_S10_SD_EESH_SX_SI_SJ_SK_EUlSX_E1_NS1_11comp_targetILNS1_3genE3ELNS1_11target_archE908ELNS1_3gpuE7ELNS1_3repE0EEENS1_36merge_oddeven_config_static_selectorELNS0_4arch9wavefront6targetE1EEEvSJ_, .Lfunc_end45-_ZN7rocprim17ROCPRIM_400000_NS6detail17trampoline_kernelINS0_14default_configENS1_38merge_sort_block_merge_config_selectorIddEEZZNS1_27merge_sort_block_merge_implIS3_N6thrust23THRUST_200600_302600_NS6detail15normal_iteratorINS8_10device_ptrIdEEEESD_jNS1_19radix_merge_compareILb0ELb0EdNS0_19identity_decomposerEEEEE10hipError_tT0_T1_T2_jT3_P12ihipStream_tbPNSt15iterator_traitsISI_E10value_typeEPNSO_ISJ_E10value_typeEPSK_NS1_7vsmem_tEENKUlT_SI_SJ_SK_E_clIPdSD_S10_SD_EESH_SX_SI_SJ_SK_EUlSX_E1_NS1_11comp_targetILNS1_3genE3ELNS1_11target_archE908ELNS1_3gpuE7ELNS1_3repE0EEENS1_36merge_oddeven_config_static_selectorELNS0_4arch9wavefront6targetE1EEEvSJ_
                                        ; -- End function
	.set _ZN7rocprim17ROCPRIM_400000_NS6detail17trampoline_kernelINS0_14default_configENS1_38merge_sort_block_merge_config_selectorIddEEZZNS1_27merge_sort_block_merge_implIS3_N6thrust23THRUST_200600_302600_NS6detail15normal_iteratorINS8_10device_ptrIdEEEESD_jNS1_19radix_merge_compareILb0ELb0EdNS0_19identity_decomposerEEEEE10hipError_tT0_T1_T2_jT3_P12ihipStream_tbPNSt15iterator_traitsISI_E10value_typeEPNSO_ISJ_E10value_typeEPSK_NS1_7vsmem_tEENKUlT_SI_SJ_SK_E_clIPdSD_S10_SD_EESH_SX_SI_SJ_SK_EUlSX_E1_NS1_11comp_targetILNS1_3genE3ELNS1_11target_archE908ELNS1_3gpuE7ELNS1_3repE0EEENS1_36merge_oddeven_config_static_selectorELNS0_4arch9wavefront6targetE1EEEvSJ_.num_vgpr, 0
	.set _ZN7rocprim17ROCPRIM_400000_NS6detail17trampoline_kernelINS0_14default_configENS1_38merge_sort_block_merge_config_selectorIddEEZZNS1_27merge_sort_block_merge_implIS3_N6thrust23THRUST_200600_302600_NS6detail15normal_iteratorINS8_10device_ptrIdEEEESD_jNS1_19radix_merge_compareILb0ELb0EdNS0_19identity_decomposerEEEEE10hipError_tT0_T1_T2_jT3_P12ihipStream_tbPNSt15iterator_traitsISI_E10value_typeEPNSO_ISJ_E10value_typeEPSK_NS1_7vsmem_tEENKUlT_SI_SJ_SK_E_clIPdSD_S10_SD_EESH_SX_SI_SJ_SK_EUlSX_E1_NS1_11comp_targetILNS1_3genE3ELNS1_11target_archE908ELNS1_3gpuE7ELNS1_3repE0EEENS1_36merge_oddeven_config_static_selectorELNS0_4arch9wavefront6targetE1EEEvSJ_.num_agpr, 0
	.set _ZN7rocprim17ROCPRIM_400000_NS6detail17trampoline_kernelINS0_14default_configENS1_38merge_sort_block_merge_config_selectorIddEEZZNS1_27merge_sort_block_merge_implIS3_N6thrust23THRUST_200600_302600_NS6detail15normal_iteratorINS8_10device_ptrIdEEEESD_jNS1_19radix_merge_compareILb0ELb0EdNS0_19identity_decomposerEEEEE10hipError_tT0_T1_T2_jT3_P12ihipStream_tbPNSt15iterator_traitsISI_E10value_typeEPNSO_ISJ_E10value_typeEPSK_NS1_7vsmem_tEENKUlT_SI_SJ_SK_E_clIPdSD_S10_SD_EESH_SX_SI_SJ_SK_EUlSX_E1_NS1_11comp_targetILNS1_3genE3ELNS1_11target_archE908ELNS1_3gpuE7ELNS1_3repE0EEENS1_36merge_oddeven_config_static_selectorELNS0_4arch9wavefront6targetE1EEEvSJ_.numbered_sgpr, 0
	.set _ZN7rocprim17ROCPRIM_400000_NS6detail17trampoline_kernelINS0_14default_configENS1_38merge_sort_block_merge_config_selectorIddEEZZNS1_27merge_sort_block_merge_implIS3_N6thrust23THRUST_200600_302600_NS6detail15normal_iteratorINS8_10device_ptrIdEEEESD_jNS1_19radix_merge_compareILb0ELb0EdNS0_19identity_decomposerEEEEE10hipError_tT0_T1_T2_jT3_P12ihipStream_tbPNSt15iterator_traitsISI_E10value_typeEPNSO_ISJ_E10value_typeEPSK_NS1_7vsmem_tEENKUlT_SI_SJ_SK_E_clIPdSD_S10_SD_EESH_SX_SI_SJ_SK_EUlSX_E1_NS1_11comp_targetILNS1_3genE3ELNS1_11target_archE908ELNS1_3gpuE7ELNS1_3repE0EEENS1_36merge_oddeven_config_static_selectorELNS0_4arch9wavefront6targetE1EEEvSJ_.num_named_barrier, 0
	.set _ZN7rocprim17ROCPRIM_400000_NS6detail17trampoline_kernelINS0_14default_configENS1_38merge_sort_block_merge_config_selectorIddEEZZNS1_27merge_sort_block_merge_implIS3_N6thrust23THRUST_200600_302600_NS6detail15normal_iteratorINS8_10device_ptrIdEEEESD_jNS1_19radix_merge_compareILb0ELb0EdNS0_19identity_decomposerEEEEE10hipError_tT0_T1_T2_jT3_P12ihipStream_tbPNSt15iterator_traitsISI_E10value_typeEPNSO_ISJ_E10value_typeEPSK_NS1_7vsmem_tEENKUlT_SI_SJ_SK_E_clIPdSD_S10_SD_EESH_SX_SI_SJ_SK_EUlSX_E1_NS1_11comp_targetILNS1_3genE3ELNS1_11target_archE908ELNS1_3gpuE7ELNS1_3repE0EEENS1_36merge_oddeven_config_static_selectorELNS0_4arch9wavefront6targetE1EEEvSJ_.private_seg_size, 0
	.set _ZN7rocprim17ROCPRIM_400000_NS6detail17trampoline_kernelINS0_14default_configENS1_38merge_sort_block_merge_config_selectorIddEEZZNS1_27merge_sort_block_merge_implIS3_N6thrust23THRUST_200600_302600_NS6detail15normal_iteratorINS8_10device_ptrIdEEEESD_jNS1_19radix_merge_compareILb0ELb0EdNS0_19identity_decomposerEEEEE10hipError_tT0_T1_T2_jT3_P12ihipStream_tbPNSt15iterator_traitsISI_E10value_typeEPNSO_ISJ_E10value_typeEPSK_NS1_7vsmem_tEENKUlT_SI_SJ_SK_E_clIPdSD_S10_SD_EESH_SX_SI_SJ_SK_EUlSX_E1_NS1_11comp_targetILNS1_3genE3ELNS1_11target_archE908ELNS1_3gpuE7ELNS1_3repE0EEENS1_36merge_oddeven_config_static_selectorELNS0_4arch9wavefront6targetE1EEEvSJ_.uses_vcc, 0
	.set _ZN7rocprim17ROCPRIM_400000_NS6detail17trampoline_kernelINS0_14default_configENS1_38merge_sort_block_merge_config_selectorIddEEZZNS1_27merge_sort_block_merge_implIS3_N6thrust23THRUST_200600_302600_NS6detail15normal_iteratorINS8_10device_ptrIdEEEESD_jNS1_19radix_merge_compareILb0ELb0EdNS0_19identity_decomposerEEEEE10hipError_tT0_T1_T2_jT3_P12ihipStream_tbPNSt15iterator_traitsISI_E10value_typeEPNSO_ISJ_E10value_typeEPSK_NS1_7vsmem_tEENKUlT_SI_SJ_SK_E_clIPdSD_S10_SD_EESH_SX_SI_SJ_SK_EUlSX_E1_NS1_11comp_targetILNS1_3genE3ELNS1_11target_archE908ELNS1_3gpuE7ELNS1_3repE0EEENS1_36merge_oddeven_config_static_selectorELNS0_4arch9wavefront6targetE1EEEvSJ_.uses_flat_scratch, 0
	.set _ZN7rocprim17ROCPRIM_400000_NS6detail17trampoline_kernelINS0_14default_configENS1_38merge_sort_block_merge_config_selectorIddEEZZNS1_27merge_sort_block_merge_implIS3_N6thrust23THRUST_200600_302600_NS6detail15normal_iteratorINS8_10device_ptrIdEEEESD_jNS1_19radix_merge_compareILb0ELb0EdNS0_19identity_decomposerEEEEE10hipError_tT0_T1_T2_jT3_P12ihipStream_tbPNSt15iterator_traitsISI_E10value_typeEPNSO_ISJ_E10value_typeEPSK_NS1_7vsmem_tEENKUlT_SI_SJ_SK_E_clIPdSD_S10_SD_EESH_SX_SI_SJ_SK_EUlSX_E1_NS1_11comp_targetILNS1_3genE3ELNS1_11target_archE908ELNS1_3gpuE7ELNS1_3repE0EEENS1_36merge_oddeven_config_static_selectorELNS0_4arch9wavefront6targetE1EEEvSJ_.has_dyn_sized_stack, 0
	.set _ZN7rocprim17ROCPRIM_400000_NS6detail17trampoline_kernelINS0_14default_configENS1_38merge_sort_block_merge_config_selectorIddEEZZNS1_27merge_sort_block_merge_implIS3_N6thrust23THRUST_200600_302600_NS6detail15normal_iteratorINS8_10device_ptrIdEEEESD_jNS1_19radix_merge_compareILb0ELb0EdNS0_19identity_decomposerEEEEE10hipError_tT0_T1_T2_jT3_P12ihipStream_tbPNSt15iterator_traitsISI_E10value_typeEPNSO_ISJ_E10value_typeEPSK_NS1_7vsmem_tEENKUlT_SI_SJ_SK_E_clIPdSD_S10_SD_EESH_SX_SI_SJ_SK_EUlSX_E1_NS1_11comp_targetILNS1_3genE3ELNS1_11target_archE908ELNS1_3gpuE7ELNS1_3repE0EEENS1_36merge_oddeven_config_static_selectorELNS0_4arch9wavefront6targetE1EEEvSJ_.has_recursion, 0
	.set _ZN7rocprim17ROCPRIM_400000_NS6detail17trampoline_kernelINS0_14default_configENS1_38merge_sort_block_merge_config_selectorIddEEZZNS1_27merge_sort_block_merge_implIS3_N6thrust23THRUST_200600_302600_NS6detail15normal_iteratorINS8_10device_ptrIdEEEESD_jNS1_19radix_merge_compareILb0ELb0EdNS0_19identity_decomposerEEEEE10hipError_tT0_T1_T2_jT3_P12ihipStream_tbPNSt15iterator_traitsISI_E10value_typeEPNSO_ISJ_E10value_typeEPSK_NS1_7vsmem_tEENKUlT_SI_SJ_SK_E_clIPdSD_S10_SD_EESH_SX_SI_SJ_SK_EUlSX_E1_NS1_11comp_targetILNS1_3genE3ELNS1_11target_archE908ELNS1_3gpuE7ELNS1_3repE0EEENS1_36merge_oddeven_config_static_selectorELNS0_4arch9wavefront6targetE1EEEvSJ_.has_indirect_call, 0
	.section	.AMDGPU.csdata,"",@progbits
; Kernel info:
; codeLenInByte = 0
; TotalNumSgprs: 6
; NumVgprs: 0
; NumAgprs: 0
; TotalNumVgprs: 0
; ScratchSize: 0
; MemoryBound: 0
; FloatMode: 240
; IeeeMode: 1
; LDSByteSize: 0 bytes/workgroup (compile time only)
; SGPRBlocks: 0
; VGPRBlocks: 0
; NumSGPRsForWavesPerEU: 6
; NumVGPRsForWavesPerEU: 1
; AccumOffset: 4
; Occupancy: 8
; WaveLimiterHint : 0
; COMPUTE_PGM_RSRC2:SCRATCH_EN: 0
; COMPUTE_PGM_RSRC2:USER_SGPR: 2
; COMPUTE_PGM_RSRC2:TRAP_HANDLER: 0
; COMPUTE_PGM_RSRC2:TGID_X_EN: 1
; COMPUTE_PGM_RSRC2:TGID_Y_EN: 0
; COMPUTE_PGM_RSRC2:TGID_Z_EN: 0
; COMPUTE_PGM_RSRC2:TIDIG_COMP_CNT: 0
; COMPUTE_PGM_RSRC3_GFX90A:ACCUM_OFFSET: 0
; COMPUTE_PGM_RSRC3_GFX90A:TG_SPLIT: 0
	.section	.text._ZN7rocprim17ROCPRIM_400000_NS6detail17trampoline_kernelINS0_14default_configENS1_38merge_sort_block_merge_config_selectorIddEEZZNS1_27merge_sort_block_merge_implIS3_N6thrust23THRUST_200600_302600_NS6detail15normal_iteratorINS8_10device_ptrIdEEEESD_jNS1_19radix_merge_compareILb0ELb0EdNS0_19identity_decomposerEEEEE10hipError_tT0_T1_T2_jT3_P12ihipStream_tbPNSt15iterator_traitsISI_E10value_typeEPNSO_ISJ_E10value_typeEPSK_NS1_7vsmem_tEENKUlT_SI_SJ_SK_E_clIPdSD_S10_SD_EESH_SX_SI_SJ_SK_EUlSX_E1_NS1_11comp_targetILNS1_3genE2ELNS1_11target_archE906ELNS1_3gpuE6ELNS1_3repE0EEENS1_36merge_oddeven_config_static_selectorELNS0_4arch9wavefront6targetE1EEEvSJ_,"axG",@progbits,_ZN7rocprim17ROCPRIM_400000_NS6detail17trampoline_kernelINS0_14default_configENS1_38merge_sort_block_merge_config_selectorIddEEZZNS1_27merge_sort_block_merge_implIS3_N6thrust23THRUST_200600_302600_NS6detail15normal_iteratorINS8_10device_ptrIdEEEESD_jNS1_19radix_merge_compareILb0ELb0EdNS0_19identity_decomposerEEEEE10hipError_tT0_T1_T2_jT3_P12ihipStream_tbPNSt15iterator_traitsISI_E10value_typeEPNSO_ISJ_E10value_typeEPSK_NS1_7vsmem_tEENKUlT_SI_SJ_SK_E_clIPdSD_S10_SD_EESH_SX_SI_SJ_SK_EUlSX_E1_NS1_11comp_targetILNS1_3genE2ELNS1_11target_archE906ELNS1_3gpuE6ELNS1_3repE0EEENS1_36merge_oddeven_config_static_selectorELNS0_4arch9wavefront6targetE1EEEvSJ_,comdat
	.protected	_ZN7rocprim17ROCPRIM_400000_NS6detail17trampoline_kernelINS0_14default_configENS1_38merge_sort_block_merge_config_selectorIddEEZZNS1_27merge_sort_block_merge_implIS3_N6thrust23THRUST_200600_302600_NS6detail15normal_iteratorINS8_10device_ptrIdEEEESD_jNS1_19radix_merge_compareILb0ELb0EdNS0_19identity_decomposerEEEEE10hipError_tT0_T1_T2_jT3_P12ihipStream_tbPNSt15iterator_traitsISI_E10value_typeEPNSO_ISJ_E10value_typeEPSK_NS1_7vsmem_tEENKUlT_SI_SJ_SK_E_clIPdSD_S10_SD_EESH_SX_SI_SJ_SK_EUlSX_E1_NS1_11comp_targetILNS1_3genE2ELNS1_11target_archE906ELNS1_3gpuE6ELNS1_3repE0EEENS1_36merge_oddeven_config_static_selectorELNS0_4arch9wavefront6targetE1EEEvSJ_ ; -- Begin function _ZN7rocprim17ROCPRIM_400000_NS6detail17trampoline_kernelINS0_14default_configENS1_38merge_sort_block_merge_config_selectorIddEEZZNS1_27merge_sort_block_merge_implIS3_N6thrust23THRUST_200600_302600_NS6detail15normal_iteratorINS8_10device_ptrIdEEEESD_jNS1_19radix_merge_compareILb0ELb0EdNS0_19identity_decomposerEEEEE10hipError_tT0_T1_T2_jT3_P12ihipStream_tbPNSt15iterator_traitsISI_E10value_typeEPNSO_ISJ_E10value_typeEPSK_NS1_7vsmem_tEENKUlT_SI_SJ_SK_E_clIPdSD_S10_SD_EESH_SX_SI_SJ_SK_EUlSX_E1_NS1_11comp_targetILNS1_3genE2ELNS1_11target_archE906ELNS1_3gpuE6ELNS1_3repE0EEENS1_36merge_oddeven_config_static_selectorELNS0_4arch9wavefront6targetE1EEEvSJ_
	.globl	_ZN7rocprim17ROCPRIM_400000_NS6detail17trampoline_kernelINS0_14default_configENS1_38merge_sort_block_merge_config_selectorIddEEZZNS1_27merge_sort_block_merge_implIS3_N6thrust23THRUST_200600_302600_NS6detail15normal_iteratorINS8_10device_ptrIdEEEESD_jNS1_19radix_merge_compareILb0ELb0EdNS0_19identity_decomposerEEEEE10hipError_tT0_T1_T2_jT3_P12ihipStream_tbPNSt15iterator_traitsISI_E10value_typeEPNSO_ISJ_E10value_typeEPSK_NS1_7vsmem_tEENKUlT_SI_SJ_SK_E_clIPdSD_S10_SD_EESH_SX_SI_SJ_SK_EUlSX_E1_NS1_11comp_targetILNS1_3genE2ELNS1_11target_archE906ELNS1_3gpuE6ELNS1_3repE0EEENS1_36merge_oddeven_config_static_selectorELNS0_4arch9wavefront6targetE1EEEvSJ_
	.p2align	8
	.type	_ZN7rocprim17ROCPRIM_400000_NS6detail17trampoline_kernelINS0_14default_configENS1_38merge_sort_block_merge_config_selectorIddEEZZNS1_27merge_sort_block_merge_implIS3_N6thrust23THRUST_200600_302600_NS6detail15normal_iteratorINS8_10device_ptrIdEEEESD_jNS1_19radix_merge_compareILb0ELb0EdNS0_19identity_decomposerEEEEE10hipError_tT0_T1_T2_jT3_P12ihipStream_tbPNSt15iterator_traitsISI_E10value_typeEPNSO_ISJ_E10value_typeEPSK_NS1_7vsmem_tEENKUlT_SI_SJ_SK_E_clIPdSD_S10_SD_EESH_SX_SI_SJ_SK_EUlSX_E1_NS1_11comp_targetILNS1_3genE2ELNS1_11target_archE906ELNS1_3gpuE6ELNS1_3repE0EEENS1_36merge_oddeven_config_static_selectorELNS0_4arch9wavefront6targetE1EEEvSJ_,@function
_ZN7rocprim17ROCPRIM_400000_NS6detail17trampoline_kernelINS0_14default_configENS1_38merge_sort_block_merge_config_selectorIddEEZZNS1_27merge_sort_block_merge_implIS3_N6thrust23THRUST_200600_302600_NS6detail15normal_iteratorINS8_10device_ptrIdEEEESD_jNS1_19radix_merge_compareILb0ELb0EdNS0_19identity_decomposerEEEEE10hipError_tT0_T1_T2_jT3_P12ihipStream_tbPNSt15iterator_traitsISI_E10value_typeEPNSO_ISJ_E10value_typeEPSK_NS1_7vsmem_tEENKUlT_SI_SJ_SK_E_clIPdSD_S10_SD_EESH_SX_SI_SJ_SK_EUlSX_E1_NS1_11comp_targetILNS1_3genE2ELNS1_11target_archE906ELNS1_3gpuE6ELNS1_3repE0EEENS1_36merge_oddeven_config_static_selectorELNS0_4arch9wavefront6targetE1EEEvSJ_: ; @_ZN7rocprim17ROCPRIM_400000_NS6detail17trampoline_kernelINS0_14default_configENS1_38merge_sort_block_merge_config_selectorIddEEZZNS1_27merge_sort_block_merge_implIS3_N6thrust23THRUST_200600_302600_NS6detail15normal_iteratorINS8_10device_ptrIdEEEESD_jNS1_19radix_merge_compareILb0ELb0EdNS0_19identity_decomposerEEEEE10hipError_tT0_T1_T2_jT3_P12ihipStream_tbPNSt15iterator_traitsISI_E10value_typeEPNSO_ISJ_E10value_typeEPSK_NS1_7vsmem_tEENKUlT_SI_SJ_SK_E_clIPdSD_S10_SD_EESH_SX_SI_SJ_SK_EUlSX_E1_NS1_11comp_targetILNS1_3genE2ELNS1_11target_archE906ELNS1_3gpuE6ELNS1_3repE0EEENS1_36merge_oddeven_config_static_selectorELNS0_4arch9wavefront6targetE1EEEvSJ_
; %bb.0:
	.section	.rodata,"a",@progbits
	.p2align	6, 0x0
	.amdhsa_kernel _ZN7rocprim17ROCPRIM_400000_NS6detail17trampoline_kernelINS0_14default_configENS1_38merge_sort_block_merge_config_selectorIddEEZZNS1_27merge_sort_block_merge_implIS3_N6thrust23THRUST_200600_302600_NS6detail15normal_iteratorINS8_10device_ptrIdEEEESD_jNS1_19radix_merge_compareILb0ELb0EdNS0_19identity_decomposerEEEEE10hipError_tT0_T1_T2_jT3_P12ihipStream_tbPNSt15iterator_traitsISI_E10value_typeEPNSO_ISJ_E10value_typeEPSK_NS1_7vsmem_tEENKUlT_SI_SJ_SK_E_clIPdSD_S10_SD_EESH_SX_SI_SJ_SK_EUlSX_E1_NS1_11comp_targetILNS1_3genE2ELNS1_11target_archE906ELNS1_3gpuE6ELNS1_3repE0EEENS1_36merge_oddeven_config_static_selectorELNS0_4arch9wavefront6targetE1EEEvSJ_
		.amdhsa_group_segment_fixed_size 0
		.amdhsa_private_segment_fixed_size 0
		.amdhsa_kernarg_size 48
		.amdhsa_user_sgpr_count 2
		.amdhsa_user_sgpr_dispatch_ptr 0
		.amdhsa_user_sgpr_queue_ptr 0
		.amdhsa_user_sgpr_kernarg_segment_ptr 1
		.amdhsa_user_sgpr_dispatch_id 0
		.amdhsa_user_sgpr_kernarg_preload_length 0
		.amdhsa_user_sgpr_kernarg_preload_offset 0
		.amdhsa_user_sgpr_private_segment_size 0
		.amdhsa_uses_dynamic_stack 0
		.amdhsa_enable_private_segment 0
		.amdhsa_system_sgpr_workgroup_id_x 1
		.amdhsa_system_sgpr_workgroup_id_y 0
		.amdhsa_system_sgpr_workgroup_id_z 0
		.amdhsa_system_sgpr_workgroup_info 0
		.amdhsa_system_vgpr_workitem_id 0
		.amdhsa_next_free_vgpr 1
		.amdhsa_next_free_sgpr 0
		.amdhsa_accum_offset 4
		.amdhsa_reserve_vcc 0
		.amdhsa_float_round_mode_32 0
		.amdhsa_float_round_mode_16_64 0
		.amdhsa_float_denorm_mode_32 3
		.amdhsa_float_denorm_mode_16_64 3
		.amdhsa_dx10_clamp 1
		.amdhsa_ieee_mode 1
		.amdhsa_fp16_overflow 0
		.amdhsa_tg_split 0
		.amdhsa_exception_fp_ieee_invalid_op 0
		.amdhsa_exception_fp_denorm_src 0
		.amdhsa_exception_fp_ieee_div_zero 0
		.amdhsa_exception_fp_ieee_overflow 0
		.amdhsa_exception_fp_ieee_underflow 0
		.amdhsa_exception_fp_ieee_inexact 0
		.amdhsa_exception_int_div_zero 0
	.end_amdhsa_kernel
	.section	.text._ZN7rocprim17ROCPRIM_400000_NS6detail17trampoline_kernelINS0_14default_configENS1_38merge_sort_block_merge_config_selectorIddEEZZNS1_27merge_sort_block_merge_implIS3_N6thrust23THRUST_200600_302600_NS6detail15normal_iteratorINS8_10device_ptrIdEEEESD_jNS1_19radix_merge_compareILb0ELb0EdNS0_19identity_decomposerEEEEE10hipError_tT0_T1_T2_jT3_P12ihipStream_tbPNSt15iterator_traitsISI_E10value_typeEPNSO_ISJ_E10value_typeEPSK_NS1_7vsmem_tEENKUlT_SI_SJ_SK_E_clIPdSD_S10_SD_EESH_SX_SI_SJ_SK_EUlSX_E1_NS1_11comp_targetILNS1_3genE2ELNS1_11target_archE906ELNS1_3gpuE6ELNS1_3repE0EEENS1_36merge_oddeven_config_static_selectorELNS0_4arch9wavefront6targetE1EEEvSJ_,"axG",@progbits,_ZN7rocprim17ROCPRIM_400000_NS6detail17trampoline_kernelINS0_14default_configENS1_38merge_sort_block_merge_config_selectorIddEEZZNS1_27merge_sort_block_merge_implIS3_N6thrust23THRUST_200600_302600_NS6detail15normal_iteratorINS8_10device_ptrIdEEEESD_jNS1_19radix_merge_compareILb0ELb0EdNS0_19identity_decomposerEEEEE10hipError_tT0_T1_T2_jT3_P12ihipStream_tbPNSt15iterator_traitsISI_E10value_typeEPNSO_ISJ_E10value_typeEPSK_NS1_7vsmem_tEENKUlT_SI_SJ_SK_E_clIPdSD_S10_SD_EESH_SX_SI_SJ_SK_EUlSX_E1_NS1_11comp_targetILNS1_3genE2ELNS1_11target_archE906ELNS1_3gpuE6ELNS1_3repE0EEENS1_36merge_oddeven_config_static_selectorELNS0_4arch9wavefront6targetE1EEEvSJ_,comdat
.Lfunc_end46:
	.size	_ZN7rocprim17ROCPRIM_400000_NS6detail17trampoline_kernelINS0_14default_configENS1_38merge_sort_block_merge_config_selectorIddEEZZNS1_27merge_sort_block_merge_implIS3_N6thrust23THRUST_200600_302600_NS6detail15normal_iteratorINS8_10device_ptrIdEEEESD_jNS1_19radix_merge_compareILb0ELb0EdNS0_19identity_decomposerEEEEE10hipError_tT0_T1_T2_jT3_P12ihipStream_tbPNSt15iterator_traitsISI_E10value_typeEPNSO_ISJ_E10value_typeEPSK_NS1_7vsmem_tEENKUlT_SI_SJ_SK_E_clIPdSD_S10_SD_EESH_SX_SI_SJ_SK_EUlSX_E1_NS1_11comp_targetILNS1_3genE2ELNS1_11target_archE906ELNS1_3gpuE6ELNS1_3repE0EEENS1_36merge_oddeven_config_static_selectorELNS0_4arch9wavefront6targetE1EEEvSJ_, .Lfunc_end46-_ZN7rocprim17ROCPRIM_400000_NS6detail17trampoline_kernelINS0_14default_configENS1_38merge_sort_block_merge_config_selectorIddEEZZNS1_27merge_sort_block_merge_implIS3_N6thrust23THRUST_200600_302600_NS6detail15normal_iteratorINS8_10device_ptrIdEEEESD_jNS1_19radix_merge_compareILb0ELb0EdNS0_19identity_decomposerEEEEE10hipError_tT0_T1_T2_jT3_P12ihipStream_tbPNSt15iterator_traitsISI_E10value_typeEPNSO_ISJ_E10value_typeEPSK_NS1_7vsmem_tEENKUlT_SI_SJ_SK_E_clIPdSD_S10_SD_EESH_SX_SI_SJ_SK_EUlSX_E1_NS1_11comp_targetILNS1_3genE2ELNS1_11target_archE906ELNS1_3gpuE6ELNS1_3repE0EEENS1_36merge_oddeven_config_static_selectorELNS0_4arch9wavefront6targetE1EEEvSJ_
                                        ; -- End function
	.set _ZN7rocprim17ROCPRIM_400000_NS6detail17trampoline_kernelINS0_14default_configENS1_38merge_sort_block_merge_config_selectorIddEEZZNS1_27merge_sort_block_merge_implIS3_N6thrust23THRUST_200600_302600_NS6detail15normal_iteratorINS8_10device_ptrIdEEEESD_jNS1_19radix_merge_compareILb0ELb0EdNS0_19identity_decomposerEEEEE10hipError_tT0_T1_T2_jT3_P12ihipStream_tbPNSt15iterator_traitsISI_E10value_typeEPNSO_ISJ_E10value_typeEPSK_NS1_7vsmem_tEENKUlT_SI_SJ_SK_E_clIPdSD_S10_SD_EESH_SX_SI_SJ_SK_EUlSX_E1_NS1_11comp_targetILNS1_3genE2ELNS1_11target_archE906ELNS1_3gpuE6ELNS1_3repE0EEENS1_36merge_oddeven_config_static_selectorELNS0_4arch9wavefront6targetE1EEEvSJ_.num_vgpr, 0
	.set _ZN7rocprim17ROCPRIM_400000_NS6detail17trampoline_kernelINS0_14default_configENS1_38merge_sort_block_merge_config_selectorIddEEZZNS1_27merge_sort_block_merge_implIS3_N6thrust23THRUST_200600_302600_NS6detail15normal_iteratorINS8_10device_ptrIdEEEESD_jNS1_19radix_merge_compareILb0ELb0EdNS0_19identity_decomposerEEEEE10hipError_tT0_T1_T2_jT3_P12ihipStream_tbPNSt15iterator_traitsISI_E10value_typeEPNSO_ISJ_E10value_typeEPSK_NS1_7vsmem_tEENKUlT_SI_SJ_SK_E_clIPdSD_S10_SD_EESH_SX_SI_SJ_SK_EUlSX_E1_NS1_11comp_targetILNS1_3genE2ELNS1_11target_archE906ELNS1_3gpuE6ELNS1_3repE0EEENS1_36merge_oddeven_config_static_selectorELNS0_4arch9wavefront6targetE1EEEvSJ_.num_agpr, 0
	.set _ZN7rocprim17ROCPRIM_400000_NS6detail17trampoline_kernelINS0_14default_configENS1_38merge_sort_block_merge_config_selectorIddEEZZNS1_27merge_sort_block_merge_implIS3_N6thrust23THRUST_200600_302600_NS6detail15normal_iteratorINS8_10device_ptrIdEEEESD_jNS1_19radix_merge_compareILb0ELb0EdNS0_19identity_decomposerEEEEE10hipError_tT0_T1_T2_jT3_P12ihipStream_tbPNSt15iterator_traitsISI_E10value_typeEPNSO_ISJ_E10value_typeEPSK_NS1_7vsmem_tEENKUlT_SI_SJ_SK_E_clIPdSD_S10_SD_EESH_SX_SI_SJ_SK_EUlSX_E1_NS1_11comp_targetILNS1_3genE2ELNS1_11target_archE906ELNS1_3gpuE6ELNS1_3repE0EEENS1_36merge_oddeven_config_static_selectorELNS0_4arch9wavefront6targetE1EEEvSJ_.numbered_sgpr, 0
	.set _ZN7rocprim17ROCPRIM_400000_NS6detail17trampoline_kernelINS0_14default_configENS1_38merge_sort_block_merge_config_selectorIddEEZZNS1_27merge_sort_block_merge_implIS3_N6thrust23THRUST_200600_302600_NS6detail15normal_iteratorINS8_10device_ptrIdEEEESD_jNS1_19radix_merge_compareILb0ELb0EdNS0_19identity_decomposerEEEEE10hipError_tT0_T1_T2_jT3_P12ihipStream_tbPNSt15iterator_traitsISI_E10value_typeEPNSO_ISJ_E10value_typeEPSK_NS1_7vsmem_tEENKUlT_SI_SJ_SK_E_clIPdSD_S10_SD_EESH_SX_SI_SJ_SK_EUlSX_E1_NS1_11comp_targetILNS1_3genE2ELNS1_11target_archE906ELNS1_3gpuE6ELNS1_3repE0EEENS1_36merge_oddeven_config_static_selectorELNS0_4arch9wavefront6targetE1EEEvSJ_.num_named_barrier, 0
	.set _ZN7rocprim17ROCPRIM_400000_NS6detail17trampoline_kernelINS0_14default_configENS1_38merge_sort_block_merge_config_selectorIddEEZZNS1_27merge_sort_block_merge_implIS3_N6thrust23THRUST_200600_302600_NS6detail15normal_iteratorINS8_10device_ptrIdEEEESD_jNS1_19radix_merge_compareILb0ELb0EdNS0_19identity_decomposerEEEEE10hipError_tT0_T1_T2_jT3_P12ihipStream_tbPNSt15iterator_traitsISI_E10value_typeEPNSO_ISJ_E10value_typeEPSK_NS1_7vsmem_tEENKUlT_SI_SJ_SK_E_clIPdSD_S10_SD_EESH_SX_SI_SJ_SK_EUlSX_E1_NS1_11comp_targetILNS1_3genE2ELNS1_11target_archE906ELNS1_3gpuE6ELNS1_3repE0EEENS1_36merge_oddeven_config_static_selectorELNS0_4arch9wavefront6targetE1EEEvSJ_.private_seg_size, 0
	.set _ZN7rocprim17ROCPRIM_400000_NS6detail17trampoline_kernelINS0_14default_configENS1_38merge_sort_block_merge_config_selectorIddEEZZNS1_27merge_sort_block_merge_implIS3_N6thrust23THRUST_200600_302600_NS6detail15normal_iteratorINS8_10device_ptrIdEEEESD_jNS1_19radix_merge_compareILb0ELb0EdNS0_19identity_decomposerEEEEE10hipError_tT0_T1_T2_jT3_P12ihipStream_tbPNSt15iterator_traitsISI_E10value_typeEPNSO_ISJ_E10value_typeEPSK_NS1_7vsmem_tEENKUlT_SI_SJ_SK_E_clIPdSD_S10_SD_EESH_SX_SI_SJ_SK_EUlSX_E1_NS1_11comp_targetILNS1_3genE2ELNS1_11target_archE906ELNS1_3gpuE6ELNS1_3repE0EEENS1_36merge_oddeven_config_static_selectorELNS0_4arch9wavefront6targetE1EEEvSJ_.uses_vcc, 0
	.set _ZN7rocprim17ROCPRIM_400000_NS6detail17trampoline_kernelINS0_14default_configENS1_38merge_sort_block_merge_config_selectorIddEEZZNS1_27merge_sort_block_merge_implIS3_N6thrust23THRUST_200600_302600_NS6detail15normal_iteratorINS8_10device_ptrIdEEEESD_jNS1_19radix_merge_compareILb0ELb0EdNS0_19identity_decomposerEEEEE10hipError_tT0_T1_T2_jT3_P12ihipStream_tbPNSt15iterator_traitsISI_E10value_typeEPNSO_ISJ_E10value_typeEPSK_NS1_7vsmem_tEENKUlT_SI_SJ_SK_E_clIPdSD_S10_SD_EESH_SX_SI_SJ_SK_EUlSX_E1_NS1_11comp_targetILNS1_3genE2ELNS1_11target_archE906ELNS1_3gpuE6ELNS1_3repE0EEENS1_36merge_oddeven_config_static_selectorELNS0_4arch9wavefront6targetE1EEEvSJ_.uses_flat_scratch, 0
	.set _ZN7rocprim17ROCPRIM_400000_NS6detail17trampoline_kernelINS0_14default_configENS1_38merge_sort_block_merge_config_selectorIddEEZZNS1_27merge_sort_block_merge_implIS3_N6thrust23THRUST_200600_302600_NS6detail15normal_iteratorINS8_10device_ptrIdEEEESD_jNS1_19radix_merge_compareILb0ELb0EdNS0_19identity_decomposerEEEEE10hipError_tT0_T1_T2_jT3_P12ihipStream_tbPNSt15iterator_traitsISI_E10value_typeEPNSO_ISJ_E10value_typeEPSK_NS1_7vsmem_tEENKUlT_SI_SJ_SK_E_clIPdSD_S10_SD_EESH_SX_SI_SJ_SK_EUlSX_E1_NS1_11comp_targetILNS1_3genE2ELNS1_11target_archE906ELNS1_3gpuE6ELNS1_3repE0EEENS1_36merge_oddeven_config_static_selectorELNS0_4arch9wavefront6targetE1EEEvSJ_.has_dyn_sized_stack, 0
	.set _ZN7rocprim17ROCPRIM_400000_NS6detail17trampoline_kernelINS0_14default_configENS1_38merge_sort_block_merge_config_selectorIddEEZZNS1_27merge_sort_block_merge_implIS3_N6thrust23THRUST_200600_302600_NS6detail15normal_iteratorINS8_10device_ptrIdEEEESD_jNS1_19radix_merge_compareILb0ELb0EdNS0_19identity_decomposerEEEEE10hipError_tT0_T1_T2_jT3_P12ihipStream_tbPNSt15iterator_traitsISI_E10value_typeEPNSO_ISJ_E10value_typeEPSK_NS1_7vsmem_tEENKUlT_SI_SJ_SK_E_clIPdSD_S10_SD_EESH_SX_SI_SJ_SK_EUlSX_E1_NS1_11comp_targetILNS1_3genE2ELNS1_11target_archE906ELNS1_3gpuE6ELNS1_3repE0EEENS1_36merge_oddeven_config_static_selectorELNS0_4arch9wavefront6targetE1EEEvSJ_.has_recursion, 0
	.set _ZN7rocprim17ROCPRIM_400000_NS6detail17trampoline_kernelINS0_14default_configENS1_38merge_sort_block_merge_config_selectorIddEEZZNS1_27merge_sort_block_merge_implIS3_N6thrust23THRUST_200600_302600_NS6detail15normal_iteratorINS8_10device_ptrIdEEEESD_jNS1_19radix_merge_compareILb0ELb0EdNS0_19identity_decomposerEEEEE10hipError_tT0_T1_T2_jT3_P12ihipStream_tbPNSt15iterator_traitsISI_E10value_typeEPNSO_ISJ_E10value_typeEPSK_NS1_7vsmem_tEENKUlT_SI_SJ_SK_E_clIPdSD_S10_SD_EESH_SX_SI_SJ_SK_EUlSX_E1_NS1_11comp_targetILNS1_3genE2ELNS1_11target_archE906ELNS1_3gpuE6ELNS1_3repE0EEENS1_36merge_oddeven_config_static_selectorELNS0_4arch9wavefront6targetE1EEEvSJ_.has_indirect_call, 0
	.section	.AMDGPU.csdata,"",@progbits
; Kernel info:
; codeLenInByte = 0
; TotalNumSgprs: 6
; NumVgprs: 0
; NumAgprs: 0
; TotalNumVgprs: 0
; ScratchSize: 0
; MemoryBound: 0
; FloatMode: 240
; IeeeMode: 1
; LDSByteSize: 0 bytes/workgroup (compile time only)
; SGPRBlocks: 0
; VGPRBlocks: 0
; NumSGPRsForWavesPerEU: 6
; NumVGPRsForWavesPerEU: 1
; AccumOffset: 4
; Occupancy: 8
; WaveLimiterHint : 0
; COMPUTE_PGM_RSRC2:SCRATCH_EN: 0
; COMPUTE_PGM_RSRC2:USER_SGPR: 2
; COMPUTE_PGM_RSRC2:TRAP_HANDLER: 0
; COMPUTE_PGM_RSRC2:TGID_X_EN: 1
; COMPUTE_PGM_RSRC2:TGID_Y_EN: 0
; COMPUTE_PGM_RSRC2:TGID_Z_EN: 0
; COMPUTE_PGM_RSRC2:TIDIG_COMP_CNT: 0
; COMPUTE_PGM_RSRC3_GFX90A:ACCUM_OFFSET: 0
; COMPUTE_PGM_RSRC3_GFX90A:TG_SPLIT: 0
	.section	.text._ZN7rocprim17ROCPRIM_400000_NS6detail17trampoline_kernelINS0_14default_configENS1_38merge_sort_block_merge_config_selectorIddEEZZNS1_27merge_sort_block_merge_implIS3_N6thrust23THRUST_200600_302600_NS6detail15normal_iteratorINS8_10device_ptrIdEEEESD_jNS1_19radix_merge_compareILb0ELb0EdNS0_19identity_decomposerEEEEE10hipError_tT0_T1_T2_jT3_P12ihipStream_tbPNSt15iterator_traitsISI_E10value_typeEPNSO_ISJ_E10value_typeEPSK_NS1_7vsmem_tEENKUlT_SI_SJ_SK_E_clIPdSD_S10_SD_EESH_SX_SI_SJ_SK_EUlSX_E1_NS1_11comp_targetILNS1_3genE9ELNS1_11target_archE1100ELNS1_3gpuE3ELNS1_3repE0EEENS1_36merge_oddeven_config_static_selectorELNS0_4arch9wavefront6targetE1EEEvSJ_,"axG",@progbits,_ZN7rocprim17ROCPRIM_400000_NS6detail17trampoline_kernelINS0_14default_configENS1_38merge_sort_block_merge_config_selectorIddEEZZNS1_27merge_sort_block_merge_implIS3_N6thrust23THRUST_200600_302600_NS6detail15normal_iteratorINS8_10device_ptrIdEEEESD_jNS1_19radix_merge_compareILb0ELb0EdNS0_19identity_decomposerEEEEE10hipError_tT0_T1_T2_jT3_P12ihipStream_tbPNSt15iterator_traitsISI_E10value_typeEPNSO_ISJ_E10value_typeEPSK_NS1_7vsmem_tEENKUlT_SI_SJ_SK_E_clIPdSD_S10_SD_EESH_SX_SI_SJ_SK_EUlSX_E1_NS1_11comp_targetILNS1_3genE9ELNS1_11target_archE1100ELNS1_3gpuE3ELNS1_3repE0EEENS1_36merge_oddeven_config_static_selectorELNS0_4arch9wavefront6targetE1EEEvSJ_,comdat
	.protected	_ZN7rocprim17ROCPRIM_400000_NS6detail17trampoline_kernelINS0_14default_configENS1_38merge_sort_block_merge_config_selectorIddEEZZNS1_27merge_sort_block_merge_implIS3_N6thrust23THRUST_200600_302600_NS6detail15normal_iteratorINS8_10device_ptrIdEEEESD_jNS1_19radix_merge_compareILb0ELb0EdNS0_19identity_decomposerEEEEE10hipError_tT0_T1_T2_jT3_P12ihipStream_tbPNSt15iterator_traitsISI_E10value_typeEPNSO_ISJ_E10value_typeEPSK_NS1_7vsmem_tEENKUlT_SI_SJ_SK_E_clIPdSD_S10_SD_EESH_SX_SI_SJ_SK_EUlSX_E1_NS1_11comp_targetILNS1_3genE9ELNS1_11target_archE1100ELNS1_3gpuE3ELNS1_3repE0EEENS1_36merge_oddeven_config_static_selectorELNS0_4arch9wavefront6targetE1EEEvSJ_ ; -- Begin function _ZN7rocprim17ROCPRIM_400000_NS6detail17trampoline_kernelINS0_14default_configENS1_38merge_sort_block_merge_config_selectorIddEEZZNS1_27merge_sort_block_merge_implIS3_N6thrust23THRUST_200600_302600_NS6detail15normal_iteratorINS8_10device_ptrIdEEEESD_jNS1_19radix_merge_compareILb0ELb0EdNS0_19identity_decomposerEEEEE10hipError_tT0_T1_T2_jT3_P12ihipStream_tbPNSt15iterator_traitsISI_E10value_typeEPNSO_ISJ_E10value_typeEPSK_NS1_7vsmem_tEENKUlT_SI_SJ_SK_E_clIPdSD_S10_SD_EESH_SX_SI_SJ_SK_EUlSX_E1_NS1_11comp_targetILNS1_3genE9ELNS1_11target_archE1100ELNS1_3gpuE3ELNS1_3repE0EEENS1_36merge_oddeven_config_static_selectorELNS0_4arch9wavefront6targetE1EEEvSJ_
	.globl	_ZN7rocprim17ROCPRIM_400000_NS6detail17trampoline_kernelINS0_14default_configENS1_38merge_sort_block_merge_config_selectorIddEEZZNS1_27merge_sort_block_merge_implIS3_N6thrust23THRUST_200600_302600_NS6detail15normal_iteratorINS8_10device_ptrIdEEEESD_jNS1_19radix_merge_compareILb0ELb0EdNS0_19identity_decomposerEEEEE10hipError_tT0_T1_T2_jT3_P12ihipStream_tbPNSt15iterator_traitsISI_E10value_typeEPNSO_ISJ_E10value_typeEPSK_NS1_7vsmem_tEENKUlT_SI_SJ_SK_E_clIPdSD_S10_SD_EESH_SX_SI_SJ_SK_EUlSX_E1_NS1_11comp_targetILNS1_3genE9ELNS1_11target_archE1100ELNS1_3gpuE3ELNS1_3repE0EEENS1_36merge_oddeven_config_static_selectorELNS0_4arch9wavefront6targetE1EEEvSJ_
	.p2align	8
	.type	_ZN7rocprim17ROCPRIM_400000_NS6detail17trampoline_kernelINS0_14default_configENS1_38merge_sort_block_merge_config_selectorIddEEZZNS1_27merge_sort_block_merge_implIS3_N6thrust23THRUST_200600_302600_NS6detail15normal_iteratorINS8_10device_ptrIdEEEESD_jNS1_19radix_merge_compareILb0ELb0EdNS0_19identity_decomposerEEEEE10hipError_tT0_T1_T2_jT3_P12ihipStream_tbPNSt15iterator_traitsISI_E10value_typeEPNSO_ISJ_E10value_typeEPSK_NS1_7vsmem_tEENKUlT_SI_SJ_SK_E_clIPdSD_S10_SD_EESH_SX_SI_SJ_SK_EUlSX_E1_NS1_11comp_targetILNS1_3genE9ELNS1_11target_archE1100ELNS1_3gpuE3ELNS1_3repE0EEENS1_36merge_oddeven_config_static_selectorELNS0_4arch9wavefront6targetE1EEEvSJ_,@function
_ZN7rocprim17ROCPRIM_400000_NS6detail17trampoline_kernelINS0_14default_configENS1_38merge_sort_block_merge_config_selectorIddEEZZNS1_27merge_sort_block_merge_implIS3_N6thrust23THRUST_200600_302600_NS6detail15normal_iteratorINS8_10device_ptrIdEEEESD_jNS1_19radix_merge_compareILb0ELb0EdNS0_19identity_decomposerEEEEE10hipError_tT0_T1_T2_jT3_P12ihipStream_tbPNSt15iterator_traitsISI_E10value_typeEPNSO_ISJ_E10value_typeEPSK_NS1_7vsmem_tEENKUlT_SI_SJ_SK_E_clIPdSD_S10_SD_EESH_SX_SI_SJ_SK_EUlSX_E1_NS1_11comp_targetILNS1_3genE9ELNS1_11target_archE1100ELNS1_3gpuE3ELNS1_3repE0EEENS1_36merge_oddeven_config_static_selectorELNS0_4arch9wavefront6targetE1EEEvSJ_: ; @_ZN7rocprim17ROCPRIM_400000_NS6detail17trampoline_kernelINS0_14default_configENS1_38merge_sort_block_merge_config_selectorIddEEZZNS1_27merge_sort_block_merge_implIS3_N6thrust23THRUST_200600_302600_NS6detail15normal_iteratorINS8_10device_ptrIdEEEESD_jNS1_19radix_merge_compareILb0ELb0EdNS0_19identity_decomposerEEEEE10hipError_tT0_T1_T2_jT3_P12ihipStream_tbPNSt15iterator_traitsISI_E10value_typeEPNSO_ISJ_E10value_typeEPSK_NS1_7vsmem_tEENKUlT_SI_SJ_SK_E_clIPdSD_S10_SD_EESH_SX_SI_SJ_SK_EUlSX_E1_NS1_11comp_targetILNS1_3genE9ELNS1_11target_archE1100ELNS1_3gpuE3ELNS1_3repE0EEENS1_36merge_oddeven_config_static_selectorELNS0_4arch9wavefront6targetE1EEEvSJ_
; %bb.0:
	.section	.rodata,"a",@progbits
	.p2align	6, 0x0
	.amdhsa_kernel _ZN7rocprim17ROCPRIM_400000_NS6detail17trampoline_kernelINS0_14default_configENS1_38merge_sort_block_merge_config_selectorIddEEZZNS1_27merge_sort_block_merge_implIS3_N6thrust23THRUST_200600_302600_NS6detail15normal_iteratorINS8_10device_ptrIdEEEESD_jNS1_19radix_merge_compareILb0ELb0EdNS0_19identity_decomposerEEEEE10hipError_tT0_T1_T2_jT3_P12ihipStream_tbPNSt15iterator_traitsISI_E10value_typeEPNSO_ISJ_E10value_typeEPSK_NS1_7vsmem_tEENKUlT_SI_SJ_SK_E_clIPdSD_S10_SD_EESH_SX_SI_SJ_SK_EUlSX_E1_NS1_11comp_targetILNS1_3genE9ELNS1_11target_archE1100ELNS1_3gpuE3ELNS1_3repE0EEENS1_36merge_oddeven_config_static_selectorELNS0_4arch9wavefront6targetE1EEEvSJ_
		.amdhsa_group_segment_fixed_size 0
		.amdhsa_private_segment_fixed_size 0
		.amdhsa_kernarg_size 48
		.amdhsa_user_sgpr_count 2
		.amdhsa_user_sgpr_dispatch_ptr 0
		.amdhsa_user_sgpr_queue_ptr 0
		.amdhsa_user_sgpr_kernarg_segment_ptr 1
		.amdhsa_user_sgpr_dispatch_id 0
		.amdhsa_user_sgpr_kernarg_preload_length 0
		.amdhsa_user_sgpr_kernarg_preload_offset 0
		.amdhsa_user_sgpr_private_segment_size 0
		.amdhsa_uses_dynamic_stack 0
		.amdhsa_enable_private_segment 0
		.amdhsa_system_sgpr_workgroup_id_x 1
		.amdhsa_system_sgpr_workgroup_id_y 0
		.amdhsa_system_sgpr_workgroup_id_z 0
		.amdhsa_system_sgpr_workgroup_info 0
		.amdhsa_system_vgpr_workitem_id 0
		.amdhsa_next_free_vgpr 1
		.amdhsa_next_free_sgpr 0
		.amdhsa_accum_offset 4
		.amdhsa_reserve_vcc 0
		.amdhsa_float_round_mode_32 0
		.amdhsa_float_round_mode_16_64 0
		.amdhsa_float_denorm_mode_32 3
		.amdhsa_float_denorm_mode_16_64 3
		.amdhsa_dx10_clamp 1
		.amdhsa_ieee_mode 1
		.amdhsa_fp16_overflow 0
		.amdhsa_tg_split 0
		.amdhsa_exception_fp_ieee_invalid_op 0
		.amdhsa_exception_fp_denorm_src 0
		.amdhsa_exception_fp_ieee_div_zero 0
		.amdhsa_exception_fp_ieee_overflow 0
		.amdhsa_exception_fp_ieee_underflow 0
		.amdhsa_exception_fp_ieee_inexact 0
		.amdhsa_exception_int_div_zero 0
	.end_amdhsa_kernel
	.section	.text._ZN7rocprim17ROCPRIM_400000_NS6detail17trampoline_kernelINS0_14default_configENS1_38merge_sort_block_merge_config_selectorIddEEZZNS1_27merge_sort_block_merge_implIS3_N6thrust23THRUST_200600_302600_NS6detail15normal_iteratorINS8_10device_ptrIdEEEESD_jNS1_19radix_merge_compareILb0ELb0EdNS0_19identity_decomposerEEEEE10hipError_tT0_T1_T2_jT3_P12ihipStream_tbPNSt15iterator_traitsISI_E10value_typeEPNSO_ISJ_E10value_typeEPSK_NS1_7vsmem_tEENKUlT_SI_SJ_SK_E_clIPdSD_S10_SD_EESH_SX_SI_SJ_SK_EUlSX_E1_NS1_11comp_targetILNS1_3genE9ELNS1_11target_archE1100ELNS1_3gpuE3ELNS1_3repE0EEENS1_36merge_oddeven_config_static_selectorELNS0_4arch9wavefront6targetE1EEEvSJ_,"axG",@progbits,_ZN7rocprim17ROCPRIM_400000_NS6detail17trampoline_kernelINS0_14default_configENS1_38merge_sort_block_merge_config_selectorIddEEZZNS1_27merge_sort_block_merge_implIS3_N6thrust23THRUST_200600_302600_NS6detail15normal_iteratorINS8_10device_ptrIdEEEESD_jNS1_19radix_merge_compareILb0ELb0EdNS0_19identity_decomposerEEEEE10hipError_tT0_T1_T2_jT3_P12ihipStream_tbPNSt15iterator_traitsISI_E10value_typeEPNSO_ISJ_E10value_typeEPSK_NS1_7vsmem_tEENKUlT_SI_SJ_SK_E_clIPdSD_S10_SD_EESH_SX_SI_SJ_SK_EUlSX_E1_NS1_11comp_targetILNS1_3genE9ELNS1_11target_archE1100ELNS1_3gpuE3ELNS1_3repE0EEENS1_36merge_oddeven_config_static_selectorELNS0_4arch9wavefront6targetE1EEEvSJ_,comdat
.Lfunc_end47:
	.size	_ZN7rocprim17ROCPRIM_400000_NS6detail17trampoline_kernelINS0_14default_configENS1_38merge_sort_block_merge_config_selectorIddEEZZNS1_27merge_sort_block_merge_implIS3_N6thrust23THRUST_200600_302600_NS6detail15normal_iteratorINS8_10device_ptrIdEEEESD_jNS1_19radix_merge_compareILb0ELb0EdNS0_19identity_decomposerEEEEE10hipError_tT0_T1_T2_jT3_P12ihipStream_tbPNSt15iterator_traitsISI_E10value_typeEPNSO_ISJ_E10value_typeEPSK_NS1_7vsmem_tEENKUlT_SI_SJ_SK_E_clIPdSD_S10_SD_EESH_SX_SI_SJ_SK_EUlSX_E1_NS1_11comp_targetILNS1_3genE9ELNS1_11target_archE1100ELNS1_3gpuE3ELNS1_3repE0EEENS1_36merge_oddeven_config_static_selectorELNS0_4arch9wavefront6targetE1EEEvSJ_, .Lfunc_end47-_ZN7rocprim17ROCPRIM_400000_NS6detail17trampoline_kernelINS0_14default_configENS1_38merge_sort_block_merge_config_selectorIddEEZZNS1_27merge_sort_block_merge_implIS3_N6thrust23THRUST_200600_302600_NS6detail15normal_iteratorINS8_10device_ptrIdEEEESD_jNS1_19radix_merge_compareILb0ELb0EdNS0_19identity_decomposerEEEEE10hipError_tT0_T1_T2_jT3_P12ihipStream_tbPNSt15iterator_traitsISI_E10value_typeEPNSO_ISJ_E10value_typeEPSK_NS1_7vsmem_tEENKUlT_SI_SJ_SK_E_clIPdSD_S10_SD_EESH_SX_SI_SJ_SK_EUlSX_E1_NS1_11comp_targetILNS1_3genE9ELNS1_11target_archE1100ELNS1_3gpuE3ELNS1_3repE0EEENS1_36merge_oddeven_config_static_selectorELNS0_4arch9wavefront6targetE1EEEvSJ_
                                        ; -- End function
	.set _ZN7rocprim17ROCPRIM_400000_NS6detail17trampoline_kernelINS0_14default_configENS1_38merge_sort_block_merge_config_selectorIddEEZZNS1_27merge_sort_block_merge_implIS3_N6thrust23THRUST_200600_302600_NS6detail15normal_iteratorINS8_10device_ptrIdEEEESD_jNS1_19radix_merge_compareILb0ELb0EdNS0_19identity_decomposerEEEEE10hipError_tT0_T1_T2_jT3_P12ihipStream_tbPNSt15iterator_traitsISI_E10value_typeEPNSO_ISJ_E10value_typeEPSK_NS1_7vsmem_tEENKUlT_SI_SJ_SK_E_clIPdSD_S10_SD_EESH_SX_SI_SJ_SK_EUlSX_E1_NS1_11comp_targetILNS1_3genE9ELNS1_11target_archE1100ELNS1_3gpuE3ELNS1_3repE0EEENS1_36merge_oddeven_config_static_selectorELNS0_4arch9wavefront6targetE1EEEvSJ_.num_vgpr, 0
	.set _ZN7rocprim17ROCPRIM_400000_NS6detail17trampoline_kernelINS0_14default_configENS1_38merge_sort_block_merge_config_selectorIddEEZZNS1_27merge_sort_block_merge_implIS3_N6thrust23THRUST_200600_302600_NS6detail15normal_iteratorINS8_10device_ptrIdEEEESD_jNS1_19radix_merge_compareILb0ELb0EdNS0_19identity_decomposerEEEEE10hipError_tT0_T1_T2_jT3_P12ihipStream_tbPNSt15iterator_traitsISI_E10value_typeEPNSO_ISJ_E10value_typeEPSK_NS1_7vsmem_tEENKUlT_SI_SJ_SK_E_clIPdSD_S10_SD_EESH_SX_SI_SJ_SK_EUlSX_E1_NS1_11comp_targetILNS1_3genE9ELNS1_11target_archE1100ELNS1_3gpuE3ELNS1_3repE0EEENS1_36merge_oddeven_config_static_selectorELNS0_4arch9wavefront6targetE1EEEvSJ_.num_agpr, 0
	.set _ZN7rocprim17ROCPRIM_400000_NS6detail17trampoline_kernelINS0_14default_configENS1_38merge_sort_block_merge_config_selectorIddEEZZNS1_27merge_sort_block_merge_implIS3_N6thrust23THRUST_200600_302600_NS6detail15normal_iteratorINS8_10device_ptrIdEEEESD_jNS1_19radix_merge_compareILb0ELb0EdNS0_19identity_decomposerEEEEE10hipError_tT0_T1_T2_jT3_P12ihipStream_tbPNSt15iterator_traitsISI_E10value_typeEPNSO_ISJ_E10value_typeEPSK_NS1_7vsmem_tEENKUlT_SI_SJ_SK_E_clIPdSD_S10_SD_EESH_SX_SI_SJ_SK_EUlSX_E1_NS1_11comp_targetILNS1_3genE9ELNS1_11target_archE1100ELNS1_3gpuE3ELNS1_3repE0EEENS1_36merge_oddeven_config_static_selectorELNS0_4arch9wavefront6targetE1EEEvSJ_.numbered_sgpr, 0
	.set _ZN7rocprim17ROCPRIM_400000_NS6detail17trampoline_kernelINS0_14default_configENS1_38merge_sort_block_merge_config_selectorIddEEZZNS1_27merge_sort_block_merge_implIS3_N6thrust23THRUST_200600_302600_NS6detail15normal_iteratorINS8_10device_ptrIdEEEESD_jNS1_19radix_merge_compareILb0ELb0EdNS0_19identity_decomposerEEEEE10hipError_tT0_T1_T2_jT3_P12ihipStream_tbPNSt15iterator_traitsISI_E10value_typeEPNSO_ISJ_E10value_typeEPSK_NS1_7vsmem_tEENKUlT_SI_SJ_SK_E_clIPdSD_S10_SD_EESH_SX_SI_SJ_SK_EUlSX_E1_NS1_11comp_targetILNS1_3genE9ELNS1_11target_archE1100ELNS1_3gpuE3ELNS1_3repE0EEENS1_36merge_oddeven_config_static_selectorELNS0_4arch9wavefront6targetE1EEEvSJ_.num_named_barrier, 0
	.set _ZN7rocprim17ROCPRIM_400000_NS6detail17trampoline_kernelINS0_14default_configENS1_38merge_sort_block_merge_config_selectorIddEEZZNS1_27merge_sort_block_merge_implIS3_N6thrust23THRUST_200600_302600_NS6detail15normal_iteratorINS8_10device_ptrIdEEEESD_jNS1_19radix_merge_compareILb0ELb0EdNS0_19identity_decomposerEEEEE10hipError_tT0_T1_T2_jT3_P12ihipStream_tbPNSt15iterator_traitsISI_E10value_typeEPNSO_ISJ_E10value_typeEPSK_NS1_7vsmem_tEENKUlT_SI_SJ_SK_E_clIPdSD_S10_SD_EESH_SX_SI_SJ_SK_EUlSX_E1_NS1_11comp_targetILNS1_3genE9ELNS1_11target_archE1100ELNS1_3gpuE3ELNS1_3repE0EEENS1_36merge_oddeven_config_static_selectorELNS0_4arch9wavefront6targetE1EEEvSJ_.private_seg_size, 0
	.set _ZN7rocprim17ROCPRIM_400000_NS6detail17trampoline_kernelINS0_14default_configENS1_38merge_sort_block_merge_config_selectorIddEEZZNS1_27merge_sort_block_merge_implIS3_N6thrust23THRUST_200600_302600_NS6detail15normal_iteratorINS8_10device_ptrIdEEEESD_jNS1_19radix_merge_compareILb0ELb0EdNS0_19identity_decomposerEEEEE10hipError_tT0_T1_T2_jT3_P12ihipStream_tbPNSt15iterator_traitsISI_E10value_typeEPNSO_ISJ_E10value_typeEPSK_NS1_7vsmem_tEENKUlT_SI_SJ_SK_E_clIPdSD_S10_SD_EESH_SX_SI_SJ_SK_EUlSX_E1_NS1_11comp_targetILNS1_3genE9ELNS1_11target_archE1100ELNS1_3gpuE3ELNS1_3repE0EEENS1_36merge_oddeven_config_static_selectorELNS0_4arch9wavefront6targetE1EEEvSJ_.uses_vcc, 0
	.set _ZN7rocprim17ROCPRIM_400000_NS6detail17trampoline_kernelINS0_14default_configENS1_38merge_sort_block_merge_config_selectorIddEEZZNS1_27merge_sort_block_merge_implIS3_N6thrust23THRUST_200600_302600_NS6detail15normal_iteratorINS8_10device_ptrIdEEEESD_jNS1_19radix_merge_compareILb0ELb0EdNS0_19identity_decomposerEEEEE10hipError_tT0_T1_T2_jT3_P12ihipStream_tbPNSt15iterator_traitsISI_E10value_typeEPNSO_ISJ_E10value_typeEPSK_NS1_7vsmem_tEENKUlT_SI_SJ_SK_E_clIPdSD_S10_SD_EESH_SX_SI_SJ_SK_EUlSX_E1_NS1_11comp_targetILNS1_3genE9ELNS1_11target_archE1100ELNS1_3gpuE3ELNS1_3repE0EEENS1_36merge_oddeven_config_static_selectorELNS0_4arch9wavefront6targetE1EEEvSJ_.uses_flat_scratch, 0
	.set _ZN7rocprim17ROCPRIM_400000_NS6detail17trampoline_kernelINS0_14default_configENS1_38merge_sort_block_merge_config_selectorIddEEZZNS1_27merge_sort_block_merge_implIS3_N6thrust23THRUST_200600_302600_NS6detail15normal_iteratorINS8_10device_ptrIdEEEESD_jNS1_19radix_merge_compareILb0ELb0EdNS0_19identity_decomposerEEEEE10hipError_tT0_T1_T2_jT3_P12ihipStream_tbPNSt15iterator_traitsISI_E10value_typeEPNSO_ISJ_E10value_typeEPSK_NS1_7vsmem_tEENKUlT_SI_SJ_SK_E_clIPdSD_S10_SD_EESH_SX_SI_SJ_SK_EUlSX_E1_NS1_11comp_targetILNS1_3genE9ELNS1_11target_archE1100ELNS1_3gpuE3ELNS1_3repE0EEENS1_36merge_oddeven_config_static_selectorELNS0_4arch9wavefront6targetE1EEEvSJ_.has_dyn_sized_stack, 0
	.set _ZN7rocprim17ROCPRIM_400000_NS6detail17trampoline_kernelINS0_14default_configENS1_38merge_sort_block_merge_config_selectorIddEEZZNS1_27merge_sort_block_merge_implIS3_N6thrust23THRUST_200600_302600_NS6detail15normal_iteratorINS8_10device_ptrIdEEEESD_jNS1_19radix_merge_compareILb0ELb0EdNS0_19identity_decomposerEEEEE10hipError_tT0_T1_T2_jT3_P12ihipStream_tbPNSt15iterator_traitsISI_E10value_typeEPNSO_ISJ_E10value_typeEPSK_NS1_7vsmem_tEENKUlT_SI_SJ_SK_E_clIPdSD_S10_SD_EESH_SX_SI_SJ_SK_EUlSX_E1_NS1_11comp_targetILNS1_3genE9ELNS1_11target_archE1100ELNS1_3gpuE3ELNS1_3repE0EEENS1_36merge_oddeven_config_static_selectorELNS0_4arch9wavefront6targetE1EEEvSJ_.has_recursion, 0
	.set _ZN7rocprim17ROCPRIM_400000_NS6detail17trampoline_kernelINS0_14default_configENS1_38merge_sort_block_merge_config_selectorIddEEZZNS1_27merge_sort_block_merge_implIS3_N6thrust23THRUST_200600_302600_NS6detail15normal_iteratorINS8_10device_ptrIdEEEESD_jNS1_19radix_merge_compareILb0ELb0EdNS0_19identity_decomposerEEEEE10hipError_tT0_T1_T2_jT3_P12ihipStream_tbPNSt15iterator_traitsISI_E10value_typeEPNSO_ISJ_E10value_typeEPSK_NS1_7vsmem_tEENKUlT_SI_SJ_SK_E_clIPdSD_S10_SD_EESH_SX_SI_SJ_SK_EUlSX_E1_NS1_11comp_targetILNS1_3genE9ELNS1_11target_archE1100ELNS1_3gpuE3ELNS1_3repE0EEENS1_36merge_oddeven_config_static_selectorELNS0_4arch9wavefront6targetE1EEEvSJ_.has_indirect_call, 0
	.section	.AMDGPU.csdata,"",@progbits
; Kernel info:
; codeLenInByte = 0
; TotalNumSgprs: 6
; NumVgprs: 0
; NumAgprs: 0
; TotalNumVgprs: 0
; ScratchSize: 0
; MemoryBound: 0
; FloatMode: 240
; IeeeMode: 1
; LDSByteSize: 0 bytes/workgroup (compile time only)
; SGPRBlocks: 0
; VGPRBlocks: 0
; NumSGPRsForWavesPerEU: 6
; NumVGPRsForWavesPerEU: 1
; AccumOffset: 4
; Occupancy: 8
; WaveLimiterHint : 0
; COMPUTE_PGM_RSRC2:SCRATCH_EN: 0
; COMPUTE_PGM_RSRC2:USER_SGPR: 2
; COMPUTE_PGM_RSRC2:TRAP_HANDLER: 0
; COMPUTE_PGM_RSRC2:TGID_X_EN: 1
; COMPUTE_PGM_RSRC2:TGID_Y_EN: 0
; COMPUTE_PGM_RSRC2:TGID_Z_EN: 0
; COMPUTE_PGM_RSRC2:TIDIG_COMP_CNT: 0
; COMPUTE_PGM_RSRC3_GFX90A:ACCUM_OFFSET: 0
; COMPUTE_PGM_RSRC3_GFX90A:TG_SPLIT: 0
	.section	.text._ZN7rocprim17ROCPRIM_400000_NS6detail17trampoline_kernelINS0_14default_configENS1_38merge_sort_block_merge_config_selectorIddEEZZNS1_27merge_sort_block_merge_implIS3_N6thrust23THRUST_200600_302600_NS6detail15normal_iteratorINS8_10device_ptrIdEEEESD_jNS1_19radix_merge_compareILb0ELb0EdNS0_19identity_decomposerEEEEE10hipError_tT0_T1_T2_jT3_P12ihipStream_tbPNSt15iterator_traitsISI_E10value_typeEPNSO_ISJ_E10value_typeEPSK_NS1_7vsmem_tEENKUlT_SI_SJ_SK_E_clIPdSD_S10_SD_EESH_SX_SI_SJ_SK_EUlSX_E1_NS1_11comp_targetILNS1_3genE8ELNS1_11target_archE1030ELNS1_3gpuE2ELNS1_3repE0EEENS1_36merge_oddeven_config_static_selectorELNS0_4arch9wavefront6targetE1EEEvSJ_,"axG",@progbits,_ZN7rocprim17ROCPRIM_400000_NS6detail17trampoline_kernelINS0_14default_configENS1_38merge_sort_block_merge_config_selectorIddEEZZNS1_27merge_sort_block_merge_implIS3_N6thrust23THRUST_200600_302600_NS6detail15normal_iteratorINS8_10device_ptrIdEEEESD_jNS1_19radix_merge_compareILb0ELb0EdNS0_19identity_decomposerEEEEE10hipError_tT0_T1_T2_jT3_P12ihipStream_tbPNSt15iterator_traitsISI_E10value_typeEPNSO_ISJ_E10value_typeEPSK_NS1_7vsmem_tEENKUlT_SI_SJ_SK_E_clIPdSD_S10_SD_EESH_SX_SI_SJ_SK_EUlSX_E1_NS1_11comp_targetILNS1_3genE8ELNS1_11target_archE1030ELNS1_3gpuE2ELNS1_3repE0EEENS1_36merge_oddeven_config_static_selectorELNS0_4arch9wavefront6targetE1EEEvSJ_,comdat
	.protected	_ZN7rocprim17ROCPRIM_400000_NS6detail17trampoline_kernelINS0_14default_configENS1_38merge_sort_block_merge_config_selectorIddEEZZNS1_27merge_sort_block_merge_implIS3_N6thrust23THRUST_200600_302600_NS6detail15normal_iteratorINS8_10device_ptrIdEEEESD_jNS1_19radix_merge_compareILb0ELb0EdNS0_19identity_decomposerEEEEE10hipError_tT0_T1_T2_jT3_P12ihipStream_tbPNSt15iterator_traitsISI_E10value_typeEPNSO_ISJ_E10value_typeEPSK_NS1_7vsmem_tEENKUlT_SI_SJ_SK_E_clIPdSD_S10_SD_EESH_SX_SI_SJ_SK_EUlSX_E1_NS1_11comp_targetILNS1_3genE8ELNS1_11target_archE1030ELNS1_3gpuE2ELNS1_3repE0EEENS1_36merge_oddeven_config_static_selectorELNS0_4arch9wavefront6targetE1EEEvSJ_ ; -- Begin function _ZN7rocprim17ROCPRIM_400000_NS6detail17trampoline_kernelINS0_14default_configENS1_38merge_sort_block_merge_config_selectorIddEEZZNS1_27merge_sort_block_merge_implIS3_N6thrust23THRUST_200600_302600_NS6detail15normal_iteratorINS8_10device_ptrIdEEEESD_jNS1_19radix_merge_compareILb0ELb0EdNS0_19identity_decomposerEEEEE10hipError_tT0_T1_T2_jT3_P12ihipStream_tbPNSt15iterator_traitsISI_E10value_typeEPNSO_ISJ_E10value_typeEPSK_NS1_7vsmem_tEENKUlT_SI_SJ_SK_E_clIPdSD_S10_SD_EESH_SX_SI_SJ_SK_EUlSX_E1_NS1_11comp_targetILNS1_3genE8ELNS1_11target_archE1030ELNS1_3gpuE2ELNS1_3repE0EEENS1_36merge_oddeven_config_static_selectorELNS0_4arch9wavefront6targetE1EEEvSJ_
	.globl	_ZN7rocprim17ROCPRIM_400000_NS6detail17trampoline_kernelINS0_14default_configENS1_38merge_sort_block_merge_config_selectorIddEEZZNS1_27merge_sort_block_merge_implIS3_N6thrust23THRUST_200600_302600_NS6detail15normal_iteratorINS8_10device_ptrIdEEEESD_jNS1_19radix_merge_compareILb0ELb0EdNS0_19identity_decomposerEEEEE10hipError_tT0_T1_T2_jT3_P12ihipStream_tbPNSt15iterator_traitsISI_E10value_typeEPNSO_ISJ_E10value_typeEPSK_NS1_7vsmem_tEENKUlT_SI_SJ_SK_E_clIPdSD_S10_SD_EESH_SX_SI_SJ_SK_EUlSX_E1_NS1_11comp_targetILNS1_3genE8ELNS1_11target_archE1030ELNS1_3gpuE2ELNS1_3repE0EEENS1_36merge_oddeven_config_static_selectorELNS0_4arch9wavefront6targetE1EEEvSJ_
	.p2align	8
	.type	_ZN7rocprim17ROCPRIM_400000_NS6detail17trampoline_kernelINS0_14default_configENS1_38merge_sort_block_merge_config_selectorIddEEZZNS1_27merge_sort_block_merge_implIS3_N6thrust23THRUST_200600_302600_NS6detail15normal_iteratorINS8_10device_ptrIdEEEESD_jNS1_19radix_merge_compareILb0ELb0EdNS0_19identity_decomposerEEEEE10hipError_tT0_T1_T2_jT3_P12ihipStream_tbPNSt15iterator_traitsISI_E10value_typeEPNSO_ISJ_E10value_typeEPSK_NS1_7vsmem_tEENKUlT_SI_SJ_SK_E_clIPdSD_S10_SD_EESH_SX_SI_SJ_SK_EUlSX_E1_NS1_11comp_targetILNS1_3genE8ELNS1_11target_archE1030ELNS1_3gpuE2ELNS1_3repE0EEENS1_36merge_oddeven_config_static_selectorELNS0_4arch9wavefront6targetE1EEEvSJ_,@function
_ZN7rocprim17ROCPRIM_400000_NS6detail17trampoline_kernelINS0_14default_configENS1_38merge_sort_block_merge_config_selectorIddEEZZNS1_27merge_sort_block_merge_implIS3_N6thrust23THRUST_200600_302600_NS6detail15normal_iteratorINS8_10device_ptrIdEEEESD_jNS1_19radix_merge_compareILb0ELb0EdNS0_19identity_decomposerEEEEE10hipError_tT0_T1_T2_jT3_P12ihipStream_tbPNSt15iterator_traitsISI_E10value_typeEPNSO_ISJ_E10value_typeEPSK_NS1_7vsmem_tEENKUlT_SI_SJ_SK_E_clIPdSD_S10_SD_EESH_SX_SI_SJ_SK_EUlSX_E1_NS1_11comp_targetILNS1_3genE8ELNS1_11target_archE1030ELNS1_3gpuE2ELNS1_3repE0EEENS1_36merge_oddeven_config_static_selectorELNS0_4arch9wavefront6targetE1EEEvSJ_: ; @_ZN7rocprim17ROCPRIM_400000_NS6detail17trampoline_kernelINS0_14default_configENS1_38merge_sort_block_merge_config_selectorIddEEZZNS1_27merge_sort_block_merge_implIS3_N6thrust23THRUST_200600_302600_NS6detail15normal_iteratorINS8_10device_ptrIdEEEESD_jNS1_19radix_merge_compareILb0ELb0EdNS0_19identity_decomposerEEEEE10hipError_tT0_T1_T2_jT3_P12ihipStream_tbPNSt15iterator_traitsISI_E10value_typeEPNSO_ISJ_E10value_typeEPSK_NS1_7vsmem_tEENKUlT_SI_SJ_SK_E_clIPdSD_S10_SD_EESH_SX_SI_SJ_SK_EUlSX_E1_NS1_11comp_targetILNS1_3genE8ELNS1_11target_archE1030ELNS1_3gpuE2ELNS1_3repE0EEENS1_36merge_oddeven_config_static_selectorELNS0_4arch9wavefront6targetE1EEEvSJ_
; %bb.0:
	.section	.rodata,"a",@progbits
	.p2align	6, 0x0
	.amdhsa_kernel _ZN7rocprim17ROCPRIM_400000_NS6detail17trampoline_kernelINS0_14default_configENS1_38merge_sort_block_merge_config_selectorIddEEZZNS1_27merge_sort_block_merge_implIS3_N6thrust23THRUST_200600_302600_NS6detail15normal_iteratorINS8_10device_ptrIdEEEESD_jNS1_19radix_merge_compareILb0ELb0EdNS0_19identity_decomposerEEEEE10hipError_tT0_T1_T2_jT3_P12ihipStream_tbPNSt15iterator_traitsISI_E10value_typeEPNSO_ISJ_E10value_typeEPSK_NS1_7vsmem_tEENKUlT_SI_SJ_SK_E_clIPdSD_S10_SD_EESH_SX_SI_SJ_SK_EUlSX_E1_NS1_11comp_targetILNS1_3genE8ELNS1_11target_archE1030ELNS1_3gpuE2ELNS1_3repE0EEENS1_36merge_oddeven_config_static_selectorELNS0_4arch9wavefront6targetE1EEEvSJ_
		.amdhsa_group_segment_fixed_size 0
		.amdhsa_private_segment_fixed_size 0
		.amdhsa_kernarg_size 48
		.amdhsa_user_sgpr_count 2
		.amdhsa_user_sgpr_dispatch_ptr 0
		.amdhsa_user_sgpr_queue_ptr 0
		.amdhsa_user_sgpr_kernarg_segment_ptr 1
		.amdhsa_user_sgpr_dispatch_id 0
		.amdhsa_user_sgpr_kernarg_preload_length 0
		.amdhsa_user_sgpr_kernarg_preload_offset 0
		.amdhsa_user_sgpr_private_segment_size 0
		.amdhsa_uses_dynamic_stack 0
		.amdhsa_enable_private_segment 0
		.amdhsa_system_sgpr_workgroup_id_x 1
		.amdhsa_system_sgpr_workgroup_id_y 0
		.amdhsa_system_sgpr_workgroup_id_z 0
		.amdhsa_system_sgpr_workgroup_info 0
		.amdhsa_system_vgpr_workitem_id 0
		.amdhsa_next_free_vgpr 1
		.amdhsa_next_free_sgpr 0
		.amdhsa_accum_offset 4
		.amdhsa_reserve_vcc 0
		.amdhsa_float_round_mode_32 0
		.amdhsa_float_round_mode_16_64 0
		.amdhsa_float_denorm_mode_32 3
		.amdhsa_float_denorm_mode_16_64 3
		.amdhsa_dx10_clamp 1
		.amdhsa_ieee_mode 1
		.amdhsa_fp16_overflow 0
		.amdhsa_tg_split 0
		.amdhsa_exception_fp_ieee_invalid_op 0
		.amdhsa_exception_fp_denorm_src 0
		.amdhsa_exception_fp_ieee_div_zero 0
		.amdhsa_exception_fp_ieee_overflow 0
		.amdhsa_exception_fp_ieee_underflow 0
		.amdhsa_exception_fp_ieee_inexact 0
		.amdhsa_exception_int_div_zero 0
	.end_amdhsa_kernel
	.section	.text._ZN7rocprim17ROCPRIM_400000_NS6detail17trampoline_kernelINS0_14default_configENS1_38merge_sort_block_merge_config_selectorIddEEZZNS1_27merge_sort_block_merge_implIS3_N6thrust23THRUST_200600_302600_NS6detail15normal_iteratorINS8_10device_ptrIdEEEESD_jNS1_19radix_merge_compareILb0ELb0EdNS0_19identity_decomposerEEEEE10hipError_tT0_T1_T2_jT3_P12ihipStream_tbPNSt15iterator_traitsISI_E10value_typeEPNSO_ISJ_E10value_typeEPSK_NS1_7vsmem_tEENKUlT_SI_SJ_SK_E_clIPdSD_S10_SD_EESH_SX_SI_SJ_SK_EUlSX_E1_NS1_11comp_targetILNS1_3genE8ELNS1_11target_archE1030ELNS1_3gpuE2ELNS1_3repE0EEENS1_36merge_oddeven_config_static_selectorELNS0_4arch9wavefront6targetE1EEEvSJ_,"axG",@progbits,_ZN7rocprim17ROCPRIM_400000_NS6detail17trampoline_kernelINS0_14default_configENS1_38merge_sort_block_merge_config_selectorIddEEZZNS1_27merge_sort_block_merge_implIS3_N6thrust23THRUST_200600_302600_NS6detail15normal_iteratorINS8_10device_ptrIdEEEESD_jNS1_19radix_merge_compareILb0ELb0EdNS0_19identity_decomposerEEEEE10hipError_tT0_T1_T2_jT3_P12ihipStream_tbPNSt15iterator_traitsISI_E10value_typeEPNSO_ISJ_E10value_typeEPSK_NS1_7vsmem_tEENKUlT_SI_SJ_SK_E_clIPdSD_S10_SD_EESH_SX_SI_SJ_SK_EUlSX_E1_NS1_11comp_targetILNS1_3genE8ELNS1_11target_archE1030ELNS1_3gpuE2ELNS1_3repE0EEENS1_36merge_oddeven_config_static_selectorELNS0_4arch9wavefront6targetE1EEEvSJ_,comdat
.Lfunc_end48:
	.size	_ZN7rocprim17ROCPRIM_400000_NS6detail17trampoline_kernelINS0_14default_configENS1_38merge_sort_block_merge_config_selectorIddEEZZNS1_27merge_sort_block_merge_implIS3_N6thrust23THRUST_200600_302600_NS6detail15normal_iteratorINS8_10device_ptrIdEEEESD_jNS1_19radix_merge_compareILb0ELb0EdNS0_19identity_decomposerEEEEE10hipError_tT0_T1_T2_jT3_P12ihipStream_tbPNSt15iterator_traitsISI_E10value_typeEPNSO_ISJ_E10value_typeEPSK_NS1_7vsmem_tEENKUlT_SI_SJ_SK_E_clIPdSD_S10_SD_EESH_SX_SI_SJ_SK_EUlSX_E1_NS1_11comp_targetILNS1_3genE8ELNS1_11target_archE1030ELNS1_3gpuE2ELNS1_3repE0EEENS1_36merge_oddeven_config_static_selectorELNS0_4arch9wavefront6targetE1EEEvSJ_, .Lfunc_end48-_ZN7rocprim17ROCPRIM_400000_NS6detail17trampoline_kernelINS0_14default_configENS1_38merge_sort_block_merge_config_selectorIddEEZZNS1_27merge_sort_block_merge_implIS3_N6thrust23THRUST_200600_302600_NS6detail15normal_iteratorINS8_10device_ptrIdEEEESD_jNS1_19radix_merge_compareILb0ELb0EdNS0_19identity_decomposerEEEEE10hipError_tT0_T1_T2_jT3_P12ihipStream_tbPNSt15iterator_traitsISI_E10value_typeEPNSO_ISJ_E10value_typeEPSK_NS1_7vsmem_tEENKUlT_SI_SJ_SK_E_clIPdSD_S10_SD_EESH_SX_SI_SJ_SK_EUlSX_E1_NS1_11comp_targetILNS1_3genE8ELNS1_11target_archE1030ELNS1_3gpuE2ELNS1_3repE0EEENS1_36merge_oddeven_config_static_selectorELNS0_4arch9wavefront6targetE1EEEvSJ_
                                        ; -- End function
	.set _ZN7rocprim17ROCPRIM_400000_NS6detail17trampoline_kernelINS0_14default_configENS1_38merge_sort_block_merge_config_selectorIddEEZZNS1_27merge_sort_block_merge_implIS3_N6thrust23THRUST_200600_302600_NS6detail15normal_iteratorINS8_10device_ptrIdEEEESD_jNS1_19radix_merge_compareILb0ELb0EdNS0_19identity_decomposerEEEEE10hipError_tT0_T1_T2_jT3_P12ihipStream_tbPNSt15iterator_traitsISI_E10value_typeEPNSO_ISJ_E10value_typeEPSK_NS1_7vsmem_tEENKUlT_SI_SJ_SK_E_clIPdSD_S10_SD_EESH_SX_SI_SJ_SK_EUlSX_E1_NS1_11comp_targetILNS1_3genE8ELNS1_11target_archE1030ELNS1_3gpuE2ELNS1_3repE0EEENS1_36merge_oddeven_config_static_selectorELNS0_4arch9wavefront6targetE1EEEvSJ_.num_vgpr, 0
	.set _ZN7rocprim17ROCPRIM_400000_NS6detail17trampoline_kernelINS0_14default_configENS1_38merge_sort_block_merge_config_selectorIddEEZZNS1_27merge_sort_block_merge_implIS3_N6thrust23THRUST_200600_302600_NS6detail15normal_iteratorINS8_10device_ptrIdEEEESD_jNS1_19radix_merge_compareILb0ELb0EdNS0_19identity_decomposerEEEEE10hipError_tT0_T1_T2_jT3_P12ihipStream_tbPNSt15iterator_traitsISI_E10value_typeEPNSO_ISJ_E10value_typeEPSK_NS1_7vsmem_tEENKUlT_SI_SJ_SK_E_clIPdSD_S10_SD_EESH_SX_SI_SJ_SK_EUlSX_E1_NS1_11comp_targetILNS1_3genE8ELNS1_11target_archE1030ELNS1_3gpuE2ELNS1_3repE0EEENS1_36merge_oddeven_config_static_selectorELNS0_4arch9wavefront6targetE1EEEvSJ_.num_agpr, 0
	.set _ZN7rocprim17ROCPRIM_400000_NS6detail17trampoline_kernelINS0_14default_configENS1_38merge_sort_block_merge_config_selectorIddEEZZNS1_27merge_sort_block_merge_implIS3_N6thrust23THRUST_200600_302600_NS6detail15normal_iteratorINS8_10device_ptrIdEEEESD_jNS1_19radix_merge_compareILb0ELb0EdNS0_19identity_decomposerEEEEE10hipError_tT0_T1_T2_jT3_P12ihipStream_tbPNSt15iterator_traitsISI_E10value_typeEPNSO_ISJ_E10value_typeEPSK_NS1_7vsmem_tEENKUlT_SI_SJ_SK_E_clIPdSD_S10_SD_EESH_SX_SI_SJ_SK_EUlSX_E1_NS1_11comp_targetILNS1_3genE8ELNS1_11target_archE1030ELNS1_3gpuE2ELNS1_3repE0EEENS1_36merge_oddeven_config_static_selectorELNS0_4arch9wavefront6targetE1EEEvSJ_.numbered_sgpr, 0
	.set _ZN7rocprim17ROCPRIM_400000_NS6detail17trampoline_kernelINS0_14default_configENS1_38merge_sort_block_merge_config_selectorIddEEZZNS1_27merge_sort_block_merge_implIS3_N6thrust23THRUST_200600_302600_NS6detail15normal_iteratorINS8_10device_ptrIdEEEESD_jNS1_19radix_merge_compareILb0ELb0EdNS0_19identity_decomposerEEEEE10hipError_tT0_T1_T2_jT3_P12ihipStream_tbPNSt15iterator_traitsISI_E10value_typeEPNSO_ISJ_E10value_typeEPSK_NS1_7vsmem_tEENKUlT_SI_SJ_SK_E_clIPdSD_S10_SD_EESH_SX_SI_SJ_SK_EUlSX_E1_NS1_11comp_targetILNS1_3genE8ELNS1_11target_archE1030ELNS1_3gpuE2ELNS1_3repE0EEENS1_36merge_oddeven_config_static_selectorELNS0_4arch9wavefront6targetE1EEEvSJ_.num_named_barrier, 0
	.set _ZN7rocprim17ROCPRIM_400000_NS6detail17trampoline_kernelINS0_14default_configENS1_38merge_sort_block_merge_config_selectorIddEEZZNS1_27merge_sort_block_merge_implIS3_N6thrust23THRUST_200600_302600_NS6detail15normal_iteratorINS8_10device_ptrIdEEEESD_jNS1_19radix_merge_compareILb0ELb0EdNS0_19identity_decomposerEEEEE10hipError_tT0_T1_T2_jT3_P12ihipStream_tbPNSt15iterator_traitsISI_E10value_typeEPNSO_ISJ_E10value_typeEPSK_NS1_7vsmem_tEENKUlT_SI_SJ_SK_E_clIPdSD_S10_SD_EESH_SX_SI_SJ_SK_EUlSX_E1_NS1_11comp_targetILNS1_3genE8ELNS1_11target_archE1030ELNS1_3gpuE2ELNS1_3repE0EEENS1_36merge_oddeven_config_static_selectorELNS0_4arch9wavefront6targetE1EEEvSJ_.private_seg_size, 0
	.set _ZN7rocprim17ROCPRIM_400000_NS6detail17trampoline_kernelINS0_14default_configENS1_38merge_sort_block_merge_config_selectorIddEEZZNS1_27merge_sort_block_merge_implIS3_N6thrust23THRUST_200600_302600_NS6detail15normal_iteratorINS8_10device_ptrIdEEEESD_jNS1_19radix_merge_compareILb0ELb0EdNS0_19identity_decomposerEEEEE10hipError_tT0_T1_T2_jT3_P12ihipStream_tbPNSt15iterator_traitsISI_E10value_typeEPNSO_ISJ_E10value_typeEPSK_NS1_7vsmem_tEENKUlT_SI_SJ_SK_E_clIPdSD_S10_SD_EESH_SX_SI_SJ_SK_EUlSX_E1_NS1_11comp_targetILNS1_3genE8ELNS1_11target_archE1030ELNS1_3gpuE2ELNS1_3repE0EEENS1_36merge_oddeven_config_static_selectorELNS0_4arch9wavefront6targetE1EEEvSJ_.uses_vcc, 0
	.set _ZN7rocprim17ROCPRIM_400000_NS6detail17trampoline_kernelINS0_14default_configENS1_38merge_sort_block_merge_config_selectorIddEEZZNS1_27merge_sort_block_merge_implIS3_N6thrust23THRUST_200600_302600_NS6detail15normal_iteratorINS8_10device_ptrIdEEEESD_jNS1_19radix_merge_compareILb0ELb0EdNS0_19identity_decomposerEEEEE10hipError_tT0_T1_T2_jT3_P12ihipStream_tbPNSt15iterator_traitsISI_E10value_typeEPNSO_ISJ_E10value_typeEPSK_NS1_7vsmem_tEENKUlT_SI_SJ_SK_E_clIPdSD_S10_SD_EESH_SX_SI_SJ_SK_EUlSX_E1_NS1_11comp_targetILNS1_3genE8ELNS1_11target_archE1030ELNS1_3gpuE2ELNS1_3repE0EEENS1_36merge_oddeven_config_static_selectorELNS0_4arch9wavefront6targetE1EEEvSJ_.uses_flat_scratch, 0
	.set _ZN7rocprim17ROCPRIM_400000_NS6detail17trampoline_kernelINS0_14default_configENS1_38merge_sort_block_merge_config_selectorIddEEZZNS1_27merge_sort_block_merge_implIS3_N6thrust23THRUST_200600_302600_NS6detail15normal_iteratorINS8_10device_ptrIdEEEESD_jNS1_19radix_merge_compareILb0ELb0EdNS0_19identity_decomposerEEEEE10hipError_tT0_T1_T2_jT3_P12ihipStream_tbPNSt15iterator_traitsISI_E10value_typeEPNSO_ISJ_E10value_typeEPSK_NS1_7vsmem_tEENKUlT_SI_SJ_SK_E_clIPdSD_S10_SD_EESH_SX_SI_SJ_SK_EUlSX_E1_NS1_11comp_targetILNS1_3genE8ELNS1_11target_archE1030ELNS1_3gpuE2ELNS1_3repE0EEENS1_36merge_oddeven_config_static_selectorELNS0_4arch9wavefront6targetE1EEEvSJ_.has_dyn_sized_stack, 0
	.set _ZN7rocprim17ROCPRIM_400000_NS6detail17trampoline_kernelINS0_14default_configENS1_38merge_sort_block_merge_config_selectorIddEEZZNS1_27merge_sort_block_merge_implIS3_N6thrust23THRUST_200600_302600_NS6detail15normal_iteratorINS8_10device_ptrIdEEEESD_jNS1_19radix_merge_compareILb0ELb0EdNS0_19identity_decomposerEEEEE10hipError_tT0_T1_T2_jT3_P12ihipStream_tbPNSt15iterator_traitsISI_E10value_typeEPNSO_ISJ_E10value_typeEPSK_NS1_7vsmem_tEENKUlT_SI_SJ_SK_E_clIPdSD_S10_SD_EESH_SX_SI_SJ_SK_EUlSX_E1_NS1_11comp_targetILNS1_3genE8ELNS1_11target_archE1030ELNS1_3gpuE2ELNS1_3repE0EEENS1_36merge_oddeven_config_static_selectorELNS0_4arch9wavefront6targetE1EEEvSJ_.has_recursion, 0
	.set _ZN7rocprim17ROCPRIM_400000_NS6detail17trampoline_kernelINS0_14default_configENS1_38merge_sort_block_merge_config_selectorIddEEZZNS1_27merge_sort_block_merge_implIS3_N6thrust23THRUST_200600_302600_NS6detail15normal_iteratorINS8_10device_ptrIdEEEESD_jNS1_19radix_merge_compareILb0ELb0EdNS0_19identity_decomposerEEEEE10hipError_tT0_T1_T2_jT3_P12ihipStream_tbPNSt15iterator_traitsISI_E10value_typeEPNSO_ISJ_E10value_typeEPSK_NS1_7vsmem_tEENKUlT_SI_SJ_SK_E_clIPdSD_S10_SD_EESH_SX_SI_SJ_SK_EUlSX_E1_NS1_11comp_targetILNS1_3genE8ELNS1_11target_archE1030ELNS1_3gpuE2ELNS1_3repE0EEENS1_36merge_oddeven_config_static_selectorELNS0_4arch9wavefront6targetE1EEEvSJ_.has_indirect_call, 0
	.section	.AMDGPU.csdata,"",@progbits
; Kernel info:
; codeLenInByte = 0
; TotalNumSgprs: 6
; NumVgprs: 0
; NumAgprs: 0
; TotalNumVgprs: 0
; ScratchSize: 0
; MemoryBound: 0
; FloatMode: 240
; IeeeMode: 1
; LDSByteSize: 0 bytes/workgroup (compile time only)
; SGPRBlocks: 0
; VGPRBlocks: 0
; NumSGPRsForWavesPerEU: 6
; NumVGPRsForWavesPerEU: 1
; AccumOffset: 4
; Occupancy: 8
; WaveLimiterHint : 0
; COMPUTE_PGM_RSRC2:SCRATCH_EN: 0
; COMPUTE_PGM_RSRC2:USER_SGPR: 2
; COMPUTE_PGM_RSRC2:TRAP_HANDLER: 0
; COMPUTE_PGM_RSRC2:TGID_X_EN: 1
; COMPUTE_PGM_RSRC2:TGID_Y_EN: 0
; COMPUTE_PGM_RSRC2:TGID_Z_EN: 0
; COMPUTE_PGM_RSRC2:TIDIG_COMP_CNT: 0
; COMPUTE_PGM_RSRC3_GFX90A:ACCUM_OFFSET: 0
; COMPUTE_PGM_RSRC3_GFX90A:TG_SPLIT: 0
	.section	.text._ZN7rocprim17ROCPRIM_400000_NS6detail17trampoline_kernelINS0_14default_configENS1_38merge_sort_block_merge_config_selectorIddEEZZNS1_27merge_sort_block_merge_implIS3_N6thrust23THRUST_200600_302600_NS6detail15normal_iteratorINS8_10device_ptrIdEEEESD_jNS1_19radix_merge_compareILb0ELb0EdNS0_19identity_decomposerEEEEE10hipError_tT0_T1_T2_jT3_P12ihipStream_tbPNSt15iterator_traitsISI_E10value_typeEPNSO_ISJ_E10value_typeEPSK_NS1_7vsmem_tEENKUlT_SI_SJ_SK_E_clISD_PdSD_S10_EESH_SX_SI_SJ_SK_EUlSX_E_NS1_11comp_targetILNS1_3genE0ELNS1_11target_archE4294967295ELNS1_3gpuE0ELNS1_3repE0EEENS1_48merge_mergepath_partition_config_static_selectorELNS0_4arch9wavefront6targetE1EEEvSJ_,"axG",@progbits,_ZN7rocprim17ROCPRIM_400000_NS6detail17trampoline_kernelINS0_14default_configENS1_38merge_sort_block_merge_config_selectorIddEEZZNS1_27merge_sort_block_merge_implIS3_N6thrust23THRUST_200600_302600_NS6detail15normal_iteratorINS8_10device_ptrIdEEEESD_jNS1_19radix_merge_compareILb0ELb0EdNS0_19identity_decomposerEEEEE10hipError_tT0_T1_T2_jT3_P12ihipStream_tbPNSt15iterator_traitsISI_E10value_typeEPNSO_ISJ_E10value_typeEPSK_NS1_7vsmem_tEENKUlT_SI_SJ_SK_E_clISD_PdSD_S10_EESH_SX_SI_SJ_SK_EUlSX_E_NS1_11comp_targetILNS1_3genE0ELNS1_11target_archE4294967295ELNS1_3gpuE0ELNS1_3repE0EEENS1_48merge_mergepath_partition_config_static_selectorELNS0_4arch9wavefront6targetE1EEEvSJ_,comdat
	.protected	_ZN7rocprim17ROCPRIM_400000_NS6detail17trampoline_kernelINS0_14default_configENS1_38merge_sort_block_merge_config_selectorIddEEZZNS1_27merge_sort_block_merge_implIS3_N6thrust23THRUST_200600_302600_NS6detail15normal_iteratorINS8_10device_ptrIdEEEESD_jNS1_19radix_merge_compareILb0ELb0EdNS0_19identity_decomposerEEEEE10hipError_tT0_T1_T2_jT3_P12ihipStream_tbPNSt15iterator_traitsISI_E10value_typeEPNSO_ISJ_E10value_typeEPSK_NS1_7vsmem_tEENKUlT_SI_SJ_SK_E_clISD_PdSD_S10_EESH_SX_SI_SJ_SK_EUlSX_E_NS1_11comp_targetILNS1_3genE0ELNS1_11target_archE4294967295ELNS1_3gpuE0ELNS1_3repE0EEENS1_48merge_mergepath_partition_config_static_selectorELNS0_4arch9wavefront6targetE1EEEvSJ_ ; -- Begin function _ZN7rocprim17ROCPRIM_400000_NS6detail17trampoline_kernelINS0_14default_configENS1_38merge_sort_block_merge_config_selectorIddEEZZNS1_27merge_sort_block_merge_implIS3_N6thrust23THRUST_200600_302600_NS6detail15normal_iteratorINS8_10device_ptrIdEEEESD_jNS1_19radix_merge_compareILb0ELb0EdNS0_19identity_decomposerEEEEE10hipError_tT0_T1_T2_jT3_P12ihipStream_tbPNSt15iterator_traitsISI_E10value_typeEPNSO_ISJ_E10value_typeEPSK_NS1_7vsmem_tEENKUlT_SI_SJ_SK_E_clISD_PdSD_S10_EESH_SX_SI_SJ_SK_EUlSX_E_NS1_11comp_targetILNS1_3genE0ELNS1_11target_archE4294967295ELNS1_3gpuE0ELNS1_3repE0EEENS1_48merge_mergepath_partition_config_static_selectorELNS0_4arch9wavefront6targetE1EEEvSJ_
	.globl	_ZN7rocprim17ROCPRIM_400000_NS6detail17trampoline_kernelINS0_14default_configENS1_38merge_sort_block_merge_config_selectorIddEEZZNS1_27merge_sort_block_merge_implIS3_N6thrust23THRUST_200600_302600_NS6detail15normal_iteratorINS8_10device_ptrIdEEEESD_jNS1_19radix_merge_compareILb0ELb0EdNS0_19identity_decomposerEEEEE10hipError_tT0_T1_T2_jT3_P12ihipStream_tbPNSt15iterator_traitsISI_E10value_typeEPNSO_ISJ_E10value_typeEPSK_NS1_7vsmem_tEENKUlT_SI_SJ_SK_E_clISD_PdSD_S10_EESH_SX_SI_SJ_SK_EUlSX_E_NS1_11comp_targetILNS1_3genE0ELNS1_11target_archE4294967295ELNS1_3gpuE0ELNS1_3repE0EEENS1_48merge_mergepath_partition_config_static_selectorELNS0_4arch9wavefront6targetE1EEEvSJ_
	.p2align	8
	.type	_ZN7rocprim17ROCPRIM_400000_NS6detail17trampoline_kernelINS0_14default_configENS1_38merge_sort_block_merge_config_selectorIddEEZZNS1_27merge_sort_block_merge_implIS3_N6thrust23THRUST_200600_302600_NS6detail15normal_iteratorINS8_10device_ptrIdEEEESD_jNS1_19radix_merge_compareILb0ELb0EdNS0_19identity_decomposerEEEEE10hipError_tT0_T1_T2_jT3_P12ihipStream_tbPNSt15iterator_traitsISI_E10value_typeEPNSO_ISJ_E10value_typeEPSK_NS1_7vsmem_tEENKUlT_SI_SJ_SK_E_clISD_PdSD_S10_EESH_SX_SI_SJ_SK_EUlSX_E_NS1_11comp_targetILNS1_3genE0ELNS1_11target_archE4294967295ELNS1_3gpuE0ELNS1_3repE0EEENS1_48merge_mergepath_partition_config_static_selectorELNS0_4arch9wavefront6targetE1EEEvSJ_,@function
_ZN7rocprim17ROCPRIM_400000_NS6detail17trampoline_kernelINS0_14default_configENS1_38merge_sort_block_merge_config_selectorIddEEZZNS1_27merge_sort_block_merge_implIS3_N6thrust23THRUST_200600_302600_NS6detail15normal_iteratorINS8_10device_ptrIdEEEESD_jNS1_19radix_merge_compareILb0ELb0EdNS0_19identity_decomposerEEEEE10hipError_tT0_T1_T2_jT3_P12ihipStream_tbPNSt15iterator_traitsISI_E10value_typeEPNSO_ISJ_E10value_typeEPSK_NS1_7vsmem_tEENKUlT_SI_SJ_SK_E_clISD_PdSD_S10_EESH_SX_SI_SJ_SK_EUlSX_E_NS1_11comp_targetILNS1_3genE0ELNS1_11target_archE4294967295ELNS1_3gpuE0ELNS1_3repE0EEENS1_48merge_mergepath_partition_config_static_selectorELNS0_4arch9wavefront6targetE1EEEvSJ_: ; @_ZN7rocprim17ROCPRIM_400000_NS6detail17trampoline_kernelINS0_14default_configENS1_38merge_sort_block_merge_config_selectorIddEEZZNS1_27merge_sort_block_merge_implIS3_N6thrust23THRUST_200600_302600_NS6detail15normal_iteratorINS8_10device_ptrIdEEEESD_jNS1_19radix_merge_compareILb0ELb0EdNS0_19identity_decomposerEEEEE10hipError_tT0_T1_T2_jT3_P12ihipStream_tbPNSt15iterator_traitsISI_E10value_typeEPNSO_ISJ_E10value_typeEPSK_NS1_7vsmem_tEENKUlT_SI_SJ_SK_E_clISD_PdSD_S10_EESH_SX_SI_SJ_SK_EUlSX_E_NS1_11comp_targetILNS1_3genE0ELNS1_11target_archE4294967295ELNS1_3gpuE0ELNS1_3repE0EEENS1_48merge_mergepath_partition_config_static_selectorELNS0_4arch9wavefront6targetE1EEEvSJ_
; %bb.0:
	s_load_dword s3, s[0:1], 0x0
	v_lshl_or_b32 v0, s2, 7, v0
	s_waitcnt lgkmcnt(0)
	v_cmp_gt_u32_e32 vcc, s3, v0
	s_and_saveexec_b64 s[2:3], vcc
	s_cbranch_execz .LBB49_6
; %bb.1:
	s_load_dwordx2 s[4:5], s[0:1], 0x4
	s_load_dwordx2 s[2:3], s[0:1], 0x20
	s_waitcnt lgkmcnt(0)
	s_lshr_b32 s6, s4, 9
	s_and_b32 s6, s6, 0x7ffffe
	s_add_i32 s7, s6, -1
	s_sub_i32 s6, 0, s6
	v_and_b32_e32 v1, s6, v0
	v_lshlrev_b32_e32 v1, 10, v1
	v_min_u32_e32 v2, s5, v1
	v_add_u32_e32 v1, s4, v1
	v_min_u32_e32 v4, s5, v1
	v_add_u32_e32 v1, s4, v4
	v_and_b32_e32 v3, s7, v0
	v_min_u32_e32 v1, s5, v1
	v_sub_u32_e32 v5, v1, v2
	v_lshlrev_b32_e32 v3, 10, v3
	v_min_u32_e32 v10, v5, v3
	v_sub_u32_e32 v3, v4, v2
	v_sub_u32_e32 v1, v1, v4
	v_sub_u32_e64 v1, v10, v1 clamp
	v_min_u32_e32 v11, v10, v3
	v_cmp_lt_u32_e32 vcc, v1, v11
	s_and_saveexec_b64 s[4:5], vcc
	s_cbranch_execz .LBB49_5
; %bb.2:
	s_load_dwordx2 s[0:1], s[0:1], 0x10
	v_mov_b32_e32 v5, 0
	v_mov_b32_e32 v3, v5
	s_waitcnt lgkmcnt(0)
	v_lshl_add_u64 v[6:7], v[2:3], 3, s[0:1]
	v_lshl_add_u64 v[8:9], v[4:5], 3, s[0:1]
	s_mov_b64 s[0:1], 0
.LBB49_3:                               ; =>This Inner Loop Header: Depth=1
	v_add_u32_e32 v3, v11, v1
	v_lshrrev_b32_e32 v4, 1, v3
	v_mov_b32_e32 v13, v5
	v_xad_u32 v12, v4, -1, v10
	v_lshl_add_u64 v[14:15], v[4:5], 3, v[6:7]
	v_lshl_add_u64 v[12:13], v[12:13], 3, v[8:9]
	flat_load_dwordx2 v[16:17], v[14:15]
	flat_load_dwordx2 v[18:19], v[12:13]
	v_add_u32_e32 v3, 1, v4
	s_waitcnt vmcnt(0) lgkmcnt(0)
	v_add_f64 v[12:13], v[16:17], 0
	v_add_f64 v[14:15], v[18:19], 0
	v_ashrrev_i32_e32 v16, 31, v13
	v_or_b32_e32 v17, 0x80000000, v16
	v_xor_b32_e32 v12, v16, v12
	v_ashrrev_i32_e32 v16, 31, v15
	v_xor_b32_e32 v13, v17, v13
	v_or_b32_e32 v17, 0x80000000, v16
	v_xor_b32_e32 v14, v16, v14
	v_xor_b32_e32 v15, v17, v15
	v_cmp_gt_u64_e32 vcc, v[12:13], v[14:15]
	s_nop 1
	v_cndmask_b32_e32 v11, v11, v4, vcc
	v_cndmask_b32_e32 v1, v3, v1, vcc
	v_cmp_ge_u32_e32 vcc, v1, v11
	s_or_b64 s[0:1], vcc, s[0:1]
	s_andn2_b64 exec, exec, s[0:1]
	s_cbranch_execnz .LBB49_3
; %bb.4:
	s_or_b64 exec, exec, s[0:1]
.LBB49_5:
	s_or_b64 exec, exec, s[4:5]
	v_add_u32_e32 v2, v1, v2
	v_mov_b32_e32 v1, 0
	v_lshl_add_u64 v[0:1], v[0:1], 2, s[2:3]
	global_store_dword v[0:1], v2, off
.LBB49_6:
	s_endpgm
	.section	.rodata,"a",@progbits
	.p2align	6, 0x0
	.amdhsa_kernel _ZN7rocprim17ROCPRIM_400000_NS6detail17trampoline_kernelINS0_14default_configENS1_38merge_sort_block_merge_config_selectorIddEEZZNS1_27merge_sort_block_merge_implIS3_N6thrust23THRUST_200600_302600_NS6detail15normal_iteratorINS8_10device_ptrIdEEEESD_jNS1_19radix_merge_compareILb0ELb0EdNS0_19identity_decomposerEEEEE10hipError_tT0_T1_T2_jT3_P12ihipStream_tbPNSt15iterator_traitsISI_E10value_typeEPNSO_ISJ_E10value_typeEPSK_NS1_7vsmem_tEENKUlT_SI_SJ_SK_E_clISD_PdSD_S10_EESH_SX_SI_SJ_SK_EUlSX_E_NS1_11comp_targetILNS1_3genE0ELNS1_11target_archE4294967295ELNS1_3gpuE0ELNS1_3repE0EEENS1_48merge_mergepath_partition_config_static_selectorELNS0_4arch9wavefront6targetE1EEEvSJ_
		.amdhsa_group_segment_fixed_size 0
		.amdhsa_private_segment_fixed_size 0
		.amdhsa_kernarg_size 40
		.amdhsa_user_sgpr_count 2
		.amdhsa_user_sgpr_dispatch_ptr 0
		.amdhsa_user_sgpr_queue_ptr 0
		.amdhsa_user_sgpr_kernarg_segment_ptr 1
		.amdhsa_user_sgpr_dispatch_id 0
		.amdhsa_user_sgpr_kernarg_preload_length 0
		.amdhsa_user_sgpr_kernarg_preload_offset 0
		.amdhsa_user_sgpr_private_segment_size 0
		.amdhsa_uses_dynamic_stack 0
		.amdhsa_enable_private_segment 0
		.amdhsa_system_sgpr_workgroup_id_x 1
		.amdhsa_system_sgpr_workgroup_id_y 0
		.amdhsa_system_sgpr_workgroup_id_z 0
		.amdhsa_system_sgpr_workgroup_info 0
		.amdhsa_system_vgpr_workitem_id 0
		.amdhsa_next_free_vgpr 20
		.amdhsa_next_free_sgpr 8
		.amdhsa_accum_offset 20
		.amdhsa_reserve_vcc 1
		.amdhsa_float_round_mode_32 0
		.amdhsa_float_round_mode_16_64 0
		.amdhsa_float_denorm_mode_32 3
		.amdhsa_float_denorm_mode_16_64 3
		.amdhsa_dx10_clamp 1
		.amdhsa_ieee_mode 1
		.amdhsa_fp16_overflow 0
		.amdhsa_tg_split 0
		.amdhsa_exception_fp_ieee_invalid_op 0
		.amdhsa_exception_fp_denorm_src 0
		.amdhsa_exception_fp_ieee_div_zero 0
		.amdhsa_exception_fp_ieee_overflow 0
		.amdhsa_exception_fp_ieee_underflow 0
		.amdhsa_exception_fp_ieee_inexact 0
		.amdhsa_exception_int_div_zero 0
	.end_amdhsa_kernel
	.section	.text._ZN7rocprim17ROCPRIM_400000_NS6detail17trampoline_kernelINS0_14default_configENS1_38merge_sort_block_merge_config_selectorIddEEZZNS1_27merge_sort_block_merge_implIS3_N6thrust23THRUST_200600_302600_NS6detail15normal_iteratorINS8_10device_ptrIdEEEESD_jNS1_19radix_merge_compareILb0ELb0EdNS0_19identity_decomposerEEEEE10hipError_tT0_T1_T2_jT3_P12ihipStream_tbPNSt15iterator_traitsISI_E10value_typeEPNSO_ISJ_E10value_typeEPSK_NS1_7vsmem_tEENKUlT_SI_SJ_SK_E_clISD_PdSD_S10_EESH_SX_SI_SJ_SK_EUlSX_E_NS1_11comp_targetILNS1_3genE0ELNS1_11target_archE4294967295ELNS1_3gpuE0ELNS1_3repE0EEENS1_48merge_mergepath_partition_config_static_selectorELNS0_4arch9wavefront6targetE1EEEvSJ_,"axG",@progbits,_ZN7rocprim17ROCPRIM_400000_NS6detail17trampoline_kernelINS0_14default_configENS1_38merge_sort_block_merge_config_selectorIddEEZZNS1_27merge_sort_block_merge_implIS3_N6thrust23THRUST_200600_302600_NS6detail15normal_iteratorINS8_10device_ptrIdEEEESD_jNS1_19radix_merge_compareILb0ELb0EdNS0_19identity_decomposerEEEEE10hipError_tT0_T1_T2_jT3_P12ihipStream_tbPNSt15iterator_traitsISI_E10value_typeEPNSO_ISJ_E10value_typeEPSK_NS1_7vsmem_tEENKUlT_SI_SJ_SK_E_clISD_PdSD_S10_EESH_SX_SI_SJ_SK_EUlSX_E_NS1_11comp_targetILNS1_3genE0ELNS1_11target_archE4294967295ELNS1_3gpuE0ELNS1_3repE0EEENS1_48merge_mergepath_partition_config_static_selectorELNS0_4arch9wavefront6targetE1EEEvSJ_,comdat
.Lfunc_end49:
	.size	_ZN7rocprim17ROCPRIM_400000_NS6detail17trampoline_kernelINS0_14default_configENS1_38merge_sort_block_merge_config_selectorIddEEZZNS1_27merge_sort_block_merge_implIS3_N6thrust23THRUST_200600_302600_NS6detail15normal_iteratorINS8_10device_ptrIdEEEESD_jNS1_19radix_merge_compareILb0ELb0EdNS0_19identity_decomposerEEEEE10hipError_tT0_T1_T2_jT3_P12ihipStream_tbPNSt15iterator_traitsISI_E10value_typeEPNSO_ISJ_E10value_typeEPSK_NS1_7vsmem_tEENKUlT_SI_SJ_SK_E_clISD_PdSD_S10_EESH_SX_SI_SJ_SK_EUlSX_E_NS1_11comp_targetILNS1_3genE0ELNS1_11target_archE4294967295ELNS1_3gpuE0ELNS1_3repE0EEENS1_48merge_mergepath_partition_config_static_selectorELNS0_4arch9wavefront6targetE1EEEvSJ_, .Lfunc_end49-_ZN7rocprim17ROCPRIM_400000_NS6detail17trampoline_kernelINS0_14default_configENS1_38merge_sort_block_merge_config_selectorIddEEZZNS1_27merge_sort_block_merge_implIS3_N6thrust23THRUST_200600_302600_NS6detail15normal_iteratorINS8_10device_ptrIdEEEESD_jNS1_19radix_merge_compareILb0ELb0EdNS0_19identity_decomposerEEEEE10hipError_tT0_T1_T2_jT3_P12ihipStream_tbPNSt15iterator_traitsISI_E10value_typeEPNSO_ISJ_E10value_typeEPSK_NS1_7vsmem_tEENKUlT_SI_SJ_SK_E_clISD_PdSD_S10_EESH_SX_SI_SJ_SK_EUlSX_E_NS1_11comp_targetILNS1_3genE0ELNS1_11target_archE4294967295ELNS1_3gpuE0ELNS1_3repE0EEENS1_48merge_mergepath_partition_config_static_selectorELNS0_4arch9wavefront6targetE1EEEvSJ_
                                        ; -- End function
	.set _ZN7rocprim17ROCPRIM_400000_NS6detail17trampoline_kernelINS0_14default_configENS1_38merge_sort_block_merge_config_selectorIddEEZZNS1_27merge_sort_block_merge_implIS3_N6thrust23THRUST_200600_302600_NS6detail15normal_iteratorINS8_10device_ptrIdEEEESD_jNS1_19radix_merge_compareILb0ELb0EdNS0_19identity_decomposerEEEEE10hipError_tT0_T1_T2_jT3_P12ihipStream_tbPNSt15iterator_traitsISI_E10value_typeEPNSO_ISJ_E10value_typeEPSK_NS1_7vsmem_tEENKUlT_SI_SJ_SK_E_clISD_PdSD_S10_EESH_SX_SI_SJ_SK_EUlSX_E_NS1_11comp_targetILNS1_3genE0ELNS1_11target_archE4294967295ELNS1_3gpuE0ELNS1_3repE0EEENS1_48merge_mergepath_partition_config_static_selectorELNS0_4arch9wavefront6targetE1EEEvSJ_.num_vgpr, 20
	.set _ZN7rocprim17ROCPRIM_400000_NS6detail17trampoline_kernelINS0_14default_configENS1_38merge_sort_block_merge_config_selectorIddEEZZNS1_27merge_sort_block_merge_implIS3_N6thrust23THRUST_200600_302600_NS6detail15normal_iteratorINS8_10device_ptrIdEEEESD_jNS1_19radix_merge_compareILb0ELb0EdNS0_19identity_decomposerEEEEE10hipError_tT0_T1_T2_jT3_P12ihipStream_tbPNSt15iterator_traitsISI_E10value_typeEPNSO_ISJ_E10value_typeEPSK_NS1_7vsmem_tEENKUlT_SI_SJ_SK_E_clISD_PdSD_S10_EESH_SX_SI_SJ_SK_EUlSX_E_NS1_11comp_targetILNS1_3genE0ELNS1_11target_archE4294967295ELNS1_3gpuE0ELNS1_3repE0EEENS1_48merge_mergepath_partition_config_static_selectorELNS0_4arch9wavefront6targetE1EEEvSJ_.num_agpr, 0
	.set _ZN7rocprim17ROCPRIM_400000_NS6detail17trampoline_kernelINS0_14default_configENS1_38merge_sort_block_merge_config_selectorIddEEZZNS1_27merge_sort_block_merge_implIS3_N6thrust23THRUST_200600_302600_NS6detail15normal_iteratorINS8_10device_ptrIdEEEESD_jNS1_19radix_merge_compareILb0ELb0EdNS0_19identity_decomposerEEEEE10hipError_tT0_T1_T2_jT3_P12ihipStream_tbPNSt15iterator_traitsISI_E10value_typeEPNSO_ISJ_E10value_typeEPSK_NS1_7vsmem_tEENKUlT_SI_SJ_SK_E_clISD_PdSD_S10_EESH_SX_SI_SJ_SK_EUlSX_E_NS1_11comp_targetILNS1_3genE0ELNS1_11target_archE4294967295ELNS1_3gpuE0ELNS1_3repE0EEENS1_48merge_mergepath_partition_config_static_selectorELNS0_4arch9wavefront6targetE1EEEvSJ_.numbered_sgpr, 8
	.set _ZN7rocprim17ROCPRIM_400000_NS6detail17trampoline_kernelINS0_14default_configENS1_38merge_sort_block_merge_config_selectorIddEEZZNS1_27merge_sort_block_merge_implIS3_N6thrust23THRUST_200600_302600_NS6detail15normal_iteratorINS8_10device_ptrIdEEEESD_jNS1_19radix_merge_compareILb0ELb0EdNS0_19identity_decomposerEEEEE10hipError_tT0_T1_T2_jT3_P12ihipStream_tbPNSt15iterator_traitsISI_E10value_typeEPNSO_ISJ_E10value_typeEPSK_NS1_7vsmem_tEENKUlT_SI_SJ_SK_E_clISD_PdSD_S10_EESH_SX_SI_SJ_SK_EUlSX_E_NS1_11comp_targetILNS1_3genE0ELNS1_11target_archE4294967295ELNS1_3gpuE0ELNS1_3repE0EEENS1_48merge_mergepath_partition_config_static_selectorELNS0_4arch9wavefront6targetE1EEEvSJ_.num_named_barrier, 0
	.set _ZN7rocprim17ROCPRIM_400000_NS6detail17trampoline_kernelINS0_14default_configENS1_38merge_sort_block_merge_config_selectorIddEEZZNS1_27merge_sort_block_merge_implIS3_N6thrust23THRUST_200600_302600_NS6detail15normal_iteratorINS8_10device_ptrIdEEEESD_jNS1_19radix_merge_compareILb0ELb0EdNS0_19identity_decomposerEEEEE10hipError_tT0_T1_T2_jT3_P12ihipStream_tbPNSt15iterator_traitsISI_E10value_typeEPNSO_ISJ_E10value_typeEPSK_NS1_7vsmem_tEENKUlT_SI_SJ_SK_E_clISD_PdSD_S10_EESH_SX_SI_SJ_SK_EUlSX_E_NS1_11comp_targetILNS1_3genE0ELNS1_11target_archE4294967295ELNS1_3gpuE0ELNS1_3repE0EEENS1_48merge_mergepath_partition_config_static_selectorELNS0_4arch9wavefront6targetE1EEEvSJ_.private_seg_size, 0
	.set _ZN7rocprim17ROCPRIM_400000_NS6detail17trampoline_kernelINS0_14default_configENS1_38merge_sort_block_merge_config_selectorIddEEZZNS1_27merge_sort_block_merge_implIS3_N6thrust23THRUST_200600_302600_NS6detail15normal_iteratorINS8_10device_ptrIdEEEESD_jNS1_19radix_merge_compareILb0ELb0EdNS0_19identity_decomposerEEEEE10hipError_tT0_T1_T2_jT3_P12ihipStream_tbPNSt15iterator_traitsISI_E10value_typeEPNSO_ISJ_E10value_typeEPSK_NS1_7vsmem_tEENKUlT_SI_SJ_SK_E_clISD_PdSD_S10_EESH_SX_SI_SJ_SK_EUlSX_E_NS1_11comp_targetILNS1_3genE0ELNS1_11target_archE4294967295ELNS1_3gpuE0ELNS1_3repE0EEENS1_48merge_mergepath_partition_config_static_selectorELNS0_4arch9wavefront6targetE1EEEvSJ_.uses_vcc, 1
	.set _ZN7rocprim17ROCPRIM_400000_NS6detail17trampoline_kernelINS0_14default_configENS1_38merge_sort_block_merge_config_selectorIddEEZZNS1_27merge_sort_block_merge_implIS3_N6thrust23THRUST_200600_302600_NS6detail15normal_iteratorINS8_10device_ptrIdEEEESD_jNS1_19radix_merge_compareILb0ELb0EdNS0_19identity_decomposerEEEEE10hipError_tT0_T1_T2_jT3_P12ihipStream_tbPNSt15iterator_traitsISI_E10value_typeEPNSO_ISJ_E10value_typeEPSK_NS1_7vsmem_tEENKUlT_SI_SJ_SK_E_clISD_PdSD_S10_EESH_SX_SI_SJ_SK_EUlSX_E_NS1_11comp_targetILNS1_3genE0ELNS1_11target_archE4294967295ELNS1_3gpuE0ELNS1_3repE0EEENS1_48merge_mergepath_partition_config_static_selectorELNS0_4arch9wavefront6targetE1EEEvSJ_.uses_flat_scratch, 0
	.set _ZN7rocprim17ROCPRIM_400000_NS6detail17trampoline_kernelINS0_14default_configENS1_38merge_sort_block_merge_config_selectorIddEEZZNS1_27merge_sort_block_merge_implIS3_N6thrust23THRUST_200600_302600_NS6detail15normal_iteratorINS8_10device_ptrIdEEEESD_jNS1_19radix_merge_compareILb0ELb0EdNS0_19identity_decomposerEEEEE10hipError_tT0_T1_T2_jT3_P12ihipStream_tbPNSt15iterator_traitsISI_E10value_typeEPNSO_ISJ_E10value_typeEPSK_NS1_7vsmem_tEENKUlT_SI_SJ_SK_E_clISD_PdSD_S10_EESH_SX_SI_SJ_SK_EUlSX_E_NS1_11comp_targetILNS1_3genE0ELNS1_11target_archE4294967295ELNS1_3gpuE0ELNS1_3repE0EEENS1_48merge_mergepath_partition_config_static_selectorELNS0_4arch9wavefront6targetE1EEEvSJ_.has_dyn_sized_stack, 0
	.set _ZN7rocprim17ROCPRIM_400000_NS6detail17trampoline_kernelINS0_14default_configENS1_38merge_sort_block_merge_config_selectorIddEEZZNS1_27merge_sort_block_merge_implIS3_N6thrust23THRUST_200600_302600_NS6detail15normal_iteratorINS8_10device_ptrIdEEEESD_jNS1_19radix_merge_compareILb0ELb0EdNS0_19identity_decomposerEEEEE10hipError_tT0_T1_T2_jT3_P12ihipStream_tbPNSt15iterator_traitsISI_E10value_typeEPNSO_ISJ_E10value_typeEPSK_NS1_7vsmem_tEENKUlT_SI_SJ_SK_E_clISD_PdSD_S10_EESH_SX_SI_SJ_SK_EUlSX_E_NS1_11comp_targetILNS1_3genE0ELNS1_11target_archE4294967295ELNS1_3gpuE0ELNS1_3repE0EEENS1_48merge_mergepath_partition_config_static_selectorELNS0_4arch9wavefront6targetE1EEEvSJ_.has_recursion, 0
	.set _ZN7rocprim17ROCPRIM_400000_NS6detail17trampoline_kernelINS0_14default_configENS1_38merge_sort_block_merge_config_selectorIddEEZZNS1_27merge_sort_block_merge_implIS3_N6thrust23THRUST_200600_302600_NS6detail15normal_iteratorINS8_10device_ptrIdEEEESD_jNS1_19radix_merge_compareILb0ELb0EdNS0_19identity_decomposerEEEEE10hipError_tT0_T1_T2_jT3_P12ihipStream_tbPNSt15iterator_traitsISI_E10value_typeEPNSO_ISJ_E10value_typeEPSK_NS1_7vsmem_tEENKUlT_SI_SJ_SK_E_clISD_PdSD_S10_EESH_SX_SI_SJ_SK_EUlSX_E_NS1_11comp_targetILNS1_3genE0ELNS1_11target_archE4294967295ELNS1_3gpuE0ELNS1_3repE0EEENS1_48merge_mergepath_partition_config_static_selectorELNS0_4arch9wavefront6targetE1EEEvSJ_.has_indirect_call, 0
	.section	.AMDGPU.csdata,"",@progbits
; Kernel info:
; codeLenInByte = 372
; TotalNumSgprs: 14
; NumVgprs: 20
; NumAgprs: 0
; TotalNumVgprs: 20
; ScratchSize: 0
; MemoryBound: 0
; FloatMode: 240
; IeeeMode: 1
; LDSByteSize: 0 bytes/workgroup (compile time only)
; SGPRBlocks: 1
; VGPRBlocks: 2
; NumSGPRsForWavesPerEU: 14
; NumVGPRsForWavesPerEU: 20
; AccumOffset: 20
; Occupancy: 8
; WaveLimiterHint : 0
; COMPUTE_PGM_RSRC2:SCRATCH_EN: 0
; COMPUTE_PGM_RSRC2:USER_SGPR: 2
; COMPUTE_PGM_RSRC2:TRAP_HANDLER: 0
; COMPUTE_PGM_RSRC2:TGID_X_EN: 1
; COMPUTE_PGM_RSRC2:TGID_Y_EN: 0
; COMPUTE_PGM_RSRC2:TGID_Z_EN: 0
; COMPUTE_PGM_RSRC2:TIDIG_COMP_CNT: 0
; COMPUTE_PGM_RSRC3_GFX90A:ACCUM_OFFSET: 4
; COMPUTE_PGM_RSRC3_GFX90A:TG_SPLIT: 0
	.section	.text._ZN7rocprim17ROCPRIM_400000_NS6detail17trampoline_kernelINS0_14default_configENS1_38merge_sort_block_merge_config_selectorIddEEZZNS1_27merge_sort_block_merge_implIS3_N6thrust23THRUST_200600_302600_NS6detail15normal_iteratorINS8_10device_ptrIdEEEESD_jNS1_19radix_merge_compareILb0ELb0EdNS0_19identity_decomposerEEEEE10hipError_tT0_T1_T2_jT3_P12ihipStream_tbPNSt15iterator_traitsISI_E10value_typeEPNSO_ISJ_E10value_typeEPSK_NS1_7vsmem_tEENKUlT_SI_SJ_SK_E_clISD_PdSD_S10_EESH_SX_SI_SJ_SK_EUlSX_E_NS1_11comp_targetILNS1_3genE10ELNS1_11target_archE1201ELNS1_3gpuE5ELNS1_3repE0EEENS1_48merge_mergepath_partition_config_static_selectorELNS0_4arch9wavefront6targetE1EEEvSJ_,"axG",@progbits,_ZN7rocprim17ROCPRIM_400000_NS6detail17trampoline_kernelINS0_14default_configENS1_38merge_sort_block_merge_config_selectorIddEEZZNS1_27merge_sort_block_merge_implIS3_N6thrust23THRUST_200600_302600_NS6detail15normal_iteratorINS8_10device_ptrIdEEEESD_jNS1_19radix_merge_compareILb0ELb0EdNS0_19identity_decomposerEEEEE10hipError_tT0_T1_T2_jT3_P12ihipStream_tbPNSt15iterator_traitsISI_E10value_typeEPNSO_ISJ_E10value_typeEPSK_NS1_7vsmem_tEENKUlT_SI_SJ_SK_E_clISD_PdSD_S10_EESH_SX_SI_SJ_SK_EUlSX_E_NS1_11comp_targetILNS1_3genE10ELNS1_11target_archE1201ELNS1_3gpuE5ELNS1_3repE0EEENS1_48merge_mergepath_partition_config_static_selectorELNS0_4arch9wavefront6targetE1EEEvSJ_,comdat
	.protected	_ZN7rocprim17ROCPRIM_400000_NS6detail17trampoline_kernelINS0_14default_configENS1_38merge_sort_block_merge_config_selectorIddEEZZNS1_27merge_sort_block_merge_implIS3_N6thrust23THRUST_200600_302600_NS6detail15normal_iteratorINS8_10device_ptrIdEEEESD_jNS1_19radix_merge_compareILb0ELb0EdNS0_19identity_decomposerEEEEE10hipError_tT0_T1_T2_jT3_P12ihipStream_tbPNSt15iterator_traitsISI_E10value_typeEPNSO_ISJ_E10value_typeEPSK_NS1_7vsmem_tEENKUlT_SI_SJ_SK_E_clISD_PdSD_S10_EESH_SX_SI_SJ_SK_EUlSX_E_NS1_11comp_targetILNS1_3genE10ELNS1_11target_archE1201ELNS1_3gpuE5ELNS1_3repE0EEENS1_48merge_mergepath_partition_config_static_selectorELNS0_4arch9wavefront6targetE1EEEvSJ_ ; -- Begin function _ZN7rocprim17ROCPRIM_400000_NS6detail17trampoline_kernelINS0_14default_configENS1_38merge_sort_block_merge_config_selectorIddEEZZNS1_27merge_sort_block_merge_implIS3_N6thrust23THRUST_200600_302600_NS6detail15normal_iteratorINS8_10device_ptrIdEEEESD_jNS1_19radix_merge_compareILb0ELb0EdNS0_19identity_decomposerEEEEE10hipError_tT0_T1_T2_jT3_P12ihipStream_tbPNSt15iterator_traitsISI_E10value_typeEPNSO_ISJ_E10value_typeEPSK_NS1_7vsmem_tEENKUlT_SI_SJ_SK_E_clISD_PdSD_S10_EESH_SX_SI_SJ_SK_EUlSX_E_NS1_11comp_targetILNS1_3genE10ELNS1_11target_archE1201ELNS1_3gpuE5ELNS1_3repE0EEENS1_48merge_mergepath_partition_config_static_selectorELNS0_4arch9wavefront6targetE1EEEvSJ_
	.globl	_ZN7rocprim17ROCPRIM_400000_NS6detail17trampoline_kernelINS0_14default_configENS1_38merge_sort_block_merge_config_selectorIddEEZZNS1_27merge_sort_block_merge_implIS3_N6thrust23THRUST_200600_302600_NS6detail15normal_iteratorINS8_10device_ptrIdEEEESD_jNS1_19radix_merge_compareILb0ELb0EdNS0_19identity_decomposerEEEEE10hipError_tT0_T1_T2_jT3_P12ihipStream_tbPNSt15iterator_traitsISI_E10value_typeEPNSO_ISJ_E10value_typeEPSK_NS1_7vsmem_tEENKUlT_SI_SJ_SK_E_clISD_PdSD_S10_EESH_SX_SI_SJ_SK_EUlSX_E_NS1_11comp_targetILNS1_3genE10ELNS1_11target_archE1201ELNS1_3gpuE5ELNS1_3repE0EEENS1_48merge_mergepath_partition_config_static_selectorELNS0_4arch9wavefront6targetE1EEEvSJ_
	.p2align	8
	.type	_ZN7rocprim17ROCPRIM_400000_NS6detail17trampoline_kernelINS0_14default_configENS1_38merge_sort_block_merge_config_selectorIddEEZZNS1_27merge_sort_block_merge_implIS3_N6thrust23THRUST_200600_302600_NS6detail15normal_iteratorINS8_10device_ptrIdEEEESD_jNS1_19radix_merge_compareILb0ELb0EdNS0_19identity_decomposerEEEEE10hipError_tT0_T1_T2_jT3_P12ihipStream_tbPNSt15iterator_traitsISI_E10value_typeEPNSO_ISJ_E10value_typeEPSK_NS1_7vsmem_tEENKUlT_SI_SJ_SK_E_clISD_PdSD_S10_EESH_SX_SI_SJ_SK_EUlSX_E_NS1_11comp_targetILNS1_3genE10ELNS1_11target_archE1201ELNS1_3gpuE5ELNS1_3repE0EEENS1_48merge_mergepath_partition_config_static_selectorELNS0_4arch9wavefront6targetE1EEEvSJ_,@function
_ZN7rocprim17ROCPRIM_400000_NS6detail17trampoline_kernelINS0_14default_configENS1_38merge_sort_block_merge_config_selectorIddEEZZNS1_27merge_sort_block_merge_implIS3_N6thrust23THRUST_200600_302600_NS6detail15normal_iteratorINS8_10device_ptrIdEEEESD_jNS1_19radix_merge_compareILb0ELb0EdNS0_19identity_decomposerEEEEE10hipError_tT0_T1_T2_jT3_P12ihipStream_tbPNSt15iterator_traitsISI_E10value_typeEPNSO_ISJ_E10value_typeEPSK_NS1_7vsmem_tEENKUlT_SI_SJ_SK_E_clISD_PdSD_S10_EESH_SX_SI_SJ_SK_EUlSX_E_NS1_11comp_targetILNS1_3genE10ELNS1_11target_archE1201ELNS1_3gpuE5ELNS1_3repE0EEENS1_48merge_mergepath_partition_config_static_selectorELNS0_4arch9wavefront6targetE1EEEvSJ_: ; @_ZN7rocprim17ROCPRIM_400000_NS6detail17trampoline_kernelINS0_14default_configENS1_38merge_sort_block_merge_config_selectorIddEEZZNS1_27merge_sort_block_merge_implIS3_N6thrust23THRUST_200600_302600_NS6detail15normal_iteratorINS8_10device_ptrIdEEEESD_jNS1_19radix_merge_compareILb0ELb0EdNS0_19identity_decomposerEEEEE10hipError_tT0_T1_T2_jT3_P12ihipStream_tbPNSt15iterator_traitsISI_E10value_typeEPNSO_ISJ_E10value_typeEPSK_NS1_7vsmem_tEENKUlT_SI_SJ_SK_E_clISD_PdSD_S10_EESH_SX_SI_SJ_SK_EUlSX_E_NS1_11comp_targetILNS1_3genE10ELNS1_11target_archE1201ELNS1_3gpuE5ELNS1_3repE0EEENS1_48merge_mergepath_partition_config_static_selectorELNS0_4arch9wavefront6targetE1EEEvSJ_
; %bb.0:
	.section	.rodata,"a",@progbits
	.p2align	6, 0x0
	.amdhsa_kernel _ZN7rocprim17ROCPRIM_400000_NS6detail17trampoline_kernelINS0_14default_configENS1_38merge_sort_block_merge_config_selectorIddEEZZNS1_27merge_sort_block_merge_implIS3_N6thrust23THRUST_200600_302600_NS6detail15normal_iteratorINS8_10device_ptrIdEEEESD_jNS1_19radix_merge_compareILb0ELb0EdNS0_19identity_decomposerEEEEE10hipError_tT0_T1_T2_jT3_P12ihipStream_tbPNSt15iterator_traitsISI_E10value_typeEPNSO_ISJ_E10value_typeEPSK_NS1_7vsmem_tEENKUlT_SI_SJ_SK_E_clISD_PdSD_S10_EESH_SX_SI_SJ_SK_EUlSX_E_NS1_11comp_targetILNS1_3genE10ELNS1_11target_archE1201ELNS1_3gpuE5ELNS1_3repE0EEENS1_48merge_mergepath_partition_config_static_selectorELNS0_4arch9wavefront6targetE1EEEvSJ_
		.amdhsa_group_segment_fixed_size 0
		.amdhsa_private_segment_fixed_size 0
		.amdhsa_kernarg_size 40
		.amdhsa_user_sgpr_count 2
		.amdhsa_user_sgpr_dispatch_ptr 0
		.amdhsa_user_sgpr_queue_ptr 0
		.amdhsa_user_sgpr_kernarg_segment_ptr 1
		.amdhsa_user_sgpr_dispatch_id 0
		.amdhsa_user_sgpr_kernarg_preload_length 0
		.amdhsa_user_sgpr_kernarg_preload_offset 0
		.amdhsa_user_sgpr_private_segment_size 0
		.amdhsa_uses_dynamic_stack 0
		.amdhsa_enable_private_segment 0
		.amdhsa_system_sgpr_workgroup_id_x 1
		.amdhsa_system_sgpr_workgroup_id_y 0
		.amdhsa_system_sgpr_workgroup_id_z 0
		.amdhsa_system_sgpr_workgroup_info 0
		.amdhsa_system_vgpr_workitem_id 0
		.amdhsa_next_free_vgpr 1
		.amdhsa_next_free_sgpr 0
		.amdhsa_accum_offset 4
		.amdhsa_reserve_vcc 0
		.amdhsa_float_round_mode_32 0
		.amdhsa_float_round_mode_16_64 0
		.amdhsa_float_denorm_mode_32 3
		.amdhsa_float_denorm_mode_16_64 3
		.amdhsa_dx10_clamp 1
		.amdhsa_ieee_mode 1
		.amdhsa_fp16_overflow 0
		.amdhsa_tg_split 0
		.amdhsa_exception_fp_ieee_invalid_op 0
		.amdhsa_exception_fp_denorm_src 0
		.amdhsa_exception_fp_ieee_div_zero 0
		.amdhsa_exception_fp_ieee_overflow 0
		.amdhsa_exception_fp_ieee_underflow 0
		.amdhsa_exception_fp_ieee_inexact 0
		.amdhsa_exception_int_div_zero 0
	.end_amdhsa_kernel
	.section	.text._ZN7rocprim17ROCPRIM_400000_NS6detail17trampoline_kernelINS0_14default_configENS1_38merge_sort_block_merge_config_selectorIddEEZZNS1_27merge_sort_block_merge_implIS3_N6thrust23THRUST_200600_302600_NS6detail15normal_iteratorINS8_10device_ptrIdEEEESD_jNS1_19radix_merge_compareILb0ELb0EdNS0_19identity_decomposerEEEEE10hipError_tT0_T1_T2_jT3_P12ihipStream_tbPNSt15iterator_traitsISI_E10value_typeEPNSO_ISJ_E10value_typeEPSK_NS1_7vsmem_tEENKUlT_SI_SJ_SK_E_clISD_PdSD_S10_EESH_SX_SI_SJ_SK_EUlSX_E_NS1_11comp_targetILNS1_3genE10ELNS1_11target_archE1201ELNS1_3gpuE5ELNS1_3repE0EEENS1_48merge_mergepath_partition_config_static_selectorELNS0_4arch9wavefront6targetE1EEEvSJ_,"axG",@progbits,_ZN7rocprim17ROCPRIM_400000_NS6detail17trampoline_kernelINS0_14default_configENS1_38merge_sort_block_merge_config_selectorIddEEZZNS1_27merge_sort_block_merge_implIS3_N6thrust23THRUST_200600_302600_NS6detail15normal_iteratorINS8_10device_ptrIdEEEESD_jNS1_19radix_merge_compareILb0ELb0EdNS0_19identity_decomposerEEEEE10hipError_tT0_T1_T2_jT3_P12ihipStream_tbPNSt15iterator_traitsISI_E10value_typeEPNSO_ISJ_E10value_typeEPSK_NS1_7vsmem_tEENKUlT_SI_SJ_SK_E_clISD_PdSD_S10_EESH_SX_SI_SJ_SK_EUlSX_E_NS1_11comp_targetILNS1_3genE10ELNS1_11target_archE1201ELNS1_3gpuE5ELNS1_3repE0EEENS1_48merge_mergepath_partition_config_static_selectorELNS0_4arch9wavefront6targetE1EEEvSJ_,comdat
.Lfunc_end50:
	.size	_ZN7rocprim17ROCPRIM_400000_NS6detail17trampoline_kernelINS0_14default_configENS1_38merge_sort_block_merge_config_selectorIddEEZZNS1_27merge_sort_block_merge_implIS3_N6thrust23THRUST_200600_302600_NS6detail15normal_iteratorINS8_10device_ptrIdEEEESD_jNS1_19radix_merge_compareILb0ELb0EdNS0_19identity_decomposerEEEEE10hipError_tT0_T1_T2_jT3_P12ihipStream_tbPNSt15iterator_traitsISI_E10value_typeEPNSO_ISJ_E10value_typeEPSK_NS1_7vsmem_tEENKUlT_SI_SJ_SK_E_clISD_PdSD_S10_EESH_SX_SI_SJ_SK_EUlSX_E_NS1_11comp_targetILNS1_3genE10ELNS1_11target_archE1201ELNS1_3gpuE5ELNS1_3repE0EEENS1_48merge_mergepath_partition_config_static_selectorELNS0_4arch9wavefront6targetE1EEEvSJ_, .Lfunc_end50-_ZN7rocprim17ROCPRIM_400000_NS6detail17trampoline_kernelINS0_14default_configENS1_38merge_sort_block_merge_config_selectorIddEEZZNS1_27merge_sort_block_merge_implIS3_N6thrust23THRUST_200600_302600_NS6detail15normal_iteratorINS8_10device_ptrIdEEEESD_jNS1_19radix_merge_compareILb0ELb0EdNS0_19identity_decomposerEEEEE10hipError_tT0_T1_T2_jT3_P12ihipStream_tbPNSt15iterator_traitsISI_E10value_typeEPNSO_ISJ_E10value_typeEPSK_NS1_7vsmem_tEENKUlT_SI_SJ_SK_E_clISD_PdSD_S10_EESH_SX_SI_SJ_SK_EUlSX_E_NS1_11comp_targetILNS1_3genE10ELNS1_11target_archE1201ELNS1_3gpuE5ELNS1_3repE0EEENS1_48merge_mergepath_partition_config_static_selectorELNS0_4arch9wavefront6targetE1EEEvSJ_
                                        ; -- End function
	.set _ZN7rocprim17ROCPRIM_400000_NS6detail17trampoline_kernelINS0_14default_configENS1_38merge_sort_block_merge_config_selectorIddEEZZNS1_27merge_sort_block_merge_implIS3_N6thrust23THRUST_200600_302600_NS6detail15normal_iteratorINS8_10device_ptrIdEEEESD_jNS1_19radix_merge_compareILb0ELb0EdNS0_19identity_decomposerEEEEE10hipError_tT0_T1_T2_jT3_P12ihipStream_tbPNSt15iterator_traitsISI_E10value_typeEPNSO_ISJ_E10value_typeEPSK_NS1_7vsmem_tEENKUlT_SI_SJ_SK_E_clISD_PdSD_S10_EESH_SX_SI_SJ_SK_EUlSX_E_NS1_11comp_targetILNS1_3genE10ELNS1_11target_archE1201ELNS1_3gpuE5ELNS1_3repE0EEENS1_48merge_mergepath_partition_config_static_selectorELNS0_4arch9wavefront6targetE1EEEvSJ_.num_vgpr, 0
	.set _ZN7rocprim17ROCPRIM_400000_NS6detail17trampoline_kernelINS0_14default_configENS1_38merge_sort_block_merge_config_selectorIddEEZZNS1_27merge_sort_block_merge_implIS3_N6thrust23THRUST_200600_302600_NS6detail15normal_iteratorINS8_10device_ptrIdEEEESD_jNS1_19radix_merge_compareILb0ELb0EdNS0_19identity_decomposerEEEEE10hipError_tT0_T1_T2_jT3_P12ihipStream_tbPNSt15iterator_traitsISI_E10value_typeEPNSO_ISJ_E10value_typeEPSK_NS1_7vsmem_tEENKUlT_SI_SJ_SK_E_clISD_PdSD_S10_EESH_SX_SI_SJ_SK_EUlSX_E_NS1_11comp_targetILNS1_3genE10ELNS1_11target_archE1201ELNS1_3gpuE5ELNS1_3repE0EEENS1_48merge_mergepath_partition_config_static_selectorELNS0_4arch9wavefront6targetE1EEEvSJ_.num_agpr, 0
	.set _ZN7rocprim17ROCPRIM_400000_NS6detail17trampoline_kernelINS0_14default_configENS1_38merge_sort_block_merge_config_selectorIddEEZZNS1_27merge_sort_block_merge_implIS3_N6thrust23THRUST_200600_302600_NS6detail15normal_iteratorINS8_10device_ptrIdEEEESD_jNS1_19radix_merge_compareILb0ELb0EdNS0_19identity_decomposerEEEEE10hipError_tT0_T1_T2_jT3_P12ihipStream_tbPNSt15iterator_traitsISI_E10value_typeEPNSO_ISJ_E10value_typeEPSK_NS1_7vsmem_tEENKUlT_SI_SJ_SK_E_clISD_PdSD_S10_EESH_SX_SI_SJ_SK_EUlSX_E_NS1_11comp_targetILNS1_3genE10ELNS1_11target_archE1201ELNS1_3gpuE5ELNS1_3repE0EEENS1_48merge_mergepath_partition_config_static_selectorELNS0_4arch9wavefront6targetE1EEEvSJ_.numbered_sgpr, 0
	.set _ZN7rocprim17ROCPRIM_400000_NS6detail17trampoline_kernelINS0_14default_configENS1_38merge_sort_block_merge_config_selectorIddEEZZNS1_27merge_sort_block_merge_implIS3_N6thrust23THRUST_200600_302600_NS6detail15normal_iteratorINS8_10device_ptrIdEEEESD_jNS1_19radix_merge_compareILb0ELb0EdNS0_19identity_decomposerEEEEE10hipError_tT0_T1_T2_jT3_P12ihipStream_tbPNSt15iterator_traitsISI_E10value_typeEPNSO_ISJ_E10value_typeEPSK_NS1_7vsmem_tEENKUlT_SI_SJ_SK_E_clISD_PdSD_S10_EESH_SX_SI_SJ_SK_EUlSX_E_NS1_11comp_targetILNS1_3genE10ELNS1_11target_archE1201ELNS1_3gpuE5ELNS1_3repE0EEENS1_48merge_mergepath_partition_config_static_selectorELNS0_4arch9wavefront6targetE1EEEvSJ_.num_named_barrier, 0
	.set _ZN7rocprim17ROCPRIM_400000_NS6detail17trampoline_kernelINS0_14default_configENS1_38merge_sort_block_merge_config_selectorIddEEZZNS1_27merge_sort_block_merge_implIS3_N6thrust23THRUST_200600_302600_NS6detail15normal_iteratorINS8_10device_ptrIdEEEESD_jNS1_19radix_merge_compareILb0ELb0EdNS0_19identity_decomposerEEEEE10hipError_tT0_T1_T2_jT3_P12ihipStream_tbPNSt15iterator_traitsISI_E10value_typeEPNSO_ISJ_E10value_typeEPSK_NS1_7vsmem_tEENKUlT_SI_SJ_SK_E_clISD_PdSD_S10_EESH_SX_SI_SJ_SK_EUlSX_E_NS1_11comp_targetILNS1_3genE10ELNS1_11target_archE1201ELNS1_3gpuE5ELNS1_3repE0EEENS1_48merge_mergepath_partition_config_static_selectorELNS0_4arch9wavefront6targetE1EEEvSJ_.private_seg_size, 0
	.set _ZN7rocprim17ROCPRIM_400000_NS6detail17trampoline_kernelINS0_14default_configENS1_38merge_sort_block_merge_config_selectorIddEEZZNS1_27merge_sort_block_merge_implIS3_N6thrust23THRUST_200600_302600_NS6detail15normal_iteratorINS8_10device_ptrIdEEEESD_jNS1_19radix_merge_compareILb0ELb0EdNS0_19identity_decomposerEEEEE10hipError_tT0_T1_T2_jT3_P12ihipStream_tbPNSt15iterator_traitsISI_E10value_typeEPNSO_ISJ_E10value_typeEPSK_NS1_7vsmem_tEENKUlT_SI_SJ_SK_E_clISD_PdSD_S10_EESH_SX_SI_SJ_SK_EUlSX_E_NS1_11comp_targetILNS1_3genE10ELNS1_11target_archE1201ELNS1_3gpuE5ELNS1_3repE0EEENS1_48merge_mergepath_partition_config_static_selectorELNS0_4arch9wavefront6targetE1EEEvSJ_.uses_vcc, 0
	.set _ZN7rocprim17ROCPRIM_400000_NS6detail17trampoline_kernelINS0_14default_configENS1_38merge_sort_block_merge_config_selectorIddEEZZNS1_27merge_sort_block_merge_implIS3_N6thrust23THRUST_200600_302600_NS6detail15normal_iteratorINS8_10device_ptrIdEEEESD_jNS1_19radix_merge_compareILb0ELb0EdNS0_19identity_decomposerEEEEE10hipError_tT0_T1_T2_jT3_P12ihipStream_tbPNSt15iterator_traitsISI_E10value_typeEPNSO_ISJ_E10value_typeEPSK_NS1_7vsmem_tEENKUlT_SI_SJ_SK_E_clISD_PdSD_S10_EESH_SX_SI_SJ_SK_EUlSX_E_NS1_11comp_targetILNS1_3genE10ELNS1_11target_archE1201ELNS1_3gpuE5ELNS1_3repE0EEENS1_48merge_mergepath_partition_config_static_selectorELNS0_4arch9wavefront6targetE1EEEvSJ_.uses_flat_scratch, 0
	.set _ZN7rocprim17ROCPRIM_400000_NS6detail17trampoline_kernelINS0_14default_configENS1_38merge_sort_block_merge_config_selectorIddEEZZNS1_27merge_sort_block_merge_implIS3_N6thrust23THRUST_200600_302600_NS6detail15normal_iteratorINS8_10device_ptrIdEEEESD_jNS1_19radix_merge_compareILb0ELb0EdNS0_19identity_decomposerEEEEE10hipError_tT0_T1_T2_jT3_P12ihipStream_tbPNSt15iterator_traitsISI_E10value_typeEPNSO_ISJ_E10value_typeEPSK_NS1_7vsmem_tEENKUlT_SI_SJ_SK_E_clISD_PdSD_S10_EESH_SX_SI_SJ_SK_EUlSX_E_NS1_11comp_targetILNS1_3genE10ELNS1_11target_archE1201ELNS1_3gpuE5ELNS1_3repE0EEENS1_48merge_mergepath_partition_config_static_selectorELNS0_4arch9wavefront6targetE1EEEvSJ_.has_dyn_sized_stack, 0
	.set _ZN7rocprim17ROCPRIM_400000_NS6detail17trampoline_kernelINS0_14default_configENS1_38merge_sort_block_merge_config_selectorIddEEZZNS1_27merge_sort_block_merge_implIS3_N6thrust23THRUST_200600_302600_NS6detail15normal_iteratorINS8_10device_ptrIdEEEESD_jNS1_19radix_merge_compareILb0ELb0EdNS0_19identity_decomposerEEEEE10hipError_tT0_T1_T2_jT3_P12ihipStream_tbPNSt15iterator_traitsISI_E10value_typeEPNSO_ISJ_E10value_typeEPSK_NS1_7vsmem_tEENKUlT_SI_SJ_SK_E_clISD_PdSD_S10_EESH_SX_SI_SJ_SK_EUlSX_E_NS1_11comp_targetILNS1_3genE10ELNS1_11target_archE1201ELNS1_3gpuE5ELNS1_3repE0EEENS1_48merge_mergepath_partition_config_static_selectorELNS0_4arch9wavefront6targetE1EEEvSJ_.has_recursion, 0
	.set _ZN7rocprim17ROCPRIM_400000_NS6detail17trampoline_kernelINS0_14default_configENS1_38merge_sort_block_merge_config_selectorIddEEZZNS1_27merge_sort_block_merge_implIS3_N6thrust23THRUST_200600_302600_NS6detail15normal_iteratorINS8_10device_ptrIdEEEESD_jNS1_19radix_merge_compareILb0ELb0EdNS0_19identity_decomposerEEEEE10hipError_tT0_T1_T2_jT3_P12ihipStream_tbPNSt15iterator_traitsISI_E10value_typeEPNSO_ISJ_E10value_typeEPSK_NS1_7vsmem_tEENKUlT_SI_SJ_SK_E_clISD_PdSD_S10_EESH_SX_SI_SJ_SK_EUlSX_E_NS1_11comp_targetILNS1_3genE10ELNS1_11target_archE1201ELNS1_3gpuE5ELNS1_3repE0EEENS1_48merge_mergepath_partition_config_static_selectorELNS0_4arch9wavefront6targetE1EEEvSJ_.has_indirect_call, 0
	.section	.AMDGPU.csdata,"",@progbits
; Kernel info:
; codeLenInByte = 0
; TotalNumSgprs: 6
; NumVgprs: 0
; NumAgprs: 0
; TotalNumVgprs: 0
; ScratchSize: 0
; MemoryBound: 0
; FloatMode: 240
; IeeeMode: 1
; LDSByteSize: 0 bytes/workgroup (compile time only)
; SGPRBlocks: 0
; VGPRBlocks: 0
; NumSGPRsForWavesPerEU: 6
; NumVGPRsForWavesPerEU: 1
; AccumOffset: 4
; Occupancy: 8
; WaveLimiterHint : 0
; COMPUTE_PGM_RSRC2:SCRATCH_EN: 0
; COMPUTE_PGM_RSRC2:USER_SGPR: 2
; COMPUTE_PGM_RSRC2:TRAP_HANDLER: 0
; COMPUTE_PGM_RSRC2:TGID_X_EN: 1
; COMPUTE_PGM_RSRC2:TGID_Y_EN: 0
; COMPUTE_PGM_RSRC2:TGID_Z_EN: 0
; COMPUTE_PGM_RSRC2:TIDIG_COMP_CNT: 0
; COMPUTE_PGM_RSRC3_GFX90A:ACCUM_OFFSET: 0
; COMPUTE_PGM_RSRC3_GFX90A:TG_SPLIT: 0
	.section	.text._ZN7rocprim17ROCPRIM_400000_NS6detail17trampoline_kernelINS0_14default_configENS1_38merge_sort_block_merge_config_selectorIddEEZZNS1_27merge_sort_block_merge_implIS3_N6thrust23THRUST_200600_302600_NS6detail15normal_iteratorINS8_10device_ptrIdEEEESD_jNS1_19radix_merge_compareILb0ELb0EdNS0_19identity_decomposerEEEEE10hipError_tT0_T1_T2_jT3_P12ihipStream_tbPNSt15iterator_traitsISI_E10value_typeEPNSO_ISJ_E10value_typeEPSK_NS1_7vsmem_tEENKUlT_SI_SJ_SK_E_clISD_PdSD_S10_EESH_SX_SI_SJ_SK_EUlSX_E_NS1_11comp_targetILNS1_3genE5ELNS1_11target_archE942ELNS1_3gpuE9ELNS1_3repE0EEENS1_48merge_mergepath_partition_config_static_selectorELNS0_4arch9wavefront6targetE1EEEvSJ_,"axG",@progbits,_ZN7rocprim17ROCPRIM_400000_NS6detail17trampoline_kernelINS0_14default_configENS1_38merge_sort_block_merge_config_selectorIddEEZZNS1_27merge_sort_block_merge_implIS3_N6thrust23THRUST_200600_302600_NS6detail15normal_iteratorINS8_10device_ptrIdEEEESD_jNS1_19radix_merge_compareILb0ELb0EdNS0_19identity_decomposerEEEEE10hipError_tT0_T1_T2_jT3_P12ihipStream_tbPNSt15iterator_traitsISI_E10value_typeEPNSO_ISJ_E10value_typeEPSK_NS1_7vsmem_tEENKUlT_SI_SJ_SK_E_clISD_PdSD_S10_EESH_SX_SI_SJ_SK_EUlSX_E_NS1_11comp_targetILNS1_3genE5ELNS1_11target_archE942ELNS1_3gpuE9ELNS1_3repE0EEENS1_48merge_mergepath_partition_config_static_selectorELNS0_4arch9wavefront6targetE1EEEvSJ_,comdat
	.protected	_ZN7rocprim17ROCPRIM_400000_NS6detail17trampoline_kernelINS0_14default_configENS1_38merge_sort_block_merge_config_selectorIddEEZZNS1_27merge_sort_block_merge_implIS3_N6thrust23THRUST_200600_302600_NS6detail15normal_iteratorINS8_10device_ptrIdEEEESD_jNS1_19radix_merge_compareILb0ELb0EdNS0_19identity_decomposerEEEEE10hipError_tT0_T1_T2_jT3_P12ihipStream_tbPNSt15iterator_traitsISI_E10value_typeEPNSO_ISJ_E10value_typeEPSK_NS1_7vsmem_tEENKUlT_SI_SJ_SK_E_clISD_PdSD_S10_EESH_SX_SI_SJ_SK_EUlSX_E_NS1_11comp_targetILNS1_3genE5ELNS1_11target_archE942ELNS1_3gpuE9ELNS1_3repE0EEENS1_48merge_mergepath_partition_config_static_selectorELNS0_4arch9wavefront6targetE1EEEvSJ_ ; -- Begin function _ZN7rocprim17ROCPRIM_400000_NS6detail17trampoline_kernelINS0_14default_configENS1_38merge_sort_block_merge_config_selectorIddEEZZNS1_27merge_sort_block_merge_implIS3_N6thrust23THRUST_200600_302600_NS6detail15normal_iteratorINS8_10device_ptrIdEEEESD_jNS1_19radix_merge_compareILb0ELb0EdNS0_19identity_decomposerEEEEE10hipError_tT0_T1_T2_jT3_P12ihipStream_tbPNSt15iterator_traitsISI_E10value_typeEPNSO_ISJ_E10value_typeEPSK_NS1_7vsmem_tEENKUlT_SI_SJ_SK_E_clISD_PdSD_S10_EESH_SX_SI_SJ_SK_EUlSX_E_NS1_11comp_targetILNS1_3genE5ELNS1_11target_archE942ELNS1_3gpuE9ELNS1_3repE0EEENS1_48merge_mergepath_partition_config_static_selectorELNS0_4arch9wavefront6targetE1EEEvSJ_
	.globl	_ZN7rocprim17ROCPRIM_400000_NS6detail17trampoline_kernelINS0_14default_configENS1_38merge_sort_block_merge_config_selectorIddEEZZNS1_27merge_sort_block_merge_implIS3_N6thrust23THRUST_200600_302600_NS6detail15normal_iteratorINS8_10device_ptrIdEEEESD_jNS1_19radix_merge_compareILb0ELb0EdNS0_19identity_decomposerEEEEE10hipError_tT0_T1_T2_jT3_P12ihipStream_tbPNSt15iterator_traitsISI_E10value_typeEPNSO_ISJ_E10value_typeEPSK_NS1_7vsmem_tEENKUlT_SI_SJ_SK_E_clISD_PdSD_S10_EESH_SX_SI_SJ_SK_EUlSX_E_NS1_11comp_targetILNS1_3genE5ELNS1_11target_archE942ELNS1_3gpuE9ELNS1_3repE0EEENS1_48merge_mergepath_partition_config_static_selectorELNS0_4arch9wavefront6targetE1EEEvSJ_
	.p2align	8
	.type	_ZN7rocprim17ROCPRIM_400000_NS6detail17trampoline_kernelINS0_14default_configENS1_38merge_sort_block_merge_config_selectorIddEEZZNS1_27merge_sort_block_merge_implIS3_N6thrust23THRUST_200600_302600_NS6detail15normal_iteratorINS8_10device_ptrIdEEEESD_jNS1_19radix_merge_compareILb0ELb0EdNS0_19identity_decomposerEEEEE10hipError_tT0_T1_T2_jT3_P12ihipStream_tbPNSt15iterator_traitsISI_E10value_typeEPNSO_ISJ_E10value_typeEPSK_NS1_7vsmem_tEENKUlT_SI_SJ_SK_E_clISD_PdSD_S10_EESH_SX_SI_SJ_SK_EUlSX_E_NS1_11comp_targetILNS1_3genE5ELNS1_11target_archE942ELNS1_3gpuE9ELNS1_3repE0EEENS1_48merge_mergepath_partition_config_static_selectorELNS0_4arch9wavefront6targetE1EEEvSJ_,@function
_ZN7rocprim17ROCPRIM_400000_NS6detail17trampoline_kernelINS0_14default_configENS1_38merge_sort_block_merge_config_selectorIddEEZZNS1_27merge_sort_block_merge_implIS3_N6thrust23THRUST_200600_302600_NS6detail15normal_iteratorINS8_10device_ptrIdEEEESD_jNS1_19radix_merge_compareILb0ELb0EdNS0_19identity_decomposerEEEEE10hipError_tT0_T1_T2_jT3_P12ihipStream_tbPNSt15iterator_traitsISI_E10value_typeEPNSO_ISJ_E10value_typeEPSK_NS1_7vsmem_tEENKUlT_SI_SJ_SK_E_clISD_PdSD_S10_EESH_SX_SI_SJ_SK_EUlSX_E_NS1_11comp_targetILNS1_3genE5ELNS1_11target_archE942ELNS1_3gpuE9ELNS1_3repE0EEENS1_48merge_mergepath_partition_config_static_selectorELNS0_4arch9wavefront6targetE1EEEvSJ_: ; @_ZN7rocprim17ROCPRIM_400000_NS6detail17trampoline_kernelINS0_14default_configENS1_38merge_sort_block_merge_config_selectorIddEEZZNS1_27merge_sort_block_merge_implIS3_N6thrust23THRUST_200600_302600_NS6detail15normal_iteratorINS8_10device_ptrIdEEEESD_jNS1_19radix_merge_compareILb0ELb0EdNS0_19identity_decomposerEEEEE10hipError_tT0_T1_T2_jT3_P12ihipStream_tbPNSt15iterator_traitsISI_E10value_typeEPNSO_ISJ_E10value_typeEPSK_NS1_7vsmem_tEENKUlT_SI_SJ_SK_E_clISD_PdSD_S10_EESH_SX_SI_SJ_SK_EUlSX_E_NS1_11comp_targetILNS1_3genE5ELNS1_11target_archE942ELNS1_3gpuE9ELNS1_3repE0EEENS1_48merge_mergepath_partition_config_static_selectorELNS0_4arch9wavefront6targetE1EEEvSJ_
; %bb.0:
	.section	.rodata,"a",@progbits
	.p2align	6, 0x0
	.amdhsa_kernel _ZN7rocprim17ROCPRIM_400000_NS6detail17trampoline_kernelINS0_14default_configENS1_38merge_sort_block_merge_config_selectorIddEEZZNS1_27merge_sort_block_merge_implIS3_N6thrust23THRUST_200600_302600_NS6detail15normal_iteratorINS8_10device_ptrIdEEEESD_jNS1_19radix_merge_compareILb0ELb0EdNS0_19identity_decomposerEEEEE10hipError_tT0_T1_T2_jT3_P12ihipStream_tbPNSt15iterator_traitsISI_E10value_typeEPNSO_ISJ_E10value_typeEPSK_NS1_7vsmem_tEENKUlT_SI_SJ_SK_E_clISD_PdSD_S10_EESH_SX_SI_SJ_SK_EUlSX_E_NS1_11comp_targetILNS1_3genE5ELNS1_11target_archE942ELNS1_3gpuE9ELNS1_3repE0EEENS1_48merge_mergepath_partition_config_static_selectorELNS0_4arch9wavefront6targetE1EEEvSJ_
		.amdhsa_group_segment_fixed_size 0
		.amdhsa_private_segment_fixed_size 0
		.amdhsa_kernarg_size 40
		.amdhsa_user_sgpr_count 2
		.amdhsa_user_sgpr_dispatch_ptr 0
		.amdhsa_user_sgpr_queue_ptr 0
		.amdhsa_user_sgpr_kernarg_segment_ptr 1
		.amdhsa_user_sgpr_dispatch_id 0
		.amdhsa_user_sgpr_kernarg_preload_length 0
		.amdhsa_user_sgpr_kernarg_preload_offset 0
		.amdhsa_user_sgpr_private_segment_size 0
		.amdhsa_uses_dynamic_stack 0
		.amdhsa_enable_private_segment 0
		.amdhsa_system_sgpr_workgroup_id_x 1
		.amdhsa_system_sgpr_workgroup_id_y 0
		.amdhsa_system_sgpr_workgroup_id_z 0
		.amdhsa_system_sgpr_workgroup_info 0
		.amdhsa_system_vgpr_workitem_id 0
		.amdhsa_next_free_vgpr 1
		.amdhsa_next_free_sgpr 0
		.amdhsa_accum_offset 4
		.amdhsa_reserve_vcc 0
		.amdhsa_float_round_mode_32 0
		.amdhsa_float_round_mode_16_64 0
		.amdhsa_float_denorm_mode_32 3
		.amdhsa_float_denorm_mode_16_64 3
		.amdhsa_dx10_clamp 1
		.amdhsa_ieee_mode 1
		.amdhsa_fp16_overflow 0
		.amdhsa_tg_split 0
		.amdhsa_exception_fp_ieee_invalid_op 0
		.amdhsa_exception_fp_denorm_src 0
		.amdhsa_exception_fp_ieee_div_zero 0
		.amdhsa_exception_fp_ieee_overflow 0
		.amdhsa_exception_fp_ieee_underflow 0
		.amdhsa_exception_fp_ieee_inexact 0
		.amdhsa_exception_int_div_zero 0
	.end_amdhsa_kernel
	.section	.text._ZN7rocprim17ROCPRIM_400000_NS6detail17trampoline_kernelINS0_14default_configENS1_38merge_sort_block_merge_config_selectorIddEEZZNS1_27merge_sort_block_merge_implIS3_N6thrust23THRUST_200600_302600_NS6detail15normal_iteratorINS8_10device_ptrIdEEEESD_jNS1_19radix_merge_compareILb0ELb0EdNS0_19identity_decomposerEEEEE10hipError_tT0_T1_T2_jT3_P12ihipStream_tbPNSt15iterator_traitsISI_E10value_typeEPNSO_ISJ_E10value_typeEPSK_NS1_7vsmem_tEENKUlT_SI_SJ_SK_E_clISD_PdSD_S10_EESH_SX_SI_SJ_SK_EUlSX_E_NS1_11comp_targetILNS1_3genE5ELNS1_11target_archE942ELNS1_3gpuE9ELNS1_3repE0EEENS1_48merge_mergepath_partition_config_static_selectorELNS0_4arch9wavefront6targetE1EEEvSJ_,"axG",@progbits,_ZN7rocprim17ROCPRIM_400000_NS6detail17trampoline_kernelINS0_14default_configENS1_38merge_sort_block_merge_config_selectorIddEEZZNS1_27merge_sort_block_merge_implIS3_N6thrust23THRUST_200600_302600_NS6detail15normal_iteratorINS8_10device_ptrIdEEEESD_jNS1_19radix_merge_compareILb0ELb0EdNS0_19identity_decomposerEEEEE10hipError_tT0_T1_T2_jT3_P12ihipStream_tbPNSt15iterator_traitsISI_E10value_typeEPNSO_ISJ_E10value_typeEPSK_NS1_7vsmem_tEENKUlT_SI_SJ_SK_E_clISD_PdSD_S10_EESH_SX_SI_SJ_SK_EUlSX_E_NS1_11comp_targetILNS1_3genE5ELNS1_11target_archE942ELNS1_3gpuE9ELNS1_3repE0EEENS1_48merge_mergepath_partition_config_static_selectorELNS0_4arch9wavefront6targetE1EEEvSJ_,comdat
.Lfunc_end51:
	.size	_ZN7rocprim17ROCPRIM_400000_NS6detail17trampoline_kernelINS0_14default_configENS1_38merge_sort_block_merge_config_selectorIddEEZZNS1_27merge_sort_block_merge_implIS3_N6thrust23THRUST_200600_302600_NS6detail15normal_iteratorINS8_10device_ptrIdEEEESD_jNS1_19radix_merge_compareILb0ELb0EdNS0_19identity_decomposerEEEEE10hipError_tT0_T1_T2_jT3_P12ihipStream_tbPNSt15iterator_traitsISI_E10value_typeEPNSO_ISJ_E10value_typeEPSK_NS1_7vsmem_tEENKUlT_SI_SJ_SK_E_clISD_PdSD_S10_EESH_SX_SI_SJ_SK_EUlSX_E_NS1_11comp_targetILNS1_3genE5ELNS1_11target_archE942ELNS1_3gpuE9ELNS1_3repE0EEENS1_48merge_mergepath_partition_config_static_selectorELNS0_4arch9wavefront6targetE1EEEvSJ_, .Lfunc_end51-_ZN7rocprim17ROCPRIM_400000_NS6detail17trampoline_kernelINS0_14default_configENS1_38merge_sort_block_merge_config_selectorIddEEZZNS1_27merge_sort_block_merge_implIS3_N6thrust23THRUST_200600_302600_NS6detail15normal_iteratorINS8_10device_ptrIdEEEESD_jNS1_19radix_merge_compareILb0ELb0EdNS0_19identity_decomposerEEEEE10hipError_tT0_T1_T2_jT3_P12ihipStream_tbPNSt15iterator_traitsISI_E10value_typeEPNSO_ISJ_E10value_typeEPSK_NS1_7vsmem_tEENKUlT_SI_SJ_SK_E_clISD_PdSD_S10_EESH_SX_SI_SJ_SK_EUlSX_E_NS1_11comp_targetILNS1_3genE5ELNS1_11target_archE942ELNS1_3gpuE9ELNS1_3repE0EEENS1_48merge_mergepath_partition_config_static_selectorELNS0_4arch9wavefront6targetE1EEEvSJ_
                                        ; -- End function
	.set _ZN7rocprim17ROCPRIM_400000_NS6detail17trampoline_kernelINS0_14default_configENS1_38merge_sort_block_merge_config_selectorIddEEZZNS1_27merge_sort_block_merge_implIS3_N6thrust23THRUST_200600_302600_NS6detail15normal_iteratorINS8_10device_ptrIdEEEESD_jNS1_19radix_merge_compareILb0ELb0EdNS0_19identity_decomposerEEEEE10hipError_tT0_T1_T2_jT3_P12ihipStream_tbPNSt15iterator_traitsISI_E10value_typeEPNSO_ISJ_E10value_typeEPSK_NS1_7vsmem_tEENKUlT_SI_SJ_SK_E_clISD_PdSD_S10_EESH_SX_SI_SJ_SK_EUlSX_E_NS1_11comp_targetILNS1_3genE5ELNS1_11target_archE942ELNS1_3gpuE9ELNS1_3repE0EEENS1_48merge_mergepath_partition_config_static_selectorELNS0_4arch9wavefront6targetE1EEEvSJ_.num_vgpr, 0
	.set _ZN7rocprim17ROCPRIM_400000_NS6detail17trampoline_kernelINS0_14default_configENS1_38merge_sort_block_merge_config_selectorIddEEZZNS1_27merge_sort_block_merge_implIS3_N6thrust23THRUST_200600_302600_NS6detail15normal_iteratorINS8_10device_ptrIdEEEESD_jNS1_19radix_merge_compareILb0ELb0EdNS0_19identity_decomposerEEEEE10hipError_tT0_T1_T2_jT3_P12ihipStream_tbPNSt15iterator_traitsISI_E10value_typeEPNSO_ISJ_E10value_typeEPSK_NS1_7vsmem_tEENKUlT_SI_SJ_SK_E_clISD_PdSD_S10_EESH_SX_SI_SJ_SK_EUlSX_E_NS1_11comp_targetILNS1_3genE5ELNS1_11target_archE942ELNS1_3gpuE9ELNS1_3repE0EEENS1_48merge_mergepath_partition_config_static_selectorELNS0_4arch9wavefront6targetE1EEEvSJ_.num_agpr, 0
	.set _ZN7rocprim17ROCPRIM_400000_NS6detail17trampoline_kernelINS0_14default_configENS1_38merge_sort_block_merge_config_selectorIddEEZZNS1_27merge_sort_block_merge_implIS3_N6thrust23THRUST_200600_302600_NS6detail15normal_iteratorINS8_10device_ptrIdEEEESD_jNS1_19radix_merge_compareILb0ELb0EdNS0_19identity_decomposerEEEEE10hipError_tT0_T1_T2_jT3_P12ihipStream_tbPNSt15iterator_traitsISI_E10value_typeEPNSO_ISJ_E10value_typeEPSK_NS1_7vsmem_tEENKUlT_SI_SJ_SK_E_clISD_PdSD_S10_EESH_SX_SI_SJ_SK_EUlSX_E_NS1_11comp_targetILNS1_3genE5ELNS1_11target_archE942ELNS1_3gpuE9ELNS1_3repE0EEENS1_48merge_mergepath_partition_config_static_selectorELNS0_4arch9wavefront6targetE1EEEvSJ_.numbered_sgpr, 0
	.set _ZN7rocprim17ROCPRIM_400000_NS6detail17trampoline_kernelINS0_14default_configENS1_38merge_sort_block_merge_config_selectorIddEEZZNS1_27merge_sort_block_merge_implIS3_N6thrust23THRUST_200600_302600_NS6detail15normal_iteratorINS8_10device_ptrIdEEEESD_jNS1_19radix_merge_compareILb0ELb0EdNS0_19identity_decomposerEEEEE10hipError_tT0_T1_T2_jT3_P12ihipStream_tbPNSt15iterator_traitsISI_E10value_typeEPNSO_ISJ_E10value_typeEPSK_NS1_7vsmem_tEENKUlT_SI_SJ_SK_E_clISD_PdSD_S10_EESH_SX_SI_SJ_SK_EUlSX_E_NS1_11comp_targetILNS1_3genE5ELNS1_11target_archE942ELNS1_3gpuE9ELNS1_3repE0EEENS1_48merge_mergepath_partition_config_static_selectorELNS0_4arch9wavefront6targetE1EEEvSJ_.num_named_barrier, 0
	.set _ZN7rocprim17ROCPRIM_400000_NS6detail17trampoline_kernelINS0_14default_configENS1_38merge_sort_block_merge_config_selectorIddEEZZNS1_27merge_sort_block_merge_implIS3_N6thrust23THRUST_200600_302600_NS6detail15normal_iteratorINS8_10device_ptrIdEEEESD_jNS1_19radix_merge_compareILb0ELb0EdNS0_19identity_decomposerEEEEE10hipError_tT0_T1_T2_jT3_P12ihipStream_tbPNSt15iterator_traitsISI_E10value_typeEPNSO_ISJ_E10value_typeEPSK_NS1_7vsmem_tEENKUlT_SI_SJ_SK_E_clISD_PdSD_S10_EESH_SX_SI_SJ_SK_EUlSX_E_NS1_11comp_targetILNS1_3genE5ELNS1_11target_archE942ELNS1_3gpuE9ELNS1_3repE0EEENS1_48merge_mergepath_partition_config_static_selectorELNS0_4arch9wavefront6targetE1EEEvSJ_.private_seg_size, 0
	.set _ZN7rocprim17ROCPRIM_400000_NS6detail17trampoline_kernelINS0_14default_configENS1_38merge_sort_block_merge_config_selectorIddEEZZNS1_27merge_sort_block_merge_implIS3_N6thrust23THRUST_200600_302600_NS6detail15normal_iteratorINS8_10device_ptrIdEEEESD_jNS1_19radix_merge_compareILb0ELb0EdNS0_19identity_decomposerEEEEE10hipError_tT0_T1_T2_jT3_P12ihipStream_tbPNSt15iterator_traitsISI_E10value_typeEPNSO_ISJ_E10value_typeEPSK_NS1_7vsmem_tEENKUlT_SI_SJ_SK_E_clISD_PdSD_S10_EESH_SX_SI_SJ_SK_EUlSX_E_NS1_11comp_targetILNS1_3genE5ELNS1_11target_archE942ELNS1_3gpuE9ELNS1_3repE0EEENS1_48merge_mergepath_partition_config_static_selectorELNS0_4arch9wavefront6targetE1EEEvSJ_.uses_vcc, 0
	.set _ZN7rocprim17ROCPRIM_400000_NS6detail17trampoline_kernelINS0_14default_configENS1_38merge_sort_block_merge_config_selectorIddEEZZNS1_27merge_sort_block_merge_implIS3_N6thrust23THRUST_200600_302600_NS6detail15normal_iteratorINS8_10device_ptrIdEEEESD_jNS1_19radix_merge_compareILb0ELb0EdNS0_19identity_decomposerEEEEE10hipError_tT0_T1_T2_jT3_P12ihipStream_tbPNSt15iterator_traitsISI_E10value_typeEPNSO_ISJ_E10value_typeEPSK_NS1_7vsmem_tEENKUlT_SI_SJ_SK_E_clISD_PdSD_S10_EESH_SX_SI_SJ_SK_EUlSX_E_NS1_11comp_targetILNS1_3genE5ELNS1_11target_archE942ELNS1_3gpuE9ELNS1_3repE0EEENS1_48merge_mergepath_partition_config_static_selectorELNS0_4arch9wavefront6targetE1EEEvSJ_.uses_flat_scratch, 0
	.set _ZN7rocprim17ROCPRIM_400000_NS6detail17trampoline_kernelINS0_14default_configENS1_38merge_sort_block_merge_config_selectorIddEEZZNS1_27merge_sort_block_merge_implIS3_N6thrust23THRUST_200600_302600_NS6detail15normal_iteratorINS8_10device_ptrIdEEEESD_jNS1_19radix_merge_compareILb0ELb0EdNS0_19identity_decomposerEEEEE10hipError_tT0_T1_T2_jT3_P12ihipStream_tbPNSt15iterator_traitsISI_E10value_typeEPNSO_ISJ_E10value_typeEPSK_NS1_7vsmem_tEENKUlT_SI_SJ_SK_E_clISD_PdSD_S10_EESH_SX_SI_SJ_SK_EUlSX_E_NS1_11comp_targetILNS1_3genE5ELNS1_11target_archE942ELNS1_3gpuE9ELNS1_3repE0EEENS1_48merge_mergepath_partition_config_static_selectorELNS0_4arch9wavefront6targetE1EEEvSJ_.has_dyn_sized_stack, 0
	.set _ZN7rocprim17ROCPRIM_400000_NS6detail17trampoline_kernelINS0_14default_configENS1_38merge_sort_block_merge_config_selectorIddEEZZNS1_27merge_sort_block_merge_implIS3_N6thrust23THRUST_200600_302600_NS6detail15normal_iteratorINS8_10device_ptrIdEEEESD_jNS1_19radix_merge_compareILb0ELb0EdNS0_19identity_decomposerEEEEE10hipError_tT0_T1_T2_jT3_P12ihipStream_tbPNSt15iterator_traitsISI_E10value_typeEPNSO_ISJ_E10value_typeEPSK_NS1_7vsmem_tEENKUlT_SI_SJ_SK_E_clISD_PdSD_S10_EESH_SX_SI_SJ_SK_EUlSX_E_NS1_11comp_targetILNS1_3genE5ELNS1_11target_archE942ELNS1_3gpuE9ELNS1_3repE0EEENS1_48merge_mergepath_partition_config_static_selectorELNS0_4arch9wavefront6targetE1EEEvSJ_.has_recursion, 0
	.set _ZN7rocprim17ROCPRIM_400000_NS6detail17trampoline_kernelINS0_14default_configENS1_38merge_sort_block_merge_config_selectorIddEEZZNS1_27merge_sort_block_merge_implIS3_N6thrust23THRUST_200600_302600_NS6detail15normal_iteratorINS8_10device_ptrIdEEEESD_jNS1_19radix_merge_compareILb0ELb0EdNS0_19identity_decomposerEEEEE10hipError_tT0_T1_T2_jT3_P12ihipStream_tbPNSt15iterator_traitsISI_E10value_typeEPNSO_ISJ_E10value_typeEPSK_NS1_7vsmem_tEENKUlT_SI_SJ_SK_E_clISD_PdSD_S10_EESH_SX_SI_SJ_SK_EUlSX_E_NS1_11comp_targetILNS1_3genE5ELNS1_11target_archE942ELNS1_3gpuE9ELNS1_3repE0EEENS1_48merge_mergepath_partition_config_static_selectorELNS0_4arch9wavefront6targetE1EEEvSJ_.has_indirect_call, 0
	.section	.AMDGPU.csdata,"",@progbits
; Kernel info:
; codeLenInByte = 0
; TotalNumSgprs: 6
; NumVgprs: 0
; NumAgprs: 0
; TotalNumVgprs: 0
; ScratchSize: 0
; MemoryBound: 0
; FloatMode: 240
; IeeeMode: 1
; LDSByteSize: 0 bytes/workgroup (compile time only)
; SGPRBlocks: 0
; VGPRBlocks: 0
; NumSGPRsForWavesPerEU: 6
; NumVGPRsForWavesPerEU: 1
; AccumOffset: 4
; Occupancy: 8
; WaveLimiterHint : 0
; COMPUTE_PGM_RSRC2:SCRATCH_EN: 0
; COMPUTE_PGM_RSRC2:USER_SGPR: 2
; COMPUTE_PGM_RSRC2:TRAP_HANDLER: 0
; COMPUTE_PGM_RSRC2:TGID_X_EN: 1
; COMPUTE_PGM_RSRC2:TGID_Y_EN: 0
; COMPUTE_PGM_RSRC2:TGID_Z_EN: 0
; COMPUTE_PGM_RSRC2:TIDIG_COMP_CNT: 0
; COMPUTE_PGM_RSRC3_GFX90A:ACCUM_OFFSET: 0
; COMPUTE_PGM_RSRC3_GFX90A:TG_SPLIT: 0
	.section	.text._ZN7rocprim17ROCPRIM_400000_NS6detail17trampoline_kernelINS0_14default_configENS1_38merge_sort_block_merge_config_selectorIddEEZZNS1_27merge_sort_block_merge_implIS3_N6thrust23THRUST_200600_302600_NS6detail15normal_iteratorINS8_10device_ptrIdEEEESD_jNS1_19radix_merge_compareILb0ELb0EdNS0_19identity_decomposerEEEEE10hipError_tT0_T1_T2_jT3_P12ihipStream_tbPNSt15iterator_traitsISI_E10value_typeEPNSO_ISJ_E10value_typeEPSK_NS1_7vsmem_tEENKUlT_SI_SJ_SK_E_clISD_PdSD_S10_EESH_SX_SI_SJ_SK_EUlSX_E_NS1_11comp_targetILNS1_3genE4ELNS1_11target_archE910ELNS1_3gpuE8ELNS1_3repE0EEENS1_48merge_mergepath_partition_config_static_selectorELNS0_4arch9wavefront6targetE1EEEvSJ_,"axG",@progbits,_ZN7rocprim17ROCPRIM_400000_NS6detail17trampoline_kernelINS0_14default_configENS1_38merge_sort_block_merge_config_selectorIddEEZZNS1_27merge_sort_block_merge_implIS3_N6thrust23THRUST_200600_302600_NS6detail15normal_iteratorINS8_10device_ptrIdEEEESD_jNS1_19radix_merge_compareILb0ELb0EdNS0_19identity_decomposerEEEEE10hipError_tT0_T1_T2_jT3_P12ihipStream_tbPNSt15iterator_traitsISI_E10value_typeEPNSO_ISJ_E10value_typeEPSK_NS1_7vsmem_tEENKUlT_SI_SJ_SK_E_clISD_PdSD_S10_EESH_SX_SI_SJ_SK_EUlSX_E_NS1_11comp_targetILNS1_3genE4ELNS1_11target_archE910ELNS1_3gpuE8ELNS1_3repE0EEENS1_48merge_mergepath_partition_config_static_selectorELNS0_4arch9wavefront6targetE1EEEvSJ_,comdat
	.protected	_ZN7rocprim17ROCPRIM_400000_NS6detail17trampoline_kernelINS0_14default_configENS1_38merge_sort_block_merge_config_selectorIddEEZZNS1_27merge_sort_block_merge_implIS3_N6thrust23THRUST_200600_302600_NS6detail15normal_iteratorINS8_10device_ptrIdEEEESD_jNS1_19radix_merge_compareILb0ELb0EdNS0_19identity_decomposerEEEEE10hipError_tT0_T1_T2_jT3_P12ihipStream_tbPNSt15iterator_traitsISI_E10value_typeEPNSO_ISJ_E10value_typeEPSK_NS1_7vsmem_tEENKUlT_SI_SJ_SK_E_clISD_PdSD_S10_EESH_SX_SI_SJ_SK_EUlSX_E_NS1_11comp_targetILNS1_3genE4ELNS1_11target_archE910ELNS1_3gpuE8ELNS1_3repE0EEENS1_48merge_mergepath_partition_config_static_selectorELNS0_4arch9wavefront6targetE1EEEvSJ_ ; -- Begin function _ZN7rocprim17ROCPRIM_400000_NS6detail17trampoline_kernelINS0_14default_configENS1_38merge_sort_block_merge_config_selectorIddEEZZNS1_27merge_sort_block_merge_implIS3_N6thrust23THRUST_200600_302600_NS6detail15normal_iteratorINS8_10device_ptrIdEEEESD_jNS1_19radix_merge_compareILb0ELb0EdNS0_19identity_decomposerEEEEE10hipError_tT0_T1_T2_jT3_P12ihipStream_tbPNSt15iterator_traitsISI_E10value_typeEPNSO_ISJ_E10value_typeEPSK_NS1_7vsmem_tEENKUlT_SI_SJ_SK_E_clISD_PdSD_S10_EESH_SX_SI_SJ_SK_EUlSX_E_NS1_11comp_targetILNS1_3genE4ELNS1_11target_archE910ELNS1_3gpuE8ELNS1_3repE0EEENS1_48merge_mergepath_partition_config_static_selectorELNS0_4arch9wavefront6targetE1EEEvSJ_
	.globl	_ZN7rocprim17ROCPRIM_400000_NS6detail17trampoline_kernelINS0_14default_configENS1_38merge_sort_block_merge_config_selectorIddEEZZNS1_27merge_sort_block_merge_implIS3_N6thrust23THRUST_200600_302600_NS6detail15normal_iteratorINS8_10device_ptrIdEEEESD_jNS1_19radix_merge_compareILb0ELb0EdNS0_19identity_decomposerEEEEE10hipError_tT0_T1_T2_jT3_P12ihipStream_tbPNSt15iterator_traitsISI_E10value_typeEPNSO_ISJ_E10value_typeEPSK_NS1_7vsmem_tEENKUlT_SI_SJ_SK_E_clISD_PdSD_S10_EESH_SX_SI_SJ_SK_EUlSX_E_NS1_11comp_targetILNS1_3genE4ELNS1_11target_archE910ELNS1_3gpuE8ELNS1_3repE0EEENS1_48merge_mergepath_partition_config_static_selectorELNS0_4arch9wavefront6targetE1EEEvSJ_
	.p2align	8
	.type	_ZN7rocprim17ROCPRIM_400000_NS6detail17trampoline_kernelINS0_14default_configENS1_38merge_sort_block_merge_config_selectorIddEEZZNS1_27merge_sort_block_merge_implIS3_N6thrust23THRUST_200600_302600_NS6detail15normal_iteratorINS8_10device_ptrIdEEEESD_jNS1_19radix_merge_compareILb0ELb0EdNS0_19identity_decomposerEEEEE10hipError_tT0_T1_T2_jT3_P12ihipStream_tbPNSt15iterator_traitsISI_E10value_typeEPNSO_ISJ_E10value_typeEPSK_NS1_7vsmem_tEENKUlT_SI_SJ_SK_E_clISD_PdSD_S10_EESH_SX_SI_SJ_SK_EUlSX_E_NS1_11comp_targetILNS1_3genE4ELNS1_11target_archE910ELNS1_3gpuE8ELNS1_3repE0EEENS1_48merge_mergepath_partition_config_static_selectorELNS0_4arch9wavefront6targetE1EEEvSJ_,@function
_ZN7rocprim17ROCPRIM_400000_NS6detail17trampoline_kernelINS0_14default_configENS1_38merge_sort_block_merge_config_selectorIddEEZZNS1_27merge_sort_block_merge_implIS3_N6thrust23THRUST_200600_302600_NS6detail15normal_iteratorINS8_10device_ptrIdEEEESD_jNS1_19radix_merge_compareILb0ELb0EdNS0_19identity_decomposerEEEEE10hipError_tT0_T1_T2_jT3_P12ihipStream_tbPNSt15iterator_traitsISI_E10value_typeEPNSO_ISJ_E10value_typeEPSK_NS1_7vsmem_tEENKUlT_SI_SJ_SK_E_clISD_PdSD_S10_EESH_SX_SI_SJ_SK_EUlSX_E_NS1_11comp_targetILNS1_3genE4ELNS1_11target_archE910ELNS1_3gpuE8ELNS1_3repE0EEENS1_48merge_mergepath_partition_config_static_selectorELNS0_4arch9wavefront6targetE1EEEvSJ_: ; @_ZN7rocprim17ROCPRIM_400000_NS6detail17trampoline_kernelINS0_14default_configENS1_38merge_sort_block_merge_config_selectorIddEEZZNS1_27merge_sort_block_merge_implIS3_N6thrust23THRUST_200600_302600_NS6detail15normal_iteratorINS8_10device_ptrIdEEEESD_jNS1_19radix_merge_compareILb0ELb0EdNS0_19identity_decomposerEEEEE10hipError_tT0_T1_T2_jT3_P12ihipStream_tbPNSt15iterator_traitsISI_E10value_typeEPNSO_ISJ_E10value_typeEPSK_NS1_7vsmem_tEENKUlT_SI_SJ_SK_E_clISD_PdSD_S10_EESH_SX_SI_SJ_SK_EUlSX_E_NS1_11comp_targetILNS1_3genE4ELNS1_11target_archE910ELNS1_3gpuE8ELNS1_3repE0EEENS1_48merge_mergepath_partition_config_static_selectorELNS0_4arch9wavefront6targetE1EEEvSJ_
; %bb.0:
	.section	.rodata,"a",@progbits
	.p2align	6, 0x0
	.amdhsa_kernel _ZN7rocprim17ROCPRIM_400000_NS6detail17trampoline_kernelINS0_14default_configENS1_38merge_sort_block_merge_config_selectorIddEEZZNS1_27merge_sort_block_merge_implIS3_N6thrust23THRUST_200600_302600_NS6detail15normal_iteratorINS8_10device_ptrIdEEEESD_jNS1_19radix_merge_compareILb0ELb0EdNS0_19identity_decomposerEEEEE10hipError_tT0_T1_T2_jT3_P12ihipStream_tbPNSt15iterator_traitsISI_E10value_typeEPNSO_ISJ_E10value_typeEPSK_NS1_7vsmem_tEENKUlT_SI_SJ_SK_E_clISD_PdSD_S10_EESH_SX_SI_SJ_SK_EUlSX_E_NS1_11comp_targetILNS1_3genE4ELNS1_11target_archE910ELNS1_3gpuE8ELNS1_3repE0EEENS1_48merge_mergepath_partition_config_static_selectorELNS0_4arch9wavefront6targetE1EEEvSJ_
		.amdhsa_group_segment_fixed_size 0
		.amdhsa_private_segment_fixed_size 0
		.amdhsa_kernarg_size 40
		.amdhsa_user_sgpr_count 2
		.amdhsa_user_sgpr_dispatch_ptr 0
		.amdhsa_user_sgpr_queue_ptr 0
		.amdhsa_user_sgpr_kernarg_segment_ptr 1
		.amdhsa_user_sgpr_dispatch_id 0
		.amdhsa_user_sgpr_kernarg_preload_length 0
		.amdhsa_user_sgpr_kernarg_preload_offset 0
		.amdhsa_user_sgpr_private_segment_size 0
		.amdhsa_uses_dynamic_stack 0
		.amdhsa_enable_private_segment 0
		.amdhsa_system_sgpr_workgroup_id_x 1
		.amdhsa_system_sgpr_workgroup_id_y 0
		.amdhsa_system_sgpr_workgroup_id_z 0
		.amdhsa_system_sgpr_workgroup_info 0
		.amdhsa_system_vgpr_workitem_id 0
		.amdhsa_next_free_vgpr 1
		.amdhsa_next_free_sgpr 0
		.amdhsa_accum_offset 4
		.amdhsa_reserve_vcc 0
		.amdhsa_float_round_mode_32 0
		.amdhsa_float_round_mode_16_64 0
		.amdhsa_float_denorm_mode_32 3
		.amdhsa_float_denorm_mode_16_64 3
		.amdhsa_dx10_clamp 1
		.amdhsa_ieee_mode 1
		.amdhsa_fp16_overflow 0
		.amdhsa_tg_split 0
		.amdhsa_exception_fp_ieee_invalid_op 0
		.amdhsa_exception_fp_denorm_src 0
		.amdhsa_exception_fp_ieee_div_zero 0
		.amdhsa_exception_fp_ieee_overflow 0
		.amdhsa_exception_fp_ieee_underflow 0
		.amdhsa_exception_fp_ieee_inexact 0
		.amdhsa_exception_int_div_zero 0
	.end_amdhsa_kernel
	.section	.text._ZN7rocprim17ROCPRIM_400000_NS6detail17trampoline_kernelINS0_14default_configENS1_38merge_sort_block_merge_config_selectorIddEEZZNS1_27merge_sort_block_merge_implIS3_N6thrust23THRUST_200600_302600_NS6detail15normal_iteratorINS8_10device_ptrIdEEEESD_jNS1_19radix_merge_compareILb0ELb0EdNS0_19identity_decomposerEEEEE10hipError_tT0_T1_T2_jT3_P12ihipStream_tbPNSt15iterator_traitsISI_E10value_typeEPNSO_ISJ_E10value_typeEPSK_NS1_7vsmem_tEENKUlT_SI_SJ_SK_E_clISD_PdSD_S10_EESH_SX_SI_SJ_SK_EUlSX_E_NS1_11comp_targetILNS1_3genE4ELNS1_11target_archE910ELNS1_3gpuE8ELNS1_3repE0EEENS1_48merge_mergepath_partition_config_static_selectorELNS0_4arch9wavefront6targetE1EEEvSJ_,"axG",@progbits,_ZN7rocprim17ROCPRIM_400000_NS6detail17trampoline_kernelINS0_14default_configENS1_38merge_sort_block_merge_config_selectorIddEEZZNS1_27merge_sort_block_merge_implIS3_N6thrust23THRUST_200600_302600_NS6detail15normal_iteratorINS8_10device_ptrIdEEEESD_jNS1_19radix_merge_compareILb0ELb0EdNS0_19identity_decomposerEEEEE10hipError_tT0_T1_T2_jT3_P12ihipStream_tbPNSt15iterator_traitsISI_E10value_typeEPNSO_ISJ_E10value_typeEPSK_NS1_7vsmem_tEENKUlT_SI_SJ_SK_E_clISD_PdSD_S10_EESH_SX_SI_SJ_SK_EUlSX_E_NS1_11comp_targetILNS1_3genE4ELNS1_11target_archE910ELNS1_3gpuE8ELNS1_3repE0EEENS1_48merge_mergepath_partition_config_static_selectorELNS0_4arch9wavefront6targetE1EEEvSJ_,comdat
.Lfunc_end52:
	.size	_ZN7rocprim17ROCPRIM_400000_NS6detail17trampoline_kernelINS0_14default_configENS1_38merge_sort_block_merge_config_selectorIddEEZZNS1_27merge_sort_block_merge_implIS3_N6thrust23THRUST_200600_302600_NS6detail15normal_iteratorINS8_10device_ptrIdEEEESD_jNS1_19radix_merge_compareILb0ELb0EdNS0_19identity_decomposerEEEEE10hipError_tT0_T1_T2_jT3_P12ihipStream_tbPNSt15iterator_traitsISI_E10value_typeEPNSO_ISJ_E10value_typeEPSK_NS1_7vsmem_tEENKUlT_SI_SJ_SK_E_clISD_PdSD_S10_EESH_SX_SI_SJ_SK_EUlSX_E_NS1_11comp_targetILNS1_3genE4ELNS1_11target_archE910ELNS1_3gpuE8ELNS1_3repE0EEENS1_48merge_mergepath_partition_config_static_selectorELNS0_4arch9wavefront6targetE1EEEvSJ_, .Lfunc_end52-_ZN7rocprim17ROCPRIM_400000_NS6detail17trampoline_kernelINS0_14default_configENS1_38merge_sort_block_merge_config_selectorIddEEZZNS1_27merge_sort_block_merge_implIS3_N6thrust23THRUST_200600_302600_NS6detail15normal_iteratorINS8_10device_ptrIdEEEESD_jNS1_19radix_merge_compareILb0ELb0EdNS0_19identity_decomposerEEEEE10hipError_tT0_T1_T2_jT3_P12ihipStream_tbPNSt15iterator_traitsISI_E10value_typeEPNSO_ISJ_E10value_typeEPSK_NS1_7vsmem_tEENKUlT_SI_SJ_SK_E_clISD_PdSD_S10_EESH_SX_SI_SJ_SK_EUlSX_E_NS1_11comp_targetILNS1_3genE4ELNS1_11target_archE910ELNS1_3gpuE8ELNS1_3repE0EEENS1_48merge_mergepath_partition_config_static_selectorELNS0_4arch9wavefront6targetE1EEEvSJ_
                                        ; -- End function
	.set _ZN7rocprim17ROCPRIM_400000_NS6detail17trampoline_kernelINS0_14default_configENS1_38merge_sort_block_merge_config_selectorIddEEZZNS1_27merge_sort_block_merge_implIS3_N6thrust23THRUST_200600_302600_NS6detail15normal_iteratorINS8_10device_ptrIdEEEESD_jNS1_19radix_merge_compareILb0ELb0EdNS0_19identity_decomposerEEEEE10hipError_tT0_T1_T2_jT3_P12ihipStream_tbPNSt15iterator_traitsISI_E10value_typeEPNSO_ISJ_E10value_typeEPSK_NS1_7vsmem_tEENKUlT_SI_SJ_SK_E_clISD_PdSD_S10_EESH_SX_SI_SJ_SK_EUlSX_E_NS1_11comp_targetILNS1_3genE4ELNS1_11target_archE910ELNS1_3gpuE8ELNS1_3repE0EEENS1_48merge_mergepath_partition_config_static_selectorELNS0_4arch9wavefront6targetE1EEEvSJ_.num_vgpr, 0
	.set _ZN7rocprim17ROCPRIM_400000_NS6detail17trampoline_kernelINS0_14default_configENS1_38merge_sort_block_merge_config_selectorIddEEZZNS1_27merge_sort_block_merge_implIS3_N6thrust23THRUST_200600_302600_NS6detail15normal_iteratorINS8_10device_ptrIdEEEESD_jNS1_19radix_merge_compareILb0ELb0EdNS0_19identity_decomposerEEEEE10hipError_tT0_T1_T2_jT3_P12ihipStream_tbPNSt15iterator_traitsISI_E10value_typeEPNSO_ISJ_E10value_typeEPSK_NS1_7vsmem_tEENKUlT_SI_SJ_SK_E_clISD_PdSD_S10_EESH_SX_SI_SJ_SK_EUlSX_E_NS1_11comp_targetILNS1_3genE4ELNS1_11target_archE910ELNS1_3gpuE8ELNS1_3repE0EEENS1_48merge_mergepath_partition_config_static_selectorELNS0_4arch9wavefront6targetE1EEEvSJ_.num_agpr, 0
	.set _ZN7rocprim17ROCPRIM_400000_NS6detail17trampoline_kernelINS0_14default_configENS1_38merge_sort_block_merge_config_selectorIddEEZZNS1_27merge_sort_block_merge_implIS3_N6thrust23THRUST_200600_302600_NS6detail15normal_iteratorINS8_10device_ptrIdEEEESD_jNS1_19radix_merge_compareILb0ELb0EdNS0_19identity_decomposerEEEEE10hipError_tT0_T1_T2_jT3_P12ihipStream_tbPNSt15iterator_traitsISI_E10value_typeEPNSO_ISJ_E10value_typeEPSK_NS1_7vsmem_tEENKUlT_SI_SJ_SK_E_clISD_PdSD_S10_EESH_SX_SI_SJ_SK_EUlSX_E_NS1_11comp_targetILNS1_3genE4ELNS1_11target_archE910ELNS1_3gpuE8ELNS1_3repE0EEENS1_48merge_mergepath_partition_config_static_selectorELNS0_4arch9wavefront6targetE1EEEvSJ_.numbered_sgpr, 0
	.set _ZN7rocprim17ROCPRIM_400000_NS6detail17trampoline_kernelINS0_14default_configENS1_38merge_sort_block_merge_config_selectorIddEEZZNS1_27merge_sort_block_merge_implIS3_N6thrust23THRUST_200600_302600_NS6detail15normal_iteratorINS8_10device_ptrIdEEEESD_jNS1_19radix_merge_compareILb0ELb0EdNS0_19identity_decomposerEEEEE10hipError_tT0_T1_T2_jT3_P12ihipStream_tbPNSt15iterator_traitsISI_E10value_typeEPNSO_ISJ_E10value_typeEPSK_NS1_7vsmem_tEENKUlT_SI_SJ_SK_E_clISD_PdSD_S10_EESH_SX_SI_SJ_SK_EUlSX_E_NS1_11comp_targetILNS1_3genE4ELNS1_11target_archE910ELNS1_3gpuE8ELNS1_3repE0EEENS1_48merge_mergepath_partition_config_static_selectorELNS0_4arch9wavefront6targetE1EEEvSJ_.num_named_barrier, 0
	.set _ZN7rocprim17ROCPRIM_400000_NS6detail17trampoline_kernelINS0_14default_configENS1_38merge_sort_block_merge_config_selectorIddEEZZNS1_27merge_sort_block_merge_implIS3_N6thrust23THRUST_200600_302600_NS6detail15normal_iteratorINS8_10device_ptrIdEEEESD_jNS1_19radix_merge_compareILb0ELb0EdNS0_19identity_decomposerEEEEE10hipError_tT0_T1_T2_jT3_P12ihipStream_tbPNSt15iterator_traitsISI_E10value_typeEPNSO_ISJ_E10value_typeEPSK_NS1_7vsmem_tEENKUlT_SI_SJ_SK_E_clISD_PdSD_S10_EESH_SX_SI_SJ_SK_EUlSX_E_NS1_11comp_targetILNS1_3genE4ELNS1_11target_archE910ELNS1_3gpuE8ELNS1_3repE0EEENS1_48merge_mergepath_partition_config_static_selectorELNS0_4arch9wavefront6targetE1EEEvSJ_.private_seg_size, 0
	.set _ZN7rocprim17ROCPRIM_400000_NS6detail17trampoline_kernelINS0_14default_configENS1_38merge_sort_block_merge_config_selectorIddEEZZNS1_27merge_sort_block_merge_implIS3_N6thrust23THRUST_200600_302600_NS6detail15normal_iteratorINS8_10device_ptrIdEEEESD_jNS1_19radix_merge_compareILb0ELb0EdNS0_19identity_decomposerEEEEE10hipError_tT0_T1_T2_jT3_P12ihipStream_tbPNSt15iterator_traitsISI_E10value_typeEPNSO_ISJ_E10value_typeEPSK_NS1_7vsmem_tEENKUlT_SI_SJ_SK_E_clISD_PdSD_S10_EESH_SX_SI_SJ_SK_EUlSX_E_NS1_11comp_targetILNS1_3genE4ELNS1_11target_archE910ELNS1_3gpuE8ELNS1_3repE0EEENS1_48merge_mergepath_partition_config_static_selectorELNS0_4arch9wavefront6targetE1EEEvSJ_.uses_vcc, 0
	.set _ZN7rocprim17ROCPRIM_400000_NS6detail17trampoline_kernelINS0_14default_configENS1_38merge_sort_block_merge_config_selectorIddEEZZNS1_27merge_sort_block_merge_implIS3_N6thrust23THRUST_200600_302600_NS6detail15normal_iteratorINS8_10device_ptrIdEEEESD_jNS1_19radix_merge_compareILb0ELb0EdNS0_19identity_decomposerEEEEE10hipError_tT0_T1_T2_jT3_P12ihipStream_tbPNSt15iterator_traitsISI_E10value_typeEPNSO_ISJ_E10value_typeEPSK_NS1_7vsmem_tEENKUlT_SI_SJ_SK_E_clISD_PdSD_S10_EESH_SX_SI_SJ_SK_EUlSX_E_NS1_11comp_targetILNS1_3genE4ELNS1_11target_archE910ELNS1_3gpuE8ELNS1_3repE0EEENS1_48merge_mergepath_partition_config_static_selectorELNS0_4arch9wavefront6targetE1EEEvSJ_.uses_flat_scratch, 0
	.set _ZN7rocprim17ROCPRIM_400000_NS6detail17trampoline_kernelINS0_14default_configENS1_38merge_sort_block_merge_config_selectorIddEEZZNS1_27merge_sort_block_merge_implIS3_N6thrust23THRUST_200600_302600_NS6detail15normal_iteratorINS8_10device_ptrIdEEEESD_jNS1_19radix_merge_compareILb0ELb0EdNS0_19identity_decomposerEEEEE10hipError_tT0_T1_T2_jT3_P12ihipStream_tbPNSt15iterator_traitsISI_E10value_typeEPNSO_ISJ_E10value_typeEPSK_NS1_7vsmem_tEENKUlT_SI_SJ_SK_E_clISD_PdSD_S10_EESH_SX_SI_SJ_SK_EUlSX_E_NS1_11comp_targetILNS1_3genE4ELNS1_11target_archE910ELNS1_3gpuE8ELNS1_3repE0EEENS1_48merge_mergepath_partition_config_static_selectorELNS0_4arch9wavefront6targetE1EEEvSJ_.has_dyn_sized_stack, 0
	.set _ZN7rocprim17ROCPRIM_400000_NS6detail17trampoline_kernelINS0_14default_configENS1_38merge_sort_block_merge_config_selectorIddEEZZNS1_27merge_sort_block_merge_implIS3_N6thrust23THRUST_200600_302600_NS6detail15normal_iteratorINS8_10device_ptrIdEEEESD_jNS1_19radix_merge_compareILb0ELb0EdNS0_19identity_decomposerEEEEE10hipError_tT0_T1_T2_jT3_P12ihipStream_tbPNSt15iterator_traitsISI_E10value_typeEPNSO_ISJ_E10value_typeEPSK_NS1_7vsmem_tEENKUlT_SI_SJ_SK_E_clISD_PdSD_S10_EESH_SX_SI_SJ_SK_EUlSX_E_NS1_11comp_targetILNS1_3genE4ELNS1_11target_archE910ELNS1_3gpuE8ELNS1_3repE0EEENS1_48merge_mergepath_partition_config_static_selectorELNS0_4arch9wavefront6targetE1EEEvSJ_.has_recursion, 0
	.set _ZN7rocprim17ROCPRIM_400000_NS6detail17trampoline_kernelINS0_14default_configENS1_38merge_sort_block_merge_config_selectorIddEEZZNS1_27merge_sort_block_merge_implIS3_N6thrust23THRUST_200600_302600_NS6detail15normal_iteratorINS8_10device_ptrIdEEEESD_jNS1_19radix_merge_compareILb0ELb0EdNS0_19identity_decomposerEEEEE10hipError_tT0_T1_T2_jT3_P12ihipStream_tbPNSt15iterator_traitsISI_E10value_typeEPNSO_ISJ_E10value_typeEPSK_NS1_7vsmem_tEENKUlT_SI_SJ_SK_E_clISD_PdSD_S10_EESH_SX_SI_SJ_SK_EUlSX_E_NS1_11comp_targetILNS1_3genE4ELNS1_11target_archE910ELNS1_3gpuE8ELNS1_3repE0EEENS1_48merge_mergepath_partition_config_static_selectorELNS0_4arch9wavefront6targetE1EEEvSJ_.has_indirect_call, 0
	.section	.AMDGPU.csdata,"",@progbits
; Kernel info:
; codeLenInByte = 0
; TotalNumSgprs: 6
; NumVgprs: 0
; NumAgprs: 0
; TotalNumVgprs: 0
; ScratchSize: 0
; MemoryBound: 0
; FloatMode: 240
; IeeeMode: 1
; LDSByteSize: 0 bytes/workgroup (compile time only)
; SGPRBlocks: 0
; VGPRBlocks: 0
; NumSGPRsForWavesPerEU: 6
; NumVGPRsForWavesPerEU: 1
; AccumOffset: 4
; Occupancy: 8
; WaveLimiterHint : 0
; COMPUTE_PGM_RSRC2:SCRATCH_EN: 0
; COMPUTE_PGM_RSRC2:USER_SGPR: 2
; COMPUTE_PGM_RSRC2:TRAP_HANDLER: 0
; COMPUTE_PGM_RSRC2:TGID_X_EN: 1
; COMPUTE_PGM_RSRC2:TGID_Y_EN: 0
; COMPUTE_PGM_RSRC2:TGID_Z_EN: 0
; COMPUTE_PGM_RSRC2:TIDIG_COMP_CNT: 0
; COMPUTE_PGM_RSRC3_GFX90A:ACCUM_OFFSET: 0
; COMPUTE_PGM_RSRC3_GFX90A:TG_SPLIT: 0
	.section	.text._ZN7rocprim17ROCPRIM_400000_NS6detail17trampoline_kernelINS0_14default_configENS1_38merge_sort_block_merge_config_selectorIddEEZZNS1_27merge_sort_block_merge_implIS3_N6thrust23THRUST_200600_302600_NS6detail15normal_iteratorINS8_10device_ptrIdEEEESD_jNS1_19radix_merge_compareILb0ELb0EdNS0_19identity_decomposerEEEEE10hipError_tT0_T1_T2_jT3_P12ihipStream_tbPNSt15iterator_traitsISI_E10value_typeEPNSO_ISJ_E10value_typeEPSK_NS1_7vsmem_tEENKUlT_SI_SJ_SK_E_clISD_PdSD_S10_EESH_SX_SI_SJ_SK_EUlSX_E_NS1_11comp_targetILNS1_3genE3ELNS1_11target_archE908ELNS1_3gpuE7ELNS1_3repE0EEENS1_48merge_mergepath_partition_config_static_selectorELNS0_4arch9wavefront6targetE1EEEvSJ_,"axG",@progbits,_ZN7rocprim17ROCPRIM_400000_NS6detail17trampoline_kernelINS0_14default_configENS1_38merge_sort_block_merge_config_selectorIddEEZZNS1_27merge_sort_block_merge_implIS3_N6thrust23THRUST_200600_302600_NS6detail15normal_iteratorINS8_10device_ptrIdEEEESD_jNS1_19radix_merge_compareILb0ELb0EdNS0_19identity_decomposerEEEEE10hipError_tT0_T1_T2_jT3_P12ihipStream_tbPNSt15iterator_traitsISI_E10value_typeEPNSO_ISJ_E10value_typeEPSK_NS1_7vsmem_tEENKUlT_SI_SJ_SK_E_clISD_PdSD_S10_EESH_SX_SI_SJ_SK_EUlSX_E_NS1_11comp_targetILNS1_3genE3ELNS1_11target_archE908ELNS1_3gpuE7ELNS1_3repE0EEENS1_48merge_mergepath_partition_config_static_selectorELNS0_4arch9wavefront6targetE1EEEvSJ_,comdat
	.protected	_ZN7rocprim17ROCPRIM_400000_NS6detail17trampoline_kernelINS0_14default_configENS1_38merge_sort_block_merge_config_selectorIddEEZZNS1_27merge_sort_block_merge_implIS3_N6thrust23THRUST_200600_302600_NS6detail15normal_iteratorINS8_10device_ptrIdEEEESD_jNS1_19radix_merge_compareILb0ELb0EdNS0_19identity_decomposerEEEEE10hipError_tT0_T1_T2_jT3_P12ihipStream_tbPNSt15iterator_traitsISI_E10value_typeEPNSO_ISJ_E10value_typeEPSK_NS1_7vsmem_tEENKUlT_SI_SJ_SK_E_clISD_PdSD_S10_EESH_SX_SI_SJ_SK_EUlSX_E_NS1_11comp_targetILNS1_3genE3ELNS1_11target_archE908ELNS1_3gpuE7ELNS1_3repE0EEENS1_48merge_mergepath_partition_config_static_selectorELNS0_4arch9wavefront6targetE1EEEvSJ_ ; -- Begin function _ZN7rocprim17ROCPRIM_400000_NS6detail17trampoline_kernelINS0_14default_configENS1_38merge_sort_block_merge_config_selectorIddEEZZNS1_27merge_sort_block_merge_implIS3_N6thrust23THRUST_200600_302600_NS6detail15normal_iteratorINS8_10device_ptrIdEEEESD_jNS1_19radix_merge_compareILb0ELb0EdNS0_19identity_decomposerEEEEE10hipError_tT0_T1_T2_jT3_P12ihipStream_tbPNSt15iterator_traitsISI_E10value_typeEPNSO_ISJ_E10value_typeEPSK_NS1_7vsmem_tEENKUlT_SI_SJ_SK_E_clISD_PdSD_S10_EESH_SX_SI_SJ_SK_EUlSX_E_NS1_11comp_targetILNS1_3genE3ELNS1_11target_archE908ELNS1_3gpuE7ELNS1_3repE0EEENS1_48merge_mergepath_partition_config_static_selectorELNS0_4arch9wavefront6targetE1EEEvSJ_
	.globl	_ZN7rocprim17ROCPRIM_400000_NS6detail17trampoline_kernelINS0_14default_configENS1_38merge_sort_block_merge_config_selectorIddEEZZNS1_27merge_sort_block_merge_implIS3_N6thrust23THRUST_200600_302600_NS6detail15normal_iteratorINS8_10device_ptrIdEEEESD_jNS1_19radix_merge_compareILb0ELb0EdNS0_19identity_decomposerEEEEE10hipError_tT0_T1_T2_jT3_P12ihipStream_tbPNSt15iterator_traitsISI_E10value_typeEPNSO_ISJ_E10value_typeEPSK_NS1_7vsmem_tEENKUlT_SI_SJ_SK_E_clISD_PdSD_S10_EESH_SX_SI_SJ_SK_EUlSX_E_NS1_11comp_targetILNS1_3genE3ELNS1_11target_archE908ELNS1_3gpuE7ELNS1_3repE0EEENS1_48merge_mergepath_partition_config_static_selectorELNS0_4arch9wavefront6targetE1EEEvSJ_
	.p2align	8
	.type	_ZN7rocprim17ROCPRIM_400000_NS6detail17trampoline_kernelINS0_14default_configENS1_38merge_sort_block_merge_config_selectorIddEEZZNS1_27merge_sort_block_merge_implIS3_N6thrust23THRUST_200600_302600_NS6detail15normal_iteratorINS8_10device_ptrIdEEEESD_jNS1_19radix_merge_compareILb0ELb0EdNS0_19identity_decomposerEEEEE10hipError_tT0_T1_T2_jT3_P12ihipStream_tbPNSt15iterator_traitsISI_E10value_typeEPNSO_ISJ_E10value_typeEPSK_NS1_7vsmem_tEENKUlT_SI_SJ_SK_E_clISD_PdSD_S10_EESH_SX_SI_SJ_SK_EUlSX_E_NS1_11comp_targetILNS1_3genE3ELNS1_11target_archE908ELNS1_3gpuE7ELNS1_3repE0EEENS1_48merge_mergepath_partition_config_static_selectorELNS0_4arch9wavefront6targetE1EEEvSJ_,@function
_ZN7rocprim17ROCPRIM_400000_NS6detail17trampoline_kernelINS0_14default_configENS1_38merge_sort_block_merge_config_selectorIddEEZZNS1_27merge_sort_block_merge_implIS3_N6thrust23THRUST_200600_302600_NS6detail15normal_iteratorINS8_10device_ptrIdEEEESD_jNS1_19radix_merge_compareILb0ELb0EdNS0_19identity_decomposerEEEEE10hipError_tT0_T1_T2_jT3_P12ihipStream_tbPNSt15iterator_traitsISI_E10value_typeEPNSO_ISJ_E10value_typeEPSK_NS1_7vsmem_tEENKUlT_SI_SJ_SK_E_clISD_PdSD_S10_EESH_SX_SI_SJ_SK_EUlSX_E_NS1_11comp_targetILNS1_3genE3ELNS1_11target_archE908ELNS1_3gpuE7ELNS1_3repE0EEENS1_48merge_mergepath_partition_config_static_selectorELNS0_4arch9wavefront6targetE1EEEvSJ_: ; @_ZN7rocprim17ROCPRIM_400000_NS6detail17trampoline_kernelINS0_14default_configENS1_38merge_sort_block_merge_config_selectorIddEEZZNS1_27merge_sort_block_merge_implIS3_N6thrust23THRUST_200600_302600_NS6detail15normal_iteratorINS8_10device_ptrIdEEEESD_jNS1_19radix_merge_compareILb0ELb0EdNS0_19identity_decomposerEEEEE10hipError_tT0_T1_T2_jT3_P12ihipStream_tbPNSt15iterator_traitsISI_E10value_typeEPNSO_ISJ_E10value_typeEPSK_NS1_7vsmem_tEENKUlT_SI_SJ_SK_E_clISD_PdSD_S10_EESH_SX_SI_SJ_SK_EUlSX_E_NS1_11comp_targetILNS1_3genE3ELNS1_11target_archE908ELNS1_3gpuE7ELNS1_3repE0EEENS1_48merge_mergepath_partition_config_static_selectorELNS0_4arch9wavefront6targetE1EEEvSJ_
; %bb.0:
	.section	.rodata,"a",@progbits
	.p2align	6, 0x0
	.amdhsa_kernel _ZN7rocprim17ROCPRIM_400000_NS6detail17trampoline_kernelINS0_14default_configENS1_38merge_sort_block_merge_config_selectorIddEEZZNS1_27merge_sort_block_merge_implIS3_N6thrust23THRUST_200600_302600_NS6detail15normal_iteratorINS8_10device_ptrIdEEEESD_jNS1_19radix_merge_compareILb0ELb0EdNS0_19identity_decomposerEEEEE10hipError_tT0_T1_T2_jT3_P12ihipStream_tbPNSt15iterator_traitsISI_E10value_typeEPNSO_ISJ_E10value_typeEPSK_NS1_7vsmem_tEENKUlT_SI_SJ_SK_E_clISD_PdSD_S10_EESH_SX_SI_SJ_SK_EUlSX_E_NS1_11comp_targetILNS1_3genE3ELNS1_11target_archE908ELNS1_3gpuE7ELNS1_3repE0EEENS1_48merge_mergepath_partition_config_static_selectorELNS0_4arch9wavefront6targetE1EEEvSJ_
		.amdhsa_group_segment_fixed_size 0
		.amdhsa_private_segment_fixed_size 0
		.amdhsa_kernarg_size 40
		.amdhsa_user_sgpr_count 2
		.amdhsa_user_sgpr_dispatch_ptr 0
		.amdhsa_user_sgpr_queue_ptr 0
		.amdhsa_user_sgpr_kernarg_segment_ptr 1
		.amdhsa_user_sgpr_dispatch_id 0
		.amdhsa_user_sgpr_kernarg_preload_length 0
		.amdhsa_user_sgpr_kernarg_preload_offset 0
		.amdhsa_user_sgpr_private_segment_size 0
		.amdhsa_uses_dynamic_stack 0
		.amdhsa_enable_private_segment 0
		.amdhsa_system_sgpr_workgroup_id_x 1
		.amdhsa_system_sgpr_workgroup_id_y 0
		.amdhsa_system_sgpr_workgroup_id_z 0
		.amdhsa_system_sgpr_workgroup_info 0
		.amdhsa_system_vgpr_workitem_id 0
		.amdhsa_next_free_vgpr 1
		.amdhsa_next_free_sgpr 0
		.amdhsa_accum_offset 4
		.amdhsa_reserve_vcc 0
		.amdhsa_float_round_mode_32 0
		.amdhsa_float_round_mode_16_64 0
		.amdhsa_float_denorm_mode_32 3
		.amdhsa_float_denorm_mode_16_64 3
		.amdhsa_dx10_clamp 1
		.amdhsa_ieee_mode 1
		.amdhsa_fp16_overflow 0
		.amdhsa_tg_split 0
		.amdhsa_exception_fp_ieee_invalid_op 0
		.amdhsa_exception_fp_denorm_src 0
		.amdhsa_exception_fp_ieee_div_zero 0
		.amdhsa_exception_fp_ieee_overflow 0
		.amdhsa_exception_fp_ieee_underflow 0
		.amdhsa_exception_fp_ieee_inexact 0
		.amdhsa_exception_int_div_zero 0
	.end_amdhsa_kernel
	.section	.text._ZN7rocprim17ROCPRIM_400000_NS6detail17trampoline_kernelINS0_14default_configENS1_38merge_sort_block_merge_config_selectorIddEEZZNS1_27merge_sort_block_merge_implIS3_N6thrust23THRUST_200600_302600_NS6detail15normal_iteratorINS8_10device_ptrIdEEEESD_jNS1_19radix_merge_compareILb0ELb0EdNS0_19identity_decomposerEEEEE10hipError_tT0_T1_T2_jT3_P12ihipStream_tbPNSt15iterator_traitsISI_E10value_typeEPNSO_ISJ_E10value_typeEPSK_NS1_7vsmem_tEENKUlT_SI_SJ_SK_E_clISD_PdSD_S10_EESH_SX_SI_SJ_SK_EUlSX_E_NS1_11comp_targetILNS1_3genE3ELNS1_11target_archE908ELNS1_3gpuE7ELNS1_3repE0EEENS1_48merge_mergepath_partition_config_static_selectorELNS0_4arch9wavefront6targetE1EEEvSJ_,"axG",@progbits,_ZN7rocprim17ROCPRIM_400000_NS6detail17trampoline_kernelINS0_14default_configENS1_38merge_sort_block_merge_config_selectorIddEEZZNS1_27merge_sort_block_merge_implIS3_N6thrust23THRUST_200600_302600_NS6detail15normal_iteratorINS8_10device_ptrIdEEEESD_jNS1_19radix_merge_compareILb0ELb0EdNS0_19identity_decomposerEEEEE10hipError_tT0_T1_T2_jT3_P12ihipStream_tbPNSt15iterator_traitsISI_E10value_typeEPNSO_ISJ_E10value_typeEPSK_NS1_7vsmem_tEENKUlT_SI_SJ_SK_E_clISD_PdSD_S10_EESH_SX_SI_SJ_SK_EUlSX_E_NS1_11comp_targetILNS1_3genE3ELNS1_11target_archE908ELNS1_3gpuE7ELNS1_3repE0EEENS1_48merge_mergepath_partition_config_static_selectorELNS0_4arch9wavefront6targetE1EEEvSJ_,comdat
.Lfunc_end53:
	.size	_ZN7rocprim17ROCPRIM_400000_NS6detail17trampoline_kernelINS0_14default_configENS1_38merge_sort_block_merge_config_selectorIddEEZZNS1_27merge_sort_block_merge_implIS3_N6thrust23THRUST_200600_302600_NS6detail15normal_iteratorINS8_10device_ptrIdEEEESD_jNS1_19radix_merge_compareILb0ELb0EdNS0_19identity_decomposerEEEEE10hipError_tT0_T1_T2_jT3_P12ihipStream_tbPNSt15iterator_traitsISI_E10value_typeEPNSO_ISJ_E10value_typeEPSK_NS1_7vsmem_tEENKUlT_SI_SJ_SK_E_clISD_PdSD_S10_EESH_SX_SI_SJ_SK_EUlSX_E_NS1_11comp_targetILNS1_3genE3ELNS1_11target_archE908ELNS1_3gpuE7ELNS1_3repE0EEENS1_48merge_mergepath_partition_config_static_selectorELNS0_4arch9wavefront6targetE1EEEvSJ_, .Lfunc_end53-_ZN7rocprim17ROCPRIM_400000_NS6detail17trampoline_kernelINS0_14default_configENS1_38merge_sort_block_merge_config_selectorIddEEZZNS1_27merge_sort_block_merge_implIS3_N6thrust23THRUST_200600_302600_NS6detail15normal_iteratorINS8_10device_ptrIdEEEESD_jNS1_19radix_merge_compareILb0ELb0EdNS0_19identity_decomposerEEEEE10hipError_tT0_T1_T2_jT3_P12ihipStream_tbPNSt15iterator_traitsISI_E10value_typeEPNSO_ISJ_E10value_typeEPSK_NS1_7vsmem_tEENKUlT_SI_SJ_SK_E_clISD_PdSD_S10_EESH_SX_SI_SJ_SK_EUlSX_E_NS1_11comp_targetILNS1_3genE3ELNS1_11target_archE908ELNS1_3gpuE7ELNS1_3repE0EEENS1_48merge_mergepath_partition_config_static_selectorELNS0_4arch9wavefront6targetE1EEEvSJ_
                                        ; -- End function
	.set _ZN7rocprim17ROCPRIM_400000_NS6detail17trampoline_kernelINS0_14default_configENS1_38merge_sort_block_merge_config_selectorIddEEZZNS1_27merge_sort_block_merge_implIS3_N6thrust23THRUST_200600_302600_NS6detail15normal_iteratorINS8_10device_ptrIdEEEESD_jNS1_19radix_merge_compareILb0ELb0EdNS0_19identity_decomposerEEEEE10hipError_tT0_T1_T2_jT3_P12ihipStream_tbPNSt15iterator_traitsISI_E10value_typeEPNSO_ISJ_E10value_typeEPSK_NS1_7vsmem_tEENKUlT_SI_SJ_SK_E_clISD_PdSD_S10_EESH_SX_SI_SJ_SK_EUlSX_E_NS1_11comp_targetILNS1_3genE3ELNS1_11target_archE908ELNS1_3gpuE7ELNS1_3repE0EEENS1_48merge_mergepath_partition_config_static_selectorELNS0_4arch9wavefront6targetE1EEEvSJ_.num_vgpr, 0
	.set _ZN7rocprim17ROCPRIM_400000_NS6detail17trampoline_kernelINS0_14default_configENS1_38merge_sort_block_merge_config_selectorIddEEZZNS1_27merge_sort_block_merge_implIS3_N6thrust23THRUST_200600_302600_NS6detail15normal_iteratorINS8_10device_ptrIdEEEESD_jNS1_19radix_merge_compareILb0ELb0EdNS0_19identity_decomposerEEEEE10hipError_tT0_T1_T2_jT3_P12ihipStream_tbPNSt15iterator_traitsISI_E10value_typeEPNSO_ISJ_E10value_typeEPSK_NS1_7vsmem_tEENKUlT_SI_SJ_SK_E_clISD_PdSD_S10_EESH_SX_SI_SJ_SK_EUlSX_E_NS1_11comp_targetILNS1_3genE3ELNS1_11target_archE908ELNS1_3gpuE7ELNS1_3repE0EEENS1_48merge_mergepath_partition_config_static_selectorELNS0_4arch9wavefront6targetE1EEEvSJ_.num_agpr, 0
	.set _ZN7rocprim17ROCPRIM_400000_NS6detail17trampoline_kernelINS0_14default_configENS1_38merge_sort_block_merge_config_selectorIddEEZZNS1_27merge_sort_block_merge_implIS3_N6thrust23THRUST_200600_302600_NS6detail15normal_iteratorINS8_10device_ptrIdEEEESD_jNS1_19radix_merge_compareILb0ELb0EdNS0_19identity_decomposerEEEEE10hipError_tT0_T1_T2_jT3_P12ihipStream_tbPNSt15iterator_traitsISI_E10value_typeEPNSO_ISJ_E10value_typeEPSK_NS1_7vsmem_tEENKUlT_SI_SJ_SK_E_clISD_PdSD_S10_EESH_SX_SI_SJ_SK_EUlSX_E_NS1_11comp_targetILNS1_3genE3ELNS1_11target_archE908ELNS1_3gpuE7ELNS1_3repE0EEENS1_48merge_mergepath_partition_config_static_selectorELNS0_4arch9wavefront6targetE1EEEvSJ_.numbered_sgpr, 0
	.set _ZN7rocprim17ROCPRIM_400000_NS6detail17trampoline_kernelINS0_14default_configENS1_38merge_sort_block_merge_config_selectorIddEEZZNS1_27merge_sort_block_merge_implIS3_N6thrust23THRUST_200600_302600_NS6detail15normal_iteratorINS8_10device_ptrIdEEEESD_jNS1_19radix_merge_compareILb0ELb0EdNS0_19identity_decomposerEEEEE10hipError_tT0_T1_T2_jT3_P12ihipStream_tbPNSt15iterator_traitsISI_E10value_typeEPNSO_ISJ_E10value_typeEPSK_NS1_7vsmem_tEENKUlT_SI_SJ_SK_E_clISD_PdSD_S10_EESH_SX_SI_SJ_SK_EUlSX_E_NS1_11comp_targetILNS1_3genE3ELNS1_11target_archE908ELNS1_3gpuE7ELNS1_3repE0EEENS1_48merge_mergepath_partition_config_static_selectorELNS0_4arch9wavefront6targetE1EEEvSJ_.num_named_barrier, 0
	.set _ZN7rocprim17ROCPRIM_400000_NS6detail17trampoline_kernelINS0_14default_configENS1_38merge_sort_block_merge_config_selectorIddEEZZNS1_27merge_sort_block_merge_implIS3_N6thrust23THRUST_200600_302600_NS6detail15normal_iteratorINS8_10device_ptrIdEEEESD_jNS1_19radix_merge_compareILb0ELb0EdNS0_19identity_decomposerEEEEE10hipError_tT0_T1_T2_jT3_P12ihipStream_tbPNSt15iterator_traitsISI_E10value_typeEPNSO_ISJ_E10value_typeEPSK_NS1_7vsmem_tEENKUlT_SI_SJ_SK_E_clISD_PdSD_S10_EESH_SX_SI_SJ_SK_EUlSX_E_NS1_11comp_targetILNS1_3genE3ELNS1_11target_archE908ELNS1_3gpuE7ELNS1_3repE0EEENS1_48merge_mergepath_partition_config_static_selectorELNS0_4arch9wavefront6targetE1EEEvSJ_.private_seg_size, 0
	.set _ZN7rocprim17ROCPRIM_400000_NS6detail17trampoline_kernelINS0_14default_configENS1_38merge_sort_block_merge_config_selectorIddEEZZNS1_27merge_sort_block_merge_implIS3_N6thrust23THRUST_200600_302600_NS6detail15normal_iteratorINS8_10device_ptrIdEEEESD_jNS1_19radix_merge_compareILb0ELb0EdNS0_19identity_decomposerEEEEE10hipError_tT0_T1_T2_jT3_P12ihipStream_tbPNSt15iterator_traitsISI_E10value_typeEPNSO_ISJ_E10value_typeEPSK_NS1_7vsmem_tEENKUlT_SI_SJ_SK_E_clISD_PdSD_S10_EESH_SX_SI_SJ_SK_EUlSX_E_NS1_11comp_targetILNS1_3genE3ELNS1_11target_archE908ELNS1_3gpuE7ELNS1_3repE0EEENS1_48merge_mergepath_partition_config_static_selectorELNS0_4arch9wavefront6targetE1EEEvSJ_.uses_vcc, 0
	.set _ZN7rocprim17ROCPRIM_400000_NS6detail17trampoline_kernelINS0_14default_configENS1_38merge_sort_block_merge_config_selectorIddEEZZNS1_27merge_sort_block_merge_implIS3_N6thrust23THRUST_200600_302600_NS6detail15normal_iteratorINS8_10device_ptrIdEEEESD_jNS1_19radix_merge_compareILb0ELb0EdNS0_19identity_decomposerEEEEE10hipError_tT0_T1_T2_jT3_P12ihipStream_tbPNSt15iterator_traitsISI_E10value_typeEPNSO_ISJ_E10value_typeEPSK_NS1_7vsmem_tEENKUlT_SI_SJ_SK_E_clISD_PdSD_S10_EESH_SX_SI_SJ_SK_EUlSX_E_NS1_11comp_targetILNS1_3genE3ELNS1_11target_archE908ELNS1_3gpuE7ELNS1_3repE0EEENS1_48merge_mergepath_partition_config_static_selectorELNS0_4arch9wavefront6targetE1EEEvSJ_.uses_flat_scratch, 0
	.set _ZN7rocprim17ROCPRIM_400000_NS6detail17trampoline_kernelINS0_14default_configENS1_38merge_sort_block_merge_config_selectorIddEEZZNS1_27merge_sort_block_merge_implIS3_N6thrust23THRUST_200600_302600_NS6detail15normal_iteratorINS8_10device_ptrIdEEEESD_jNS1_19radix_merge_compareILb0ELb0EdNS0_19identity_decomposerEEEEE10hipError_tT0_T1_T2_jT3_P12ihipStream_tbPNSt15iterator_traitsISI_E10value_typeEPNSO_ISJ_E10value_typeEPSK_NS1_7vsmem_tEENKUlT_SI_SJ_SK_E_clISD_PdSD_S10_EESH_SX_SI_SJ_SK_EUlSX_E_NS1_11comp_targetILNS1_3genE3ELNS1_11target_archE908ELNS1_3gpuE7ELNS1_3repE0EEENS1_48merge_mergepath_partition_config_static_selectorELNS0_4arch9wavefront6targetE1EEEvSJ_.has_dyn_sized_stack, 0
	.set _ZN7rocprim17ROCPRIM_400000_NS6detail17trampoline_kernelINS0_14default_configENS1_38merge_sort_block_merge_config_selectorIddEEZZNS1_27merge_sort_block_merge_implIS3_N6thrust23THRUST_200600_302600_NS6detail15normal_iteratorINS8_10device_ptrIdEEEESD_jNS1_19radix_merge_compareILb0ELb0EdNS0_19identity_decomposerEEEEE10hipError_tT0_T1_T2_jT3_P12ihipStream_tbPNSt15iterator_traitsISI_E10value_typeEPNSO_ISJ_E10value_typeEPSK_NS1_7vsmem_tEENKUlT_SI_SJ_SK_E_clISD_PdSD_S10_EESH_SX_SI_SJ_SK_EUlSX_E_NS1_11comp_targetILNS1_3genE3ELNS1_11target_archE908ELNS1_3gpuE7ELNS1_3repE0EEENS1_48merge_mergepath_partition_config_static_selectorELNS0_4arch9wavefront6targetE1EEEvSJ_.has_recursion, 0
	.set _ZN7rocprim17ROCPRIM_400000_NS6detail17trampoline_kernelINS0_14default_configENS1_38merge_sort_block_merge_config_selectorIddEEZZNS1_27merge_sort_block_merge_implIS3_N6thrust23THRUST_200600_302600_NS6detail15normal_iteratorINS8_10device_ptrIdEEEESD_jNS1_19radix_merge_compareILb0ELb0EdNS0_19identity_decomposerEEEEE10hipError_tT0_T1_T2_jT3_P12ihipStream_tbPNSt15iterator_traitsISI_E10value_typeEPNSO_ISJ_E10value_typeEPSK_NS1_7vsmem_tEENKUlT_SI_SJ_SK_E_clISD_PdSD_S10_EESH_SX_SI_SJ_SK_EUlSX_E_NS1_11comp_targetILNS1_3genE3ELNS1_11target_archE908ELNS1_3gpuE7ELNS1_3repE0EEENS1_48merge_mergepath_partition_config_static_selectorELNS0_4arch9wavefront6targetE1EEEvSJ_.has_indirect_call, 0
	.section	.AMDGPU.csdata,"",@progbits
; Kernel info:
; codeLenInByte = 0
; TotalNumSgprs: 6
; NumVgprs: 0
; NumAgprs: 0
; TotalNumVgprs: 0
; ScratchSize: 0
; MemoryBound: 0
; FloatMode: 240
; IeeeMode: 1
; LDSByteSize: 0 bytes/workgroup (compile time only)
; SGPRBlocks: 0
; VGPRBlocks: 0
; NumSGPRsForWavesPerEU: 6
; NumVGPRsForWavesPerEU: 1
; AccumOffset: 4
; Occupancy: 8
; WaveLimiterHint : 0
; COMPUTE_PGM_RSRC2:SCRATCH_EN: 0
; COMPUTE_PGM_RSRC2:USER_SGPR: 2
; COMPUTE_PGM_RSRC2:TRAP_HANDLER: 0
; COMPUTE_PGM_RSRC2:TGID_X_EN: 1
; COMPUTE_PGM_RSRC2:TGID_Y_EN: 0
; COMPUTE_PGM_RSRC2:TGID_Z_EN: 0
; COMPUTE_PGM_RSRC2:TIDIG_COMP_CNT: 0
; COMPUTE_PGM_RSRC3_GFX90A:ACCUM_OFFSET: 0
; COMPUTE_PGM_RSRC3_GFX90A:TG_SPLIT: 0
	.section	.text._ZN7rocprim17ROCPRIM_400000_NS6detail17trampoline_kernelINS0_14default_configENS1_38merge_sort_block_merge_config_selectorIddEEZZNS1_27merge_sort_block_merge_implIS3_N6thrust23THRUST_200600_302600_NS6detail15normal_iteratorINS8_10device_ptrIdEEEESD_jNS1_19radix_merge_compareILb0ELb0EdNS0_19identity_decomposerEEEEE10hipError_tT0_T1_T2_jT3_P12ihipStream_tbPNSt15iterator_traitsISI_E10value_typeEPNSO_ISJ_E10value_typeEPSK_NS1_7vsmem_tEENKUlT_SI_SJ_SK_E_clISD_PdSD_S10_EESH_SX_SI_SJ_SK_EUlSX_E_NS1_11comp_targetILNS1_3genE2ELNS1_11target_archE906ELNS1_3gpuE6ELNS1_3repE0EEENS1_48merge_mergepath_partition_config_static_selectorELNS0_4arch9wavefront6targetE1EEEvSJ_,"axG",@progbits,_ZN7rocprim17ROCPRIM_400000_NS6detail17trampoline_kernelINS0_14default_configENS1_38merge_sort_block_merge_config_selectorIddEEZZNS1_27merge_sort_block_merge_implIS3_N6thrust23THRUST_200600_302600_NS6detail15normal_iteratorINS8_10device_ptrIdEEEESD_jNS1_19radix_merge_compareILb0ELb0EdNS0_19identity_decomposerEEEEE10hipError_tT0_T1_T2_jT3_P12ihipStream_tbPNSt15iterator_traitsISI_E10value_typeEPNSO_ISJ_E10value_typeEPSK_NS1_7vsmem_tEENKUlT_SI_SJ_SK_E_clISD_PdSD_S10_EESH_SX_SI_SJ_SK_EUlSX_E_NS1_11comp_targetILNS1_3genE2ELNS1_11target_archE906ELNS1_3gpuE6ELNS1_3repE0EEENS1_48merge_mergepath_partition_config_static_selectorELNS0_4arch9wavefront6targetE1EEEvSJ_,comdat
	.protected	_ZN7rocprim17ROCPRIM_400000_NS6detail17trampoline_kernelINS0_14default_configENS1_38merge_sort_block_merge_config_selectorIddEEZZNS1_27merge_sort_block_merge_implIS3_N6thrust23THRUST_200600_302600_NS6detail15normal_iteratorINS8_10device_ptrIdEEEESD_jNS1_19radix_merge_compareILb0ELb0EdNS0_19identity_decomposerEEEEE10hipError_tT0_T1_T2_jT3_P12ihipStream_tbPNSt15iterator_traitsISI_E10value_typeEPNSO_ISJ_E10value_typeEPSK_NS1_7vsmem_tEENKUlT_SI_SJ_SK_E_clISD_PdSD_S10_EESH_SX_SI_SJ_SK_EUlSX_E_NS1_11comp_targetILNS1_3genE2ELNS1_11target_archE906ELNS1_3gpuE6ELNS1_3repE0EEENS1_48merge_mergepath_partition_config_static_selectorELNS0_4arch9wavefront6targetE1EEEvSJ_ ; -- Begin function _ZN7rocprim17ROCPRIM_400000_NS6detail17trampoline_kernelINS0_14default_configENS1_38merge_sort_block_merge_config_selectorIddEEZZNS1_27merge_sort_block_merge_implIS3_N6thrust23THRUST_200600_302600_NS6detail15normal_iteratorINS8_10device_ptrIdEEEESD_jNS1_19radix_merge_compareILb0ELb0EdNS0_19identity_decomposerEEEEE10hipError_tT0_T1_T2_jT3_P12ihipStream_tbPNSt15iterator_traitsISI_E10value_typeEPNSO_ISJ_E10value_typeEPSK_NS1_7vsmem_tEENKUlT_SI_SJ_SK_E_clISD_PdSD_S10_EESH_SX_SI_SJ_SK_EUlSX_E_NS1_11comp_targetILNS1_3genE2ELNS1_11target_archE906ELNS1_3gpuE6ELNS1_3repE0EEENS1_48merge_mergepath_partition_config_static_selectorELNS0_4arch9wavefront6targetE1EEEvSJ_
	.globl	_ZN7rocprim17ROCPRIM_400000_NS6detail17trampoline_kernelINS0_14default_configENS1_38merge_sort_block_merge_config_selectorIddEEZZNS1_27merge_sort_block_merge_implIS3_N6thrust23THRUST_200600_302600_NS6detail15normal_iteratorINS8_10device_ptrIdEEEESD_jNS1_19radix_merge_compareILb0ELb0EdNS0_19identity_decomposerEEEEE10hipError_tT0_T1_T2_jT3_P12ihipStream_tbPNSt15iterator_traitsISI_E10value_typeEPNSO_ISJ_E10value_typeEPSK_NS1_7vsmem_tEENKUlT_SI_SJ_SK_E_clISD_PdSD_S10_EESH_SX_SI_SJ_SK_EUlSX_E_NS1_11comp_targetILNS1_3genE2ELNS1_11target_archE906ELNS1_3gpuE6ELNS1_3repE0EEENS1_48merge_mergepath_partition_config_static_selectorELNS0_4arch9wavefront6targetE1EEEvSJ_
	.p2align	8
	.type	_ZN7rocprim17ROCPRIM_400000_NS6detail17trampoline_kernelINS0_14default_configENS1_38merge_sort_block_merge_config_selectorIddEEZZNS1_27merge_sort_block_merge_implIS3_N6thrust23THRUST_200600_302600_NS6detail15normal_iteratorINS8_10device_ptrIdEEEESD_jNS1_19radix_merge_compareILb0ELb0EdNS0_19identity_decomposerEEEEE10hipError_tT0_T1_T2_jT3_P12ihipStream_tbPNSt15iterator_traitsISI_E10value_typeEPNSO_ISJ_E10value_typeEPSK_NS1_7vsmem_tEENKUlT_SI_SJ_SK_E_clISD_PdSD_S10_EESH_SX_SI_SJ_SK_EUlSX_E_NS1_11comp_targetILNS1_3genE2ELNS1_11target_archE906ELNS1_3gpuE6ELNS1_3repE0EEENS1_48merge_mergepath_partition_config_static_selectorELNS0_4arch9wavefront6targetE1EEEvSJ_,@function
_ZN7rocprim17ROCPRIM_400000_NS6detail17trampoline_kernelINS0_14default_configENS1_38merge_sort_block_merge_config_selectorIddEEZZNS1_27merge_sort_block_merge_implIS3_N6thrust23THRUST_200600_302600_NS6detail15normal_iteratorINS8_10device_ptrIdEEEESD_jNS1_19radix_merge_compareILb0ELb0EdNS0_19identity_decomposerEEEEE10hipError_tT0_T1_T2_jT3_P12ihipStream_tbPNSt15iterator_traitsISI_E10value_typeEPNSO_ISJ_E10value_typeEPSK_NS1_7vsmem_tEENKUlT_SI_SJ_SK_E_clISD_PdSD_S10_EESH_SX_SI_SJ_SK_EUlSX_E_NS1_11comp_targetILNS1_3genE2ELNS1_11target_archE906ELNS1_3gpuE6ELNS1_3repE0EEENS1_48merge_mergepath_partition_config_static_selectorELNS0_4arch9wavefront6targetE1EEEvSJ_: ; @_ZN7rocprim17ROCPRIM_400000_NS6detail17trampoline_kernelINS0_14default_configENS1_38merge_sort_block_merge_config_selectorIddEEZZNS1_27merge_sort_block_merge_implIS3_N6thrust23THRUST_200600_302600_NS6detail15normal_iteratorINS8_10device_ptrIdEEEESD_jNS1_19radix_merge_compareILb0ELb0EdNS0_19identity_decomposerEEEEE10hipError_tT0_T1_T2_jT3_P12ihipStream_tbPNSt15iterator_traitsISI_E10value_typeEPNSO_ISJ_E10value_typeEPSK_NS1_7vsmem_tEENKUlT_SI_SJ_SK_E_clISD_PdSD_S10_EESH_SX_SI_SJ_SK_EUlSX_E_NS1_11comp_targetILNS1_3genE2ELNS1_11target_archE906ELNS1_3gpuE6ELNS1_3repE0EEENS1_48merge_mergepath_partition_config_static_selectorELNS0_4arch9wavefront6targetE1EEEvSJ_
; %bb.0:
	.section	.rodata,"a",@progbits
	.p2align	6, 0x0
	.amdhsa_kernel _ZN7rocprim17ROCPRIM_400000_NS6detail17trampoline_kernelINS0_14default_configENS1_38merge_sort_block_merge_config_selectorIddEEZZNS1_27merge_sort_block_merge_implIS3_N6thrust23THRUST_200600_302600_NS6detail15normal_iteratorINS8_10device_ptrIdEEEESD_jNS1_19radix_merge_compareILb0ELb0EdNS0_19identity_decomposerEEEEE10hipError_tT0_T1_T2_jT3_P12ihipStream_tbPNSt15iterator_traitsISI_E10value_typeEPNSO_ISJ_E10value_typeEPSK_NS1_7vsmem_tEENKUlT_SI_SJ_SK_E_clISD_PdSD_S10_EESH_SX_SI_SJ_SK_EUlSX_E_NS1_11comp_targetILNS1_3genE2ELNS1_11target_archE906ELNS1_3gpuE6ELNS1_3repE0EEENS1_48merge_mergepath_partition_config_static_selectorELNS0_4arch9wavefront6targetE1EEEvSJ_
		.amdhsa_group_segment_fixed_size 0
		.amdhsa_private_segment_fixed_size 0
		.amdhsa_kernarg_size 40
		.amdhsa_user_sgpr_count 2
		.amdhsa_user_sgpr_dispatch_ptr 0
		.amdhsa_user_sgpr_queue_ptr 0
		.amdhsa_user_sgpr_kernarg_segment_ptr 1
		.amdhsa_user_sgpr_dispatch_id 0
		.amdhsa_user_sgpr_kernarg_preload_length 0
		.amdhsa_user_sgpr_kernarg_preload_offset 0
		.amdhsa_user_sgpr_private_segment_size 0
		.amdhsa_uses_dynamic_stack 0
		.amdhsa_enable_private_segment 0
		.amdhsa_system_sgpr_workgroup_id_x 1
		.amdhsa_system_sgpr_workgroup_id_y 0
		.amdhsa_system_sgpr_workgroup_id_z 0
		.amdhsa_system_sgpr_workgroup_info 0
		.amdhsa_system_vgpr_workitem_id 0
		.amdhsa_next_free_vgpr 1
		.amdhsa_next_free_sgpr 0
		.amdhsa_accum_offset 4
		.amdhsa_reserve_vcc 0
		.amdhsa_float_round_mode_32 0
		.amdhsa_float_round_mode_16_64 0
		.amdhsa_float_denorm_mode_32 3
		.amdhsa_float_denorm_mode_16_64 3
		.amdhsa_dx10_clamp 1
		.amdhsa_ieee_mode 1
		.amdhsa_fp16_overflow 0
		.amdhsa_tg_split 0
		.amdhsa_exception_fp_ieee_invalid_op 0
		.amdhsa_exception_fp_denorm_src 0
		.amdhsa_exception_fp_ieee_div_zero 0
		.amdhsa_exception_fp_ieee_overflow 0
		.amdhsa_exception_fp_ieee_underflow 0
		.amdhsa_exception_fp_ieee_inexact 0
		.amdhsa_exception_int_div_zero 0
	.end_amdhsa_kernel
	.section	.text._ZN7rocprim17ROCPRIM_400000_NS6detail17trampoline_kernelINS0_14default_configENS1_38merge_sort_block_merge_config_selectorIddEEZZNS1_27merge_sort_block_merge_implIS3_N6thrust23THRUST_200600_302600_NS6detail15normal_iteratorINS8_10device_ptrIdEEEESD_jNS1_19radix_merge_compareILb0ELb0EdNS0_19identity_decomposerEEEEE10hipError_tT0_T1_T2_jT3_P12ihipStream_tbPNSt15iterator_traitsISI_E10value_typeEPNSO_ISJ_E10value_typeEPSK_NS1_7vsmem_tEENKUlT_SI_SJ_SK_E_clISD_PdSD_S10_EESH_SX_SI_SJ_SK_EUlSX_E_NS1_11comp_targetILNS1_3genE2ELNS1_11target_archE906ELNS1_3gpuE6ELNS1_3repE0EEENS1_48merge_mergepath_partition_config_static_selectorELNS0_4arch9wavefront6targetE1EEEvSJ_,"axG",@progbits,_ZN7rocprim17ROCPRIM_400000_NS6detail17trampoline_kernelINS0_14default_configENS1_38merge_sort_block_merge_config_selectorIddEEZZNS1_27merge_sort_block_merge_implIS3_N6thrust23THRUST_200600_302600_NS6detail15normal_iteratorINS8_10device_ptrIdEEEESD_jNS1_19radix_merge_compareILb0ELb0EdNS0_19identity_decomposerEEEEE10hipError_tT0_T1_T2_jT3_P12ihipStream_tbPNSt15iterator_traitsISI_E10value_typeEPNSO_ISJ_E10value_typeEPSK_NS1_7vsmem_tEENKUlT_SI_SJ_SK_E_clISD_PdSD_S10_EESH_SX_SI_SJ_SK_EUlSX_E_NS1_11comp_targetILNS1_3genE2ELNS1_11target_archE906ELNS1_3gpuE6ELNS1_3repE0EEENS1_48merge_mergepath_partition_config_static_selectorELNS0_4arch9wavefront6targetE1EEEvSJ_,comdat
.Lfunc_end54:
	.size	_ZN7rocprim17ROCPRIM_400000_NS6detail17trampoline_kernelINS0_14default_configENS1_38merge_sort_block_merge_config_selectorIddEEZZNS1_27merge_sort_block_merge_implIS3_N6thrust23THRUST_200600_302600_NS6detail15normal_iteratorINS8_10device_ptrIdEEEESD_jNS1_19radix_merge_compareILb0ELb0EdNS0_19identity_decomposerEEEEE10hipError_tT0_T1_T2_jT3_P12ihipStream_tbPNSt15iterator_traitsISI_E10value_typeEPNSO_ISJ_E10value_typeEPSK_NS1_7vsmem_tEENKUlT_SI_SJ_SK_E_clISD_PdSD_S10_EESH_SX_SI_SJ_SK_EUlSX_E_NS1_11comp_targetILNS1_3genE2ELNS1_11target_archE906ELNS1_3gpuE6ELNS1_3repE0EEENS1_48merge_mergepath_partition_config_static_selectorELNS0_4arch9wavefront6targetE1EEEvSJ_, .Lfunc_end54-_ZN7rocprim17ROCPRIM_400000_NS6detail17trampoline_kernelINS0_14default_configENS1_38merge_sort_block_merge_config_selectorIddEEZZNS1_27merge_sort_block_merge_implIS3_N6thrust23THRUST_200600_302600_NS6detail15normal_iteratorINS8_10device_ptrIdEEEESD_jNS1_19radix_merge_compareILb0ELb0EdNS0_19identity_decomposerEEEEE10hipError_tT0_T1_T2_jT3_P12ihipStream_tbPNSt15iterator_traitsISI_E10value_typeEPNSO_ISJ_E10value_typeEPSK_NS1_7vsmem_tEENKUlT_SI_SJ_SK_E_clISD_PdSD_S10_EESH_SX_SI_SJ_SK_EUlSX_E_NS1_11comp_targetILNS1_3genE2ELNS1_11target_archE906ELNS1_3gpuE6ELNS1_3repE0EEENS1_48merge_mergepath_partition_config_static_selectorELNS0_4arch9wavefront6targetE1EEEvSJ_
                                        ; -- End function
	.set _ZN7rocprim17ROCPRIM_400000_NS6detail17trampoline_kernelINS0_14default_configENS1_38merge_sort_block_merge_config_selectorIddEEZZNS1_27merge_sort_block_merge_implIS3_N6thrust23THRUST_200600_302600_NS6detail15normal_iteratorINS8_10device_ptrIdEEEESD_jNS1_19radix_merge_compareILb0ELb0EdNS0_19identity_decomposerEEEEE10hipError_tT0_T1_T2_jT3_P12ihipStream_tbPNSt15iterator_traitsISI_E10value_typeEPNSO_ISJ_E10value_typeEPSK_NS1_7vsmem_tEENKUlT_SI_SJ_SK_E_clISD_PdSD_S10_EESH_SX_SI_SJ_SK_EUlSX_E_NS1_11comp_targetILNS1_3genE2ELNS1_11target_archE906ELNS1_3gpuE6ELNS1_3repE0EEENS1_48merge_mergepath_partition_config_static_selectorELNS0_4arch9wavefront6targetE1EEEvSJ_.num_vgpr, 0
	.set _ZN7rocprim17ROCPRIM_400000_NS6detail17trampoline_kernelINS0_14default_configENS1_38merge_sort_block_merge_config_selectorIddEEZZNS1_27merge_sort_block_merge_implIS3_N6thrust23THRUST_200600_302600_NS6detail15normal_iteratorINS8_10device_ptrIdEEEESD_jNS1_19radix_merge_compareILb0ELb0EdNS0_19identity_decomposerEEEEE10hipError_tT0_T1_T2_jT3_P12ihipStream_tbPNSt15iterator_traitsISI_E10value_typeEPNSO_ISJ_E10value_typeEPSK_NS1_7vsmem_tEENKUlT_SI_SJ_SK_E_clISD_PdSD_S10_EESH_SX_SI_SJ_SK_EUlSX_E_NS1_11comp_targetILNS1_3genE2ELNS1_11target_archE906ELNS1_3gpuE6ELNS1_3repE0EEENS1_48merge_mergepath_partition_config_static_selectorELNS0_4arch9wavefront6targetE1EEEvSJ_.num_agpr, 0
	.set _ZN7rocprim17ROCPRIM_400000_NS6detail17trampoline_kernelINS0_14default_configENS1_38merge_sort_block_merge_config_selectorIddEEZZNS1_27merge_sort_block_merge_implIS3_N6thrust23THRUST_200600_302600_NS6detail15normal_iteratorINS8_10device_ptrIdEEEESD_jNS1_19radix_merge_compareILb0ELb0EdNS0_19identity_decomposerEEEEE10hipError_tT0_T1_T2_jT3_P12ihipStream_tbPNSt15iterator_traitsISI_E10value_typeEPNSO_ISJ_E10value_typeEPSK_NS1_7vsmem_tEENKUlT_SI_SJ_SK_E_clISD_PdSD_S10_EESH_SX_SI_SJ_SK_EUlSX_E_NS1_11comp_targetILNS1_3genE2ELNS1_11target_archE906ELNS1_3gpuE6ELNS1_3repE0EEENS1_48merge_mergepath_partition_config_static_selectorELNS0_4arch9wavefront6targetE1EEEvSJ_.numbered_sgpr, 0
	.set _ZN7rocprim17ROCPRIM_400000_NS6detail17trampoline_kernelINS0_14default_configENS1_38merge_sort_block_merge_config_selectorIddEEZZNS1_27merge_sort_block_merge_implIS3_N6thrust23THRUST_200600_302600_NS6detail15normal_iteratorINS8_10device_ptrIdEEEESD_jNS1_19radix_merge_compareILb0ELb0EdNS0_19identity_decomposerEEEEE10hipError_tT0_T1_T2_jT3_P12ihipStream_tbPNSt15iterator_traitsISI_E10value_typeEPNSO_ISJ_E10value_typeEPSK_NS1_7vsmem_tEENKUlT_SI_SJ_SK_E_clISD_PdSD_S10_EESH_SX_SI_SJ_SK_EUlSX_E_NS1_11comp_targetILNS1_3genE2ELNS1_11target_archE906ELNS1_3gpuE6ELNS1_3repE0EEENS1_48merge_mergepath_partition_config_static_selectorELNS0_4arch9wavefront6targetE1EEEvSJ_.num_named_barrier, 0
	.set _ZN7rocprim17ROCPRIM_400000_NS6detail17trampoline_kernelINS0_14default_configENS1_38merge_sort_block_merge_config_selectorIddEEZZNS1_27merge_sort_block_merge_implIS3_N6thrust23THRUST_200600_302600_NS6detail15normal_iteratorINS8_10device_ptrIdEEEESD_jNS1_19radix_merge_compareILb0ELb0EdNS0_19identity_decomposerEEEEE10hipError_tT0_T1_T2_jT3_P12ihipStream_tbPNSt15iterator_traitsISI_E10value_typeEPNSO_ISJ_E10value_typeEPSK_NS1_7vsmem_tEENKUlT_SI_SJ_SK_E_clISD_PdSD_S10_EESH_SX_SI_SJ_SK_EUlSX_E_NS1_11comp_targetILNS1_3genE2ELNS1_11target_archE906ELNS1_3gpuE6ELNS1_3repE0EEENS1_48merge_mergepath_partition_config_static_selectorELNS0_4arch9wavefront6targetE1EEEvSJ_.private_seg_size, 0
	.set _ZN7rocprim17ROCPRIM_400000_NS6detail17trampoline_kernelINS0_14default_configENS1_38merge_sort_block_merge_config_selectorIddEEZZNS1_27merge_sort_block_merge_implIS3_N6thrust23THRUST_200600_302600_NS6detail15normal_iteratorINS8_10device_ptrIdEEEESD_jNS1_19radix_merge_compareILb0ELb0EdNS0_19identity_decomposerEEEEE10hipError_tT0_T1_T2_jT3_P12ihipStream_tbPNSt15iterator_traitsISI_E10value_typeEPNSO_ISJ_E10value_typeEPSK_NS1_7vsmem_tEENKUlT_SI_SJ_SK_E_clISD_PdSD_S10_EESH_SX_SI_SJ_SK_EUlSX_E_NS1_11comp_targetILNS1_3genE2ELNS1_11target_archE906ELNS1_3gpuE6ELNS1_3repE0EEENS1_48merge_mergepath_partition_config_static_selectorELNS0_4arch9wavefront6targetE1EEEvSJ_.uses_vcc, 0
	.set _ZN7rocprim17ROCPRIM_400000_NS6detail17trampoline_kernelINS0_14default_configENS1_38merge_sort_block_merge_config_selectorIddEEZZNS1_27merge_sort_block_merge_implIS3_N6thrust23THRUST_200600_302600_NS6detail15normal_iteratorINS8_10device_ptrIdEEEESD_jNS1_19radix_merge_compareILb0ELb0EdNS0_19identity_decomposerEEEEE10hipError_tT0_T1_T2_jT3_P12ihipStream_tbPNSt15iterator_traitsISI_E10value_typeEPNSO_ISJ_E10value_typeEPSK_NS1_7vsmem_tEENKUlT_SI_SJ_SK_E_clISD_PdSD_S10_EESH_SX_SI_SJ_SK_EUlSX_E_NS1_11comp_targetILNS1_3genE2ELNS1_11target_archE906ELNS1_3gpuE6ELNS1_3repE0EEENS1_48merge_mergepath_partition_config_static_selectorELNS0_4arch9wavefront6targetE1EEEvSJ_.uses_flat_scratch, 0
	.set _ZN7rocprim17ROCPRIM_400000_NS6detail17trampoline_kernelINS0_14default_configENS1_38merge_sort_block_merge_config_selectorIddEEZZNS1_27merge_sort_block_merge_implIS3_N6thrust23THRUST_200600_302600_NS6detail15normal_iteratorINS8_10device_ptrIdEEEESD_jNS1_19radix_merge_compareILb0ELb0EdNS0_19identity_decomposerEEEEE10hipError_tT0_T1_T2_jT3_P12ihipStream_tbPNSt15iterator_traitsISI_E10value_typeEPNSO_ISJ_E10value_typeEPSK_NS1_7vsmem_tEENKUlT_SI_SJ_SK_E_clISD_PdSD_S10_EESH_SX_SI_SJ_SK_EUlSX_E_NS1_11comp_targetILNS1_3genE2ELNS1_11target_archE906ELNS1_3gpuE6ELNS1_3repE0EEENS1_48merge_mergepath_partition_config_static_selectorELNS0_4arch9wavefront6targetE1EEEvSJ_.has_dyn_sized_stack, 0
	.set _ZN7rocprim17ROCPRIM_400000_NS6detail17trampoline_kernelINS0_14default_configENS1_38merge_sort_block_merge_config_selectorIddEEZZNS1_27merge_sort_block_merge_implIS3_N6thrust23THRUST_200600_302600_NS6detail15normal_iteratorINS8_10device_ptrIdEEEESD_jNS1_19radix_merge_compareILb0ELb0EdNS0_19identity_decomposerEEEEE10hipError_tT0_T1_T2_jT3_P12ihipStream_tbPNSt15iterator_traitsISI_E10value_typeEPNSO_ISJ_E10value_typeEPSK_NS1_7vsmem_tEENKUlT_SI_SJ_SK_E_clISD_PdSD_S10_EESH_SX_SI_SJ_SK_EUlSX_E_NS1_11comp_targetILNS1_3genE2ELNS1_11target_archE906ELNS1_3gpuE6ELNS1_3repE0EEENS1_48merge_mergepath_partition_config_static_selectorELNS0_4arch9wavefront6targetE1EEEvSJ_.has_recursion, 0
	.set _ZN7rocprim17ROCPRIM_400000_NS6detail17trampoline_kernelINS0_14default_configENS1_38merge_sort_block_merge_config_selectorIddEEZZNS1_27merge_sort_block_merge_implIS3_N6thrust23THRUST_200600_302600_NS6detail15normal_iteratorINS8_10device_ptrIdEEEESD_jNS1_19radix_merge_compareILb0ELb0EdNS0_19identity_decomposerEEEEE10hipError_tT0_T1_T2_jT3_P12ihipStream_tbPNSt15iterator_traitsISI_E10value_typeEPNSO_ISJ_E10value_typeEPSK_NS1_7vsmem_tEENKUlT_SI_SJ_SK_E_clISD_PdSD_S10_EESH_SX_SI_SJ_SK_EUlSX_E_NS1_11comp_targetILNS1_3genE2ELNS1_11target_archE906ELNS1_3gpuE6ELNS1_3repE0EEENS1_48merge_mergepath_partition_config_static_selectorELNS0_4arch9wavefront6targetE1EEEvSJ_.has_indirect_call, 0
	.section	.AMDGPU.csdata,"",@progbits
; Kernel info:
; codeLenInByte = 0
; TotalNumSgprs: 6
; NumVgprs: 0
; NumAgprs: 0
; TotalNumVgprs: 0
; ScratchSize: 0
; MemoryBound: 0
; FloatMode: 240
; IeeeMode: 1
; LDSByteSize: 0 bytes/workgroup (compile time only)
; SGPRBlocks: 0
; VGPRBlocks: 0
; NumSGPRsForWavesPerEU: 6
; NumVGPRsForWavesPerEU: 1
; AccumOffset: 4
; Occupancy: 8
; WaveLimiterHint : 0
; COMPUTE_PGM_RSRC2:SCRATCH_EN: 0
; COMPUTE_PGM_RSRC2:USER_SGPR: 2
; COMPUTE_PGM_RSRC2:TRAP_HANDLER: 0
; COMPUTE_PGM_RSRC2:TGID_X_EN: 1
; COMPUTE_PGM_RSRC2:TGID_Y_EN: 0
; COMPUTE_PGM_RSRC2:TGID_Z_EN: 0
; COMPUTE_PGM_RSRC2:TIDIG_COMP_CNT: 0
; COMPUTE_PGM_RSRC3_GFX90A:ACCUM_OFFSET: 0
; COMPUTE_PGM_RSRC3_GFX90A:TG_SPLIT: 0
	.section	.text._ZN7rocprim17ROCPRIM_400000_NS6detail17trampoline_kernelINS0_14default_configENS1_38merge_sort_block_merge_config_selectorIddEEZZNS1_27merge_sort_block_merge_implIS3_N6thrust23THRUST_200600_302600_NS6detail15normal_iteratorINS8_10device_ptrIdEEEESD_jNS1_19radix_merge_compareILb0ELb0EdNS0_19identity_decomposerEEEEE10hipError_tT0_T1_T2_jT3_P12ihipStream_tbPNSt15iterator_traitsISI_E10value_typeEPNSO_ISJ_E10value_typeEPSK_NS1_7vsmem_tEENKUlT_SI_SJ_SK_E_clISD_PdSD_S10_EESH_SX_SI_SJ_SK_EUlSX_E_NS1_11comp_targetILNS1_3genE9ELNS1_11target_archE1100ELNS1_3gpuE3ELNS1_3repE0EEENS1_48merge_mergepath_partition_config_static_selectorELNS0_4arch9wavefront6targetE1EEEvSJ_,"axG",@progbits,_ZN7rocprim17ROCPRIM_400000_NS6detail17trampoline_kernelINS0_14default_configENS1_38merge_sort_block_merge_config_selectorIddEEZZNS1_27merge_sort_block_merge_implIS3_N6thrust23THRUST_200600_302600_NS6detail15normal_iteratorINS8_10device_ptrIdEEEESD_jNS1_19radix_merge_compareILb0ELb0EdNS0_19identity_decomposerEEEEE10hipError_tT0_T1_T2_jT3_P12ihipStream_tbPNSt15iterator_traitsISI_E10value_typeEPNSO_ISJ_E10value_typeEPSK_NS1_7vsmem_tEENKUlT_SI_SJ_SK_E_clISD_PdSD_S10_EESH_SX_SI_SJ_SK_EUlSX_E_NS1_11comp_targetILNS1_3genE9ELNS1_11target_archE1100ELNS1_3gpuE3ELNS1_3repE0EEENS1_48merge_mergepath_partition_config_static_selectorELNS0_4arch9wavefront6targetE1EEEvSJ_,comdat
	.protected	_ZN7rocprim17ROCPRIM_400000_NS6detail17trampoline_kernelINS0_14default_configENS1_38merge_sort_block_merge_config_selectorIddEEZZNS1_27merge_sort_block_merge_implIS3_N6thrust23THRUST_200600_302600_NS6detail15normal_iteratorINS8_10device_ptrIdEEEESD_jNS1_19radix_merge_compareILb0ELb0EdNS0_19identity_decomposerEEEEE10hipError_tT0_T1_T2_jT3_P12ihipStream_tbPNSt15iterator_traitsISI_E10value_typeEPNSO_ISJ_E10value_typeEPSK_NS1_7vsmem_tEENKUlT_SI_SJ_SK_E_clISD_PdSD_S10_EESH_SX_SI_SJ_SK_EUlSX_E_NS1_11comp_targetILNS1_3genE9ELNS1_11target_archE1100ELNS1_3gpuE3ELNS1_3repE0EEENS1_48merge_mergepath_partition_config_static_selectorELNS0_4arch9wavefront6targetE1EEEvSJ_ ; -- Begin function _ZN7rocprim17ROCPRIM_400000_NS6detail17trampoline_kernelINS0_14default_configENS1_38merge_sort_block_merge_config_selectorIddEEZZNS1_27merge_sort_block_merge_implIS3_N6thrust23THRUST_200600_302600_NS6detail15normal_iteratorINS8_10device_ptrIdEEEESD_jNS1_19radix_merge_compareILb0ELb0EdNS0_19identity_decomposerEEEEE10hipError_tT0_T1_T2_jT3_P12ihipStream_tbPNSt15iterator_traitsISI_E10value_typeEPNSO_ISJ_E10value_typeEPSK_NS1_7vsmem_tEENKUlT_SI_SJ_SK_E_clISD_PdSD_S10_EESH_SX_SI_SJ_SK_EUlSX_E_NS1_11comp_targetILNS1_3genE9ELNS1_11target_archE1100ELNS1_3gpuE3ELNS1_3repE0EEENS1_48merge_mergepath_partition_config_static_selectorELNS0_4arch9wavefront6targetE1EEEvSJ_
	.globl	_ZN7rocprim17ROCPRIM_400000_NS6detail17trampoline_kernelINS0_14default_configENS1_38merge_sort_block_merge_config_selectorIddEEZZNS1_27merge_sort_block_merge_implIS3_N6thrust23THRUST_200600_302600_NS6detail15normal_iteratorINS8_10device_ptrIdEEEESD_jNS1_19radix_merge_compareILb0ELb0EdNS0_19identity_decomposerEEEEE10hipError_tT0_T1_T2_jT3_P12ihipStream_tbPNSt15iterator_traitsISI_E10value_typeEPNSO_ISJ_E10value_typeEPSK_NS1_7vsmem_tEENKUlT_SI_SJ_SK_E_clISD_PdSD_S10_EESH_SX_SI_SJ_SK_EUlSX_E_NS1_11comp_targetILNS1_3genE9ELNS1_11target_archE1100ELNS1_3gpuE3ELNS1_3repE0EEENS1_48merge_mergepath_partition_config_static_selectorELNS0_4arch9wavefront6targetE1EEEvSJ_
	.p2align	8
	.type	_ZN7rocprim17ROCPRIM_400000_NS6detail17trampoline_kernelINS0_14default_configENS1_38merge_sort_block_merge_config_selectorIddEEZZNS1_27merge_sort_block_merge_implIS3_N6thrust23THRUST_200600_302600_NS6detail15normal_iteratorINS8_10device_ptrIdEEEESD_jNS1_19radix_merge_compareILb0ELb0EdNS0_19identity_decomposerEEEEE10hipError_tT0_T1_T2_jT3_P12ihipStream_tbPNSt15iterator_traitsISI_E10value_typeEPNSO_ISJ_E10value_typeEPSK_NS1_7vsmem_tEENKUlT_SI_SJ_SK_E_clISD_PdSD_S10_EESH_SX_SI_SJ_SK_EUlSX_E_NS1_11comp_targetILNS1_3genE9ELNS1_11target_archE1100ELNS1_3gpuE3ELNS1_3repE0EEENS1_48merge_mergepath_partition_config_static_selectorELNS0_4arch9wavefront6targetE1EEEvSJ_,@function
_ZN7rocprim17ROCPRIM_400000_NS6detail17trampoline_kernelINS0_14default_configENS1_38merge_sort_block_merge_config_selectorIddEEZZNS1_27merge_sort_block_merge_implIS3_N6thrust23THRUST_200600_302600_NS6detail15normal_iteratorINS8_10device_ptrIdEEEESD_jNS1_19radix_merge_compareILb0ELb0EdNS0_19identity_decomposerEEEEE10hipError_tT0_T1_T2_jT3_P12ihipStream_tbPNSt15iterator_traitsISI_E10value_typeEPNSO_ISJ_E10value_typeEPSK_NS1_7vsmem_tEENKUlT_SI_SJ_SK_E_clISD_PdSD_S10_EESH_SX_SI_SJ_SK_EUlSX_E_NS1_11comp_targetILNS1_3genE9ELNS1_11target_archE1100ELNS1_3gpuE3ELNS1_3repE0EEENS1_48merge_mergepath_partition_config_static_selectorELNS0_4arch9wavefront6targetE1EEEvSJ_: ; @_ZN7rocprim17ROCPRIM_400000_NS6detail17trampoline_kernelINS0_14default_configENS1_38merge_sort_block_merge_config_selectorIddEEZZNS1_27merge_sort_block_merge_implIS3_N6thrust23THRUST_200600_302600_NS6detail15normal_iteratorINS8_10device_ptrIdEEEESD_jNS1_19radix_merge_compareILb0ELb0EdNS0_19identity_decomposerEEEEE10hipError_tT0_T1_T2_jT3_P12ihipStream_tbPNSt15iterator_traitsISI_E10value_typeEPNSO_ISJ_E10value_typeEPSK_NS1_7vsmem_tEENKUlT_SI_SJ_SK_E_clISD_PdSD_S10_EESH_SX_SI_SJ_SK_EUlSX_E_NS1_11comp_targetILNS1_3genE9ELNS1_11target_archE1100ELNS1_3gpuE3ELNS1_3repE0EEENS1_48merge_mergepath_partition_config_static_selectorELNS0_4arch9wavefront6targetE1EEEvSJ_
; %bb.0:
	.section	.rodata,"a",@progbits
	.p2align	6, 0x0
	.amdhsa_kernel _ZN7rocprim17ROCPRIM_400000_NS6detail17trampoline_kernelINS0_14default_configENS1_38merge_sort_block_merge_config_selectorIddEEZZNS1_27merge_sort_block_merge_implIS3_N6thrust23THRUST_200600_302600_NS6detail15normal_iteratorINS8_10device_ptrIdEEEESD_jNS1_19radix_merge_compareILb0ELb0EdNS0_19identity_decomposerEEEEE10hipError_tT0_T1_T2_jT3_P12ihipStream_tbPNSt15iterator_traitsISI_E10value_typeEPNSO_ISJ_E10value_typeEPSK_NS1_7vsmem_tEENKUlT_SI_SJ_SK_E_clISD_PdSD_S10_EESH_SX_SI_SJ_SK_EUlSX_E_NS1_11comp_targetILNS1_3genE9ELNS1_11target_archE1100ELNS1_3gpuE3ELNS1_3repE0EEENS1_48merge_mergepath_partition_config_static_selectorELNS0_4arch9wavefront6targetE1EEEvSJ_
		.amdhsa_group_segment_fixed_size 0
		.amdhsa_private_segment_fixed_size 0
		.amdhsa_kernarg_size 40
		.amdhsa_user_sgpr_count 2
		.amdhsa_user_sgpr_dispatch_ptr 0
		.amdhsa_user_sgpr_queue_ptr 0
		.amdhsa_user_sgpr_kernarg_segment_ptr 1
		.amdhsa_user_sgpr_dispatch_id 0
		.amdhsa_user_sgpr_kernarg_preload_length 0
		.amdhsa_user_sgpr_kernarg_preload_offset 0
		.amdhsa_user_sgpr_private_segment_size 0
		.amdhsa_uses_dynamic_stack 0
		.amdhsa_enable_private_segment 0
		.amdhsa_system_sgpr_workgroup_id_x 1
		.amdhsa_system_sgpr_workgroup_id_y 0
		.amdhsa_system_sgpr_workgroup_id_z 0
		.amdhsa_system_sgpr_workgroup_info 0
		.amdhsa_system_vgpr_workitem_id 0
		.amdhsa_next_free_vgpr 1
		.amdhsa_next_free_sgpr 0
		.amdhsa_accum_offset 4
		.amdhsa_reserve_vcc 0
		.amdhsa_float_round_mode_32 0
		.amdhsa_float_round_mode_16_64 0
		.amdhsa_float_denorm_mode_32 3
		.amdhsa_float_denorm_mode_16_64 3
		.amdhsa_dx10_clamp 1
		.amdhsa_ieee_mode 1
		.amdhsa_fp16_overflow 0
		.amdhsa_tg_split 0
		.amdhsa_exception_fp_ieee_invalid_op 0
		.amdhsa_exception_fp_denorm_src 0
		.amdhsa_exception_fp_ieee_div_zero 0
		.amdhsa_exception_fp_ieee_overflow 0
		.amdhsa_exception_fp_ieee_underflow 0
		.amdhsa_exception_fp_ieee_inexact 0
		.amdhsa_exception_int_div_zero 0
	.end_amdhsa_kernel
	.section	.text._ZN7rocprim17ROCPRIM_400000_NS6detail17trampoline_kernelINS0_14default_configENS1_38merge_sort_block_merge_config_selectorIddEEZZNS1_27merge_sort_block_merge_implIS3_N6thrust23THRUST_200600_302600_NS6detail15normal_iteratorINS8_10device_ptrIdEEEESD_jNS1_19radix_merge_compareILb0ELb0EdNS0_19identity_decomposerEEEEE10hipError_tT0_T1_T2_jT3_P12ihipStream_tbPNSt15iterator_traitsISI_E10value_typeEPNSO_ISJ_E10value_typeEPSK_NS1_7vsmem_tEENKUlT_SI_SJ_SK_E_clISD_PdSD_S10_EESH_SX_SI_SJ_SK_EUlSX_E_NS1_11comp_targetILNS1_3genE9ELNS1_11target_archE1100ELNS1_3gpuE3ELNS1_3repE0EEENS1_48merge_mergepath_partition_config_static_selectorELNS0_4arch9wavefront6targetE1EEEvSJ_,"axG",@progbits,_ZN7rocprim17ROCPRIM_400000_NS6detail17trampoline_kernelINS0_14default_configENS1_38merge_sort_block_merge_config_selectorIddEEZZNS1_27merge_sort_block_merge_implIS3_N6thrust23THRUST_200600_302600_NS6detail15normal_iteratorINS8_10device_ptrIdEEEESD_jNS1_19radix_merge_compareILb0ELb0EdNS0_19identity_decomposerEEEEE10hipError_tT0_T1_T2_jT3_P12ihipStream_tbPNSt15iterator_traitsISI_E10value_typeEPNSO_ISJ_E10value_typeEPSK_NS1_7vsmem_tEENKUlT_SI_SJ_SK_E_clISD_PdSD_S10_EESH_SX_SI_SJ_SK_EUlSX_E_NS1_11comp_targetILNS1_3genE9ELNS1_11target_archE1100ELNS1_3gpuE3ELNS1_3repE0EEENS1_48merge_mergepath_partition_config_static_selectorELNS0_4arch9wavefront6targetE1EEEvSJ_,comdat
.Lfunc_end55:
	.size	_ZN7rocprim17ROCPRIM_400000_NS6detail17trampoline_kernelINS0_14default_configENS1_38merge_sort_block_merge_config_selectorIddEEZZNS1_27merge_sort_block_merge_implIS3_N6thrust23THRUST_200600_302600_NS6detail15normal_iteratorINS8_10device_ptrIdEEEESD_jNS1_19radix_merge_compareILb0ELb0EdNS0_19identity_decomposerEEEEE10hipError_tT0_T1_T2_jT3_P12ihipStream_tbPNSt15iterator_traitsISI_E10value_typeEPNSO_ISJ_E10value_typeEPSK_NS1_7vsmem_tEENKUlT_SI_SJ_SK_E_clISD_PdSD_S10_EESH_SX_SI_SJ_SK_EUlSX_E_NS1_11comp_targetILNS1_3genE9ELNS1_11target_archE1100ELNS1_3gpuE3ELNS1_3repE0EEENS1_48merge_mergepath_partition_config_static_selectorELNS0_4arch9wavefront6targetE1EEEvSJ_, .Lfunc_end55-_ZN7rocprim17ROCPRIM_400000_NS6detail17trampoline_kernelINS0_14default_configENS1_38merge_sort_block_merge_config_selectorIddEEZZNS1_27merge_sort_block_merge_implIS3_N6thrust23THRUST_200600_302600_NS6detail15normal_iteratorINS8_10device_ptrIdEEEESD_jNS1_19radix_merge_compareILb0ELb0EdNS0_19identity_decomposerEEEEE10hipError_tT0_T1_T2_jT3_P12ihipStream_tbPNSt15iterator_traitsISI_E10value_typeEPNSO_ISJ_E10value_typeEPSK_NS1_7vsmem_tEENKUlT_SI_SJ_SK_E_clISD_PdSD_S10_EESH_SX_SI_SJ_SK_EUlSX_E_NS1_11comp_targetILNS1_3genE9ELNS1_11target_archE1100ELNS1_3gpuE3ELNS1_3repE0EEENS1_48merge_mergepath_partition_config_static_selectorELNS0_4arch9wavefront6targetE1EEEvSJ_
                                        ; -- End function
	.set _ZN7rocprim17ROCPRIM_400000_NS6detail17trampoline_kernelINS0_14default_configENS1_38merge_sort_block_merge_config_selectorIddEEZZNS1_27merge_sort_block_merge_implIS3_N6thrust23THRUST_200600_302600_NS6detail15normal_iteratorINS8_10device_ptrIdEEEESD_jNS1_19radix_merge_compareILb0ELb0EdNS0_19identity_decomposerEEEEE10hipError_tT0_T1_T2_jT3_P12ihipStream_tbPNSt15iterator_traitsISI_E10value_typeEPNSO_ISJ_E10value_typeEPSK_NS1_7vsmem_tEENKUlT_SI_SJ_SK_E_clISD_PdSD_S10_EESH_SX_SI_SJ_SK_EUlSX_E_NS1_11comp_targetILNS1_3genE9ELNS1_11target_archE1100ELNS1_3gpuE3ELNS1_3repE0EEENS1_48merge_mergepath_partition_config_static_selectorELNS0_4arch9wavefront6targetE1EEEvSJ_.num_vgpr, 0
	.set _ZN7rocprim17ROCPRIM_400000_NS6detail17trampoline_kernelINS0_14default_configENS1_38merge_sort_block_merge_config_selectorIddEEZZNS1_27merge_sort_block_merge_implIS3_N6thrust23THRUST_200600_302600_NS6detail15normal_iteratorINS8_10device_ptrIdEEEESD_jNS1_19radix_merge_compareILb0ELb0EdNS0_19identity_decomposerEEEEE10hipError_tT0_T1_T2_jT3_P12ihipStream_tbPNSt15iterator_traitsISI_E10value_typeEPNSO_ISJ_E10value_typeEPSK_NS1_7vsmem_tEENKUlT_SI_SJ_SK_E_clISD_PdSD_S10_EESH_SX_SI_SJ_SK_EUlSX_E_NS1_11comp_targetILNS1_3genE9ELNS1_11target_archE1100ELNS1_3gpuE3ELNS1_3repE0EEENS1_48merge_mergepath_partition_config_static_selectorELNS0_4arch9wavefront6targetE1EEEvSJ_.num_agpr, 0
	.set _ZN7rocprim17ROCPRIM_400000_NS6detail17trampoline_kernelINS0_14default_configENS1_38merge_sort_block_merge_config_selectorIddEEZZNS1_27merge_sort_block_merge_implIS3_N6thrust23THRUST_200600_302600_NS6detail15normal_iteratorINS8_10device_ptrIdEEEESD_jNS1_19radix_merge_compareILb0ELb0EdNS0_19identity_decomposerEEEEE10hipError_tT0_T1_T2_jT3_P12ihipStream_tbPNSt15iterator_traitsISI_E10value_typeEPNSO_ISJ_E10value_typeEPSK_NS1_7vsmem_tEENKUlT_SI_SJ_SK_E_clISD_PdSD_S10_EESH_SX_SI_SJ_SK_EUlSX_E_NS1_11comp_targetILNS1_3genE9ELNS1_11target_archE1100ELNS1_3gpuE3ELNS1_3repE0EEENS1_48merge_mergepath_partition_config_static_selectorELNS0_4arch9wavefront6targetE1EEEvSJ_.numbered_sgpr, 0
	.set _ZN7rocprim17ROCPRIM_400000_NS6detail17trampoline_kernelINS0_14default_configENS1_38merge_sort_block_merge_config_selectorIddEEZZNS1_27merge_sort_block_merge_implIS3_N6thrust23THRUST_200600_302600_NS6detail15normal_iteratorINS8_10device_ptrIdEEEESD_jNS1_19radix_merge_compareILb0ELb0EdNS0_19identity_decomposerEEEEE10hipError_tT0_T1_T2_jT3_P12ihipStream_tbPNSt15iterator_traitsISI_E10value_typeEPNSO_ISJ_E10value_typeEPSK_NS1_7vsmem_tEENKUlT_SI_SJ_SK_E_clISD_PdSD_S10_EESH_SX_SI_SJ_SK_EUlSX_E_NS1_11comp_targetILNS1_3genE9ELNS1_11target_archE1100ELNS1_3gpuE3ELNS1_3repE0EEENS1_48merge_mergepath_partition_config_static_selectorELNS0_4arch9wavefront6targetE1EEEvSJ_.num_named_barrier, 0
	.set _ZN7rocprim17ROCPRIM_400000_NS6detail17trampoline_kernelINS0_14default_configENS1_38merge_sort_block_merge_config_selectorIddEEZZNS1_27merge_sort_block_merge_implIS3_N6thrust23THRUST_200600_302600_NS6detail15normal_iteratorINS8_10device_ptrIdEEEESD_jNS1_19radix_merge_compareILb0ELb0EdNS0_19identity_decomposerEEEEE10hipError_tT0_T1_T2_jT3_P12ihipStream_tbPNSt15iterator_traitsISI_E10value_typeEPNSO_ISJ_E10value_typeEPSK_NS1_7vsmem_tEENKUlT_SI_SJ_SK_E_clISD_PdSD_S10_EESH_SX_SI_SJ_SK_EUlSX_E_NS1_11comp_targetILNS1_3genE9ELNS1_11target_archE1100ELNS1_3gpuE3ELNS1_3repE0EEENS1_48merge_mergepath_partition_config_static_selectorELNS0_4arch9wavefront6targetE1EEEvSJ_.private_seg_size, 0
	.set _ZN7rocprim17ROCPRIM_400000_NS6detail17trampoline_kernelINS0_14default_configENS1_38merge_sort_block_merge_config_selectorIddEEZZNS1_27merge_sort_block_merge_implIS3_N6thrust23THRUST_200600_302600_NS6detail15normal_iteratorINS8_10device_ptrIdEEEESD_jNS1_19radix_merge_compareILb0ELb0EdNS0_19identity_decomposerEEEEE10hipError_tT0_T1_T2_jT3_P12ihipStream_tbPNSt15iterator_traitsISI_E10value_typeEPNSO_ISJ_E10value_typeEPSK_NS1_7vsmem_tEENKUlT_SI_SJ_SK_E_clISD_PdSD_S10_EESH_SX_SI_SJ_SK_EUlSX_E_NS1_11comp_targetILNS1_3genE9ELNS1_11target_archE1100ELNS1_3gpuE3ELNS1_3repE0EEENS1_48merge_mergepath_partition_config_static_selectorELNS0_4arch9wavefront6targetE1EEEvSJ_.uses_vcc, 0
	.set _ZN7rocprim17ROCPRIM_400000_NS6detail17trampoline_kernelINS0_14default_configENS1_38merge_sort_block_merge_config_selectorIddEEZZNS1_27merge_sort_block_merge_implIS3_N6thrust23THRUST_200600_302600_NS6detail15normal_iteratorINS8_10device_ptrIdEEEESD_jNS1_19radix_merge_compareILb0ELb0EdNS0_19identity_decomposerEEEEE10hipError_tT0_T1_T2_jT3_P12ihipStream_tbPNSt15iterator_traitsISI_E10value_typeEPNSO_ISJ_E10value_typeEPSK_NS1_7vsmem_tEENKUlT_SI_SJ_SK_E_clISD_PdSD_S10_EESH_SX_SI_SJ_SK_EUlSX_E_NS1_11comp_targetILNS1_3genE9ELNS1_11target_archE1100ELNS1_3gpuE3ELNS1_3repE0EEENS1_48merge_mergepath_partition_config_static_selectorELNS0_4arch9wavefront6targetE1EEEvSJ_.uses_flat_scratch, 0
	.set _ZN7rocprim17ROCPRIM_400000_NS6detail17trampoline_kernelINS0_14default_configENS1_38merge_sort_block_merge_config_selectorIddEEZZNS1_27merge_sort_block_merge_implIS3_N6thrust23THRUST_200600_302600_NS6detail15normal_iteratorINS8_10device_ptrIdEEEESD_jNS1_19radix_merge_compareILb0ELb0EdNS0_19identity_decomposerEEEEE10hipError_tT0_T1_T2_jT3_P12ihipStream_tbPNSt15iterator_traitsISI_E10value_typeEPNSO_ISJ_E10value_typeEPSK_NS1_7vsmem_tEENKUlT_SI_SJ_SK_E_clISD_PdSD_S10_EESH_SX_SI_SJ_SK_EUlSX_E_NS1_11comp_targetILNS1_3genE9ELNS1_11target_archE1100ELNS1_3gpuE3ELNS1_3repE0EEENS1_48merge_mergepath_partition_config_static_selectorELNS0_4arch9wavefront6targetE1EEEvSJ_.has_dyn_sized_stack, 0
	.set _ZN7rocprim17ROCPRIM_400000_NS6detail17trampoline_kernelINS0_14default_configENS1_38merge_sort_block_merge_config_selectorIddEEZZNS1_27merge_sort_block_merge_implIS3_N6thrust23THRUST_200600_302600_NS6detail15normal_iteratorINS8_10device_ptrIdEEEESD_jNS1_19radix_merge_compareILb0ELb0EdNS0_19identity_decomposerEEEEE10hipError_tT0_T1_T2_jT3_P12ihipStream_tbPNSt15iterator_traitsISI_E10value_typeEPNSO_ISJ_E10value_typeEPSK_NS1_7vsmem_tEENKUlT_SI_SJ_SK_E_clISD_PdSD_S10_EESH_SX_SI_SJ_SK_EUlSX_E_NS1_11comp_targetILNS1_3genE9ELNS1_11target_archE1100ELNS1_3gpuE3ELNS1_3repE0EEENS1_48merge_mergepath_partition_config_static_selectorELNS0_4arch9wavefront6targetE1EEEvSJ_.has_recursion, 0
	.set _ZN7rocprim17ROCPRIM_400000_NS6detail17trampoline_kernelINS0_14default_configENS1_38merge_sort_block_merge_config_selectorIddEEZZNS1_27merge_sort_block_merge_implIS3_N6thrust23THRUST_200600_302600_NS6detail15normal_iteratorINS8_10device_ptrIdEEEESD_jNS1_19radix_merge_compareILb0ELb0EdNS0_19identity_decomposerEEEEE10hipError_tT0_T1_T2_jT3_P12ihipStream_tbPNSt15iterator_traitsISI_E10value_typeEPNSO_ISJ_E10value_typeEPSK_NS1_7vsmem_tEENKUlT_SI_SJ_SK_E_clISD_PdSD_S10_EESH_SX_SI_SJ_SK_EUlSX_E_NS1_11comp_targetILNS1_3genE9ELNS1_11target_archE1100ELNS1_3gpuE3ELNS1_3repE0EEENS1_48merge_mergepath_partition_config_static_selectorELNS0_4arch9wavefront6targetE1EEEvSJ_.has_indirect_call, 0
	.section	.AMDGPU.csdata,"",@progbits
; Kernel info:
; codeLenInByte = 0
; TotalNumSgprs: 6
; NumVgprs: 0
; NumAgprs: 0
; TotalNumVgprs: 0
; ScratchSize: 0
; MemoryBound: 0
; FloatMode: 240
; IeeeMode: 1
; LDSByteSize: 0 bytes/workgroup (compile time only)
; SGPRBlocks: 0
; VGPRBlocks: 0
; NumSGPRsForWavesPerEU: 6
; NumVGPRsForWavesPerEU: 1
; AccumOffset: 4
; Occupancy: 8
; WaveLimiterHint : 0
; COMPUTE_PGM_RSRC2:SCRATCH_EN: 0
; COMPUTE_PGM_RSRC2:USER_SGPR: 2
; COMPUTE_PGM_RSRC2:TRAP_HANDLER: 0
; COMPUTE_PGM_RSRC2:TGID_X_EN: 1
; COMPUTE_PGM_RSRC2:TGID_Y_EN: 0
; COMPUTE_PGM_RSRC2:TGID_Z_EN: 0
; COMPUTE_PGM_RSRC2:TIDIG_COMP_CNT: 0
; COMPUTE_PGM_RSRC3_GFX90A:ACCUM_OFFSET: 0
; COMPUTE_PGM_RSRC3_GFX90A:TG_SPLIT: 0
	.section	.text._ZN7rocprim17ROCPRIM_400000_NS6detail17trampoline_kernelINS0_14default_configENS1_38merge_sort_block_merge_config_selectorIddEEZZNS1_27merge_sort_block_merge_implIS3_N6thrust23THRUST_200600_302600_NS6detail15normal_iteratorINS8_10device_ptrIdEEEESD_jNS1_19radix_merge_compareILb0ELb0EdNS0_19identity_decomposerEEEEE10hipError_tT0_T1_T2_jT3_P12ihipStream_tbPNSt15iterator_traitsISI_E10value_typeEPNSO_ISJ_E10value_typeEPSK_NS1_7vsmem_tEENKUlT_SI_SJ_SK_E_clISD_PdSD_S10_EESH_SX_SI_SJ_SK_EUlSX_E_NS1_11comp_targetILNS1_3genE8ELNS1_11target_archE1030ELNS1_3gpuE2ELNS1_3repE0EEENS1_48merge_mergepath_partition_config_static_selectorELNS0_4arch9wavefront6targetE1EEEvSJ_,"axG",@progbits,_ZN7rocprim17ROCPRIM_400000_NS6detail17trampoline_kernelINS0_14default_configENS1_38merge_sort_block_merge_config_selectorIddEEZZNS1_27merge_sort_block_merge_implIS3_N6thrust23THRUST_200600_302600_NS6detail15normal_iteratorINS8_10device_ptrIdEEEESD_jNS1_19radix_merge_compareILb0ELb0EdNS0_19identity_decomposerEEEEE10hipError_tT0_T1_T2_jT3_P12ihipStream_tbPNSt15iterator_traitsISI_E10value_typeEPNSO_ISJ_E10value_typeEPSK_NS1_7vsmem_tEENKUlT_SI_SJ_SK_E_clISD_PdSD_S10_EESH_SX_SI_SJ_SK_EUlSX_E_NS1_11comp_targetILNS1_3genE8ELNS1_11target_archE1030ELNS1_3gpuE2ELNS1_3repE0EEENS1_48merge_mergepath_partition_config_static_selectorELNS0_4arch9wavefront6targetE1EEEvSJ_,comdat
	.protected	_ZN7rocprim17ROCPRIM_400000_NS6detail17trampoline_kernelINS0_14default_configENS1_38merge_sort_block_merge_config_selectorIddEEZZNS1_27merge_sort_block_merge_implIS3_N6thrust23THRUST_200600_302600_NS6detail15normal_iteratorINS8_10device_ptrIdEEEESD_jNS1_19radix_merge_compareILb0ELb0EdNS0_19identity_decomposerEEEEE10hipError_tT0_T1_T2_jT3_P12ihipStream_tbPNSt15iterator_traitsISI_E10value_typeEPNSO_ISJ_E10value_typeEPSK_NS1_7vsmem_tEENKUlT_SI_SJ_SK_E_clISD_PdSD_S10_EESH_SX_SI_SJ_SK_EUlSX_E_NS1_11comp_targetILNS1_3genE8ELNS1_11target_archE1030ELNS1_3gpuE2ELNS1_3repE0EEENS1_48merge_mergepath_partition_config_static_selectorELNS0_4arch9wavefront6targetE1EEEvSJ_ ; -- Begin function _ZN7rocprim17ROCPRIM_400000_NS6detail17trampoline_kernelINS0_14default_configENS1_38merge_sort_block_merge_config_selectorIddEEZZNS1_27merge_sort_block_merge_implIS3_N6thrust23THRUST_200600_302600_NS6detail15normal_iteratorINS8_10device_ptrIdEEEESD_jNS1_19radix_merge_compareILb0ELb0EdNS0_19identity_decomposerEEEEE10hipError_tT0_T1_T2_jT3_P12ihipStream_tbPNSt15iterator_traitsISI_E10value_typeEPNSO_ISJ_E10value_typeEPSK_NS1_7vsmem_tEENKUlT_SI_SJ_SK_E_clISD_PdSD_S10_EESH_SX_SI_SJ_SK_EUlSX_E_NS1_11comp_targetILNS1_3genE8ELNS1_11target_archE1030ELNS1_3gpuE2ELNS1_3repE0EEENS1_48merge_mergepath_partition_config_static_selectorELNS0_4arch9wavefront6targetE1EEEvSJ_
	.globl	_ZN7rocprim17ROCPRIM_400000_NS6detail17trampoline_kernelINS0_14default_configENS1_38merge_sort_block_merge_config_selectorIddEEZZNS1_27merge_sort_block_merge_implIS3_N6thrust23THRUST_200600_302600_NS6detail15normal_iteratorINS8_10device_ptrIdEEEESD_jNS1_19radix_merge_compareILb0ELb0EdNS0_19identity_decomposerEEEEE10hipError_tT0_T1_T2_jT3_P12ihipStream_tbPNSt15iterator_traitsISI_E10value_typeEPNSO_ISJ_E10value_typeEPSK_NS1_7vsmem_tEENKUlT_SI_SJ_SK_E_clISD_PdSD_S10_EESH_SX_SI_SJ_SK_EUlSX_E_NS1_11comp_targetILNS1_3genE8ELNS1_11target_archE1030ELNS1_3gpuE2ELNS1_3repE0EEENS1_48merge_mergepath_partition_config_static_selectorELNS0_4arch9wavefront6targetE1EEEvSJ_
	.p2align	8
	.type	_ZN7rocprim17ROCPRIM_400000_NS6detail17trampoline_kernelINS0_14default_configENS1_38merge_sort_block_merge_config_selectorIddEEZZNS1_27merge_sort_block_merge_implIS3_N6thrust23THRUST_200600_302600_NS6detail15normal_iteratorINS8_10device_ptrIdEEEESD_jNS1_19radix_merge_compareILb0ELb0EdNS0_19identity_decomposerEEEEE10hipError_tT0_T1_T2_jT3_P12ihipStream_tbPNSt15iterator_traitsISI_E10value_typeEPNSO_ISJ_E10value_typeEPSK_NS1_7vsmem_tEENKUlT_SI_SJ_SK_E_clISD_PdSD_S10_EESH_SX_SI_SJ_SK_EUlSX_E_NS1_11comp_targetILNS1_3genE8ELNS1_11target_archE1030ELNS1_3gpuE2ELNS1_3repE0EEENS1_48merge_mergepath_partition_config_static_selectorELNS0_4arch9wavefront6targetE1EEEvSJ_,@function
_ZN7rocprim17ROCPRIM_400000_NS6detail17trampoline_kernelINS0_14default_configENS1_38merge_sort_block_merge_config_selectorIddEEZZNS1_27merge_sort_block_merge_implIS3_N6thrust23THRUST_200600_302600_NS6detail15normal_iteratorINS8_10device_ptrIdEEEESD_jNS1_19radix_merge_compareILb0ELb0EdNS0_19identity_decomposerEEEEE10hipError_tT0_T1_T2_jT3_P12ihipStream_tbPNSt15iterator_traitsISI_E10value_typeEPNSO_ISJ_E10value_typeEPSK_NS1_7vsmem_tEENKUlT_SI_SJ_SK_E_clISD_PdSD_S10_EESH_SX_SI_SJ_SK_EUlSX_E_NS1_11comp_targetILNS1_3genE8ELNS1_11target_archE1030ELNS1_3gpuE2ELNS1_3repE0EEENS1_48merge_mergepath_partition_config_static_selectorELNS0_4arch9wavefront6targetE1EEEvSJ_: ; @_ZN7rocprim17ROCPRIM_400000_NS6detail17trampoline_kernelINS0_14default_configENS1_38merge_sort_block_merge_config_selectorIddEEZZNS1_27merge_sort_block_merge_implIS3_N6thrust23THRUST_200600_302600_NS6detail15normal_iteratorINS8_10device_ptrIdEEEESD_jNS1_19radix_merge_compareILb0ELb0EdNS0_19identity_decomposerEEEEE10hipError_tT0_T1_T2_jT3_P12ihipStream_tbPNSt15iterator_traitsISI_E10value_typeEPNSO_ISJ_E10value_typeEPSK_NS1_7vsmem_tEENKUlT_SI_SJ_SK_E_clISD_PdSD_S10_EESH_SX_SI_SJ_SK_EUlSX_E_NS1_11comp_targetILNS1_3genE8ELNS1_11target_archE1030ELNS1_3gpuE2ELNS1_3repE0EEENS1_48merge_mergepath_partition_config_static_selectorELNS0_4arch9wavefront6targetE1EEEvSJ_
; %bb.0:
	.section	.rodata,"a",@progbits
	.p2align	6, 0x0
	.amdhsa_kernel _ZN7rocprim17ROCPRIM_400000_NS6detail17trampoline_kernelINS0_14default_configENS1_38merge_sort_block_merge_config_selectorIddEEZZNS1_27merge_sort_block_merge_implIS3_N6thrust23THRUST_200600_302600_NS6detail15normal_iteratorINS8_10device_ptrIdEEEESD_jNS1_19radix_merge_compareILb0ELb0EdNS0_19identity_decomposerEEEEE10hipError_tT0_T1_T2_jT3_P12ihipStream_tbPNSt15iterator_traitsISI_E10value_typeEPNSO_ISJ_E10value_typeEPSK_NS1_7vsmem_tEENKUlT_SI_SJ_SK_E_clISD_PdSD_S10_EESH_SX_SI_SJ_SK_EUlSX_E_NS1_11comp_targetILNS1_3genE8ELNS1_11target_archE1030ELNS1_3gpuE2ELNS1_3repE0EEENS1_48merge_mergepath_partition_config_static_selectorELNS0_4arch9wavefront6targetE1EEEvSJ_
		.amdhsa_group_segment_fixed_size 0
		.amdhsa_private_segment_fixed_size 0
		.amdhsa_kernarg_size 40
		.amdhsa_user_sgpr_count 2
		.amdhsa_user_sgpr_dispatch_ptr 0
		.amdhsa_user_sgpr_queue_ptr 0
		.amdhsa_user_sgpr_kernarg_segment_ptr 1
		.amdhsa_user_sgpr_dispatch_id 0
		.amdhsa_user_sgpr_kernarg_preload_length 0
		.amdhsa_user_sgpr_kernarg_preload_offset 0
		.amdhsa_user_sgpr_private_segment_size 0
		.amdhsa_uses_dynamic_stack 0
		.amdhsa_enable_private_segment 0
		.amdhsa_system_sgpr_workgroup_id_x 1
		.amdhsa_system_sgpr_workgroup_id_y 0
		.amdhsa_system_sgpr_workgroup_id_z 0
		.amdhsa_system_sgpr_workgroup_info 0
		.amdhsa_system_vgpr_workitem_id 0
		.amdhsa_next_free_vgpr 1
		.amdhsa_next_free_sgpr 0
		.amdhsa_accum_offset 4
		.amdhsa_reserve_vcc 0
		.amdhsa_float_round_mode_32 0
		.amdhsa_float_round_mode_16_64 0
		.amdhsa_float_denorm_mode_32 3
		.amdhsa_float_denorm_mode_16_64 3
		.amdhsa_dx10_clamp 1
		.amdhsa_ieee_mode 1
		.amdhsa_fp16_overflow 0
		.amdhsa_tg_split 0
		.amdhsa_exception_fp_ieee_invalid_op 0
		.amdhsa_exception_fp_denorm_src 0
		.amdhsa_exception_fp_ieee_div_zero 0
		.amdhsa_exception_fp_ieee_overflow 0
		.amdhsa_exception_fp_ieee_underflow 0
		.amdhsa_exception_fp_ieee_inexact 0
		.amdhsa_exception_int_div_zero 0
	.end_amdhsa_kernel
	.section	.text._ZN7rocprim17ROCPRIM_400000_NS6detail17trampoline_kernelINS0_14default_configENS1_38merge_sort_block_merge_config_selectorIddEEZZNS1_27merge_sort_block_merge_implIS3_N6thrust23THRUST_200600_302600_NS6detail15normal_iteratorINS8_10device_ptrIdEEEESD_jNS1_19radix_merge_compareILb0ELb0EdNS0_19identity_decomposerEEEEE10hipError_tT0_T1_T2_jT3_P12ihipStream_tbPNSt15iterator_traitsISI_E10value_typeEPNSO_ISJ_E10value_typeEPSK_NS1_7vsmem_tEENKUlT_SI_SJ_SK_E_clISD_PdSD_S10_EESH_SX_SI_SJ_SK_EUlSX_E_NS1_11comp_targetILNS1_3genE8ELNS1_11target_archE1030ELNS1_3gpuE2ELNS1_3repE0EEENS1_48merge_mergepath_partition_config_static_selectorELNS0_4arch9wavefront6targetE1EEEvSJ_,"axG",@progbits,_ZN7rocprim17ROCPRIM_400000_NS6detail17trampoline_kernelINS0_14default_configENS1_38merge_sort_block_merge_config_selectorIddEEZZNS1_27merge_sort_block_merge_implIS3_N6thrust23THRUST_200600_302600_NS6detail15normal_iteratorINS8_10device_ptrIdEEEESD_jNS1_19radix_merge_compareILb0ELb0EdNS0_19identity_decomposerEEEEE10hipError_tT0_T1_T2_jT3_P12ihipStream_tbPNSt15iterator_traitsISI_E10value_typeEPNSO_ISJ_E10value_typeEPSK_NS1_7vsmem_tEENKUlT_SI_SJ_SK_E_clISD_PdSD_S10_EESH_SX_SI_SJ_SK_EUlSX_E_NS1_11comp_targetILNS1_3genE8ELNS1_11target_archE1030ELNS1_3gpuE2ELNS1_3repE0EEENS1_48merge_mergepath_partition_config_static_selectorELNS0_4arch9wavefront6targetE1EEEvSJ_,comdat
.Lfunc_end56:
	.size	_ZN7rocprim17ROCPRIM_400000_NS6detail17trampoline_kernelINS0_14default_configENS1_38merge_sort_block_merge_config_selectorIddEEZZNS1_27merge_sort_block_merge_implIS3_N6thrust23THRUST_200600_302600_NS6detail15normal_iteratorINS8_10device_ptrIdEEEESD_jNS1_19radix_merge_compareILb0ELb0EdNS0_19identity_decomposerEEEEE10hipError_tT0_T1_T2_jT3_P12ihipStream_tbPNSt15iterator_traitsISI_E10value_typeEPNSO_ISJ_E10value_typeEPSK_NS1_7vsmem_tEENKUlT_SI_SJ_SK_E_clISD_PdSD_S10_EESH_SX_SI_SJ_SK_EUlSX_E_NS1_11comp_targetILNS1_3genE8ELNS1_11target_archE1030ELNS1_3gpuE2ELNS1_3repE0EEENS1_48merge_mergepath_partition_config_static_selectorELNS0_4arch9wavefront6targetE1EEEvSJ_, .Lfunc_end56-_ZN7rocprim17ROCPRIM_400000_NS6detail17trampoline_kernelINS0_14default_configENS1_38merge_sort_block_merge_config_selectorIddEEZZNS1_27merge_sort_block_merge_implIS3_N6thrust23THRUST_200600_302600_NS6detail15normal_iteratorINS8_10device_ptrIdEEEESD_jNS1_19radix_merge_compareILb0ELb0EdNS0_19identity_decomposerEEEEE10hipError_tT0_T1_T2_jT3_P12ihipStream_tbPNSt15iterator_traitsISI_E10value_typeEPNSO_ISJ_E10value_typeEPSK_NS1_7vsmem_tEENKUlT_SI_SJ_SK_E_clISD_PdSD_S10_EESH_SX_SI_SJ_SK_EUlSX_E_NS1_11comp_targetILNS1_3genE8ELNS1_11target_archE1030ELNS1_3gpuE2ELNS1_3repE0EEENS1_48merge_mergepath_partition_config_static_selectorELNS0_4arch9wavefront6targetE1EEEvSJ_
                                        ; -- End function
	.set _ZN7rocprim17ROCPRIM_400000_NS6detail17trampoline_kernelINS0_14default_configENS1_38merge_sort_block_merge_config_selectorIddEEZZNS1_27merge_sort_block_merge_implIS3_N6thrust23THRUST_200600_302600_NS6detail15normal_iteratorINS8_10device_ptrIdEEEESD_jNS1_19radix_merge_compareILb0ELb0EdNS0_19identity_decomposerEEEEE10hipError_tT0_T1_T2_jT3_P12ihipStream_tbPNSt15iterator_traitsISI_E10value_typeEPNSO_ISJ_E10value_typeEPSK_NS1_7vsmem_tEENKUlT_SI_SJ_SK_E_clISD_PdSD_S10_EESH_SX_SI_SJ_SK_EUlSX_E_NS1_11comp_targetILNS1_3genE8ELNS1_11target_archE1030ELNS1_3gpuE2ELNS1_3repE0EEENS1_48merge_mergepath_partition_config_static_selectorELNS0_4arch9wavefront6targetE1EEEvSJ_.num_vgpr, 0
	.set _ZN7rocprim17ROCPRIM_400000_NS6detail17trampoline_kernelINS0_14default_configENS1_38merge_sort_block_merge_config_selectorIddEEZZNS1_27merge_sort_block_merge_implIS3_N6thrust23THRUST_200600_302600_NS6detail15normal_iteratorINS8_10device_ptrIdEEEESD_jNS1_19radix_merge_compareILb0ELb0EdNS0_19identity_decomposerEEEEE10hipError_tT0_T1_T2_jT3_P12ihipStream_tbPNSt15iterator_traitsISI_E10value_typeEPNSO_ISJ_E10value_typeEPSK_NS1_7vsmem_tEENKUlT_SI_SJ_SK_E_clISD_PdSD_S10_EESH_SX_SI_SJ_SK_EUlSX_E_NS1_11comp_targetILNS1_3genE8ELNS1_11target_archE1030ELNS1_3gpuE2ELNS1_3repE0EEENS1_48merge_mergepath_partition_config_static_selectorELNS0_4arch9wavefront6targetE1EEEvSJ_.num_agpr, 0
	.set _ZN7rocprim17ROCPRIM_400000_NS6detail17trampoline_kernelINS0_14default_configENS1_38merge_sort_block_merge_config_selectorIddEEZZNS1_27merge_sort_block_merge_implIS3_N6thrust23THRUST_200600_302600_NS6detail15normal_iteratorINS8_10device_ptrIdEEEESD_jNS1_19radix_merge_compareILb0ELb0EdNS0_19identity_decomposerEEEEE10hipError_tT0_T1_T2_jT3_P12ihipStream_tbPNSt15iterator_traitsISI_E10value_typeEPNSO_ISJ_E10value_typeEPSK_NS1_7vsmem_tEENKUlT_SI_SJ_SK_E_clISD_PdSD_S10_EESH_SX_SI_SJ_SK_EUlSX_E_NS1_11comp_targetILNS1_3genE8ELNS1_11target_archE1030ELNS1_3gpuE2ELNS1_3repE0EEENS1_48merge_mergepath_partition_config_static_selectorELNS0_4arch9wavefront6targetE1EEEvSJ_.numbered_sgpr, 0
	.set _ZN7rocprim17ROCPRIM_400000_NS6detail17trampoline_kernelINS0_14default_configENS1_38merge_sort_block_merge_config_selectorIddEEZZNS1_27merge_sort_block_merge_implIS3_N6thrust23THRUST_200600_302600_NS6detail15normal_iteratorINS8_10device_ptrIdEEEESD_jNS1_19radix_merge_compareILb0ELb0EdNS0_19identity_decomposerEEEEE10hipError_tT0_T1_T2_jT3_P12ihipStream_tbPNSt15iterator_traitsISI_E10value_typeEPNSO_ISJ_E10value_typeEPSK_NS1_7vsmem_tEENKUlT_SI_SJ_SK_E_clISD_PdSD_S10_EESH_SX_SI_SJ_SK_EUlSX_E_NS1_11comp_targetILNS1_3genE8ELNS1_11target_archE1030ELNS1_3gpuE2ELNS1_3repE0EEENS1_48merge_mergepath_partition_config_static_selectorELNS0_4arch9wavefront6targetE1EEEvSJ_.num_named_barrier, 0
	.set _ZN7rocprim17ROCPRIM_400000_NS6detail17trampoline_kernelINS0_14default_configENS1_38merge_sort_block_merge_config_selectorIddEEZZNS1_27merge_sort_block_merge_implIS3_N6thrust23THRUST_200600_302600_NS6detail15normal_iteratorINS8_10device_ptrIdEEEESD_jNS1_19radix_merge_compareILb0ELb0EdNS0_19identity_decomposerEEEEE10hipError_tT0_T1_T2_jT3_P12ihipStream_tbPNSt15iterator_traitsISI_E10value_typeEPNSO_ISJ_E10value_typeEPSK_NS1_7vsmem_tEENKUlT_SI_SJ_SK_E_clISD_PdSD_S10_EESH_SX_SI_SJ_SK_EUlSX_E_NS1_11comp_targetILNS1_3genE8ELNS1_11target_archE1030ELNS1_3gpuE2ELNS1_3repE0EEENS1_48merge_mergepath_partition_config_static_selectorELNS0_4arch9wavefront6targetE1EEEvSJ_.private_seg_size, 0
	.set _ZN7rocprim17ROCPRIM_400000_NS6detail17trampoline_kernelINS0_14default_configENS1_38merge_sort_block_merge_config_selectorIddEEZZNS1_27merge_sort_block_merge_implIS3_N6thrust23THRUST_200600_302600_NS6detail15normal_iteratorINS8_10device_ptrIdEEEESD_jNS1_19radix_merge_compareILb0ELb0EdNS0_19identity_decomposerEEEEE10hipError_tT0_T1_T2_jT3_P12ihipStream_tbPNSt15iterator_traitsISI_E10value_typeEPNSO_ISJ_E10value_typeEPSK_NS1_7vsmem_tEENKUlT_SI_SJ_SK_E_clISD_PdSD_S10_EESH_SX_SI_SJ_SK_EUlSX_E_NS1_11comp_targetILNS1_3genE8ELNS1_11target_archE1030ELNS1_3gpuE2ELNS1_3repE0EEENS1_48merge_mergepath_partition_config_static_selectorELNS0_4arch9wavefront6targetE1EEEvSJ_.uses_vcc, 0
	.set _ZN7rocprim17ROCPRIM_400000_NS6detail17trampoline_kernelINS0_14default_configENS1_38merge_sort_block_merge_config_selectorIddEEZZNS1_27merge_sort_block_merge_implIS3_N6thrust23THRUST_200600_302600_NS6detail15normal_iteratorINS8_10device_ptrIdEEEESD_jNS1_19radix_merge_compareILb0ELb0EdNS0_19identity_decomposerEEEEE10hipError_tT0_T1_T2_jT3_P12ihipStream_tbPNSt15iterator_traitsISI_E10value_typeEPNSO_ISJ_E10value_typeEPSK_NS1_7vsmem_tEENKUlT_SI_SJ_SK_E_clISD_PdSD_S10_EESH_SX_SI_SJ_SK_EUlSX_E_NS1_11comp_targetILNS1_3genE8ELNS1_11target_archE1030ELNS1_3gpuE2ELNS1_3repE0EEENS1_48merge_mergepath_partition_config_static_selectorELNS0_4arch9wavefront6targetE1EEEvSJ_.uses_flat_scratch, 0
	.set _ZN7rocprim17ROCPRIM_400000_NS6detail17trampoline_kernelINS0_14default_configENS1_38merge_sort_block_merge_config_selectorIddEEZZNS1_27merge_sort_block_merge_implIS3_N6thrust23THRUST_200600_302600_NS6detail15normal_iteratorINS8_10device_ptrIdEEEESD_jNS1_19radix_merge_compareILb0ELb0EdNS0_19identity_decomposerEEEEE10hipError_tT0_T1_T2_jT3_P12ihipStream_tbPNSt15iterator_traitsISI_E10value_typeEPNSO_ISJ_E10value_typeEPSK_NS1_7vsmem_tEENKUlT_SI_SJ_SK_E_clISD_PdSD_S10_EESH_SX_SI_SJ_SK_EUlSX_E_NS1_11comp_targetILNS1_3genE8ELNS1_11target_archE1030ELNS1_3gpuE2ELNS1_3repE0EEENS1_48merge_mergepath_partition_config_static_selectorELNS0_4arch9wavefront6targetE1EEEvSJ_.has_dyn_sized_stack, 0
	.set _ZN7rocprim17ROCPRIM_400000_NS6detail17trampoline_kernelINS0_14default_configENS1_38merge_sort_block_merge_config_selectorIddEEZZNS1_27merge_sort_block_merge_implIS3_N6thrust23THRUST_200600_302600_NS6detail15normal_iteratorINS8_10device_ptrIdEEEESD_jNS1_19radix_merge_compareILb0ELb0EdNS0_19identity_decomposerEEEEE10hipError_tT0_T1_T2_jT3_P12ihipStream_tbPNSt15iterator_traitsISI_E10value_typeEPNSO_ISJ_E10value_typeEPSK_NS1_7vsmem_tEENKUlT_SI_SJ_SK_E_clISD_PdSD_S10_EESH_SX_SI_SJ_SK_EUlSX_E_NS1_11comp_targetILNS1_3genE8ELNS1_11target_archE1030ELNS1_3gpuE2ELNS1_3repE0EEENS1_48merge_mergepath_partition_config_static_selectorELNS0_4arch9wavefront6targetE1EEEvSJ_.has_recursion, 0
	.set _ZN7rocprim17ROCPRIM_400000_NS6detail17trampoline_kernelINS0_14default_configENS1_38merge_sort_block_merge_config_selectorIddEEZZNS1_27merge_sort_block_merge_implIS3_N6thrust23THRUST_200600_302600_NS6detail15normal_iteratorINS8_10device_ptrIdEEEESD_jNS1_19radix_merge_compareILb0ELb0EdNS0_19identity_decomposerEEEEE10hipError_tT0_T1_T2_jT3_P12ihipStream_tbPNSt15iterator_traitsISI_E10value_typeEPNSO_ISJ_E10value_typeEPSK_NS1_7vsmem_tEENKUlT_SI_SJ_SK_E_clISD_PdSD_S10_EESH_SX_SI_SJ_SK_EUlSX_E_NS1_11comp_targetILNS1_3genE8ELNS1_11target_archE1030ELNS1_3gpuE2ELNS1_3repE0EEENS1_48merge_mergepath_partition_config_static_selectorELNS0_4arch9wavefront6targetE1EEEvSJ_.has_indirect_call, 0
	.section	.AMDGPU.csdata,"",@progbits
; Kernel info:
; codeLenInByte = 0
; TotalNumSgprs: 6
; NumVgprs: 0
; NumAgprs: 0
; TotalNumVgprs: 0
; ScratchSize: 0
; MemoryBound: 0
; FloatMode: 240
; IeeeMode: 1
; LDSByteSize: 0 bytes/workgroup (compile time only)
; SGPRBlocks: 0
; VGPRBlocks: 0
; NumSGPRsForWavesPerEU: 6
; NumVGPRsForWavesPerEU: 1
; AccumOffset: 4
; Occupancy: 8
; WaveLimiterHint : 0
; COMPUTE_PGM_RSRC2:SCRATCH_EN: 0
; COMPUTE_PGM_RSRC2:USER_SGPR: 2
; COMPUTE_PGM_RSRC2:TRAP_HANDLER: 0
; COMPUTE_PGM_RSRC2:TGID_X_EN: 1
; COMPUTE_PGM_RSRC2:TGID_Y_EN: 0
; COMPUTE_PGM_RSRC2:TGID_Z_EN: 0
; COMPUTE_PGM_RSRC2:TIDIG_COMP_CNT: 0
; COMPUTE_PGM_RSRC3_GFX90A:ACCUM_OFFSET: 0
; COMPUTE_PGM_RSRC3_GFX90A:TG_SPLIT: 0
	.section	.text._ZN7rocprim17ROCPRIM_400000_NS6detail17trampoline_kernelINS0_14default_configENS1_38merge_sort_block_merge_config_selectorIddEEZZNS1_27merge_sort_block_merge_implIS3_N6thrust23THRUST_200600_302600_NS6detail15normal_iteratorINS8_10device_ptrIdEEEESD_jNS1_19radix_merge_compareILb0ELb0EdNS0_19identity_decomposerEEEEE10hipError_tT0_T1_T2_jT3_P12ihipStream_tbPNSt15iterator_traitsISI_E10value_typeEPNSO_ISJ_E10value_typeEPSK_NS1_7vsmem_tEENKUlT_SI_SJ_SK_E_clISD_PdSD_S10_EESH_SX_SI_SJ_SK_EUlSX_E0_NS1_11comp_targetILNS1_3genE0ELNS1_11target_archE4294967295ELNS1_3gpuE0ELNS1_3repE0EEENS1_38merge_mergepath_config_static_selectorELNS0_4arch9wavefront6targetE1EEEvSJ_,"axG",@progbits,_ZN7rocprim17ROCPRIM_400000_NS6detail17trampoline_kernelINS0_14default_configENS1_38merge_sort_block_merge_config_selectorIddEEZZNS1_27merge_sort_block_merge_implIS3_N6thrust23THRUST_200600_302600_NS6detail15normal_iteratorINS8_10device_ptrIdEEEESD_jNS1_19radix_merge_compareILb0ELb0EdNS0_19identity_decomposerEEEEE10hipError_tT0_T1_T2_jT3_P12ihipStream_tbPNSt15iterator_traitsISI_E10value_typeEPNSO_ISJ_E10value_typeEPSK_NS1_7vsmem_tEENKUlT_SI_SJ_SK_E_clISD_PdSD_S10_EESH_SX_SI_SJ_SK_EUlSX_E0_NS1_11comp_targetILNS1_3genE0ELNS1_11target_archE4294967295ELNS1_3gpuE0ELNS1_3repE0EEENS1_38merge_mergepath_config_static_selectorELNS0_4arch9wavefront6targetE1EEEvSJ_,comdat
	.protected	_ZN7rocprim17ROCPRIM_400000_NS6detail17trampoline_kernelINS0_14default_configENS1_38merge_sort_block_merge_config_selectorIddEEZZNS1_27merge_sort_block_merge_implIS3_N6thrust23THRUST_200600_302600_NS6detail15normal_iteratorINS8_10device_ptrIdEEEESD_jNS1_19radix_merge_compareILb0ELb0EdNS0_19identity_decomposerEEEEE10hipError_tT0_T1_T2_jT3_P12ihipStream_tbPNSt15iterator_traitsISI_E10value_typeEPNSO_ISJ_E10value_typeEPSK_NS1_7vsmem_tEENKUlT_SI_SJ_SK_E_clISD_PdSD_S10_EESH_SX_SI_SJ_SK_EUlSX_E0_NS1_11comp_targetILNS1_3genE0ELNS1_11target_archE4294967295ELNS1_3gpuE0ELNS1_3repE0EEENS1_38merge_mergepath_config_static_selectorELNS0_4arch9wavefront6targetE1EEEvSJ_ ; -- Begin function _ZN7rocprim17ROCPRIM_400000_NS6detail17trampoline_kernelINS0_14default_configENS1_38merge_sort_block_merge_config_selectorIddEEZZNS1_27merge_sort_block_merge_implIS3_N6thrust23THRUST_200600_302600_NS6detail15normal_iteratorINS8_10device_ptrIdEEEESD_jNS1_19radix_merge_compareILb0ELb0EdNS0_19identity_decomposerEEEEE10hipError_tT0_T1_T2_jT3_P12ihipStream_tbPNSt15iterator_traitsISI_E10value_typeEPNSO_ISJ_E10value_typeEPSK_NS1_7vsmem_tEENKUlT_SI_SJ_SK_E_clISD_PdSD_S10_EESH_SX_SI_SJ_SK_EUlSX_E0_NS1_11comp_targetILNS1_3genE0ELNS1_11target_archE4294967295ELNS1_3gpuE0ELNS1_3repE0EEENS1_38merge_mergepath_config_static_selectorELNS0_4arch9wavefront6targetE1EEEvSJ_
	.globl	_ZN7rocprim17ROCPRIM_400000_NS6detail17trampoline_kernelINS0_14default_configENS1_38merge_sort_block_merge_config_selectorIddEEZZNS1_27merge_sort_block_merge_implIS3_N6thrust23THRUST_200600_302600_NS6detail15normal_iteratorINS8_10device_ptrIdEEEESD_jNS1_19radix_merge_compareILb0ELb0EdNS0_19identity_decomposerEEEEE10hipError_tT0_T1_T2_jT3_P12ihipStream_tbPNSt15iterator_traitsISI_E10value_typeEPNSO_ISJ_E10value_typeEPSK_NS1_7vsmem_tEENKUlT_SI_SJ_SK_E_clISD_PdSD_S10_EESH_SX_SI_SJ_SK_EUlSX_E0_NS1_11comp_targetILNS1_3genE0ELNS1_11target_archE4294967295ELNS1_3gpuE0ELNS1_3repE0EEENS1_38merge_mergepath_config_static_selectorELNS0_4arch9wavefront6targetE1EEEvSJ_
	.p2align	8
	.type	_ZN7rocprim17ROCPRIM_400000_NS6detail17trampoline_kernelINS0_14default_configENS1_38merge_sort_block_merge_config_selectorIddEEZZNS1_27merge_sort_block_merge_implIS3_N6thrust23THRUST_200600_302600_NS6detail15normal_iteratorINS8_10device_ptrIdEEEESD_jNS1_19radix_merge_compareILb0ELb0EdNS0_19identity_decomposerEEEEE10hipError_tT0_T1_T2_jT3_P12ihipStream_tbPNSt15iterator_traitsISI_E10value_typeEPNSO_ISJ_E10value_typeEPSK_NS1_7vsmem_tEENKUlT_SI_SJ_SK_E_clISD_PdSD_S10_EESH_SX_SI_SJ_SK_EUlSX_E0_NS1_11comp_targetILNS1_3genE0ELNS1_11target_archE4294967295ELNS1_3gpuE0ELNS1_3repE0EEENS1_38merge_mergepath_config_static_selectorELNS0_4arch9wavefront6targetE1EEEvSJ_,@function
_ZN7rocprim17ROCPRIM_400000_NS6detail17trampoline_kernelINS0_14default_configENS1_38merge_sort_block_merge_config_selectorIddEEZZNS1_27merge_sort_block_merge_implIS3_N6thrust23THRUST_200600_302600_NS6detail15normal_iteratorINS8_10device_ptrIdEEEESD_jNS1_19radix_merge_compareILb0ELb0EdNS0_19identity_decomposerEEEEE10hipError_tT0_T1_T2_jT3_P12ihipStream_tbPNSt15iterator_traitsISI_E10value_typeEPNSO_ISJ_E10value_typeEPSK_NS1_7vsmem_tEENKUlT_SI_SJ_SK_E_clISD_PdSD_S10_EESH_SX_SI_SJ_SK_EUlSX_E0_NS1_11comp_targetILNS1_3genE0ELNS1_11target_archE4294967295ELNS1_3gpuE0ELNS1_3repE0EEENS1_38merge_mergepath_config_static_selectorELNS0_4arch9wavefront6targetE1EEEvSJ_: ; @_ZN7rocprim17ROCPRIM_400000_NS6detail17trampoline_kernelINS0_14default_configENS1_38merge_sort_block_merge_config_selectorIddEEZZNS1_27merge_sort_block_merge_implIS3_N6thrust23THRUST_200600_302600_NS6detail15normal_iteratorINS8_10device_ptrIdEEEESD_jNS1_19radix_merge_compareILb0ELb0EdNS0_19identity_decomposerEEEEE10hipError_tT0_T1_T2_jT3_P12ihipStream_tbPNSt15iterator_traitsISI_E10value_typeEPNSO_ISJ_E10value_typeEPSK_NS1_7vsmem_tEENKUlT_SI_SJ_SK_E_clISD_PdSD_S10_EESH_SX_SI_SJ_SK_EUlSX_E0_NS1_11comp_targetILNS1_3genE0ELNS1_11target_archE4294967295ELNS1_3gpuE0ELNS1_3repE0EEENS1_38merge_mergepath_config_static_selectorELNS0_4arch9wavefront6targetE1EEEvSJ_
; %bb.0:
	s_load_dwordx2 s[6:7], s[0:1], 0x40
	s_load_dword s5, s[0:1], 0x30
	s_waitcnt lgkmcnt(0)
	s_mul_i32 s4, s7, s4
	s_add_i32 s3, s4, s3
	s_mul_i32 s3, s3, s6
	s_add_i32 s22, s3, s2
	s_cmp_ge_u32 s22, s5
	s_cbranch_scc1 .LBB57_36
; %bb.1:
	s_load_dwordx8 s[4:11], s[0:1], 0x10
	s_load_dwordx2 s[18:19], s[0:1], 0x8
	s_load_dwordx2 s[2:3], s[0:1], 0x38
	s_mov_b32 s23, 0
	s_mov_b32 s21, s23
	s_waitcnt lgkmcnt(0)
	s_lshr_b32 s24, s10, 10
	s_cmp_lg_u32 s22, s24
	s_cselect_b64 s[12:13], -1, 0
	s_lshl_b64 s[0:1], s[22:23], 2
	s_add_u32 s0, s2, s0
	s_addc_u32 s1, s3, s1
	s_load_dwordx2 s[14:15], s[0:1], 0x0
	s_lshr_b32 s0, s11, 9
	s_and_b32 s0, s0, 0x7ffffe
	s_sub_i32 s0, 0, s0
	s_and_b32 s1, s22, s0
	s_lshl_b32 s3, s1, 10
	s_lshl_b32 s2, s22, 10
	;; [unrolled: 1-line block ×3, first 2 shown]
	s_sub_i32 s16, s2, s3
	s_add_i32 s1, s1, s11
	s_add_i32 s16, s1, s16
	s_waitcnt lgkmcnt(0)
	s_sub_i32 s17, s16, s14
	s_sub_i32 s16, s16, s15
	;; [unrolled: 1-line block ×3, first 2 shown]
	s_min_u32 s20, s10, s17
	s_addk_i32 s16, 0x400
	s_or_b32 s0, s22, s0
	s_min_u32 s3, s10, s1
	s_add_i32 s1, s1, s11
	s_cmp_eq_u32 s0, -1
	s_cselect_b32 s0, s1, s16
	s_cselect_b32 s1, s3, s15
	s_mov_b32 s15, s23
	s_min_u32 s11, s0, s10
	s_sub_i32 s3, s1, s14
	s_lshl_b64 s[0:1], s[14:15], 3
	s_add_u32 s16, s18, s0
	s_addc_u32 s17, s19, s1
	s_lshl_b64 s[14:15], s[20:21], 3
	s_add_u32 s18, s18, s14
	s_addc_u32 s19, s19, s15
	s_cmp_eq_u32 s22, s24
	v_lshlrev_b32_e32 v2, 3, v0
	s_cbranch_scc1 .LBB57_3
; %bb.2:
	v_mov_b32_e32 v5, 0
	v_mov_b32_e32 v3, v5
	v_subrev_co_u32_e32 v4, vcc, s3, v0
	v_lshl_add_u64 v[6:7], s[16:17], 0, v[2:3]
	v_lshl_add_u64 v[4:5], v[4:5], 3, s[18:19]
	v_cndmask_b32_e32 v7, v5, v7, vcc
	v_cndmask_b32_e32 v6, v4, v6, vcc
	s_mov_b64 s[22:23], -1
	s_sub_i32 s11, s11, s20
	s_cbranch_execz .LBB57_4
	s_branch .LBB57_7
.LBB57_3:
	s_mov_b64 s[22:23], 0
                                        ; implicit-def: $vgpr6_vgpr7
	s_sub_i32 s11, s11, s20
.LBB57_4:
	s_add_i32 s20, s11, s3
	v_cmp_gt_u32_e32 vcc, s20, v0
                                        ; implicit-def: $vgpr6_vgpr7
	s_and_saveexec_b64 s[20:21], vcc
; %bb.5:
	v_mov_b32_e32 v3, 0
	v_subrev_co_u32_e32 v6, vcc, s3, v0
	v_mov_b32_e32 v7, v3
	v_lshl_add_u64 v[4:5], s[16:17], 0, v[2:3]
	v_lshl_add_u64 v[6:7], v[6:7], 3, s[18:19]
	v_cndmask_b32_e32 v7, v7, v5, vcc
	v_cndmask_b32_e32 v6, v6, v4, vcc
	s_or_b64 s[22:23], s[22:23], exec
; %bb.6:
	s_or_b64 exec, exec, s[20:21]
.LBB57_7:
                                        ; implicit-def: $vgpr4_vgpr5
	s_and_saveexec_b64 s[16:17], s[22:23]
	s_cbranch_execz .LBB57_9
; %bb.8:
	global_load_dwordx2 v[4:5], v[6:7], off
.LBB57_9:
	s_or_b64 exec, exec, s[16:17]
	s_add_u32 s16, s6, s0
	s_addc_u32 s17, s7, s1
	s_add_u32 s6, s6, s14
	v_mov_b32_e32 v7, 0
	s_addc_u32 s7, s7, s15
	s_andn2_b64 vcc, exec, s[12:13]
	s_waitcnt vmcnt(0)
	ds_write_b64 v2, v[4:5]
	s_cbranch_vccnz .LBB57_11
; %bb.10:
	v_mov_b32_e32 v3, v7
	v_subrev_co_u32_e32 v6, vcc, s3, v0
	v_lshl_add_u64 v[8:9], s[16:17], 0, v[2:3]
	v_lshl_add_u64 v[6:7], v[6:7], 3, s[6:7]
	v_cndmask_b32_e32 v9, v7, v9, vcc
	v_cndmask_b32_e32 v8, v6, v8, vcc
	s_add_i32 s18, s11, s3
	s_mov_b64 s[0:1], -1
	s_cbranch_execz .LBB57_12
	s_branch .LBB57_15
.LBB57_11:
	s_mov_b64 s[0:1], 0
                                        ; implicit-def: $vgpr8_vgpr9
                                        ; implicit-def: $sgpr18
.LBB57_12:
	s_add_i32 s18, s11, s3
	v_cmp_gt_u32_e32 vcc, s18, v0
                                        ; implicit-def: $vgpr8_vgpr9
	s_and_saveexec_b64 s[14:15], vcc
; %bb.13:
	v_mov_b32_e32 v3, 0
	v_subrev_co_u32_e32 v8, vcc, s3, v0
	v_mov_b32_e32 v9, v3
	v_lshl_add_u64 v[6:7], s[16:17], 0, v[2:3]
	v_lshl_add_u64 v[8:9], v[8:9], 3, s[6:7]
	v_cndmask_b32_e32 v9, v9, v7, vcc
	v_cndmask_b32_e32 v8, v8, v6, vcc
	s_or_b64 s[0:1], s[0:1], exec
; %bb.14:
	s_or_b64 exec, exec, s[14:15]
.LBB57_15:
	v_mov_b32_e32 v3, s18
                                        ; implicit-def: $vgpr6_vgpr7
	s_and_saveexec_b64 s[6:7], s[0:1]
	s_cbranch_execz .LBB57_17
; %bb.16:
	global_load_dwordx2 v[6:7], v[8:9], off
	v_mov_b32_e32 v3, s18
.LBB57_17:
	s_or_b64 exec, exec, s[6:7]
	v_min_u32_e32 v8, v3, v0
	v_sub_u32_e64 v1, v8, s11 clamp
	v_min_u32_e32 v9, s3, v8
	v_cmp_lt_u32_e32 vcc, v1, v9
	s_waitcnt lgkmcnt(0)
	s_barrier
	s_and_saveexec_b64 s[0:1], vcc
	s_cbranch_execz .LBB57_21
; %bb.18:
	v_lshlrev_b32_e32 v10, 3, v8
	v_lshl_add_u32 v10, s3, 3, v10
	s_mov_b64 s[6:7], 0
.LBB57_19:                              ; =>This Inner Loop Header: Depth=1
	v_add_u32_e32 v11, v9, v1
	v_lshrrev_b32_e32 v11, 1, v11
	v_not_b32_e32 v12, v11
	v_lshlrev_b32_e32 v13, 3, v11
	v_lshl_add_u32 v14, v12, 3, v10
	ds_read_b64 v[12:13], v13
	ds_read_b64 v[14:15], v14
	v_add_u32_e32 v16, 1, v11
	s_waitcnt lgkmcnt(1)
	v_add_f64 v[12:13], v[12:13], 0
	s_waitcnt lgkmcnt(0)
	v_add_f64 v[14:15], v[14:15], 0
	v_ashrrev_i32_e32 v17, 31, v13
	v_or_b32_e32 v18, 0x80000000, v17
	v_xor_b32_e32 v12, v17, v12
	v_ashrrev_i32_e32 v17, 31, v15
	v_xor_b32_e32 v13, v18, v13
	v_or_b32_e32 v18, 0x80000000, v17
	v_xor_b32_e32 v14, v17, v14
	v_xor_b32_e32 v15, v18, v15
	v_cmp_gt_u64_e32 vcc, v[12:13], v[14:15]
	s_nop 1
	v_cndmask_b32_e32 v9, v9, v11, vcc
	v_cndmask_b32_e32 v1, v16, v1, vcc
	v_cmp_ge_u32_e32 vcc, v1, v9
	s_or_b64 s[6:7], vcc, s[6:7]
	s_andn2_b64 exec, exec, s[6:7]
	s_cbranch_execnz .LBB57_19
; %bb.20:
	s_or_b64 exec, exec, s[6:7]
.LBB57_21:
	s_or_b64 exec, exec, s[0:1]
	v_sub_u32_e32 v8, v8, v1
	v_add_u32_e32 v10, s3, v8
	v_cmp_ge_u32_e32 vcc, s3, v1
	v_cmp_le_u32_e64 s[0:1], v10, v3
	s_or_b64 s[0:1], vcc, s[0:1]
	v_mov_b32_e32 v11, 0
	s_and_saveexec_b64 s[6:7], s[0:1]
	s_cbranch_execz .LBB57_29
; %bb.22:
	v_cmp_le_u32_e32 vcc, s3, v1
	v_cmp_gt_u32_e64 s[0:1], s3, v1
                                        ; implicit-def: $vgpr4_vgpr5
	s_and_saveexec_b64 s[14:15], s[0:1]
; %bb.23:
	v_lshlrev_b32_e32 v4, 3, v1
	ds_read_b64 v[4:5], v4
; %bb.24:
	s_or_b64 exec, exec, s[14:15]
	v_cmp_ge_u32_e64 s[14:15], v10, v3
	v_cmp_lt_u32_e64 s[0:1], v10, v3
                                        ; implicit-def: $vgpr8_vgpr9
	s_and_saveexec_b64 s[16:17], s[0:1]
; %bb.25:
	v_lshlrev_b32_e32 v3, 3, v10
	ds_read_b64 v[8:9], v3
; %bb.26:
	s_or_b64 exec, exec, s[16:17]
	s_nor_b64 s[16:17], vcc, s[14:15]
	s_and_saveexec_b64 s[0:1], s[16:17]
	s_cbranch_execz .LBB57_28
; %bb.27:
	s_waitcnt lgkmcnt(0)
	v_add_f64 v[12:13], v[4:5], 0
	v_add_f64 v[14:15], v[8:9], 0
	v_ashrrev_i32_e32 v3, 31, v15
	v_ashrrev_i32_e32 v11, 31, v13
	v_or_b32_e32 v16, 0x80000000, v11
	v_or_b32_e32 v17, 0x80000000, v3
	v_xor_b32_e32 v15, v17, v15
	v_xor_b32_e32 v14, v3, v14
	;; [unrolled: 1-line block ×4, first 2 shown]
	v_cmp_le_u64_e32 vcc, v[12:13], v[14:15]
	s_andn2_b64 s[14:15], s[14:15], exec
	s_and_b64 s[16:17], vcc, exec
	s_or_b64 s[14:15], s[14:15], s[16:17]
.LBB57_28:
	s_or_b64 exec, exec, s[0:1]
	v_cndmask_b32_e64 v11, v10, v1, s[14:15]
	s_waitcnt lgkmcnt(0)
	v_cndmask_b32_e64 v5, v9, v5, s[14:15]
	v_cndmask_b32_e64 v4, v8, v4, s[14:15]
.LBB57_29:
	s_or_b64 exec, exec, s[6:7]
	v_lshlrev_b32_e32 v1, 3, v11
	s_barrier
	s_waitcnt vmcnt(0)
	ds_write_b64 v2, v[6:7]
	s_waitcnt lgkmcnt(0)
	s_barrier
	ds_read_b64 v[6:7], v1
	s_mov_b32 s3, 0
	s_mov_b64 s[0:1], -1
	s_and_b64 vcc, exec, s[12:13]
	s_waitcnt lgkmcnt(0)
	s_barrier
	s_barrier
	ds_write_b64 v2, v[4:5]
	s_waitcnt lgkmcnt(0)
	s_cbranch_vccz .LBB57_31
; %bb.30:
	s_barrier
	ds_read_b64 v[4:5], v2
	s_lshl_b64 s[0:1], s[2:3], 3
	s_add_u32 s6, s4, s0
	s_addc_u32 s7, s5, s1
	s_add_u32 s0, s8, s0
	s_waitcnt lgkmcnt(0)
	global_store_dwordx2 v2, v[4:5], s[6:7]
	s_barrier
	ds_write_b64 v2, v[6:7]
	s_waitcnt lgkmcnt(0)
	s_barrier
	ds_read_b64 v[4:5], v2
	s_addc_u32 s1, s9, s1
	s_waitcnt lgkmcnt(0)
	global_store_dwordx2 v2, v[4:5], s[0:1]
	s_mov_b64 s[0:1], 0
.LBB57_31:
	s_andn2_b64 vcc, exec, s[0:1]
	s_cbranch_vccnz .LBB57_36
; %bb.32:
	s_sub_i32 s0, s10, s2
	v_cmp_gt_u32_e32 vcc, s0, v0
	s_barrier
	s_and_saveexec_b64 s[0:1], vcc
	s_cbranch_execz .LBB57_34
; %bb.33:
	ds_read_b64 v[0:1], v2
	s_lshl_b64 s[6:7], s[2:3], 3
	s_add_u32 s4, s4, s6
	s_addc_u32 s5, s5, s7
	s_waitcnt lgkmcnt(0)
	global_store_dwordx2 v2, v[0:1], s[4:5]
.LBB57_34:
	s_or_b64 exec, exec, s[0:1]
	s_barrier
	ds_write_b64 v2, v[6:7]
	s_waitcnt lgkmcnt(0)
	s_barrier
	s_and_saveexec_b64 s[0:1], vcc
	s_cbranch_execz .LBB57_36
; %bb.35:
	ds_read_b64 v[0:1], v2
	s_lshl_b64 s[0:1], s[2:3], 3
	s_add_u32 s0, s8, s0
	s_addc_u32 s1, s9, s1
	s_waitcnt lgkmcnt(0)
	global_store_dwordx2 v2, v[0:1], s[0:1]
.LBB57_36:
	s_endpgm
	.section	.rodata,"a",@progbits
	.p2align	6, 0x0
	.amdhsa_kernel _ZN7rocprim17ROCPRIM_400000_NS6detail17trampoline_kernelINS0_14default_configENS1_38merge_sort_block_merge_config_selectorIddEEZZNS1_27merge_sort_block_merge_implIS3_N6thrust23THRUST_200600_302600_NS6detail15normal_iteratorINS8_10device_ptrIdEEEESD_jNS1_19radix_merge_compareILb0ELb0EdNS0_19identity_decomposerEEEEE10hipError_tT0_T1_T2_jT3_P12ihipStream_tbPNSt15iterator_traitsISI_E10value_typeEPNSO_ISJ_E10value_typeEPSK_NS1_7vsmem_tEENKUlT_SI_SJ_SK_E_clISD_PdSD_S10_EESH_SX_SI_SJ_SK_EUlSX_E0_NS1_11comp_targetILNS1_3genE0ELNS1_11target_archE4294967295ELNS1_3gpuE0ELNS1_3repE0EEENS1_38merge_mergepath_config_static_selectorELNS0_4arch9wavefront6targetE1EEEvSJ_
		.amdhsa_group_segment_fixed_size 8208
		.amdhsa_private_segment_fixed_size 0
		.amdhsa_kernarg_size 320
		.amdhsa_user_sgpr_count 2
		.amdhsa_user_sgpr_dispatch_ptr 0
		.amdhsa_user_sgpr_queue_ptr 0
		.amdhsa_user_sgpr_kernarg_segment_ptr 1
		.amdhsa_user_sgpr_dispatch_id 0
		.amdhsa_user_sgpr_kernarg_preload_length 0
		.amdhsa_user_sgpr_kernarg_preload_offset 0
		.amdhsa_user_sgpr_private_segment_size 0
		.amdhsa_uses_dynamic_stack 0
		.amdhsa_enable_private_segment 0
		.amdhsa_system_sgpr_workgroup_id_x 1
		.amdhsa_system_sgpr_workgroup_id_y 1
		.amdhsa_system_sgpr_workgroup_id_z 1
		.amdhsa_system_sgpr_workgroup_info 0
		.amdhsa_system_vgpr_workitem_id 0
		.amdhsa_next_free_vgpr 19
		.amdhsa_next_free_sgpr 25
		.amdhsa_accum_offset 20
		.amdhsa_reserve_vcc 1
		.amdhsa_float_round_mode_32 0
		.amdhsa_float_round_mode_16_64 0
		.amdhsa_float_denorm_mode_32 3
		.amdhsa_float_denorm_mode_16_64 3
		.amdhsa_dx10_clamp 1
		.amdhsa_ieee_mode 1
		.amdhsa_fp16_overflow 0
		.amdhsa_tg_split 0
		.amdhsa_exception_fp_ieee_invalid_op 0
		.amdhsa_exception_fp_denorm_src 0
		.amdhsa_exception_fp_ieee_div_zero 0
		.amdhsa_exception_fp_ieee_overflow 0
		.amdhsa_exception_fp_ieee_underflow 0
		.amdhsa_exception_fp_ieee_inexact 0
		.amdhsa_exception_int_div_zero 0
	.end_amdhsa_kernel
	.section	.text._ZN7rocprim17ROCPRIM_400000_NS6detail17trampoline_kernelINS0_14default_configENS1_38merge_sort_block_merge_config_selectorIddEEZZNS1_27merge_sort_block_merge_implIS3_N6thrust23THRUST_200600_302600_NS6detail15normal_iteratorINS8_10device_ptrIdEEEESD_jNS1_19radix_merge_compareILb0ELb0EdNS0_19identity_decomposerEEEEE10hipError_tT0_T1_T2_jT3_P12ihipStream_tbPNSt15iterator_traitsISI_E10value_typeEPNSO_ISJ_E10value_typeEPSK_NS1_7vsmem_tEENKUlT_SI_SJ_SK_E_clISD_PdSD_S10_EESH_SX_SI_SJ_SK_EUlSX_E0_NS1_11comp_targetILNS1_3genE0ELNS1_11target_archE4294967295ELNS1_3gpuE0ELNS1_3repE0EEENS1_38merge_mergepath_config_static_selectorELNS0_4arch9wavefront6targetE1EEEvSJ_,"axG",@progbits,_ZN7rocprim17ROCPRIM_400000_NS6detail17trampoline_kernelINS0_14default_configENS1_38merge_sort_block_merge_config_selectorIddEEZZNS1_27merge_sort_block_merge_implIS3_N6thrust23THRUST_200600_302600_NS6detail15normal_iteratorINS8_10device_ptrIdEEEESD_jNS1_19radix_merge_compareILb0ELb0EdNS0_19identity_decomposerEEEEE10hipError_tT0_T1_T2_jT3_P12ihipStream_tbPNSt15iterator_traitsISI_E10value_typeEPNSO_ISJ_E10value_typeEPSK_NS1_7vsmem_tEENKUlT_SI_SJ_SK_E_clISD_PdSD_S10_EESH_SX_SI_SJ_SK_EUlSX_E0_NS1_11comp_targetILNS1_3genE0ELNS1_11target_archE4294967295ELNS1_3gpuE0ELNS1_3repE0EEENS1_38merge_mergepath_config_static_selectorELNS0_4arch9wavefront6targetE1EEEvSJ_,comdat
.Lfunc_end57:
	.size	_ZN7rocprim17ROCPRIM_400000_NS6detail17trampoline_kernelINS0_14default_configENS1_38merge_sort_block_merge_config_selectorIddEEZZNS1_27merge_sort_block_merge_implIS3_N6thrust23THRUST_200600_302600_NS6detail15normal_iteratorINS8_10device_ptrIdEEEESD_jNS1_19radix_merge_compareILb0ELb0EdNS0_19identity_decomposerEEEEE10hipError_tT0_T1_T2_jT3_P12ihipStream_tbPNSt15iterator_traitsISI_E10value_typeEPNSO_ISJ_E10value_typeEPSK_NS1_7vsmem_tEENKUlT_SI_SJ_SK_E_clISD_PdSD_S10_EESH_SX_SI_SJ_SK_EUlSX_E0_NS1_11comp_targetILNS1_3genE0ELNS1_11target_archE4294967295ELNS1_3gpuE0ELNS1_3repE0EEENS1_38merge_mergepath_config_static_selectorELNS0_4arch9wavefront6targetE1EEEvSJ_, .Lfunc_end57-_ZN7rocprim17ROCPRIM_400000_NS6detail17trampoline_kernelINS0_14default_configENS1_38merge_sort_block_merge_config_selectorIddEEZZNS1_27merge_sort_block_merge_implIS3_N6thrust23THRUST_200600_302600_NS6detail15normal_iteratorINS8_10device_ptrIdEEEESD_jNS1_19radix_merge_compareILb0ELb0EdNS0_19identity_decomposerEEEEE10hipError_tT0_T1_T2_jT3_P12ihipStream_tbPNSt15iterator_traitsISI_E10value_typeEPNSO_ISJ_E10value_typeEPSK_NS1_7vsmem_tEENKUlT_SI_SJ_SK_E_clISD_PdSD_S10_EESH_SX_SI_SJ_SK_EUlSX_E0_NS1_11comp_targetILNS1_3genE0ELNS1_11target_archE4294967295ELNS1_3gpuE0ELNS1_3repE0EEENS1_38merge_mergepath_config_static_selectorELNS0_4arch9wavefront6targetE1EEEvSJ_
                                        ; -- End function
	.set _ZN7rocprim17ROCPRIM_400000_NS6detail17trampoline_kernelINS0_14default_configENS1_38merge_sort_block_merge_config_selectorIddEEZZNS1_27merge_sort_block_merge_implIS3_N6thrust23THRUST_200600_302600_NS6detail15normal_iteratorINS8_10device_ptrIdEEEESD_jNS1_19radix_merge_compareILb0ELb0EdNS0_19identity_decomposerEEEEE10hipError_tT0_T1_T2_jT3_P12ihipStream_tbPNSt15iterator_traitsISI_E10value_typeEPNSO_ISJ_E10value_typeEPSK_NS1_7vsmem_tEENKUlT_SI_SJ_SK_E_clISD_PdSD_S10_EESH_SX_SI_SJ_SK_EUlSX_E0_NS1_11comp_targetILNS1_3genE0ELNS1_11target_archE4294967295ELNS1_3gpuE0ELNS1_3repE0EEENS1_38merge_mergepath_config_static_selectorELNS0_4arch9wavefront6targetE1EEEvSJ_.num_vgpr, 19
	.set _ZN7rocprim17ROCPRIM_400000_NS6detail17trampoline_kernelINS0_14default_configENS1_38merge_sort_block_merge_config_selectorIddEEZZNS1_27merge_sort_block_merge_implIS3_N6thrust23THRUST_200600_302600_NS6detail15normal_iteratorINS8_10device_ptrIdEEEESD_jNS1_19radix_merge_compareILb0ELb0EdNS0_19identity_decomposerEEEEE10hipError_tT0_T1_T2_jT3_P12ihipStream_tbPNSt15iterator_traitsISI_E10value_typeEPNSO_ISJ_E10value_typeEPSK_NS1_7vsmem_tEENKUlT_SI_SJ_SK_E_clISD_PdSD_S10_EESH_SX_SI_SJ_SK_EUlSX_E0_NS1_11comp_targetILNS1_3genE0ELNS1_11target_archE4294967295ELNS1_3gpuE0ELNS1_3repE0EEENS1_38merge_mergepath_config_static_selectorELNS0_4arch9wavefront6targetE1EEEvSJ_.num_agpr, 0
	.set _ZN7rocprim17ROCPRIM_400000_NS6detail17trampoline_kernelINS0_14default_configENS1_38merge_sort_block_merge_config_selectorIddEEZZNS1_27merge_sort_block_merge_implIS3_N6thrust23THRUST_200600_302600_NS6detail15normal_iteratorINS8_10device_ptrIdEEEESD_jNS1_19radix_merge_compareILb0ELb0EdNS0_19identity_decomposerEEEEE10hipError_tT0_T1_T2_jT3_P12ihipStream_tbPNSt15iterator_traitsISI_E10value_typeEPNSO_ISJ_E10value_typeEPSK_NS1_7vsmem_tEENKUlT_SI_SJ_SK_E_clISD_PdSD_S10_EESH_SX_SI_SJ_SK_EUlSX_E0_NS1_11comp_targetILNS1_3genE0ELNS1_11target_archE4294967295ELNS1_3gpuE0ELNS1_3repE0EEENS1_38merge_mergepath_config_static_selectorELNS0_4arch9wavefront6targetE1EEEvSJ_.numbered_sgpr, 25
	.set _ZN7rocprim17ROCPRIM_400000_NS6detail17trampoline_kernelINS0_14default_configENS1_38merge_sort_block_merge_config_selectorIddEEZZNS1_27merge_sort_block_merge_implIS3_N6thrust23THRUST_200600_302600_NS6detail15normal_iteratorINS8_10device_ptrIdEEEESD_jNS1_19radix_merge_compareILb0ELb0EdNS0_19identity_decomposerEEEEE10hipError_tT0_T1_T2_jT3_P12ihipStream_tbPNSt15iterator_traitsISI_E10value_typeEPNSO_ISJ_E10value_typeEPSK_NS1_7vsmem_tEENKUlT_SI_SJ_SK_E_clISD_PdSD_S10_EESH_SX_SI_SJ_SK_EUlSX_E0_NS1_11comp_targetILNS1_3genE0ELNS1_11target_archE4294967295ELNS1_3gpuE0ELNS1_3repE0EEENS1_38merge_mergepath_config_static_selectorELNS0_4arch9wavefront6targetE1EEEvSJ_.num_named_barrier, 0
	.set _ZN7rocprim17ROCPRIM_400000_NS6detail17trampoline_kernelINS0_14default_configENS1_38merge_sort_block_merge_config_selectorIddEEZZNS1_27merge_sort_block_merge_implIS3_N6thrust23THRUST_200600_302600_NS6detail15normal_iteratorINS8_10device_ptrIdEEEESD_jNS1_19radix_merge_compareILb0ELb0EdNS0_19identity_decomposerEEEEE10hipError_tT0_T1_T2_jT3_P12ihipStream_tbPNSt15iterator_traitsISI_E10value_typeEPNSO_ISJ_E10value_typeEPSK_NS1_7vsmem_tEENKUlT_SI_SJ_SK_E_clISD_PdSD_S10_EESH_SX_SI_SJ_SK_EUlSX_E0_NS1_11comp_targetILNS1_3genE0ELNS1_11target_archE4294967295ELNS1_3gpuE0ELNS1_3repE0EEENS1_38merge_mergepath_config_static_selectorELNS0_4arch9wavefront6targetE1EEEvSJ_.private_seg_size, 0
	.set _ZN7rocprim17ROCPRIM_400000_NS6detail17trampoline_kernelINS0_14default_configENS1_38merge_sort_block_merge_config_selectorIddEEZZNS1_27merge_sort_block_merge_implIS3_N6thrust23THRUST_200600_302600_NS6detail15normal_iteratorINS8_10device_ptrIdEEEESD_jNS1_19radix_merge_compareILb0ELb0EdNS0_19identity_decomposerEEEEE10hipError_tT0_T1_T2_jT3_P12ihipStream_tbPNSt15iterator_traitsISI_E10value_typeEPNSO_ISJ_E10value_typeEPSK_NS1_7vsmem_tEENKUlT_SI_SJ_SK_E_clISD_PdSD_S10_EESH_SX_SI_SJ_SK_EUlSX_E0_NS1_11comp_targetILNS1_3genE0ELNS1_11target_archE4294967295ELNS1_3gpuE0ELNS1_3repE0EEENS1_38merge_mergepath_config_static_selectorELNS0_4arch9wavefront6targetE1EEEvSJ_.uses_vcc, 1
	.set _ZN7rocprim17ROCPRIM_400000_NS6detail17trampoline_kernelINS0_14default_configENS1_38merge_sort_block_merge_config_selectorIddEEZZNS1_27merge_sort_block_merge_implIS3_N6thrust23THRUST_200600_302600_NS6detail15normal_iteratorINS8_10device_ptrIdEEEESD_jNS1_19radix_merge_compareILb0ELb0EdNS0_19identity_decomposerEEEEE10hipError_tT0_T1_T2_jT3_P12ihipStream_tbPNSt15iterator_traitsISI_E10value_typeEPNSO_ISJ_E10value_typeEPSK_NS1_7vsmem_tEENKUlT_SI_SJ_SK_E_clISD_PdSD_S10_EESH_SX_SI_SJ_SK_EUlSX_E0_NS1_11comp_targetILNS1_3genE0ELNS1_11target_archE4294967295ELNS1_3gpuE0ELNS1_3repE0EEENS1_38merge_mergepath_config_static_selectorELNS0_4arch9wavefront6targetE1EEEvSJ_.uses_flat_scratch, 0
	.set _ZN7rocprim17ROCPRIM_400000_NS6detail17trampoline_kernelINS0_14default_configENS1_38merge_sort_block_merge_config_selectorIddEEZZNS1_27merge_sort_block_merge_implIS3_N6thrust23THRUST_200600_302600_NS6detail15normal_iteratorINS8_10device_ptrIdEEEESD_jNS1_19radix_merge_compareILb0ELb0EdNS0_19identity_decomposerEEEEE10hipError_tT0_T1_T2_jT3_P12ihipStream_tbPNSt15iterator_traitsISI_E10value_typeEPNSO_ISJ_E10value_typeEPSK_NS1_7vsmem_tEENKUlT_SI_SJ_SK_E_clISD_PdSD_S10_EESH_SX_SI_SJ_SK_EUlSX_E0_NS1_11comp_targetILNS1_3genE0ELNS1_11target_archE4294967295ELNS1_3gpuE0ELNS1_3repE0EEENS1_38merge_mergepath_config_static_selectorELNS0_4arch9wavefront6targetE1EEEvSJ_.has_dyn_sized_stack, 0
	.set _ZN7rocprim17ROCPRIM_400000_NS6detail17trampoline_kernelINS0_14default_configENS1_38merge_sort_block_merge_config_selectorIddEEZZNS1_27merge_sort_block_merge_implIS3_N6thrust23THRUST_200600_302600_NS6detail15normal_iteratorINS8_10device_ptrIdEEEESD_jNS1_19radix_merge_compareILb0ELb0EdNS0_19identity_decomposerEEEEE10hipError_tT0_T1_T2_jT3_P12ihipStream_tbPNSt15iterator_traitsISI_E10value_typeEPNSO_ISJ_E10value_typeEPSK_NS1_7vsmem_tEENKUlT_SI_SJ_SK_E_clISD_PdSD_S10_EESH_SX_SI_SJ_SK_EUlSX_E0_NS1_11comp_targetILNS1_3genE0ELNS1_11target_archE4294967295ELNS1_3gpuE0ELNS1_3repE0EEENS1_38merge_mergepath_config_static_selectorELNS0_4arch9wavefront6targetE1EEEvSJ_.has_recursion, 0
	.set _ZN7rocprim17ROCPRIM_400000_NS6detail17trampoline_kernelINS0_14default_configENS1_38merge_sort_block_merge_config_selectorIddEEZZNS1_27merge_sort_block_merge_implIS3_N6thrust23THRUST_200600_302600_NS6detail15normal_iteratorINS8_10device_ptrIdEEEESD_jNS1_19radix_merge_compareILb0ELb0EdNS0_19identity_decomposerEEEEE10hipError_tT0_T1_T2_jT3_P12ihipStream_tbPNSt15iterator_traitsISI_E10value_typeEPNSO_ISJ_E10value_typeEPSK_NS1_7vsmem_tEENKUlT_SI_SJ_SK_E_clISD_PdSD_S10_EESH_SX_SI_SJ_SK_EUlSX_E0_NS1_11comp_targetILNS1_3genE0ELNS1_11target_archE4294967295ELNS1_3gpuE0ELNS1_3repE0EEENS1_38merge_mergepath_config_static_selectorELNS0_4arch9wavefront6targetE1EEEvSJ_.has_indirect_call, 0
	.section	.AMDGPU.csdata,"",@progbits
; Kernel info:
; codeLenInByte = 1284
; TotalNumSgprs: 31
; NumVgprs: 19
; NumAgprs: 0
; TotalNumVgprs: 19
; ScratchSize: 0
; MemoryBound: 0
; FloatMode: 240
; IeeeMode: 1
; LDSByteSize: 8208 bytes/workgroup (compile time only)
; SGPRBlocks: 3
; VGPRBlocks: 2
; NumSGPRsForWavesPerEU: 31
; NumVGPRsForWavesPerEU: 19
; AccumOffset: 20
; Occupancy: 8
; WaveLimiterHint : 0
; COMPUTE_PGM_RSRC2:SCRATCH_EN: 0
; COMPUTE_PGM_RSRC2:USER_SGPR: 2
; COMPUTE_PGM_RSRC2:TRAP_HANDLER: 0
; COMPUTE_PGM_RSRC2:TGID_X_EN: 1
; COMPUTE_PGM_RSRC2:TGID_Y_EN: 1
; COMPUTE_PGM_RSRC2:TGID_Z_EN: 1
; COMPUTE_PGM_RSRC2:TIDIG_COMP_CNT: 0
; COMPUTE_PGM_RSRC3_GFX90A:ACCUM_OFFSET: 4
; COMPUTE_PGM_RSRC3_GFX90A:TG_SPLIT: 0
	.section	.text._ZN7rocprim17ROCPRIM_400000_NS6detail17trampoline_kernelINS0_14default_configENS1_38merge_sort_block_merge_config_selectorIddEEZZNS1_27merge_sort_block_merge_implIS3_N6thrust23THRUST_200600_302600_NS6detail15normal_iteratorINS8_10device_ptrIdEEEESD_jNS1_19radix_merge_compareILb0ELb0EdNS0_19identity_decomposerEEEEE10hipError_tT0_T1_T2_jT3_P12ihipStream_tbPNSt15iterator_traitsISI_E10value_typeEPNSO_ISJ_E10value_typeEPSK_NS1_7vsmem_tEENKUlT_SI_SJ_SK_E_clISD_PdSD_S10_EESH_SX_SI_SJ_SK_EUlSX_E0_NS1_11comp_targetILNS1_3genE10ELNS1_11target_archE1201ELNS1_3gpuE5ELNS1_3repE0EEENS1_38merge_mergepath_config_static_selectorELNS0_4arch9wavefront6targetE1EEEvSJ_,"axG",@progbits,_ZN7rocprim17ROCPRIM_400000_NS6detail17trampoline_kernelINS0_14default_configENS1_38merge_sort_block_merge_config_selectorIddEEZZNS1_27merge_sort_block_merge_implIS3_N6thrust23THRUST_200600_302600_NS6detail15normal_iteratorINS8_10device_ptrIdEEEESD_jNS1_19radix_merge_compareILb0ELb0EdNS0_19identity_decomposerEEEEE10hipError_tT0_T1_T2_jT3_P12ihipStream_tbPNSt15iterator_traitsISI_E10value_typeEPNSO_ISJ_E10value_typeEPSK_NS1_7vsmem_tEENKUlT_SI_SJ_SK_E_clISD_PdSD_S10_EESH_SX_SI_SJ_SK_EUlSX_E0_NS1_11comp_targetILNS1_3genE10ELNS1_11target_archE1201ELNS1_3gpuE5ELNS1_3repE0EEENS1_38merge_mergepath_config_static_selectorELNS0_4arch9wavefront6targetE1EEEvSJ_,comdat
	.protected	_ZN7rocprim17ROCPRIM_400000_NS6detail17trampoline_kernelINS0_14default_configENS1_38merge_sort_block_merge_config_selectorIddEEZZNS1_27merge_sort_block_merge_implIS3_N6thrust23THRUST_200600_302600_NS6detail15normal_iteratorINS8_10device_ptrIdEEEESD_jNS1_19radix_merge_compareILb0ELb0EdNS0_19identity_decomposerEEEEE10hipError_tT0_T1_T2_jT3_P12ihipStream_tbPNSt15iterator_traitsISI_E10value_typeEPNSO_ISJ_E10value_typeEPSK_NS1_7vsmem_tEENKUlT_SI_SJ_SK_E_clISD_PdSD_S10_EESH_SX_SI_SJ_SK_EUlSX_E0_NS1_11comp_targetILNS1_3genE10ELNS1_11target_archE1201ELNS1_3gpuE5ELNS1_3repE0EEENS1_38merge_mergepath_config_static_selectorELNS0_4arch9wavefront6targetE1EEEvSJ_ ; -- Begin function _ZN7rocprim17ROCPRIM_400000_NS6detail17trampoline_kernelINS0_14default_configENS1_38merge_sort_block_merge_config_selectorIddEEZZNS1_27merge_sort_block_merge_implIS3_N6thrust23THRUST_200600_302600_NS6detail15normal_iteratorINS8_10device_ptrIdEEEESD_jNS1_19radix_merge_compareILb0ELb0EdNS0_19identity_decomposerEEEEE10hipError_tT0_T1_T2_jT3_P12ihipStream_tbPNSt15iterator_traitsISI_E10value_typeEPNSO_ISJ_E10value_typeEPSK_NS1_7vsmem_tEENKUlT_SI_SJ_SK_E_clISD_PdSD_S10_EESH_SX_SI_SJ_SK_EUlSX_E0_NS1_11comp_targetILNS1_3genE10ELNS1_11target_archE1201ELNS1_3gpuE5ELNS1_3repE0EEENS1_38merge_mergepath_config_static_selectorELNS0_4arch9wavefront6targetE1EEEvSJ_
	.globl	_ZN7rocprim17ROCPRIM_400000_NS6detail17trampoline_kernelINS0_14default_configENS1_38merge_sort_block_merge_config_selectorIddEEZZNS1_27merge_sort_block_merge_implIS3_N6thrust23THRUST_200600_302600_NS6detail15normal_iteratorINS8_10device_ptrIdEEEESD_jNS1_19radix_merge_compareILb0ELb0EdNS0_19identity_decomposerEEEEE10hipError_tT0_T1_T2_jT3_P12ihipStream_tbPNSt15iterator_traitsISI_E10value_typeEPNSO_ISJ_E10value_typeEPSK_NS1_7vsmem_tEENKUlT_SI_SJ_SK_E_clISD_PdSD_S10_EESH_SX_SI_SJ_SK_EUlSX_E0_NS1_11comp_targetILNS1_3genE10ELNS1_11target_archE1201ELNS1_3gpuE5ELNS1_3repE0EEENS1_38merge_mergepath_config_static_selectorELNS0_4arch9wavefront6targetE1EEEvSJ_
	.p2align	8
	.type	_ZN7rocprim17ROCPRIM_400000_NS6detail17trampoline_kernelINS0_14default_configENS1_38merge_sort_block_merge_config_selectorIddEEZZNS1_27merge_sort_block_merge_implIS3_N6thrust23THRUST_200600_302600_NS6detail15normal_iteratorINS8_10device_ptrIdEEEESD_jNS1_19radix_merge_compareILb0ELb0EdNS0_19identity_decomposerEEEEE10hipError_tT0_T1_T2_jT3_P12ihipStream_tbPNSt15iterator_traitsISI_E10value_typeEPNSO_ISJ_E10value_typeEPSK_NS1_7vsmem_tEENKUlT_SI_SJ_SK_E_clISD_PdSD_S10_EESH_SX_SI_SJ_SK_EUlSX_E0_NS1_11comp_targetILNS1_3genE10ELNS1_11target_archE1201ELNS1_3gpuE5ELNS1_3repE0EEENS1_38merge_mergepath_config_static_selectorELNS0_4arch9wavefront6targetE1EEEvSJ_,@function
_ZN7rocprim17ROCPRIM_400000_NS6detail17trampoline_kernelINS0_14default_configENS1_38merge_sort_block_merge_config_selectorIddEEZZNS1_27merge_sort_block_merge_implIS3_N6thrust23THRUST_200600_302600_NS6detail15normal_iteratorINS8_10device_ptrIdEEEESD_jNS1_19radix_merge_compareILb0ELb0EdNS0_19identity_decomposerEEEEE10hipError_tT0_T1_T2_jT3_P12ihipStream_tbPNSt15iterator_traitsISI_E10value_typeEPNSO_ISJ_E10value_typeEPSK_NS1_7vsmem_tEENKUlT_SI_SJ_SK_E_clISD_PdSD_S10_EESH_SX_SI_SJ_SK_EUlSX_E0_NS1_11comp_targetILNS1_3genE10ELNS1_11target_archE1201ELNS1_3gpuE5ELNS1_3repE0EEENS1_38merge_mergepath_config_static_selectorELNS0_4arch9wavefront6targetE1EEEvSJ_: ; @_ZN7rocprim17ROCPRIM_400000_NS6detail17trampoline_kernelINS0_14default_configENS1_38merge_sort_block_merge_config_selectorIddEEZZNS1_27merge_sort_block_merge_implIS3_N6thrust23THRUST_200600_302600_NS6detail15normal_iteratorINS8_10device_ptrIdEEEESD_jNS1_19radix_merge_compareILb0ELb0EdNS0_19identity_decomposerEEEEE10hipError_tT0_T1_T2_jT3_P12ihipStream_tbPNSt15iterator_traitsISI_E10value_typeEPNSO_ISJ_E10value_typeEPSK_NS1_7vsmem_tEENKUlT_SI_SJ_SK_E_clISD_PdSD_S10_EESH_SX_SI_SJ_SK_EUlSX_E0_NS1_11comp_targetILNS1_3genE10ELNS1_11target_archE1201ELNS1_3gpuE5ELNS1_3repE0EEENS1_38merge_mergepath_config_static_selectorELNS0_4arch9wavefront6targetE1EEEvSJ_
; %bb.0:
	.section	.rodata,"a",@progbits
	.p2align	6, 0x0
	.amdhsa_kernel _ZN7rocprim17ROCPRIM_400000_NS6detail17trampoline_kernelINS0_14default_configENS1_38merge_sort_block_merge_config_selectorIddEEZZNS1_27merge_sort_block_merge_implIS3_N6thrust23THRUST_200600_302600_NS6detail15normal_iteratorINS8_10device_ptrIdEEEESD_jNS1_19radix_merge_compareILb0ELb0EdNS0_19identity_decomposerEEEEE10hipError_tT0_T1_T2_jT3_P12ihipStream_tbPNSt15iterator_traitsISI_E10value_typeEPNSO_ISJ_E10value_typeEPSK_NS1_7vsmem_tEENKUlT_SI_SJ_SK_E_clISD_PdSD_S10_EESH_SX_SI_SJ_SK_EUlSX_E0_NS1_11comp_targetILNS1_3genE10ELNS1_11target_archE1201ELNS1_3gpuE5ELNS1_3repE0EEENS1_38merge_mergepath_config_static_selectorELNS0_4arch9wavefront6targetE1EEEvSJ_
		.amdhsa_group_segment_fixed_size 0
		.amdhsa_private_segment_fixed_size 0
		.amdhsa_kernarg_size 64
		.amdhsa_user_sgpr_count 2
		.amdhsa_user_sgpr_dispatch_ptr 0
		.amdhsa_user_sgpr_queue_ptr 0
		.amdhsa_user_sgpr_kernarg_segment_ptr 1
		.amdhsa_user_sgpr_dispatch_id 0
		.amdhsa_user_sgpr_kernarg_preload_length 0
		.amdhsa_user_sgpr_kernarg_preload_offset 0
		.amdhsa_user_sgpr_private_segment_size 0
		.amdhsa_uses_dynamic_stack 0
		.amdhsa_enable_private_segment 0
		.amdhsa_system_sgpr_workgroup_id_x 1
		.amdhsa_system_sgpr_workgroup_id_y 0
		.amdhsa_system_sgpr_workgroup_id_z 0
		.amdhsa_system_sgpr_workgroup_info 0
		.amdhsa_system_vgpr_workitem_id 0
		.amdhsa_next_free_vgpr 1
		.amdhsa_next_free_sgpr 0
		.amdhsa_accum_offset 4
		.amdhsa_reserve_vcc 0
		.amdhsa_float_round_mode_32 0
		.amdhsa_float_round_mode_16_64 0
		.amdhsa_float_denorm_mode_32 3
		.amdhsa_float_denorm_mode_16_64 3
		.amdhsa_dx10_clamp 1
		.amdhsa_ieee_mode 1
		.amdhsa_fp16_overflow 0
		.amdhsa_tg_split 0
		.amdhsa_exception_fp_ieee_invalid_op 0
		.amdhsa_exception_fp_denorm_src 0
		.amdhsa_exception_fp_ieee_div_zero 0
		.amdhsa_exception_fp_ieee_overflow 0
		.amdhsa_exception_fp_ieee_underflow 0
		.amdhsa_exception_fp_ieee_inexact 0
		.amdhsa_exception_int_div_zero 0
	.end_amdhsa_kernel
	.section	.text._ZN7rocprim17ROCPRIM_400000_NS6detail17trampoline_kernelINS0_14default_configENS1_38merge_sort_block_merge_config_selectorIddEEZZNS1_27merge_sort_block_merge_implIS3_N6thrust23THRUST_200600_302600_NS6detail15normal_iteratorINS8_10device_ptrIdEEEESD_jNS1_19radix_merge_compareILb0ELb0EdNS0_19identity_decomposerEEEEE10hipError_tT0_T1_T2_jT3_P12ihipStream_tbPNSt15iterator_traitsISI_E10value_typeEPNSO_ISJ_E10value_typeEPSK_NS1_7vsmem_tEENKUlT_SI_SJ_SK_E_clISD_PdSD_S10_EESH_SX_SI_SJ_SK_EUlSX_E0_NS1_11comp_targetILNS1_3genE10ELNS1_11target_archE1201ELNS1_3gpuE5ELNS1_3repE0EEENS1_38merge_mergepath_config_static_selectorELNS0_4arch9wavefront6targetE1EEEvSJ_,"axG",@progbits,_ZN7rocprim17ROCPRIM_400000_NS6detail17trampoline_kernelINS0_14default_configENS1_38merge_sort_block_merge_config_selectorIddEEZZNS1_27merge_sort_block_merge_implIS3_N6thrust23THRUST_200600_302600_NS6detail15normal_iteratorINS8_10device_ptrIdEEEESD_jNS1_19radix_merge_compareILb0ELb0EdNS0_19identity_decomposerEEEEE10hipError_tT0_T1_T2_jT3_P12ihipStream_tbPNSt15iterator_traitsISI_E10value_typeEPNSO_ISJ_E10value_typeEPSK_NS1_7vsmem_tEENKUlT_SI_SJ_SK_E_clISD_PdSD_S10_EESH_SX_SI_SJ_SK_EUlSX_E0_NS1_11comp_targetILNS1_3genE10ELNS1_11target_archE1201ELNS1_3gpuE5ELNS1_3repE0EEENS1_38merge_mergepath_config_static_selectorELNS0_4arch9wavefront6targetE1EEEvSJ_,comdat
.Lfunc_end58:
	.size	_ZN7rocprim17ROCPRIM_400000_NS6detail17trampoline_kernelINS0_14default_configENS1_38merge_sort_block_merge_config_selectorIddEEZZNS1_27merge_sort_block_merge_implIS3_N6thrust23THRUST_200600_302600_NS6detail15normal_iteratorINS8_10device_ptrIdEEEESD_jNS1_19radix_merge_compareILb0ELb0EdNS0_19identity_decomposerEEEEE10hipError_tT0_T1_T2_jT3_P12ihipStream_tbPNSt15iterator_traitsISI_E10value_typeEPNSO_ISJ_E10value_typeEPSK_NS1_7vsmem_tEENKUlT_SI_SJ_SK_E_clISD_PdSD_S10_EESH_SX_SI_SJ_SK_EUlSX_E0_NS1_11comp_targetILNS1_3genE10ELNS1_11target_archE1201ELNS1_3gpuE5ELNS1_3repE0EEENS1_38merge_mergepath_config_static_selectorELNS0_4arch9wavefront6targetE1EEEvSJ_, .Lfunc_end58-_ZN7rocprim17ROCPRIM_400000_NS6detail17trampoline_kernelINS0_14default_configENS1_38merge_sort_block_merge_config_selectorIddEEZZNS1_27merge_sort_block_merge_implIS3_N6thrust23THRUST_200600_302600_NS6detail15normal_iteratorINS8_10device_ptrIdEEEESD_jNS1_19radix_merge_compareILb0ELb0EdNS0_19identity_decomposerEEEEE10hipError_tT0_T1_T2_jT3_P12ihipStream_tbPNSt15iterator_traitsISI_E10value_typeEPNSO_ISJ_E10value_typeEPSK_NS1_7vsmem_tEENKUlT_SI_SJ_SK_E_clISD_PdSD_S10_EESH_SX_SI_SJ_SK_EUlSX_E0_NS1_11comp_targetILNS1_3genE10ELNS1_11target_archE1201ELNS1_3gpuE5ELNS1_3repE0EEENS1_38merge_mergepath_config_static_selectorELNS0_4arch9wavefront6targetE1EEEvSJ_
                                        ; -- End function
	.set _ZN7rocprim17ROCPRIM_400000_NS6detail17trampoline_kernelINS0_14default_configENS1_38merge_sort_block_merge_config_selectorIddEEZZNS1_27merge_sort_block_merge_implIS3_N6thrust23THRUST_200600_302600_NS6detail15normal_iteratorINS8_10device_ptrIdEEEESD_jNS1_19radix_merge_compareILb0ELb0EdNS0_19identity_decomposerEEEEE10hipError_tT0_T1_T2_jT3_P12ihipStream_tbPNSt15iterator_traitsISI_E10value_typeEPNSO_ISJ_E10value_typeEPSK_NS1_7vsmem_tEENKUlT_SI_SJ_SK_E_clISD_PdSD_S10_EESH_SX_SI_SJ_SK_EUlSX_E0_NS1_11comp_targetILNS1_3genE10ELNS1_11target_archE1201ELNS1_3gpuE5ELNS1_3repE0EEENS1_38merge_mergepath_config_static_selectorELNS0_4arch9wavefront6targetE1EEEvSJ_.num_vgpr, 0
	.set _ZN7rocprim17ROCPRIM_400000_NS6detail17trampoline_kernelINS0_14default_configENS1_38merge_sort_block_merge_config_selectorIddEEZZNS1_27merge_sort_block_merge_implIS3_N6thrust23THRUST_200600_302600_NS6detail15normal_iteratorINS8_10device_ptrIdEEEESD_jNS1_19radix_merge_compareILb0ELb0EdNS0_19identity_decomposerEEEEE10hipError_tT0_T1_T2_jT3_P12ihipStream_tbPNSt15iterator_traitsISI_E10value_typeEPNSO_ISJ_E10value_typeEPSK_NS1_7vsmem_tEENKUlT_SI_SJ_SK_E_clISD_PdSD_S10_EESH_SX_SI_SJ_SK_EUlSX_E0_NS1_11comp_targetILNS1_3genE10ELNS1_11target_archE1201ELNS1_3gpuE5ELNS1_3repE0EEENS1_38merge_mergepath_config_static_selectorELNS0_4arch9wavefront6targetE1EEEvSJ_.num_agpr, 0
	.set _ZN7rocprim17ROCPRIM_400000_NS6detail17trampoline_kernelINS0_14default_configENS1_38merge_sort_block_merge_config_selectorIddEEZZNS1_27merge_sort_block_merge_implIS3_N6thrust23THRUST_200600_302600_NS6detail15normal_iteratorINS8_10device_ptrIdEEEESD_jNS1_19radix_merge_compareILb0ELb0EdNS0_19identity_decomposerEEEEE10hipError_tT0_T1_T2_jT3_P12ihipStream_tbPNSt15iterator_traitsISI_E10value_typeEPNSO_ISJ_E10value_typeEPSK_NS1_7vsmem_tEENKUlT_SI_SJ_SK_E_clISD_PdSD_S10_EESH_SX_SI_SJ_SK_EUlSX_E0_NS1_11comp_targetILNS1_3genE10ELNS1_11target_archE1201ELNS1_3gpuE5ELNS1_3repE0EEENS1_38merge_mergepath_config_static_selectorELNS0_4arch9wavefront6targetE1EEEvSJ_.numbered_sgpr, 0
	.set _ZN7rocprim17ROCPRIM_400000_NS6detail17trampoline_kernelINS0_14default_configENS1_38merge_sort_block_merge_config_selectorIddEEZZNS1_27merge_sort_block_merge_implIS3_N6thrust23THRUST_200600_302600_NS6detail15normal_iteratorINS8_10device_ptrIdEEEESD_jNS1_19radix_merge_compareILb0ELb0EdNS0_19identity_decomposerEEEEE10hipError_tT0_T1_T2_jT3_P12ihipStream_tbPNSt15iterator_traitsISI_E10value_typeEPNSO_ISJ_E10value_typeEPSK_NS1_7vsmem_tEENKUlT_SI_SJ_SK_E_clISD_PdSD_S10_EESH_SX_SI_SJ_SK_EUlSX_E0_NS1_11comp_targetILNS1_3genE10ELNS1_11target_archE1201ELNS1_3gpuE5ELNS1_3repE0EEENS1_38merge_mergepath_config_static_selectorELNS0_4arch9wavefront6targetE1EEEvSJ_.num_named_barrier, 0
	.set _ZN7rocprim17ROCPRIM_400000_NS6detail17trampoline_kernelINS0_14default_configENS1_38merge_sort_block_merge_config_selectorIddEEZZNS1_27merge_sort_block_merge_implIS3_N6thrust23THRUST_200600_302600_NS6detail15normal_iteratorINS8_10device_ptrIdEEEESD_jNS1_19radix_merge_compareILb0ELb0EdNS0_19identity_decomposerEEEEE10hipError_tT0_T1_T2_jT3_P12ihipStream_tbPNSt15iterator_traitsISI_E10value_typeEPNSO_ISJ_E10value_typeEPSK_NS1_7vsmem_tEENKUlT_SI_SJ_SK_E_clISD_PdSD_S10_EESH_SX_SI_SJ_SK_EUlSX_E0_NS1_11comp_targetILNS1_3genE10ELNS1_11target_archE1201ELNS1_3gpuE5ELNS1_3repE0EEENS1_38merge_mergepath_config_static_selectorELNS0_4arch9wavefront6targetE1EEEvSJ_.private_seg_size, 0
	.set _ZN7rocprim17ROCPRIM_400000_NS6detail17trampoline_kernelINS0_14default_configENS1_38merge_sort_block_merge_config_selectorIddEEZZNS1_27merge_sort_block_merge_implIS3_N6thrust23THRUST_200600_302600_NS6detail15normal_iteratorINS8_10device_ptrIdEEEESD_jNS1_19radix_merge_compareILb0ELb0EdNS0_19identity_decomposerEEEEE10hipError_tT0_T1_T2_jT3_P12ihipStream_tbPNSt15iterator_traitsISI_E10value_typeEPNSO_ISJ_E10value_typeEPSK_NS1_7vsmem_tEENKUlT_SI_SJ_SK_E_clISD_PdSD_S10_EESH_SX_SI_SJ_SK_EUlSX_E0_NS1_11comp_targetILNS1_3genE10ELNS1_11target_archE1201ELNS1_3gpuE5ELNS1_3repE0EEENS1_38merge_mergepath_config_static_selectorELNS0_4arch9wavefront6targetE1EEEvSJ_.uses_vcc, 0
	.set _ZN7rocprim17ROCPRIM_400000_NS6detail17trampoline_kernelINS0_14default_configENS1_38merge_sort_block_merge_config_selectorIddEEZZNS1_27merge_sort_block_merge_implIS3_N6thrust23THRUST_200600_302600_NS6detail15normal_iteratorINS8_10device_ptrIdEEEESD_jNS1_19radix_merge_compareILb0ELb0EdNS0_19identity_decomposerEEEEE10hipError_tT0_T1_T2_jT3_P12ihipStream_tbPNSt15iterator_traitsISI_E10value_typeEPNSO_ISJ_E10value_typeEPSK_NS1_7vsmem_tEENKUlT_SI_SJ_SK_E_clISD_PdSD_S10_EESH_SX_SI_SJ_SK_EUlSX_E0_NS1_11comp_targetILNS1_3genE10ELNS1_11target_archE1201ELNS1_3gpuE5ELNS1_3repE0EEENS1_38merge_mergepath_config_static_selectorELNS0_4arch9wavefront6targetE1EEEvSJ_.uses_flat_scratch, 0
	.set _ZN7rocprim17ROCPRIM_400000_NS6detail17trampoline_kernelINS0_14default_configENS1_38merge_sort_block_merge_config_selectorIddEEZZNS1_27merge_sort_block_merge_implIS3_N6thrust23THRUST_200600_302600_NS6detail15normal_iteratorINS8_10device_ptrIdEEEESD_jNS1_19radix_merge_compareILb0ELb0EdNS0_19identity_decomposerEEEEE10hipError_tT0_T1_T2_jT3_P12ihipStream_tbPNSt15iterator_traitsISI_E10value_typeEPNSO_ISJ_E10value_typeEPSK_NS1_7vsmem_tEENKUlT_SI_SJ_SK_E_clISD_PdSD_S10_EESH_SX_SI_SJ_SK_EUlSX_E0_NS1_11comp_targetILNS1_3genE10ELNS1_11target_archE1201ELNS1_3gpuE5ELNS1_3repE0EEENS1_38merge_mergepath_config_static_selectorELNS0_4arch9wavefront6targetE1EEEvSJ_.has_dyn_sized_stack, 0
	.set _ZN7rocprim17ROCPRIM_400000_NS6detail17trampoline_kernelINS0_14default_configENS1_38merge_sort_block_merge_config_selectorIddEEZZNS1_27merge_sort_block_merge_implIS3_N6thrust23THRUST_200600_302600_NS6detail15normal_iteratorINS8_10device_ptrIdEEEESD_jNS1_19radix_merge_compareILb0ELb0EdNS0_19identity_decomposerEEEEE10hipError_tT0_T1_T2_jT3_P12ihipStream_tbPNSt15iterator_traitsISI_E10value_typeEPNSO_ISJ_E10value_typeEPSK_NS1_7vsmem_tEENKUlT_SI_SJ_SK_E_clISD_PdSD_S10_EESH_SX_SI_SJ_SK_EUlSX_E0_NS1_11comp_targetILNS1_3genE10ELNS1_11target_archE1201ELNS1_3gpuE5ELNS1_3repE0EEENS1_38merge_mergepath_config_static_selectorELNS0_4arch9wavefront6targetE1EEEvSJ_.has_recursion, 0
	.set _ZN7rocprim17ROCPRIM_400000_NS6detail17trampoline_kernelINS0_14default_configENS1_38merge_sort_block_merge_config_selectorIddEEZZNS1_27merge_sort_block_merge_implIS3_N6thrust23THRUST_200600_302600_NS6detail15normal_iteratorINS8_10device_ptrIdEEEESD_jNS1_19radix_merge_compareILb0ELb0EdNS0_19identity_decomposerEEEEE10hipError_tT0_T1_T2_jT3_P12ihipStream_tbPNSt15iterator_traitsISI_E10value_typeEPNSO_ISJ_E10value_typeEPSK_NS1_7vsmem_tEENKUlT_SI_SJ_SK_E_clISD_PdSD_S10_EESH_SX_SI_SJ_SK_EUlSX_E0_NS1_11comp_targetILNS1_3genE10ELNS1_11target_archE1201ELNS1_3gpuE5ELNS1_3repE0EEENS1_38merge_mergepath_config_static_selectorELNS0_4arch9wavefront6targetE1EEEvSJ_.has_indirect_call, 0
	.section	.AMDGPU.csdata,"",@progbits
; Kernel info:
; codeLenInByte = 0
; TotalNumSgprs: 6
; NumVgprs: 0
; NumAgprs: 0
; TotalNumVgprs: 0
; ScratchSize: 0
; MemoryBound: 0
; FloatMode: 240
; IeeeMode: 1
; LDSByteSize: 0 bytes/workgroup (compile time only)
; SGPRBlocks: 0
; VGPRBlocks: 0
; NumSGPRsForWavesPerEU: 6
; NumVGPRsForWavesPerEU: 1
; AccumOffset: 4
; Occupancy: 8
; WaveLimiterHint : 0
; COMPUTE_PGM_RSRC2:SCRATCH_EN: 0
; COMPUTE_PGM_RSRC2:USER_SGPR: 2
; COMPUTE_PGM_RSRC2:TRAP_HANDLER: 0
; COMPUTE_PGM_RSRC2:TGID_X_EN: 1
; COMPUTE_PGM_RSRC2:TGID_Y_EN: 0
; COMPUTE_PGM_RSRC2:TGID_Z_EN: 0
; COMPUTE_PGM_RSRC2:TIDIG_COMP_CNT: 0
; COMPUTE_PGM_RSRC3_GFX90A:ACCUM_OFFSET: 0
; COMPUTE_PGM_RSRC3_GFX90A:TG_SPLIT: 0
	.section	.text._ZN7rocprim17ROCPRIM_400000_NS6detail17trampoline_kernelINS0_14default_configENS1_38merge_sort_block_merge_config_selectorIddEEZZNS1_27merge_sort_block_merge_implIS3_N6thrust23THRUST_200600_302600_NS6detail15normal_iteratorINS8_10device_ptrIdEEEESD_jNS1_19radix_merge_compareILb0ELb0EdNS0_19identity_decomposerEEEEE10hipError_tT0_T1_T2_jT3_P12ihipStream_tbPNSt15iterator_traitsISI_E10value_typeEPNSO_ISJ_E10value_typeEPSK_NS1_7vsmem_tEENKUlT_SI_SJ_SK_E_clISD_PdSD_S10_EESH_SX_SI_SJ_SK_EUlSX_E0_NS1_11comp_targetILNS1_3genE5ELNS1_11target_archE942ELNS1_3gpuE9ELNS1_3repE0EEENS1_38merge_mergepath_config_static_selectorELNS0_4arch9wavefront6targetE1EEEvSJ_,"axG",@progbits,_ZN7rocprim17ROCPRIM_400000_NS6detail17trampoline_kernelINS0_14default_configENS1_38merge_sort_block_merge_config_selectorIddEEZZNS1_27merge_sort_block_merge_implIS3_N6thrust23THRUST_200600_302600_NS6detail15normal_iteratorINS8_10device_ptrIdEEEESD_jNS1_19radix_merge_compareILb0ELb0EdNS0_19identity_decomposerEEEEE10hipError_tT0_T1_T2_jT3_P12ihipStream_tbPNSt15iterator_traitsISI_E10value_typeEPNSO_ISJ_E10value_typeEPSK_NS1_7vsmem_tEENKUlT_SI_SJ_SK_E_clISD_PdSD_S10_EESH_SX_SI_SJ_SK_EUlSX_E0_NS1_11comp_targetILNS1_3genE5ELNS1_11target_archE942ELNS1_3gpuE9ELNS1_3repE0EEENS1_38merge_mergepath_config_static_selectorELNS0_4arch9wavefront6targetE1EEEvSJ_,comdat
	.protected	_ZN7rocprim17ROCPRIM_400000_NS6detail17trampoline_kernelINS0_14default_configENS1_38merge_sort_block_merge_config_selectorIddEEZZNS1_27merge_sort_block_merge_implIS3_N6thrust23THRUST_200600_302600_NS6detail15normal_iteratorINS8_10device_ptrIdEEEESD_jNS1_19radix_merge_compareILb0ELb0EdNS0_19identity_decomposerEEEEE10hipError_tT0_T1_T2_jT3_P12ihipStream_tbPNSt15iterator_traitsISI_E10value_typeEPNSO_ISJ_E10value_typeEPSK_NS1_7vsmem_tEENKUlT_SI_SJ_SK_E_clISD_PdSD_S10_EESH_SX_SI_SJ_SK_EUlSX_E0_NS1_11comp_targetILNS1_3genE5ELNS1_11target_archE942ELNS1_3gpuE9ELNS1_3repE0EEENS1_38merge_mergepath_config_static_selectorELNS0_4arch9wavefront6targetE1EEEvSJ_ ; -- Begin function _ZN7rocprim17ROCPRIM_400000_NS6detail17trampoline_kernelINS0_14default_configENS1_38merge_sort_block_merge_config_selectorIddEEZZNS1_27merge_sort_block_merge_implIS3_N6thrust23THRUST_200600_302600_NS6detail15normal_iteratorINS8_10device_ptrIdEEEESD_jNS1_19radix_merge_compareILb0ELb0EdNS0_19identity_decomposerEEEEE10hipError_tT0_T1_T2_jT3_P12ihipStream_tbPNSt15iterator_traitsISI_E10value_typeEPNSO_ISJ_E10value_typeEPSK_NS1_7vsmem_tEENKUlT_SI_SJ_SK_E_clISD_PdSD_S10_EESH_SX_SI_SJ_SK_EUlSX_E0_NS1_11comp_targetILNS1_3genE5ELNS1_11target_archE942ELNS1_3gpuE9ELNS1_3repE0EEENS1_38merge_mergepath_config_static_selectorELNS0_4arch9wavefront6targetE1EEEvSJ_
	.globl	_ZN7rocprim17ROCPRIM_400000_NS6detail17trampoline_kernelINS0_14default_configENS1_38merge_sort_block_merge_config_selectorIddEEZZNS1_27merge_sort_block_merge_implIS3_N6thrust23THRUST_200600_302600_NS6detail15normal_iteratorINS8_10device_ptrIdEEEESD_jNS1_19radix_merge_compareILb0ELb0EdNS0_19identity_decomposerEEEEE10hipError_tT0_T1_T2_jT3_P12ihipStream_tbPNSt15iterator_traitsISI_E10value_typeEPNSO_ISJ_E10value_typeEPSK_NS1_7vsmem_tEENKUlT_SI_SJ_SK_E_clISD_PdSD_S10_EESH_SX_SI_SJ_SK_EUlSX_E0_NS1_11comp_targetILNS1_3genE5ELNS1_11target_archE942ELNS1_3gpuE9ELNS1_3repE0EEENS1_38merge_mergepath_config_static_selectorELNS0_4arch9wavefront6targetE1EEEvSJ_
	.p2align	8
	.type	_ZN7rocprim17ROCPRIM_400000_NS6detail17trampoline_kernelINS0_14default_configENS1_38merge_sort_block_merge_config_selectorIddEEZZNS1_27merge_sort_block_merge_implIS3_N6thrust23THRUST_200600_302600_NS6detail15normal_iteratorINS8_10device_ptrIdEEEESD_jNS1_19radix_merge_compareILb0ELb0EdNS0_19identity_decomposerEEEEE10hipError_tT0_T1_T2_jT3_P12ihipStream_tbPNSt15iterator_traitsISI_E10value_typeEPNSO_ISJ_E10value_typeEPSK_NS1_7vsmem_tEENKUlT_SI_SJ_SK_E_clISD_PdSD_S10_EESH_SX_SI_SJ_SK_EUlSX_E0_NS1_11comp_targetILNS1_3genE5ELNS1_11target_archE942ELNS1_3gpuE9ELNS1_3repE0EEENS1_38merge_mergepath_config_static_selectorELNS0_4arch9wavefront6targetE1EEEvSJ_,@function
_ZN7rocprim17ROCPRIM_400000_NS6detail17trampoline_kernelINS0_14default_configENS1_38merge_sort_block_merge_config_selectorIddEEZZNS1_27merge_sort_block_merge_implIS3_N6thrust23THRUST_200600_302600_NS6detail15normal_iteratorINS8_10device_ptrIdEEEESD_jNS1_19radix_merge_compareILb0ELb0EdNS0_19identity_decomposerEEEEE10hipError_tT0_T1_T2_jT3_P12ihipStream_tbPNSt15iterator_traitsISI_E10value_typeEPNSO_ISJ_E10value_typeEPSK_NS1_7vsmem_tEENKUlT_SI_SJ_SK_E_clISD_PdSD_S10_EESH_SX_SI_SJ_SK_EUlSX_E0_NS1_11comp_targetILNS1_3genE5ELNS1_11target_archE942ELNS1_3gpuE9ELNS1_3repE0EEENS1_38merge_mergepath_config_static_selectorELNS0_4arch9wavefront6targetE1EEEvSJ_: ; @_ZN7rocprim17ROCPRIM_400000_NS6detail17trampoline_kernelINS0_14default_configENS1_38merge_sort_block_merge_config_selectorIddEEZZNS1_27merge_sort_block_merge_implIS3_N6thrust23THRUST_200600_302600_NS6detail15normal_iteratorINS8_10device_ptrIdEEEESD_jNS1_19radix_merge_compareILb0ELb0EdNS0_19identity_decomposerEEEEE10hipError_tT0_T1_T2_jT3_P12ihipStream_tbPNSt15iterator_traitsISI_E10value_typeEPNSO_ISJ_E10value_typeEPSK_NS1_7vsmem_tEENKUlT_SI_SJ_SK_E_clISD_PdSD_S10_EESH_SX_SI_SJ_SK_EUlSX_E0_NS1_11comp_targetILNS1_3genE5ELNS1_11target_archE942ELNS1_3gpuE9ELNS1_3repE0EEENS1_38merge_mergepath_config_static_selectorELNS0_4arch9wavefront6targetE1EEEvSJ_
; %bb.0:
	.section	.rodata,"a",@progbits
	.p2align	6, 0x0
	.amdhsa_kernel _ZN7rocprim17ROCPRIM_400000_NS6detail17trampoline_kernelINS0_14default_configENS1_38merge_sort_block_merge_config_selectorIddEEZZNS1_27merge_sort_block_merge_implIS3_N6thrust23THRUST_200600_302600_NS6detail15normal_iteratorINS8_10device_ptrIdEEEESD_jNS1_19radix_merge_compareILb0ELb0EdNS0_19identity_decomposerEEEEE10hipError_tT0_T1_T2_jT3_P12ihipStream_tbPNSt15iterator_traitsISI_E10value_typeEPNSO_ISJ_E10value_typeEPSK_NS1_7vsmem_tEENKUlT_SI_SJ_SK_E_clISD_PdSD_S10_EESH_SX_SI_SJ_SK_EUlSX_E0_NS1_11comp_targetILNS1_3genE5ELNS1_11target_archE942ELNS1_3gpuE9ELNS1_3repE0EEENS1_38merge_mergepath_config_static_selectorELNS0_4arch9wavefront6targetE1EEEvSJ_
		.amdhsa_group_segment_fixed_size 0
		.amdhsa_private_segment_fixed_size 0
		.amdhsa_kernarg_size 64
		.amdhsa_user_sgpr_count 2
		.amdhsa_user_sgpr_dispatch_ptr 0
		.amdhsa_user_sgpr_queue_ptr 0
		.amdhsa_user_sgpr_kernarg_segment_ptr 1
		.amdhsa_user_sgpr_dispatch_id 0
		.amdhsa_user_sgpr_kernarg_preload_length 0
		.amdhsa_user_sgpr_kernarg_preload_offset 0
		.amdhsa_user_sgpr_private_segment_size 0
		.amdhsa_uses_dynamic_stack 0
		.amdhsa_enable_private_segment 0
		.amdhsa_system_sgpr_workgroup_id_x 1
		.amdhsa_system_sgpr_workgroup_id_y 0
		.amdhsa_system_sgpr_workgroup_id_z 0
		.amdhsa_system_sgpr_workgroup_info 0
		.amdhsa_system_vgpr_workitem_id 0
		.amdhsa_next_free_vgpr 1
		.amdhsa_next_free_sgpr 0
		.amdhsa_accum_offset 4
		.amdhsa_reserve_vcc 0
		.amdhsa_float_round_mode_32 0
		.amdhsa_float_round_mode_16_64 0
		.amdhsa_float_denorm_mode_32 3
		.amdhsa_float_denorm_mode_16_64 3
		.amdhsa_dx10_clamp 1
		.amdhsa_ieee_mode 1
		.amdhsa_fp16_overflow 0
		.amdhsa_tg_split 0
		.amdhsa_exception_fp_ieee_invalid_op 0
		.amdhsa_exception_fp_denorm_src 0
		.amdhsa_exception_fp_ieee_div_zero 0
		.amdhsa_exception_fp_ieee_overflow 0
		.amdhsa_exception_fp_ieee_underflow 0
		.amdhsa_exception_fp_ieee_inexact 0
		.amdhsa_exception_int_div_zero 0
	.end_amdhsa_kernel
	.section	.text._ZN7rocprim17ROCPRIM_400000_NS6detail17trampoline_kernelINS0_14default_configENS1_38merge_sort_block_merge_config_selectorIddEEZZNS1_27merge_sort_block_merge_implIS3_N6thrust23THRUST_200600_302600_NS6detail15normal_iteratorINS8_10device_ptrIdEEEESD_jNS1_19radix_merge_compareILb0ELb0EdNS0_19identity_decomposerEEEEE10hipError_tT0_T1_T2_jT3_P12ihipStream_tbPNSt15iterator_traitsISI_E10value_typeEPNSO_ISJ_E10value_typeEPSK_NS1_7vsmem_tEENKUlT_SI_SJ_SK_E_clISD_PdSD_S10_EESH_SX_SI_SJ_SK_EUlSX_E0_NS1_11comp_targetILNS1_3genE5ELNS1_11target_archE942ELNS1_3gpuE9ELNS1_3repE0EEENS1_38merge_mergepath_config_static_selectorELNS0_4arch9wavefront6targetE1EEEvSJ_,"axG",@progbits,_ZN7rocprim17ROCPRIM_400000_NS6detail17trampoline_kernelINS0_14default_configENS1_38merge_sort_block_merge_config_selectorIddEEZZNS1_27merge_sort_block_merge_implIS3_N6thrust23THRUST_200600_302600_NS6detail15normal_iteratorINS8_10device_ptrIdEEEESD_jNS1_19radix_merge_compareILb0ELb0EdNS0_19identity_decomposerEEEEE10hipError_tT0_T1_T2_jT3_P12ihipStream_tbPNSt15iterator_traitsISI_E10value_typeEPNSO_ISJ_E10value_typeEPSK_NS1_7vsmem_tEENKUlT_SI_SJ_SK_E_clISD_PdSD_S10_EESH_SX_SI_SJ_SK_EUlSX_E0_NS1_11comp_targetILNS1_3genE5ELNS1_11target_archE942ELNS1_3gpuE9ELNS1_3repE0EEENS1_38merge_mergepath_config_static_selectorELNS0_4arch9wavefront6targetE1EEEvSJ_,comdat
.Lfunc_end59:
	.size	_ZN7rocprim17ROCPRIM_400000_NS6detail17trampoline_kernelINS0_14default_configENS1_38merge_sort_block_merge_config_selectorIddEEZZNS1_27merge_sort_block_merge_implIS3_N6thrust23THRUST_200600_302600_NS6detail15normal_iteratorINS8_10device_ptrIdEEEESD_jNS1_19radix_merge_compareILb0ELb0EdNS0_19identity_decomposerEEEEE10hipError_tT0_T1_T2_jT3_P12ihipStream_tbPNSt15iterator_traitsISI_E10value_typeEPNSO_ISJ_E10value_typeEPSK_NS1_7vsmem_tEENKUlT_SI_SJ_SK_E_clISD_PdSD_S10_EESH_SX_SI_SJ_SK_EUlSX_E0_NS1_11comp_targetILNS1_3genE5ELNS1_11target_archE942ELNS1_3gpuE9ELNS1_3repE0EEENS1_38merge_mergepath_config_static_selectorELNS0_4arch9wavefront6targetE1EEEvSJ_, .Lfunc_end59-_ZN7rocprim17ROCPRIM_400000_NS6detail17trampoline_kernelINS0_14default_configENS1_38merge_sort_block_merge_config_selectorIddEEZZNS1_27merge_sort_block_merge_implIS3_N6thrust23THRUST_200600_302600_NS6detail15normal_iteratorINS8_10device_ptrIdEEEESD_jNS1_19radix_merge_compareILb0ELb0EdNS0_19identity_decomposerEEEEE10hipError_tT0_T1_T2_jT3_P12ihipStream_tbPNSt15iterator_traitsISI_E10value_typeEPNSO_ISJ_E10value_typeEPSK_NS1_7vsmem_tEENKUlT_SI_SJ_SK_E_clISD_PdSD_S10_EESH_SX_SI_SJ_SK_EUlSX_E0_NS1_11comp_targetILNS1_3genE5ELNS1_11target_archE942ELNS1_3gpuE9ELNS1_3repE0EEENS1_38merge_mergepath_config_static_selectorELNS0_4arch9wavefront6targetE1EEEvSJ_
                                        ; -- End function
	.set _ZN7rocprim17ROCPRIM_400000_NS6detail17trampoline_kernelINS0_14default_configENS1_38merge_sort_block_merge_config_selectorIddEEZZNS1_27merge_sort_block_merge_implIS3_N6thrust23THRUST_200600_302600_NS6detail15normal_iteratorINS8_10device_ptrIdEEEESD_jNS1_19radix_merge_compareILb0ELb0EdNS0_19identity_decomposerEEEEE10hipError_tT0_T1_T2_jT3_P12ihipStream_tbPNSt15iterator_traitsISI_E10value_typeEPNSO_ISJ_E10value_typeEPSK_NS1_7vsmem_tEENKUlT_SI_SJ_SK_E_clISD_PdSD_S10_EESH_SX_SI_SJ_SK_EUlSX_E0_NS1_11comp_targetILNS1_3genE5ELNS1_11target_archE942ELNS1_3gpuE9ELNS1_3repE0EEENS1_38merge_mergepath_config_static_selectorELNS0_4arch9wavefront6targetE1EEEvSJ_.num_vgpr, 0
	.set _ZN7rocprim17ROCPRIM_400000_NS6detail17trampoline_kernelINS0_14default_configENS1_38merge_sort_block_merge_config_selectorIddEEZZNS1_27merge_sort_block_merge_implIS3_N6thrust23THRUST_200600_302600_NS6detail15normal_iteratorINS8_10device_ptrIdEEEESD_jNS1_19radix_merge_compareILb0ELb0EdNS0_19identity_decomposerEEEEE10hipError_tT0_T1_T2_jT3_P12ihipStream_tbPNSt15iterator_traitsISI_E10value_typeEPNSO_ISJ_E10value_typeEPSK_NS1_7vsmem_tEENKUlT_SI_SJ_SK_E_clISD_PdSD_S10_EESH_SX_SI_SJ_SK_EUlSX_E0_NS1_11comp_targetILNS1_3genE5ELNS1_11target_archE942ELNS1_3gpuE9ELNS1_3repE0EEENS1_38merge_mergepath_config_static_selectorELNS0_4arch9wavefront6targetE1EEEvSJ_.num_agpr, 0
	.set _ZN7rocprim17ROCPRIM_400000_NS6detail17trampoline_kernelINS0_14default_configENS1_38merge_sort_block_merge_config_selectorIddEEZZNS1_27merge_sort_block_merge_implIS3_N6thrust23THRUST_200600_302600_NS6detail15normal_iteratorINS8_10device_ptrIdEEEESD_jNS1_19radix_merge_compareILb0ELb0EdNS0_19identity_decomposerEEEEE10hipError_tT0_T1_T2_jT3_P12ihipStream_tbPNSt15iterator_traitsISI_E10value_typeEPNSO_ISJ_E10value_typeEPSK_NS1_7vsmem_tEENKUlT_SI_SJ_SK_E_clISD_PdSD_S10_EESH_SX_SI_SJ_SK_EUlSX_E0_NS1_11comp_targetILNS1_3genE5ELNS1_11target_archE942ELNS1_3gpuE9ELNS1_3repE0EEENS1_38merge_mergepath_config_static_selectorELNS0_4arch9wavefront6targetE1EEEvSJ_.numbered_sgpr, 0
	.set _ZN7rocprim17ROCPRIM_400000_NS6detail17trampoline_kernelINS0_14default_configENS1_38merge_sort_block_merge_config_selectorIddEEZZNS1_27merge_sort_block_merge_implIS3_N6thrust23THRUST_200600_302600_NS6detail15normal_iteratorINS8_10device_ptrIdEEEESD_jNS1_19radix_merge_compareILb0ELb0EdNS0_19identity_decomposerEEEEE10hipError_tT0_T1_T2_jT3_P12ihipStream_tbPNSt15iterator_traitsISI_E10value_typeEPNSO_ISJ_E10value_typeEPSK_NS1_7vsmem_tEENKUlT_SI_SJ_SK_E_clISD_PdSD_S10_EESH_SX_SI_SJ_SK_EUlSX_E0_NS1_11comp_targetILNS1_3genE5ELNS1_11target_archE942ELNS1_3gpuE9ELNS1_3repE0EEENS1_38merge_mergepath_config_static_selectorELNS0_4arch9wavefront6targetE1EEEvSJ_.num_named_barrier, 0
	.set _ZN7rocprim17ROCPRIM_400000_NS6detail17trampoline_kernelINS0_14default_configENS1_38merge_sort_block_merge_config_selectorIddEEZZNS1_27merge_sort_block_merge_implIS3_N6thrust23THRUST_200600_302600_NS6detail15normal_iteratorINS8_10device_ptrIdEEEESD_jNS1_19radix_merge_compareILb0ELb0EdNS0_19identity_decomposerEEEEE10hipError_tT0_T1_T2_jT3_P12ihipStream_tbPNSt15iterator_traitsISI_E10value_typeEPNSO_ISJ_E10value_typeEPSK_NS1_7vsmem_tEENKUlT_SI_SJ_SK_E_clISD_PdSD_S10_EESH_SX_SI_SJ_SK_EUlSX_E0_NS1_11comp_targetILNS1_3genE5ELNS1_11target_archE942ELNS1_3gpuE9ELNS1_3repE0EEENS1_38merge_mergepath_config_static_selectorELNS0_4arch9wavefront6targetE1EEEvSJ_.private_seg_size, 0
	.set _ZN7rocprim17ROCPRIM_400000_NS6detail17trampoline_kernelINS0_14default_configENS1_38merge_sort_block_merge_config_selectorIddEEZZNS1_27merge_sort_block_merge_implIS3_N6thrust23THRUST_200600_302600_NS6detail15normal_iteratorINS8_10device_ptrIdEEEESD_jNS1_19radix_merge_compareILb0ELb0EdNS0_19identity_decomposerEEEEE10hipError_tT0_T1_T2_jT3_P12ihipStream_tbPNSt15iterator_traitsISI_E10value_typeEPNSO_ISJ_E10value_typeEPSK_NS1_7vsmem_tEENKUlT_SI_SJ_SK_E_clISD_PdSD_S10_EESH_SX_SI_SJ_SK_EUlSX_E0_NS1_11comp_targetILNS1_3genE5ELNS1_11target_archE942ELNS1_3gpuE9ELNS1_3repE0EEENS1_38merge_mergepath_config_static_selectorELNS0_4arch9wavefront6targetE1EEEvSJ_.uses_vcc, 0
	.set _ZN7rocprim17ROCPRIM_400000_NS6detail17trampoline_kernelINS0_14default_configENS1_38merge_sort_block_merge_config_selectorIddEEZZNS1_27merge_sort_block_merge_implIS3_N6thrust23THRUST_200600_302600_NS6detail15normal_iteratorINS8_10device_ptrIdEEEESD_jNS1_19radix_merge_compareILb0ELb0EdNS0_19identity_decomposerEEEEE10hipError_tT0_T1_T2_jT3_P12ihipStream_tbPNSt15iterator_traitsISI_E10value_typeEPNSO_ISJ_E10value_typeEPSK_NS1_7vsmem_tEENKUlT_SI_SJ_SK_E_clISD_PdSD_S10_EESH_SX_SI_SJ_SK_EUlSX_E0_NS1_11comp_targetILNS1_3genE5ELNS1_11target_archE942ELNS1_3gpuE9ELNS1_3repE0EEENS1_38merge_mergepath_config_static_selectorELNS0_4arch9wavefront6targetE1EEEvSJ_.uses_flat_scratch, 0
	.set _ZN7rocprim17ROCPRIM_400000_NS6detail17trampoline_kernelINS0_14default_configENS1_38merge_sort_block_merge_config_selectorIddEEZZNS1_27merge_sort_block_merge_implIS3_N6thrust23THRUST_200600_302600_NS6detail15normal_iteratorINS8_10device_ptrIdEEEESD_jNS1_19radix_merge_compareILb0ELb0EdNS0_19identity_decomposerEEEEE10hipError_tT0_T1_T2_jT3_P12ihipStream_tbPNSt15iterator_traitsISI_E10value_typeEPNSO_ISJ_E10value_typeEPSK_NS1_7vsmem_tEENKUlT_SI_SJ_SK_E_clISD_PdSD_S10_EESH_SX_SI_SJ_SK_EUlSX_E0_NS1_11comp_targetILNS1_3genE5ELNS1_11target_archE942ELNS1_3gpuE9ELNS1_3repE0EEENS1_38merge_mergepath_config_static_selectorELNS0_4arch9wavefront6targetE1EEEvSJ_.has_dyn_sized_stack, 0
	.set _ZN7rocprim17ROCPRIM_400000_NS6detail17trampoline_kernelINS0_14default_configENS1_38merge_sort_block_merge_config_selectorIddEEZZNS1_27merge_sort_block_merge_implIS3_N6thrust23THRUST_200600_302600_NS6detail15normal_iteratorINS8_10device_ptrIdEEEESD_jNS1_19radix_merge_compareILb0ELb0EdNS0_19identity_decomposerEEEEE10hipError_tT0_T1_T2_jT3_P12ihipStream_tbPNSt15iterator_traitsISI_E10value_typeEPNSO_ISJ_E10value_typeEPSK_NS1_7vsmem_tEENKUlT_SI_SJ_SK_E_clISD_PdSD_S10_EESH_SX_SI_SJ_SK_EUlSX_E0_NS1_11comp_targetILNS1_3genE5ELNS1_11target_archE942ELNS1_3gpuE9ELNS1_3repE0EEENS1_38merge_mergepath_config_static_selectorELNS0_4arch9wavefront6targetE1EEEvSJ_.has_recursion, 0
	.set _ZN7rocprim17ROCPRIM_400000_NS6detail17trampoline_kernelINS0_14default_configENS1_38merge_sort_block_merge_config_selectorIddEEZZNS1_27merge_sort_block_merge_implIS3_N6thrust23THRUST_200600_302600_NS6detail15normal_iteratorINS8_10device_ptrIdEEEESD_jNS1_19radix_merge_compareILb0ELb0EdNS0_19identity_decomposerEEEEE10hipError_tT0_T1_T2_jT3_P12ihipStream_tbPNSt15iterator_traitsISI_E10value_typeEPNSO_ISJ_E10value_typeEPSK_NS1_7vsmem_tEENKUlT_SI_SJ_SK_E_clISD_PdSD_S10_EESH_SX_SI_SJ_SK_EUlSX_E0_NS1_11comp_targetILNS1_3genE5ELNS1_11target_archE942ELNS1_3gpuE9ELNS1_3repE0EEENS1_38merge_mergepath_config_static_selectorELNS0_4arch9wavefront6targetE1EEEvSJ_.has_indirect_call, 0
	.section	.AMDGPU.csdata,"",@progbits
; Kernel info:
; codeLenInByte = 0
; TotalNumSgprs: 6
; NumVgprs: 0
; NumAgprs: 0
; TotalNumVgprs: 0
; ScratchSize: 0
; MemoryBound: 0
; FloatMode: 240
; IeeeMode: 1
; LDSByteSize: 0 bytes/workgroup (compile time only)
; SGPRBlocks: 0
; VGPRBlocks: 0
; NumSGPRsForWavesPerEU: 6
; NumVGPRsForWavesPerEU: 1
; AccumOffset: 4
; Occupancy: 8
; WaveLimiterHint : 0
; COMPUTE_PGM_RSRC2:SCRATCH_EN: 0
; COMPUTE_PGM_RSRC2:USER_SGPR: 2
; COMPUTE_PGM_RSRC2:TRAP_HANDLER: 0
; COMPUTE_PGM_RSRC2:TGID_X_EN: 1
; COMPUTE_PGM_RSRC2:TGID_Y_EN: 0
; COMPUTE_PGM_RSRC2:TGID_Z_EN: 0
; COMPUTE_PGM_RSRC2:TIDIG_COMP_CNT: 0
; COMPUTE_PGM_RSRC3_GFX90A:ACCUM_OFFSET: 0
; COMPUTE_PGM_RSRC3_GFX90A:TG_SPLIT: 0
	.section	.text._ZN7rocprim17ROCPRIM_400000_NS6detail17trampoline_kernelINS0_14default_configENS1_38merge_sort_block_merge_config_selectorIddEEZZNS1_27merge_sort_block_merge_implIS3_N6thrust23THRUST_200600_302600_NS6detail15normal_iteratorINS8_10device_ptrIdEEEESD_jNS1_19radix_merge_compareILb0ELb0EdNS0_19identity_decomposerEEEEE10hipError_tT0_T1_T2_jT3_P12ihipStream_tbPNSt15iterator_traitsISI_E10value_typeEPNSO_ISJ_E10value_typeEPSK_NS1_7vsmem_tEENKUlT_SI_SJ_SK_E_clISD_PdSD_S10_EESH_SX_SI_SJ_SK_EUlSX_E0_NS1_11comp_targetILNS1_3genE4ELNS1_11target_archE910ELNS1_3gpuE8ELNS1_3repE0EEENS1_38merge_mergepath_config_static_selectorELNS0_4arch9wavefront6targetE1EEEvSJ_,"axG",@progbits,_ZN7rocprim17ROCPRIM_400000_NS6detail17trampoline_kernelINS0_14default_configENS1_38merge_sort_block_merge_config_selectorIddEEZZNS1_27merge_sort_block_merge_implIS3_N6thrust23THRUST_200600_302600_NS6detail15normal_iteratorINS8_10device_ptrIdEEEESD_jNS1_19radix_merge_compareILb0ELb0EdNS0_19identity_decomposerEEEEE10hipError_tT0_T1_T2_jT3_P12ihipStream_tbPNSt15iterator_traitsISI_E10value_typeEPNSO_ISJ_E10value_typeEPSK_NS1_7vsmem_tEENKUlT_SI_SJ_SK_E_clISD_PdSD_S10_EESH_SX_SI_SJ_SK_EUlSX_E0_NS1_11comp_targetILNS1_3genE4ELNS1_11target_archE910ELNS1_3gpuE8ELNS1_3repE0EEENS1_38merge_mergepath_config_static_selectorELNS0_4arch9wavefront6targetE1EEEvSJ_,comdat
	.protected	_ZN7rocprim17ROCPRIM_400000_NS6detail17trampoline_kernelINS0_14default_configENS1_38merge_sort_block_merge_config_selectorIddEEZZNS1_27merge_sort_block_merge_implIS3_N6thrust23THRUST_200600_302600_NS6detail15normal_iteratorINS8_10device_ptrIdEEEESD_jNS1_19radix_merge_compareILb0ELb0EdNS0_19identity_decomposerEEEEE10hipError_tT0_T1_T2_jT3_P12ihipStream_tbPNSt15iterator_traitsISI_E10value_typeEPNSO_ISJ_E10value_typeEPSK_NS1_7vsmem_tEENKUlT_SI_SJ_SK_E_clISD_PdSD_S10_EESH_SX_SI_SJ_SK_EUlSX_E0_NS1_11comp_targetILNS1_3genE4ELNS1_11target_archE910ELNS1_3gpuE8ELNS1_3repE0EEENS1_38merge_mergepath_config_static_selectorELNS0_4arch9wavefront6targetE1EEEvSJ_ ; -- Begin function _ZN7rocprim17ROCPRIM_400000_NS6detail17trampoline_kernelINS0_14default_configENS1_38merge_sort_block_merge_config_selectorIddEEZZNS1_27merge_sort_block_merge_implIS3_N6thrust23THRUST_200600_302600_NS6detail15normal_iteratorINS8_10device_ptrIdEEEESD_jNS1_19radix_merge_compareILb0ELb0EdNS0_19identity_decomposerEEEEE10hipError_tT0_T1_T2_jT3_P12ihipStream_tbPNSt15iterator_traitsISI_E10value_typeEPNSO_ISJ_E10value_typeEPSK_NS1_7vsmem_tEENKUlT_SI_SJ_SK_E_clISD_PdSD_S10_EESH_SX_SI_SJ_SK_EUlSX_E0_NS1_11comp_targetILNS1_3genE4ELNS1_11target_archE910ELNS1_3gpuE8ELNS1_3repE0EEENS1_38merge_mergepath_config_static_selectorELNS0_4arch9wavefront6targetE1EEEvSJ_
	.globl	_ZN7rocprim17ROCPRIM_400000_NS6detail17trampoline_kernelINS0_14default_configENS1_38merge_sort_block_merge_config_selectorIddEEZZNS1_27merge_sort_block_merge_implIS3_N6thrust23THRUST_200600_302600_NS6detail15normal_iteratorINS8_10device_ptrIdEEEESD_jNS1_19radix_merge_compareILb0ELb0EdNS0_19identity_decomposerEEEEE10hipError_tT0_T1_T2_jT3_P12ihipStream_tbPNSt15iterator_traitsISI_E10value_typeEPNSO_ISJ_E10value_typeEPSK_NS1_7vsmem_tEENKUlT_SI_SJ_SK_E_clISD_PdSD_S10_EESH_SX_SI_SJ_SK_EUlSX_E0_NS1_11comp_targetILNS1_3genE4ELNS1_11target_archE910ELNS1_3gpuE8ELNS1_3repE0EEENS1_38merge_mergepath_config_static_selectorELNS0_4arch9wavefront6targetE1EEEvSJ_
	.p2align	8
	.type	_ZN7rocprim17ROCPRIM_400000_NS6detail17trampoline_kernelINS0_14default_configENS1_38merge_sort_block_merge_config_selectorIddEEZZNS1_27merge_sort_block_merge_implIS3_N6thrust23THRUST_200600_302600_NS6detail15normal_iteratorINS8_10device_ptrIdEEEESD_jNS1_19radix_merge_compareILb0ELb0EdNS0_19identity_decomposerEEEEE10hipError_tT0_T1_T2_jT3_P12ihipStream_tbPNSt15iterator_traitsISI_E10value_typeEPNSO_ISJ_E10value_typeEPSK_NS1_7vsmem_tEENKUlT_SI_SJ_SK_E_clISD_PdSD_S10_EESH_SX_SI_SJ_SK_EUlSX_E0_NS1_11comp_targetILNS1_3genE4ELNS1_11target_archE910ELNS1_3gpuE8ELNS1_3repE0EEENS1_38merge_mergepath_config_static_selectorELNS0_4arch9wavefront6targetE1EEEvSJ_,@function
_ZN7rocprim17ROCPRIM_400000_NS6detail17trampoline_kernelINS0_14default_configENS1_38merge_sort_block_merge_config_selectorIddEEZZNS1_27merge_sort_block_merge_implIS3_N6thrust23THRUST_200600_302600_NS6detail15normal_iteratorINS8_10device_ptrIdEEEESD_jNS1_19radix_merge_compareILb0ELb0EdNS0_19identity_decomposerEEEEE10hipError_tT0_T1_T2_jT3_P12ihipStream_tbPNSt15iterator_traitsISI_E10value_typeEPNSO_ISJ_E10value_typeEPSK_NS1_7vsmem_tEENKUlT_SI_SJ_SK_E_clISD_PdSD_S10_EESH_SX_SI_SJ_SK_EUlSX_E0_NS1_11comp_targetILNS1_3genE4ELNS1_11target_archE910ELNS1_3gpuE8ELNS1_3repE0EEENS1_38merge_mergepath_config_static_selectorELNS0_4arch9wavefront6targetE1EEEvSJ_: ; @_ZN7rocprim17ROCPRIM_400000_NS6detail17trampoline_kernelINS0_14default_configENS1_38merge_sort_block_merge_config_selectorIddEEZZNS1_27merge_sort_block_merge_implIS3_N6thrust23THRUST_200600_302600_NS6detail15normal_iteratorINS8_10device_ptrIdEEEESD_jNS1_19radix_merge_compareILb0ELb0EdNS0_19identity_decomposerEEEEE10hipError_tT0_T1_T2_jT3_P12ihipStream_tbPNSt15iterator_traitsISI_E10value_typeEPNSO_ISJ_E10value_typeEPSK_NS1_7vsmem_tEENKUlT_SI_SJ_SK_E_clISD_PdSD_S10_EESH_SX_SI_SJ_SK_EUlSX_E0_NS1_11comp_targetILNS1_3genE4ELNS1_11target_archE910ELNS1_3gpuE8ELNS1_3repE0EEENS1_38merge_mergepath_config_static_selectorELNS0_4arch9wavefront6targetE1EEEvSJ_
; %bb.0:
	.section	.rodata,"a",@progbits
	.p2align	6, 0x0
	.amdhsa_kernel _ZN7rocprim17ROCPRIM_400000_NS6detail17trampoline_kernelINS0_14default_configENS1_38merge_sort_block_merge_config_selectorIddEEZZNS1_27merge_sort_block_merge_implIS3_N6thrust23THRUST_200600_302600_NS6detail15normal_iteratorINS8_10device_ptrIdEEEESD_jNS1_19radix_merge_compareILb0ELb0EdNS0_19identity_decomposerEEEEE10hipError_tT0_T1_T2_jT3_P12ihipStream_tbPNSt15iterator_traitsISI_E10value_typeEPNSO_ISJ_E10value_typeEPSK_NS1_7vsmem_tEENKUlT_SI_SJ_SK_E_clISD_PdSD_S10_EESH_SX_SI_SJ_SK_EUlSX_E0_NS1_11comp_targetILNS1_3genE4ELNS1_11target_archE910ELNS1_3gpuE8ELNS1_3repE0EEENS1_38merge_mergepath_config_static_selectorELNS0_4arch9wavefront6targetE1EEEvSJ_
		.amdhsa_group_segment_fixed_size 0
		.amdhsa_private_segment_fixed_size 0
		.amdhsa_kernarg_size 64
		.amdhsa_user_sgpr_count 2
		.amdhsa_user_sgpr_dispatch_ptr 0
		.amdhsa_user_sgpr_queue_ptr 0
		.amdhsa_user_sgpr_kernarg_segment_ptr 1
		.amdhsa_user_sgpr_dispatch_id 0
		.amdhsa_user_sgpr_kernarg_preload_length 0
		.amdhsa_user_sgpr_kernarg_preload_offset 0
		.amdhsa_user_sgpr_private_segment_size 0
		.amdhsa_uses_dynamic_stack 0
		.amdhsa_enable_private_segment 0
		.amdhsa_system_sgpr_workgroup_id_x 1
		.amdhsa_system_sgpr_workgroup_id_y 0
		.amdhsa_system_sgpr_workgroup_id_z 0
		.amdhsa_system_sgpr_workgroup_info 0
		.amdhsa_system_vgpr_workitem_id 0
		.amdhsa_next_free_vgpr 1
		.amdhsa_next_free_sgpr 0
		.amdhsa_accum_offset 4
		.amdhsa_reserve_vcc 0
		.amdhsa_float_round_mode_32 0
		.amdhsa_float_round_mode_16_64 0
		.amdhsa_float_denorm_mode_32 3
		.amdhsa_float_denorm_mode_16_64 3
		.amdhsa_dx10_clamp 1
		.amdhsa_ieee_mode 1
		.amdhsa_fp16_overflow 0
		.amdhsa_tg_split 0
		.amdhsa_exception_fp_ieee_invalid_op 0
		.amdhsa_exception_fp_denorm_src 0
		.amdhsa_exception_fp_ieee_div_zero 0
		.amdhsa_exception_fp_ieee_overflow 0
		.amdhsa_exception_fp_ieee_underflow 0
		.amdhsa_exception_fp_ieee_inexact 0
		.amdhsa_exception_int_div_zero 0
	.end_amdhsa_kernel
	.section	.text._ZN7rocprim17ROCPRIM_400000_NS6detail17trampoline_kernelINS0_14default_configENS1_38merge_sort_block_merge_config_selectorIddEEZZNS1_27merge_sort_block_merge_implIS3_N6thrust23THRUST_200600_302600_NS6detail15normal_iteratorINS8_10device_ptrIdEEEESD_jNS1_19radix_merge_compareILb0ELb0EdNS0_19identity_decomposerEEEEE10hipError_tT0_T1_T2_jT3_P12ihipStream_tbPNSt15iterator_traitsISI_E10value_typeEPNSO_ISJ_E10value_typeEPSK_NS1_7vsmem_tEENKUlT_SI_SJ_SK_E_clISD_PdSD_S10_EESH_SX_SI_SJ_SK_EUlSX_E0_NS1_11comp_targetILNS1_3genE4ELNS1_11target_archE910ELNS1_3gpuE8ELNS1_3repE0EEENS1_38merge_mergepath_config_static_selectorELNS0_4arch9wavefront6targetE1EEEvSJ_,"axG",@progbits,_ZN7rocprim17ROCPRIM_400000_NS6detail17trampoline_kernelINS0_14default_configENS1_38merge_sort_block_merge_config_selectorIddEEZZNS1_27merge_sort_block_merge_implIS3_N6thrust23THRUST_200600_302600_NS6detail15normal_iteratorINS8_10device_ptrIdEEEESD_jNS1_19radix_merge_compareILb0ELb0EdNS0_19identity_decomposerEEEEE10hipError_tT0_T1_T2_jT3_P12ihipStream_tbPNSt15iterator_traitsISI_E10value_typeEPNSO_ISJ_E10value_typeEPSK_NS1_7vsmem_tEENKUlT_SI_SJ_SK_E_clISD_PdSD_S10_EESH_SX_SI_SJ_SK_EUlSX_E0_NS1_11comp_targetILNS1_3genE4ELNS1_11target_archE910ELNS1_3gpuE8ELNS1_3repE0EEENS1_38merge_mergepath_config_static_selectorELNS0_4arch9wavefront6targetE1EEEvSJ_,comdat
.Lfunc_end60:
	.size	_ZN7rocprim17ROCPRIM_400000_NS6detail17trampoline_kernelINS0_14default_configENS1_38merge_sort_block_merge_config_selectorIddEEZZNS1_27merge_sort_block_merge_implIS3_N6thrust23THRUST_200600_302600_NS6detail15normal_iteratorINS8_10device_ptrIdEEEESD_jNS1_19radix_merge_compareILb0ELb0EdNS0_19identity_decomposerEEEEE10hipError_tT0_T1_T2_jT3_P12ihipStream_tbPNSt15iterator_traitsISI_E10value_typeEPNSO_ISJ_E10value_typeEPSK_NS1_7vsmem_tEENKUlT_SI_SJ_SK_E_clISD_PdSD_S10_EESH_SX_SI_SJ_SK_EUlSX_E0_NS1_11comp_targetILNS1_3genE4ELNS1_11target_archE910ELNS1_3gpuE8ELNS1_3repE0EEENS1_38merge_mergepath_config_static_selectorELNS0_4arch9wavefront6targetE1EEEvSJ_, .Lfunc_end60-_ZN7rocprim17ROCPRIM_400000_NS6detail17trampoline_kernelINS0_14default_configENS1_38merge_sort_block_merge_config_selectorIddEEZZNS1_27merge_sort_block_merge_implIS3_N6thrust23THRUST_200600_302600_NS6detail15normal_iteratorINS8_10device_ptrIdEEEESD_jNS1_19radix_merge_compareILb0ELb0EdNS0_19identity_decomposerEEEEE10hipError_tT0_T1_T2_jT3_P12ihipStream_tbPNSt15iterator_traitsISI_E10value_typeEPNSO_ISJ_E10value_typeEPSK_NS1_7vsmem_tEENKUlT_SI_SJ_SK_E_clISD_PdSD_S10_EESH_SX_SI_SJ_SK_EUlSX_E0_NS1_11comp_targetILNS1_3genE4ELNS1_11target_archE910ELNS1_3gpuE8ELNS1_3repE0EEENS1_38merge_mergepath_config_static_selectorELNS0_4arch9wavefront6targetE1EEEvSJ_
                                        ; -- End function
	.set _ZN7rocprim17ROCPRIM_400000_NS6detail17trampoline_kernelINS0_14default_configENS1_38merge_sort_block_merge_config_selectorIddEEZZNS1_27merge_sort_block_merge_implIS3_N6thrust23THRUST_200600_302600_NS6detail15normal_iteratorINS8_10device_ptrIdEEEESD_jNS1_19radix_merge_compareILb0ELb0EdNS0_19identity_decomposerEEEEE10hipError_tT0_T1_T2_jT3_P12ihipStream_tbPNSt15iterator_traitsISI_E10value_typeEPNSO_ISJ_E10value_typeEPSK_NS1_7vsmem_tEENKUlT_SI_SJ_SK_E_clISD_PdSD_S10_EESH_SX_SI_SJ_SK_EUlSX_E0_NS1_11comp_targetILNS1_3genE4ELNS1_11target_archE910ELNS1_3gpuE8ELNS1_3repE0EEENS1_38merge_mergepath_config_static_selectorELNS0_4arch9wavefront6targetE1EEEvSJ_.num_vgpr, 0
	.set _ZN7rocprim17ROCPRIM_400000_NS6detail17trampoline_kernelINS0_14default_configENS1_38merge_sort_block_merge_config_selectorIddEEZZNS1_27merge_sort_block_merge_implIS3_N6thrust23THRUST_200600_302600_NS6detail15normal_iteratorINS8_10device_ptrIdEEEESD_jNS1_19radix_merge_compareILb0ELb0EdNS0_19identity_decomposerEEEEE10hipError_tT0_T1_T2_jT3_P12ihipStream_tbPNSt15iterator_traitsISI_E10value_typeEPNSO_ISJ_E10value_typeEPSK_NS1_7vsmem_tEENKUlT_SI_SJ_SK_E_clISD_PdSD_S10_EESH_SX_SI_SJ_SK_EUlSX_E0_NS1_11comp_targetILNS1_3genE4ELNS1_11target_archE910ELNS1_3gpuE8ELNS1_3repE0EEENS1_38merge_mergepath_config_static_selectorELNS0_4arch9wavefront6targetE1EEEvSJ_.num_agpr, 0
	.set _ZN7rocprim17ROCPRIM_400000_NS6detail17trampoline_kernelINS0_14default_configENS1_38merge_sort_block_merge_config_selectorIddEEZZNS1_27merge_sort_block_merge_implIS3_N6thrust23THRUST_200600_302600_NS6detail15normal_iteratorINS8_10device_ptrIdEEEESD_jNS1_19radix_merge_compareILb0ELb0EdNS0_19identity_decomposerEEEEE10hipError_tT0_T1_T2_jT3_P12ihipStream_tbPNSt15iterator_traitsISI_E10value_typeEPNSO_ISJ_E10value_typeEPSK_NS1_7vsmem_tEENKUlT_SI_SJ_SK_E_clISD_PdSD_S10_EESH_SX_SI_SJ_SK_EUlSX_E0_NS1_11comp_targetILNS1_3genE4ELNS1_11target_archE910ELNS1_3gpuE8ELNS1_3repE0EEENS1_38merge_mergepath_config_static_selectorELNS0_4arch9wavefront6targetE1EEEvSJ_.numbered_sgpr, 0
	.set _ZN7rocprim17ROCPRIM_400000_NS6detail17trampoline_kernelINS0_14default_configENS1_38merge_sort_block_merge_config_selectorIddEEZZNS1_27merge_sort_block_merge_implIS3_N6thrust23THRUST_200600_302600_NS6detail15normal_iteratorINS8_10device_ptrIdEEEESD_jNS1_19radix_merge_compareILb0ELb0EdNS0_19identity_decomposerEEEEE10hipError_tT0_T1_T2_jT3_P12ihipStream_tbPNSt15iterator_traitsISI_E10value_typeEPNSO_ISJ_E10value_typeEPSK_NS1_7vsmem_tEENKUlT_SI_SJ_SK_E_clISD_PdSD_S10_EESH_SX_SI_SJ_SK_EUlSX_E0_NS1_11comp_targetILNS1_3genE4ELNS1_11target_archE910ELNS1_3gpuE8ELNS1_3repE0EEENS1_38merge_mergepath_config_static_selectorELNS0_4arch9wavefront6targetE1EEEvSJ_.num_named_barrier, 0
	.set _ZN7rocprim17ROCPRIM_400000_NS6detail17trampoline_kernelINS0_14default_configENS1_38merge_sort_block_merge_config_selectorIddEEZZNS1_27merge_sort_block_merge_implIS3_N6thrust23THRUST_200600_302600_NS6detail15normal_iteratorINS8_10device_ptrIdEEEESD_jNS1_19radix_merge_compareILb0ELb0EdNS0_19identity_decomposerEEEEE10hipError_tT0_T1_T2_jT3_P12ihipStream_tbPNSt15iterator_traitsISI_E10value_typeEPNSO_ISJ_E10value_typeEPSK_NS1_7vsmem_tEENKUlT_SI_SJ_SK_E_clISD_PdSD_S10_EESH_SX_SI_SJ_SK_EUlSX_E0_NS1_11comp_targetILNS1_3genE4ELNS1_11target_archE910ELNS1_3gpuE8ELNS1_3repE0EEENS1_38merge_mergepath_config_static_selectorELNS0_4arch9wavefront6targetE1EEEvSJ_.private_seg_size, 0
	.set _ZN7rocprim17ROCPRIM_400000_NS6detail17trampoline_kernelINS0_14default_configENS1_38merge_sort_block_merge_config_selectorIddEEZZNS1_27merge_sort_block_merge_implIS3_N6thrust23THRUST_200600_302600_NS6detail15normal_iteratorINS8_10device_ptrIdEEEESD_jNS1_19radix_merge_compareILb0ELb0EdNS0_19identity_decomposerEEEEE10hipError_tT0_T1_T2_jT3_P12ihipStream_tbPNSt15iterator_traitsISI_E10value_typeEPNSO_ISJ_E10value_typeEPSK_NS1_7vsmem_tEENKUlT_SI_SJ_SK_E_clISD_PdSD_S10_EESH_SX_SI_SJ_SK_EUlSX_E0_NS1_11comp_targetILNS1_3genE4ELNS1_11target_archE910ELNS1_3gpuE8ELNS1_3repE0EEENS1_38merge_mergepath_config_static_selectorELNS0_4arch9wavefront6targetE1EEEvSJ_.uses_vcc, 0
	.set _ZN7rocprim17ROCPRIM_400000_NS6detail17trampoline_kernelINS0_14default_configENS1_38merge_sort_block_merge_config_selectorIddEEZZNS1_27merge_sort_block_merge_implIS3_N6thrust23THRUST_200600_302600_NS6detail15normal_iteratorINS8_10device_ptrIdEEEESD_jNS1_19radix_merge_compareILb0ELb0EdNS0_19identity_decomposerEEEEE10hipError_tT0_T1_T2_jT3_P12ihipStream_tbPNSt15iterator_traitsISI_E10value_typeEPNSO_ISJ_E10value_typeEPSK_NS1_7vsmem_tEENKUlT_SI_SJ_SK_E_clISD_PdSD_S10_EESH_SX_SI_SJ_SK_EUlSX_E0_NS1_11comp_targetILNS1_3genE4ELNS1_11target_archE910ELNS1_3gpuE8ELNS1_3repE0EEENS1_38merge_mergepath_config_static_selectorELNS0_4arch9wavefront6targetE1EEEvSJ_.uses_flat_scratch, 0
	.set _ZN7rocprim17ROCPRIM_400000_NS6detail17trampoline_kernelINS0_14default_configENS1_38merge_sort_block_merge_config_selectorIddEEZZNS1_27merge_sort_block_merge_implIS3_N6thrust23THRUST_200600_302600_NS6detail15normal_iteratorINS8_10device_ptrIdEEEESD_jNS1_19radix_merge_compareILb0ELb0EdNS0_19identity_decomposerEEEEE10hipError_tT0_T1_T2_jT3_P12ihipStream_tbPNSt15iterator_traitsISI_E10value_typeEPNSO_ISJ_E10value_typeEPSK_NS1_7vsmem_tEENKUlT_SI_SJ_SK_E_clISD_PdSD_S10_EESH_SX_SI_SJ_SK_EUlSX_E0_NS1_11comp_targetILNS1_3genE4ELNS1_11target_archE910ELNS1_3gpuE8ELNS1_3repE0EEENS1_38merge_mergepath_config_static_selectorELNS0_4arch9wavefront6targetE1EEEvSJ_.has_dyn_sized_stack, 0
	.set _ZN7rocprim17ROCPRIM_400000_NS6detail17trampoline_kernelINS0_14default_configENS1_38merge_sort_block_merge_config_selectorIddEEZZNS1_27merge_sort_block_merge_implIS3_N6thrust23THRUST_200600_302600_NS6detail15normal_iteratorINS8_10device_ptrIdEEEESD_jNS1_19radix_merge_compareILb0ELb0EdNS0_19identity_decomposerEEEEE10hipError_tT0_T1_T2_jT3_P12ihipStream_tbPNSt15iterator_traitsISI_E10value_typeEPNSO_ISJ_E10value_typeEPSK_NS1_7vsmem_tEENKUlT_SI_SJ_SK_E_clISD_PdSD_S10_EESH_SX_SI_SJ_SK_EUlSX_E0_NS1_11comp_targetILNS1_3genE4ELNS1_11target_archE910ELNS1_3gpuE8ELNS1_3repE0EEENS1_38merge_mergepath_config_static_selectorELNS0_4arch9wavefront6targetE1EEEvSJ_.has_recursion, 0
	.set _ZN7rocprim17ROCPRIM_400000_NS6detail17trampoline_kernelINS0_14default_configENS1_38merge_sort_block_merge_config_selectorIddEEZZNS1_27merge_sort_block_merge_implIS3_N6thrust23THRUST_200600_302600_NS6detail15normal_iteratorINS8_10device_ptrIdEEEESD_jNS1_19radix_merge_compareILb0ELb0EdNS0_19identity_decomposerEEEEE10hipError_tT0_T1_T2_jT3_P12ihipStream_tbPNSt15iterator_traitsISI_E10value_typeEPNSO_ISJ_E10value_typeEPSK_NS1_7vsmem_tEENKUlT_SI_SJ_SK_E_clISD_PdSD_S10_EESH_SX_SI_SJ_SK_EUlSX_E0_NS1_11comp_targetILNS1_3genE4ELNS1_11target_archE910ELNS1_3gpuE8ELNS1_3repE0EEENS1_38merge_mergepath_config_static_selectorELNS0_4arch9wavefront6targetE1EEEvSJ_.has_indirect_call, 0
	.section	.AMDGPU.csdata,"",@progbits
; Kernel info:
; codeLenInByte = 0
; TotalNumSgprs: 6
; NumVgprs: 0
; NumAgprs: 0
; TotalNumVgprs: 0
; ScratchSize: 0
; MemoryBound: 0
; FloatMode: 240
; IeeeMode: 1
; LDSByteSize: 0 bytes/workgroup (compile time only)
; SGPRBlocks: 0
; VGPRBlocks: 0
; NumSGPRsForWavesPerEU: 6
; NumVGPRsForWavesPerEU: 1
; AccumOffset: 4
; Occupancy: 8
; WaveLimiterHint : 0
; COMPUTE_PGM_RSRC2:SCRATCH_EN: 0
; COMPUTE_PGM_RSRC2:USER_SGPR: 2
; COMPUTE_PGM_RSRC2:TRAP_HANDLER: 0
; COMPUTE_PGM_RSRC2:TGID_X_EN: 1
; COMPUTE_PGM_RSRC2:TGID_Y_EN: 0
; COMPUTE_PGM_RSRC2:TGID_Z_EN: 0
; COMPUTE_PGM_RSRC2:TIDIG_COMP_CNT: 0
; COMPUTE_PGM_RSRC3_GFX90A:ACCUM_OFFSET: 0
; COMPUTE_PGM_RSRC3_GFX90A:TG_SPLIT: 0
	.section	.text._ZN7rocprim17ROCPRIM_400000_NS6detail17trampoline_kernelINS0_14default_configENS1_38merge_sort_block_merge_config_selectorIddEEZZNS1_27merge_sort_block_merge_implIS3_N6thrust23THRUST_200600_302600_NS6detail15normal_iteratorINS8_10device_ptrIdEEEESD_jNS1_19radix_merge_compareILb0ELb0EdNS0_19identity_decomposerEEEEE10hipError_tT0_T1_T2_jT3_P12ihipStream_tbPNSt15iterator_traitsISI_E10value_typeEPNSO_ISJ_E10value_typeEPSK_NS1_7vsmem_tEENKUlT_SI_SJ_SK_E_clISD_PdSD_S10_EESH_SX_SI_SJ_SK_EUlSX_E0_NS1_11comp_targetILNS1_3genE3ELNS1_11target_archE908ELNS1_3gpuE7ELNS1_3repE0EEENS1_38merge_mergepath_config_static_selectorELNS0_4arch9wavefront6targetE1EEEvSJ_,"axG",@progbits,_ZN7rocprim17ROCPRIM_400000_NS6detail17trampoline_kernelINS0_14default_configENS1_38merge_sort_block_merge_config_selectorIddEEZZNS1_27merge_sort_block_merge_implIS3_N6thrust23THRUST_200600_302600_NS6detail15normal_iteratorINS8_10device_ptrIdEEEESD_jNS1_19radix_merge_compareILb0ELb0EdNS0_19identity_decomposerEEEEE10hipError_tT0_T1_T2_jT3_P12ihipStream_tbPNSt15iterator_traitsISI_E10value_typeEPNSO_ISJ_E10value_typeEPSK_NS1_7vsmem_tEENKUlT_SI_SJ_SK_E_clISD_PdSD_S10_EESH_SX_SI_SJ_SK_EUlSX_E0_NS1_11comp_targetILNS1_3genE3ELNS1_11target_archE908ELNS1_3gpuE7ELNS1_3repE0EEENS1_38merge_mergepath_config_static_selectorELNS0_4arch9wavefront6targetE1EEEvSJ_,comdat
	.protected	_ZN7rocprim17ROCPRIM_400000_NS6detail17trampoline_kernelINS0_14default_configENS1_38merge_sort_block_merge_config_selectorIddEEZZNS1_27merge_sort_block_merge_implIS3_N6thrust23THRUST_200600_302600_NS6detail15normal_iteratorINS8_10device_ptrIdEEEESD_jNS1_19radix_merge_compareILb0ELb0EdNS0_19identity_decomposerEEEEE10hipError_tT0_T1_T2_jT3_P12ihipStream_tbPNSt15iterator_traitsISI_E10value_typeEPNSO_ISJ_E10value_typeEPSK_NS1_7vsmem_tEENKUlT_SI_SJ_SK_E_clISD_PdSD_S10_EESH_SX_SI_SJ_SK_EUlSX_E0_NS1_11comp_targetILNS1_3genE3ELNS1_11target_archE908ELNS1_3gpuE7ELNS1_3repE0EEENS1_38merge_mergepath_config_static_selectorELNS0_4arch9wavefront6targetE1EEEvSJ_ ; -- Begin function _ZN7rocprim17ROCPRIM_400000_NS6detail17trampoline_kernelINS0_14default_configENS1_38merge_sort_block_merge_config_selectorIddEEZZNS1_27merge_sort_block_merge_implIS3_N6thrust23THRUST_200600_302600_NS6detail15normal_iteratorINS8_10device_ptrIdEEEESD_jNS1_19radix_merge_compareILb0ELb0EdNS0_19identity_decomposerEEEEE10hipError_tT0_T1_T2_jT3_P12ihipStream_tbPNSt15iterator_traitsISI_E10value_typeEPNSO_ISJ_E10value_typeEPSK_NS1_7vsmem_tEENKUlT_SI_SJ_SK_E_clISD_PdSD_S10_EESH_SX_SI_SJ_SK_EUlSX_E0_NS1_11comp_targetILNS1_3genE3ELNS1_11target_archE908ELNS1_3gpuE7ELNS1_3repE0EEENS1_38merge_mergepath_config_static_selectorELNS0_4arch9wavefront6targetE1EEEvSJ_
	.globl	_ZN7rocprim17ROCPRIM_400000_NS6detail17trampoline_kernelINS0_14default_configENS1_38merge_sort_block_merge_config_selectorIddEEZZNS1_27merge_sort_block_merge_implIS3_N6thrust23THRUST_200600_302600_NS6detail15normal_iteratorINS8_10device_ptrIdEEEESD_jNS1_19radix_merge_compareILb0ELb0EdNS0_19identity_decomposerEEEEE10hipError_tT0_T1_T2_jT3_P12ihipStream_tbPNSt15iterator_traitsISI_E10value_typeEPNSO_ISJ_E10value_typeEPSK_NS1_7vsmem_tEENKUlT_SI_SJ_SK_E_clISD_PdSD_S10_EESH_SX_SI_SJ_SK_EUlSX_E0_NS1_11comp_targetILNS1_3genE3ELNS1_11target_archE908ELNS1_3gpuE7ELNS1_3repE0EEENS1_38merge_mergepath_config_static_selectorELNS0_4arch9wavefront6targetE1EEEvSJ_
	.p2align	8
	.type	_ZN7rocprim17ROCPRIM_400000_NS6detail17trampoline_kernelINS0_14default_configENS1_38merge_sort_block_merge_config_selectorIddEEZZNS1_27merge_sort_block_merge_implIS3_N6thrust23THRUST_200600_302600_NS6detail15normal_iteratorINS8_10device_ptrIdEEEESD_jNS1_19radix_merge_compareILb0ELb0EdNS0_19identity_decomposerEEEEE10hipError_tT0_T1_T2_jT3_P12ihipStream_tbPNSt15iterator_traitsISI_E10value_typeEPNSO_ISJ_E10value_typeEPSK_NS1_7vsmem_tEENKUlT_SI_SJ_SK_E_clISD_PdSD_S10_EESH_SX_SI_SJ_SK_EUlSX_E0_NS1_11comp_targetILNS1_3genE3ELNS1_11target_archE908ELNS1_3gpuE7ELNS1_3repE0EEENS1_38merge_mergepath_config_static_selectorELNS0_4arch9wavefront6targetE1EEEvSJ_,@function
_ZN7rocprim17ROCPRIM_400000_NS6detail17trampoline_kernelINS0_14default_configENS1_38merge_sort_block_merge_config_selectorIddEEZZNS1_27merge_sort_block_merge_implIS3_N6thrust23THRUST_200600_302600_NS6detail15normal_iteratorINS8_10device_ptrIdEEEESD_jNS1_19radix_merge_compareILb0ELb0EdNS0_19identity_decomposerEEEEE10hipError_tT0_T1_T2_jT3_P12ihipStream_tbPNSt15iterator_traitsISI_E10value_typeEPNSO_ISJ_E10value_typeEPSK_NS1_7vsmem_tEENKUlT_SI_SJ_SK_E_clISD_PdSD_S10_EESH_SX_SI_SJ_SK_EUlSX_E0_NS1_11comp_targetILNS1_3genE3ELNS1_11target_archE908ELNS1_3gpuE7ELNS1_3repE0EEENS1_38merge_mergepath_config_static_selectorELNS0_4arch9wavefront6targetE1EEEvSJ_: ; @_ZN7rocprim17ROCPRIM_400000_NS6detail17trampoline_kernelINS0_14default_configENS1_38merge_sort_block_merge_config_selectorIddEEZZNS1_27merge_sort_block_merge_implIS3_N6thrust23THRUST_200600_302600_NS6detail15normal_iteratorINS8_10device_ptrIdEEEESD_jNS1_19radix_merge_compareILb0ELb0EdNS0_19identity_decomposerEEEEE10hipError_tT0_T1_T2_jT3_P12ihipStream_tbPNSt15iterator_traitsISI_E10value_typeEPNSO_ISJ_E10value_typeEPSK_NS1_7vsmem_tEENKUlT_SI_SJ_SK_E_clISD_PdSD_S10_EESH_SX_SI_SJ_SK_EUlSX_E0_NS1_11comp_targetILNS1_3genE3ELNS1_11target_archE908ELNS1_3gpuE7ELNS1_3repE0EEENS1_38merge_mergepath_config_static_selectorELNS0_4arch9wavefront6targetE1EEEvSJ_
; %bb.0:
	.section	.rodata,"a",@progbits
	.p2align	6, 0x0
	.amdhsa_kernel _ZN7rocprim17ROCPRIM_400000_NS6detail17trampoline_kernelINS0_14default_configENS1_38merge_sort_block_merge_config_selectorIddEEZZNS1_27merge_sort_block_merge_implIS3_N6thrust23THRUST_200600_302600_NS6detail15normal_iteratorINS8_10device_ptrIdEEEESD_jNS1_19radix_merge_compareILb0ELb0EdNS0_19identity_decomposerEEEEE10hipError_tT0_T1_T2_jT3_P12ihipStream_tbPNSt15iterator_traitsISI_E10value_typeEPNSO_ISJ_E10value_typeEPSK_NS1_7vsmem_tEENKUlT_SI_SJ_SK_E_clISD_PdSD_S10_EESH_SX_SI_SJ_SK_EUlSX_E0_NS1_11comp_targetILNS1_3genE3ELNS1_11target_archE908ELNS1_3gpuE7ELNS1_3repE0EEENS1_38merge_mergepath_config_static_selectorELNS0_4arch9wavefront6targetE1EEEvSJ_
		.amdhsa_group_segment_fixed_size 0
		.amdhsa_private_segment_fixed_size 0
		.amdhsa_kernarg_size 64
		.amdhsa_user_sgpr_count 2
		.amdhsa_user_sgpr_dispatch_ptr 0
		.amdhsa_user_sgpr_queue_ptr 0
		.amdhsa_user_sgpr_kernarg_segment_ptr 1
		.amdhsa_user_sgpr_dispatch_id 0
		.amdhsa_user_sgpr_kernarg_preload_length 0
		.amdhsa_user_sgpr_kernarg_preload_offset 0
		.amdhsa_user_sgpr_private_segment_size 0
		.amdhsa_uses_dynamic_stack 0
		.amdhsa_enable_private_segment 0
		.amdhsa_system_sgpr_workgroup_id_x 1
		.amdhsa_system_sgpr_workgroup_id_y 0
		.amdhsa_system_sgpr_workgroup_id_z 0
		.amdhsa_system_sgpr_workgroup_info 0
		.amdhsa_system_vgpr_workitem_id 0
		.amdhsa_next_free_vgpr 1
		.amdhsa_next_free_sgpr 0
		.amdhsa_accum_offset 4
		.amdhsa_reserve_vcc 0
		.amdhsa_float_round_mode_32 0
		.amdhsa_float_round_mode_16_64 0
		.amdhsa_float_denorm_mode_32 3
		.amdhsa_float_denorm_mode_16_64 3
		.amdhsa_dx10_clamp 1
		.amdhsa_ieee_mode 1
		.amdhsa_fp16_overflow 0
		.amdhsa_tg_split 0
		.amdhsa_exception_fp_ieee_invalid_op 0
		.amdhsa_exception_fp_denorm_src 0
		.amdhsa_exception_fp_ieee_div_zero 0
		.amdhsa_exception_fp_ieee_overflow 0
		.amdhsa_exception_fp_ieee_underflow 0
		.amdhsa_exception_fp_ieee_inexact 0
		.amdhsa_exception_int_div_zero 0
	.end_amdhsa_kernel
	.section	.text._ZN7rocprim17ROCPRIM_400000_NS6detail17trampoline_kernelINS0_14default_configENS1_38merge_sort_block_merge_config_selectorIddEEZZNS1_27merge_sort_block_merge_implIS3_N6thrust23THRUST_200600_302600_NS6detail15normal_iteratorINS8_10device_ptrIdEEEESD_jNS1_19radix_merge_compareILb0ELb0EdNS0_19identity_decomposerEEEEE10hipError_tT0_T1_T2_jT3_P12ihipStream_tbPNSt15iterator_traitsISI_E10value_typeEPNSO_ISJ_E10value_typeEPSK_NS1_7vsmem_tEENKUlT_SI_SJ_SK_E_clISD_PdSD_S10_EESH_SX_SI_SJ_SK_EUlSX_E0_NS1_11comp_targetILNS1_3genE3ELNS1_11target_archE908ELNS1_3gpuE7ELNS1_3repE0EEENS1_38merge_mergepath_config_static_selectorELNS0_4arch9wavefront6targetE1EEEvSJ_,"axG",@progbits,_ZN7rocprim17ROCPRIM_400000_NS6detail17trampoline_kernelINS0_14default_configENS1_38merge_sort_block_merge_config_selectorIddEEZZNS1_27merge_sort_block_merge_implIS3_N6thrust23THRUST_200600_302600_NS6detail15normal_iteratorINS8_10device_ptrIdEEEESD_jNS1_19radix_merge_compareILb0ELb0EdNS0_19identity_decomposerEEEEE10hipError_tT0_T1_T2_jT3_P12ihipStream_tbPNSt15iterator_traitsISI_E10value_typeEPNSO_ISJ_E10value_typeEPSK_NS1_7vsmem_tEENKUlT_SI_SJ_SK_E_clISD_PdSD_S10_EESH_SX_SI_SJ_SK_EUlSX_E0_NS1_11comp_targetILNS1_3genE3ELNS1_11target_archE908ELNS1_3gpuE7ELNS1_3repE0EEENS1_38merge_mergepath_config_static_selectorELNS0_4arch9wavefront6targetE1EEEvSJ_,comdat
.Lfunc_end61:
	.size	_ZN7rocprim17ROCPRIM_400000_NS6detail17trampoline_kernelINS0_14default_configENS1_38merge_sort_block_merge_config_selectorIddEEZZNS1_27merge_sort_block_merge_implIS3_N6thrust23THRUST_200600_302600_NS6detail15normal_iteratorINS8_10device_ptrIdEEEESD_jNS1_19radix_merge_compareILb0ELb0EdNS0_19identity_decomposerEEEEE10hipError_tT0_T1_T2_jT3_P12ihipStream_tbPNSt15iterator_traitsISI_E10value_typeEPNSO_ISJ_E10value_typeEPSK_NS1_7vsmem_tEENKUlT_SI_SJ_SK_E_clISD_PdSD_S10_EESH_SX_SI_SJ_SK_EUlSX_E0_NS1_11comp_targetILNS1_3genE3ELNS1_11target_archE908ELNS1_3gpuE7ELNS1_3repE0EEENS1_38merge_mergepath_config_static_selectorELNS0_4arch9wavefront6targetE1EEEvSJ_, .Lfunc_end61-_ZN7rocprim17ROCPRIM_400000_NS6detail17trampoline_kernelINS0_14default_configENS1_38merge_sort_block_merge_config_selectorIddEEZZNS1_27merge_sort_block_merge_implIS3_N6thrust23THRUST_200600_302600_NS6detail15normal_iteratorINS8_10device_ptrIdEEEESD_jNS1_19radix_merge_compareILb0ELb0EdNS0_19identity_decomposerEEEEE10hipError_tT0_T1_T2_jT3_P12ihipStream_tbPNSt15iterator_traitsISI_E10value_typeEPNSO_ISJ_E10value_typeEPSK_NS1_7vsmem_tEENKUlT_SI_SJ_SK_E_clISD_PdSD_S10_EESH_SX_SI_SJ_SK_EUlSX_E0_NS1_11comp_targetILNS1_3genE3ELNS1_11target_archE908ELNS1_3gpuE7ELNS1_3repE0EEENS1_38merge_mergepath_config_static_selectorELNS0_4arch9wavefront6targetE1EEEvSJ_
                                        ; -- End function
	.set _ZN7rocprim17ROCPRIM_400000_NS6detail17trampoline_kernelINS0_14default_configENS1_38merge_sort_block_merge_config_selectorIddEEZZNS1_27merge_sort_block_merge_implIS3_N6thrust23THRUST_200600_302600_NS6detail15normal_iteratorINS8_10device_ptrIdEEEESD_jNS1_19radix_merge_compareILb0ELb0EdNS0_19identity_decomposerEEEEE10hipError_tT0_T1_T2_jT3_P12ihipStream_tbPNSt15iterator_traitsISI_E10value_typeEPNSO_ISJ_E10value_typeEPSK_NS1_7vsmem_tEENKUlT_SI_SJ_SK_E_clISD_PdSD_S10_EESH_SX_SI_SJ_SK_EUlSX_E0_NS1_11comp_targetILNS1_3genE3ELNS1_11target_archE908ELNS1_3gpuE7ELNS1_3repE0EEENS1_38merge_mergepath_config_static_selectorELNS0_4arch9wavefront6targetE1EEEvSJ_.num_vgpr, 0
	.set _ZN7rocprim17ROCPRIM_400000_NS6detail17trampoline_kernelINS0_14default_configENS1_38merge_sort_block_merge_config_selectorIddEEZZNS1_27merge_sort_block_merge_implIS3_N6thrust23THRUST_200600_302600_NS6detail15normal_iteratorINS8_10device_ptrIdEEEESD_jNS1_19radix_merge_compareILb0ELb0EdNS0_19identity_decomposerEEEEE10hipError_tT0_T1_T2_jT3_P12ihipStream_tbPNSt15iterator_traitsISI_E10value_typeEPNSO_ISJ_E10value_typeEPSK_NS1_7vsmem_tEENKUlT_SI_SJ_SK_E_clISD_PdSD_S10_EESH_SX_SI_SJ_SK_EUlSX_E0_NS1_11comp_targetILNS1_3genE3ELNS1_11target_archE908ELNS1_3gpuE7ELNS1_3repE0EEENS1_38merge_mergepath_config_static_selectorELNS0_4arch9wavefront6targetE1EEEvSJ_.num_agpr, 0
	.set _ZN7rocprim17ROCPRIM_400000_NS6detail17trampoline_kernelINS0_14default_configENS1_38merge_sort_block_merge_config_selectorIddEEZZNS1_27merge_sort_block_merge_implIS3_N6thrust23THRUST_200600_302600_NS6detail15normal_iteratorINS8_10device_ptrIdEEEESD_jNS1_19radix_merge_compareILb0ELb0EdNS0_19identity_decomposerEEEEE10hipError_tT0_T1_T2_jT3_P12ihipStream_tbPNSt15iterator_traitsISI_E10value_typeEPNSO_ISJ_E10value_typeEPSK_NS1_7vsmem_tEENKUlT_SI_SJ_SK_E_clISD_PdSD_S10_EESH_SX_SI_SJ_SK_EUlSX_E0_NS1_11comp_targetILNS1_3genE3ELNS1_11target_archE908ELNS1_3gpuE7ELNS1_3repE0EEENS1_38merge_mergepath_config_static_selectorELNS0_4arch9wavefront6targetE1EEEvSJ_.numbered_sgpr, 0
	.set _ZN7rocprim17ROCPRIM_400000_NS6detail17trampoline_kernelINS0_14default_configENS1_38merge_sort_block_merge_config_selectorIddEEZZNS1_27merge_sort_block_merge_implIS3_N6thrust23THRUST_200600_302600_NS6detail15normal_iteratorINS8_10device_ptrIdEEEESD_jNS1_19radix_merge_compareILb0ELb0EdNS0_19identity_decomposerEEEEE10hipError_tT0_T1_T2_jT3_P12ihipStream_tbPNSt15iterator_traitsISI_E10value_typeEPNSO_ISJ_E10value_typeEPSK_NS1_7vsmem_tEENKUlT_SI_SJ_SK_E_clISD_PdSD_S10_EESH_SX_SI_SJ_SK_EUlSX_E0_NS1_11comp_targetILNS1_3genE3ELNS1_11target_archE908ELNS1_3gpuE7ELNS1_3repE0EEENS1_38merge_mergepath_config_static_selectorELNS0_4arch9wavefront6targetE1EEEvSJ_.num_named_barrier, 0
	.set _ZN7rocprim17ROCPRIM_400000_NS6detail17trampoline_kernelINS0_14default_configENS1_38merge_sort_block_merge_config_selectorIddEEZZNS1_27merge_sort_block_merge_implIS3_N6thrust23THRUST_200600_302600_NS6detail15normal_iteratorINS8_10device_ptrIdEEEESD_jNS1_19radix_merge_compareILb0ELb0EdNS0_19identity_decomposerEEEEE10hipError_tT0_T1_T2_jT3_P12ihipStream_tbPNSt15iterator_traitsISI_E10value_typeEPNSO_ISJ_E10value_typeEPSK_NS1_7vsmem_tEENKUlT_SI_SJ_SK_E_clISD_PdSD_S10_EESH_SX_SI_SJ_SK_EUlSX_E0_NS1_11comp_targetILNS1_3genE3ELNS1_11target_archE908ELNS1_3gpuE7ELNS1_3repE0EEENS1_38merge_mergepath_config_static_selectorELNS0_4arch9wavefront6targetE1EEEvSJ_.private_seg_size, 0
	.set _ZN7rocprim17ROCPRIM_400000_NS6detail17trampoline_kernelINS0_14default_configENS1_38merge_sort_block_merge_config_selectorIddEEZZNS1_27merge_sort_block_merge_implIS3_N6thrust23THRUST_200600_302600_NS6detail15normal_iteratorINS8_10device_ptrIdEEEESD_jNS1_19radix_merge_compareILb0ELb0EdNS0_19identity_decomposerEEEEE10hipError_tT0_T1_T2_jT3_P12ihipStream_tbPNSt15iterator_traitsISI_E10value_typeEPNSO_ISJ_E10value_typeEPSK_NS1_7vsmem_tEENKUlT_SI_SJ_SK_E_clISD_PdSD_S10_EESH_SX_SI_SJ_SK_EUlSX_E0_NS1_11comp_targetILNS1_3genE3ELNS1_11target_archE908ELNS1_3gpuE7ELNS1_3repE0EEENS1_38merge_mergepath_config_static_selectorELNS0_4arch9wavefront6targetE1EEEvSJ_.uses_vcc, 0
	.set _ZN7rocprim17ROCPRIM_400000_NS6detail17trampoline_kernelINS0_14default_configENS1_38merge_sort_block_merge_config_selectorIddEEZZNS1_27merge_sort_block_merge_implIS3_N6thrust23THRUST_200600_302600_NS6detail15normal_iteratorINS8_10device_ptrIdEEEESD_jNS1_19radix_merge_compareILb0ELb0EdNS0_19identity_decomposerEEEEE10hipError_tT0_T1_T2_jT3_P12ihipStream_tbPNSt15iterator_traitsISI_E10value_typeEPNSO_ISJ_E10value_typeEPSK_NS1_7vsmem_tEENKUlT_SI_SJ_SK_E_clISD_PdSD_S10_EESH_SX_SI_SJ_SK_EUlSX_E0_NS1_11comp_targetILNS1_3genE3ELNS1_11target_archE908ELNS1_3gpuE7ELNS1_3repE0EEENS1_38merge_mergepath_config_static_selectorELNS0_4arch9wavefront6targetE1EEEvSJ_.uses_flat_scratch, 0
	.set _ZN7rocprim17ROCPRIM_400000_NS6detail17trampoline_kernelINS0_14default_configENS1_38merge_sort_block_merge_config_selectorIddEEZZNS1_27merge_sort_block_merge_implIS3_N6thrust23THRUST_200600_302600_NS6detail15normal_iteratorINS8_10device_ptrIdEEEESD_jNS1_19radix_merge_compareILb0ELb0EdNS0_19identity_decomposerEEEEE10hipError_tT0_T1_T2_jT3_P12ihipStream_tbPNSt15iterator_traitsISI_E10value_typeEPNSO_ISJ_E10value_typeEPSK_NS1_7vsmem_tEENKUlT_SI_SJ_SK_E_clISD_PdSD_S10_EESH_SX_SI_SJ_SK_EUlSX_E0_NS1_11comp_targetILNS1_3genE3ELNS1_11target_archE908ELNS1_3gpuE7ELNS1_3repE0EEENS1_38merge_mergepath_config_static_selectorELNS0_4arch9wavefront6targetE1EEEvSJ_.has_dyn_sized_stack, 0
	.set _ZN7rocprim17ROCPRIM_400000_NS6detail17trampoline_kernelINS0_14default_configENS1_38merge_sort_block_merge_config_selectorIddEEZZNS1_27merge_sort_block_merge_implIS3_N6thrust23THRUST_200600_302600_NS6detail15normal_iteratorINS8_10device_ptrIdEEEESD_jNS1_19radix_merge_compareILb0ELb0EdNS0_19identity_decomposerEEEEE10hipError_tT0_T1_T2_jT3_P12ihipStream_tbPNSt15iterator_traitsISI_E10value_typeEPNSO_ISJ_E10value_typeEPSK_NS1_7vsmem_tEENKUlT_SI_SJ_SK_E_clISD_PdSD_S10_EESH_SX_SI_SJ_SK_EUlSX_E0_NS1_11comp_targetILNS1_3genE3ELNS1_11target_archE908ELNS1_3gpuE7ELNS1_3repE0EEENS1_38merge_mergepath_config_static_selectorELNS0_4arch9wavefront6targetE1EEEvSJ_.has_recursion, 0
	.set _ZN7rocprim17ROCPRIM_400000_NS6detail17trampoline_kernelINS0_14default_configENS1_38merge_sort_block_merge_config_selectorIddEEZZNS1_27merge_sort_block_merge_implIS3_N6thrust23THRUST_200600_302600_NS6detail15normal_iteratorINS8_10device_ptrIdEEEESD_jNS1_19radix_merge_compareILb0ELb0EdNS0_19identity_decomposerEEEEE10hipError_tT0_T1_T2_jT3_P12ihipStream_tbPNSt15iterator_traitsISI_E10value_typeEPNSO_ISJ_E10value_typeEPSK_NS1_7vsmem_tEENKUlT_SI_SJ_SK_E_clISD_PdSD_S10_EESH_SX_SI_SJ_SK_EUlSX_E0_NS1_11comp_targetILNS1_3genE3ELNS1_11target_archE908ELNS1_3gpuE7ELNS1_3repE0EEENS1_38merge_mergepath_config_static_selectorELNS0_4arch9wavefront6targetE1EEEvSJ_.has_indirect_call, 0
	.section	.AMDGPU.csdata,"",@progbits
; Kernel info:
; codeLenInByte = 0
; TotalNumSgprs: 6
; NumVgprs: 0
; NumAgprs: 0
; TotalNumVgprs: 0
; ScratchSize: 0
; MemoryBound: 0
; FloatMode: 240
; IeeeMode: 1
; LDSByteSize: 0 bytes/workgroup (compile time only)
; SGPRBlocks: 0
; VGPRBlocks: 0
; NumSGPRsForWavesPerEU: 6
; NumVGPRsForWavesPerEU: 1
; AccumOffset: 4
; Occupancy: 8
; WaveLimiterHint : 0
; COMPUTE_PGM_RSRC2:SCRATCH_EN: 0
; COMPUTE_PGM_RSRC2:USER_SGPR: 2
; COMPUTE_PGM_RSRC2:TRAP_HANDLER: 0
; COMPUTE_PGM_RSRC2:TGID_X_EN: 1
; COMPUTE_PGM_RSRC2:TGID_Y_EN: 0
; COMPUTE_PGM_RSRC2:TGID_Z_EN: 0
; COMPUTE_PGM_RSRC2:TIDIG_COMP_CNT: 0
; COMPUTE_PGM_RSRC3_GFX90A:ACCUM_OFFSET: 0
; COMPUTE_PGM_RSRC3_GFX90A:TG_SPLIT: 0
	.section	.text._ZN7rocprim17ROCPRIM_400000_NS6detail17trampoline_kernelINS0_14default_configENS1_38merge_sort_block_merge_config_selectorIddEEZZNS1_27merge_sort_block_merge_implIS3_N6thrust23THRUST_200600_302600_NS6detail15normal_iteratorINS8_10device_ptrIdEEEESD_jNS1_19radix_merge_compareILb0ELb0EdNS0_19identity_decomposerEEEEE10hipError_tT0_T1_T2_jT3_P12ihipStream_tbPNSt15iterator_traitsISI_E10value_typeEPNSO_ISJ_E10value_typeEPSK_NS1_7vsmem_tEENKUlT_SI_SJ_SK_E_clISD_PdSD_S10_EESH_SX_SI_SJ_SK_EUlSX_E0_NS1_11comp_targetILNS1_3genE2ELNS1_11target_archE906ELNS1_3gpuE6ELNS1_3repE0EEENS1_38merge_mergepath_config_static_selectorELNS0_4arch9wavefront6targetE1EEEvSJ_,"axG",@progbits,_ZN7rocprim17ROCPRIM_400000_NS6detail17trampoline_kernelINS0_14default_configENS1_38merge_sort_block_merge_config_selectorIddEEZZNS1_27merge_sort_block_merge_implIS3_N6thrust23THRUST_200600_302600_NS6detail15normal_iteratorINS8_10device_ptrIdEEEESD_jNS1_19radix_merge_compareILb0ELb0EdNS0_19identity_decomposerEEEEE10hipError_tT0_T1_T2_jT3_P12ihipStream_tbPNSt15iterator_traitsISI_E10value_typeEPNSO_ISJ_E10value_typeEPSK_NS1_7vsmem_tEENKUlT_SI_SJ_SK_E_clISD_PdSD_S10_EESH_SX_SI_SJ_SK_EUlSX_E0_NS1_11comp_targetILNS1_3genE2ELNS1_11target_archE906ELNS1_3gpuE6ELNS1_3repE0EEENS1_38merge_mergepath_config_static_selectorELNS0_4arch9wavefront6targetE1EEEvSJ_,comdat
	.protected	_ZN7rocprim17ROCPRIM_400000_NS6detail17trampoline_kernelINS0_14default_configENS1_38merge_sort_block_merge_config_selectorIddEEZZNS1_27merge_sort_block_merge_implIS3_N6thrust23THRUST_200600_302600_NS6detail15normal_iteratorINS8_10device_ptrIdEEEESD_jNS1_19radix_merge_compareILb0ELb0EdNS0_19identity_decomposerEEEEE10hipError_tT0_T1_T2_jT3_P12ihipStream_tbPNSt15iterator_traitsISI_E10value_typeEPNSO_ISJ_E10value_typeEPSK_NS1_7vsmem_tEENKUlT_SI_SJ_SK_E_clISD_PdSD_S10_EESH_SX_SI_SJ_SK_EUlSX_E0_NS1_11comp_targetILNS1_3genE2ELNS1_11target_archE906ELNS1_3gpuE6ELNS1_3repE0EEENS1_38merge_mergepath_config_static_selectorELNS0_4arch9wavefront6targetE1EEEvSJ_ ; -- Begin function _ZN7rocprim17ROCPRIM_400000_NS6detail17trampoline_kernelINS0_14default_configENS1_38merge_sort_block_merge_config_selectorIddEEZZNS1_27merge_sort_block_merge_implIS3_N6thrust23THRUST_200600_302600_NS6detail15normal_iteratorINS8_10device_ptrIdEEEESD_jNS1_19radix_merge_compareILb0ELb0EdNS0_19identity_decomposerEEEEE10hipError_tT0_T1_T2_jT3_P12ihipStream_tbPNSt15iterator_traitsISI_E10value_typeEPNSO_ISJ_E10value_typeEPSK_NS1_7vsmem_tEENKUlT_SI_SJ_SK_E_clISD_PdSD_S10_EESH_SX_SI_SJ_SK_EUlSX_E0_NS1_11comp_targetILNS1_3genE2ELNS1_11target_archE906ELNS1_3gpuE6ELNS1_3repE0EEENS1_38merge_mergepath_config_static_selectorELNS0_4arch9wavefront6targetE1EEEvSJ_
	.globl	_ZN7rocprim17ROCPRIM_400000_NS6detail17trampoline_kernelINS0_14default_configENS1_38merge_sort_block_merge_config_selectorIddEEZZNS1_27merge_sort_block_merge_implIS3_N6thrust23THRUST_200600_302600_NS6detail15normal_iteratorINS8_10device_ptrIdEEEESD_jNS1_19radix_merge_compareILb0ELb0EdNS0_19identity_decomposerEEEEE10hipError_tT0_T1_T2_jT3_P12ihipStream_tbPNSt15iterator_traitsISI_E10value_typeEPNSO_ISJ_E10value_typeEPSK_NS1_7vsmem_tEENKUlT_SI_SJ_SK_E_clISD_PdSD_S10_EESH_SX_SI_SJ_SK_EUlSX_E0_NS1_11comp_targetILNS1_3genE2ELNS1_11target_archE906ELNS1_3gpuE6ELNS1_3repE0EEENS1_38merge_mergepath_config_static_selectorELNS0_4arch9wavefront6targetE1EEEvSJ_
	.p2align	8
	.type	_ZN7rocprim17ROCPRIM_400000_NS6detail17trampoline_kernelINS0_14default_configENS1_38merge_sort_block_merge_config_selectorIddEEZZNS1_27merge_sort_block_merge_implIS3_N6thrust23THRUST_200600_302600_NS6detail15normal_iteratorINS8_10device_ptrIdEEEESD_jNS1_19radix_merge_compareILb0ELb0EdNS0_19identity_decomposerEEEEE10hipError_tT0_T1_T2_jT3_P12ihipStream_tbPNSt15iterator_traitsISI_E10value_typeEPNSO_ISJ_E10value_typeEPSK_NS1_7vsmem_tEENKUlT_SI_SJ_SK_E_clISD_PdSD_S10_EESH_SX_SI_SJ_SK_EUlSX_E0_NS1_11comp_targetILNS1_3genE2ELNS1_11target_archE906ELNS1_3gpuE6ELNS1_3repE0EEENS1_38merge_mergepath_config_static_selectorELNS0_4arch9wavefront6targetE1EEEvSJ_,@function
_ZN7rocprim17ROCPRIM_400000_NS6detail17trampoline_kernelINS0_14default_configENS1_38merge_sort_block_merge_config_selectorIddEEZZNS1_27merge_sort_block_merge_implIS3_N6thrust23THRUST_200600_302600_NS6detail15normal_iteratorINS8_10device_ptrIdEEEESD_jNS1_19radix_merge_compareILb0ELb0EdNS0_19identity_decomposerEEEEE10hipError_tT0_T1_T2_jT3_P12ihipStream_tbPNSt15iterator_traitsISI_E10value_typeEPNSO_ISJ_E10value_typeEPSK_NS1_7vsmem_tEENKUlT_SI_SJ_SK_E_clISD_PdSD_S10_EESH_SX_SI_SJ_SK_EUlSX_E0_NS1_11comp_targetILNS1_3genE2ELNS1_11target_archE906ELNS1_3gpuE6ELNS1_3repE0EEENS1_38merge_mergepath_config_static_selectorELNS0_4arch9wavefront6targetE1EEEvSJ_: ; @_ZN7rocprim17ROCPRIM_400000_NS6detail17trampoline_kernelINS0_14default_configENS1_38merge_sort_block_merge_config_selectorIddEEZZNS1_27merge_sort_block_merge_implIS3_N6thrust23THRUST_200600_302600_NS6detail15normal_iteratorINS8_10device_ptrIdEEEESD_jNS1_19radix_merge_compareILb0ELb0EdNS0_19identity_decomposerEEEEE10hipError_tT0_T1_T2_jT3_P12ihipStream_tbPNSt15iterator_traitsISI_E10value_typeEPNSO_ISJ_E10value_typeEPSK_NS1_7vsmem_tEENKUlT_SI_SJ_SK_E_clISD_PdSD_S10_EESH_SX_SI_SJ_SK_EUlSX_E0_NS1_11comp_targetILNS1_3genE2ELNS1_11target_archE906ELNS1_3gpuE6ELNS1_3repE0EEENS1_38merge_mergepath_config_static_selectorELNS0_4arch9wavefront6targetE1EEEvSJ_
; %bb.0:
	.section	.rodata,"a",@progbits
	.p2align	6, 0x0
	.amdhsa_kernel _ZN7rocprim17ROCPRIM_400000_NS6detail17trampoline_kernelINS0_14default_configENS1_38merge_sort_block_merge_config_selectorIddEEZZNS1_27merge_sort_block_merge_implIS3_N6thrust23THRUST_200600_302600_NS6detail15normal_iteratorINS8_10device_ptrIdEEEESD_jNS1_19radix_merge_compareILb0ELb0EdNS0_19identity_decomposerEEEEE10hipError_tT0_T1_T2_jT3_P12ihipStream_tbPNSt15iterator_traitsISI_E10value_typeEPNSO_ISJ_E10value_typeEPSK_NS1_7vsmem_tEENKUlT_SI_SJ_SK_E_clISD_PdSD_S10_EESH_SX_SI_SJ_SK_EUlSX_E0_NS1_11comp_targetILNS1_3genE2ELNS1_11target_archE906ELNS1_3gpuE6ELNS1_3repE0EEENS1_38merge_mergepath_config_static_selectorELNS0_4arch9wavefront6targetE1EEEvSJ_
		.amdhsa_group_segment_fixed_size 0
		.amdhsa_private_segment_fixed_size 0
		.amdhsa_kernarg_size 64
		.amdhsa_user_sgpr_count 2
		.amdhsa_user_sgpr_dispatch_ptr 0
		.amdhsa_user_sgpr_queue_ptr 0
		.amdhsa_user_sgpr_kernarg_segment_ptr 1
		.amdhsa_user_sgpr_dispatch_id 0
		.amdhsa_user_sgpr_kernarg_preload_length 0
		.amdhsa_user_sgpr_kernarg_preload_offset 0
		.amdhsa_user_sgpr_private_segment_size 0
		.amdhsa_uses_dynamic_stack 0
		.amdhsa_enable_private_segment 0
		.amdhsa_system_sgpr_workgroup_id_x 1
		.amdhsa_system_sgpr_workgroup_id_y 0
		.amdhsa_system_sgpr_workgroup_id_z 0
		.amdhsa_system_sgpr_workgroup_info 0
		.amdhsa_system_vgpr_workitem_id 0
		.amdhsa_next_free_vgpr 1
		.amdhsa_next_free_sgpr 0
		.amdhsa_accum_offset 4
		.amdhsa_reserve_vcc 0
		.amdhsa_float_round_mode_32 0
		.amdhsa_float_round_mode_16_64 0
		.amdhsa_float_denorm_mode_32 3
		.amdhsa_float_denorm_mode_16_64 3
		.amdhsa_dx10_clamp 1
		.amdhsa_ieee_mode 1
		.amdhsa_fp16_overflow 0
		.amdhsa_tg_split 0
		.amdhsa_exception_fp_ieee_invalid_op 0
		.amdhsa_exception_fp_denorm_src 0
		.amdhsa_exception_fp_ieee_div_zero 0
		.amdhsa_exception_fp_ieee_overflow 0
		.amdhsa_exception_fp_ieee_underflow 0
		.amdhsa_exception_fp_ieee_inexact 0
		.amdhsa_exception_int_div_zero 0
	.end_amdhsa_kernel
	.section	.text._ZN7rocprim17ROCPRIM_400000_NS6detail17trampoline_kernelINS0_14default_configENS1_38merge_sort_block_merge_config_selectorIddEEZZNS1_27merge_sort_block_merge_implIS3_N6thrust23THRUST_200600_302600_NS6detail15normal_iteratorINS8_10device_ptrIdEEEESD_jNS1_19radix_merge_compareILb0ELb0EdNS0_19identity_decomposerEEEEE10hipError_tT0_T1_T2_jT3_P12ihipStream_tbPNSt15iterator_traitsISI_E10value_typeEPNSO_ISJ_E10value_typeEPSK_NS1_7vsmem_tEENKUlT_SI_SJ_SK_E_clISD_PdSD_S10_EESH_SX_SI_SJ_SK_EUlSX_E0_NS1_11comp_targetILNS1_3genE2ELNS1_11target_archE906ELNS1_3gpuE6ELNS1_3repE0EEENS1_38merge_mergepath_config_static_selectorELNS0_4arch9wavefront6targetE1EEEvSJ_,"axG",@progbits,_ZN7rocprim17ROCPRIM_400000_NS6detail17trampoline_kernelINS0_14default_configENS1_38merge_sort_block_merge_config_selectorIddEEZZNS1_27merge_sort_block_merge_implIS3_N6thrust23THRUST_200600_302600_NS6detail15normal_iteratorINS8_10device_ptrIdEEEESD_jNS1_19radix_merge_compareILb0ELb0EdNS0_19identity_decomposerEEEEE10hipError_tT0_T1_T2_jT3_P12ihipStream_tbPNSt15iterator_traitsISI_E10value_typeEPNSO_ISJ_E10value_typeEPSK_NS1_7vsmem_tEENKUlT_SI_SJ_SK_E_clISD_PdSD_S10_EESH_SX_SI_SJ_SK_EUlSX_E0_NS1_11comp_targetILNS1_3genE2ELNS1_11target_archE906ELNS1_3gpuE6ELNS1_3repE0EEENS1_38merge_mergepath_config_static_selectorELNS0_4arch9wavefront6targetE1EEEvSJ_,comdat
.Lfunc_end62:
	.size	_ZN7rocprim17ROCPRIM_400000_NS6detail17trampoline_kernelINS0_14default_configENS1_38merge_sort_block_merge_config_selectorIddEEZZNS1_27merge_sort_block_merge_implIS3_N6thrust23THRUST_200600_302600_NS6detail15normal_iteratorINS8_10device_ptrIdEEEESD_jNS1_19radix_merge_compareILb0ELb0EdNS0_19identity_decomposerEEEEE10hipError_tT0_T1_T2_jT3_P12ihipStream_tbPNSt15iterator_traitsISI_E10value_typeEPNSO_ISJ_E10value_typeEPSK_NS1_7vsmem_tEENKUlT_SI_SJ_SK_E_clISD_PdSD_S10_EESH_SX_SI_SJ_SK_EUlSX_E0_NS1_11comp_targetILNS1_3genE2ELNS1_11target_archE906ELNS1_3gpuE6ELNS1_3repE0EEENS1_38merge_mergepath_config_static_selectorELNS0_4arch9wavefront6targetE1EEEvSJ_, .Lfunc_end62-_ZN7rocprim17ROCPRIM_400000_NS6detail17trampoline_kernelINS0_14default_configENS1_38merge_sort_block_merge_config_selectorIddEEZZNS1_27merge_sort_block_merge_implIS3_N6thrust23THRUST_200600_302600_NS6detail15normal_iteratorINS8_10device_ptrIdEEEESD_jNS1_19radix_merge_compareILb0ELb0EdNS0_19identity_decomposerEEEEE10hipError_tT0_T1_T2_jT3_P12ihipStream_tbPNSt15iterator_traitsISI_E10value_typeEPNSO_ISJ_E10value_typeEPSK_NS1_7vsmem_tEENKUlT_SI_SJ_SK_E_clISD_PdSD_S10_EESH_SX_SI_SJ_SK_EUlSX_E0_NS1_11comp_targetILNS1_3genE2ELNS1_11target_archE906ELNS1_3gpuE6ELNS1_3repE0EEENS1_38merge_mergepath_config_static_selectorELNS0_4arch9wavefront6targetE1EEEvSJ_
                                        ; -- End function
	.set _ZN7rocprim17ROCPRIM_400000_NS6detail17trampoline_kernelINS0_14default_configENS1_38merge_sort_block_merge_config_selectorIddEEZZNS1_27merge_sort_block_merge_implIS3_N6thrust23THRUST_200600_302600_NS6detail15normal_iteratorINS8_10device_ptrIdEEEESD_jNS1_19radix_merge_compareILb0ELb0EdNS0_19identity_decomposerEEEEE10hipError_tT0_T1_T2_jT3_P12ihipStream_tbPNSt15iterator_traitsISI_E10value_typeEPNSO_ISJ_E10value_typeEPSK_NS1_7vsmem_tEENKUlT_SI_SJ_SK_E_clISD_PdSD_S10_EESH_SX_SI_SJ_SK_EUlSX_E0_NS1_11comp_targetILNS1_3genE2ELNS1_11target_archE906ELNS1_3gpuE6ELNS1_3repE0EEENS1_38merge_mergepath_config_static_selectorELNS0_4arch9wavefront6targetE1EEEvSJ_.num_vgpr, 0
	.set _ZN7rocprim17ROCPRIM_400000_NS6detail17trampoline_kernelINS0_14default_configENS1_38merge_sort_block_merge_config_selectorIddEEZZNS1_27merge_sort_block_merge_implIS3_N6thrust23THRUST_200600_302600_NS6detail15normal_iteratorINS8_10device_ptrIdEEEESD_jNS1_19radix_merge_compareILb0ELb0EdNS0_19identity_decomposerEEEEE10hipError_tT0_T1_T2_jT3_P12ihipStream_tbPNSt15iterator_traitsISI_E10value_typeEPNSO_ISJ_E10value_typeEPSK_NS1_7vsmem_tEENKUlT_SI_SJ_SK_E_clISD_PdSD_S10_EESH_SX_SI_SJ_SK_EUlSX_E0_NS1_11comp_targetILNS1_3genE2ELNS1_11target_archE906ELNS1_3gpuE6ELNS1_3repE0EEENS1_38merge_mergepath_config_static_selectorELNS0_4arch9wavefront6targetE1EEEvSJ_.num_agpr, 0
	.set _ZN7rocprim17ROCPRIM_400000_NS6detail17trampoline_kernelINS0_14default_configENS1_38merge_sort_block_merge_config_selectorIddEEZZNS1_27merge_sort_block_merge_implIS3_N6thrust23THRUST_200600_302600_NS6detail15normal_iteratorINS8_10device_ptrIdEEEESD_jNS1_19radix_merge_compareILb0ELb0EdNS0_19identity_decomposerEEEEE10hipError_tT0_T1_T2_jT3_P12ihipStream_tbPNSt15iterator_traitsISI_E10value_typeEPNSO_ISJ_E10value_typeEPSK_NS1_7vsmem_tEENKUlT_SI_SJ_SK_E_clISD_PdSD_S10_EESH_SX_SI_SJ_SK_EUlSX_E0_NS1_11comp_targetILNS1_3genE2ELNS1_11target_archE906ELNS1_3gpuE6ELNS1_3repE0EEENS1_38merge_mergepath_config_static_selectorELNS0_4arch9wavefront6targetE1EEEvSJ_.numbered_sgpr, 0
	.set _ZN7rocprim17ROCPRIM_400000_NS6detail17trampoline_kernelINS0_14default_configENS1_38merge_sort_block_merge_config_selectorIddEEZZNS1_27merge_sort_block_merge_implIS3_N6thrust23THRUST_200600_302600_NS6detail15normal_iteratorINS8_10device_ptrIdEEEESD_jNS1_19radix_merge_compareILb0ELb0EdNS0_19identity_decomposerEEEEE10hipError_tT0_T1_T2_jT3_P12ihipStream_tbPNSt15iterator_traitsISI_E10value_typeEPNSO_ISJ_E10value_typeEPSK_NS1_7vsmem_tEENKUlT_SI_SJ_SK_E_clISD_PdSD_S10_EESH_SX_SI_SJ_SK_EUlSX_E0_NS1_11comp_targetILNS1_3genE2ELNS1_11target_archE906ELNS1_3gpuE6ELNS1_3repE0EEENS1_38merge_mergepath_config_static_selectorELNS0_4arch9wavefront6targetE1EEEvSJ_.num_named_barrier, 0
	.set _ZN7rocprim17ROCPRIM_400000_NS6detail17trampoline_kernelINS0_14default_configENS1_38merge_sort_block_merge_config_selectorIddEEZZNS1_27merge_sort_block_merge_implIS3_N6thrust23THRUST_200600_302600_NS6detail15normal_iteratorINS8_10device_ptrIdEEEESD_jNS1_19radix_merge_compareILb0ELb0EdNS0_19identity_decomposerEEEEE10hipError_tT0_T1_T2_jT3_P12ihipStream_tbPNSt15iterator_traitsISI_E10value_typeEPNSO_ISJ_E10value_typeEPSK_NS1_7vsmem_tEENKUlT_SI_SJ_SK_E_clISD_PdSD_S10_EESH_SX_SI_SJ_SK_EUlSX_E0_NS1_11comp_targetILNS1_3genE2ELNS1_11target_archE906ELNS1_3gpuE6ELNS1_3repE0EEENS1_38merge_mergepath_config_static_selectorELNS0_4arch9wavefront6targetE1EEEvSJ_.private_seg_size, 0
	.set _ZN7rocprim17ROCPRIM_400000_NS6detail17trampoline_kernelINS0_14default_configENS1_38merge_sort_block_merge_config_selectorIddEEZZNS1_27merge_sort_block_merge_implIS3_N6thrust23THRUST_200600_302600_NS6detail15normal_iteratorINS8_10device_ptrIdEEEESD_jNS1_19radix_merge_compareILb0ELb0EdNS0_19identity_decomposerEEEEE10hipError_tT0_T1_T2_jT3_P12ihipStream_tbPNSt15iterator_traitsISI_E10value_typeEPNSO_ISJ_E10value_typeEPSK_NS1_7vsmem_tEENKUlT_SI_SJ_SK_E_clISD_PdSD_S10_EESH_SX_SI_SJ_SK_EUlSX_E0_NS1_11comp_targetILNS1_3genE2ELNS1_11target_archE906ELNS1_3gpuE6ELNS1_3repE0EEENS1_38merge_mergepath_config_static_selectorELNS0_4arch9wavefront6targetE1EEEvSJ_.uses_vcc, 0
	.set _ZN7rocprim17ROCPRIM_400000_NS6detail17trampoline_kernelINS0_14default_configENS1_38merge_sort_block_merge_config_selectorIddEEZZNS1_27merge_sort_block_merge_implIS3_N6thrust23THRUST_200600_302600_NS6detail15normal_iteratorINS8_10device_ptrIdEEEESD_jNS1_19radix_merge_compareILb0ELb0EdNS0_19identity_decomposerEEEEE10hipError_tT0_T1_T2_jT3_P12ihipStream_tbPNSt15iterator_traitsISI_E10value_typeEPNSO_ISJ_E10value_typeEPSK_NS1_7vsmem_tEENKUlT_SI_SJ_SK_E_clISD_PdSD_S10_EESH_SX_SI_SJ_SK_EUlSX_E0_NS1_11comp_targetILNS1_3genE2ELNS1_11target_archE906ELNS1_3gpuE6ELNS1_3repE0EEENS1_38merge_mergepath_config_static_selectorELNS0_4arch9wavefront6targetE1EEEvSJ_.uses_flat_scratch, 0
	.set _ZN7rocprim17ROCPRIM_400000_NS6detail17trampoline_kernelINS0_14default_configENS1_38merge_sort_block_merge_config_selectorIddEEZZNS1_27merge_sort_block_merge_implIS3_N6thrust23THRUST_200600_302600_NS6detail15normal_iteratorINS8_10device_ptrIdEEEESD_jNS1_19radix_merge_compareILb0ELb0EdNS0_19identity_decomposerEEEEE10hipError_tT0_T1_T2_jT3_P12ihipStream_tbPNSt15iterator_traitsISI_E10value_typeEPNSO_ISJ_E10value_typeEPSK_NS1_7vsmem_tEENKUlT_SI_SJ_SK_E_clISD_PdSD_S10_EESH_SX_SI_SJ_SK_EUlSX_E0_NS1_11comp_targetILNS1_3genE2ELNS1_11target_archE906ELNS1_3gpuE6ELNS1_3repE0EEENS1_38merge_mergepath_config_static_selectorELNS0_4arch9wavefront6targetE1EEEvSJ_.has_dyn_sized_stack, 0
	.set _ZN7rocprim17ROCPRIM_400000_NS6detail17trampoline_kernelINS0_14default_configENS1_38merge_sort_block_merge_config_selectorIddEEZZNS1_27merge_sort_block_merge_implIS3_N6thrust23THRUST_200600_302600_NS6detail15normal_iteratorINS8_10device_ptrIdEEEESD_jNS1_19radix_merge_compareILb0ELb0EdNS0_19identity_decomposerEEEEE10hipError_tT0_T1_T2_jT3_P12ihipStream_tbPNSt15iterator_traitsISI_E10value_typeEPNSO_ISJ_E10value_typeEPSK_NS1_7vsmem_tEENKUlT_SI_SJ_SK_E_clISD_PdSD_S10_EESH_SX_SI_SJ_SK_EUlSX_E0_NS1_11comp_targetILNS1_3genE2ELNS1_11target_archE906ELNS1_3gpuE6ELNS1_3repE0EEENS1_38merge_mergepath_config_static_selectorELNS0_4arch9wavefront6targetE1EEEvSJ_.has_recursion, 0
	.set _ZN7rocprim17ROCPRIM_400000_NS6detail17trampoline_kernelINS0_14default_configENS1_38merge_sort_block_merge_config_selectorIddEEZZNS1_27merge_sort_block_merge_implIS3_N6thrust23THRUST_200600_302600_NS6detail15normal_iteratorINS8_10device_ptrIdEEEESD_jNS1_19radix_merge_compareILb0ELb0EdNS0_19identity_decomposerEEEEE10hipError_tT0_T1_T2_jT3_P12ihipStream_tbPNSt15iterator_traitsISI_E10value_typeEPNSO_ISJ_E10value_typeEPSK_NS1_7vsmem_tEENKUlT_SI_SJ_SK_E_clISD_PdSD_S10_EESH_SX_SI_SJ_SK_EUlSX_E0_NS1_11comp_targetILNS1_3genE2ELNS1_11target_archE906ELNS1_3gpuE6ELNS1_3repE0EEENS1_38merge_mergepath_config_static_selectorELNS0_4arch9wavefront6targetE1EEEvSJ_.has_indirect_call, 0
	.section	.AMDGPU.csdata,"",@progbits
; Kernel info:
; codeLenInByte = 0
; TotalNumSgprs: 6
; NumVgprs: 0
; NumAgprs: 0
; TotalNumVgprs: 0
; ScratchSize: 0
; MemoryBound: 0
; FloatMode: 240
; IeeeMode: 1
; LDSByteSize: 0 bytes/workgroup (compile time only)
; SGPRBlocks: 0
; VGPRBlocks: 0
; NumSGPRsForWavesPerEU: 6
; NumVGPRsForWavesPerEU: 1
; AccumOffset: 4
; Occupancy: 8
; WaveLimiterHint : 0
; COMPUTE_PGM_RSRC2:SCRATCH_EN: 0
; COMPUTE_PGM_RSRC2:USER_SGPR: 2
; COMPUTE_PGM_RSRC2:TRAP_HANDLER: 0
; COMPUTE_PGM_RSRC2:TGID_X_EN: 1
; COMPUTE_PGM_RSRC2:TGID_Y_EN: 0
; COMPUTE_PGM_RSRC2:TGID_Z_EN: 0
; COMPUTE_PGM_RSRC2:TIDIG_COMP_CNT: 0
; COMPUTE_PGM_RSRC3_GFX90A:ACCUM_OFFSET: 0
; COMPUTE_PGM_RSRC3_GFX90A:TG_SPLIT: 0
	.section	.text._ZN7rocprim17ROCPRIM_400000_NS6detail17trampoline_kernelINS0_14default_configENS1_38merge_sort_block_merge_config_selectorIddEEZZNS1_27merge_sort_block_merge_implIS3_N6thrust23THRUST_200600_302600_NS6detail15normal_iteratorINS8_10device_ptrIdEEEESD_jNS1_19radix_merge_compareILb0ELb0EdNS0_19identity_decomposerEEEEE10hipError_tT0_T1_T2_jT3_P12ihipStream_tbPNSt15iterator_traitsISI_E10value_typeEPNSO_ISJ_E10value_typeEPSK_NS1_7vsmem_tEENKUlT_SI_SJ_SK_E_clISD_PdSD_S10_EESH_SX_SI_SJ_SK_EUlSX_E0_NS1_11comp_targetILNS1_3genE9ELNS1_11target_archE1100ELNS1_3gpuE3ELNS1_3repE0EEENS1_38merge_mergepath_config_static_selectorELNS0_4arch9wavefront6targetE1EEEvSJ_,"axG",@progbits,_ZN7rocprim17ROCPRIM_400000_NS6detail17trampoline_kernelINS0_14default_configENS1_38merge_sort_block_merge_config_selectorIddEEZZNS1_27merge_sort_block_merge_implIS3_N6thrust23THRUST_200600_302600_NS6detail15normal_iteratorINS8_10device_ptrIdEEEESD_jNS1_19radix_merge_compareILb0ELb0EdNS0_19identity_decomposerEEEEE10hipError_tT0_T1_T2_jT3_P12ihipStream_tbPNSt15iterator_traitsISI_E10value_typeEPNSO_ISJ_E10value_typeEPSK_NS1_7vsmem_tEENKUlT_SI_SJ_SK_E_clISD_PdSD_S10_EESH_SX_SI_SJ_SK_EUlSX_E0_NS1_11comp_targetILNS1_3genE9ELNS1_11target_archE1100ELNS1_3gpuE3ELNS1_3repE0EEENS1_38merge_mergepath_config_static_selectorELNS0_4arch9wavefront6targetE1EEEvSJ_,comdat
	.protected	_ZN7rocprim17ROCPRIM_400000_NS6detail17trampoline_kernelINS0_14default_configENS1_38merge_sort_block_merge_config_selectorIddEEZZNS1_27merge_sort_block_merge_implIS3_N6thrust23THRUST_200600_302600_NS6detail15normal_iteratorINS8_10device_ptrIdEEEESD_jNS1_19radix_merge_compareILb0ELb0EdNS0_19identity_decomposerEEEEE10hipError_tT0_T1_T2_jT3_P12ihipStream_tbPNSt15iterator_traitsISI_E10value_typeEPNSO_ISJ_E10value_typeEPSK_NS1_7vsmem_tEENKUlT_SI_SJ_SK_E_clISD_PdSD_S10_EESH_SX_SI_SJ_SK_EUlSX_E0_NS1_11comp_targetILNS1_3genE9ELNS1_11target_archE1100ELNS1_3gpuE3ELNS1_3repE0EEENS1_38merge_mergepath_config_static_selectorELNS0_4arch9wavefront6targetE1EEEvSJ_ ; -- Begin function _ZN7rocprim17ROCPRIM_400000_NS6detail17trampoline_kernelINS0_14default_configENS1_38merge_sort_block_merge_config_selectorIddEEZZNS1_27merge_sort_block_merge_implIS3_N6thrust23THRUST_200600_302600_NS6detail15normal_iteratorINS8_10device_ptrIdEEEESD_jNS1_19radix_merge_compareILb0ELb0EdNS0_19identity_decomposerEEEEE10hipError_tT0_T1_T2_jT3_P12ihipStream_tbPNSt15iterator_traitsISI_E10value_typeEPNSO_ISJ_E10value_typeEPSK_NS1_7vsmem_tEENKUlT_SI_SJ_SK_E_clISD_PdSD_S10_EESH_SX_SI_SJ_SK_EUlSX_E0_NS1_11comp_targetILNS1_3genE9ELNS1_11target_archE1100ELNS1_3gpuE3ELNS1_3repE0EEENS1_38merge_mergepath_config_static_selectorELNS0_4arch9wavefront6targetE1EEEvSJ_
	.globl	_ZN7rocprim17ROCPRIM_400000_NS6detail17trampoline_kernelINS0_14default_configENS1_38merge_sort_block_merge_config_selectorIddEEZZNS1_27merge_sort_block_merge_implIS3_N6thrust23THRUST_200600_302600_NS6detail15normal_iteratorINS8_10device_ptrIdEEEESD_jNS1_19radix_merge_compareILb0ELb0EdNS0_19identity_decomposerEEEEE10hipError_tT0_T1_T2_jT3_P12ihipStream_tbPNSt15iterator_traitsISI_E10value_typeEPNSO_ISJ_E10value_typeEPSK_NS1_7vsmem_tEENKUlT_SI_SJ_SK_E_clISD_PdSD_S10_EESH_SX_SI_SJ_SK_EUlSX_E0_NS1_11comp_targetILNS1_3genE9ELNS1_11target_archE1100ELNS1_3gpuE3ELNS1_3repE0EEENS1_38merge_mergepath_config_static_selectorELNS0_4arch9wavefront6targetE1EEEvSJ_
	.p2align	8
	.type	_ZN7rocprim17ROCPRIM_400000_NS6detail17trampoline_kernelINS0_14default_configENS1_38merge_sort_block_merge_config_selectorIddEEZZNS1_27merge_sort_block_merge_implIS3_N6thrust23THRUST_200600_302600_NS6detail15normal_iteratorINS8_10device_ptrIdEEEESD_jNS1_19radix_merge_compareILb0ELb0EdNS0_19identity_decomposerEEEEE10hipError_tT0_T1_T2_jT3_P12ihipStream_tbPNSt15iterator_traitsISI_E10value_typeEPNSO_ISJ_E10value_typeEPSK_NS1_7vsmem_tEENKUlT_SI_SJ_SK_E_clISD_PdSD_S10_EESH_SX_SI_SJ_SK_EUlSX_E0_NS1_11comp_targetILNS1_3genE9ELNS1_11target_archE1100ELNS1_3gpuE3ELNS1_3repE0EEENS1_38merge_mergepath_config_static_selectorELNS0_4arch9wavefront6targetE1EEEvSJ_,@function
_ZN7rocprim17ROCPRIM_400000_NS6detail17trampoline_kernelINS0_14default_configENS1_38merge_sort_block_merge_config_selectorIddEEZZNS1_27merge_sort_block_merge_implIS3_N6thrust23THRUST_200600_302600_NS6detail15normal_iteratorINS8_10device_ptrIdEEEESD_jNS1_19radix_merge_compareILb0ELb0EdNS0_19identity_decomposerEEEEE10hipError_tT0_T1_T2_jT3_P12ihipStream_tbPNSt15iterator_traitsISI_E10value_typeEPNSO_ISJ_E10value_typeEPSK_NS1_7vsmem_tEENKUlT_SI_SJ_SK_E_clISD_PdSD_S10_EESH_SX_SI_SJ_SK_EUlSX_E0_NS1_11comp_targetILNS1_3genE9ELNS1_11target_archE1100ELNS1_3gpuE3ELNS1_3repE0EEENS1_38merge_mergepath_config_static_selectorELNS0_4arch9wavefront6targetE1EEEvSJ_: ; @_ZN7rocprim17ROCPRIM_400000_NS6detail17trampoline_kernelINS0_14default_configENS1_38merge_sort_block_merge_config_selectorIddEEZZNS1_27merge_sort_block_merge_implIS3_N6thrust23THRUST_200600_302600_NS6detail15normal_iteratorINS8_10device_ptrIdEEEESD_jNS1_19radix_merge_compareILb0ELb0EdNS0_19identity_decomposerEEEEE10hipError_tT0_T1_T2_jT3_P12ihipStream_tbPNSt15iterator_traitsISI_E10value_typeEPNSO_ISJ_E10value_typeEPSK_NS1_7vsmem_tEENKUlT_SI_SJ_SK_E_clISD_PdSD_S10_EESH_SX_SI_SJ_SK_EUlSX_E0_NS1_11comp_targetILNS1_3genE9ELNS1_11target_archE1100ELNS1_3gpuE3ELNS1_3repE0EEENS1_38merge_mergepath_config_static_selectorELNS0_4arch9wavefront6targetE1EEEvSJ_
; %bb.0:
	.section	.rodata,"a",@progbits
	.p2align	6, 0x0
	.amdhsa_kernel _ZN7rocprim17ROCPRIM_400000_NS6detail17trampoline_kernelINS0_14default_configENS1_38merge_sort_block_merge_config_selectorIddEEZZNS1_27merge_sort_block_merge_implIS3_N6thrust23THRUST_200600_302600_NS6detail15normal_iteratorINS8_10device_ptrIdEEEESD_jNS1_19radix_merge_compareILb0ELb0EdNS0_19identity_decomposerEEEEE10hipError_tT0_T1_T2_jT3_P12ihipStream_tbPNSt15iterator_traitsISI_E10value_typeEPNSO_ISJ_E10value_typeEPSK_NS1_7vsmem_tEENKUlT_SI_SJ_SK_E_clISD_PdSD_S10_EESH_SX_SI_SJ_SK_EUlSX_E0_NS1_11comp_targetILNS1_3genE9ELNS1_11target_archE1100ELNS1_3gpuE3ELNS1_3repE0EEENS1_38merge_mergepath_config_static_selectorELNS0_4arch9wavefront6targetE1EEEvSJ_
		.amdhsa_group_segment_fixed_size 0
		.amdhsa_private_segment_fixed_size 0
		.amdhsa_kernarg_size 64
		.amdhsa_user_sgpr_count 2
		.amdhsa_user_sgpr_dispatch_ptr 0
		.amdhsa_user_sgpr_queue_ptr 0
		.amdhsa_user_sgpr_kernarg_segment_ptr 1
		.amdhsa_user_sgpr_dispatch_id 0
		.amdhsa_user_sgpr_kernarg_preload_length 0
		.amdhsa_user_sgpr_kernarg_preload_offset 0
		.amdhsa_user_sgpr_private_segment_size 0
		.amdhsa_uses_dynamic_stack 0
		.amdhsa_enable_private_segment 0
		.amdhsa_system_sgpr_workgroup_id_x 1
		.amdhsa_system_sgpr_workgroup_id_y 0
		.amdhsa_system_sgpr_workgroup_id_z 0
		.amdhsa_system_sgpr_workgroup_info 0
		.amdhsa_system_vgpr_workitem_id 0
		.amdhsa_next_free_vgpr 1
		.amdhsa_next_free_sgpr 0
		.amdhsa_accum_offset 4
		.amdhsa_reserve_vcc 0
		.amdhsa_float_round_mode_32 0
		.amdhsa_float_round_mode_16_64 0
		.amdhsa_float_denorm_mode_32 3
		.amdhsa_float_denorm_mode_16_64 3
		.amdhsa_dx10_clamp 1
		.amdhsa_ieee_mode 1
		.amdhsa_fp16_overflow 0
		.amdhsa_tg_split 0
		.amdhsa_exception_fp_ieee_invalid_op 0
		.amdhsa_exception_fp_denorm_src 0
		.amdhsa_exception_fp_ieee_div_zero 0
		.amdhsa_exception_fp_ieee_overflow 0
		.amdhsa_exception_fp_ieee_underflow 0
		.amdhsa_exception_fp_ieee_inexact 0
		.amdhsa_exception_int_div_zero 0
	.end_amdhsa_kernel
	.section	.text._ZN7rocprim17ROCPRIM_400000_NS6detail17trampoline_kernelINS0_14default_configENS1_38merge_sort_block_merge_config_selectorIddEEZZNS1_27merge_sort_block_merge_implIS3_N6thrust23THRUST_200600_302600_NS6detail15normal_iteratorINS8_10device_ptrIdEEEESD_jNS1_19radix_merge_compareILb0ELb0EdNS0_19identity_decomposerEEEEE10hipError_tT0_T1_T2_jT3_P12ihipStream_tbPNSt15iterator_traitsISI_E10value_typeEPNSO_ISJ_E10value_typeEPSK_NS1_7vsmem_tEENKUlT_SI_SJ_SK_E_clISD_PdSD_S10_EESH_SX_SI_SJ_SK_EUlSX_E0_NS1_11comp_targetILNS1_3genE9ELNS1_11target_archE1100ELNS1_3gpuE3ELNS1_3repE0EEENS1_38merge_mergepath_config_static_selectorELNS0_4arch9wavefront6targetE1EEEvSJ_,"axG",@progbits,_ZN7rocprim17ROCPRIM_400000_NS6detail17trampoline_kernelINS0_14default_configENS1_38merge_sort_block_merge_config_selectorIddEEZZNS1_27merge_sort_block_merge_implIS3_N6thrust23THRUST_200600_302600_NS6detail15normal_iteratorINS8_10device_ptrIdEEEESD_jNS1_19radix_merge_compareILb0ELb0EdNS0_19identity_decomposerEEEEE10hipError_tT0_T1_T2_jT3_P12ihipStream_tbPNSt15iterator_traitsISI_E10value_typeEPNSO_ISJ_E10value_typeEPSK_NS1_7vsmem_tEENKUlT_SI_SJ_SK_E_clISD_PdSD_S10_EESH_SX_SI_SJ_SK_EUlSX_E0_NS1_11comp_targetILNS1_3genE9ELNS1_11target_archE1100ELNS1_3gpuE3ELNS1_3repE0EEENS1_38merge_mergepath_config_static_selectorELNS0_4arch9wavefront6targetE1EEEvSJ_,comdat
.Lfunc_end63:
	.size	_ZN7rocprim17ROCPRIM_400000_NS6detail17trampoline_kernelINS0_14default_configENS1_38merge_sort_block_merge_config_selectorIddEEZZNS1_27merge_sort_block_merge_implIS3_N6thrust23THRUST_200600_302600_NS6detail15normal_iteratorINS8_10device_ptrIdEEEESD_jNS1_19radix_merge_compareILb0ELb0EdNS0_19identity_decomposerEEEEE10hipError_tT0_T1_T2_jT3_P12ihipStream_tbPNSt15iterator_traitsISI_E10value_typeEPNSO_ISJ_E10value_typeEPSK_NS1_7vsmem_tEENKUlT_SI_SJ_SK_E_clISD_PdSD_S10_EESH_SX_SI_SJ_SK_EUlSX_E0_NS1_11comp_targetILNS1_3genE9ELNS1_11target_archE1100ELNS1_3gpuE3ELNS1_3repE0EEENS1_38merge_mergepath_config_static_selectorELNS0_4arch9wavefront6targetE1EEEvSJ_, .Lfunc_end63-_ZN7rocprim17ROCPRIM_400000_NS6detail17trampoline_kernelINS0_14default_configENS1_38merge_sort_block_merge_config_selectorIddEEZZNS1_27merge_sort_block_merge_implIS3_N6thrust23THRUST_200600_302600_NS6detail15normal_iteratorINS8_10device_ptrIdEEEESD_jNS1_19radix_merge_compareILb0ELb0EdNS0_19identity_decomposerEEEEE10hipError_tT0_T1_T2_jT3_P12ihipStream_tbPNSt15iterator_traitsISI_E10value_typeEPNSO_ISJ_E10value_typeEPSK_NS1_7vsmem_tEENKUlT_SI_SJ_SK_E_clISD_PdSD_S10_EESH_SX_SI_SJ_SK_EUlSX_E0_NS1_11comp_targetILNS1_3genE9ELNS1_11target_archE1100ELNS1_3gpuE3ELNS1_3repE0EEENS1_38merge_mergepath_config_static_selectorELNS0_4arch9wavefront6targetE1EEEvSJ_
                                        ; -- End function
	.set _ZN7rocprim17ROCPRIM_400000_NS6detail17trampoline_kernelINS0_14default_configENS1_38merge_sort_block_merge_config_selectorIddEEZZNS1_27merge_sort_block_merge_implIS3_N6thrust23THRUST_200600_302600_NS6detail15normal_iteratorINS8_10device_ptrIdEEEESD_jNS1_19radix_merge_compareILb0ELb0EdNS0_19identity_decomposerEEEEE10hipError_tT0_T1_T2_jT3_P12ihipStream_tbPNSt15iterator_traitsISI_E10value_typeEPNSO_ISJ_E10value_typeEPSK_NS1_7vsmem_tEENKUlT_SI_SJ_SK_E_clISD_PdSD_S10_EESH_SX_SI_SJ_SK_EUlSX_E0_NS1_11comp_targetILNS1_3genE9ELNS1_11target_archE1100ELNS1_3gpuE3ELNS1_3repE0EEENS1_38merge_mergepath_config_static_selectorELNS0_4arch9wavefront6targetE1EEEvSJ_.num_vgpr, 0
	.set _ZN7rocprim17ROCPRIM_400000_NS6detail17trampoline_kernelINS0_14default_configENS1_38merge_sort_block_merge_config_selectorIddEEZZNS1_27merge_sort_block_merge_implIS3_N6thrust23THRUST_200600_302600_NS6detail15normal_iteratorINS8_10device_ptrIdEEEESD_jNS1_19radix_merge_compareILb0ELb0EdNS0_19identity_decomposerEEEEE10hipError_tT0_T1_T2_jT3_P12ihipStream_tbPNSt15iterator_traitsISI_E10value_typeEPNSO_ISJ_E10value_typeEPSK_NS1_7vsmem_tEENKUlT_SI_SJ_SK_E_clISD_PdSD_S10_EESH_SX_SI_SJ_SK_EUlSX_E0_NS1_11comp_targetILNS1_3genE9ELNS1_11target_archE1100ELNS1_3gpuE3ELNS1_3repE0EEENS1_38merge_mergepath_config_static_selectorELNS0_4arch9wavefront6targetE1EEEvSJ_.num_agpr, 0
	.set _ZN7rocprim17ROCPRIM_400000_NS6detail17trampoline_kernelINS0_14default_configENS1_38merge_sort_block_merge_config_selectorIddEEZZNS1_27merge_sort_block_merge_implIS3_N6thrust23THRUST_200600_302600_NS6detail15normal_iteratorINS8_10device_ptrIdEEEESD_jNS1_19radix_merge_compareILb0ELb0EdNS0_19identity_decomposerEEEEE10hipError_tT0_T1_T2_jT3_P12ihipStream_tbPNSt15iterator_traitsISI_E10value_typeEPNSO_ISJ_E10value_typeEPSK_NS1_7vsmem_tEENKUlT_SI_SJ_SK_E_clISD_PdSD_S10_EESH_SX_SI_SJ_SK_EUlSX_E0_NS1_11comp_targetILNS1_3genE9ELNS1_11target_archE1100ELNS1_3gpuE3ELNS1_3repE0EEENS1_38merge_mergepath_config_static_selectorELNS0_4arch9wavefront6targetE1EEEvSJ_.numbered_sgpr, 0
	.set _ZN7rocprim17ROCPRIM_400000_NS6detail17trampoline_kernelINS0_14default_configENS1_38merge_sort_block_merge_config_selectorIddEEZZNS1_27merge_sort_block_merge_implIS3_N6thrust23THRUST_200600_302600_NS6detail15normal_iteratorINS8_10device_ptrIdEEEESD_jNS1_19radix_merge_compareILb0ELb0EdNS0_19identity_decomposerEEEEE10hipError_tT0_T1_T2_jT3_P12ihipStream_tbPNSt15iterator_traitsISI_E10value_typeEPNSO_ISJ_E10value_typeEPSK_NS1_7vsmem_tEENKUlT_SI_SJ_SK_E_clISD_PdSD_S10_EESH_SX_SI_SJ_SK_EUlSX_E0_NS1_11comp_targetILNS1_3genE9ELNS1_11target_archE1100ELNS1_3gpuE3ELNS1_3repE0EEENS1_38merge_mergepath_config_static_selectorELNS0_4arch9wavefront6targetE1EEEvSJ_.num_named_barrier, 0
	.set _ZN7rocprim17ROCPRIM_400000_NS6detail17trampoline_kernelINS0_14default_configENS1_38merge_sort_block_merge_config_selectorIddEEZZNS1_27merge_sort_block_merge_implIS3_N6thrust23THRUST_200600_302600_NS6detail15normal_iteratorINS8_10device_ptrIdEEEESD_jNS1_19radix_merge_compareILb0ELb0EdNS0_19identity_decomposerEEEEE10hipError_tT0_T1_T2_jT3_P12ihipStream_tbPNSt15iterator_traitsISI_E10value_typeEPNSO_ISJ_E10value_typeEPSK_NS1_7vsmem_tEENKUlT_SI_SJ_SK_E_clISD_PdSD_S10_EESH_SX_SI_SJ_SK_EUlSX_E0_NS1_11comp_targetILNS1_3genE9ELNS1_11target_archE1100ELNS1_3gpuE3ELNS1_3repE0EEENS1_38merge_mergepath_config_static_selectorELNS0_4arch9wavefront6targetE1EEEvSJ_.private_seg_size, 0
	.set _ZN7rocprim17ROCPRIM_400000_NS6detail17trampoline_kernelINS0_14default_configENS1_38merge_sort_block_merge_config_selectorIddEEZZNS1_27merge_sort_block_merge_implIS3_N6thrust23THRUST_200600_302600_NS6detail15normal_iteratorINS8_10device_ptrIdEEEESD_jNS1_19radix_merge_compareILb0ELb0EdNS0_19identity_decomposerEEEEE10hipError_tT0_T1_T2_jT3_P12ihipStream_tbPNSt15iterator_traitsISI_E10value_typeEPNSO_ISJ_E10value_typeEPSK_NS1_7vsmem_tEENKUlT_SI_SJ_SK_E_clISD_PdSD_S10_EESH_SX_SI_SJ_SK_EUlSX_E0_NS1_11comp_targetILNS1_3genE9ELNS1_11target_archE1100ELNS1_3gpuE3ELNS1_3repE0EEENS1_38merge_mergepath_config_static_selectorELNS0_4arch9wavefront6targetE1EEEvSJ_.uses_vcc, 0
	.set _ZN7rocprim17ROCPRIM_400000_NS6detail17trampoline_kernelINS0_14default_configENS1_38merge_sort_block_merge_config_selectorIddEEZZNS1_27merge_sort_block_merge_implIS3_N6thrust23THRUST_200600_302600_NS6detail15normal_iteratorINS8_10device_ptrIdEEEESD_jNS1_19radix_merge_compareILb0ELb0EdNS0_19identity_decomposerEEEEE10hipError_tT0_T1_T2_jT3_P12ihipStream_tbPNSt15iterator_traitsISI_E10value_typeEPNSO_ISJ_E10value_typeEPSK_NS1_7vsmem_tEENKUlT_SI_SJ_SK_E_clISD_PdSD_S10_EESH_SX_SI_SJ_SK_EUlSX_E0_NS1_11comp_targetILNS1_3genE9ELNS1_11target_archE1100ELNS1_3gpuE3ELNS1_3repE0EEENS1_38merge_mergepath_config_static_selectorELNS0_4arch9wavefront6targetE1EEEvSJ_.uses_flat_scratch, 0
	.set _ZN7rocprim17ROCPRIM_400000_NS6detail17trampoline_kernelINS0_14default_configENS1_38merge_sort_block_merge_config_selectorIddEEZZNS1_27merge_sort_block_merge_implIS3_N6thrust23THRUST_200600_302600_NS6detail15normal_iteratorINS8_10device_ptrIdEEEESD_jNS1_19radix_merge_compareILb0ELb0EdNS0_19identity_decomposerEEEEE10hipError_tT0_T1_T2_jT3_P12ihipStream_tbPNSt15iterator_traitsISI_E10value_typeEPNSO_ISJ_E10value_typeEPSK_NS1_7vsmem_tEENKUlT_SI_SJ_SK_E_clISD_PdSD_S10_EESH_SX_SI_SJ_SK_EUlSX_E0_NS1_11comp_targetILNS1_3genE9ELNS1_11target_archE1100ELNS1_3gpuE3ELNS1_3repE0EEENS1_38merge_mergepath_config_static_selectorELNS0_4arch9wavefront6targetE1EEEvSJ_.has_dyn_sized_stack, 0
	.set _ZN7rocprim17ROCPRIM_400000_NS6detail17trampoline_kernelINS0_14default_configENS1_38merge_sort_block_merge_config_selectorIddEEZZNS1_27merge_sort_block_merge_implIS3_N6thrust23THRUST_200600_302600_NS6detail15normal_iteratorINS8_10device_ptrIdEEEESD_jNS1_19radix_merge_compareILb0ELb0EdNS0_19identity_decomposerEEEEE10hipError_tT0_T1_T2_jT3_P12ihipStream_tbPNSt15iterator_traitsISI_E10value_typeEPNSO_ISJ_E10value_typeEPSK_NS1_7vsmem_tEENKUlT_SI_SJ_SK_E_clISD_PdSD_S10_EESH_SX_SI_SJ_SK_EUlSX_E0_NS1_11comp_targetILNS1_3genE9ELNS1_11target_archE1100ELNS1_3gpuE3ELNS1_3repE0EEENS1_38merge_mergepath_config_static_selectorELNS0_4arch9wavefront6targetE1EEEvSJ_.has_recursion, 0
	.set _ZN7rocprim17ROCPRIM_400000_NS6detail17trampoline_kernelINS0_14default_configENS1_38merge_sort_block_merge_config_selectorIddEEZZNS1_27merge_sort_block_merge_implIS3_N6thrust23THRUST_200600_302600_NS6detail15normal_iteratorINS8_10device_ptrIdEEEESD_jNS1_19radix_merge_compareILb0ELb0EdNS0_19identity_decomposerEEEEE10hipError_tT0_T1_T2_jT3_P12ihipStream_tbPNSt15iterator_traitsISI_E10value_typeEPNSO_ISJ_E10value_typeEPSK_NS1_7vsmem_tEENKUlT_SI_SJ_SK_E_clISD_PdSD_S10_EESH_SX_SI_SJ_SK_EUlSX_E0_NS1_11comp_targetILNS1_3genE9ELNS1_11target_archE1100ELNS1_3gpuE3ELNS1_3repE0EEENS1_38merge_mergepath_config_static_selectorELNS0_4arch9wavefront6targetE1EEEvSJ_.has_indirect_call, 0
	.section	.AMDGPU.csdata,"",@progbits
; Kernel info:
; codeLenInByte = 0
; TotalNumSgprs: 6
; NumVgprs: 0
; NumAgprs: 0
; TotalNumVgprs: 0
; ScratchSize: 0
; MemoryBound: 0
; FloatMode: 240
; IeeeMode: 1
; LDSByteSize: 0 bytes/workgroup (compile time only)
; SGPRBlocks: 0
; VGPRBlocks: 0
; NumSGPRsForWavesPerEU: 6
; NumVGPRsForWavesPerEU: 1
; AccumOffset: 4
; Occupancy: 8
; WaveLimiterHint : 0
; COMPUTE_PGM_RSRC2:SCRATCH_EN: 0
; COMPUTE_PGM_RSRC2:USER_SGPR: 2
; COMPUTE_PGM_RSRC2:TRAP_HANDLER: 0
; COMPUTE_PGM_RSRC2:TGID_X_EN: 1
; COMPUTE_PGM_RSRC2:TGID_Y_EN: 0
; COMPUTE_PGM_RSRC2:TGID_Z_EN: 0
; COMPUTE_PGM_RSRC2:TIDIG_COMP_CNT: 0
; COMPUTE_PGM_RSRC3_GFX90A:ACCUM_OFFSET: 0
; COMPUTE_PGM_RSRC3_GFX90A:TG_SPLIT: 0
	.section	.text._ZN7rocprim17ROCPRIM_400000_NS6detail17trampoline_kernelINS0_14default_configENS1_38merge_sort_block_merge_config_selectorIddEEZZNS1_27merge_sort_block_merge_implIS3_N6thrust23THRUST_200600_302600_NS6detail15normal_iteratorINS8_10device_ptrIdEEEESD_jNS1_19radix_merge_compareILb0ELb0EdNS0_19identity_decomposerEEEEE10hipError_tT0_T1_T2_jT3_P12ihipStream_tbPNSt15iterator_traitsISI_E10value_typeEPNSO_ISJ_E10value_typeEPSK_NS1_7vsmem_tEENKUlT_SI_SJ_SK_E_clISD_PdSD_S10_EESH_SX_SI_SJ_SK_EUlSX_E0_NS1_11comp_targetILNS1_3genE8ELNS1_11target_archE1030ELNS1_3gpuE2ELNS1_3repE0EEENS1_38merge_mergepath_config_static_selectorELNS0_4arch9wavefront6targetE1EEEvSJ_,"axG",@progbits,_ZN7rocprim17ROCPRIM_400000_NS6detail17trampoline_kernelINS0_14default_configENS1_38merge_sort_block_merge_config_selectorIddEEZZNS1_27merge_sort_block_merge_implIS3_N6thrust23THRUST_200600_302600_NS6detail15normal_iteratorINS8_10device_ptrIdEEEESD_jNS1_19radix_merge_compareILb0ELb0EdNS0_19identity_decomposerEEEEE10hipError_tT0_T1_T2_jT3_P12ihipStream_tbPNSt15iterator_traitsISI_E10value_typeEPNSO_ISJ_E10value_typeEPSK_NS1_7vsmem_tEENKUlT_SI_SJ_SK_E_clISD_PdSD_S10_EESH_SX_SI_SJ_SK_EUlSX_E0_NS1_11comp_targetILNS1_3genE8ELNS1_11target_archE1030ELNS1_3gpuE2ELNS1_3repE0EEENS1_38merge_mergepath_config_static_selectorELNS0_4arch9wavefront6targetE1EEEvSJ_,comdat
	.protected	_ZN7rocprim17ROCPRIM_400000_NS6detail17trampoline_kernelINS0_14default_configENS1_38merge_sort_block_merge_config_selectorIddEEZZNS1_27merge_sort_block_merge_implIS3_N6thrust23THRUST_200600_302600_NS6detail15normal_iteratorINS8_10device_ptrIdEEEESD_jNS1_19radix_merge_compareILb0ELb0EdNS0_19identity_decomposerEEEEE10hipError_tT0_T1_T2_jT3_P12ihipStream_tbPNSt15iterator_traitsISI_E10value_typeEPNSO_ISJ_E10value_typeEPSK_NS1_7vsmem_tEENKUlT_SI_SJ_SK_E_clISD_PdSD_S10_EESH_SX_SI_SJ_SK_EUlSX_E0_NS1_11comp_targetILNS1_3genE8ELNS1_11target_archE1030ELNS1_3gpuE2ELNS1_3repE0EEENS1_38merge_mergepath_config_static_selectorELNS0_4arch9wavefront6targetE1EEEvSJ_ ; -- Begin function _ZN7rocprim17ROCPRIM_400000_NS6detail17trampoline_kernelINS0_14default_configENS1_38merge_sort_block_merge_config_selectorIddEEZZNS1_27merge_sort_block_merge_implIS3_N6thrust23THRUST_200600_302600_NS6detail15normal_iteratorINS8_10device_ptrIdEEEESD_jNS1_19radix_merge_compareILb0ELb0EdNS0_19identity_decomposerEEEEE10hipError_tT0_T1_T2_jT3_P12ihipStream_tbPNSt15iterator_traitsISI_E10value_typeEPNSO_ISJ_E10value_typeEPSK_NS1_7vsmem_tEENKUlT_SI_SJ_SK_E_clISD_PdSD_S10_EESH_SX_SI_SJ_SK_EUlSX_E0_NS1_11comp_targetILNS1_3genE8ELNS1_11target_archE1030ELNS1_3gpuE2ELNS1_3repE0EEENS1_38merge_mergepath_config_static_selectorELNS0_4arch9wavefront6targetE1EEEvSJ_
	.globl	_ZN7rocprim17ROCPRIM_400000_NS6detail17trampoline_kernelINS0_14default_configENS1_38merge_sort_block_merge_config_selectorIddEEZZNS1_27merge_sort_block_merge_implIS3_N6thrust23THRUST_200600_302600_NS6detail15normal_iteratorINS8_10device_ptrIdEEEESD_jNS1_19radix_merge_compareILb0ELb0EdNS0_19identity_decomposerEEEEE10hipError_tT0_T1_T2_jT3_P12ihipStream_tbPNSt15iterator_traitsISI_E10value_typeEPNSO_ISJ_E10value_typeEPSK_NS1_7vsmem_tEENKUlT_SI_SJ_SK_E_clISD_PdSD_S10_EESH_SX_SI_SJ_SK_EUlSX_E0_NS1_11comp_targetILNS1_3genE8ELNS1_11target_archE1030ELNS1_3gpuE2ELNS1_3repE0EEENS1_38merge_mergepath_config_static_selectorELNS0_4arch9wavefront6targetE1EEEvSJ_
	.p2align	8
	.type	_ZN7rocprim17ROCPRIM_400000_NS6detail17trampoline_kernelINS0_14default_configENS1_38merge_sort_block_merge_config_selectorIddEEZZNS1_27merge_sort_block_merge_implIS3_N6thrust23THRUST_200600_302600_NS6detail15normal_iteratorINS8_10device_ptrIdEEEESD_jNS1_19radix_merge_compareILb0ELb0EdNS0_19identity_decomposerEEEEE10hipError_tT0_T1_T2_jT3_P12ihipStream_tbPNSt15iterator_traitsISI_E10value_typeEPNSO_ISJ_E10value_typeEPSK_NS1_7vsmem_tEENKUlT_SI_SJ_SK_E_clISD_PdSD_S10_EESH_SX_SI_SJ_SK_EUlSX_E0_NS1_11comp_targetILNS1_3genE8ELNS1_11target_archE1030ELNS1_3gpuE2ELNS1_3repE0EEENS1_38merge_mergepath_config_static_selectorELNS0_4arch9wavefront6targetE1EEEvSJ_,@function
_ZN7rocprim17ROCPRIM_400000_NS6detail17trampoline_kernelINS0_14default_configENS1_38merge_sort_block_merge_config_selectorIddEEZZNS1_27merge_sort_block_merge_implIS3_N6thrust23THRUST_200600_302600_NS6detail15normal_iteratorINS8_10device_ptrIdEEEESD_jNS1_19radix_merge_compareILb0ELb0EdNS0_19identity_decomposerEEEEE10hipError_tT0_T1_T2_jT3_P12ihipStream_tbPNSt15iterator_traitsISI_E10value_typeEPNSO_ISJ_E10value_typeEPSK_NS1_7vsmem_tEENKUlT_SI_SJ_SK_E_clISD_PdSD_S10_EESH_SX_SI_SJ_SK_EUlSX_E0_NS1_11comp_targetILNS1_3genE8ELNS1_11target_archE1030ELNS1_3gpuE2ELNS1_3repE0EEENS1_38merge_mergepath_config_static_selectorELNS0_4arch9wavefront6targetE1EEEvSJ_: ; @_ZN7rocprim17ROCPRIM_400000_NS6detail17trampoline_kernelINS0_14default_configENS1_38merge_sort_block_merge_config_selectorIddEEZZNS1_27merge_sort_block_merge_implIS3_N6thrust23THRUST_200600_302600_NS6detail15normal_iteratorINS8_10device_ptrIdEEEESD_jNS1_19radix_merge_compareILb0ELb0EdNS0_19identity_decomposerEEEEE10hipError_tT0_T1_T2_jT3_P12ihipStream_tbPNSt15iterator_traitsISI_E10value_typeEPNSO_ISJ_E10value_typeEPSK_NS1_7vsmem_tEENKUlT_SI_SJ_SK_E_clISD_PdSD_S10_EESH_SX_SI_SJ_SK_EUlSX_E0_NS1_11comp_targetILNS1_3genE8ELNS1_11target_archE1030ELNS1_3gpuE2ELNS1_3repE0EEENS1_38merge_mergepath_config_static_selectorELNS0_4arch9wavefront6targetE1EEEvSJ_
; %bb.0:
	.section	.rodata,"a",@progbits
	.p2align	6, 0x0
	.amdhsa_kernel _ZN7rocprim17ROCPRIM_400000_NS6detail17trampoline_kernelINS0_14default_configENS1_38merge_sort_block_merge_config_selectorIddEEZZNS1_27merge_sort_block_merge_implIS3_N6thrust23THRUST_200600_302600_NS6detail15normal_iteratorINS8_10device_ptrIdEEEESD_jNS1_19radix_merge_compareILb0ELb0EdNS0_19identity_decomposerEEEEE10hipError_tT0_T1_T2_jT3_P12ihipStream_tbPNSt15iterator_traitsISI_E10value_typeEPNSO_ISJ_E10value_typeEPSK_NS1_7vsmem_tEENKUlT_SI_SJ_SK_E_clISD_PdSD_S10_EESH_SX_SI_SJ_SK_EUlSX_E0_NS1_11comp_targetILNS1_3genE8ELNS1_11target_archE1030ELNS1_3gpuE2ELNS1_3repE0EEENS1_38merge_mergepath_config_static_selectorELNS0_4arch9wavefront6targetE1EEEvSJ_
		.amdhsa_group_segment_fixed_size 0
		.amdhsa_private_segment_fixed_size 0
		.amdhsa_kernarg_size 64
		.amdhsa_user_sgpr_count 2
		.amdhsa_user_sgpr_dispatch_ptr 0
		.amdhsa_user_sgpr_queue_ptr 0
		.amdhsa_user_sgpr_kernarg_segment_ptr 1
		.amdhsa_user_sgpr_dispatch_id 0
		.amdhsa_user_sgpr_kernarg_preload_length 0
		.amdhsa_user_sgpr_kernarg_preload_offset 0
		.amdhsa_user_sgpr_private_segment_size 0
		.amdhsa_uses_dynamic_stack 0
		.amdhsa_enable_private_segment 0
		.amdhsa_system_sgpr_workgroup_id_x 1
		.amdhsa_system_sgpr_workgroup_id_y 0
		.amdhsa_system_sgpr_workgroup_id_z 0
		.amdhsa_system_sgpr_workgroup_info 0
		.amdhsa_system_vgpr_workitem_id 0
		.amdhsa_next_free_vgpr 1
		.amdhsa_next_free_sgpr 0
		.amdhsa_accum_offset 4
		.amdhsa_reserve_vcc 0
		.amdhsa_float_round_mode_32 0
		.amdhsa_float_round_mode_16_64 0
		.amdhsa_float_denorm_mode_32 3
		.amdhsa_float_denorm_mode_16_64 3
		.amdhsa_dx10_clamp 1
		.amdhsa_ieee_mode 1
		.amdhsa_fp16_overflow 0
		.amdhsa_tg_split 0
		.amdhsa_exception_fp_ieee_invalid_op 0
		.amdhsa_exception_fp_denorm_src 0
		.amdhsa_exception_fp_ieee_div_zero 0
		.amdhsa_exception_fp_ieee_overflow 0
		.amdhsa_exception_fp_ieee_underflow 0
		.amdhsa_exception_fp_ieee_inexact 0
		.amdhsa_exception_int_div_zero 0
	.end_amdhsa_kernel
	.section	.text._ZN7rocprim17ROCPRIM_400000_NS6detail17trampoline_kernelINS0_14default_configENS1_38merge_sort_block_merge_config_selectorIddEEZZNS1_27merge_sort_block_merge_implIS3_N6thrust23THRUST_200600_302600_NS6detail15normal_iteratorINS8_10device_ptrIdEEEESD_jNS1_19radix_merge_compareILb0ELb0EdNS0_19identity_decomposerEEEEE10hipError_tT0_T1_T2_jT3_P12ihipStream_tbPNSt15iterator_traitsISI_E10value_typeEPNSO_ISJ_E10value_typeEPSK_NS1_7vsmem_tEENKUlT_SI_SJ_SK_E_clISD_PdSD_S10_EESH_SX_SI_SJ_SK_EUlSX_E0_NS1_11comp_targetILNS1_3genE8ELNS1_11target_archE1030ELNS1_3gpuE2ELNS1_3repE0EEENS1_38merge_mergepath_config_static_selectorELNS0_4arch9wavefront6targetE1EEEvSJ_,"axG",@progbits,_ZN7rocprim17ROCPRIM_400000_NS6detail17trampoline_kernelINS0_14default_configENS1_38merge_sort_block_merge_config_selectorIddEEZZNS1_27merge_sort_block_merge_implIS3_N6thrust23THRUST_200600_302600_NS6detail15normal_iteratorINS8_10device_ptrIdEEEESD_jNS1_19radix_merge_compareILb0ELb0EdNS0_19identity_decomposerEEEEE10hipError_tT0_T1_T2_jT3_P12ihipStream_tbPNSt15iterator_traitsISI_E10value_typeEPNSO_ISJ_E10value_typeEPSK_NS1_7vsmem_tEENKUlT_SI_SJ_SK_E_clISD_PdSD_S10_EESH_SX_SI_SJ_SK_EUlSX_E0_NS1_11comp_targetILNS1_3genE8ELNS1_11target_archE1030ELNS1_3gpuE2ELNS1_3repE0EEENS1_38merge_mergepath_config_static_selectorELNS0_4arch9wavefront6targetE1EEEvSJ_,comdat
.Lfunc_end64:
	.size	_ZN7rocprim17ROCPRIM_400000_NS6detail17trampoline_kernelINS0_14default_configENS1_38merge_sort_block_merge_config_selectorIddEEZZNS1_27merge_sort_block_merge_implIS3_N6thrust23THRUST_200600_302600_NS6detail15normal_iteratorINS8_10device_ptrIdEEEESD_jNS1_19radix_merge_compareILb0ELb0EdNS0_19identity_decomposerEEEEE10hipError_tT0_T1_T2_jT3_P12ihipStream_tbPNSt15iterator_traitsISI_E10value_typeEPNSO_ISJ_E10value_typeEPSK_NS1_7vsmem_tEENKUlT_SI_SJ_SK_E_clISD_PdSD_S10_EESH_SX_SI_SJ_SK_EUlSX_E0_NS1_11comp_targetILNS1_3genE8ELNS1_11target_archE1030ELNS1_3gpuE2ELNS1_3repE0EEENS1_38merge_mergepath_config_static_selectorELNS0_4arch9wavefront6targetE1EEEvSJ_, .Lfunc_end64-_ZN7rocprim17ROCPRIM_400000_NS6detail17trampoline_kernelINS0_14default_configENS1_38merge_sort_block_merge_config_selectorIddEEZZNS1_27merge_sort_block_merge_implIS3_N6thrust23THRUST_200600_302600_NS6detail15normal_iteratorINS8_10device_ptrIdEEEESD_jNS1_19radix_merge_compareILb0ELb0EdNS0_19identity_decomposerEEEEE10hipError_tT0_T1_T2_jT3_P12ihipStream_tbPNSt15iterator_traitsISI_E10value_typeEPNSO_ISJ_E10value_typeEPSK_NS1_7vsmem_tEENKUlT_SI_SJ_SK_E_clISD_PdSD_S10_EESH_SX_SI_SJ_SK_EUlSX_E0_NS1_11comp_targetILNS1_3genE8ELNS1_11target_archE1030ELNS1_3gpuE2ELNS1_3repE0EEENS1_38merge_mergepath_config_static_selectorELNS0_4arch9wavefront6targetE1EEEvSJ_
                                        ; -- End function
	.set _ZN7rocprim17ROCPRIM_400000_NS6detail17trampoline_kernelINS0_14default_configENS1_38merge_sort_block_merge_config_selectorIddEEZZNS1_27merge_sort_block_merge_implIS3_N6thrust23THRUST_200600_302600_NS6detail15normal_iteratorINS8_10device_ptrIdEEEESD_jNS1_19radix_merge_compareILb0ELb0EdNS0_19identity_decomposerEEEEE10hipError_tT0_T1_T2_jT3_P12ihipStream_tbPNSt15iterator_traitsISI_E10value_typeEPNSO_ISJ_E10value_typeEPSK_NS1_7vsmem_tEENKUlT_SI_SJ_SK_E_clISD_PdSD_S10_EESH_SX_SI_SJ_SK_EUlSX_E0_NS1_11comp_targetILNS1_3genE8ELNS1_11target_archE1030ELNS1_3gpuE2ELNS1_3repE0EEENS1_38merge_mergepath_config_static_selectorELNS0_4arch9wavefront6targetE1EEEvSJ_.num_vgpr, 0
	.set _ZN7rocprim17ROCPRIM_400000_NS6detail17trampoline_kernelINS0_14default_configENS1_38merge_sort_block_merge_config_selectorIddEEZZNS1_27merge_sort_block_merge_implIS3_N6thrust23THRUST_200600_302600_NS6detail15normal_iteratorINS8_10device_ptrIdEEEESD_jNS1_19radix_merge_compareILb0ELb0EdNS0_19identity_decomposerEEEEE10hipError_tT0_T1_T2_jT3_P12ihipStream_tbPNSt15iterator_traitsISI_E10value_typeEPNSO_ISJ_E10value_typeEPSK_NS1_7vsmem_tEENKUlT_SI_SJ_SK_E_clISD_PdSD_S10_EESH_SX_SI_SJ_SK_EUlSX_E0_NS1_11comp_targetILNS1_3genE8ELNS1_11target_archE1030ELNS1_3gpuE2ELNS1_3repE0EEENS1_38merge_mergepath_config_static_selectorELNS0_4arch9wavefront6targetE1EEEvSJ_.num_agpr, 0
	.set _ZN7rocprim17ROCPRIM_400000_NS6detail17trampoline_kernelINS0_14default_configENS1_38merge_sort_block_merge_config_selectorIddEEZZNS1_27merge_sort_block_merge_implIS3_N6thrust23THRUST_200600_302600_NS6detail15normal_iteratorINS8_10device_ptrIdEEEESD_jNS1_19radix_merge_compareILb0ELb0EdNS0_19identity_decomposerEEEEE10hipError_tT0_T1_T2_jT3_P12ihipStream_tbPNSt15iterator_traitsISI_E10value_typeEPNSO_ISJ_E10value_typeEPSK_NS1_7vsmem_tEENKUlT_SI_SJ_SK_E_clISD_PdSD_S10_EESH_SX_SI_SJ_SK_EUlSX_E0_NS1_11comp_targetILNS1_3genE8ELNS1_11target_archE1030ELNS1_3gpuE2ELNS1_3repE0EEENS1_38merge_mergepath_config_static_selectorELNS0_4arch9wavefront6targetE1EEEvSJ_.numbered_sgpr, 0
	.set _ZN7rocprim17ROCPRIM_400000_NS6detail17trampoline_kernelINS0_14default_configENS1_38merge_sort_block_merge_config_selectorIddEEZZNS1_27merge_sort_block_merge_implIS3_N6thrust23THRUST_200600_302600_NS6detail15normal_iteratorINS8_10device_ptrIdEEEESD_jNS1_19radix_merge_compareILb0ELb0EdNS0_19identity_decomposerEEEEE10hipError_tT0_T1_T2_jT3_P12ihipStream_tbPNSt15iterator_traitsISI_E10value_typeEPNSO_ISJ_E10value_typeEPSK_NS1_7vsmem_tEENKUlT_SI_SJ_SK_E_clISD_PdSD_S10_EESH_SX_SI_SJ_SK_EUlSX_E0_NS1_11comp_targetILNS1_3genE8ELNS1_11target_archE1030ELNS1_3gpuE2ELNS1_3repE0EEENS1_38merge_mergepath_config_static_selectorELNS0_4arch9wavefront6targetE1EEEvSJ_.num_named_barrier, 0
	.set _ZN7rocprim17ROCPRIM_400000_NS6detail17trampoline_kernelINS0_14default_configENS1_38merge_sort_block_merge_config_selectorIddEEZZNS1_27merge_sort_block_merge_implIS3_N6thrust23THRUST_200600_302600_NS6detail15normal_iteratorINS8_10device_ptrIdEEEESD_jNS1_19radix_merge_compareILb0ELb0EdNS0_19identity_decomposerEEEEE10hipError_tT0_T1_T2_jT3_P12ihipStream_tbPNSt15iterator_traitsISI_E10value_typeEPNSO_ISJ_E10value_typeEPSK_NS1_7vsmem_tEENKUlT_SI_SJ_SK_E_clISD_PdSD_S10_EESH_SX_SI_SJ_SK_EUlSX_E0_NS1_11comp_targetILNS1_3genE8ELNS1_11target_archE1030ELNS1_3gpuE2ELNS1_3repE0EEENS1_38merge_mergepath_config_static_selectorELNS0_4arch9wavefront6targetE1EEEvSJ_.private_seg_size, 0
	.set _ZN7rocprim17ROCPRIM_400000_NS6detail17trampoline_kernelINS0_14default_configENS1_38merge_sort_block_merge_config_selectorIddEEZZNS1_27merge_sort_block_merge_implIS3_N6thrust23THRUST_200600_302600_NS6detail15normal_iteratorINS8_10device_ptrIdEEEESD_jNS1_19radix_merge_compareILb0ELb0EdNS0_19identity_decomposerEEEEE10hipError_tT0_T1_T2_jT3_P12ihipStream_tbPNSt15iterator_traitsISI_E10value_typeEPNSO_ISJ_E10value_typeEPSK_NS1_7vsmem_tEENKUlT_SI_SJ_SK_E_clISD_PdSD_S10_EESH_SX_SI_SJ_SK_EUlSX_E0_NS1_11comp_targetILNS1_3genE8ELNS1_11target_archE1030ELNS1_3gpuE2ELNS1_3repE0EEENS1_38merge_mergepath_config_static_selectorELNS0_4arch9wavefront6targetE1EEEvSJ_.uses_vcc, 0
	.set _ZN7rocprim17ROCPRIM_400000_NS6detail17trampoline_kernelINS0_14default_configENS1_38merge_sort_block_merge_config_selectorIddEEZZNS1_27merge_sort_block_merge_implIS3_N6thrust23THRUST_200600_302600_NS6detail15normal_iteratorINS8_10device_ptrIdEEEESD_jNS1_19radix_merge_compareILb0ELb0EdNS0_19identity_decomposerEEEEE10hipError_tT0_T1_T2_jT3_P12ihipStream_tbPNSt15iterator_traitsISI_E10value_typeEPNSO_ISJ_E10value_typeEPSK_NS1_7vsmem_tEENKUlT_SI_SJ_SK_E_clISD_PdSD_S10_EESH_SX_SI_SJ_SK_EUlSX_E0_NS1_11comp_targetILNS1_3genE8ELNS1_11target_archE1030ELNS1_3gpuE2ELNS1_3repE0EEENS1_38merge_mergepath_config_static_selectorELNS0_4arch9wavefront6targetE1EEEvSJ_.uses_flat_scratch, 0
	.set _ZN7rocprim17ROCPRIM_400000_NS6detail17trampoline_kernelINS0_14default_configENS1_38merge_sort_block_merge_config_selectorIddEEZZNS1_27merge_sort_block_merge_implIS3_N6thrust23THRUST_200600_302600_NS6detail15normal_iteratorINS8_10device_ptrIdEEEESD_jNS1_19radix_merge_compareILb0ELb0EdNS0_19identity_decomposerEEEEE10hipError_tT0_T1_T2_jT3_P12ihipStream_tbPNSt15iterator_traitsISI_E10value_typeEPNSO_ISJ_E10value_typeEPSK_NS1_7vsmem_tEENKUlT_SI_SJ_SK_E_clISD_PdSD_S10_EESH_SX_SI_SJ_SK_EUlSX_E0_NS1_11comp_targetILNS1_3genE8ELNS1_11target_archE1030ELNS1_3gpuE2ELNS1_3repE0EEENS1_38merge_mergepath_config_static_selectorELNS0_4arch9wavefront6targetE1EEEvSJ_.has_dyn_sized_stack, 0
	.set _ZN7rocprim17ROCPRIM_400000_NS6detail17trampoline_kernelINS0_14default_configENS1_38merge_sort_block_merge_config_selectorIddEEZZNS1_27merge_sort_block_merge_implIS3_N6thrust23THRUST_200600_302600_NS6detail15normal_iteratorINS8_10device_ptrIdEEEESD_jNS1_19radix_merge_compareILb0ELb0EdNS0_19identity_decomposerEEEEE10hipError_tT0_T1_T2_jT3_P12ihipStream_tbPNSt15iterator_traitsISI_E10value_typeEPNSO_ISJ_E10value_typeEPSK_NS1_7vsmem_tEENKUlT_SI_SJ_SK_E_clISD_PdSD_S10_EESH_SX_SI_SJ_SK_EUlSX_E0_NS1_11comp_targetILNS1_3genE8ELNS1_11target_archE1030ELNS1_3gpuE2ELNS1_3repE0EEENS1_38merge_mergepath_config_static_selectorELNS0_4arch9wavefront6targetE1EEEvSJ_.has_recursion, 0
	.set _ZN7rocprim17ROCPRIM_400000_NS6detail17trampoline_kernelINS0_14default_configENS1_38merge_sort_block_merge_config_selectorIddEEZZNS1_27merge_sort_block_merge_implIS3_N6thrust23THRUST_200600_302600_NS6detail15normal_iteratorINS8_10device_ptrIdEEEESD_jNS1_19radix_merge_compareILb0ELb0EdNS0_19identity_decomposerEEEEE10hipError_tT0_T1_T2_jT3_P12ihipStream_tbPNSt15iterator_traitsISI_E10value_typeEPNSO_ISJ_E10value_typeEPSK_NS1_7vsmem_tEENKUlT_SI_SJ_SK_E_clISD_PdSD_S10_EESH_SX_SI_SJ_SK_EUlSX_E0_NS1_11comp_targetILNS1_3genE8ELNS1_11target_archE1030ELNS1_3gpuE2ELNS1_3repE0EEENS1_38merge_mergepath_config_static_selectorELNS0_4arch9wavefront6targetE1EEEvSJ_.has_indirect_call, 0
	.section	.AMDGPU.csdata,"",@progbits
; Kernel info:
; codeLenInByte = 0
; TotalNumSgprs: 6
; NumVgprs: 0
; NumAgprs: 0
; TotalNumVgprs: 0
; ScratchSize: 0
; MemoryBound: 0
; FloatMode: 240
; IeeeMode: 1
; LDSByteSize: 0 bytes/workgroup (compile time only)
; SGPRBlocks: 0
; VGPRBlocks: 0
; NumSGPRsForWavesPerEU: 6
; NumVGPRsForWavesPerEU: 1
; AccumOffset: 4
; Occupancy: 8
; WaveLimiterHint : 0
; COMPUTE_PGM_RSRC2:SCRATCH_EN: 0
; COMPUTE_PGM_RSRC2:USER_SGPR: 2
; COMPUTE_PGM_RSRC2:TRAP_HANDLER: 0
; COMPUTE_PGM_RSRC2:TGID_X_EN: 1
; COMPUTE_PGM_RSRC2:TGID_Y_EN: 0
; COMPUTE_PGM_RSRC2:TGID_Z_EN: 0
; COMPUTE_PGM_RSRC2:TIDIG_COMP_CNT: 0
; COMPUTE_PGM_RSRC3_GFX90A:ACCUM_OFFSET: 0
; COMPUTE_PGM_RSRC3_GFX90A:TG_SPLIT: 0
	.section	.text._ZN7rocprim17ROCPRIM_400000_NS6detail17trampoline_kernelINS0_14default_configENS1_38merge_sort_block_merge_config_selectorIddEEZZNS1_27merge_sort_block_merge_implIS3_N6thrust23THRUST_200600_302600_NS6detail15normal_iteratorINS8_10device_ptrIdEEEESD_jNS1_19radix_merge_compareILb0ELb0EdNS0_19identity_decomposerEEEEE10hipError_tT0_T1_T2_jT3_P12ihipStream_tbPNSt15iterator_traitsISI_E10value_typeEPNSO_ISJ_E10value_typeEPSK_NS1_7vsmem_tEENKUlT_SI_SJ_SK_E_clISD_PdSD_S10_EESH_SX_SI_SJ_SK_EUlSX_E1_NS1_11comp_targetILNS1_3genE0ELNS1_11target_archE4294967295ELNS1_3gpuE0ELNS1_3repE0EEENS1_36merge_oddeven_config_static_selectorELNS0_4arch9wavefront6targetE1EEEvSJ_,"axG",@progbits,_ZN7rocprim17ROCPRIM_400000_NS6detail17trampoline_kernelINS0_14default_configENS1_38merge_sort_block_merge_config_selectorIddEEZZNS1_27merge_sort_block_merge_implIS3_N6thrust23THRUST_200600_302600_NS6detail15normal_iteratorINS8_10device_ptrIdEEEESD_jNS1_19radix_merge_compareILb0ELb0EdNS0_19identity_decomposerEEEEE10hipError_tT0_T1_T2_jT3_P12ihipStream_tbPNSt15iterator_traitsISI_E10value_typeEPNSO_ISJ_E10value_typeEPSK_NS1_7vsmem_tEENKUlT_SI_SJ_SK_E_clISD_PdSD_S10_EESH_SX_SI_SJ_SK_EUlSX_E1_NS1_11comp_targetILNS1_3genE0ELNS1_11target_archE4294967295ELNS1_3gpuE0ELNS1_3repE0EEENS1_36merge_oddeven_config_static_selectorELNS0_4arch9wavefront6targetE1EEEvSJ_,comdat
	.protected	_ZN7rocprim17ROCPRIM_400000_NS6detail17trampoline_kernelINS0_14default_configENS1_38merge_sort_block_merge_config_selectorIddEEZZNS1_27merge_sort_block_merge_implIS3_N6thrust23THRUST_200600_302600_NS6detail15normal_iteratorINS8_10device_ptrIdEEEESD_jNS1_19radix_merge_compareILb0ELb0EdNS0_19identity_decomposerEEEEE10hipError_tT0_T1_T2_jT3_P12ihipStream_tbPNSt15iterator_traitsISI_E10value_typeEPNSO_ISJ_E10value_typeEPSK_NS1_7vsmem_tEENKUlT_SI_SJ_SK_E_clISD_PdSD_S10_EESH_SX_SI_SJ_SK_EUlSX_E1_NS1_11comp_targetILNS1_3genE0ELNS1_11target_archE4294967295ELNS1_3gpuE0ELNS1_3repE0EEENS1_36merge_oddeven_config_static_selectorELNS0_4arch9wavefront6targetE1EEEvSJ_ ; -- Begin function _ZN7rocprim17ROCPRIM_400000_NS6detail17trampoline_kernelINS0_14default_configENS1_38merge_sort_block_merge_config_selectorIddEEZZNS1_27merge_sort_block_merge_implIS3_N6thrust23THRUST_200600_302600_NS6detail15normal_iteratorINS8_10device_ptrIdEEEESD_jNS1_19radix_merge_compareILb0ELb0EdNS0_19identity_decomposerEEEEE10hipError_tT0_T1_T2_jT3_P12ihipStream_tbPNSt15iterator_traitsISI_E10value_typeEPNSO_ISJ_E10value_typeEPSK_NS1_7vsmem_tEENKUlT_SI_SJ_SK_E_clISD_PdSD_S10_EESH_SX_SI_SJ_SK_EUlSX_E1_NS1_11comp_targetILNS1_3genE0ELNS1_11target_archE4294967295ELNS1_3gpuE0ELNS1_3repE0EEENS1_36merge_oddeven_config_static_selectorELNS0_4arch9wavefront6targetE1EEEvSJ_
	.globl	_ZN7rocprim17ROCPRIM_400000_NS6detail17trampoline_kernelINS0_14default_configENS1_38merge_sort_block_merge_config_selectorIddEEZZNS1_27merge_sort_block_merge_implIS3_N6thrust23THRUST_200600_302600_NS6detail15normal_iteratorINS8_10device_ptrIdEEEESD_jNS1_19radix_merge_compareILb0ELb0EdNS0_19identity_decomposerEEEEE10hipError_tT0_T1_T2_jT3_P12ihipStream_tbPNSt15iterator_traitsISI_E10value_typeEPNSO_ISJ_E10value_typeEPSK_NS1_7vsmem_tEENKUlT_SI_SJ_SK_E_clISD_PdSD_S10_EESH_SX_SI_SJ_SK_EUlSX_E1_NS1_11comp_targetILNS1_3genE0ELNS1_11target_archE4294967295ELNS1_3gpuE0ELNS1_3repE0EEENS1_36merge_oddeven_config_static_selectorELNS0_4arch9wavefront6targetE1EEEvSJ_
	.p2align	8
	.type	_ZN7rocprim17ROCPRIM_400000_NS6detail17trampoline_kernelINS0_14default_configENS1_38merge_sort_block_merge_config_selectorIddEEZZNS1_27merge_sort_block_merge_implIS3_N6thrust23THRUST_200600_302600_NS6detail15normal_iteratorINS8_10device_ptrIdEEEESD_jNS1_19radix_merge_compareILb0ELb0EdNS0_19identity_decomposerEEEEE10hipError_tT0_T1_T2_jT3_P12ihipStream_tbPNSt15iterator_traitsISI_E10value_typeEPNSO_ISJ_E10value_typeEPSK_NS1_7vsmem_tEENKUlT_SI_SJ_SK_E_clISD_PdSD_S10_EESH_SX_SI_SJ_SK_EUlSX_E1_NS1_11comp_targetILNS1_3genE0ELNS1_11target_archE4294967295ELNS1_3gpuE0ELNS1_3repE0EEENS1_36merge_oddeven_config_static_selectorELNS0_4arch9wavefront6targetE1EEEvSJ_,@function
_ZN7rocprim17ROCPRIM_400000_NS6detail17trampoline_kernelINS0_14default_configENS1_38merge_sort_block_merge_config_selectorIddEEZZNS1_27merge_sort_block_merge_implIS3_N6thrust23THRUST_200600_302600_NS6detail15normal_iteratorINS8_10device_ptrIdEEEESD_jNS1_19radix_merge_compareILb0ELb0EdNS0_19identity_decomposerEEEEE10hipError_tT0_T1_T2_jT3_P12ihipStream_tbPNSt15iterator_traitsISI_E10value_typeEPNSO_ISJ_E10value_typeEPSK_NS1_7vsmem_tEENKUlT_SI_SJ_SK_E_clISD_PdSD_S10_EESH_SX_SI_SJ_SK_EUlSX_E1_NS1_11comp_targetILNS1_3genE0ELNS1_11target_archE4294967295ELNS1_3gpuE0ELNS1_3repE0EEENS1_36merge_oddeven_config_static_selectorELNS0_4arch9wavefront6targetE1EEEvSJ_: ; @_ZN7rocprim17ROCPRIM_400000_NS6detail17trampoline_kernelINS0_14default_configENS1_38merge_sort_block_merge_config_selectorIddEEZZNS1_27merge_sort_block_merge_implIS3_N6thrust23THRUST_200600_302600_NS6detail15normal_iteratorINS8_10device_ptrIdEEEESD_jNS1_19radix_merge_compareILb0ELb0EdNS0_19identity_decomposerEEEEE10hipError_tT0_T1_T2_jT3_P12ihipStream_tbPNSt15iterator_traitsISI_E10value_typeEPNSO_ISJ_E10value_typeEPSK_NS1_7vsmem_tEENKUlT_SI_SJ_SK_E_clISD_PdSD_S10_EESH_SX_SI_SJ_SK_EUlSX_E1_NS1_11comp_targetILNS1_3genE0ELNS1_11target_archE4294967295ELNS1_3gpuE0ELNS1_3repE0EEENS1_36merge_oddeven_config_static_selectorELNS0_4arch9wavefront6targetE1EEEvSJ_
; %bb.0:
	s_load_dword s18, s[0:1], 0x20
	s_waitcnt lgkmcnt(0)
	s_lshr_b32 s3, s18, 8
	s_cmp_eq_u32 s2, s3
	s_cselect_b64 s[6:7], -1, 0
	s_cmp_lg_u32 s2, s3
	s_cselect_b64 s[8:9], -1, 0
	s_lshl_b32 s16, s2, 8
	s_sub_i32 s3, s18, s16
	v_cmp_gt_u32_e64 s[4:5], s3, v0
	s_or_b64 s[8:9], s[8:9], s[4:5]
	s_and_saveexec_b64 s[10:11], s[8:9]
	s_cbranch_execz .LBB65_24
; %bb.1:
	s_load_dwordx8 s[8:15], s[0:1], 0x0
	s_mov_b32 s17, 0
	s_lshl_b64 s[20:21], s[16:17], 3
	v_lshlrev_b32_e32 v1, 3, v0
	s_load_dword s17, s[0:1], 0x24
	s_waitcnt lgkmcnt(0)
	s_add_u32 s22, s8, s20
	s_addc_u32 s23, s9, s21
	s_add_u32 s12, s12, s20
	s_addc_u32 s13, s13, s21
	global_load_dwordx2 v[2:3], v1, s[12:13]
	global_load_dwordx2 v[4:5], v1, s[22:23]
	s_lshr_b32 s0, s17, 8
	s_sub_i32 s1, 0, s0
	s_and_b32 s1, s2, s1
	s_and_b32 s0, s1, s0
	s_lshl_b32 s19, s1, 8
	s_sub_i32 s12, 0, s17
	s_cmp_eq_u32 s0, 0
	s_cselect_b64 s[0:1], -1, 0
	s_and_b64 s[2:3], s[0:1], exec
	s_cselect_b32 s12, s17, s12
	s_add_i32 s12, s12, s19
	s_mov_b64 s[2:3], -1
	s_cmp_gt_u32 s18, s12
	v_add_u32_e32 v0, s16, v0
	s_cbranch_scc1 .LBB65_9
; %bb.2:
	s_and_b64 vcc, exec, s[6:7]
	s_cbranch_vccz .LBB65_6
; %bb.3:
	v_cmp_gt_u32_e32 vcc, s18, v0
	s_and_saveexec_b64 s[2:3], vcc
	s_cbranch_execz .LBB65_5
; %bb.4:
	v_mov_b32_e32 v1, 0
	v_lshlrev_b64 v[6:7], 3, v[0:1]
	v_lshl_add_u64 v[8:9], s[10:11], 0, v[6:7]
	v_lshl_add_u64 v[6:7], s[14:15], 0, v[6:7]
	s_waitcnt vmcnt(0)
	global_store_dwordx2 v[8:9], v[4:5], off
	global_store_dwordx2 v[6:7], v[2:3], off
.LBB65_5:
	s_or_b64 exec, exec, s[2:3]
	s_mov_b64 s[2:3], 0
.LBB65_6:
	s_andn2_b64 vcc, exec, s[2:3]
	s_cbranch_vccnz .LBB65_8
; %bb.7:
	v_mov_b32_e32 v1, 0
	v_lshlrev_b64 v[6:7], 3, v[0:1]
	v_lshl_add_u64 v[8:9], s[10:11], 0, v[6:7]
	v_lshl_add_u64 v[6:7], s[14:15], 0, v[6:7]
	s_waitcnt vmcnt(0)
	global_store_dwordx2 v[8:9], v[4:5], off
	global_store_dwordx2 v[6:7], v[2:3], off
.LBB65_8:
	s_mov_b64 s[2:3], 0
.LBB65_9:
	s_andn2_b64 vcc, exec, s[2:3]
	s_cbranch_vccnz .LBB65_24
; %bb.10:
	s_min_u32 s13, s12, s18
	s_add_i32 s2, s13, s17
	s_min_u32 s16, s2, s18
	s_min_u32 s2, s19, s13
	s_add_i32 s19, s19, s13
	v_subrev_u32_e32 v0, s19, v0
	v_add_u32_e32 v8, s2, v0
	s_waitcnt vmcnt(0)
	v_add_f64 v[0:1], v[4:5], 0
	v_ashrrev_i32_e32 v6, 31, v1
	v_or_b32_e32 v7, 0x80000000, v6
	v_xor_b32_e32 v1, v7, v1
	v_xor_b32_e32 v0, v6, v0
	s_mov_b64 s[2:3], -1
	s_and_b64 vcc, exec, s[6:7]
	s_cbranch_vccz .LBB65_18
; %bb.11:
	s_and_saveexec_b64 s[2:3], s[4:5]
	s_cbranch_execz .LBB65_17
; %bb.12:
	s_cmp_ge_u32 s12, s16
	v_mov_b32_e32 v9, s13
	s_cbranch_scc1 .LBB65_16
; %bb.13:
	s_mov_b64 s[4:5], 0
	v_mov_b32_e32 v10, s16
	v_mov_b32_e32 v9, s13
	;; [unrolled: 1-line block ×3, first 2 shown]
.LBB65_14:                              ; =>This Inner Loop Header: Depth=1
	v_add_u32_e32 v6, v9, v10
	v_lshrrev_b32_e32 v6, 1, v6
	v_lshl_add_u64 v[12:13], v[6:7], 3, s[8:9]
	global_load_dwordx2 v[12:13], v[12:13], off
	v_add_u32_e32 v11, 1, v6
	s_waitcnt vmcnt(0)
	v_add_f64 v[12:13], v[12:13], 0
	v_ashrrev_i32_e32 v14, 31, v13
	v_or_b32_e32 v15, 0x80000000, v14
	v_xor_b32_e32 v12, v14, v12
	v_xor_b32_e32 v13, v15, v13
	v_cmp_gt_u64_e32 vcc, v[0:1], v[12:13]
	s_nop 1
	v_cndmask_b32_e64 v14, 0, 1, vcc
	v_cmp_le_u64_e32 vcc, v[12:13], v[0:1]
	s_nop 1
	v_cndmask_b32_e64 v12, 0, 1, vcc
	v_cndmask_b32_e64 v12, v12, v14, s[0:1]
	v_and_b32_e32 v12, 1, v12
	v_cmp_eq_u32_e32 vcc, 1, v12
	s_nop 1
	v_cndmask_b32_e32 v10, v6, v10, vcc
	v_cndmask_b32_e32 v9, v9, v11, vcc
	v_cmp_ge_u32_e32 vcc, v9, v10
	s_or_b64 s[4:5], vcc, s[4:5]
	s_andn2_b64 exec, exec, s[4:5]
	s_cbranch_execnz .LBB65_14
; %bb.15:
	s_or_b64 exec, exec, s[4:5]
.LBB65_16:
	v_add_u32_e32 v6, v9, v8
	v_mov_b32_e32 v7, 0
	v_lshlrev_b64 v[6:7], 3, v[6:7]
	v_lshl_add_u64 v[10:11], s[10:11], 0, v[6:7]
	v_lshl_add_u64 v[6:7], s[14:15], 0, v[6:7]
	global_store_dwordx2 v[10:11], v[4:5], off
	global_store_dwordx2 v[6:7], v[2:3], off
.LBB65_17:
	s_or_b64 exec, exec, s[2:3]
	s_mov_b64 s[2:3], 0
.LBB65_18:
	s_andn2_b64 vcc, exec, s[2:3]
	s_cbranch_vccnz .LBB65_24
; %bb.19:
	s_cmp_ge_u32 s12, s16
	v_mov_b32_e32 v9, s13
	s_cbranch_scc1 .LBB65_23
; %bb.20:
	s_mov_b64 s[2:3], 0
	v_mov_b32_e32 v10, s16
	v_mov_b32_e32 v9, s13
	;; [unrolled: 1-line block ×3, first 2 shown]
.LBB65_21:                              ; =>This Inner Loop Header: Depth=1
	v_add_u32_e32 v6, v9, v10
	v_lshrrev_b32_e32 v6, 1, v6
	v_lshl_add_u64 v[12:13], v[6:7], 3, s[8:9]
	global_load_dwordx2 v[12:13], v[12:13], off
	v_add_u32_e32 v11, 1, v6
	s_waitcnt vmcnt(0)
	v_add_f64 v[12:13], v[12:13], 0
	v_ashrrev_i32_e32 v14, 31, v13
	v_or_b32_e32 v15, 0x80000000, v14
	v_xor_b32_e32 v12, v14, v12
	v_xor_b32_e32 v13, v15, v13
	v_cmp_gt_u64_e32 vcc, v[0:1], v[12:13]
	s_nop 1
	v_cndmask_b32_e64 v14, 0, 1, vcc
	v_cmp_le_u64_e32 vcc, v[12:13], v[0:1]
	s_nop 1
	v_cndmask_b32_e64 v12, 0, 1, vcc
	v_cndmask_b32_e64 v12, v12, v14, s[0:1]
	v_and_b32_e32 v12, 1, v12
	v_cmp_eq_u32_e32 vcc, 1, v12
	s_nop 1
	v_cndmask_b32_e32 v10, v6, v10, vcc
	v_cndmask_b32_e32 v9, v9, v11, vcc
	v_cmp_ge_u32_e32 vcc, v9, v10
	s_or_b64 s[2:3], vcc, s[2:3]
	s_andn2_b64 exec, exec, s[2:3]
	s_cbranch_execnz .LBB65_21
; %bb.22:
	s_or_b64 exec, exec, s[2:3]
.LBB65_23:
	v_add_u32_e32 v0, v9, v8
	v_mov_b32_e32 v1, 0
	v_lshlrev_b64 v[0:1], 3, v[0:1]
	v_lshl_add_u64 v[6:7], s[10:11], 0, v[0:1]
	v_lshl_add_u64 v[0:1], s[14:15], 0, v[0:1]
	global_store_dwordx2 v[6:7], v[4:5], off
	global_store_dwordx2 v[0:1], v[2:3], off
.LBB65_24:
	s_endpgm
	.section	.rodata,"a",@progbits
	.p2align	6, 0x0
	.amdhsa_kernel _ZN7rocprim17ROCPRIM_400000_NS6detail17trampoline_kernelINS0_14default_configENS1_38merge_sort_block_merge_config_selectorIddEEZZNS1_27merge_sort_block_merge_implIS3_N6thrust23THRUST_200600_302600_NS6detail15normal_iteratorINS8_10device_ptrIdEEEESD_jNS1_19radix_merge_compareILb0ELb0EdNS0_19identity_decomposerEEEEE10hipError_tT0_T1_T2_jT3_P12ihipStream_tbPNSt15iterator_traitsISI_E10value_typeEPNSO_ISJ_E10value_typeEPSK_NS1_7vsmem_tEENKUlT_SI_SJ_SK_E_clISD_PdSD_S10_EESH_SX_SI_SJ_SK_EUlSX_E1_NS1_11comp_targetILNS1_3genE0ELNS1_11target_archE4294967295ELNS1_3gpuE0ELNS1_3repE0EEENS1_36merge_oddeven_config_static_selectorELNS0_4arch9wavefront6targetE1EEEvSJ_
		.amdhsa_group_segment_fixed_size 0
		.amdhsa_private_segment_fixed_size 0
		.amdhsa_kernarg_size 48
		.amdhsa_user_sgpr_count 2
		.amdhsa_user_sgpr_dispatch_ptr 0
		.amdhsa_user_sgpr_queue_ptr 0
		.amdhsa_user_sgpr_kernarg_segment_ptr 1
		.amdhsa_user_sgpr_dispatch_id 0
		.amdhsa_user_sgpr_kernarg_preload_length 0
		.amdhsa_user_sgpr_kernarg_preload_offset 0
		.amdhsa_user_sgpr_private_segment_size 0
		.amdhsa_uses_dynamic_stack 0
		.amdhsa_enable_private_segment 0
		.amdhsa_system_sgpr_workgroup_id_x 1
		.amdhsa_system_sgpr_workgroup_id_y 0
		.amdhsa_system_sgpr_workgroup_id_z 0
		.amdhsa_system_sgpr_workgroup_info 0
		.amdhsa_system_vgpr_workitem_id 0
		.amdhsa_next_free_vgpr 16
		.amdhsa_next_free_sgpr 24
		.amdhsa_accum_offset 16
		.amdhsa_reserve_vcc 1
		.amdhsa_float_round_mode_32 0
		.amdhsa_float_round_mode_16_64 0
		.amdhsa_float_denorm_mode_32 3
		.amdhsa_float_denorm_mode_16_64 3
		.amdhsa_dx10_clamp 1
		.amdhsa_ieee_mode 1
		.amdhsa_fp16_overflow 0
		.amdhsa_tg_split 0
		.amdhsa_exception_fp_ieee_invalid_op 0
		.amdhsa_exception_fp_denorm_src 0
		.amdhsa_exception_fp_ieee_div_zero 0
		.amdhsa_exception_fp_ieee_overflow 0
		.amdhsa_exception_fp_ieee_underflow 0
		.amdhsa_exception_fp_ieee_inexact 0
		.amdhsa_exception_int_div_zero 0
	.end_amdhsa_kernel
	.section	.text._ZN7rocprim17ROCPRIM_400000_NS6detail17trampoline_kernelINS0_14default_configENS1_38merge_sort_block_merge_config_selectorIddEEZZNS1_27merge_sort_block_merge_implIS3_N6thrust23THRUST_200600_302600_NS6detail15normal_iteratorINS8_10device_ptrIdEEEESD_jNS1_19radix_merge_compareILb0ELb0EdNS0_19identity_decomposerEEEEE10hipError_tT0_T1_T2_jT3_P12ihipStream_tbPNSt15iterator_traitsISI_E10value_typeEPNSO_ISJ_E10value_typeEPSK_NS1_7vsmem_tEENKUlT_SI_SJ_SK_E_clISD_PdSD_S10_EESH_SX_SI_SJ_SK_EUlSX_E1_NS1_11comp_targetILNS1_3genE0ELNS1_11target_archE4294967295ELNS1_3gpuE0ELNS1_3repE0EEENS1_36merge_oddeven_config_static_selectorELNS0_4arch9wavefront6targetE1EEEvSJ_,"axG",@progbits,_ZN7rocprim17ROCPRIM_400000_NS6detail17trampoline_kernelINS0_14default_configENS1_38merge_sort_block_merge_config_selectorIddEEZZNS1_27merge_sort_block_merge_implIS3_N6thrust23THRUST_200600_302600_NS6detail15normal_iteratorINS8_10device_ptrIdEEEESD_jNS1_19radix_merge_compareILb0ELb0EdNS0_19identity_decomposerEEEEE10hipError_tT0_T1_T2_jT3_P12ihipStream_tbPNSt15iterator_traitsISI_E10value_typeEPNSO_ISJ_E10value_typeEPSK_NS1_7vsmem_tEENKUlT_SI_SJ_SK_E_clISD_PdSD_S10_EESH_SX_SI_SJ_SK_EUlSX_E1_NS1_11comp_targetILNS1_3genE0ELNS1_11target_archE4294967295ELNS1_3gpuE0ELNS1_3repE0EEENS1_36merge_oddeven_config_static_selectorELNS0_4arch9wavefront6targetE1EEEvSJ_,comdat
.Lfunc_end65:
	.size	_ZN7rocprim17ROCPRIM_400000_NS6detail17trampoline_kernelINS0_14default_configENS1_38merge_sort_block_merge_config_selectorIddEEZZNS1_27merge_sort_block_merge_implIS3_N6thrust23THRUST_200600_302600_NS6detail15normal_iteratorINS8_10device_ptrIdEEEESD_jNS1_19radix_merge_compareILb0ELb0EdNS0_19identity_decomposerEEEEE10hipError_tT0_T1_T2_jT3_P12ihipStream_tbPNSt15iterator_traitsISI_E10value_typeEPNSO_ISJ_E10value_typeEPSK_NS1_7vsmem_tEENKUlT_SI_SJ_SK_E_clISD_PdSD_S10_EESH_SX_SI_SJ_SK_EUlSX_E1_NS1_11comp_targetILNS1_3genE0ELNS1_11target_archE4294967295ELNS1_3gpuE0ELNS1_3repE0EEENS1_36merge_oddeven_config_static_selectorELNS0_4arch9wavefront6targetE1EEEvSJ_, .Lfunc_end65-_ZN7rocprim17ROCPRIM_400000_NS6detail17trampoline_kernelINS0_14default_configENS1_38merge_sort_block_merge_config_selectorIddEEZZNS1_27merge_sort_block_merge_implIS3_N6thrust23THRUST_200600_302600_NS6detail15normal_iteratorINS8_10device_ptrIdEEEESD_jNS1_19radix_merge_compareILb0ELb0EdNS0_19identity_decomposerEEEEE10hipError_tT0_T1_T2_jT3_P12ihipStream_tbPNSt15iterator_traitsISI_E10value_typeEPNSO_ISJ_E10value_typeEPSK_NS1_7vsmem_tEENKUlT_SI_SJ_SK_E_clISD_PdSD_S10_EESH_SX_SI_SJ_SK_EUlSX_E1_NS1_11comp_targetILNS1_3genE0ELNS1_11target_archE4294967295ELNS1_3gpuE0ELNS1_3repE0EEENS1_36merge_oddeven_config_static_selectorELNS0_4arch9wavefront6targetE1EEEvSJ_
                                        ; -- End function
	.set _ZN7rocprim17ROCPRIM_400000_NS6detail17trampoline_kernelINS0_14default_configENS1_38merge_sort_block_merge_config_selectorIddEEZZNS1_27merge_sort_block_merge_implIS3_N6thrust23THRUST_200600_302600_NS6detail15normal_iteratorINS8_10device_ptrIdEEEESD_jNS1_19radix_merge_compareILb0ELb0EdNS0_19identity_decomposerEEEEE10hipError_tT0_T1_T2_jT3_P12ihipStream_tbPNSt15iterator_traitsISI_E10value_typeEPNSO_ISJ_E10value_typeEPSK_NS1_7vsmem_tEENKUlT_SI_SJ_SK_E_clISD_PdSD_S10_EESH_SX_SI_SJ_SK_EUlSX_E1_NS1_11comp_targetILNS1_3genE0ELNS1_11target_archE4294967295ELNS1_3gpuE0ELNS1_3repE0EEENS1_36merge_oddeven_config_static_selectorELNS0_4arch9wavefront6targetE1EEEvSJ_.num_vgpr, 16
	.set _ZN7rocprim17ROCPRIM_400000_NS6detail17trampoline_kernelINS0_14default_configENS1_38merge_sort_block_merge_config_selectorIddEEZZNS1_27merge_sort_block_merge_implIS3_N6thrust23THRUST_200600_302600_NS6detail15normal_iteratorINS8_10device_ptrIdEEEESD_jNS1_19radix_merge_compareILb0ELb0EdNS0_19identity_decomposerEEEEE10hipError_tT0_T1_T2_jT3_P12ihipStream_tbPNSt15iterator_traitsISI_E10value_typeEPNSO_ISJ_E10value_typeEPSK_NS1_7vsmem_tEENKUlT_SI_SJ_SK_E_clISD_PdSD_S10_EESH_SX_SI_SJ_SK_EUlSX_E1_NS1_11comp_targetILNS1_3genE0ELNS1_11target_archE4294967295ELNS1_3gpuE0ELNS1_3repE0EEENS1_36merge_oddeven_config_static_selectorELNS0_4arch9wavefront6targetE1EEEvSJ_.num_agpr, 0
	.set _ZN7rocprim17ROCPRIM_400000_NS6detail17trampoline_kernelINS0_14default_configENS1_38merge_sort_block_merge_config_selectorIddEEZZNS1_27merge_sort_block_merge_implIS3_N6thrust23THRUST_200600_302600_NS6detail15normal_iteratorINS8_10device_ptrIdEEEESD_jNS1_19radix_merge_compareILb0ELb0EdNS0_19identity_decomposerEEEEE10hipError_tT0_T1_T2_jT3_P12ihipStream_tbPNSt15iterator_traitsISI_E10value_typeEPNSO_ISJ_E10value_typeEPSK_NS1_7vsmem_tEENKUlT_SI_SJ_SK_E_clISD_PdSD_S10_EESH_SX_SI_SJ_SK_EUlSX_E1_NS1_11comp_targetILNS1_3genE0ELNS1_11target_archE4294967295ELNS1_3gpuE0ELNS1_3repE0EEENS1_36merge_oddeven_config_static_selectorELNS0_4arch9wavefront6targetE1EEEvSJ_.numbered_sgpr, 24
	.set _ZN7rocprim17ROCPRIM_400000_NS6detail17trampoline_kernelINS0_14default_configENS1_38merge_sort_block_merge_config_selectorIddEEZZNS1_27merge_sort_block_merge_implIS3_N6thrust23THRUST_200600_302600_NS6detail15normal_iteratorINS8_10device_ptrIdEEEESD_jNS1_19radix_merge_compareILb0ELb0EdNS0_19identity_decomposerEEEEE10hipError_tT0_T1_T2_jT3_P12ihipStream_tbPNSt15iterator_traitsISI_E10value_typeEPNSO_ISJ_E10value_typeEPSK_NS1_7vsmem_tEENKUlT_SI_SJ_SK_E_clISD_PdSD_S10_EESH_SX_SI_SJ_SK_EUlSX_E1_NS1_11comp_targetILNS1_3genE0ELNS1_11target_archE4294967295ELNS1_3gpuE0ELNS1_3repE0EEENS1_36merge_oddeven_config_static_selectorELNS0_4arch9wavefront6targetE1EEEvSJ_.num_named_barrier, 0
	.set _ZN7rocprim17ROCPRIM_400000_NS6detail17trampoline_kernelINS0_14default_configENS1_38merge_sort_block_merge_config_selectorIddEEZZNS1_27merge_sort_block_merge_implIS3_N6thrust23THRUST_200600_302600_NS6detail15normal_iteratorINS8_10device_ptrIdEEEESD_jNS1_19radix_merge_compareILb0ELb0EdNS0_19identity_decomposerEEEEE10hipError_tT0_T1_T2_jT3_P12ihipStream_tbPNSt15iterator_traitsISI_E10value_typeEPNSO_ISJ_E10value_typeEPSK_NS1_7vsmem_tEENKUlT_SI_SJ_SK_E_clISD_PdSD_S10_EESH_SX_SI_SJ_SK_EUlSX_E1_NS1_11comp_targetILNS1_3genE0ELNS1_11target_archE4294967295ELNS1_3gpuE0ELNS1_3repE0EEENS1_36merge_oddeven_config_static_selectorELNS0_4arch9wavefront6targetE1EEEvSJ_.private_seg_size, 0
	.set _ZN7rocprim17ROCPRIM_400000_NS6detail17trampoline_kernelINS0_14default_configENS1_38merge_sort_block_merge_config_selectorIddEEZZNS1_27merge_sort_block_merge_implIS3_N6thrust23THRUST_200600_302600_NS6detail15normal_iteratorINS8_10device_ptrIdEEEESD_jNS1_19radix_merge_compareILb0ELb0EdNS0_19identity_decomposerEEEEE10hipError_tT0_T1_T2_jT3_P12ihipStream_tbPNSt15iterator_traitsISI_E10value_typeEPNSO_ISJ_E10value_typeEPSK_NS1_7vsmem_tEENKUlT_SI_SJ_SK_E_clISD_PdSD_S10_EESH_SX_SI_SJ_SK_EUlSX_E1_NS1_11comp_targetILNS1_3genE0ELNS1_11target_archE4294967295ELNS1_3gpuE0ELNS1_3repE0EEENS1_36merge_oddeven_config_static_selectorELNS0_4arch9wavefront6targetE1EEEvSJ_.uses_vcc, 1
	.set _ZN7rocprim17ROCPRIM_400000_NS6detail17trampoline_kernelINS0_14default_configENS1_38merge_sort_block_merge_config_selectorIddEEZZNS1_27merge_sort_block_merge_implIS3_N6thrust23THRUST_200600_302600_NS6detail15normal_iteratorINS8_10device_ptrIdEEEESD_jNS1_19radix_merge_compareILb0ELb0EdNS0_19identity_decomposerEEEEE10hipError_tT0_T1_T2_jT3_P12ihipStream_tbPNSt15iterator_traitsISI_E10value_typeEPNSO_ISJ_E10value_typeEPSK_NS1_7vsmem_tEENKUlT_SI_SJ_SK_E_clISD_PdSD_S10_EESH_SX_SI_SJ_SK_EUlSX_E1_NS1_11comp_targetILNS1_3genE0ELNS1_11target_archE4294967295ELNS1_3gpuE0ELNS1_3repE0EEENS1_36merge_oddeven_config_static_selectorELNS0_4arch9wavefront6targetE1EEEvSJ_.uses_flat_scratch, 0
	.set _ZN7rocprim17ROCPRIM_400000_NS6detail17trampoline_kernelINS0_14default_configENS1_38merge_sort_block_merge_config_selectorIddEEZZNS1_27merge_sort_block_merge_implIS3_N6thrust23THRUST_200600_302600_NS6detail15normal_iteratorINS8_10device_ptrIdEEEESD_jNS1_19radix_merge_compareILb0ELb0EdNS0_19identity_decomposerEEEEE10hipError_tT0_T1_T2_jT3_P12ihipStream_tbPNSt15iterator_traitsISI_E10value_typeEPNSO_ISJ_E10value_typeEPSK_NS1_7vsmem_tEENKUlT_SI_SJ_SK_E_clISD_PdSD_S10_EESH_SX_SI_SJ_SK_EUlSX_E1_NS1_11comp_targetILNS1_3genE0ELNS1_11target_archE4294967295ELNS1_3gpuE0ELNS1_3repE0EEENS1_36merge_oddeven_config_static_selectorELNS0_4arch9wavefront6targetE1EEEvSJ_.has_dyn_sized_stack, 0
	.set _ZN7rocprim17ROCPRIM_400000_NS6detail17trampoline_kernelINS0_14default_configENS1_38merge_sort_block_merge_config_selectorIddEEZZNS1_27merge_sort_block_merge_implIS3_N6thrust23THRUST_200600_302600_NS6detail15normal_iteratorINS8_10device_ptrIdEEEESD_jNS1_19radix_merge_compareILb0ELb0EdNS0_19identity_decomposerEEEEE10hipError_tT0_T1_T2_jT3_P12ihipStream_tbPNSt15iterator_traitsISI_E10value_typeEPNSO_ISJ_E10value_typeEPSK_NS1_7vsmem_tEENKUlT_SI_SJ_SK_E_clISD_PdSD_S10_EESH_SX_SI_SJ_SK_EUlSX_E1_NS1_11comp_targetILNS1_3genE0ELNS1_11target_archE4294967295ELNS1_3gpuE0ELNS1_3repE0EEENS1_36merge_oddeven_config_static_selectorELNS0_4arch9wavefront6targetE1EEEvSJ_.has_recursion, 0
	.set _ZN7rocprim17ROCPRIM_400000_NS6detail17trampoline_kernelINS0_14default_configENS1_38merge_sort_block_merge_config_selectorIddEEZZNS1_27merge_sort_block_merge_implIS3_N6thrust23THRUST_200600_302600_NS6detail15normal_iteratorINS8_10device_ptrIdEEEESD_jNS1_19radix_merge_compareILb0ELb0EdNS0_19identity_decomposerEEEEE10hipError_tT0_T1_T2_jT3_P12ihipStream_tbPNSt15iterator_traitsISI_E10value_typeEPNSO_ISJ_E10value_typeEPSK_NS1_7vsmem_tEENKUlT_SI_SJ_SK_E_clISD_PdSD_S10_EESH_SX_SI_SJ_SK_EUlSX_E1_NS1_11comp_targetILNS1_3genE0ELNS1_11target_archE4294967295ELNS1_3gpuE0ELNS1_3repE0EEENS1_36merge_oddeven_config_static_selectorELNS0_4arch9wavefront6targetE1EEEvSJ_.has_indirect_call, 0
	.section	.AMDGPU.csdata,"",@progbits
; Kernel info:
; codeLenInByte = 860
; TotalNumSgprs: 30
; NumVgprs: 16
; NumAgprs: 0
; TotalNumVgprs: 16
; ScratchSize: 0
; MemoryBound: 0
; FloatMode: 240
; IeeeMode: 1
; LDSByteSize: 0 bytes/workgroup (compile time only)
; SGPRBlocks: 3
; VGPRBlocks: 1
; NumSGPRsForWavesPerEU: 30
; NumVGPRsForWavesPerEU: 16
; AccumOffset: 16
; Occupancy: 8
; WaveLimiterHint : 0
; COMPUTE_PGM_RSRC2:SCRATCH_EN: 0
; COMPUTE_PGM_RSRC2:USER_SGPR: 2
; COMPUTE_PGM_RSRC2:TRAP_HANDLER: 0
; COMPUTE_PGM_RSRC2:TGID_X_EN: 1
; COMPUTE_PGM_RSRC2:TGID_Y_EN: 0
; COMPUTE_PGM_RSRC2:TGID_Z_EN: 0
; COMPUTE_PGM_RSRC2:TIDIG_COMP_CNT: 0
; COMPUTE_PGM_RSRC3_GFX90A:ACCUM_OFFSET: 3
; COMPUTE_PGM_RSRC3_GFX90A:TG_SPLIT: 0
	.section	.text._ZN7rocprim17ROCPRIM_400000_NS6detail17trampoline_kernelINS0_14default_configENS1_38merge_sort_block_merge_config_selectorIddEEZZNS1_27merge_sort_block_merge_implIS3_N6thrust23THRUST_200600_302600_NS6detail15normal_iteratorINS8_10device_ptrIdEEEESD_jNS1_19radix_merge_compareILb0ELb0EdNS0_19identity_decomposerEEEEE10hipError_tT0_T1_T2_jT3_P12ihipStream_tbPNSt15iterator_traitsISI_E10value_typeEPNSO_ISJ_E10value_typeEPSK_NS1_7vsmem_tEENKUlT_SI_SJ_SK_E_clISD_PdSD_S10_EESH_SX_SI_SJ_SK_EUlSX_E1_NS1_11comp_targetILNS1_3genE10ELNS1_11target_archE1201ELNS1_3gpuE5ELNS1_3repE0EEENS1_36merge_oddeven_config_static_selectorELNS0_4arch9wavefront6targetE1EEEvSJ_,"axG",@progbits,_ZN7rocprim17ROCPRIM_400000_NS6detail17trampoline_kernelINS0_14default_configENS1_38merge_sort_block_merge_config_selectorIddEEZZNS1_27merge_sort_block_merge_implIS3_N6thrust23THRUST_200600_302600_NS6detail15normal_iteratorINS8_10device_ptrIdEEEESD_jNS1_19radix_merge_compareILb0ELb0EdNS0_19identity_decomposerEEEEE10hipError_tT0_T1_T2_jT3_P12ihipStream_tbPNSt15iterator_traitsISI_E10value_typeEPNSO_ISJ_E10value_typeEPSK_NS1_7vsmem_tEENKUlT_SI_SJ_SK_E_clISD_PdSD_S10_EESH_SX_SI_SJ_SK_EUlSX_E1_NS1_11comp_targetILNS1_3genE10ELNS1_11target_archE1201ELNS1_3gpuE5ELNS1_3repE0EEENS1_36merge_oddeven_config_static_selectorELNS0_4arch9wavefront6targetE1EEEvSJ_,comdat
	.protected	_ZN7rocprim17ROCPRIM_400000_NS6detail17trampoline_kernelINS0_14default_configENS1_38merge_sort_block_merge_config_selectorIddEEZZNS1_27merge_sort_block_merge_implIS3_N6thrust23THRUST_200600_302600_NS6detail15normal_iteratorINS8_10device_ptrIdEEEESD_jNS1_19radix_merge_compareILb0ELb0EdNS0_19identity_decomposerEEEEE10hipError_tT0_T1_T2_jT3_P12ihipStream_tbPNSt15iterator_traitsISI_E10value_typeEPNSO_ISJ_E10value_typeEPSK_NS1_7vsmem_tEENKUlT_SI_SJ_SK_E_clISD_PdSD_S10_EESH_SX_SI_SJ_SK_EUlSX_E1_NS1_11comp_targetILNS1_3genE10ELNS1_11target_archE1201ELNS1_3gpuE5ELNS1_3repE0EEENS1_36merge_oddeven_config_static_selectorELNS0_4arch9wavefront6targetE1EEEvSJ_ ; -- Begin function _ZN7rocprim17ROCPRIM_400000_NS6detail17trampoline_kernelINS0_14default_configENS1_38merge_sort_block_merge_config_selectorIddEEZZNS1_27merge_sort_block_merge_implIS3_N6thrust23THRUST_200600_302600_NS6detail15normal_iteratorINS8_10device_ptrIdEEEESD_jNS1_19radix_merge_compareILb0ELb0EdNS0_19identity_decomposerEEEEE10hipError_tT0_T1_T2_jT3_P12ihipStream_tbPNSt15iterator_traitsISI_E10value_typeEPNSO_ISJ_E10value_typeEPSK_NS1_7vsmem_tEENKUlT_SI_SJ_SK_E_clISD_PdSD_S10_EESH_SX_SI_SJ_SK_EUlSX_E1_NS1_11comp_targetILNS1_3genE10ELNS1_11target_archE1201ELNS1_3gpuE5ELNS1_3repE0EEENS1_36merge_oddeven_config_static_selectorELNS0_4arch9wavefront6targetE1EEEvSJ_
	.globl	_ZN7rocprim17ROCPRIM_400000_NS6detail17trampoline_kernelINS0_14default_configENS1_38merge_sort_block_merge_config_selectorIddEEZZNS1_27merge_sort_block_merge_implIS3_N6thrust23THRUST_200600_302600_NS6detail15normal_iteratorINS8_10device_ptrIdEEEESD_jNS1_19radix_merge_compareILb0ELb0EdNS0_19identity_decomposerEEEEE10hipError_tT0_T1_T2_jT3_P12ihipStream_tbPNSt15iterator_traitsISI_E10value_typeEPNSO_ISJ_E10value_typeEPSK_NS1_7vsmem_tEENKUlT_SI_SJ_SK_E_clISD_PdSD_S10_EESH_SX_SI_SJ_SK_EUlSX_E1_NS1_11comp_targetILNS1_3genE10ELNS1_11target_archE1201ELNS1_3gpuE5ELNS1_3repE0EEENS1_36merge_oddeven_config_static_selectorELNS0_4arch9wavefront6targetE1EEEvSJ_
	.p2align	8
	.type	_ZN7rocprim17ROCPRIM_400000_NS6detail17trampoline_kernelINS0_14default_configENS1_38merge_sort_block_merge_config_selectorIddEEZZNS1_27merge_sort_block_merge_implIS3_N6thrust23THRUST_200600_302600_NS6detail15normal_iteratorINS8_10device_ptrIdEEEESD_jNS1_19radix_merge_compareILb0ELb0EdNS0_19identity_decomposerEEEEE10hipError_tT0_T1_T2_jT3_P12ihipStream_tbPNSt15iterator_traitsISI_E10value_typeEPNSO_ISJ_E10value_typeEPSK_NS1_7vsmem_tEENKUlT_SI_SJ_SK_E_clISD_PdSD_S10_EESH_SX_SI_SJ_SK_EUlSX_E1_NS1_11comp_targetILNS1_3genE10ELNS1_11target_archE1201ELNS1_3gpuE5ELNS1_3repE0EEENS1_36merge_oddeven_config_static_selectorELNS0_4arch9wavefront6targetE1EEEvSJ_,@function
_ZN7rocprim17ROCPRIM_400000_NS6detail17trampoline_kernelINS0_14default_configENS1_38merge_sort_block_merge_config_selectorIddEEZZNS1_27merge_sort_block_merge_implIS3_N6thrust23THRUST_200600_302600_NS6detail15normal_iteratorINS8_10device_ptrIdEEEESD_jNS1_19radix_merge_compareILb0ELb0EdNS0_19identity_decomposerEEEEE10hipError_tT0_T1_T2_jT3_P12ihipStream_tbPNSt15iterator_traitsISI_E10value_typeEPNSO_ISJ_E10value_typeEPSK_NS1_7vsmem_tEENKUlT_SI_SJ_SK_E_clISD_PdSD_S10_EESH_SX_SI_SJ_SK_EUlSX_E1_NS1_11comp_targetILNS1_3genE10ELNS1_11target_archE1201ELNS1_3gpuE5ELNS1_3repE0EEENS1_36merge_oddeven_config_static_selectorELNS0_4arch9wavefront6targetE1EEEvSJ_: ; @_ZN7rocprim17ROCPRIM_400000_NS6detail17trampoline_kernelINS0_14default_configENS1_38merge_sort_block_merge_config_selectorIddEEZZNS1_27merge_sort_block_merge_implIS3_N6thrust23THRUST_200600_302600_NS6detail15normal_iteratorINS8_10device_ptrIdEEEESD_jNS1_19radix_merge_compareILb0ELb0EdNS0_19identity_decomposerEEEEE10hipError_tT0_T1_T2_jT3_P12ihipStream_tbPNSt15iterator_traitsISI_E10value_typeEPNSO_ISJ_E10value_typeEPSK_NS1_7vsmem_tEENKUlT_SI_SJ_SK_E_clISD_PdSD_S10_EESH_SX_SI_SJ_SK_EUlSX_E1_NS1_11comp_targetILNS1_3genE10ELNS1_11target_archE1201ELNS1_3gpuE5ELNS1_3repE0EEENS1_36merge_oddeven_config_static_selectorELNS0_4arch9wavefront6targetE1EEEvSJ_
; %bb.0:
	.section	.rodata,"a",@progbits
	.p2align	6, 0x0
	.amdhsa_kernel _ZN7rocprim17ROCPRIM_400000_NS6detail17trampoline_kernelINS0_14default_configENS1_38merge_sort_block_merge_config_selectorIddEEZZNS1_27merge_sort_block_merge_implIS3_N6thrust23THRUST_200600_302600_NS6detail15normal_iteratorINS8_10device_ptrIdEEEESD_jNS1_19radix_merge_compareILb0ELb0EdNS0_19identity_decomposerEEEEE10hipError_tT0_T1_T2_jT3_P12ihipStream_tbPNSt15iterator_traitsISI_E10value_typeEPNSO_ISJ_E10value_typeEPSK_NS1_7vsmem_tEENKUlT_SI_SJ_SK_E_clISD_PdSD_S10_EESH_SX_SI_SJ_SK_EUlSX_E1_NS1_11comp_targetILNS1_3genE10ELNS1_11target_archE1201ELNS1_3gpuE5ELNS1_3repE0EEENS1_36merge_oddeven_config_static_selectorELNS0_4arch9wavefront6targetE1EEEvSJ_
		.amdhsa_group_segment_fixed_size 0
		.amdhsa_private_segment_fixed_size 0
		.amdhsa_kernarg_size 48
		.amdhsa_user_sgpr_count 2
		.amdhsa_user_sgpr_dispatch_ptr 0
		.amdhsa_user_sgpr_queue_ptr 0
		.amdhsa_user_sgpr_kernarg_segment_ptr 1
		.amdhsa_user_sgpr_dispatch_id 0
		.amdhsa_user_sgpr_kernarg_preload_length 0
		.amdhsa_user_sgpr_kernarg_preload_offset 0
		.amdhsa_user_sgpr_private_segment_size 0
		.amdhsa_uses_dynamic_stack 0
		.amdhsa_enable_private_segment 0
		.amdhsa_system_sgpr_workgroup_id_x 1
		.amdhsa_system_sgpr_workgroup_id_y 0
		.amdhsa_system_sgpr_workgroup_id_z 0
		.amdhsa_system_sgpr_workgroup_info 0
		.amdhsa_system_vgpr_workitem_id 0
		.amdhsa_next_free_vgpr 1
		.amdhsa_next_free_sgpr 0
		.amdhsa_accum_offset 4
		.amdhsa_reserve_vcc 0
		.amdhsa_float_round_mode_32 0
		.amdhsa_float_round_mode_16_64 0
		.amdhsa_float_denorm_mode_32 3
		.amdhsa_float_denorm_mode_16_64 3
		.amdhsa_dx10_clamp 1
		.amdhsa_ieee_mode 1
		.amdhsa_fp16_overflow 0
		.amdhsa_tg_split 0
		.amdhsa_exception_fp_ieee_invalid_op 0
		.amdhsa_exception_fp_denorm_src 0
		.amdhsa_exception_fp_ieee_div_zero 0
		.amdhsa_exception_fp_ieee_overflow 0
		.amdhsa_exception_fp_ieee_underflow 0
		.amdhsa_exception_fp_ieee_inexact 0
		.amdhsa_exception_int_div_zero 0
	.end_amdhsa_kernel
	.section	.text._ZN7rocprim17ROCPRIM_400000_NS6detail17trampoline_kernelINS0_14default_configENS1_38merge_sort_block_merge_config_selectorIddEEZZNS1_27merge_sort_block_merge_implIS3_N6thrust23THRUST_200600_302600_NS6detail15normal_iteratorINS8_10device_ptrIdEEEESD_jNS1_19radix_merge_compareILb0ELb0EdNS0_19identity_decomposerEEEEE10hipError_tT0_T1_T2_jT3_P12ihipStream_tbPNSt15iterator_traitsISI_E10value_typeEPNSO_ISJ_E10value_typeEPSK_NS1_7vsmem_tEENKUlT_SI_SJ_SK_E_clISD_PdSD_S10_EESH_SX_SI_SJ_SK_EUlSX_E1_NS1_11comp_targetILNS1_3genE10ELNS1_11target_archE1201ELNS1_3gpuE5ELNS1_3repE0EEENS1_36merge_oddeven_config_static_selectorELNS0_4arch9wavefront6targetE1EEEvSJ_,"axG",@progbits,_ZN7rocprim17ROCPRIM_400000_NS6detail17trampoline_kernelINS0_14default_configENS1_38merge_sort_block_merge_config_selectorIddEEZZNS1_27merge_sort_block_merge_implIS3_N6thrust23THRUST_200600_302600_NS6detail15normal_iteratorINS8_10device_ptrIdEEEESD_jNS1_19radix_merge_compareILb0ELb0EdNS0_19identity_decomposerEEEEE10hipError_tT0_T1_T2_jT3_P12ihipStream_tbPNSt15iterator_traitsISI_E10value_typeEPNSO_ISJ_E10value_typeEPSK_NS1_7vsmem_tEENKUlT_SI_SJ_SK_E_clISD_PdSD_S10_EESH_SX_SI_SJ_SK_EUlSX_E1_NS1_11comp_targetILNS1_3genE10ELNS1_11target_archE1201ELNS1_3gpuE5ELNS1_3repE0EEENS1_36merge_oddeven_config_static_selectorELNS0_4arch9wavefront6targetE1EEEvSJ_,comdat
.Lfunc_end66:
	.size	_ZN7rocprim17ROCPRIM_400000_NS6detail17trampoline_kernelINS0_14default_configENS1_38merge_sort_block_merge_config_selectorIddEEZZNS1_27merge_sort_block_merge_implIS3_N6thrust23THRUST_200600_302600_NS6detail15normal_iteratorINS8_10device_ptrIdEEEESD_jNS1_19radix_merge_compareILb0ELb0EdNS0_19identity_decomposerEEEEE10hipError_tT0_T1_T2_jT3_P12ihipStream_tbPNSt15iterator_traitsISI_E10value_typeEPNSO_ISJ_E10value_typeEPSK_NS1_7vsmem_tEENKUlT_SI_SJ_SK_E_clISD_PdSD_S10_EESH_SX_SI_SJ_SK_EUlSX_E1_NS1_11comp_targetILNS1_3genE10ELNS1_11target_archE1201ELNS1_3gpuE5ELNS1_3repE0EEENS1_36merge_oddeven_config_static_selectorELNS0_4arch9wavefront6targetE1EEEvSJ_, .Lfunc_end66-_ZN7rocprim17ROCPRIM_400000_NS6detail17trampoline_kernelINS0_14default_configENS1_38merge_sort_block_merge_config_selectorIddEEZZNS1_27merge_sort_block_merge_implIS3_N6thrust23THRUST_200600_302600_NS6detail15normal_iteratorINS8_10device_ptrIdEEEESD_jNS1_19radix_merge_compareILb0ELb0EdNS0_19identity_decomposerEEEEE10hipError_tT0_T1_T2_jT3_P12ihipStream_tbPNSt15iterator_traitsISI_E10value_typeEPNSO_ISJ_E10value_typeEPSK_NS1_7vsmem_tEENKUlT_SI_SJ_SK_E_clISD_PdSD_S10_EESH_SX_SI_SJ_SK_EUlSX_E1_NS1_11comp_targetILNS1_3genE10ELNS1_11target_archE1201ELNS1_3gpuE5ELNS1_3repE0EEENS1_36merge_oddeven_config_static_selectorELNS0_4arch9wavefront6targetE1EEEvSJ_
                                        ; -- End function
	.set _ZN7rocprim17ROCPRIM_400000_NS6detail17trampoline_kernelINS0_14default_configENS1_38merge_sort_block_merge_config_selectorIddEEZZNS1_27merge_sort_block_merge_implIS3_N6thrust23THRUST_200600_302600_NS6detail15normal_iteratorINS8_10device_ptrIdEEEESD_jNS1_19radix_merge_compareILb0ELb0EdNS0_19identity_decomposerEEEEE10hipError_tT0_T1_T2_jT3_P12ihipStream_tbPNSt15iterator_traitsISI_E10value_typeEPNSO_ISJ_E10value_typeEPSK_NS1_7vsmem_tEENKUlT_SI_SJ_SK_E_clISD_PdSD_S10_EESH_SX_SI_SJ_SK_EUlSX_E1_NS1_11comp_targetILNS1_3genE10ELNS1_11target_archE1201ELNS1_3gpuE5ELNS1_3repE0EEENS1_36merge_oddeven_config_static_selectorELNS0_4arch9wavefront6targetE1EEEvSJ_.num_vgpr, 0
	.set _ZN7rocprim17ROCPRIM_400000_NS6detail17trampoline_kernelINS0_14default_configENS1_38merge_sort_block_merge_config_selectorIddEEZZNS1_27merge_sort_block_merge_implIS3_N6thrust23THRUST_200600_302600_NS6detail15normal_iteratorINS8_10device_ptrIdEEEESD_jNS1_19radix_merge_compareILb0ELb0EdNS0_19identity_decomposerEEEEE10hipError_tT0_T1_T2_jT3_P12ihipStream_tbPNSt15iterator_traitsISI_E10value_typeEPNSO_ISJ_E10value_typeEPSK_NS1_7vsmem_tEENKUlT_SI_SJ_SK_E_clISD_PdSD_S10_EESH_SX_SI_SJ_SK_EUlSX_E1_NS1_11comp_targetILNS1_3genE10ELNS1_11target_archE1201ELNS1_3gpuE5ELNS1_3repE0EEENS1_36merge_oddeven_config_static_selectorELNS0_4arch9wavefront6targetE1EEEvSJ_.num_agpr, 0
	.set _ZN7rocprim17ROCPRIM_400000_NS6detail17trampoline_kernelINS0_14default_configENS1_38merge_sort_block_merge_config_selectorIddEEZZNS1_27merge_sort_block_merge_implIS3_N6thrust23THRUST_200600_302600_NS6detail15normal_iteratorINS8_10device_ptrIdEEEESD_jNS1_19radix_merge_compareILb0ELb0EdNS0_19identity_decomposerEEEEE10hipError_tT0_T1_T2_jT3_P12ihipStream_tbPNSt15iterator_traitsISI_E10value_typeEPNSO_ISJ_E10value_typeEPSK_NS1_7vsmem_tEENKUlT_SI_SJ_SK_E_clISD_PdSD_S10_EESH_SX_SI_SJ_SK_EUlSX_E1_NS1_11comp_targetILNS1_3genE10ELNS1_11target_archE1201ELNS1_3gpuE5ELNS1_3repE0EEENS1_36merge_oddeven_config_static_selectorELNS0_4arch9wavefront6targetE1EEEvSJ_.numbered_sgpr, 0
	.set _ZN7rocprim17ROCPRIM_400000_NS6detail17trampoline_kernelINS0_14default_configENS1_38merge_sort_block_merge_config_selectorIddEEZZNS1_27merge_sort_block_merge_implIS3_N6thrust23THRUST_200600_302600_NS6detail15normal_iteratorINS8_10device_ptrIdEEEESD_jNS1_19radix_merge_compareILb0ELb0EdNS0_19identity_decomposerEEEEE10hipError_tT0_T1_T2_jT3_P12ihipStream_tbPNSt15iterator_traitsISI_E10value_typeEPNSO_ISJ_E10value_typeEPSK_NS1_7vsmem_tEENKUlT_SI_SJ_SK_E_clISD_PdSD_S10_EESH_SX_SI_SJ_SK_EUlSX_E1_NS1_11comp_targetILNS1_3genE10ELNS1_11target_archE1201ELNS1_3gpuE5ELNS1_3repE0EEENS1_36merge_oddeven_config_static_selectorELNS0_4arch9wavefront6targetE1EEEvSJ_.num_named_barrier, 0
	.set _ZN7rocprim17ROCPRIM_400000_NS6detail17trampoline_kernelINS0_14default_configENS1_38merge_sort_block_merge_config_selectorIddEEZZNS1_27merge_sort_block_merge_implIS3_N6thrust23THRUST_200600_302600_NS6detail15normal_iteratorINS8_10device_ptrIdEEEESD_jNS1_19radix_merge_compareILb0ELb0EdNS0_19identity_decomposerEEEEE10hipError_tT0_T1_T2_jT3_P12ihipStream_tbPNSt15iterator_traitsISI_E10value_typeEPNSO_ISJ_E10value_typeEPSK_NS1_7vsmem_tEENKUlT_SI_SJ_SK_E_clISD_PdSD_S10_EESH_SX_SI_SJ_SK_EUlSX_E1_NS1_11comp_targetILNS1_3genE10ELNS1_11target_archE1201ELNS1_3gpuE5ELNS1_3repE0EEENS1_36merge_oddeven_config_static_selectorELNS0_4arch9wavefront6targetE1EEEvSJ_.private_seg_size, 0
	.set _ZN7rocprim17ROCPRIM_400000_NS6detail17trampoline_kernelINS0_14default_configENS1_38merge_sort_block_merge_config_selectorIddEEZZNS1_27merge_sort_block_merge_implIS3_N6thrust23THRUST_200600_302600_NS6detail15normal_iteratorINS8_10device_ptrIdEEEESD_jNS1_19radix_merge_compareILb0ELb0EdNS0_19identity_decomposerEEEEE10hipError_tT0_T1_T2_jT3_P12ihipStream_tbPNSt15iterator_traitsISI_E10value_typeEPNSO_ISJ_E10value_typeEPSK_NS1_7vsmem_tEENKUlT_SI_SJ_SK_E_clISD_PdSD_S10_EESH_SX_SI_SJ_SK_EUlSX_E1_NS1_11comp_targetILNS1_3genE10ELNS1_11target_archE1201ELNS1_3gpuE5ELNS1_3repE0EEENS1_36merge_oddeven_config_static_selectorELNS0_4arch9wavefront6targetE1EEEvSJ_.uses_vcc, 0
	.set _ZN7rocprim17ROCPRIM_400000_NS6detail17trampoline_kernelINS0_14default_configENS1_38merge_sort_block_merge_config_selectorIddEEZZNS1_27merge_sort_block_merge_implIS3_N6thrust23THRUST_200600_302600_NS6detail15normal_iteratorINS8_10device_ptrIdEEEESD_jNS1_19radix_merge_compareILb0ELb0EdNS0_19identity_decomposerEEEEE10hipError_tT0_T1_T2_jT3_P12ihipStream_tbPNSt15iterator_traitsISI_E10value_typeEPNSO_ISJ_E10value_typeEPSK_NS1_7vsmem_tEENKUlT_SI_SJ_SK_E_clISD_PdSD_S10_EESH_SX_SI_SJ_SK_EUlSX_E1_NS1_11comp_targetILNS1_3genE10ELNS1_11target_archE1201ELNS1_3gpuE5ELNS1_3repE0EEENS1_36merge_oddeven_config_static_selectorELNS0_4arch9wavefront6targetE1EEEvSJ_.uses_flat_scratch, 0
	.set _ZN7rocprim17ROCPRIM_400000_NS6detail17trampoline_kernelINS0_14default_configENS1_38merge_sort_block_merge_config_selectorIddEEZZNS1_27merge_sort_block_merge_implIS3_N6thrust23THRUST_200600_302600_NS6detail15normal_iteratorINS8_10device_ptrIdEEEESD_jNS1_19radix_merge_compareILb0ELb0EdNS0_19identity_decomposerEEEEE10hipError_tT0_T1_T2_jT3_P12ihipStream_tbPNSt15iterator_traitsISI_E10value_typeEPNSO_ISJ_E10value_typeEPSK_NS1_7vsmem_tEENKUlT_SI_SJ_SK_E_clISD_PdSD_S10_EESH_SX_SI_SJ_SK_EUlSX_E1_NS1_11comp_targetILNS1_3genE10ELNS1_11target_archE1201ELNS1_3gpuE5ELNS1_3repE0EEENS1_36merge_oddeven_config_static_selectorELNS0_4arch9wavefront6targetE1EEEvSJ_.has_dyn_sized_stack, 0
	.set _ZN7rocprim17ROCPRIM_400000_NS6detail17trampoline_kernelINS0_14default_configENS1_38merge_sort_block_merge_config_selectorIddEEZZNS1_27merge_sort_block_merge_implIS3_N6thrust23THRUST_200600_302600_NS6detail15normal_iteratorINS8_10device_ptrIdEEEESD_jNS1_19radix_merge_compareILb0ELb0EdNS0_19identity_decomposerEEEEE10hipError_tT0_T1_T2_jT3_P12ihipStream_tbPNSt15iterator_traitsISI_E10value_typeEPNSO_ISJ_E10value_typeEPSK_NS1_7vsmem_tEENKUlT_SI_SJ_SK_E_clISD_PdSD_S10_EESH_SX_SI_SJ_SK_EUlSX_E1_NS1_11comp_targetILNS1_3genE10ELNS1_11target_archE1201ELNS1_3gpuE5ELNS1_3repE0EEENS1_36merge_oddeven_config_static_selectorELNS0_4arch9wavefront6targetE1EEEvSJ_.has_recursion, 0
	.set _ZN7rocprim17ROCPRIM_400000_NS6detail17trampoline_kernelINS0_14default_configENS1_38merge_sort_block_merge_config_selectorIddEEZZNS1_27merge_sort_block_merge_implIS3_N6thrust23THRUST_200600_302600_NS6detail15normal_iteratorINS8_10device_ptrIdEEEESD_jNS1_19radix_merge_compareILb0ELb0EdNS0_19identity_decomposerEEEEE10hipError_tT0_T1_T2_jT3_P12ihipStream_tbPNSt15iterator_traitsISI_E10value_typeEPNSO_ISJ_E10value_typeEPSK_NS1_7vsmem_tEENKUlT_SI_SJ_SK_E_clISD_PdSD_S10_EESH_SX_SI_SJ_SK_EUlSX_E1_NS1_11comp_targetILNS1_3genE10ELNS1_11target_archE1201ELNS1_3gpuE5ELNS1_3repE0EEENS1_36merge_oddeven_config_static_selectorELNS0_4arch9wavefront6targetE1EEEvSJ_.has_indirect_call, 0
	.section	.AMDGPU.csdata,"",@progbits
; Kernel info:
; codeLenInByte = 0
; TotalNumSgprs: 6
; NumVgprs: 0
; NumAgprs: 0
; TotalNumVgprs: 0
; ScratchSize: 0
; MemoryBound: 0
; FloatMode: 240
; IeeeMode: 1
; LDSByteSize: 0 bytes/workgroup (compile time only)
; SGPRBlocks: 0
; VGPRBlocks: 0
; NumSGPRsForWavesPerEU: 6
; NumVGPRsForWavesPerEU: 1
; AccumOffset: 4
; Occupancy: 8
; WaveLimiterHint : 0
; COMPUTE_PGM_RSRC2:SCRATCH_EN: 0
; COMPUTE_PGM_RSRC2:USER_SGPR: 2
; COMPUTE_PGM_RSRC2:TRAP_HANDLER: 0
; COMPUTE_PGM_RSRC2:TGID_X_EN: 1
; COMPUTE_PGM_RSRC2:TGID_Y_EN: 0
; COMPUTE_PGM_RSRC2:TGID_Z_EN: 0
; COMPUTE_PGM_RSRC2:TIDIG_COMP_CNT: 0
; COMPUTE_PGM_RSRC3_GFX90A:ACCUM_OFFSET: 0
; COMPUTE_PGM_RSRC3_GFX90A:TG_SPLIT: 0
	.section	.text._ZN7rocprim17ROCPRIM_400000_NS6detail17trampoline_kernelINS0_14default_configENS1_38merge_sort_block_merge_config_selectorIddEEZZNS1_27merge_sort_block_merge_implIS3_N6thrust23THRUST_200600_302600_NS6detail15normal_iteratorINS8_10device_ptrIdEEEESD_jNS1_19radix_merge_compareILb0ELb0EdNS0_19identity_decomposerEEEEE10hipError_tT0_T1_T2_jT3_P12ihipStream_tbPNSt15iterator_traitsISI_E10value_typeEPNSO_ISJ_E10value_typeEPSK_NS1_7vsmem_tEENKUlT_SI_SJ_SK_E_clISD_PdSD_S10_EESH_SX_SI_SJ_SK_EUlSX_E1_NS1_11comp_targetILNS1_3genE5ELNS1_11target_archE942ELNS1_3gpuE9ELNS1_3repE0EEENS1_36merge_oddeven_config_static_selectorELNS0_4arch9wavefront6targetE1EEEvSJ_,"axG",@progbits,_ZN7rocprim17ROCPRIM_400000_NS6detail17trampoline_kernelINS0_14default_configENS1_38merge_sort_block_merge_config_selectorIddEEZZNS1_27merge_sort_block_merge_implIS3_N6thrust23THRUST_200600_302600_NS6detail15normal_iteratorINS8_10device_ptrIdEEEESD_jNS1_19radix_merge_compareILb0ELb0EdNS0_19identity_decomposerEEEEE10hipError_tT0_T1_T2_jT3_P12ihipStream_tbPNSt15iterator_traitsISI_E10value_typeEPNSO_ISJ_E10value_typeEPSK_NS1_7vsmem_tEENKUlT_SI_SJ_SK_E_clISD_PdSD_S10_EESH_SX_SI_SJ_SK_EUlSX_E1_NS1_11comp_targetILNS1_3genE5ELNS1_11target_archE942ELNS1_3gpuE9ELNS1_3repE0EEENS1_36merge_oddeven_config_static_selectorELNS0_4arch9wavefront6targetE1EEEvSJ_,comdat
	.protected	_ZN7rocprim17ROCPRIM_400000_NS6detail17trampoline_kernelINS0_14default_configENS1_38merge_sort_block_merge_config_selectorIddEEZZNS1_27merge_sort_block_merge_implIS3_N6thrust23THRUST_200600_302600_NS6detail15normal_iteratorINS8_10device_ptrIdEEEESD_jNS1_19radix_merge_compareILb0ELb0EdNS0_19identity_decomposerEEEEE10hipError_tT0_T1_T2_jT3_P12ihipStream_tbPNSt15iterator_traitsISI_E10value_typeEPNSO_ISJ_E10value_typeEPSK_NS1_7vsmem_tEENKUlT_SI_SJ_SK_E_clISD_PdSD_S10_EESH_SX_SI_SJ_SK_EUlSX_E1_NS1_11comp_targetILNS1_3genE5ELNS1_11target_archE942ELNS1_3gpuE9ELNS1_3repE0EEENS1_36merge_oddeven_config_static_selectorELNS0_4arch9wavefront6targetE1EEEvSJ_ ; -- Begin function _ZN7rocprim17ROCPRIM_400000_NS6detail17trampoline_kernelINS0_14default_configENS1_38merge_sort_block_merge_config_selectorIddEEZZNS1_27merge_sort_block_merge_implIS3_N6thrust23THRUST_200600_302600_NS6detail15normal_iteratorINS8_10device_ptrIdEEEESD_jNS1_19radix_merge_compareILb0ELb0EdNS0_19identity_decomposerEEEEE10hipError_tT0_T1_T2_jT3_P12ihipStream_tbPNSt15iterator_traitsISI_E10value_typeEPNSO_ISJ_E10value_typeEPSK_NS1_7vsmem_tEENKUlT_SI_SJ_SK_E_clISD_PdSD_S10_EESH_SX_SI_SJ_SK_EUlSX_E1_NS1_11comp_targetILNS1_3genE5ELNS1_11target_archE942ELNS1_3gpuE9ELNS1_3repE0EEENS1_36merge_oddeven_config_static_selectorELNS0_4arch9wavefront6targetE1EEEvSJ_
	.globl	_ZN7rocprim17ROCPRIM_400000_NS6detail17trampoline_kernelINS0_14default_configENS1_38merge_sort_block_merge_config_selectorIddEEZZNS1_27merge_sort_block_merge_implIS3_N6thrust23THRUST_200600_302600_NS6detail15normal_iteratorINS8_10device_ptrIdEEEESD_jNS1_19radix_merge_compareILb0ELb0EdNS0_19identity_decomposerEEEEE10hipError_tT0_T1_T2_jT3_P12ihipStream_tbPNSt15iterator_traitsISI_E10value_typeEPNSO_ISJ_E10value_typeEPSK_NS1_7vsmem_tEENKUlT_SI_SJ_SK_E_clISD_PdSD_S10_EESH_SX_SI_SJ_SK_EUlSX_E1_NS1_11comp_targetILNS1_3genE5ELNS1_11target_archE942ELNS1_3gpuE9ELNS1_3repE0EEENS1_36merge_oddeven_config_static_selectorELNS0_4arch9wavefront6targetE1EEEvSJ_
	.p2align	8
	.type	_ZN7rocprim17ROCPRIM_400000_NS6detail17trampoline_kernelINS0_14default_configENS1_38merge_sort_block_merge_config_selectorIddEEZZNS1_27merge_sort_block_merge_implIS3_N6thrust23THRUST_200600_302600_NS6detail15normal_iteratorINS8_10device_ptrIdEEEESD_jNS1_19radix_merge_compareILb0ELb0EdNS0_19identity_decomposerEEEEE10hipError_tT0_T1_T2_jT3_P12ihipStream_tbPNSt15iterator_traitsISI_E10value_typeEPNSO_ISJ_E10value_typeEPSK_NS1_7vsmem_tEENKUlT_SI_SJ_SK_E_clISD_PdSD_S10_EESH_SX_SI_SJ_SK_EUlSX_E1_NS1_11comp_targetILNS1_3genE5ELNS1_11target_archE942ELNS1_3gpuE9ELNS1_3repE0EEENS1_36merge_oddeven_config_static_selectorELNS0_4arch9wavefront6targetE1EEEvSJ_,@function
_ZN7rocprim17ROCPRIM_400000_NS6detail17trampoline_kernelINS0_14default_configENS1_38merge_sort_block_merge_config_selectorIddEEZZNS1_27merge_sort_block_merge_implIS3_N6thrust23THRUST_200600_302600_NS6detail15normal_iteratorINS8_10device_ptrIdEEEESD_jNS1_19radix_merge_compareILb0ELb0EdNS0_19identity_decomposerEEEEE10hipError_tT0_T1_T2_jT3_P12ihipStream_tbPNSt15iterator_traitsISI_E10value_typeEPNSO_ISJ_E10value_typeEPSK_NS1_7vsmem_tEENKUlT_SI_SJ_SK_E_clISD_PdSD_S10_EESH_SX_SI_SJ_SK_EUlSX_E1_NS1_11comp_targetILNS1_3genE5ELNS1_11target_archE942ELNS1_3gpuE9ELNS1_3repE0EEENS1_36merge_oddeven_config_static_selectorELNS0_4arch9wavefront6targetE1EEEvSJ_: ; @_ZN7rocprim17ROCPRIM_400000_NS6detail17trampoline_kernelINS0_14default_configENS1_38merge_sort_block_merge_config_selectorIddEEZZNS1_27merge_sort_block_merge_implIS3_N6thrust23THRUST_200600_302600_NS6detail15normal_iteratorINS8_10device_ptrIdEEEESD_jNS1_19radix_merge_compareILb0ELb0EdNS0_19identity_decomposerEEEEE10hipError_tT0_T1_T2_jT3_P12ihipStream_tbPNSt15iterator_traitsISI_E10value_typeEPNSO_ISJ_E10value_typeEPSK_NS1_7vsmem_tEENKUlT_SI_SJ_SK_E_clISD_PdSD_S10_EESH_SX_SI_SJ_SK_EUlSX_E1_NS1_11comp_targetILNS1_3genE5ELNS1_11target_archE942ELNS1_3gpuE9ELNS1_3repE0EEENS1_36merge_oddeven_config_static_selectorELNS0_4arch9wavefront6targetE1EEEvSJ_
; %bb.0:
	.section	.rodata,"a",@progbits
	.p2align	6, 0x0
	.amdhsa_kernel _ZN7rocprim17ROCPRIM_400000_NS6detail17trampoline_kernelINS0_14default_configENS1_38merge_sort_block_merge_config_selectorIddEEZZNS1_27merge_sort_block_merge_implIS3_N6thrust23THRUST_200600_302600_NS6detail15normal_iteratorINS8_10device_ptrIdEEEESD_jNS1_19radix_merge_compareILb0ELb0EdNS0_19identity_decomposerEEEEE10hipError_tT0_T1_T2_jT3_P12ihipStream_tbPNSt15iterator_traitsISI_E10value_typeEPNSO_ISJ_E10value_typeEPSK_NS1_7vsmem_tEENKUlT_SI_SJ_SK_E_clISD_PdSD_S10_EESH_SX_SI_SJ_SK_EUlSX_E1_NS1_11comp_targetILNS1_3genE5ELNS1_11target_archE942ELNS1_3gpuE9ELNS1_3repE0EEENS1_36merge_oddeven_config_static_selectorELNS0_4arch9wavefront6targetE1EEEvSJ_
		.amdhsa_group_segment_fixed_size 0
		.amdhsa_private_segment_fixed_size 0
		.amdhsa_kernarg_size 48
		.amdhsa_user_sgpr_count 2
		.amdhsa_user_sgpr_dispatch_ptr 0
		.amdhsa_user_sgpr_queue_ptr 0
		.amdhsa_user_sgpr_kernarg_segment_ptr 1
		.amdhsa_user_sgpr_dispatch_id 0
		.amdhsa_user_sgpr_kernarg_preload_length 0
		.amdhsa_user_sgpr_kernarg_preload_offset 0
		.amdhsa_user_sgpr_private_segment_size 0
		.amdhsa_uses_dynamic_stack 0
		.amdhsa_enable_private_segment 0
		.amdhsa_system_sgpr_workgroup_id_x 1
		.amdhsa_system_sgpr_workgroup_id_y 0
		.amdhsa_system_sgpr_workgroup_id_z 0
		.amdhsa_system_sgpr_workgroup_info 0
		.amdhsa_system_vgpr_workitem_id 0
		.amdhsa_next_free_vgpr 1
		.amdhsa_next_free_sgpr 0
		.amdhsa_accum_offset 4
		.amdhsa_reserve_vcc 0
		.amdhsa_float_round_mode_32 0
		.amdhsa_float_round_mode_16_64 0
		.amdhsa_float_denorm_mode_32 3
		.amdhsa_float_denorm_mode_16_64 3
		.amdhsa_dx10_clamp 1
		.amdhsa_ieee_mode 1
		.amdhsa_fp16_overflow 0
		.amdhsa_tg_split 0
		.amdhsa_exception_fp_ieee_invalid_op 0
		.amdhsa_exception_fp_denorm_src 0
		.amdhsa_exception_fp_ieee_div_zero 0
		.amdhsa_exception_fp_ieee_overflow 0
		.amdhsa_exception_fp_ieee_underflow 0
		.amdhsa_exception_fp_ieee_inexact 0
		.amdhsa_exception_int_div_zero 0
	.end_amdhsa_kernel
	.section	.text._ZN7rocprim17ROCPRIM_400000_NS6detail17trampoline_kernelINS0_14default_configENS1_38merge_sort_block_merge_config_selectorIddEEZZNS1_27merge_sort_block_merge_implIS3_N6thrust23THRUST_200600_302600_NS6detail15normal_iteratorINS8_10device_ptrIdEEEESD_jNS1_19radix_merge_compareILb0ELb0EdNS0_19identity_decomposerEEEEE10hipError_tT0_T1_T2_jT3_P12ihipStream_tbPNSt15iterator_traitsISI_E10value_typeEPNSO_ISJ_E10value_typeEPSK_NS1_7vsmem_tEENKUlT_SI_SJ_SK_E_clISD_PdSD_S10_EESH_SX_SI_SJ_SK_EUlSX_E1_NS1_11comp_targetILNS1_3genE5ELNS1_11target_archE942ELNS1_3gpuE9ELNS1_3repE0EEENS1_36merge_oddeven_config_static_selectorELNS0_4arch9wavefront6targetE1EEEvSJ_,"axG",@progbits,_ZN7rocprim17ROCPRIM_400000_NS6detail17trampoline_kernelINS0_14default_configENS1_38merge_sort_block_merge_config_selectorIddEEZZNS1_27merge_sort_block_merge_implIS3_N6thrust23THRUST_200600_302600_NS6detail15normal_iteratorINS8_10device_ptrIdEEEESD_jNS1_19radix_merge_compareILb0ELb0EdNS0_19identity_decomposerEEEEE10hipError_tT0_T1_T2_jT3_P12ihipStream_tbPNSt15iterator_traitsISI_E10value_typeEPNSO_ISJ_E10value_typeEPSK_NS1_7vsmem_tEENKUlT_SI_SJ_SK_E_clISD_PdSD_S10_EESH_SX_SI_SJ_SK_EUlSX_E1_NS1_11comp_targetILNS1_3genE5ELNS1_11target_archE942ELNS1_3gpuE9ELNS1_3repE0EEENS1_36merge_oddeven_config_static_selectorELNS0_4arch9wavefront6targetE1EEEvSJ_,comdat
.Lfunc_end67:
	.size	_ZN7rocprim17ROCPRIM_400000_NS6detail17trampoline_kernelINS0_14default_configENS1_38merge_sort_block_merge_config_selectorIddEEZZNS1_27merge_sort_block_merge_implIS3_N6thrust23THRUST_200600_302600_NS6detail15normal_iteratorINS8_10device_ptrIdEEEESD_jNS1_19radix_merge_compareILb0ELb0EdNS0_19identity_decomposerEEEEE10hipError_tT0_T1_T2_jT3_P12ihipStream_tbPNSt15iterator_traitsISI_E10value_typeEPNSO_ISJ_E10value_typeEPSK_NS1_7vsmem_tEENKUlT_SI_SJ_SK_E_clISD_PdSD_S10_EESH_SX_SI_SJ_SK_EUlSX_E1_NS1_11comp_targetILNS1_3genE5ELNS1_11target_archE942ELNS1_3gpuE9ELNS1_3repE0EEENS1_36merge_oddeven_config_static_selectorELNS0_4arch9wavefront6targetE1EEEvSJ_, .Lfunc_end67-_ZN7rocprim17ROCPRIM_400000_NS6detail17trampoline_kernelINS0_14default_configENS1_38merge_sort_block_merge_config_selectorIddEEZZNS1_27merge_sort_block_merge_implIS3_N6thrust23THRUST_200600_302600_NS6detail15normal_iteratorINS8_10device_ptrIdEEEESD_jNS1_19radix_merge_compareILb0ELb0EdNS0_19identity_decomposerEEEEE10hipError_tT0_T1_T2_jT3_P12ihipStream_tbPNSt15iterator_traitsISI_E10value_typeEPNSO_ISJ_E10value_typeEPSK_NS1_7vsmem_tEENKUlT_SI_SJ_SK_E_clISD_PdSD_S10_EESH_SX_SI_SJ_SK_EUlSX_E1_NS1_11comp_targetILNS1_3genE5ELNS1_11target_archE942ELNS1_3gpuE9ELNS1_3repE0EEENS1_36merge_oddeven_config_static_selectorELNS0_4arch9wavefront6targetE1EEEvSJ_
                                        ; -- End function
	.set _ZN7rocprim17ROCPRIM_400000_NS6detail17trampoline_kernelINS0_14default_configENS1_38merge_sort_block_merge_config_selectorIddEEZZNS1_27merge_sort_block_merge_implIS3_N6thrust23THRUST_200600_302600_NS6detail15normal_iteratorINS8_10device_ptrIdEEEESD_jNS1_19radix_merge_compareILb0ELb0EdNS0_19identity_decomposerEEEEE10hipError_tT0_T1_T2_jT3_P12ihipStream_tbPNSt15iterator_traitsISI_E10value_typeEPNSO_ISJ_E10value_typeEPSK_NS1_7vsmem_tEENKUlT_SI_SJ_SK_E_clISD_PdSD_S10_EESH_SX_SI_SJ_SK_EUlSX_E1_NS1_11comp_targetILNS1_3genE5ELNS1_11target_archE942ELNS1_3gpuE9ELNS1_3repE0EEENS1_36merge_oddeven_config_static_selectorELNS0_4arch9wavefront6targetE1EEEvSJ_.num_vgpr, 0
	.set _ZN7rocprim17ROCPRIM_400000_NS6detail17trampoline_kernelINS0_14default_configENS1_38merge_sort_block_merge_config_selectorIddEEZZNS1_27merge_sort_block_merge_implIS3_N6thrust23THRUST_200600_302600_NS6detail15normal_iteratorINS8_10device_ptrIdEEEESD_jNS1_19radix_merge_compareILb0ELb0EdNS0_19identity_decomposerEEEEE10hipError_tT0_T1_T2_jT3_P12ihipStream_tbPNSt15iterator_traitsISI_E10value_typeEPNSO_ISJ_E10value_typeEPSK_NS1_7vsmem_tEENKUlT_SI_SJ_SK_E_clISD_PdSD_S10_EESH_SX_SI_SJ_SK_EUlSX_E1_NS1_11comp_targetILNS1_3genE5ELNS1_11target_archE942ELNS1_3gpuE9ELNS1_3repE0EEENS1_36merge_oddeven_config_static_selectorELNS0_4arch9wavefront6targetE1EEEvSJ_.num_agpr, 0
	.set _ZN7rocprim17ROCPRIM_400000_NS6detail17trampoline_kernelINS0_14default_configENS1_38merge_sort_block_merge_config_selectorIddEEZZNS1_27merge_sort_block_merge_implIS3_N6thrust23THRUST_200600_302600_NS6detail15normal_iteratorINS8_10device_ptrIdEEEESD_jNS1_19radix_merge_compareILb0ELb0EdNS0_19identity_decomposerEEEEE10hipError_tT0_T1_T2_jT3_P12ihipStream_tbPNSt15iterator_traitsISI_E10value_typeEPNSO_ISJ_E10value_typeEPSK_NS1_7vsmem_tEENKUlT_SI_SJ_SK_E_clISD_PdSD_S10_EESH_SX_SI_SJ_SK_EUlSX_E1_NS1_11comp_targetILNS1_3genE5ELNS1_11target_archE942ELNS1_3gpuE9ELNS1_3repE0EEENS1_36merge_oddeven_config_static_selectorELNS0_4arch9wavefront6targetE1EEEvSJ_.numbered_sgpr, 0
	.set _ZN7rocprim17ROCPRIM_400000_NS6detail17trampoline_kernelINS0_14default_configENS1_38merge_sort_block_merge_config_selectorIddEEZZNS1_27merge_sort_block_merge_implIS3_N6thrust23THRUST_200600_302600_NS6detail15normal_iteratorINS8_10device_ptrIdEEEESD_jNS1_19radix_merge_compareILb0ELb0EdNS0_19identity_decomposerEEEEE10hipError_tT0_T1_T2_jT3_P12ihipStream_tbPNSt15iterator_traitsISI_E10value_typeEPNSO_ISJ_E10value_typeEPSK_NS1_7vsmem_tEENKUlT_SI_SJ_SK_E_clISD_PdSD_S10_EESH_SX_SI_SJ_SK_EUlSX_E1_NS1_11comp_targetILNS1_3genE5ELNS1_11target_archE942ELNS1_3gpuE9ELNS1_3repE0EEENS1_36merge_oddeven_config_static_selectorELNS0_4arch9wavefront6targetE1EEEvSJ_.num_named_barrier, 0
	.set _ZN7rocprim17ROCPRIM_400000_NS6detail17trampoline_kernelINS0_14default_configENS1_38merge_sort_block_merge_config_selectorIddEEZZNS1_27merge_sort_block_merge_implIS3_N6thrust23THRUST_200600_302600_NS6detail15normal_iteratorINS8_10device_ptrIdEEEESD_jNS1_19radix_merge_compareILb0ELb0EdNS0_19identity_decomposerEEEEE10hipError_tT0_T1_T2_jT3_P12ihipStream_tbPNSt15iterator_traitsISI_E10value_typeEPNSO_ISJ_E10value_typeEPSK_NS1_7vsmem_tEENKUlT_SI_SJ_SK_E_clISD_PdSD_S10_EESH_SX_SI_SJ_SK_EUlSX_E1_NS1_11comp_targetILNS1_3genE5ELNS1_11target_archE942ELNS1_3gpuE9ELNS1_3repE0EEENS1_36merge_oddeven_config_static_selectorELNS0_4arch9wavefront6targetE1EEEvSJ_.private_seg_size, 0
	.set _ZN7rocprim17ROCPRIM_400000_NS6detail17trampoline_kernelINS0_14default_configENS1_38merge_sort_block_merge_config_selectorIddEEZZNS1_27merge_sort_block_merge_implIS3_N6thrust23THRUST_200600_302600_NS6detail15normal_iteratorINS8_10device_ptrIdEEEESD_jNS1_19radix_merge_compareILb0ELb0EdNS0_19identity_decomposerEEEEE10hipError_tT0_T1_T2_jT3_P12ihipStream_tbPNSt15iterator_traitsISI_E10value_typeEPNSO_ISJ_E10value_typeEPSK_NS1_7vsmem_tEENKUlT_SI_SJ_SK_E_clISD_PdSD_S10_EESH_SX_SI_SJ_SK_EUlSX_E1_NS1_11comp_targetILNS1_3genE5ELNS1_11target_archE942ELNS1_3gpuE9ELNS1_3repE0EEENS1_36merge_oddeven_config_static_selectorELNS0_4arch9wavefront6targetE1EEEvSJ_.uses_vcc, 0
	.set _ZN7rocprim17ROCPRIM_400000_NS6detail17trampoline_kernelINS0_14default_configENS1_38merge_sort_block_merge_config_selectorIddEEZZNS1_27merge_sort_block_merge_implIS3_N6thrust23THRUST_200600_302600_NS6detail15normal_iteratorINS8_10device_ptrIdEEEESD_jNS1_19radix_merge_compareILb0ELb0EdNS0_19identity_decomposerEEEEE10hipError_tT0_T1_T2_jT3_P12ihipStream_tbPNSt15iterator_traitsISI_E10value_typeEPNSO_ISJ_E10value_typeEPSK_NS1_7vsmem_tEENKUlT_SI_SJ_SK_E_clISD_PdSD_S10_EESH_SX_SI_SJ_SK_EUlSX_E1_NS1_11comp_targetILNS1_3genE5ELNS1_11target_archE942ELNS1_3gpuE9ELNS1_3repE0EEENS1_36merge_oddeven_config_static_selectorELNS0_4arch9wavefront6targetE1EEEvSJ_.uses_flat_scratch, 0
	.set _ZN7rocprim17ROCPRIM_400000_NS6detail17trampoline_kernelINS0_14default_configENS1_38merge_sort_block_merge_config_selectorIddEEZZNS1_27merge_sort_block_merge_implIS3_N6thrust23THRUST_200600_302600_NS6detail15normal_iteratorINS8_10device_ptrIdEEEESD_jNS1_19radix_merge_compareILb0ELb0EdNS0_19identity_decomposerEEEEE10hipError_tT0_T1_T2_jT3_P12ihipStream_tbPNSt15iterator_traitsISI_E10value_typeEPNSO_ISJ_E10value_typeEPSK_NS1_7vsmem_tEENKUlT_SI_SJ_SK_E_clISD_PdSD_S10_EESH_SX_SI_SJ_SK_EUlSX_E1_NS1_11comp_targetILNS1_3genE5ELNS1_11target_archE942ELNS1_3gpuE9ELNS1_3repE0EEENS1_36merge_oddeven_config_static_selectorELNS0_4arch9wavefront6targetE1EEEvSJ_.has_dyn_sized_stack, 0
	.set _ZN7rocprim17ROCPRIM_400000_NS6detail17trampoline_kernelINS0_14default_configENS1_38merge_sort_block_merge_config_selectorIddEEZZNS1_27merge_sort_block_merge_implIS3_N6thrust23THRUST_200600_302600_NS6detail15normal_iteratorINS8_10device_ptrIdEEEESD_jNS1_19radix_merge_compareILb0ELb0EdNS0_19identity_decomposerEEEEE10hipError_tT0_T1_T2_jT3_P12ihipStream_tbPNSt15iterator_traitsISI_E10value_typeEPNSO_ISJ_E10value_typeEPSK_NS1_7vsmem_tEENKUlT_SI_SJ_SK_E_clISD_PdSD_S10_EESH_SX_SI_SJ_SK_EUlSX_E1_NS1_11comp_targetILNS1_3genE5ELNS1_11target_archE942ELNS1_3gpuE9ELNS1_3repE0EEENS1_36merge_oddeven_config_static_selectorELNS0_4arch9wavefront6targetE1EEEvSJ_.has_recursion, 0
	.set _ZN7rocprim17ROCPRIM_400000_NS6detail17trampoline_kernelINS0_14default_configENS1_38merge_sort_block_merge_config_selectorIddEEZZNS1_27merge_sort_block_merge_implIS3_N6thrust23THRUST_200600_302600_NS6detail15normal_iteratorINS8_10device_ptrIdEEEESD_jNS1_19radix_merge_compareILb0ELb0EdNS0_19identity_decomposerEEEEE10hipError_tT0_T1_T2_jT3_P12ihipStream_tbPNSt15iterator_traitsISI_E10value_typeEPNSO_ISJ_E10value_typeEPSK_NS1_7vsmem_tEENKUlT_SI_SJ_SK_E_clISD_PdSD_S10_EESH_SX_SI_SJ_SK_EUlSX_E1_NS1_11comp_targetILNS1_3genE5ELNS1_11target_archE942ELNS1_3gpuE9ELNS1_3repE0EEENS1_36merge_oddeven_config_static_selectorELNS0_4arch9wavefront6targetE1EEEvSJ_.has_indirect_call, 0
	.section	.AMDGPU.csdata,"",@progbits
; Kernel info:
; codeLenInByte = 0
; TotalNumSgprs: 6
; NumVgprs: 0
; NumAgprs: 0
; TotalNumVgprs: 0
; ScratchSize: 0
; MemoryBound: 0
; FloatMode: 240
; IeeeMode: 1
; LDSByteSize: 0 bytes/workgroup (compile time only)
; SGPRBlocks: 0
; VGPRBlocks: 0
; NumSGPRsForWavesPerEU: 6
; NumVGPRsForWavesPerEU: 1
; AccumOffset: 4
; Occupancy: 8
; WaveLimiterHint : 0
; COMPUTE_PGM_RSRC2:SCRATCH_EN: 0
; COMPUTE_PGM_RSRC2:USER_SGPR: 2
; COMPUTE_PGM_RSRC2:TRAP_HANDLER: 0
; COMPUTE_PGM_RSRC2:TGID_X_EN: 1
; COMPUTE_PGM_RSRC2:TGID_Y_EN: 0
; COMPUTE_PGM_RSRC2:TGID_Z_EN: 0
; COMPUTE_PGM_RSRC2:TIDIG_COMP_CNT: 0
; COMPUTE_PGM_RSRC3_GFX90A:ACCUM_OFFSET: 0
; COMPUTE_PGM_RSRC3_GFX90A:TG_SPLIT: 0
	.section	.text._ZN7rocprim17ROCPRIM_400000_NS6detail17trampoline_kernelINS0_14default_configENS1_38merge_sort_block_merge_config_selectorIddEEZZNS1_27merge_sort_block_merge_implIS3_N6thrust23THRUST_200600_302600_NS6detail15normal_iteratorINS8_10device_ptrIdEEEESD_jNS1_19radix_merge_compareILb0ELb0EdNS0_19identity_decomposerEEEEE10hipError_tT0_T1_T2_jT3_P12ihipStream_tbPNSt15iterator_traitsISI_E10value_typeEPNSO_ISJ_E10value_typeEPSK_NS1_7vsmem_tEENKUlT_SI_SJ_SK_E_clISD_PdSD_S10_EESH_SX_SI_SJ_SK_EUlSX_E1_NS1_11comp_targetILNS1_3genE4ELNS1_11target_archE910ELNS1_3gpuE8ELNS1_3repE0EEENS1_36merge_oddeven_config_static_selectorELNS0_4arch9wavefront6targetE1EEEvSJ_,"axG",@progbits,_ZN7rocprim17ROCPRIM_400000_NS6detail17trampoline_kernelINS0_14default_configENS1_38merge_sort_block_merge_config_selectorIddEEZZNS1_27merge_sort_block_merge_implIS3_N6thrust23THRUST_200600_302600_NS6detail15normal_iteratorINS8_10device_ptrIdEEEESD_jNS1_19radix_merge_compareILb0ELb0EdNS0_19identity_decomposerEEEEE10hipError_tT0_T1_T2_jT3_P12ihipStream_tbPNSt15iterator_traitsISI_E10value_typeEPNSO_ISJ_E10value_typeEPSK_NS1_7vsmem_tEENKUlT_SI_SJ_SK_E_clISD_PdSD_S10_EESH_SX_SI_SJ_SK_EUlSX_E1_NS1_11comp_targetILNS1_3genE4ELNS1_11target_archE910ELNS1_3gpuE8ELNS1_3repE0EEENS1_36merge_oddeven_config_static_selectorELNS0_4arch9wavefront6targetE1EEEvSJ_,comdat
	.protected	_ZN7rocprim17ROCPRIM_400000_NS6detail17trampoline_kernelINS0_14default_configENS1_38merge_sort_block_merge_config_selectorIddEEZZNS1_27merge_sort_block_merge_implIS3_N6thrust23THRUST_200600_302600_NS6detail15normal_iteratorINS8_10device_ptrIdEEEESD_jNS1_19radix_merge_compareILb0ELb0EdNS0_19identity_decomposerEEEEE10hipError_tT0_T1_T2_jT3_P12ihipStream_tbPNSt15iterator_traitsISI_E10value_typeEPNSO_ISJ_E10value_typeEPSK_NS1_7vsmem_tEENKUlT_SI_SJ_SK_E_clISD_PdSD_S10_EESH_SX_SI_SJ_SK_EUlSX_E1_NS1_11comp_targetILNS1_3genE4ELNS1_11target_archE910ELNS1_3gpuE8ELNS1_3repE0EEENS1_36merge_oddeven_config_static_selectorELNS0_4arch9wavefront6targetE1EEEvSJ_ ; -- Begin function _ZN7rocprim17ROCPRIM_400000_NS6detail17trampoline_kernelINS0_14default_configENS1_38merge_sort_block_merge_config_selectorIddEEZZNS1_27merge_sort_block_merge_implIS3_N6thrust23THRUST_200600_302600_NS6detail15normal_iteratorINS8_10device_ptrIdEEEESD_jNS1_19radix_merge_compareILb0ELb0EdNS0_19identity_decomposerEEEEE10hipError_tT0_T1_T2_jT3_P12ihipStream_tbPNSt15iterator_traitsISI_E10value_typeEPNSO_ISJ_E10value_typeEPSK_NS1_7vsmem_tEENKUlT_SI_SJ_SK_E_clISD_PdSD_S10_EESH_SX_SI_SJ_SK_EUlSX_E1_NS1_11comp_targetILNS1_3genE4ELNS1_11target_archE910ELNS1_3gpuE8ELNS1_3repE0EEENS1_36merge_oddeven_config_static_selectorELNS0_4arch9wavefront6targetE1EEEvSJ_
	.globl	_ZN7rocprim17ROCPRIM_400000_NS6detail17trampoline_kernelINS0_14default_configENS1_38merge_sort_block_merge_config_selectorIddEEZZNS1_27merge_sort_block_merge_implIS3_N6thrust23THRUST_200600_302600_NS6detail15normal_iteratorINS8_10device_ptrIdEEEESD_jNS1_19radix_merge_compareILb0ELb0EdNS0_19identity_decomposerEEEEE10hipError_tT0_T1_T2_jT3_P12ihipStream_tbPNSt15iterator_traitsISI_E10value_typeEPNSO_ISJ_E10value_typeEPSK_NS1_7vsmem_tEENKUlT_SI_SJ_SK_E_clISD_PdSD_S10_EESH_SX_SI_SJ_SK_EUlSX_E1_NS1_11comp_targetILNS1_3genE4ELNS1_11target_archE910ELNS1_3gpuE8ELNS1_3repE0EEENS1_36merge_oddeven_config_static_selectorELNS0_4arch9wavefront6targetE1EEEvSJ_
	.p2align	8
	.type	_ZN7rocprim17ROCPRIM_400000_NS6detail17trampoline_kernelINS0_14default_configENS1_38merge_sort_block_merge_config_selectorIddEEZZNS1_27merge_sort_block_merge_implIS3_N6thrust23THRUST_200600_302600_NS6detail15normal_iteratorINS8_10device_ptrIdEEEESD_jNS1_19radix_merge_compareILb0ELb0EdNS0_19identity_decomposerEEEEE10hipError_tT0_T1_T2_jT3_P12ihipStream_tbPNSt15iterator_traitsISI_E10value_typeEPNSO_ISJ_E10value_typeEPSK_NS1_7vsmem_tEENKUlT_SI_SJ_SK_E_clISD_PdSD_S10_EESH_SX_SI_SJ_SK_EUlSX_E1_NS1_11comp_targetILNS1_3genE4ELNS1_11target_archE910ELNS1_3gpuE8ELNS1_3repE0EEENS1_36merge_oddeven_config_static_selectorELNS0_4arch9wavefront6targetE1EEEvSJ_,@function
_ZN7rocprim17ROCPRIM_400000_NS6detail17trampoline_kernelINS0_14default_configENS1_38merge_sort_block_merge_config_selectorIddEEZZNS1_27merge_sort_block_merge_implIS3_N6thrust23THRUST_200600_302600_NS6detail15normal_iteratorINS8_10device_ptrIdEEEESD_jNS1_19radix_merge_compareILb0ELb0EdNS0_19identity_decomposerEEEEE10hipError_tT0_T1_T2_jT3_P12ihipStream_tbPNSt15iterator_traitsISI_E10value_typeEPNSO_ISJ_E10value_typeEPSK_NS1_7vsmem_tEENKUlT_SI_SJ_SK_E_clISD_PdSD_S10_EESH_SX_SI_SJ_SK_EUlSX_E1_NS1_11comp_targetILNS1_3genE4ELNS1_11target_archE910ELNS1_3gpuE8ELNS1_3repE0EEENS1_36merge_oddeven_config_static_selectorELNS0_4arch9wavefront6targetE1EEEvSJ_: ; @_ZN7rocprim17ROCPRIM_400000_NS6detail17trampoline_kernelINS0_14default_configENS1_38merge_sort_block_merge_config_selectorIddEEZZNS1_27merge_sort_block_merge_implIS3_N6thrust23THRUST_200600_302600_NS6detail15normal_iteratorINS8_10device_ptrIdEEEESD_jNS1_19radix_merge_compareILb0ELb0EdNS0_19identity_decomposerEEEEE10hipError_tT0_T1_T2_jT3_P12ihipStream_tbPNSt15iterator_traitsISI_E10value_typeEPNSO_ISJ_E10value_typeEPSK_NS1_7vsmem_tEENKUlT_SI_SJ_SK_E_clISD_PdSD_S10_EESH_SX_SI_SJ_SK_EUlSX_E1_NS1_11comp_targetILNS1_3genE4ELNS1_11target_archE910ELNS1_3gpuE8ELNS1_3repE0EEENS1_36merge_oddeven_config_static_selectorELNS0_4arch9wavefront6targetE1EEEvSJ_
; %bb.0:
	.section	.rodata,"a",@progbits
	.p2align	6, 0x0
	.amdhsa_kernel _ZN7rocprim17ROCPRIM_400000_NS6detail17trampoline_kernelINS0_14default_configENS1_38merge_sort_block_merge_config_selectorIddEEZZNS1_27merge_sort_block_merge_implIS3_N6thrust23THRUST_200600_302600_NS6detail15normal_iteratorINS8_10device_ptrIdEEEESD_jNS1_19radix_merge_compareILb0ELb0EdNS0_19identity_decomposerEEEEE10hipError_tT0_T1_T2_jT3_P12ihipStream_tbPNSt15iterator_traitsISI_E10value_typeEPNSO_ISJ_E10value_typeEPSK_NS1_7vsmem_tEENKUlT_SI_SJ_SK_E_clISD_PdSD_S10_EESH_SX_SI_SJ_SK_EUlSX_E1_NS1_11comp_targetILNS1_3genE4ELNS1_11target_archE910ELNS1_3gpuE8ELNS1_3repE0EEENS1_36merge_oddeven_config_static_selectorELNS0_4arch9wavefront6targetE1EEEvSJ_
		.amdhsa_group_segment_fixed_size 0
		.amdhsa_private_segment_fixed_size 0
		.amdhsa_kernarg_size 48
		.amdhsa_user_sgpr_count 2
		.amdhsa_user_sgpr_dispatch_ptr 0
		.amdhsa_user_sgpr_queue_ptr 0
		.amdhsa_user_sgpr_kernarg_segment_ptr 1
		.amdhsa_user_sgpr_dispatch_id 0
		.amdhsa_user_sgpr_kernarg_preload_length 0
		.amdhsa_user_sgpr_kernarg_preload_offset 0
		.amdhsa_user_sgpr_private_segment_size 0
		.amdhsa_uses_dynamic_stack 0
		.amdhsa_enable_private_segment 0
		.amdhsa_system_sgpr_workgroup_id_x 1
		.amdhsa_system_sgpr_workgroup_id_y 0
		.amdhsa_system_sgpr_workgroup_id_z 0
		.amdhsa_system_sgpr_workgroup_info 0
		.amdhsa_system_vgpr_workitem_id 0
		.amdhsa_next_free_vgpr 1
		.amdhsa_next_free_sgpr 0
		.amdhsa_accum_offset 4
		.amdhsa_reserve_vcc 0
		.amdhsa_float_round_mode_32 0
		.amdhsa_float_round_mode_16_64 0
		.amdhsa_float_denorm_mode_32 3
		.amdhsa_float_denorm_mode_16_64 3
		.amdhsa_dx10_clamp 1
		.amdhsa_ieee_mode 1
		.amdhsa_fp16_overflow 0
		.amdhsa_tg_split 0
		.amdhsa_exception_fp_ieee_invalid_op 0
		.amdhsa_exception_fp_denorm_src 0
		.amdhsa_exception_fp_ieee_div_zero 0
		.amdhsa_exception_fp_ieee_overflow 0
		.amdhsa_exception_fp_ieee_underflow 0
		.amdhsa_exception_fp_ieee_inexact 0
		.amdhsa_exception_int_div_zero 0
	.end_amdhsa_kernel
	.section	.text._ZN7rocprim17ROCPRIM_400000_NS6detail17trampoline_kernelINS0_14default_configENS1_38merge_sort_block_merge_config_selectorIddEEZZNS1_27merge_sort_block_merge_implIS3_N6thrust23THRUST_200600_302600_NS6detail15normal_iteratorINS8_10device_ptrIdEEEESD_jNS1_19radix_merge_compareILb0ELb0EdNS0_19identity_decomposerEEEEE10hipError_tT0_T1_T2_jT3_P12ihipStream_tbPNSt15iterator_traitsISI_E10value_typeEPNSO_ISJ_E10value_typeEPSK_NS1_7vsmem_tEENKUlT_SI_SJ_SK_E_clISD_PdSD_S10_EESH_SX_SI_SJ_SK_EUlSX_E1_NS1_11comp_targetILNS1_3genE4ELNS1_11target_archE910ELNS1_3gpuE8ELNS1_3repE0EEENS1_36merge_oddeven_config_static_selectorELNS0_4arch9wavefront6targetE1EEEvSJ_,"axG",@progbits,_ZN7rocprim17ROCPRIM_400000_NS6detail17trampoline_kernelINS0_14default_configENS1_38merge_sort_block_merge_config_selectorIddEEZZNS1_27merge_sort_block_merge_implIS3_N6thrust23THRUST_200600_302600_NS6detail15normal_iteratorINS8_10device_ptrIdEEEESD_jNS1_19radix_merge_compareILb0ELb0EdNS0_19identity_decomposerEEEEE10hipError_tT0_T1_T2_jT3_P12ihipStream_tbPNSt15iterator_traitsISI_E10value_typeEPNSO_ISJ_E10value_typeEPSK_NS1_7vsmem_tEENKUlT_SI_SJ_SK_E_clISD_PdSD_S10_EESH_SX_SI_SJ_SK_EUlSX_E1_NS1_11comp_targetILNS1_3genE4ELNS1_11target_archE910ELNS1_3gpuE8ELNS1_3repE0EEENS1_36merge_oddeven_config_static_selectorELNS0_4arch9wavefront6targetE1EEEvSJ_,comdat
.Lfunc_end68:
	.size	_ZN7rocprim17ROCPRIM_400000_NS6detail17trampoline_kernelINS0_14default_configENS1_38merge_sort_block_merge_config_selectorIddEEZZNS1_27merge_sort_block_merge_implIS3_N6thrust23THRUST_200600_302600_NS6detail15normal_iteratorINS8_10device_ptrIdEEEESD_jNS1_19radix_merge_compareILb0ELb0EdNS0_19identity_decomposerEEEEE10hipError_tT0_T1_T2_jT3_P12ihipStream_tbPNSt15iterator_traitsISI_E10value_typeEPNSO_ISJ_E10value_typeEPSK_NS1_7vsmem_tEENKUlT_SI_SJ_SK_E_clISD_PdSD_S10_EESH_SX_SI_SJ_SK_EUlSX_E1_NS1_11comp_targetILNS1_3genE4ELNS1_11target_archE910ELNS1_3gpuE8ELNS1_3repE0EEENS1_36merge_oddeven_config_static_selectorELNS0_4arch9wavefront6targetE1EEEvSJ_, .Lfunc_end68-_ZN7rocprim17ROCPRIM_400000_NS6detail17trampoline_kernelINS0_14default_configENS1_38merge_sort_block_merge_config_selectorIddEEZZNS1_27merge_sort_block_merge_implIS3_N6thrust23THRUST_200600_302600_NS6detail15normal_iteratorINS8_10device_ptrIdEEEESD_jNS1_19radix_merge_compareILb0ELb0EdNS0_19identity_decomposerEEEEE10hipError_tT0_T1_T2_jT3_P12ihipStream_tbPNSt15iterator_traitsISI_E10value_typeEPNSO_ISJ_E10value_typeEPSK_NS1_7vsmem_tEENKUlT_SI_SJ_SK_E_clISD_PdSD_S10_EESH_SX_SI_SJ_SK_EUlSX_E1_NS1_11comp_targetILNS1_3genE4ELNS1_11target_archE910ELNS1_3gpuE8ELNS1_3repE0EEENS1_36merge_oddeven_config_static_selectorELNS0_4arch9wavefront6targetE1EEEvSJ_
                                        ; -- End function
	.set _ZN7rocprim17ROCPRIM_400000_NS6detail17trampoline_kernelINS0_14default_configENS1_38merge_sort_block_merge_config_selectorIddEEZZNS1_27merge_sort_block_merge_implIS3_N6thrust23THRUST_200600_302600_NS6detail15normal_iteratorINS8_10device_ptrIdEEEESD_jNS1_19radix_merge_compareILb0ELb0EdNS0_19identity_decomposerEEEEE10hipError_tT0_T1_T2_jT3_P12ihipStream_tbPNSt15iterator_traitsISI_E10value_typeEPNSO_ISJ_E10value_typeEPSK_NS1_7vsmem_tEENKUlT_SI_SJ_SK_E_clISD_PdSD_S10_EESH_SX_SI_SJ_SK_EUlSX_E1_NS1_11comp_targetILNS1_3genE4ELNS1_11target_archE910ELNS1_3gpuE8ELNS1_3repE0EEENS1_36merge_oddeven_config_static_selectorELNS0_4arch9wavefront6targetE1EEEvSJ_.num_vgpr, 0
	.set _ZN7rocprim17ROCPRIM_400000_NS6detail17trampoline_kernelINS0_14default_configENS1_38merge_sort_block_merge_config_selectorIddEEZZNS1_27merge_sort_block_merge_implIS3_N6thrust23THRUST_200600_302600_NS6detail15normal_iteratorINS8_10device_ptrIdEEEESD_jNS1_19radix_merge_compareILb0ELb0EdNS0_19identity_decomposerEEEEE10hipError_tT0_T1_T2_jT3_P12ihipStream_tbPNSt15iterator_traitsISI_E10value_typeEPNSO_ISJ_E10value_typeEPSK_NS1_7vsmem_tEENKUlT_SI_SJ_SK_E_clISD_PdSD_S10_EESH_SX_SI_SJ_SK_EUlSX_E1_NS1_11comp_targetILNS1_3genE4ELNS1_11target_archE910ELNS1_3gpuE8ELNS1_3repE0EEENS1_36merge_oddeven_config_static_selectorELNS0_4arch9wavefront6targetE1EEEvSJ_.num_agpr, 0
	.set _ZN7rocprim17ROCPRIM_400000_NS6detail17trampoline_kernelINS0_14default_configENS1_38merge_sort_block_merge_config_selectorIddEEZZNS1_27merge_sort_block_merge_implIS3_N6thrust23THRUST_200600_302600_NS6detail15normal_iteratorINS8_10device_ptrIdEEEESD_jNS1_19radix_merge_compareILb0ELb0EdNS0_19identity_decomposerEEEEE10hipError_tT0_T1_T2_jT3_P12ihipStream_tbPNSt15iterator_traitsISI_E10value_typeEPNSO_ISJ_E10value_typeEPSK_NS1_7vsmem_tEENKUlT_SI_SJ_SK_E_clISD_PdSD_S10_EESH_SX_SI_SJ_SK_EUlSX_E1_NS1_11comp_targetILNS1_3genE4ELNS1_11target_archE910ELNS1_3gpuE8ELNS1_3repE0EEENS1_36merge_oddeven_config_static_selectorELNS0_4arch9wavefront6targetE1EEEvSJ_.numbered_sgpr, 0
	.set _ZN7rocprim17ROCPRIM_400000_NS6detail17trampoline_kernelINS0_14default_configENS1_38merge_sort_block_merge_config_selectorIddEEZZNS1_27merge_sort_block_merge_implIS3_N6thrust23THRUST_200600_302600_NS6detail15normal_iteratorINS8_10device_ptrIdEEEESD_jNS1_19radix_merge_compareILb0ELb0EdNS0_19identity_decomposerEEEEE10hipError_tT0_T1_T2_jT3_P12ihipStream_tbPNSt15iterator_traitsISI_E10value_typeEPNSO_ISJ_E10value_typeEPSK_NS1_7vsmem_tEENKUlT_SI_SJ_SK_E_clISD_PdSD_S10_EESH_SX_SI_SJ_SK_EUlSX_E1_NS1_11comp_targetILNS1_3genE4ELNS1_11target_archE910ELNS1_3gpuE8ELNS1_3repE0EEENS1_36merge_oddeven_config_static_selectorELNS0_4arch9wavefront6targetE1EEEvSJ_.num_named_barrier, 0
	.set _ZN7rocprim17ROCPRIM_400000_NS6detail17trampoline_kernelINS0_14default_configENS1_38merge_sort_block_merge_config_selectorIddEEZZNS1_27merge_sort_block_merge_implIS3_N6thrust23THRUST_200600_302600_NS6detail15normal_iteratorINS8_10device_ptrIdEEEESD_jNS1_19radix_merge_compareILb0ELb0EdNS0_19identity_decomposerEEEEE10hipError_tT0_T1_T2_jT3_P12ihipStream_tbPNSt15iterator_traitsISI_E10value_typeEPNSO_ISJ_E10value_typeEPSK_NS1_7vsmem_tEENKUlT_SI_SJ_SK_E_clISD_PdSD_S10_EESH_SX_SI_SJ_SK_EUlSX_E1_NS1_11comp_targetILNS1_3genE4ELNS1_11target_archE910ELNS1_3gpuE8ELNS1_3repE0EEENS1_36merge_oddeven_config_static_selectorELNS0_4arch9wavefront6targetE1EEEvSJ_.private_seg_size, 0
	.set _ZN7rocprim17ROCPRIM_400000_NS6detail17trampoline_kernelINS0_14default_configENS1_38merge_sort_block_merge_config_selectorIddEEZZNS1_27merge_sort_block_merge_implIS3_N6thrust23THRUST_200600_302600_NS6detail15normal_iteratorINS8_10device_ptrIdEEEESD_jNS1_19radix_merge_compareILb0ELb0EdNS0_19identity_decomposerEEEEE10hipError_tT0_T1_T2_jT3_P12ihipStream_tbPNSt15iterator_traitsISI_E10value_typeEPNSO_ISJ_E10value_typeEPSK_NS1_7vsmem_tEENKUlT_SI_SJ_SK_E_clISD_PdSD_S10_EESH_SX_SI_SJ_SK_EUlSX_E1_NS1_11comp_targetILNS1_3genE4ELNS1_11target_archE910ELNS1_3gpuE8ELNS1_3repE0EEENS1_36merge_oddeven_config_static_selectorELNS0_4arch9wavefront6targetE1EEEvSJ_.uses_vcc, 0
	.set _ZN7rocprim17ROCPRIM_400000_NS6detail17trampoline_kernelINS0_14default_configENS1_38merge_sort_block_merge_config_selectorIddEEZZNS1_27merge_sort_block_merge_implIS3_N6thrust23THRUST_200600_302600_NS6detail15normal_iteratorINS8_10device_ptrIdEEEESD_jNS1_19radix_merge_compareILb0ELb0EdNS0_19identity_decomposerEEEEE10hipError_tT0_T1_T2_jT3_P12ihipStream_tbPNSt15iterator_traitsISI_E10value_typeEPNSO_ISJ_E10value_typeEPSK_NS1_7vsmem_tEENKUlT_SI_SJ_SK_E_clISD_PdSD_S10_EESH_SX_SI_SJ_SK_EUlSX_E1_NS1_11comp_targetILNS1_3genE4ELNS1_11target_archE910ELNS1_3gpuE8ELNS1_3repE0EEENS1_36merge_oddeven_config_static_selectorELNS0_4arch9wavefront6targetE1EEEvSJ_.uses_flat_scratch, 0
	.set _ZN7rocprim17ROCPRIM_400000_NS6detail17trampoline_kernelINS0_14default_configENS1_38merge_sort_block_merge_config_selectorIddEEZZNS1_27merge_sort_block_merge_implIS3_N6thrust23THRUST_200600_302600_NS6detail15normal_iteratorINS8_10device_ptrIdEEEESD_jNS1_19radix_merge_compareILb0ELb0EdNS0_19identity_decomposerEEEEE10hipError_tT0_T1_T2_jT3_P12ihipStream_tbPNSt15iterator_traitsISI_E10value_typeEPNSO_ISJ_E10value_typeEPSK_NS1_7vsmem_tEENKUlT_SI_SJ_SK_E_clISD_PdSD_S10_EESH_SX_SI_SJ_SK_EUlSX_E1_NS1_11comp_targetILNS1_3genE4ELNS1_11target_archE910ELNS1_3gpuE8ELNS1_3repE0EEENS1_36merge_oddeven_config_static_selectorELNS0_4arch9wavefront6targetE1EEEvSJ_.has_dyn_sized_stack, 0
	.set _ZN7rocprim17ROCPRIM_400000_NS6detail17trampoline_kernelINS0_14default_configENS1_38merge_sort_block_merge_config_selectorIddEEZZNS1_27merge_sort_block_merge_implIS3_N6thrust23THRUST_200600_302600_NS6detail15normal_iteratorINS8_10device_ptrIdEEEESD_jNS1_19radix_merge_compareILb0ELb0EdNS0_19identity_decomposerEEEEE10hipError_tT0_T1_T2_jT3_P12ihipStream_tbPNSt15iterator_traitsISI_E10value_typeEPNSO_ISJ_E10value_typeEPSK_NS1_7vsmem_tEENKUlT_SI_SJ_SK_E_clISD_PdSD_S10_EESH_SX_SI_SJ_SK_EUlSX_E1_NS1_11comp_targetILNS1_3genE4ELNS1_11target_archE910ELNS1_3gpuE8ELNS1_3repE0EEENS1_36merge_oddeven_config_static_selectorELNS0_4arch9wavefront6targetE1EEEvSJ_.has_recursion, 0
	.set _ZN7rocprim17ROCPRIM_400000_NS6detail17trampoline_kernelINS0_14default_configENS1_38merge_sort_block_merge_config_selectorIddEEZZNS1_27merge_sort_block_merge_implIS3_N6thrust23THRUST_200600_302600_NS6detail15normal_iteratorINS8_10device_ptrIdEEEESD_jNS1_19radix_merge_compareILb0ELb0EdNS0_19identity_decomposerEEEEE10hipError_tT0_T1_T2_jT3_P12ihipStream_tbPNSt15iterator_traitsISI_E10value_typeEPNSO_ISJ_E10value_typeEPSK_NS1_7vsmem_tEENKUlT_SI_SJ_SK_E_clISD_PdSD_S10_EESH_SX_SI_SJ_SK_EUlSX_E1_NS1_11comp_targetILNS1_3genE4ELNS1_11target_archE910ELNS1_3gpuE8ELNS1_3repE0EEENS1_36merge_oddeven_config_static_selectorELNS0_4arch9wavefront6targetE1EEEvSJ_.has_indirect_call, 0
	.section	.AMDGPU.csdata,"",@progbits
; Kernel info:
; codeLenInByte = 0
; TotalNumSgprs: 6
; NumVgprs: 0
; NumAgprs: 0
; TotalNumVgprs: 0
; ScratchSize: 0
; MemoryBound: 0
; FloatMode: 240
; IeeeMode: 1
; LDSByteSize: 0 bytes/workgroup (compile time only)
; SGPRBlocks: 0
; VGPRBlocks: 0
; NumSGPRsForWavesPerEU: 6
; NumVGPRsForWavesPerEU: 1
; AccumOffset: 4
; Occupancy: 8
; WaveLimiterHint : 0
; COMPUTE_PGM_RSRC2:SCRATCH_EN: 0
; COMPUTE_PGM_RSRC2:USER_SGPR: 2
; COMPUTE_PGM_RSRC2:TRAP_HANDLER: 0
; COMPUTE_PGM_RSRC2:TGID_X_EN: 1
; COMPUTE_PGM_RSRC2:TGID_Y_EN: 0
; COMPUTE_PGM_RSRC2:TGID_Z_EN: 0
; COMPUTE_PGM_RSRC2:TIDIG_COMP_CNT: 0
; COMPUTE_PGM_RSRC3_GFX90A:ACCUM_OFFSET: 0
; COMPUTE_PGM_RSRC3_GFX90A:TG_SPLIT: 0
	.section	.text._ZN7rocprim17ROCPRIM_400000_NS6detail17trampoline_kernelINS0_14default_configENS1_38merge_sort_block_merge_config_selectorIddEEZZNS1_27merge_sort_block_merge_implIS3_N6thrust23THRUST_200600_302600_NS6detail15normal_iteratorINS8_10device_ptrIdEEEESD_jNS1_19radix_merge_compareILb0ELb0EdNS0_19identity_decomposerEEEEE10hipError_tT0_T1_T2_jT3_P12ihipStream_tbPNSt15iterator_traitsISI_E10value_typeEPNSO_ISJ_E10value_typeEPSK_NS1_7vsmem_tEENKUlT_SI_SJ_SK_E_clISD_PdSD_S10_EESH_SX_SI_SJ_SK_EUlSX_E1_NS1_11comp_targetILNS1_3genE3ELNS1_11target_archE908ELNS1_3gpuE7ELNS1_3repE0EEENS1_36merge_oddeven_config_static_selectorELNS0_4arch9wavefront6targetE1EEEvSJ_,"axG",@progbits,_ZN7rocprim17ROCPRIM_400000_NS6detail17trampoline_kernelINS0_14default_configENS1_38merge_sort_block_merge_config_selectorIddEEZZNS1_27merge_sort_block_merge_implIS3_N6thrust23THRUST_200600_302600_NS6detail15normal_iteratorINS8_10device_ptrIdEEEESD_jNS1_19radix_merge_compareILb0ELb0EdNS0_19identity_decomposerEEEEE10hipError_tT0_T1_T2_jT3_P12ihipStream_tbPNSt15iterator_traitsISI_E10value_typeEPNSO_ISJ_E10value_typeEPSK_NS1_7vsmem_tEENKUlT_SI_SJ_SK_E_clISD_PdSD_S10_EESH_SX_SI_SJ_SK_EUlSX_E1_NS1_11comp_targetILNS1_3genE3ELNS1_11target_archE908ELNS1_3gpuE7ELNS1_3repE0EEENS1_36merge_oddeven_config_static_selectorELNS0_4arch9wavefront6targetE1EEEvSJ_,comdat
	.protected	_ZN7rocprim17ROCPRIM_400000_NS6detail17trampoline_kernelINS0_14default_configENS1_38merge_sort_block_merge_config_selectorIddEEZZNS1_27merge_sort_block_merge_implIS3_N6thrust23THRUST_200600_302600_NS6detail15normal_iteratorINS8_10device_ptrIdEEEESD_jNS1_19radix_merge_compareILb0ELb0EdNS0_19identity_decomposerEEEEE10hipError_tT0_T1_T2_jT3_P12ihipStream_tbPNSt15iterator_traitsISI_E10value_typeEPNSO_ISJ_E10value_typeEPSK_NS1_7vsmem_tEENKUlT_SI_SJ_SK_E_clISD_PdSD_S10_EESH_SX_SI_SJ_SK_EUlSX_E1_NS1_11comp_targetILNS1_3genE3ELNS1_11target_archE908ELNS1_3gpuE7ELNS1_3repE0EEENS1_36merge_oddeven_config_static_selectorELNS0_4arch9wavefront6targetE1EEEvSJ_ ; -- Begin function _ZN7rocprim17ROCPRIM_400000_NS6detail17trampoline_kernelINS0_14default_configENS1_38merge_sort_block_merge_config_selectorIddEEZZNS1_27merge_sort_block_merge_implIS3_N6thrust23THRUST_200600_302600_NS6detail15normal_iteratorINS8_10device_ptrIdEEEESD_jNS1_19radix_merge_compareILb0ELb0EdNS0_19identity_decomposerEEEEE10hipError_tT0_T1_T2_jT3_P12ihipStream_tbPNSt15iterator_traitsISI_E10value_typeEPNSO_ISJ_E10value_typeEPSK_NS1_7vsmem_tEENKUlT_SI_SJ_SK_E_clISD_PdSD_S10_EESH_SX_SI_SJ_SK_EUlSX_E1_NS1_11comp_targetILNS1_3genE3ELNS1_11target_archE908ELNS1_3gpuE7ELNS1_3repE0EEENS1_36merge_oddeven_config_static_selectorELNS0_4arch9wavefront6targetE1EEEvSJ_
	.globl	_ZN7rocprim17ROCPRIM_400000_NS6detail17trampoline_kernelINS0_14default_configENS1_38merge_sort_block_merge_config_selectorIddEEZZNS1_27merge_sort_block_merge_implIS3_N6thrust23THRUST_200600_302600_NS6detail15normal_iteratorINS8_10device_ptrIdEEEESD_jNS1_19radix_merge_compareILb0ELb0EdNS0_19identity_decomposerEEEEE10hipError_tT0_T1_T2_jT3_P12ihipStream_tbPNSt15iterator_traitsISI_E10value_typeEPNSO_ISJ_E10value_typeEPSK_NS1_7vsmem_tEENKUlT_SI_SJ_SK_E_clISD_PdSD_S10_EESH_SX_SI_SJ_SK_EUlSX_E1_NS1_11comp_targetILNS1_3genE3ELNS1_11target_archE908ELNS1_3gpuE7ELNS1_3repE0EEENS1_36merge_oddeven_config_static_selectorELNS0_4arch9wavefront6targetE1EEEvSJ_
	.p2align	8
	.type	_ZN7rocprim17ROCPRIM_400000_NS6detail17trampoline_kernelINS0_14default_configENS1_38merge_sort_block_merge_config_selectorIddEEZZNS1_27merge_sort_block_merge_implIS3_N6thrust23THRUST_200600_302600_NS6detail15normal_iteratorINS8_10device_ptrIdEEEESD_jNS1_19radix_merge_compareILb0ELb0EdNS0_19identity_decomposerEEEEE10hipError_tT0_T1_T2_jT3_P12ihipStream_tbPNSt15iterator_traitsISI_E10value_typeEPNSO_ISJ_E10value_typeEPSK_NS1_7vsmem_tEENKUlT_SI_SJ_SK_E_clISD_PdSD_S10_EESH_SX_SI_SJ_SK_EUlSX_E1_NS1_11comp_targetILNS1_3genE3ELNS1_11target_archE908ELNS1_3gpuE7ELNS1_3repE0EEENS1_36merge_oddeven_config_static_selectorELNS0_4arch9wavefront6targetE1EEEvSJ_,@function
_ZN7rocprim17ROCPRIM_400000_NS6detail17trampoline_kernelINS0_14default_configENS1_38merge_sort_block_merge_config_selectorIddEEZZNS1_27merge_sort_block_merge_implIS3_N6thrust23THRUST_200600_302600_NS6detail15normal_iteratorINS8_10device_ptrIdEEEESD_jNS1_19radix_merge_compareILb0ELb0EdNS0_19identity_decomposerEEEEE10hipError_tT0_T1_T2_jT3_P12ihipStream_tbPNSt15iterator_traitsISI_E10value_typeEPNSO_ISJ_E10value_typeEPSK_NS1_7vsmem_tEENKUlT_SI_SJ_SK_E_clISD_PdSD_S10_EESH_SX_SI_SJ_SK_EUlSX_E1_NS1_11comp_targetILNS1_3genE3ELNS1_11target_archE908ELNS1_3gpuE7ELNS1_3repE0EEENS1_36merge_oddeven_config_static_selectorELNS0_4arch9wavefront6targetE1EEEvSJ_: ; @_ZN7rocprim17ROCPRIM_400000_NS6detail17trampoline_kernelINS0_14default_configENS1_38merge_sort_block_merge_config_selectorIddEEZZNS1_27merge_sort_block_merge_implIS3_N6thrust23THRUST_200600_302600_NS6detail15normal_iteratorINS8_10device_ptrIdEEEESD_jNS1_19radix_merge_compareILb0ELb0EdNS0_19identity_decomposerEEEEE10hipError_tT0_T1_T2_jT3_P12ihipStream_tbPNSt15iterator_traitsISI_E10value_typeEPNSO_ISJ_E10value_typeEPSK_NS1_7vsmem_tEENKUlT_SI_SJ_SK_E_clISD_PdSD_S10_EESH_SX_SI_SJ_SK_EUlSX_E1_NS1_11comp_targetILNS1_3genE3ELNS1_11target_archE908ELNS1_3gpuE7ELNS1_3repE0EEENS1_36merge_oddeven_config_static_selectorELNS0_4arch9wavefront6targetE1EEEvSJ_
; %bb.0:
	.section	.rodata,"a",@progbits
	.p2align	6, 0x0
	.amdhsa_kernel _ZN7rocprim17ROCPRIM_400000_NS6detail17trampoline_kernelINS0_14default_configENS1_38merge_sort_block_merge_config_selectorIddEEZZNS1_27merge_sort_block_merge_implIS3_N6thrust23THRUST_200600_302600_NS6detail15normal_iteratorINS8_10device_ptrIdEEEESD_jNS1_19radix_merge_compareILb0ELb0EdNS0_19identity_decomposerEEEEE10hipError_tT0_T1_T2_jT3_P12ihipStream_tbPNSt15iterator_traitsISI_E10value_typeEPNSO_ISJ_E10value_typeEPSK_NS1_7vsmem_tEENKUlT_SI_SJ_SK_E_clISD_PdSD_S10_EESH_SX_SI_SJ_SK_EUlSX_E1_NS1_11comp_targetILNS1_3genE3ELNS1_11target_archE908ELNS1_3gpuE7ELNS1_3repE0EEENS1_36merge_oddeven_config_static_selectorELNS0_4arch9wavefront6targetE1EEEvSJ_
		.amdhsa_group_segment_fixed_size 0
		.amdhsa_private_segment_fixed_size 0
		.amdhsa_kernarg_size 48
		.amdhsa_user_sgpr_count 2
		.amdhsa_user_sgpr_dispatch_ptr 0
		.amdhsa_user_sgpr_queue_ptr 0
		.amdhsa_user_sgpr_kernarg_segment_ptr 1
		.amdhsa_user_sgpr_dispatch_id 0
		.amdhsa_user_sgpr_kernarg_preload_length 0
		.amdhsa_user_sgpr_kernarg_preload_offset 0
		.amdhsa_user_sgpr_private_segment_size 0
		.amdhsa_uses_dynamic_stack 0
		.amdhsa_enable_private_segment 0
		.amdhsa_system_sgpr_workgroup_id_x 1
		.amdhsa_system_sgpr_workgroup_id_y 0
		.amdhsa_system_sgpr_workgroup_id_z 0
		.amdhsa_system_sgpr_workgroup_info 0
		.amdhsa_system_vgpr_workitem_id 0
		.amdhsa_next_free_vgpr 1
		.amdhsa_next_free_sgpr 0
		.amdhsa_accum_offset 4
		.amdhsa_reserve_vcc 0
		.amdhsa_float_round_mode_32 0
		.amdhsa_float_round_mode_16_64 0
		.amdhsa_float_denorm_mode_32 3
		.amdhsa_float_denorm_mode_16_64 3
		.amdhsa_dx10_clamp 1
		.amdhsa_ieee_mode 1
		.amdhsa_fp16_overflow 0
		.amdhsa_tg_split 0
		.amdhsa_exception_fp_ieee_invalid_op 0
		.amdhsa_exception_fp_denorm_src 0
		.amdhsa_exception_fp_ieee_div_zero 0
		.amdhsa_exception_fp_ieee_overflow 0
		.amdhsa_exception_fp_ieee_underflow 0
		.amdhsa_exception_fp_ieee_inexact 0
		.amdhsa_exception_int_div_zero 0
	.end_amdhsa_kernel
	.section	.text._ZN7rocprim17ROCPRIM_400000_NS6detail17trampoline_kernelINS0_14default_configENS1_38merge_sort_block_merge_config_selectorIddEEZZNS1_27merge_sort_block_merge_implIS3_N6thrust23THRUST_200600_302600_NS6detail15normal_iteratorINS8_10device_ptrIdEEEESD_jNS1_19radix_merge_compareILb0ELb0EdNS0_19identity_decomposerEEEEE10hipError_tT0_T1_T2_jT3_P12ihipStream_tbPNSt15iterator_traitsISI_E10value_typeEPNSO_ISJ_E10value_typeEPSK_NS1_7vsmem_tEENKUlT_SI_SJ_SK_E_clISD_PdSD_S10_EESH_SX_SI_SJ_SK_EUlSX_E1_NS1_11comp_targetILNS1_3genE3ELNS1_11target_archE908ELNS1_3gpuE7ELNS1_3repE0EEENS1_36merge_oddeven_config_static_selectorELNS0_4arch9wavefront6targetE1EEEvSJ_,"axG",@progbits,_ZN7rocprim17ROCPRIM_400000_NS6detail17trampoline_kernelINS0_14default_configENS1_38merge_sort_block_merge_config_selectorIddEEZZNS1_27merge_sort_block_merge_implIS3_N6thrust23THRUST_200600_302600_NS6detail15normal_iteratorINS8_10device_ptrIdEEEESD_jNS1_19radix_merge_compareILb0ELb0EdNS0_19identity_decomposerEEEEE10hipError_tT0_T1_T2_jT3_P12ihipStream_tbPNSt15iterator_traitsISI_E10value_typeEPNSO_ISJ_E10value_typeEPSK_NS1_7vsmem_tEENKUlT_SI_SJ_SK_E_clISD_PdSD_S10_EESH_SX_SI_SJ_SK_EUlSX_E1_NS1_11comp_targetILNS1_3genE3ELNS1_11target_archE908ELNS1_3gpuE7ELNS1_3repE0EEENS1_36merge_oddeven_config_static_selectorELNS0_4arch9wavefront6targetE1EEEvSJ_,comdat
.Lfunc_end69:
	.size	_ZN7rocprim17ROCPRIM_400000_NS6detail17trampoline_kernelINS0_14default_configENS1_38merge_sort_block_merge_config_selectorIddEEZZNS1_27merge_sort_block_merge_implIS3_N6thrust23THRUST_200600_302600_NS6detail15normal_iteratorINS8_10device_ptrIdEEEESD_jNS1_19radix_merge_compareILb0ELb0EdNS0_19identity_decomposerEEEEE10hipError_tT0_T1_T2_jT3_P12ihipStream_tbPNSt15iterator_traitsISI_E10value_typeEPNSO_ISJ_E10value_typeEPSK_NS1_7vsmem_tEENKUlT_SI_SJ_SK_E_clISD_PdSD_S10_EESH_SX_SI_SJ_SK_EUlSX_E1_NS1_11comp_targetILNS1_3genE3ELNS1_11target_archE908ELNS1_3gpuE7ELNS1_3repE0EEENS1_36merge_oddeven_config_static_selectorELNS0_4arch9wavefront6targetE1EEEvSJ_, .Lfunc_end69-_ZN7rocprim17ROCPRIM_400000_NS6detail17trampoline_kernelINS0_14default_configENS1_38merge_sort_block_merge_config_selectorIddEEZZNS1_27merge_sort_block_merge_implIS3_N6thrust23THRUST_200600_302600_NS6detail15normal_iteratorINS8_10device_ptrIdEEEESD_jNS1_19radix_merge_compareILb0ELb0EdNS0_19identity_decomposerEEEEE10hipError_tT0_T1_T2_jT3_P12ihipStream_tbPNSt15iterator_traitsISI_E10value_typeEPNSO_ISJ_E10value_typeEPSK_NS1_7vsmem_tEENKUlT_SI_SJ_SK_E_clISD_PdSD_S10_EESH_SX_SI_SJ_SK_EUlSX_E1_NS1_11comp_targetILNS1_3genE3ELNS1_11target_archE908ELNS1_3gpuE7ELNS1_3repE0EEENS1_36merge_oddeven_config_static_selectorELNS0_4arch9wavefront6targetE1EEEvSJ_
                                        ; -- End function
	.set _ZN7rocprim17ROCPRIM_400000_NS6detail17trampoline_kernelINS0_14default_configENS1_38merge_sort_block_merge_config_selectorIddEEZZNS1_27merge_sort_block_merge_implIS3_N6thrust23THRUST_200600_302600_NS6detail15normal_iteratorINS8_10device_ptrIdEEEESD_jNS1_19radix_merge_compareILb0ELb0EdNS0_19identity_decomposerEEEEE10hipError_tT0_T1_T2_jT3_P12ihipStream_tbPNSt15iterator_traitsISI_E10value_typeEPNSO_ISJ_E10value_typeEPSK_NS1_7vsmem_tEENKUlT_SI_SJ_SK_E_clISD_PdSD_S10_EESH_SX_SI_SJ_SK_EUlSX_E1_NS1_11comp_targetILNS1_3genE3ELNS1_11target_archE908ELNS1_3gpuE7ELNS1_3repE0EEENS1_36merge_oddeven_config_static_selectorELNS0_4arch9wavefront6targetE1EEEvSJ_.num_vgpr, 0
	.set _ZN7rocprim17ROCPRIM_400000_NS6detail17trampoline_kernelINS0_14default_configENS1_38merge_sort_block_merge_config_selectorIddEEZZNS1_27merge_sort_block_merge_implIS3_N6thrust23THRUST_200600_302600_NS6detail15normal_iteratorINS8_10device_ptrIdEEEESD_jNS1_19radix_merge_compareILb0ELb0EdNS0_19identity_decomposerEEEEE10hipError_tT0_T1_T2_jT3_P12ihipStream_tbPNSt15iterator_traitsISI_E10value_typeEPNSO_ISJ_E10value_typeEPSK_NS1_7vsmem_tEENKUlT_SI_SJ_SK_E_clISD_PdSD_S10_EESH_SX_SI_SJ_SK_EUlSX_E1_NS1_11comp_targetILNS1_3genE3ELNS1_11target_archE908ELNS1_3gpuE7ELNS1_3repE0EEENS1_36merge_oddeven_config_static_selectorELNS0_4arch9wavefront6targetE1EEEvSJ_.num_agpr, 0
	.set _ZN7rocprim17ROCPRIM_400000_NS6detail17trampoline_kernelINS0_14default_configENS1_38merge_sort_block_merge_config_selectorIddEEZZNS1_27merge_sort_block_merge_implIS3_N6thrust23THRUST_200600_302600_NS6detail15normal_iteratorINS8_10device_ptrIdEEEESD_jNS1_19radix_merge_compareILb0ELb0EdNS0_19identity_decomposerEEEEE10hipError_tT0_T1_T2_jT3_P12ihipStream_tbPNSt15iterator_traitsISI_E10value_typeEPNSO_ISJ_E10value_typeEPSK_NS1_7vsmem_tEENKUlT_SI_SJ_SK_E_clISD_PdSD_S10_EESH_SX_SI_SJ_SK_EUlSX_E1_NS1_11comp_targetILNS1_3genE3ELNS1_11target_archE908ELNS1_3gpuE7ELNS1_3repE0EEENS1_36merge_oddeven_config_static_selectorELNS0_4arch9wavefront6targetE1EEEvSJ_.numbered_sgpr, 0
	.set _ZN7rocprim17ROCPRIM_400000_NS6detail17trampoline_kernelINS0_14default_configENS1_38merge_sort_block_merge_config_selectorIddEEZZNS1_27merge_sort_block_merge_implIS3_N6thrust23THRUST_200600_302600_NS6detail15normal_iteratorINS8_10device_ptrIdEEEESD_jNS1_19radix_merge_compareILb0ELb0EdNS0_19identity_decomposerEEEEE10hipError_tT0_T1_T2_jT3_P12ihipStream_tbPNSt15iterator_traitsISI_E10value_typeEPNSO_ISJ_E10value_typeEPSK_NS1_7vsmem_tEENKUlT_SI_SJ_SK_E_clISD_PdSD_S10_EESH_SX_SI_SJ_SK_EUlSX_E1_NS1_11comp_targetILNS1_3genE3ELNS1_11target_archE908ELNS1_3gpuE7ELNS1_3repE0EEENS1_36merge_oddeven_config_static_selectorELNS0_4arch9wavefront6targetE1EEEvSJ_.num_named_barrier, 0
	.set _ZN7rocprim17ROCPRIM_400000_NS6detail17trampoline_kernelINS0_14default_configENS1_38merge_sort_block_merge_config_selectorIddEEZZNS1_27merge_sort_block_merge_implIS3_N6thrust23THRUST_200600_302600_NS6detail15normal_iteratorINS8_10device_ptrIdEEEESD_jNS1_19radix_merge_compareILb0ELb0EdNS0_19identity_decomposerEEEEE10hipError_tT0_T1_T2_jT3_P12ihipStream_tbPNSt15iterator_traitsISI_E10value_typeEPNSO_ISJ_E10value_typeEPSK_NS1_7vsmem_tEENKUlT_SI_SJ_SK_E_clISD_PdSD_S10_EESH_SX_SI_SJ_SK_EUlSX_E1_NS1_11comp_targetILNS1_3genE3ELNS1_11target_archE908ELNS1_3gpuE7ELNS1_3repE0EEENS1_36merge_oddeven_config_static_selectorELNS0_4arch9wavefront6targetE1EEEvSJ_.private_seg_size, 0
	.set _ZN7rocprim17ROCPRIM_400000_NS6detail17trampoline_kernelINS0_14default_configENS1_38merge_sort_block_merge_config_selectorIddEEZZNS1_27merge_sort_block_merge_implIS3_N6thrust23THRUST_200600_302600_NS6detail15normal_iteratorINS8_10device_ptrIdEEEESD_jNS1_19radix_merge_compareILb0ELb0EdNS0_19identity_decomposerEEEEE10hipError_tT0_T1_T2_jT3_P12ihipStream_tbPNSt15iterator_traitsISI_E10value_typeEPNSO_ISJ_E10value_typeEPSK_NS1_7vsmem_tEENKUlT_SI_SJ_SK_E_clISD_PdSD_S10_EESH_SX_SI_SJ_SK_EUlSX_E1_NS1_11comp_targetILNS1_3genE3ELNS1_11target_archE908ELNS1_3gpuE7ELNS1_3repE0EEENS1_36merge_oddeven_config_static_selectorELNS0_4arch9wavefront6targetE1EEEvSJ_.uses_vcc, 0
	.set _ZN7rocprim17ROCPRIM_400000_NS6detail17trampoline_kernelINS0_14default_configENS1_38merge_sort_block_merge_config_selectorIddEEZZNS1_27merge_sort_block_merge_implIS3_N6thrust23THRUST_200600_302600_NS6detail15normal_iteratorINS8_10device_ptrIdEEEESD_jNS1_19radix_merge_compareILb0ELb0EdNS0_19identity_decomposerEEEEE10hipError_tT0_T1_T2_jT3_P12ihipStream_tbPNSt15iterator_traitsISI_E10value_typeEPNSO_ISJ_E10value_typeEPSK_NS1_7vsmem_tEENKUlT_SI_SJ_SK_E_clISD_PdSD_S10_EESH_SX_SI_SJ_SK_EUlSX_E1_NS1_11comp_targetILNS1_3genE3ELNS1_11target_archE908ELNS1_3gpuE7ELNS1_3repE0EEENS1_36merge_oddeven_config_static_selectorELNS0_4arch9wavefront6targetE1EEEvSJ_.uses_flat_scratch, 0
	.set _ZN7rocprim17ROCPRIM_400000_NS6detail17trampoline_kernelINS0_14default_configENS1_38merge_sort_block_merge_config_selectorIddEEZZNS1_27merge_sort_block_merge_implIS3_N6thrust23THRUST_200600_302600_NS6detail15normal_iteratorINS8_10device_ptrIdEEEESD_jNS1_19radix_merge_compareILb0ELb0EdNS0_19identity_decomposerEEEEE10hipError_tT0_T1_T2_jT3_P12ihipStream_tbPNSt15iterator_traitsISI_E10value_typeEPNSO_ISJ_E10value_typeEPSK_NS1_7vsmem_tEENKUlT_SI_SJ_SK_E_clISD_PdSD_S10_EESH_SX_SI_SJ_SK_EUlSX_E1_NS1_11comp_targetILNS1_3genE3ELNS1_11target_archE908ELNS1_3gpuE7ELNS1_3repE0EEENS1_36merge_oddeven_config_static_selectorELNS0_4arch9wavefront6targetE1EEEvSJ_.has_dyn_sized_stack, 0
	.set _ZN7rocprim17ROCPRIM_400000_NS6detail17trampoline_kernelINS0_14default_configENS1_38merge_sort_block_merge_config_selectorIddEEZZNS1_27merge_sort_block_merge_implIS3_N6thrust23THRUST_200600_302600_NS6detail15normal_iteratorINS8_10device_ptrIdEEEESD_jNS1_19radix_merge_compareILb0ELb0EdNS0_19identity_decomposerEEEEE10hipError_tT0_T1_T2_jT3_P12ihipStream_tbPNSt15iterator_traitsISI_E10value_typeEPNSO_ISJ_E10value_typeEPSK_NS1_7vsmem_tEENKUlT_SI_SJ_SK_E_clISD_PdSD_S10_EESH_SX_SI_SJ_SK_EUlSX_E1_NS1_11comp_targetILNS1_3genE3ELNS1_11target_archE908ELNS1_3gpuE7ELNS1_3repE0EEENS1_36merge_oddeven_config_static_selectorELNS0_4arch9wavefront6targetE1EEEvSJ_.has_recursion, 0
	.set _ZN7rocprim17ROCPRIM_400000_NS6detail17trampoline_kernelINS0_14default_configENS1_38merge_sort_block_merge_config_selectorIddEEZZNS1_27merge_sort_block_merge_implIS3_N6thrust23THRUST_200600_302600_NS6detail15normal_iteratorINS8_10device_ptrIdEEEESD_jNS1_19radix_merge_compareILb0ELb0EdNS0_19identity_decomposerEEEEE10hipError_tT0_T1_T2_jT3_P12ihipStream_tbPNSt15iterator_traitsISI_E10value_typeEPNSO_ISJ_E10value_typeEPSK_NS1_7vsmem_tEENKUlT_SI_SJ_SK_E_clISD_PdSD_S10_EESH_SX_SI_SJ_SK_EUlSX_E1_NS1_11comp_targetILNS1_3genE3ELNS1_11target_archE908ELNS1_3gpuE7ELNS1_3repE0EEENS1_36merge_oddeven_config_static_selectorELNS0_4arch9wavefront6targetE1EEEvSJ_.has_indirect_call, 0
	.section	.AMDGPU.csdata,"",@progbits
; Kernel info:
; codeLenInByte = 0
; TotalNumSgprs: 6
; NumVgprs: 0
; NumAgprs: 0
; TotalNumVgprs: 0
; ScratchSize: 0
; MemoryBound: 0
; FloatMode: 240
; IeeeMode: 1
; LDSByteSize: 0 bytes/workgroup (compile time only)
; SGPRBlocks: 0
; VGPRBlocks: 0
; NumSGPRsForWavesPerEU: 6
; NumVGPRsForWavesPerEU: 1
; AccumOffset: 4
; Occupancy: 8
; WaveLimiterHint : 0
; COMPUTE_PGM_RSRC2:SCRATCH_EN: 0
; COMPUTE_PGM_RSRC2:USER_SGPR: 2
; COMPUTE_PGM_RSRC2:TRAP_HANDLER: 0
; COMPUTE_PGM_RSRC2:TGID_X_EN: 1
; COMPUTE_PGM_RSRC2:TGID_Y_EN: 0
; COMPUTE_PGM_RSRC2:TGID_Z_EN: 0
; COMPUTE_PGM_RSRC2:TIDIG_COMP_CNT: 0
; COMPUTE_PGM_RSRC3_GFX90A:ACCUM_OFFSET: 0
; COMPUTE_PGM_RSRC3_GFX90A:TG_SPLIT: 0
	.section	.text._ZN7rocprim17ROCPRIM_400000_NS6detail17trampoline_kernelINS0_14default_configENS1_38merge_sort_block_merge_config_selectorIddEEZZNS1_27merge_sort_block_merge_implIS3_N6thrust23THRUST_200600_302600_NS6detail15normal_iteratorINS8_10device_ptrIdEEEESD_jNS1_19radix_merge_compareILb0ELb0EdNS0_19identity_decomposerEEEEE10hipError_tT0_T1_T2_jT3_P12ihipStream_tbPNSt15iterator_traitsISI_E10value_typeEPNSO_ISJ_E10value_typeEPSK_NS1_7vsmem_tEENKUlT_SI_SJ_SK_E_clISD_PdSD_S10_EESH_SX_SI_SJ_SK_EUlSX_E1_NS1_11comp_targetILNS1_3genE2ELNS1_11target_archE906ELNS1_3gpuE6ELNS1_3repE0EEENS1_36merge_oddeven_config_static_selectorELNS0_4arch9wavefront6targetE1EEEvSJ_,"axG",@progbits,_ZN7rocprim17ROCPRIM_400000_NS6detail17trampoline_kernelINS0_14default_configENS1_38merge_sort_block_merge_config_selectorIddEEZZNS1_27merge_sort_block_merge_implIS3_N6thrust23THRUST_200600_302600_NS6detail15normal_iteratorINS8_10device_ptrIdEEEESD_jNS1_19radix_merge_compareILb0ELb0EdNS0_19identity_decomposerEEEEE10hipError_tT0_T1_T2_jT3_P12ihipStream_tbPNSt15iterator_traitsISI_E10value_typeEPNSO_ISJ_E10value_typeEPSK_NS1_7vsmem_tEENKUlT_SI_SJ_SK_E_clISD_PdSD_S10_EESH_SX_SI_SJ_SK_EUlSX_E1_NS1_11comp_targetILNS1_3genE2ELNS1_11target_archE906ELNS1_3gpuE6ELNS1_3repE0EEENS1_36merge_oddeven_config_static_selectorELNS0_4arch9wavefront6targetE1EEEvSJ_,comdat
	.protected	_ZN7rocprim17ROCPRIM_400000_NS6detail17trampoline_kernelINS0_14default_configENS1_38merge_sort_block_merge_config_selectorIddEEZZNS1_27merge_sort_block_merge_implIS3_N6thrust23THRUST_200600_302600_NS6detail15normal_iteratorINS8_10device_ptrIdEEEESD_jNS1_19radix_merge_compareILb0ELb0EdNS0_19identity_decomposerEEEEE10hipError_tT0_T1_T2_jT3_P12ihipStream_tbPNSt15iterator_traitsISI_E10value_typeEPNSO_ISJ_E10value_typeEPSK_NS1_7vsmem_tEENKUlT_SI_SJ_SK_E_clISD_PdSD_S10_EESH_SX_SI_SJ_SK_EUlSX_E1_NS1_11comp_targetILNS1_3genE2ELNS1_11target_archE906ELNS1_3gpuE6ELNS1_3repE0EEENS1_36merge_oddeven_config_static_selectorELNS0_4arch9wavefront6targetE1EEEvSJ_ ; -- Begin function _ZN7rocprim17ROCPRIM_400000_NS6detail17trampoline_kernelINS0_14default_configENS1_38merge_sort_block_merge_config_selectorIddEEZZNS1_27merge_sort_block_merge_implIS3_N6thrust23THRUST_200600_302600_NS6detail15normal_iteratorINS8_10device_ptrIdEEEESD_jNS1_19radix_merge_compareILb0ELb0EdNS0_19identity_decomposerEEEEE10hipError_tT0_T1_T2_jT3_P12ihipStream_tbPNSt15iterator_traitsISI_E10value_typeEPNSO_ISJ_E10value_typeEPSK_NS1_7vsmem_tEENKUlT_SI_SJ_SK_E_clISD_PdSD_S10_EESH_SX_SI_SJ_SK_EUlSX_E1_NS1_11comp_targetILNS1_3genE2ELNS1_11target_archE906ELNS1_3gpuE6ELNS1_3repE0EEENS1_36merge_oddeven_config_static_selectorELNS0_4arch9wavefront6targetE1EEEvSJ_
	.globl	_ZN7rocprim17ROCPRIM_400000_NS6detail17trampoline_kernelINS0_14default_configENS1_38merge_sort_block_merge_config_selectorIddEEZZNS1_27merge_sort_block_merge_implIS3_N6thrust23THRUST_200600_302600_NS6detail15normal_iteratorINS8_10device_ptrIdEEEESD_jNS1_19radix_merge_compareILb0ELb0EdNS0_19identity_decomposerEEEEE10hipError_tT0_T1_T2_jT3_P12ihipStream_tbPNSt15iterator_traitsISI_E10value_typeEPNSO_ISJ_E10value_typeEPSK_NS1_7vsmem_tEENKUlT_SI_SJ_SK_E_clISD_PdSD_S10_EESH_SX_SI_SJ_SK_EUlSX_E1_NS1_11comp_targetILNS1_3genE2ELNS1_11target_archE906ELNS1_3gpuE6ELNS1_3repE0EEENS1_36merge_oddeven_config_static_selectorELNS0_4arch9wavefront6targetE1EEEvSJ_
	.p2align	8
	.type	_ZN7rocprim17ROCPRIM_400000_NS6detail17trampoline_kernelINS0_14default_configENS1_38merge_sort_block_merge_config_selectorIddEEZZNS1_27merge_sort_block_merge_implIS3_N6thrust23THRUST_200600_302600_NS6detail15normal_iteratorINS8_10device_ptrIdEEEESD_jNS1_19radix_merge_compareILb0ELb0EdNS0_19identity_decomposerEEEEE10hipError_tT0_T1_T2_jT3_P12ihipStream_tbPNSt15iterator_traitsISI_E10value_typeEPNSO_ISJ_E10value_typeEPSK_NS1_7vsmem_tEENKUlT_SI_SJ_SK_E_clISD_PdSD_S10_EESH_SX_SI_SJ_SK_EUlSX_E1_NS1_11comp_targetILNS1_3genE2ELNS1_11target_archE906ELNS1_3gpuE6ELNS1_3repE0EEENS1_36merge_oddeven_config_static_selectorELNS0_4arch9wavefront6targetE1EEEvSJ_,@function
_ZN7rocprim17ROCPRIM_400000_NS6detail17trampoline_kernelINS0_14default_configENS1_38merge_sort_block_merge_config_selectorIddEEZZNS1_27merge_sort_block_merge_implIS3_N6thrust23THRUST_200600_302600_NS6detail15normal_iteratorINS8_10device_ptrIdEEEESD_jNS1_19radix_merge_compareILb0ELb0EdNS0_19identity_decomposerEEEEE10hipError_tT0_T1_T2_jT3_P12ihipStream_tbPNSt15iterator_traitsISI_E10value_typeEPNSO_ISJ_E10value_typeEPSK_NS1_7vsmem_tEENKUlT_SI_SJ_SK_E_clISD_PdSD_S10_EESH_SX_SI_SJ_SK_EUlSX_E1_NS1_11comp_targetILNS1_3genE2ELNS1_11target_archE906ELNS1_3gpuE6ELNS1_3repE0EEENS1_36merge_oddeven_config_static_selectorELNS0_4arch9wavefront6targetE1EEEvSJ_: ; @_ZN7rocprim17ROCPRIM_400000_NS6detail17trampoline_kernelINS0_14default_configENS1_38merge_sort_block_merge_config_selectorIddEEZZNS1_27merge_sort_block_merge_implIS3_N6thrust23THRUST_200600_302600_NS6detail15normal_iteratorINS8_10device_ptrIdEEEESD_jNS1_19radix_merge_compareILb0ELb0EdNS0_19identity_decomposerEEEEE10hipError_tT0_T1_T2_jT3_P12ihipStream_tbPNSt15iterator_traitsISI_E10value_typeEPNSO_ISJ_E10value_typeEPSK_NS1_7vsmem_tEENKUlT_SI_SJ_SK_E_clISD_PdSD_S10_EESH_SX_SI_SJ_SK_EUlSX_E1_NS1_11comp_targetILNS1_3genE2ELNS1_11target_archE906ELNS1_3gpuE6ELNS1_3repE0EEENS1_36merge_oddeven_config_static_selectorELNS0_4arch9wavefront6targetE1EEEvSJ_
; %bb.0:
	.section	.rodata,"a",@progbits
	.p2align	6, 0x0
	.amdhsa_kernel _ZN7rocprim17ROCPRIM_400000_NS6detail17trampoline_kernelINS0_14default_configENS1_38merge_sort_block_merge_config_selectorIddEEZZNS1_27merge_sort_block_merge_implIS3_N6thrust23THRUST_200600_302600_NS6detail15normal_iteratorINS8_10device_ptrIdEEEESD_jNS1_19radix_merge_compareILb0ELb0EdNS0_19identity_decomposerEEEEE10hipError_tT0_T1_T2_jT3_P12ihipStream_tbPNSt15iterator_traitsISI_E10value_typeEPNSO_ISJ_E10value_typeEPSK_NS1_7vsmem_tEENKUlT_SI_SJ_SK_E_clISD_PdSD_S10_EESH_SX_SI_SJ_SK_EUlSX_E1_NS1_11comp_targetILNS1_3genE2ELNS1_11target_archE906ELNS1_3gpuE6ELNS1_3repE0EEENS1_36merge_oddeven_config_static_selectorELNS0_4arch9wavefront6targetE1EEEvSJ_
		.amdhsa_group_segment_fixed_size 0
		.amdhsa_private_segment_fixed_size 0
		.amdhsa_kernarg_size 48
		.amdhsa_user_sgpr_count 2
		.amdhsa_user_sgpr_dispatch_ptr 0
		.amdhsa_user_sgpr_queue_ptr 0
		.amdhsa_user_sgpr_kernarg_segment_ptr 1
		.amdhsa_user_sgpr_dispatch_id 0
		.amdhsa_user_sgpr_kernarg_preload_length 0
		.amdhsa_user_sgpr_kernarg_preload_offset 0
		.amdhsa_user_sgpr_private_segment_size 0
		.amdhsa_uses_dynamic_stack 0
		.amdhsa_enable_private_segment 0
		.amdhsa_system_sgpr_workgroup_id_x 1
		.amdhsa_system_sgpr_workgroup_id_y 0
		.amdhsa_system_sgpr_workgroup_id_z 0
		.amdhsa_system_sgpr_workgroup_info 0
		.amdhsa_system_vgpr_workitem_id 0
		.amdhsa_next_free_vgpr 1
		.amdhsa_next_free_sgpr 0
		.amdhsa_accum_offset 4
		.amdhsa_reserve_vcc 0
		.amdhsa_float_round_mode_32 0
		.amdhsa_float_round_mode_16_64 0
		.amdhsa_float_denorm_mode_32 3
		.amdhsa_float_denorm_mode_16_64 3
		.amdhsa_dx10_clamp 1
		.amdhsa_ieee_mode 1
		.amdhsa_fp16_overflow 0
		.amdhsa_tg_split 0
		.amdhsa_exception_fp_ieee_invalid_op 0
		.amdhsa_exception_fp_denorm_src 0
		.amdhsa_exception_fp_ieee_div_zero 0
		.amdhsa_exception_fp_ieee_overflow 0
		.amdhsa_exception_fp_ieee_underflow 0
		.amdhsa_exception_fp_ieee_inexact 0
		.amdhsa_exception_int_div_zero 0
	.end_amdhsa_kernel
	.section	.text._ZN7rocprim17ROCPRIM_400000_NS6detail17trampoline_kernelINS0_14default_configENS1_38merge_sort_block_merge_config_selectorIddEEZZNS1_27merge_sort_block_merge_implIS3_N6thrust23THRUST_200600_302600_NS6detail15normal_iteratorINS8_10device_ptrIdEEEESD_jNS1_19radix_merge_compareILb0ELb0EdNS0_19identity_decomposerEEEEE10hipError_tT0_T1_T2_jT3_P12ihipStream_tbPNSt15iterator_traitsISI_E10value_typeEPNSO_ISJ_E10value_typeEPSK_NS1_7vsmem_tEENKUlT_SI_SJ_SK_E_clISD_PdSD_S10_EESH_SX_SI_SJ_SK_EUlSX_E1_NS1_11comp_targetILNS1_3genE2ELNS1_11target_archE906ELNS1_3gpuE6ELNS1_3repE0EEENS1_36merge_oddeven_config_static_selectorELNS0_4arch9wavefront6targetE1EEEvSJ_,"axG",@progbits,_ZN7rocprim17ROCPRIM_400000_NS6detail17trampoline_kernelINS0_14default_configENS1_38merge_sort_block_merge_config_selectorIddEEZZNS1_27merge_sort_block_merge_implIS3_N6thrust23THRUST_200600_302600_NS6detail15normal_iteratorINS8_10device_ptrIdEEEESD_jNS1_19radix_merge_compareILb0ELb0EdNS0_19identity_decomposerEEEEE10hipError_tT0_T1_T2_jT3_P12ihipStream_tbPNSt15iterator_traitsISI_E10value_typeEPNSO_ISJ_E10value_typeEPSK_NS1_7vsmem_tEENKUlT_SI_SJ_SK_E_clISD_PdSD_S10_EESH_SX_SI_SJ_SK_EUlSX_E1_NS1_11comp_targetILNS1_3genE2ELNS1_11target_archE906ELNS1_3gpuE6ELNS1_3repE0EEENS1_36merge_oddeven_config_static_selectorELNS0_4arch9wavefront6targetE1EEEvSJ_,comdat
.Lfunc_end70:
	.size	_ZN7rocprim17ROCPRIM_400000_NS6detail17trampoline_kernelINS0_14default_configENS1_38merge_sort_block_merge_config_selectorIddEEZZNS1_27merge_sort_block_merge_implIS3_N6thrust23THRUST_200600_302600_NS6detail15normal_iteratorINS8_10device_ptrIdEEEESD_jNS1_19radix_merge_compareILb0ELb0EdNS0_19identity_decomposerEEEEE10hipError_tT0_T1_T2_jT3_P12ihipStream_tbPNSt15iterator_traitsISI_E10value_typeEPNSO_ISJ_E10value_typeEPSK_NS1_7vsmem_tEENKUlT_SI_SJ_SK_E_clISD_PdSD_S10_EESH_SX_SI_SJ_SK_EUlSX_E1_NS1_11comp_targetILNS1_3genE2ELNS1_11target_archE906ELNS1_3gpuE6ELNS1_3repE0EEENS1_36merge_oddeven_config_static_selectorELNS0_4arch9wavefront6targetE1EEEvSJ_, .Lfunc_end70-_ZN7rocprim17ROCPRIM_400000_NS6detail17trampoline_kernelINS0_14default_configENS1_38merge_sort_block_merge_config_selectorIddEEZZNS1_27merge_sort_block_merge_implIS3_N6thrust23THRUST_200600_302600_NS6detail15normal_iteratorINS8_10device_ptrIdEEEESD_jNS1_19radix_merge_compareILb0ELb0EdNS0_19identity_decomposerEEEEE10hipError_tT0_T1_T2_jT3_P12ihipStream_tbPNSt15iterator_traitsISI_E10value_typeEPNSO_ISJ_E10value_typeEPSK_NS1_7vsmem_tEENKUlT_SI_SJ_SK_E_clISD_PdSD_S10_EESH_SX_SI_SJ_SK_EUlSX_E1_NS1_11comp_targetILNS1_3genE2ELNS1_11target_archE906ELNS1_3gpuE6ELNS1_3repE0EEENS1_36merge_oddeven_config_static_selectorELNS0_4arch9wavefront6targetE1EEEvSJ_
                                        ; -- End function
	.set _ZN7rocprim17ROCPRIM_400000_NS6detail17trampoline_kernelINS0_14default_configENS1_38merge_sort_block_merge_config_selectorIddEEZZNS1_27merge_sort_block_merge_implIS3_N6thrust23THRUST_200600_302600_NS6detail15normal_iteratorINS8_10device_ptrIdEEEESD_jNS1_19radix_merge_compareILb0ELb0EdNS0_19identity_decomposerEEEEE10hipError_tT0_T1_T2_jT3_P12ihipStream_tbPNSt15iterator_traitsISI_E10value_typeEPNSO_ISJ_E10value_typeEPSK_NS1_7vsmem_tEENKUlT_SI_SJ_SK_E_clISD_PdSD_S10_EESH_SX_SI_SJ_SK_EUlSX_E1_NS1_11comp_targetILNS1_3genE2ELNS1_11target_archE906ELNS1_3gpuE6ELNS1_3repE0EEENS1_36merge_oddeven_config_static_selectorELNS0_4arch9wavefront6targetE1EEEvSJ_.num_vgpr, 0
	.set _ZN7rocprim17ROCPRIM_400000_NS6detail17trampoline_kernelINS0_14default_configENS1_38merge_sort_block_merge_config_selectorIddEEZZNS1_27merge_sort_block_merge_implIS3_N6thrust23THRUST_200600_302600_NS6detail15normal_iteratorINS8_10device_ptrIdEEEESD_jNS1_19radix_merge_compareILb0ELb0EdNS0_19identity_decomposerEEEEE10hipError_tT0_T1_T2_jT3_P12ihipStream_tbPNSt15iterator_traitsISI_E10value_typeEPNSO_ISJ_E10value_typeEPSK_NS1_7vsmem_tEENKUlT_SI_SJ_SK_E_clISD_PdSD_S10_EESH_SX_SI_SJ_SK_EUlSX_E1_NS1_11comp_targetILNS1_3genE2ELNS1_11target_archE906ELNS1_3gpuE6ELNS1_3repE0EEENS1_36merge_oddeven_config_static_selectorELNS0_4arch9wavefront6targetE1EEEvSJ_.num_agpr, 0
	.set _ZN7rocprim17ROCPRIM_400000_NS6detail17trampoline_kernelINS0_14default_configENS1_38merge_sort_block_merge_config_selectorIddEEZZNS1_27merge_sort_block_merge_implIS3_N6thrust23THRUST_200600_302600_NS6detail15normal_iteratorINS8_10device_ptrIdEEEESD_jNS1_19radix_merge_compareILb0ELb0EdNS0_19identity_decomposerEEEEE10hipError_tT0_T1_T2_jT3_P12ihipStream_tbPNSt15iterator_traitsISI_E10value_typeEPNSO_ISJ_E10value_typeEPSK_NS1_7vsmem_tEENKUlT_SI_SJ_SK_E_clISD_PdSD_S10_EESH_SX_SI_SJ_SK_EUlSX_E1_NS1_11comp_targetILNS1_3genE2ELNS1_11target_archE906ELNS1_3gpuE6ELNS1_3repE0EEENS1_36merge_oddeven_config_static_selectorELNS0_4arch9wavefront6targetE1EEEvSJ_.numbered_sgpr, 0
	.set _ZN7rocprim17ROCPRIM_400000_NS6detail17trampoline_kernelINS0_14default_configENS1_38merge_sort_block_merge_config_selectorIddEEZZNS1_27merge_sort_block_merge_implIS3_N6thrust23THRUST_200600_302600_NS6detail15normal_iteratorINS8_10device_ptrIdEEEESD_jNS1_19radix_merge_compareILb0ELb0EdNS0_19identity_decomposerEEEEE10hipError_tT0_T1_T2_jT3_P12ihipStream_tbPNSt15iterator_traitsISI_E10value_typeEPNSO_ISJ_E10value_typeEPSK_NS1_7vsmem_tEENKUlT_SI_SJ_SK_E_clISD_PdSD_S10_EESH_SX_SI_SJ_SK_EUlSX_E1_NS1_11comp_targetILNS1_3genE2ELNS1_11target_archE906ELNS1_3gpuE6ELNS1_3repE0EEENS1_36merge_oddeven_config_static_selectorELNS0_4arch9wavefront6targetE1EEEvSJ_.num_named_barrier, 0
	.set _ZN7rocprim17ROCPRIM_400000_NS6detail17trampoline_kernelINS0_14default_configENS1_38merge_sort_block_merge_config_selectorIddEEZZNS1_27merge_sort_block_merge_implIS3_N6thrust23THRUST_200600_302600_NS6detail15normal_iteratorINS8_10device_ptrIdEEEESD_jNS1_19radix_merge_compareILb0ELb0EdNS0_19identity_decomposerEEEEE10hipError_tT0_T1_T2_jT3_P12ihipStream_tbPNSt15iterator_traitsISI_E10value_typeEPNSO_ISJ_E10value_typeEPSK_NS1_7vsmem_tEENKUlT_SI_SJ_SK_E_clISD_PdSD_S10_EESH_SX_SI_SJ_SK_EUlSX_E1_NS1_11comp_targetILNS1_3genE2ELNS1_11target_archE906ELNS1_3gpuE6ELNS1_3repE0EEENS1_36merge_oddeven_config_static_selectorELNS0_4arch9wavefront6targetE1EEEvSJ_.private_seg_size, 0
	.set _ZN7rocprim17ROCPRIM_400000_NS6detail17trampoline_kernelINS0_14default_configENS1_38merge_sort_block_merge_config_selectorIddEEZZNS1_27merge_sort_block_merge_implIS3_N6thrust23THRUST_200600_302600_NS6detail15normal_iteratorINS8_10device_ptrIdEEEESD_jNS1_19radix_merge_compareILb0ELb0EdNS0_19identity_decomposerEEEEE10hipError_tT0_T1_T2_jT3_P12ihipStream_tbPNSt15iterator_traitsISI_E10value_typeEPNSO_ISJ_E10value_typeEPSK_NS1_7vsmem_tEENKUlT_SI_SJ_SK_E_clISD_PdSD_S10_EESH_SX_SI_SJ_SK_EUlSX_E1_NS1_11comp_targetILNS1_3genE2ELNS1_11target_archE906ELNS1_3gpuE6ELNS1_3repE0EEENS1_36merge_oddeven_config_static_selectorELNS0_4arch9wavefront6targetE1EEEvSJ_.uses_vcc, 0
	.set _ZN7rocprim17ROCPRIM_400000_NS6detail17trampoline_kernelINS0_14default_configENS1_38merge_sort_block_merge_config_selectorIddEEZZNS1_27merge_sort_block_merge_implIS3_N6thrust23THRUST_200600_302600_NS6detail15normal_iteratorINS8_10device_ptrIdEEEESD_jNS1_19radix_merge_compareILb0ELb0EdNS0_19identity_decomposerEEEEE10hipError_tT0_T1_T2_jT3_P12ihipStream_tbPNSt15iterator_traitsISI_E10value_typeEPNSO_ISJ_E10value_typeEPSK_NS1_7vsmem_tEENKUlT_SI_SJ_SK_E_clISD_PdSD_S10_EESH_SX_SI_SJ_SK_EUlSX_E1_NS1_11comp_targetILNS1_3genE2ELNS1_11target_archE906ELNS1_3gpuE6ELNS1_3repE0EEENS1_36merge_oddeven_config_static_selectorELNS0_4arch9wavefront6targetE1EEEvSJ_.uses_flat_scratch, 0
	.set _ZN7rocprim17ROCPRIM_400000_NS6detail17trampoline_kernelINS0_14default_configENS1_38merge_sort_block_merge_config_selectorIddEEZZNS1_27merge_sort_block_merge_implIS3_N6thrust23THRUST_200600_302600_NS6detail15normal_iteratorINS8_10device_ptrIdEEEESD_jNS1_19radix_merge_compareILb0ELb0EdNS0_19identity_decomposerEEEEE10hipError_tT0_T1_T2_jT3_P12ihipStream_tbPNSt15iterator_traitsISI_E10value_typeEPNSO_ISJ_E10value_typeEPSK_NS1_7vsmem_tEENKUlT_SI_SJ_SK_E_clISD_PdSD_S10_EESH_SX_SI_SJ_SK_EUlSX_E1_NS1_11comp_targetILNS1_3genE2ELNS1_11target_archE906ELNS1_3gpuE6ELNS1_3repE0EEENS1_36merge_oddeven_config_static_selectorELNS0_4arch9wavefront6targetE1EEEvSJ_.has_dyn_sized_stack, 0
	.set _ZN7rocprim17ROCPRIM_400000_NS6detail17trampoline_kernelINS0_14default_configENS1_38merge_sort_block_merge_config_selectorIddEEZZNS1_27merge_sort_block_merge_implIS3_N6thrust23THRUST_200600_302600_NS6detail15normal_iteratorINS8_10device_ptrIdEEEESD_jNS1_19radix_merge_compareILb0ELb0EdNS0_19identity_decomposerEEEEE10hipError_tT0_T1_T2_jT3_P12ihipStream_tbPNSt15iterator_traitsISI_E10value_typeEPNSO_ISJ_E10value_typeEPSK_NS1_7vsmem_tEENKUlT_SI_SJ_SK_E_clISD_PdSD_S10_EESH_SX_SI_SJ_SK_EUlSX_E1_NS1_11comp_targetILNS1_3genE2ELNS1_11target_archE906ELNS1_3gpuE6ELNS1_3repE0EEENS1_36merge_oddeven_config_static_selectorELNS0_4arch9wavefront6targetE1EEEvSJ_.has_recursion, 0
	.set _ZN7rocprim17ROCPRIM_400000_NS6detail17trampoline_kernelINS0_14default_configENS1_38merge_sort_block_merge_config_selectorIddEEZZNS1_27merge_sort_block_merge_implIS3_N6thrust23THRUST_200600_302600_NS6detail15normal_iteratorINS8_10device_ptrIdEEEESD_jNS1_19radix_merge_compareILb0ELb0EdNS0_19identity_decomposerEEEEE10hipError_tT0_T1_T2_jT3_P12ihipStream_tbPNSt15iterator_traitsISI_E10value_typeEPNSO_ISJ_E10value_typeEPSK_NS1_7vsmem_tEENKUlT_SI_SJ_SK_E_clISD_PdSD_S10_EESH_SX_SI_SJ_SK_EUlSX_E1_NS1_11comp_targetILNS1_3genE2ELNS1_11target_archE906ELNS1_3gpuE6ELNS1_3repE0EEENS1_36merge_oddeven_config_static_selectorELNS0_4arch9wavefront6targetE1EEEvSJ_.has_indirect_call, 0
	.section	.AMDGPU.csdata,"",@progbits
; Kernel info:
; codeLenInByte = 0
; TotalNumSgprs: 6
; NumVgprs: 0
; NumAgprs: 0
; TotalNumVgprs: 0
; ScratchSize: 0
; MemoryBound: 0
; FloatMode: 240
; IeeeMode: 1
; LDSByteSize: 0 bytes/workgroup (compile time only)
; SGPRBlocks: 0
; VGPRBlocks: 0
; NumSGPRsForWavesPerEU: 6
; NumVGPRsForWavesPerEU: 1
; AccumOffset: 4
; Occupancy: 8
; WaveLimiterHint : 0
; COMPUTE_PGM_RSRC2:SCRATCH_EN: 0
; COMPUTE_PGM_RSRC2:USER_SGPR: 2
; COMPUTE_PGM_RSRC2:TRAP_HANDLER: 0
; COMPUTE_PGM_RSRC2:TGID_X_EN: 1
; COMPUTE_PGM_RSRC2:TGID_Y_EN: 0
; COMPUTE_PGM_RSRC2:TGID_Z_EN: 0
; COMPUTE_PGM_RSRC2:TIDIG_COMP_CNT: 0
; COMPUTE_PGM_RSRC3_GFX90A:ACCUM_OFFSET: 0
; COMPUTE_PGM_RSRC3_GFX90A:TG_SPLIT: 0
	.section	.text._ZN7rocprim17ROCPRIM_400000_NS6detail17trampoline_kernelINS0_14default_configENS1_38merge_sort_block_merge_config_selectorIddEEZZNS1_27merge_sort_block_merge_implIS3_N6thrust23THRUST_200600_302600_NS6detail15normal_iteratorINS8_10device_ptrIdEEEESD_jNS1_19radix_merge_compareILb0ELb0EdNS0_19identity_decomposerEEEEE10hipError_tT0_T1_T2_jT3_P12ihipStream_tbPNSt15iterator_traitsISI_E10value_typeEPNSO_ISJ_E10value_typeEPSK_NS1_7vsmem_tEENKUlT_SI_SJ_SK_E_clISD_PdSD_S10_EESH_SX_SI_SJ_SK_EUlSX_E1_NS1_11comp_targetILNS1_3genE9ELNS1_11target_archE1100ELNS1_3gpuE3ELNS1_3repE0EEENS1_36merge_oddeven_config_static_selectorELNS0_4arch9wavefront6targetE1EEEvSJ_,"axG",@progbits,_ZN7rocprim17ROCPRIM_400000_NS6detail17trampoline_kernelINS0_14default_configENS1_38merge_sort_block_merge_config_selectorIddEEZZNS1_27merge_sort_block_merge_implIS3_N6thrust23THRUST_200600_302600_NS6detail15normal_iteratorINS8_10device_ptrIdEEEESD_jNS1_19radix_merge_compareILb0ELb0EdNS0_19identity_decomposerEEEEE10hipError_tT0_T1_T2_jT3_P12ihipStream_tbPNSt15iterator_traitsISI_E10value_typeEPNSO_ISJ_E10value_typeEPSK_NS1_7vsmem_tEENKUlT_SI_SJ_SK_E_clISD_PdSD_S10_EESH_SX_SI_SJ_SK_EUlSX_E1_NS1_11comp_targetILNS1_3genE9ELNS1_11target_archE1100ELNS1_3gpuE3ELNS1_3repE0EEENS1_36merge_oddeven_config_static_selectorELNS0_4arch9wavefront6targetE1EEEvSJ_,comdat
	.protected	_ZN7rocprim17ROCPRIM_400000_NS6detail17trampoline_kernelINS0_14default_configENS1_38merge_sort_block_merge_config_selectorIddEEZZNS1_27merge_sort_block_merge_implIS3_N6thrust23THRUST_200600_302600_NS6detail15normal_iteratorINS8_10device_ptrIdEEEESD_jNS1_19radix_merge_compareILb0ELb0EdNS0_19identity_decomposerEEEEE10hipError_tT0_T1_T2_jT3_P12ihipStream_tbPNSt15iterator_traitsISI_E10value_typeEPNSO_ISJ_E10value_typeEPSK_NS1_7vsmem_tEENKUlT_SI_SJ_SK_E_clISD_PdSD_S10_EESH_SX_SI_SJ_SK_EUlSX_E1_NS1_11comp_targetILNS1_3genE9ELNS1_11target_archE1100ELNS1_3gpuE3ELNS1_3repE0EEENS1_36merge_oddeven_config_static_selectorELNS0_4arch9wavefront6targetE1EEEvSJ_ ; -- Begin function _ZN7rocprim17ROCPRIM_400000_NS6detail17trampoline_kernelINS0_14default_configENS1_38merge_sort_block_merge_config_selectorIddEEZZNS1_27merge_sort_block_merge_implIS3_N6thrust23THRUST_200600_302600_NS6detail15normal_iteratorINS8_10device_ptrIdEEEESD_jNS1_19radix_merge_compareILb0ELb0EdNS0_19identity_decomposerEEEEE10hipError_tT0_T1_T2_jT3_P12ihipStream_tbPNSt15iterator_traitsISI_E10value_typeEPNSO_ISJ_E10value_typeEPSK_NS1_7vsmem_tEENKUlT_SI_SJ_SK_E_clISD_PdSD_S10_EESH_SX_SI_SJ_SK_EUlSX_E1_NS1_11comp_targetILNS1_3genE9ELNS1_11target_archE1100ELNS1_3gpuE3ELNS1_3repE0EEENS1_36merge_oddeven_config_static_selectorELNS0_4arch9wavefront6targetE1EEEvSJ_
	.globl	_ZN7rocprim17ROCPRIM_400000_NS6detail17trampoline_kernelINS0_14default_configENS1_38merge_sort_block_merge_config_selectorIddEEZZNS1_27merge_sort_block_merge_implIS3_N6thrust23THRUST_200600_302600_NS6detail15normal_iteratorINS8_10device_ptrIdEEEESD_jNS1_19radix_merge_compareILb0ELb0EdNS0_19identity_decomposerEEEEE10hipError_tT0_T1_T2_jT3_P12ihipStream_tbPNSt15iterator_traitsISI_E10value_typeEPNSO_ISJ_E10value_typeEPSK_NS1_7vsmem_tEENKUlT_SI_SJ_SK_E_clISD_PdSD_S10_EESH_SX_SI_SJ_SK_EUlSX_E1_NS1_11comp_targetILNS1_3genE9ELNS1_11target_archE1100ELNS1_3gpuE3ELNS1_3repE0EEENS1_36merge_oddeven_config_static_selectorELNS0_4arch9wavefront6targetE1EEEvSJ_
	.p2align	8
	.type	_ZN7rocprim17ROCPRIM_400000_NS6detail17trampoline_kernelINS0_14default_configENS1_38merge_sort_block_merge_config_selectorIddEEZZNS1_27merge_sort_block_merge_implIS3_N6thrust23THRUST_200600_302600_NS6detail15normal_iteratorINS8_10device_ptrIdEEEESD_jNS1_19radix_merge_compareILb0ELb0EdNS0_19identity_decomposerEEEEE10hipError_tT0_T1_T2_jT3_P12ihipStream_tbPNSt15iterator_traitsISI_E10value_typeEPNSO_ISJ_E10value_typeEPSK_NS1_7vsmem_tEENKUlT_SI_SJ_SK_E_clISD_PdSD_S10_EESH_SX_SI_SJ_SK_EUlSX_E1_NS1_11comp_targetILNS1_3genE9ELNS1_11target_archE1100ELNS1_3gpuE3ELNS1_3repE0EEENS1_36merge_oddeven_config_static_selectorELNS0_4arch9wavefront6targetE1EEEvSJ_,@function
_ZN7rocprim17ROCPRIM_400000_NS6detail17trampoline_kernelINS0_14default_configENS1_38merge_sort_block_merge_config_selectorIddEEZZNS1_27merge_sort_block_merge_implIS3_N6thrust23THRUST_200600_302600_NS6detail15normal_iteratorINS8_10device_ptrIdEEEESD_jNS1_19radix_merge_compareILb0ELb0EdNS0_19identity_decomposerEEEEE10hipError_tT0_T1_T2_jT3_P12ihipStream_tbPNSt15iterator_traitsISI_E10value_typeEPNSO_ISJ_E10value_typeEPSK_NS1_7vsmem_tEENKUlT_SI_SJ_SK_E_clISD_PdSD_S10_EESH_SX_SI_SJ_SK_EUlSX_E1_NS1_11comp_targetILNS1_3genE9ELNS1_11target_archE1100ELNS1_3gpuE3ELNS1_3repE0EEENS1_36merge_oddeven_config_static_selectorELNS0_4arch9wavefront6targetE1EEEvSJ_: ; @_ZN7rocprim17ROCPRIM_400000_NS6detail17trampoline_kernelINS0_14default_configENS1_38merge_sort_block_merge_config_selectorIddEEZZNS1_27merge_sort_block_merge_implIS3_N6thrust23THRUST_200600_302600_NS6detail15normal_iteratorINS8_10device_ptrIdEEEESD_jNS1_19radix_merge_compareILb0ELb0EdNS0_19identity_decomposerEEEEE10hipError_tT0_T1_T2_jT3_P12ihipStream_tbPNSt15iterator_traitsISI_E10value_typeEPNSO_ISJ_E10value_typeEPSK_NS1_7vsmem_tEENKUlT_SI_SJ_SK_E_clISD_PdSD_S10_EESH_SX_SI_SJ_SK_EUlSX_E1_NS1_11comp_targetILNS1_3genE9ELNS1_11target_archE1100ELNS1_3gpuE3ELNS1_3repE0EEENS1_36merge_oddeven_config_static_selectorELNS0_4arch9wavefront6targetE1EEEvSJ_
; %bb.0:
	.section	.rodata,"a",@progbits
	.p2align	6, 0x0
	.amdhsa_kernel _ZN7rocprim17ROCPRIM_400000_NS6detail17trampoline_kernelINS0_14default_configENS1_38merge_sort_block_merge_config_selectorIddEEZZNS1_27merge_sort_block_merge_implIS3_N6thrust23THRUST_200600_302600_NS6detail15normal_iteratorINS8_10device_ptrIdEEEESD_jNS1_19radix_merge_compareILb0ELb0EdNS0_19identity_decomposerEEEEE10hipError_tT0_T1_T2_jT3_P12ihipStream_tbPNSt15iterator_traitsISI_E10value_typeEPNSO_ISJ_E10value_typeEPSK_NS1_7vsmem_tEENKUlT_SI_SJ_SK_E_clISD_PdSD_S10_EESH_SX_SI_SJ_SK_EUlSX_E1_NS1_11comp_targetILNS1_3genE9ELNS1_11target_archE1100ELNS1_3gpuE3ELNS1_3repE0EEENS1_36merge_oddeven_config_static_selectorELNS0_4arch9wavefront6targetE1EEEvSJ_
		.amdhsa_group_segment_fixed_size 0
		.amdhsa_private_segment_fixed_size 0
		.amdhsa_kernarg_size 48
		.amdhsa_user_sgpr_count 2
		.amdhsa_user_sgpr_dispatch_ptr 0
		.amdhsa_user_sgpr_queue_ptr 0
		.amdhsa_user_sgpr_kernarg_segment_ptr 1
		.amdhsa_user_sgpr_dispatch_id 0
		.amdhsa_user_sgpr_kernarg_preload_length 0
		.amdhsa_user_sgpr_kernarg_preload_offset 0
		.amdhsa_user_sgpr_private_segment_size 0
		.amdhsa_uses_dynamic_stack 0
		.amdhsa_enable_private_segment 0
		.amdhsa_system_sgpr_workgroup_id_x 1
		.amdhsa_system_sgpr_workgroup_id_y 0
		.amdhsa_system_sgpr_workgroup_id_z 0
		.amdhsa_system_sgpr_workgroup_info 0
		.amdhsa_system_vgpr_workitem_id 0
		.amdhsa_next_free_vgpr 1
		.amdhsa_next_free_sgpr 0
		.amdhsa_accum_offset 4
		.amdhsa_reserve_vcc 0
		.amdhsa_float_round_mode_32 0
		.amdhsa_float_round_mode_16_64 0
		.amdhsa_float_denorm_mode_32 3
		.amdhsa_float_denorm_mode_16_64 3
		.amdhsa_dx10_clamp 1
		.amdhsa_ieee_mode 1
		.amdhsa_fp16_overflow 0
		.amdhsa_tg_split 0
		.amdhsa_exception_fp_ieee_invalid_op 0
		.amdhsa_exception_fp_denorm_src 0
		.amdhsa_exception_fp_ieee_div_zero 0
		.amdhsa_exception_fp_ieee_overflow 0
		.amdhsa_exception_fp_ieee_underflow 0
		.amdhsa_exception_fp_ieee_inexact 0
		.amdhsa_exception_int_div_zero 0
	.end_amdhsa_kernel
	.section	.text._ZN7rocprim17ROCPRIM_400000_NS6detail17trampoline_kernelINS0_14default_configENS1_38merge_sort_block_merge_config_selectorIddEEZZNS1_27merge_sort_block_merge_implIS3_N6thrust23THRUST_200600_302600_NS6detail15normal_iteratorINS8_10device_ptrIdEEEESD_jNS1_19radix_merge_compareILb0ELb0EdNS0_19identity_decomposerEEEEE10hipError_tT0_T1_T2_jT3_P12ihipStream_tbPNSt15iterator_traitsISI_E10value_typeEPNSO_ISJ_E10value_typeEPSK_NS1_7vsmem_tEENKUlT_SI_SJ_SK_E_clISD_PdSD_S10_EESH_SX_SI_SJ_SK_EUlSX_E1_NS1_11comp_targetILNS1_3genE9ELNS1_11target_archE1100ELNS1_3gpuE3ELNS1_3repE0EEENS1_36merge_oddeven_config_static_selectorELNS0_4arch9wavefront6targetE1EEEvSJ_,"axG",@progbits,_ZN7rocprim17ROCPRIM_400000_NS6detail17trampoline_kernelINS0_14default_configENS1_38merge_sort_block_merge_config_selectorIddEEZZNS1_27merge_sort_block_merge_implIS3_N6thrust23THRUST_200600_302600_NS6detail15normal_iteratorINS8_10device_ptrIdEEEESD_jNS1_19radix_merge_compareILb0ELb0EdNS0_19identity_decomposerEEEEE10hipError_tT0_T1_T2_jT3_P12ihipStream_tbPNSt15iterator_traitsISI_E10value_typeEPNSO_ISJ_E10value_typeEPSK_NS1_7vsmem_tEENKUlT_SI_SJ_SK_E_clISD_PdSD_S10_EESH_SX_SI_SJ_SK_EUlSX_E1_NS1_11comp_targetILNS1_3genE9ELNS1_11target_archE1100ELNS1_3gpuE3ELNS1_3repE0EEENS1_36merge_oddeven_config_static_selectorELNS0_4arch9wavefront6targetE1EEEvSJ_,comdat
.Lfunc_end71:
	.size	_ZN7rocprim17ROCPRIM_400000_NS6detail17trampoline_kernelINS0_14default_configENS1_38merge_sort_block_merge_config_selectorIddEEZZNS1_27merge_sort_block_merge_implIS3_N6thrust23THRUST_200600_302600_NS6detail15normal_iteratorINS8_10device_ptrIdEEEESD_jNS1_19radix_merge_compareILb0ELb0EdNS0_19identity_decomposerEEEEE10hipError_tT0_T1_T2_jT3_P12ihipStream_tbPNSt15iterator_traitsISI_E10value_typeEPNSO_ISJ_E10value_typeEPSK_NS1_7vsmem_tEENKUlT_SI_SJ_SK_E_clISD_PdSD_S10_EESH_SX_SI_SJ_SK_EUlSX_E1_NS1_11comp_targetILNS1_3genE9ELNS1_11target_archE1100ELNS1_3gpuE3ELNS1_3repE0EEENS1_36merge_oddeven_config_static_selectorELNS0_4arch9wavefront6targetE1EEEvSJ_, .Lfunc_end71-_ZN7rocprim17ROCPRIM_400000_NS6detail17trampoline_kernelINS0_14default_configENS1_38merge_sort_block_merge_config_selectorIddEEZZNS1_27merge_sort_block_merge_implIS3_N6thrust23THRUST_200600_302600_NS6detail15normal_iteratorINS8_10device_ptrIdEEEESD_jNS1_19radix_merge_compareILb0ELb0EdNS0_19identity_decomposerEEEEE10hipError_tT0_T1_T2_jT3_P12ihipStream_tbPNSt15iterator_traitsISI_E10value_typeEPNSO_ISJ_E10value_typeEPSK_NS1_7vsmem_tEENKUlT_SI_SJ_SK_E_clISD_PdSD_S10_EESH_SX_SI_SJ_SK_EUlSX_E1_NS1_11comp_targetILNS1_3genE9ELNS1_11target_archE1100ELNS1_3gpuE3ELNS1_3repE0EEENS1_36merge_oddeven_config_static_selectorELNS0_4arch9wavefront6targetE1EEEvSJ_
                                        ; -- End function
	.set _ZN7rocprim17ROCPRIM_400000_NS6detail17trampoline_kernelINS0_14default_configENS1_38merge_sort_block_merge_config_selectorIddEEZZNS1_27merge_sort_block_merge_implIS3_N6thrust23THRUST_200600_302600_NS6detail15normal_iteratorINS8_10device_ptrIdEEEESD_jNS1_19radix_merge_compareILb0ELb0EdNS0_19identity_decomposerEEEEE10hipError_tT0_T1_T2_jT3_P12ihipStream_tbPNSt15iterator_traitsISI_E10value_typeEPNSO_ISJ_E10value_typeEPSK_NS1_7vsmem_tEENKUlT_SI_SJ_SK_E_clISD_PdSD_S10_EESH_SX_SI_SJ_SK_EUlSX_E1_NS1_11comp_targetILNS1_3genE9ELNS1_11target_archE1100ELNS1_3gpuE3ELNS1_3repE0EEENS1_36merge_oddeven_config_static_selectorELNS0_4arch9wavefront6targetE1EEEvSJ_.num_vgpr, 0
	.set _ZN7rocprim17ROCPRIM_400000_NS6detail17trampoline_kernelINS0_14default_configENS1_38merge_sort_block_merge_config_selectorIddEEZZNS1_27merge_sort_block_merge_implIS3_N6thrust23THRUST_200600_302600_NS6detail15normal_iteratorINS8_10device_ptrIdEEEESD_jNS1_19radix_merge_compareILb0ELb0EdNS0_19identity_decomposerEEEEE10hipError_tT0_T1_T2_jT3_P12ihipStream_tbPNSt15iterator_traitsISI_E10value_typeEPNSO_ISJ_E10value_typeEPSK_NS1_7vsmem_tEENKUlT_SI_SJ_SK_E_clISD_PdSD_S10_EESH_SX_SI_SJ_SK_EUlSX_E1_NS1_11comp_targetILNS1_3genE9ELNS1_11target_archE1100ELNS1_3gpuE3ELNS1_3repE0EEENS1_36merge_oddeven_config_static_selectorELNS0_4arch9wavefront6targetE1EEEvSJ_.num_agpr, 0
	.set _ZN7rocprim17ROCPRIM_400000_NS6detail17trampoline_kernelINS0_14default_configENS1_38merge_sort_block_merge_config_selectorIddEEZZNS1_27merge_sort_block_merge_implIS3_N6thrust23THRUST_200600_302600_NS6detail15normal_iteratorINS8_10device_ptrIdEEEESD_jNS1_19radix_merge_compareILb0ELb0EdNS0_19identity_decomposerEEEEE10hipError_tT0_T1_T2_jT3_P12ihipStream_tbPNSt15iterator_traitsISI_E10value_typeEPNSO_ISJ_E10value_typeEPSK_NS1_7vsmem_tEENKUlT_SI_SJ_SK_E_clISD_PdSD_S10_EESH_SX_SI_SJ_SK_EUlSX_E1_NS1_11comp_targetILNS1_3genE9ELNS1_11target_archE1100ELNS1_3gpuE3ELNS1_3repE0EEENS1_36merge_oddeven_config_static_selectorELNS0_4arch9wavefront6targetE1EEEvSJ_.numbered_sgpr, 0
	.set _ZN7rocprim17ROCPRIM_400000_NS6detail17trampoline_kernelINS0_14default_configENS1_38merge_sort_block_merge_config_selectorIddEEZZNS1_27merge_sort_block_merge_implIS3_N6thrust23THRUST_200600_302600_NS6detail15normal_iteratorINS8_10device_ptrIdEEEESD_jNS1_19radix_merge_compareILb0ELb0EdNS0_19identity_decomposerEEEEE10hipError_tT0_T1_T2_jT3_P12ihipStream_tbPNSt15iterator_traitsISI_E10value_typeEPNSO_ISJ_E10value_typeEPSK_NS1_7vsmem_tEENKUlT_SI_SJ_SK_E_clISD_PdSD_S10_EESH_SX_SI_SJ_SK_EUlSX_E1_NS1_11comp_targetILNS1_3genE9ELNS1_11target_archE1100ELNS1_3gpuE3ELNS1_3repE0EEENS1_36merge_oddeven_config_static_selectorELNS0_4arch9wavefront6targetE1EEEvSJ_.num_named_barrier, 0
	.set _ZN7rocprim17ROCPRIM_400000_NS6detail17trampoline_kernelINS0_14default_configENS1_38merge_sort_block_merge_config_selectorIddEEZZNS1_27merge_sort_block_merge_implIS3_N6thrust23THRUST_200600_302600_NS6detail15normal_iteratorINS8_10device_ptrIdEEEESD_jNS1_19radix_merge_compareILb0ELb0EdNS0_19identity_decomposerEEEEE10hipError_tT0_T1_T2_jT3_P12ihipStream_tbPNSt15iterator_traitsISI_E10value_typeEPNSO_ISJ_E10value_typeEPSK_NS1_7vsmem_tEENKUlT_SI_SJ_SK_E_clISD_PdSD_S10_EESH_SX_SI_SJ_SK_EUlSX_E1_NS1_11comp_targetILNS1_3genE9ELNS1_11target_archE1100ELNS1_3gpuE3ELNS1_3repE0EEENS1_36merge_oddeven_config_static_selectorELNS0_4arch9wavefront6targetE1EEEvSJ_.private_seg_size, 0
	.set _ZN7rocprim17ROCPRIM_400000_NS6detail17trampoline_kernelINS0_14default_configENS1_38merge_sort_block_merge_config_selectorIddEEZZNS1_27merge_sort_block_merge_implIS3_N6thrust23THRUST_200600_302600_NS6detail15normal_iteratorINS8_10device_ptrIdEEEESD_jNS1_19radix_merge_compareILb0ELb0EdNS0_19identity_decomposerEEEEE10hipError_tT0_T1_T2_jT3_P12ihipStream_tbPNSt15iterator_traitsISI_E10value_typeEPNSO_ISJ_E10value_typeEPSK_NS1_7vsmem_tEENKUlT_SI_SJ_SK_E_clISD_PdSD_S10_EESH_SX_SI_SJ_SK_EUlSX_E1_NS1_11comp_targetILNS1_3genE9ELNS1_11target_archE1100ELNS1_3gpuE3ELNS1_3repE0EEENS1_36merge_oddeven_config_static_selectorELNS0_4arch9wavefront6targetE1EEEvSJ_.uses_vcc, 0
	.set _ZN7rocprim17ROCPRIM_400000_NS6detail17trampoline_kernelINS0_14default_configENS1_38merge_sort_block_merge_config_selectorIddEEZZNS1_27merge_sort_block_merge_implIS3_N6thrust23THRUST_200600_302600_NS6detail15normal_iteratorINS8_10device_ptrIdEEEESD_jNS1_19radix_merge_compareILb0ELb0EdNS0_19identity_decomposerEEEEE10hipError_tT0_T1_T2_jT3_P12ihipStream_tbPNSt15iterator_traitsISI_E10value_typeEPNSO_ISJ_E10value_typeEPSK_NS1_7vsmem_tEENKUlT_SI_SJ_SK_E_clISD_PdSD_S10_EESH_SX_SI_SJ_SK_EUlSX_E1_NS1_11comp_targetILNS1_3genE9ELNS1_11target_archE1100ELNS1_3gpuE3ELNS1_3repE0EEENS1_36merge_oddeven_config_static_selectorELNS0_4arch9wavefront6targetE1EEEvSJ_.uses_flat_scratch, 0
	.set _ZN7rocprim17ROCPRIM_400000_NS6detail17trampoline_kernelINS0_14default_configENS1_38merge_sort_block_merge_config_selectorIddEEZZNS1_27merge_sort_block_merge_implIS3_N6thrust23THRUST_200600_302600_NS6detail15normal_iteratorINS8_10device_ptrIdEEEESD_jNS1_19radix_merge_compareILb0ELb0EdNS0_19identity_decomposerEEEEE10hipError_tT0_T1_T2_jT3_P12ihipStream_tbPNSt15iterator_traitsISI_E10value_typeEPNSO_ISJ_E10value_typeEPSK_NS1_7vsmem_tEENKUlT_SI_SJ_SK_E_clISD_PdSD_S10_EESH_SX_SI_SJ_SK_EUlSX_E1_NS1_11comp_targetILNS1_3genE9ELNS1_11target_archE1100ELNS1_3gpuE3ELNS1_3repE0EEENS1_36merge_oddeven_config_static_selectorELNS0_4arch9wavefront6targetE1EEEvSJ_.has_dyn_sized_stack, 0
	.set _ZN7rocprim17ROCPRIM_400000_NS6detail17trampoline_kernelINS0_14default_configENS1_38merge_sort_block_merge_config_selectorIddEEZZNS1_27merge_sort_block_merge_implIS3_N6thrust23THRUST_200600_302600_NS6detail15normal_iteratorINS8_10device_ptrIdEEEESD_jNS1_19radix_merge_compareILb0ELb0EdNS0_19identity_decomposerEEEEE10hipError_tT0_T1_T2_jT3_P12ihipStream_tbPNSt15iterator_traitsISI_E10value_typeEPNSO_ISJ_E10value_typeEPSK_NS1_7vsmem_tEENKUlT_SI_SJ_SK_E_clISD_PdSD_S10_EESH_SX_SI_SJ_SK_EUlSX_E1_NS1_11comp_targetILNS1_3genE9ELNS1_11target_archE1100ELNS1_3gpuE3ELNS1_3repE0EEENS1_36merge_oddeven_config_static_selectorELNS0_4arch9wavefront6targetE1EEEvSJ_.has_recursion, 0
	.set _ZN7rocprim17ROCPRIM_400000_NS6detail17trampoline_kernelINS0_14default_configENS1_38merge_sort_block_merge_config_selectorIddEEZZNS1_27merge_sort_block_merge_implIS3_N6thrust23THRUST_200600_302600_NS6detail15normal_iteratorINS8_10device_ptrIdEEEESD_jNS1_19radix_merge_compareILb0ELb0EdNS0_19identity_decomposerEEEEE10hipError_tT0_T1_T2_jT3_P12ihipStream_tbPNSt15iterator_traitsISI_E10value_typeEPNSO_ISJ_E10value_typeEPSK_NS1_7vsmem_tEENKUlT_SI_SJ_SK_E_clISD_PdSD_S10_EESH_SX_SI_SJ_SK_EUlSX_E1_NS1_11comp_targetILNS1_3genE9ELNS1_11target_archE1100ELNS1_3gpuE3ELNS1_3repE0EEENS1_36merge_oddeven_config_static_selectorELNS0_4arch9wavefront6targetE1EEEvSJ_.has_indirect_call, 0
	.section	.AMDGPU.csdata,"",@progbits
; Kernel info:
; codeLenInByte = 0
; TotalNumSgprs: 6
; NumVgprs: 0
; NumAgprs: 0
; TotalNumVgprs: 0
; ScratchSize: 0
; MemoryBound: 0
; FloatMode: 240
; IeeeMode: 1
; LDSByteSize: 0 bytes/workgroup (compile time only)
; SGPRBlocks: 0
; VGPRBlocks: 0
; NumSGPRsForWavesPerEU: 6
; NumVGPRsForWavesPerEU: 1
; AccumOffset: 4
; Occupancy: 8
; WaveLimiterHint : 0
; COMPUTE_PGM_RSRC2:SCRATCH_EN: 0
; COMPUTE_PGM_RSRC2:USER_SGPR: 2
; COMPUTE_PGM_RSRC2:TRAP_HANDLER: 0
; COMPUTE_PGM_RSRC2:TGID_X_EN: 1
; COMPUTE_PGM_RSRC2:TGID_Y_EN: 0
; COMPUTE_PGM_RSRC2:TGID_Z_EN: 0
; COMPUTE_PGM_RSRC2:TIDIG_COMP_CNT: 0
; COMPUTE_PGM_RSRC3_GFX90A:ACCUM_OFFSET: 0
; COMPUTE_PGM_RSRC3_GFX90A:TG_SPLIT: 0
	.section	.text._ZN7rocprim17ROCPRIM_400000_NS6detail17trampoline_kernelINS0_14default_configENS1_38merge_sort_block_merge_config_selectorIddEEZZNS1_27merge_sort_block_merge_implIS3_N6thrust23THRUST_200600_302600_NS6detail15normal_iteratorINS8_10device_ptrIdEEEESD_jNS1_19radix_merge_compareILb0ELb0EdNS0_19identity_decomposerEEEEE10hipError_tT0_T1_T2_jT3_P12ihipStream_tbPNSt15iterator_traitsISI_E10value_typeEPNSO_ISJ_E10value_typeEPSK_NS1_7vsmem_tEENKUlT_SI_SJ_SK_E_clISD_PdSD_S10_EESH_SX_SI_SJ_SK_EUlSX_E1_NS1_11comp_targetILNS1_3genE8ELNS1_11target_archE1030ELNS1_3gpuE2ELNS1_3repE0EEENS1_36merge_oddeven_config_static_selectorELNS0_4arch9wavefront6targetE1EEEvSJ_,"axG",@progbits,_ZN7rocprim17ROCPRIM_400000_NS6detail17trampoline_kernelINS0_14default_configENS1_38merge_sort_block_merge_config_selectorIddEEZZNS1_27merge_sort_block_merge_implIS3_N6thrust23THRUST_200600_302600_NS6detail15normal_iteratorINS8_10device_ptrIdEEEESD_jNS1_19radix_merge_compareILb0ELb0EdNS0_19identity_decomposerEEEEE10hipError_tT0_T1_T2_jT3_P12ihipStream_tbPNSt15iterator_traitsISI_E10value_typeEPNSO_ISJ_E10value_typeEPSK_NS1_7vsmem_tEENKUlT_SI_SJ_SK_E_clISD_PdSD_S10_EESH_SX_SI_SJ_SK_EUlSX_E1_NS1_11comp_targetILNS1_3genE8ELNS1_11target_archE1030ELNS1_3gpuE2ELNS1_3repE0EEENS1_36merge_oddeven_config_static_selectorELNS0_4arch9wavefront6targetE1EEEvSJ_,comdat
	.protected	_ZN7rocprim17ROCPRIM_400000_NS6detail17trampoline_kernelINS0_14default_configENS1_38merge_sort_block_merge_config_selectorIddEEZZNS1_27merge_sort_block_merge_implIS3_N6thrust23THRUST_200600_302600_NS6detail15normal_iteratorINS8_10device_ptrIdEEEESD_jNS1_19radix_merge_compareILb0ELb0EdNS0_19identity_decomposerEEEEE10hipError_tT0_T1_T2_jT3_P12ihipStream_tbPNSt15iterator_traitsISI_E10value_typeEPNSO_ISJ_E10value_typeEPSK_NS1_7vsmem_tEENKUlT_SI_SJ_SK_E_clISD_PdSD_S10_EESH_SX_SI_SJ_SK_EUlSX_E1_NS1_11comp_targetILNS1_3genE8ELNS1_11target_archE1030ELNS1_3gpuE2ELNS1_3repE0EEENS1_36merge_oddeven_config_static_selectorELNS0_4arch9wavefront6targetE1EEEvSJ_ ; -- Begin function _ZN7rocprim17ROCPRIM_400000_NS6detail17trampoline_kernelINS0_14default_configENS1_38merge_sort_block_merge_config_selectorIddEEZZNS1_27merge_sort_block_merge_implIS3_N6thrust23THRUST_200600_302600_NS6detail15normal_iteratorINS8_10device_ptrIdEEEESD_jNS1_19radix_merge_compareILb0ELb0EdNS0_19identity_decomposerEEEEE10hipError_tT0_T1_T2_jT3_P12ihipStream_tbPNSt15iterator_traitsISI_E10value_typeEPNSO_ISJ_E10value_typeEPSK_NS1_7vsmem_tEENKUlT_SI_SJ_SK_E_clISD_PdSD_S10_EESH_SX_SI_SJ_SK_EUlSX_E1_NS1_11comp_targetILNS1_3genE8ELNS1_11target_archE1030ELNS1_3gpuE2ELNS1_3repE0EEENS1_36merge_oddeven_config_static_selectorELNS0_4arch9wavefront6targetE1EEEvSJ_
	.globl	_ZN7rocprim17ROCPRIM_400000_NS6detail17trampoline_kernelINS0_14default_configENS1_38merge_sort_block_merge_config_selectorIddEEZZNS1_27merge_sort_block_merge_implIS3_N6thrust23THRUST_200600_302600_NS6detail15normal_iteratorINS8_10device_ptrIdEEEESD_jNS1_19radix_merge_compareILb0ELb0EdNS0_19identity_decomposerEEEEE10hipError_tT0_T1_T2_jT3_P12ihipStream_tbPNSt15iterator_traitsISI_E10value_typeEPNSO_ISJ_E10value_typeEPSK_NS1_7vsmem_tEENKUlT_SI_SJ_SK_E_clISD_PdSD_S10_EESH_SX_SI_SJ_SK_EUlSX_E1_NS1_11comp_targetILNS1_3genE8ELNS1_11target_archE1030ELNS1_3gpuE2ELNS1_3repE0EEENS1_36merge_oddeven_config_static_selectorELNS0_4arch9wavefront6targetE1EEEvSJ_
	.p2align	8
	.type	_ZN7rocprim17ROCPRIM_400000_NS6detail17trampoline_kernelINS0_14default_configENS1_38merge_sort_block_merge_config_selectorIddEEZZNS1_27merge_sort_block_merge_implIS3_N6thrust23THRUST_200600_302600_NS6detail15normal_iteratorINS8_10device_ptrIdEEEESD_jNS1_19radix_merge_compareILb0ELb0EdNS0_19identity_decomposerEEEEE10hipError_tT0_T1_T2_jT3_P12ihipStream_tbPNSt15iterator_traitsISI_E10value_typeEPNSO_ISJ_E10value_typeEPSK_NS1_7vsmem_tEENKUlT_SI_SJ_SK_E_clISD_PdSD_S10_EESH_SX_SI_SJ_SK_EUlSX_E1_NS1_11comp_targetILNS1_3genE8ELNS1_11target_archE1030ELNS1_3gpuE2ELNS1_3repE0EEENS1_36merge_oddeven_config_static_selectorELNS0_4arch9wavefront6targetE1EEEvSJ_,@function
_ZN7rocprim17ROCPRIM_400000_NS6detail17trampoline_kernelINS0_14default_configENS1_38merge_sort_block_merge_config_selectorIddEEZZNS1_27merge_sort_block_merge_implIS3_N6thrust23THRUST_200600_302600_NS6detail15normal_iteratorINS8_10device_ptrIdEEEESD_jNS1_19radix_merge_compareILb0ELb0EdNS0_19identity_decomposerEEEEE10hipError_tT0_T1_T2_jT3_P12ihipStream_tbPNSt15iterator_traitsISI_E10value_typeEPNSO_ISJ_E10value_typeEPSK_NS1_7vsmem_tEENKUlT_SI_SJ_SK_E_clISD_PdSD_S10_EESH_SX_SI_SJ_SK_EUlSX_E1_NS1_11comp_targetILNS1_3genE8ELNS1_11target_archE1030ELNS1_3gpuE2ELNS1_3repE0EEENS1_36merge_oddeven_config_static_selectorELNS0_4arch9wavefront6targetE1EEEvSJ_: ; @_ZN7rocprim17ROCPRIM_400000_NS6detail17trampoline_kernelINS0_14default_configENS1_38merge_sort_block_merge_config_selectorIddEEZZNS1_27merge_sort_block_merge_implIS3_N6thrust23THRUST_200600_302600_NS6detail15normal_iteratorINS8_10device_ptrIdEEEESD_jNS1_19radix_merge_compareILb0ELb0EdNS0_19identity_decomposerEEEEE10hipError_tT0_T1_T2_jT3_P12ihipStream_tbPNSt15iterator_traitsISI_E10value_typeEPNSO_ISJ_E10value_typeEPSK_NS1_7vsmem_tEENKUlT_SI_SJ_SK_E_clISD_PdSD_S10_EESH_SX_SI_SJ_SK_EUlSX_E1_NS1_11comp_targetILNS1_3genE8ELNS1_11target_archE1030ELNS1_3gpuE2ELNS1_3repE0EEENS1_36merge_oddeven_config_static_selectorELNS0_4arch9wavefront6targetE1EEEvSJ_
; %bb.0:
	.section	.rodata,"a",@progbits
	.p2align	6, 0x0
	.amdhsa_kernel _ZN7rocprim17ROCPRIM_400000_NS6detail17trampoline_kernelINS0_14default_configENS1_38merge_sort_block_merge_config_selectorIddEEZZNS1_27merge_sort_block_merge_implIS3_N6thrust23THRUST_200600_302600_NS6detail15normal_iteratorINS8_10device_ptrIdEEEESD_jNS1_19radix_merge_compareILb0ELb0EdNS0_19identity_decomposerEEEEE10hipError_tT0_T1_T2_jT3_P12ihipStream_tbPNSt15iterator_traitsISI_E10value_typeEPNSO_ISJ_E10value_typeEPSK_NS1_7vsmem_tEENKUlT_SI_SJ_SK_E_clISD_PdSD_S10_EESH_SX_SI_SJ_SK_EUlSX_E1_NS1_11comp_targetILNS1_3genE8ELNS1_11target_archE1030ELNS1_3gpuE2ELNS1_3repE0EEENS1_36merge_oddeven_config_static_selectorELNS0_4arch9wavefront6targetE1EEEvSJ_
		.amdhsa_group_segment_fixed_size 0
		.amdhsa_private_segment_fixed_size 0
		.amdhsa_kernarg_size 48
		.amdhsa_user_sgpr_count 2
		.amdhsa_user_sgpr_dispatch_ptr 0
		.amdhsa_user_sgpr_queue_ptr 0
		.amdhsa_user_sgpr_kernarg_segment_ptr 1
		.amdhsa_user_sgpr_dispatch_id 0
		.amdhsa_user_sgpr_kernarg_preload_length 0
		.amdhsa_user_sgpr_kernarg_preload_offset 0
		.amdhsa_user_sgpr_private_segment_size 0
		.amdhsa_uses_dynamic_stack 0
		.amdhsa_enable_private_segment 0
		.amdhsa_system_sgpr_workgroup_id_x 1
		.amdhsa_system_sgpr_workgroup_id_y 0
		.amdhsa_system_sgpr_workgroup_id_z 0
		.amdhsa_system_sgpr_workgroup_info 0
		.amdhsa_system_vgpr_workitem_id 0
		.amdhsa_next_free_vgpr 1
		.amdhsa_next_free_sgpr 0
		.amdhsa_accum_offset 4
		.amdhsa_reserve_vcc 0
		.amdhsa_float_round_mode_32 0
		.amdhsa_float_round_mode_16_64 0
		.amdhsa_float_denorm_mode_32 3
		.amdhsa_float_denorm_mode_16_64 3
		.amdhsa_dx10_clamp 1
		.amdhsa_ieee_mode 1
		.amdhsa_fp16_overflow 0
		.amdhsa_tg_split 0
		.amdhsa_exception_fp_ieee_invalid_op 0
		.amdhsa_exception_fp_denorm_src 0
		.amdhsa_exception_fp_ieee_div_zero 0
		.amdhsa_exception_fp_ieee_overflow 0
		.amdhsa_exception_fp_ieee_underflow 0
		.amdhsa_exception_fp_ieee_inexact 0
		.amdhsa_exception_int_div_zero 0
	.end_amdhsa_kernel
	.section	.text._ZN7rocprim17ROCPRIM_400000_NS6detail17trampoline_kernelINS0_14default_configENS1_38merge_sort_block_merge_config_selectorIddEEZZNS1_27merge_sort_block_merge_implIS3_N6thrust23THRUST_200600_302600_NS6detail15normal_iteratorINS8_10device_ptrIdEEEESD_jNS1_19radix_merge_compareILb0ELb0EdNS0_19identity_decomposerEEEEE10hipError_tT0_T1_T2_jT3_P12ihipStream_tbPNSt15iterator_traitsISI_E10value_typeEPNSO_ISJ_E10value_typeEPSK_NS1_7vsmem_tEENKUlT_SI_SJ_SK_E_clISD_PdSD_S10_EESH_SX_SI_SJ_SK_EUlSX_E1_NS1_11comp_targetILNS1_3genE8ELNS1_11target_archE1030ELNS1_3gpuE2ELNS1_3repE0EEENS1_36merge_oddeven_config_static_selectorELNS0_4arch9wavefront6targetE1EEEvSJ_,"axG",@progbits,_ZN7rocprim17ROCPRIM_400000_NS6detail17trampoline_kernelINS0_14default_configENS1_38merge_sort_block_merge_config_selectorIddEEZZNS1_27merge_sort_block_merge_implIS3_N6thrust23THRUST_200600_302600_NS6detail15normal_iteratorINS8_10device_ptrIdEEEESD_jNS1_19radix_merge_compareILb0ELb0EdNS0_19identity_decomposerEEEEE10hipError_tT0_T1_T2_jT3_P12ihipStream_tbPNSt15iterator_traitsISI_E10value_typeEPNSO_ISJ_E10value_typeEPSK_NS1_7vsmem_tEENKUlT_SI_SJ_SK_E_clISD_PdSD_S10_EESH_SX_SI_SJ_SK_EUlSX_E1_NS1_11comp_targetILNS1_3genE8ELNS1_11target_archE1030ELNS1_3gpuE2ELNS1_3repE0EEENS1_36merge_oddeven_config_static_selectorELNS0_4arch9wavefront6targetE1EEEvSJ_,comdat
.Lfunc_end72:
	.size	_ZN7rocprim17ROCPRIM_400000_NS6detail17trampoline_kernelINS0_14default_configENS1_38merge_sort_block_merge_config_selectorIddEEZZNS1_27merge_sort_block_merge_implIS3_N6thrust23THRUST_200600_302600_NS6detail15normal_iteratorINS8_10device_ptrIdEEEESD_jNS1_19radix_merge_compareILb0ELb0EdNS0_19identity_decomposerEEEEE10hipError_tT0_T1_T2_jT3_P12ihipStream_tbPNSt15iterator_traitsISI_E10value_typeEPNSO_ISJ_E10value_typeEPSK_NS1_7vsmem_tEENKUlT_SI_SJ_SK_E_clISD_PdSD_S10_EESH_SX_SI_SJ_SK_EUlSX_E1_NS1_11comp_targetILNS1_3genE8ELNS1_11target_archE1030ELNS1_3gpuE2ELNS1_3repE0EEENS1_36merge_oddeven_config_static_selectorELNS0_4arch9wavefront6targetE1EEEvSJ_, .Lfunc_end72-_ZN7rocprim17ROCPRIM_400000_NS6detail17trampoline_kernelINS0_14default_configENS1_38merge_sort_block_merge_config_selectorIddEEZZNS1_27merge_sort_block_merge_implIS3_N6thrust23THRUST_200600_302600_NS6detail15normal_iteratorINS8_10device_ptrIdEEEESD_jNS1_19radix_merge_compareILb0ELb0EdNS0_19identity_decomposerEEEEE10hipError_tT0_T1_T2_jT3_P12ihipStream_tbPNSt15iterator_traitsISI_E10value_typeEPNSO_ISJ_E10value_typeEPSK_NS1_7vsmem_tEENKUlT_SI_SJ_SK_E_clISD_PdSD_S10_EESH_SX_SI_SJ_SK_EUlSX_E1_NS1_11comp_targetILNS1_3genE8ELNS1_11target_archE1030ELNS1_3gpuE2ELNS1_3repE0EEENS1_36merge_oddeven_config_static_selectorELNS0_4arch9wavefront6targetE1EEEvSJ_
                                        ; -- End function
	.set _ZN7rocprim17ROCPRIM_400000_NS6detail17trampoline_kernelINS0_14default_configENS1_38merge_sort_block_merge_config_selectorIddEEZZNS1_27merge_sort_block_merge_implIS3_N6thrust23THRUST_200600_302600_NS6detail15normal_iteratorINS8_10device_ptrIdEEEESD_jNS1_19radix_merge_compareILb0ELb0EdNS0_19identity_decomposerEEEEE10hipError_tT0_T1_T2_jT3_P12ihipStream_tbPNSt15iterator_traitsISI_E10value_typeEPNSO_ISJ_E10value_typeEPSK_NS1_7vsmem_tEENKUlT_SI_SJ_SK_E_clISD_PdSD_S10_EESH_SX_SI_SJ_SK_EUlSX_E1_NS1_11comp_targetILNS1_3genE8ELNS1_11target_archE1030ELNS1_3gpuE2ELNS1_3repE0EEENS1_36merge_oddeven_config_static_selectorELNS0_4arch9wavefront6targetE1EEEvSJ_.num_vgpr, 0
	.set _ZN7rocprim17ROCPRIM_400000_NS6detail17trampoline_kernelINS0_14default_configENS1_38merge_sort_block_merge_config_selectorIddEEZZNS1_27merge_sort_block_merge_implIS3_N6thrust23THRUST_200600_302600_NS6detail15normal_iteratorINS8_10device_ptrIdEEEESD_jNS1_19radix_merge_compareILb0ELb0EdNS0_19identity_decomposerEEEEE10hipError_tT0_T1_T2_jT3_P12ihipStream_tbPNSt15iterator_traitsISI_E10value_typeEPNSO_ISJ_E10value_typeEPSK_NS1_7vsmem_tEENKUlT_SI_SJ_SK_E_clISD_PdSD_S10_EESH_SX_SI_SJ_SK_EUlSX_E1_NS1_11comp_targetILNS1_3genE8ELNS1_11target_archE1030ELNS1_3gpuE2ELNS1_3repE0EEENS1_36merge_oddeven_config_static_selectorELNS0_4arch9wavefront6targetE1EEEvSJ_.num_agpr, 0
	.set _ZN7rocprim17ROCPRIM_400000_NS6detail17trampoline_kernelINS0_14default_configENS1_38merge_sort_block_merge_config_selectorIddEEZZNS1_27merge_sort_block_merge_implIS3_N6thrust23THRUST_200600_302600_NS6detail15normal_iteratorINS8_10device_ptrIdEEEESD_jNS1_19radix_merge_compareILb0ELb0EdNS0_19identity_decomposerEEEEE10hipError_tT0_T1_T2_jT3_P12ihipStream_tbPNSt15iterator_traitsISI_E10value_typeEPNSO_ISJ_E10value_typeEPSK_NS1_7vsmem_tEENKUlT_SI_SJ_SK_E_clISD_PdSD_S10_EESH_SX_SI_SJ_SK_EUlSX_E1_NS1_11comp_targetILNS1_3genE8ELNS1_11target_archE1030ELNS1_3gpuE2ELNS1_3repE0EEENS1_36merge_oddeven_config_static_selectorELNS0_4arch9wavefront6targetE1EEEvSJ_.numbered_sgpr, 0
	.set _ZN7rocprim17ROCPRIM_400000_NS6detail17trampoline_kernelINS0_14default_configENS1_38merge_sort_block_merge_config_selectorIddEEZZNS1_27merge_sort_block_merge_implIS3_N6thrust23THRUST_200600_302600_NS6detail15normal_iteratorINS8_10device_ptrIdEEEESD_jNS1_19radix_merge_compareILb0ELb0EdNS0_19identity_decomposerEEEEE10hipError_tT0_T1_T2_jT3_P12ihipStream_tbPNSt15iterator_traitsISI_E10value_typeEPNSO_ISJ_E10value_typeEPSK_NS1_7vsmem_tEENKUlT_SI_SJ_SK_E_clISD_PdSD_S10_EESH_SX_SI_SJ_SK_EUlSX_E1_NS1_11comp_targetILNS1_3genE8ELNS1_11target_archE1030ELNS1_3gpuE2ELNS1_3repE0EEENS1_36merge_oddeven_config_static_selectorELNS0_4arch9wavefront6targetE1EEEvSJ_.num_named_barrier, 0
	.set _ZN7rocprim17ROCPRIM_400000_NS6detail17trampoline_kernelINS0_14default_configENS1_38merge_sort_block_merge_config_selectorIddEEZZNS1_27merge_sort_block_merge_implIS3_N6thrust23THRUST_200600_302600_NS6detail15normal_iteratorINS8_10device_ptrIdEEEESD_jNS1_19radix_merge_compareILb0ELb0EdNS0_19identity_decomposerEEEEE10hipError_tT0_T1_T2_jT3_P12ihipStream_tbPNSt15iterator_traitsISI_E10value_typeEPNSO_ISJ_E10value_typeEPSK_NS1_7vsmem_tEENKUlT_SI_SJ_SK_E_clISD_PdSD_S10_EESH_SX_SI_SJ_SK_EUlSX_E1_NS1_11comp_targetILNS1_3genE8ELNS1_11target_archE1030ELNS1_3gpuE2ELNS1_3repE0EEENS1_36merge_oddeven_config_static_selectorELNS0_4arch9wavefront6targetE1EEEvSJ_.private_seg_size, 0
	.set _ZN7rocprim17ROCPRIM_400000_NS6detail17trampoline_kernelINS0_14default_configENS1_38merge_sort_block_merge_config_selectorIddEEZZNS1_27merge_sort_block_merge_implIS3_N6thrust23THRUST_200600_302600_NS6detail15normal_iteratorINS8_10device_ptrIdEEEESD_jNS1_19radix_merge_compareILb0ELb0EdNS0_19identity_decomposerEEEEE10hipError_tT0_T1_T2_jT3_P12ihipStream_tbPNSt15iterator_traitsISI_E10value_typeEPNSO_ISJ_E10value_typeEPSK_NS1_7vsmem_tEENKUlT_SI_SJ_SK_E_clISD_PdSD_S10_EESH_SX_SI_SJ_SK_EUlSX_E1_NS1_11comp_targetILNS1_3genE8ELNS1_11target_archE1030ELNS1_3gpuE2ELNS1_3repE0EEENS1_36merge_oddeven_config_static_selectorELNS0_4arch9wavefront6targetE1EEEvSJ_.uses_vcc, 0
	.set _ZN7rocprim17ROCPRIM_400000_NS6detail17trampoline_kernelINS0_14default_configENS1_38merge_sort_block_merge_config_selectorIddEEZZNS1_27merge_sort_block_merge_implIS3_N6thrust23THRUST_200600_302600_NS6detail15normal_iteratorINS8_10device_ptrIdEEEESD_jNS1_19radix_merge_compareILb0ELb0EdNS0_19identity_decomposerEEEEE10hipError_tT0_T1_T2_jT3_P12ihipStream_tbPNSt15iterator_traitsISI_E10value_typeEPNSO_ISJ_E10value_typeEPSK_NS1_7vsmem_tEENKUlT_SI_SJ_SK_E_clISD_PdSD_S10_EESH_SX_SI_SJ_SK_EUlSX_E1_NS1_11comp_targetILNS1_3genE8ELNS1_11target_archE1030ELNS1_3gpuE2ELNS1_3repE0EEENS1_36merge_oddeven_config_static_selectorELNS0_4arch9wavefront6targetE1EEEvSJ_.uses_flat_scratch, 0
	.set _ZN7rocprim17ROCPRIM_400000_NS6detail17trampoline_kernelINS0_14default_configENS1_38merge_sort_block_merge_config_selectorIddEEZZNS1_27merge_sort_block_merge_implIS3_N6thrust23THRUST_200600_302600_NS6detail15normal_iteratorINS8_10device_ptrIdEEEESD_jNS1_19radix_merge_compareILb0ELb0EdNS0_19identity_decomposerEEEEE10hipError_tT0_T1_T2_jT3_P12ihipStream_tbPNSt15iterator_traitsISI_E10value_typeEPNSO_ISJ_E10value_typeEPSK_NS1_7vsmem_tEENKUlT_SI_SJ_SK_E_clISD_PdSD_S10_EESH_SX_SI_SJ_SK_EUlSX_E1_NS1_11comp_targetILNS1_3genE8ELNS1_11target_archE1030ELNS1_3gpuE2ELNS1_3repE0EEENS1_36merge_oddeven_config_static_selectorELNS0_4arch9wavefront6targetE1EEEvSJ_.has_dyn_sized_stack, 0
	.set _ZN7rocprim17ROCPRIM_400000_NS6detail17trampoline_kernelINS0_14default_configENS1_38merge_sort_block_merge_config_selectorIddEEZZNS1_27merge_sort_block_merge_implIS3_N6thrust23THRUST_200600_302600_NS6detail15normal_iteratorINS8_10device_ptrIdEEEESD_jNS1_19radix_merge_compareILb0ELb0EdNS0_19identity_decomposerEEEEE10hipError_tT0_T1_T2_jT3_P12ihipStream_tbPNSt15iterator_traitsISI_E10value_typeEPNSO_ISJ_E10value_typeEPSK_NS1_7vsmem_tEENKUlT_SI_SJ_SK_E_clISD_PdSD_S10_EESH_SX_SI_SJ_SK_EUlSX_E1_NS1_11comp_targetILNS1_3genE8ELNS1_11target_archE1030ELNS1_3gpuE2ELNS1_3repE0EEENS1_36merge_oddeven_config_static_selectorELNS0_4arch9wavefront6targetE1EEEvSJ_.has_recursion, 0
	.set _ZN7rocprim17ROCPRIM_400000_NS6detail17trampoline_kernelINS0_14default_configENS1_38merge_sort_block_merge_config_selectorIddEEZZNS1_27merge_sort_block_merge_implIS3_N6thrust23THRUST_200600_302600_NS6detail15normal_iteratorINS8_10device_ptrIdEEEESD_jNS1_19radix_merge_compareILb0ELb0EdNS0_19identity_decomposerEEEEE10hipError_tT0_T1_T2_jT3_P12ihipStream_tbPNSt15iterator_traitsISI_E10value_typeEPNSO_ISJ_E10value_typeEPSK_NS1_7vsmem_tEENKUlT_SI_SJ_SK_E_clISD_PdSD_S10_EESH_SX_SI_SJ_SK_EUlSX_E1_NS1_11comp_targetILNS1_3genE8ELNS1_11target_archE1030ELNS1_3gpuE2ELNS1_3repE0EEENS1_36merge_oddeven_config_static_selectorELNS0_4arch9wavefront6targetE1EEEvSJ_.has_indirect_call, 0
	.section	.AMDGPU.csdata,"",@progbits
; Kernel info:
; codeLenInByte = 0
; TotalNumSgprs: 6
; NumVgprs: 0
; NumAgprs: 0
; TotalNumVgprs: 0
; ScratchSize: 0
; MemoryBound: 0
; FloatMode: 240
; IeeeMode: 1
; LDSByteSize: 0 bytes/workgroup (compile time only)
; SGPRBlocks: 0
; VGPRBlocks: 0
; NumSGPRsForWavesPerEU: 6
; NumVGPRsForWavesPerEU: 1
; AccumOffset: 4
; Occupancy: 8
; WaveLimiterHint : 0
; COMPUTE_PGM_RSRC2:SCRATCH_EN: 0
; COMPUTE_PGM_RSRC2:USER_SGPR: 2
; COMPUTE_PGM_RSRC2:TRAP_HANDLER: 0
; COMPUTE_PGM_RSRC2:TGID_X_EN: 1
; COMPUTE_PGM_RSRC2:TGID_Y_EN: 0
; COMPUTE_PGM_RSRC2:TGID_Z_EN: 0
; COMPUTE_PGM_RSRC2:TIDIG_COMP_CNT: 0
; COMPUTE_PGM_RSRC3_GFX90A:ACCUM_OFFSET: 0
; COMPUTE_PGM_RSRC3_GFX90A:TG_SPLIT: 0
	.section	.text._ZN7rocprim17ROCPRIM_400000_NS6detail17trampoline_kernelINS0_14default_configENS1_25transform_config_selectorIdLb0EEEZNS1_14transform_implILb0ES3_S5_PdN6thrust23THRUST_200600_302600_NS6detail15normal_iteratorINS9_10device_ptrIdEEEENS0_8identityIdEEEE10hipError_tT2_T3_mT4_P12ihipStream_tbEUlT_E_NS1_11comp_targetILNS1_3genE0ELNS1_11target_archE4294967295ELNS1_3gpuE0ELNS1_3repE0EEENS1_30default_config_static_selectorELNS0_4arch9wavefront6targetE1EEEvT1_,"axG",@progbits,_ZN7rocprim17ROCPRIM_400000_NS6detail17trampoline_kernelINS0_14default_configENS1_25transform_config_selectorIdLb0EEEZNS1_14transform_implILb0ES3_S5_PdN6thrust23THRUST_200600_302600_NS6detail15normal_iteratorINS9_10device_ptrIdEEEENS0_8identityIdEEEE10hipError_tT2_T3_mT4_P12ihipStream_tbEUlT_E_NS1_11comp_targetILNS1_3genE0ELNS1_11target_archE4294967295ELNS1_3gpuE0ELNS1_3repE0EEENS1_30default_config_static_selectorELNS0_4arch9wavefront6targetE1EEEvT1_,comdat
	.protected	_ZN7rocprim17ROCPRIM_400000_NS6detail17trampoline_kernelINS0_14default_configENS1_25transform_config_selectorIdLb0EEEZNS1_14transform_implILb0ES3_S5_PdN6thrust23THRUST_200600_302600_NS6detail15normal_iteratorINS9_10device_ptrIdEEEENS0_8identityIdEEEE10hipError_tT2_T3_mT4_P12ihipStream_tbEUlT_E_NS1_11comp_targetILNS1_3genE0ELNS1_11target_archE4294967295ELNS1_3gpuE0ELNS1_3repE0EEENS1_30default_config_static_selectorELNS0_4arch9wavefront6targetE1EEEvT1_ ; -- Begin function _ZN7rocprim17ROCPRIM_400000_NS6detail17trampoline_kernelINS0_14default_configENS1_25transform_config_selectorIdLb0EEEZNS1_14transform_implILb0ES3_S5_PdN6thrust23THRUST_200600_302600_NS6detail15normal_iteratorINS9_10device_ptrIdEEEENS0_8identityIdEEEE10hipError_tT2_T3_mT4_P12ihipStream_tbEUlT_E_NS1_11comp_targetILNS1_3genE0ELNS1_11target_archE4294967295ELNS1_3gpuE0ELNS1_3repE0EEENS1_30default_config_static_selectorELNS0_4arch9wavefront6targetE1EEEvT1_
	.globl	_ZN7rocprim17ROCPRIM_400000_NS6detail17trampoline_kernelINS0_14default_configENS1_25transform_config_selectorIdLb0EEEZNS1_14transform_implILb0ES3_S5_PdN6thrust23THRUST_200600_302600_NS6detail15normal_iteratorINS9_10device_ptrIdEEEENS0_8identityIdEEEE10hipError_tT2_T3_mT4_P12ihipStream_tbEUlT_E_NS1_11comp_targetILNS1_3genE0ELNS1_11target_archE4294967295ELNS1_3gpuE0ELNS1_3repE0EEENS1_30default_config_static_selectorELNS0_4arch9wavefront6targetE1EEEvT1_
	.p2align	8
	.type	_ZN7rocprim17ROCPRIM_400000_NS6detail17trampoline_kernelINS0_14default_configENS1_25transform_config_selectorIdLb0EEEZNS1_14transform_implILb0ES3_S5_PdN6thrust23THRUST_200600_302600_NS6detail15normal_iteratorINS9_10device_ptrIdEEEENS0_8identityIdEEEE10hipError_tT2_T3_mT4_P12ihipStream_tbEUlT_E_NS1_11comp_targetILNS1_3genE0ELNS1_11target_archE4294967295ELNS1_3gpuE0ELNS1_3repE0EEENS1_30default_config_static_selectorELNS0_4arch9wavefront6targetE1EEEvT1_,@function
_ZN7rocprim17ROCPRIM_400000_NS6detail17trampoline_kernelINS0_14default_configENS1_25transform_config_selectorIdLb0EEEZNS1_14transform_implILb0ES3_S5_PdN6thrust23THRUST_200600_302600_NS6detail15normal_iteratorINS9_10device_ptrIdEEEENS0_8identityIdEEEE10hipError_tT2_T3_mT4_P12ihipStream_tbEUlT_E_NS1_11comp_targetILNS1_3genE0ELNS1_11target_archE4294967295ELNS1_3gpuE0ELNS1_3repE0EEENS1_30default_config_static_selectorELNS0_4arch9wavefront6targetE1EEEvT1_: ; @_ZN7rocprim17ROCPRIM_400000_NS6detail17trampoline_kernelINS0_14default_configENS1_25transform_config_selectorIdLb0EEEZNS1_14transform_implILb0ES3_S5_PdN6thrust23THRUST_200600_302600_NS6detail15normal_iteratorINS9_10device_ptrIdEEEENS0_8identityIdEEEE10hipError_tT2_T3_mT4_P12ihipStream_tbEUlT_E_NS1_11comp_targetILNS1_3genE0ELNS1_11target_archE4294967295ELNS1_3gpuE0ELNS1_3repE0EEENS1_30default_config_static_selectorELNS0_4arch9wavefront6targetE1EEEvT1_
; %bb.0:
	s_load_dword s3, s[0:1], 0x28
	s_load_dword s5, s[0:1], 0x10
	s_lshl_b32 s4, s2, 7
	s_waitcnt lgkmcnt(0)
	s_add_i32 s3, s3, -1
	s_cmp_lg_u32 s2, s3
	s_cselect_b64 s[2:3], -1, 0
	s_sub_i32 s5, s5, s4
	v_cmp_gt_u32_e32 vcc, s5, v0
	s_or_b64 s[2:3], vcc, s[2:3]
	s_and_saveexec_b64 s[6:7], s[2:3]
	s_cbranch_execz .LBB73_2
; %bb.1:
	s_load_dwordx4 s[8:11], s[0:1], 0x0
	s_load_dwordx2 s[2:3], s[0:1], 0x18
	s_mov_b32 s5, 0
	v_lshlrev_b32_e32 v0, 3, v0
	v_mov_b32_e32 v1, 0
	s_waitcnt lgkmcnt(0)
	s_lshl_b64 s[0:1], s[10:11], 3
	s_add_u32 s6, s8, s0
	s_addc_u32 s7, s9, s1
	s_lshl_b64 s[4:5], s[4:5], 3
	s_add_u32 s6, s6, s4
	s_addc_u32 s7, s7, s5
	global_load_dwordx2 v[2:3], v0, s[6:7]
	s_add_u32 s0, s2, s0
	s_addc_u32 s1, s3, s1
	s_add_u32 s0, s0, s4
	s_addc_u32 s1, s1, s5
	v_lshl_add_u64 v[0:1], s[0:1], 0, v[0:1]
	s_waitcnt vmcnt(0)
	flat_store_dwordx2 v[0:1], v[2:3]
.LBB73_2:
	s_endpgm
	.section	.rodata,"a",@progbits
	.p2align	6, 0x0
	.amdhsa_kernel _ZN7rocprim17ROCPRIM_400000_NS6detail17trampoline_kernelINS0_14default_configENS1_25transform_config_selectorIdLb0EEEZNS1_14transform_implILb0ES3_S5_PdN6thrust23THRUST_200600_302600_NS6detail15normal_iteratorINS9_10device_ptrIdEEEENS0_8identityIdEEEE10hipError_tT2_T3_mT4_P12ihipStream_tbEUlT_E_NS1_11comp_targetILNS1_3genE0ELNS1_11target_archE4294967295ELNS1_3gpuE0ELNS1_3repE0EEENS1_30default_config_static_selectorELNS0_4arch9wavefront6targetE1EEEvT1_
		.amdhsa_group_segment_fixed_size 0
		.amdhsa_private_segment_fixed_size 0
		.amdhsa_kernarg_size 296
		.amdhsa_user_sgpr_count 2
		.amdhsa_user_sgpr_dispatch_ptr 0
		.amdhsa_user_sgpr_queue_ptr 0
		.amdhsa_user_sgpr_kernarg_segment_ptr 1
		.amdhsa_user_sgpr_dispatch_id 0
		.amdhsa_user_sgpr_kernarg_preload_length 0
		.amdhsa_user_sgpr_kernarg_preload_offset 0
		.amdhsa_user_sgpr_private_segment_size 0
		.amdhsa_uses_dynamic_stack 0
		.amdhsa_enable_private_segment 0
		.amdhsa_system_sgpr_workgroup_id_x 1
		.amdhsa_system_sgpr_workgroup_id_y 0
		.amdhsa_system_sgpr_workgroup_id_z 0
		.amdhsa_system_sgpr_workgroup_info 0
		.amdhsa_system_vgpr_workitem_id 0
		.amdhsa_next_free_vgpr 4
		.amdhsa_next_free_sgpr 12
		.amdhsa_accum_offset 4
		.amdhsa_reserve_vcc 1
		.amdhsa_float_round_mode_32 0
		.amdhsa_float_round_mode_16_64 0
		.amdhsa_float_denorm_mode_32 3
		.amdhsa_float_denorm_mode_16_64 3
		.amdhsa_dx10_clamp 1
		.amdhsa_ieee_mode 1
		.amdhsa_fp16_overflow 0
		.amdhsa_tg_split 0
		.amdhsa_exception_fp_ieee_invalid_op 0
		.amdhsa_exception_fp_denorm_src 0
		.amdhsa_exception_fp_ieee_div_zero 0
		.amdhsa_exception_fp_ieee_overflow 0
		.amdhsa_exception_fp_ieee_underflow 0
		.amdhsa_exception_fp_ieee_inexact 0
		.amdhsa_exception_int_div_zero 0
	.end_amdhsa_kernel
	.section	.text._ZN7rocprim17ROCPRIM_400000_NS6detail17trampoline_kernelINS0_14default_configENS1_25transform_config_selectorIdLb0EEEZNS1_14transform_implILb0ES3_S5_PdN6thrust23THRUST_200600_302600_NS6detail15normal_iteratorINS9_10device_ptrIdEEEENS0_8identityIdEEEE10hipError_tT2_T3_mT4_P12ihipStream_tbEUlT_E_NS1_11comp_targetILNS1_3genE0ELNS1_11target_archE4294967295ELNS1_3gpuE0ELNS1_3repE0EEENS1_30default_config_static_selectorELNS0_4arch9wavefront6targetE1EEEvT1_,"axG",@progbits,_ZN7rocprim17ROCPRIM_400000_NS6detail17trampoline_kernelINS0_14default_configENS1_25transform_config_selectorIdLb0EEEZNS1_14transform_implILb0ES3_S5_PdN6thrust23THRUST_200600_302600_NS6detail15normal_iteratorINS9_10device_ptrIdEEEENS0_8identityIdEEEE10hipError_tT2_T3_mT4_P12ihipStream_tbEUlT_E_NS1_11comp_targetILNS1_3genE0ELNS1_11target_archE4294967295ELNS1_3gpuE0ELNS1_3repE0EEENS1_30default_config_static_selectorELNS0_4arch9wavefront6targetE1EEEvT1_,comdat
.Lfunc_end73:
	.size	_ZN7rocprim17ROCPRIM_400000_NS6detail17trampoline_kernelINS0_14default_configENS1_25transform_config_selectorIdLb0EEEZNS1_14transform_implILb0ES3_S5_PdN6thrust23THRUST_200600_302600_NS6detail15normal_iteratorINS9_10device_ptrIdEEEENS0_8identityIdEEEE10hipError_tT2_T3_mT4_P12ihipStream_tbEUlT_E_NS1_11comp_targetILNS1_3genE0ELNS1_11target_archE4294967295ELNS1_3gpuE0ELNS1_3repE0EEENS1_30default_config_static_selectorELNS0_4arch9wavefront6targetE1EEEvT1_, .Lfunc_end73-_ZN7rocprim17ROCPRIM_400000_NS6detail17trampoline_kernelINS0_14default_configENS1_25transform_config_selectorIdLb0EEEZNS1_14transform_implILb0ES3_S5_PdN6thrust23THRUST_200600_302600_NS6detail15normal_iteratorINS9_10device_ptrIdEEEENS0_8identityIdEEEE10hipError_tT2_T3_mT4_P12ihipStream_tbEUlT_E_NS1_11comp_targetILNS1_3genE0ELNS1_11target_archE4294967295ELNS1_3gpuE0ELNS1_3repE0EEENS1_30default_config_static_selectorELNS0_4arch9wavefront6targetE1EEEvT1_
                                        ; -- End function
	.set _ZN7rocprim17ROCPRIM_400000_NS6detail17trampoline_kernelINS0_14default_configENS1_25transform_config_selectorIdLb0EEEZNS1_14transform_implILb0ES3_S5_PdN6thrust23THRUST_200600_302600_NS6detail15normal_iteratorINS9_10device_ptrIdEEEENS0_8identityIdEEEE10hipError_tT2_T3_mT4_P12ihipStream_tbEUlT_E_NS1_11comp_targetILNS1_3genE0ELNS1_11target_archE4294967295ELNS1_3gpuE0ELNS1_3repE0EEENS1_30default_config_static_selectorELNS0_4arch9wavefront6targetE1EEEvT1_.num_vgpr, 4
	.set _ZN7rocprim17ROCPRIM_400000_NS6detail17trampoline_kernelINS0_14default_configENS1_25transform_config_selectorIdLb0EEEZNS1_14transform_implILb0ES3_S5_PdN6thrust23THRUST_200600_302600_NS6detail15normal_iteratorINS9_10device_ptrIdEEEENS0_8identityIdEEEE10hipError_tT2_T3_mT4_P12ihipStream_tbEUlT_E_NS1_11comp_targetILNS1_3genE0ELNS1_11target_archE4294967295ELNS1_3gpuE0ELNS1_3repE0EEENS1_30default_config_static_selectorELNS0_4arch9wavefront6targetE1EEEvT1_.num_agpr, 0
	.set _ZN7rocprim17ROCPRIM_400000_NS6detail17trampoline_kernelINS0_14default_configENS1_25transform_config_selectorIdLb0EEEZNS1_14transform_implILb0ES3_S5_PdN6thrust23THRUST_200600_302600_NS6detail15normal_iteratorINS9_10device_ptrIdEEEENS0_8identityIdEEEE10hipError_tT2_T3_mT4_P12ihipStream_tbEUlT_E_NS1_11comp_targetILNS1_3genE0ELNS1_11target_archE4294967295ELNS1_3gpuE0ELNS1_3repE0EEENS1_30default_config_static_selectorELNS0_4arch9wavefront6targetE1EEEvT1_.numbered_sgpr, 12
	.set _ZN7rocprim17ROCPRIM_400000_NS6detail17trampoline_kernelINS0_14default_configENS1_25transform_config_selectorIdLb0EEEZNS1_14transform_implILb0ES3_S5_PdN6thrust23THRUST_200600_302600_NS6detail15normal_iteratorINS9_10device_ptrIdEEEENS0_8identityIdEEEE10hipError_tT2_T3_mT4_P12ihipStream_tbEUlT_E_NS1_11comp_targetILNS1_3genE0ELNS1_11target_archE4294967295ELNS1_3gpuE0ELNS1_3repE0EEENS1_30default_config_static_selectorELNS0_4arch9wavefront6targetE1EEEvT1_.num_named_barrier, 0
	.set _ZN7rocprim17ROCPRIM_400000_NS6detail17trampoline_kernelINS0_14default_configENS1_25transform_config_selectorIdLb0EEEZNS1_14transform_implILb0ES3_S5_PdN6thrust23THRUST_200600_302600_NS6detail15normal_iteratorINS9_10device_ptrIdEEEENS0_8identityIdEEEE10hipError_tT2_T3_mT4_P12ihipStream_tbEUlT_E_NS1_11comp_targetILNS1_3genE0ELNS1_11target_archE4294967295ELNS1_3gpuE0ELNS1_3repE0EEENS1_30default_config_static_selectorELNS0_4arch9wavefront6targetE1EEEvT1_.private_seg_size, 0
	.set _ZN7rocprim17ROCPRIM_400000_NS6detail17trampoline_kernelINS0_14default_configENS1_25transform_config_selectorIdLb0EEEZNS1_14transform_implILb0ES3_S5_PdN6thrust23THRUST_200600_302600_NS6detail15normal_iteratorINS9_10device_ptrIdEEEENS0_8identityIdEEEE10hipError_tT2_T3_mT4_P12ihipStream_tbEUlT_E_NS1_11comp_targetILNS1_3genE0ELNS1_11target_archE4294967295ELNS1_3gpuE0ELNS1_3repE0EEENS1_30default_config_static_selectorELNS0_4arch9wavefront6targetE1EEEvT1_.uses_vcc, 1
	.set _ZN7rocprim17ROCPRIM_400000_NS6detail17trampoline_kernelINS0_14default_configENS1_25transform_config_selectorIdLb0EEEZNS1_14transform_implILb0ES3_S5_PdN6thrust23THRUST_200600_302600_NS6detail15normal_iteratorINS9_10device_ptrIdEEEENS0_8identityIdEEEE10hipError_tT2_T3_mT4_P12ihipStream_tbEUlT_E_NS1_11comp_targetILNS1_3genE0ELNS1_11target_archE4294967295ELNS1_3gpuE0ELNS1_3repE0EEENS1_30default_config_static_selectorELNS0_4arch9wavefront6targetE1EEEvT1_.uses_flat_scratch, 0
	.set _ZN7rocprim17ROCPRIM_400000_NS6detail17trampoline_kernelINS0_14default_configENS1_25transform_config_selectorIdLb0EEEZNS1_14transform_implILb0ES3_S5_PdN6thrust23THRUST_200600_302600_NS6detail15normal_iteratorINS9_10device_ptrIdEEEENS0_8identityIdEEEE10hipError_tT2_T3_mT4_P12ihipStream_tbEUlT_E_NS1_11comp_targetILNS1_3genE0ELNS1_11target_archE4294967295ELNS1_3gpuE0ELNS1_3repE0EEENS1_30default_config_static_selectorELNS0_4arch9wavefront6targetE1EEEvT1_.has_dyn_sized_stack, 0
	.set _ZN7rocprim17ROCPRIM_400000_NS6detail17trampoline_kernelINS0_14default_configENS1_25transform_config_selectorIdLb0EEEZNS1_14transform_implILb0ES3_S5_PdN6thrust23THRUST_200600_302600_NS6detail15normal_iteratorINS9_10device_ptrIdEEEENS0_8identityIdEEEE10hipError_tT2_T3_mT4_P12ihipStream_tbEUlT_E_NS1_11comp_targetILNS1_3genE0ELNS1_11target_archE4294967295ELNS1_3gpuE0ELNS1_3repE0EEENS1_30default_config_static_selectorELNS0_4arch9wavefront6targetE1EEEvT1_.has_recursion, 0
	.set _ZN7rocprim17ROCPRIM_400000_NS6detail17trampoline_kernelINS0_14default_configENS1_25transform_config_selectorIdLb0EEEZNS1_14transform_implILb0ES3_S5_PdN6thrust23THRUST_200600_302600_NS6detail15normal_iteratorINS9_10device_ptrIdEEEENS0_8identityIdEEEE10hipError_tT2_T3_mT4_P12ihipStream_tbEUlT_E_NS1_11comp_targetILNS1_3genE0ELNS1_11target_archE4294967295ELNS1_3gpuE0ELNS1_3repE0EEENS1_30default_config_static_selectorELNS0_4arch9wavefront6targetE1EEEvT1_.has_indirect_call, 0
	.section	.AMDGPU.csdata,"",@progbits
; Kernel info:
; codeLenInByte = 160
; TotalNumSgprs: 18
; NumVgprs: 4
; NumAgprs: 0
; TotalNumVgprs: 4
; ScratchSize: 0
; MemoryBound: 0
; FloatMode: 240
; IeeeMode: 1
; LDSByteSize: 0 bytes/workgroup (compile time only)
; SGPRBlocks: 2
; VGPRBlocks: 0
; NumSGPRsForWavesPerEU: 18
; NumVGPRsForWavesPerEU: 4
; AccumOffset: 4
; Occupancy: 8
; WaveLimiterHint : 0
; COMPUTE_PGM_RSRC2:SCRATCH_EN: 0
; COMPUTE_PGM_RSRC2:USER_SGPR: 2
; COMPUTE_PGM_RSRC2:TRAP_HANDLER: 0
; COMPUTE_PGM_RSRC2:TGID_X_EN: 1
; COMPUTE_PGM_RSRC2:TGID_Y_EN: 0
; COMPUTE_PGM_RSRC2:TGID_Z_EN: 0
; COMPUTE_PGM_RSRC2:TIDIG_COMP_CNT: 0
; COMPUTE_PGM_RSRC3_GFX90A:ACCUM_OFFSET: 0
; COMPUTE_PGM_RSRC3_GFX90A:TG_SPLIT: 0
	.section	.text._ZN7rocprim17ROCPRIM_400000_NS6detail17trampoline_kernelINS0_14default_configENS1_25transform_config_selectorIdLb0EEEZNS1_14transform_implILb0ES3_S5_PdN6thrust23THRUST_200600_302600_NS6detail15normal_iteratorINS9_10device_ptrIdEEEENS0_8identityIdEEEE10hipError_tT2_T3_mT4_P12ihipStream_tbEUlT_E_NS1_11comp_targetILNS1_3genE5ELNS1_11target_archE942ELNS1_3gpuE9ELNS1_3repE0EEENS1_30default_config_static_selectorELNS0_4arch9wavefront6targetE1EEEvT1_,"axG",@progbits,_ZN7rocprim17ROCPRIM_400000_NS6detail17trampoline_kernelINS0_14default_configENS1_25transform_config_selectorIdLb0EEEZNS1_14transform_implILb0ES3_S5_PdN6thrust23THRUST_200600_302600_NS6detail15normal_iteratorINS9_10device_ptrIdEEEENS0_8identityIdEEEE10hipError_tT2_T3_mT4_P12ihipStream_tbEUlT_E_NS1_11comp_targetILNS1_3genE5ELNS1_11target_archE942ELNS1_3gpuE9ELNS1_3repE0EEENS1_30default_config_static_selectorELNS0_4arch9wavefront6targetE1EEEvT1_,comdat
	.protected	_ZN7rocprim17ROCPRIM_400000_NS6detail17trampoline_kernelINS0_14default_configENS1_25transform_config_selectorIdLb0EEEZNS1_14transform_implILb0ES3_S5_PdN6thrust23THRUST_200600_302600_NS6detail15normal_iteratorINS9_10device_ptrIdEEEENS0_8identityIdEEEE10hipError_tT2_T3_mT4_P12ihipStream_tbEUlT_E_NS1_11comp_targetILNS1_3genE5ELNS1_11target_archE942ELNS1_3gpuE9ELNS1_3repE0EEENS1_30default_config_static_selectorELNS0_4arch9wavefront6targetE1EEEvT1_ ; -- Begin function _ZN7rocprim17ROCPRIM_400000_NS6detail17trampoline_kernelINS0_14default_configENS1_25transform_config_selectorIdLb0EEEZNS1_14transform_implILb0ES3_S5_PdN6thrust23THRUST_200600_302600_NS6detail15normal_iteratorINS9_10device_ptrIdEEEENS0_8identityIdEEEE10hipError_tT2_T3_mT4_P12ihipStream_tbEUlT_E_NS1_11comp_targetILNS1_3genE5ELNS1_11target_archE942ELNS1_3gpuE9ELNS1_3repE0EEENS1_30default_config_static_selectorELNS0_4arch9wavefront6targetE1EEEvT1_
	.globl	_ZN7rocprim17ROCPRIM_400000_NS6detail17trampoline_kernelINS0_14default_configENS1_25transform_config_selectorIdLb0EEEZNS1_14transform_implILb0ES3_S5_PdN6thrust23THRUST_200600_302600_NS6detail15normal_iteratorINS9_10device_ptrIdEEEENS0_8identityIdEEEE10hipError_tT2_T3_mT4_P12ihipStream_tbEUlT_E_NS1_11comp_targetILNS1_3genE5ELNS1_11target_archE942ELNS1_3gpuE9ELNS1_3repE0EEENS1_30default_config_static_selectorELNS0_4arch9wavefront6targetE1EEEvT1_
	.p2align	8
	.type	_ZN7rocprim17ROCPRIM_400000_NS6detail17trampoline_kernelINS0_14default_configENS1_25transform_config_selectorIdLb0EEEZNS1_14transform_implILb0ES3_S5_PdN6thrust23THRUST_200600_302600_NS6detail15normal_iteratorINS9_10device_ptrIdEEEENS0_8identityIdEEEE10hipError_tT2_T3_mT4_P12ihipStream_tbEUlT_E_NS1_11comp_targetILNS1_3genE5ELNS1_11target_archE942ELNS1_3gpuE9ELNS1_3repE0EEENS1_30default_config_static_selectorELNS0_4arch9wavefront6targetE1EEEvT1_,@function
_ZN7rocprim17ROCPRIM_400000_NS6detail17trampoline_kernelINS0_14default_configENS1_25transform_config_selectorIdLb0EEEZNS1_14transform_implILb0ES3_S5_PdN6thrust23THRUST_200600_302600_NS6detail15normal_iteratorINS9_10device_ptrIdEEEENS0_8identityIdEEEE10hipError_tT2_T3_mT4_P12ihipStream_tbEUlT_E_NS1_11comp_targetILNS1_3genE5ELNS1_11target_archE942ELNS1_3gpuE9ELNS1_3repE0EEENS1_30default_config_static_selectorELNS0_4arch9wavefront6targetE1EEEvT1_: ; @_ZN7rocprim17ROCPRIM_400000_NS6detail17trampoline_kernelINS0_14default_configENS1_25transform_config_selectorIdLb0EEEZNS1_14transform_implILb0ES3_S5_PdN6thrust23THRUST_200600_302600_NS6detail15normal_iteratorINS9_10device_ptrIdEEEENS0_8identityIdEEEE10hipError_tT2_T3_mT4_P12ihipStream_tbEUlT_E_NS1_11comp_targetILNS1_3genE5ELNS1_11target_archE942ELNS1_3gpuE9ELNS1_3repE0EEENS1_30default_config_static_selectorELNS0_4arch9wavefront6targetE1EEEvT1_
; %bb.0:
	.section	.rodata,"a",@progbits
	.p2align	6, 0x0
	.amdhsa_kernel _ZN7rocprim17ROCPRIM_400000_NS6detail17trampoline_kernelINS0_14default_configENS1_25transform_config_selectorIdLb0EEEZNS1_14transform_implILb0ES3_S5_PdN6thrust23THRUST_200600_302600_NS6detail15normal_iteratorINS9_10device_ptrIdEEEENS0_8identityIdEEEE10hipError_tT2_T3_mT4_P12ihipStream_tbEUlT_E_NS1_11comp_targetILNS1_3genE5ELNS1_11target_archE942ELNS1_3gpuE9ELNS1_3repE0EEENS1_30default_config_static_selectorELNS0_4arch9wavefront6targetE1EEEvT1_
		.amdhsa_group_segment_fixed_size 0
		.amdhsa_private_segment_fixed_size 0
		.amdhsa_kernarg_size 40
		.amdhsa_user_sgpr_count 2
		.amdhsa_user_sgpr_dispatch_ptr 0
		.amdhsa_user_sgpr_queue_ptr 0
		.amdhsa_user_sgpr_kernarg_segment_ptr 1
		.amdhsa_user_sgpr_dispatch_id 0
		.amdhsa_user_sgpr_kernarg_preload_length 0
		.amdhsa_user_sgpr_kernarg_preload_offset 0
		.amdhsa_user_sgpr_private_segment_size 0
		.amdhsa_uses_dynamic_stack 0
		.amdhsa_enable_private_segment 0
		.amdhsa_system_sgpr_workgroup_id_x 1
		.amdhsa_system_sgpr_workgroup_id_y 0
		.amdhsa_system_sgpr_workgroup_id_z 0
		.amdhsa_system_sgpr_workgroup_info 0
		.amdhsa_system_vgpr_workitem_id 0
		.amdhsa_next_free_vgpr 1
		.amdhsa_next_free_sgpr 0
		.amdhsa_accum_offset 4
		.amdhsa_reserve_vcc 0
		.amdhsa_float_round_mode_32 0
		.amdhsa_float_round_mode_16_64 0
		.amdhsa_float_denorm_mode_32 3
		.amdhsa_float_denorm_mode_16_64 3
		.amdhsa_dx10_clamp 1
		.amdhsa_ieee_mode 1
		.amdhsa_fp16_overflow 0
		.amdhsa_tg_split 0
		.amdhsa_exception_fp_ieee_invalid_op 0
		.amdhsa_exception_fp_denorm_src 0
		.amdhsa_exception_fp_ieee_div_zero 0
		.amdhsa_exception_fp_ieee_overflow 0
		.amdhsa_exception_fp_ieee_underflow 0
		.amdhsa_exception_fp_ieee_inexact 0
		.amdhsa_exception_int_div_zero 0
	.end_amdhsa_kernel
	.section	.text._ZN7rocprim17ROCPRIM_400000_NS6detail17trampoline_kernelINS0_14default_configENS1_25transform_config_selectorIdLb0EEEZNS1_14transform_implILb0ES3_S5_PdN6thrust23THRUST_200600_302600_NS6detail15normal_iteratorINS9_10device_ptrIdEEEENS0_8identityIdEEEE10hipError_tT2_T3_mT4_P12ihipStream_tbEUlT_E_NS1_11comp_targetILNS1_3genE5ELNS1_11target_archE942ELNS1_3gpuE9ELNS1_3repE0EEENS1_30default_config_static_selectorELNS0_4arch9wavefront6targetE1EEEvT1_,"axG",@progbits,_ZN7rocprim17ROCPRIM_400000_NS6detail17trampoline_kernelINS0_14default_configENS1_25transform_config_selectorIdLb0EEEZNS1_14transform_implILb0ES3_S5_PdN6thrust23THRUST_200600_302600_NS6detail15normal_iteratorINS9_10device_ptrIdEEEENS0_8identityIdEEEE10hipError_tT2_T3_mT4_P12ihipStream_tbEUlT_E_NS1_11comp_targetILNS1_3genE5ELNS1_11target_archE942ELNS1_3gpuE9ELNS1_3repE0EEENS1_30default_config_static_selectorELNS0_4arch9wavefront6targetE1EEEvT1_,comdat
.Lfunc_end74:
	.size	_ZN7rocprim17ROCPRIM_400000_NS6detail17trampoline_kernelINS0_14default_configENS1_25transform_config_selectorIdLb0EEEZNS1_14transform_implILb0ES3_S5_PdN6thrust23THRUST_200600_302600_NS6detail15normal_iteratorINS9_10device_ptrIdEEEENS0_8identityIdEEEE10hipError_tT2_T3_mT4_P12ihipStream_tbEUlT_E_NS1_11comp_targetILNS1_3genE5ELNS1_11target_archE942ELNS1_3gpuE9ELNS1_3repE0EEENS1_30default_config_static_selectorELNS0_4arch9wavefront6targetE1EEEvT1_, .Lfunc_end74-_ZN7rocprim17ROCPRIM_400000_NS6detail17trampoline_kernelINS0_14default_configENS1_25transform_config_selectorIdLb0EEEZNS1_14transform_implILb0ES3_S5_PdN6thrust23THRUST_200600_302600_NS6detail15normal_iteratorINS9_10device_ptrIdEEEENS0_8identityIdEEEE10hipError_tT2_T3_mT4_P12ihipStream_tbEUlT_E_NS1_11comp_targetILNS1_3genE5ELNS1_11target_archE942ELNS1_3gpuE9ELNS1_3repE0EEENS1_30default_config_static_selectorELNS0_4arch9wavefront6targetE1EEEvT1_
                                        ; -- End function
	.set _ZN7rocprim17ROCPRIM_400000_NS6detail17trampoline_kernelINS0_14default_configENS1_25transform_config_selectorIdLb0EEEZNS1_14transform_implILb0ES3_S5_PdN6thrust23THRUST_200600_302600_NS6detail15normal_iteratorINS9_10device_ptrIdEEEENS0_8identityIdEEEE10hipError_tT2_T3_mT4_P12ihipStream_tbEUlT_E_NS1_11comp_targetILNS1_3genE5ELNS1_11target_archE942ELNS1_3gpuE9ELNS1_3repE0EEENS1_30default_config_static_selectorELNS0_4arch9wavefront6targetE1EEEvT1_.num_vgpr, 0
	.set _ZN7rocprim17ROCPRIM_400000_NS6detail17trampoline_kernelINS0_14default_configENS1_25transform_config_selectorIdLb0EEEZNS1_14transform_implILb0ES3_S5_PdN6thrust23THRUST_200600_302600_NS6detail15normal_iteratorINS9_10device_ptrIdEEEENS0_8identityIdEEEE10hipError_tT2_T3_mT4_P12ihipStream_tbEUlT_E_NS1_11comp_targetILNS1_3genE5ELNS1_11target_archE942ELNS1_3gpuE9ELNS1_3repE0EEENS1_30default_config_static_selectorELNS0_4arch9wavefront6targetE1EEEvT1_.num_agpr, 0
	.set _ZN7rocprim17ROCPRIM_400000_NS6detail17trampoline_kernelINS0_14default_configENS1_25transform_config_selectorIdLb0EEEZNS1_14transform_implILb0ES3_S5_PdN6thrust23THRUST_200600_302600_NS6detail15normal_iteratorINS9_10device_ptrIdEEEENS0_8identityIdEEEE10hipError_tT2_T3_mT4_P12ihipStream_tbEUlT_E_NS1_11comp_targetILNS1_3genE5ELNS1_11target_archE942ELNS1_3gpuE9ELNS1_3repE0EEENS1_30default_config_static_selectorELNS0_4arch9wavefront6targetE1EEEvT1_.numbered_sgpr, 0
	.set _ZN7rocprim17ROCPRIM_400000_NS6detail17trampoline_kernelINS0_14default_configENS1_25transform_config_selectorIdLb0EEEZNS1_14transform_implILb0ES3_S5_PdN6thrust23THRUST_200600_302600_NS6detail15normal_iteratorINS9_10device_ptrIdEEEENS0_8identityIdEEEE10hipError_tT2_T3_mT4_P12ihipStream_tbEUlT_E_NS1_11comp_targetILNS1_3genE5ELNS1_11target_archE942ELNS1_3gpuE9ELNS1_3repE0EEENS1_30default_config_static_selectorELNS0_4arch9wavefront6targetE1EEEvT1_.num_named_barrier, 0
	.set _ZN7rocprim17ROCPRIM_400000_NS6detail17trampoline_kernelINS0_14default_configENS1_25transform_config_selectorIdLb0EEEZNS1_14transform_implILb0ES3_S5_PdN6thrust23THRUST_200600_302600_NS6detail15normal_iteratorINS9_10device_ptrIdEEEENS0_8identityIdEEEE10hipError_tT2_T3_mT4_P12ihipStream_tbEUlT_E_NS1_11comp_targetILNS1_3genE5ELNS1_11target_archE942ELNS1_3gpuE9ELNS1_3repE0EEENS1_30default_config_static_selectorELNS0_4arch9wavefront6targetE1EEEvT1_.private_seg_size, 0
	.set _ZN7rocprim17ROCPRIM_400000_NS6detail17trampoline_kernelINS0_14default_configENS1_25transform_config_selectorIdLb0EEEZNS1_14transform_implILb0ES3_S5_PdN6thrust23THRUST_200600_302600_NS6detail15normal_iteratorINS9_10device_ptrIdEEEENS0_8identityIdEEEE10hipError_tT2_T3_mT4_P12ihipStream_tbEUlT_E_NS1_11comp_targetILNS1_3genE5ELNS1_11target_archE942ELNS1_3gpuE9ELNS1_3repE0EEENS1_30default_config_static_selectorELNS0_4arch9wavefront6targetE1EEEvT1_.uses_vcc, 0
	.set _ZN7rocprim17ROCPRIM_400000_NS6detail17trampoline_kernelINS0_14default_configENS1_25transform_config_selectorIdLb0EEEZNS1_14transform_implILb0ES3_S5_PdN6thrust23THRUST_200600_302600_NS6detail15normal_iteratorINS9_10device_ptrIdEEEENS0_8identityIdEEEE10hipError_tT2_T3_mT4_P12ihipStream_tbEUlT_E_NS1_11comp_targetILNS1_3genE5ELNS1_11target_archE942ELNS1_3gpuE9ELNS1_3repE0EEENS1_30default_config_static_selectorELNS0_4arch9wavefront6targetE1EEEvT1_.uses_flat_scratch, 0
	.set _ZN7rocprim17ROCPRIM_400000_NS6detail17trampoline_kernelINS0_14default_configENS1_25transform_config_selectorIdLb0EEEZNS1_14transform_implILb0ES3_S5_PdN6thrust23THRUST_200600_302600_NS6detail15normal_iteratorINS9_10device_ptrIdEEEENS0_8identityIdEEEE10hipError_tT2_T3_mT4_P12ihipStream_tbEUlT_E_NS1_11comp_targetILNS1_3genE5ELNS1_11target_archE942ELNS1_3gpuE9ELNS1_3repE0EEENS1_30default_config_static_selectorELNS0_4arch9wavefront6targetE1EEEvT1_.has_dyn_sized_stack, 0
	.set _ZN7rocprim17ROCPRIM_400000_NS6detail17trampoline_kernelINS0_14default_configENS1_25transform_config_selectorIdLb0EEEZNS1_14transform_implILb0ES3_S5_PdN6thrust23THRUST_200600_302600_NS6detail15normal_iteratorINS9_10device_ptrIdEEEENS0_8identityIdEEEE10hipError_tT2_T3_mT4_P12ihipStream_tbEUlT_E_NS1_11comp_targetILNS1_3genE5ELNS1_11target_archE942ELNS1_3gpuE9ELNS1_3repE0EEENS1_30default_config_static_selectorELNS0_4arch9wavefront6targetE1EEEvT1_.has_recursion, 0
	.set _ZN7rocprim17ROCPRIM_400000_NS6detail17trampoline_kernelINS0_14default_configENS1_25transform_config_selectorIdLb0EEEZNS1_14transform_implILb0ES3_S5_PdN6thrust23THRUST_200600_302600_NS6detail15normal_iteratorINS9_10device_ptrIdEEEENS0_8identityIdEEEE10hipError_tT2_T3_mT4_P12ihipStream_tbEUlT_E_NS1_11comp_targetILNS1_3genE5ELNS1_11target_archE942ELNS1_3gpuE9ELNS1_3repE0EEENS1_30default_config_static_selectorELNS0_4arch9wavefront6targetE1EEEvT1_.has_indirect_call, 0
	.section	.AMDGPU.csdata,"",@progbits
; Kernel info:
; codeLenInByte = 0
; TotalNumSgprs: 6
; NumVgprs: 0
; NumAgprs: 0
; TotalNumVgprs: 0
; ScratchSize: 0
; MemoryBound: 0
; FloatMode: 240
; IeeeMode: 1
; LDSByteSize: 0 bytes/workgroup (compile time only)
; SGPRBlocks: 0
; VGPRBlocks: 0
; NumSGPRsForWavesPerEU: 6
; NumVGPRsForWavesPerEU: 1
; AccumOffset: 4
; Occupancy: 8
; WaveLimiterHint : 0
; COMPUTE_PGM_RSRC2:SCRATCH_EN: 0
; COMPUTE_PGM_RSRC2:USER_SGPR: 2
; COMPUTE_PGM_RSRC2:TRAP_HANDLER: 0
; COMPUTE_PGM_RSRC2:TGID_X_EN: 1
; COMPUTE_PGM_RSRC2:TGID_Y_EN: 0
; COMPUTE_PGM_RSRC2:TGID_Z_EN: 0
; COMPUTE_PGM_RSRC2:TIDIG_COMP_CNT: 0
; COMPUTE_PGM_RSRC3_GFX90A:ACCUM_OFFSET: 0
; COMPUTE_PGM_RSRC3_GFX90A:TG_SPLIT: 0
	.section	.text._ZN7rocprim17ROCPRIM_400000_NS6detail17trampoline_kernelINS0_14default_configENS1_25transform_config_selectorIdLb0EEEZNS1_14transform_implILb0ES3_S5_PdN6thrust23THRUST_200600_302600_NS6detail15normal_iteratorINS9_10device_ptrIdEEEENS0_8identityIdEEEE10hipError_tT2_T3_mT4_P12ihipStream_tbEUlT_E_NS1_11comp_targetILNS1_3genE4ELNS1_11target_archE910ELNS1_3gpuE8ELNS1_3repE0EEENS1_30default_config_static_selectorELNS0_4arch9wavefront6targetE1EEEvT1_,"axG",@progbits,_ZN7rocprim17ROCPRIM_400000_NS6detail17trampoline_kernelINS0_14default_configENS1_25transform_config_selectorIdLb0EEEZNS1_14transform_implILb0ES3_S5_PdN6thrust23THRUST_200600_302600_NS6detail15normal_iteratorINS9_10device_ptrIdEEEENS0_8identityIdEEEE10hipError_tT2_T3_mT4_P12ihipStream_tbEUlT_E_NS1_11comp_targetILNS1_3genE4ELNS1_11target_archE910ELNS1_3gpuE8ELNS1_3repE0EEENS1_30default_config_static_selectorELNS0_4arch9wavefront6targetE1EEEvT1_,comdat
	.protected	_ZN7rocprim17ROCPRIM_400000_NS6detail17trampoline_kernelINS0_14default_configENS1_25transform_config_selectorIdLb0EEEZNS1_14transform_implILb0ES3_S5_PdN6thrust23THRUST_200600_302600_NS6detail15normal_iteratorINS9_10device_ptrIdEEEENS0_8identityIdEEEE10hipError_tT2_T3_mT4_P12ihipStream_tbEUlT_E_NS1_11comp_targetILNS1_3genE4ELNS1_11target_archE910ELNS1_3gpuE8ELNS1_3repE0EEENS1_30default_config_static_selectorELNS0_4arch9wavefront6targetE1EEEvT1_ ; -- Begin function _ZN7rocprim17ROCPRIM_400000_NS6detail17trampoline_kernelINS0_14default_configENS1_25transform_config_selectorIdLb0EEEZNS1_14transform_implILb0ES3_S5_PdN6thrust23THRUST_200600_302600_NS6detail15normal_iteratorINS9_10device_ptrIdEEEENS0_8identityIdEEEE10hipError_tT2_T3_mT4_P12ihipStream_tbEUlT_E_NS1_11comp_targetILNS1_3genE4ELNS1_11target_archE910ELNS1_3gpuE8ELNS1_3repE0EEENS1_30default_config_static_selectorELNS0_4arch9wavefront6targetE1EEEvT1_
	.globl	_ZN7rocprim17ROCPRIM_400000_NS6detail17trampoline_kernelINS0_14default_configENS1_25transform_config_selectorIdLb0EEEZNS1_14transform_implILb0ES3_S5_PdN6thrust23THRUST_200600_302600_NS6detail15normal_iteratorINS9_10device_ptrIdEEEENS0_8identityIdEEEE10hipError_tT2_T3_mT4_P12ihipStream_tbEUlT_E_NS1_11comp_targetILNS1_3genE4ELNS1_11target_archE910ELNS1_3gpuE8ELNS1_3repE0EEENS1_30default_config_static_selectorELNS0_4arch9wavefront6targetE1EEEvT1_
	.p2align	8
	.type	_ZN7rocprim17ROCPRIM_400000_NS6detail17trampoline_kernelINS0_14default_configENS1_25transform_config_selectorIdLb0EEEZNS1_14transform_implILb0ES3_S5_PdN6thrust23THRUST_200600_302600_NS6detail15normal_iteratorINS9_10device_ptrIdEEEENS0_8identityIdEEEE10hipError_tT2_T3_mT4_P12ihipStream_tbEUlT_E_NS1_11comp_targetILNS1_3genE4ELNS1_11target_archE910ELNS1_3gpuE8ELNS1_3repE0EEENS1_30default_config_static_selectorELNS0_4arch9wavefront6targetE1EEEvT1_,@function
_ZN7rocprim17ROCPRIM_400000_NS6detail17trampoline_kernelINS0_14default_configENS1_25transform_config_selectorIdLb0EEEZNS1_14transform_implILb0ES3_S5_PdN6thrust23THRUST_200600_302600_NS6detail15normal_iteratorINS9_10device_ptrIdEEEENS0_8identityIdEEEE10hipError_tT2_T3_mT4_P12ihipStream_tbEUlT_E_NS1_11comp_targetILNS1_3genE4ELNS1_11target_archE910ELNS1_3gpuE8ELNS1_3repE0EEENS1_30default_config_static_selectorELNS0_4arch9wavefront6targetE1EEEvT1_: ; @_ZN7rocprim17ROCPRIM_400000_NS6detail17trampoline_kernelINS0_14default_configENS1_25transform_config_selectorIdLb0EEEZNS1_14transform_implILb0ES3_S5_PdN6thrust23THRUST_200600_302600_NS6detail15normal_iteratorINS9_10device_ptrIdEEEENS0_8identityIdEEEE10hipError_tT2_T3_mT4_P12ihipStream_tbEUlT_E_NS1_11comp_targetILNS1_3genE4ELNS1_11target_archE910ELNS1_3gpuE8ELNS1_3repE0EEENS1_30default_config_static_selectorELNS0_4arch9wavefront6targetE1EEEvT1_
; %bb.0:
	.section	.rodata,"a",@progbits
	.p2align	6, 0x0
	.amdhsa_kernel _ZN7rocprim17ROCPRIM_400000_NS6detail17trampoline_kernelINS0_14default_configENS1_25transform_config_selectorIdLb0EEEZNS1_14transform_implILb0ES3_S5_PdN6thrust23THRUST_200600_302600_NS6detail15normal_iteratorINS9_10device_ptrIdEEEENS0_8identityIdEEEE10hipError_tT2_T3_mT4_P12ihipStream_tbEUlT_E_NS1_11comp_targetILNS1_3genE4ELNS1_11target_archE910ELNS1_3gpuE8ELNS1_3repE0EEENS1_30default_config_static_selectorELNS0_4arch9wavefront6targetE1EEEvT1_
		.amdhsa_group_segment_fixed_size 0
		.amdhsa_private_segment_fixed_size 0
		.amdhsa_kernarg_size 40
		.amdhsa_user_sgpr_count 2
		.amdhsa_user_sgpr_dispatch_ptr 0
		.amdhsa_user_sgpr_queue_ptr 0
		.amdhsa_user_sgpr_kernarg_segment_ptr 1
		.amdhsa_user_sgpr_dispatch_id 0
		.amdhsa_user_sgpr_kernarg_preload_length 0
		.amdhsa_user_sgpr_kernarg_preload_offset 0
		.amdhsa_user_sgpr_private_segment_size 0
		.amdhsa_uses_dynamic_stack 0
		.amdhsa_enable_private_segment 0
		.amdhsa_system_sgpr_workgroup_id_x 1
		.amdhsa_system_sgpr_workgroup_id_y 0
		.amdhsa_system_sgpr_workgroup_id_z 0
		.amdhsa_system_sgpr_workgroup_info 0
		.amdhsa_system_vgpr_workitem_id 0
		.amdhsa_next_free_vgpr 1
		.amdhsa_next_free_sgpr 0
		.amdhsa_accum_offset 4
		.amdhsa_reserve_vcc 0
		.amdhsa_float_round_mode_32 0
		.amdhsa_float_round_mode_16_64 0
		.amdhsa_float_denorm_mode_32 3
		.amdhsa_float_denorm_mode_16_64 3
		.amdhsa_dx10_clamp 1
		.amdhsa_ieee_mode 1
		.amdhsa_fp16_overflow 0
		.amdhsa_tg_split 0
		.amdhsa_exception_fp_ieee_invalid_op 0
		.amdhsa_exception_fp_denorm_src 0
		.amdhsa_exception_fp_ieee_div_zero 0
		.amdhsa_exception_fp_ieee_overflow 0
		.amdhsa_exception_fp_ieee_underflow 0
		.amdhsa_exception_fp_ieee_inexact 0
		.amdhsa_exception_int_div_zero 0
	.end_amdhsa_kernel
	.section	.text._ZN7rocprim17ROCPRIM_400000_NS6detail17trampoline_kernelINS0_14default_configENS1_25transform_config_selectorIdLb0EEEZNS1_14transform_implILb0ES3_S5_PdN6thrust23THRUST_200600_302600_NS6detail15normal_iteratorINS9_10device_ptrIdEEEENS0_8identityIdEEEE10hipError_tT2_T3_mT4_P12ihipStream_tbEUlT_E_NS1_11comp_targetILNS1_3genE4ELNS1_11target_archE910ELNS1_3gpuE8ELNS1_3repE0EEENS1_30default_config_static_selectorELNS0_4arch9wavefront6targetE1EEEvT1_,"axG",@progbits,_ZN7rocprim17ROCPRIM_400000_NS6detail17trampoline_kernelINS0_14default_configENS1_25transform_config_selectorIdLb0EEEZNS1_14transform_implILb0ES3_S5_PdN6thrust23THRUST_200600_302600_NS6detail15normal_iteratorINS9_10device_ptrIdEEEENS0_8identityIdEEEE10hipError_tT2_T3_mT4_P12ihipStream_tbEUlT_E_NS1_11comp_targetILNS1_3genE4ELNS1_11target_archE910ELNS1_3gpuE8ELNS1_3repE0EEENS1_30default_config_static_selectorELNS0_4arch9wavefront6targetE1EEEvT1_,comdat
.Lfunc_end75:
	.size	_ZN7rocprim17ROCPRIM_400000_NS6detail17trampoline_kernelINS0_14default_configENS1_25transform_config_selectorIdLb0EEEZNS1_14transform_implILb0ES3_S5_PdN6thrust23THRUST_200600_302600_NS6detail15normal_iteratorINS9_10device_ptrIdEEEENS0_8identityIdEEEE10hipError_tT2_T3_mT4_P12ihipStream_tbEUlT_E_NS1_11comp_targetILNS1_3genE4ELNS1_11target_archE910ELNS1_3gpuE8ELNS1_3repE0EEENS1_30default_config_static_selectorELNS0_4arch9wavefront6targetE1EEEvT1_, .Lfunc_end75-_ZN7rocprim17ROCPRIM_400000_NS6detail17trampoline_kernelINS0_14default_configENS1_25transform_config_selectorIdLb0EEEZNS1_14transform_implILb0ES3_S5_PdN6thrust23THRUST_200600_302600_NS6detail15normal_iteratorINS9_10device_ptrIdEEEENS0_8identityIdEEEE10hipError_tT2_T3_mT4_P12ihipStream_tbEUlT_E_NS1_11comp_targetILNS1_3genE4ELNS1_11target_archE910ELNS1_3gpuE8ELNS1_3repE0EEENS1_30default_config_static_selectorELNS0_4arch9wavefront6targetE1EEEvT1_
                                        ; -- End function
	.set _ZN7rocprim17ROCPRIM_400000_NS6detail17trampoline_kernelINS0_14default_configENS1_25transform_config_selectorIdLb0EEEZNS1_14transform_implILb0ES3_S5_PdN6thrust23THRUST_200600_302600_NS6detail15normal_iteratorINS9_10device_ptrIdEEEENS0_8identityIdEEEE10hipError_tT2_T3_mT4_P12ihipStream_tbEUlT_E_NS1_11comp_targetILNS1_3genE4ELNS1_11target_archE910ELNS1_3gpuE8ELNS1_3repE0EEENS1_30default_config_static_selectorELNS0_4arch9wavefront6targetE1EEEvT1_.num_vgpr, 0
	.set _ZN7rocprim17ROCPRIM_400000_NS6detail17trampoline_kernelINS0_14default_configENS1_25transform_config_selectorIdLb0EEEZNS1_14transform_implILb0ES3_S5_PdN6thrust23THRUST_200600_302600_NS6detail15normal_iteratorINS9_10device_ptrIdEEEENS0_8identityIdEEEE10hipError_tT2_T3_mT4_P12ihipStream_tbEUlT_E_NS1_11comp_targetILNS1_3genE4ELNS1_11target_archE910ELNS1_3gpuE8ELNS1_3repE0EEENS1_30default_config_static_selectorELNS0_4arch9wavefront6targetE1EEEvT1_.num_agpr, 0
	.set _ZN7rocprim17ROCPRIM_400000_NS6detail17trampoline_kernelINS0_14default_configENS1_25transform_config_selectorIdLb0EEEZNS1_14transform_implILb0ES3_S5_PdN6thrust23THRUST_200600_302600_NS6detail15normal_iteratorINS9_10device_ptrIdEEEENS0_8identityIdEEEE10hipError_tT2_T3_mT4_P12ihipStream_tbEUlT_E_NS1_11comp_targetILNS1_3genE4ELNS1_11target_archE910ELNS1_3gpuE8ELNS1_3repE0EEENS1_30default_config_static_selectorELNS0_4arch9wavefront6targetE1EEEvT1_.numbered_sgpr, 0
	.set _ZN7rocprim17ROCPRIM_400000_NS6detail17trampoline_kernelINS0_14default_configENS1_25transform_config_selectorIdLb0EEEZNS1_14transform_implILb0ES3_S5_PdN6thrust23THRUST_200600_302600_NS6detail15normal_iteratorINS9_10device_ptrIdEEEENS0_8identityIdEEEE10hipError_tT2_T3_mT4_P12ihipStream_tbEUlT_E_NS1_11comp_targetILNS1_3genE4ELNS1_11target_archE910ELNS1_3gpuE8ELNS1_3repE0EEENS1_30default_config_static_selectorELNS0_4arch9wavefront6targetE1EEEvT1_.num_named_barrier, 0
	.set _ZN7rocprim17ROCPRIM_400000_NS6detail17trampoline_kernelINS0_14default_configENS1_25transform_config_selectorIdLb0EEEZNS1_14transform_implILb0ES3_S5_PdN6thrust23THRUST_200600_302600_NS6detail15normal_iteratorINS9_10device_ptrIdEEEENS0_8identityIdEEEE10hipError_tT2_T3_mT4_P12ihipStream_tbEUlT_E_NS1_11comp_targetILNS1_3genE4ELNS1_11target_archE910ELNS1_3gpuE8ELNS1_3repE0EEENS1_30default_config_static_selectorELNS0_4arch9wavefront6targetE1EEEvT1_.private_seg_size, 0
	.set _ZN7rocprim17ROCPRIM_400000_NS6detail17trampoline_kernelINS0_14default_configENS1_25transform_config_selectorIdLb0EEEZNS1_14transform_implILb0ES3_S5_PdN6thrust23THRUST_200600_302600_NS6detail15normal_iteratorINS9_10device_ptrIdEEEENS0_8identityIdEEEE10hipError_tT2_T3_mT4_P12ihipStream_tbEUlT_E_NS1_11comp_targetILNS1_3genE4ELNS1_11target_archE910ELNS1_3gpuE8ELNS1_3repE0EEENS1_30default_config_static_selectorELNS0_4arch9wavefront6targetE1EEEvT1_.uses_vcc, 0
	.set _ZN7rocprim17ROCPRIM_400000_NS6detail17trampoline_kernelINS0_14default_configENS1_25transform_config_selectorIdLb0EEEZNS1_14transform_implILb0ES3_S5_PdN6thrust23THRUST_200600_302600_NS6detail15normal_iteratorINS9_10device_ptrIdEEEENS0_8identityIdEEEE10hipError_tT2_T3_mT4_P12ihipStream_tbEUlT_E_NS1_11comp_targetILNS1_3genE4ELNS1_11target_archE910ELNS1_3gpuE8ELNS1_3repE0EEENS1_30default_config_static_selectorELNS0_4arch9wavefront6targetE1EEEvT1_.uses_flat_scratch, 0
	.set _ZN7rocprim17ROCPRIM_400000_NS6detail17trampoline_kernelINS0_14default_configENS1_25transform_config_selectorIdLb0EEEZNS1_14transform_implILb0ES3_S5_PdN6thrust23THRUST_200600_302600_NS6detail15normal_iteratorINS9_10device_ptrIdEEEENS0_8identityIdEEEE10hipError_tT2_T3_mT4_P12ihipStream_tbEUlT_E_NS1_11comp_targetILNS1_3genE4ELNS1_11target_archE910ELNS1_3gpuE8ELNS1_3repE0EEENS1_30default_config_static_selectorELNS0_4arch9wavefront6targetE1EEEvT1_.has_dyn_sized_stack, 0
	.set _ZN7rocprim17ROCPRIM_400000_NS6detail17trampoline_kernelINS0_14default_configENS1_25transform_config_selectorIdLb0EEEZNS1_14transform_implILb0ES3_S5_PdN6thrust23THRUST_200600_302600_NS6detail15normal_iteratorINS9_10device_ptrIdEEEENS0_8identityIdEEEE10hipError_tT2_T3_mT4_P12ihipStream_tbEUlT_E_NS1_11comp_targetILNS1_3genE4ELNS1_11target_archE910ELNS1_3gpuE8ELNS1_3repE0EEENS1_30default_config_static_selectorELNS0_4arch9wavefront6targetE1EEEvT1_.has_recursion, 0
	.set _ZN7rocprim17ROCPRIM_400000_NS6detail17trampoline_kernelINS0_14default_configENS1_25transform_config_selectorIdLb0EEEZNS1_14transform_implILb0ES3_S5_PdN6thrust23THRUST_200600_302600_NS6detail15normal_iteratorINS9_10device_ptrIdEEEENS0_8identityIdEEEE10hipError_tT2_T3_mT4_P12ihipStream_tbEUlT_E_NS1_11comp_targetILNS1_3genE4ELNS1_11target_archE910ELNS1_3gpuE8ELNS1_3repE0EEENS1_30default_config_static_selectorELNS0_4arch9wavefront6targetE1EEEvT1_.has_indirect_call, 0
	.section	.AMDGPU.csdata,"",@progbits
; Kernel info:
; codeLenInByte = 0
; TotalNumSgprs: 6
; NumVgprs: 0
; NumAgprs: 0
; TotalNumVgprs: 0
; ScratchSize: 0
; MemoryBound: 0
; FloatMode: 240
; IeeeMode: 1
; LDSByteSize: 0 bytes/workgroup (compile time only)
; SGPRBlocks: 0
; VGPRBlocks: 0
; NumSGPRsForWavesPerEU: 6
; NumVGPRsForWavesPerEU: 1
; AccumOffset: 4
; Occupancy: 8
; WaveLimiterHint : 0
; COMPUTE_PGM_RSRC2:SCRATCH_EN: 0
; COMPUTE_PGM_RSRC2:USER_SGPR: 2
; COMPUTE_PGM_RSRC2:TRAP_HANDLER: 0
; COMPUTE_PGM_RSRC2:TGID_X_EN: 1
; COMPUTE_PGM_RSRC2:TGID_Y_EN: 0
; COMPUTE_PGM_RSRC2:TGID_Z_EN: 0
; COMPUTE_PGM_RSRC2:TIDIG_COMP_CNT: 0
; COMPUTE_PGM_RSRC3_GFX90A:ACCUM_OFFSET: 0
; COMPUTE_PGM_RSRC3_GFX90A:TG_SPLIT: 0
	.section	.text._ZN7rocprim17ROCPRIM_400000_NS6detail17trampoline_kernelINS0_14default_configENS1_25transform_config_selectorIdLb0EEEZNS1_14transform_implILb0ES3_S5_PdN6thrust23THRUST_200600_302600_NS6detail15normal_iteratorINS9_10device_ptrIdEEEENS0_8identityIdEEEE10hipError_tT2_T3_mT4_P12ihipStream_tbEUlT_E_NS1_11comp_targetILNS1_3genE3ELNS1_11target_archE908ELNS1_3gpuE7ELNS1_3repE0EEENS1_30default_config_static_selectorELNS0_4arch9wavefront6targetE1EEEvT1_,"axG",@progbits,_ZN7rocprim17ROCPRIM_400000_NS6detail17trampoline_kernelINS0_14default_configENS1_25transform_config_selectorIdLb0EEEZNS1_14transform_implILb0ES3_S5_PdN6thrust23THRUST_200600_302600_NS6detail15normal_iteratorINS9_10device_ptrIdEEEENS0_8identityIdEEEE10hipError_tT2_T3_mT4_P12ihipStream_tbEUlT_E_NS1_11comp_targetILNS1_3genE3ELNS1_11target_archE908ELNS1_3gpuE7ELNS1_3repE0EEENS1_30default_config_static_selectorELNS0_4arch9wavefront6targetE1EEEvT1_,comdat
	.protected	_ZN7rocprim17ROCPRIM_400000_NS6detail17trampoline_kernelINS0_14default_configENS1_25transform_config_selectorIdLb0EEEZNS1_14transform_implILb0ES3_S5_PdN6thrust23THRUST_200600_302600_NS6detail15normal_iteratorINS9_10device_ptrIdEEEENS0_8identityIdEEEE10hipError_tT2_T3_mT4_P12ihipStream_tbEUlT_E_NS1_11comp_targetILNS1_3genE3ELNS1_11target_archE908ELNS1_3gpuE7ELNS1_3repE0EEENS1_30default_config_static_selectorELNS0_4arch9wavefront6targetE1EEEvT1_ ; -- Begin function _ZN7rocprim17ROCPRIM_400000_NS6detail17trampoline_kernelINS0_14default_configENS1_25transform_config_selectorIdLb0EEEZNS1_14transform_implILb0ES3_S5_PdN6thrust23THRUST_200600_302600_NS6detail15normal_iteratorINS9_10device_ptrIdEEEENS0_8identityIdEEEE10hipError_tT2_T3_mT4_P12ihipStream_tbEUlT_E_NS1_11comp_targetILNS1_3genE3ELNS1_11target_archE908ELNS1_3gpuE7ELNS1_3repE0EEENS1_30default_config_static_selectorELNS0_4arch9wavefront6targetE1EEEvT1_
	.globl	_ZN7rocprim17ROCPRIM_400000_NS6detail17trampoline_kernelINS0_14default_configENS1_25transform_config_selectorIdLb0EEEZNS1_14transform_implILb0ES3_S5_PdN6thrust23THRUST_200600_302600_NS6detail15normal_iteratorINS9_10device_ptrIdEEEENS0_8identityIdEEEE10hipError_tT2_T3_mT4_P12ihipStream_tbEUlT_E_NS1_11comp_targetILNS1_3genE3ELNS1_11target_archE908ELNS1_3gpuE7ELNS1_3repE0EEENS1_30default_config_static_selectorELNS0_4arch9wavefront6targetE1EEEvT1_
	.p2align	8
	.type	_ZN7rocprim17ROCPRIM_400000_NS6detail17trampoline_kernelINS0_14default_configENS1_25transform_config_selectorIdLb0EEEZNS1_14transform_implILb0ES3_S5_PdN6thrust23THRUST_200600_302600_NS6detail15normal_iteratorINS9_10device_ptrIdEEEENS0_8identityIdEEEE10hipError_tT2_T3_mT4_P12ihipStream_tbEUlT_E_NS1_11comp_targetILNS1_3genE3ELNS1_11target_archE908ELNS1_3gpuE7ELNS1_3repE0EEENS1_30default_config_static_selectorELNS0_4arch9wavefront6targetE1EEEvT1_,@function
_ZN7rocprim17ROCPRIM_400000_NS6detail17trampoline_kernelINS0_14default_configENS1_25transform_config_selectorIdLb0EEEZNS1_14transform_implILb0ES3_S5_PdN6thrust23THRUST_200600_302600_NS6detail15normal_iteratorINS9_10device_ptrIdEEEENS0_8identityIdEEEE10hipError_tT2_T3_mT4_P12ihipStream_tbEUlT_E_NS1_11comp_targetILNS1_3genE3ELNS1_11target_archE908ELNS1_3gpuE7ELNS1_3repE0EEENS1_30default_config_static_selectorELNS0_4arch9wavefront6targetE1EEEvT1_: ; @_ZN7rocprim17ROCPRIM_400000_NS6detail17trampoline_kernelINS0_14default_configENS1_25transform_config_selectorIdLb0EEEZNS1_14transform_implILb0ES3_S5_PdN6thrust23THRUST_200600_302600_NS6detail15normal_iteratorINS9_10device_ptrIdEEEENS0_8identityIdEEEE10hipError_tT2_T3_mT4_P12ihipStream_tbEUlT_E_NS1_11comp_targetILNS1_3genE3ELNS1_11target_archE908ELNS1_3gpuE7ELNS1_3repE0EEENS1_30default_config_static_selectorELNS0_4arch9wavefront6targetE1EEEvT1_
; %bb.0:
	.section	.rodata,"a",@progbits
	.p2align	6, 0x0
	.amdhsa_kernel _ZN7rocprim17ROCPRIM_400000_NS6detail17trampoline_kernelINS0_14default_configENS1_25transform_config_selectorIdLb0EEEZNS1_14transform_implILb0ES3_S5_PdN6thrust23THRUST_200600_302600_NS6detail15normal_iteratorINS9_10device_ptrIdEEEENS0_8identityIdEEEE10hipError_tT2_T3_mT4_P12ihipStream_tbEUlT_E_NS1_11comp_targetILNS1_3genE3ELNS1_11target_archE908ELNS1_3gpuE7ELNS1_3repE0EEENS1_30default_config_static_selectorELNS0_4arch9wavefront6targetE1EEEvT1_
		.amdhsa_group_segment_fixed_size 0
		.amdhsa_private_segment_fixed_size 0
		.amdhsa_kernarg_size 40
		.amdhsa_user_sgpr_count 2
		.amdhsa_user_sgpr_dispatch_ptr 0
		.amdhsa_user_sgpr_queue_ptr 0
		.amdhsa_user_sgpr_kernarg_segment_ptr 1
		.amdhsa_user_sgpr_dispatch_id 0
		.amdhsa_user_sgpr_kernarg_preload_length 0
		.amdhsa_user_sgpr_kernarg_preload_offset 0
		.amdhsa_user_sgpr_private_segment_size 0
		.amdhsa_uses_dynamic_stack 0
		.amdhsa_enable_private_segment 0
		.amdhsa_system_sgpr_workgroup_id_x 1
		.amdhsa_system_sgpr_workgroup_id_y 0
		.amdhsa_system_sgpr_workgroup_id_z 0
		.amdhsa_system_sgpr_workgroup_info 0
		.amdhsa_system_vgpr_workitem_id 0
		.amdhsa_next_free_vgpr 1
		.amdhsa_next_free_sgpr 0
		.amdhsa_accum_offset 4
		.amdhsa_reserve_vcc 0
		.amdhsa_float_round_mode_32 0
		.amdhsa_float_round_mode_16_64 0
		.amdhsa_float_denorm_mode_32 3
		.amdhsa_float_denorm_mode_16_64 3
		.amdhsa_dx10_clamp 1
		.amdhsa_ieee_mode 1
		.amdhsa_fp16_overflow 0
		.amdhsa_tg_split 0
		.amdhsa_exception_fp_ieee_invalid_op 0
		.amdhsa_exception_fp_denorm_src 0
		.amdhsa_exception_fp_ieee_div_zero 0
		.amdhsa_exception_fp_ieee_overflow 0
		.amdhsa_exception_fp_ieee_underflow 0
		.amdhsa_exception_fp_ieee_inexact 0
		.amdhsa_exception_int_div_zero 0
	.end_amdhsa_kernel
	.section	.text._ZN7rocprim17ROCPRIM_400000_NS6detail17trampoline_kernelINS0_14default_configENS1_25transform_config_selectorIdLb0EEEZNS1_14transform_implILb0ES3_S5_PdN6thrust23THRUST_200600_302600_NS6detail15normal_iteratorINS9_10device_ptrIdEEEENS0_8identityIdEEEE10hipError_tT2_T3_mT4_P12ihipStream_tbEUlT_E_NS1_11comp_targetILNS1_3genE3ELNS1_11target_archE908ELNS1_3gpuE7ELNS1_3repE0EEENS1_30default_config_static_selectorELNS0_4arch9wavefront6targetE1EEEvT1_,"axG",@progbits,_ZN7rocprim17ROCPRIM_400000_NS6detail17trampoline_kernelINS0_14default_configENS1_25transform_config_selectorIdLb0EEEZNS1_14transform_implILb0ES3_S5_PdN6thrust23THRUST_200600_302600_NS6detail15normal_iteratorINS9_10device_ptrIdEEEENS0_8identityIdEEEE10hipError_tT2_T3_mT4_P12ihipStream_tbEUlT_E_NS1_11comp_targetILNS1_3genE3ELNS1_11target_archE908ELNS1_3gpuE7ELNS1_3repE0EEENS1_30default_config_static_selectorELNS0_4arch9wavefront6targetE1EEEvT1_,comdat
.Lfunc_end76:
	.size	_ZN7rocprim17ROCPRIM_400000_NS6detail17trampoline_kernelINS0_14default_configENS1_25transform_config_selectorIdLb0EEEZNS1_14transform_implILb0ES3_S5_PdN6thrust23THRUST_200600_302600_NS6detail15normal_iteratorINS9_10device_ptrIdEEEENS0_8identityIdEEEE10hipError_tT2_T3_mT4_P12ihipStream_tbEUlT_E_NS1_11comp_targetILNS1_3genE3ELNS1_11target_archE908ELNS1_3gpuE7ELNS1_3repE0EEENS1_30default_config_static_selectorELNS0_4arch9wavefront6targetE1EEEvT1_, .Lfunc_end76-_ZN7rocprim17ROCPRIM_400000_NS6detail17trampoline_kernelINS0_14default_configENS1_25transform_config_selectorIdLb0EEEZNS1_14transform_implILb0ES3_S5_PdN6thrust23THRUST_200600_302600_NS6detail15normal_iteratorINS9_10device_ptrIdEEEENS0_8identityIdEEEE10hipError_tT2_T3_mT4_P12ihipStream_tbEUlT_E_NS1_11comp_targetILNS1_3genE3ELNS1_11target_archE908ELNS1_3gpuE7ELNS1_3repE0EEENS1_30default_config_static_selectorELNS0_4arch9wavefront6targetE1EEEvT1_
                                        ; -- End function
	.set _ZN7rocprim17ROCPRIM_400000_NS6detail17trampoline_kernelINS0_14default_configENS1_25transform_config_selectorIdLb0EEEZNS1_14transform_implILb0ES3_S5_PdN6thrust23THRUST_200600_302600_NS6detail15normal_iteratorINS9_10device_ptrIdEEEENS0_8identityIdEEEE10hipError_tT2_T3_mT4_P12ihipStream_tbEUlT_E_NS1_11comp_targetILNS1_3genE3ELNS1_11target_archE908ELNS1_3gpuE7ELNS1_3repE0EEENS1_30default_config_static_selectorELNS0_4arch9wavefront6targetE1EEEvT1_.num_vgpr, 0
	.set _ZN7rocprim17ROCPRIM_400000_NS6detail17trampoline_kernelINS0_14default_configENS1_25transform_config_selectorIdLb0EEEZNS1_14transform_implILb0ES3_S5_PdN6thrust23THRUST_200600_302600_NS6detail15normal_iteratorINS9_10device_ptrIdEEEENS0_8identityIdEEEE10hipError_tT2_T3_mT4_P12ihipStream_tbEUlT_E_NS1_11comp_targetILNS1_3genE3ELNS1_11target_archE908ELNS1_3gpuE7ELNS1_3repE0EEENS1_30default_config_static_selectorELNS0_4arch9wavefront6targetE1EEEvT1_.num_agpr, 0
	.set _ZN7rocprim17ROCPRIM_400000_NS6detail17trampoline_kernelINS0_14default_configENS1_25transform_config_selectorIdLb0EEEZNS1_14transform_implILb0ES3_S5_PdN6thrust23THRUST_200600_302600_NS6detail15normal_iteratorINS9_10device_ptrIdEEEENS0_8identityIdEEEE10hipError_tT2_T3_mT4_P12ihipStream_tbEUlT_E_NS1_11comp_targetILNS1_3genE3ELNS1_11target_archE908ELNS1_3gpuE7ELNS1_3repE0EEENS1_30default_config_static_selectorELNS0_4arch9wavefront6targetE1EEEvT1_.numbered_sgpr, 0
	.set _ZN7rocprim17ROCPRIM_400000_NS6detail17trampoline_kernelINS0_14default_configENS1_25transform_config_selectorIdLb0EEEZNS1_14transform_implILb0ES3_S5_PdN6thrust23THRUST_200600_302600_NS6detail15normal_iteratorINS9_10device_ptrIdEEEENS0_8identityIdEEEE10hipError_tT2_T3_mT4_P12ihipStream_tbEUlT_E_NS1_11comp_targetILNS1_3genE3ELNS1_11target_archE908ELNS1_3gpuE7ELNS1_3repE0EEENS1_30default_config_static_selectorELNS0_4arch9wavefront6targetE1EEEvT1_.num_named_barrier, 0
	.set _ZN7rocprim17ROCPRIM_400000_NS6detail17trampoline_kernelINS0_14default_configENS1_25transform_config_selectorIdLb0EEEZNS1_14transform_implILb0ES3_S5_PdN6thrust23THRUST_200600_302600_NS6detail15normal_iteratorINS9_10device_ptrIdEEEENS0_8identityIdEEEE10hipError_tT2_T3_mT4_P12ihipStream_tbEUlT_E_NS1_11comp_targetILNS1_3genE3ELNS1_11target_archE908ELNS1_3gpuE7ELNS1_3repE0EEENS1_30default_config_static_selectorELNS0_4arch9wavefront6targetE1EEEvT1_.private_seg_size, 0
	.set _ZN7rocprim17ROCPRIM_400000_NS6detail17trampoline_kernelINS0_14default_configENS1_25transform_config_selectorIdLb0EEEZNS1_14transform_implILb0ES3_S5_PdN6thrust23THRUST_200600_302600_NS6detail15normal_iteratorINS9_10device_ptrIdEEEENS0_8identityIdEEEE10hipError_tT2_T3_mT4_P12ihipStream_tbEUlT_E_NS1_11comp_targetILNS1_3genE3ELNS1_11target_archE908ELNS1_3gpuE7ELNS1_3repE0EEENS1_30default_config_static_selectorELNS0_4arch9wavefront6targetE1EEEvT1_.uses_vcc, 0
	.set _ZN7rocprim17ROCPRIM_400000_NS6detail17trampoline_kernelINS0_14default_configENS1_25transform_config_selectorIdLb0EEEZNS1_14transform_implILb0ES3_S5_PdN6thrust23THRUST_200600_302600_NS6detail15normal_iteratorINS9_10device_ptrIdEEEENS0_8identityIdEEEE10hipError_tT2_T3_mT4_P12ihipStream_tbEUlT_E_NS1_11comp_targetILNS1_3genE3ELNS1_11target_archE908ELNS1_3gpuE7ELNS1_3repE0EEENS1_30default_config_static_selectorELNS0_4arch9wavefront6targetE1EEEvT1_.uses_flat_scratch, 0
	.set _ZN7rocprim17ROCPRIM_400000_NS6detail17trampoline_kernelINS0_14default_configENS1_25transform_config_selectorIdLb0EEEZNS1_14transform_implILb0ES3_S5_PdN6thrust23THRUST_200600_302600_NS6detail15normal_iteratorINS9_10device_ptrIdEEEENS0_8identityIdEEEE10hipError_tT2_T3_mT4_P12ihipStream_tbEUlT_E_NS1_11comp_targetILNS1_3genE3ELNS1_11target_archE908ELNS1_3gpuE7ELNS1_3repE0EEENS1_30default_config_static_selectorELNS0_4arch9wavefront6targetE1EEEvT1_.has_dyn_sized_stack, 0
	.set _ZN7rocprim17ROCPRIM_400000_NS6detail17trampoline_kernelINS0_14default_configENS1_25transform_config_selectorIdLb0EEEZNS1_14transform_implILb0ES3_S5_PdN6thrust23THRUST_200600_302600_NS6detail15normal_iteratorINS9_10device_ptrIdEEEENS0_8identityIdEEEE10hipError_tT2_T3_mT4_P12ihipStream_tbEUlT_E_NS1_11comp_targetILNS1_3genE3ELNS1_11target_archE908ELNS1_3gpuE7ELNS1_3repE0EEENS1_30default_config_static_selectorELNS0_4arch9wavefront6targetE1EEEvT1_.has_recursion, 0
	.set _ZN7rocprim17ROCPRIM_400000_NS6detail17trampoline_kernelINS0_14default_configENS1_25transform_config_selectorIdLb0EEEZNS1_14transform_implILb0ES3_S5_PdN6thrust23THRUST_200600_302600_NS6detail15normal_iteratorINS9_10device_ptrIdEEEENS0_8identityIdEEEE10hipError_tT2_T3_mT4_P12ihipStream_tbEUlT_E_NS1_11comp_targetILNS1_3genE3ELNS1_11target_archE908ELNS1_3gpuE7ELNS1_3repE0EEENS1_30default_config_static_selectorELNS0_4arch9wavefront6targetE1EEEvT1_.has_indirect_call, 0
	.section	.AMDGPU.csdata,"",@progbits
; Kernel info:
; codeLenInByte = 0
; TotalNumSgprs: 6
; NumVgprs: 0
; NumAgprs: 0
; TotalNumVgprs: 0
; ScratchSize: 0
; MemoryBound: 0
; FloatMode: 240
; IeeeMode: 1
; LDSByteSize: 0 bytes/workgroup (compile time only)
; SGPRBlocks: 0
; VGPRBlocks: 0
; NumSGPRsForWavesPerEU: 6
; NumVGPRsForWavesPerEU: 1
; AccumOffset: 4
; Occupancy: 8
; WaveLimiterHint : 0
; COMPUTE_PGM_RSRC2:SCRATCH_EN: 0
; COMPUTE_PGM_RSRC2:USER_SGPR: 2
; COMPUTE_PGM_RSRC2:TRAP_HANDLER: 0
; COMPUTE_PGM_RSRC2:TGID_X_EN: 1
; COMPUTE_PGM_RSRC2:TGID_Y_EN: 0
; COMPUTE_PGM_RSRC2:TGID_Z_EN: 0
; COMPUTE_PGM_RSRC2:TIDIG_COMP_CNT: 0
; COMPUTE_PGM_RSRC3_GFX90A:ACCUM_OFFSET: 0
; COMPUTE_PGM_RSRC3_GFX90A:TG_SPLIT: 0
	.section	.text._ZN7rocprim17ROCPRIM_400000_NS6detail17trampoline_kernelINS0_14default_configENS1_25transform_config_selectorIdLb0EEEZNS1_14transform_implILb0ES3_S5_PdN6thrust23THRUST_200600_302600_NS6detail15normal_iteratorINS9_10device_ptrIdEEEENS0_8identityIdEEEE10hipError_tT2_T3_mT4_P12ihipStream_tbEUlT_E_NS1_11comp_targetILNS1_3genE2ELNS1_11target_archE906ELNS1_3gpuE6ELNS1_3repE0EEENS1_30default_config_static_selectorELNS0_4arch9wavefront6targetE1EEEvT1_,"axG",@progbits,_ZN7rocprim17ROCPRIM_400000_NS6detail17trampoline_kernelINS0_14default_configENS1_25transform_config_selectorIdLb0EEEZNS1_14transform_implILb0ES3_S5_PdN6thrust23THRUST_200600_302600_NS6detail15normal_iteratorINS9_10device_ptrIdEEEENS0_8identityIdEEEE10hipError_tT2_T3_mT4_P12ihipStream_tbEUlT_E_NS1_11comp_targetILNS1_3genE2ELNS1_11target_archE906ELNS1_3gpuE6ELNS1_3repE0EEENS1_30default_config_static_selectorELNS0_4arch9wavefront6targetE1EEEvT1_,comdat
	.protected	_ZN7rocprim17ROCPRIM_400000_NS6detail17trampoline_kernelINS0_14default_configENS1_25transform_config_selectorIdLb0EEEZNS1_14transform_implILb0ES3_S5_PdN6thrust23THRUST_200600_302600_NS6detail15normal_iteratorINS9_10device_ptrIdEEEENS0_8identityIdEEEE10hipError_tT2_T3_mT4_P12ihipStream_tbEUlT_E_NS1_11comp_targetILNS1_3genE2ELNS1_11target_archE906ELNS1_3gpuE6ELNS1_3repE0EEENS1_30default_config_static_selectorELNS0_4arch9wavefront6targetE1EEEvT1_ ; -- Begin function _ZN7rocprim17ROCPRIM_400000_NS6detail17trampoline_kernelINS0_14default_configENS1_25transform_config_selectorIdLb0EEEZNS1_14transform_implILb0ES3_S5_PdN6thrust23THRUST_200600_302600_NS6detail15normal_iteratorINS9_10device_ptrIdEEEENS0_8identityIdEEEE10hipError_tT2_T3_mT4_P12ihipStream_tbEUlT_E_NS1_11comp_targetILNS1_3genE2ELNS1_11target_archE906ELNS1_3gpuE6ELNS1_3repE0EEENS1_30default_config_static_selectorELNS0_4arch9wavefront6targetE1EEEvT1_
	.globl	_ZN7rocprim17ROCPRIM_400000_NS6detail17trampoline_kernelINS0_14default_configENS1_25transform_config_selectorIdLb0EEEZNS1_14transform_implILb0ES3_S5_PdN6thrust23THRUST_200600_302600_NS6detail15normal_iteratorINS9_10device_ptrIdEEEENS0_8identityIdEEEE10hipError_tT2_T3_mT4_P12ihipStream_tbEUlT_E_NS1_11comp_targetILNS1_3genE2ELNS1_11target_archE906ELNS1_3gpuE6ELNS1_3repE0EEENS1_30default_config_static_selectorELNS0_4arch9wavefront6targetE1EEEvT1_
	.p2align	8
	.type	_ZN7rocprim17ROCPRIM_400000_NS6detail17trampoline_kernelINS0_14default_configENS1_25transform_config_selectorIdLb0EEEZNS1_14transform_implILb0ES3_S5_PdN6thrust23THRUST_200600_302600_NS6detail15normal_iteratorINS9_10device_ptrIdEEEENS0_8identityIdEEEE10hipError_tT2_T3_mT4_P12ihipStream_tbEUlT_E_NS1_11comp_targetILNS1_3genE2ELNS1_11target_archE906ELNS1_3gpuE6ELNS1_3repE0EEENS1_30default_config_static_selectorELNS0_4arch9wavefront6targetE1EEEvT1_,@function
_ZN7rocprim17ROCPRIM_400000_NS6detail17trampoline_kernelINS0_14default_configENS1_25transform_config_selectorIdLb0EEEZNS1_14transform_implILb0ES3_S5_PdN6thrust23THRUST_200600_302600_NS6detail15normal_iteratorINS9_10device_ptrIdEEEENS0_8identityIdEEEE10hipError_tT2_T3_mT4_P12ihipStream_tbEUlT_E_NS1_11comp_targetILNS1_3genE2ELNS1_11target_archE906ELNS1_3gpuE6ELNS1_3repE0EEENS1_30default_config_static_selectorELNS0_4arch9wavefront6targetE1EEEvT1_: ; @_ZN7rocprim17ROCPRIM_400000_NS6detail17trampoline_kernelINS0_14default_configENS1_25transform_config_selectorIdLb0EEEZNS1_14transform_implILb0ES3_S5_PdN6thrust23THRUST_200600_302600_NS6detail15normal_iteratorINS9_10device_ptrIdEEEENS0_8identityIdEEEE10hipError_tT2_T3_mT4_P12ihipStream_tbEUlT_E_NS1_11comp_targetILNS1_3genE2ELNS1_11target_archE906ELNS1_3gpuE6ELNS1_3repE0EEENS1_30default_config_static_selectorELNS0_4arch9wavefront6targetE1EEEvT1_
; %bb.0:
	.section	.rodata,"a",@progbits
	.p2align	6, 0x0
	.amdhsa_kernel _ZN7rocprim17ROCPRIM_400000_NS6detail17trampoline_kernelINS0_14default_configENS1_25transform_config_selectorIdLb0EEEZNS1_14transform_implILb0ES3_S5_PdN6thrust23THRUST_200600_302600_NS6detail15normal_iteratorINS9_10device_ptrIdEEEENS0_8identityIdEEEE10hipError_tT2_T3_mT4_P12ihipStream_tbEUlT_E_NS1_11comp_targetILNS1_3genE2ELNS1_11target_archE906ELNS1_3gpuE6ELNS1_3repE0EEENS1_30default_config_static_selectorELNS0_4arch9wavefront6targetE1EEEvT1_
		.amdhsa_group_segment_fixed_size 0
		.amdhsa_private_segment_fixed_size 0
		.amdhsa_kernarg_size 40
		.amdhsa_user_sgpr_count 2
		.amdhsa_user_sgpr_dispatch_ptr 0
		.amdhsa_user_sgpr_queue_ptr 0
		.amdhsa_user_sgpr_kernarg_segment_ptr 1
		.amdhsa_user_sgpr_dispatch_id 0
		.amdhsa_user_sgpr_kernarg_preload_length 0
		.amdhsa_user_sgpr_kernarg_preload_offset 0
		.amdhsa_user_sgpr_private_segment_size 0
		.amdhsa_uses_dynamic_stack 0
		.amdhsa_enable_private_segment 0
		.amdhsa_system_sgpr_workgroup_id_x 1
		.amdhsa_system_sgpr_workgroup_id_y 0
		.amdhsa_system_sgpr_workgroup_id_z 0
		.amdhsa_system_sgpr_workgroup_info 0
		.amdhsa_system_vgpr_workitem_id 0
		.amdhsa_next_free_vgpr 1
		.amdhsa_next_free_sgpr 0
		.amdhsa_accum_offset 4
		.amdhsa_reserve_vcc 0
		.amdhsa_float_round_mode_32 0
		.amdhsa_float_round_mode_16_64 0
		.amdhsa_float_denorm_mode_32 3
		.amdhsa_float_denorm_mode_16_64 3
		.amdhsa_dx10_clamp 1
		.amdhsa_ieee_mode 1
		.amdhsa_fp16_overflow 0
		.amdhsa_tg_split 0
		.amdhsa_exception_fp_ieee_invalid_op 0
		.amdhsa_exception_fp_denorm_src 0
		.amdhsa_exception_fp_ieee_div_zero 0
		.amdhsa_exception_fp_ieee_overflow 0
		.amdhsa_exception_fp_ieee_underflow 0
		.amdhsa_exception_fp_ieee_inexact 0
		.amdhsa_exception_int_div_zero 0
	.end_amdhsa_kernel
	.section	.text._ZN7rocprim17ROCPRIM_400000_NS6detail17trampoline_kernelINS0_14default_configENS1_25transform_config_selectorIdLb0EEEZNS1_14transform_implILb0ES3_S5_PdN6thrust23THRUST_200600_302600_NS6detail15normal_iteratorINS9_10device_ptrIdEEEENS0_8identityIdEEEE10hipError_tT2_T3_mT4_P12ihipStream_tbEUlT_E_NS1_11comp_targetILNS1_3genE2ELNS1_11target_archE906ELNS1_3gpuE6ELNS1_3repE0EEENS1_30default_config_static_selectorELNS0_4arch9wavefront6targetE1EEEvT1_,"axG",@progbits,_ZN7rocprim17ROCPRIM_400000_NS6detail17trampoline_kernelINS0_14default_configENS1_25transform_config_selectorIdLb0EEEZNS1_14transform_implILb0ES3_S5_PdN6thrust23THRUST_200600_302600_NS6detail15normal_iteratorINS9_10device_ptrIdEEEENS0_8identityIdEEEE10hipError_tT2_T3_mT4_P12ihipStream_tbEUlT_E_NS1_11comp_targetILNS1_3genE2ELNS1_11target_archE906ELNS1_3gpuE6ELNS1_3repE0EEENS1_30default_config_static_selectorELNS0_4arch9wavefront6targetE1EEEvT1_,comdat
.Lfunc_end77:
	.size	_ZN7rocprim17ROCPRIM_400000_NS6detail17trampoline_kernelINS0_14default_configENS1_25transform_config_selectorIdLb0EEEZNS1_14transform_implILb0ES3_S5_PdN6thrust23THRUST_200600_302600_NS6detail15normal_iteratorINS9_10device_ptrIdEEEENS0_8identityIdEEEE10hipError_tT2_T3_mT4_P12ihipStream_tbEUlT_E_NS1_11comp_targetILNS1_3genE2ELNS1_11target_archE906ELNS1_3gpuE6ELNS1_3repE0EEENS1_30default_config_static_selectorELNS0_4arch9wavefront6targetE1EEEvT1_, .Lfunc_end77-_ZN7rocprim17ROCPRIM_400000_NS6detail17trampoline_kernelINS0_14default_configENS1_25transform_config_selectorIdLb0EEEZNS1_14transform_implILb0ES3_S5_PdN6thrust23THRUST_200600_302600_NS6detail15normal_iteratorINS9_10device_ptrIdEEEENS0_8identityIdEEEE10hipError_tT2_T3_mT4_P12ihipStream_tbEUlT_E_NS1_11comp_targetILNS1_3genE2ELNS1_11target_archE906ELNS1_3gpuE6ELNS1_3repE0EEENS1_30default_config_static_selectorELNS0_4arch9wavefront6targetE1EEEvT1_
                                        ; -- End function
	.set _ZN7rocprim17ROCPRIM_400000_NS6detail17trampoline_kernelINS0_14default_configENS1_25transform_config_selectorIdLb0EEEZNS1_14transform_implILb0ES3_S5_PdN6thrust23THRUST_200600_302600_NS6detail15normal_iteratorINS9_10device_ptrIdEEEENS0_8identityIdEEEE10hipError_tT2_T3_mT4_P12ihipStream_tbEUlT_E_NS1_11comp_targetILNS1_3genE2ELNS1_11target_archE906ELNS1_3gpuE6ELNS1_3repE0EEENS1_30default_config_static_selectorELNS0_4arch9wavefront6targetE1EEEvT1_.num_vgpr, 0
	.set _ZN7rocprim17ROCPRIM_400000_NS6detail17trampoline_kernelINS0_14default_configENS1_25transform_config_selectorIdLb0EEEZNS1_14transform_implILb0ES3_S5_PdN6thrust23THRUST_200600_302600_NS6detail15normal_iteratorINS9_10device_ptrIdEEEENS0_8identityIdEEEE10hipError_tT2_T3_mT4_P12ihipStream_tbEUlT_E_NS1_11comp_targetILNS1_3genE2ELNS1_11target_archE906ELNS1_3gpuE6ELNS1_3repE0EEENS1_30default_config_static_selectorELNS0_4arch9wavefront6targetE1EEEvT1_.num_agpr, 0
	.set _ZN7rocprim17ROCPRIM_400000_NS6detail17trampoline_kernelINS0_14default_configENS1_25transform_config_selectorIdLb0EEEZNS1_14transform_implILb0ES3_S5_PdN6thrust23THRUST_200600_302600_NS6detail15normal_iteratorINS9_10device_ptrIdEEEENS0_8identityIdEEEE10hipError_tT2_T3_mT4_P12ihipStream_tbEUlT_E_NS1_11comp_targetILNS1_3genE2ELNS1_11target_archE906ELNS1_3gpuE6ELNS1_3repE0EEENS1_30default_config_static_selectorELNS0_4arch9wavefront6targetE1EEEvT1_.numbered_sgpr, 0
	.set _ZN7rocprim17ROCPRIM_400000_NS6detail17trampoline_kernelINS0_14default_configENS1_25transform_config_selectorIdLb0EEEZNS1_14transform_implILb0ES3_S5_PdN6thrust23THRUST_200600_302600_NS6detail15normal_iteratorINS9_10device_ptrIdEEEENS0_8identityIdEEEE10hipError_tT2_T3_mT4_P12ihipStream_tbEUlT_E_NS1_11comp_targetILNS1_3genE2ELNS1_11target_archE906ELNS1_3gpuE6ELNS1_3repE0EEENS1_30default_config_static_selectorELNS0_4arch9wavefront6targetE1EEEvT1_.num_named_barrier, 0
	.set _ZN7rocprim17ROCPRIM_400000_NS6detail17trampoline_kernelINS0_14default_configENS1_25transform_config_selectorIdLb0EEEZNS1_14transform_implILb0ES3_S5_PdN6thrust23THRUST_200600_302600_NS6detail15normal_iteratorINS9_10device_ptrIdEEEENS0_8identityIdEEEE10hipError_tT2_T3_mT4_P12ihipStream_tbEUlT_E_NS1_11comp_targetILNS1_3genE2ELNS1_11target_archE906ELNS1_3gpuE6ELNS1_3repE0EEENS1_30default_config_static_selectorELNS0_4arch9wavefront6targetE1EEEvT1_.private_seg_size, 0
	.set _ZN7rocprim17ROCPRIM_400000_NS6detail17trampoline_kernelINS0_14default_configENS1_25transform_config_selectorIdLb0EEEZNS1_14transform_implILb0ES3_S5_PdN6thrust23THRUST_200600_302600_NS6detail15normal_iteratorINS9_10device_ptrIdEEEENS0_8identityIdEEEE10hipError_tT2_T3_mT4_P12ihipStream_tbEUlT_E_NS1_11comp_targetILNS1_3genE2ELNS1_11target_archE906ELNS1_3gpuE6ELNS1_3repE0EEENS1_30default_config_static_selectorELNS0_4arch9wavefront6targetE1EEEvT1_.uses_vcc, 0
	.set _ZN7rocprim17ROCPRIM_400000_NS6detail17trampoline_kernelINS0_14default_configENS1_25transform_config_selectorIdLb0EEEZNS1_14transform_implILb0ES3_S5_PdN6thrust23THRUST_200600_302600_NS6detail15normal_iteratorINS9_10device_ptrIdEEEENS0_8identityIdEEEE10hipError_tT2_T3_mT4_P12ihipStream_tbEUlT_E_NS1_11comp_targetILNS1_3genE2ELNS1_11target_archE906ELNS1_3gpuE6ELNS1_3repE0EEENS1_30default_config_static_selectorELNS0_4arch9wavefront6targetE1EEEvT1_.uses_flat_scratch, 0
	.set _ZN7rocprim17ROCPRIM_400000_NS6detail17trampoline_kernelINS0_14default_configENS1_25transform_config_selectorIdLb0EEEZNS1_14transform_implILb0ES3_S5_PdN6thrust23THRUST_200600_302600_NS6detail15normal_iteratorINS9_10device_ptrIdEEEENS0_8identityIdEEEE10hipError_tT2_T3_mT4_P12ihipStream_tbEUlT_E_NS1_11comp_targetILNS1_3genE2ELNS1_11target_archE906ELNS1_3gpuE6ELNS1_3repE0EEENS1_30default_config_static_selectorELNS0_4arch9wavefront6targetE1EEEvT1_.has_dyn_sized_stack, 0
	.set _ZN7rocprim17ROCPRIM_400000_NS6detail17trampoline_kernelINS0_14default_configENS1_25transform_config_selectorIdLb0EEEZNS1_14transform_implILb0ES3_S5_PdN6thrust23THRUST_200600_302600_NS6detail15normal_iteratorINS9_10device_ptrIdEEEENS0_8identityIdEEEE10hipError_tT2_T3_mT4_P12ihipStream_tbEUlT_E_NS1_11comp_targetILNS1_3genE2ELNS1_11target_archE906ELNS1_3gpuE6ELNS1_3repE0EEENS1_30default_config_static_selectorELNS0_4arch9wavefront6targetE1EEEvT1_.has_recursion, 0
	.set _ZN7rocprim17ROCPRIM_400000_NS6detail17trampoline_kernelINS0_14default_configENS1_25transform_config_selectorIdLb0EEEZNS1_14transform_implILb0ES3_S5_PdN6thrust23THRUST_200600_302600_NS6detail15normal_iteratorINS9_10device_ptrIdEEEENS0_8identityIdEEEE10hipError_tT2_T3_mT4_P12ihipStream_tbEUlT_E_NS1_11comp_targetILNS1_3genE2ELNS1_11target_archE906ELNS1_3gpuE6ELNS1_3repE0EEENS1_30default_config_static_selectorELNS0_4arch9wavefront6targetE1EEEvT1_.has_indirect_call, 0
	.section	.AMDGPU.csdata,"",@progbits
; Kernel info:
; codeLenInByte = 0
; TotalNumSgprs: 6
; NumVgprs: 0
; NumAgprs: 0
; TotalNumVgprs: 0
; ScratchSize: 0
; MemoryBound: 0
; FloatMode: 240
; IeeeMode: 1
; LDSByteSize: 0 bytes/workgroup (compile time only)
; SGPRBlocks: 0
; VGPRBlocks: 0
; NumSGPRsForWavesPerEU: 6
; NumVGPRsForWavesPerEU: 1
; AccumOffset: 4
; Occupancy: 8
; WaveLimiterHint : 0
; COMPUTE_PGM_RSRC2:SCRATCH_EN: 0
; COMPUTE_PGM_RSRC2:USER_SGPR: 2
; COMPUTE_PGM_RSRC2:TRAP_HANDLER: 0
; COMPUTE_PGM_RSRC2:TGID_X_EN: 1
; COMPUTE_PGM_RSRC2:TGID_Y_EN: 0
; COMPUTE_PGM_RSRC2:TGID_Z_EN: 0
; COMPUTE_PGM_RSRC2:TIDIG_COMP_CNT: 0
; COMPUTE_PGM_RSRC3_GFX90A:ACCUM_OFFSET: 0
; COMPUTE_PGM_RSRC3_GFX90A:TG_SPLIT: 0
	.section	.text._ZN7rocprim17ROCPRIM_400000_NS6detail17trampoline_kernelINS0_14default_configENS1_25transform_config_selectorIdLb0EEEZNS1_14transform_implILb0ES3_S5_PdN6thrust23THRUST_200600_302600_NS6detail15normal_iteratorINS9_10device_ptrIdEEEENS0_8identityIdEEEE10hipError_tT2_T3_mT4_P12ihipStream_tbEUlT_E_NS1_11comp_targetILNS1_3genE10ELNS1_11target_archE1201ELNS1_3gpuE5ELNS1_3repE0EEENS1_30default_config_static_selectorELNS0_4arch9wavefront6targetE1EEEvT1_,"axG",@progbits,_ZN7rocprim17ROCPRIM_400000_NS6detail17trampoline_kernelINS0_14default_configENS1_25transform_config_selectorIdLb0EEEZNS1_14transform_implILb0ES3_S5_PdN6thrust23THRUST_200600_302600_NS6detail15normal_iteratorINS9_10device_ptrIdEEEENS0_8identityIdEEEE10hipError_tT2_T3_mT4_P12ihipStream_tbEUlT_E_NS1_11comp_targetILNS1_3genE10ELNS1_11target_archE1201ELNS1_3gpuE5ELNS1_3repE0EEENS1_30default_config_static_selectorELNS0_4arch9wavefront6targetE1EEEvT1_,comdat
	.protected	_ZN7rocprim17ROCPRIM_400000_NS6detail17trampoline_kernelINS0_14default_configENS1_25transform_config_selectorIdLb0EEEZNS1_14transform_implILb0ES3_S5_PdN6thrust23THRUST_200600_302600_NS6detail15normal_iteratorINS9_10device_ptrIdEEEENS0_8identityIdEEEE10hipError_tT2_T3_mT4_P12ihipStream_tbEUlT_E_NS1_11comp_targetILNS1_3genE10ELNS1_11target_archE1201ELNS1_3gpuE5ELNS1_3repE0EEENS1_30default_config_static_selectorELNS0_4arch9wavefront6targetE1EEEvT1_ ; -- Begin function _ZN7rocprim17ROCPRIM_400000_NS6detail17trampoline_kernelINS0_14default_configENS1_25transform_config_selectorIdLb0EEEZNS1_14transform_implILb0ES3_S5_PdN6thrust23THRUST_200600_302600_NS6detail15normal_iteratorINS9_10device_ptrIdEEEENS0_8identityIdEEEE10hipError_tT2_T3_mT4_P12ihipStream_tbEUlT_E_NS1_11comp_targetILNS1_3genE10ELNS1_11target_archE1201ELNS1_3gpuE5ELNS1_3repE0EEENS1_30default_config_static_selectorELNS0_4arch9wavefront6targetE1EEEvT1_
	.globl	_ZN7rocprim17ROCPRIM_400000_NS6detail17trampoline_kernelINS0_14default_configENS1_25transform_config_selectorIdLb0EEEZNS1_14transform_implILb0ES3_S5_PdN6thrust23THRUST_200600_302600_NS6detail15normal_iteratorINS9_10device_ptrIdEEEENS0_8identityIdEEEE10hipError_tT2_T3_mT4_P12ihipStream_tbEUlT_E_NS1_11comp_targetILNS1_3genE10ELNS1_11target_archE1201ELNS1_3gpuE5ELNS1_3repE0EEENS1_30default_config_static_selectorELNS0_4arch9wavefront6targetE1EEEvT1_
	.p2align	8
	.type	_ZN7rocprim17ROCPRIM_400000_NS6detail17trampoline_kernelINS0_14default_configENS1_25transform_config_selectorIdLb0EEEZNS1_14transform_implILb0ES3_S5_PdN6thrust23THRUST_200600_302600_NS6detail15normal_iteratorINS9_10device_ptrIdEEEENS0_8identityIdEEEE10hipError_tT2_T3_mT4_P12ihipStream_tbEUlT_E_NS1_11comp_targetILNS1_3genE10ELNS1_11target_archE1201ELNS1_3gpuE5ELNS1_3repE0EEENS1_30default_config_static_selectorELNS0_4arch9wavefront6targetE1EEEvT1_,@function
_ZN7rocprim17ROCPRIM_400000_NS6detail17trampoline_kernelINS0_14default_configENS1_25transform_config_selectorIdLb0EEEZNS1_14transform_implILb0ES3_S5_PdN6thrust23THRUST_200600_302600_NS6detail15normal_iteratorINS9_10device_ptrIdEEEENS0_8identityIdEEEE10hipError_tT2_T3_mT4_P12ihipStream_tbEUlT_E_NS1_11comp_targetILNS1_3genE10ELNS1_11target_archE1201ELNS1_3gpuE5ELNS1_3repE0EEENS1_30default_config_static_selectorELNS0_4arch9wavefront6targetE1EEEvT1_: ; @_ZN7rocprim17ROCPRIM_400000_NS6detail17trampoline_kernelINS0_14default_configENS1_25transform_config_selectorIdLb0EEEZNS1_14transform_implILb0ES3_S5_PdN6thrust23THRUST_200600_302600_NS6detail15normal_iteratorINS9_10device_ptrIdEEEENS0_8identityIdEEEE10hipError_tT2_T3_mT4_P12ihipStream_tbEUlT_E_NS1_11comp_targetILNS1_3genE10ELNS1_11target_archE1201ELNS1_3gpuE5ELNS1_3repE0EEENS1_30default_config_static_selectorELNS0_4arch9wavefront6targetE1EEEvT1_
; %bb.0:
	.section	.rodata,"a",@progbits
	.p2align	6, 0x0
	.amdhsa_kernel _ZN7rocprim17ROCPRIM_400000_NS6detail17trampoline_kernelINS0_14default_configENS1_25transform_config_selectorIdLb0EEEZNS1_14transform_implILb0ES3_S5_PdN6thrust23THRUST_200600_302600_NS6detail15normal_iteratorINS9_10device_ptrIdEEEENS0_8identityIdEEEE10hipError_tT2_T3_mT4_P12ihipStream_tbEUlT_E_NS1_11comp_targetILNS1_3genE10ELNS1_11target_archE1201ELNS1_3gpuE5ELNS1_3repE0EEENS1_30default_config_static_selectorELNS0_4arch9wavefront6targetE1EEEvT1_
		.amdhsa_group_segment_fixed_size 0
		.amdhsa_private_segment_fixed_size 0
		.amdhsa_kernarg_size 40
		.amdhsa_user_sgpr_count 2
		.amdhsa_user_sgpr_dispatch_ptr 0
		.amdhsa_user_sgpr_queue_ptr 0
		.amdhsa_user_sgpr_kernarg_segment_ptr 1
		.amdhsa_user_sgpr_dispatch_id 0
		.amdhsa_user_sgpr_kernarg_preload_length 0
		.amdhsa_user_sgpr_kernarg_preload_offset 0
		.amdhsa_user_sgpr_private_segment_size 0
		.amdhsa_uses_dynamic_stack 0
		.amdhsa_enable_private_segment 0
		.amdhsa_system_sgpr_workgroup_id_x 1
		.amdhsa_system_sgpr_workgroup_id_y 0
		.amdhsa_system_sgpr_workgroup_id_z 0
		.amdhsa_system_sgpr_workgroup_info 0
		.amdhsa_system_vgpr_workitem_id 0
		.amdhsa_next_free_vgpr 1
		.amdhsa_next_free_sgpr 0
		.amdhsa_accum_offset 4
		.amdhsa_reserve_vcc 0
		.amdhsa_float_round_mode_32 0
		.amdhsa_float_round_mode_16_64 0
		.amdhsa_float_denorm_mode_32 3
		.amdhsa_float_denorm_mode_16_64 3
		.amdhsa_dx10_clamp 1
		.amdhsa_ieee_mode 1
		.amdhsa_fp16_overflow 0
		.amdhsa_tg_split 0
		.amdhsa_exception_fp_ieee_invalid_op 0
		.amdhsa_exception_fp_denorm_src 0
		.amdhsa_exception_fp_ieee_div_zero 0
		.amdhsa_exception_fp_ieee_overflow 0
		.amdhsa_exception_fp_ieee_underflow 0
		.amdhsa_exception_fp_ieee_inexact 0
		.amdhsa_exception_int_div_zero 0
	.end_amdhsa_kernel
	.section	.text._ZN7rocprim17ROCPRIM_400000_NS6detail17trampoline_kernelINS0_14default_configENS1_25transform_config_selectorIdLb0EEEZNS1_14transform_implILb0ES3_S5_PdN6thrust23THRUST_200600_302600_NS6detail15normal_iteratorINS9_10device_ptrIdEEEENS0_8identityIdEEEE10hipError_tT2_T3_mT4_P12ihipStream_tbEUlT_E_NS1_11comp_targetILNS1_3genE10ELNS1_11target_archE1201ELNS1_3gpuE5ELNS1_3repE0EEENS1_30default_config_static_selectorELNS0_4arch9wavefront6targetE1EEEvT1_,"axG",@progbits,_ZN7rocprim17ROCPRIM_400000_NS6detail17trampoline_kernelINS0_14default_configENS1_25transform_config_selectorIdLb0EEEZNS1_14transform_implILb0ES3_S5_PdN6thrust23THRUST_200600_302600_NS6detail15normal_iteratorINS9_10device_ptrIdEEEENS0_8identityIdEEEE10hipError_tT2_T3_mT4_P12ihipStream_tbEUlT_E_NS1_11comp_targetILNS1_3genE10ELNS1_11target_archE1201ELNS1_3gpuE5ELNS1_3repE0EEENS1_30default_config_static_selectorELNS0_4arch9wavefront6targetE1EEEvT1_,comdat
.Lfunc_end78:
	.size	_ZN7rocprim17ROCPRIM_400000_NS6detail17trampoline_kernelINS0_14default_configENS1_25transform_config_selectorIdLb0EEEZNS1_14transform_implILb0ES3_S5_PdN6thrust23THRUST_200600_302600_NS6detail15normal_iteratorINS9_10device_ptrIdEEEENS0_8identityIdEEEE10hipError_tT2_T3_mT4_P12ihipStream_tbEUlT_E_NS1_11comp_targetILNS1_3genE10ELNS1_11target_archE1201ELNS1_3gpuE5ELNS1_3repE0EEENS1_30default_config_static_selectorELNS0_4arch9wavefront6targetE1EEEvT1_, .Lfunc_end78-_ZN7rocprim17ROCPRIM_400000_NS6detail17trampoline_kernelINS0_14default_configENS1_25transform_config_selectorIdLb0EEEZNS1_14transform_implILb0ES3_S5_PdN6thrust23THRUST_200600_302600_NS6detail15normal_iteratorINS9_10device_ptrIdEEEENS0_8identityIdEEEE10hipError_tT2_T3_mT4_P12ihipStream_tbEUlT_E_NS1_11comp_targetILNS1_3genE10ELNS1_11target_archE1201ELNS1_3gpuE5ELNS1_3repE0EEENS1_30default_config_static_selectorELNS0_4arch9wavefront6targetE1EEEvT1_
                                        ; -- End function
	.set _ZN7rocprim17ROCPRIM_400000_NS6detail17trampoline_kernelINS0_14default_configENS1_25transform_config_selectorIdLb0EEEZNS1_14transform_implILb0ES3_S5_PdN6thrust23THRUST_200600_302600_NS6detail15normal_iteratorINS9_10device_ptrIdEEEENS0_8identityIdEEEE10hipError_tT2_T3_mT4_P12ihipStream_tbEUlT_E_NS1_11comp_targetILNS1_3genE10ELNS1_11target_archE1201ELNS1_3gpuE5ELNS1_3repE0EEENS1_30default_config_static_selectorELNS0_4arch9wavefront6targetE1EEEvT1_.num_vgpr, 0
	.set _ZN7rocprim17ROCPRIM_400000_NS6detail17trampoline_kernelINS0_14default_configENS1_25transform_config_selectorIdLb0EEEZNS1_14transform_implILb0ES3_S5_PdN6thrust23THRUST_200600_302600_NS6detail15normal_iteratorINS9_10device_ptrIdEEEENS0_8identityIdEEEE10hipError_tT2_T3_mT4_P12ihipStream_tbEUlT_E_NS1_11comp_targetILNS1_3genE10ELNS1_11target_archE1201ELNS1_3gpuE5ELNS1_3repE0EEENS1_30default_config_static_selectorELNS0_4arch9wavefront6targetE1EEEvT1_.num_agpr, 0
	.set _ZN7rocprim17ROCPRIM_400000_NS6detail17trampoline_kernelINS0_14default_configENS1_25transform_config_selectorIdLb0EEEZNS1_14transform_implILb0ES3_S5_PdN6thrust23THRUST_200600_302600_NS6detail15normal_iteratorINS9_10device_ptrIdEEEENS0_8identityIdEEEE10hipError_tT2_T3_mT4_P12ihipStream_tbEUlT_E_NS1_11comp_targetILNS1_3genE10ELNS1_11target_archE1201ELNS1_3gpuE5ELNS1_3repE0EEENS1_30default_config_static_selectorELNS0_4arch9wavefront6targetE1EEEvT1_.numbered_sgpr, 0
	.set _ZN7rocprim17ROCPRIM_400000_NS6detail17trampoline_kernelINS0_14default_configENS1_25transform_config_selectorIdLb0EEEZNS1_14transform_implILb0ES3_S5_PdN6thrust23THRUST_200600_302600_NS6detail15normal_iteratorINS9_10device_ptrIdEEEENS0_8identityIdEEEE10hipError_tT2_T3_mT4_P12ihipStream_tbEUlT_E_NS1_11comp_targetILNS1_3genE10ELNS1_11target_archE1201ELNS1_3gpuE5ELNS1_3repE0EEENS1_30default_config_static_selectorELNS0_4arch9wavefront6targetE1EEEvT1_.num_named_barrier, 0
	.set _ZN7rocprim17ROCPRIM_400000_NS6detail17trampoline_kernelINS0_14default_configENS1_25transform_config_selectorIdLb0EEEZNS1_14transform_implILb0ES3_S5_PdN6thrust23THRUST_200600_302600_NS6detail15normal_iteratorINS9_10device_ptrIdEEEENS0_8identityIdEEEE10hipError_tT2_T3_mT4_P12ihipStream_tbEUlT_E_NS1_11comp_targetILNS1_3genE10ELNS1_11target_archE1201ELNS1_3gpuE5ELNS1_3repE0EEENS1_30default_config_static_selectorELNS0_4arch9wavefront6targetE1EEEvT1_.private_seg_size, 0
	.set _ZN7rocprim17ROCPRIM_400000_NS6detail17trampoline_kernelINS0_14default_configENS1_25transform_config_selectorIdLb0EEEZNS1_14transform_implILb0ES3_S5_PdN6thrust23THRUST_200600_302600_NS6detail15normal_iteratorINS9_10device_ptrIdEEEENS0_8identityIdEEEE10hipError_tT2_T3_mT4_P12ihipStream_tbEUlT_E_NS1_11comp_targetILNS1_3genE10ELNS1_11target_archE1201ELNS1_3gpuE5ELNS1_3repE0EEENS1_30default_config_static_selectorELNS0_4arch9wavefront6targetE1EEEvT1_.uses_vcc, 0
	.set _ZN7rocprim17ROCPRIM_400000_NS6detail17trampoline_kernelINS0_14default_configENS1_25transform_config_selectorIdLb0EEEZNS1_14transform_implILb0ES3_S5_PdN6thrust23THRUST_200600_302600_NS6detail15normal_iteratorINS9_10device_ptrIdEEEENS0_8identityIdEEEE10hipError_tT2_T3_mT4_P12ihipStream_tbEUlT_E_NS1_11comp_targetILNS1_3genE10ELNS1_11target_archE1201ELNS1_3gpuE5ELNS1_3repE0EEENS1_30default_config_static_selectorELNS0_4arch9wavefront6targetE1EEEvT1_.uses_flat_scratch, 0
	.set _ZN7rocprim17ROCPRIM_400000_NS6detail17trampoline_kernelINS0_14default_configENS1_25transform_config_selectorIdLb0EEEZNS1_14transform_implILb0ES3_S5_PdN6thrust23THRUST_200600_302600_NS6detail15normal_iteratorINS9_10device_ptrIdEEEENS0_8identityIdEEEE10hipError_tT2_T3_mT4_P12ihipStream_tbEUlT_E_NS1_11comp_targetILNS1_3genE10ELNS1_11target_archE1201ELNS1_3gpuE5ELNS1_3repE0EEENS1_30default_config_static_selectorELNS0_4arch9wavefront6targetE1EEEvT1_.has_dyn_sized_stack, 0
	.set _ZN7rocprim17ROCPRIM_400000_NS6detail17trampoline_kernelINS0_14default_configENS1_25transform_config_selectorIdLb0EEEZNS1_14transform_implILb0ES3_S5_PdN6thrust23THRUST_200600_302600_NS6detail15normal_iteratorINS9_10device_ptrIdEEEENS0_8identityIdEEEE10hipError_tT2_T3_mT4_P12ihipStream_tbEUlT_E_NS1_11comp_targetILNS1_3genE10ELNS1_11target_archE1201ELNS1_3gpuE5ELNS1_3repE0EEENS1_30default_config_static_selectorELNS0_4arch9wavefront6targetE1EEEvT1_.has_recursion, 0
	.set _ZN7rocprim17ROCPRIM_400000_NS6detail17trampoline_kernelINS0_14default_configENS1_25transform_config_selectorIdLb0EEEZNS1_14transform_implILb0ES3_S5_PdN6thrust23THRUST_200600_302600_NS6detail15normal_iteratorINS9_10device_ptrIdEEEENS0_8identityIdEEEE10hipError_tT2_T3_mT4_P12ihipStream_tbEUlT_E_NS1_11comp_targetILNS1_3genE10ELNS1_11target_archE1201ELNS1_3gpuE5ELNS1_3repE0EEENS1_30default_config_static_selectorELNS0_4arch9wavefront6targetE1EEEvT1_.has_indirect_call, 0
	.section	.AMDGPU.csdata,"",@progbits
; Kernel info:
; codeLenInByte = 0
; TotalNumSgprs: 6
; NumVgprs: 0
; NumAgprs: 0
; TotalNumVgprs: 0
; ScratchSize: 0
; MemoryBound: 0
; FloatMode: 240
; IeeeMode: 1
; LDSByteSize: 0 bytes/workgroup (compile time only)
; SGPRBlocks: 0
; VGPRBlocks: 0
; NumSGPRsForWavesPerEU: 6
; NumVGPRsForWavesPerEU: 1
; AccumOffset: 4
; Occupancy: 8
; WaveLimiterHint : 0
; COMPUTE_PGM_RSRC2:SCRATCH_EN: 0
; COMPUTE_PGM_RSRC2:USER_SGPR: 2
; COMPUTE_PGM_RSRC2:TRAP_HANDLER: 0
; COMPUTE_PGM_RSRC2:TGID_X_EN: 1
; COMPUTE_PGM_RSRC2:TGID_Y_EN: 0
; COMPUTE_PGM_RSRC2:TGID_Z_EN: 0
; COMPUTE_PGM_RSRC2:TIDIG_COMP_CNT: 0
; COMPUTE_PGM_RSRC3_GFX90A:ACCUM_OFFSET: 0
; COMPUTE_PGM_RSRC3_GFX90A:TG_SPLIT: 0
	.section	.text._ZN7rocprim17ROCPRIM_400000_NS6detail17trampoline_kernelINS0_14default_configENS1_25transform_config_selectorIdLb0EEEZNS1_14transform_implILb0ES3_S5_PdN6thrust23THRUST_200600_302600_NS6detail15normal_iteratorINS9_10device_ptrIdEEEENS0_8identityIdEEEE10hipError_tT2_T3_mT4_P12ihipStream_tbEUlT_E_NS1_11comp_targetILNS1_3genE10ELNS1_11target_archE1200ELNS1_3gpuE4ELNS1_3repE0EEENS1_30default_config_static_selectorELNS0_4arch9wavefront6targetE1EEEvT1_,"axG",@progbits,_ZN7rocprim17ROCPRIM_400000_NS6detail17trampoline_kernelINS0_14default_configENS1_25transform_config_selectorIdLb0EEEZNS1_14transform_implILb0ES3_S5_PdN6thrust23THRUST_200600_302600_NS6detail15normal_iteratorINS9_10device_ptrIdEEEENS0_8identityIdEEEE10hipError_tT2_T3_mT4_P12ihipStream_tbEUlT_E_NS1_11comp_targetILNS1_3genE10ELNS1_11target_archE1200ELNS1_3gpuE4ELNS1_3repE0EEENS1_30default_config_static_selectorELNS0_4arch9wavefront6targetE1EEEvT1_,comdat
	.protected	_ZN7rocprim17ROCPRIM_400000_NS6detail17trampoline_kernelINS0_14default_configENS1_25transform_config_selectorIdLb0EEEZNS1_14transform_implILb0ES3_S5_PdN6thrust23THRUST_200600_302600_NS6detail15normal_iteratorINS9_10device_ptrIdEEEENS0_8identityIdEEEE10hipError_tT2_T3_mT4_P12ihipStream_tbEUlT_E_NS1_11comp_targetILNS1_3genE10ELNS1_11target_archE1200ELNS1_3gpuE4ELNS1_3repE0EEENS1_30default_config_static_selectorELNS0_4arch9wavefront6targetE1EEEvT1_ ; -- Begin function _ZN7rocprim17ROCPRIM_400000_NS6detail17trampoline_kernelINS0_14default_configENS1_25transform_config_selectorIdLb0EEEZNS1_14transform_implILb0ES3_S5_PdN6thrust23THRUST_200600_302600_NS6detail15normal_iteratorINS9_10device_ptrIdEEEENS0_8identityIdEEEE10hipError_tT2_T3_mT4_P12ihipStream_tbEUlT_E_NS1_11comp_targetILNS1_3genE10ELNS1_11target_archE1200ELNS1_3gpuE4ELNS1_3repE0EEENS1_30default_config_static_selectorELNS0_4arch9wavefront6targetE1EEEvT1_
	.globl	_ZN7rocprim17ROCPRIM_400000_NS6detail17trampoline_kernelINS0_14default_configENS1_25transform_config_selectorIdLb0EEEZNS1_14transform_implILb0ES3_S5_PdN6thrust23THRUST_200600_302600_NS6detail15normal_iteratorINS9_10device_ptrIdEEEENS0_8identityIdEEEE10hipError_tT2_T3_mT4_P12ihipStream_tbEUlT_E_NS1_11comp_targetILNS1_3genE10ELNS1_11target_archE1200ELNS1_3gpuE4ELNS1_3repE0EEENS1_30default_config_static_selectorELNS0_4arch9wavefront6targetE1EEEvT1_
	.p2align	8
	.type	_ZN7rocprim17ROCPRIM_400000_NS6detail17trampoline_kernelINS0_14default_configENS1_25transform_config_selectorIdLb0EEEZNS1_14transform_implILb0ES3_S5_PdN6thrust23THRUST_200600_302600_NS6detail15normal_iteratorINS9_10device_ptrIdEEEENS0_8identityIdEEEE10hipError_tT2_T3_mT4_P12ihipStream_tbEUlT_E_NS1_11comp_targetILNS1_3genE10ELNS1_11target_archE1200ELNS1_3gpuE4ELNS1_3repE0EEENS1_30default_config_static_selectorELNS0_4arch9wavefront6targetE1EEEvT1_,@function
_ZN7rocprim17ROCPRIM_400000_NS6detail17trampoline_kernelINS0_14default_configENS1_25transform_config_selectorIdLb0EEEZNS1_14transform_implILb0ES3_S5_PdN6thrust23THRUST_200600_302600_NS6detail15normal_iteratorINS9_10device_ptrIdEEEENS0_8identityIdEEEE10hipError_tT2_T3_mT4_P12ihipStream_tbEUlT_E_NS1_11comp_targetILNS1_3genE10ELNS1_11target_archE1200ELNS1_3gpuE4ELNS1_3repE0EEENS1_30default_config_static_selectorELNS0_4arch9wavefront6targetE1EEEvT1_: ; @_ZN7rocprim17ROCPRIM_400000_NS6detail17trampoline_kernelINS0_14default_configENS1_25transform_config_selectorIdLb0EEEZNS1_14transform_implILb0ES3_S5_PdN6thrust23THRUST_200600_302600_NS6detail15normal_iteratorINS9_10device_ptrIdEEEENS0_8identityIdEEEE10hipError_tT2_T3_mT4_P12ihipStream_tbEUlT_E_NS1_11comp_targetILNS1_3genE10ELNS1_11target_archE1200ELNS1_3gpuE4ELNS1_3repE0EEENS1_30default_config_static_selectorELNS0_4arch9wavefront6targetE1EEEvT1_
; %bb.0:
	.section	.rodata,"a",@progbits
	.p2align	6, 0x0
	.amdhsa_kernel _ZN7rocprim17ROCPRIM_400000_NS6detail17trampoline_kernelINS0_14default_configENS1_25transform_config_selectorIdLb0EEEZNS1_14transform_implILb0ES3_S5_PdN6thrust23THRUST_200600_302600_NS6detail15normal_iteratorINS9_10device_ptrIdEEEENS0_8identityIdEEEE10hipError_tT2_T3_mT4_P12ihipStream_tbEUlT_E_NS1_11comp_targetILNS1_3genE10ELNS1_11target_archE1200ELNS1_3gpuE4ELNS1_3repE0EEENS1_30default_config_static_selectorELNS0_4arch9wavefront6targetE1EEEvT1_
		.amdhsa_group_segment_fixed_size 0
		.amdhsa_private_segment_fixed_size 0
		.amdhsa_kernarg_size 40
		.amdhsa_user_sgpr_count 2
		.amdhsa_user_sgpr_dispatch_ptr 0
		.amdhsa_user_sgpr_queue_ptr 0
		.amdhsa_user_sgpr_kernarg_segment_ptr 1
		.amdhsa_user_sgpr_dispatch_id 0
		.amdhsa_user_sgpr_kernarg_preload_length 0
		.amdhsa_user_sgpr_kernarg_preload_offset 0
		.amdhsa_user_sgpr_private_segment_size 0
		.amdhsa_uses_dynamic_stack 0
		.amdhsa_enable_private_segment 0
		.amdhsa_system_sgpr_workgroup_id_x 1
		.amdhsa_system_sgpr_workgroup_id_y 0
		.amdhsa_system_sgpr_workgroup_id_z 0
		.amdhsa_system_sgpr_workgroup_info 0
		.amdhsa_system_vgpr_workitem_id 0
		.amdhsa_next_free_vgpr 1
		.amdhsa_next_free_sgpr 0
		.amdhsa_accum_offset 4
		.amdhsa_reserve_vcc 0
		.amdhsa_float_round_mode_32 0
		.amdhsa_float_round_mode_16_64 0
		.amdhsa_float_denorm_mode_32 3
		.amdhsa_float_denorm_mode_16_64 3
		.amdhsa_dx10_clamp 1
		.amdhsa_ieee_mode 1
		.amdhsa_fp16_overflow 0
		.amdhsa_tg_split 0
		.amdhsa_exception_fp_ieee_invalid_op 0
		.amdhsa_exception_fp_denorm_src 0
		.amdhsa_exception_fp_ieee_div_zero 0
		.amdhsa_exception_fp_ieee_overflow 0
		.amdhsa_exception_fp_ieee_underflow 0
		.amdhsa_exception_fp_ieee_inexact 0
		.amdhsa_exception_int_div_zero 0
	.end_amdhsa_kernel
	.section	.text._ZN7rocprim17ROCPRIM_400000_NS6detail17trampoline_kernelINS0_14default_configENS1_25transform_config_selectorIdLb0EEEZNS1_14transform_implILb0ES3_S5_PdN6thrust23THRUST_200600_302600_NS6detail15normal_iteratorINS9_10device_ptrIdEEEENS0_8identityIdEEEE10hipError_tT2_T3_mT4_P12ihipStream_tbEUlT_E_NS1_11comp_targetILNS1_3genE10ELNS1_11target_archE1200ELNS1_3gpuE4ELNS1_3repE0EEENS1_30default_config_static_selectorELNS0_4arch9wavefront6targetE1EEEvT1_,"axG",@progbits,_ZN7rocprim17ROCPRIM_400000_NS6detail17trampoline_kernelINS0_14default_configENS1_25transform_config_selectorIdLb0EEEZNS1_14transform_implILb0ES3_S5_PdN6thrust23THRUST_200600_302600_NS6detail15normal_iteratorINS9_10device_ptrIdEEEENS0_8identityIdEEEE10hipError_tT2_T3_mT4_P12ihipStream_tbEUlT_E_NS1_11comp_targetILNS1_3genE10ELNS1_11target_archE1200ELNS1_3gpuE4ELNS1_3repE0EEENS1_30default_config_static_selectorELNS0_4arch9wavefront6targetE1EEEvT1_,comdat
.Lfunc_end79:
	.size	_ZN7rocprim17ROCPRIM_400000_NS6detail17trampoline_kernelINS0_14default_configENS1_25transform_config_selectorIdLb0EEEZNS1_14transform_implILb0ES3_S5_PdN6thrust23THRUST_200600_302600_NS6detail15normal_iteratorINS9_10device_ptrIdEEEENS0_8identityIdEEEE10hipError_tT2_T3_mT4_P12ihipStream_tbEUlT_E_NS1_11comp_targetILNS1_3genE10ELNS1_11target_archE1200ELNS1_3gpuE4ELNS1_3repE0EEENS1_30default_config_static_selectorELNS0_4arch9wavefront6targetE1EEEvT1_, .Lfunc_end79-_ZN7rocprim17ROCPRIM_400000_NS6detail17trampoline_kernelINS0_14default_configENS1_25transform_config_selectorIdLb0EEEZNS1_14transform_implILb0ES3_S5_PdN6thrust23THRUST_200600_302600_NS6detail15normal_iteratorINS9_10device_ptrIdEEEENS0_8identityIdEEEE10hipError_tT2_T3_mT4_P12ihipStream_tbEUlT_E_NS1_11comp_targetILNS1_3genE10ELNS1_11target_archE1200ELNS1_3gpuE4ELNS1_3repE0EEENS1_30default_config_static_selectorELNS0_4arch9wavefront6targetE1EEEvT1_
                                        ; -- End function
	.set _ZN7rocprim17ROCPRIM_400000_NS6detail17trampoline_kernelINS0_14default_configENS1_25transform_config_selectorIdLb0EEEZNS1_14transform_implILb0ES3_S5_PdN6thrust23THRUST_200600_302600_NS6detail15normal_iteratorINS9_10device_ptrIdEEEENS0_8identityIdEEEE10hipError_tT2_T3_mT4_P12ihipStream_tbEUlT_E_NS1_11comp_targetILNS1_3genE10ELNS1_11target_archE1200ELNS1_3gpuE4ELNS1_3repE0EEENS1_30default_config_static_selectorELNS0_4arch9wavefront6targetE1EEEvT1_.num_vgpr, 0
	.set _ZN7rocprim17ROCPRIM_400000_NS6detail17trampoline_kernelINS0_14default_configENS1_25transform_config_selectorIdLb0EEEZNS1_14transform_implILb0ES3_S5_PdN6thrust23THRUST_200600_302600_NS6detail15normal_iteratorINS9_10device_ptrIdEEEENS0_8identityIdEEEE10hipError_tT2_T3_mT4_P12ihipStream_tbEUlT_E_NS1_11comp_targetILNS1_3genE10ELNS1_11target_archE1200ELNS1_3gpuE4ELNS1_3repE0EEENS1_30default_config_static_selectorELNS0_4arch9wavefront6targetE1EEEvT1_.num_agpr, 0
	.set _ZN7rocprim17ROCPRIM_400000_NS6detail17trampoline_kernelINS0_14default_configENS1_25transform_config_selectorIdLb0EEEZNS1_14transform_implILb0ES3_S5_PdN6thrust23THRUST_200600_302600_NS6detail15normal_iteratorINS9_10device_ptrIdEEEENS0_8identityIdEEEE10hipError_tT2_T3_mT4_P12ihipStream_tbEUlT_E_NS1_11comp_targetILNS1_3genE10ELNS1_11target_archE1200ELNS1_3gpuE4ELNS1_3repE0EEENS1_30default_config_static_selectorELNS0_4arch9wavefront6targetE1EEEvT1_.numbered_sgpr, 0
	.set _ZN7rocprim17ROCPRIM_400000_NS6detail17trampoline_kernelINS0_14default_configENS1_25transform_config_selectorIdLb0EEEZNS1_14transform_implILb0ES3_S5_PdN6thrust23THRUST_200600_302600_NS6detail15normal_iteratorINS9_10device_ptrIdEEEENS0_8identityIdEEEE10hipError_tT2_T3_mT4_P12ihipStream_tbEUlT_E_NS1_11comp_targetILNS1_3genE10ELNS1_11target_archE1200ELNS1_3gpuE4ELNS1_3repE0EEENS1_30default_config_static_selectorELNS0_4arch9wavefront6targetE1EEEvT1_.num_named_barrier, 0
	.set _ZN7rocprim17ROCPRIM_400000_NS6detail17trampoline_kernelINS0_14default_configENS1_25transform_config_selectorIdLb0EEEZNS1_14transform_implILb0ES3_S5_PdN6thrust23THRUST_200600_302600_NS6detail15normal_iteratorINS9_10device_ptrIdEEEENS0_8identityIdEEEE10hipError_tT2_T3_mT4_P12ihipStream_tbEUlT_E_NS1_11comp_targetILNS1_3genE10ELNS1_11target_archE1200ELNS1_3gpuE4ELNS1_3repE0EEENS1_30default_config_static_selectorELNS0_4arch9wavefront6targetE1EEEvT1_.private_seg_size, 0
	.set _ZN7rocprim17ROCPRIM_400000_NS6detail17trampoline_kernelINS0_14default_configENS1_25transform_config_selectorIdLb0EEEZNS1_14transform_implILb0ES3_S5_PdN6thrust23THRUST_200600_302600_NS6detail15normal_iteratorINS9_10device_ptrIdEEEENS0_8identityIdEEEE10hipError_tT2_T3_mT4_P12ihipStream_tbEUlT_E_NS1_11comp_targetILNS1_3genE10ELNS1_11target_archE1200ELNS1_3gpuE4ELNS1_3repE0EEENS1_30default_config_static_selectorELNS0_4arch9wavefront6targetE1EEEvT1_.uses_vcc, 0
	.set _ZN7rocprim17ROCPRIM_400000_NS6detail17trampoline_kernelINS0_14default_configENS1_25transform_config_selectorIdLb0EEEZNS1_14transform_implILb0ES3_S5_PdN6thrust23THRUST_200600_302600_NS6detail15normal_iteratorINS9_10device_ptrIdEEEENS0_8identityIdEEEE10hipError_tT2_T3_mT4_P12ihipStream_tbEUlT_E_NS1_11comp_targetILNS1_3genE10ELNS1_11target_archE1200ELNS1_3gpuE4ELNS1_3repE0EEENS1_30default_config_static_selectorELNS0_4arch9wavefront6targetE1EEEvT1_.uses_flat_scratch, 0
	.set _ZN7rocprim17ROCPRIM_400000_NS6detail17trampoline_kernelINS0_14default_configENS1_25transform_config_selectorIdLb0EEEZNS1_14transform_implILb0ES3_S5_PdN6thrust23THRUST_200600_302600_NS6detail15normal_iteratorINS9_10device_ptrIdEEEENS0_8identityIdEEEE10hipError_tT2_T3_mT4_P12ihipStream_tbEUlT_E_NS1_11comp_targetILNS1_3genE10ELNS1_11target_archE1200ELNS1_3gpuE4ELNS1_3repE0EEENS1_30default_config_static_selectorELNS0_4arch9wavefront6targetE1EEEvT1_.has_dyn_sized_stack, 0
	.set _ZN7rocprim17ROCPRIM_400000_NS6detail17trampoline_kernelINS0_14default_configENS1_25transform_config_selectorIdLb0EEEZNS1_14transform_implILb0ES3_S5_PdN6thrust23THRUST_200600_302600_NS6detail15normal_iteratorINS9_10device_ptrIdEEEENS0_8identityIdEEEE10hipError_tT2_T3_mT4_P12ihipStream_tbEUlT_E_NS1_11comp_targetILNS1_3genE10ELNS1_11target_archE1200ELNS1_3gpuE4ELNS1_3repE0EEENS1_30default_config_static_selectorELNS0_4arch9wavefront6targetE1EEEvT1_.has_recursion, 0
	.set _ZN7rocprim17ROCPRIM_400000_NS6detail17trampoline_kernelINS0_14default_configENS1_25transform_config_selectorIdLb0EEEZNS1_14transform_implILb0ES3_S5_PdN6thrust23THRUST_200600_302600_NS6detail15normal_iteratorINS9_10device_ptrIdEEEENS0_8identityIdEEEE10hipError_tT2_T3_mT4_P12ihipStream_tbEUlT_E_NS1_11comp_targetILNS1_3genE10ELNS1_11target_archE1200ELNS1_3gpuE4ELNS1_3repE0EEENS1_30default_config_static_selectorELNS0_4arch9wavefront6targetE1EEEvT1_.has_indirect_call, 0
	.section	.AMDGPU.csdata,"",@progbits
; Kernel info:
; codeLenInByte = 0
; TotalNumSgprs: 6
; NumVgprs: 0
; NumAgprs: 0
; TotalNumVgprs: 0
; ScratchSize: 0
; MemoryBound: 0
; FloatMode: 240
; IeeeMode: 1
; LDSByteSize: 0 bytes/workgroup (compile time only)
; SGPRBlocks: 0
; VGPRBlocks: 0
; NumSGPRsForWavesPerEU: 6
; NumVGPRsForWavesPerEU: 1
; AccumOffset: 4
; Occupancy: 8
; WaveLimiterHint : 0
; COMPUTE_PGM_RSRC2:SCRATCH_EN: 0
; COMPUTE_PGM_RSRC2:USER_SGPR: 2
; COMPUTE_PGM_RSRC2:TRAP_HANDLER: 0
; COMPUTE_PGM_RSRC2:TGID_X_EN: 1
; COMPUTE_PGM_RSRC2:TGID_Y_EN: 0
; COMPUTE_PGM_RSRC2:TGID_Z_EN: 0
; COMPUTE_PGM_RSRC2:TIDIG_COMP_CNT: 0
; COMPUTE_PGM_RSRC3_GFX90A:ACCUM_OFFSET: 0
; COMPUTE_PGM_RSRC3_GFX90A:TG_SPLIT: 0
	.section	.text._ZN7rocprim17ROCPRIM_400000_NS6detail17trampoline_kernelINS0_14default_configENS1_25transform_config_selectorIdLb0EEEZNS1_14transform_implILb0ES3_S5_PdN6thrust23THRUST_200600_302600_NS6detail15normal_iteratorINS9_10device_ptrIdEEEENS0_8identityIdEEEE10hipError_tT2_T3_mT4_P12ihipStream_tbEUlT_E_NS1_11comp_targetILNS1_3genE9ELNS1_11target_archE1100ELNS1_3gpuE3ELNS1_3repE0EEENS1_30default_config_static_selectorELNS0_4arch9wavefront6targetE1EEEvT1_,"axG",@progbits,_ZN7rocprim17ROCPRIM_400000_NS6detail17trampoline_kernelINS0_14default_configENS1_25transform_config_selectorIdLb0EEEZNS1_14transform_implILb0ES3_S5_PdN6thrust23THRUST_200600_302600_NS6detail15normal_iteratorINS9_10device_ptrIdEEEENS0_8identityIdEEEE10hipError_tT2_T3_mT4_P12ihipStream_tbEUlT_E_NS1_11comp_targetILNS1_3genE9ELNS1_11target_archE1100ELNS1_3gpuE3ELNS1_3repE0EEENS1_30default_config_static_selectorELNS0_4arch9wavefront6targetE1EEEvT1_,comdat
	.protected	_ZN7rocprim17ROCPRIM_400000_NS6detail17trampoline_kernelINS0_14default_configENS1_25transform_config_selectorIdLb0EEEZNS1_14transform_implILb0ES3_S5_PdN6thrust23THRUST_200600_302600_NS6detail15normal_iteratorINS9_10device_ptrIdEEEENS0_8identityIdEEEE10hipError_tT2_T3_mT4_P12ihipStream_tbEUlT_E_NS1_11comp_targetILNS1_3genE9ELNS1_11target_archE1100ELNS1_3gpuE3ELNS1_3repE0EEENS1_30default_config_static_selectorELNS0_4arch9wavefront6targetE1EEEvT1_ ; -- Begin function _ZN7rocprim17ROCPRIM_400000_NS6detail17trampoline_kernelINS0_14default_configENS1_25transform_config_selectorIdLb0EEEZNS1_14transform_implILb0ES3_S5_PdN6thrust23THRUST_200600_302600_NS6detail15normal_iteratorINS9_10device_ptrIdEEEENS0_8identityIdEEEE10hipError_tT2_T3_mT4_P12ihipStream_tbEUlT_E_NS1_11comp_targetILNS1_3genE9ELNS1_11target_archE1100ELNS1_3gpuE3ELNS1_3repE0EEENS1_30default_config_static_selectorELNS0_4arch9wavefront6targetE1EEEvT1_
	.globl	_ZN7rocprim17ROCPRIM_400000_NS6detail17trampoline_kernelINS0_14default_configENS1_25transform_config_selectorIdLb0EEEZNS1_14transform_implILb0ES3_S5_PdN6thrust23THRUST_200600_302600_NS6detail15normal_iteratorINS9_10device_ptrIdEEEENS0_8identityIdEEEE10hipError_tT2_T3_mT4_P12ihipStream_tbEUlT_E_NS1_11comp_targetILNS1_3genE9ELNS1_11target_archE1100ELNS1_3gpuE3ELNS1_3repE0EEENS1_30default_config_static_selectorELNS0_4arch9wavefront6targetE1EEEvT1_
	.p2align	8
	.type	_ZN7rocprim17ROCPRIM_400000_NS6detail17trampoline_kernelINS0_14default_configENS1_25transform_config_selectorIdLb0EEEZNS1_14transform_implILb0ES3_S5_PdN6thrust23THRUST_200600_302600_NS6detail15normal_iteratorINS9_10device_ptrIdEEEENS0_8identityIdEEEE10hipError_tT2_T3_mT4_P12ihipStream_tbEUlT_E_NS1_11comp_targetILNS1_3genE9ELNS1_11target_archE1100ELNS1_3gpuE3ELNS1_3repE0EEENS1_30default_config_static_selectorELNS0_4arch9wavefront6targetE1EEEvT1_,@function
_ZN7rocprim17ROCPRIM_400000_NS6detail17trampoline_kernelINS0_14default_configENS1_25transform_config_selectorIdLb0EEEZNS1_14transform_implILb0ES3_S5_PdN6thrust23THRUST_200600_302600_NS6detail15normal_iteratorINS9_10device_ptrIdEEEENS0_8identityIdEEEE10hipError_tT2_T3_mT4_P12ihipStream_tbEUlT_E_NS1_11comp_targetILNS1_3genE9ELNS1_11target_archE1100ELNS1_3gpuE3ELNS1_3repE0EEENS1_30default_config_static_selectorELNS0_4arch9wavefront6targetE1EEEvT1_: ; @_ZN7rocprim17ROCPRIM_400000_NS6detail17trampoline_kernelINS0_14default_configENS1_25transform_config_selectorIdLb0EEEZNS1_14transform_implILb0ES3_S5_PdN6thrust23THRUST_200600_302600_NS6detail15normal_iteratorINS9_10device_ptrIdEEEENS0_8identityIdEEEE10hipError_tT2_T3_mT4_P12ihipStream_tbEUlT_E_NS1_11comp_targetILNS1_3genE9ELNS1_11target_archE1100ELNS1_3gpuE3ELNS1_3repE0EEENS1_30default_config_static_selectorELNS0_4arch9wavefront6targetE1EEEvT1_
; %bb.0:
	.section	.rodata,"a",@progbits
	.p2align	6, 0x0
	.amdhsa_kernel _ZN7rocprim17ROCPRIM_400000_NS6detail17trampoline_kernelINS0_14default_configENS1_25transform_config_selectorIdLb0EEEZNS1_14transform_implILb0ES3_S5_PdN6thrust23THRUST_200600_302600_NS6detail15normal_iteratorINS9_10device_ptrIdEEEENS0_8identityIdEEEE10hipError_tT2_T3_mT4_P12ihipStream_tbEUlT_E_NS1_11comp_targetILNS1_3genE9ELNS1_11target_archE1100ELNS1_3gpuE3ELNS1_3repE0EEENS1_30default_config_static_selectorELNS0_4arch9wavefront6targetE1EEEvT1_
		.amdhsa_group_segment_fixed_size 0
		.amdhsa_private_segment_fixed_size 0
		.amdhsa_kernarg_size 40
		.amdhsa_user_sgpr_count 2
		.amdhsa_user_sgpr_dispatch_ptr 0
		.amdhsa_user_sgpr_queue_ptr 0
		.amdhsa_user_sgpr_kernarg_segment_ptr 1
		.amdhsa_user_sgpr_dispatch_id 0
		.amdhsa_user_sgpr_kernarg_preload_length 0
		.amdhsa_user_sgpr_kernarg_preload_offset 0
		.amdhsa_user_sgpr_private_segment_size 0
		.amdhsa_uses_dynamic_stack 0
		.amdhsa_enable_private_segment 0
		.amdhsa_system_sgpr_workgroup_id_x 1
		.amdhsa_system_sgpr_workgroup_id_y 0
		.amdhsa_system_sgpr_workgroup_id_z 0
		.amdhsa_system_sgpr_workgroup_info 0
		.amdhsa_system_vgpr_workitem_id 0
		.amdhsa_next_free_vgpr 1
		.amdhsa_next_free_sgpr 0
		.amdhsa_accum_offset 4
		.amdhsa_reserve_vcc 0
		.amdhsa_float_round_mode_32 0
		.amdhsa_float_round_mode_16_64 0
		.amdhsa_float_denorm_mode_32 3
		.amdhsa_float_denorm_mode_16_64 3
		.amdhsa_dx10_clamp 1
		.amdhsa_ieee_mode 1
		.amdhsa_fp16_overflow 0
		.amdhsa_tg_split 0
		.amdhsa_exception_fp_ieee_invalid_op 0
		.amdhsa_exception_fp_denorm_src 0
		.amdhsa_exception_fp_ieee_div_zero 0
		.amdhsa_exception_fp_ieee_overflow 0
		.amdhsa_exception_fp_ieee_underflow 0
		.amdhsa_exception_fp_ieee_inexact 0
		.amdhsa_exception_int_div_zero 0
	.end_amdhsa_kernel
	.section	.text._ZN7rocprim17ROCPRIM_400000_NS6detail17trampoline_kernelINS0_14default_configENS1_25transform_config_selectorIdLb0EEEZNS1_14transform_implILb0ES3_S5_PdN6thrust23THRUST_200600_302600_NS6detail15normal_iteratorINS9_10device_ptrIdEEEENS0_8identityIdEEEE10hipError_tT2_T3_mT4_P12ihipStream_tbEUlT_E_NS1_11comp_targetILNS1_3genE9ELNS1_11target_archE1100ELNS1_3gpuE3ELNS1_3repE0EEENS1_30default_config_static_selectorELNS0_4arch9wavefront6targetE1EEEvT1_,"axG",@progbits,_ZN7rocprim17ROCPRIM_400000_NS6detail17trampoline_kernelINS0_14default_configENS1_25transform_config_selectorIdLb0EEEZNS1_14transform_implILb0ES3_S5_PdN6thrust23THRUST_200600_302600_NS6detail15normal_iteratorINS9_10device_ptrIdEEEENS0_8identityIdEEEE10hipError_tT2_T3_mT4_P12ihipStream_tbEUlT_E_NS1_11comp_targetILNS1_3genE9ELNS1_11target_archE1100ELNS1_3gpuE3ELNS1_3repE0EEENS1_30default_config_static_selectorELNS0_4arch9wavefront6targetE1EEEvT1_,comdat
.Lfunc_end80:
	.size	_ZN7rocprim17ROCPRIM_400000_NS6detail17trampoline_kernelINS0_14default_configENS1_25transform_config_selectorIdLb0EEEZNS1_14transform_implILb0ES3_S5_PdN6thrust23THRUST_200600_302600_NS6detail15normal_iteratorINS9_10device_ptrIdEEEENS0_8identityIdEEEE10hipError_tT2_T3_mT4_P12ihipStream_tbEUlT_E_NS1_11comp_targetILNS1_3genE9ELNS1_11target_archE1100ELNS1_3gpuE3ELNS1_3repE0EEENS1_30default_config_static_selectorELNS0_4arch9wavefront6targetE1EEEvT1_, .Lfunc_end80-_ZN7rocprim17ROCPRIM_400000_NS6detail17trampoline_kernelINS0_14default_configENS1_25transform_config_selectorIdLb0EEEZNS1_14transform_implILb0ES3_S5_PdN6thrust23THRUST_200600_302600_NS6detail15normal_iteratorINS9_10device_ptrIdEEEENS0_8identityIdEEEE10hipError_tT2_T3_mT4_P12ihipStream_tbEUlT_E_NS1_11comp_targetILNS1_3genE9ELNS1_11target_archE1100ELNS1_3gpuE3ELNS1_3repE0EEENS1_30default_config_static_selectorELNS0_4arch9wavefront6targetE1EEEvT1_
                                        ; -- End function
	.set _ZN7rocprim17ROCPRIM_400000_NS6detail17trampoline_kernelINS0_14default_configENS1_25transform_config_selectorIdLb0EEEZNS1_14transform_implILb0ES3_S5_PdN6thrust23THRUST_200600_302600_NS6detail15normal_iteratorINS9_10device_ptrIdEEEENS0_8identityIdEEEE10hipError_tT2_T3_mT4_P12ihipStream_tbEUlT_E_NS1_11comp_targetILNS1_3genE9ELNS1_11target_archE1100ELNS1_3gpuE3ELNS1_3repE0EEENS1_30default_config_static_selectorELNS0_4arch9wavefront6targetE1EEEvT1_.num_vgpr, 0
	.set _ZN7rocprim17ROCPRIM_400000_NS6detail17trampoline_kernelINS0_14default_configENS1_25transform_config_selectorIdLb0EEEZNS1_14transform_implILb0ES3_S5_PdN6thrust23THRUST_200600_302600_NS6detail15normal_iteratorINS9_10device_ptrIdEEEENS0_8identityIdEEEE10hipError_tT2_T3_mT4_P12ihipStream_tbEUlT_E_NS1_11comp_targetILNS1_3genE9ELNS1_11target_archE1100ELNS1_3gpuE3ELNS1_3repE0EEENS1_30default_config_static_selectorELNS0_4arch9wavefront6targetE1EEEvT1_.num_agpr, 0
	.set _ZN7rocprim17ROCPRIM_400000_NS6detail17trampoline_kernelINS0_14default_configENS1_25transform_config_selectorIdLb0EEEZNS1_14transform_implILb0ES3_S5_PdN6thrust23THRUST_200600_302600_NS6detail15normal_iteratorINS9_10device_ptrIdEEEENS0_8identityIdEEEE10hipError_tT2_T3_mT4_P12ihipStream_tbEUlT_E_NS1_11comp_targetILNS1_3genE9ELNS1_11target_archE1100ELNS1_3gpuE3ELNS1_3repE0EEENS1_30default_config_static_selectorELNS0_4arch9wavefront6targetE1EEEvT1_.numbered_sgpr, 0
	.set _ZN7rocprim17ROCPRIM_400000_NS6detail17trampoline_kernelINS0_14default_configENS1_25transform_config_selectorIdLb0EEEZNS1_14transform_implILb0ES3_S5_PdN6thrust23THRUST_200600_302600_NS6detail15normal_iteratorINS9_10device_ptrIdEEEENS0_8identityIdEEEE10hipError_tT2_T3_mT4_P12ihipStream_tbEUlT_E_NS1_11comp_targetILNS1_3genE9ELNS1_11target_archE1100ELNS1_3gpuE3ELNS1_3repE0EEENS1_30default_config_static_selectorELNS0_4arch9wavefront6targetE1EEEvT1_.num_named_barrier, 0
	.set _ZN7rocprim17ROCPRIM_400000_NS6detail17trampoline_kernelINS0_14default_configENS1_25transform_config_selectorIdLb0EEEZNS1_14transform_implILb0ES3_S5_PdN6thrust23THRUST_200600_302600_NS6detail15normal_iteratorINS9_10device_ptrIdEEEENS0_8identityIdEEEE10hipError_tT2_T3_mT4_P12ihipStream_tbEUlT_E_NS1_11comp_targetILNS1_3genE9ELNS1_11target_archE1100ELNS1_3gpuE3ELNS1_3repE0EEENS1_30default_config_static_selectorELNS0_4arch9wavefront6targetE1EEEvT1_.private_seg_size, 0
	.set _ZN7rocprim17ROCPRIM_400000_NS6detail17trampoline_kernelINS0_14default_configENS1_25transform_config_selectorIdLb0EEEZNS1_14transform_implILb0ES3_S5_PdN6thrust23THRUST_200600_302600_NS6detail15normal_iteratorINS9_10device_ptrIdEEEENS0_8identityIdEEEE10hipError_tT2_T3_mT4_P12ihipStream_tbEUlT_E_NS1_11comp_targetILNS1_3genE9ELNS1_11target_archE1100ELNS1_3gpuE3ELNS1_3repE0EEENS1_30default_config_static_selectorELNS0_4arch9wavefront6targetE1EEEvT1_.uses_vcc, 0
	.set _ZN7rocprim17ROCPRIM_400000_NS6detail17trampoline_kernelINS0_14default_configENS1_25transform_config_selectorIdLb0EEEZNS1_14transform_implILb0ES3_S5_PdN6thrust23THRUST_200600_302600_NS6detail15normal_iteratorINS9_10device_ptrIdEEEENS0_8identityIdEEEE10hipError_tT2_T3_mT4_P12ihipStream_tbEUlT_E_NS1_11comp_targetILNS1_3genE9ELNS1_11target_archE1100ELNS1_3gpuE3ELNS1_3repE0EEENS1_30default_config_static_selectorELNS0_4arch9wavefront6targetE1EEEvT1_.uses_flat_scratch, 0
	.set _ZN7rocprim17ROCPRIM_400000_NS6detail17trampoline_kernelINS0_14default_configENS1_25transform_config_selectorIdLb0EEEZNS1_14transform_implILb0ES3_S5_PdN6thrust23THRUST_200600_302600_NS6detail15normal_iteratorINS9_10device_ptrIdEEEENS0_8identityIdEEEE10hipError_tT2_T3_mT4_P12ihipStream_tbEUlT_E_NS1_11comp_targetILNS1_3genE9ELNS1_11target_archE1100ELNS1_3gpuE3ELNS1_3repE0EEENS1_30default_config_static_selectorELNS0_4arch9wavefront6targetE1EEEvT1_.has_dyn_sized_stack, 0
	.set _ZN7rocprim17ROCPRIM_400000_NS6detail17trampoline_kernelINS0_14default_configENS1_25transform_config_selectorIdLb0EEEZNS1_14transform_implILb0ES3_S5_PdN6thrust23THRUST_200600_302600_NS6detail15normal_iteratorINS9_10device_ptrIdEEEENS0_8identityIdEEEE10hipError_tT2_T3_mT4_P12ihipStream_tbEUlT_E_NS1_11comp_targetILNS1_3genE9ELNS1_11target_archE1100ELNS1_3gpuE3ELNS1_3repE0EEENS1_30default_config_static_selectorELNS0_4arch9wavefront6targetE1EEEvT1_.has_recursion, 0
	.set _ZN7rocprim17ROCPRIM_400000_NS6detail17trampoline_kernelINS0_14default_configENS1_25transform_config_selectorIdLb0EEEZNS1_14transform_implILb0ES3_S5_PdN6thrust23THRUST_200600_302600_NS6detail15normal_iteratorINS9_10device_ptrIdEEEENS0_8identityIdEEEE10hipError_tT2_T3_mT4_P12ihipStream_tbEUlT_E_NS1_11comp_targetILNS1_3genE9ELNS1_11target_archE1100ELNS1_3gpuE3ELNS1_3repE0EEENS1_30default_config_static_selectorELNS0_4arch9wavefront6targetE1EEEvT1_.has_indirect_call, 0
	.section	.AMDGPU.csdata,"",@progbits
; Kernel info:
; codeLenInByte = 0
; TotalNumSgprs: 6
; NumVgprs: 0
; NumAgprs: 0
; TotalNumVgprs: 0
; ScratchSize: 0
; MemoryBound: 0
; FloatMode: 240
; IeeeMode: 1
; LDSByteSize: 0 bytes/workgroup (compile time only)
; SGPRBlocks: 0
; VGPRBlocks: 0
; NumSGPRsForWavesPerEU: 6
; NumVGPRsForWavesPerEU: 1
; AccumOffset: 4
; Occupancy: 8
; WaveLimiterHint : 0
; COMPUTE_PGM_RSRC2:SCRATCH_EN: 0
; COMPUTE_PGM_RSRC2:USER_SGPR: 2
; COMPUTE_PGM_RSRC2:TRAP_HANDLER: 0
; COMPUTE_PGM_RSRC2:TGID_X_EN: 1
; COMPUTE_PGM_RSRC2:TGID_Y_EN: 0
; COMPUTE_PGM_RSRC2:TGID_Z_EN: 0
; COMPUTE_PGM_RSRC2:TIDIG_COMP_CNT: 0
; COMPUTE_PGM_RSRC3_GFX90A:ACCUM_OFFSET: 0
; COMPUTE_PGM_RSRC3_GFX90A:TG_SPLIT: 0
	.section	.text._ZN7rocprim17ROCPRIM_400000_NS6detail17trampoline_kernelINS0_14default_configENS1_25transform_config_selectorIdLb0EEEZNS1_14transform_implILb0ES3_S5_PdN6thrust23THRUST_200600_302600_NS6detail15normal_iteratorINS9_10device_ptrIdEEEENS0_8identityIdEEEE10hipError_tT2_T3_mT4_P12ihipStream_tbEUlT_E_NS1_11comp_targetILNS1_3genE8ELNS1_11target_archE1030ELNS1_3gpuE2ELNS1_3repE0EEENS1_30default_config_static_selectorELNS0_4arch9wavefront6targetE1EEEvT1_,"axG",@progbits,_ZN7rocprim17ROCPRIM_400000_NS6detail17trampoline_kernelINS0_14default_configENS1_25transform_config_selectorIdLb0EEEZNS1_14transform_implILb0ES3_S5_PdN6thrust23THRUST_200600_302600_NS6detail15normal_iteratorINS9_10device_ptrIdEEEENS0_8identityIdEEEE10hipError_tT2_T3_mT4_P12ihipStream_tbEUlT_E_NS1_11comp_targetILNS1_3genE8ELNS1_11target_archE1030ELNS1_3gpuE2ELNS1_3repE0EEENS1_30default_config_static_selectorELNS0_4arch9wavefront6targetE1EEEvT1_,comdat
	.protected	_ZN7rocprim17ROCPRIM_400000_NS6detail17trampoline_kernelINS0_14default_configENS1_25transform_config_selectorIdLb0EEEZNS1_14transform_implILb0ES3_S5_PdN6thrust23THRUST_200600_302600_NS6detail15normal_iteratorINS9_10device_ptrIdEEEENS0_8identityIdEEEE10hipError_tT2_T3_mT4_P12ihipStream_tbEUlT_E_NS1_11comp_targetILNS1_3genE8ELNS1_11target_archE1030ELNS1_3gpuE2ELNS1_3repE0EEENS1_30default_config_static_selectorELNS0_4arch9wavefront6targetE1EEEvT1_ ; -- Begin function _ZN7rocprim17ROCPRIM_400000_NS6detail17trampoline_kernelINS0_14default_configENS1_25transform_config_selectorIdLb0EEEZNS1_14transform_implILb0ES3_S5_PdN6thrust23THRUST_200600_302600_NS6detail15normal_iteratorINS9_10device_ptrIdEEEENS0_8identityIdEEEE10hipError_tT2_T3_mT4_P12ihipStream_tbEUlT_E_NS1_11comp_targetILNS1_3genE8ELNS1_11target_archE1030ELNS1_3gpuE2ELNS1_3repE0EEENS1_30default_config_static_selectorELNS0_4arch9wavefront6targetE1EEEvT1_
	.globl	_ZN7rocprim17ROCPRIM_400000_NS6detail17trampoline_kernelINS0_14default_configENS1_25transform_config_selectorIdLb0EEEZNS1_14transform_implILb0ES3_S5_PdN6thrust23THRUST_200600_302600_NS6detail15normal_iteratorINS9_10device_ptrIdEEEENS0_8identityIdEEEE10hipError_tT2_T3_mT4_P12ihipStream_tbEUlT_E_NS1_11comp_targetILNS1_3genE8ELNS1_11target_archE1030ELNS1_3gpuE2ELNS1_3repE0EEENS1_30default_config_static_selectorELNS0_4arch9wavefront6targetE1EEEvT1_
	.p2align	8
	.type	_ZN7rocprim17ROCPRIM_400000_NS6detail17trampoline_kernelINS0_14default_configENS1_25transform_config_selectorIdLb0EEEZNS1_14transform_implILb0ES3_S5_PdN6thrust23THRUST_200600_302600_NS6detail15normal_iteratorINS9_10device_ptrIdEEEENS0_8identityIdEEEE10hipError_tT2_T3_mT4_P12ihipStream_tbEUlT_E_NS1_11comp_targetILNS1_3genE8ELNS1_11target_archE1030ELNS1_3gpuE2ELNS1_3repE0EEENS1_30default_config_static_selectorELNS0_4arch9wavefront6targetE1EEEvT1_,@function
_ZN7rocprim17ROCPRIM_400000_NS6detail17trampoline_kernelINS0_14default_configENS1_25transform_config_selectorIdLb0EEEZNS1_14transform_implILb0ES3_S5_PdN6thrust23THRUST_200600_302600_NS6detail15normal_iteratorINS9_10device_ptrIdEEEENS0_8identityIdEEEE10hipError_tT2_T3_mT4_P12ihipStream_tbEUlT_E_NS1_11comp_targetILNS1_3genE8ELNS1_11target_archE1030ELNS1_3gpuE2ELNS1_3repE0EEENS1_30default_config_static_selectorELNS0_4arch9wavefront6targetE1EEEvT1_: ; @_ZN7rocprim17ROCPRIM_400000_NS6detail17trampoline_kernelINS0_14default_configENS1_25transform_config_selectorIdLb0EEEZNS1_14transform_implILb0ES3_S5_PdN6thrust23THRUST_200600_302600_NS6detail15normal_iteratorINS9_10device_ptrIdEEEENS0_8identityIdEEEE10hipError_tT2_T3_mT4_P12ihipStream_tbEUlT_E_NS1_11comp_targetILNS1_3genE8ELNS1_11target_archE1030ELNS1_3gpuE2ELNS1_3repE0EEENS1_30default_config_static_selectorELNS0_4arch9wavefront6targetE1EEEvT1_
; %bb.0:
	.section	.rodata,"a",@progbits
	.p2align	6, 0x0
	.amdhsa_kernel _ZN7rocprim17ROCPRIM_400000_NS6detail17trampoline_kernelINS0_14default_configENS1_25transform_config_selectorIdLb0EEEZNS1_14transform_implILb0ES3_S5_PdN6thrust23THRUST_200600_302600_NS6detail15normal_iteratorINS9_10device_ptrIdEEEENS0_8identityIdEEEE10hipError_tT2_T3_mT4_P12ihipStream_tbEUlT_E_NS1_11comp_targetILNS1_3genE8ELNS1_11target_archE1030ELNS1_3gpuE2ELNS1_3repE0EEENS1_30default_config_static_selectorELNS0_4arch9wavefront6targetE1EEEvT1_
		.amdhsa_group_segment_fixed_size 0
		.amdhsa_private_segment_fixed_size 0
		.amdhsa_kernarg_size 40
		.amdhsa_user_sgpr_count 2
		.amdhsa_user_sgpr_dispatch_ptr 0
		.amdhsa_user_sgpr_queue_ptr 0
		.amdhsa_user_sgpr_kernarg_segment_ptr 1
		.amdhsa_user_sgpr_dispatch_id 0
		.amdhsa_user_sgpr_kernarg_preload_length 0
		.amdhsa_user_sgpr_kernarg_preload_offset 0
		.amdhsa_user_sgpr_private_segment_size 0
		.amdhsa_uses_dynamic_stack 0
		.amdhsa_enable_private_segment 0
		.amdhsa_system_sgpr_workgroup_id_x 1
		.amdhsa_system_sgpr_workgroup_id_y 0
		.amdhsa_system_sgpr_workgroup_id_z 0
		.amdhsa_system_sgpr_workgroup_info 0
		.amdhsa_system_vgpr_workitem_id 0
		.amdhsa_next_free_vgpr 1
		.amdhsa_next_free_sgpr 0
		.amdhsa_accum_offset 4
		.amdhsa_reserve_vcc 0
		.amdhsa_float_round_mode_32 0
		.amdhsa_float_round_mode_16_64 0
		.amdhsa_float_denorm_mode_32 3
		.amdhsa_float_denorm_mode_16_64 3
		.amdhsa_dx10_clamp 1
		.amdhsa_ieee_mode 1
		.amdhsa_fp16_overflow 0
		.amdhsa_tg_split 0
		.amdhsa_exception_fp_ieee_invalid_op 0
		.amdhsa_exception_fp_denorm_src 0
		.amdhsa_exception_fp_ieee_div_zero 0
		.amdhsa_exception_fp_ieee_overflow 0
		.amdhsa_exception_fp_ieee_underflow 0
		.amdhsa_exception_fp_ieee_inexact 0
		.amdhsa_exception_int_div_zero 0
	.end_amdhsa_kernel
	.section	.text._ZN7rocprim17ROCPRIM_400000_NS6detail17trampoline_kernelINS0_14default_configENS1_25transform_config_selectorIdLb0EEEZNS1_14transform_implILb0ES3_S5_PdN6thrust23THRUST_200600_302600_NS6detail15normal_iteratorINS9_10device_ptrIdEEEENS0_8identityIdEEEE10hipError_tT2_T3_mT4_P12ihipStream_tbEUlT_E_NS1_11comp_targetILNS1_3genE8ELNS1_11target_archE1030ELNS1_3gpuE2ELNS1_3repE0EEENS1_30default_config_static_selectorELNS0_4arch9wavefront6targetE1EEEvT1_,"axG",@progbits,_ZN7rocprim17ROCPRIM_400000_NS6detail17trampoline_kernelINS0_14default_configENS1_25transform_config_selectorIdLb0EEEZNS1_14transform_implILb0ES3_S5_PdN6thrust23THRUST_200600_302600_NS6detail15normal_iteratorINS9_10device_ptrIdEEEENS0_8identityIdEEEE10hipError_tT2_T3_mT4_P12ihipStream_tbEUlT_E_NS1_11comp_targetILNS1_3genE8ELNS1_11target_archE1030ELNS1_3gpuE2ELNS1_3repE0EEENS1_30default_config_static_selectorELNS0_4arch9wavefront6targetE1EEEvT1_,comdat
.Lfunc_end81:
	.size	_ZN7rocprim17ROCPRIM_400000_NS6detail17trampoline_kernelINS0_14default_configENS1_25transform_config_selectorIdLb0EEEZNS1_14transform_implILb0ES3_S5_PdN6thrust23THRUST_200600_302600_NS6detail15normal_iteratorINS9_10device_ptrIdEEEENS0_8identityIdEEEE10hipError_tT2_T3_mT4_P12ihipStream_tbEUlT_E_NS1_11comp_targetILNS1_3genE8ELNS1_11target_archE1030ELNS1_3gpuE2ELNS1_3repE0EEENS1_30default_config_static_selectorELNS0_4arch9wavefront6targetE1EEEvT1_, .Lfunc_end81-_ZN7rocprim17ROCPRIM_400000_NS6detail17trampoline_kernelINS0_14default_configENS1_25transform_config_selectorIdLb0EEEZNS1_14transform_implILb0ES3_S5_PdN6thrust23THRUST_200600_302600_NS6detail15normal_iteratorINS9_10device_ptrIdEEEENS0_8identityIdEEEE10hipError_tT2_T3_mT4_P12ihipStream_tbEUlT_E_NS1_11comp_targetILNS1_3genE8ELNS1_11target_archE1030ELNS1_3gpuE2ELNS1_3repE0EEENS1_30default_config_static_selectorELNS0_4arch9wavefront6targetE1EEEvT1_
                                        ; -- End function
	.set _ZN7rocprim17ROCPRIM_400000_NS6detail17trampoline_kernelINS0_14default_configENS1_25transform_config_selectorIdLb0EEEZNS1_14transform_implILb0ES3_S5_PdN6thrust23THRUST_200600_302600_NS6detail15normal_iteratorINS9_10device_ptrIdEEEENS0_8identityIdEEEE10hipError_tT2_T3_mT4_P12ihipStream_tbEUlT_E_NS1_11comp_targetILNS1_3genE8ELNS1_11target_archE1030ELNS1_3gpuE2ELNS1_3repE0EEENS1_30default_config_static_selectorELNS0_4arch9wavefront6targetE1EEEvT1_.num_vgpr, 0
	.set _ZN7rocprim17ROCPRIM_400000_NS6detail17trampoline_kernelINS0_14default_configENS1_25transform_config_selectorIdLb0EEEZNS1_14transform_implILb0ES3_S5_PdN6thrust23THRUST_200600_302600_NS6detail15normal_iteratorINS9_10device_ptrIdEEEENS0_8identityIdEEEE10hipError_tT2_T3_mT4_P12ihipStream_tbEUlT_E_NS1_11comp_targetILNS1_3genE8ELNS1_11target_archE1030ELNS1_3gpuE2ELNS1_3repE0EEENS1_30default_config_static_selectorELNS0_4arch9wavefront6targetE1EEEvT1_.num_agpr, 0
	.set _ZN7rocprim17ROCPRIM_400000_NS6detail17trampoline_kernelINS0_14default_configENS1_25transform_config_selectorIdLb0EEEZNS1_14transform_implILb0ES3_S5_PdN6thrust23THRUST_200600_302600_NS6detail15normal_iteratorINS9_10device_ptrIdEEEENS0_8identityIdEEEE10hipError_tT2_T3_mT4_P12ihipStream_tbEUlT_E_NS1_11comp_targetILNS1_3genE8ELNS1_11target_archE1030ELNS1_3gpuE2ELNS1_3repE0EEENS1_30default_config_static_selectorELNS0_4arch9wavefront6targetE1EEEvT1_.numbered_sgpr, 0
	.set _ZN7rocprim17ROCPRIM_400000_NS6detail17trampoline_kernelINS0_14default_configENS1_25transform_config_selectorIdLb0EEEZNS1_14transform_implILb0ES3_S5_PdN6thrust23THRUST_200600_302600_NS6detail15normal_iteratorINS9_10device_ptrIdEEEENS0_8identityIdEEEE10hipError_tT2_T3_mT4_P12ihipStream_tbEUlT_E_NS1_11comp_targetILNS1_3genE8ELNS1_11target_archE1030ELNS1_3gpuE2ELNS1_3repE0EEENS1_30default_config_static_selectorELNS0_4arch9wavefront6targetE1EEEvT1_.num_named_barrier, 0
	.set _ZN7rocprim17ROCPRIM_400000_NS6detail17trampoline_kernelINS0_14default_configENS1_25transform_config_selectorIdLb0EEEZNS1_14transform_implILb0ES3_S5_PdN6thrust23THRUST_200600_302600_NS6detail15normal_iteratorINS9_10device_ptrIdEEEENS0_8identityIdEEEE10hipError_tT2_T3_mT4_P12ihipStream_tbEUlT_E_NS1_11comp_targetILNS1_3genE8ELNS1_11target_archE1030ELNS1_3gpuE2ELNS1_3repE0EEENS1_30default_config_static_selectorELNS0_4arch9wavefront6targetE1EEEvT1_.private_seg_size, 0
	.set _ZN7rocprim17ROCPRIM_400000_NS6detail17trampoline_kernelINS0_14default_configENS1_25transform_config_selectorIdLb0EEEZNS1_14transform_implILb0ES3_S5_PdN6thrust23THRUST_200600_302600_NS6detail15normal_iteratorINS9_10device_ptrIdEEEENS0_8identityIdEEEE10hipError_tT2_T3_mT4_P12ihipStream_tbEUlT_E_NS1_11comp_targetILNS1_3genE8ELNS1_11target_archE1030ELNS1_3gpuE2ELNS1_3repE0EEENS1_30default_config_static_selectorELNS0_4arch9wavefront6targetE1EEEvT1_.uses_vcc, 0
	.set _ZN7rocprim17ROCPRIM_400000_NS6detail17trampoline_kernelINS0_14default_configENS1_25transform_config_selectorIdLb0EEEZNS1_14transform_implILb0ES3_S5_PdN6thrust23THRUST_200600_302600_NS6detail15normal_iteratorINS9_10device_ptrIdEEEENS0_8identityIdEEEE10hipError_tT2_T3_mT4_P12ihipStream_tbEUlT_E_NS1_11comp_targetILNS1_3genE8ELNS1_11target_archE1030ELNS1_3gpuE2ELNS1_3repE0EEENS1_30default_config_static_selectorELNS0_4arch9wavefront6targetE1EEEvT1_.uses_flat_scratch, 0
	.set _ZN7rocprim17ROCPRIM_400000_NS6detail17trampoline_kernelINS0_14default_configENS1_25transform_config_selectorIdLb0EEEZNS1_14transform_implILb0ES3_S5_PdN6thrust23THRUST_200600_302600_NS6detail15normal_iteratorINS9_10device_ptrIdEEEENS0_8identityIdEEEE10hipError_tT2_T3_mT4_P12ihipStream_tbEUlT_E_NS1_11comp_targetILNS1_3genE8ELNS1_11target_archE1030ELNS1_3gpuE2ELNS1_3repE0EEENS1_30default_config_static_selectorELNS0_4arch9wavefront6targetE1EEEvT1_.has_dyn_sized_stack, 0
	.set _ZN7rocprim17ROCPRIM_400000_NS6detail17trampoline_kernelINS0_14default_configENS1_25transform_config_selectorIdLb0EEEZNS1_14transform_implILb0ES3_S5_PdN6thrust23THRUST_200600_302600_NS6detail15normal_iteratorINS9_10device_ptrIdEEEENS0_8identityIdEEEE10hipError_tT2_T3_mT4_P12ihipStream_tbEUlT_E_NS1_11comp_targetILNS1_3genE8ELNS1_11target_archE1030ELNS1_3gpuE2ELNS1_3repE0EEENS1_30default_config_static_selectorELNS0_4arch9wavefront6targetE1EEEvT1_.has_recursion, 0
	.set _ZN7rocprim17ROCPRIM_400000_NS6detail17trampoline_kernelINS0_14default_configENS1_25transform_config_selectorIdLb0EEEZNS1_14transform_implILb0ES3_S5_PdN6thrust23THRUST_200600_302600_NS6detail15normal_iteratorINS9_10device_ptrIdEEEENS0_8identityIdEEEE10hipError_tT2_T3_mT4_P12ihipStream_tbEUlT_E_NS1_11comp_targetILNS1_3genE8ELNS1_11target_archE1030ELNS1_3gpuE2ELNS1_3repE0EEENS1_30default_config_static_selectorELNS0_4arch9wavefront6targetE1EEEvT1_.has_indirect_call, 0
	.section	.AMDGPU.csdata,"",@progbits
; Kernel info:
; codeLenInByte = 0
; TotalNumSgprs: 6
; NumVgprs: 0
; NumAgprs: 0
; TotalNumVgprs: 0
; ScratchSize: 0
; MemoryBound: 0
; FloatMode: 240
; IeeeMode: 1
; LDSByteSize: 0 bytes/workgroup (compile time only)
; SGPRBlocks: 0
; VGPRBlocks: 0
; NumSGPRsForWavesPerEU: 6
; NumVGPRsForWavesPerEU: 1
; AccumOffset: 4
; Occupancy: 8
; WaveLimiterHint : 0
; COMPUTE_PGM_RSRC2:SCRATCH_EN: 0
; COMPUTE_PGM_RSRC2:USER_SGPR: 2
; COMPUTE_PGM_RSRC2:TRAP_HANDLER: 0
; COMPUTE_PGM_RSRC2:TGID_X_EN: 1
; COMPUTE_PGM_RSRC2:TGID_Y_EN: 0
; COMPUTE_PGM_RSRC2:TGID_Z_EN: 0
; COMPUTE_PGM_RSRC2:TIDIG_COMP_CNT: 0
; COMPUTE_PGM_RSRC3_GFX90A:ACCUM_OFFSET: 0
; COMPUTE_PGM_RSRC3_GFX90A:TG_SPLIT: 0
	.section	.text._ZN7rocprim17ROCPRIM_400000_NS6detail17trampoline_kernelINS0_14default_configENS1_35radix_sort_onesweep_config_selectorIddEEZNS1_34radix_sort_onesweep_global_offsetsIS3_Lb0EN6thrust23THRUST_200600_302600_NS6detail15normal_iteratorINS8_10device_ptrIdEEEESD_jNS0_19identity_decomposerEEE10hipError_tT1_T2_PT3_SI_jT4_jjP12ihipStream_tbEUlT_E_NS1_11comp_targetILNS1_3genE0ELNS1_11target_archE4294967295ELNS1_3gpuE0ELNS1_3repE0EEENS1_52radix_sort_onesweep_histogram_config_static_selectorELNS0_4arch9wavefront6targetE1EEEvSG_,"axG",@progbits,_ZN7rocprim17ROCPRIM_400000_NS6detail17trampoline_kernelINS0_14default_configENS1_35radix_sort_onesweep_config_selectorIddEEZNS1_34radix_sort_onesweep_global_offsetsIS3_Lb0EN6thrust23THRUST_200600_302600_NS6detail15normal_iteratorINS8_10device_ptrIdEEEESD_jNS0_19identity_decomposerEEE10hipError_tT1_T2_PT3_SI_jT4_jjP12ihipStream_tbEUlT_E_NS1_11comp_targetILNS1_3genE0ELNS1_11target_archE4294967295ELNS1_3gpuE0ELNS1_3repE0EEENS1_52radix_sort_onesweep_histogram_config_static_selectorELNS0_4arch9wavefront6targetE1EEEvSG_,comdat
	.protected	_ZN7rocprim17ROCPRIM_400000_NS6detail17trampoline_kernelINS0_14default_configENS1_35radix_sort_onesweep_config_selectorIddEEZNS1_34radix_sort_onesweep_global_offsetsIS3_Lb0EN6thrust23THRUST_200600_302600_NS6detail15normal_iteratorINS8_10device_ptrIdEEEESD_jNS0_19identity_decomposerEEE10hipError_tT1_T2_PT3_SI_jT4_jjP12ihipStream_tbEUlT_E_NS1_11comp_targetILNS1_3genE0ELNS1_11target_archE4294967295ELNS1_3gpuE0ELNS1_3repE0EEENS1_52radix_sort_onesweep_histogram_config_static_selectorELNS0_4arch9wavefront6targetE1EEEvSG_ ; -- Begin function _ZN7rocprim17ROCPRIM_400000_NS6detail17trampoline_kernelINS0_14default_configENS1_35radix_sort_onesweep_config_selectorIddEEZNS1_34radix_sort_onesweep_global_offsetsIS3_Lb0EN6thrust23THRUST_200600_302600_NS6detail15normal_iteratorINS8_10device_ptrIdEEEESD_jNS0_19identity_decomposerEEE10hipError_tT1_T2_PT3_SI_jT4_jjP12ihipStream_tbEUlT_E_NS1_11comp_targetILNS1_3genE0ELNS1_11target_archE4294967295ELNS1_3gpuE0ELNS1_3repE0EEENS1_52radix_sort_onesweep_histogram_config_static_selectorELNS0_4arch9wavefront6targetE1EEEvSG_
	.globl	_ZN7rocprim17ROCPRIM_400000_NS6detail17trampoline_kernelINS0_14default_configENS1_35radix_sort_onesweep_config_selectorIddEEZNS1_34radix_sort_onesweep_global_offsetsIS3_Lb0EN6thrust23THRUST_200600_302600_NS6detail15normal_iteratorINS8_10device_ptrIdEEEESD_jNS0_19identity_decomposerEEE10hipError_tT1_T2_PT3_SI_jT4_jjP12ihipStream_tbEUlT_E_NS1_11comp_targetILNS1_3genE0ELNS1_11target_archE4294967295ELNS1_3gpuE0ELNS1_3repE0EEENS1_52radix_sort_onesweep_histogram_config_static_selectorELNS0_4arch9wavefront6targetE1EEEvSG_
	.p2align	8
	.type	_ZN7rocprim17ROCPRIM_400000_NS6detail17trampoline_kernelINS0_14default_configENS1_35radix_sort_onesweep_config_selectorIddEEZNS1_34radix_sort_onesweep_global_offsetsIS3_Lb0EN6thrust23THRUST_200600_302600_NS6detail15normal_iteratorINS8_10device_ptrIdEEEESD_jNS0_19identity_decomposerEEE10hipError_tT1_T2_PT3_SI_jT4_jjP12ihipStream_tbEUlT_E_NS1_11comp_targetILNS1_3genE0ELNS1_11target_archE4294967295ELNS1_3gpuE0ELNS1_3repE0EEENS1_52radix_sort_onesweep_histogram_config_static_selectorELNS0_4arch9wavefront6targetE1EEEvSG_,@function
_ZN7rocprim17ROCPRIM_400000_NS6detail17trampoline_kernelINS0_14default_configENS1_35radix_sort_onesweep_config_selectorIddEEZNS1_34radix_sort_onesweep_global_offsetsIS3_Lb0EN6thrust23THRUST_200600_302600_NS6detail15normal_iteratorINS8_10device_ptrIdEEEESD_jNS0_19identity_decomposerEEE10hipError_tT1_T2_PT3_SI_jT4_jjP12ihipStream_tbEUlT_E_NS1_11comp_targetILNS1_3genE0ELNS1_11target_archE4294967295ELNS1_3gpuE0ELNS1_3repE0EEENS1_52radix_sort_onesweep_histogram_config_static_selectorELNS0_4arch9wavefront6targetE1EEEvSG_: ; @_ZN7rocprim17ROCPRIM_400000_NS6detail17trampoline_kernelINS0_14default_configENS1_35radix_sort_onesweep_config_selectorIddEEZNS1_34radix_sort_onesweep_global_offsetsIS3_Lb0EN6thrust23THRUST_200600_302600_NS6detail15normal_iteratorINS8_10device_ptrIdEEEESD_jNS0_19identity_decomposerEEE10hipError_tT1_T2_PT3_SI_jT4_jjP12ihipStream_tbEUlT_E_NS1_11comp_targetILNS1_3genE0ELNS1_11target_archE4294967295ELNS1_3gpuE0ELNS1_3repE0EEENS1_52radix_sort_onesweep_histogram_config_static_selectorELNS0_4arch9wavefront6targetE1EEEvSG_
; %bb.0:
	.section	.rodata,"a",@progbits
	.p2align	6, 0x0
	.amdhsa_kernel _ZN7rocprim17ROCPRIM_400000_NS6detail17trampoline_kernelINS0_14default_configENS1_35radix_sort_onesweep_config_selectorIddEEZNS1_34radix_sort_onesweep_global_offsetsIS3_Lb0EN6thrust23THRUST_200600_302600_NS6detail15normal_iteratorINS8_10device_ptrIdEEEESD_jNS0_19identity_decomposerEEE10hipError_tT1_T2_PT3_SI_jT4_jjP12ihipStream_tbEUlT_E_NS1_11comp_targetILNS1_3genE0ELNS1_11target_archE4294967295ELNS1_3gpuE0ELNS1_3repE0EEENS1_52radix_sort_onesweep_histogram_config_static_selectorELNS0_4arch9wavefront6targetE1EEEvSG_
		.amdhsa_group_segment_fixed_size 0
		.amdhsa_private_segment_fixed_size 0
		.amdhsa_kernarg_size 40
		.amdhsa_user_sgpr_count 2
		.amdhsa_user_sgpr_dispatch_ptr 0
		.amdhsa_user_sgpr_queue_ptr 0
		.amdhsa_user_sgpr_kernarg_segment_ptr 1
		.amdhsa_user_sgpr_dispatch_id 0
		.amdhsa_user_sgpr_kernarg_preload_length 0
		.amdhsa_user_sgpr_kernarg_preload_offset 0
		.amdhsa_user_sgpr_private_segment_size 0
		.amdhsa_uses_dynamic_stack 0
		.amdhsa_enable_private_segment 0
		.amdhsa_system_sgpr_workgroup_id_x 1
		.amdhsa_system_sgpr_workgroup_id_y 0
		.amdhsa_system_sgpr_workgroup_id_z 0
		.amdhsa_system_sgpr_workgroup_info 0
		.amdhsa_system_vgpr_workitem_id 0
		.amdhsa_next_free_vgpr 1
		.amdhsa_next_free_sgpr 0
		.amdhsa_accum_offset 4
		.amdhsa_reserve_vcc 0
		.amdhsa_float_round_mode_32 0
		.amdhsa_float_round_mode_16_64 0
		.amdhsa_float_denorm_mode_32 3
		.amdhsa_float_denorm_mode_16_64 3
		.amdhsa_dx10_clamp 1
		.amdhsa_ieee_mode 1
		.amdhsa_fp16_overflow 0
		.amdhsa_tg_split 0
		.amdhsa_exception_fp_ieee_invalid_op 0
		.amdhsa_exception_fp_denorm_src 0
		.amdhsa_exception_fp_ieee_div_zero 0
		.amdhsa_exception_fp_ieee_overflow 0
		.amdhsa_exception_fp_ieee_underflow 0
		.amdhsa_exception_fp_ieee_inexact 0
		.amdhsa_exception_int_div_zero 0
	.end_amdhsa_kernel
	.section	.text._ZN7rocprim17ROCPRIM_400000_NS6detail17trampoline_kernelINS0_14default_configENS1_35radix_sort_onesweep_config_selectorIddEEZNS1_34radix_sort_onesweep_global_offsetsIS3_Lb0EN6thrust23THRUST_200600_302600_NS6detail15normal_iteratorINS8_10device_ptrIdEEEESD_jNS0_19identity_decomposerEEE10hipError_tT1_T2_PT3_SI_jT4_jjP12ihipStream_tbEUlT_E_NS1_11comp_targetILNS1_3genE0ELNS1_11target_archE4294967295ELNS1_3gpuE0ELNS1_3repE0EEENS1_52radix_sort_onesweep_histogram_config_static_selectorELNS0_4arch9wavefront6targetE1EEEvSG_,"axG",@progbits,_ZN7rocprim17ROCPRIM_400000_NS6detail17trampoline_kernelINS0_14default_configENS1_35radix_sort_onesweep_config_selectorIddEEZNS1_34radix_sort_onesweep_global_offsetsIS3_Lb0EN6thrust23THRUST_200600_302600_NS6detail15normal_iteratorINS8_10device_ptrIdEEEESD_jNS0_19identity_decomposerEEE10hipError_tT1_T2_PT3_SI_jT4_jjP12ihipStream_tbEUlT_E_NS1_11comp_targetILNS1_3genE0ELNS1_11target_archE4294967295ELNS1_3gpuE0ELNS1_3repE0EEENS1_52radix_sort_onesweep_histogram_config_static_selectorELNS0_4arch9wavefront6targetE1EEEvSG_,comdat
.Lfunc_end82:
	.size	_ZN7rocprim17ROCPRIM_400000_NS6detail17trampoline_kernelINS0_14default_configENS1_35radix_sort_onesweep_config_selectorIddEEZNS1_34radix_sort_onesweep_global_offsetsIS3_Lb0EN6thrust23THRUST_200600_302600_NS6detail15normal_iteratorINS8_10device_ptrIdEEEESD_jNS0_19identity_decomposerEEE10hipError_tT1_T2_PT3_SI_jT4_jjP12ihipStream_tbEUlT_E_NS1_11comp_targetILNS1_3genE0ELNS1_11target_archE4294967295ELNS1_3gpuE0ELNS1_3repE0EEENS1_52radix_sort_onesweep_histogram_config_static_selectorELNS0_4arch9wavefront6targetE1EEEvSG_, .Lfunc_end82-_ZN7rocprim17ROCPRIM_400000_NS6detail17trampoline_kernelINS0_14default_configENS1_35radix_sort_onesweep_config_selectorIddEEZNS1_34radix_sort_onesweep_global_offsetsIS3_Lb0EN6thrust23THRUST_200600_302600_NS6detail15normal_iteratorINS8_10device_ptrIdEEEESD_jNS0_19identity_decomposerEEE10hipError_tT1_T2_PT3_SI_jT4_jjP12ihipStream_tbEUlT_E_NS1_11comp_targetILNS1_3genE0ELNS1_11target_archE4294967295ELNS1_3gpuE0ELNS1_3repE0EEENS1_52radix_sort_onesweep_histogram_config_static_selectorELNS0_4arch9wavefront6targetE1EEEvSG_
                                        ; -- End function
	.set _ZN7rocprim17ROCPRIM_400000_NS6detail17trampoline_kernelINS0_14default_configENS1_35radix_sort_onesweep_config_selectorIddEEZNS1_34radix_sort_onesweep_global_offsetsIS3_Lb0EN6thrust23THRUST_200600_302600_NS6detail15normal_iteratorINS8_10device_ptrIdEEEESD_jNS0_19identity_decomposerEEE10hipError_tT1_T2_PT3_SI_jT4_jjP12ihipStream_tbEUlT_E_NS1_11comp_targetILNS1_3genE0ELNS1_11target_archE4294967295ELNS1_3gpuE0ELNS1_3repE0EEENS1_52radix_sort_onesweep_histogram_config_static_selectorELNS0_4arch9wavefront6targetE1EEEvSG_.num_vgpr, 0
	.set _ZN7rocprim17ROCPRIM_400000_NS6detail17trampoline_kernelINS0_14default_configENS1_35radix_sort_onesweep_config_selectorIddEEZNS1_34radix_sort_onesweep_global_offsetsIS3_Lb0EN6thrust23THRUST_200600_302600_NS6detail15normal_iteratorINS8_10device_ptrIdEEEESD_jNS0_19identity_decomposerEEE10hipError_tT1_T2_PT3_SI_jT4_jjP12ihipStream_tbEUlT_E_NS1_11comp_targetILNS1_3genE0ELNS1_11target_archE4294967295ELNS1_3gpuE0ELNS1_3repE0EEENS1_52radix_sort_onesweep_histogram_config_static_selectorELNS0_4arch9wavefront6targetE1EEEvSG_.num_agpr, 0
	.set _ZN7rocprim17ROCPRIM_400000_NS6detail17trampoline_kernelINS0_14default_configENS1_35radix_sort_onesweep_config_selectorIddEEZNS1_34radix_sort_onesweep_global_offsetsIS3_Lb0EN6thrust23THRUST_200600_302600_NS6detail15normal_iteratorINS8_10device_ptrIdEEEESD_jNS0_19identity_decomposerEEE10hipError_tT1_T2_PT3_SI_jT4_jjP12ihipStream_tbEUlT_E_NS1_11comp_targetILNS1_3genE0ELNS1_11target_archE4294967295ELNS1_3gpuE0ELNS1_3repE0EEENS1_52radix_sort_onesweep_histogram_config_static_selectorELNS0_4arch9wavefront6targetE1EEEvSG_.numbered_sgpr, 0
	.set _ZN7rocprim17ROCPRIM_400000_NS6detail17trampoline_kernelINS0_14default_configENS1_35radix_sort_onesweep_config_selectorIddEEZNS1_34radix_sort_onesweep_global_offsetsIS3_Lb0EN6thrust23THRUST_200600_302600_NS6detail15normal_iteratorINS8_10device_ptrIdEEEESD_jNS0_19identity_decomposerEEE10hipError_tT1_T2_PT3_SI_jT4_jjP12ihipStream_tbEUlT_E_NS1_11comp_targetILNS1_3genE0ELNS1_11target_archE4294967295ELNS1_3gpuE0ELNS1_3repE0EEENS1_52radix_sort_onesweep_histogram_config_static_selectorELNS0_4arch9wavefront6targetE1EEEvSG_.num_named_barrier, 0
	.set _ZN7rocprim17ROCPRIM_400000_NS6detail17trampoline_kernelINS0_14default_configENS1_35radix_sort_onesweep_config_selectorIddEEZNS1_34radix_sort_onesweep_global_offsetsIS3_Lb0EN6thrust23THRUST_200600_302600_NS6detail15normal_iteratorINS8_10device_ptrIdEEEESD_jNS0_19identity_decomposerEEE10hipError_tT1_T2_PT3_SI_jT4_jjP12ihipStream_tbEUlT_E_NS1_11comp_targetILNS1_3genE0ELNS1_11target_archE4294967295ELNS1_3gpuE0ELNS1_3repE0EEENS1_52radix_sort_onesweep_histogram_config_static_selectorELNS0_4arch9wavefront6targetE1EEEvSG_.private_seg_size, 0
	.set _ZN7rocprim17ROCPRIM_400000_NS6detail17trampoline_kernelINS0_14default_configENS1_35radix_sort_onesweep_config_selectorIddEEZNS1_34radix_sort_onesweep_global_offsetsIS3_Lb0EN6thrust23THRUST_200600_302600_NS6detail15normal_iteratorINS8_10device_ptrIdEEEESD_jNS0_19identity_decomposerEEE10hipError_tT1_T2_PT3_SI_jT4_jjP12ihipStream_tbEUlT_E_NS1_11comp_targetILNS1_3genE0ELNS1_11target_archE4294967295ELNS1_3gpuE0ELNS1_3repE0EEENS1_52radix_sort_onesweep_histogram_config_static_selectorELNS0_4arch9wavefront6targetE1EEEvSG_.uses_vcc, 0
	.set _ZN7rocprim17ROCPRIM_400000_NS6detail17trampoline_kernelINS0_14default_configENS1_35radix_sort_onesweep_config_selectorIddEEZNS1_34radix_sort_onesweep_global_offsetsIS3_Lb0EN6thrust23THRUST_200600_302600_NS6detail15normal_iteratorINS8_10device_ptrIdEEEESD_jNS0_19identity_decomposerEEE10hipError_tT1_T2_PT3_SI_jT4_jjP12ihipStream_tbEUlT_E_NS1_11comp_targetILNS1_3genE0ELNS1_11target_archE4294967295ELNS1_3gpuE0ELNS1_3repE0EEENS1_52radix_sort_onesweep_histogram_config_static_selectorELNS0_4arch9wavefront6targetE1EEEvSG_.uses_flat_scratch, 0
	.set _ZN7rocprim17ROCPRIM_400000_NS6detail17trampoline_kernelINS0_14default_configENS1_35radix_sort_onesweep_config_selectorIddEEZNS1_34radix_sort_onesweep_global_offsetsIS3_Lb0EN6thrust23THRUST_200600_302600_NS6detail15normal_iteratorINS8_10device_ptrIdEEEESD_jNS0_19identity_decomposerEEE10hipError_tT1_T2_PT3_SI_jT4_jjP12ihipStream_tbEUlT_E_NS1_11comp_targetILNS1_3genE0ELNS1_11target_archE4294967295ELNS1_3gpuE0ELNS1_3repE0EEENS1_52radix_sort_onesweep_histogram_config_static_selectorELNS0_4arch9wavefront6targetE1EEEvSG_.has_dyn_sized_stack, 0
	.set _ZN7rocprim17ROCPRIM_400000_NS6detail17trampoline_kernelINS0_14default_configENS1_35radix_sort_onesweep_config_selectorIddEEZNS1_34radix_sort_onesweep_global_offsetsIS3_Lb0EN6thrust23THRUST_200600_302600_NS6detail15normal_iteratorINS8_10device_ptrIdEEEESD_jNS0_19identity_decomposerEEE10hipError_tT1_T2_PT3_SI_jT4_jjP12ihipStream_tbEUlT_E_NS1_11comp_targetILNS1_3genE0ELNS1_11target_archE4294967295ELNS1_3gpuE0ELNS1_3repE0EEENS1_52radix_sort_onesweep_histogram_config_static_selectorELNS0_4arch9wavefront6targetE1EEEvSG_.has_recursion, 0
	.set _ZN7rocprim17ROCPRIM_400000_NS6detail17trampoline_kernelINS0_14default_configENS1_35radix_sort_onesweep_config_selectorIddEEZNS1_34radix_sort_onesweep_global_offsetsIS3_Lb0EN6thrust23THRUST_200600_302600_NS6detail15normal_iteratorINS8_10device_ptrIdEEEESD_jNS0_19identity_decomposerEEE10hipError_tT1_T2_PT3_SI_jT4_jjP12ihipStream_tbEUlT_E_NS1_11comp_targetILNS1_3genE0ELNS1_11target_archE4294967295ELNS1_3gpuE0ELNS1_3repE0EEENS1_52radix_sort_onesweep_histogram_config_static_selectorELNS0_4arch9wavefront6targetE1EEEvSG_.has_indirect_call, 0
	.section	.AMDGPU.csdata,"",@progbits
; Kernel info:
; codeLenInByte = 0
; TotalNumSgprs: 6
; NumVgprs: 0
; NumAgprs: 0
; TotalNumVgprs: 0
; ScratchSize: 0
; MemoryBound: 0
; FloatMode: 240
; IeeeMode: 1
; LDSByteSize: 0 bytes/workgroup (compile time only)
; SGPRBlocks: 0
; VGPRBlocks: 0
; NumSGPRsForWavesPerEU: 6
; NumVGPRsForWavesPerEU: 1
; AccumOffset: 4
; Occupancy: 8
; WaveLimiterHint : 0
; COMPUTE_PGM_RSRC2:SCRATCH_EN: 0
; COMPUTE_PGM_RSRC2:USER_SGPR: 2
; COMPUTE_PGM_RSRC2:TRAP_HANDLER: 0
; COMPUTE_PGM_RSRC2:TGID_X_EN: 1
; COMPUTE_PGM_RSRC2:TGID_Y_EN: 0
; COMPUTE_PGM_RSRC2:TGID_Z_EN: 0
; COMPUTE_PGM_RSRC2:TIDIG_COMP_CNT: 0
; COMPUTE_PGM_RSRC3_GFX90A:ACCUM_OFFSET: 0
; COMPUTE_PGM_RSRC3_GFX90A:TG_SPLIT: 0
	.section	.text._ZN7rocprim17ROCPRIM_400000_NS6detail17trampoline_kernelINS0_14default_configENS1_35radix_sort_onesweep_config_selectorIddEEZNS1_34radix_sort_onesweep_global_offsetsIS3_Lb0EN6thrust23THRUST_200600_302600_NS6detail15normal_iteratorINS8_10device_ptrIdEEEESD_jNS0_19identity_decomposerEEE10hipError_tT1_T2_PT3_SI_jT4_jjP12ihipStream_tbEUlT_E_NS1_11comp_targetILNS1_3genE6ELNS1_11target_archE950ELNS1_3gpuE13ELNS1_3repE0EEENS1_52radix_sort_onesweep_histogram_config_static_selectorELNS0_4arch9wavefront6targetE1EEEvSG_,"axG",@progbits,_ZN7rocprim17ROCPRIM_400000_NS6detail17trampoline_kernelINS0_14default_configENS1_35radix_sort_onesweep_config_selectorIddEEZNS1_34radix_sort_onesweep_global_offsetsIS3_Lb0EN6thrust23THRUST_200600_302600_NS6detail15normal_iteratorINS8_10device_ptrIdEEEESD_jNS0_19identity_decomposerEEE10hipError_tT1_T2_PT3_SI_jT4_jjP12ihipStream_tbEUlT_E_NS1_11comp_targetILNS1_3genE6ELNS1_11target_archE950ELNS1_3gpuE13ELNS1_3repE0EEENS1_52radix_sort_onesweep_histogram_config_static_selectorELNS0_4arch9wavefront6targetE1EEEvSG_,comdat
	.protected	_ZN7rocprim17ROCPRIM_400000_NS6detail17trampoline_kernelINS0_14default_configENS1_35radix_sort_onesweep_config_selectorIddEEZNS1_34radix_sort_onesweep_global_offsetsIS3_Lb0EN6thrust23THRUST_200600_302600_NS6detail15normal_iteratorINS8_10device_ptrIdEEEESD_jNS0_19identity_decomposerEEE10hipError_tT1_T2_PT3_SI_jT4_jjP12ihipStream_tbEUlT_E_NS1_11comp_targetILNS1_3genE6ELNS1_11target_archE950ELNS1_3gpuE13ELNS1_3repE0EEENS1_52radix_sort_onesweep_histogram_config_static_selectorELNS0_4arch9wavefront6targetE1EEEvSG_ ; -- Begin function _ZN7rocprim17ROCPRIM_400000_NS6detail17trampoline_kernelINS0_14default_configENS1_35radix_sort_onesweep_config_selectorIddEEZNS1_34radix_sort_onesweep_global_offsetsIS3_Lb0EN6thrust23THRUST_200600_302600_NS6detail15normal_iteratorINS8_10device_ptrIdEEEESD_jNS0_19identity_decomposerEEE10hipError_tT1_T2_PT3_SI_jT4_jjP12ihipStream_tbEUlT_E_NS1_11comp_targetILNS1_3genE6ELNS1_11target_archE950ELNS1_3gpuE13ELNS1_3repE0EEENS1_52radix_sort_onesweep_histogram_config_static_selectorELNS0_4arch9wavefront6targetE1EEEvSG_
	.globl	_ZN7rocprim17ROCPRIM_400000_NS6detail17trampoline_kernelINS0_14default_configENS1_35radix_sort_onesweep_config_selectorIddEEZNS1_34radix_sort_onesweep_global_offsetsIS3_Lb0EN6thrust23THRUST_200600_302600_NS6detail15normal_iteratorINS8_10device_ptrIdEEEESD_jNS0_19identity_decomposerEEE10hipError_tT1_T2_PT3_SI_jT4_jjP12ihipStream_tbEUlT_E_NS1_11comp_targetILNS1_3genE6ELNS1_11target_archE950ELNS1_3gpuE13ELNS1_3repE0EEENS1_52radix_sort_onesweep_histogram_config_static_selectorELNS0_4arch9wavefront6targetE1EEEvSG_
	.p2align	8
	.type	_ZN7rocprim17ROCPRIM_400000_NS6detail17trampoline_kernelINS0_14default_configENS1_35radix_sort_onesweep_config_selectorIddEEZNS1_34radix_sort_onesweep_global_offsetsIS3_Lb0EN6thrust23THRUST_200600_302600_NS6detail15normal_iteratorINS8_10device_ptrIdEEEESD_jNS0_19identity_decomposerEEE10hipError_tT1_T2_PT3_SI_jT4_jjP12ihipStream_tbEUlT_E_NS1_11comp_targetILNS1_3genE6ELNS1_11target_archE950ELNS1_3gpuE13ELNS1_3repE0EEENS1_52radix_sort_onesweep_histogram_config_static_selectorELNS0_4arch9wavefront6targetE1EEEvSG_,@function
_ZN7rocprim17ROCPRIM_400000_NS6detail17trampoline_kernelINS0_14default_configENS1_35radix_sort_onesweep_config_selectorIddEEZNS1_34radix_sort_onesweep_global_offsetsIS3_Lb0EN6thrust23THRUST_200600_302600_NS6detail15normal_iteratorINS8_10device_ptrIdEEEESD_jNS0_19identity_decomposerEEE10hipError_tT1_T2_PT3_SI_jT4_jjP12ihipStream_tbEUlT_E_NS1_11comp_targetILNS1_3genE6ELNS1_11target_archE950ELNS1_3gpuE13ELNS1_3repE0EEENS1_52radix_sort_onesweep_histogram_config_static_selectorELNS0_4arch9wavefront6targetE1EEEvSG_: ; @_ZN7rocprim17ROCPRIM_400000_NS6detail17trampoline_kernelINS0_14default_configENS1_35radix_sort_onesweep_config_selectorIddEEZNS1_34radix_sort_onesweep_global_offsetsIS3_Lb0EN6thrust23THRUST_200600_302600_NS6detail15normal_iteratorINS8_10device_ptrIdEEEESD_jNS0_19identity_decomposerEEE10hipError_tT1_T2_PT3_SI_jT4_jjP12ihipStream_tbEUlT_E_NS1_11comp_targetILNS1_3genE6ELNS1_11target_archE950ELNS1_3gpuE13ELNS1_3repE0EEENS1_52radix_sort_onesweep_histogram_config_static_selectorELNS0_4arch9wavefront6targetE1EEEvSG_
; %bb.0:
	s_load_dword s11, s[0:1], 0x14
	s_load_dwordx4 s[4:7], s[0:1], 0x0
	s_load_dwordx2 s[8:9], s[0:1], 0x1c
	s_lshl_b32 s10, s2, 13
	s_waitcnt lgkmcnt(0)
	s_cmp_ge_u32 s2, s11
	s_mov_b64 s[2:3], -1
	s_cbranch_scc0 .LBB83_319
; %bb.1:
	s_load_dword s2, s[0:1], 0x10
	s_lshl_b32 s3, s11, 13
	s_mov_b32 s11, 0
	s_lshl_b64 s[0:1], s[10:11], 3
                                        ; implicit-def: $vgpr16_vgpr17
	s_waitcnt lgkmcnt(0)
	s_sub_i32 s11, s2, s3
	s_add_u32 s0, s4, s0
	s_addc_u32 s1, s5, s1
	v_cmp_gt_u32_e32 vcc, s11, v0
	s_and_saveexec_b64 s[2:3], vcc
	s_cbranch_execz .LBB83_3
; %bb.2:
	v_lshlrev_b32_e32 v1, 3, v0
	global_load_dwordx2 v[16:17], v1, s[0:1]
.LBB83_3:
	s_or_b64 exec, exec, s[2:3]
	v_or_b32_e32 v25, 0x400, v0
	v_cmp_gt_u32_e32 vcc, s11, v25
                                        ; implicit-def: $vgpr14_vgpr15
	s_and_saveexec_b64 s[2:3], vcc
	s_cbranch_execz .LBB83_5
; %bb.4:
	v_lshlrev_b32_e32 v1, 3, v25
	global_load_dwordx2 v[14:15], v1, s[0:1]
.LBB83_5:
	s_or_b64 exec, exec, s[2:3]
	v_or_b32_e32 v24, 0x800, v0
	v_cmp_gt_u32_e32 vcc, s11, v24
                                        ; implicit-def: $vgpr12_vgpr13
	s_and_saveexec_b64 s[2:3], vcc
	s_cbranch_execz .LBB83_7
; %bb.6:
	v_lshlrev_b32_e32 v1, 3, v24
	global_load_dwordx2 v[12:13], v1, s[0:1]
.LBB83_7:
	s_or_b64 exec, exec, s[2:3]
	v_or_b32_e32 v23, 0xc00, v0
	v_cmp_gt_u32_e32 vcc, s11, v23
                                        ; implicit-def: $vgpr10_vgpr11
	s_and_saveexec_b64 s[2:3], vcc
	s_cbranch_execz .LBB83_9
; %bb.8:
	v_lshlrev_b32_e32 v1, 3, v23
	global_load_dwordx2 v[10:11], v1, s[0:1]
.LBB83_9:
	s_or_b64 exec, exec, s[2:3]
	v_or_b32_e32 v22, 0x1000, v0
	v_cmp_gt_u32_e32 vcc, s11, v22
                                        ; implicit-def: $vgpr8_vgpr9
	s_and_saveexec_b64 s[2:3], vcc
	s_cbranch_execz .LBB83_11
; %bb.10:
	v_lshlrev_b32_e32 v1, 3, v22
	global_load_dwordx2 v[8:9], v1, s[0:1]
.LBB83_11:
	s_or_b64 exec, exec, s[2:3]
	v_or_b32_e32 v21, 0x1400, v0
	v_cmp_gt_u32_e32 vcc, s11, v21
                                        ; implicit-def: $vgpr6_vgpr7
	s_and_saveexec_b64 s[2:3], vcc
	s_cbranch_execz .LBB83_13
; %bb.12:
	v_lshlrev_b32_e32 v1, 3, v21
	global_load_dwordx2 v[6:7], v1, s[0:1]
.LBB83_13:
	s_or_b64 exec, exec, s[2:3]
	v_or_b32_e32 v20, 0x1800, v0
	v_cmp_gt_u32_e32 vcc, s11, v20
                                        ; implicit-def: $vgpr4_vgpr5
	s_and_saveexec_b64 s[2:3], vcc
	s_cbranch_execz .LBB83_15
; %bb.14:
	v_lshlrev_b32_e32 v1, 3, v20
	global_load_dwordx2 v[4:5], v1, s[0:1]
.LBB83_15:
	s_or_b64 exec, exec, s[2:3]
	v_or_b32_e32 v19, 0x1c00, v0
	v_cmp_gt_u32_e32 vcc, s11, v19
                                        ; implicit-def: $vgpr2_vgpr3
	s_and_saveexec_b64 s[2:3], vcc
	s_cbranch_execz .LBB83_17
; %bb.16:
	v_lshlrev_b32_e32 v1, 3, v19
	global_load_dwordx2 v[2:3], v1, s[0:1]
.LBB83_17:
	s_or_b64 exec, exec, s[2:3]
	s_cmp_le_u32 s9, s8
	v_lshlrev_b32_e32 v1, 2, v0
	v_mov_b32_e32 v26, 0
	s_cselect_b64 s[2:3], -1, 0
	ds_write2st64_b32 v1, v26, v26 offset1:16
	ds_write2st64_b32 v1, v26, v26 offset0:32 offset1:48
	ds_write2st64_b32 v1, v26, v26 offset0:64 offset1:80
	;; [unrolled: 1-line block ×3, first 2 shown]
	v_bfrev_b32_e32 v26, 1
	s_waitcnt vmcnt(0)
	v_cmp_lt_i64_e32 vcc, -1, v[16:17]
	s_and_b64 s[12:13], s[2:3], exec
	v_ashrrev_i32_e32 v28, 31, v17
	v_cndmask_b32_e32 v27, -1, v26, vcc
	v_cmp_le_u32_e32 vcc, s11, v0
	s_cselect_b32 s18, 8, 10
	v_and_b32_e32 v18, 3, v0
	s_mov_b32 s0, -1
	v_xor_b32_e32 v17, v27, v17
	v_xor_b32_e32 v16, v28, v16
	s_nor_b64 s[14:15], s[2:3], vcc
	v_mov_b32_e32 v27, s18
	s_waitcnt lgkmcnt(0)
	s_barrier
	s_and_saveexec_b64 s[12:13], s[14:15]
	s_cbranch_execz .LBB83_19
; %bb.18:
	s_sub_i32 s1, s9, s8
	s_min_u32 s14, s1, 8
	s_brev_b32 s1, -2
	v_cmp_ne_u64_e64 s[0:1], s[0:1], v[16:17]
	s_nop 1
	v_cndmask_b32_e64 v27, v26, v17, s[0:1]
	v_cndmask_b32_e64 v26, 0, v16, s[0:1]
	v_lshrrev_b64 v[26:27], s8, v[26:27]
	v_bfe_u32 v26, v26, 0, s14
	v_lshlrev_b32_e32 v27, 2, v18
	v_lshl_or_b32 v26, v26, 4, v27
	v_mov_b32_e32 v27, 1
	ds_add_u32 v26, v27
	v_mov_b32_e32 v27, 0
.LBB83_19:
	s_or_b64 exec, exec, s[12:13]
	v_cmp_gt_i32_e64 s[0:1], 10, v27
	s_mov_b64 s[14:15], -1
	s_and_saveexec_b64 s[12:13], s[0:1]
; %bb.20:
	v_cmp_eq_u32_e64 s[0:1], 0, v27
	s_orn2_b64 s[14:15], s[0:1], exec
; %bb.21:
	s_or_b64 exec, exec, s[12:13]
	s_and_saveexec_b64 s[12:13], s[14:15]
	s_cbranch_execz .LBB83_54
; %bb.22:
	s_add_i32 s16, s8, 8
	s_cmp_le_u32 s9, s16
	s_cselect_b64 s[0:1], -1, 0
	s_and_b64 s[14:15], s[0:1], exec
	s_cselect_b32 s14, 8, 10
	s_nor_b64 s[0:1], s[0:1], vcc
	v_mov_b32_e32 v26, s14
	s_and_saveexec_b64 s[14:15], s[0:1]
	s_cbranch_execz .LBB83_24
; %bb.23:
	s_sub_i32 s0, s9, s16
	s_min_u32 s17, s0, 8
	s_mov_b32 s0, -1
	s_brev_b32 s1, -2
	v_bfrev_b32_e32 v26, 1
	v_cmp_ne_u64_e64 s[0:1], s[0:1], v[16:17]
	s_nop 1
	v_cndmask_b32_e64 v27, v26, v17, s[0:1]
	v_cndmask_b32_e64 v26, 0, v16, s[0:1]
	v_lshrrev_b64 v[26:27], s16, v[26:27]
	v_bfe_u32 v26, v26, 0, s17
	v_lshlrev_b32_e32 v27, 2, v18
	v_lshl_or_b32 v26, v26, 4, v27
	v_mov_b32_e32 v27, 1
	ds_add_u32 v26, v27 offset:4096
	v_mov_b32_e32 v26, 0
.LBB83_24:
	s_or_b64 exec, exec, s[14:15]
	v_cmp_gt_i32_e64 s[0:1], 10, v26
	s_mov_b64 s[14:15], -1
	s_and_saveexec_b64 s[16:17], s[0:1]
; %bb.25:
	v_cmp_eq_u32_e64 s[0:1], 0, v26
	s_orn2_b64 s[14:15], s[0:1], exec
; %bb.26:
	s_or_b64 exec, exec, s[16:17]
	s_and_b64 exec, exec, s[14:15]
	s_cbranch_execz .LBB83_54
; %bb.27:
	s_add_i32 s16, s8, 16
	s_cmp_le_u32 s9, s16
	s_cselect_b64 s[0:1], -1, 0
	s_and_b64 s[14:15], s[0:1], exec
	s_cselect_b32 s14, 8, 10
	s_nor_b64 s[0:1], s[0:1], vcc
	v_mov_b32_e32 v26, s14
	s_and_saveexec_b64 s[14:15], s[0:1]
	s_cbranch_execz .LBB83_29
; %bb.28:
	s_sub_i32 s0, s9, s16
	s_min_u32 s17, s0, 8
	s_mov_b32 s0, -1
	s_brev_b32 s1, -2
	v_bfrev_b32_e32 v26, 1
	v_cmp_ne_u64_e64 s[0:1], s[0:1], v[16:17]
	s_nop 1
	v_cndmask_b32_e64 v27, v26, v17, s[0:1]
	v_cndmask_b32_e64 v26, 0, v16, s[0:1]
	v_lshrrev_b64 v[26:27], s16, v[26:27]
	v_bfe_u32 v26, v26, 0, s17
	v_lshlrev_b32_e32 v27, 2, v18
	v_lshl_or_b32 v26, v26, 4, v27
	v_mov_b32_e32 v27, 1
	ds_add_u32 v26, v27 offset:8192
	v_mov_b32_e32 v26, 0
.LBB83_29:
	s_or_b64 exec, exec, s[14:15]
	v_cmp_gt_i32_e64 s[0:1], 10, v26
	s_mov_b64 s[14:15], -1
	s_and_saveexec_b64 s[16:17], s[0:1]
; %bb.30:
	v_cmp_eq_u32_e64 s[0:1], 0, v26
	s_orn2_b64 s[14:15], s[0:1], exec
; %bb.31:
	s_or_b64 exec, exec, s[16:17]
	s_and_b64 exec, exec, s[14:15]
	;; [unrolled: 39-line block ×6, first 2 shown]
	s_cbranch_execz .LBB83_54
; %bb.52:
	s_add_i32 s0, s8, 56
	s_cmp_gt_u32 s9, s0
	s_cselect_b64 s[14:15], -1, 0
	s_xor_b64 s[16:17], vcc, -1
	s_and_b64 s[14:15], s[14:15], s[16:17]
	s_and_b64 exec, exec, s[14:15]
	s_cbranch_execz .LBB83_54
; %bb.53:
	s_mov_b32 s14, -1
	s_brev_b32 s15, -2
	v_bfrev_b32_e32 v26, 1
	v_cmp_ne_u64_e32 vcc, s[14:15], v[16:17]
	s_sub_i32 s1, s9, s0
	s_min_u32 s1, s1, 8
	v_cndmask_b32_e32 v17, v26, v17, vcc
	v_cndmask_b32_e32 v16, 0, v16, vcc
	v_lshrrev_b64 v[16:17], s0, v[16:17]
	v_bfe_u32 v16, v16, 0, s1
	v_lshlrev_b32_e32 v17, 2, v18
	v_lshl_or_b32 v16, v16, 4, v17
	v_mov_b32_e32 v17, 1
	ds_add_u32 v16, v17 offset:28672
.LBB83_54:
	s_or_b64 exec, exec, s[12:13]
	v_bfrev_b32_e32 v16, 1
	v_cmp_lt_i64_e32 vcc, -1, v[14:15]
	v_ashrrev_i32_e32 v26, 31, v15
	s_mov_b32 s0, -1
	v_cndmask_b32_e32 v17, -1, v16, vcc
	v_cmp_le_u32_e32 vcc, s11, v25
	v_xor_b32_e32 v15, v17, v15
	v_xor_b32_e32 v14, v26, v14
	s_nor_b64 s[14:15], s[2:3], vcc
	v_mov_b32_e32 v17, s18
	s_and_saveexec_b64 s[12:13], s[14:15]
	s_cbranch_execz .LBB83_56
; %bb.55:
	s_sub_i32 s1, s9, s8
	s_min_u32 s14, s1, 8
	s_brev_b32 s1, -2
	v_cmp_ne_u64_e64 s[0:1], s[0:1], v[14:15]
	s_nop 1
	v_cndmask_b32_e64 v17, v16, v15, s[0:1]
	v_cndmask_b32_e64 v16, 0, v14, s[0:1]
	v_lshrrev_b64 v[16:17], s8, v[16:17]
	v_bfe_u32 v16, v16, 0, s14
	v_lshlrev_b32_e32 v17, 2, v18
	v_lshl_or_b32 v16, v16, 4, v17
	v_mov_b32_e32 v17, 1
	ds_add_u32 v16, v17
	v_mov_b32_e32 v17, 0
.LBB83_56:
	s_or_b64 exec, exec, s[12:13]
	v_cmp_gt_i32_e64 s[0:1], 10, v17
	s_mov_b64 s[14:15], -1
	s_and_saveexec_b64 s[12:13], s[0:1]
; %bb.57:
	v_cmp_eq_u32_e64 s[0:1], 0, v17
	s_orn2_b64 s[14:15], s[0:1], exec
; %bb.58:
	s_or_b64 exec, exec, s[12:13]
	s_and_saveexec_b64 s[12:13], s[14:15]
	s_cbranch_execz .LBB83_91
; %bb.59:
	s_add_i32 s16, s8, 8
	s_cmp_le_u32 s9, s16
	s_cselect_b64 s[0:1], -1, 0
	s_and_b64 s[14:15], s[0:1], exec
	s_cselect_b32 s14, 8, 10
	s_nor_b64 s[0:1], s[0:1], vcc
	v_mov_b32_e32 v16, s14
	s_and_saveexec_b64 s[14:15], s[0:1]
	s_cbranch_execz .LBB83_61
; %bb.60:
	s_sub_i32 s0, s9, s16
	s_min_u32 s17, s0, 8
	s_mov_b32 s0, -1
	s_brev_b32 s1, -2
	v_bfrev_b32_e32 v16, 1
	v_cmp_ne_u64_e64 s[0:1], s[0:1], v[14:15]
	s_nop 1
	v_cndmask_b32_e64 v17, v16, v15, s[0:1]
	v_cndmask_b32_e64 v16, 0, v14, s[0:1]
	v_lshrrev_b64 v[16:17], s16, v[16:17]
	v_bfe_u32 v16, v16, 0, s17
	v_lshlrev_b32_e32 v17, 2, v18
	v_lshl_or_b32 v16, v16, 4, v17
	v_mov_b32_e32 v17, 1
	ds_add_u32 v16, v17 offset:4096
	v_mov_b32_e32 v16, 0
.LBB83_61:
	s_or_b64 exec, exec, s[14:15]
	v_cmp_gt_i32_e64 s[0:1], 10, v16
	s_mov_b64 s[14:15], -1
	s_and_saveexec_b64 s[16:17], s[0:1]
; %bb.62:
	v_cmp_eq_u32_e64 s[0:1], 0, v16
	s_orn2_b64 s[14:15], s[0:1], exec
; %bb.63:
	s_or_b64 exec, exec, s[16:17]
	s_and_b64 exec, exec, s[14:15]
	s_cbranch_execz .LBB83_91
; %bb.64:
	s_add_i32 s16, s8, 16
	s_cmp_le_u32 s9, s16
	s_cselect_b64 s[0:1], -1, 0
	s_and_b64 s[14:15], s[0:1], exec
	s_cselect_b32 s14, 8, 10
	s_nor_b64 s[0:1], s[0:1], vcc
	v_mov_b32_e32 v16, s14
	s_and_saveexec_b64 s[14:15], s[0:1]
	s_cbranch_execz .LBB83_66
; %bb.65:
	s_sub_i32 s0, s9, s16
	s_min_u32 s17, s0, 8
	s_mov_b32 s0, -1
	s_brev_b32 s1, -2
	v_bfrev_b32_e32 v16, 1
	v_cmp_ne_u64_e64 s[0:1], s[0:1], v[14:15]
	s_nop 1
	v_cndmask_b32_e64 v17, v16, v15, s[0:1]
	v_cndmask_b32_e64 v16, 0, v14, s[0:1]
	v_lshrrev_b64 v[16:17], s16, v[16:17]
	v_bfe_u32 v16, v16, 0, s17
	v_lshlrev_b32_e32 v17, 2, v18
	v_lshl_or_b32 v16, v16, 4, v17
	v_mov_b32_e32 v17, 1
	ds_add_u32 v16, v17 offset:8192
	v_mov_b32_e32 v16, 0
.LBB83_66:
	s_or_b64 exec, exec, s[14:15]
	v_cmp_gt_i32_e64 s[0:1], 10, v16
	s_mov_b64 s[14:15], -1
	s_and_saveexec_b64 s[16:17], s[0:1]
; %bb.67:
	v_cmp_eq_u32_e64 s[0:1], 0, v16
	s_orn2_b64 s[14:15], s[0:1], exec
; %bb.68:
	s_or_b64 exec, exec, s[16:17]
	s_and_b64 exec, exec, s[14:15]
	s_cbranch_execz .LBB83_91
; %bb.69:
	s_add_i32 s16, s8, 24
	s_cmp_le_u32 s9, s16
	s_cselect_b64 s[0:1], -1, 0
	s_and_b64 s[14:15], s[0:1], exec
	s_cselect_b32 s14, 8, 10
	s_nor_b64 s[0:1], s[0:1], vcc
	v_mov_b32_e32 v16, s14
	s_and_saveexec_b64 s[14:15], s[0:1]
	s_cbranch_execz .LBB83_71
; %bb.70:
	s_sub_i32 s0, s9, s16
	s_min_u32 s17, s0, 8
	s_mov_b32 s0, -1
	s_brev_b32 s1, -2
	v_bfrev_b32_e32 v16, 1
	v_cmp_ne_u64_e64 s[0:1], s[0:1], v[14:15]
	s_nop 1
	v_cndmask_b32_e64 v17, v16, v15, s[0:1]
	v_cndmask_b32_e64 v16, 0, v14, s[0:1]
	v_lshrrev_b64 v[16:17], s16, v[16:17]
	v_bfe_u32 v16, v16, 0, s17
	v_lshlrev_b32_e32 v17, 2, v18
	v_lshl_or_b32 v16, v16, 4, v17
	v_mov_b32_e32 v17, 1
	ds_add_u32 v16, v17 offset:12288
	v_mov_b32_e32 v16, 0
.LBB83_71:
	s_or_b64 exec, exec, s[14:15]
	v_cmp_gt_i32_e64 s[0:1], 10, v16
	s_mov_b64 s[14:15], -1
	s_and_saveexec_b64 s[16:17], s[0:1]
; %bb.72:
	v_cmp_eq_u32_e64 s[0:1], 0, v16
	s_orn2_b64 s[14:15], s[0:1], exec
; %bb.73:
	s_or_b64 exec, exec, s[16:17]
	s_and_b64 exec, exec, s[14:15]
	s_cbranch_execz .LBB83_91
; %bb.74:
	s_add_i32 s16, s8, 32
	s_cmp_le_u32 s9, s16
	s_cselect_b64 s[0:1], -1, 0
	s_and_b64 s[14:15], s[0:1], exec
	s_cselect_b32 s14, 8, 10
	s_nor_b64 s[0:1], s[0:1], vcc
	v_mov_b32_e32 v16, s14
	s_and_saveexec_b64 s[14:15], s[0:1]
	s_cbranch_execz .LBB83_76
; %bb.75:
	s_sub_i32 s0, s9, s16
	s_min_u32 s17, s0, 8
	s_mov_b32 s0, -1
	s_brev_b32 s1, -2
	v_bfrev_b32_e32 v16, 1
	v_cmp_ne_u64_e64 s[0:1], s[0:1], v[14:15]
	s_nop 1
	v_cndmask_b32_e64 v17, v16, v15, s[0:1]
	v_cndmask_b32_e64 v16, 0, v14, s[0:1]
	v_lshrrev_b64 v[16:17], s16, v[16:17]
	v_bfe_u32 v16, v16, 0, s17
	v_lshlrev_b32_e32 v17, 2, v18
	v_lshl_or_b32 v16, v16, 4, v17
	v_mov_b32_e32 v17, 1
	ds_add_u32 v16, v17 offset:16384
	v_mov_b32_e32 v16, 0
.LBB83_76:
	s_or_b64 exec, exec, s[14:15]
	v_cmp_gt_i32_e64 s[0:1], 10, v16
	s_mov_b64 s[14:15], -1
	s_and_saveexec_b64 s[16:17], s[0:1]
; %bb.77:
	v_cmp_eq_u32_e64 s[0:1], 0, v16
	s_orn2_b64 s[14:15], s[0:1], exec
; %bb.78:
	s_or_b64 exec, exec, s[16:17]
	s_and_b64 exec, exec, s[14:15]
	s_cbranch_execz .LBB83_91
; %bb.79:
	s_add_i32 s16, s8, 40
	s_cmp_le_u32 s9, s16
	s_cselect_b64 s[0:1], -1, 0
	s_and_b64 s[14:15], s[0:1], exec
	s_cselect_b32 s14, 8, 10
	s_nor_b64 s[0:1], s[0:1], vcc
	v_mov_b32_e32 v16, s14
	s_and_saveexec_b64 s[14:15], s[0:1]
	s_cbranch_execz .LBB83_81
; %bb.80:
	s_sub_i32 s0, s9, s16
	s_min_u32 s17, s0, 8
	s_mov_b32 s0, -1
	s_brev_b32 s1, -2
	v_bfrev_b32_e32 v16, 1
	v_cmp_ne_u64_e64 s[0:1], s[0:1], v[14:15]
	s_nop 1
	v_cndmask_b32_e64 v17, v16, v15, s[0:1]
	v_cndmask_b32_e64 v16, 0, v14, s[0:1]
	v_lshrrev_b64 v[16:17], s16, v[16:17]
	v_bfe_u32 v16, v16, 0, s17
	v_lshlrev_b32_e32 v17, 2, v18
	v_lshl_or_b32 v16, v16, 4, v17
	v_mov_b32_e32 v17, 1
	ds_add_u32 v16, v17 offset:20480
	v_mov_b32_e32 v16, 0
.LBB83_81:
	s_or_b64 exec, exec, s[14:15]
	v_cmp_gt_i32_e64 s[0:1], 10, v16
	s_mov_b64 s[14:15], -1
	s_and_saveexec_b64 s[16:17], s[0:1]
; %bb.82:
	v_cmp_eq_u32_e64 s[0:1], 0, v16
	s_orn2_b64 s[14:15], s[0:1], exec
; %bb.83:
	s_or_b64 exec, exec, s[16:17]
	s_and_b64 exec, exec, s[14:15]
	s_cbranch_execz .LBB83_91
; %bb.84:
	s_add_i32 s16, s8, 48
	s_cmp_le_u32 s9, s16
	s_cselect_b64 s[0:1], -1, 0
	s_and_b64 s[14:15], s[0:1], exec
	s_cselect_b32 s14, 8, 10
	s_nor_b64 s[0:1], s[0:1], vcc
	v_mov_b32_e32 v16, s14
	s_and_saveexec_b64 s[14:15], s[0:1]
	s_cbranch_execz .LBB83_86
; %bb.85:
	s_sub_i32 s0, s9, s16
	s_min_u32 s17, s0, 8
	s_mov_b32 s0, -1
	s_brev_b32 s1, -2
	v_bfrev_b32_e32 v16, 1
	v_cmp_ne_u64_e64 s[0:1], s[0:1], v[14:15]
	s_nop 1
	v_cndmask_b32_e64 v17, v16, v15, s[0:1]
	v_cndmask_b32_e64 v16, 0, v14, s[0:1]
	v_lshrrev_b64 v[16:17], s16, v[16:17]
	v_bfe_u32 v16, v16, 0, s17
	v_lshlrev_b32_e32 v17, 2, v18
	v_lshl_or_b32 v16, v16, 4, v17
	v_mov_b32_e32 v17, 1
	ds_add_u32 v16, v17 offset:24576
	v_mov_b32_e32 v16, 0
.LBB83_86:
	s_or_b64 exec, exec, s[14:15]
	v_cmp_gt_i32_e64 s[0:1], 10, v16
	s_mov_b64 s[14:15], -1
	s_and_saveexec_b64 s[16:17], s[0:1]
; %bb.87:
	v_cmp_eq_u32_e64 s[0:1], 0, v16
	s_orn2_b64 s[14:15], s[0:1], exec
; %bb.88:
	s_or_b64 exec, exec, s[16:17]
	s_and_b64 exec, exec, s[14:15]
	s_cbranch_execz .LBB83_91
; %bb.89:
	s_add_i32 s0, s8, 56
	s_cmp_gt_u32 s9, s0
	s_cselect_b64 s[14:15], -1, 0
	s_xor_b64 s[16:17], vcc, -1
	s_and_b64 s[14:15], s[14:15], s[16:17]
	s_and_b64 exec, exec, s[14:15]
	s_cbranch_execz .LBB83_91
; %bb.90:
	s_mov_b32 s14, -1
	s_brev_b32 s15, -2
	v_bfrev_b32_e32 v16, 1
	v_cmp_ne_u64_e32 vcc, s[14:15], v[14:15]
	s_sub_i32 s1, s9, s0
	s_min_u32 s1, s1, 8
	v_cndmask_b32_e32 v15, v16, v15, vcc
	v_cndmask_b32_e32 v14, 0, v14, vcc
	v_lshrrev_b64 v[14:15], s0, v[14:15]
	v_bfe_u32 v14, v14, 0, s1
	v_lshlrev_b32_e32 v15, 2, v18
	v_lshl_or_b32 v14, v14, 4, v15
	v_mov_b32_e32 v15, 1
	ds_add_u32 v14, v15 offset:28672
.LBB83_91:
	s_or_b64 exec, exec, s[12:13]
	v_bfrev_b32_e32 v14, 1
	v_cmp_lt_i64_e32 vcc, -1, v[12:13]
	v_ashrrev_i32_e32 v16, 31, v13
	s_mov_b32 s0, -1
	v_cndmask_b32_e32 v15, -1, v14, vcc
	v_cmp_le_u32_e32 vcc, s11, v24
	v_xor_b32_e32 v13, v15, v13
	v_xor_b32_e32 v12, v16, v12
	s_nor_b64 s[14:15], s[2:3], vcc
	v_mov_b32_e32 v15, s18
	s_and_saveexec_b64 s[12:13], s[14:15]
	s_cbranch_execz .LBB83_93
; %bb.92:
	s_sub_i32 s1, s9, s8
	s_min_u32 s14, s1, 8
	s_brev_b32 s1, -2
	v_cmp_ne_u64_e64 s[0:1], s[0:1], v[12:13]
	s_nop 1
	v_cndmask_b32_e64 v15, v14, v13, s[0:1]
	v_cndmask_b32_e64 v14, 0, v12, s[0:1]
	v_lshrrev_b64 v[14:15], s8, v[14:15]
	v_bfe_u32 v14, v14, 0, s14
	v_lshlrev_b32_e32 v15, 2, v18
	v_lshl_or_b32 v14, v14, 4, v15
	v_mov_b32_e32 v15, 1
	ds_add_u32 v14, v15
	v_mov_b32_e32 v15, 0
.LBB83_93:
	s_or_b64 exec, exec, s[12:13]
	v_cmp_gt_i32_e64 s[0:1], 10, v15
	s_mov_b64 s[14:15], -1
	s_and_saveexec_b64 s[12:13], s[0:1]
; %bb.94:
	v_cmp_eq_u32_e64 s[0:1], 0, v15
	s_orn2_b64 s[14:15], s[0:1], exec
; %bb.95:
	s_or_b64 exec, exec, s[12:13]
	s_and_saveexec_b64 s[12:13], s[14:15]
	s_cbranch_execz .LBB83_128
; %bb.96:
	s_add_i32 s16, s8, 8
	s_cmp_le_u32 s9, s16
	s_cselect_b64 s[0:1], -1, 0
	s_and_b64 s[14:15], s[0:1], exec
	s_cselect_b32 s14, 8, 10
	s_nor_b64 s[0:1], s[0:1], vcc
	v_mov_b32_e32 v14, s14
	s_and_saveexec_b64 s[14:15], s[0:1]
	s_cbranch_execz .LBB83_98
; %bb.97:
	s_sub_i32 s0, s9, s16
	s_min_u32 s17, s0, 8
	s_mov_b32 s0, -1
	s_brev_b32 s1, -2
	v_bfrev_b32_e32 v14, 1
	v_cmp_ne_u64_e64 s[0:1], s[0:1], v[12:13]
	s_nop 1
	v_cndmask_b32_e64 v15, v14, v13, s[0:1]
	v_cndmask_b32_e64 v14, 0, v12, s[0:1]
	v_lshrrev_b64 v[14:15], s16, v[14:15]
	v_bfe_u32 v14, v14, 0, s17
	v_lshlrev_b32_e32 v15, 2, v18
	v_lshl_or_b32 v14, v14, 4, v15
	v_mov_b32_e32 v15, 1
	ds_add_u32 v14, v15 offset:4096
	v_mov_b32_e32 v14, 0
.LBB83_98:
	s_or_b64 exec, exec, s[14:15]
	v_cmp_gt_i32_e64 s[0:1], 10, v14
	s_mov_b64 s[14:15], -1
	s_and_saveexec_b64 s[16:17], s[0:1]
; %bb.99:
	v_cmp_eq_u32_e64 s[0:1], 0, v14
	s_orn2_b64 s[14:15], s[0:1], exec
; %bb.100:
	s_or_b64 exec, exec, s[16:17]
	s_and_b64 exec, exec, s[14:15]
	s_cbranch_execz .LBB83_128
; %bb.101:
	s_add_i32 s16, s8, 16
	s_cmp_le_u32 s9, s16
	s_cselect_b64 s[0:1], -1, 0
	s_and_b64 s[14:15], s[0:1], exec
	s_cselect_b32 s14, 8, 10
	s_nor_b64 s[0:1], s[0:1], vcc
	v_mov_b32_e32 v14, s14
	s_and_saveexec_b64 s[14:15], s[0:1]
	s_cbranch_execz .LBB83_103
; %bb.102:
	s_sub_i32 s0, s9, s16
	s_min_u32 s17, s0, 8
	s_mov_b32 s0, -1
	s_brev_b32 s1, -2
	v_bfrev_b32_e32 v14, 1
	v_cmp_ne_u64_e64 s[0:1], s[0:1], v[12:13]
	s_nop 1
	v_cndmask_b32_e64 v15, v14, v13, s[0:1]
	v_cndmask_b32_e64 v14, 0, v12, s[0:1]
	v_lshrrev_b64 v[14:15], s16, v[14:15]
	v_bfe_u32 v14, v14, 0, s17
	v_lshlrev_b32_e32 v15, 2, v18
	v_lshl_or_b32 v14, v14, 4, v15
	v_mov_b32_e32 v15, 1
	ds_add_u32 v14, v15 offset:8192
	v_mov_b32_e32 v14, 0
.LBB83_103:
	s_or_b64 exec, exec, s[14:15]
	v_cmp_gt_i32_e64 s[0:1], 10, v14
	s_mov_b64 s[14:15], -1
	s_and_saveexec_b64 s[16:17], s[0:1]
; %bb.104:
	v_cmp_eq_u32_e64 s[0:1], 0, v14
	s_orn2_b64 s[14:15], s[0:1], exec
; %bb.105:
	s_or_b64 exec, exec, s[16:17]
	s_and_b64 exec, exec, s[14:15]
	;; [unrolled: 39-line block ×6, first 2 shown]
	s_cbranch_execz .LBB83_128
; %bb.126:
	s_add_i32 s0, s8, 56
	s_cmp_gt_u32 s9, s0
	s_cselect_b64 s[14:15], -1, 0
	s_xor_b64 s[16:17], vcc, -1
	s_and_b64 s[14:15], s[14:15], s[16:17]
	s_and_b64 exec, exec, s[14:15]
	s_cbranch_execz .LBB83_128
; %bb.127:
	s_mov_b32 s14, -1
	s_brev_b32 s15, -2
	v_bfrev_b32_e32 v14, 1
	v_cmp_ne_u64_e32 vcc, s[14:15], v[12:13]
	s_sub_i32 s1, s9, s0
	s_min_u32 s1, s1, 8
	v_cndmask_b32_e32 v13, v14, v13, vcc
	v_cndmask_b32_e32 v12, 0, v12, vcc
	v_lshrrev_b64 v[12:13], s0, v[12:13]
	v_bfe_u32 v12, v12, 0, s1
	v_lshlrev_b32_e32 v13, 2, v18
	v_lshl_or_b32 v12, v12, 4, v13
	v_mov_b32_e32 v13, 1
	ds_add_u32 v12, v13 offset:28672
.LBB83_128:
	s_or_b64 exec, exec, s[12:13]
	v_bfrev_b32_e32 v12, 1
	v_cmp_lt_i64_e32 vcc, -1, v[10:11]
	v_ashrrev_i32_e32 v14, 31, v11
	s_mov_b32 s0, -1
	v_cndmask_b32_e32 v13, -1, v12, vcc
	v_cmp_le_u32_e32 vcc, s11, v23
	v_xor_b32_e32 v11, v13, v11
	v_xor_b32_e32 v10, v14, v10
	s_nor_b64 s[14:15], s[2:3], vcc
	v_mov_b32_e32 v13, s18
	s_and_saveexec_b64 s[12:13], s[14:15]
	s_cbranch_execz .LBB83_130
; %bb.129:
	s_sub_i32 s1, s9, s8
	s_min_u32 s14, s1, 8
	s_brev_b32 s1, -2
	v_cmp_ne_u64_e64 s[0:1], s[0:1], v[10:11]
	s_nop 1
	v_cndmask_b32_e64 v13, v12, v11, s[0:1]
	v_cndmask_b32_e64 v12, 0, v10, s[0:1]
	v_lshrrev_b64 v[12:13], s8, v[12:13]
	v_bfe_u32 v12, v12, 0, s14
	v_lshlrev_b32_e32 v13, 2, v18
	v_lshl_or_b32 v12, v12, 4, v13
	v_mov_b32_e32 v13, 1
	ds_add_u32 v12, v13
	v_mov_b32_e32 v13, 0
.LBB83_130:
	s_or_b64 exec, exec, s[12:13]
	v_cmp_gt_i32_e64 s[0:1], 10, v13
	s_mov_b64 s[14:15], -1
	s_and_saveexec_b64 s[12:13], s[0:1]
; %bb.131:
	v_cmp_eq_u32_e64 s[0:1], 0, v13
	s_orn2_b64 s[14:15], s[0:1], exec
; %bb.132:
	s_or_b64 exec, exec, s[12:13]
	s_and_saveexec_b64 s[12:13], s[14:15]
	s_cbranch_execz .LBB83_165
; %bb.133:
	s_add_i32 s16, s8, 8
	s_cmp_le_u32 s9, s16
	s_cselect_b64 s[0:1], -1, 0
	s_and_b64 s[14:15], s[0:1], exec
	s_cselect_b32 s14, 8, 10
	s_nor_b64 s[0:1], s[0:1], vcc
	v_mov_b32_e32 v12, s14
	s_and_saveexec_b64 s[14:15], s[0:1]
	s_cbranch_execz .LBB83_135
; %bb.134:
	s_sub_i32 s0, s9, s16
	s_min_u32 s17, s0, 8
	s_mov_b32 s0, -1
	s_brev_b32 s1, -2
	v_bfrev_b32_e32 v12, 1
	v_cmp_ne_u64_e64 s[0:1], s[0:1], v[10:11]
	s_nop 1
	v_cndmask_b32_e64 v13, v12, v11, s[0:1]
	v_cndmask_b32_e64 v12, 0, v10, s[0:1]
	v_lshrrev_b64 v[12:13], s16, v[12:13]
	v_bfe_u32 v12, v12, 0, s17
	v_lshlrev_b32_e32 v13, 2, v18
	v_lshl_or_b32 v12, v12, 4, v13
	v_mov_b32_e32 v13, 1
	ds_add_u32 v12, v13 offset:4096
	v_mov_b32_e32 v12, 0
.LBB83_135:
	s_or_b64 exec, exec, s[14:15]
	v_cmp_gt_i32_e64 s[0:1], 10, v12
	s_mov_b64 s[14:15], -1
	s_and_saveexec_b64 s[16:17], s[0:1]
; %bb.136:
	v_cmp_eq_u32_e64 s[0:1], 0, v12
	s_orn2_b64 s[14:15], s[0:1], exec
; %bb.137:
	s_or_b64 exec, exec, s[16:17]
	s_and_b64 exec, exec, s[14:15]
	s_cbranch_execz .LBB83_165
; %bb.138:
	s_add_i32 s16, s8, 16
	s_cmp_le_u32 s9, s16
	s_cselect_b64 s[0:1], -1, 0
	s_and_b64 s[14:15], s[0:1], exec
	s_cselect_b32 s14, 8, 10
	s_nor_b64 s[0:1], s[0:1], vcc
	v_mov_b32_e32 v12, s14
	s_and_saveexec_b64 s[14:15], s[0:1]
	s_cbranch_execz .LBB83_140
; %bb.139:
	s_sub_i32 s0, s9, s16
	s_min_u32 s17, s0, 8
	s_mov_b32 s0, -1
	s_brev_b32 s1, -2
	v_bfrev_b32_e32 v12, 1
	v_cmp_ne_u64_e64 s[0:1], s[0:1], v[10:11]
	s_nop 1
	v_cndmask_b32_e64 v13, v12, v11, s[0:1]
	v_cndmask_b32_e64 v12, 0, v10, s[0:1]
	v_lshrrev_b64 v[12:13], s16, v[12:13]
	v_bfe_u32 v12, v12, 0, s17
	v_lshlrev_b32_e32 v13, 2, v18
	v_lshl_or_b32 v12, v12, 4, v13
	v_mov_b32_e32 v13, 1
	ds_add_u32 v12, v13 offset:8192
	v_mov_b32_e32 v12, 0
.LBB83_140:
	s_or_b64 exec, exec, s[14:15]
	v_cmp_gt_i32_e64 s[0:1], 10, v12
	s_mov_b64 s[14:15], -1
	s_and_saveexec_b64 s[16:17], s[0:1]
; %bb.141:
	v_cmp_eq_u32_e64 s[0:1], 0, v12
	s_orn2_b64 s[14:15], s[0:1], exec
; %bb.142:
	s_or_b64 exec, exec, s[16:17]
	s_and_b64 exec, exec, s[14:15]
	s_cbranch_execz .LBB83_165
; %bb.143:
	s_add_i32 s16, s8, 24
	s_cmp_le_u32 s9, s16
	s_cselect_b64 s[0:1], -1, 0
	s_and_b64 s[14:15], s[0:1], exec
	s_cselect_b32 s14, 8, 10
	s_nor_b64 s[0:1], s[0:1], vcc
	v_mov_b32_e32 v12, s14
	s_and_saveexec_b64 s[14:15], s[0:1]
	s_cbranch_execz .LBB83_145
; %bb.144:
	s_sub_i32 s0, s9, s16
	s_min_u32 s17, s0, 8
	s_mov_b32 s0, -1
	s_brev_b32 s1, -2
	v_bfrev_b32_e32 v12, 1
	v_cmp_ne_u64_e64 s[0:1], s[0:1], v[10:11]
	s_nop 1
	v_cndmask_b32_e64 v13, v12, v11, s[0:1]
	v_cndmask_b32_e64 v12, 0, v10, s[0:1]
	v_lshrrev_b64 v[12:13], s16, v[12:13]
	v_bfe_u32 v12, v12, 0, s17
	v_lshlrev_b32_e32 v13, 2, v18
	v_lshl_or_b32 v12, v12, 4, v13
	v_mov_b32_e32 v13, 1
	ds_add_u32 v12, v13 offset:12288
	v_mov_b32_e32 v12, 0
.LBB83_145:
	s_or_b64 exec, exec, s[14:15]
	v_cmp_gt_i32_e64 s[0:1], 10, v12
	s_mov_b64 s[14:15], -1
	s_and_saveexec_b64 s[16:17], s[0:1]
; %bb.146:
	v_cmp_eq_u32_e64 s[0:1], 0, v12
	s_orn2_b64 s[14:15], s[0:1], exec
; %bb.147:
	s_or_b64 exec, exec, s[16:17]
	s_and_b64 exec, exec, s[14:15]
	s_cbranch_execz .LBB83_165
; %bb.148:
	s_add_i32 s16, s8, 32
	s_cmp_le_u32 s9, s16
	s_cselect_b64 s[0:1], -1, 0
	s_and_b64 s[14:15], s[0:1], exec
	s_cselect_b32 s14, 8, 10
	s_nor_b64 s[0:1], s[0:1], vcc
	v_mov_b32_e32 v12, s14
	s_and_saveexec_b64 s[14:15], s[0:1]
	s_cbranch_execz .LBB83_150
; %bb.149:
	s_sub_i32 s0, s9, s16
	s_min_u32 s17, s0, 8
	s_mov_b32 s0, -1
	s_brev_b32 s1, -2
	v_bfrev_b32_e32 v12, 1
	v_cmp_ne_u64_e64 s[0:1], s[0:1], v[10:11]
	s_nop 1
	v_cndmask_b32_e64 v13, v12, v11, s[0:1]
	v_cndmask_b32_e64 v12, 0, v10, s[0:1]
	v_lshrrev_b64 v[12:13], s16, v[12:13]
	v_bfe_u32 v12, v12, 0, s17
	v_lshlrev_b32_e32 v13, 2, v18
	v_lshl_or_b32 v12, v12, 4, v13
	v_mov_b32_e32 v13, 1
	ds_add_u32 v12, v13 offset:16384
	v_mov_b32_e32 v12, 0
.LBB83_150:
	s_or_b64 exec, exec, s[14:15]
	v_cmp_gt_i32_e64 s[0:1], 10, v12
	s_mov_b64 s[14:15], -1
	s_and_saveexec_b64 s[16:17], s[0:1]
; %bb.151:
	v_cmp_eq_u32_e64 s[0:1], 0, v12
	s_orn2_b64 s[14:15], s[0:1], exec
; %bb.152:
	s_or_b64 exec, exec, s[16:17]
	s_and_b64 exec, exec, s[14:15]
	s_cbranch_execz .LBB83_165
; %bb.153:
	s_add_i32 s16, s8, 40
	s_cmp_le_u32 s9, s16
	s_cselect_b64 s[0:1], -1, 0
	s_and_b64 s[14:15], s[0:1], exec
	s_cselect_b32 s14, 8, 10
	s_nor_b64 s[0:1], s[0:1], vcc
	v_mov_b32_e32 v12, s14
	s_and_saveexec_b64 s[14:15], s[0:1]
	s_cbranch_execz .LBB83_155
; %bb.154:
	s_sub_i32 s0, s9, s16
	s_min_u32 s17, s0, 8
	s_mov_b32 s0, -1
	s_brev_b32 s1, -2
	v_bfrev_b32_e32 v12, 1
	v_cmp_ne_u64_e64 s[0:1], s[0:1], v[10:11]
	s_nop 1
	v_cndmask_b32_e64 v13, v12, v11, s[0:1]
	v_cndmask_b32_e64 v12, 0, v10, s[0:1]
	v_lshrrev_b64 v[12:13], s16, v[12:13]
	v_bfe_u32 v12, v12, 0, s17
	v_lshlrev_b32_e32 v13, 2, v18
	v_lshl_or_b32 v12, v12, 4, v13
	v_mov_b32_e32 v13, 1
	ds_add_u32 v12, v13 offset:20480
	v_mov_b32_e32 v12, 0
.LBB83_155:
	s_or_b64 exec, exec, s[14:15]
	v_cmp_gt_i32_e64 s[0:1], 10, v12
	s_mov_b64 s[14:15], -1
	s_and_saveexec_b64 s[16:17], s[0:1]
; %bb.156:
	v_cmp_eq_u32_e64 s[0:1], 0, v12
	s_orn2_b64 s[14:15], s[0:1], exec
; %bb.157:
	s_or_b64 exec, exec, s[16:17]
	s_and_b64 exec, exec, s[14:15]
	s_cbranch_execz .LBB83_165
; %bb.158:
	s_add_i32 s16, s8, 48
	s_cmp_le_u32 s9, s16
	s_cselect_b64 s[0:1], -1, 0
	s_and_b64 s[14:15], s[0:1], exec
	s_cselect_b32 s14, 8, 10
	s_nor_b64 s[0:1], s[0:1], vcc
	v_mov_b32_e32 v12, s14
	s_and_saveexec_b64 s[14:15], s[0:1]
	s_cbranch_execz .LBB83_160
; %bb.159:
	s_sub_i32 s0, s9, s16
	s_min_u32 s17, s0, 8
	s_mov_b32 s0, -1
	s_brev_b32 s1, -2
	v_bfrev_b32_e32 v12, 1
	v_cmp_ne_u64_e64 s[0:1], s[0:1], v[10:11]
	s_nop 1
	v_cndmask_b32_e64 v13, v12, v11, s[0:1]
	v_cndmask_b32_e64 v12, 0, v10, s[0:1]
	v_lshrrev_b64 v[12:13], s16, v[12:13]
	v_bfe_u32 v12, v12, 0, s17
	v_lshlrev_b32_e32 v13, 2, v18
	v_lshl_or_b32 v12, v12, 4, v13
	v_mov_b32_e32 v13, 1
	ds_add_u32 v12, v13 offset:24576
	v_mov_b32_e32 v12, 0
.LBB83_160:
	s_or_b64 exec, exec, s[14:15]
	v_cmp_gt_i32_e64 s[0:1], 10, v12
	s_mov_b64 s[14:15], -1
	s_and_saveexec_b64 s[16:17], s[0:1]
; %bb.161:
	v_cmp_eq_u32_e64 s[0:1], 0, v12
	s_orn2_b64 s[14:15], s[0:1], exec
; %bb.162:
	s_or_b64 exec, exec, s[16:17]
	s_and_b64 exec, exec, s[14:15]
	s_cbranch_execz .LBB83_165
; %bb.163:
	s_add_i32 s0, s8, 56
	s_cmp_gt_u32 s9, s0
	s_cselect_b64 s[14:15], -1, 0
	s_xor_b64 s[16:17], vcc, -1
	s_and_b64 s[14:15], s[14:15], s[16:17]
	s_and_b64 exec, exec, s[14:15]
	s_cbranch_execz .LBB83_165
; %bb.164:
	s_mov_b32 s14, -1
	s_brev_b32 s15, -2
	v_bfrev_b32_e32 v12, 1
	v_cmp_ne_u64_e32 vcc, s[14:15], v[10:11]
	s_sub_i32 s1, s9, s0
	s_min_u32 s1, s1, 8
	v_cndmask_b32_e32 v11, v12, v11, vcc
	v_cndmask_b32_e32 v10, 0, v10, vcc
	v_lshrrev_b64 v[10:11], s0, v[10:11]
	v_bfe_u32 v10, v10, 0, s1
	v_lshlrev_b32_e32 v11, 2, v18
	v_lshl_or_b32 v10, v10, 4, v11
	v_mov_b32_e32 v11, 1
	ds_add_u32 v10, v11 offset:28672
.LBB83_165:
	s_or_b64 exec, exec, s[12:13]
	v_bfrev_b32_e32 v10, 1
	v_cmp_lt_i64_e32 vcc, -1, v[8:9]
	v_ashrrev_i32_e32 v12, 31, v9
	s_mov_b32 s0, -1
	v_cndmask_b32_e32 v11, -1, v10, vcc
	v_cmp_le_u32_e32 vcc, s11, v22
	v_xor_b32_e32 v9, v11, v9
	v_xor_b32_e32 v8, v12, v8
	s_nor_b64 s[14:15], s[2:3], vcc
	v_mov_b32_e32 v11, s18
	s_and_saveexec_b64 s[12:13], s[14:15]
	s_cbranch_execz .LBB83_167
; %bb.166:
	s_sub_i32 s1, s9, s8
	s_min_u32 s14, s1, 8
	s_brev_b32 s1, -2
	v_cmp_ne_u64_e64 s[0:1], s[0:1], v[8:9]
	s_nop 1
	v_cndmask_b32_e64 v11, v10, v9, s[0:1]
	v_cndmask_b32_e64 v10, 0, v8, s[0:1]
	v_lshrrev_b64 v[10:11], s8, v[10:11]
	v_bfe_u32 v10, v10, 0, s14
	v_lshlrev_b32_e32 v11, 2, v18
	v_lshl_or_b32 v10, v10, 4, v11
	v_mov_b32_e32 v11, 1
	ds_add_u32 v10, v11
	v_mov_b32_e32 v11, 0
.LBB83_167:
	s_or_b64 exec, exec, s[12:13]
	v_cmp_gt_i32_e64 s[0:1], 10, v11
	s_mov_b64 s[14:15], -1
	s_and_saveexec_b64 s[12:13], s[0:1]
; %bb.168:
	v_cmp_eq_u32_e64 s[0:1], 0, v11
	s_orn2_b64 s[14:15], s[0:1], exec
; %bb.169:
	s_or_b64 exec, exec, s[12:13]
	s_and_saveexec_b64 s[12:13], s[14:15]
	s_cbranch_execz .LBB83_202
; %bb.170:
	s_add_i32 s16, s8, 8
	s_cmp_le_u32 s9, s16
	s_cselect_b64 s[0:1], -1, 0
	s_and_b64 s[14:15], s[0:1], exec
	s_cselect_b32 s14, 8, 10
	s_nor_b64 s[0:1], s[0:1], vcc
	v_mov_b32_e32 v10, s14
	s_and_saveexec_b64 s[14:15], s[0:1]
	s_cbranch_execz .LBB83_172
; %bb.171:
	s_sub_i32 s0, s9, s16
	s_min_u32 s17, s0, 8
	s_mov_b32 s0, -1
	s_brev_b32 s1, -2
	v_bfrev_b32_e32 v10, 1
	v_cmp_ne_u64_e64 s[0:1], s[0:1], v[8:9]
	s_nop 1
	v_cndmask_b32_e64 v11, v10, v9, s[0:1]
	v_cndmask_b32_e64 v10, 0, v8, s[0:1]
	v_lshrrev_b64 v[10:11], s16, v[10:11]
	v_bfe_u32 v10, v10, 0, s17
	v_lshlrev_b32_e32 v11, 2, v18
	v_lshl_or_b32 v10, v10, 4, v11
	v_mov_b32_e32 v11, 1
	ds_add_u32 v10, v11 offset:4096
	v_mov_b32_e32 v10, 0
.LBB83_172:
	s_or_b64 exec, exec, s[14:15]
	v_cmp_gt_i32_e64 s[0:1], 10, v10
	s_mov_b64 s[14:15], -1
	s_and_saveexec_b64 s[16:17], s[0:1]
; %bb.173:
	v_cmp_eq_u32_e64 s[0:1], 0, v10
	s_orn2_b64 s[14:15], s[0:1], exec
; %bb.174:
	s_or_b64 exec, exec, s[16:17]
	s_and_b64 exec, exec, s[14:15]
	s_cbranch_execz .LBB83_202
; %bb.175:
	s_add_i32 s16, s8, 16
	s_cmp_le_u32 s9, s16
	s_cselect_b64 s[0:1], -1, 0
	s_and_b64 s[14:15], s[0:1], exec
	s_cselect_b32 s14, 8, 10
	s_nor_b64 s[0:1], s[0:1], vcc
	v_mov_b32_e32 v10, s14
	s_and_saveexec_b64 s[14:15], s[0:1]
	s_cbranch_execz .LBB83_177
; %bb.176:
	s_sub_i32 s0, s9, s16
	s_min_u32 s17, s0, 8
	s_mov_b32 s0, -1
	s_brev_b32 s1, -2
	v_bfrev_b32_e32 v10, 1
	v_cmp_ne_u64_e64 s[0:1], s[0:1], v[8:9]
	s_nop 1
	v_cndmask_b32_e64 v11, v10, v9, s[0:1]
	v_cndmask_b32_e64 v10, 0, v8, s[0:1]
	v_lshrrev_b64 v[10:11], s16, v[10:11]
	v_bfe_u32 v10, v10, 0, s17
	v_lshlrev_b32_e32 v11, 2, v18
	v_lshl_or_b32 v10, v10, 4, v11
	v_mov_b32_e32 v11, 1
	ds_add_u32 v10, v11 offset:8192
	v_mov_b32_e32 v10, 0
.LBB83_177:
	s_or_b64 exec, exec, s[14:15]
	v_cmp_gt_i32_e64 s[0:1], 10, v10
	s_mov_b64 s[14:15], -1
	s_and_saveexec_b64 s[16:17], s[0:1]
; %bb.178:
	v_cmp_eq_u32_e64 s[0:1], 0, v10
	s_orn2_b64 s[14:15], s[0:1], exec
; %bb.179:
	s_or_b64 exec, exec, s[16:17]
	s_and_b64 exec, exec, s[14:15]
	;; [unrolled: 39-line block ×6, first 2 shown]
	s_cbranch_execz .LBB83_202
; %bb.200:
	s_add_i32 s0, s8, 56
	s_cmp_gt_u32 s9, s0
	s_cselect_b64 s[14:15], -1, 0
	s_xor_b64 s[16:17], vcc, -1
	s_and_b64 s[14:15], s[14:15], s[16:17]
	s_and_b64 exec, exec, s[14:15]
	s_cbranch_execz .LBB83_202
; %bb.201:
	s_mov_b32 s14, -1
	s_brev_b32 s15, -2
	v_bfrev_b32_e32 v10, 1
	v_cmp_ne_u64_e32 vcc, s[14:15], v[8:9]
	s_sub_i32 s1, s9, s0
	s_min_u32 s1, s1, 8
	v_cndmask_b32_e32 v9, v10, v9, vcc
	v_cndmask_b32_e32 v8, 0, v8, vcc
	v_lshrrev_b64 v[8:9], s0, v[8:9]
	v_bfe_u32 v8, v8, 0, s1
	v_lshlrev_b32_e32 v9, 2, v18
	v_lshl_or_b32 v8, v8, 4, v9
	v_mov_b32_e32 v9, 1
	ds_add_u32 v8, v9 offset:28672
.LBB83_202:
	s_or_b64 exec, exec, s[12:13]
	v_bfrev_b32_e32 v8, 1
	v_cmp_lt_i64_e32 vcc, -1, v[6:7]
	v_ashrrev_i32_e32 v10, 31, v7
	s_mov_b32 s0, -1
	v_cndmask_b32_e32 v9, -1, v8, vcc
	v_cmp_le_u32_e32 vcc, s11, v21
	v_xor_b32_e32 v7, v9, v7
	v_xor_b32_e32 v6, v10, v6
	s_nor_b64 s[14:15], s[2:3], vcc
	v_mov_b32_e32 v9, s18
	s_and_saveexec_b64 s[12:13], s[14:15]
	s_cbranch_execz .LBB83_204
; %bb.203:
	s_sub_i32 s1, s9, s8
	s_min_u32 s14, s1, 8
	s_brev_b32 s1, -2
	v_cmp_ne_u64_e64 s[0:1], s[0:1], v[6:7]
	s_nop 1
	v_cndmask_b32_e64 v9, v8, v7, s[0:1]
	v_cndmask_b32_e64 v8, 0, v6, s[0:1]
	v_lshrrev_b64 v[8:9], s8, v[8:9]
	v_bfe_u32 v8, v8, 0, s14
	v_lshlrev_b32_e32 v9, 2, v18
	v_lshl_or_b32 v8, v8, 4, v9
	v_mov_b32_e32 v9, 1
	ds_add_u32 v8, v9
	v_mov_b32_e32 v9, 0
.LBB83_204:
	s_or_b64 exec, exec, s[12:13]
	v_cmp_gt_i32_e64 s[0:1], 10, v9
	s_mov_b64 s[14:15], -1
	s_and_saveexec_b64 s[12:13], s[0:1]
; %bb.205:
	v_cmp_eq_u32_e64 s[0:1], 0, v9
	s_orn2_b64 s[14:15], s[0:1], exec
; %bb.206:
	s_or_b64 exec, exec, s[12:13]
	s_and_saveexec_b64 s[12:13], s[14:15]
	s_cbranch_execz .LBB83_239
; %bb.207:
	s_add_i32 s16, s8, 8
	s_cmp_le_u32 s9, s16
	s_cselect_b64 s[0:1], -1, 0
	s_and_b64 s[14:15], s[0:1], exec
	s_cselect_b32 s14, 8, 10
	s_nor_b64 s[0:1], s[0:1], vcc
	v_mov_b32_e32 v8, s14
	s_and_saveexec_b64 s[14:15], s[0:1]
	s_cbranch_execz .LBB83_209
; %bb.208:
	s_sub_i32 s0, s9, s16
	s_min_u32 s17, s0, 8
	s_mov_b32 s0, -1
	s_brev_b32 s1, -2
	v_bfrev_b32_e32 v8, 1
	v_cmp_ne_u64_e64 s[0:1], s[0:1], v[6:7]
	s_nop 1
	v_cndmask_b32_e64 v9, v8, v7, s[0:1]
	v_cndmask_b32_e64 v8, 0, v6, s[0:1]
	v_lshrrev_b64 v[8:9], s16, v[8:9]
	v_bfe_u32 v8, v8, 0, s17
	v_lshlrev_b32_e32 v9, 2, v18
	v_lshl_or_b32 v8, v8, 4, v9
	v_mov_b32_e32 v9, 1
	ds_add_u32 v8, v9 offset:4096
	v_mov_b32_e32 v8, 0
.LBB83_209:
	s_or_b64 exec, exec, s[14:15]
	v_cmp_gt_i32_e64 s[0:1], 10, v8
	s_mov_b64 s[14:15], -1
	s_and_saveexec_b64 s[16:17], s[0:1]
; %bb.210:
	v_cmp_eq_u32_e64 s[0:1], 0, v8
	s_orn2_b64 s[14:15], s[0:1], exec
; %bb.211:
	s_or_b64 exec, exec, s[16:17]
	s_and_b64 exec, exec, s[14:15]
	s_cbranch_execz .LBB83_239
; %bb.212:
	s_add_i32 s16, s8, 16
	s_cmp_le_u32 s9, s16
	s_cselect_b64 s[0:1], -1, 0
	s_and_b64 s[14:15], s[0:1], exec
	s_cselect_b32 s14, 8, 10
	s_nor_b64 s[0:1], s[0:1], vcc
	v_mov_b32_e32 v8, s14
	s_and_saveexec_b64 s[14:15], s[0:1]
	s_cbranch_execz .LBB83_214
; %bb.213:
	s_sub_i32 s0, s9, s16
	s_min_u32 s17, s0, 8
	s_mov_b32 s0, -1
	s_brev_b32 s1, -2
	v_bfrev_b32_e32 v8, 1
	v_cmp_ne_u64_e64 s[0:1], s[0:1], v[6:7]
	s_nop 1
	v_cndmask_b32_e64 v9, v8, v7, s[0:1]
	v_cndmask_b32_e64 v8, 0, v6, s[0:1]
	v_lshrrev_b64 v[8:9], s16, v[8:9]
	v_bfe_u32 v8, v8, 0, s17
	v_lshlrev_b32_e32 v9, 2, v18
	v_lshl_or_b32 v8, v8, 4, v9
	v_mov_b32_e32 v9, 1
	ds_add_u32 v8, v9 offset:8192
	v_mov_b32_e32 v8, 0
.LBB83_214:
	s_or_b64 exec, exec, s[14:15]
	v_cmp_gt_i32_e64 s[0:1], 10, v8
	s_mov_b64 s[14:15], -1
	s_and_saveexec_b64 s[16:17], s[0:1]
; %bb.215:
	v_cmp_eq_u32_e64 s[0:1], 0, v8
	s_orn2_b64 s[14:15], s[0:1], exec
; %bb.216:
	s_or_b64 exec, exec, s[16:17]
	s_and_b64 exec, exec, s[14:15]
	;; [unrolled: 39-line block ×6, first 2 shown]
	s_cbranch_execz .LBB83_239
; %bb.237:
	s_add_i32 s0, s8, 56
	s_cmp_gt_u32 s9, s0
	s_cselect_b64 s[14:15], -1, 0
	s_xor_b64 s[16:17], vcc, -1
	s_and_b64 s[14:15], s[14:15], s[16:17]
	s_and_b64 exec, exec, s[14:15]
	s_cbranch_execz .LBB83_239
; %bb.238:
	s_mov_b32 s14, -1
	s_brev_b32 s15, -2
	v_bfrev_b32_e32 v8, 1
	v_cmp_ne_u64_e32 vcc, s[14:15], v[6:7]
	s_sub_i32 s1, s9, s0
	s_min_u32 s1, s1, 8
	v_cndmask_b32_e32 v7, v8, v7, vcc
	v_cndmask_b32_e32 v6, 0, v6, vcc
	v_lshrrev_b64 v[6:7], s0, v[6:7]
	v_bfe_u32 v6, v6, 0, s1
	v_lshlrev_b32_e32 v7, 2, v18
	v_lshl_or_b32 v6, v6, 4, v7
	v_mov_b32_e32 v7, 1
	ds_add_u32 v6, v7 offset:28672
.LBB83_239:
	s_or_b64 exec, exec, s[12:13]
	v_bfrev_b32_e32 v6, 1
	v_cmp_lt_i64_e32 vcc, -1, v[4:5]
	v_ashrrev_i32_e32 v8, 31, v5
	s_mov_b32 s0, -1
	v_cndmask_b32_e32 v7, -1, v6, vcc
	v_cmp_le_u32_e32 vcc, s11, v20
	v_xor_b32_e32 v5, v7, v5
	v_xor_b32_e32 v4, v8, v4
	s_nor_b64 s[14:15], s[2:3], vcc
	v_mov_b32_e32 v7, s18
	s_and_saveexec_b64 s[12:13], s[14:15]
	s_cbranch_execz .LBB83_241
; %bb.240:
	s_sub_i32 s1, s9, s8
	s_min_u32 s14, s1, 8
	s_brev_b32 s1, -2
	v_cmp_ne_u64_e64 s[0:1], s[0:1], v[4:5]
	s_nop 1
	v_cndmask_b32_e64 v7, v6, v5, s[0:1]
	v_cndmask_b32_e64 v6, 0, v4, s[0:1]
	v_lshrrev_b64 v[6:7], s8, v[6:7]
	v_bfe_u32 v6, v6, 0, s14
	v_lshlrev_b32_e32 v7, 2, v18
	v_lshl_or_b32 v6, v6, 4, v7
	v_mov_b32_e32 v7, 1
	ds_add_u32 v6, v7
	v_mov_b32_e32 v7, 0
.LBB83_241:
	s_or_b64 exec, exec, s[12:13]
	v_cmp_gt_i32_e64 s[0:1], 10, v7
	s_mov_b64 s[14:15], -1
	s_and_saveexec_b64 s[12:13], s[0:1]
; %bb.242:
	v_cmp_eq_u32_e64 s[0:1], 0, v7
	s_orn2_b64 s[14:15], s[0:1], exec
; %bb.243:
	s_or_b64 exec, exec, s[12:13]
	s_and_saveexec_b64 s[12:13], s[14:15]
	s_cbranch_execz .LBB83_276
; %bb.244:
	s_add_i32 s16, s8, 8
	s_cmp_le_u32 s9, s16
	s_cselect_b64 s[0:1], -1, 0
	s_and_b64 s[14:15], s[0:1], exec
	s_cselect_b32 s14, 8, 10
	s_nor_b64 s[0:1], s[0:1], vcc
	v_mov_b32_e32 v6, s14
	s_and_saveexec_b64 s[14:15], s[0:1]
	s_cbranch_execz .LBB83_246
; %bb.245:
	s_sub_i32 s0, s9, s16
	s_min_u32 s17, s0, 8
	s_mov_b32 s0, -1
	s_brev_b32 s1, -2
	v_bfrev_b32_e32 v6, 1
	v_cmp_ne_u64_e64 s[0:1], s[0:1], v[4:5]
	s_nop 1
	v_cndmask_b32_e64 v7, v6, v5, s[0:1]
	v_cndmask_b32_e64 v6, 0, v4, s[0:1]
	v_lshrrev_b64 v[6:7], s16, v[6:7]
	v_bfe_u32 v6, v6, 0, s17
	v_lshlrev_b32_e32 v7, 2, v18
	v_lshl_or_b32 v6, v6, 4, v7
	v_mov_b32_e32 v7, 1
	ds_add_u32 v6, v7 offset:4096
	v_mov_b32_e32 v6, 0
.LBB83_246:
	s_or_b64 exec, exec, s[14:15]
	v_cmp_gt_i32_e64 s[0:1], 10, v6
	s_mov_b64 s[14:15], -1
	s_and_saveexec_b64 s[16:17], s[0:1]
; %bb.247:
	v_cmp_eq_u32_e64 s[0:1], 0, v6
	s_orn2_b64 s[14:15], s[0:1], exec
; %bb.248:
	s_or_b64 exec, exec, s[16:17]
	s_and_b64 exec, exec, s[14:15]
	s_cbranch_execz .LBB83_276
; %bb.249:
	s_add_i32 s16, s8, 16
	s_cmp_le_u32 s9, s16
	s_cselect_b64 s[0:1], -1, 0
	s_and_b64 s[14:15], s[0:1], exec
	s_cselect_b32 s14, 8, 10
	s_nor_b64 s[0:1], s[0:1], vcc
	v_mov_b32_e32 v6, s14
	s_and_saveexec_b64 s[14:15], s[0:1]
	s_cbranch_execz .LBB83_251
; %bb.250:
	s_sub_i32 s0, s9, s16
	s_min_u32 s17, s0, 8
	s_mov_b32 s0, -1
	s_brev_b32 s1, -2
	v_bfrev_b32_e32 v6, 1
	v_cmp_ne_u64_e64 s[0:1], s[0:1], v[4:5]
	s_nop 1
	v_cndmask_b32_e64 v7, v6, v5, s[0:1]
	v_cndmask_b32_e64 v6, 0, v4, s[0:1]
	v_lshrrev_b64 v[6:7], s16, v[6:7]
	v_bfe_u32 v6, v6, 0, s17
	v_lshlrev_b32_e32 v7, 2, v18
	v_lshl_or_b32 v6, v6, 4, v7
	v_mov_b32_e32 v7, 1
	ds_add_u32 v6, v7 offset:8192
	v_mov_b32_e32 v6, 0
.LBB83_251:
	s_or_b64 exec, exec, s[14:15]
	v_cmp_gt_i32_e64 s[0:1], 10, v6
	s_mov_b64 s[14:15], -1
	s_and_saveexec_b64 s[16:17], s[0:1]
; %bb.252:
	v_cmp_eq_u32_e64 s[0:1], 0, v6
	s_orn2_b64 s[14:15], s[0:1], exec
; %bb.253:
	s_or_b64 exec, exec, s[16:17]
	s_and_b64 exec, exec, s[14:15]
	;; [unrolled: 39-line block ×6, first 2 shown]
	s_cbranch_execz .LBB83_276
; %bb.274:
	s_add_i32 s0, s8, 56
	s_cmp_gt_u32 s9, s0
	s_cselect_b64 s[14:15], -1, 0
	s_xor_b64 s[16:17], vcc, -1
	s_and_b64 s[14:15], s[14:15], s[16:17]
	s_and_b64 exec, exec, s[14:15]
	s_cbranch_execz .LBB83_276
; %bb.275:
	s_mov_b32 s14, -1
	s_brev_b32 s15, -2
	v_bfrev_b32_e32 v6, 1
	v_cmp_ne_u64_e32 vcc, s[14:15], v[4:5]
	s_sub_i32 s1, s9, s0
	s_min_u32 s1, s1, 8
	v_cndmask_b32_e32 v5, v6, v5, vcc
	v_cndmask_b32_e32 v4, 0, v4, vcc
	v_lshrrev_b64 v[4:5], s0, v[4:5]
	v_bfe_u32 v4, v4, 0, s1
	v_lshlrev_b32_e32 v5, 2, v18
	v_lshl_or_b32 v4, v4, 4, v5
	v_mov_b32_e32 v5, 1
	ds_add_u32 v4, v5 offset:28672
.LBB83_276:
	s_or_b64 exec, exec, s[12:13]
	v_bfrev_b32_e32 v4, 1
	v_cmp_lt_i64_e32 vcc, -1, v[2:3]
	v_ashrrev_i32_e32 v6, 31, v3
	s_mov_b32 s0, -1
	v_cndmask_b32_e32 v5, -1, v4, vcc
	v_cmp_le_u32_e32 vcc, s11, v19
	v_xor_b32_e32 v3, v5, v3
	v_xor_b32_e32 v2, v6, v2
	s_nor_b64 s[12:13], s[2:3], vcc
	v_mov_b32_e32 v5, s18
	s_and_saveexec_b64 s[2:3], s[12:13]
	s_cbranch_execz .LBB83_278
; %bb.277:
	s_sub_i32 s1, s9, s8
	s_min_u32 s11, s1, 8
	s_brev_b32 s1, -2
	v_cmp_ne_u64_e64 s[0:1], s[0:1], v[2:3]
	s_nop 1
	v_cndmask_b32_e64 v5, v4, v3, s[0:1]
	v_cndmask_b32_e64 v4, 0, v2, s[0:1]
	v_lshrrev_b64 v[4:5], s8, v[4:5]
	v_bfe_u32 v4, v4, 0, s11
	v_lshlrev_b32_e32 v5, 2, v18
	v_lshl_or_b32 v4, v4, 4, v5
	v_mov_b32_e32 v5, 1
	ds_add_u32 v4, v5
	v_mov_b32_e32 v5, 0
.LBB83_278:
	s_or_b64 exec, exec, s[2:3]
	v_cmp_gt_i32_e64 s[0:1], 10, v5
	s_mov_b64 s[12:13], -1
	s_and_saveexec_b64 s[2:3], s[0:1]
; %bb.279:
	v_cmp_eq_u32_e64 s[0:1], 0, v5
	s_orn2_b64 s[12:13], s[0:1], exec
; %bb.280:
	s_or_b64 exec, exec, s[2:3]
	s_and_saveexec_b64 s[2:3], s[12:13]
	s_cbranch_execz .LBB83_313
; %bb.281:
	s_add_i32 s11, s8, 8
	s_cmp_le_u32 s9, s11
	s_cselect_b64 s[0:1], -1, 0
	s_and_b64 s[12:13], s[0:1], exec
	s_cselect_b32 s12, 8, 10
	s_nor_b64 s[0:1], s[0:1], vcc
	v_mov_b32_e32 v4, s12
	s_and_saveexec_b64 s[12:13], s[0:1]
	s_cbranch_execz .LBB83_283
; %bb.282:
	s_sub_i32 s0, s9, s11
	s_min_u32 s14, s0, 8
	s_mov_b32 s0, -1
	s_brev_b32 s1, -2
	v_bfrev_b32_e32 v4, 1
	v_cmp_ne_u64_e64 s[0:1], s[0:1], v[2:3]
	s_nop 1
	v_cndmask_b32_e64 v5, v4, v3, s[0:1]
	v_cndmask_b32_e64 v4, 0, v2, s[0:1]
	v_lshrrev_b64 v[4:5], s11, v[4:5]
	v_bfe_u32 v4, v4, 0, s14
	v_lshlrev_b32_e32 v5, 2, v18
	v_lshl_or_b32 v4, v4, 4, v5
	v_mov_b32_e32 v5, 1
	ds_add_u32 v4, v5 offset:4096
	v_mov_b32_e32 v4, 0
.LBB83_283:
	s_or_b64 exec, exec, s[12:13]
	v_cmp_gt_i32_e64 s[0:1], 10, v4
	s_mov_b64 s[12:13], -1
	s_and_saveexec_b64 s[14:15], s[0:1]
; %bb.284:
	v_cmp_eq_u32_e64 s[0:1], 0, v4
	s_orn2_b64 s[12:13], s[0:1], exec
; %bb.285:
	s_or_b64 exec, exec, s[14:15]
	s_and_b64 exec, exec, s[12:13]
	s_cbranch_execz .LBB83_313
; %bb.286:
	s_add_i32 s11, s8, 16
	s_cmp_le_u32 s9, s11
	s_cselect_b64 s[0:1], -1, 0
	s_and_b64 s[12:13], s[0:1], exec
	s_cselect_b32 s12, 8, 10
	s_nor_b64 s[0:1], s[0:1], vcc
	v_mov_b32_e32 v4, s12
	s_and_saveexec_b64 s[12:13], s[0:1]
	s_cbranch_execz .LBB83_288
; %bb.287:
	s_sub_i32 s0, s9, s11
	s_min_u32 s14, s0, 8
	s_mov_b32 s0, -1
	s_brev_b32 s1, -2
	v_bfrev_b32_e32 v4, 1
	v_cmp_ne_u64_e64 s[0:1], s[0:1], v[2:3]
	s_nop 1
	v_cndmask_b32_e64 v5, v4, v3, s[0:1]
	v_cndmask_b32_e64 v4, 0, v2, s[0:1]
	v_lshrrev_b64 v[4:5], s11, v[4:5]
	v_bfe_u32 v4, v4, 0, s14
	v_lshlrev_b32_e32 v5, 2, v18
	v_lshl_or_b32 v4, v4, 4, v5
	v_mov_b32_e32 v5, 1
	ds_add_u32 v4, v5 offset:8192
	v_mov_b32_e32 v4, 0
.LBB83_288:
	s_or_b64 exec, exec, s[12:13]
	v_cmp_gt_i32_e64 s[0:1], 10, v4
	s_mov_b64 s[12:13], -1
	s_and_saveexec_b64 s[14:15], s[0:1]
; %bb.289:
	v_cmp_eq_u32_e64 s[0:1], 0, v4
	s_orn2_b64 s[12:13], s[0:1], exec
; %bb.290:
	s_or_b64 exec, exec, s[14:15]
	s_and_b64 exec, exec, s[12:13]
	;; [unrolled: 39-line block ×6, first 2 shown]
	s_cbranch_execz .LBB83_313
; %bb.311:
	s_add_i32 s0, s8, 56
	s_cmp_gt_u32 s9, s0
	s_cselect_b64 s[12:13], -1, 0
	s_xor_b64 s[14:15], vcc, -1
	s_and_b64 s[12:13], s[12:13], s[14:15]
	s_and_b64 exec, exec, s[12:13]
	s_cbranch_execz .LBB83_313
; %bb.312:
	s_mov_b32 s12, -1
	s_brev_b32 s13, -2
	v_bfrev_b32_e32 v4, 1
	v_cmp_ne_u64_e32 vcc, s[12:13], v[2:3]
	s_sub_i32 s1, s9, s0
	s_min_u32 s1, s1, 8
	v_cndmask_b32_e32 v3, v4, v3, vcc
	v_cndmask_b32_e32 v2, 0, v2, vcc
	v_lshrrev_b64 v[2:3], s0, v[2:3]
	v_bfe_u32 v2, v2, 0, s1
	v_lshlrev_b32_e32 v3, 2, v18
	v_lshl_or_b32 v2, v2, 4, v3
	v_mov_b32_e32 v3, 1
	ds_add_u32 v2, v3 offset:28672
.LBB83_313:
	s_or_b64 exec, exec, s[2:3]
	s_cmp_gt_u32 s9, s8
	s_waitcnt lgkmcnt(0)
	s_barrier
	s_cbranch_scc0 .LBB83_318
; %bb.314:
	s_movk_i32 s0, 0x100
	v_cmp_gt_u32_e32 vcc, s0, v0
	v_mad_u32_u24 v1, v0, 12, v1
	v_mov_b32_e32 v3, 0
	v_mov_b32_e32 v2, v0
	s_mov_b32 s2, s8
	s_branch .LBB83_316
.LBB83_315:                             ;   in Loop: Header=BB83_316 Depth=1
	s_or_b64 exec, exec, s[0:1]
	s_add_i32 s2, s2, 8
	v_add_u32_e32 v2, 0x100, v2
	s_cmp_lt_u32 s2, s9
	v_add_u32_e32 v1, 0x1000, v1
	s_cbranch_scc0 .LBB83_318
.LBB83_316:                             ; =>This Inner Loop Header: Depth=1
	s_and_saveexec_b64 s[0:1], vcc
	s_cbranch_execz .LBB83_315
; %bb.317:                              ;   in Loop: Header=BB83_316 Depth=1
	ds_read2_b32 v[4:5], v1 offset1:1
	ds_read2_b32 v[6:7], v1 offset0:2 offset1:3
	s_waitcnt lgkmcnt(1)
	v_add_u32_e32 v4, v5, v4
	s_waitcnt lgkmcnt(0)
	v_add3_u32 v6, v4, v6, v7
	v_lshl_add_u64 v[4:5], v[2:3], 2, s[6:7]
	global_atomic_add v[4:5], v6, off
	s_branch .LBB83_315
.LBB83_318:
	s_mov_b64 s[2:3], 0
.LBB83_319:
	s_and_b64 vcc, exec, s[2:3]
	s_cbranch_vccz .LBB83_411
; %bb.320:
	s_cmp_eq_u32 s8, 0
	s_cselect_b64 s[0:1], -1, 0
	s_cmp_eq_u32 s9, 64
	s_mov_b32 s11, 0
	s_cselect_b64 s[2:3], -1, 0
	s_and_b64 s[2:3], s[0:1], s[2:3]
	s_lshl_b64 s[0:1], s[10:11], 3
	s_add_u32 s0, s4, s0
	s_addc_u32 s1, s5, s1
	v_mov_b32_e32 v3, 0
	v_lshlrev_b32_e32 v2, 3, v0
	v_lshl_add_u64 v[8:9], s[0:1], 0, v[2:3]
	s_movk_i32 s4, 0x2000
	v_add_co_u32_e32 v10, vcc, s4, v8
	s_movk_i32 s4, 0x4000
	s_nop 0
	v_addc_co_u32_e32 v11, vcc, 0, v9, vcc
	v_add_co_u32_e32 v14, vcc, s4, v8
	s_movk_i32 s4, 0x6000
	s_nop 0
	v_addc_co_u32_e32 v15, vcc, 0, v9, vcc
	v_add_co_u32_e32 v18, vcc, s4, v8
	s_mov_b32 s4, 0x8000
	s_nop 0
	v_addc_co_u32_e32 v19, vcc, 0, v9, vcc
	v_add_co_u32_e32 v20, vcc, s4, v8
	s_mov_b32 s4, 0xa000
	s_nop 0
	v_addc_co_u32_e32 v21, vcc, 0, v9, vcc
	global_load_dwordx2 v[16:17], v[10:11], off
	global_load_dwordx2 v[12:13], v[14:15], off
	;; [unrolled: 1-line block ×4, first 2 shown]
	v_add_co_u32_e32 v20, vcc, s4, v8
	s_nop 1
	v_addc_co_u32_e32 v21, vcc, 0, v9, vcc
	v_add_co_u32_e32 v22, vcc, 0xc000, v8
	s_nop 1
	v_addc_co_u32_e32 v23, vcc, 0, v9, vcc
	;; [unrolled: 3-line block ×3, first 2 shown]
	global_load_dwordx2 v[18:19], v2, s[0:1]
	global_load_dwordx2 v[14:15], v[20:21], off
	global_load_dwordx2 v[10:11], v[22:23], off
	;; [unrolled: 1-line block ×3, first 2 shown]
	s_mov_b64 s[0:1], -1
	s_and_b64 vcc, exec, s[2:3]
	v_lshlrev_b32_e32 v2, 2, v0
	s_cbranch_vccnz .LBB83_408
; %bb.321:
	s_cmp_gt_u32 s9, s8
	s_cselect_b64 s[0:1], -1, 0
	s_and_b64 vcc, exec, s[0:1]
	ds_write2st64_b32 v2, v3, v3 offset1:16
	ds_write2st64_b32 v2, v3, v3 offset0:32 offset1:48
	ds_write2st64_b32 v2, v3, v3 offset0:64 offset1:80
	;; [unrolled: 1-line block ×3, first 2 shown]
	s_waitcnt lgkmcnt(0)
	s_barrier
	s_cbranch_vccz .LBB83_402
; %bb.322:
	v_bfrev_b32_e32 v24, 1
	s_waitcnt vmcnt(7)
	v_cmp_lt_i64_e32 vcc, -1, v[16:17]
	v_ashrrev_i32_e32 v3, 31, v17
	s_mov_b32 s4, -1
	v_cndmask_b32_e32 v1, -1, v24, vcc
	s_waitcnt vmcnt(3)
	v_cmp_lt_i64_e32 vcc, -1, v[18:19]
	v_xor_b32_e32 v20, v3, v16
	v_ashrrev_i32_e32 v22, 31, v19
	v_cndmask_b32_e32 v3, -1, v24, vcc
	s_brev_b32 s5, -2
	v_xor_b32_e32 v23, v3, v19
	v_xor_b32_e32 v22, v22, v18
	s_sub_i32 s2, s9, s8
	v_cmp_ne_u64_e32 vcc, s[4:5], v[22:23]
	s_min_u32 s2, s2, 8
	v_xor_b32_e32 v21, v1, v17
	v_cndmask_b32_e32 v23, v24, v23, vcc
	v_cndmask_b32_e32 v22, 0, v22, vcc
	v_and_b32_e32 v1, 3, v0
	s_lshl_b32 s2, -1, s2
	v_lshrrev_b64 v[26:27], s8, v[22:23]
	v_bitop3_b32 v25, v26, s2, v26 bitop3:0x30
	v_lshlrev_b32_e32 v3, 2, v1
	v_lshl_or_b32 v25, v25, 4, v3
	v_mov_b32_e32 v26, 1
	s_not_b32 s14, s2
	ds_add_u32 v25, v26
	s_add_i32 s15, s8, 8
	s_cmp_le_u32 s9, s15
	s_cselect_b64 s[2:3], -1, 0
	s_mov_b64 s[10:11], -1
	s_and_b64 vcc, exec, s[2:3]
	s_cbranch_vccz .LBB83_324
; %bb.323:
	v_cmp_ne_u64_e32 vcc, s[4:5], v[20:21]
	s_mov_b64 s[4:5], -1
	s_nop 0
	v_cndmask_b32_e32 v25, v24, v21, vcc
	v_cndmask_b32_e32 v24, 0, v20, vcc
	v_lshrrev_b64 v[24:25], s8, v[24:25]
	v_and_b32_e32 v24, s14, v24
	v_lshlrev_b32_e32 v24, 4, v24
	s_cbranch_execz .LBB83_325
	s_branch .LBB83_340
.LBB83_324:
	s_mov_b64 s[4:5], 0
                                        ; implicit-def: $vgpr24
	s_andn2_b64 vcc, exec, s[10:11]
	s_cbranch_vccnz .LBB83_340
.LBB83_325:
	s_sub_i32 s10, s9, s15
	s_min_u32 s10, s10, 8
	s_lshl_b32 s10, -1, s10
	v_lshrrev_b64 v[24:25], s15, v[22:23]
	v_bitop3_b32 v24, v24, s10, v24 bitop3:0x30
	v_lshl_or_b32 v25, v24, 4, v3
	v_mov_b32_e32 v24, 1
	ds_add_u32 v25, v24 offset:4096
	s_not_b32 s17, s10
	s_add_i32 s16, s8, 16
	s_cmp_gt_u32 s9, s16
	s_cselect_b64 s[10:11], -1, 0
	s_cmp_le_u32 s9, s16
	s_mov_b32 s12, -1
	s_cbranch_scc1 .LBB83_332
; %bb.326:
	s_sub_i32 s13, s9, s16
	s_min_u32 s13, s13, 8
	v_lshrrev_b64 v[26:27], s16, v[22:23]
	v_bfe_u32 v25, v26, 0, s13
	v_lshl_or_b32 v25, v25, 4, v3
	ds_add_u32 v25, v24 offset:8192
	s_add_i32 s13, s8, 24
	s_cmp_le_u32 s9, s13
	s_cbranch_scc1 .LBB83_332
; %bb.327:
	s_sub_i32 s18, s9, s13
	s_min_u32 s18, s18, 8
	v_lshrrev_b64 v[26:27], s13, v[22:23]
	v_bfe_u32 v25, v26, 0, s18
	v_lshl_or_b32 v26, v25, 4, v3
	v_mov_b32_e32 v25, 1
	ds_add_u32 v26, v25 offset:12288
	s_add_i32 s13, s8, 32
	s_cmp_le_u32 s9, s13
	s_cbranch_scc1 .LBB83_332
; %bb.328:
	s_sub_i32 s18, s9, s13
	s_min_u32 s18, s18, 8
	v_lshrrev_b64 v[26:27], s13, v[22:23]
	v_bfe_u32 v26, v26, 0, s18
	v_lshl_or_b32 v26, v26, 4, v3
	ds_add_u32 v26, v25 offset:16384
	s_add_i32 s13, s8, 40
	s_cmp_le_u32 s9, s13
	s_cbranch_scc1 .LBB83_332
; %bb.329:
	s_sub_i32 s18, s9, s13
	s_min_u32 s18, s18, 8
	v_lshrrev_b64 v[26:27], s13, v[22:23]
	v_bfe_u32 v25, v26, 0, s18
	v_lshl_or_b32 v26, v25, 4, v3
	v_mov_b32_e32 v25, 1
	ds_add_u32 v26, v25 offset:20480
	s_add_i32 s13, s8, 48
	s_cmp_le_u32 s9, s13
	s_cbranch_scc1 .LBB83_332
; %bb.330:
	s_sub_i32 s18, s9, s13
	s_min_u32 s18, s18, 8
	v_lshrrev_b64 v[26:27], s13, v[22:23]
	v_bfe_u32 v26, v26, 0, s18
	v_lshl_or_b32 v26, v26, 4, v3
	ds_add_u32 v26, v25 offset:24576
	s_add_i32 s13, s8, 56
	s_cmp_le_u32 s9, s13
	s_cbranch_scc1 .LBB83_332
; %bb.331:
	s_sub_i32 s18, s9, s13
	s_min_u32 s18, s18, 8
	v_lshrrev_b64 v[22:23], s13, v[22:23]
	v_bfe_u32 v22, v22, 0, s18
	v_lshl_or_b32 v22, v22, 4, v3
	v_mov_b32_e32 v23, 1
	ds_add_u32 v22, v23 offset:28672
.LBB83_332:
	s_brev_b32 s13, -2
	v_bfrev_b32_e32 v22, 1
	v_cmp_ne_u64_e32 vcc, s[12:13], v[20:21]
	s_nop 1
	v_cndmask_b32_e32 v21, v22, v21, vcc
	v_cndmask_b32_e32 v20, 0, v20, vcc
	v_lshrrev_b64 v[22:23], s8, v[20:21]
	v_and_b32_e32 v22, s14, v22
	v_lshl_or_b32 v22, v22, 4, v3
	ds_add_u32 v22, v24
	v_lshrrev_b64 v[22:23], s15, v[20:21]
	v_and_b32_e32 v22, s17, v22
	v_lshl_or_b32 v22, v22, 4, v3
	ds_add_u32 v22, v24 offset:4096
	s_andn2_b64 vcc, exec, s[10:11]
	s_cbranch_vccnz .LBB83_339
; %bb.333:
	s_sub_i32 s10, s9, s16
	s_min_u32 s10, s10, 8
	v_lshrrev_b64 v[22:23], s16, v[20:21]
	v_bfe_u32 v22, v22, 0, s10
	v_lshl_or_b32 v23, v22, 4, v3
	v_mov_b32_e32 v22, 1
	ds_add_u32 v23, v22 offset:8192
	s_add_i32 s10, s8, 24
	s_cmp_gt_u32 s9, s10
	s_cbranch_scc0 .LBB83_339
; %bb.334:
	s_sub_i32 s11, s9, s10
	s_min_u32 s11, s11, 8
	v_lshrrev_b64 v[24:25], s10, v[20:21]
	v_bfe_u32 v23, v24, 0, s11
	v_lshl_or_b32 v23, v23, 4, v3
	ds_add_u32 v23, v22 offset:12288
	s_add_i32 s10, s8, 32
	s_cmp_gt_u32 s9, s10
	s_cbranch_scc0 .LBB83_339
; %bb.335:
	s_sub_i32 s11, s9, s10
	s_min_u32 s11, s11, 8
	v_lshrrev_b64 v[22:23], s10, v[20:21]
	v_bfe_u32 v22, v22, 0, s11
	v_lshl_or_b32 v23, v22, 4, v3
	v_mov_b32_e32 v22, 1
	ds_add_u32 v23, v22 offset:16384
	s_add_i32 s10, s8, 40
	s_cmp_gt_u32 s9, s10
	s_cbranch_scc0 .LBB83_339
; %bb.336:
	s_sub_i32 s11, s9, s10
	s_min_u32 s11, s11, 8
	v_lshrrev_b64 v[24:25], s10, v[20:21]
	v_bfe_u32 v23, v24, 0, s11
	v_lshl_or_b32 v23, v23, 4, v3
	ds_add_u32 v23, v22 offset:20480
	s_add_i32 s10, s8, 48
	s_cmp_gt_u32 s9, s10
	s_cbranch_scc0 .LBB83_339
; %bb.337:
	s_sub_i32 s11, s9, s10
	s_min_u32 s11, s11, 8
	v_lshrrev_b64 v[22:23], s10, v[20:21]
	v_bfe_u32 v22, v22, 0, s11
	v_lshl_or_b32 v22, v22, 4, v3
	v_mov_b32_e32 v23, 1
	ds_add_u32 v22, v23 offset:24576
	s_add_i32 s10, s8, 56
	s_cmp_gt_u32 s9, s10
                                        ; implicit-def: $vgpr24
	s_cbranch_scc0 .LBB83_340
; %bb.338:
	s_sub_i32 s4, s9, s10
	s_min_u32 s4, s4, 8
	v_lshrrev_b64 v[20:21], s10, v[20:21]
	v_bfe_u32 v20, v20, 0, s4
	v_mov_b32_e32 v21, 0x7000
	v_lshl_add_u32 v24, v20, 4, v21
	s_mov_b64 s[4:5], -1
	s_branch .LBB83_340
.LBB83_339:
                                        ; implicit-def: $vgpr24
.LBB83_340:
	s_and_b64 vcc, exec, s[4:5]
	s_cbranch_vccz .LBB83_342
; %bb.341:
	v_lshl_add_u32 v20, v1, 2, v24
	v_mov_b32_e32 v21, 1
	ds_add_u32 v20, v21
.LBB83_342:
	v_bfrev_b32_e32 v24, 1
	v_cmp_lt_i64_e32 vcc, -1, v[12:13]
	s_mov_b32 s4, -1
	v_ashrrev_i32_e32 v21, 31, v13
	v_cndmask_b32_e32 v20, -1, v24, vcc
	s_brev_b32 s5, -2
	v_xor_b32_e32 v23, v20, v13
	v_xor_b32_e32 v22, v21, v12
	v_cmp_lt_i64_e32 vcc, -1, v[6:7]
	v_ashrrev_i32_e32 v25, 31, v7
	s_mov_b64 s[10:11], -1
	v_cndmask_b32_e32 v20, -1, v24, vcc
	v_cmp_ne_u64_e32 vcc, s[4:5], v[22:23]
	v_xor_b32_e32 v21, v20, v7
	s_nop 0
	v_cndmask_b32_e32 v23, v24, v23, vcc
	v_cndmask_b32_e32 v22, 0, v22, vcc
	v_lshrrev_b64 v[26:27], s8, v[22:23]
	v_and_b32_e32 v20, s14, v26
	v_lshl_or_b32 v20, v20, 4, v3
	v_mov_b32_e32 v26, 1
	ds_add_u32 v20, v26
	v_xor_b32_e32 v20, v25, v6
	s_and_b64 vcc, exec, s[2:3]
	s_cbranch_vccz .LBB83_344
; %bb.343:
	v_cmp_ne_u64_e32 vcc, s[4:5], v[20:21]
	s_mov_b64 s[4:5], -1
	s_nop 0
	v_cndmask_b32_e32 v25, v24, v21, vcc
	v_cndmask_b32_e32 v24, 0, v20, vcc
	v_lshrrev_b64 v[24:25], s8, v[24:25]
	v_and_b32_e32 v24, s14, v24
	v_lshlrev_b32_e32 v24, 4, v24
	s_cbranch_execz .LBB83_345
	s_branch .LBB83_360
.LBB83_344:
	s_mov_b64 s[4:5], 0
                                        ; implicit-def: $vgpr24
	s_andn2_b64 vcc, exec, s[10:11]
	s_cbranch_vccnz .LBB83_360
.LBB83_345:
	s_sub_i32 s10, s9, s15
	s_min_u32 s10, s10, 8
	s_lshl_b32 s10, -1, s10
	v_lshrrev_b64 v[24:25], s15, v[22:23]
	v_bitop3_b32 v24, v24, s10, v24 bitop3:0x30
	v_lshl_or_b32 v25, v24, 4, v3
	v_mov_b32_e32 v24, 1
	ds_add_u32 v25, v24 offset:4096
	s_not_b32 s17, s10
	s_add_i32 s16, s8, 16
	s_cmp_gt_u32 s9, s16
	s_cselect_b64 s[10:11], -1, 0
	s_cmp_le_u32 s9, s16
	s_mov_b32 s12, -1
	s_cbranch_scc1 .LBB83_352
; %bb.346:
	s_sub_i32 s13, s9, s16
	s_min_u32 s13, s13, 8
	v_lshrrev_b64 v[26:27], s16, v[22:23]
	v_bfe_u32 v25, v26, 0, s13
	v_lshl_or_b32 v25, v25, 4, v3
	ds_add_u32 v25, v24 offset:8192
	s_add_i32 s13, s8, 24
	s_cmp_le_u32 s9, s13
	s_cbranch_scc1 .LBB83_352
; %bb.347:
	s_sub_i32 s18, s9, s13
	s_min_u32 s18, s18, 8
	v_lshrrev_b64 v[26:27], s13, v[22:23]
	v_bfe_u32 v25, v26, 0, s18
	v_lshl_or_b32 v26, v25, 4, v3
	v_mov_b32_e32 v25, 1
	ds_add_u32 v26, v25 offset:12288
	s_add_i32 s13, s8, 32
	s_cmp_le_u32 s9, s13
	s_cbranch_scc1 .LBB83_352
; %bb.348:
	s_sub_i32 s18, s9, s13
	s_min_u32 s18, s18, 8
	v_lshrrev_b64 v[26:27], s13, v[22:23]
	v_bfe_u32 v26, v26, 0, s18
	v_lshl_or_b32 v26, v26, 4, v3
	ds_add_u32 v26, v25 offset:16384
	s_add_i32 s13, s8, 40
	s_cmp_le_u32 s9, s13
	s_cbranch_scc1 .LBB83_352
; %bb.349:
	s_sub_i32 s18, s9, s13
	s_min_u32 s18, s18, 8
	v_lshrrev_b64 v[26:27], s13, v[22:23]
	v_bfe_u32 v25, v26, 0, s18
	v_lshl_or_b32 v26, v25, 4, v3
	v_mov_b32_e32 v25, 1
	ds_add_u32 v26, v25 offset:20480
	s_add_i32 s13, s8, 48
	s_cmp_le_u32 s9, s13
	s_cbranch_scc1 .LBB83_352
; %bb.350:
	s_sub_i32 s18, s9, s13
	s_min_u32 s18, s18, 8
	v_lshrrev_b64 v[26:27], s13, v[22:23]
	v_bfe_u32 v26, v26, 0, s18
	v_lshl_or_b32 v26, v26, 4, v3
	ds_add_u32 v26, v25 offset:24576
	s_add_i32 s13, s8, 56
	s_cmp_le_u32 s9, s13
	s_cbranch_scc1 .LBB83_352
; %bb.351:
	s_sub_i32 s18, s9, s13
	s_min_u32 s18, s18, 8
	v_lshrrev_b64 v[22:23], s13, v[22:23]
	v_bfe_u32 v22, v22, 0, s18
	v_lshl_or_b32 v22, v22, 4, v3
	v_mov_b32_e32 v23, 1
	ds_add_u32 v22, v23 offset:28672
.LBB83_352:
	s_brev_b32 s13, -2
	v_bfrev_b32_e32 v22, 1
	v_cmp_ne_u64_e32 vcc, s[12:13], v[20:21]
	s_nop 1
	v_cndmask_b32_e32 v21, v22, v21, vcc
	v_cndmask_b32_e32 v20, 0, v20, vcc
	v_lshrrev_b64 v[22:23], s8, v[20:21]
	v_and_b32_e32 v22, s14, v22
	v_lshl_or_b32 v22, v22, 4, v3
	ds_add_u32 v22, v24
	v_lshrrev_b64 v[22:23], s15, v[20:21]
	v_and_b32_e32 v22, s17, v22
	v_lshl_or_b32 v22, v22, 4, v3
	ds_add_u32 v22, v24 offset:4096
	s_andn2_b64 vcc, exec, s[10:11]
	s_cbranch_vccnz .LBB83_359
; %bb.353:
	s_sub_i32 s10, s9, s16
	s_min_u32 s10, s10, 8
	v_lshrrev_b64 v[22:23], s16, v[20:21]
	v_bfe_u32 v22, v22, 0, s10
	v_lshl_or_b32 v23, v22, 4, v3
	v_mov_b32_e32 v22, 1
	ds_add_u32 v23, v22 offset:8192
	s_add_i32 s10, s8, 24
	s_cmp_gt_u32 s9, s10
	s_cbranch_scc0 .LBB83_359
; %bb.354:
	s_sub_i32 s11, s9, s10
	s_min_u32 s11, s11, 8
	v_lshrrev_b64 v[24:25], s10, v[20:21]
	v_bfe_u32 v23, v24, 0, s11
	v_lshl_or_b32 v23, v23, 4, v3
	ds_add_u32 v23, v22 offset:12288
	s_add_i32 s10, s8, 32
	s_cmp_gt_u32 s9, s10
	s_cbranch_scc0 .LBB83_359
; %bb.355:
	s_sub_i32 s11, s9, s10
	s_min_u32 s11, s11, 8
	v_lshrrev_b64 v[22:23], s10, v[20:21]
	v_bfe_u32 v22, v22, 0, s11
	v_lshl_or_b32 v23, v22, 4, v3
	v_mov_b32_e32 v22, 1
	ds_add_u32 v23, v22 offset:16384
	s_add_i32 s10, s8, 40
	s_cmp_gt_u32 s9, s10
	s_cbranch_scc0 .LBB83_359
; %bb.356:
	s_sub_i32 s11, s9, s10
	s_min_u32 s11, s11, 8
	v_lshrrev_b64 v[24:25], s10, v[20:21]
	v_bfe_u32 v23, v24, 0, s11
	v_lshl_or_b32 v23, v23, 4, v3
	ds_add_u32 v23, v22 offset:20480
	s_add_i32 s10, s8, 48
	s_cmp_gt_u32 s9, s10
	s_cbranch_scc0 .LBB83_359
; %bb.357:
	s_sub_i32 s11, s9, s10
	s_min_u32 s11, s11, 8
	v_lshrrev_b64 v[22:23], s10, v[20:21]
	v_bfe_u32 v22, v22, 0, s11
	v_lshl_or_b32 v22, v22, 4, v3
	v_mov_b32_e32 v23, 1
	ds_add_u32 v22, v23 offset:24576
	s_add_i32 s10, s8, 56
	s_cmp_gt_u32 s9, s10
                                        ; implicit-def: $vgpr24
	s_cbranch_scc0 .LBB83_360
; %bb.358:
	s_sub_i32 s4, s9, s10
	s_min_u32 s4, s4, 8
	v_lshrrev_b64 v[20:21], s10, v[20:21]
	v_bfe_u32 v20, v20, 0, s4
	v_mov_b32_e32 v21, 0x7000
	v_lshl_add_u32 v24, v20, 4, v21
	s_mov_b64 s[4:5], -1
	s_branch .LBB83_360
.LBB83_359:
                                        ; implicit-def: $vgpr24
.LBB83_360:
	s_and_b64 vcc, exec, s[4:5]
	s_cbranch_vccz .LBB83_362
; %bb.361:
	v_lshl_add_u32 v20, v1, 2, v24
	v_mov_b32_e32 v21, 1
	ds_add_u32 v20, v21
.LBB83_362:
	v_bfrev_b32_e32 v24, 1
	v_cmp_lt_i64_e32 vcc, -1, v[4:5]
	s_mov_b32 s4, -1
	v_ashrrev_i32_e32 v21, 31, v5
	v_cndmask_b32_e32 v20, -1, v24, vcc
	s_brev_b32 s5, -2
	v_xor_b32_e32 v23, v20, v5
	v_xor_b32_e32 v22, v21, v4
	s_waitcnt vmcnt(2)
	v_cmp_lt_i64_e32 vcc, -1, v[14:15]
	v_ashrrev_i32_e32 v25, 31, v15
	s_mov_b64 s[10:11], -1
	v_cndmask_b32_e32 v20, -1, v24, vcc
	v_cmp_ne_u64_e32 vcc, s[4:5], v[22:23]
	v_xor_b32_e32 v21, v20, v15
	s_nop 0
	v_cndmask_b32_e32 v23, v24, v23, vcc
	v_cndmask_b32_e32 v22, 0, v22, vcc
	v_lshrrev_b64 v[26:27], s8, v[22:23]
	v_and_b32_e32 v20, s14, v26
	v_lshl_or_b32 v20, v20, 4, v3
	v_mov_b32_e32 v26, 1
	ds_add_u32 v20, v26
	v_xor_b32_e32 v20, v25, v14
	s_and_b64 vcc, exec, s[2:3]
	s_cbranch_vccz .LBB83_364
; %bb.363:
	v_cmp_ne_u64_e32 vcc, s[4:5], v[20:21]
	s_mov_b64 s[4:5], -1
	s_nop 0
	v_cndmask_b32_e32 v25, v24, v21, vcc
	v_cndmask_b32_e32 v24, 0, v20, vcc
	v_lshrrev_b64 v[24:25], s8, v[24:25]
	v_and_b32_e32 v24, s14, v24
	v_lshlrev_b32_e32 v24, 4, v24
	s_cbranch_execz .LBB83_365
	s_branch .LBB83_380
.LBB83_364:
	s_mov_b64 s[4:5], 0
                                        ; implicit-def: $vgpr24
	s_andn2_b64 vcc, exec, s[10:11]
	s_cbranch_vccnz .LBB83_380
.LBB83_365:
	s_sub_i32 s10, s9, s15
	s_min_u32 s10, s10, 8
	s_lshl_b32 s10, -1, s10
	v_lshrrev_b64 v[24:25], s15, v[22:23]
	v_bitop3_b32 v24, v24, s10, v24 bitop3:0x30
	v_lshl_or_b32 v25, v24, 4, v3
	v_mov_b32_e32 v24, 1
	ds_add_u32 v25, v24 offset:4096
	s_not_b32 s17, s10
	s_add_i32 s16, s8, 16
	s_cmp_gt_u32 s9, s16
	s_cselect_b64 s[10:11], -1, 0
	s_cmp_le_u32 s9, s16
	s_mov_b32 s12, -1
	s_cbranch_scc1 .LBB83_372
; %bb.366:
	s_sub_i32 s13, s9, s16
	s_min_u32 s13, s13, 8
	v_lshrrev_b64 v[26:27], s16, v[22:23]
	v_bfe_u32 v25, v26, 0, s13
	v_lshl_or_b32 v25, v25, 4, v3
	ds_add_u32 v25, v24 offset:8192
	s_add_i32 s13, s8, 24
	s_cmp_le_u32 s9, s13
	s_cbranch_scc1 .LBB83_372
; %bb.367:
	s_sub_i32 s18, s9, s13
	s_min_u32 s18, s18, 8
	v_lshrrev_b64 v[26:27], s13, v[22:23]
	v_bfe_u32 v25, v26, 0, s18
	v_lshl_or_b32 v26, v25, 4, v3
	v_mov_b32_e32 v25, 1
	ds_add_u32 v26, v25 offset:12288
	s_add_i32 s13, s8, 32
	s_cmp_le_u32 s9, s13
	s_cbranch_scc1 .LBB83_372
; %bb.368:
	s_sub_i32 s18, s9, s13
	s_min_u32 s18, s18, 8
	v_lshrrev_b64 v[26:27], s13, v[22:23]
	v_bfe_u32 v26, v26, 0, s18
	v_lshl_or_b32 v26, v26, 4, v3
	ds_add_u32 v26, v25 offset:16384
	s_add_i32 s13, s8, 40
	s_cmp_le_u32 s9, s13
	s_cbranch_scc1 .LBB83_372
; %bb.369:
	s_sub_i32 s18, s9, s13
	s_min_u32 s18, s18, 8
	v_lshrrev_b64 v[26:27], s13, v[22:23]
	v_bfe_u32 v25, v26, 0, s18
	v_lshl_or_b32 v26, v25, 4, v3
	v_mov_b32_e32 v25, 1
	ds_add_u32 v26, v25 offset:20480
	s_add_i32 s13, s8, 48
	s_cmp_le_u32 s9, s13
	s_cbranch_scc1 .LBB83_372
; %bb.370:
	s_sub_i32 s18, s9, s13
	s_min_u32 s18, s18, 8
	v_lshrrev_b64 v[26:27], s13, v[22:23]
	v_bfe_u32 v26, v26, 0, s18
	v_lshl_or_b32 v26, v26, 4, v3
	ds_add_u32 v26, v25 offset:24576
	s_add_i32 s13, s8, 56
	s_cmp_le_u32 s9, s13
	s_cbranch_scc1 .LBB83_372
; %bb.371:
	s_sub_i32 s18, s9, s13
	s_min_u32 s18, s18, 8
	v_lshrrev_b64 v[22:23], s13, v[22:23]
	v_bfe_u32 v22, v22, 0, s18
	v_lshl_or_b32 v22, v22, 4, v3
	v_mov_b32_e32 v23, 1
	ds_add_u32 v22, v23 offset:28672
.LBB83_372:
	s_brev_b32 s13, -2
	v_bfrev_b32_e32 v22, 1
	v_cmp_ne_u64_e32 vcc, s[12:13], v[20:21]
	s_nop 1
	v_cndmask_b32_e32 v21, v22, v21, vcc
	v_cndmask_b32_e32 v20, 0, v20, vcc
	v_lshrrev_b64 v[22:23], s8, v[20:21]
	v_and_b32_e32 v22, s14, v22
	v_lshl_or_b32 v22, v22, 4, v3
	ds_add_u32 v22, v24
	v_lshrrev_b64 v[22:23], s15, v[20:21]
	v_and_b32_e32 v22, s17, v22
	v_lshl_or_b32 v22, v22, 4, v3
	ds_add_u32 v22, v24 offset:4096
	s_andn2_b64 vcc, exec, s[10:11]
	s_cbranch_vccnz .LBB83_379
; %bb.373:
	s_sub_i32 s10, s9, s16
	s_min_u32 s10, s10, 8
	v_lshrrev_b64 v[22:23], s16, v[20:21]
	v_bfe_u32 v22, v22, 0, s10
	v_lshl_or_b32 v23, v22, 4, v3
	v_mov_b32_e32 v22, 1
	ds_add_u32 v23, v22 offset:8192
	s_add_i32 s10, s8, 24
	s_cmp_gt_u32 s9, s10
	s_cbranch_scc0 .LBB83_379
; %bb.374:
	s_sub_i32 s11, s9, s10
	s_min_u32 s11, s11, 8
	v_lshrrev_b64 v[24:25], s10, v[20:21]
	v_bfe_u32 v23, v24, 0, s11
	v_lshl_or_b32 v23, v23, 4, v3
	ds_add_u32 v23, v22 offset:12288
	s_add_i32 s10, s8, 32
	s_cmp_gt_u32 s9, s10
	s_cbranch_scc0 .LBB83_379
; %bb.375:
	s_sub_i32 s11, s9, s10
	s_min_u32 s11, s11, 8
	v_lshrrev_b64 v[22:23], s10, v[20:21]
	v_bfe_u32 v22, v22, 0, s11
	v_lshl_or_b32 v23, v22, 4, v3
	v_mov_b32_e32 v22, 1
	ds_add_u32 v23, v22 offset:16384
	s_add_i32 s10, s8, 40
	s_cmp_gt_u32 s9, s10
	s_cbranch_scc0 .LBB83_379
; %bb.376:
	s_sub_i32 s11, s9, s10
	s_min_u32 s11, s11, 8
	v_lshrrev_b64 v[24:25], s10, v[20:21]
	v_bfe_u32 v23, v24, 0, s11
	v_lshl_or_b32 v23, v23, 4, v3
	ds_add_u32 v23, v22 offset:20480
	s_add_i32 s10, s8, 48
	s_cmp_gt_u32 s9, s10
	s_cbranch_scc0 .LBB83_379
; %bb.377:
	s_sub_i32 s11, s9, s10
	s_min_u32 s11, s11, 8
	v_lshrrev_b64 v[22:23], s10, v[20:21]
	v_bfe_u32 v22, v22, 0, s11
	v_lshl_or_b32 v22, v22, 4, v3
	v_mov_b32_e32 v23, 1
	ds_add_u32 v22, v23 offset:24576
	s_add_i32 s10, s8, 56
	s_cmp_gt_u32 s9, s10
                                        ; implicit-def: $vgpr24
	s_cbranch_scc0 .LBB83_380
; %bb.378:
	s_sub_i32 s4, s9, s10
	s_min_u32 s4, s4, 8
	v_lshrrev_b64 v[20:21], s10, v[20:21]
	v_bfe_u32 v20, v20, 0, s4
	v_mov_b32_e32 v21, 0x7000
	v_lshl_add_u32 v24, v20, 4, v21
	s_mov_b64 s[4:5], -1
	s_branch .LBB83_380
.LBB83_379:
                                        ; implicit-def: $vgpr24
.LBB83_380:
	s_and_b64 vcc, exec, s[4:5]
	s_cbranch_vccz .LBB83_382
; %bb.381:
	v_lshl_add_u32 v20, v1, 2, v24
	v_mov_b32_e32 v21, 1
	ds_add_u32 v20, v21
.LBB83_382:
	v_bfrev_b32_e32 v24, 1
	s_waitcnt vmcnt(1)
	v_cmp_lt_i64_e32 vcc, -1, v[10:11]
	s_mov_b32 s10, -1
	v_ashrrev_i32_e32 v21, 31, v11
	v_cndmask_b32_e32 v20, -1, v24, vcc
	s_brev_b32 s11, -2
	v_xor_b32_e32 v23, v20, v11
	v_xor_b32_e32 v22, v21, v10
	s_waitcnt vmcnt(0)
	v_cmp_lt_i64_e32 vcc, -1, v[8:9]
	v_ashrrev_i32_e32 v25, 31, v9
	s_mov_b64 s[4:5], -1
	v_cndmask_b32_e32 v20, -1, v24, vcc
	v_cmp_ne_u64_e32 vcc, s[10:11], v[22:23]
	v_xor_b32_e32 v21, v20, v9
	s_nop 0
	v_cndmask_b32_e32 v23, v24, v23, vcc
	v_cndmask_b32_e32 v22, 0, v22, vcc
	v_lshrrev_b64 v[26:27], s8, v[22:23]
	v_and_b32_e32 v20, s14, v26
	v_lshl_or_b32 v20, v20, 4, v3
	v_mov_b32_e32 v26, 1
	ds_add_u32 v20, v26
	v_xor_b32_e32 v20, v25, v8
	s_and_b64 vcc, exec, s[2:3]
	s_cbranch_vccz .LBB83_384
; %bb.383:
	v_cmp_ne_u64_e32 vcc, s[10:11], v[20:21]
	s_mov_b64 s[2:3], -1
	s_nop 0
	v_cndmask_b32_e32 v25, v24, v21, vcc
	v_cndmask_b32_e32 v24, 0, v20, vcc
	v_lshrrev_b64 v[24:25], s8, v[24:25]
	v_and_b32_e32 v24, s14, v24
	v_lshlrev_b32_e32 v24, 4, v24
	s_cbranch_execz .LBB83_385
	s_branch .LBB83_400
.LBB83_384:
	s_mov_b64 s[2:3], 0
                                        ; implicit-def: $vgpr24
	s_andn2_b64 vcc, exec, s[4:5]
	s_cbranch_vccnz .LBB83_400
.LBB83_385:
	s_sub_i32 s4, s9, s15
	s_min_u32 s4, s4, 8
	s_lshl_b32 s4, -1, s4
	v_lshrrev_b64 v[24:25], s15, v[22:23]
	v_bitop3_b32 v24, v24, s4, v24 bitop3:0x30
	v_lshl_or_b32 v25, v24, 4, v3
	v_mov_b32_e32 v24, 1
	ds_add_u32 v25, v24 offset:4096
	s_not_b32 s13, s4
	s_add_i32 s12, s8, 16
	s_cmp_gt_u32 s9, s12
	s_cselect_b64 s[4:5], -1, 0
	s_cmp_le_u32 s9, s12
	s_mov_b32 s10, -1
	s_cbranch_scc1 .LBB83_392
; %bb.386:
	s_sub_i32 s11, s9, s12
	s_min_u32 s11, s11, 8
	v_lshrrev_b64 v[26:27], s12, v[22:23]
	v_bfe_u32 v25, v26, 0, s11
	v_lshl_or_b32 v25, v25, 4, v3
	ds_add_u32 v25, v24 offset:8192
	s_add_i32 s11, s8, 24
	s_cmp_le_u32 s9, s11
	s_cbranch_scc1 .LBB83_392
; %bb.387:
	s_sub_i32 s16, s9, s11
	s_min_u32 s16, s16, 8
	v_lshrrev_b64 v[26:27], s11, v[22:23]
	v_bfe_u32 v25, v26, 0, s16
	v_lshl_or_b32 v26, v25, 4, v3
	v_mov_b32_e32 v25, 1
	ds_add_u32 v26, v25 offset:12288
	s_add_i32 s11, s8, 32
	s_cmp_le_u32 s9, s11
	s_cbranch_scc1 .LBB83_392
; %bb.388:
	s_sub_i32 s16, s9, s11
	s_min_u32 s16, s16, 8
	v_lshrrev_b64 v[26:27], s11, v[22:23]
	v_bfe_u32 v26, v26, 0, s16
	v_lshl_or_b32 v26, v26, 4, v3
	ds_add_u32 v26, v25 offset:16384
	s_add_i32 s11, s8, 40
	s_cmp_le_u32 s9, s11
	s_cbranch_scc1 .LBB83_392
; %bb.389:
	s_sub_i32 s16, s9, s11
	s_min_u32 s16, s16, 8
	v_lshrrev_b64 v[26:27], s11, v[22:23]
	v_bfe_u32 v25, v26, 0, s16
	v_lshl_or_b32 v26, v25, 4, v3
	v_mov_b32_e32 v25, 1
	ds_add_u32 v26, v25 offset:20480
	s_add_i32 s11, s8, 48
	s_cmp_le_u32 s9, s11
	s_cbranch_scc1 .LBB83_392
; %bb.390:
	s_sub_i32 s16, s9, s11
	s_min_u32 s16, s16, 8
	v_lshrrev_b64 v[26:27], s11, v[22:23]
	v_bfe_u32 v26, v26, 0, s16
	v_lshl_or_b32 v26, v26, 4, v3
	ds_add_u32 v26, v25 offset:24576
	s_add_i32 s11, s8, 56
	s_cmp_le_u32 s9, s11
	s_cbranch_scc1 .LBB83_392
; %bb.391:
	s_sub_i32 s16, s9, s11
	s_min_u32 s16, s16, 8
	v_lshrrev_b64 v[22:23], s11, v[22:23]
	v_bfe_u32 v22, v22, 0, s16
	v_lshl_or_b32 v22, v22, 4, v3
	v_mov_b32_e32 v23, 1
	ds_add_u32 v22, v23 offset:28672
.LBB83_392:
	s_brev_b32 s11, -2
	v_bfrev_b32_e32 v22, 1
	v_cmp_ne_u64_e32 vcc, s[10:11], v[20:21]
	s_nop 1
	v_cndmask_b32_e32 v21, v22, v21, vcc
	v_cndmask_b32_e32 v20, 0, v20, vcc
	v_lshrrev_b64 v[22:23], s8, v[20:21]
	v_and_b32_e32 v22, s14, v22
	v_lshl_or_b32 v22, v22, 4, v3
	ds_add_u32 v22, v24
	v_lshrrev_b64 v[22:23], s15, v[20:21]
	v_and_b32_e32 v22, s13, v22
	v_lshl_or_b32 v22, v22, 4, v3
	ds_add_u32 v22, v24 offset:4096
	s_andn2_b64 vcc, exec, s[4:5]
	s_cbranch_vccnz .LBB83_399
; %bb.393:
	s_sub_i32 s4, s9, s12
	s_min_u32 s4, s4, 8
	v_lshrrev_b64 v[22:23], s12, v[20:21]
	v_bfe_u32 v22, v22, 0, s4
	v_lshl_or_b32 v23, v22, 4, v3
	v_mov_b32_e32 v22, 1
	ds_add_u32 v23, v22 offset:8192
	s_add_i32 s4, s8, 24
	s_cmp_gt_u32 s9, s4
	s_cbranch_scc0 .LBB83_399
; %bb.394:
	s_sub_i32 s5, s9, s4
	s_min_u32 s5, s5, 8
	v_lshrrev_b64 v[24:25], s4, v[20:21]
	v_bfe_u32 v23, v24, 0, s5
	v_lshl_or_b32 v23, v23, 4, v3
	ds_add_u32 v23, v22 offset:12288
	s_add_i32 s4, s8, 32
	s_cmp_gt_u32 s9, s4
	s_cbranch_scc0 .LBB83_399
; %bb.395:
	s_sub_i32 s5, s9, s4
	s_min_u32 s5, s5, 8
	v_lshrrev_b64 v[22:23], s4, v[20:21]
	v_bfe_u32 v22, v22, 0, s5
	v_lshl_or_b32 v23, v22, 4, v3
	v_mov_b32_e32 v22, 1
	ds_add_u32 v23, v22 offset:16384
	s_add_i32 s4, s8, 40
	s_cmp_gt_u32 s9, s4
	s_cbranch_scc0 .LBB83_399
; %bb.396:
	s_sub_i32 s5, s9, s4
	s_min_u32 s5, s5, 8
	v_lshrrev_b64 v[24:25], s4, v[20:21]
	v_bfe_u32 v23, v24, 0, s5
	v_lshl_or_b32 v23, v23, 4, v3
	ds_add_u32 v23, v22 offset:20480
	s_add_i32 s4, s8, 48
	s_cmp_gt_u32 s9, s4
	s_cbranch_scc0 .LBB83_399
; %bb.397:
	s_sub_i32 s5, s9, s4
	s_min_u32 s5, s5, 8
	v_lshrrev_b64 v[22:23], s4, v[20:21]
	v_bfe_u32 v22, v22, 0, s5
	v_lshl_or_b32 v3, v22, 4, v3
	v_mov_b32_e32 v22, 1
	ds_add_u32 v3, v22 offset:24576
	s_add_i32 s4, s8, 56
	s_cmp_gt_u32 s9, s4
                                        ; implicit-def: $vgpr24
	s_cbranch_scc0 .LBB83_400
; %bb.398:
	s_sub_i32 s2, s9, s4
	s_min_u32 s2, s2, 8
	v_lshrrev_b64 v[20:21], s4, v[20:21]
	v_bfe_u32 v3, v20, 0, s2
	v_mov_b32_e32 v20, 0x7000
	v_lshl_add_u32 v24, v3, 4, v20
	s_mov_b64 s[2:3], -1
	s_branch .LBB83_400
.LBB83_399:
                                        ; implicit-def: $vgpr24
.LBB83_400:
	s_and_b64 vcc, exec, s[2:3]
	s_cbranch_vccz .LBB83_402
; %bb.401:
	v_lshl_add_u32 v1, v1, 2, v24
	v_mov_b32_e32 v3, 1
	ds_add_u32 v1, v3
.LBB83_402:
	s_and_b64 vcc, exec, s[0:1]
	s_waitcnt lgkmcnt(0)
	s_barrier
	s_cbranch_vccz .LBB83_407
; %bb.403:
	s_movk_i32 s0, 0x100
	v_cmp_gt_u32_e32 vcc, s0, v0
	v_lshlrev_b32_e32 v1, 4, v0
	v_mov_b32_e32 v21, 0
	v_mov_b32_e32 v20, v0
	s_branch .LBB83_405
.LBB83_404:                             ;   in Loop: Header=BB83_405 Depth=1
	s_or_b64 exec, exec, s[0:1]
	s_add_i32 s8, s8, 8
	v_add_u32_e32 v20, 0x100, v20
	s_cmp_ge_u32 s8, s9
	v_add_u32_e32 v1, 0x1000, v1
	s_cbranch_scc1 .LBB83_407
.LBB83_405:                             ; =>This Inner Loop Header: Depth=1
	s_and_saveexec_b64 s[0:1], vcc
	s_cbranch_execz .LBB83_404
; %bb.406:                              ;   in Loop: Header=BB83_405 Depth=1
	ds_read2_b32 v[22:23], v1 offset1:1
	ds_read2_b32 v[24:25], v1 offset0:2 offset1:3
	s_waitcnt lgkmcnt(1)
	v_add_u32_e32 v3, v23, v22
	s_waitcnt lgkmcnt(0)
	v_add3_u32 v3, v3, v24, v25
	v_lshl_add_u64 v[22:23], v[20:21], 2, s[6:7]
	global_atomic_add v[22:23], v3, off
	s_branch .LBB83_404
.LBB83_407:
	s_mov_b64 s[0:1], 0
.LBB83_408:
	s_and_b64 vcc, exec, s[0:1]
	s_cbranch_vccz .LBB83_411
; %bb.409:
	v_bfrev_b32_e32 v1, 1
	s_waitcnt vmcnt(3)
	v_cmp_lt_i64_e32 vcc, -1, v[18:19]
	v_ashrrev_i32_e32 v21, 31, v19
	v_ashrrev_i32_e32 v22, 31, v17
	v_cndmask_b32_e32 v20, -1, v1, vcc
	v_cmp_lt_i64_e32 vcc, -1, v[16:17]
	v_xor_b32_e32 v19, v20, v19
	v_xor_b32_e32 v18, v21, v18
	v_cndmask_b32_e32 v20, -1, v1, vcc
	v_cmp_lt_i64_e32 vcc, -1, v[12:13]
	v_xor_b32_e32 v21, v20, v17
	v_xor_b32_e32 v20, v22, v16
	v_cndmask_b32_e32 v16, -1, v1, vcc
	v_ashrrev_i32_e32 v17, 31, v13
	v_cmp_lt_i64_e32 vcc, -1, v[6:7]
	v_xor_b32_e32 v23, v16, v13
	v_xor_b32_e32 v22, v17, v12
	v_cndmask_b32_e32 v12, -1, v1, vcc
	v_ashrrev_i32_e32 v13, 31, v7
	;; [unrolled: 5-line block ×3, first 2 shown]
	s_waitcnt vmcnt(2)
	v_cmp_lt_i64_e32 vcc, -1, v[14:15]
	s_mov_b32 s0, -1
	v_xor_b32_e32 v17, v6, v5
	v_xor_b32_e32 v16, v7, v4
	v_cndmask_b32_e32 v4, -1, v1, vcc
	v_ashrrev_i32_e32 v5, 31, v15
	s_waitcnt vmcnt(1)
	v_cmp_lt_i64_e32 vcc, -1, v[10:11]
	s_brev_b32 s1, -2
	v_xor_b32_e32 v13, v4, v15
	v_xor_b32_e32 v12, v5, v14
	v_cndmask_b32_e32 v4, -1, v1, vcc
	v_ashrrev_i32_e32 v5, 31, v11
	s_waitcnt vmcnt(0)
	v_cmp_lt_i64_e32 vcc, -1, v[8:9]
	v_xor_b32_e32 v7, v4, v11
	v_xor_b32_e32 v6, v5, v10
	v_cndmask_b32_e32 v4, -1, v1, vcc
	v_ashrrev_i32_e32 v10, 31, v9
	v_cmp_ne_u64_e32 vcc, s[0:1], v[18:19]
	v_xor_b32_e32 v5, v4, v9
	v_xor_b32_e32 v4, v10, v8
	v_and_b32_e32 v8, 3, v0
	v_cndmask_b32_e32 v10, 0, v18, vcc
	v_lshlrev_b32_e32 v11, 4, v10
	v_lshlrev_b32_e32 v8, 2, v8
	s_movk_i32 s2, 0xff0
	v_mov_b32_e32 v3, 0
	v_and_or_b32 v11, v11, s2, v8
	v_mov_b32_e32 v14, 1
	ds_write2st64_b32 v2, v3, v3 offset1:16
	ds_write2st64_b32 v2, v3, v3 offset0:32 offset1:48
	ds_write2st64_b32 v2, v3, v3 offset0:64 offset1:80
	;; [unrolled: 1-line block ×3, first 2 shown]
	s_waitcnt lgkmcnt(0)
	s_barrier
	ds_add_u32 v11, v14
	v_bfe_u32 v11, v10, 8, 8
	v_lshl_or_b32 v11, v11, 4, v8
	ds_add_u32 v11, v14 offset:4096
	v_bfe_u32 v11, v10, 16, 8
	v_cndmask_b32_e32 v9, v1, v19, vcc
	v_lshl_or_b32 v11, v11, 4, v8
	ds_add_u32 v11, v14 offset:8192
	v_lshrrev_b32_e32 v11, 24, v10
	v_alignbit_b32 v10, v9, v10, 30
	v_lshl_or_b32 v11, v11, 4, v8
	v_and_b32_e32 v10, 0x3fc, v10
	ds_add_u32 v11, v14 offset:12288
	v_lshl_or_b32 v10, v10, 2, v8
	ds_add_u32 v10, v14 offset:16384
	v_bfe_u32 v10, v9, 8, 8
	v_lshl_or_b32 v10, v10, 4, v8
	ds_add_u32 v10, v14 offset:20480
	v_bfe_u32 v10, v9, 16, 8
	v_lshl_or_b32 v10, v10, 4, v8
	v_cmp_ne_u64_e32 vcc, s[0:1], v[20:21]
	ds_add_u32 v10, v14 offset:24576
	v_lshrrev_b32_e32 v9, 24, v9
	v_cndmask_b32_e32 v10, 0, v20, vcc
	v_lshl_or_b32 v9, v9, 4, v8
	v_lshlrev_b32_e32 v11, 4, v10
	ds_add_u32 v9, v14 offset:28672
	v_and_or_b32 v11, v11, s2, v8
	ds_add_u32 v11, v14
	v_bfe_u32 v11, v10, 8, 8
	v_lshl_or_b32 v11, v11, 4, v8
	ds_add_u32 v11, v14 offset:4096
	v_bfe_u32 v11, v10, 16, 8
	v_cndmask_b32_e32 v9, v1, v21, vcc
	v_lshl_or_b32 v11, v11, 4, v8
	ds_add_u32 v11, v14 offset:8192
	v_lshrrev_b32_e32 v11, 24, v10
	v_alignbit_b32 v10, v9, v10, 30
	v_lshl_or_b32 v11, v11, 4, v8
	v_and_b32_e32 v10, 0x3fc, v10
	ds_add_u32 v11, v14 offset:12288
	v_lshl_or_b32 v10, v10, 2, v8
	ds_add_u32 v10, v14 offset:16384
	v_bfe_u32 v10, v9, 8, 8
	v_lshl_or_b32 v10, v10, 4, v8
	ds_add_u32 v10, v14 offset:20480
	v_bfe_u32 v10, v9, 16, 8
	v_lshl_or_b32 v10, v10, 4, v8
	v_cmp_ne_u64_e32 vcc, s[0:1], v[22:23]
	ds_add_u32 v10, v14 offset:24576
	v_lshrrev_b32_e32 v9, 24, v9
	v_cndmask_b32_e32 v10, 0, v22, vcc
	v_lshl_or_b32 v9, v9, 4, v8
	v_lshlrev_b32_e32 v11, 4, v10
	ds_add_u32 v9, v14 offset:28672
	v_and_or_b32 v11, v11, s2, v8
	;; [unrolled: 28-line block ×5, first 2 shown]
	ds_add_u32 v11, v14
	v_bfe_u32 v11, v10, 8, 8
	v_lshl_or_b32 v11, v11, 4, v8
	ds_add_u32 v11, v14 offset:4096
	v_bfe_u32 v11, v10, 16, 8
	v_cndmask_b32_e32 v9, v1, v13, vcc
	v_lshl_or_b32 v11, v11, 4, v8
	ds_add_u32 v11, v14 offset:8192
	v_lshrrev_b32_e32 v11, 24, v10
	v_alignbit_b32 v10, v9, v10, 30
	v_lshl_or_b32 v11, v11, 4, v8
	v_and_b32_e32 v10, 0x3fc, v10
	ds_add_u32 v11, v14 offset:12288
	v_lshl_or_b32 v10, v10, 2, v8
	ds_add_u32 v10, v14 offset:16384
	v_bfe_u32 v10, v9, 8, 8
	v_lshl_or_b32 v10, v10, 4, v8
	ds_add_u32 v10, v14 offset:20480
	v_bfe_u32 v10, v9, 16, 8
	v_lshl_or_b32 v10, v10, 4, v8
	v_lshrrev_b32_e32 v9, 24, v9
	v_cmp_ne_u64_e32 vcc, s[0:1], v[6:7]
	ds_add_u32 v10, v14 offset:24576
	v_lshl_or_b32 v9, v9, 4, v8
	v_cndmask_b32_e32 v6, 0, v6, vcc
	ds_add_u32 v9, v14 offset:28672
	v_lshlrev_b32_e32 v9, 4, v6
	v_and_or_b32 v9, v9, s2, v8
	ds_add_u32 v9, v14
	v_bfe_u32 v9, v6, 8, 8
	v_lshl_or_b32 v9, v9, 4, v8
	ds_add_u32 v9, v14 offset:4096
	v_bfe_u32 v9, v6, 16, 8
	v_cndmask_b32_e32 v7, v1, v7, vcc
	v_lshl_or_b32 v9, v9, 4, v8
	ds_add_u32 v9, v14 offset:8192
	v_lshrrev_b32_e32 v9, 24, v6
	v_alignbit_b32 v6, v7, v6, 30
	v_lshl_or_b32 v9, v9, 4, v8
	v_and_b32_e32 v6, 0x3fc, v6
	ds_add_u32 v9, v14 offset:12288
	v_lshl_or_b32 v6, v6, 2, v8
	ds_add_u32 v6, v14 offset:16384
	v_bfe_u32 v6, v7, 8, 8
	v_lshl_or_b32 v6, v6, 4, v8
	ds_add_u32 v6, v14 offset:20480
	v_bfe_u32 v6, v7, 16, 8
	v_lshl_or_b32 v6, v6, 4, v8
	v_cmp_ne_u64_e32 vcc, s[0:1], v[4:5]
	ds_add_u32 v6, v14 offset:24576
	v_lshrrev_b32_e32 v6, 24, v7
	v_cndmask_b32_e32 v4, 0, v4, vcc
	v_lshl_or_b32 v6, v6, 4, v8
	v_cndmask_b32_e32 v1, v1, v5, vcc
	v_lshlrev_b32_e32 v5, 4, v4
	ds_add_u32 v6, v14 offset:28672
	v_and_or_b32 v5, v5, s2, v8
	ds_add_u32 v5, v14
	v_bfe_u32 v5, v4, 8, 8
	v_lshl_or_b32 v5, v5, 4, v8
	ds_add_u32 v5, v14 offset:4096
	v_bfe_u32 v5, v4, 16, 8
	v_lshl_or_b32 v5, v5, 4, v8
	ds_add_u32 v5, v14 offset:8192
	v_lshrrev_b32_e32 v5, 24, v4
	v_alignbit_b32 v4, v1, v4, 30
	v_lshl_or_b32 v5, v5, 4, v8
	v_and_b32_e32 v4, 0x3fc, v4
	ds_add_u32 v5, v14 offset:12288
	v_lshl_or_b32 v4, v4, 2, v8
	ds_add_u32 v4, v14 offset:16384
	v_bfe_u32 v4, v1, 8, 8
	v_lshl_or_b32 v4, v4, 4, v8
	ds_add_u32 v4, v14 offset:20480
	v_bfe_u32 v4, v1, 16, 8
	v_lshl_or_b32 v4, v4, 4, v8
	v_lshrrev_b32_e32 v1, 24, v1
	ds_add_u32 v4, v14 offset:24576
	v_lshl_or_b32 v1, v1, 4, v8
	ds_add_u32 v1, v14 offset:28672
	s_movk_i32 s0, 0x100
	v_cmp_gt_u32_e32 vcc, s0, v0
	s_waitcnt lgkmcnt(0)
	s_barrier
	s_and_saveexec_b64 s[0:1], vcc
	s_cbranch_execz .LBB83_411
; %bb.410:
	v_lshlrev_b32_e32 v8, 4, v0
	ds_read2_b32 v[0:1], v8 offset1:1
	ds_read2_b32 v[4:5], v8 offset0:2 offset1:3
	v_add_u32_e32 v6, 0x1000, v8
	v_add_u32_e32 v7, 0x1008, v8
	;; [unrolled: 1-line block ×3, first 2 shown]
	s_waitcnt lgkmcnt(1)
	v_add_u32_e32 v0, v1, v0
	s_waitcnt lgkmcnt(0)
	v_add3_u32 v0, v0, v4, v5
	global_atomic_add v2, v0, s[6:7]
	ds_read2_b32 v[0:1], v6 offset1:1
	ds_read2_b32 v[4:5], v7 offset1:1
	v_add_u32_e32 v6, 0x2000, v8
	v_add_u32_e32 v7, 0x2008, v8
	s_movk_i32 s0, 0x1000
	s_waitcnt lgkmcnt(1)
	v_add_u32_e32 v0, v1, v0
	s_waitcnt lgkmcnt(0)
	v_add3_u32 v0, v0, v4, v5
	global_atomic_add v2, v0, s[6:7] offset:1024
	ds_read2_b32 v[0:1], v6 offset1:1
	ds_read2_b32 v[4:5], v7 offset1:1
	v_lshl_add_u64 v[6:7], s[6:7], 0, v[2:3]
	v_add_u32_e32 v3, 0x3000, v8
	s_waitcnt lgkmcnt(1)
	v_add_u32_e32 v0, v1, v0
	s_waitcnt lgkmcnt(0)
	v_add3_u32 v0, v0, v4, v5
	global_atomic_add v2, v0, s[6:7] offset:2048
	ds_read2_b32 v[0:1], v3 offset1:1
	ds_read2_b32 v[4:5], v9 offset1:1
	v_or_b32_e32 v3, 0x4000, v8
	v_or_b32_e32 v9, 0x4008, v8
	s_waitcnt lgkmcnt(1)
	v_add_u32_e32 v0, v1, v0
	s_waitcnt lgkmcnt(0)
	v_add3_u32 v0, v0, v4, v5
	global_atomic_add v2, v0, s[6:7] offset:3072
	ds_read2_b32 v[0:1], v3 offset1:1
	ds_read2_b32 v[2:3], v9 offset1:1
	v_add_co_u32_e32 v4, vcc, s0, v6
	v_add_u32_e32 v6, 0x5000, v8
	s_waitcnt lgkmcnt(1)
	v_add_u32_e32 v0, v1, v0
	v_addc_co_u32_e32 v5, vcc, 0, v7, vcc
	s_waitcnt lgkmcnt(0)
	v_add3_u32 v0, v0, v2, v3
	global_atomic_add v[4:5], v0, off
	v_add_u32_e32 v2, 0x5008, v8
	ds_read2_b32 v[0:1], v6 offset1:1
	ds_read2_b32 v[2:3], v2 offset1:1
	v_add_u32_e32 v6, 0x6000, v8
	v_add_u32_e32 v7, 0x6008, v8
	s_waitcnt lgkmcnt(1)
	v_add_u32_e32 v0, v1, v0
	s_waitcnt lgkmcnt(0)
	v_add3_u32 v0, v0, v2, v3
	global_atomic_add v[4:5], v0, off offset:1024
	ds_read2_b32 v[0:1], v6 offset1:1
	ds_read2_b32 v[2:3], v7 offset1:1
	v_add_u32_e32 v6, 0x7000, v8
	s_waitcnt lgkmcnt(1)
	v_add_u32_e32 v0, v1, v0
	s_waitcnt lgkmcnt(0)
	v_add3_u32 v0, v0, v2, v3
	global_atomic_add v[4:5], v0, off offset:2048
	v_add_u32_e32 v2, 0x7008, v8
	ds_read2_b32 v[0:1], v6 offset1:1
	ds_read2_b32 v[2:3], v2 offset1:1
	s_waitcnt lgkmcnt(1)
	v_add_u32_e32 v0, v1, v0
	s_waitcnt lgkmcnt(0)
	v_add3_u32 v0, v0, v2, v3
	global_atomic_add v[4:5], v0, off offset:3072
.LBB83_411:
	s_endpgm
	.section	.rodata,"a",@progbits
	.p2align	6, 0x0
	.amdhsa_kernel _ZN7rocprim17ROCPRIM_400000_NS6detail17trampoline_kernelINS0_14default_configENS1_35radix_sort_onesweep_config_selectorIddEEZNS1_34radix_sort_onesweep_global_offsetsIS3_Lb0EN6thrust23THRUST_200600_302600_NS6detail15normal_iteratorINS8_10device_ptrIdEEEESD_jNS0_19identity_decomposerEEE10hipError_tT1_T2_PT3_SI_jT4_jjP12ihipStream_tbEUlT_E_NS1_11comp_targetILNS1_3genE6ELNS1_11target_archE950ELNS1_3gpuE13ELNS1_3repE0EEENS1_52radix_sort_onesweep_histogram_config_static_selectorELNS0_4arch9wavefront6targetE1EEEvSG_
		.amdhsa_group_segment_fixed_size 32768
		.amdhsa_private_segment_fixed_size 0
		.amdhsa_kernarg_size 40
		.amdhsa_user_sgpr_count 2
		.amdhsa_user_sgpr_dispatch_ptr 0
		.amdhsa_user_sgpr_queue_ptr 0
		.amdhsa_user_sgpr_kernarg_segment_ptr 1
		.amdhsa_user_sgpr_dispatch_id 0
		.amdhsa_user_sgpr_kernarg_preload_length 0
		.amdhsa_user_sgpr_kernarg_preload_offset 0
		.amdhsa_user_sgpr_private_segment_size 0
		.amdhsa_uses_dynamic_stack 0
		.amdhsa_enable_private_segment 0
		.amdhsa_system_sgpr_workgroup_id_x 1
		.amdhsa_system_sgpr_workgroup_id_y 0
		.amdhsa_system_sgpr_workgroup_id_z 0
		.amdhsa_system_sgpr_workgroup_info 0
		.amdhsa_system_vgpr_workitem_id 0
		.amdhsa_next_free_vgpr 29
		.amdhsa_next_free_sgpr 19
		.amdhsa_accum_offset 32
		.amdhsa_reserve_vcc 1
		.amdhsa_float_round_mode_32 0
		.amdhsa_float_round_mode_16_64 0
		.amdhsa_float_denorm_mode_32 3
		.amdhsa_float_denorm_mode_16_64 3
		.amdhsa_dx10_clamp 1
		.amdhsa_ieee_mode 1
		.amdhsa_fp16_overflow 0
		.amdhsa_tg_split 0
		.amdhsa_exception_fp_ieee_invalid_op 0
		.amdhsa_exception_fp_denorm_src 0
		.amdhsa_exception_fp_ieee_div_zero 0
		.amdhsa_exception_fp_ieee_overflow 0
		.amdhsa_exception_fp_ieee_underflow 0
		.amdhsa_exception_fp_ieee_inexact 0
		.amdhsa_exception_int_div_zero 0
	.end_amdhsa_kernel
	.section	.text._ZN7rocprim17ROCPRIM_400000_NS6detail17trampoline_kernelINS0_14default_configENS1_35radix_sort_onesweep_config_selectorIddEEZNS1_34radix_sort_onesweep_global_offsetsIS3_Lb0EN6thrust23THRUST_200600_302600_NS6detail15normal_iteratorINS8_10device_ptrIdEEEESD_jNS0_19identity_decomposerEEE10hipError_tT1_T2_PT3_SI_jT4_jjP12ihipStream_tbEUlT_E_NS1_11comp_targetILNS1_3genE6ELNS1_11target_archE950ELNS1_3gpuE13ELNS1_3repE0EEENS1_52radix_sort_onesweep_histogram_config_static_selectorELNS0_4arch9wavefront6targetE1EEEvSG_,"axG",@progbits,_ZN7rocprim17ROCPRIM_400000_NS6detail17trampoline_kernelINS0_14default_configENS1_35radix_sort_onesweep_config_selectorIddEEZNS1_34radix_sort_onesweep_global_offsetsIS3_Lb0EN6thrust23THRUST_200600_302600_NS6detail15normal_iteratorINS8_10device_ptrIdEEEESD_jNS0_19identity_decomposerEEE10hipError_tT1_T2_PT3_SI_jT4_jjP12ihipStream_tbEUlT_E_NS1_11comp_targetILNS1_3genE6ELNS1_11target_archE950ELNS1_3gpuE13ELNS1_3repE0EEENS1_52radix_sort_onesweep_histogram_config_static_selectorELNS0_4arch9wavefront6targetE1EEEvSG_,comdat
.Lfunc_end83:
	.size	_ZN7rocprim17ROCPRIM_400000_NS6detail17trampoline_kernelINS0_14default_configENS1_35radix_sort_onesweep_config_selectorIddEEZNS1_34radix_sort_onesweep_global_offsetsIS3_Lb0EN6thrust23THRUST_200600_302600_NS6detail15normal_iteratorINS8_10device_ptrIdEEEESD_jNS0_19identity_decomposerEEE10hipError_tT1_T2_PT3_SI_jT4_jjP12ihipStream_tbEUlT_E_NS1_11comp_targetILNS1_3genE6ELNS1_11target_archE950ELNS1_3gpuE13ELNS1_3repE0EEENS1_52radix_sort_onesweep_histogram_config_static_selectorELNS0_4arch9wavefront6targetE1EEEvSG_, .Lfunc_end83-_ZN7rocprim17ROCPRIM_400000_NS6detail17trampoline_kernelINS0_14default_configENS1_35radix_sort_onesweep_config_selectorIddEEZNS1_34radix_sort_onesweep_global_offsetsIS3_Lb0EN6thrust23THRUST_200600_302600_NS6detail15normal_iteratorINS8_10device_ptrIdEEEESD_jNS0_19identity_decomposerEEE10hipError_tT1_T2_PT3_SI_jT4_jjP12ihipStream_tbEUlT_E_NS1_11comp_targetILNS1_3genE6ELNS1_11target_archE950ELNS1_3gpuE13ELNS1_3repE0EEENS1_52radix_sort_onesweep_histogram_config_static_selectorELNS0_4arch9wavefront6targetE1EEEvSG_
                                        ; -- End function
	.set _ZN7rocprim17ROCPRIM_400000_NS6detail17trampoline_kernelINS0_14default_configENS1_35radix_sort_onesweep_config_selectorIddEEZNS1_34radix_sort_onesweep_global_offsetsIS3_Lb0EN6thrust23THRUST_200600_302600_NS6detail15normal_iteratorINS8_10device_ptrIdEEEESD_jNS0_19identity_decomposerEEE10hipError_tT1_T2_PT3_SI_jT4_jjP12ihipStream_tbEUlT_E_NS1_11comp_targetILNS1_3genE6ELNS1_11target_archE950ELNS1_3gpuE13ELNS1_3repE0EEENS1_52radix_sort_onesweep_histogram_config_static_selectorELNS0_4arch9wavefront6targetE1EEEvSG_.num_vgpr, 29
	.set _ZN7rocprim17ROCPRIM_400000_NS6detail17trampoline_kernelINS0_14default_configENS1_35radix_sort_onesweep_config_selectorIddEEZNS1_34radix_sort_onesweep_global_offsetsIS3_Lb0EN6thrust23THRUST_200600_302600_NS6detail15normal_iteratorINS8_10device_ptrIdEEEESD_jNS0_19identity_decomposerEEE10hipError_tT1_T2_PT3_SI_jT4_jjP12ihipStream_tbEUlT_E_NS1_11comp_targetILNS1_3genE6ELNS1_11target_archE950ELNS1_3gpuE13ELNS1_3repE0EEENS1_52radix_sort_onesweep_histogram_config_static_selectorELNS0_4arch9wavefront6targetE1EEEvSG_.num_agpr, 0
	.set _ZN7rocprim17ROCPRIM_400000_NS6detail17trampoline_kernelINS0_14default_configENS1_35radix_sort_onesweep_config_selectorIddEEZNS1_34radix_sort_onesweep_global_offsetsIS3_Lb0EN6thrust23THRUST_200600_302600_NS6detail15normal_iteratorINS8_10device_ptrIdEEEESD_jNS0_19identity_decomposerEEE10hipError_tT1_T2_PT3_SI_jT4_jjP12ihipStream_tbEUlT_E_NS1_11comp_targetILNS1_3genE6ELNS1_11target_archE950ELNS1_3gpuE13ELNS1_3repE0EEENS1_52radix_sort_onesweep_histogram_config_static_selectorELNS0_4arch9wavefront6targetE1EEEvSG_.numbered_sgpr, 19
	.set _ZN7rocprim17ROCPRIM_400000_NS6detail17trampoline_kernelINS0_14default_configENS1_35radix_sort_onesweep_config_selectorIddEEZNS1_34radix_sort_onesweep_global_offsetsIS3_Lb0EN6thrust23THRUST_200600_302600_NS6detail15normal_iteratorINS8_10device_ptrIdEEEESD_jNS0_19identity_decomposerEEE10hipError_tT1_T2_PT3_SI_jT4_jjP12ihipStream_tbEUlT_E_NS1_11comp_targetILNS1_3genE6ELNS1_11target_archE950ELNS1_3gpuE13ELNS1_3repE0EEENS1_52radix_sort_onesweep_histogram_config_static_selectorELNS0_4arch9wavefront6targetE1EEEvSG_.num_named_barrier, 0
	.set _ZN7rocprim17ROCPRIM_400000_NS6detail17trampoline_kernelINS0_14default_configENS1_35radix_sort_onesweep_config_selectorIddEEZNS1_34radix_sort_onesweep_global_offsetsIS3_Lb0EN6thrust23THRUST_200600_302600_NS6detail15normal_iteratorINS8_10device_ptrIdEEEESD_jNS0_19identity_decomposerEEE10hipError_tT1_T2_PT3_SI_jT4_jjP12ihipStream_tbEUlT_E_NS1_11comp_targetILNS1_3genE6ELNS1_11target_archE950ELNS1_3gpuE13ELNS1_3repE0EEENS1_52radix_sort_onesweep_histogram_config_static_selectorELNS0_4arch9wavefront6targetE1EEEvSG_.private_seg_size, 0
	.set _ZN7rocprim17ROCPRIM_400000_NS6detail17trampoline_kernelINS0_14default_configENS1_35radix_sort_onesweep_config_selectorIddEEZNS1_34radix_sort_onesweep_global_offsetsIS3_Lb0EN6thrust23THRUST_200600_302600_NS6detail15normal_iteratorINS8_10device_ptrIdEEEESD_jNS0_19identity_decomposerEEE10hipError_tT1_T2_PT3_SI_jT4_jjP12ihipStream_tbEUlT_E_NS1_11comp_targetILNS1_3genE6ELNS1_11target_archE950ELNS1_3gpuE13ELNS1_3repE0EEENS1_52radix_sort_onesweep_histogram_config_static_selectorELNS0_4arch9wavefront6targetE1EEEvSG_.uses_vcc, 1
	.set _ZN7rocprim17ROCPRIM_400000_NS6detail17trampoline_kernelINS0_14default_configENS1_35radix_sort_onesweep_config_selectorIddEEZNS1_34radix_sort_onesweep_global_offsetsIS3_Lb0EN6thrust23THRUST_200600_302600_NS6detail15normal_iteratorINS8_10device_ptrIdEEEESD_jNS0_19identity_decomposerEEE10hipError_tT1_T2_PT3_SI_jT4_jjP12ihipStream_tbEUlT_E_NS1_11comp_targetILNS1_3genE6ELNS1_11target_archE950ELNS1_3gpuE13ELNS1_3repE0EEENS1_52radix_sort_onesweep_histogram_config_static_selectorELNS0_4arch9wavefront6targetE1EEEvSG_.uses_flat_scratch, 0
	.set _ZN7rocprim17ROCPRIM_400000_NS6detail17trampoline_kernelINS0_14default_configENS1_35radix_sort_onesweep_config_selectorIddEEZNS1_34radix_sort_onesweep_global_offsetsIS3_Lb0EN6thrust23THRUST_200600_302600_NS6detail15normal_iteratorINS8_10device_ptrIdEEEESD_jNS0_19identity_decomposerEEE10hipError_tT1_T2_PT3_SI_jT4_jjP12ihipStream_tbEUlT_E_NS1_11comp_targetILNS1_3genE6ELNS1_11target_archE950ELNS1_3gpuE13ELNS1_3repE0EEENS1_52radix_sort_onesweep_histogram_config_static_selectorELNS0_4arch9wavefront6targetE1EEEvSG_.has_dyn_sized_stack, 0
	.set _ZN7rocprim17ROCPRIM_400000_NS6detail17trampoline_kernelINS0_14default_configENS1_35radix_sort_onesweep_config_selectorIddEEZNS1_34radix_sort_onesweep_global_offsetsIS3_Lb0EN6thrust23THRUST_200600_302600_NS6detail15normal_iteratorINS8_10device_ptrIdEEEESD_jNS0_19identity_decomposerEEE10hipError_tT1_T2_PT3_SI_jT4_jjP12ihipStream_tbEUlT_E_NS1_11comp_targetILNS1_3genE6ELNS1_11target_archE950ELNS1_3gpuE13ELNS1_3repE0EEENS1_52radix_sort_onesweep_histogram_config_static_selectorELNS0_4arch9wavefront6targetE1EEEvSG_.has_recursion, 0
	.set _ZN7rocprim17ROCPRIM_400000_NS6detail17trampoline_kernelINS0_14default_configENS1_35radix_sort_onesweep_config_selectorIddEEZNS1_34radix_sort_onesweep_global_offsetsIS3_Lb0EN6thrust23THRUST_200600_302600_NS6detail15normal_iteratorINS8_10device_ptrIdEEEESD_jNS0_19identity_decomposerEEE10hipError_tT1_T2_PT3_SI_jT4_jjP12ihipStream_tbEUlT_E_NS1_11comp_targetILNS1_3genE6ELNS1_11target_archE950ELNS1_3gpuE13ELNS1_3repE0EEENS1_52radix_sort_onesweep_histogram_config_static_selectorELNS0_4arch9wavefront6targetE1EEEvSG_.has_indirect_call, 0
	.section	.AMDGPU.csdata,"",@progbits
; Kernel info:
; codeLenInByte = 17928
; TotalNumSgprs: 25
; NumVgprs: 29
; NumAgprs: 0
; TotalNumVgprs: 29
; ScratchSize: 0
; MemoryBound: 0
; FloatMode: 240
; IeeeMode: 1
; LDSByteSize: 32768 bytes/workgroup (compile time only)
; SGPRBlocks: 3
; VGPRBlocks: 3
; NumSGPRsForWavesPerEU: 25
; NumVGPRsForWavesPerEU: 29
; AccumOffset: 32
; Occupancy: 8
; WaveLimiterHint : 1
; COMPUTE_PGM_RSRC2:SCRATCH_EN: 0
; COMPUTE_PGM_RSRC2:USER_SGPR: 2
; COMPUTE_PGM_RSRC2:TRAP_HANDLER: 0
; COMPUTE_PGM_RSRC2:TGID_X_EN: 1
; COMPUTE_PGM_RSRC2:TGID_Y_EN: 0
; COMPUTE_PGM_RSRC2:TGID_Z_EN: 0
; COMPUTE_PGM_RSRC2:TIDIG_COMP_CNT: 0
; COMPUTE_PGM_RSRC3_GFX90A:ACCUM_OFFSET: 7
; COMPUTE_PGM_RSRC3_GFX90A:TG_SPLIT: 0
	.section	.text._ZN7rocprim17ROCPRIM_400000_NS6detail17trampoline_kernelINS0_14default_configENS1_35radix_sort_onesweep_config_selectorIddEEZNS1_34radix_sort_onesweep_global_offsetsIS3_Lb0EN6thrust23THRUST_200600_302600_NS6detail15normal_iteratorINS8_10device_ptrIdEEEESD_jNS0_19identity_decomposerEEE10hipError_tT1_T2_PT3_SI_jT4_jjP12ihipStream_tbEUlT_E_NS1_11comp_targetILNS1_3genE5ELNS1_11target_archE942ELNS1_3gpuE9ELNS1_3repE0EEENS1_52radix_sort_onesweep_histogram_config_static_selectorELNS0_4arch9wavefront6targetE1EEEvSG_,"axG",@progbits,_ZN7rocprim17ROCPRIM_400000_NS6detail17trampoline_kernelINS0_14default_configENS1_35radix_sort_onesweep_config_selectorIddEEZNS1_34radix_sort_onesweep_global_offsetsIS3_Lb0EN6thrust23THRUST_200600_302600_NS6detail15normal_iteratorINS8_10device_ptrIdEEEESD_jNS0_19identity_decomposerEEE10hipError_tT1_T2_PT3_SI_jT4_jjP12ihipStream_tbEUlT_E_NS1_11comp_targetILNS1_3genE5ELNS1_11target_archE942ELNS1_3gpuE9ELNS1_3repE0EEENS1_52radix_sort_onesweep_histogram_config_static_selectorELNS0_4arch9wavefront6targetE1EEEvSG_,comdat
	.protected	_ZN7rocprim17ROCPRIM_400000_NS6detail17trampoline_kernelINS0_14default_configENS1_35radix_sort_onesweep_config_selectorIddEEZNS1_34radix_sort_onesweep_global_offsetsIS3_Lb0EN6thrust23THRUST_200600_302600_NS6detail15normal_iteratorINS8_10device_ptrIdEEEESD_jNS0_19identity_decomposerEEE10hipError_tT1_T2_PT3_SI_jT4_jjP12ihipStream_tbEUlT_E_NS1_11comp_targetILNS1_3genE5ELNS1_11target_archE942ELNS1_3gpuE9ELNS1_3repE0EEENS1_52radix_sort_onesweep_histogram_config_static_selectorELNS0_4arch9wavefront6targetE1EEEvSG_ ; -- Begin function _ZN7rocprim17ROCPRIM_400000_NS6detail17trampoline_kernelINS0_14default_configENS1_35radix_sort_onesweep_config_selectorIddEEZNS1_34radix_sort_onesweep_global_offsetsIS3_Lb0EN6thrust23THRUST_200600_302600_NS6detail15normal_iteratorINS8_10device_ptrIdEEEESD_jNS0_19identity_decomposerEEE10hipError_tT1_T2_PT3_SI_jT4_jjP12ihipStream_tbEUlT_E_NS1_11comp_targetILNS1_3genE5ELNS1_11target_archE942ELNS1_3gpuE9ELNS1_3repE0EEENS1_52radix_sort_onesweep_histogram_config_static_selectorELNS0_4arch9wavefront6targetE1EEEvSG_
	.globl	_ZN7rocprim17ROCPRIM_400000_NS6detail17trampoline_kernelINS0_14default_configENS1_35radix_sort_onesweep_config_selectorIddEEZNS1_34radix_sort_onesweep_global_offsetsIS3_Lb0EN6thrust23THRUST_200600_302600_NS6detail15normal_iteratorINS8_10device_ptrIdEEEESD_jNS0_19identity_decomposerEEE10hipError_tT1_T2_PT3_SI_jT4_jjP12ihipStream_tbEUlT_E_NS1_11comp_targetILNS1_3genE5ELNS1_11target_archE942ELNS1_3gpuE9ELNS1_3repE0EEENS1_52radix_sort_onesweep_histogram_config_static_selectorELNS0_4arch9wavefront6targetE1EEEvSG_
	.p2align	8
	.type	_ZN7rocprim17ROCPRIM_400000_NS6detail17trampoline_kernelINS0_14default_configENS1_35radix_sort_onesweep_config_selectorIddEEZNS1_34radix_sort_onesweep_global_offsetsIS3_Lb0EN6thrust23THRUST_200600_302600_NS6detail15normal_iteratorINS8_10device_ptrIdEEEESD_jNS0_19identity_decomposerEEE10hipError_tT1_T2_PT3_SI_jT4_jjP12ihipStream_tbEUlT_E_NS1_11comp_targetILNS1_3genE5ELNS1_11target_archE942ELNS1_3gpuE9ELNS1_3repE0EEENS1_52radix_sort_onesweep_histogram_config_static_selectorELNS0_4arch9wavefront6targetE1EEEvSG_,@function
_ZN7rocprim17ROCPRIM_400000_NS6detail17trampoline_kernelINS0_14default_configENS1_35radix_sort_onesweep_config_selectorIddEEZNS1_34radix_sort_onesweep_global_offsetsIS3_Lb0EN6thrust23THRUST_200600_302600_NS6detail15normal_iteratorINS8_10device_ptrIdEEEESD_jNS0_19identity_decomposerEEE10hipError_tT1_T2_PT3_SI_jT4_jjP12ihipStream_tbEUlT_E_NS1_11comp_targetILNS1_3genE5ELNS1_11target_archE942ELNS1_3gpuE9ELNS1_3repE0EEENS1_52radix_sort_onesweep_histogram_config_static_selectorELNS0_4arch9wavefront6targetE1EEEvSG_: ; @_ZN7rocprim17ROCPRIM_400000_NS6detail17trampoline_kernelINS0_14default_configENS1_35radix_sort_onesweep_config_selectorIddEEZNS1_34radix_sort_onesweep_global_offsetsIS3_Lb0EN6thrust23THRUST_200600_302600_NS6detail15normal_iteratorINS8_10device_ptrIdEEEESD_jNS0_19identity_decomposerEEE10hipError_tT1_T2_PT3_SI_jT4_jjP12ihipStream_tbEUlT_E_NS1_11comp_targetILNS1_3genE5ELNS1_11target_archE942ELNS1_3gpuE9ELNS1_3repE0EEENS1_52radix_sort_onesweep_histogram_config_static_selectorELNS0_4arch9wavefront6targetE1EEEvSG_
; %bb.0:
	.section	.rodata,"a",@progbits
	.p2align	6, 0x0
	.amdhsa_kernel _ZN7rocprim17ROCPRIM_400000_NS6detail17trampoline_kernelINS0_14default_configENS1_35radix_sort_onesweep_config_selectorIddEEZNS1_34radix_sort_onesweep_global_offsetsIS3_Lb0EN6thrust23THRUST_200600_302600_NS6detail15normal_iteratorINS8_10device_ptrIdEEEESD_jNS0_19identity_decomposerEEE10hipError_tT1_T2_PT3_SI_jT4_jjP12ihipStream_tbEUlT_E_NS1_11comp_targetILNS1_3genE5ELNS1_11target_archE942ELNS1_3gpuE9ELNS1_3repE0EEENS1_52radix_sort_onesweep_histogram_config_static_selectorELNS0_4arch9wavefront6targetE1EEEvSG_
		.amdhsa_group_segment_fixed_size 0
		.amdhsa_private_segment_fixed_size 0
		.amdhsa_kernarg_size 40
		.amdhsa_user_sgpr_count 2
		.amdhsa_user_sgpr_dispatch_ptr 0
		.amdhsa_user_sgpr_queue_ptr 0
		.amdhsa_user_sgpr_kernarg_segment_ptr 1
		.amdhsa_user_sgpr_dispatch_id 0
		.amdhsa_user_sgpr_kernarg_preload_length 0
		.amdhsa_user_sgpr_kernarg_preload_offset 0
		.amdhsa_user_sgpr_private_segment_size 0
		.amdhsa_uses_dynamic_stack 0
		.amdhsa_enable_private_segment 0
		.amdhsa_system_sgpr_workgroup_id_x 1
		.amdhsa_system_sgpr_workgroup_id_y 0
		.amdhsa_system_sgpr_workgroup_id_z 0
		.amdhsa_system_sgpr_workgroup_info 0
		.amdhsa_system_vgpr_workitem_id 0
		.amdhsa_next_free_vgpr 1
		.amdhsa_next_free_sgpr 0
		.amdhsa_accum_offset 4
		.amdhsa_reserve_vcc 0
		.amdhsa_float_round_mode_32 0
		.amdhsa_float_round_mode_16_64 0
		.amdhsa_float_denorm_mode_32 3
		.amdhsa_float_denorm_mode_16_64 3
		.amdhsa_dx10_clamp 1
		.amdhsa_ieee_mode 1
		.amdhsa_fp16_overflow 0
		.amdhsa_tg_split 0
		.amdhsa_exception_fp_ieee_invalid_op 0
		.amdhsa_exception_fp_denorm_src 0
		.amdhsa_exception_fp_ieee_div_zero 0
		.amdhsa_exception_fp_ieee_overflow 0
		.amdhsa_exception_fp_ieee_underflow 0
		.amdhsa_exception_fp_ieee_inexact 0
		.amdhsa_exception_int_div_zero 0
	.end_amdhsa_kernel
	.section	.text._ZN7rocprim17ROCPRIM_400000_NS6detail17trampoline_kernelINS0_14default_configENS1_35radix_sort_onesweep_config_selectorIddEEZNS1_34radix_sort_onesweep_global_offsetsIS3_Lb0EN6thrust23THRUST_200600_302600_NS6detail15normal_iteratorINS8_10device_ptrIdEEEESD_jNS0_19identity_decomposerEEE10hipError_tT1_T2_PT3_SI_jT4_jjP12ihipStream_tbEUlT_E_NS1_11comp_targetILNS1_3genE5ELNS1_11target_archE942ELNS1_3gpuE9ELNS1_3repE0EEENS1_52radix_sort_onesweep_histogram_config_static_selectorELNS0_4arch9wavefront6targetE1EEEvSG_,"axG",@progbits,_ZN7rocprim17ROCPRIM_400000_NS6detail17trampoline_kernelINS0_14default_configENS1_35radix_sort_onesweep_config_selectorIddEEZNS1_34radix_sort_onesweep_global_offsetsIS3_Lb0EN6thrust23THRUST_200600_302600_NS6detail15normal_iteratorINS8_10device_ptrIdEEEESD_jNS0_19identity_decomposerEEE10hipError_tT1_T2_PT3_SI_jT4_jjP12ihipStream_tbEUlT_E_NS1_11comp_targetILNS1_3genE5ELNS1_11target_archE942ELNS1_3gpuE9ELNS1_3repE0EEENS1_52radix_sort_onesweep_histogram_config_static_selectorELNS0_4arch9wavefront6targetE1EEEvSG_,comdat
.Lfunc_end84:
	.size	_ZN7rocprim17ROCPRIM_400000_NS6detail17trampoline_kernelINS0_14default_configENS1_35radix_sort_onesweep_config_selectorIddEEZNS1_34radix_sort_onesweep_global_offsetsIS3_Lb0EN6thrust23THRUST_200600_302600_NS6detail15normal_iteratorINS8_10device_ptrIdEEEESD_jNS0_19identity_decomposerEEE10hipError_tT1_T2_PT3_SI_jT4_jjP12ihipStream_tbEUlT_E_NS1_11comp_targetILNS1_3genE5ELNS1_11target_archE942ELNS1_3gpuE9ELNS1_3repE0EEENS1_52radix_sort_onesweep_histogram_config_static_selectorELNS0_4arch9wavefront6targetE1EEEvSG_, .Lfunc_end84-_ZN7rocprim17ROCPRIM_400000_NS6detail17trampoline_kernelINS0_14default_configENS1_35radix_sort_onesweep_config_selectorIddEEZNS1_34radix_sort_onesweep_global_offsetsIS3_Lb0EN6thrust23THRUST_200600_302600_NS6detail15normal_iteratorINS8_10device_ptrIdEEEESD_jNS0_19identity_decomposerEEE10hipError_tT1_T2_PT3_SI_jT4_jjP12ihipStream_tbEUlT_E_NS1_11comp_targetILNS1_3genE5ELNS1_11target_archE942ELNS1_3gpuE9ELNS1_3repE0EEENS1_52radix_sort_onesweep_histogram_config_static_selectorELNS0_4arch9wavefront6targetE1EEEvSG_
                                        ; -- End function
	.set _ZN7rocprim17ROCPRIM_400000_NS6detail17trampoline_kernelINS0_14default_configENS1_35radix_sort_onesweep_config_selectorIddEEZNS1_34radix_sort_onesweep_global_offsetsIS3_Lb0EN6thrust23THRUST_200600_302600_NS6detail15normal_iteratorINS8_10device_ptrIdEEEESD_jNS0_19identity_decomposerEEE10hipError_tT1_T2_PT3_SI_jT4_jjP12ihipStream_tbEUlT_E_NS1_11comp_targetILNS1_3genE5ELNS1_11target_archE942ELNS1_3gpuE9ELNS1_3repE0EEENS1_52radix_sort_onesweep_histogram_config_static_selectorELNS0_4arch9wavefront6targetE1EEEvSG_.num_vgpr, 0
	.set _ZN7rocprim17ROCPRIM_400000_NS6detail17trampoline_kernelINS0_14default_configENS1_35radix_sort_onesweep_config_selectorIddEEZNS1_34radix_sort_onesweep_global_offsetsIS3_Lb0EN6thrust23THRUST_200600_302600_NS6detail15normal_iteratorINS8_10device_ptrIdEEEESD_jNS0_19identity_decomposerEEE10hipError_tT1_T2_PT3_SI_jT4_jjP12ihipStream_tbEUlT_E_NS1_11comp_targetILNS1_3genE5ELNS1_11target_archE942ELNS1_3gpuE9ELNS1_3repE0EEENS1_52radix_sort_onesweep_histogram_config_static_selectorELNS0_4arch9wavefront6targetE1EEEvSG_.num_agpr, 0
	.set _ZN7rocprim17ROCPRIM_400000_NS6detail17trampoline_kernelINS0_14default_configENS1_35radix_sort_onesweep_config_selectorIddEEZNS1_34radix_sort_onesweep_global_offsetsIS3_Lb0EN6thrust23THRUST_200600_302600_NS6detail15normal_iteratorINS8_10device_ptrIdEEEESD_jNS0_19identity_decomposerEEE10hipError_tT1_T2_PT3_SI_jT4_jjP12ihipStream_tbEUlT_E_NS1_11comp_targetILNS1_3genE5ELNS1_11target_archE942ELNS1_3gpuE9ELNS1_3repE0EEENS1_52radix_sort_onesweep_histogram_config_static_selectorELNS0_4arch9wavefront6targetE1EEEvSG_.numbered_sgpr, 0
	.set _ZN7rocprim17ROCPRIM_400000_NS6detail17trampoline_kernelINS0_14default_configENS1_35radix_sort_onesweep_config_selectorIddEEZNS1_34radix_sort_onesweep_global_offsetsIS3_Lb0EN6thrust23THRUST_200600_302600_NS6detail15normal_iteratorINS8_10device_ptrIdEEEESD_jNS0_19identity_decomposerEEE10hipError_tT1_T2_PT3_SI_jT4_jjP12ihipStream_tbEUlT_E_NS1_11comp_targetILNS1_3genE5ELNS1_11target_archE942ELNS1_3gpuE9ELNS1_3repE0EEENS1_52radix_sort_onesweep_histogram_config_static_selectorELNS0_4arch9wavefront6targetE1EEEvSG_.num_named_barrier, 0
	.set _ZN7rocprim17ROCPRIM_400000_NS6detail17trampoline_kernelINS0_14default_configENS1_35radix_sort_onesweep_config_selectorIddEEZNS1_34radix_sort_onesweep_global_offsetsIS3_Lb0EN6thrust23THRUST_200600_302600_NS6detail15normal_iteratorINS8_10device_ptrIdEEEESD_jNS0_19identity_decomposerEEE10hipError_tT1_T2_PT3_SI_jT4_jjP12ihipStream_tbEUlT_E_NS1_11comp_targetILNS1_3genE5ELNS1_11target_archE942ELNS1_3gpuE9ELNS1_3repE0EEENS1_52radix_sort_onesweep_histogram_config_static_selectorELNS0_4arch9wavefront6targetE1EEEvSG_.private_seg_size, 0
	.set _ZN7rocprim17ROCPRIM_400000_NS6detail17trampoline_kernelINS0_14default_configENS1_35radix_sort_onesweep_config_selectorIddEEZNS1_34radix_sort_onesweep_global_offsetsIS3_Lb0EN6thrust23THRUST_200600_302600_NS6detail15normal_iteratorINS8_10device_ptrIdEEEESD_jNS0_19identity_decomposerEEE10hipError_tT1_T2_PT3_SI_jT4_jjP12ihipStream_tbEUlT_E_NS1_11comp_targetILNS1_3genE5ELNS1_11target_archE942ELNS1_3gpuE9ELNS1_3repE0EEENS1_52radix_sort_onesweep_histogram_config_static_selectorELNS0_4arch9wavefront6targetE1EEEvSG_.uses_vcc, 0
	.set _ZN7rocprim17ROCPRIM_400000_NS6detail17trampoline_kernelINS0_14default_configENS1_35radix_sort_onesweep_config_selectorIddEEZNS1_34radix_sort_onesweep_global_offsetsIS3_Lb0EN6thrust23THRUST_200600_302600_NS6detail15normal_iteratorINS8_10device_ptrIdEEEESD_jNS0_19identity_decomposerEEE10hipError_tT1_T2_PT3_SI_jT4_jjP12ihipStream_tbEUlT_E_NS1_11comp_targetILNS1_3genE5ELNS1_11target_archE942ELNS1_3gpuE9ELNS1_3repE0EEENS1_52radix_sort_onesweep_histogram_config_static_selectorELNS0_4arch9wavefront6targetE1EEEvSG_.uses_flat_scratch, 0
	.set _ZN7rocprim17ROCPRIM_400000_NS6detail17trampoline_kernelINS0_14default_configENS1_35radix_sort_onesweep_config_selectorIddEEZNS1_34radix_sort_onesweep_global_offsetsIS3_Lb0EN6thrust23THRUST_200600_302600_NS6detail15normal_iteratorINS8_10device_ptrIdEEEESD_jNS0_19identity_decomposerEEE10hipError_tT1_T2_PT3_SI_jT4_jjP12ihipStream_tbEUlT_E_NS1_11comp_targetILNS1_3genE5ELNS1_11target_archE942ELNS1_3gpuE9ELNS1_3repE0EEENS1_52radix_sort_onesweep_histogram_config_static_selectorELNS0_4arch9wavefront6targetE1EEEvSG_.has_dyn_sized_stack, 0
	.set _ZN7rocprim17ROCPRIM_400000_NS6detail17trampoline_kernelINS0_14default_configENS1_35radix_sort_onesweep_config_selectorIddEEZNS1_34radix_sort_onesweep_global_offsetsIS3_Lb0EN6thrust23THRUST_200600_302600_NS6detail15normal_iteratorINS8_10device_ptrIdEEEESD_jNS0_19identity_decomposerEEE10hipError_tT1_T2_PT3_SI_jT4_jjP12ihipStream_tbEUlT_E_NS1_11comp_targetILNS1_3genE5ELNS1_11target_archE942ELNS1_3gpuE9ELNS1_3repE0EEENS1_52radix_sort_onesweep_histogram_config_static_selectorELNS0_4arch9wavefront6targetE1EEEvSG_.has_recursion, 0
	.set _ZN7rocprim17ROCPRIM_400000_NS6detail17trampoline_kernelINS0_14default_configENS1_35radix_sort_onesweep_config_selectorIddEEZNS1_34radix_sort_onesweep_global_offsetsIS3_Lb0EN6thrust23THRUST_200600_302600_NS6detail15normal_iteratorINS8_10device_ptrIdEEEESD_jNS0_19identity_decomposerEEE10hipError_tT1_T2_PT3_SI_jT4_jjP12ihipStream_tbEUlT_E_NS1_11comp_targetILNS1_3genE5ELNS1_11target_archE942ELNS1_3gpuE9ELNS1_3repE0EEENS1_52radix_sort_onesweep_histogram_config_static_selectorELNS0_4arch9wavefront6targetE1EEEvSG_.has_indirect_call, 0
	.section	.AMDGPU.csdata,"",@progbits
; Kernel info:
; codeLenInByte = 0
; TotalNumSgprs: 6
; NumVgprs: 0
; NumAgprs: 0
; TotalNumVgprs: 0
; ScratchSize: 0
; MemoryBound: 0
; FloatMode: 240
; IeeeMode: 1
; LDSByteSize: 0 bytes/workgroup (compile time only)
; SGPRBlocks: 0
; VGPRBlocks: 0
; NumSGPRsForWavesPerEU: 6
; NumVGPRsForWavesPerEU: 1
; AccumOffset: 4
; Occupancy: 8
; WaveLimiterHint : 0
; COMPUTE_PGM_RSRC2:SCRATCH_EN: 0
; COMPUTE_PGM_RSRC2:USER_SGPR: 2
; COMPUTE_PGM_RSRC2:TRAP_HANDLER: 0
; COMPUTE_PGM_RSRC2:TGID_X_EN: 1
; COMPUTE_PGM_RSRC2:TGID_Y_EN: 0
; COMPUTE_PGM_RSRC2:TGID_Z_EN: 0
; COMPUTE_PGM_RSRC2:TIDIG_COMP_CNT: 0
; COMPUTE_PGM_RSRC3_GFX90A:ACCUM_OFFSET: 0
; COMPUTE_PGM_RSRC3_GFX90A:TG_SPLIT: 0
	.section	.text._ZN7rocprim17ROCPRIM_400000_NS6detail17trampoline_kernelINS0_14default_configENS1_35radix_sort_onesweep_config_selectorIddEEZNS1_34radix_sort_onesweep_global_offsetsIS3_Lb0EN6thrust23THRUST_200600_302600_NS6detail15normal_iteratorINS8_10device_ptrIdEEEESD_jNS0_19identity_decomposerEEE10hipError_tT1_T2_PT3_SI_jT4_jjP12ihipStream_tbEUlT_E_NS1_11comp_targetILNS1_3genE2ELNS1_11target_archE906ELNS1_3gpuE6ELNS1_3repE0EEENS1_52radix_sort_onesweep_histogram_config_static_selectorELNS0_4arch9wavefront6targetE1EEEvSG_,"axG",@progbits,_ZN7rocprim17ROCPRIM_400000_NS6detail17trampoline_kernelINS0_14default_configENS1_35radix_sort_onesweep_config_selectorIddEEZNS1_34radix_sort_onesweep_global_offsetsIS3_Lb0EN6thrust23THRUST_200600_302600_NS6detail15normal_iteratorINS8_10device_ptrIdEEEESD_jNS0_19identity_decomposerEEE10hipError_tT1_T2_PT3_SI_jT4_jjP12ihipStream_tbEUlT_E_NS1_11comp_targetILNS1_3genE2ELNS1_11target_archE906ELNS1_3gpuE6ELNS1_3repE0EEENS1_52radix_sort_onesweep_histogram_config_static_selectorELNS0_4arch9wavefront6targetE1EEEvSG_,comdat
	.protected	_ZN7rocprim17ROCPRIM_400000_NS6detail17trampoline_kernelINS0_14default_configENS1_35radix_sort_onesweep_config_selectorIddEEZNS1_34radix_sort_onesweep_global_offsetsIS3_Lb0EN6thrust23THRUST_200600_302600_NS6detail15normal_iteratorINS8_10device_ptrIdEEEESD_jNS0_19identity_decomposerEEE10hipError_tT1_T2_PT3_SI_jT4_jjP12ihipStream_tbEUlT_E_NS1_11comp_targetILNS1_3genE2ELNS1_11target_archE906ELNS1_3gpuE6ELNS1_3repE0EEENS1_52radix_sort_onesweep_histogram_config_static_selectorELNS0_4arch9wavefront6targetE1EEEvSG_ ; -- Begin function _ZN7rocprim17ROCPRIM_400000_NS6detail17trampoline_kernelINS0_14default_configENS1_35radix_sort_onesweep_config_selectorIddEEZNS1_34radix_sort_onesweep_global_offsetsIS3_Lb0EN6thrust23THRUST_200600_302600_NS6detail15normal_iteratorINS8_10device_ptrIdEEEESD_jNS0_19identity_decomposerEEE10hipError_tT1_T2_PT3_SI_jT4_jjP12ihipStream_tbEUlT_E_NS1_11comp_targetILNS1_3genE2ELNS1_11target_archE906ELNS1_3gpuE6ELNS1_3repE0EEENS1_52radix_sort_onesweep_histogram_config_static_selectorELNS0_4arch9wavefront6targetE1EEEvSG_
	.globl	_ZN7rocprim17ROCPRIM_400000_NS6detail17trampoline_kernelINS0_14default_configENS1_35radix_sort_onesweep_config_selectorIddEEZNS1_34radix_sort_onesweep_global_offsetsIS3_Lb0EN6thrust23THRUST_200600_302600_NS6detail15normal_iteratorINS8_10device_ptrIdEEEESD_jNS0_19identity_decomposerEEE10hipError_tT1_T2_PT3_SI_jT4_jjP12ihipStream_tbEUlT_E_NS1_11comp_targetILNS1_3genE2ELNS1_11target_archE906ELNS1_3gpuE6ELNS1_3repE0EEENS1_52radix_sort_onesweep_histogram_config_static_selectorELNS0_4arch9wavefront6targetE1EEEvSG_
	.p2align	8
	.type	_ZN7rocprim17ROCPRIM_400000_NS6detail17trampoline_kernelINS0_14default_configENS1_35radix_sort_onesweep_config_selectorIddEEZNS1_34radix_sort_onesweep_global_offsetsIS3_Lb0EN6thrust23THRUST_200600_302600_NS6detail15normal_iteratorINS8_10device_ptrIdEEEESD_jNS0_19identity_decomposerEEE10hipError_tT1_T2_PT3_SI_jT4_jjP12ihipStream_tbEUlT_E_NS1_11comp_targetILNS1_3genE2ELNS1_11target_archE906ELNS1_3gpuE6ELNS1_3repE0EEENS1_52radix_sort_onesweep_histogram_config_static_selectorELNS0_4arch9wavefront6targetE1EEEvSG_,@function
_ZN7rocprim17ROCPRIM_400000_NS6detail17trampoline_kernelINS0_14default_configENS1_35radix_sort_onesweep_config_selectorIddEEZNS1_34radix_sort_onesweep_global_offsetsIS3_Lb0EN6thrust23THRUST_200600_302600_NS6detail15normal_iteratorINS8_10device_ptrIdEEEESD_jNS0_19identity_decomposerEEE10hipError_tT1_T2_PT3_SI_jT4_jjP12ihipStream_tbEUlT_E_NS1_11comp_targetILNS1_3genE2ELNS1_11target_archE906ELNS1_3gpuE6ELNS1_3repE0EEENS1_52radix_sort_onesweep_histogram_config_static_selectorELNS0_4arch9wavefront6targetE1EEEvSG_: ; @_ZN7rocprim17ROCPRIM_400000_NS6detail17trampoline_kernelINS0_14default_configENS1_35radix_sort_onesweep_config_selectorIddEEZNS1_34radix_sort_onesweep_global_offsetsIS3_Lb0EN6thrust23THRUST_200600_302600_NS6detail15normal_iteratorINS8_10device_ptrIdEEEESD_jNS0_19identity_decomposerEEE10hipError_tT1_T2_PT3_SI_jT4_jjP12ihipStream_tbEUlT_E_NS1_11comp_targetILNS1_3genE2ELNS1_11target_archE906ELNS1_3gpuE6ELNS1_3repE0EEENS1_52radix_sort_onesweep_histogram_config_static_selectorELNS0_4arch9wavefront6targetE1EEEvSG_
; %bb.0:
	.section	.rodata,"a",@progbits
	.p2align	6, 0x0
	.amdhsa_kernel _ZN7rocprim17ROCPRIM_400000_NS6detail17trampoline_kernelINS0_14default_configENS1_35radix_sort_onesweep_config_selectorIddEEZNS1_34radix_sort_onesweep_global_offsetsIS3_Lb0EN6thrust23THRUST_200600_302600_NS6detail15normal_iteratorINS8_10device_ptrIdEEEESD_jNS0_19identity_decomposerEEE10hipError_tT1_T2_PT3_SI_jT4_jjP12ihipStream_tbEUlT_E_NS1_11comp_targetILNS1_3genE2ELNS1_11target_archE906ELNS1_3gpuE6ELNS1_3repE0EEENS1_52radix_sort_onesweep_histogram_config_static_selectorELNS0_4arch9wavefront6targetE1EEEvSG_
		.amdhsa_group_segment_fixed_size 0
		.amdhsa_private_segment_fixed_size 0
		.amdhsa_kernarg_size 40
		.amdhsa_user_sgpr_count 2
		.amdhsa_user_sgpr_dispatch_ptr 0
		.amdhsa_user_sgpr_queue_ptr 0
		.amdhsa_user_sgpr_kernarg_segment_ptr 1
		.amdhsa_user_sgpr_dispatch_id 0
		.amdhsa_user_sgpr_kernarg_preload_length 0
		.amdhsa_user_sgpr_kernarg_preload_offset 0
		.amdhsa_user_sgpr_private_segment_size 0
		.amdhsa_uses_dynamic_stack 0
		.amdhsa_enable_private_segment 0
		.amdhsa_system_sgpr_workgroup_id_x 1
		.amdhsa_system_sgpr_workgroup_id_y 0
		.amdhsa_system_sgpr_workgroup_id_z 0
		.amdhsa_system_sgpr_workgroup_info 0
		.amdhsa_system_vgpr_workitem_id 0
		.amdhsa_next_free_vgpr 1
		.amdhsa_next_free_sgpr 0
		.amdhsa_accum_offset 4
		.amdhsa_reserve_vcc 0
		.amdhsa_float_round_mode_32 0
		.amdhsa_float_round_mode_16_64 0
		.amdhsa_float_denorm_mode_32 3
		.amdhsa_float_denorm_mode_16_64 3
		.amdhsa_dx10_clamp 1
		.amdhsa_ieee_mode 1
		.amdhsa_fp16_overflow 0
		.amdhsa_tg_split 0
		.amdhsa_exception_fp_ieee_invalid_op 0
		.amdhsa_exception_fp_denorm_src 0
		.amdhsa_exception_fp_ieee_div_zero 0
		.amdhsa_exception_fp_ieee_overflow 0
		.amdhsa_exception_fp_ieee_underflow 0
		.amdhsa_exception_fp_ieee_inexact 0
		.amdhsa_exception_int_div_zero 0
	.end_amdhsa_kernel
	.section	.text._ZN7rocprim17ROCPRIM_400000_NS6detail17trampoline_kernelINS0_14default_configENS1_35radix_sort_onesweep_config_selectorIddEEZNS1_34radix_sort_onesweep_global_offsetsIS3_Lb0EN6thrust23THRUST_200600_302600_NS6detail15normal_iteratorINS8_10device_ptrIdEEEESD_jNS0_19identity_decomposerEEE10hipError_tT1_T2_PT3_SI_jT4_jjP12ihipStream_tbEUlT_E_NS1_11comp_targetILNS1_3genE2ELNS1_11target_archE906ELNS1_3gpuE6ELNS1_3repE0EEENS1_52radix_sort_onesweep_histogram_config_static_selectorELNS0_4arch9wavefront6targetE1EEEvSG_,"axG",@progbits,_ZN7rocprim17ROCPRIM_400000_NS6detail17trampoline_kernelINS0_14default_configENS1_35radix_sort_onesweep_config_selectorIddEEZNS1_34radix_sort_onesweep_global_offsetsIS3_Lb0EN6thrust23THRUST_200600_302600_NS6detail15normal_iteratorINS8_10device_ptrIdEEEESD_jNS0_19identity_decomposerEEE10hipError_tT1_T2_PT3_SI_jT4_jjP12ihipStream_tbEUlT_E_NS1_11comp_targetILNS1_3genE2ELNS1_11target_archE906ELNS1_3gpuE6ELNS1_3repE0EEENS1_52radix_sort_onesweep_histogram_config_static_selectorELNS0_4arch9wavefront6targetE1EEEvSG_,comdat
.Lfunc_end85:
	.size	_ZN7rocprim17ROCPRIM_400000_NS6detail17trampoline_kernelINS0_14default_configENS1_35radix_sort_onesweep_config_selectorIddEEZNS1_34radix_sort_onesweep_global_offsetsIS3_Lb0EN6thrust23THRUST_200600_302600_NS6detail15normal_iteratorINS8_10device_ptrIdEEEESD_jNS0_19identity_decomposerEEE10hipError_tT1_T2_PT3_SI_jT4_jjP12ihipStream_tbEUlT_E_NS1_11comp_targetILNS1_3genE2ELNS1_11target_archE906ELNS1_3gpuE6ELNS1_3repE0EEENS1_52radix_sort_onesweep_histogram_config_static_selectorELNS0_4arch9wavefront6targetE1EEEvSG_, .Lfunc_end85-_ZN7rocprim17ROCPRIM_400000_NS6detail17trampoline_kernelINS0_14default_configENS1_35radix_sort_onesweep_config_selectorIddEEZNS1_34radix_sort_onesweep_global_offsetsIS3_Lb0EN6thrust23THRUST_200600_302600_NS6detail15normal_iteratorINS8_10device_ptrIdEEEESD_jNS0_19identity_decomposerEEE10hipError_tT1_T2_PT3_SI_jT4_jjP12ihipStream_tbEUlT_E_NS1_11comp_targetILNS1_3genE2ELNS1_11target_archE906ELNS1_3gpuE6ELNS1_3repE0EEENS1_52radix_sort_onesweep_histogram_config_static_selectorELNS0_4arch9wavefront6targetE1EEEvSG_
                                        ; -- End function
	.set _ZN7rocprim17ROCPRIM_400000_NS6detail17trampoline_kernelINS0_14default_configENS1_35radix_sort_onesweep_config_selectorIddEEZNS1_34radix_sort_onesweep_global_offsetsIS3_Lb0EN6thrust23THRUST_200600_302600_NS6detail15normal_iteratorINS8_10device_ptrIdEEEESD_jNS0_19identity_decomposerEEE10hipError_tT1_T2_PT3_SI_jT4_jjP12ihipStream_tbEUlT_E_NS1_11comp_targetILNS1_3genE2ELNS1_11target_archE906ELNS1_3gpuE6ELNS1_3repE0EEENS1_52radix_sort_onesweep_histogram_config_static_selectorELNS0_4arch9wavefront6targetE1EEEvSG_.num_vgpr, 0
	.set _ZN7rocprim17ROCPRIM_400000_NS6detail17trampoline_kernelINS0_14default_configENS1_35radix_sort_onesweep_config_selectorIddEEZNS1_34radix_sort_onesweep_global_offsetsIS3_Lb0EN6thrust23THRUST_200600_302600_NS6detail15normal_iteratorINS8_10device_ptrIdEEEESD_jNS0_19identity_decomposerEEE10hipError_tT1_T2_PT3_SI_jT4_jjP12ihipStream_tbEUlT_E_NS1_11comp_targetILNS1_3genE2ELNS1_11target_archE906ELNS1_3gpuE6ELNS1_3repE0EEENS1_52radix_sort_onesweep_histogram_config_static_selectorELNS0_4arch9wavefront6targetE1EEEvSG_.num_agpr, 0
	.set _ZN7rocprim17ROCPRIM_400000_NS6detail17trampoline_kernelINS0_14default_configENS1_35radix_sort_onesweep_config_selectorIddEEZNS1_34radix_sort_onesweep_global_offsetsIS3_Lb0EN6thrust23THRUST_200600_302600_NS6detail15normal_iteratorINS8_10device_ptrIdEEEESD_jNS0_19identity_decomposerEEE10hipError_tT1_T2_PT3_SI_jT4_jjP12ihipStream_tbEUlT_E_NS1_11comp_targetILNS1_3genE2ELNS1_11target_archE906ELNS1_3gpuE6ELNS1_3repE0EEENS1_52radix_sort_onesweep_histogram_config_static_selectorELNS0_4arch9wavefront6targetE1EEEvSG_.numbered_sgpr, 0
	.set _ZN7rocprim17ROCPRIM_400000_NS6detail17trampoline_kernelINS0_14default_configENS1_35radix_sort_onesweep_config_selectorIddEEZNS1_34radix_sort_onesweep_global_offsetsIS3_Lb0EN6thrust23THRUST_200600_302600_NS6detail15normal_iteratorINS8_10device_ptrIdEEEESD_jNS0_19identity_decomposerEEE10hipError_tT1_T2_PT3_SI_jT4_jjP12ihipStream_tbEUlT_E_NS1_11comp_targetILNS1_3genE2ELNS1_11target_archE906ELNS1_3gpuE6ELNS1_3repE0EEENS1_52radix_sort_onesweep_histogram_config_static_selectorELNS0_4arch9wavefront6targetE1EEEvSG_.num_named_barrier, 0
	.set _ZN7rocprim17ROCPRIM_400000_NS6detail17trampoline_kernelINS0_14default_configENS1_35radix_sort_onesweep_config_selectorIddEEZNS1_34radix_sort_onesweep_global_offsetsIS3_Lb0EN6thrust23THRUST_200600_302600_NS6detail15normal_iteratorINS8_10device_ptrIdEEEESD_jNS0_19identity_decomposerEEE10hipError_tT1_T2_PT3_SI_jT4_jjP12ihipStream_tbEUlT_E_NS1_11comp_targetILNS1_3genE2ELNS1_11target_archE906ELNS1_3gpuE6ELNS1_3repE0EEENS1_52radix_sort_onesweep_histogram_config_static_selectorELNS0_4arch9wavefront6targetE1EEEvSG_.private_seg_size, 0
	.set _ZN7rocprim17ROCPRIM_400000_NS6detail17trampoline_kernelINS0_14default_configENS1_35radix_sort_onesweep_config_selectorIddEEZNS1_34radix_sort_onesweep_global_offsetsIS3_Lb0EN6thrust23THRUST_200600_302600_NS6detail15normal_iteratorINS8_10device_ptrIdEEEESD_jNS0_19identity_decomposerEEE10hipError_tT1_T2_PT3_SI_jT4_jjP12ihipStream_tbEUlT_E_NS1_11comp_targetILNS1_3genE2ELNS1_11target_archE906ELNS1_3gpuE6ELNS1_3repE0EEENS1_52radix_sort_onesweep_histogram_config_static_selectorELNS0_4arch9wavefront6targetE1EEEvSG_.uses_vcc, 0
	.set _ZN7rocprim17ROCPRIM_400000_NS6detail17trampoline_kernelINS0_14default_configENS1_35radix_sort_onesweep_config_selectorIddEEZNS1_34radix_sort_onesweep_global_offsetsIS3_Lb0EN6thrust23THRUST_200600_302600_NS6detail15normal_iteratorINS8_10device_ptrIdEEEESD_jNS0_19identity_decomposerEEE10hipError_tT1_T2_PT3_SI_jT4_jjP12ihipStream_tbEUlT_E_NS1_11comp_targetILNS1_3genE2ELNS1_11target_archE906ELNS1_3gpuE6ELNS1_3repE0EEENS1_52radix_sort_onesweep_histogram_config_static_selectorELNS0_4arch9wavefront6targetE1EEEvSG_.uses_flat_scratch, 0
	.set _ZN7rocprim17ROCPRIM_400000_NS6detail17trampoline_kernelINS0_14default_configENS1_35radix_sort_onesweep_config_selectorIddEEZNS1_34radix_sort_onesweep_global_offsetsIS3_Lb0EN6thrust23THRUST_200600_302600_NS6detail15normal_iteratorINS8_10device_ptrIdEEEESD_jNS0_19identity_decomposerEEE10hipError_tT1_T2_PT3_SI_jT4_jjP12ihipStream_tbEUlT_E_NS1_11comp_targetILNS1_3genE2ELNS1_11target_archE906ELNS1_3gpuE6ELNS1_3repE0EEENS1_52radix_sort_onesweep_histogram_config_static_selectorELNS0_4arch9wavefront6targetE1EEEvSG_.has_dyn_sized_stack, 0
	.set _ZN7rocprim17ROCPRIM_400000_NS6detail17trampoline_kernelINS0_14default_configENS1_35radix_sort_onesweep_config_selectorIddEEZNS1_34radix_sort_onesweep_global_offsetsIS3_Lb0EN6thrust23THRUST_200600_302600_NS6detail15normal_iteratorINS8_10device_ptrIdEEEESD_jNS0_19identity_decomposerEEE10hipError_tT1_T2_PT3_SI_jT4_jjP12ihipStream_tbEUlT_E_NS1_11comp_targetILNS1_3genE2ELNS1_11target_archE906ELNS1_3gpuE6ELNS1_3repE0EEENS1_52radix_sort_onesweep_histogram_config_static_selectorELNS0_4arch9wavefront6targetE1EEEvSG_.has_recursion, 0
	.set _ZN7rocprim17ROCPRIM_400000_NS6detail17trampoline_kernelINS0_14default_configENS1_35radix_sort_onesweep_config_selectorIddEEZNS1_34radix_sort_onesweep_global_offsetsIS3_Lb0EN6thrust23THRUST_200600_302600_NS6detail15normal_iteratorINS8_10device_ptrIdEEEESD_jNS0_19identity_decomposerEEE10hipError_tT1_T2_PT3_SI_jT4_jjP12ihipStream_tbEUlT_E_NS1_11comp_targetILNS1_3genE2ELNS1_11target_archE906ELNS1_3gpuE6ELNS1_3repE0EEENS1_52radix_sort_onesweep_histogram_config_static_selectorELNS0_4arch9wavefront6targetE1EEEvSG_.has_indirect_call, 0
	.section	.AMDGPU.csdata,"",@progbits
; Kernel info:
; codeLenInByte = 0
; TotalNumSgprs: 6
; NumVgprs: 0
; NumAgprs: 0
; TotalNumVgprs: 0
; ScratchSize: 0
; MemoryBound: 0
; FloatMode: 240
; IeeeMode: 1
; LDSByteSize: 0 bytes/workgroup (compile time only)
; SGPRBlocks: 0
; VGPRBlocks: 0
; NumSGPRsForWavesPerEU: 6
; NumVGPRsForWavesPerEU: 1
; AccumOffset: 4
; Occupancy: 8
; WaveLimiterHint : 0
; COMPUTE_PGM_RSRC2:SCRATCH_EN: 0
; COMPUTE_PGM_RSRC2:USER_SGPR: 2
; COMPUTE_PGM_RSRC2:TRAP_HANDLER: 0
; COMPUTE_PGM_RSRC2:TGID_X_EN: 1
; COMPUTE_PGM_RSRC2:TGID_Y_EN: 0
; COMPUTE_PGM_RSRC2:TGID_Z_EN: 0
; COMPUTE_PGM_RSRC2:TIDIG_COMP_CNT: 0
; COMPUTE_PGM_RSRC3_GFX90A:ACCUM_OFFSET: 0
; COMPUTE_PGM_RSRC3_GFX90A:TG_SPLIT: 0
	.section	.text._ZN7rocprim17ROCPRIM_400000_NS6detail17trampoline_kernelINS0_14default_configENS1_35radix_sort_onesweep_config_selectorIddEEZNS1_34radix_sort_onesweep_global_offsetsIS3_Lb0EN6thrust23THRUST_200600_302600_NS6detail15normal_iteratorINS8_10device_ptrIdEEEESD_jNS0_19identity_decomposerEEE10hipError_tT1_T2_PT3_SI_jT4_jjP12ihipStream_tbEUlT_E_NS1_11comp_targetILNS1_3genE4ELNS1_11target_archE910ELNS1_3gpuE8ELNS1_3repE0EEENS1_52radix_sort_onesweep_histogram_config_static_selectorELNS0_4arch9wavefront6targetE1EEEvSG_,"axG",@progbits,_ZN7rocprim17ROCPRIM_400000_NS6detail17trampoline_kernelINS0_14default_configENS1_35radix_sort_onesweep_config_selectorIddEEZNS1_34radix_sort_onesweep_global_offsetsIS3_Lb0EN6thrust23THRUST_200600_302600_NS6detail15normal_iteratorINS8_10device_ptrIdEEEESD_jNS0_19identity_decomposerEEE10hipError_tT1_T2_PT3_SI_jT4_jjP12ihipStream_tbEUlT_E_NS1_11comp_targetILNS1_3genE4ELNS1_11target_archE910ELNS1_3gpuE8ELNS1_3repE0EEENS1_52radix_sort_onesweep_histogram_config_static_selectorELNS0_4arch9wavefront6targetE1EEEvSG_,comdat
	.protected	_ZN7rocprim17ROCPRIM_400000_NS6detail17trampoline_kernelINS0_14default_configENS1_35radix_sort_onesweep_config_selectorIddEEZNS1_34radix_sort_onesweep_global_offsetsIS3_Lb0EN6thrust23THRUST_200600_302600_NS6detail15normal_iteratorINS8_10device_ptrIdEEEESD_jNS0_19identity_decomposerEEE10hipError_tT1_T2_PT3_SI_jT4_jjP12ihipStream_tbEUlT_E_NS1_11comp_targetILNS1_3genE4ELNS1_11target_archE910ELNS1_3gpuE8ELNS1_3repE0EEENS1_52radix_sort_onesweep_histogram_config_static_selectorELNS0_4arch9wavefront6targetE1EEEvSG_ ; -- Begin function _ZN7rocprim17ROCPRIM_400000_NS6detail17trampoline_kernelINS0_14default_configENS1_35radix_sort_onesweep_config_selectorIddEEZNS1_34radix_sort_onesweep_global_offsetsIS3_Lb0EN6thrust23THRUST_200600_302600_NS6detail15normal_iteratorINS8_10device_ptrIdEEEESD_jNS0_19identity_decomposerEEE10hipError_tT1_T2_PT3_SI_jT4_jjP12ihipStream_tbEUlT_E_NS1_11comp_targetILNS1_3genE4ELNS1_11target_archE910ELNS1_3gpuE8ELNS1_3repE0EEENS1_52radix_sort_onesweep_histogram_config_static_selectorELNS0_4arch9wavefront6targetE1EEEvSG_
	.globl	_ZN7rocprim17ROCPRIM_400000_NS6detail17trampoline_kernelINS0_14default_configENS1_35radix_sort_onesweep_config_selectorIddEEZNS1_34radix_sort_onesweep_global_offsetsIS3_Lb0EN6thrust23THRUST_200600_302600_NS6detail15normal_iteratorINS8_10device_ptrIdEEEESD_jNS0_19identity_decomposerEEE10hipError_tT1_T2_PT3_SI_jT4_jjP12ihipStream_tbEUlT_E_NS1_11comp_targetILNS1_3genE4ELNS1_11target_archE910ELNS1_3gpuE8ELNS1_3repE0EEENS1_52radix_sort_onesweep_histogram_config_static_selectorELNS0_4arch9wavefront6targetE1EEEvSG_
	.p2align	8
	.type	_ZN7rocprim17ROCPRIM_400000_NS6detail17trampoline_kernelINS0_14default_configENS1_35radix_sort_onesweep_config_selectorIddEEZNS1_34radix_sort_onesweep_global_offsetsIS3_Lb0EN6thrust23THRUST_200600_302600_NS6detail15normal_iteratorINS8_10device_ptrIdEEEESD_jNS0_19identity_decomposerEEE10hipError_tT1_T2_PT3_SI_jT4_jjP12ihipStream_tbEUlT_E_NS1_11comp_targetILNS1_3genE4ELNS1_11target_archE910ELNS1_3gpuE8ELNS1_3repE0EEENS1_52radix_sort_onesweep_histogram_config_static_selectorELNS0_4arch9wavefront6targetE1EEEvSG_,@function
_ZN7rocprim17ROCPRIM_400000_NS6detail17trampoline_kernelINS0_14default_configENS1_35radix_sort_onesweep_config_selectorIddEEZNS1_34radix_sort_onesweep_global_offsetsIS3_Lb0EN6thrust23THRUST_200600_302600_NS6detail15normal_iteratorINS8_10device_ptrIdEEEESD_jNS0_19identity_decomposerEEE10hipError_tT1_T2_PT3_SI_jT4_jjP12ihipStream_tbEUlT_E_NS1_11comp_targetILNS1_3genE4ELNS1_11target_archE910ELNS1_3gpuE8ELNS1_3repE0EEENS1_52radix_sort_onesweep_histogram_config_static_selectorELNS0_4arch9wavefront6targetE1EEEvSG_: ; @_ZN7rocprim17ROCPRIM_400000_NS6detail17trampoline_kernelINS0_14default_configENS1_35radix_sort_onesweep_config_selectorIddEEZNS1_34radix_sort_onesweep_global_offsetsIS3_Lb0EN6thrust23THRUST_200600_302600_NS6detail15normal_iteratorINS8_10device_ptrIdEEEESD_jNS0_19identity_decomposerEEE10hipError_tT1_T2_PT3_SI_jT4_jjP12ihipStream_tbEUlT_E_NS1_11comp_targetILNS1_3genE4ELNS1_11target_archE910ELNS1_3gpuE8ELNS1_3repE0EEENS1_52radix_sort_onesweep_histogram_config_static_selectorELNS0_4arch9wavefront6targetE1EEEvSG_
; %bb.0:
	.section	.rodata,"a",@progbits
	.p2align	6, 0x0
	.amdhsa_kernel _ZN7rocprim17ROCPRIM_400000_NS6detail17trampoline_kernelINS0_14default_configENS1_35radix_sort_onesweep_config_selectorIddEEZNS1_34radix_sort_onesweep_global_offsetsIS3_Lb0EN6thrust23THRUST_200600_302600_NS6detail15normal_iteratorINS8_10device_ptrIdEEEESD_jNS0_19identity_decomposerEEE10hipError_tT1_T2_PT3_SI_jT4_jjP12ihipStream_tbEUlT_E_NS1_11comp_targetILNS1_3genE4ELNS1_11target_archE910ELNS1_3gpuE8ELNS1_3repE0EEENS1_52radix_sort_onesweep_histogram_config_static_selectorELNS0_4arch9wavefront6targetE1EEEvSG_
		.amdhsa_group_segment_fixed_size 0
		.amdhsa_private_segment_fixed_size 0
		.amdhsa_kernarg_size 40
		.amdhsa_user_sgpr_count 2
		.amdhsa_user_sgpr_dispatch_ptr 0
		.amdhsa_user_sgpr_queue_ptr 0
		.amdhsa_user_sgpr_kernarg_segment_ptr 1
		.amdhsa_user_sgpr_dispatch_id 0
		.amdhsa_user_sgpr_kernarg_preload_length 0
		.amdhsa_user_sgpr_kernarg_preload_offset 0
		.amdhsa_user_sgpr_private_segment_size 0
		.amdhsa_uses_dynamic_stack 0
		.amdhsa_enable_private_segment 0
		.amdhsa_system_sgpr_workgroup_id_x 1
		.amdhsa_system_sgpr_workgroup_id_y 0
		.amdhsa_system_sgpr_workgroup_id_z 0
		.amdhsa_system_sgpr_workgroup_info 0
		.amdhsa_system_vgpr_workitem_id 0
		.amdhsa_next_free_vgpr 1
		.amdhsa_next_free_sgpr 0
		.amdhsa_accum_offset 4
		.amdhsa_reserve_vcc 0
		.amdhsa_float_round_mode_32 0
		.amdhsa_float_round_mode_16_64 0
		.amdhsa_float_denorm_mode_32 3
		.amdhsa_float_denorm_mode_16_64 3
		.amdhsa_dx10_clamp 1
		.amdhsa_ieee_mode 1
		.amdhsa_fp16_overflow 0
		.amdhsa_tg_split 0
		.amdhsa_exception_fp_ieee_invalid_op 0
		.amdhsa_exception_fp_denorm_src 0
		.amdhsa_exception_fp_ieee_div_zero 0
		.amdhsa_exception_fp_ieee_overflow 0
		.amdhsa_exception_fp_ieee_underflow 0
		.amdhsa_exception_fp_ieee_inexact 0
		.amdhsa_exception_int_div_zero 0
	.end_amdhsa_kernel
	.section	.text._ZN7rocprim17ROCPRIM_400000_NS6detail17trampoline_kernelINS0_14default_configENS1_35radix_sort_onesweep_config_selectorIddEEZNS1_34radix_sort_onesweep_global_offsetsIS3_Lb0EN6thrust23THRUST_200600_302600_NS6detail15normal_iteratorINS8_10device_ptrIdEEEESD_jNS0_19identity_decomposerEEE10hipError_tT1_T2_PT3_SI_jT4_jjP12ihipStream_tbEUlT_E_NS1_11comp_targetILNS1_3genE4ELNS1_11target_archE910ELNS1_3gpuE8ELNS1_3repE0EEENS1_52radix_sort_onesweep_histogram_config_static_selectorELNS0_4arch9wavefront6targetE1EEEvSG_,"axG",@progbits,_ZN7rocprim17ROCPRIM_400000_NS6detail17trampoline_kernelINS0_14default_configENS1_35radix_sort_onesweep_config_selectorIddEEZNS1_34radix_sort_onesweep_global_offsetsIS3_Lb0EN6thrust23THRUST_200600_302600_NS6detail15normal_iteratorINS8_10device_ptrIdEEEESD_jNS0_19identity_decomposerEEE10hipError_tT1_T2_PT3_SI_jT4_jjP12ihipStream_tbEUlT_E_NS1_11comp_targetILNS1_3genE4ELNS1_11target_archE910ELNS1_3gpuE8ELNS1_3repE0EEENS1_52radix_sort_onesweep_histogram_config_static_selectorELNS0_4arch9wavefront6targetE1EEEvSG_,comdat
.Lfunc_end86:
	.size	_ZN7rocprim17ROCPRIM_400000_NS6detail17trampoline_kernelINS0_14default_configENS1_35radix_sort_onesweep_config_selectorIddEEZNS1_34radix_sort_onesweep_global_offsetsIS3_Lb0EN6thrust23THRUST_200600_302600_NS6detail15normal_iteratorINS8_10device_ptrIdEEEESD_jNS0_19identity_decomposerEEE10hipError_tT1_T2_PT3_SI_jT4_jjP12ihipStream_tbEUlT_E_NS1_11comp_targetILNS1_3genE4ELNS1_11target_archE910ELNS1_3gpuE8ELNS1_3repE0EEENS1_52radix_sort_onesweep_histogram_config_static_selectorELNS0_4arch9wavefront6targetE1EEEvSG_, .Lfunc_end86-_ZN7rocprim17ROCPRIM_400000_NS6detail17trampoline_kernelINS0_14default_configENS1_35radix_sort_onesweep_config_selectorIddEEZNS1_34radix_sort_onesweep_global_offsetsIS3_Lb0EN6thrust23THRUST_200600_302600_NS6detail15normal_iteratorINS8_10device_ptrIdEEEESD_jNS0_19identity_decomposerEEE10hipError_tT1_T2_PT3_SI_jT4_jjP12ihipStream_tbEUlT_E_NS1_11comp_targetILNS1_3genE4ELNS1_11target_archE910ELNS1_3gpuE8ELNS1_3repE0EEENS1_52radix_sort_onesweep_histogram_config_static_selectorELNS0_4arch9wavefront6targetE1EEEvSG_
                                        ; -- End function
	.set _ZN7rocprim17ROCPRIM_400000_NS6detail17trampoline_kernelINS0_14default_configENS1_35radix_sort_onesweep_config_selectorIddEEZNS1_34radix_sort_onesweep_global_offsetsIS3_Lb0EN6thrust23THRUST_200600_302600_NS6detail15normal_iteratorINS8_10device_ptrIdEEEESD_jNS0_19identity_decomposerEEE10hipError_tT1_T2_PT3_SI_jT4_jjP12ihipStream_tbEUlT_E_NS1_11comp_targetILNS1_3genE4ELNS1_11target_archE910ELNS1_3gpuE8ELNS1_3repE0EEENS1_52radix_sort_onesweep_histogram_config_static_selectorELNS0_4arch9wavefront6targetE1EEEvSG_.num_vgpr, 0
	.set _ZN7rocprim17ROCPRIM_400000_NS6detail17trampoline_kernelINS0_14default_configENS1_35radix_sort_onesweep_config_selectorIddEEZNS1_34radix_sort_onesweep_global_offsetsIS3_Lb0EN6thrust23THRUST_200600_302600_NS6detail15normal_iteratorINS8_10device_ptrIdEEEESD_jNS0_19identity_decomposerEEE10hipError_tT1_T2_PT3_SI_jT4_jjP12ihipStream_tbEUlT_E_NS1_11comp_targetILNS1_3genE4ELNS1_11target_archE910ELNS1_3gpuE8ELNS1_3repE0EEENS1_52radix_sort_onesweep_histogram_config_static_selectorELNS0_4arch9wavefront6targetE1EEEvSG_.num_agpr, 0
	.set _ZN7rocprim17ROCPRIM_400000_NS6detail17trampoline_kernelINS0_14default_configENS1_35radix_sort_onesweep_config_selectorIddEEZNS1_34radix_sort_onesweep_global_offsetsIS3_Lb0EN6thrust23THRUST_200600_302600_NS6detail15normal_iteratorINS8_10device_ptrIdEEEESD_jNS0_19identity_decomposerEEE10hipError_tT1_T2_PT3_SI_jT4_jjP12ihipStream_tbEUlT_E_NS1_11comp_targetILNS1_3genE4ELNS1_11target_archE910ELNS1_3gpuE8ELNS1_3repE0EEENS1_52radix_sort_onesweep_histogram_config_static_selectorELNS0_4arch9wavefront6targetE1EEEvSG_.numbered_sgpr, 0
	.set _ZN7rocprim17ROCPRIM_400000_NS6detail17trampoline_kernelINS0_14default_configENS1_35radix_sort_onesweep_config_selectorIddEEZNS1_34radix_sort_onesweep_global_offsetsIS3_Lb0EN6thrust23THRUST_200600_302600_NS6detail15normal_iteratorINS8_10device_ptrIdEEEESD_jNS0_19identity_decomposerEEE10hipError_tT1_T2_PT3_SI_jT4_jjP12ihipStream_tbEUlT_E_NS1_11comp_targetILNS1_3genE4ELNS1_11target_archE910ELNS1_3gpuE8ELNS1_3repE0EEENS1_52radix_sort_onesweep_histogram_config_static_selectorELNS0_4arch9wavefront6targetE1EEEvSG_.num_named_barrier, 0
	.set _ZN7rocprim17ROCPRIM_400000_NS6detail17trampoline_kernelINS0_14default_configENS1_35radix_sort_onesweep_config_selectorIddEEZNS1_34radix_sort_onesweep_global_offsetsIS3_Lb0EN6thrust23THRUST_200600_302600_NS6detail15normal_iteratorINS8_10device_ptrIdEEEESD_jNS0_19identity_decomposerEEE10hipError_tT1_T2_PT3_SI_jT4_jjP12ihipStream_tbEUlT_E_NS1_11comp_targetILNS1_3genE4ELNS1_11target_archE910ELNS1_3gpuE8ELNS1_3repE0EEENS1_52radix_sort_onesweep_histogram_config_static_selectorELNS0_4arch9wavefront6targetE1EEEvSG_.private_seg_size, 0
	.set _ZN7rocprim17ROCPRIM_400000_NS6detail17trampoline_kernelINS0_14default_configENS1_35radix_sort_onesweep_config_selectorIddEEZNS1_34radix_sort_onesweep_global_offsetsIS3_Lb0EN6thrust23THRUST_200600_302600_NS6detail15normal_iteratorINS8_10device_ptrIdEEEESD_jNS0_19identity_decomposerEEE10hipError_tT1_T2_PT3_SI_jT4_jjP12ihipStream_tbEUlT_E_NS1_11comp_targetILNS1_3genE4ELNS1_11target_archE910ELNS1_3gpuE8ELNS1_3repE0EEENS1_52radix_sort_onesweep_histogram_config_static_selectorELNS0_4arch9wavefront6targetE1EEEvSG_.uses_vcc, 0
	.set _ZN7rocprim17ROCPRIM_400000_NS6detail17trampoline_kernelINS0_14default_configENS1_35radix_sort_onesweep_config_selectorIddEEZNS1_34radix_sort_onesweep_global_offsetsIS3_Lb0EN6thrust23THRUST_200600_302600_NS6detail15normal_iteratorINS8_10device_ptrIdEEEESD_jNS0_19identity_decomposerEEE10hipError_tT1_T2_PT3_SI_jT4_jjP12ihipStream_tbEUlT_E_NS1_11comp_targetILNS1_3genE4ELNS1_11target_archE910ELNS1_3gpuE8ELNS1_3repE0EEENS1_52radix_sort_onesweep_histogram_config_static_selectorELNS0_4arch9wavefront6targetE1EEEvSG_.uses_flat_scratch, 0
	.set _ZN7rocprim17ROCPRIM_400000_NS6detail17trampoline_kernelINS0_14default_configENS1_35radix_sort_onesweep_config_selectorIddEEZNS1_34radix_sort_onesweep_global_offsetsIS3_Lb0EN6thrust23THRUST_200600_302600_NS6detail15normal_iteratorINS8_10device_ptrIdEEEESD_jNS0_19identity_decomposerEEE10hipError_tT1_T2_PT3_SI_jT4_jjP12ihipStream_tbEUlT_E_NS1_11comp_targetILNS1_3genE4ELNS1_11target_archE910ELNS1_3gpuE8ELNS1_3repE0EEENS1_52radix_sort_onesweep_histogram_config_static_selectorELNS0_4arch9wavefront6targetE1EEEvSG_.has_dyn_sized_stack, 0
	.set _ZN7rocprim17ROCPRIM_400000_NS6detail17trampoline_kernelINS0_14default_configENS1_35radix_sort_onesweep_config_selectorIddEEZNS1_34radix_sort_onesweep_global_offsetsIS3_Lb0EN6thrust23THRUST_200600_302600_NS6detail15normal_iteratorINS8_10device_ptrIdEEEESD_jNS0_19identity_decomposerEEE10hipError_tT1_T2_PT3_SI_jT4_jjP12ihipStream_tbEUlT_E_NS1_11comp_targetILNS1_3genE4ELNS1_11target_archE910ELNS1_3gpuE8ELNS1_3repE0EEENS1_52radix_sort_onesweep_histogram_config_static_selectorELNS0_4arch9wavefront6targetE1EEEvSG_.has_recursion, 0
	.set _ZN7rocprim17ROCPRIM_400000_NS6detail17trampoline_kernelINS0_14default_configENS1_35radix_sort_onesweep_config_selectorIddEEZNS1_34radix_sort_onesweep_global_offsetsIS3_Lb0EN6thrust23THRUST_200600_302600_NS6detail15normal_iteratorINS8_10device_ptrIdEEEESD_jNS0_19identity_decomposerEEE10hipError_tT1_T2_PT3_SI_jT4_jjP12ihipStream_tbEUlT_E_NS1_11comp_targetILNS1_3genE4ELNS1_11target_archE910ELNS1_3gpuE8ELNS1_3repE0EEENS1_52radix_sort_onesweep_histogram_config_static_selectorELNS0_4arch9wavefront6targetE1EEEvSG_.has_indirect_call, 0
	.section	.AMDGPU.csdata,"",@progbits
; Kernel info:
; codeLenInByte = 0
; TotalNumSgprs: 6
; NumVgprs: 0
; NumAgprs: 0
; TotalNumVgprs: 0
; ScratchSize: 0
; MemoryBound: 0
; FloatMode: 240
; IeeeMode: 1
; LDSByteSize: 0 bytes/workgroup (compile time only)
; SGPRBlocks: 0
; VGPRBlocks: 0
; NumSGPRsForWavesPerEU: 6
; NumVGPRsForWavesPerEU: 1
; AccumOffset: 4
; Occupancy: 8
; WaveLimiterHint : 0
; COMPUTE_PGM_RSRC2:SCRATCH_EN: 0
; COMPUTE_PGM_RSRC2:USER_SGPR: 2
; COMPUTE_PGM_RSRC2:TRAP_HANDLER: 0
; COMPUTE_PGM_RSRC2:TGID_X_EN: 1
; COMPUTE_PGM_RSRC2:TGID_Y_EN: 0
; COMPUTE_PGM_RSRC2:TGID_Z_EN: 0
; COMPUTE_PGM_RSRC2:TIDIG_COMP_CNT: 0
; COMPUTE_PGM_RSRC3_GFX90A:ACCUM_OFFSET: 0
; COMPUTE_PGM_RSRC3_GFX90A:TG_SPLIT: 0
	.section	.text._ZN7rocprim17ROCPRIM_400000_NS6detail17trampoline_kernelINS0_14default_configENS1_35radix_sort_onesweep_config_selectorIddEEZNS1_34radix_sort_onesweep_global_offsetsIS3_Lb0EN6thrust23THRUST_200600_302600_NS6detail15normal_iteratorINS8_10device_ptrIdEEEESD_jNS0_19identity_decomposerEEE10hipError_tT1_T2_PT3_SI_jT4_jjP12ihipStream_tbEUlT_E_NS1_11comp_targetILNS1_3genE3ELNS1_11target_archE908ELNS1_3gpuE7ELNS1_3repE0EEENS1_52radix_sort_onesweep_histogram_config_static_selectorELNS0_4arch9wavefront6targetE1EEEvSG_,"axG",@progbits,_ZN7rocprim17ROCPRIM_400000_NS6detail17trampoline_kernelINS0_14default_configENS1_35radix_sort_onesweep_config_selectorIddEEZNS1_34radix_sort_onesweep_global_offsetsIS3_Lb0EN6thrust23THRUST_200600_302600_NS6detail15normal_iteratorINS8_10device_ptrIdEEEESD_jNS0_19identity_decomposerEEE10hipError_tT1_T2_PT3_SI_jT4_jjP12ihipStream_tbEUlT_E_NS1_11comp_targetILNS1_3genE3ELNS1_11target_archE908ELNS1_3gpuE7ELNS1_3repE0EEENS1_52radix_sort_onesweep_histogram_config_static_selectorELNS0_4arch9wavefront6targetE1EEEvSG_,comdat
	.protected	_ZN7rocprim17ROCPRIM_400000_NS6detail17trampoline_kernelINS0_14default_configENS1_35radix_sort_onesweep_config_selectorIddEEZNS1_34radix_sort_onesweep_global_offsetsIS3_Lb0EN6thrust23THRUST_200600_302600_NS6detail15normal_iteratorINS8_10device_ptrIdEEEESD_jNS0_19identity_decomposerEEE10hipError_tT1_T2_PT3_SI_jT4_jjP12ihipStream_tbEUlT_E_NS1_11comp_targetILNS1_3genE3ELNS1_11target_archE908ELNS1_3gpuE7ELNS1_3repE0EEENS1_52radix_sort_onesweep_histogram_config_static_selectorELNS0_4arch9wavefront6targetE1EEEvSG_ ; -- Begin function _ZN7rocprim17ROCPRIM_400000_NS6detail17trampoline_kernelINS0_14default_configENS1_35radix_sort_onesweep_config_selectorIddEEZNS1_34radix_sort_onesweep_global_offsetsIS3_Lb0EN6thrust23THRUST_200600_302600_NS6detail15normal_iteratorINS8_10device_ptrIdEEEESD_jNS0_19identity_decomposerEEE10hipError_tT1_T2_PT3_SI_jT4_jjP12ihipStream_tbEUlT_E_NS1_11comp_targetILNS1_3genE3ELNS1_11target_archE908ELNS1_3gpuE7ELNS1_3repE0EEENS1_52radix_sort_onesweep_histogram_config_static_selectorELNS0_4arch9wavefront6targetE1EEEvSG_
	.globl	_ZN7rocprim17ROCPRIM_400000_NS6detail17trampoline_kernelINS0_14default_configENS1_35radix_sort_onesweep_config_selectorIddEEZNS1_34radix_sort_onesweep_global_offsetsIS3_Lb0EN6thrust23THRUST_200600_302600_NS6detail15normal_iteratorINS8_10device_ptrIdEEEESD_jNS0_19identity_decomposerEEE10hipError_tT1_T2_PT3_SI_jT4_jjP12ihipStream_tbEUlT_E_NS1_11comp_targetILNS1_3genE3ELNS1_11target_archE908ELNS1_3gpuE7ELNS1_3repE0EEENS1_52radix_sort_onesweep_histogram_config_static_selectorELNS0_4arch9wavefront6targetE1EEEvSG_
	.p2align	8
	.type	_ZN7rocprim17ROCPRIM_400000_NS6detail17trampoline_kernelINS0_14default_configENS1_35radix_sort_onesweep_config_selectorIddEEZNS1_34radix_sort_onesweep_global_offsetsIS3_Lb0EN6thrust23THRUST_200600_302600_NS6detail15normal_iteratorINS8_10device_ptrIdEEEESD_jNS0_19identity_decomposerEEE10hipError_tT1_T2_PT3_SI_jT4_jjP12ihipStream_tbEUlT_E_NS1_11comp_targetILNS1_3genE3ELNS1_11target_archE908ELNS1_3gpuE7ELNS1_3repE0EEENS1_52radix_sort_onesweep_histogram_config_static_selectorELNS0_4arch9wavefront6targetE1EEEvSG_,@function
_ZN7rocprim17ROCPRIM_400000_NS6detail17trampoline_kernelINS0_14default_configENS1_35radix_sort_onesweep_config_selectorIddEEZNS1_34radix_sort_onesweep_global_offsetsIS3_Lb0EN6thrust23THRUST_200600_302600_NS6detail15normal_iteratorINS8_10device_ptrIdEEEESD_jNS0_19identity_decomposerEEE10hipError_tT1_T2_PT3_SI_jT4_jjP12ihipStream_tbEUlT_E_NS1_11comp_targetILNS1_3genE3ELNS1_11target_archE908ELNS1_3gpuE7ELNS1_3repE0EEENS1_52radix_sort_onesweep_histogram_config_static_selectorELNS0_4arch9wavefront6targetE1EEEvSG_: ; @_ZN7rocprim17ROCPRIM_400000_NS6detail17trampoline_kernelINS0_14default_configENS1_35radix_sort_onesweep_config_selectorIddEEZNS1_34radix_sort_onesweep_global_offsetsIS3_Lb0EN6thrust23THRUST_200600_302600_NS6detail15normal_iteratorINS8_10device_ptrIdEEEESD_jNS0_19identity_decomposerEEE10hipError_tT1_T2_PT3_SI_jT4_jjP12ihipStream_tbEUlT_E_NS1_11comp_targetILNS1_3genE3ELNS1_11target_archE908ELNS1_3gpuE7ELNS1_3repE0EEENS1_52radix_sort_onesweep_histogram_config_static_selectorELNS0_4arch9wavefront6targetE1EEEvSG_
; %bb.0:
	.section	.rodata,"a",@progbits
	.p2align	6, 0x0
	.amdhsa_kernel _ZN7rocprim17ROCPRIM_400000_NS6detail17trampoline_kernelINS0_14default_configENS1_35radix_sort_onesweep_config_selectorIddEEZNS1_34radix_sort_onesweep_global_offsetsIS3_Lb0EN6thrust23THRUST_200600_302600_NS6detail15normal_iteratorINS8_10device_ptrIdEEEESD_jNS0_19identity_decomposerEEE10hipError_tT1_T2_PT3_SI_jT4_jjP12ihipStream_tbEUlT_E_NS1_11comp_targetILNS1_3genE3ELNS1_11target_archE908ELNS1_3gpuE7ELNS1_3repE0EEENS1_52radix_sort_onesweep_histogram_config_static_selectorELNS0_4arch9wavefront6targetE1EEEvSG_
		.amdhsa_group_segment_fixed_size 0
		.amdhsa_private_segment_fixed_size 0
		.amdhsa_kernarg_size 40
		.amdhsa_user_sgpr_count 2
		.amdhsa_user_sgpr_dispatch_ptr 0
		.amdhsa_user_sgpr_queue_ptr 0
		.amdhsa_user_sgpr_kernarg_segment_ptr 1
		.amdhsa_user_sgpr_dispatch_id 0
		.amdhsa_user_sgpr_kernarg_preload_length 0
		.amdhsa_user_sgpr_kernarg_preload_offset 0
		.amdhsa_user_sgpr_private_segment_size 0
		.amdhsa_uses_dynamic_stack 0
		.amdhsa_enable_private_segment 0
		.amdhsa_system_sgpr_workgroup_id_x 1
		.amdhsa_system_sgpr_workgroup_id_y 0
		.amdhsa_system_sgpr_workgroup_id_z 0
		.amdhsa_system_sgpr_workgroup_info 0
		.amdhsa_system_vgpr_workitem_id 0
		.amdhsa_next_free_vgpr 1
		.amdhsa_next_free_sgpr 0
		.amdhsa_accum_offset 4
		.amdhsa_reserve_vcc 0
		.amdhsa_float_round_mode_32 0
		.amdhsa_float_round_mode_16_64 0
		.amdhsa_float_denorm_mode_32 3
		.amdhsa_float_denorm_mode_16_64 3
		.amdhsa_dx10_clamp 1
		.amdhsa_ieee_mode 1
		.amdhsa_fp16_overflow 0
		.amdhsa_tg_split 0
		.amdhsa_exception_fp_ieee_invalid_op 0
		.amdhsa_exception_fp_denorm_src 0
		.amdhsa_exception_fp_ieee_div_zero 0
		.amdhsa_exception_fp_ieee_overflow 0
		.amdhsa_exception_fp_ieee_underflow 0
		.amdhsa_exception_fp_ieee_inexact 0
		.amdhsa_exception_int_div_zero 0
	.end_amdhsa_kernel
	.section	.text._ZN7rocprim17ROCPRIM_400000_NS6detail17trampoline_kernelINS0_14default_configENS1_35radix_sort_onesweep_config_selectorIddEEZNS1_34radix_sort_onesweep_global_offsetsIS3_Lb0EN6thrust23THRUST_200600_302600_NS6detail15normal_iteratorINS8_10device_ptrIdEEEESD_jNS0_19identity_decomposerEEE10hipError_tT1_T2_PT3_SI_jT4_jjP12ihipStream_tbEUlT_E_NS1_11comp_targetILNS1_3genE3ELNS1_11target_archE908ELNS1_3gpuE7ELNS1_3repE0EEENS1_52radix_sort_onesweep_histogram_config_static_selectorELNS0_4arch9wavefront6targetE1EEEvSG_,"axG",@progbits,_ZN7rocprim17ROCPRIM_400000_NS6detail17trampoline_kernelINS0_14default_configENS1_35radix_sort_onesweep_config_selectorIddEEZNS1_34radix_sort_onesweep_global_offsetsIS3_Lb0EN6thrust23THRUST_200600_302600_NS6detail15normal_iteratorINS8_10device_ptrIdEEEESD_jNS0_19identity_decomposerEEE10hipError_tT1_T2_PT3_SI_jT4_jjP12ihipStream_tbEUlT_E_NS1_11comp_targetILNS1_3genE3ELNS1_11target_archE908ELNS1_3gpuE7ELNS1_3repE0EEENS1_52radix_sort_onesweep_histogram_config_static_selectorELNS0_4arch9wavefront6targetE1EEEvSG_,comdat
.Lfunc_end87:
	.size	_ZN7rocprim17ROCPRIM_400000_NS6detail17trampoline_kernelINS0_14default_configENS1_35radix_sort_onesweep_config_selectorIddEEZNS1_34radix_sort_onesweep_global_offsetsIS3_Lb0EN6thrust23THRUST_200600_302600_NS6detail15normal_iteratorINS8_10device_ptrIdEEEESD_jNS0_19identity_decomposerEEE10hipError_tT1_T2_PT3_SI_jT4_jjP12ihipStream_tbEUlT_E_NS1_11comp_targetILNS1_3genE3ELNS1_11target_archE908ELNS1_3gpuE7ELNS1_3repE0EEENS1_52radix_sort_onesweep_histogram_config_static_selectorELNS0_4arch9wavefront6targetE1EEEvSG_, .Lfunc_end87-_ZN7rocprim17ROCPRIM_400000_NS6detail17trampoline_kernelINS0_14default_configENS1_35radix_sort_onesweep_config_selectorIddEEZNS1_34radix_sort_onesweep_global_offsetsIS3_Lb0EN6thrust23THRUST_200600_302600_NS6detail15normal_iteratorINS8_10device_ptrIdEEEESD_jNS0_19identity_decomposerEEE10hipError_tT1_T2_PT3_SI_jT4_jjP12ihipStream_tbEUlT_E_NS1_11comp_targetILNS1_3genE3ELNS1_11target_archE908ELNS1_3gpuE7ELNS1_3repE0EEENS1_52radix_sort_onesweep_histogram_config_static_selectorELNS0_4arch9wavefront6targetE1EEEvSG_
                                        ; -- End function
	.set _ZN7rocprim17ROCPRIM_400000_NS6detail17trampoline_kernelINS0_14default_configENS1_35radix_sort_onesweep_config_selectorIddEEZNS1_34radix_sort_onesweep_global_offsetsIS3_Lb0EN6thrust23THRUST_200600_302600_NS6detail15normal_iteratorINS8_10device_ptrIdEEEESD_jNS0_19identity_decomposerEEE10hipError_tT1_T2_PT3_SI_jT4_jjP12ihipStream_tbEUlT_E_NS1_11comp_targetILNS1_3genE3ELNS1_11target_archE908ELNS1_3gpuE7ELNS1_3repE0EEENS1_52radix_sort_onesweep_histogram_config_static_selectorELNS0_4arch9wavefront6targetE1EEEvSG_.num_vgpr, 0
	.set _ZN7rocprim17ROCPRIM_400000_NS6detail17trampoline_kernelINS0_14default_configENS1_35radix_sort_onesweep_config_selectorIddEEZNS1_34radix_sort_onesweep_global_offsetsIS3_Lb0EN6thrust23THRUST_200600_302600_NS6detail15normal_iteratorINS8_10device_ptrIdEEEESD_jNS0_19identity_decomposerEEE10hipError_tT1_T2_PT3_SI_jT4_jjP12ihipStream_tbEUlT_E_NS1_11comp_targetILNS1_3genE3ELNS1_11target_archE908ELNS1_3gpuE7ELNS1_3repE0EEENS1_52radix_sort_onesweep_histogram_config_static_selectorELNS0_4arch9wavefront6targetE1EEEvSG_.num_agpr, 0
	.set _ZN7rocprim17ROCPRIM_400000_NS6detail17trampoline_kernelINS0_14default_configENS1_35radix_sort_onesweep_config_selectorIddEEZNS1_34radix_sort_onesweep_global_offsetsIS3_Lb0EN6thrust23THRUST_200600_302600_NS6detail15normal_iteratorINS8_10device_ptrIdEEEESD_jNS0_19identity_decomposerEEE10hipError_tT1_T2_PT3_SI_jT4_jjP12ihipStream_tbEUlT_E_NS1_11comp_targetILNS1_3genE3ELNS1_11target_archE908ELNS1_3gpuE7ELNS1_3repE0EEENS1_52radix_sort_onesweep_histogram_config_static_selectorELNS0_4arch9wavefront6targetE1EEEvSG_.numbered_sgpr, 0
	.set _ZN7rocprim17ROCPRIM_400000_NS6detail17trampoline_kernelINS0_14default_configENS1_35radix_sort_onesweep_config_selectorIddEEZNS1_34radix_sort_onesweep_global_offsetsIS3_Lb0EN6thrust23THRUST_200600_302600_NS6detail15normal_iteratorINS8_10device_ptrIdEEEESD_jNS0_19identity_decomposerEEE10hipError_tT1_T2_PT3_SI_jT4_jjP12ihipStream_tbEUlT_E_NS1_11comp_targetILNS1_3genE3ELNS1_11target_archE908ELNS1_3gpuE7ELNS1_3repE0EEENS1_52radix_sort_onesweep_histogram_config_static_selectorELNS0_4arch9wavefront6targetE1EEEvSG_.num_named_barrier, 0
	.set _ZN7rocprim17ROCPRIM_400000_NS6detail17trampoline_kernelINS0_14default_configENS1_35radix_sort_onesweep_config_selectorIddEEZNS1_34radix_sort_onesweep_global_offsetsIS3_Lb0EN6thrust23THRUST_200600_302600_NS6detail15normal_iteratorINS8_10device_ptrIdEEEESD_jNS0_19identity_decomposerEEE10hipError_tT1_T2_PT3_SI_jT4_jjP12ihipStream_tbEUlT_E_NS1_11comp_targetILNS1_3genE3ELNS1_11target_archE908ELNS1_3gpuE7ELNS1_3repE0EEENS1_52radix_sort_onesweep_histogram_config_static_selectorELNS0_4arch9wavefront6targetE1EEEvSG_.private_seg_size, 0
	.set _ZN7rocprim17ROCPRIM_400000_NS6detail17trampoline_kernelINS0_14default_configENS1_35radix_sort_onesweep_config_selectorIddEEZNS1_34radix_sort_onesweep_global_offsetsIS3_Lb0EN6thrust23THRUST_200600_302600_NS6detail15normal_iteratorINS8_10device_ptrIdEEEESD_jNS0_19identity_decomposerEEE10hipError_tT1_T2_PT3_SI_jT4_jjP12ihipStream_tbEUlT_E_NS1_11comp_targetILNS1_3genE3ELNS1_11target_archE908ELNS1_3gpuE7ELNS1_3repE0EEENS1_52radix_sort_onesweep_histogram_config_static_selectorELNS0_4arch9wavefront6targetE1EEEvSG_.uses_vcc, 0
	.set _ZN7rocprim17ROCPRIM_400000_NS6detail17trampoline_kernelINS0_14default_configENS1_35radix_sort_onesweep_config_selectorIddEEZNS1_34radix_sort_onesweep_global_offsetsIS3_Lb0EN6thrust23THRUST_200600_302600_NS6detail15normal_iteratorINS8_10device_ptrIdEEEESD_jNS0_19identity_decomposerEEE10hipError_tT1_T2_PT3_SI_jT4_jjP12ihipStream_tbEUlT_E_NS1_11comp_targetILNS1_3genE3ELNS1_11target_archE908ELNS1_3gpuE7ELNS1_3repE0EEENS1_52radix_sort_onesweep_histogram_config_static_selectorELNS0_4arch9wavefront6targetE1EEEvSG_.uses_flat_scratch, 0
	.set _ZN7rocprim17ROCPRIM_400000_NS6detail17trampoline_kernelINS0_14default_configENS1_35radix_sort_onesweep_config_selectorIddEEZNS1_34radix_sort_onesweep_global_offsetsIS3_Lb0EN6thrust23THRUST_200600_302600_NS6detail15normal_iteratorINS8_10device_ptrIdEEEESD_jNS0_19identity_decomposerEEE10hipError_tT1_T2_PT3_SI_jT4_jjP12ihipStream_tbEUlT_E_NS1_11comp_targetILNS1_3genE3ELNS1_11target_archE908ELNS1_3gpuE7ELNS1_3repE0EEENS1_52radix_sort_onesweep_histogram_config_static_selectorELNS0_4arch9wavefront6targetE1EEEvSG_.has_dyn_sized_stack, 0
	.set _ZN7rocprim17ROCPRIM_400000_NS6detail17trampoline_kernelINS0_14default_configENS1_35radix_sort_onesweep_config_selectorIddEEZNS1_34radix_sort_onesweep_global_offsetsIS3_Lb0EN6thrust23THRUST_200600_302600_NS6detail15normal_iteratorINS8_10device_ptrIdEEEESD_jNS0_19identity_decomposerEEE10hipError_tT1_T2_PT3_SI_jT4_jjP12ihipStream_tbEUlT_E_NS1_11comp_targetILNS1_3genE3ELNS1_11target_archE908ELNS1_3gpuE7ELNS1_3repE0EEENS1_52radix_sort_onesweep_histogram_config_static_selectorELNS0_4arch9wavefront6targetE1EEEvSG_.has_recursion, 0
	.set _ZN7rocprim17ROCPRIM_400000_NS6detail17trampoline_kernelINS0_14default_configENS1_35radix_sort_onesweep_config_selectorIddEEZNS1_34radix_sort_onesweep_global_offsetsIS3_Lb0EN6thrust23THRUST_200600_302600_NS6detail15normal_iteratorINS8_10device_ptrIdEEEESD_jNS0_19identity_decomposerEEE10hipError_tT1_T2_PT3_SI_jT4_jjP12ihipStream_tbEUlT_E_NS1_11comp_targetILNS1_3genE3ELNS1_11target_archE908ELNS1_3gpuE7ELNS1_3repE0EEENS1_52radix_sort_onesweep_histogram_config_static_selectorELNS0_4arch9wavefront6targetE1EEEvSG_.has_indirect_call, 0
	.section	.AMDGPU.csdata,"",@progbits
; Kernel info:
; codeLenInByte = 0
; TotalNumSgprs: 6
; NumVgprs: 0
; NumAgprs: 0
; TotalNumVgprs: 0
; ScratchSize: 0
; MemoryBound: 0
; FloatMode: 240
; IeeeMode: 1
; LDSByteSize: 0 bytes/workgroup (compile time only)
; SGPRBlocks: 0
; VGPRBlocks: 0
; NumSGPRsForWavesPerEU: 6
; NumVGPRsForWavesPerEU: 1
; AccumOffset: 4
; Occupancy: 8
; WaveLimiterHint : 0
; COMPUTE_PGM_RSRC2:SCRATCH_EN: 0
; COMPUTE_PGM_RSRC2:USER_SGPR: 2
; COMPUTE_PGM_RSRC2:TRAP_HANDLER: 0
; COMPUTE_PGM_RSRC2:TGID_X_EN: 1
; COMPUTE_PGM_RSRC2:TGID_Y_EN: 0
; COMPUTE_PGM_RSRC2:TGID_Z_EN: 0
; COMPUTE_PGM_RSRC2:TIDIG_COMP_CNT: 0
; COMPUTE_PGM_RSRC3_GFX90A:ACCUM_OFFSET: 0
; COMPUTE_PGM_RSRC3_GFX90A:TG_SPLIT: 0
	.section	.text._ZN7rocprim17ROCPRIM_400000_NS6detail17trampoline_kernelINS0_14default_configENS1_35radix_sort_onesweep_config_selectorIddEEZNS1_34radix_sort_onesweep_global_offsetsIS3_Lb0EN6thrust23THRUST_200600_302600_NS6detail15normal_iteratorINS8_10device_ptrIdEEEESD_jNS0_19identity_decomposerEEE10hipError_tT1_T2_PT3_SI_jT4_jjP12ihipStream_tbEUlT_E_NS1_11comp_targetILNS1_3genE10ELNS1_11target_archE1201ELNS1_3gpuE5ELNS1_3repE0EEENS1_52radix_sort_onesweep_histogram_config_static_selectorELNS0_4arch9wavefront6targetE1EEEvSG_,"axG",@progbits,_ZN7rocprim17ROCPRIM_400000_NS6detail17trampoline_kernelINS0_14default_configENS1_35radix_sort_onesweep_config_selectorIddEEZNS1_34radix_sort_onesweep_global_offsetsIS3_Lb0EN6thrust23THRUST_200600_302600_NS6detail15normal_iteratorINS8_10device_ptrIdEEEESD_jNS0_19identity_decomposerEEE10hipError_tT1_T2_PT3_SI_jT4_jjP12ihipStream_tbEUlT_E_NS1_11comp_targetILNS1_3genE10ELNS1_11target_archE1201ELNS1_3gpuE5ELNS1_3repE0EEENS1_52radix_sort_onesweep_histogram_config_static_selectorELNS0_4arch9wavefront6targetE1EEEvSG_,comdat
	.protected	_ZN7rocprim17ROCPRIM_400000_NS6detail17trampoline_kernelINS0_14default_configENS1_35radix_sort_onesweep_config_selectorIddEEZNS1_34radix_sort_onesweep_global_offsetsIS3_Lb0EN6thrust23THRUST_200600_302600_NS6detail15normal_iteratorINS8_10device_ptrIdEEEESD_jNS0_19identity_decomposerEEE10hipError_tT1_T2_PT3_SI_jT4_jjP12ihipStream_tbEUlT_E_NS1_11comp_targetILNS1_3genE10ELNS1_11target_archE1201ELNS1_3gpuE5ELNS1_3repE0EEENS1_52radix_sort_onesweep_histogram_config_static_selectorELNS0_4arch9wavefront6targetE1EEEvSG_ ; -- Begin function _ZN7rocprim17ROCPRIM_400000_NS6detail17trampoline_kernelINS0_14default_configENS1_35radix_sort_onesweep_config_selectorIddEEZNS1_34radix_sort_onesweep_global_offsetsIS3_Lb0EN6thrust23THRUST_200600_302600_NS6detail15normal_iteratorINS8_10device_ptrIdEEEESD_jNS0_19identity_decomposerEEE10hipError_tT1_T2_PT3_SI_jT4_jjP12ihipStream_tbEUlT_E_NS1_11comp_targetILNS1_3genE10ELNS1_11target_archE1201ELNS1_3gpuE5ELNS1_3repE0EEENS1_52radix_sort_onesweep_histogram_config_static_selectorELNS0_4arch9wavefront6targetE1EEEvSG_
	.globl	_ZN7rocprim17ROCPRIM_400000_NS6detail17trampoline_kernelINS0_14default_configENS1_35radix_sort_onesweep_config_selectorIddEEZNS1_34radix_sort_onesweep_global_offsetsIS3_Lb0EN6thrust23THRUST_200600_302600_NS6detail15normal_iteratorINS8_10device_ptrIdEEEESD_jNS0_19identity_decomposerEEE10hipError_tT1_T2_PT3_SI_jT4_jjP12ihipStream_tbEUlT_E_NS1_11comp_targetILNS1_3genE10ELNS1_11target_archE1201ELNS1_3gpuE5ELNS1_3repE0EEENS1_52radix_sort_onesweep_histogram_config_static_selectorELNS0_4arch9wavefront6targetE1EEEvSG_
	.p2align	8
	.type	_ZN7rocprim17ROCPRIM_400000_NS6detail17trampoline_kernelINS0_14default_configENS1_35radix_sort_onesweep_config_selectorIddEEZNS1_34radix_sort_onesweep_global_offsetsIS3_Lb0EN6thrust23THRUST_200600_302600_NS6detail15normal_iteratorINS8_10device_ptrIdEEEESD_jNS0_19identity_decomposerEEE10hipError_tT1_T2_PT3_SI_jT4_jjP12ihipStream_tbEUlT_E_NS1_11comp_targetILNS1_3genE10ELNS1_11target_archE1201ELNS1_3gpuE5ELNS1_3repE0EEENS1_52radix_sort_onesweep_histogram_config_static_selectorELNS0_4arch9wavefront6targetE1EEEvSG_,@function
_ZN7rocprim17ROCPRIM_400000_NS6detail17trampoline_kernelINS0_14default_configENS1_35radix_sort_onesweep_config_selectorIddEEZNS1_34radix_sort_onesweep_global_offsetsIS3_Lb0EN6thrust23THRUST_200600_302600_NS6detail15normal_iteratorINS8_10device_ptrIdEEEESD_jNS0_19identity_decomposerEEE10hipError_tT1_T2_PT3_SI_jT4_jjP12ihipStream_tbEUlT_E_NS1_11comp_targetILNS1_3genE10ELNS1_11target_archE1201ELNS1_3gpuE5ELNS1_3repE0EEENS1_52radix_sort_onesweep_histogram_config_static_selectorELNS0_4arch9wavefront6targetE1EEEvSG_: ; @_ZN7rocprim17ROCPRIM_400000_NS6detail17trampoline_kernelINS0_14default_configENS1_35radix_sort_onesweep_config_selectorIddEEZNS1_34radix_sort_onesweep_global_offsetsIS3_Lb0EN6thrust23THRUST_200600_302600_NS6detail15normal_iteratorINS8_10device_ptrIdEEEESD_jNS0_19identity_decomposerEEE10hipError_tT1_T2_PT3_SI_jT4_jjP12ihipStream_tbEUlT_E_NS1_11comp_targetILNS1_3genE10ELNS1_11target_archE1201ELNS1_3gpuE5ELNS1_3repE0EEENS1_52radix_sort_onesweep_histogram_config_static_selectorELNS0_4arch9wavefront6targetE1EEEvSG_
; %bb.0:
	.section	.rodata,"a",@progbits
	.p2align	6, 0x0
	.amdhsa_kernel _ZN7rocprim17ROCPRIM_400000_NS6detail17trampoline_kernelINS0_14default_configENS1_35radix_sort_onesweep_config_selectorIddEEZNS1_34radix_sort_onesweep_global_offsetsIS3_Lb0EN6thrust23THRUST_200600_302600_NS6detail15normal_iteratorINS8_10device_ptrIdEEEESD_jNS0_19identity_decomposerEEE10hipError_tT1_T2_PT3_SI_jT4_jjP12ihipStream_tbEUlT_E_NS1_11comp_targetILNS1_3genE10ELNS1_11target_archE1201ELNS1_3gpuE5ELNS1_3repE0EEENS1_52radix_sort_onesweep_histogram_config_static_selectorELNS0_4arch9wavefront6targetE1EEEvSG_
		.amdhsa_group_segment_fixed_size 0
		.amdhsa_private_segment_fixed_size 0
		.amdhsa_kernarg_size 40
		.amdhsa_user_sgpr_count 2
		.amdhsa_user_sgpr_dispatch_ptr 0
		.amdhsa_user_sgpr_queue_ptr 0
		.amdhsa_user_sgpr_kernarg_segment_ptr 1
		.amdhsa_user_sgpr_dispatch_id 0
		.amdhsa_user_sgpr_kernarg_preload_length 0
		.amdhsa_user_sgpr_kernarg_preload_offset 0
		.amdhsa_user_sgpr_private_segment_size 0
		.amdhsa_uses_dynamic_stack 0
		.amdhsa_enable_private_segment 0
		.amdhsa_system_sgpr_workgroup_id_x 1
		.amdhsa_system_sgpr_workgroup_id_y 0
		.amdhsa_system_sgpr_workgroup_id_z 0
		.amdhsa_system_sgpr_workgroup_info 0
		.amdhsa_system_vgpr_workitem_id 0
		.amdhsa_next_free_vgpr 1
		.amdhsa_next_free_sgpr 0
		.amdhsa_accum_offset 4
		.amdhsa_reserve_vcc 0
		.amdhsa_float_round_mode_32 0
		.amdhsa_float_round_mode_16_64 0
		.amdhsa_float_denorm_mode_32 3
		.amdhsa_float_denorm_mode_16_64 3
		.amdhsa_dx10_clamp 1
		.amdhsa_ieee_mode 1
		.amdhsa_fp16_overflow 0
		.amdhsa_tg_split 0
		.amdhsa_exception_fp_ieee_invalid_op 0
		.amdhsa_exception_fp_denorm_src 0
		.amdhsa_exception_fp_ieee_div_zero 0
		.amdhsa_exception_fp_ieee_overflow 0
		.amdhsa_exception_fp_ieee_underflow 0
		.amdhsa_exception_fp_ieee_inexact 0
		.amdhsa_exception_int_div_zero 0
	.end_amdhsa_kernel
	.section	.text._ZN7rocprim17ROCPRIM_400000_NS6detail17trampoline_kernelINS0_14default_configENS1_35radix_sort_onesweep_config_selectorIddEEZNS1_34radix_sort_onesweep_global_offsetsIS3_Lb0EN6thrust23THRUST_200600_302600_NS6detail15normal_iteratorINS8_10device_ptrIdEEEESD_jNS0_19identity_decomposerEEE10hipError_tT1_T2_PT3_SI_jT4_jjP12ihipStream_tbEUlT_E_NS1_11comp_targetILNS1_3genE10ELNS1_11target_archE1201ELNS1_3gpuE5ELNS1_3repE0EEENS1_52radix_sort_onesweep_histogram_config_static_selectorELNS0_4arch9wavefront6targetE1EEEvSG_,"axG",@progbits,_ZN7rocprim17ROCPRIM_400000_NS6detail17trampoline_kernelINS0_14default_configENS1_35radix_sort_onesweep_config_selectorIddEEZNS1_34radix_sort_onesweep_global_offsetsIS3_Lb0EN6thrust23THRUST_200600_302600_NS6detail15normal_iteratorINS8_10device_ptrIdEEEESD_jNS0_19identity_decomposerEEE10hipError_tT1_T2_PT3_SI_jT4_jjP12ihipStream_tbEUlT_E_NS1_11comp_targetILNS1_3genE10ELNS1_11target_archE1201ELNS1_3gpuE5ELNS1_3repE0EEENS1_52radix_sort_onesweep_histogram_config_static_selectorELNS0_4arch9wavefront6targetE1EEEvSG_,comdat
.Lfunc_end88:
	.size	_ZN7rocprim17ROCPRIM_400000_NS6detail17trampoline_kernelINS0_14default_configENS1_35radix_sort_onesweep_config_selectorIddEEZNS1_34radix_sort_onesweep_global_offsetsIS3_Lb0EN6thrust23THRUST_200600_302600_NS6detail15normal_iteratorINS8_10device_ptrIdEEEESD_jNS0_19identity_decomposerEEE10hipError_tT1_T2_PT3_SI_jT4_jjP12ihipStream_tbEUlT_E_NS1_11comp_targetILNS1_3genE10ELNS1_11target_archE1201ELNS1_3gpuE5ELNS1_3repE0EEENS1_52radix_sort_onesweep_histogram_config_static_selectorELNS0_4arch9wavefront6targetE1EEEvSG_, .Lfunc_end88-_ZN7rocprim17ROCPRIM_400000_NS6detail17trampoline_kernelINS0_14default_configENS1_35radix_sort_onesweep_config_selectorIddEEZNS1_34radix_sort_onesweep_global_offsetsIS3_Lb0EN6thrust23THRUST_200600_302600_NS6detail15normal_iteratorINS8_10device_ptrIdEEEESD_jNS0_19identity_decomposerEEE10hipError_tT1_T2_PT3_SI_jT4_jjP12ihipStream_tbEUlT_E_NS1_11comp_targetILNS1_3genE10ELNS1_11target_archE1201ELNS1_3gpuE5ELNS1_3repE0EEENS1_52radix_sort_onesweep_histogram_config_static_selectorELNS0_4arch9wavefront6targetE1EEEvSG_
                                        ; -- End function
	.set _ZN7rocprim17ROCPRIM_400000_NS6detail17trampoline_kernelINS0_14default_configENS1_35radix_sort_onesweep_config_selectorIddEEZNS1_34radix_sort_onesweep_global_offsetsIS3_Lb0EN6thrust23THRUST_200600_302600_NS6detail15normal_iteratorINS8_10device_ptrIdEEEESD_jNS0_19identity_decomposerEEE10hipError_tT1_T2_PT3_SI_jT4_jjP12ihipStream_tbEUlT_E_NS1_11comp_targetILNS1_3genE10ELNS1_11target_archE1201ELNS1_3gpuE5ELNS1_3repE0EEENS1_52radix_sort_onesweep_histogram_config_static_selectorELNS0_4arch9wavefront6targetE1EEEvSG_.num_vgpr, 0
	.set _ZN7rocprim17ROCPRIM_400000_NS6detail17trampoline_kernelINS0_14default_configENS1_35radix_sort_onesweep_config_selectorIddEEZNS1_34radix_sort_onesweep_global_offsetsIS3_Lb0EN6thrust23THRUST_200600_302600_NS6detail15normal_iteratorINS8_10device_ptrIdEEEESD_jNS0_19identity_decomposerEEE10hipError_tT1_T2_PT3_SI_jT4_jjP12ihipStream_tbEUlT_E_NS1_11comp_targetILNS1_3genE10ELNS1_11target_archE1201ELNS1_3gpuE5ELNS1_3repE0EEENS1_52radix_sort_onesweep_histogram_config_static_selectorELNS0_4arch9wavefront6targetE1EEEvSG_.num_agpr, 0
	.set _ZN7rocprim17ROCPRIM_400000_NS6detail17trampoline_kernelINS0_14default_configENS1_35radix_sort_onesweep_config_selectorIddEEZNS1_34radix_sort_onesweep_global_offsetsIS3_Lb0EN6thrust23THRUST_200600_302600_NS6detail15normal_iteratorINS8_10device_ptrIdEEEESD_jNS0_19identity_decomposerEEE10hipError_tT1_T2_PT3_SI_jT4_jjP12ihipStream_tbEUlT_E_NS1_11comp_targetILNS1_3genE10ELNS1_11target_archE1201ELNS1_3gpuE5ELNS1_3repE0EEENS1_52radix_sort_onesweep_histogram_config_static_selectorELNS0_4arch9wavefront6targetE1EEEvSG_.numbered_sgpr, 0
	.set _ZN7rocprim17ROCPRIM_400000_NS6detail17trampoline_kernelINS0_14default_configENS1_35radix_sort_onesweep_config_selectorIddEEZNS1_34radix_sort_onesweep_global_offsetsIS3_Lb0EN6thrust23THRUST_200600_302600_NS6detail15normal_iteratorINS8_10device_ptrIdEEEESD_jNS0_19identity_decomposerEEE10hipError_tT1_T2_PT3_SI_jT4_jjP12ihipStream_tbEUlT_E_NS1_11comp_targetILNS1_3genE10ELNS1_11target_archE1201ELNS1_3gpuE5ELNS1_3repE0EEENS1_52radix_sort_onesweep_histogram_config_static_selectorELNS0_4arch9wavefront6targetE1EEEvSG_.num_named_barrier, 0
	.set _ZN7rocprim17ROCPRIM_400000_NS6detail17trampoline_kernelINS0_14default_configENS1_35radix_sort_onesweep_config_selectorIddEEZNS1_34radix_sort_onesweep_global_offsetsIS3_Lb0EN6thrust23THRUST_200600_302600_NS6detail15normal_iteratorINS8_10device_ptrIdEEEESD_jNS0_19identity_decomposerEEE10hipError_tT1_T2_PT3_SI_jT4_jjP12ihipStream_tbEUlT_E_NS1_11comp_targetILNS1_3genE10ELNS1_11target_archE1201ELNS1_3gpuE5ELNS1_3repE0EEENS1_52radix_sort_onesweep_histogram_config_static_selectorELNS0_4arch9wavefront6targetE1EEEvSG_.private_seg_size, 0
	.set _ZN7rocprim17ROCPRIM_400000_NS6detail17trampoline_kernelINS0_14default_configENS1_35radix_sort_onesweep_config_selectorIddEEZNS1_34radix_sort_onesweep_global_offsetsIS3_Lb0EN6thrust23THRUST_200600_302600_NS6detail15normal_iteratorINS8_10device_ptrIdEEEESD_jNS0_19identity_decomposerEEE10hipError_tT1_T2_PT3_SI_jT4_jjP12ihipStream_tbEUlT_E_NS1_11comp_targetILNS1_3genE10ELNS1_11target_archE1201ELNS1_3gpuE5ELNS1_3repE0EEENS1_52radix_sort_onesweep_histogram_config_static_selectorELNS0_4arch9wavefront6targetE1EEEvSG_.uses_vcc, 0
	.set _ZN7rocprim17ROCPRIM_400000_NS6detail17trampoline_kernelINS0_14default_configENS1_35radix_sort_onesweep_config_selectorIddEEZNS1_34radix_sort_onesweep_global_offsetsIS3_Lb0EN6thrust23THRUST_200600_302600_NS6detail15normal_iteratorINS8_10device_ptrIdEEEESD_jNS0_19identity_decomposerEEE10hipError_tT1_T2_PT3_SI_jT4_jjP12ihipStream_tbEUlT_E_NS1_11comp_targetILNS1_3genE10ELNS1_11target_archE1201ELNS1_3gpuE5ELNS1_3repE0EEENS1_52radix_sort_onesweep_histogram_config_static_selectorELNS0_4arch9wavefront6targetE1EEEvSG_.uses_flat_scratch, 0
	.set _ZN7rocprim17ROCPRIM_400000_NS6detail17trampoline_kernelINS0_14default_configENS1_35radix_sort_onesweep_config_selectorIddEEZNS1_34radix_sort_onesweep_global_offsetsIS3_Lb0EN6thrust23THRUST_200600_302600_NS6detail15normal_iteratorINS8_10device_ptrIdEEEESD_jNS0_19identity_decomposerEEE10hipError_tT1_T2_PT3_SI_jT4_jjP12ihipStream_tbEUlT_E_NS1_11comp_targetILNS1_3genE10ELNS1_11target_archE1201ELNS1_3gpuE5ELNS1_3repE0EEENS1_52radix_sort_onesweep_histogram_config_static_selectorELNS0_4arch9wavefront6targetE1EEEvSG_.has_dyn_sized_stack, 0
	.set _ZN7rocprim17ROCPRIM_400000_NS6detail17trampoline_kernelINS0_14default_configENS1_35radix_sort_onesweep_config_selectorIddEEZNS1_34radix_sort_onesweep_global_offsetsIS3_Lb0EN6thrust23THRUST_200600_302600_NS6detail15normal_iteratorINS8_10device_ptrIdEEEESD_jNS0_19identity_decomposerEEE10hipError_tT1_T2_PT3_SI_jT4_jjP12ihipStream_tbEUlT_E_NS1_11comp_targetILNS1_3genE10ELNS1_11target_archE1201ELNS1_3gpuE5ELNS1_3repE0EEENS1_52radix_sort_onesweep_histogram_config_static_selectorELNS0_4arch9wavefront6targetE1EEEvSG_.has_recursion, 0
	.set _ZN7rocprim17ROCPRIM_400000_NS6detail17trampoline_kernelINS0_14default_configENS1_35radix_sort_onesweep_config_selectorIddEEZNS1_34radix_sort_onesweep_global_offsetsIS3_Lb0EN6thrust23THRUST_200600_302600_NS6detail15normal_iteratorINS8_10device_ptrIdEEEESD_jNS0_19identity_decomposerEEE10hipError_tT1_T2_PT3_SI_jT4_jjP12ihipStream_tbEUlT_E_NS1_11comp_targetILNS1_3genE10ELNS1_11target_archE1201ELNS1_3gpuE5ELNS1_3repE0EEENS1_52radix_sort_onesweep_histogram_config_static_selectorELNS0_4arch9wavefront6targetE1EEEvSG_.has_indirect_call, 0
	.section	.AMDGPU.csdata,"",@progbits
; Kernel info:
; codeLenInByte = 0
; TotalNumSgprs: 6
; NumVgprs: 0
; NumAgprs: 0
; TotalNumVgprs: 0
; ScratchSize: 0
; MemoryBound: 0
; FloatMode: 240
; IeeeMode: 1
; LDSByteSize: 0 bytes/workgroup (compile time only)
; SGPRBlocks: 0
; VGPRBlocks: 0
; NumSGPRsForWavesPerEU: 6
; NumVGPRsForWavesPerEU: 1
; AccumOffset: 4
; Occupancy: 8
; WaveLimiterHint : 0
; COMPUTE_PGM_RSRC2:SCRATCH_EN: 0
; COMPUTE_PGM_RSRC2:USER_SGPR: 2
; COMPUTE_PGM_RSRC2:TRAP_HANDLER: 0
; COMPUTE_PGM_RSRC2:TGID_X_EN: 1
; COMPUTE_PGM_RSRC2:TGID_Y_EN: 0
; COMPUTE_PGM_RSRC2:TGID_Z_EN: 0
; COMPUTE_PGM_RSRC2:TIDIG_COMP_CNT: 0
; COMPUTE_PGM_RSRC3_GFX90A:ACCUM_OFFSET: 0
; COMPUTE_PGM_RSRC3_GFX90A:TG_SPLIT: 0
	.section	.text._ZN7rocprim17ROCPRIM_400000_NS6detail17trampoline_kernelINS0_14default_configENS1_35radix_sort_onesweep_config_selectorIddEEZNS1_34radix_sort_onesweep_global_offsetsIS3_Lb0EN6thrust23THRUST_200600_302600_NS6detail15normal_iteratorINS8_10device_ptrIdEEEESD_jNS0_19identity_decomposerEEE10hipError_tT1_T2_PT3_SI_jT4_jjP12ihipStream_tbEUlT_E_NS1_11comp_targetILNS1_3genE9ELNS1_11target_archE1100ELNS1_3gpuE3ELNS1_3repE0EEENS1_52radix_sort_onesweep_histogram_config_static_selectorELNS0_4arch9wavefront6targetE1EEEvSG_,"axG",@progbits,_ZN7rocprim17ROCPRIM_400000_NS6detail17trampoline_kernelINS0_14default_configENS1_35radix_sort_onesweep_config_selectorIddEEZNS1_34radix_sort_onesweep_global_offsetsIS3_Lb0EN6thrust23THRUST_200600_302600_NS6detail15normal_iteratorINS8_10device_ptrIdEEEESD_jNS0_19identity_decomposerEEE10hipError_tT1_T2_PT3_SI_jT4_jjP12ihipStream_tbEUlT_E_NS1_11comp_targetILNS1_3genE9ELNS1_11target_archE1100ELNS1_3gpuE3ELNS1_3repE0EEENS1_52radix_sort_onesweep_histogram_config_static_selectorELNS0_4arch9wavefront6targetE1EEEvSG_,comdat
	.protected	_ZN7rocprim17ROCPRIM_400000_NS6detail17trampoline_kernelINS0_14default_configENS1_35radix_sort_onesweep_config_selectorIddEEZNS1_34radix_sort_onesweep_global_offsetsIS3_Lb0EN6thrust23THRUST_200600_302600_NS6detail15normal_iteratorINS8_10device_ptrIdEEEESD_jNS0_19identity_decomposerEEE10hipError_tT1_T2_PT3_SI_jT4_jjP12ihipStream_tbEUlT_E_NS1_11comp_targetILNS1_3genE9ELNS1_11target_archE1100ELNS1_3gpuE3ELNS1_3repE0EEENS1_52radix_sort_onesweep_histogram_config_static_selectorELNS0_4arch9wavefront6targetE1EEEvSG_ ; -- Begin function _ZN7rocprim17ROCPRIM_400000_NS6detail17trampoline_kernelINS0_14default_configENS1_35radix_sort_onesweep_config_selectorIddEEZNS1_34radix_sort_onesweep_global_offsetsIS3_Lb0EN6thrust23THRUST_200600_302600_NS6detail15normal_iteratorINS8_10device_ptrIdEEEESD_jNS0_19identity_decomposerEEE10hipError_tT1_T2_PT3_SI_jT4_jjP12ihipStream_tbEUlT_E_NS1_11comp_targetILNS1_3genE9ELNS1_11target_archE1100ELNS1_3gpuE3ELNS1_3repE0EEENS1_52radix_sort_onesweep_histogram_config_static_selectorELNS0_4arch9wavefront6targetE1EEEvSG_
	.globl	_ZN7rocprim17ROCPRIM_400000_NS6detail17trampoline_kernelINS0_14default_configENS1_35radix_sort_onesweep_config_selectorIddEEZNS1_34radix_sort_onesweep_global_offsetsIS3_Lb0EN6thrust23THRUST_200600_302600_NS6detail15normal_iteratorINS8_10device_ptrIdEEEESD_jNS0_19identity_decomposerEEE10hipError_tT1_T2_PT3_SI_jT4_jjP12ihipStream_tbEUlT_E_NS1_11comp_targetILNS1_3genE9ELNS1_11target_archE1100ELNS1_3gpuE3ELNS1_3repE0EEENS1_52radix_sort_onesweep_histogram_config_static_selectorELNS0_4arch9wavefront6targetE1EEEvSG_
	.p2align	8
	.type	_ZN7rocprim17ROCPRIM_400000_NS6detail17trampoline_kernelINS0_14default_configENS1_35radix_sort_onesweep_config_selectorIddEEZNS1_34radix_sort_onesweep_global_offsetsIS3_Lb0EN6thrust23THRUST_200600_302600_NS6detail15normal_iteratorINS8_10device_ptrIdEEEESD_jNS0_19identity_decomposerEEE10hipError_tT1_T2_PT3_SI_jT4_jjP12ihipStream_tbEUlT_E_NS1_11comp_targetILNS1_3genE9ELNS1_11target_archE1100ELNS1_3gpuE3ELNS1_3repE0EEENS1_52radix_sort_onesweep_histogram_config_static_selectorELNS0_4arch9wavefront6targetE1EEEvSG_,@function
_ZN7rocprim17ROCPRIM_400000_NS6detail17trampoline_kernelINS0_14default_configENS1_35radix_sort_onesweep_config_selectorIddEEZNS1_34radix_sort_onesweep_global_offsetsIS3_Lb0EN6thrust23THRUST_200600_302600_NS6detail15normal_iteratorINS8_10device_ptrIdEEEESD_jNS0_19identity_decomposerEEE10hipError_tT1_T2_PT3_SI_jT4_jjP12ihipStream_tbEUlT_E_NS1_11comp_targetILNS1_3genE9ELNS1_11target_archE1100ELNS1_3gpuE3ELNS1_3repE0EEENS1_52radix_sort_onesweep_histogram_config_static_selectorELNS0_4arch9wavefront6targetE1EEEvSG_: ; @_ZN7rocprim17ROCPRIM_400000_NS6detail17trampoline_kernelINS0_14default_configENS1_35radix_sort_onesweep_config_selectorIddEEZNS1_34radix_sort_onesweep_global_offsetsIS3_Lb0EN6thrust23THRUST_200600_302600_NS6detail15normal_iteratorINS8_10device_ptrIdEEEESD_jNS0_19identity_decomposerEEE10hipError_tT1_T2_PT3_SI_jT4_jjP12ihipStream_tbEUlT_E_NS1_11comp_targetILNS1_3genE9ELNS1_11target_archE1100ELNS1_3gpuE3ELNS1_3repE0EEENS1_52radix_sort_onesweep_histogram_config_static_selectorELNS0_4arch9wavefront6targetE1EEEvSG_
; %bb.0:
	.section	.rodata,"a",@progbits
	.p2align	6, 0x0
	.amdhsa_kernel _ZN7rocprim17ROCPRIM_400000_NS6detail17trampoline_kernelINS0_14default_configENS1_35radix_sort_onesweep_config_selectorIddEEZNS1_34radix_sort_onesweep_global_offsetsIS3_Lb0EN6thrust23THRUST_200600_302600_NS6detail15normal_iteratorINS8_10device_ptrIdEEEESD_jNS0_19identity_decomposerEEE10hipError_tT1_T2_PT3_SI_jT4_jjP12ihipStream_tbEUlT_E_NS1_11comp_targetILNS1_3genE9ELNS1_11target_archE1100ELNS1_3gpuE3ELNS1_3repE0EEENS1_52radix_sort_onesweep_histogram_config_static_selectorELNS0_4arch9wavefront6targetE1EEEvSG_
		.amdhsa_group_segment_fixed_size 0
		.amdhsa_private_segment_fixed_size 0
		.amdhsa_kernarg_size 40
		.amdhsa_user_sgpr_count 2
		.amdhsa_user_sgpr_dispatch_ptr 0
		.amdhsa_user_sgpr_queue_ptr 0
		.amdhsa_user_sgpr_kernarg_segment_ptr 1
		.amdhsa_user_sgpr_dispatch_id 0
		.amdhsa_user_sgpr_kernarg_preload_length 0
		.amdhsa_user_sgpr_kernarg_preload_offset 0
		.amdhsa_user_sgpr_private_segment_size 0
		.amdhsa_uses_dynamic_stack 0
		.amdhsa_enable_private_segment 0
		.amdhsa_system_sgpr_workgroup_id_x 1
		.amdhsa_system_sgpr_workgroup_id_y 0
		.amdhsa_system_sgpr_workgroup_id_z 0
		.amdhsa_system_sgpr_workgroup_info 0
		.amdhsa_system_vgpr_workitem_id 0
		.amdhsa_next_free_vgpr 1
		.amdhsa_next_free_sgpr 0
		.amdhsa_accum_offset 4
		.amdhsa_reserve_vcc 0
		.amdhsa_float_round_mode_32 0
		.amdhsa_float_round_mode_16_64 0
		.amdhsa_float_denorm_mode_32 3
		.amdhsa_float_denorm_mode_16_64 3
		.amdhsa_dx10_clamp 1
		.amdhsa_ieee_mode 1
		.amdhsa_fp16_overflow 0
		.amdhsa_tg_split 0
		.amdhsa_exception_fp_ieee_invalid_op 0
		.amdhsa_exception_fp_denorm_src 0
		.amdhsa_exception_fp_ieee_div_zero 0
		.amdhsa_exception_fp_ieee_overflow 0
		.amdhsa_exception_fp_ieee_underflow 0
		.amdhsa_exception_fp_ieee_inexact 0
		.amdhsa_exception_int_div_zero 0
	.end_amdhsa_kernel
	.section	.text._ZN7rocprim17ROCPRIM_400000_NS6detail17trampoline_kernelINS0_14default_configENS1_35radix_sort_onesweep_config_selectorIddEEZNS1_34radix_sort_onesweep_global_offsetsIS3_Lb0EN6thrust23THRUST_200600_302600_NS6detail15normal_iteratorINS8_10device_ptrIdEEEESD_jNS0_19identity_decomposerEEE10hipError_tT1_T2_PT3_SI_jT4_jjP12ihipStream_tbEUlT_E_NS1_11comp_targetILNS1_3genE9ELNS1_11target_archE1100ELNS1_3gpuE3ELNS1_3repE0EEENS1_52radix_sort_onesweep_histogram_config_static_selectorELNS0_4arch9wavefront6targetE1EEEvSG_,"axG",@progbits,_ZN7rocprim17ROCPRIM_400000_NS6detail17trampoline_kernelINS0_14default_configENS1_35radix_sort_onesweep_config_selectorIddEEZNS1_34radix_sort_onesweep_global_offsetsIS3_Lb0EN6thrust23THRUST_200600_302600_NS6detail15normal_iteratorINS8_10device_ptrIdEEEESD_jNS0_19identity_decomposerEEE10hipError_tT1_T2_PT3_SI_jT4_jjP12ihipStream_tbEUlT_E_NS1_11comp_targetILNS1_3genE9ELNS1_11target_archE1100ELNS1_3gpuE3ELNS1_3repE0EEENS1_52radix_sort_onesweep_histogram_config_static_selectorELNS0_4arch9wavefront6targetE1EEEvSG_,comdat
.Lfunc_end89:
	.size	_ZN7rocprim17ROCPRIM_400000_NS6detail17trampoline_kernelINS0_14default_configENS1_35radix_sort_onesweep_config_selectorIddEEZNS1_34radix_sort_onesweep_global_offsetsIS3_Lb0EN6thrust23THRUST_200600_302600_NS6detail15normal_iteratorINS8_10device_ptrIdEEEESD_jNS0_19identity_decomposerEEE10hipError_tT1_T2_PT3_SI_jT4_jjP12ihipStream_tbEUlT_E_NS1_11comp_targetILNS1_3genE9ELNS1_11target_archE1100ELNS1_3gpuE3ELNS1_3repE0EEENS1_52radix_sort_onesweep_histogram_config_static_selectorELNS0_4arch9wavefront6targetE1EEEvSG_, .Lfunc_end89-_ZN7rocprim17ROCPRIM_400000_NS6detail17trampoline_kernelINS0_14default_configENS1_35radix_sort_onesweep_config_selectorIddEEZNS1_34radix_sort_onesweep_global_offsetsIS3_Lb0EN6thrust23THRUST_200600_302600_NS6detail15normal_iteratorINS8_10device_ptrIdEEEESD_jNS0_19identity_decomposerEEE10hipError_tT1_T2_PT3_SI_jT4_jjP12ihipStream_tbEUlT_E_NS1_11comp_targetILNS1_3genE9ELNS1_11target_archE1100ELNS1_3gpuE3ELNS1_3repE0EEENS1_52radix_sort_onesweep_histogram_config_static_selectorELNS0_4arch9wavefront6targetE1EEEvSG_
                                        ; -- End function
	.set _ZN7rocprim17ROCPRIM_400000_NS6detail17trampoline_kernelINS0_14default_configENS1_35radix_sort_onesweep_config_selectorIddEEZNS1_34radix_sort_onesweep_global_offsetsIS3_Lb0EN6thrust23THRUST_200600_302600_NS6detail15normal_iteratorINS8_10device_ptrIdEEEESD_jNS0_19identity_decomposerEEE10hipError_tT1_T2_PT3_SI_jT4_jjP12ihipStream_tbEUlT_E_NS1_11comp_targetILNS1_3genE9ELNS1_11target_archE1100ELNS1_3gpuE3ELNS1_3repE0EEENS1_52radix_sort_onesweep_histogram_config_static_selectorELNS0_4arch9wavefront6targetE1EEEvSG_.num_vgpr, 0
	.set _ZN7rocprim17ROCPRIM_400000_NS6detail17trampoline_kernelINS0_14default_configENS1_35radix_sort_onesweep_config_selectorIddEEZNS1_34radix_sort_onesweep_global_offsetsIS3_Lb0EN6thrust23THRUST_200600_302600_NS6detail15normal_iteratorINS8_10device_ptrIdEEEESD_jNS0_19identity_decomposerEEE10hipError_tT1_T2_PT3_SI_jT4_jjP12ihipStream_tbEUlT_E_NS1_11comp_targetILNS1_3genE9ELNS1_11target_archE1100ELNS1_3gpuE3ELNS1_3repE0EEENS1_52radix_sort_onesweep_histogram_config_static_selectorELNS0_4arch9wavefront6targetE1EEEvSG_.num_agpr, 0
	.set _ZN7rocprim17ROCPRIM_400000_NS6detail17trampoline_kernelINS0_14default_configENS1_35radix_sort_onesweep_config_selectorIddEEZNS1_34radix_sort_onesweep_global_offsetsIS3_Lb0EN6thrust23THRUST_200600_302600_NS6detail15normal_iteratorINS8_10device_ptrIdEEEESD_jNS0_19identity_decomposerEEE10hipError_tT1_T2_PT3_SI_jT4_jjP12ihipStream_tbEUlT_E_NS1_11comp_targetILNS1_3genE9ELNS1_11target_archE1100ELNS1_3gpuE3ELNS1_3repE0EEENS1_52radix_sort_onesweep_histogram_config_static_selectorELNS0_4arch9wavefront6targetE1EEEvSG_.numbered_sgpr, 0
	.set _ZN7rocprim17ROCPRIM_400000_NS6detail17trampoline_kernelINS0_14default_configENS1_35radix_sort_onesweep_config_selectorIddEEZNS1_34radix_sort_onesweep_global_offsetsIS3_Lb0EN6thrust23THRUST_200600_302600_NS6detail15normal_iteratorINS8_10device_ptrIdEEEESD_jNS0_19identity_decomposerEEE10hipError_tT1_T2_PT3_SI_jT4_jjP12ihipStream_tbEUlT_E_NS1_11comp_targetILNS1_3genE9ELNS1_11target_archE1100ELNS1_3gpuE3ELNS1_3repE0EEENS1_52radix_sort_onesweep_histogram_config_static_selectorELNS0_4arch9wavefront6targetE1EEEvSG_.num_named_barrier, 0
	.set _ZN7rocprim17ROCPRIM_400000_NS6detail17trampoline_kernelINS0_14default_configENS1_35radix_sort_onesweep_config_selectorIddEEZNS1_34radix_sort_onesweep_global_offsetsIS3_Lb0EN6thrust23THRUST_200600_302600_NS6detail15normal_iteratorINS8_10device_ptrIdEEEESD_jNS0_19identity_decomposerEEE10hipError_tT1_T2_PT3_SI_jT4_jjP12ihipStream_tbEUlT_E_NS1_11comp_targetILNS1_3genE9ELNS1_11target_archE1100ELNS1_3gpuE3ELNS1_3repE0EEENS1_52radix_sort_onesweep_histogram_config_static_selectorELNS0_4arch9wavefront6targetE1EEEvSG_.private_seg_size, 0
	.set _ZN7rocprim17ROCPRIM_400000_NS6detail17trampoline_kernelINS0_14default_configENS1_35radix_sort_onesweep_config_selectorIddEEZNS1_34radix_sort_onesweep_global_offsetsIS3_Lb0EN6thrust23THRUST_200600_302600_NS6detail15normal_iteratorINS8_10device_ptrIdEEEESD_jNS0_19identity_decomposerEEE10hipError_tT1_T2_PT3_SI_jT4_jjP12ihipStream_tbEUlT_E_NS1_11comp_targetILNS1_3genE9ELNS1_11target_archE1100ELNS1_3gpuE3ELNS1_3repE0EEENS1_52radix_sort_onesweep_histogram_config_static_selectorELNS0_4arch9wavefront6targetE1EEEvSG_.uses_vcc, 0
	.set _ZN7rocprim17ROCPRIM_400000_NS6detail17trampoline_kernelINS0_14default_configENS1_35radix_sort_onesweep_config_selectorIddEEZNS1_34radix_sort_onesweep_global_offsetsIS3_Lb0EN6thrust23THRUST_200600_302600_NS6detail15normal_iteratorINS8_10device_ptrIdEEEESD_jNS0_19identity_decomposerEEE10hipError_tT1_T2_PT3_SI_jT4_jjP12ihipStream_tbEUlT_E_NS1_11comp_targetILNS1_3genE9ELNS1_11target_archE1100ELNS1_3gpuE3ELNS1_3repE0EEENS1_52radix_sort_onesweep_histogram_config_static_selectorELNS0_4arch9wavefront6targetE1EEEvSG_.uses_flat_scratch, 0
	.set _ZN7rocprim17ROCPRIM_400000_NS6detail17trampoline_kernelINS0_14default_configENS1_35radix_sort_onesweep_config_selectorIddEEZNS1_34radix_sort_onesweep_global_offsetsIS3_Lb0EN6thrust23THRUST_200600_302600_NS6detail15normal_iteratorINS8_10device_ptrIdEEEESD_jNS0_19identity_decomposerEEE10hipError_tT1_T2_PT3_SI_jT4_jjP12ihipStream_tbEUlT_E_NS1_11comp_targetILNS1_3genE9ELNS1_11target_archE1100ELNS1_3gpuE3ELNS1_3repE0EEENS1_52radix_sort_onesweep_histogram_config_static_selectorELNS0_4arch9wavefront6targetE1EEEvSG_.has_dyn_sized_stack, 0
	.set _ZN7rocprim17ROCPRIM_400000_NS6detail17trampoline_kernelINS0_14default_configENS1_35radix_sort_onesweep_config_selectorIddEEZNS1_34radix_sort_onesweep_global_offsetsIS3_Lb0EN6thrust23THRUST_200600_302600_NS6detail15normal_iteratorINS8_10device_ptrIdEEEESD_jNS0_19identity_decomposerEEE10hipError_tT1_T2_PT3_SI_jT4_jjP12ihipStream_tbEUlT_E_NS1_11comp_targetILNS1_3genE9ELNS1_11target_archE1100ELNS1_3gpuE3ELNS1_3repE0EEENS1_52radix_sort_onesweep_histogram_config_static_selectorELNS0_4arch9wavefront6targetE1EEEvSG_.has_recursion, 0
	.set _ZN7rocprim17ROCPRIM_400000_NS6detail17trampoline_kernelINS0_14default_configENS1_35radix_sort_onesweep_config_selectorIddEEZNS1_34radix_sort_onesweep_global_offsetsIS3_Lb0EN6thrust23THRUST_200600_302600_NS6detail15normal_iteratorINS8_10device_ptrIdEEEESD_jNS0_19identity_decomposerEEE10hipError_tT1_T2_PT3_SI_jT4_jjP12ihipStream_tbEUlT_E_NS1_11comp_targetILNS1_3genE9ELNS1_11target_archE1100ELNS1_3gpuE3ELNS1_3repE0EEENS1_52radix_sort_onesweep_histogram_config_static_selectorELNS0_4arch9wavefront6targetE1EEEvSG_.has_indirect_call, 0
	.section	.AMDGPU.csdata,"",@progbits
; Kernel info:
; codeLenInByte = 0
; TotalNumSgprs: 6
; NumVgprs: 0
; NumAgprs: 0
; TotalNumVgprs: 0
; ScratchSize: 0
; MemoryBound: 0
; FloatMode: 240
; IeeeMode: 1
; LDSByteSize: 0 bytes/workgroup (compile time only)
; SGPRBlocks: 0
; VGPRBlocks: 0
; NumSGPRsForWavesPerEU: 6
; NumVGPRsForWavesPerEU: 1
; AccumOffset: 4
; Occupancy: 8
; WaveLimiterHint : 0
; COMPUTE_PGM_RSRC2:SCRATCH_EN: 0
; COMPUTE_PGM_RSRC2:USER_SGPR: 2
; COMPUTE_PGM_RSRC2:TRAP_HANDLER: 0
; COMPUTE_PGM_RSRC2:TGID_X_EN: 1
; COMPUTE_PGM_RSRC2:TGID_Y_EN: 0
; COMPUTE_PGM_RSRC2:TGID_Z_EN: 0
; COMPUTE_PGM_RSRC2:TIDIG_COMP_CNT: 0
; COMPUTE_PGM_RSRC3_GFX90A:ACCUM_OFFSET: 0
; COMPUTE_PGM_RSRC3_GFX90A:TG_SPLIT: 0
	.section	.text._ZN7rocprim17ROCPRIM_400000_NS6detail17trampoline_kernelINS0_14default_configENS1_35radix_sort_onesweep_config_selectorIddEEZNS1_34radix_sort_onesweep_global_offsetsIS3_Lb0EN6thrust23THRUST_200600_302600_NS6detail15normal_iteratorINS8_10device_ptrIdEEEESD_jNS0_19identity_decomposerEEE10hipError_tT1_T2_PT3_SI_jT4_jjP12ihipStream_tbEUlT_E_NS1_11comp_targetILNS1_3genE8ELNS1_11target_archE1030ELNS1_3gpuE2ELNS1_3repE0EEENS1_52radix_sort_onesweep_histogram_config_static_selectorELNS0_4arch9wavefront6targetE1EEEvSG_,"axG",@progbits,_ZN7rocprim17ROCPRIM_400000_NS6detail17trampoline_kernelINS0_14default_configENS1_35radix_sort_onesweep_config_selectorIddEEZNS1_34radix_sort_onesweep_global_offsetsIS3_Lb0EN6thrust23THRUST_200600_302600_NS6detail15normal_iteratorINS8_10device_ptrIdEEEESD_jNS0_19identity_decomposerEEE10hipError_tT1_T2_PT3_SI_jT4_jjP12ihipStream_tbEUlT_E_NS1_11comp_targetILNS1_3genE8ELNS1_11target_archE1030ELNS1_3gpuE2ELNS1_3repE0EEENS1_52radix_sort_onesweep_histogram_config_static_selectorELNS0_4arch9wavefront6targetE1EEEvSG_,comdat
	.protected	_ZN7rocprim17ROCPRIM_400000_NS6detail17trampoline_kernelINS0_14default_configENS1_35radix_sort_onesweep_config_selectorIddEEZNS1_34radix_sort_onesweep_global_offsetsIS3_Lb0EN6thrust23THRUST_200600_302600_NS6detail15normal_iteratorINS8_10device_ptrIdEEEESD_jNS0_19identity_decomposerEEE10hipError_tT1_T2_PT3_SI_jT4_jjP12ihipStream_tbEUlT_E_NS1_11comp_targetILNS1_3genE8ELNS1_11target_archE1030ELNS1_3gpuE2ELNS1_3repE0EEENS1_52radix_sort_onesweep_histogram_config_static_selectorELNS0_4arch9wavefront6targetE1EEEvSG_ ; -- Begin function _ZN7rocprim17ROCPRIM_400000_NS6detail17trampoline_kernelINS0_14default_configENS1_35radix_sort_onesweep_config_selectorIddEEZNS1_34radix_sort_onesweep_global_offsetsIS3_Lb0EN6thrust23THRUST_200600_302600_NS6detail15normal_iteratorINS8_10device_ptrIdEEEESD_jNS0_19identity_decomposerEEE10hipError_tT1_T2_PT3_SI_jT4_jjP12ihipStream_tbEUlT_E_NS1_11comp_targetILNS1_3genE8ELNS1_11target_archE1030ELNS1_3gpuE2ELNS1_3repE0EEENS1_52radix_sort_onesweep_histogram_config_static_selectorELNS0_4arch9wavefront6targetE1EEEvSG_
	.globl	_ZN7rocprim17ROCPRIM_400000_NS6detail17trampoline_kernelINS0_14default_configENS1_35radix_sort_onesweep_config_selectorIddEEZNS1_34radix_sort_onesweep_global_offsetsIS3_Lb0EN6thrust23THRUST_200600_302600_NS6detail15normal_iteratorINS8_10device_ptrIdEEEESD_jNS0_19identity_decomposerEEE10hipError_tT1_T2_PT3_SI_jT4_jjP12ihipStream_tbEUlT_E_NS1_11comp_targetILNS1_3genE8ELNS1_11target_archE1030ELNS1_3gpuE2ELNS1_3repE0EEENS1_52radix_sort_onesweep_histogram_config_static_selectorELNS0_4arch9wavefront6targetE1EEEvSG_
	.p2align	8
	.type	_ZN7rocprim17ROCPRIM_400000_NS6detail17trampoline_kernelINS0_14default_configENS1_35radix_sort_onesweep_config_selectorIddEEZNS1_34radix_sort_onesweep_global_offsetsIS3_Lb0EN6thrust23THRUST_200600_302600_NS6detail15normal_iteratorINS8_10device_ptrIdEEEESD_jNS0_19identity_decomposerEEE10hipError_tT1_T2_PT3_SI_jT4_jjP12ihipStream_tbEUlT_E_NS1_11comp_targetILNS1_3genE8ELNS1_11target_archE1030ELNS1_3gpuE2ELNS1_3repE0EEENS1_52radix_sort_onesweep_histogram_config_static_selectorELNS0_4arch9wavefront6targetE1EEEvSG_,@function
_ZN7rocprim17ROCPRIM_400000_NS6detail17trampoline_kernelINS0_14default_configENS1_35radix_sort_onesweep_config_selectorIddEEZNS1_34radix_sort_onesweep_global_offsetsIS3_Lb0EN6thrust23THRUST_200600_302600_NS6detail15normal_iteratorINS8_10device_ptrIdEEEESD_jNS0_19identity_decomposerEEE10hipError_tT1_T2_PT3_SI_jT4_jjP12ihipStream_tbEUlT_E_NS1_11comp_targetILNS1_3genE8ELNS1_11target_archE1030ELNS1_3gpuE2ELNS1_3repE0EEENS1_52radix_sort_onesweep_histogram_config_static_selectorELNS0_4arch9wavefront6targetE1EEEvSG_: ; @_ZN7rocprim17ROCPRIM_400000_NS6detail17trampoline_kernelINS0_14default_configENS1_35radix_sort_onesweep_config_selectorIddEEZNS1_34radix_sort_onesweep_global_offsetsIS3_Lb0EN6thrust23THRUST_200600_302600_NS6detail15normal_iteratorINS8_10device_ptrIdEEEESD_jNS0_19identity_decomposerEEE10hipError_tT1_T2_PT3_SI_jT4_jjP12ihipStream_tbEUlT_E_NS1_11comp_targetILNS1_3genE8ELNS1_11target_archE1030ELNS1_3gpuE2ELNS1_3repE0EEENS1_52radix_sort_onesweep_histogram_config_static_selectorELNS0_4arch9wavefront6targetE1EEEvSG_
; %bb.0:
	.section	.rodata,"a",@progbits
	.p2align	6, 0x0
	.amdhsa_kernel _ZN7rocprim17ROCPRIM_400000_NS6detail17trampoline_kernelINS0_14default_configENS1_35radix_sort_onesweep_config_selectorIddEEZNS1_34radix_sort_onesweep_global_offsetsIS3_Lb0EN6thrust23THRUST_200600_302600_NS6detail15normal_iteratorINS8_10device_ptrIdEEEESD_jNS0_19identity_decomposerEEE10hipError_tT1_T2_PT3_SI_jT4_jjP12ihipStream_tbEUlT_E_NS1_11comp_targetILNS1_3genE8ELNS1_11target_archE1030ELNS1_3gpuE2ELNS1_3repE0EEENS1_52radix_sort_onesweep_histogram_config_static_selectorELNS0_4arch9wavefront6targetE1EEEvSG_
		.amdhsa_group_segment_fixed_size 0
		.amdhsa_private_segment_fixed_size 0
		.amdhsa_kernarg_size 40
		.amdhsa_user_sgpr_count 2
		.amdhsa_user_sgpr_dispatch_ptr 0
		.amdhsa_user_sgpr_queue_ptr 0
		.amdhsa_user_sgpr_kernarg_segment_ptr 1
		.amdhsa_user_sgpr_dispatch_id 0
		.amdhsa_user_sgpr_kernarg_preload_length 0
		.amdhsa_user_sgpr_kernarg_preload_offset 0
		.amdhsa_user_sgpr_private_segment_size 0
		.amdhsa_uses_dynamic_stack 0
		.amdhsa_enable_private_segment 0
		.amdhsa_system_sgpr_workgroup_id_x 1
		.amdhsa_system_sgpr_workgroup_id_y 0
		.amdhsa_system_sgpr_workgroup_id_z 0
		.amdhsa_system_sgpr_workgroup_info 0
		.amdhsa_system_vgpr_workitem_id 0
		.amdhsa_next_free_vgpr 1
		.amdhsa_next_free_sgpr 0
		.amdhsa_accum_offset 4
		.amdhsa_reserve_vcc 0
		.amdhsa_float_round_mode_32 0
		.amdhsa_float_round_mode_16_64 0
		.amdhsa_float_denorm_mode_32 3
		.amdhsa_float_denorm_mode_16_64 3
		.amdhsa_dx10_clamp 1
		.amdhsa_ieee_mode 1
		.amdhsa_fp16_overflow 0
		.amdhsa_tg_split 0
		.amdhsa_exception_fp_ieee_invalid_op 0
		.amdhsa_exception_fp_denorm_src 0
		.amdhsa_exception_fp_ieee_div_zero 0
		.amdhsa_exception_fp_ieee_overflow 0
		.amdhsa_exception_fp_ieee_underflow 0
		.amdhsa_exception_fp_ieee_inexact 0
		.amdhsa_exception_int_div_zero 0
	.end_amdhsa_kernel
	.section	.text._ZN7rocprim17ROCPRIM_400000_NS6detail17trampoline_kernelINS0_14default_configENS1_35radix_sort_onesweep_config_selectorIddEEZNS1_34radix_sort_onesweep_global_offsetsIS3_Lb0EN6thrust23THRUST_200600_302600_NS6detail15normal_iteratorINS8_10device_ptrIdEEEESD_jNS0_19identity_decomposerEEE10hipError_tT1_T2_PT3_SI_jT4_jjP12ihipStream_tbEUlT_E_NS1_11comp_targetILNS1_3genE8ELNS1_11target_archE1030ELNS1_3gpuE2ELNS1_3repE0EEENS1_52radix_sort_onesweep_histogram_config_static_selectorELNS0_4arch9wavefront6targetE1EEEvSG_,"axG",@progbits,_ZN7rocprim17ROCPRIM_400000_NS6detail17trampoline_kernelINS0_14default_configENS1_35radix_sort_onesweep_config_selectorIddEEZNS1_34radix_sort_onesweep_global_offsetsIS3_Lb0EN6thrust23THRUST_200600_302600_NS6detail15normal_iteratorINS8_10device_ptrIdEEEESD_jNS0_19identity_decomposerEEE10hipError_tT1_T2_PT3_SI_jT4_jjP12ihipStream_tbEUlT_E_NS1_11comp_targetILNS1_3genE8ELNS1_11target_archE1030ELNS1_3gpuE2ELNS1_3repE0EEENS1_52radix_sort_onesweep_histogram_config_static_selectorELNS0_4arch9wavefront6targetE1EEEvSG_,comdat
.Lfunc_end90:
	.size	_ZN7rocprim17ROCPRIM_400000_NS6detail17trampoline_kernelINS0_14default_configENS1_35radix_sort_onesweep_config_selectorIddEEZNS1_34radix_sort_onesweep_global_offsetsIS3_Lb0EN6thrust23THRUST_200600_302600_NS6detail15normal_iteratorINS8_10device_ptrIdEEEESD_jNS0_19identity_decomposerEEE10hipError_tT1_T2_PT3_SI_jT4_jjP12ihipStream_tbEUlT_E_NS1_11comp_targetILNS1_3genE8ELNS1_11target_archE1030ELNS1_3gpuE2ELNS1_3repE0EEENS1_52radix_sort_onesweep_histogram_config_static_selectorELNS0_4arch9wavefront6targetE1EEEvSG_, .Lfunc_end90-_ZN7rocprim17ROCPRIM_400000_NS6detail17trampoline_kernelINS0_14default_configENS1_35radix_sort_onesweep_config_selectorIddEEZNS1_34radix_sort_onesweep_global_offsetsIS3_Lb0EN6thrust23THRUST_200600_302600_NS6detail15normal_iteratorINS8_10device_ptrIdEEEESD_jNS0_19identity_decomposerEEE10hipError_tT1_T2_PT3_SI_jT4_jjP12ihipStream_tbEUlT_E_NS1_11comp_targetILNS1_3genE8ELNS1_11target_archE1030ELNS1_3gpuE2ELNS1_3repE0EEENS1_52radix_sort_onesweep_histogram_config_static_selectorELNS0_4arch9wavefront6targetE1EEEvSG_
                                        ; -- End function
	.set _ZN7rocprim17ROCPRIM_400000_NS6detail17trampoline_kernelINS0_14default_configENS1_35radix_sort_onesweep_config_selectorIddEEZNS1_34radix_sort_onesweep_global_offsetsIS3_Lb0EN6thrust23THRUST_200600_302600_NS6detail15normal_iteratorINS8_10device_ptrIdEEEESD_jNS0_19identity_decomposerEEE10hipError_tT1_T2_PT3_SI_jT4_jjP12ihipStream_tbEUlT_E_NS1_11comp_targetILNS1_3genE8ELNS1_11target_archE1030ELNS1_3gpuE2ELNS1_3repE0EEENS1_52radix_sort_onesweep_histogram_config_static_selectorELNS0_4arch9wavefront6targetE1EEEvSG_.num_vgpr, 0
	.set _ZN7rocprim17ROCPRIM_400000_NS6detail17trampoline_kernelINS0_14default_configENS1_35radix_sort_onesweep_config_selectorIddEEZNS1_34radix_sort_onesweep_global_offsetsIS3_Lb0EN6thrust23THRUST_200600_302600_NS6detail15normal_iteratorINS8_10device_ptrIdEEEESD_jNS0_19identity_decomposerEEE10hipError_tT1_T2_PT3_SI_jT4_jjP12ihipStream_tbEUlT_E_NS1_11comp_targetILNS1_3genE8ELNS1_11target_archE1030ELNS1_3gpuE2ELNS1_3repE0EEENS1_52radix_sort_onesweep_histogram_config_static_selectorELNS0_4arch9wavefront6targetE1EEEvSG_.num_agpr, 0
	.set _ZN7rocprim17ROCPRIM_400000_NS6detail17trampoline_kernelINS0_14default_configENS1_35radix_sort_onesweep_config_selectorIddEEZNS1_34radix_sort_onesweep_global_offsetsIS3_Lb0EN6thrust23THRUST_200600_302600_NS6detail15normal_iteratorINS8_10device_ptrIdEEEESD_jNS0_19identity_decomposerEEE10hipError_tT1_T2_PT3_SI_jT4_jjP12ihipStream_tbEUlT_E_NS1_11comp_targetILNS1_3genE8ELNS1_11target_archE1030ELNS1_3gpuE2ELNS1_3repE0EEENS1_52radix_sort_onesweep_histogram_config_static_selectorELNS0_4arch9wavefront6targetE1EEEvSG_.numbered_sgpr, 0
	.set _ZN7rocprim17ROCPRIM_400000_NS6detail17trampoline_kernelINS0_14default_configENS1_35radix_sort_onesweep_config_selectorIddEEZNS1_34radix_sort_onesweep_global_offsetsIS3_Lb0EN6thrust23THRUST_200600_302600_NS6detail15normal_iteratorINS8_10device_ptrIdEEEESD_jNS0_19identity_decomposerEEE10hipError_tT1_T2_PT3_SI_jT4_jjP12ihipStream_tbEUlT_E_NS1_11comp_targetILNS1_3genE8ELNS1_11target_archE1030ELNS1_3gpuE2ELNS1_3repE0EEENS1_52radix_sort_onesweep_histogram_config_static_selectorELNS0_4arch9wavefront6targetE1EEEvSG_.num_named_barrier, 0
	.set _ZN7rocprim17ROCPRIM_400000_NS6detail17trampoline_kernelINS0_14default_configENS1_35radix_sort_onesweep_config_selectorIddEEZNS1_34radix_sort_onesweep_global_offsetsIS3_Lb0EN6thrust23THRUST_200600_302600_NS6detail15normal_iteratorINS8_10device_ptrIdEEEESD_jNS0_19identity_decomposerEEE10hipError_tT1_T2_PT3_SI_jT4_jjP12ihipStream_tbEUlT_E_NS1_11comp_targetILNS1_3genE8ELNS1_11target_archE1030ELNS1_3gpuE2ELNS1_3repE0EEENS1_52radix_sort_onesweep_histogram_config_static_selectorELNS0_4arch9wavefront6targetE1EEEvSG_.private_seg_size, 0
	.set _ZN7rocprim17ROCPRIM_400000_NS6detail17trampoline_kernelINS0_14default_configENS1_35radix_sort_onesweep_config_selectorIddEEZNS1_34radix_sort_onesweep_global_offsetsIS3_Lb0EN6thrust23THRUST_200600_302600_NS6detail15normal_iteratorINS8_10device_ptrIdEEEESD_jNS0_19identity_decomposerEEE10hipError_tT1_T2_PT3_SI_jT4_jjP12ihipStream_tbEUlT_E_NS1_11comp_targetILNS1_3genE8ELNS1_11target_archE1030ELNS1_3gpuE2ELNS1_3repE0EEENS1_52radix_sort_onesweep_histogram_config_static_selectorELNS0_4arch9wavefront6targetE1EEEvSG_.uses_vcc, 0
	.set _ZN7rocprim17ROCPRIM_400000_NS6detail17trampoline_kernelINS0_14default_configENS1_35radix_sort_onesweep_config_selectorIddEEZNS1_34radix_sort_onesweep_global_offsetsIS3_Lb0EN6thrust23THRUST_200600_302600_NS6detail15normal_iteratorINS8_10device_ptrIdEEEESD_jNS0_19identity_decomposerEEE10hipError_tT1_T2_PT3_SI_jT4_jjP12ihipStream_tbEUlT_E_NS1_11comp_targetILNS1_3genE8ELNS1_11target_archE1030ELNS1_3gpuE2ELNS1_3repE0EEENS1_52radix_sort_onesweep_histogram_config_static_selectorELNS0_4arch9wavefront6targetE1EEEvSG_.uses_flat_scratch, 0
	.set _ZN7rocprim17ROCPRIM_400000_NS6detail17trampoline_kernelINS0_14default_configENS1_35radix_sort_onesweep_config_selectorIddEEZNS1_34radix_sort_onesweep_global_offsetsIS3_Lb0EN6thrust23THRUST_200600_302600_NS6detail15normal_iteratorINS8_10device_ptrIdEEEESD_jNS0_19identity_decomposerEEE10hipError_tT1_T2_PT3_SI_jT4_jjP12ihipStream_tbEUlT_E_NS1_11comp_targetILNS1_3genE8ELNS1_11target_archE1030ELNS1_3gpuE2ELNS1_3repE0EEENS1_52radix_sort_onesweep_histogram_config_static_selectorELNS0_4arch9wavefront6targetE1EEEvSG_.has_dyn_sized_stack, 0
	.set _ZN7rocprim17ROCPRIM_400000_NS6detail17trampoline_kernelINS0_14default_configENS1_35radix_sort_onesweep_config_selectorIddEEZNS1_34radix_sort_onesweep_global_offsetsIS3_Lb0EN6thrust23THRUST_200600_302600_NS6detail15normal_iteratorINS8_10device_ptrIdEEEESD_jNS0_19identity_decomposerEEE10hipError_tT1_T2_PT3_SI_jT4_jjP12ihipStream_tbEUlT_E_NS1_11comp_targetILNS1_3genE8ELNS1_11target_archE1030ELNS1_3gpuE2ELNS1_3repE0EEENS1_52radix_sort_onesweep_histogram_config_static_selectorELNS0_4arch9wavefront6targetE1EEEvSG_.has_recursion, 0
	.set _ZN7rocprim17ROCPRIM_400000_NS6detail17trampoline_kernelINS0_14default_configENS1_35radix_sort_onesweep_config_selectorIddEEZNS1_34radix_sort_onesweep_global_offsetsIS3_Lb0EN6thrust23THRUST_200600_302600_NS6detail15normal_iteratorINS8_10device_ptrIdEEEESD_jNS0_19identity_decomposerEEE10hipError_tT1_T2_PT3_SI_jT4_jjP12ihipStream_tbEUlT_E_NS1_11comp_targetILNS1_3genE8ELNS1_11target_archE1030ELNS1_3gpuE2ELNS1_3repE0EEENS1_52radix_sort_onesweep_histogram_config_static_selectorELNS0_4arch9wavefront6targetE1EEEvSG_.has_indirect_call, 0
	.section	.AMDGPU.csdata,"",@progbits
; Kernel info:
; codeLenInByte = 0
; TotalNumSgprs: 6
; NumVgprs: 0
; NumAgprs: 0
; TotalNumVgprs: 0
; ScratchSize: 0
; MemoryBound: 0
; FloatMode: 240
; IeeeMode: 1
; LDSByteSize: 0 bytes/workgroup (compile time only)
; SGPRBlocks: 0
; VGPRBlocks: 0
; NumSGPRsForWavesPerEU: 6
; NumVGPRsForWavesPerEU: 1
; AccumOffset: 4
; Occupancy: 8
; WaveLimiterHint : 0
; COMPUTE_PGM_RSRC2:SCRATCH_EN: 0
; COMPUTE_PGM_RSRC2:USER_SGPR: 2
; COMPUTE_PGM_RSRC2:TRAP_HANDLER: 0
; COMPUTE_PGM_RSRC2:TGID_X_EN: 1
; COMPUTE_PGM_RSRC2:TGID_Y_EN: 0
; COMPUTE_PGM_RSRC2:TGID_Z_EN: 0
; COMPUTE_PGM_RSRC2:TIDIG_COMP_CNT: 0
; COMPUTE_PGM_RSRC3_GFX90A:ACCUM_OFFSET: 0
; COMPUTE_PGM_RSRC3_GFX90A:TG_SPLIT: 0
	.section	.text._ZN7rocprim17ROCPRIM_400000_NS6detail17trampoline_kernelINS0_14default_configENS1_35radix_sort_onesweep_config_selectorIddEEZNS1_34radix_sort_onesweep_global_offsetsIS3_Lb0EN6thrust23THRUST_200600_302600_NS6detail15normal_iteratorINS8_10device_ptrIdEEEESD_jNS0_19identity_decomposerEEE10hipError_tT1_T2_PT3_SI_jT4_jjP12ihipStream_tbEUlT_E0_NS1_11comp_targetILNS1_3genE0ELNS1_11target_archE4294967295ELNS1_3gpuE0ELNS1_3repE0EEENS1_52radix_sort_onesweep_histogram_config_static_selectorELNS0_4arch9wavefront6targetE1EEEvSG_,"axG",@progbits,_ZN7rocprim17ROCPRIM_400000_NS6detail17trampoline_kernelINS0_14default_configENS1_35radix_sort_onesweep_config_selectorIddEEZNS1_34radix_sort_onesweep_global_offsetsIS3_Lb0EN6thrust23THRUST_200600_302600_NS6detail15normal_iteratorINS8_10device_ptrIdEEEESD_jNS0_19identity_decomposerEEE10hipError_tT1_T2_PT3_SI_jT4_jjP12ihipStream_tbEUlT_E0_NS1_11comp_targetILNS1_3genE0ELNS1_11target_archE4294967295ELNS1_3gpuE0ELNS1_3repE0EEENS1_52radix_sort_onesweep_histogram_config_static_selectorELNS0_4arch9wavefront6targetE1EEEvSG_,comdat
	.protected	_ZN7rocprim17ROCPRIM_400000_NS6detail17trampoline_kernelINS0_14default_configENS1_35radix_sort_onesweep_config_selectorIddEEZNS1_34radix_sort_onesweep_global_offsetsIS3_Lb0EN6thrust23THRUST_200600_302600_NS6detail15normal_iteratorINS8_10device_ptrIdEEEESD_jNS0_19identity_decomposerEEE10hipError_tT1_T2_PT3_SI_jT4_jjP12ihipStream_tbEUlT_E0_NS1_11comp_targetILNS1_3genE0ELNS1_11target_archE4294967295ELNS1_3gpuE0ELNS1_3repE0EEENS1_52radix_sort_onesweep_histogram_config_static_selectorELNS0_4arch9wavefront6targetE1EEEvSG_ ; -- Begin function _ZN7rocprim17ROCPRIM_400000_NS6detail17trampoline_kernelINS0_14default_configENS1_35radix_sort_onesweep_config_selectorIddEEZNS1_34radix_sort_onesweep_global_offsetsIS3_Lb0EN6thrust23THRUST_200600_302600_NS6detail15normal_iteratorINS8_10device_ptrIdEEEESD_jNS0_19identity_decomposerEEE10hipError_tT1_T2_PT3_SI_jT4_jjP12ihipStream_tbEUlT_E0_NS1_11comp_targetILNS1_3genE0ELNS1_11target_archE4294967295ELNS1_3gpuE0ELNS1_3repE0EEENS1_52radix_sort_onesweep_histogram_config_static_selectorELNS0_4arch9wavefront6targetE1EEEvSG_
	.globl	_ZN7rocprim17ROCPRIM_400000_NS6detail17trampoline_kernelINS0_14default_configENS1_35radix_sort_onesweep_config_selectorIddEEZNS1_34radix_sort_onesweep_global_offsetsIS3_Lb0EN6thrust23THRUST_200600_302600_NS6detail15normal_iteratorINS8_10device_ptrIdEEEESD_jNS0_19identity_decomposerEEE10hipError_tT1_T2_PT3_SI_jT4_jjP12ihipStream_tbEUlT_E0_NS1_11comp_targetILNS1_3genE0ELNS1_11target_archE4294967295ELNS1_3gpuE0ELNS1_3repE0EEENS1_52radix_sort_onesweep_histogram_config_static_selectorELNS0_4arch9wavefront6targetE1EEEvSG_
	.p2align	8
	.type	_ZN7rocprim17ROCPRIM_400000_NS6detail17trampoline_kernelINS0_14default_configENS1_35radix_sort_onesweep_config_selectorIddEEZNS1_34radix_sort_onesweep_global_offsetsIS3_Lb0EN6thrust23THRUST_200600_302600_NS6detail15normal_iteratorINS8_10device_ptrIdEEEESD_jNS0_19identity_decomposerEEE10hipError_tT1_T2_PT3_SI_jT4_jjP12ihipStream_tbEUlT_E0_NS1_11comp_targetILNS1_3genE0ELNS1_11target_archE4294967295ELNS1_3gpuE0ELNS1_3repE0EEENS1_52radix_sort_onesweep_histogram_config_static_selectorELNS0_4arch9wavefront6targetE1EEEvSG_,@function
_ZN7rocprim17ROCPRIM_400000_NS6detail17trampoline_kernelINS0_14default_configENS1_35radix_sort_onesweep_config_selectorIddEEZNS1_34radix_sort_onesweep_global_offsetsIS3_Lb0EN6thrust23THRUST_200600_302600_NS6detail15normal_iteratorINS8_10device_ptrIdEEEESD_jNS0_19identity_decomposerEEE10hipError_tT1_T2_PT3_SI_jT4_jjP12ihipStream_tbEUlT_E0_NS1_11comp_targetILNS1_3genE0ELNS1_11target_archE4294967295ELNS1_3gpuE0ELNS1_3repE0EEENS1_52radix_sort_onesweep_histogram_config_static_selectorELNS0_4arch9wavefront6targetE1EEEvSG_: ; @_ZN7rocprim17ROCPRIM_400000_NS6detail17trampoline_kernelINS0_14default_configENS1_35radix_sort_onesweep_config_selectorIddEEZNS1_34radix_sort_onesweep_global_offsetsIS3_Lb0EN6thrust23THRUST_200600_302600_NS6detail15normal_iteratorINS8_10device_ptrIdEEEESD_jNS0_19identity_decomposerEEE10hipError_tT1_T2_PT3_SI_jT4_jjP12ihipStream_tbEUlT_E0_NS1_11comp_targetILNS1_3genE0ELNS1_11target_archE4294967295ELNS1_3gpuE0ELNS1_3repE0EEENS1_52radix_sort_onesweep_histogram_config_static_selectorELNS0_4arch9wavefront6targetE1EEEvSG_
; %bb.0:
	.section	.rodata,"a",@progbits
	.p2align	6, 0x0
	.amdhsa_kernel _ZN7rocprim17ROCPRIM_400000_NS6detail17trampoline_kernelINS0_14default_configENS1_35radix_sort_onesweep_config_selectorIddEEZNS1_34radix_sort_onesweep_global_offsetsIS3_Lb0EN6thrust23THRUST_200600_302600_NS6detail15normal_iteratorINS8_10device_ptrIdEEEESD_jNS0_19identity_decomposerEEE10hipError_tT1_T2_PT3_SI_jT4_jjP12ihipStream_tbEUlT_E0_NS1_11comp_targetILNS1_3genE0ELNS1_11target_archE4294967295ELNS1_3gpuE0ELNS1_3repE0EEENS1_52radix_sort_onesweep_histogram_config_static_selectorELNS0_4arch9wavefront6targetE1EEEvSG_
		.amdhsa_group_segment_fixed_size 0
		.amdhsa_private_segment_fixed_size 0
		.amdhsa_kernarg_size 8
		.amdhsa_user_sgpr_count 2
		.amdhsa_user_sgpr_dispatch_ptr 0
		.amdhsa_user_sgpr_queue_ptr 0
		.amdhsa_user_sgpr_kernarg_segment_ptr 1
		.amdhsa_user_sgpr_dispatch_id 0
		.amdhsa_user_sgpr_kernarg_preload_length 0
		.amdhsa_user_sgpr_kernarg_preload_offset 0
		.amdhsa_user_sgpr_private_segment_size 0
		.amdhsa_uses_dynamic_stack 0
		.amdhsa_enable_private_segment 0
		.amdhsa_system_sgpr_workgroup_id_x 1
		.amdhsa_system_sgpr_workgroup_id_y 0
		.amdhsa_system_sgpr_workgroup_id_z 0
		.amdhsa_system_sgpr_workgroup_info 0
		.amdhsa_system_vgpr_workitem_id 0
		.amdhsa_next_free_vgpr 1
		.amdhsa_next_free_sgpr 0
		.amdhsa_accum_offset 4
		.amdhsa_reserve_vcc 0
		.amdhsa_float_round_mode_32 0
		.amdhsa_float_round_mode_16_64 0
		.amdhsa_float_denorm_mode_32 3
		.amdhsa_float_denorm_mode_16_64 3
		.amdhsa_dx10_clamp 1
		.amdhsa_ieee_mode 1
		.amdhsa_fp16_overflow 0
		.amdhsa_tg_split 0
		.amdhsa_exception_fp_ieee_invalid_op 0
		.amdhsa_exception_fp_denorm_src 0
		.amdhsa_exception_fp_ieee_div_zero 0
		.amdhsa_exception_fp_ieee_overflow 0
		.amdhsa_exception_fp_ieee_underflow 0
		.amdhsa_exception_fp_ieee_inexact 0
		.amdhsa_exception_int_div_zero 0
	.end_amdhsa_kernel
	.section	.text._ZN7rocprim17ROCPRIM_400000_NS6detail17trampoline_kernelINS0_14default_configENS1_35radix_sort_onesweep_config_selectorIddEEZNS1_34radix_sort_onesweep_global_offsetsIS3_Lb0EN6thrust23THRUST_200600_302600_NS6detail15normal_iteratorINS8_10device_ptrIdEEEESD_jNS0_19identity_decomposerEEE10hipError_tT1_T2_PT3_SI_jT4_jjP12ihipStream_tbEUlT_E0_NS1_11comp_targetILNS1_3genE0ELNS1_11target_archE4294967295ELNS1_3gpuE0ELNS1_3repE0EEENS1_52radix_sort_onesweep_histogram_config_static_selectorELNS0_4arch9wavefront6targetE1EEEvSG_,"axG",@progbits,_ZN7rocprim17ROCPRIM_400000_NS6detail17trampoline_kernelINS0_14default_configENS1_35radix_sort_onesweep_config_selectorIddEEZNS1_34radix_sort_onesweep_global_offsetsIS3_Lb0EN6thrust23THRUST_200600_302600_NS6detail15normal_iteratorINS8_10device_ptrIdEEEESD_jNS0_19identity_decomposerEEE10hipError_tT1_T2_PT3_SI_jT4_jjP12ihipStream_tbEUlT_E0_NS1_11comp_targetILNS1_3genE0ELNS1_11target_archE4294967295ELNS1_3gpuE0ELNS1_3repE0EEENS1_52radix_sort_onesweep_histogram_config_static_selectorELNS0_4arch9wavefront6targetE1EEEvSG_,comdat
.Lfunc_end91:
	.size	_ZN7rocprim17ROCPRIM_400000_NS6detail17trampoline_kernelINS0_14default_configENS1_35radix_sort_onesweep_config_selectorIddEEZNS1_34radix_sort_onesweep_global_offsetsIS3_Lb0EN6thrust23THRUST_200600_302600_NS6detail15normal_iteratorINS8_10device_ptrIdEEEESD_jNS0_19identity_decomposerEEE10hipError_tT1_T2_PT3_SI_jT4_jjP12ihipStream_tbEUlT_E0_NS1_11comp_targetILNS1_3genE0ELNS1_11target_archE4294967295ELNS1_3gpuE0ELNS1_3repE0EEENS1_52radix_sort_onesweep_histogram_config_static_selectorELNS0_4arch9wavefront6targetE1EEEvSG_, .Lfunc_end91-_ZN7rocprim17ROCPRIM_400000_NS6detail17trampoline_kernelINS0_14default_configENS1_35radix_sort_onesweep_config_selectorIddEEZNS1_34radix_sort_onesweep_global_offsetsIS3_Lb0EN6thrust23THRUST_200600_302600_NS6detail15normal_iteratorINS8_10device_ptrIdEEEESD_jNS0_19identity_decomposerEEE10hipError_tT1_T2_PT3_SI_jT4_jjP12ihipStream_tbEUlT_E0_NS1_11comp_targetILNS1_3genE0ELNS1_11target_archE4294967295ELNS1_3gpuE0ELNS1_3repE0EEENS1_52radix_sort_onesweep_histogram_config_static_selectorELNS0_4arch9wavefront6targetE1EEEvSG_
                                        ; -- End function
	.set _ZN7rocprim17ROCPRIM_400000_NS6detail17trampoline_kernelINS0_14default_configENS1_35radix_sort_onesweep_config_selectorIddEEZNS1_34radix_sort_onesweep_global_offsetsIS3_Lb0EN6thrust23THRUST_200600_302600_NS6detail15normal_iteratorINS8_10device_ptrIdEEEESD_jNS0_19identity_decomposerEEE10hipError_tT1_T2_PT3_SI_jT4_jjP12ihipStream_tbEUlT_E0_NS1_11comp_targetILNS1_3genE0ELNS1_11target_archE4294967295ELNS1_3gpuE0ELNS1_3repE0EEENS1_52radix_sort_onesweep_histogram_config_static_selectorELNS0_4arch9wavefront6targetE1EEEvSG_.num_vgpr, 0
	.set _ZN7rocprim17ROCPRIM_400000_NS6detail17trampoline_kernelINS0_14default_configENS1_35radix_sort_onesweep_config_selectorIddEEZNS1_34radix_sort_onesweep_global_offsetsIS3_Lb0EN6thrust23THRUST_200600_302600_NS6detail15normal_iteratorINS8_10device_ptrIdEEEESD_jNS0_19identity_decomposerEEE10hipError_tT1_T2_PT3_SI_jT4_jjP12ihipStream_tbEUlT_E0_NS1_11comp_targetILNS1_3genE0ELNS1_11target_archE4294967295ELNS1_3gpuE0ELNS1_3repE0EEENS1_52radix_sort_onesweep_histogram_config_static_selectorELNS0_4arch9wavefront6targetE1EEEvSG_.num_agpr, 0
	.set _ZN7rocprim17ROCPRIM_400000_NS6detail17trampoline_kernelINS0_14default_configENS1_35radix_sort_onesweep_config_selectorIddEEZNS1_34radix_sort_onesweep_global_offsetsIS3_Lb0EN6thrust23THRUST_200600_302600_NS6detail15normal_iteratorINS8_10device_ptrIdEEEESD_jNS0_19identity_decomposerEEE10hipError_tT1_T2_PT3_SI_jT4_jjP12ihipStream_tbEUlT_E0_NS1_11comp_targetILNS1_3genE0ELNS1_11target_archE4294967295ELNS1_3gpuE0ELNS1_3repE0EEENS1_52radix_sort_onesweep_histogram_config_static_selectorELNS0_4arch9wavefront6targetE1EEEvSG_.numbered_sgpr, 0
	.set _ZN7rocprim17ROCPRIM_400000_NS6detail17trampoline_kernelINS0_14default_configENS1_35radix_sort_onesweep_config_selectorIddEEZNS1_34radix_sort_onesweep_global_offsetsIS3_Lb0EN6thrust23THRUST_200600_302600_NS6detail15normal_iteratorINS8_10device_ptrIdEEEESD_jNS0_19identity_decomposerEEE10hipError_tT1_T2_PT3_SI_jT4_jjP12ihipStream_tbEUlT_E0_NS1_11comp_targetILNS1_3genE0ELNS1_11target_archE4294967295ELNS1_3gpuE0ELNS1_3repE0EEENS1_52radix_sort_onesweep_histogram_config_static_selectorELNS0_4arch9wavefront6targetE1EEEvSG_.num_named_barrier, 0
	.set _ZN7rocprim17ROCPRIM_400000_NS6detail17trampoline_kernelINS0_14default_configENS1_35radix_sort_onesweep_config_selectorIddEEZNS1_34radix_sort_onesweep_global_offsetsIS3_Lb0EN6thrust23THRUST_200600_302600_NS6detail15normal_iteratorINS8_10device_ptrIdEEEESD_jNS0_19identity_decomposerEEE10hipError_tT1_T2_PT3_SI_jT4_jjP12ihipStream_tbEUlT_E0_NS1_11comp_targetILNS1_3genE0ELNS1_11target_archE4294967295ELNS1_3gpuE0ELNS1_3repE0EEENS1_52radix_sort_onesweep_histogram_config_static_selectorELNS0_4arch9wavefront6targetE1EEEvSG_.private_seg_size, 0
	.set _ZN7rocprim17ROCPRIM_400000_NS6detail17trampoline_kernelINS0_14default_configENS1_35radix_sort_onesweep_config_selectorIddEEZNS1_34radix_sort_onesweep_global_offsetsIS3_Lb0EN6thrust23THRUST_200600_302600_NS6detail15normal_iteratorINS8_10device_ptrIdEEEESD_jNS0_19identity_decomposerEEE10hipError_tT1_T2_PT3_SI_jT4_jjP12ihipStream_tbEUlT_E0_NS1_11comp_targetILNS1_3genE0ELNS1_11target_archE4294967295ELNS1_3gpuE0ELNS1_3repE0EEENS1_52radix_sort_onesweep_histogram_config_static_selectorELNS0_4arch9wavefront6targetE1EEEvSG_.uses_vcc, 0
	.set _ZN7rocprim17ROCPRIM_400000_NS6detail17trampoline_kernelINS0_14default_configENS1_35radix_sort_onesweep_config_selectorIddEEZNS1_34radix_sort_onesweep_global_offsetsIS3_Lb0EN6thrust23THRUST_200600_302600_NS6detail15normal_iteratorINS8_10device_ptrIdEEEESD_jNS0_19identity_decomposerEEE10hipError_tT1_T2_PT3_SI_jT4_jjP12ihipStream_tbEUlT_E0_NS1_11comp_targetILNS1_3genE0ELNS1_11target_archE4294967295ELNS1_3gpuE0ELNS1_3repE0EEENS1_52radix_sort_onesweep_histogram_config_static_selectorELNS0_4arch9wavefront6targetE1EEEvSG_.uses_flat_scratch, 0
	.set _ZN7rocprim17ROCPRIM_400000_NS6detail17trampoline_kernelINS0_14default_configENS1_35radix_sort_onesweep_config_selectorIddEEZNS1_34radix_sort_onesweep_global_offsetsIS3_Lb0EN6thrust23THRUST_200600_302600_NS6detail15normal_iteratorINS8_10device_ptrIdEEEESD_jNS0_19identity_decomposerEEE10hipError_tT1_T2_PT3_SI_jT4_jjP12ihipStream_tbEUlT_E0_NS1_11comp_targetILNS1_3genE0ELNS1_11target_archE4294967295ELNS1_3gpuE0ELNS1_3repE0EEENS1_52radix_sort_onesweep_histogram_config_static_selectorELNS0_4arch9wavefront6targetE1EEEvSG_.has_dyn_sized_stack, 0
	.set _ZN7rocprim17ROCPRIM_400000_NS6detail17trampoline_kernelINS0_14default_configENS1_35radix_sort_onesweep_config_selectorIddEEZNS1_34radix_sort_onesweep_global_offsetsIS3_Lb0EN6thrust23THRUST_200600_302600_NS6detail15normal_iteratorINS8_10device_ptrIdEEEESD_jNS0_19identity_decomposerEEE10hipError_tT1_T2_PT3_SI_jT4_jjP12ihipStream_tbEUlT_E0_NS1_11comp_targetILNS1_3genE0ELNS1_11target_archE4294967295ELNS1_3gpuE0ELNS1_3repE0EEENS1_52radix_sort_onesweep_histogram_config_static_selectorELNS0_4arch9wavefront6targetE1EEEvSG_.has_recursion, 0
	.set _ZN7rocprim17ROCPRIM_400000_NS6detail17trampoline_kernelINS0_14default_configENS1_35radix_sort_onesweep_config_selectorIddEEZNS1_34radix_sort_onesweep_global_offsetsIS3_Lb0EN6thrust23THRUST_200600_302600_NS6detail15normal_iteratorINS8_10device_ptrIdEEEESD_jNS0_19identity_decomposerEEE10hipError_tT1_T2_PT3_SI_jT4_jjP12ihipStream_tbEUlT_E0_NS1_11comp_targetILNS1_3genE0ELNS1_11target_archE4294967295ELNS1_3gpuE0ELNS1_3repE0EEENS1_52radix_sort_onesweep_histogram_config_static_selectorELNS0_4arch9wavefront6targetE1EEEvSG_.has_indirect_call, 0
	.section	.AMDGPU.csdata,"",@progbits
; Kernel info:
; codeLenInByte = 0
; TotalNumSgprs: 6
; NumVgprs: 0
; NumAgprs: 0
; TotalNumVgprs: 0
; ScratchSize: 0
; MemoryBound: 0
; FloatMode: 240
; IeeeMode: 1
; LDSByteSize: 0 bytes/workgroup (compile time only)
; SGPRBlocks: 0
; VGPRBlocks: 0
; NumSGPRsForWavesPerEU: 6
; NumVGPRsForWavesPerEU: 1
; AccumOffset: 4
; Occupancy: 8
; WaveLimiterHint : 0
; COMPUTE_PGM_RSRC2:SCRATCH_EN: 0
; COMPUTE_PGM_RSRC2:USER_SGPR: 2
; COMPUTE_PGM_RSRC2:TRAP_HANDLER: 0
; COMPUTE_PGM_RSRC2:TGID_X_EN: 1
; COMPUTE_PGM_RSRC2:TGID_Y_EN: 0
; COMPUTE_PGM_RSRC2:TGID_Z_EN: 0
; COMPUTE_PGM_RSRC2:TIDIG_COMP_CNT: 0
; COMPUTE_PGM_RSRC3_GFX90A:ACCUM_OFFSET: 0
; COMPUTE_PGM_RSRC3_GFX90A:TG_SPLIT: 0
	.section	.text._ZN7rocprim17ROCPRIM_400000_NS6detail17trampoline_kernelINS0_14default_configENS1_35radix_sort_onesweep_config_selectorIddEEZNS1_34radix_sort_onesweep_global_offsetsIS3_Lb0EN6thrust23THRUST_200600_302600_NS6detail15normal_iteratorINS8_10device_ptrIdEEEESD_jNS0_19identity_decomposerEEE10hipError_tT1_T2_PT3_SI_jT4_jjP12ihipStream_tbEUlT_E0_NS1_11comp_targetILNS1_3genE6ELNS1_11target_archE950ELNS1_3gpuE13ELNS1_3repE0EEENS1_52radix_sort_onesweep_histogram_config_static_selectorELNS0_4arch9wavefront6targetE1EEEvSG_,"axG",@progbits,_ZN7rocprim17ROCPRIM_400000_NS6detail17trampoline_kernelINS0_14default_configENS1_35radix_sort_onesweep_config_selectorIddEEZNS1_34radix_sort_onesweep_global_offsetsIS3_Lb0EN6thrust23THRUST_200600_302600_NS6detail15normal_iteratorINS8_10device_ptrIdEEEESD_jNS0_19identity_decomposerEEE10hipError_tT1_T2_PT3_SI_jT4_jjP12ihipStream_tbEUlT_E0_NS1_11comp_targetILNS1_3genE6ELNS1_11target_archE950ELNS1_3gpuE13ELNS1_3repE0EEENS1_52radix_sort_onesweep_histogram_config_static_selectorELNS0_4arch9wavefront6targetE1EEEvSG_,comdat
	.protected	_ZN7rocprim17ROCPRIM_400000_NS6detail17trampoline_kernelINS0_14default_configENS1_35radix_sort_onesweep_config_selectorIddEEZNS1_34radix_sort_onesweep_global_offsetsIS3_Lb0EN6thrust23THRUST_200600_302600_NS6detail15normal_iteratorINS8_10device_ptrIdEEEESD_jNS0_19identity_decomposerEEE10hipError_tT1_T2_PT3_SI_jT4_jjP12ihipStream_tbEUlT_E0_NS1_11comp_targetILNS1_3genE6ELNS1_11target_archE950ELNS1_3gpuE13ELNS1_3repE0EEENS1_52radix_sort_onesweep_histogram_config_static_selectorELNS0_4arch9wavefront6targetE1EEEvSG_ ; -- Begin function _ZN7rocprim17ROCPRIM_400000_NS6detail17trampoline_kernelINS0_14default_configENS1_35radix_sort_onesweep_config_selectorIddEEZNS1_34radix_sort_onesweep_global_offsetsIS3_Lb0EN6thrust23THRUST_200600_302600_NS6detail15normal_iteratorINS8_10device_ptrIdEEEESD_jNS0_19identity_decomposerEEE10hipError_tT1_T2_PT3_SI_jT4_jjP12ihipStream_tbEUlT_E0_NS1_11comp_targetILNS1_3genE6ELNS1_11target_archE950ELNS1_3gpuE13ELNS1_3repE0EEENS1_52radix_sort_onesweep_histogram_config_static_selectorELNS0_4arch9wavefront6targetE1EEEvSG_
	.globl	_ZN7rocprim17ROCPRIM_400000_NS6detail17trampoline_kernelINS0_14default_configENS1_35radix_sort_onesweep_config_selectorIddEEZNS1_34radix_sort_onesweep_global_offsetsIS3_Lb0EN6thrust23THRUST_200600_302600_NS6detail15normal_iteratorINS8_10device_ptrIdEEEESD_jNS0_19identity_decomposerEEE10hipError_tT1_T2_PT3_SI_jT4_jjP12ihipStream_tbEUlT_E0_NS1_11comp_targetILNS1_3genE6ELNS1_11target_archE950ELNS1_3gpuE13ELNS1_3repE0EEENS1_52radix_sort_onesweep_histogram_config_static_selectorELNS0_4arch9wavefront6targetE1EEEvSG_
	.p2align	8
	.type	_ZN7rocprim17ROCPRIM_400000_NS6detail17trampoline_kernelINS0_14default_configENS1_35radix_sort_onesweep_config_selectorIddEEZNS1_34radix_sort_onesweep_global_offsetsIS3_Lb0EN6thrust23THRUST_200600_302600_NS6detail15normal_iteratorINS8_10device_ptrIdEEEESD_jNS0_19identity_decomposerEEE10hipError_tT1_T2_PT3_SI_jT4_jjP12ihipStream_tbEUlT_E0_NS1_11comp_targetILNS1_3genE6ELNS1_11target_archE950ELNS1_3gpuE13ELNS1_3repE0EEENS1_52radix_sort_onesweep_histogram_config_static_selectorELNS0_4arch9wavefront6targetE1EEEvSG_,@function
_ZN7rocprim17ROCPRIM_400000_NS6detail17trampoline_kernelINS0_14default_configENS1_35radix_sort_onesweep_config_selectorIddEEZNS1_34radix_sort_onesweep_global_offsetsIS3_Lb0EN6thrust23THRUST_200600_302600_NS6detail15normal_iteratorINS8_10device_ptrIdEEEESD_jNS0_19identity_decomposerEEE10hipError_tT1_T2_PT3_SI_jT4_jjP12ihipStream_tbEUlT_E0_NS1_11comp_targetILNS1_3genE6ELNS1_11target_archE950ELNS1_3gpuE13ELNS1_3repE0EEENS1_52radix_sort_onesweep_histogram_config_static_selectorELNS0_4arch9wavefront6targetE1EEEvSG_: ; @_ZN7rocprim17ROCPRIM_400000_NS6detail17trampoline_kernelINS0_14default_configENS1_35radix_sort_onesweep_config_selectorIddEEZNS1_34radix_sort_onesweep_global_offsetsIS3_Lb0EN6thrust23THRUST_200600_302600_NS6detail15normal_iteratorINS8_10device_ptrIdEEEESD_jNS0_19identity_decomposerEEE10hipError_tT1_T2_PT3_SI_jT4_jjP12ihipStream_tbEUlT_E0_NS1_11comp_targetILNS1_3genE6ELNS1_11target_archE950ELNS1_3gpuE13ELNS1_3repE0EEENS1_52radix_sort_onesweep_histogram_config_static_selectorELNS0_4arch9wavefront6targetE1EEEvSG_
; %bb.0:
	s_load_dwordx2 s[0:1], s[0:1], 0x0
	s_lshl_b32 s2, s2, 8
	s_mov_b32 s3, 0
	s_lshl_b64 s[2:3], s[2:3], 2
	v_lshlrev_b32_e32 v1, 2, v0
	s_waitcnt lgkmcnt(0)
	s_add_u32 s10, s0, s2
	s_movk_i32 s0, 0x100
	s_addc_u32 s11, s1, s3
	v_cmp_gt_u32_e32 vcc, s0, v0
                                        ; implicit-def: $vgpr3
	s_and_saveexec_b64 s[0:1], vcc
	s_cbranch_execz .LBB92_2
; %bb.1:
	global_load_dword v3, v1, s[10:11]
.LBB92_2:
	s_or_b64 exec, exec, s[0:1]
	v_mbcnt_lo_u32_b32 v2, -1, 0
	v_mbcnt_hi_u32_b32 v2, -1, v2
	v_and_b32_e32 v4, 15, v2
	s_waitcnt vmcnt(0)
	v_mov_b32_dpp v5, v3 row_shr:1 row_mask:0xf bank_mask:0xf
	v_cmp_eq_u32_e64 s[0:1], 0, v4
	v_cmp_lt_u32_e64 s[2:3], 1, v4
	v_cmp_lt_u32_e64 s[4:5], 3, v4
	v_cndmask_b32_e64 v5, v5, 0, s[0:1]
	v_add_u32_e32 v3, v5, v3
	v_cmp_lt_u32_e64 s[6:7], 7, v4
	v_cmp_lt_u32_e64 s[8:9], 31, v2
	v_mov_b32_dpp v5, v3 row_shr:2 row_mask:0xf bank_mask:0xf
	v_cndmask_b32_e64 v5, 0, v5, s[2:3]
	v_add_u32_e32 v3, v3, v5
	s_nop 1
	v_mov_b32_dpp v5, v3 row_shr:4 row_mask:0xf bank_mask:0xf
	v_cndmask_b32_e64 v5, 0, v5, s[4:5]
	v_add_u32_e32 v3, v3, v5
	s_nop 1
	v_mov_b32_dpp v5, v3 row_shr:8 row_mask:0xf bank_mask:0xf
	v_cndmask_b32_e64 v4, 0, v5, s[6:7]
	v_add_u32_e32 v3, v3, v4
	v_bfe_i32 v5, v2, 4, 1
	s_nop 0
	v_mov_b32_dpp v4, v3 row_bcast:15 row_mask:0xf bank_mask:0xf
	v_and_b32_e32 v4, v5, v4
	v_add_u32_e32 v3, v3, v4
	v_and_b32_e32 v5, 63, v0
	s_nop 0
	v_mov_b32_dpp v4, v3 row_bcast:31 row_mask:0xf bank_mask:0xf
	v_cndmask_b32_e64 v4, 0, v4, s[8:9]
	v_add_u32_e32 v3, v3, v4
	v_lshrrev_b32_e32 v4, 6, v0
	v_cmp_eq_u32_e64 s[8:9], 63, v5
	s_and_saveexec_b64 s[12:13], s[8:9]
; %bb.3:
	v_lshlrev_b32_e32 v5, 2, v4
	ds_write_b32 v5, v3
; %bb.4:
	s_or_b64 exec, exec, s[12:13]
	v_cmp_gt_u32_e64 s[8:9], 16, v0
	s_waitcnt lgkmcnt(0)
	s_barrier
	s_and_saveexec_b64 s[12:13], s[8:9]
	s_cbranch_execz .LBB92_6
; %bb.5:
	ds_read_b32 v5, v1
	s_waitcnt lgkmcnt(0)
	s_nop 0
	v_mov_b32_dpp v6, v5 row_shr:1 row_mask:0xf bank_mask:0xf
	v_cndmask_b32_e64 v6, v6, 0, s[0:1]
	v_add_u32_e32 v5, v6, v5
	s_nop 1
	v_mov_b32_dpp v6, v5 row_shr:2 row_mask:0xf bank_mask:0xf
	v_cndmask_b32_e64 v6, 0, v6, s[2:3]
	v_add_u32_e32 v5, v5, v6
	s_nop 1
	v_mov_b32_dpp v6, v5 row_shr:4 row_mask:0xf bank_mask:0xf
	v_cndmask_b32_e64 v6, 0, v6, s[4:5]
	v_add_u32_e32 v5, v5, v6
	s_nop 1
	v_mov_b32_dpp v6, v5 row_shr:8 row_mask:0xf bank_mask:0xf
	v_cndmask_b32_e64 v6, 0, v6, s[6:7]
	v_add_u32_e32 v5, v5, v6
	ds_write_b32 v1, v5
.LBB92_6:
	s_or_b64 exec, exec, s[12:13]
	v_cmp_lt_u32_e64 s[0:1], 63, v0
	v_mov_b32_e32 v0, 0
	s_waitcnt lgkmcnt(0)
	s_barrier
	s_and_saveexec_b64 s[2:3], s[0:1]
; %bb.7:
	v_lshl_add_u32 v0, v4, 2, -4
	ds_read_b32 v0, v0
; %bb.8:
	s_or_b64 exec, exec, s[2:3]
	v_add_u32_e32 v4, -1, v2
	v_and_b32_e32 v5, 64, v2
	v_cmp_lt_i32_e64 s[0:1], v4, v5
	s_waitcnt lgkmcnt(0)
	v_add_u32_e32 v3, v0, v3
	v_cndmask_b32_e64 v4, v4, v2, s[0:1]
	v_lshlrev_b32_e32 v4, 2, v4
	ds_bpermute_b32 v3, v4, v3
	s_and_saveexec_b64 s[0:1], vcc
	s_cbranch_execz .LBB92_10
; %bb.9:
	v_cmp_eq_u32_e32 vcc, 0, v2
	s_waitcnt lgkmcnt(0)
	s_nop 0
	v_cndmask_b32_e32 v0, v3, v0, vcc
	global_store_dword v1, v0, s[10:11]
.LBB92_10:
	s_endpgm
	.section	.rodata,"a",@progbits
	.p2align	6, 0x0
	.amdhsa_kernel _ZN7rocprim17ROCPRIM_400000_NS6detail17trampoline_kernelINS0_14default_configENS1_35radix_sort_onesweep_config_selectorIddEEZNS1_34radix_sort_onesweep_global_offsetsIS3_Lb0EN6thrust23THRUST_200600_302600_NS6detail15normal_iteratorINS8_10device_ptrIdEEEESD_jNS0_19identity_decomposerEEE10hipError_tT1_T2_PT3_SI_jT4_jjP12ihipStream_tbEUlT_E0_NS1_11comp_targetILNS1_3genE6ELNS1_11target_archE950ELNS1_3gpuE13ELNS1_3repE0EEENS1_52radix_sort_onesweep_histogram_config_static_selectorELNS0_4arch9wavefront6targetE1EEEvSG_
		.amdhsa_group_segment_fixed_size 64
		.amdhsa_private_segment_fixed_size 0
		.amdhsa_kernarg_size 8
		.amdhsa_user_sgpr_count 2
		.amdhsa_user_sgpr_dispatch_ptr 0
		.amdhsa_user_sgpr_queue_ptr 0
		.amdhsa_user_sgpr_kernarg_segment_ptr 1
		.amdhsa_user_sgpr_dispatch_id 0
		.amdhsa_user_sgpr_kernarg_preload_length 0
		.amdhsa_user_sgpr_kernarg_preload_offset 0
		.amdhsa_user_sgpr_private_segment_size 0
		.amdhsa_uses_dynamic_stack 0
		.amdhsa_enable_private_segment 0
		.amdhsa_system_sgpr_workgroup_id_x 1
		.amdhsa_system_sgpr_workgroup_id_y 0
		.amdhsa_system_sgpr_workgroup_id_z 0
		.amdhsa_system_sgpr_workgroup_info 0
		.amdhsa_system_vgpr_workitem_id 0
		.amdhsa_next_free_vgpr 7
		.amdhsa_next_free_sgpr 14
		.amdhsa_accum_offset 8
		.amdhsa_reserve_vcc 1
		.amdhsa_float_round_mode_32 0
		.amdhsa_float_round_mode_16_64 0
		.amdhsa_float_denorm_mode_32 3
		.amdhsa_float_denorm_mode_16_64 3
		.amdhsa_dx10_clamp 1
		.amdhsa_ieee_mode 1
		.amdhsa_fp16_overflow 0
		.amdhsa_tg_split 0
		.amdhsa_exception_fp_ieee_invalid_op 0
		.amdhsa_exception_fp_denorm_src 0
		.amdhsa_exception_fp_ieee_div_zero 0
		.amdhsa_exception_fp_ieee_overflow 0
		.amdhsa_exception_fp_ieee_underflow 0
		.amdhsa_exception_fp_ieee_inexact 0
		.amdhsa_exception_int_div_zero 0
	.end_amdhsa_kernel
	.section	.text._ZN7rocprim17ROCPRIM_400000_NS6detail17trampoline_kernelINS0_14default_configENS1_35radix_sort_onesweep_config_selectorIddEEZNS1_34radix_sort_onesweep_global_offsetsIS3_Lb0EN6thrust23THRUST_200600_302600_NS6detail15normal_iteratorINS8_10device_ptrIdEEEESD_jNS0_19identity_decomposerEEE10hipError_tT1_T2_PT3_SI_jT4_jjP12ihipStream_tbEUlT_E0_NS1_11comp_targetILNS1_3genE6ELNS1_11target_archE950ELNS1_3gpuE13ELNS1_3repE0EEENS1_52radix_sort_onesweep_histogram_config_static_selectorELNS0_4arch9wavefront6targetE1EEEvSG_,"axG",@progbits,_ZN7rocprim17ROCPRIM_400000_NS6detail17trampoline_kernelINS0_14default_configENS1_35radix_sort_onesweep_config_selectorIddEEZNS1_34radix_sort_onesweep_global_offsetsIS3_Lb0EN6thrust23THRUST_200600_302600_NS6detail15normal_iteratorINS8_10device_ptrIdEEEESD_jNS0_19identity_decomposerEEE10hipError_tT1_T2_PT3_SI_jT4_jjP12ihipStream_tbEUlT_E0_NS1_11comp_targetILNS1_3genE6ELNS1_11target_archE950ELNS1_3gpuE13ELNS1_3repE0EEENS1_52radix_sort_onesweep_histogram_config_static_selectorELNS0_4arch9wavefront6targetE1EEEvSG_,comdat
.Lfunc_end92:
	.size	_ZN7rocprim17ROCPRIM_400000_NS6detail17trampoline_kernelINS0_14default_configENS1_35radix_sort_onesweep_config_selectorIddEEZNS1_34radix_sort_onesweep_global_offsetsIS3_Lb0EN6thrust23THRUST_200600_302600_NS6detail15normal_iteratorINS8_10device_ptrIdEEEESD_jNS0_19identity_decomposerEEE10hipError_tT1_T2_PT3_SI_jT4_jjP12ihipStream_tbEUlT_E0_NS1_11comp_targetILNS1_3genE6ELNS1_11target_archE950ELNS1_3gpuE13ELNS1_3repE0EEENS1_52radix_sort_onesweep_histogram_config_static_selectorELNS0_4arch9wavefront6targetE1EEEvSG_, .Lfunc_end92-_ZN7rocprim17ROCPRIM_400000_NS6detail17trampoline_kernelINS0_14default_configENS1_35radix_sort_onesweep_config_selectorIddEEZNS1_34radix_sort_onesweep_global_offsetsIS3_Lb0EN6thrust23THRUST_200600_302600_NS6detail15normal_iteratorINS8_10device_ptrIdEEEESD_jNS0_19identity_decomposerEEE10hipError_tT1_T2_PT3_SI_jT4_jjP12ihipStream_tbEUlT_E0_NS1_11comp_targetILNS1_3genE6ELNS1_11target_archE950ELNS1_3gpuE13ELNS1_3repE0EEENS1_52radix_sort_onesweep_histogram_config_static_selectorELNS0_4arch9wavefront6targetE1EEEvSG_
                                        ; -- End function
	.set _ZN7rocprim17ROCPRIM_400000_NS6detail17trampoline_kernelINS0_14default_configENS1_35radix_sort_onesweep_config_selectorIddEEZNS1_34radix_sort_onesweep_global_offsetsIS3_Lb0EN6thrust23THRUST_200600_302600_NS6detail15normal_iteratorINS8_10device_ptrIdEEEESD_jNS0_19identity_decomposerEEE10hipError_tT1_T2_PT3_SI_jT4_jjP12ihipStream_tbEUlT_E0_NS1_11comp_targetILNS1_3genE6ELNS1_11target_archE950ELNS1_3gpuE13ELNS1_3repE0EEENS1_52radix_sort_onesweep_histogram_config_static_selectorELNS0_4arch9wavefront6targetE1EEEvSG_.num_vgpr, 7
	.set _ZN7rocprim17ROCPRIM_400000_NS6detail17trampoline_kernelINS0_14default_configENS1_35radix_sort_onesweep_config_selectorIddEEZNS1_34radix_sort_onesweep_global_offsetsIS3_Lb0EN6thrust23THRUST_200600_302600_NS6detail15normal_iteratorINS8_10device_ptrIdEEEESD_jNS0_19identity_decomposerEEE10hipError_tT1_T2_PT3_SI_jT4_jjP12ihipStream_tbEUlT_E0_NS1_11comp_targetILNS1_3genE6ELNS1_11target_archE950ELNS1_3gpuE13ELNS1_3repE0EEENS1_52radix_sort_onesweep_histogram_config_static_selectorELNS0_4arch9wavefront6targetE1EEEvSG_.num_agpr, 0
	.set _ZN7rocprim17ROCPRIM_400000_NS6detail17trampoline_kernelINS0_14default_configENS1_35radix_sort_onesweep_config_selectorIddEEZNS1_34radix_sort_onesweep_global_offsetsIS3_Lb0EN6thrust23THRUST_200600_302600_NS6detail15normal_iteratorINS8_10device_ptrIdEEEESD_jNS0_19identity_decomposerEEE10hipError_tT1_T2_PT3_SI_jT4_jjP12ihipStream_tbEUlT_E0_NS1_11comp_targetILNS1_3genE6ELNS1_11target_archE950ELNS1_3gpuE13ELNS1_3repE0EEENS1_52radix_sort_onesweep_histogram_config_static_selectorELNS0_4arch9wavefront6targetE1EEEvSG_.numbered_sgpr, 14
	.set _ZN7rocprim17ROCPRIM_400000_NS6detail17trampoline_kernelINS0_14default_configENS1_35radix_sort_onesweep_config_selectorIddEEZNS1_34radix_sort_onesweep_global_offsetsIS3_Lb0EN6thrust23THRUST_200600_302600_NS6detail15normal_iteratorINS8_10device_ptrIdEEEESD_jNS0_19identity_decomposerEEE10hipError_tT1_T2_PT3_SI_jT4_jjP12ihipStream_tbEUlT_E0_NS1_11comp_targetILNS1_3genE6ELNS1_11target_archE950ELNS1_3gpuE13ELNS1_3repE0EEENS1_52radix_sort_onesweep_histogram_config_static_selectorELNS0_4arch9wavefront6targetE1EEEvSG_.num_named_barrier, 0
	.set _ZN7rocprim17ROCPRIM_400000_NS6detail17trampoline_kernelINS0_14default_configENS1_35radix_sort_onesweep_config_selectorIddEEZNS1_34radix_sort_onesweep_global_offsetsIS3_Lb0EN6thrust23THRUST_200600_302600_NS6detail15normal_iteratorINS8_10device_ptrIdEEEESD_jNS0_19identity_decomposerEEE10hipError_tT1_T2_PT3_SI_jT4_jjP12ihipStream_tbEUlT_E0_NS1_11comp_targetILNS1_3genE6ELNS1_11target_archE950ELNS1_3gpuE13ELNS1_3repE0EEENS1_52radix_sort_onesweep_histogram_config_static_selectorELNS0_4arch9wavefront6targetE1EEEvSG_.private_seg_size, 0
	.set _ZN7rocprim17ROCPRIM_400000_NS6detail17trampoline_kernelINS0_14default_configENS1_35radix_sort_onesweep_config_selectorIddEEZNS1_34radix_sort_onesweep_global_offsetsIS3_Lb0EN6thrust23THRUST_200600_302600_NS6detail15normal_iteratorINS8_10device_ptrIdEEEESD_jNS0_19identity_decomposerEEE10hipError_tT1_T2_PT3_SI_jT4_jjP12ihipStream_tbEUlT_E0_NS1_11comp_targetILNS1_3genE6ELNS1_11target_archE950ELNS1_3gpuE13ELNS1_3repE0EEENS1_52radix_sort_onesweep_histogram_config_static_selectorELNS0_4arch9wavefront6targetE1EEEvSG_.uses_vcc, 1
	.set _ZN7rocprim17ROCPRIM_400000_NS6detail17trampoline_kernelINS0_14default_configENS1_35radix_sort_onesweep_config_selectorIddEEZNS1_34radix_sort_onesweep_global_offsetsIS3_Lb0EN6thrust23THRUST_200600_302600_NS6detail15normal_iteratorINS8_10device_ptrIdEEEESD_jNS0_19identity_decomposerEEE10hipError_tT1_T2_PT3_SI_jT4_jjP12ihipStream_tbEUlT_E0_NS1_11comp_targetILNS1_3genE6ELNS1_11target_archE950ELNS1_3gpuE13ELNS1_3repE0EEENS1_52radix_sort_onesweep_histogram_config_static_selectorELNS0_4arch9wavefront6targetE1EEEvSG_.uses_flat_scratch, 0
	.set _ZN7rocprim17ROCPRIM_400000_NS6detail17trampoline_kernelINS0_14default_configENS1_35radix_sort_onesweep_config_selectorIddEEZNS1_34radix_sort_onesweep_global_offsetsIS3_Lb0EN6thrust23THRUST_200600_302600_NS6detail15normal_iteratorINS8_10device_ptrIdEEEESD_jNS0_19identity_decomposerEEE10hipError_tT1_T2_PT3_SI_jT4_jjP12ihipStream_tbEUlT_E0_NS1_11comp_targetILNS1_3genE6ELNS1_11target_archE950ELNS1_3gpuE13ELNS1_3repE0EEENS1_52radix_sort_onesweep_histogram_config_static_selectorELNS0_4arch9wavefront6targetE1EEEvSG_.has_dyn_sized_stack, 0
	.set _ZN7rocprim17ROCPRIM_400000_NS6detail17trampoline_kernelINS0_14default_configENS1_35radix_sort_onesweep_config_selectorIddEEZNS1_34radix_sort_onesweep_global_offsetsIS3_Lb0EN6thrust23THRUST_200600_302600_NS6detail15normal_iteratorINS8_10device_ptrIdEEEESD_jNS0_19identity_decomposerEEE10hipError_tT1_T2_PT3_SI_jT4_jjP12ihipStream_tbEUlT_E0_NS1_11comp_targetILNS1_3genE6ELNS1_11target_archE950ELNS1_3gpuE13ELNS1_3repE0EEENS1_52radix_sort_onesweep_histogram_config_static_selectorELNS0_4arch9wavefront6targetE1EEEvSG_.has_recursion, 0
	.set _ZN7rocprim17ROCPRIM_400000_NS6detail17trampoline_kernelINS0_14default_configENS1_35radix_sort_onesweep_config_selectorIddEEZNS1_34radix_sort_onesweep_global_offsetsIS3_Lb0EN6thrust23THRUST_200600_302600_NS6detail15normal_iteratorINS8_10device_ptrIdEEEESD_jNS0_19identity_decomposerEEE10hipError_tT1_T2_PT3_SI_jT4_jjP12ihipStream_tbEUlT_E0_NS1_11comp_targetILNS1_3genE6ELNS1_11target_archE950ELNS1_3gpuE13ELNS1_3repE0EEENS1_52radix_sort_onesweep_histogram_config_static_selectorELNS0_4arch9wavefront6targetE1EEEvSG_.has_indirect_call, 0
	.section	.AMDGPU.csdata,"",@progbits
; Kernel info:
; codeLenInByte = 572
; TotalNumSgprs: 20
; NumVgprs: 7
; NumAgprs: 0
; TotalNumVgprs: 7
; ScratchSize: 0
; MemoryBound: 0
; FloatMode: 240
; IeeeMode: 1
; LDSByteSize: 64 bytes/workgroup (compile time only)
; SGPRBlocks: 2
; VGPRBlocks: 0
; NumSGPRsForWavesPerEU: 20
; NumVGPRsForWavesPerEU: 7
; AccumOffset: 8
; Occupancy: 8
; WaveLimiterHint : 0
; COMPUTE_PGM_RSRC2:SCRATCH_EN: 0
; COMPUTE_PGM_RSRC2:USER_SGPR: 2
; COMPUTE_PGM_RSRC2:TRAP_HANDLER: 0
; COMPUTE_PGM_RSRC2:TGID_X_EN: 1
; COMPUTE_PGM_RSRC2:TGID_Y_EN: 0
; COMPUTE_PGM_RSRC2:TGID_Z_EN: 0
; COMPUTE_PGM_RSRC2:TIDIG_COMP_CNT: 0
; COMPUTE_PGM_RSRC3_GFX90A:ACCUM_OFFSET: 1
; COMPUTE_PGM_RSRC3_GFX90A:TG_SPLIT: 0
	.section	.text._ZN7rocprim17ROCPRIM_400000_NS6detail17trampoline_kernelINS0_14default_configENS1_35radix_sort_onesweep_config_selectorIddEEZNS1_34radix_sort_onesweep_global_offsetsIS3_Lb0EN6thrust23THRUST_200600_302600_NS6detail15normal_iteratorINS8_10device_ptrIdEEEESD_jNS0_19identity_decomposerEEE10hipError_tT1_T2_PT3_SI_jT4_jjP12ihipStream_tbEUlT_E0_NS1_11comp_targetILNS1_3genE5ELNS1_11target_archE942ELNS1_3gpuE9ELNS1_3repE0EEENS1_52radix_sort_onesweep_histogram_config_static_selectorELNS0_4arch9wavefront6targetE1EEEvSG_,"axG",@progbits,_ZN7rocprim17ROCPRIM_400000_NS6detail17trampoline_kernelINS0_14default_configENS1_35radix_sort_onesweep_config_selectorIddEEZNS1_34radix_sort_onesweep_global_offsetsIS3_Lb0EN6thrust23THRUST_200600_302600_NS6detail15normal_iteratorINS8_10device_ptrIdEEEESD_jNS0_19identity_decomposerEEE10hipError_tT1_T2_PT3_SI_jT4_jjP12ihipStream_tbEUlT_E0_NS1_11comp_targetILNS1_3genE5ELNS1_11target_archE942ELNS1_3gpuE9ELNS1_3repE0EEENS1_52radix_sort_onesweep_histogram_config_static_selectorELNS0_4arch9wavefront6targetE1EEEvSG_,comdat
	.protected	_ZN7rocprim17ROCPRIM_400000_NS6detail17trampoline_kernelINS0_14default_configENS1_35radix_sort_onesweep_config_selectorIddEEZNS1_34radix_sort_onesweep_global_offsetsIS3_Lb0EN6thrust23THRUST_200600_302600_NS6detail15normal_iteratorINS8_10device_ptrIdEEEESD_jNS0_19identity_decomposerEEE10hipError_tT1_T2_PT3_SI_jT4_jjP12ihipStream_tbEUlT_E0_NS1_11comp_targetILNS1_3genE5ELNS1_11target_archE942ELNS1_3gpuE9ELNS1_3repE0EEENS1_52radix_sort_onesweep_histogram_config_static_selectorELNS0_4arch9wavefront6targetE1EEEvSG_ ; -- Begin function _ZN7rocprim17ROCPRIM_400000_NS6detail17trampoline_kernelINS0_14default_configENS1_35radix_sort_onesweep_config_selectorIddEEZNS1_34radix_sort_onesweep_global_offsetsIS3_Lb0EN6thrust23THRUST_200600_302600_NS6detail15normal_iteratorINS8_10device_ptrIdEEEESD_jNS0_19identity_decomposerEEE10hipError_tT1_T2_PT3_SI_jT4_jjP12ihipStream_tbEUlT_E0_NS1_11comp_targetILNS1_3genE5ELNS1_11target_archE942ELNS1_3gpuE9ELNS1_3repE0EEENS1_52radix_sort_onesweep_histogram_config_static_selectorELNS0_4arch9wavefront6targetE1EEEvSG_
	.globl	_ZN7rocprim17ROCPRIM_400000_NS6detail17trampoline_kernelINS0_14default_configENS1_35radix_sort_onesweep_config_selectorIddEEZNS1_34radix_sort_onesweep_global_offsetsIS3_Lb0EN6thrust23THRUST_200600_302600_NS6detail15normal_iteratorINS8_10device_ptrIdEEEESD_jNS0_19identity_decomposerEEE10hipError_tT1_T2_PT3_SI_jT4_jjP12ihipStream_tbEUlT_E0_NS1_11comp_targetILNS1_3genE5ELNS1_11target_archE942ELNS1_3gpuE9ELNS1_3repE0EEENS1_52radix_sort_onesweep_histogram_config_static_selectorELNS0_4arch9wavefront6targetE1EEEvSG_
	.p2align	8
	.type	_ZN7rocprim17ROCPRIM_400000_NS6detail17trampoline_kernelINS0_14default_configENS1_35radix_sort_onesweep_config_selectorIddEEZNS1_34radix_sort_onesweep_global_offsetsIS3_Lb0EN6thrust23THRUST_200600_302600_NS6detail15normal_iteratorINS8_10device_ptrIdEEEESD_jNS0_19identity_decomposerEEE10hipError_tT1_T2_PT3_SI_jT4_jjP12ihipStream_tbEUlT_E0_NS1_11comp_targetILNS1_3genE5ELNS1_11target_archE942ELNS1_3gpuE9ELNS1_3repE0EEENS1_52radix_sort_onesweep_histogram_config_static_selectorELNS0_4arch9wavefront6targetE1EEEvSG_,@function
_ZN7rocprim17ROCPRIM_400000_NS6detail17trampoline_kernelINS0_14default_configENS1_35radix_sort_onesweep_config_selectorIddEEZNS1_34radix_sort_onesweep_global_offsetsIS3_Lb0EN6thrust23THRUST_200600_302600_NS6detail15normal_iteratorINS8_10device_ptrIdEEEESD_jNS0_19identity_decomposerEEE10hipError_tT1_T2_PT3_SI_jT4_jjP12ihipStream_tbEUlT_E0_NS1_11comp_targetILNS1_3genE5ELNS1_11target_archE942ELNS1_3gpuE9ELNS1_3repE0EEENS1_52radix_sort_onesweep_histogram_config_static_selectorELNS0_4arch9wavefront6targetE1EEEvSG_: ; @_ZN7rocprim17ROCPRIM_400000_NS6detail17trampoline_kernelINS0_14default_configENS1_35radix_sort_onesweep_config_selectorIddEEZNS1_34radix_sort_onesweep_global_offsetsIS3_Lb0EN6thrust23THRUST_200600_302600_NS6detail15normal_iteratorINS8_10device_ptrIdEEEESD_jNS0_19identity_decomposerEEE10hipError_tT1_T2_PT3_SI_jT4_jjP12ihipStream_tbEUlT_E0_NS1_11comp_targetILNS1_3genE5ELNS1_11target_archE942ELNS1_3gpuE9ELNS1_3repE0EEENS1_52radix_sort_onesweep_histogram_config_static_selectorELNS0_4arch9wavefront6targetE1EEEvSG_
; %bb.0:
	.section	.rodata,"a",@progbits
	.p2align	6, 0x0
	.amdhsa_kernel _ZN7rocprim17ROCPRIM_400000_NS6detail17trampoline_kernelINS0_14default_configENS1_35radix_sort_onesweep_config_selectorIddEEZNS1_34radix_sort_onesweep_global_offsetsIS3_Lb0EN6thrust23THRUST_200600_302600_NS6detail15normal_iteratorINS8_10device_ptrIdEEEESD_jNS0_19identity_decomposerEEE10hipError_tT1_T2_PT3_SI_jT4_jjP12ihipStream_tbEUlT_E0_NS1_11comp_targetILNS1_3genE5ELNS1_11target_archE942ELNS1_3gpuE9ELNS1_3repE0EEENS1_52radix_sort_onesweep_histogram_config_static_selectorELNS0_4arch9wavefront6targetE1EEEvSG_
		.amdhsa_group_segment_fixed_size 0
		.amdhsa_private_segment_fixed_size 0
		.amdhsa_kernarg_size 8
		.amdhsa_user_sgpr_count 2
		.amdhsa_user_sgpr_dispatch_ptr 0
		.amdhsa_user_sgpr_queue_ptr 0
		.amdhsa_user_sgpr_kernarg_segment_ptr 1
		.amdhsa_user_sgpr_dispatch_id 0
		.amdhsa_user_sgpr_kernarg_preload_length 0
		.amdhsa_user_sgpr_kernarg_preload_offset 0
		.amdhsa_user_sgpr_private_segment_size 0
		.amdhsa_uses_dynamic_stack 0
		.amdhsa_enable_private_segment 0
		.amdhsa_system_sgpr_workgroup_id_x 1
		.amdhsa_system_sgpr_workgroup_id_y 0
		.amdhsa_system_sgpr_workgroup_id_z 0
		.amdhsa_system_sgpr_workgroup_info 0
		.amdhsa_system_vgpr_workitem_id 0
		.amdhsa_next_free_vgpr 1
		.amdhsa_next_free_sgpr 0
		.amdhsa_accum_offset 4
		.amdhsa_reserve_vcc 0
		.amdhsa_float_round_mode_32 0
		.amdhsa_float_round_mode_16_64 0
		.amdhsa_float_denorm_mode_32 3
		.amdhsa_float_denorm_mode_16_64 3
		.amdhsa_dx10_clamp 1
		.amdhsa_ieee_mode 1
		.amdhsa_fp16_overflow 0
		.amdhsa_tg_split 0
		.amdhsa_exception_fp_ieee_invalid_op 0
		.amdhsa_exception_fp_denorm_src 0
		.amdhsa_exception_fp_ieee_div_zero 0
		.amdhsa_exception_fp_ieee_overflow 0
		.amdhsa_exception_fp_ieee_underflow 0
		.amdhsa_exception_fp_ieee_inexact 0
		.amdhsa_exception_int_div_zero 0
	.end_amdhsa_kernel
	.section	.text._ZN7rocprim17ROCPRIM_400000_NS6detail17trampoline_kernelINS0_14default_configENS1_35radix_sort_onesweep_config_selectorIddEEZNS1_34radix_sort_onesweep_global_offsetsIS3_Lb0EN6thrust23THRUST_200600_302600_NS6detail15normal_iteratorINS8_10device_ptrIdEEEESD_jNS0_19identity_decomposerEEE10hipError_tT1_T2_PT3_SI_jT4_jjP12ihipStream_tbEUlT_E0_NS1_11comp_targetILNS1_3genE5ELNS1_11target_archE942ELNS1_3gpuE9ELNS1_3repE0EEENS1_52radix_sort_onesweep_histogram_config_static_selectorELNS0_4arch9wavefront6targetE1EEEvSG_,"axG",@progbits,_ZN7rocprim17ROCPRIM_400000_NS6detail17trampoline_kernelINS0_14default_configENS1_35radix_sort_onesweep_config_selectorIddEEZNS1_34radix_sort_onesweep_global_offsetsIS3_Lb0EN6thrust23THRUST_200600_302600_NS6detail15normal_iteratorINS8_10device_ptrIdEEEESD_jNS0_19identity_decomposerEEE10hipError_tT1_T2_PT3_SI_jT4_jjP12ihipStream_tbEUlT_E0_NS1_11comp_targetILNS1_3genE5ELNS1_11target_archE942ELNS1_3gpuE9ELNS1_3repE0EEENS1_52radix_sort_onesweep_histogram_config_static_selectorELNS0_4arch9wavefront6targetE1EEEvSG_,comdat
.Lfunc_end93:
	.size	_ZN7rocprim17ROCPRIM_400000_NS6detail17trampoline_kernelINS0_14default_configENS1_35radix_sort_onesweep_config_selectorIddEEZNS1_34radix_sort_onesweep_global_offsetsIS3_Lb0EN6thrust23THRUST_200600_302600_NS6detail15normal_iteratorINS8_10device_ptrIdEEEESD_jNS0_19identity_decomposerEEE10hipError_tT1_T2_PT3_SI_jT4_jjP12ihipStream_tbEUlT_E0_NS1_11comp_targetILNS1_3genE5ELNS1_11target_archE942ELNS1_3gpuE9ELNS1_3repE0EEENS1_52radix_sort_onesweep_histogram_config_static_selectorELNS0_4arch9wavefront6targetE1EEEvSG_, .Lfunc_end93-_ZN7rocprim17ROCPRIM_400000_NS6detail17trampoline_kernelINS0_14default_configENS1_35radix_sort_onesweep_config_selectorIddEEZNS1_34radix_sort_onesweep_global_offsetsIS3_Lb0EN6thrust23THRUST_200600_302600_NS6detail15normal_iteratorINS8_10device_ptrIdEEEESD_jNS0_19identity_decomposerEEE10hipError_tT1_T2_PT3_SI_jT4_jjP12ihipStream_tbEUlT_E0_NS1_11comp_targetILNS1_3genE5ELNS1_11target_archE942ELNS1_3gpuE9ELNS1_3repE0EEENS1_52radix_sort_onesweep_histogram_config_static_selectorELNS0_4arch9wavefront6targetE1EEEvSG_
                                        ; -- End function
	.set _ZN7rocprim17ROCPRIM_400000_NS6detail17trampoline_kernelINS0_14default_configENS1_35radix_sort_onesweep_config_selectorIddEEZNS1_34radix_sort_onesweep_global_offsetsIS3_Lb0EN6thrust23THRUST_200600_302600_NS6detail15normal_iteratorINS8_10device_ptrIdEEEESD_jNS0_19identity_decomposerEEE10hipError_tT1_T2_PT3_SI_jT4_jjP12ihipStream_tbEUlT_E0_NS1_11comp_targetILNS1_3genE5ELNS1_11target_archE942ELNS1_3gpuE9ELNS1_3repE0EEENS1_52radix_sort_onesweep_histogram_config_static_selectorELNS0_4arch9wavefront6targetE1EEEvSG_.num_vgpr, 0
	.set _ZN7rocprim17ROCPRIM_400000_NS6detail17trampoline_kernelINS0_14default_configENS1_35radix_sort_onesweep_config_selectorIddEEZNS1_34radix_sort_onesweep_global_offsetsIS3_Lb0EN6thrust23THRUST_200600_302600_NS6detail15normal_iteratorINS8_10device_ptrIdEEEESD_jNS0_19identity_decomposerEEE10hipError_tT1_T2_PT3_SI_jT4_jjP12ihipStream_tbEUlT_E0_NS1_11comp_targetILNS1_3genE5ELNS1_11target_archE942ELNS1_3gpuE9ELNS1_3repE0EEENS1_52radix_sort_onesweep_histogram_config_static_selectorELNS0_4arch9wavefront6targetE1EEEvSG_.num_agpr, 0
	.set _ZN7rocprim17ROCPRIM_400000_NS6detail17trampoline_kernelINS0_14default_configENS1_35radix_sort_onesweep_config_selectorIddEEZNS1_34radix_sort_onesweep_global_offsetsIS3_Lb0EN6thrust23THRUST_200600_302600_NS6detail15normal_iteratorINS8_10device_ptrIdEEEESD_jNS0_19identity_decomposerEEE10hipError_tT1_T2_PT3_SI_jT4_jjP12ihipStream_tbEUlT_E0_NS1_11comp_targetILNS1_3genE5ELNS1_11target_archE942ELNS1_3gpuE9ELNS1_3repE0EEENS1_52radix_sort_onesweep_histogram_config_static_selectorELNS0_4arch9wavefront6targetE1EEEvSG_.numbered_sgpr, 0
	.set _ZN7rocprim17ROCPRIM_400000_NS6detail17trampoline_kernelINS0_14default_configENS1_35radix_sort_onesweep_config_selectorIddEEZNS1_34radix_sort_onesweep_global_offsetsIS3_Lb0EN6thrust23THRUST_200600_302600_NS6detail15normal_iteratorINS8_10device_ptrIdEEEESD_jNS0_19identity_decomposerEEE10hipError_tT1_T2_PT3_SI_jT4_jjP12ihipStream_tbEUlT_E0_NS1_11comp_targetILNS1_3genE5ELNS1_11target_archE942ELNS1_3gpuE9ELNS1_3repE0EEENS1_52radix_sort_onesweep_histogram_config_static_selectorELNS0_4arch9wavefront6targetE1EEEvSG_.num_named_barrier, 0
	.set _ZN7rocprim17ROCPRIM_400000_NS6detail17trampoline_kernelINS0_14default_configENS1_35radix_sort_onesweep_config_selectorIddEEZNS1_34radix_sort_onesweep_global_offsetsIS3_Lb0EN6thrust23THRUST_200600_302600_NS6detail15normal_iteratorINS8_10device_ptrIdEEEESD_jNS0_19identity_decomposerEEE10hipError_tT1_T2_PT3_SI_jT4_jjP12ihipStream_tbEUlT_E0_NS1_11comp_targetILNS1_3genE5ELNS1_11target_archE942ELNS1_3gpuE9ELNS1_3repE0EEENS1_52radix_sort_onesweep_histogram_config_static_selectorELNS0_4arch9wavefront6targetE1EEEvSG_.private_seg_size, 0
	.set _ZN7rocprim17ROCPRIM_400000_NS6detail17trampoline_kernelINS0_14default_configENS1_35radix_sort_onesweep_config_selectorIddEEZNS1_34radix_sort_onesweep_global_offsetsIS3_Lb0EN6thrust23THRUST_200600_302600_NS6detail15normal_iteratorINS8_10device_ptrIdEEEESD_jNS0_19identity_decomposerEEE10hipError_tT1_T2_PT3_SI_jT4_jjP12ihipStream_tbEUlT_E0_NS1_11comp_targetILNS1_3genE5ELNS1_11target_archE942ELNS1_3gpuE9ELNS1_3repE0EEENS1_52radix_sort_onesweep_histogram_config_static_selectorELNS0_4arch9wavefront6targetE1EEEvSG_.uses_vcc, 0
	.set _ZN7rocprim17ROCPRIM_400000_NS6detail17trampoline_kernelINS0_14default_configENS1_35radix_sort_onesweep_config_selectorIddEEZNS1_34radix_sort_onesweep_global_offsetsIS3_Lb0EN6thrust23THRUST_200600_302600_NS6detail15normal_iteratorINS8_10device_ptrIdEEEESD_jNS0_19identity_decomposerEEE10hipError_tT1_T2_PT3_SI_jT4_jjP12ihipStream_tbEUlT_E0_NS1_11comp_targetILNS1_3genE5ELNS1_11target_archE942ELNS1_3gpuE9ELNS1_3repE0EEENS1_52radix_sort_onesweep_histogram_config_static_selectorELNS0_4arch9wavefront6targetE1EEEvSG_.uses_flat_scratch, 0
	.set _ZN7rocprim17ROCPRIM_400000_NS6detail17trampoline_kernelINS0_14default_configENS1_35radix_sort_onesweep_config_selectorIddEEZNS1_34radix_sort_onesweep_global_offsetsIS3_Lb0EN6thrust23THRUST_200600_302600_NS6detail15normal_iteratorINS8_10device_ptrIdEEEESD_jNS0_19identity_decomposerEEE10hipError_tT1_T2_PT3_SI_jT4_jjP12ihipStream_tbEUlT_E0_NS1_11comp_targetILNS1_3genE5ELNS1_11target_archE942ELNS1_3gpuE9ELNS1_3repE0EEENS1_52radix_sort_onesweep_histogram_config_static_selectorELNS0_4arch9wavefront6targetE1EEEvSG_.has_dyn_sized_stack, 0
	.set _ZN7rocprim17ROCPRIM_400000_NS6detail17trampoline_kernelINS0_14default_configENS1_35radix_sort_onesweep_config_selectorIddEEZNS1_34radix_sort_onesweep_global_offsetsIS3_Lb0EN6thrust23THRUST_200600_302600_NS6detail15normal_iteratorINS8_10device_ptrIdEEEESD_jNS0_19identity_decomposerEEE10hipError_tT1_T2_PT3_SI_jT4_jjP12ihipStream_tbEUlT_E0_NS1_11comp_targetILNS1_3genE5ELNS1_11target_archE942ELNS1_3gpuE9ELNS1_3repE0EEENS1_52radix_sort_onesweep_histogram_config_static_selectorELNS0_4arch9wavefront6targetE1EEEvSG_.has_recursion, 0
	.set _ZN7rocprim17ROCPRIM_400000_NS6detail17trampoline_kernelINS0_14default_configENS1_35radix_sort_onesweep_config_selectorIddEEZNS1_34radix_sort_onesweep_global_offsetsIS3_Lb0EN6thrust23THRUST_200600_302600_NS6detail15normal_iteratorINS8_10device_ptrIdEEEESD_jNS0_19identity_decomposerEEE10hipError_tT1_T2_PT3_SI_jT4_jjP12ihipStream_tbEUlT_E0_NS1_11comp_targetILNS1_3genE5ELNS1_11target_archE942ELNS1_3gpuE9ELNS1_3repE0EEENS1_52radix_sort_onesweep_histogram_config_static_selectorELNS0_4arch9wavefront6targetE1EEEvSG_.has_indirect_call, 0
	.section	.AMDGPU.csdata,"",@progbits
; Kernel info:
; codeLenInByte = 0
; TotalNumSgprs: 6
; NumVgprs: 0
; NumAgprs: 0
; TotalNumVgprs: 0
; ScratchSize: 0
; MemoryBound: 0
; FloatMode: 240
; IeeeMode: 1
; LDSByteSize: 0 bytes/workgroup (compile time only)
; SGPRBlocks: 0
; VGPRBlocks: 0
; NumSGPRsForWavesPerEU: 6
; NumVGPRsForWavesPerEU: 1
; AccumOffset: 4
; Occupancy: 8
; WaveLimiterHint : 0
; COMPUTE_PGM_RSRC2:SCRATCH_EN: 0
; COMPUTE_PGM_RSRC2:USER_SGPR: 2
; COMPUTE_PGM_RSRC2:TRAP_HANDLER: 0
; COMPUTE_PGM_RSRC2:TGID_X_EN: 1
; COMPUTE_PGM_RSRC2:TGID_Y_EN: 0
; COMPUTE_PGM_RSRC2:TGID_Z_EN: 0
; COMPUTE_PGM_RSRC2:TIDIG_COMP_CNT: 0
; COMPUTE_PGM_RSRC3_GFX90A:ACCUM_OFFSET: 0
; COMPUTE_PGM_RSRC3_GFX90A:TG_SPLIT: 0
	.section	.text._ZN7rocprim17ROCPRIM_400000_NS6detail17trampoline_kernelINS0_14default_configENS1_35radix_sort_onesweep_config_selectorIddEEZNS1_34radix_sort_onesweep_global_offsetsIS3_Lb0EN6thrust23THRUST_200600_302600_NS6detail15normal_iteratorINS8_10device_ptrIdEEEESD_jNS0_19identity_decomposerEEE10hipError_tT1_T2_PT3_SI_jT4_jjP12ihipStream_tbEUlT_E0_NS1_11comp_targetILNS1_3genE2ELNS1_11target_archE906ELNS1_3gpuE6ELNS1_3repE0EEENS1_52radix_sort_onesweep_histogram_config_static_selectorELNS0_4arch9wavefront6targetE1EEEvSG_,"axG",@progbits,_ZN7rocprim17ROCPRIM_400000_NS6detail17trampoline_kernelINS0_14default_configENS1_35radix_sort_onesweep_config_selectorIddEEZNS1_34radix_sort_onesweep_global_offsetsIS3_Lb0EN6thrust23THRUST_200600_302600_NS6detail15normal_iteratorINS8_10device_ptrIdEEEESD_jNS0_19identity_decomposerEEE10hipError_tT1_T2_PT3_SI_jT4_jjP12ihipStream_tbEUlT_E0_NS1_11comp_targetILNS1_3genE2ELNS1_11target_archE906ELNS1_3gpuE6ELNS1_3repE0EEENS1_52radix_sort_onesweep_histogram_config_static_selectorELNS0_4arch9wavefront6targetE1EEEvSG_,comdat
	.protected	_ZN7rocprim17ROCPRIM_400000_NS6detail17trampoline_kernelINS0_14default_configENS1_35radix_sort_onesweep_config_selectorIddEEZNS1_34radix_sort_onesweep_global_offsetsIS3_Lb0EN6thrust23THRUST_200600_302600_NS6detail15normal_iteratorINS8_10device_ptrIdEEEESD_jNS0_19identity_decomposerEEE10hipError_tT1_T2_PT3_SI_jT4_jjP12ihipStream_tbEUlT_E0_NS1_11comp_targetILNS1_3genE2ELNS1_11target_archE906ELNS1_3gpuE6ELNS1_3repE0EEENS1_52radix_sort_onesweep_histogram_config_static_selectorELNS0_4arch9wavefront6targetE1EEEvSG_ ; -- Begin function _ZN7rocprim17ROCPRIM_400000_NS6detail17trampoline_kernelINS0_14default_configENS1_35radix_sort_onesweep_config_selectorIddEEZNS1_34radix_sort_onesweep_global_offsetsIS3_Lb0EN6thrust23THRUST_200600_302600_NS6detail15normal_iteratorINS8_10device_ptrIdEEEESD_jNS0_19identity_decomposerEEE10hipError_tT1_T2_PT3_SI_jT4_jjP12ihipStream_tbEUlT_E0_NS1_11comp_targetILNS1_3genE2ELNS1_11target_archE906ELNS1_3gpuE6ELNS1_3repE0EEENS1_52radix_sort_onesweep_histogram_config_static_selectorELNS0_4arch9wavefront6targetE1EEEvSG_
	.globl	_ZN7rocprim17ROCPRIM_400000_NS6detail17trampoline_kernelINS0_14default_configENS1_35radix_sort_onesweep_config_selectorIddEEZNS1_34radix_sort_onesweep_global_offsetsIS3_Lb0EN6thrust23THRUST_200600_302600_NS6detail15normal_iteratorINS8_10device_ptrIdEEEESD_jNS0_19identity_decomposerEEE10hipError_tT1_T2_PT3_SI_jT4_jjP12ihipStream_tbEUlT_E0_NS1_11comp_targetILNS1_3genE2ELNS1_11target_archE906ELNS1_3gpuE6ELNS1_3repE0EEENS1_52radix_sort_onesweep_histogram_config_static_selectorELNS0_4arch9wavefront6targetE1EEEvSG_
	.p2align	8
	.type	_ZN7rocprim17ROCPRIM_400000_NS6detail17trampoline_kernelINS0_14default_configENS1_35radix_sort_onesweep_config_selectorIddEEZNS1_34radix_sort_onesweep_global_offsetsIS3_Lb0EN6thrust23THRUST_200600_302600_NS6detail15normal_iteratorINS8_10device_ptrIdEEEESD_jNS0_19identity_decomposerEEE10hipError_tT1_T2_PT3_SI_jT4_jjP12ihipStream_tbEUlT_E0_NS1_11comp_targetILNS1_3genE2ELNS1_11target_archE906ELNS1_3gpuE6ELNS1_3repE0EEENS1_52radix_sort_onesweep_histogram_config_static_selectorELNS0_4arch9wavefront6targetE1EEEvSG_,@function
_ZN7rocprim17ROCPRIM_400000_NS6detail17trampoline_kernelINS0_14default_configENS1_35radix_sort_onesweep_config_selectorIddEEZNS1_34radix_sort_onesweep_global_offsetsIS3_Lb0EN6thrust23THRUST_200600_302600_NS6detail15normal_iteratorINS8_10device_ptrIdEEEESD_jNS0_19identity_decomposerEEE10hipError_tT1_T2_PT3_SI_jT4_jjP12ihipStream_tbEUlT_E0_NS1_11comp_targetILNS1_3genE2ELNS1_11target_archE906ELNS1_3gpuE6ELNS1_3repE0EEENS1_52radix_sort_onesweep_histogram_config_static_selectorELNS0_4arch9wavefront6targetE1EEEvSG_: ; @_ZN7rocprim17ROCPRIM_400000_NS6detail17trampoline_kernelINS0_14default_configENS1_35radix_sort_onesweep_config_selectorIddEEZNS1_34radix_sort_onesweep_global_offsetsIS3_Lb0EN6thrust23THRUST_200600_302600_NS6detail15normal_iteratorINS8_10device_ptrIdEEEESD_jNS0_19identity_decomposerEEE10hipError_tT1_T2_PT3_SI_jT4_jjP12ihipStream_tbEUlT_E0_NS1_11comp_targetILNS1_3genE2ELNS1_11target_archE906ELNS1_3gpuE6ELNS1_3repE0EEENS1_52radix_sort_onesweep_histogram_config_static_selectorELNS0_4arch9wavefront6targetE1EEEvSG_
; %bb.0:
	.section	.rodata,"a",@progbits
	.p2align	6, 0x0
	.amdhsa_kernel _ZN7rocprim17ROCPRIM_400000_NS6detail17trampoline_kernelINS0_14default_configENS1_35radix_sort_onesweep_config_selectorIddEEZNS1_34radix_sort_onesweep_global_offsetsIS3_Lb0EN6thrust23THRUST_200600_302600_NS6detail15normal_iteratorINS8_10device_ptrIdEEEESD_jNS0_19identity_decomposerEEE10hipError_tT1_T2_PT3_SI_jT4_jjP12ihipStream_tbEUlT_E0_NS1_11comp_targetILNS1_3genE2ELNS1_11target_archE906ELNS1_3gpuE6ELNS1_3repE0EEENS1_52radix_sort_onesweep_histogram_config_static_selectorELNS0_4arch9wavefront6targetE1EEEvSG_
		.amdhsa_group_segment_fixed_size 0
		.amdhsa_private_segment_fixed_size 0
		.amdhsa_kernarg_size 8
		.amdhsa_user_sgpr_count 2
		.amdhsa_user_sgpr_dispatch_ptr 0
		.amdhsa_user_sgpr_queue_ptr 0
		.amdhsa_user_sgpr_kernarg_segment_ptr 1
		.amdhsa_user_sgpr_dispatch_id 0
		.amdhsa_user_sgpr_kernarg_preload_length 0
		.amdhsa_user_sgpr_kernarg_preload_offset 0
		.amdhsa_user_sgpr_private_segment_size 0
		.amdhsa_uses_dynamic_stack 0
		.amdhsa_enable_private_segment 0
		.amdhsa_system_sgpr_workgroup_id_x 1
		.amdhsa_system_sgpr_workgroup_id_y 0
		.amdhsa_system_sgpr_workgroup_id_z 0
		.amdhsa_system_sgpr_workgroup_info 0
		.amdhsa_system_vgpr_workitem_id 0
		.amdhsa_next_free_vgpr 1
		.amdhsa_next_free_sgpr 0
		.amdhsa_accum_offset 4
		.amdhsa_reserve_vcc 0
		.amdhsa_float_round_mode_32 0
		.amdhsa_float_round_mode_16_64 0
		.amdhsa_float_denorm_mode_32 3
		.amdhsa_float_denorm_mode_16_64 3
		.amdhsa_dx10_clamp 1
		.amdhsa_ieee_mode 1
		.amdhsa_fp16_overflow 0
		.amdhsa_tg_split 0
		.amdhsa_exception_fp_ieee_invalid_op 0
		.amdhsa_exception_fp_denorm_src 0
		.amdhsa_exception_fp_ieee_div_zero 0
		.amdhsa_exception_fp_ieee_overflow 0
		.amdhsa_exception_fp_ieee_underflow 0
		.amdhsa_exception_fp_ieee_inexact 0
		.amdhsa_exception_int_div_zero 0
	.end_amdhsa_kernel
	.section	.text._ZN7rocprim17ROCPRIM_400000_NS6detail17trampoline_kernelINS0_14default_configENS1_35radix_sort_onesweep_config_selectorIddEEZNS1_34radix_sort_onesweep_global_offsetsIS3_Lb0EN6thrust23THRUST_200600_302600_NS6detail15normal_iteratorINS8_10device_ptrIdEEEESD_jNS0_19identity_decomposerEEE10hipError_tT1_T2_PT3_SI_jT4_jjP12ihipStream_tbEUlT_E0_NS1_11comp_targetILNS1_3genE2ELNS1_11target_archE906ELNS1_3gpuE6ELNS1_3repE0EEENS1_52radix_sort_onesweep_histogram_config_static_selectorELNS0_4arch9wavefront6targetE1EEEvSG_,"axG",@progbits,_ZN7rocprim17ROCPRIM_400000_NS6detail17trampoline_kernelINS0_14default_configENS1_35radix_sort_onesweep_config_selectorIddEEZNS1_34radix_sort_onesweep_global_offsetsIS3_Lb0EN6thrust23THRUST_200600_302600_NS6detail15normal_iteratorINS8_10device_ptrIdEEEESD_jNS0_19identity_decomposerEEE10hipError_tT1_T2_PT3_SI_jT4_jjP12ihipStream_tbEUlT_E0_NS1_11comp_targetILNS1_3genE2ELNS1_11target_archE906ELNS1_3gpuE6ELNS1_3repE0EEENS1_52radix_sort_onesweep_histogram_config_static_selectorELNS0_4arch9wavefront6targetE1EEEvSG_,comdat
.Lfunc_end94:
	.size	_ZN7rocprim17ROCPRIM_400000_NS6detail17trampoline_kernelINS0_14default_configENS1_35radix_sort_onesweep_config_selectorIddEEZNS1_34radix_sort_onesweep_global_offsetsIS3_Lb0EN6thrust23THRUST_200600_302600_NS6detail15normal_iteratorINS8_10device_ptrIdEEEESD_jNS0_19identity_decomposerEEE10hipError_tT1_T2_PT3_SI_jT4_jjP12ihipStream_tbEUlT_E0_NS1_11comp_targetILNS1_3genE2ELNS1_11target_archE906ELNS1_3gpuE6ELNS1_3repE0EEENS1_52radix_sort_onesweep_histogram_config_static_selectorELNS0_4arch9wavefront6targetE1EEEvSG_, .Lfunc_end94-_ZN7rocprim17ROCPRIM_400000_NS6detail17trampoline_kernelINS0_14default_configENS1_35radix_sort_onesweep_config_selectorIddEEZNS1_34radix_sort_onesweep_global_offsetsIS3_Lb0EN6thrust23THRUST_200600_302600_NS6detail15normal_iteratorINS8_10device_ptrIdEEEESD_jNS0_19identity_decomposerEEE10hipError_tT1_T2_PT3_SI_jT4_jjP12ihipStream_tbEUlT_E0_NS1_11comp_targetILNS1_3genE2ELNS1_11target_archE906ELNS1_3gpuE6ELNS1_3repE0EEENS1_52radix_sort_onesweep_histogram_config_static_selectorELNS0_4arch9wavefront6targetE1EEEvSG_
                                        ; -- End function
	.set _ZN7rocprim17ROCPRIM_400000_NS6detail17trampoline_kernelINS0_14default_configENS1_35radix_sort_onesweep_config_selectorIddEEZNS1_34radix_sort_onesweep_global_offsetsIS3_Lb0EN6thrust23THRUST_200600_302600_NS6detail15normal_iteratorINS8_10device_ptrIdEEEESD_jNS0_19identity_decomposerEEE10hipError_tT1_T2_PT3_SI_jT4_jjP12ihipStream_tbEUlT_E0_NS1_11comp_targetILNS1_3genE2ELNS1_11target_archE906ELNS1_3gpuE6ELNS1_3repE0EEENS1_52radix_sort_onesweep_histogram_config_static_selectorELNS0_4arch9wavefront6targetE1EEEvSG_.num_vgpr, 0
	.set _ZN7rocprim17ROCPRIM_400000_NS6detail17trampoline_kernelINS0_14default_configENS1_35radix_sort_onesweep_config_selectorIddEEZNS1_34radix_sort_onesweep_global_offsetsIS3_Lb0EN6thrust23THRUST_200600_302600_NS6detail15normal_iteratorINS8_10device_ptrIdEEEESD_jNS0_19identity_decomposerEEE10hipError_tT1_T2_PT3_SI_jT4_jjP12ihipStream_tbEUlT_E0_NS1_11comp_targetILNS1_3genE2ELNS1_11target_archE906ELNS1_3gpuE6ELNS1_3repE0EEENS1_52radix_sort_onesweep_histogram_config_static_selectorELNS0_4arch9wavefront6targetE1EEEvSG_.num_agpr, 0
	.set _ZN7rocprim17ROCPRIM_400000_NS6detail17trampoline_kernelINS0_14default_configENS1_35radix_sort_onesweep_config_selectorIddEEZNS1_34radix_sort_onesweep_global_offsetsIS3_Lb0EN6thrust23THRUST_200600_302600_NS6detail15normal_iteratorINS8_10device_ptrIdEEEESD_jNS0_19identity_decomposerEEE10hipError_tT1_T2_PT3_SI_jT4_jjP12ihipStream_tbEUlT_E0_NS1_11comp_targetILNS1_3genE2ELNS1_11target_archE906ELNS1_3gpuE6ELNS1_3repE0EEENS1_52radix_sort_onesweep_histogram_config_static_selectorELNS0_4arch9wavefront6targetE1EEEvSG_.numbered_sgpr, 0
	.set _ZN7rocprim17ROCPRIM_400000_NS6detail17trampoline_kernelINS0_14default_configENS1_35radix_sort_onesweep_config_selectorIddEEZNS1_34radix_sort_onesweep_global_offsetsIS3_Lb0EN6thrust23THRUST_200600_302600_NS6detail15normal_iteratorINS8_10device_ptrIdEEEESD_jNS0_19identity_decomposerEEE10hipError_tT1_T2_PT3_SI_jT4_jjP12ihipStream_tbEUlT_E0_NS1_11comp_targetILNS1_3genE2ELNS1_11target_archE906ELNS1_3gpuE6ELNS1_3repE0EEENS1_52radix_sort_onesweep_histogram_config_static_selectorELNS0_4arch9wavefront6targetE1EEEvSG_.num_named_barrier, 0
	.set _ZN7rocprim17ROCPRIM_400000_NS6detail17trampoline_kernelINS0_14default_configENS1_35radix_sort_onesweep_config_selectorIddEEZNS1_34radix_sort_onesweep_global_offsetsIS3_Lb0EN6thrust23THRUST_200600_302600_NS6detail15normal_iteratorINS8_10device_ptrIdEEEESD_jNS0_19identity_decomposerEEE10hipError_tT1_T2_PT3_SI_jT4_jjP12ihipStream_tbEUlT_E0_NS1_11comp_targetILNS1_3genE2ELNS1_11target_archE906ELNS1_3gpuE6ELNS1_3repE0EEENS1_52radix_sort_onesweep_histogram_config_static_selectorELNS0_4arch9wavefront6targetE1EEEvSG_.private_seg_size, 0
	.set _ZN7rocprim17ROCPRIM_400000_NS6detail17trampoline_kernelINS0_14default_configENS1_35radix_sort_onesweep_config_selectorIddEEZNS1_34radix_sort_onesweep_global_offsetsIS3_Lb0EN6thrust23THRUST_200600_302600_NS6detail15normal_iteratorINS8_10device_ptrIdEEEESD_jNS0_19identity_decomposerEEE10hipError_tT1_T2_PT3_SI_jT4_jjP12ihipStream_tbEUlT_E0_NS1_11comp_targetILNS1_3genE2ELNS1_11target_archE906ELNS1_3gpuE6ELNS1_3repE0EEENS1_52radix_sort_onesweep_histogram_config_static_selectorELNS0_4arch9wavefront6targetE1EEEvSG_.uses_vcc, 0
	.set _ZN7rocprim17ROCPRIM_400000_NS6detail17trampoline_kernelINS0_14default_configENS1_35radix_sort_onesweep_config_selectorIddEEZNS1_34radix_sort_onesweep_global_offsetsIS3_Lb0EN6thrust23THRUST_200600_302600_NS6detail15normal_iteratorINS8_10device_ptrIdEEEESD_jNS0_19identity_decomposerEEE10hipError_tT1_T2_PT3_SI_jT4_jjP12ihipStream_tbEUlT_E0_NS1_11comp_targetILNS1_3genE2ELNS1_11target_archE906ELNS1_3gpuE6ELNS1_3repE0EEENS1_52radix_sort_onesweep_histogram_config_static_selectorELNS0_4arch9wavefront6targetE1EEEvSG_.uses_flat_scratch, 0
	.set _ZN7rocprim17ROCPRIM_400000_NS6detail17trampoline_kernelINS0_14default_configENS1_35radix_sort_onesweep_config_selectorIddEEZNS1_34radix_sort_onesweep_global_offsetsIS3_Lb0EN6thrust23THRUST_200600_302600_NS6detail15normal_iteratorINS8_10device_ptrIdEEEESD_jNS0_19identity_decomposerEEE10hipError_tT1_T2_PT3_SI_jT4_jjP12ihipStream_tbEUlT_E0_NS1_11comp_targetILNS1_3genE2ELNS1_11target_archE906ELNS1_3gpuE6ELNS1_3repE0EEENS1_52radix_sort_onesweep_histogram_config_static_selectorELNS0_4arch9wavefront6targetE1EEEvSG_.has_dyn_sized_stack, 0
	.set _ZN7rocprim17ROCPRIM_400000_NS6detail17trampoline_kernelINS0_14default_configENS1_35radix_sort_onesweep_config_selectorIddEEZNS1_34radix_sort_onesweep_global_offsetsIS3_Lb0EN6thrust23THRUST_200600_302600_NS6detail15normal_iteratorINS8_10device_ptrIdEEEESD_jNS0_19identity_decomposerEEE10hipError_tT1_T2_PT3_SI_jT4_jjP12ihipStream_tbEUlT_E0_NS1_11comp_targetILNS1_3genE2ELNS1_11target_archE906ELNS1_3gpuE6ELNS1_3repE0EEENS1_52radix_sort_onesweep_histogram_config_static_selectorELNS0_4arch9wavefront6targetE1EEEvSG_.has_recursion, 0
	.set _ZN7rocprim17ROCPRIM_400000_NS6detail17trampoline_kernelINS0_14default_configENS1_35radix_sort_onesweep_config_selectorIddEEZNS1_34radix_sort_onesweep_global_offsetsIS3_Lb0EN6thrust23THRUST_200600_302600_NS6detail15normal_iteratorINS8_10device_ptrIdEEEESD_jNS0_19identity_decomposerEEE10hipError_tT1_T2_PT3_SI_jT4_jjP12ihipStream_tbEUlT_E0_NS1_11comp_targetILNS1_3genE2ELNS1_11target_archE906ELNS1_3gpuE6ELNS1_3repE0EEENS1_52radix_sort_onesweep_histogram_config_static_selectorELNS0_4arch9wavefront6targetE1EEEvSG_.has_indirect_call, 0
	.section	.AMDGPU.csdata,"",@progbits
; Kernel info:
; codeLenInByte = 0
; TotalNumSgprs: 6
; NumVgprs: 0
; NumAgprs: 0
; TotalNumVgprs: 0
; ScratchSize: 0
; MemoryBound: 0
; FloatMode: 240
; IeeeMode: 1
; LDSByteSize: 0 bytes/workgroup (compile time only)
; SGPRBlocks: 0
; VGPRBlocks: 0
; NumSGPRsForWavesPerEU: 6
; NumVGPRsForWavesPerEU: 1
; AccumOffset: 4
; Occupancy: 8
; WaveLimiterHint : 0
; COMPUTE_PGM_RSRC2:SCRATCH_EN: 0
; COMPUTE_PGM_RSRC2:USER_SGPR: 2
; COMPUTE_PGM_RSRC2:TRAP_HANDLER: 0
; COMPUTE_PGM_RSRC2:TGID_X_EN: 1
; COMPUTE_PGM_RSRC2:TGID_Y_EN: 0
; COMPUTE_PGM_RSRC2:TGID_Z_EN: 0
; COMPUTE_PGM_RSRC2:TIDIG_COMP_CNT: 0
; COMPUTE_PGM_RSRC3_GFX90A:ACCUM_OFFSET: 0
; COMPUTE_PGM_RSRC3_GFX90A:TG_SPLIT: 0
	.section	.text._ZN7rocprim17ROCPRIM_400000_NS6detail17trampoline_kernelINS0_14default_configENS1_35radix_sort_onesweep_config_selectorIddEEZNS1_34radix_sort_onesweep_global_offsetsIS3_Lb0EN6thrust23THRUST_200600_302600_NS6detail15normal_iteratorINS8_10device_ptrIdEEEESD_jNS0_19identity_decomposerEEE10hipError_tT1_T2_PT3_SI_jT4_jjP12ihipStream_tbEUlT_E0_NS1_11comp_targetILNS1_3genE4ELNS1_11target_archE910ELNS1_3gpuE8ELNS1_3repE0EEENS1_52radix_sort_onesweep_histogram_config_static_selectorELNS0_4arch9wavefront6targetE1EEEvSG_,"axG",@progbits,_ZN7rocprim17ROCPRIM_400000_NS6detail17trampoline_kernelINS0_14default_configENS1_35radix_sort_onesweep_config_selectorIddEEZNS1_34radix_sort_onesweep_global_offsetsIS3_Lb0EN6thrust23THRUST_200600_302600_NS6detail15normal_iteratorINS8_10device_ptrIdEEEESD_jNS0_19identity_decomposerEEE10hipError_tT1_T2_PT3_SI_jT4_jjP12ihipStream_tbEUlT_E0_NS1_11comp_targetILNS1_3genE4ELNS1_11target_archE910ELNS1_3gpuE8ELNS1_3repE0EEENS1_52radix_sort_onesweep_histogram_config_static_selectorELNS0_4arch9wavefront6targetE1EEEvSG_,comdat
	.protected	_ZN7rocprim17ROCPRIM_400000_NS6detail17trampoline_kernelINS0_14default_configENS1_35radix_sort_onesweep_config_selectorIddEEZNS1_34radix_sort_onesweep_global_offsetsIS3_Lb0EN6thrust23THRUST_200600_302600_NS6detail15normal_iteratorINS8_10device_ptrIdEEEESD_jNS0_19identity_decomposerEEE10hipError_tT1_T2_PT3_SI_jT4_jjP12ihipStream_tbEUlT_E0_NS1_11comp_targetILNS1_3genE4ELNS1_11target_archE910ELNS1_3gpuE8ELNS1_3repE0EEENS1_52radix_sort_onesweep_histogram_config_static_selectorELNS0_4arch9wavefront6targetE1EEEvSG_ ; -- Begin function _ZN7rocprim17ROCPRIM_400000_NS6detail17trampoline_kernelINS0_14default_configENS1_35radix_sort_onesweep_config_selectorIddEEZNS1_34radix_sort_onesweep_global_offsetsIS3_Lb0EN6thrust23THRUST_200600_302600_NS6detail15normal_iteratorINS8_10device_ptrIdEEEESD_jNS0_19identity_decomposerEEE10hipError_tT1_T2_PT3_SI_jT4_jjP12ihipStream_tbEUlT_E0_NS1_11comp_targetILNS1_3genE4ELNS1_11target_archE910ELNS1_3gpuE8ELNS1_3repE0EEENS1_52radix_sort_onesweep_histogram_config_static_selectorELNS0_4arch9wavefront6targetE1EEEvSG_
	.globl	_ZN7rocprim17ROCPRIM_400000_NS6detail17trampoline_kernelINS0_14default_configENS1_35radix_sort_onesweep_config_selectorIddEEZNS1_34radix_sort_onesweep_global_offsetsIS3_Lb0EN6thrust23THRUST_200600_302600_NS6detail15normal_iteratorINS8_10device_ptrIdEEEESD_jNS0_19identity_decomposerEEE10hipError_tT1_T2_PT3_SI_jT4_jjP12ihipStream_tbEUlT_E0_NS1_11comp_targetILNS1_3genE4ELNS1_11target_archE910ELNS1_3gpuE8ELNS1_3repE0EEENS1_52radix_sort_onesweep_histogram_config_static_selectorELNS0_4arch9wavefront6targetE1EEEvSG_
	.p2align	8
	.type	_ZN7rocprim17ROCPRIM_400000_NS6detail17trampoline_kernelINS0_14default_configENS1_35radix_sort_onesweep_config_selectorIddEEZNS1_34radix_sort_onesweep_global_offsetsIS3_Lb0EN6thrust23THRUST_200600_302600_NS6detail15normal_iteratorINS8_10device_ptrIdEEEESD_jNS0_19identity_decomposerEEE10hipError_tT1_T2_PT3_SI_jT4_jjP12ihipStream_tbEUlT_E0_NS1_11comp_targetILNS1_3genE4ELNS1_11target_archE910ELNS1_3gpuE8ELNS1_3repE0EEENS1_52radix_sort_onesweep_histogram_config_static_selectorELNS0_4arch9wavefront6targetE1EEEvSG_,@function
_ZN7rocprim17ROCPRIM_400000_NS6detail17trampoline_kernelINS0_14default_configENS1_35radix_sort_onesweep_config_selectorIddEEZNS1_34radix_sort_onesweep_global_offsetsIS3_Lb0EN6thrust23THRUST_200600_302600_NS6detail15normal_iteratorINS8_10device_ptrIdEEEESD_jNS0_19identity_decomposerEEE10hipError_tT1_T2_PT3_SI_jT4_jjP12ihipStream_tbEUlT_E0_NS1_11comp_targetILNS1_3genE4ELNS1_11target_archE910ELNS1_3gpuE8ELNS1_3repE0EEENS1_52radix_sort_onesweep_histogram_config_static_selectorELNS0_4arch9wavefront6targetE1EEEvSG_: ; @_ZN7rocprim17ROCPRIM_400000_NS6detail17trampoline_kernelINS0_14default_configENS1_35radix_sort_onesweep_config_selectorIddEEZNS1_34radix_sort_onesweep_global_offsetsIS3_Lb0EN6thrust23THRUST_200600_302600_NS6detail15normal_iteratorINS8_10device_ptrIdEEEESD_jNS0_19identity_decomposerEEE10hipError_tT1_T2_PT3_SI_jT4_jjP12ihipStream_tbEUlT_E0_NS1_11comp_targetILNS1_3genE4ELNS1_11target_archE910ELNS1_3gpuE8ELNS1_3repE0EEENS1_52radix_sort_onesweep_histogram_config_static_selectorELNS0_4arch9wavefront6targetE1EEEvSG_
; %bb.0:
	.section	.rodata,"a",@progbits
	.p2align	6, 0x0
	.amdhsa_kernel _ZN7rocprim17ROCPRIM_400000_NS6detail17trampoline_kernelINS0_14default_configENS1_35radix_sort_onesweep_config_selectorIddEEZNS1_34radix_sort_onesweep_global_offsetsIS3_Lb0EN6thrust23THRUST_200600_302600_NS6detail15normal_iteratorINS8_10device_ptrIdEEEESD_jNS0_19identity_decomposerEEE10hipError_tT1_T2_PT3_SI_jT4_jjP12ihipStream_tbEUlT_E0_NS1_11comp_targetILNS1_3genE4ELNS1_11target_archE910ELNS1_3gpuE8ELNS1_3repE0EEENS1_52radix_sort_onesweep_histogram_config_static_selectorELNS0_4arch9wavefront6targetE1EEEvSG_
		.amdhsa_group_segment_fixed_size 0
		.amdhsa_private_segment_fixed_size 0
		.amdhsa_kernarg_size 8
		.amdhsa_user_sgpr_count 2
		.amdhsa_user_sgpr_dispatch_ptr 0
		.amdhsa_user_sgpr_queue_ptr 0
		.amdhsa_user_sgpr_kernarg_segment_ptr 1
		.amdhsa_user_sgpr_dispatch_id 0
		.amdhsa_user_sgpr_kernarg_preload_length 0
		.amdhsa_user_sgpr_kernarg_preload_offset 0
		.amdhsa_user_sgpr_private_segment_size 0
		.amdhsa_uses_dynamic_stack 0
		.amdhsa_enable_private_segment 0
		.amdhsa_system_sgpr_workgroup_id_x 1
		.amdhsa_system_sgpr_workgroup_id_y 0
		.amdhsa_system_sgpr_workgroup_id_z 0
		.amdhsa_system_sgpr_workgroup_info 0
		.amdhsa_system_vgpr_workitem_id 0
		.amdhsa_next_free_vgpr 1
		.amdhsa_next_free_sgpr 0
		.amdhsa_accum_offset 4
		.amdhsa_reserve_vcc 0
		.amdhsa_float_round_mode_32 0
		.amdhsa_float_round_mode_16_64 0
		.amdhsa_float_denorm_mode_32 3
		.amdhsa_float_denorm_mode_16_64 3
		.amdhsa_dx10_clamp 1
		.amdhsa_ieee_mode 1
		.amdhsa_fp16_overflow 0
		.amdhsa_tg_split 0
		.amdhsa_exception_fp_ieee_invalid_op 0
		.amdhsa_exception_fp_denorm_src 0
		.amdhsa_exception_fp_ieee_div_zero 0
		.amdhsa_exception_fp_ieee_overflow 0
		.amdhsa_exception_fp_ieee_underflow 0
		.amdhsa_exception_fp_ieee_inexact 0
		.amdhsa_exception_int_div_zero 0
	.end_amdhsa_kernel
	.section	.text._ZN7rocprim17ROCPRIM_400000_NS6detail17trampoline_kernelINS0_14default_configENS1_35radix_sort_onesweep_config_selectorIddEEZNS1_34radix_sort_onesweep_global_offsetsIS3_Lb0EN6thrust23THRUST_200600_302600_NS6detail15normal_iteratorINS8_10device_ptrIdEEEESD_jNS0_19identity_decomposerEEE10hipError_tT1_T2_PT3_SI_jT4_jjP12ihipStream_tbEUlT_E0_NS1_11comp_targetILNS1_3genE4ELNS1_11target_archE910ELNS1_3gpuE8ELNS1_3repE0EEENS1_52radix_sort_onesweep_histogram_config_static_selectorELNS0_4arch9wavefront6targetE1EEEvSG_,"axG",@progbits,_ZN7rocprim17ROCPRIM_400000_NS6detail17trampoline_kernelINS0_14default_configENS1_35radix_sort_onesweep_config_selectorIddEEZNS1_34radix_sort_onesweep_global_offsetsIS3_Lb0EN6thrust23THRUST_200600_302600_NS6detail15normal_iteratorINS8_10device_ptrIdEEEESD_jNS0_19identity_decomposerEEE10hipError_tT1_T2_PT3_SI_jT4_jjP12ihipStream_tbEUlT_E0_NS1_11comp_targetILNS1_3genE4ELNS1_11target_archE910ELNS1_3gpuE8ELNS1_3repE0EEENS1_52radix_sort_onesweep_histogram_config_static_selectorELNS0_4arch9wavefront6targetE1EEEvSG_,comdat
.Lfunc_end95:
	.size	_ZN7rocprim17ROCPRIM_400000_NS6detail17trampoline_kernelINS0_14default_configENS1_35radix_sort_onesweep_config_selectorIddEEZNS1_34radix_sort_onesweep_global_offsetsIS3_Lb0EN6thrust23THRUST_200600_302600_NS6detail15normal_iteratorINS8_10device_ptrIdEEEESD_jNS0_19identity_decomposerEEE10hipError_tT1_T2_PT3_SI_jT4_jjP12ihipStream_tbEUlT_E0_NS1_11comp_targetILNS1_3genE4ELNS1_11target_archE910ELNS1_3gpuE8ELNS1_3repE0EEENS1_52radix_sort_onesweep_histogram_config_static_selectorELNS0_4arch9wavefront6targetE1EEEvSG_, .Lfunc_end95-_ZN7rocprim17ROCPRIM_400000_NS6detail17trampoline_kernelINS0_14default_configENS1_35radix_sort_onesweep_config_selectorIddEEZNS1_34radix_sort_onesweep_global_offsetsIS3_Lb0EN6thrust23THRUST_200600_302600_NS6detail15normal_iteratorINS8_10device_ptrIdEEEESD_jNS0_19identity_decomposerEEE10hipError_tT1_T2_PT3_SI_jT4_jjP12ihipStream_tbEUlT_E0_NS1_11comp_targetILNS1_3genE4ELNS1_11target_archE910ELNS1_3gpuE8ELNS1_3repE0EEENS1_52radix_sort_onesweep_histogram_config_static_selectorELNS0_4arch9wavefront6targetE1EEEvSG_
                                        ; -- End function
	.set _ZN7rocprim17ROCPRIM_400000_NS6detail17trampoline_kernelINS0_14default_configENS1_35radix_sort_onesweep_config_selectorIddEEZNS1_34radix_sort_onesweep_global_offsetsIS3_Lb0EN6thrust23THRUST_200600_302600_NS6detail15normal_iteratorINS8_10device_ptrIdEEEESD_jNS0_19identity_decomposerEEE10hipError_tT1_T2_PT3_SI_jT4_jjP12ihipStream_tbEUlT_E0_NS1_11comp_targetILNS1_3genE4ELNS1_11target_archE910ELNS1_3gpuE8ELNS1_3repE0EEENS1_52radix_sort_onesweep_histogram_config_static_selectorELNS0_4arch9wavefront6targetE1EEEvSG_.num_vgpr, 0
	.set _ZN7rocprim17ROCPRIM_400000_NS6detail17trampoline_kernelINS0_14default_configENS1_35radix_sort_onesweep_config_selectorIddEEZNS1_34radix_sort_onesweep_global_offsetsIS3_Lb0EN6thrust23THRUST_200600_302600_NS6detail15normal_iteratorINS8_10device_ptrIdEEEESD_jNS0_19identity_decomposerEEE10hipError_tT1_T2_PT3_SI_jT4_jjP12ihipStream_tbEUlT_E0_NS1_11comp_targetILNS1_3genE4ELNS1_11target_archE910ELNS1_3gpuE8ELNS1_3repE0EEENS1_52radix_sort_onesweep_histogram_config_static_selectorELNS0_4arch9wavefront6targetE1EEEvSG_.num_agpr, 0
	.set _ZN7rocprim17ROCPRIM_400000_NS6detail17trampoline_kernelINS0_14default_configENS1_35radix_sort_onesweep_config_selectorIddEEZNS1_34radix_sort_onesweep_global_offsetsIS3_Lb0EN6thrust23THRUST_200600_302600_NS6detail15normal_iteratorINS8_10device_ptrIdEEEESD_jNS0_19identity_decomposerEEE10hipError_tT1_T2_PT3_SI_jT4_jjP12ihipStream_tbEUlT_E0_NS1_11comp_targetILNS1_3genE4ELNS1_11target_archE910ELNS1_3gpuE8ELNS1_3repE0EEENS1_52radix_sort_onesweep_histogram_config_static_selectorELNS0_4arch9wavefront6targetE1EEEvSG_.numbered_sgpr, 0
	.set _ZN7rocprim17ROCPRIM_400000_NS6detail17trampoline_kernelINS0_14default_configENS1_35radix_sort_onesweep_config_selectorIddEEZNS1_34radix_sort_onesweep_global_offsetsIS3_Lb0EN6thrust23THRUST_200600_302600_NS6detail15normal_iteratorINS8_10device_ptrIdEEEESD_jNS0_19identity_decomposerEEE10hipError_tT1_T2_PT3_SI_jT4_jjP12ihipStream_tbEUlT_E0_NS1_11comp_targetILNS1_3genE4ELNS1_11target_archE910ELNS1_3gpuE8ELNS1_3repE0EEENS1_52radix_sort_onesweep_histogram_config_static_selectorELNS0_4arch9wavefront6targetE1EEEvSG_.num_named_barrier, 0
	.set _ZN7rocprim17ROCPRIM_400000_NS6detail17trampoline_kernelINS0_14default_configENS1_35radix_sort_onesweep_config_selectorIddEEZNS1_34radix_sort_onesweep_global_offsetsIS3_Lb0EN6thrust23THRUST_200600_302600_NS6detail15normal_iteratorINS8_10device_ptrIdEEEESD_jNS0_19identity_decomposerEEE10hipError_tT1_T2_PT3_SI_jT4_jjP12ihipStream_tbEUlT_E0_NS1_11comp_targetILNS1_3genE4ELNS1_11target_archE910ELNS1_3gpuE8ELNS1_3repE0EEENS1_52radix_sort_onesweep_histogram_config_static_selectorELNS0_4arch9wavefront6targetE1EEEvSG_.private_seg_size, 0
	.set _ZN7rocprim17ROCPRIM_400000_NS6detail17trampoline_kernelINS0_14default_configENS1_35radix_sort_onesweep_config_selectorIddEEZNS1_34radix_sort_onesweep_global_offsetsIS3_Lb0EN6thrust23THRUST_200600_302600_NS6detail15normal_iteratorINS8_10device_ptrIdEEEESD_jNS0_19identity_decomposerEEE10hipError_tT1_T2_PT3_SI_jT4_jjP12ihipStream_tbEUlT_E0_NS1_11comp_targetILNS1_3genE4ELNS1_11target_archE910ELNS1_3gpuE8ELNS1_3repE0EEENS1_52radix_sort_onesweep_histogram_config_static_selectorELNS0_4arch9wavefront6targetE1EEEvSG_.uses_vcc, 0
	.set _ZN7rocprim17ROCPRIM_400000_NS6detail17trampoline_kernelINS0_14default_configENS1_35radix_sort_onesweep_config_selectorIddEEZNS1_34radix_sort_onesweep_global_offsetsIS3_Lb0EN6thrust23THRUST_200600_302600_NS6detail15normal_iteratorINS8_10device_ptrIdEEEESD_jNS0_19identity_decomposerEEE10hipError_tT1_T2_PT3_SI_jT4_jjP12ihipStream_tbEUlT_E0_NS1_11comp_targetILNS1_3genE4ELNS1_11target_archE910ELNS1_3gpuE8ELNS1_3repE0EEENS1_52radix_sort_onesweep_histogram_config_static_selectorELNS0_4arch9wavefront6targetE1EEEvSG_.uses_flat_scratch, 0
	.set _ZN7rocprim17ROCPRIM_400000_NS6detail17trampoline_kernelINS0_14default_configENS1_35radix_sort_onesweep_config_selectorIddEEZNS1_34radix_sort_onesweep_global_offsetsIS3_Lb0EN6thrust23THRUST_200600_302600_NS6detail15normal_iteratorINS8_10device_ptrIdEEEESD_jNS0_19identity_decomposerEEE10hipError_tT1_T2_PT3_SI_jT4_jjP12ihipStream_tbEUlT_E0_NS1_11comp_targetILNS1_3genE4ELNS1_11target_archE910ELNS1_3gpuE8ELNS1_3repE0EEENS1_52radix_sort_onesweep_histogram_config_static_selectorELNS0_4arch9wavefront6targetE1EEEvSG_.has_dyn_sized_stack, 0
	.set _ZN7rocprim17ROCPRIM_400000_NS6detail17trampoline_kernelINS0_14default_configENS1_35radix_sort_onesweep_config_selectorIddEEZNS1_34radix_sort_onesweep_global_offsetsIS3_Lb0EN6thrust23THRUST_200600_302600_NS6detail15normal_iteratorINS8_10device_ptrIdEEEESD_jNS0_19identity_decomposerEEE10hipError_tT1_T2_PT3_SI_jT4_jjP12ihipStream_tbEUlT_E0_NS1_11comp_targetILNS1_3genE4ELNS1_11target_archE910ELNS1_3gpuE8ELNS1_3repE0EEENS1_52radix_sort_onesweep_histogram_config_static_selectorELNS0_4arch9wavefront6targetE1EEEvSG_.has_recursion, 0
	.set _ZN7rocprim17ROCPRIM_400000_NS6detail17trampoline_kernelINS0_14default_configENS1_35radix_sort_onesweep_config_selectorIddEEZNS1_34radix_sort_onesweep_global_offsetsIS3_Lb0EN6thrust23THRUST_200600_302600_NS6detail15normal_iteratorINS8_10device_ptrIdEEEESD_jNS0_19identity_decomposerEEE10hipError_tT1_T2_PT3_SI_jT4_jjP12ihipStream_tbEUlT_E0_NS1_11comp_targetILNS1_3genE4ELNS1_11target_archE910ELNS1_3gpuE8ELNS1_3repE0EEENS1_52radix_sort_onesweep_histogram_config_static_selectorELNS0_4arch9wavefront6targetE1EEEvSG_.has_indirect_call, 0
	.section	.AMDGPU.csdata,"",@progbits
; Kernel info:
; codeLenInByte = 0
; TotalNumSgprs: 6
; NumVgprs: 0
; NumAgprs: 0
; TotalNumVgprs: 0
; ScratchSize: 0
; MemoryBound: 0
; FloatMode: 240
; IeeeMode: 1
; LDSByteSize: 0 bytes/workgroup (compile time only)
; SGPRBlocks: 0
; VGPRBlocks: 0
; NumSGPRsForWavesPerEU: 6
; NumVGPRsForWavesPerEU: 1
; AccumOffset: 4
; Occupancy: 8
; WaveLimiterHint : 0
; COMPUTE_PGM_RSRC2:SCRATCH_EN: 0
; COMPUTE_PGM_RSRC2:USER_SGPR: 2
; COMPUTE_PGM_RSRC2:TRAP_HANDLER: 0
; COMPUTE_PGM_RSRC2:TGID_X_EN: 1
; COMPUTE_PGM_RSRC2:TGID_Y_EN: 0
; COMPUTE_PGM_RSRC2:TGID_Z_EN: 0
; COMPUTE_PGM_RSRC2:TIDIG_COMP_CNT: 0
; COMPUTE_PGM_RSRC3_GFX90A:ACCUM_OFFSET: 0
; COMPUTE_PGM_RSRC3_GFX90A:TG_SPLIT: 0
	.section	.text._ZN7rocprim17ROCPRIM_400000_NS6detail17trampoline_kernelINS0_14default_configENS1_35radix_sort_onesweep_config_selectorIddEEZNS1_34radix_sort_onesweep_global_offsetsIS3_Lb0EN6thrust23THRUST_200600_302600_NS6detail15normal_iteratorINS8_10device_ptrIdEEEESD_jNS0_19identity_decomposerEEE10hipError_tT1_T2_PT3_SI_jT4_jjP12ihipStream_tbEUlT_E0_NS1_11comp_targetILNS1_3genE3ELNS1_11target_archE908ELNS1_3gpuE7ELNS1_3repE0EEENS1_52radix_sort_onesweep_histogram_config_static_selectorELNS0_4arch9wavefront6targetE1EEEvSG_,"axG",@progbits,_ZN7rocprim17ROCPRIM_400000_NS6detail17trampoline_kernelINS0_14default_configENS1_35radix_sort_onesweep_config_selectorIddEEZNS1_34radix_sort_onesweep_global_offsetsIS3_Lb0EN6thrust23THRUST_200600_302600_NS6detail15normal_iteratorINS8_10device_ptrIdEEEESD_jNS0_19identity_decomposerEEE10hipError_tT1_T2_PT3_SI_jT4_jjP12ihipStream_tbEUlT_E0_NS1_11comp_targetILNS1_3genE3ELNS1_11target_archE908ELNS1_3gpuE7ELNS1_3repE0EEENS1_52radix_sort_onesweep_histogram_config_static_selectorELNS0_4arch9wavefront6targetE1EEEvSG_,comdat
	.protected	_ZN7rocprim17ROCPRIM_400000_NS6detail17trampoline_kernelINS0_14default_configENS1_35radix_sort_onesweep_config_selectorIddEEZNS1_34radix_sort_onesweep_global_offsetsIS3_Lb0EN6thrust23THRUST_200600_302600_NS6detail15normal_iteratorINS8_10device_ptrIdEEEESD_jNS0_19identity_decomposerEEE10hipError_tT1_T2_PT3_SI_jT4_jjP12ihipStream_tbEUlT_E0_NS1_11comp_targetILNS1_3genE3ELNS1_11target_archE908ELNS1_3gpuE7ELNS1_3repE0EEENS1_52radix_sort_onesweep_histogram_config_static_selectorELNS0_4arch9wavefront6targetE1EEEvSG_ ; -- Begin function _ZN7rocprim17ROCPRIM_400000_NS6detail17trampoline_kernelINS0_14default_configENS1_35radix_sort_onesweep_config_selectorIddEEZNS1_34radix_sort_onesweep_global_offsetsIS3_Lb0EN6thrust23THRUST_200600_302600_NS6detail15normal_iteratorINS8_10device_ptrIdEEEESD_jNS0_19identity_decomposerEEE10hipError_tT1_T2_PT3_SI_jT4_jjP12ihipStream_tbEUlT_E0_NS1_11comp_targetILNS1_3genE3ELNS1_11target_archE908ELNS1_3gpuE7ELNS1_3repE0EEENS1_52radix_sort_onesweep_histogram_config_static_selectorELNS0_4arch9wavefront6targetE1EEEvSG_
	.globl	_ZN7rocprim17ROCPRIM_400000_NS6detail17trampoline_kernelINS0_14default_configENS1_35radix_sort_onesweep_config_selectorIddEEZNS1_34radix_sort_onesweep_global_offsetsIS3_Lb0EN6thrust23THRUST_200600_302600_NS6detail15normal_iteratorINS8_10device_ptrIdEEEESD_jNS0_19identity_decomposerEEE10hipError_tT1_T2_PT3_SI_jT4_jjP12ihipStream_tbEUlT_E0_NS1_11comp_targetILNS1_3genE3ELNS1_11target_archE908ELNS1_3gpuE7ELNS1_3repE0EEENS1_52radix_sort_onesweep_histogram_config_static_selectorELNS0_4arch9wavefront6targetE1EEEvSG_
	.p2align	8
	.type	_ZN7rocprim17ROCPRIM_400000_NS6detail17trampoline_kernelINS0_14default_configENS1_35radix_sort_onesweep_config_selectorIddEEZNS1_34radix_sort_onesweep_global_offsetsIS3_Lb0EN6thrust23THRUST_200600_302600_NS6detail15normal_iteratorINS8_10device_ptrIdEEEESD_jNS0_19identity_decomposerEEE10hipError_tT1_T2_PT3_SI_jT4_jjP12ihipStream_tbEUlT_E0_NS1_11comp_targetILNS1_3genE3ELNS1_11target_archE908ELNS1_3gpuE7ELNS1_3repE0EEENS1_52radix_sort_onesweep_histogram_config_static_selectorELNS0_4arch9wavefront6targetE1EEEvSG_,@function
_ZN7rocprim17ROCPRIM_400000_NS6detail17trampoline_kernelINS0_14default_configENS1_35radix_sort_onesweep_config_selectorIddEEZNS1_34radix_sort_onesweep_global_offsetsIS3_Lb0EN6thrust23THRUST_200600_302600_NS6detail15normal_iteratorINS8_10device_ptrIdEEEESD_jNS0_19identity_decomposerEEE10hipError_tT1_T2_PT3_SI_jT4_jjP12ihipStream_tbEUlT_E0_NS1_11comp_targetILNS1_3genE3ELNS1_11target_archE908ELNS1_3gpuE7ELNS1_3repE0EEENS1_52radix_sort_onesweep_histogram_config_static_selectorELNS0_4arch9wavefront6targetE1EEEvSG_: ; @_ZN7rocprim17ROCPRIM_400000_NS6detail17trampoline_kernelINS0_14default_configENS1_35radix_sort_onesweep_config_selectorIddEEZNS1_34radix_sort_onesweep_global_offsetsIS3_Lb0EN6thrust23THRUST_200600_302600_NS6detail15normal_iteratorINS8_10device_ptrIdEEEESD_jNS0_19identity_decomposerEEE10hipError_tT1_T2_PT3_SI_jT4_jjP12ihipStream_tbEUlT_E0_NS1_11comp_targetILNS1_3genE3ELNS1_11target_archE908ELNS1_3gpuE7ELNS1_3repE0EEENS1_52radix_sort_onesweep_histogram_config_static_selectorELNS0_4arch9wavefront6targetE1EEEvSG_
; %bb.0:
	.section	.rodata,"a",@progbits
	.p2align	6, 0x0
	.amdhsa_kernel _ZN7rocprim17ROCPRIM_400000_NS6detail17trampoline_kernelINS0_14default_configENS1_35radix_sort_onesweep_config_selectorIddEEZNS1_34radix_sort_onesweep_global_offsetsIS3_Lb0EN6thrust23THRUST_200600_302600_NS6detail15normal_iteratorINS8_10device_ptrIdEEEESD_jNS0_19identity_decomposerEEE10hipError_tT1_T2_PT3_SI_jT4_jjP12ihipStream_tbEUlT_E0_NS1_11comp_targetILNS1_3genE3ELNS1_11target_archE908ELNS1_3gpuE7ELNS1_3repE0EEENS1_52radix_sort_onesweep_histogram_config_static_selectorELNS0_4arch9wavefront6targetE1EEEvSG_
		.amdhsa_group_segment_fixed_size 0
		.amdhsa_private_segment_fixed_size 0
		.amdhsa_kernarg_size 8
		.amdhsa_user_sgpr_count 2
		.amdhsa_user_sgpr_dispatch_ptr 0
		.amdhsa_user_sgpr_queue_ptr 0
		.amdhsa_user_sgpr_kernarg_segment_ptr 1
		.amdhsa_user_sgpr_dispatch_id 0
		.amdhsa_user_sgpr_kernarg_preload_length 0
		.amdhsa_user_sgpr_kernarg_preload_offset 0
		.amdhsa_user_sgpr_private_segment_size 0
		.amdhsa_uses_dynamic_stack 0
		.amdhsa_enable_private_segment 0
		.amdhsa_system_sgpr_workgroup_id_x 1
		.amdhsa_system_sgpr_workgroup_id_y 0
		.amdhsa_system_sgpr_workgroup_id_z 0
		.amdhsa_system_sgpr_workgroup_info 0
		.amdhsa_system_vgpr_workitem_id 0
		.amdhsa_next_free_vgpr 1
		.amdhsa_next_free_sgpr 0
		.amdhsa_accum_offset 4
		.amdhsa_reserve_vcc 0
		.amdhsa_float_round_mode_32 0
		.amdhsa_float_round_mode_16_64 0
		.amdhsa_float_denorm_mode_32 3
		.amdhsa_float_denorm_mode_16_64 3
		.amdhsa_dx10_clamp 1
		.amdhsa_ieee_mode 1
		.amdhsa_fp16_overflow 0
		.amdhsa_tg_split 0
		.amdhsa_exception_fp_ieee_invalid_op 0
		.amdhsa_exception_fp_denorm_src 0
		.amdhsa_exception_fp_ieee_div_zero 0
		.amdhsa_exception_fp_ieee_overflow 0
		.amdhsa_exception_fp_ieee_underflow 0
		.amdhsa_exception_fp_ieee_inexact 0
		.amdhsa_exception_int_div_zero 0
	.end_amdhsa_kernel
	.section	.text._ZN7rocprim17ROCPRIM_400000_NS6detail17trampoline_kernelINS0_14default_configENS1_35radix_sort_onesweep_config_selectorIddEEZNS1_34radix_sort_onesweep_global_offsetsIS3_Lb0EN6thrust23THRUST_200600_302600_NS6detail15normal_iteratorINS8_10device_ptrIdEEEESD_jNS0_19identity_decomposerEEE10hipError_tT1_T2_PT3_SI_jT4_jjP12ihipStream_tbEUlT_E0_NS1_11comp_targetILNS1_3genE3ELNS1_11target_archE908ELNS1_3gpuE7ELNS1_3repE0EEENS1_52radix_sort_onesweep_histogram_config_static_selectorELNS0_4arch9wavefront6targetE1EEEvSG_,"axG",@progbits,_ZN7rocprim17ROCPRIM_400000_NS6detail17trampoline_kernelINS0_14default_configENS1_35radix_sort_onesweep_config_selectorIddEEZNS1_34radix_sort_onesweep_global_offsetsIS3_Lb0EN6thrust23THRUST_200600_302600_NS6detail15normal_iteratorINS8_10device_ptrIdEEEESD_jNS0_19identity_decomposerEEE10hipError_tT1_T2_PT3_SI_jT4_jjP12ihipStream_tbEUlT_E0_NS1_11comp_targetILNS1_3genE3ELNS1_11target_archE908ELNS1_3gpuE7ELNS1_3repE0EEENS1_52radix_sort_onesweep_histogram_config_static_selectorELNS0_4arch9wavefront6targetE1EEEvSG_,comdat
.Lfunc_end96:
	.size	_ZN7rocprim17ROCPRIM_400000_NS6detail17trampoline_kernelINS0_14default_configENS1_35radix_sort_onesweep_config_selectorIddEEZNS1_34radix_sort_onesweep_global_offsetsIS3_Lb0EN6thrust23THRUST_200600_302600_NS6detail15normal_iteratorINS8_10device_ptrIdEEEESD_jNS0_19identity_decomposerEEE10hipError_tT1_T2_PT3_SI_jT4_jjP12ihipStream_tbEUlT_E0_NS1_11comp_targetILNS1_3genE3ELNS1_11target_archE908ELNS1_3gpuE7ELNS1_3repE0EEENS1_52radix_sort_onesweep_histogram_config_static_selectorELNS0_4arch9wavefront6targetE1EEEvSG_, .Lfunc_end96-_ZN7rocprim17ROCPRIM_400000_NS6detail17trampoline_kernelINS0_14default_configENS1_35radix_sort_onesweep_config_selectorIddEEZNS1_34radix_sort_onesweep_global_offsetsIS3_Lb0EN6thrust23THRUST_200600_302600_NS6detail15normal_iteratorINS8_10device_ptrIdEEEESD_jNS0_19identity_decomposerEEE10hipError_tT1_T2_PT3_SI_jT4_jjP12ihipStream_tbEUlT_E0_NS1_11comp_targetILNS1_3genE3ELNS1_11target_archE908ELNS1_3gpuE7ELNS1_3repE0EEENS1_52radix_sort_onesweep_histogram_config_static_selectorELNS0_4arch9wavefront6targetE1EEEvSG_
                                        ; -- End function
	.set _ZN7rocprim17ROCPRIM_400000_NS6detail17trampoline_kernelINS0_14default_configENS1_35radix_sort_onesweep_config_selectorIddEEZNS1_34radix_sort_onesweep_global_offsetsIS3_Lb0EN6thrust23THRUST_200600_302600_NS6detail15normal_iteratorINS8_10device_ptrIdEEEESD_jNS0_19identity_decomposerEEE10hipError_tT1_T2_PT3_SI_jT4_jjP12ihipStream_tbEUlT_E0_NS1_11comp_targetILNS1_3genE3ELNS1_11target_archE908ELNS1_3gpuE7ELNS1_3repE0EEENS1_52radix_sort_onesweep_histogram_config_static_selectorELNS0_4arch9wavefront6targetE1EEEvSG_.num_vgpr, 0
	.set _ZN7rocprim17ROCPRIM_400000_NS6detail17trampoline_kernelINS0_14default_configENS1_35radix_sort_onesweep_config_selectorIddEEZNS1_34radix_sort_onesweep_global_offsetsIS3_Lb0EN6thrust23THRUST_200600_302600_NS6detail15normal_iteratorINS8_10device_ptrIdEEEESD_jNS0_19identity_decomposerEEE10hipError_tT1_T2_PT3_SI_jT4_jjP12ihipStream_tbEUlT_E0_NS1_11comp_targetILNS1_3genE3ELNS1_11target_archE908ELNS1_3gpuE7ELNS1_3repE0EEENS1_52radix_sort_onesweep_histogram_config_static_selectorELNS0_4arch9wavefront6targetE1EEEvSG_.num_agpr, 0
	.set _ZN7rocprim17ROCPRIM_400000_NS6detail17trampoline_kernelINS0_14default_configENS1_35radix_sort_onesweep_config_selectorIddEEZNS1_34radix_sort_onesweep_global_offsetsIS3_Lb0EN6thrust23THRUST_200600_302600_NS6detail15normal_iteratorINS8_10device_ptrIdEEEESD_jNS0_19identity_decomposerEEE10hipError_tT1_T2_PT3_SI_jT4_jjP12ihipStream_tbEUlT_E0_NS1_11comp_targetILNS1_3genE3ELNS1_11target_archE908ELNS1_3gpuE7ELNS1_3repE0EEENS1_52radix_sort_onesweep_histogram_config_static_selectorELNS0_4arch9wavefront6targetE1EEEvSG_.numbered_sgpr, 0
	.set _ZN7rocprim17ROCPRIM_400000_NS6detail17trampoline_kernelINS0_14default_configENS1_35radix_sort_onesweep_config_selectorIddEEZNS1_34radix_sort_onesweep_global_offsetsIS3_Lb0EN6thrust23THRUST_200600_302600_NS6detail15normal_iteratorINS8_10device_ptrIdEEEESD_jNS0_19identity_decomposerEEE10hipError_tT1_T2_PT3_SI_jT4_jjP12ihipStream_tbEUlT_E0_NS1_11comp_targetILNS1_3genE3ELNS1_11target_archE908ELNS1_3gpuE7ELNS1_3repE0EEENS1_52radix_sort_onesweep_histogram_config_static_selectorELNS0_4arch9wavefront6targetE1EEEvSG_.num_named_barrier, 0
	.set _ZN7rocprim17ROCPRIM_400000_NS6detail17trampoline_kernelINS0_14default_configENS1_35radix_sort_onesweep_config_selectorIddEEZNS1_34radix_sort_onesweep_global_offsetsIS3_Lb0EN6thrust23THRUST_200600_302600_NS6detail15normal_iteratorINS8_10device_ptrIdEEEESD_jNS0_19identity_decomposerEEE10hipError_tT1_T2_PT3_SI_jT4_jjP12ihipStream_tbEUlT_E0_NS1_11comp_targetILNS1_3genE3ELNS1_11target_archE908ELNS1_3gpuE7ELNS1_3repE0EEENS1_52radix_sort_onesweep_histogram_config_static_selectorELNS0_4arch9wavefront6targetE1EEEvSG_.private_seg_size, 0
	.set _ZN7rocprim17ROCPRIM_400000_NS6detail17trampoline_kernelINS0_14default_configENS1_35radix_sort_onesweep_config_selectorIddEEZNS1_34radix_sort_onesweep_global_offsetsIS3_Lb0EN6thrust23THRUST_200600_302600_NS6detail15normal_iteratorINS8_10device_ptrIdEEEESD_jNS0_19identity_decomposerEEE10hipError_tT1_T2_PT3_SI_jT4_jjP12ihipStream_tbEUlT_E0_NS1_11comp_targetILNS1_3genE3ELNS1_11target_archE908ELNS1_3gpuE7ELNS1_3repE0EEENS1_52radix_sort_onesweep_histogram_config_static_selectorELNS0_4arch9wavefront6targetE1EEEvSG_.uses_vcc, 0
	.set _ZN7rocprim17ROCPRIM_400000_NS6detail17trampoline_kernelINS0_14default_configENS1_35radix_sort_onesweep_config_selectorIddEEZNS1_34radix_sort_onesweep_global_offsetsIS3_Lb0EN6thrust23THRUST_200600_302600_NS6detail15normal_iteratorINS8_10device_ptrIdEEEESD_jNS0_19identity_decomposerEEE10hipError_tT1_T2_PT3_SI_jT4_jjP12ihipStream_tbEUlT_E0_NS1_11comp_targetILNS1_3genE3ELNS1_11target_archE908ELNS1_3gpuE7ELNS1_3repE0EEENS1_52radix_sort_onesweep_histogram_config_static_selectorELNS0_4arch9wavefront6targetE1EEEvSG_.uses_flat_scratch, 0
	.set _ZN7rocprim17ROCPRIM_400000_NS6detail17trampoline_kernelINS0_14default_configENS1_35radix_sort_onesweep_config_selectorIddEEZNS1_34radix_sort_onesweep_global_offsetsIS3_Lb0EN6thrust23THRUST_200600_302600_NS6detail15normal_iteratorINS8_10device_ptrIdEEEESD_jNS0_19identity_decomposerEEE10hipError_tT1_T2_PT3_SI_jT4_jjP12ihipStream_tbEUlT_E0_NS1_11comp_targetILNS1_3genE3ELNS1_11target_archE908ELNS1_3gpuE7ELNS1_3repE0EEENS1_52radix_sort_onesweep_histogram_config_static_selectorELNS0_4arch9wavefront6targetE1EEEvSG_.has_dyn_sized_stack, 0
	.set _ZN7rocprim17ROCPRIM_400000_NS6detail17trampoline_kernelINS0_14default_configENS1_35radix_sort_onesweep_config_selectorIddEEZNS1_34radix_sort_onesweep_global_offsetsIS3_Lb0EN6thrust23THRUST_200600_302600_NS6detail15normal_iteratorINS8_10device_ptrIdEEEESD_jNS0_19identity_decomposerEEE10hipError_tT1_T2_PT3_SI_jT4_jjP12ihipStream_tbEUlT_E0_NS1_11comp_targetILNS1_3genE3ELNS1_11target_archE908ELNS1_3gpuE7ELNS1_3repE0EEENS1_52radix_sort_onesweep_histogram_config_static_selectorELNS0_4arch9wavefront6targetE1EEEvSG_.has_recursion, 0
	.set _ZN7rocprim17ROCPRIM_400000_NS6detail17trampoline_kernelINS0_14default_configENS1_35radix_sort_onesweep_config_selectorIddEEZNS1_34radix_sort_onesweep_global_offsetsIS3_Lb0EN6thrust23THRUST_200600_302600_NS6detail15normal_iteratorINS8_10device_ptrIdEEEESD_jNS0_19identity_decomposerEEE10hipError_tT1_T2_PT3_SI_jT4_jjP12ihipStream_tbEUlT_E0_NS1_11comp_targetILNS1_3genE3ELNS1_11target_archE908ELNS1_3gpuE7ELNS1_3repE0EEENS1_52radix_sort_onesweep_histogram_config_static_selectorELNS0_4arch9wavefront6targetE1EEEvSG_.has_indirect_call, 0
	.section	.AMDGPU.csdata,"",@progbits
; Kernel info:
; codeLenInByte = 0
; TotalNumSgprs: 6
; NumVgprs: 0
; NumAgprs: 0
; TotalNumVgprs: 0
; ScratchSize: 0
; MemoryBound: 0
; FloatMode: 240
; IeeeMode: 1
; LDSByteSize: 0 bytes/workgroup (compile time only)
; SGPRBlocks: 0
; VGPRBlocks: 0
; NumSGPRsForWavesPerEU: 6
; NumVGPRsForWavesPerEU: 1
; AccumOffset: 4
; Occupancy: 8
; WaveLimiterHint : 0
; COMPUTE_PGM_RSRC2:SCRATCH_EN: 0
; COMPUTE_PGM_RSRC2:USER_SGPR: 2
; COMPUTE_PGM_RSRC2:TRAP_HANDLER: 0
; COMPUTE_PGM_RSRC2:TGID_X_EN: 1
; COMPUTE_PGM_RSRC2:TGID_Y_EN: 0
; COMPUTE_PGM_RSRC2:TGID_Z_EN: 0
; COMPUTE_PGM_RSRC2:TIDIG_COMP_CNT: 0
; COMPUTE_PGM_RSRC3_GFX90A:ACCUM_OFFSET: 0
; COMPUTE_PGM_RSRC3_GFX90A:TG_SPLIT: 0
	.section	.text._ZN7rocprim17ROCPRIM_400000_NS6detail17trampoline_kernelINS0_14default_configENS1_35radix_sort_onesweep_config_selectorIddEEZNS1_34radix_sort_onesweep_global_offsetsIS3_Lb0EN6thrust23THRUST_200600_302600_NS6detail15normal_iteratorINS8_10device_ptrIdEEEESD_jNS0_19identity_decomposerEEE10hipError_tT1_T2_PT3_SI_jT4_jjP12ihipStream_tbEUlT_E0_NS1_11comp_targetILNS1_3genE10ELNS1_11target_archE1201ELNS1_3gpuE5ELNS1_3repE0EEENS1_52radix_sort_onesweep_histogram_config_static_selectorELNS0_4arch9wavefront6targetE1EEEvSG_,"axG",@progbits,_ZN7rocprim17ROCPRIM_400000_NS6detail17trampoline_kernelINS0_14default_configENS1_35radix_sort_onesweep_config_selectorIddEEZNS1_34radix_sort_onesweep_global_offsetsIS3_Lb0EN6thrust23THRUST_200600_302600_NS6detail15normal_iteratorINS8_10device_ptrIdEEEESD_jNS0_19identity_decomposerEEE10hipError_tT1_T2_PT3_SI_jT4_jjP12ihipStream_tbEUlT_E0_NS1_11comp_targetILNS1_3genE10ELNS1_11target_archE1201ELNS1_3gpuE5ELNS1_3repE0EEENS1_52radix_sort_onesweep_histogram_config_static_selectorELNS0_4arch9wavefront6targetE1EEEvSG_,comdat
	.protected	_ZN7rocprim17ROCPRIM_400000_NS6detail17trampoline_kernelINS0_14default_configENS1_35radix_sort_onesweep_config_selectorIddEEZNS1_34radix_sort_onesweep_global_offsetsIS3_Lb0EN6thrust23THRUST_200600_302600_NS6detail15normal_iteratorINS8_10device_ptrIdEEEESD_jNS0_19identity_decomposerEEE10hipError_tT1_T2_PT3_SI_jT4_jjP12ihipStream_tbEUlT_E0_NS1_11comp_targetILNS1_3genE10ELNS1_11target_archE1201ELNS1_3gpuE5ELNS1_3repE0EEENS1_52radix_sort_onesweep_histogram_config_static_selectorELNS0_4arch9wavefront6targetE1EEEvSG_ ; -- Begin function _ZN7rocprim17ROCPRIM_400000_NS6detail17trampoline_kernelINS0_14default_configENS1_35radix_sort_onesweep_config_selectorIddEEZNS1_34radix_sort_onesweep_global_offsetsIS3_Lb0EN6thrust23THRUST_200600_302600_NS6detail15normal_iteratorINS8_10device_ptrIdEEEESD_jNS0_19identity_decomposerEEE10hipError_tT1_T2_PT3_SI_jT4_jjP12ihipStream_tbEUlT_E0_NS1_11comp_targetILNS1_3genE10ELNS1_11target_archE1201ELNS1_3gpuE5ELNS1_3repE0EEENS1_52radix_sort_onesweep_histogram_config_static_selectorELNS0_4arch9wavefront6targetE1EEEvSG_
	.globl	_ZN7rocprim17ROCPRIM_400000_NS6detail17trampoline_kernelINS0_14default_configENS1_35radix_sort_onesweep_config_selectorIddEEZNS1_34radix_sort_onesweep_global_offsetsIS3_Lb0EN6thrust23THRUST_200600_302600_NS6detail15normal_iteratorINS8_10device_ptrIdEEEESD_jNS0_19identity_decomposerEEE10hipError_tT1_T2_PT3_SI_jT4_jjP12ihipStream_tbEUlT_E0_NS1_11comp_targetILNS1_3genE10ELNS1_11target_archE1201ELNS1_3gpuE5ELNS1_3repE0EEENS1_52radix_sort_onesweep_histogram_config_static_selectorELNS0_4arch9wavefront6targetE1EEEvSG_
	.p2align	8
	.type	_ZN7rocprim17ROCPRIM_400000_NS6detail17trampoline_kernelINS0_14default_configENS1_35radix_sort_onesweep_config_selectorIddEEZNS1_34radix_sort_onesweep_global_offsetsIS3_Lb0EN6thrust23THRUST_200600_302600_NS6detail15normal_iteratorINS8_10device_ptrIdEEEESD_jNS0_19identity_decomposerEEE10hipError_tT1_T2_PT3_SI_jT4_jjP12ihipStream_tbEUlT_E0_NS1_11comp_targetILNS1_3genE10ELNS1_11target_archE1201ELNS1_3gpuE5ELNS1_3repE0EEENS1_52radix_sort_onesweep_histogram_config_static_selectorELNS0_4arch9wavefront6targetE1EEEvSG_,@function
_ZN7rocprim17ROCPRIM_400000_NS6detail17trampoline_kernelINS0_14default_configENS1_35radix_sort_onesweep_config_selectorIddEEZNS1_34radix_sort_onesweep_global_offsetsIS3_Lb0EN6thrust23THRUST_200600_302600_NS6detail15normal_iteratorINS8_10device_ptrIdEEEESD_jNS0_19identity_decomposerEEE10hipError_tT1_T2_PT3_SI_jT4_jjP12ihipStream_tbEUlT_E0_NS1_11comp_targetILNS1_3genE10ELNS1_11target_archE1201ELNS1_3gpuE5ELNS1_3repE0EEENS1_52radix_sort_onesweep_histogram_config_static_selectorELNS0_4arch9wavefront6targetE1EEEvSG_: ; @_ZN7rocprim17ROCPRIM_400000_NS6detail17trampoline_kernelINS0_14default_configENS1_35radix_sort_onesweep_config_selectorIddEEZNS1_34radix_sort_onesweep_global_offsetsIS3_Lb0EN6thrust23THRUST_200600_302600_NS6detail15normal_iteratorINS8_10device_ptrIdEEEESD_jNS0_19identity_decomposerEEE10hipError_tT1_T2_PT3_SI_jT4_jjP12ihipStream_tbEUlT_E0_NS1_11comp_targetILNS1_3genE10ELNS1_11target_archE1201ELNS1_3gpuE5ELNS1_3repE0EEENS1_52radix_sort_onesweep_histogram_config_static_selectorELNS0_4arch9wavefront6targetE1EEEvSG_
; %bb.0:
	.section	.rodata,"a",@progbits
	.p2align	6, 0x0
	.amdhsa_kernel _ZN7rocprim17ROCPRIM_400000_NS6detail17trampoline_kernelINS0_14default_configENS1_35radix_sort_onesweep_config_selectorIddEEZNS1_34radix_sort_onesweep_global_offsetsIS3_Lb0EN6thrust23THRUST_200600_302600_NS6detail15normal_iteratorINS8_10device_ptrIdEEEESD_jNS0_19identity_decomposerEEE10hipError_tT1_T2_PT3_SI_jT4_jjP12ihipStream_tbEUlT_E0_NS1_11comp_targetILNS1_3genE10ELNS1_11target_archE1201ELNS1_3gpuE5ELNS1_3repE0EEENS1_52radix_sort_onesweep_histogram_config_static_selectorELNS0_4arch9wavefront6targetE1EEEvSG_
		.amdhsa_group_segment_fixed_size 0
		.amdhsa_private_segment_fixed_size 0
		.amdhsa_kernarg_size 8
		.amdhsa_user_sgpr_count 2
		.amdhsa_user_sgpr_dispatch_ptr 0
		.amdhsa_user_sgpr_queue_ptr 0
		.amdhsa_user_sgpr_kernarg_segment_ptr 1
		.amdhsa_user_sgpr_dispatch_id 0
		.amdhsa_user_sgpr_kernarg_preload_length 0
		.amdhsa_user_sgpr_kernarg_preload_offset 0
		.amdhsa_user_sgpr_private_segment_size 0
		.amdhsa_uses_dynamic_stack 0
		.amdhsa_enable_private_segment 0
		.amdhsa_system_sgpr_workgroup_id_x 1
		.amdhsa_system_sgpr_workgroup_id_y 0
		.amdhsa_system_sgpr_workgroup_id_z 0
		.amdhsa_system_sgpr_workgroup_info 0
		.amdhsa_system_vgpr_workitem_id 0
		.amdhsa_next_free_vgpr 1
		.amdhsa_next_free_sgpr 0
		.amdhsa_accum_offset 4
		.amdhsa_reserve_vcc 0
		.amdhsa_float_round_mode_32 0
		.amdhsa_float_round_mode_16_64 0
		.amdhsa_float_denorm_mode_32 3
		.amdhsa_float_denorm_mode_16_64 3
		.amdhsa_dx10_clamp 1
		.amdhsa_ieee_mode 1
		.amdhsa_fp16_overflow 0
		.amdhsa_tg_split 0
		.amdhsa_exception_fp_ieee_invalid_op 0
		.amdhsa_exception_fp_denorm_src 0
		.amdhsa_exception_fp_ieee_div_zero 0
		.amdhsa_exception_fp_ieee_overflow 0
		.amdhsa_exception_fp_ieee_underflow 0
		.amdhsa_exception_fp_ieee_inexact 0
		.amdhsa_exception_int_div_zero 0
	.end_amdhsa_kernel
	.section	.text._ZN7rocprim17ROCPRIM_400000_NS6detail17trampoline_kernelINS0_14default_configENS1_35radix_sort_onesweep_config_selectorIddEEZNS1_34radix_sort_onesweep_global_offsetsIS3_Lb0EN6thrust23THRUST_200600_302600_NS6detail15normal_iteratorINS8_10device_ptrIdEEEESD_jNS0_19identity_decomposerEEE10hipError_tT1_T2_PT3_SI_jT4_jjP12ihipStream_tbEUlT_E0_NS1_11comp_targetILNS1_3genE10ELNS1_11target_archE1201ELNS1_3gpuE5ELNS1_3repE0EEENS1_52radix_sort_onesweep_histogram_config_static_selectorELNS0_4arch9wavefront6targetE1EEEvSG_,"axG",@progbits,_ZN7rocprim17ROCPRIM_400000_NS6detail17trampoline_kernelINS0_14default_configENS1_35radix_sort_onesweep_config_selectorIddEEZNS1_34radix_sort_onesweep_global_offsetsIS3_Lb0EN6thrust23THRUST_200600_302600_NS6detail15normal_iteratorINS8_10device_ptrIdEEEESD_jNS0_19identity_decomposerEEE10hipError_tT1_T2_PT3_SI_jT4_jjP12ihipStream_tbEUlT_E0_NS1_11comp_targetILNS1_3genE10ELNS1_11target_archE1201ELNS1_3gpuE5ELNS1_3repE0EEENS1_52radix_sort_onesweep_histogram_config_static_selectorELNS0_4arch9wavefront6targetE1EEEvSG_,comdat
.Lfunc_end97:
	.size	_ZN7rocprim17ROCPRIM_400000_NS6detail17trampoline_kernelINS0_14default_configENS1_35radix_sort_onesweep_config_selectorIddEEZNS1_34radix_sort_onesweep_global_offsetsIS3_Lb0EN6thrust23THRUST_200600_302600_NS6detail15normal_iteratorINS8_10device_ptrIdEEEESD_jNS0_19identity_decomposerEEE10hipError_tT1_T2_PT3_SI_jT4_jjP12ihipStream_tbEUlT_E0_NS1_11comp_targetILNS1_3genE10ELNS1_11target_archE1201ELNS1_3gpuE5ELNS1_3repE0EEENS1_52radix_sort_onesweep_histogram_config_static_selectorELNS0_4arch9wavefront6targetE1EEEvSG_, .Lfunc_end97-_ZN7rocprim17ROCPRIM_400000_NS6detail17trampoline_kernelINS0_14default_configENS1_35radix_sort_onesweep_config_selectorIddEEZNS1_34radix_sort_onesweep_global_offsetsIS3_Lb0EN6thrust23THRUST_200600_302600_NS6detail15normal_iteratorINS8_10device_ptrIdEEEESD_jNS0_19identity_decomposerEEE10hipError_tT1_T2_PT3_SI_jT4_jjP12ihipStream_tbEUlT_E0_NS1_11comp_targetILNS1_3genE10ELNS1_11target_archE1201ELNS1_3gpuE5ELNS1_3repE0EEENS1_52radix_sort_onesweep_histogram_config_static_selectorELNS0_4arch9wavefront6targetE1EEEvSG_
                                        ; -- End function
	.set _ZN7rocprim17ROCPRIM_400000_NS6detail17trampoline_kernelINS0_14default_configENS1_35radix_sort_onesweep_config_selectorIddEEZNS1_34radix_sort_onesweep_global_offsetsIS3_Lb0EN6thrust23THRUST_200600_302600_NS6detail15normal_iteratorINS8_10device_ptrIdEEEESD_jNS0_19identity_decomposerEEE10hipError_tT1_T2_PT3_SI_jT4_jjP12ihipStream_tbEUlT_E0_NS1_11comp_targetILNS1_3genE10ELNS1_11target_archE1201ELNS1_3gpuE5ELNS1_3repE0EEENS1_52radix_sort_onesweep_histogram_config_static_selectorELNS0_4arch9wavefront6targetE1EEEvSG_.num_vgpr, 0
	.set _ZN7rocprim17ROCPRIM_400000_NS6detail17trampoline_kernelINS0_14default_configENS1_35radix_sort_onesweep_config_selectorIddEEZNS1_34radix_sort_onesweep_global_offsetsIS3_Lb0EN6thrust23THRUST_200600_302600_NS6detail15normal_iteratorINS8_10device_ptrIdEEEESD_jNS0_19identity_decomposerEEE10hipError_tT1_T2_PT3_SI_jT4_jjP12ihipStream_tbEUlT_E0_NS1_11comp_targetILNS1_3genE10ELNS1_11target_archE1201ELNS1_3gpuE5ELNS1_3repE0EEENS1_52radix_sort_onesweep_histogram_config_static_selectorELNS0_4arch9wavefront6targetE1EEEvSG_.num_agpr, 0
	.set _ZN7rocprim17ROCPRIM_400000_NS6detail17trampoline_kernelINS0_14default_configENS1_35radix_sort_onesweep_config_selectorIddEEZNS1_34radix_sort_onesweep_global_offsetsIS3_Lb0EN6thrust23THRUST_200600_302600_NS6detail15normal_iteratorINS8_10device_ptrIdEEEESD_jNS0_19identity_decomposerEEE10hipError_tT1_T2_PT3_SI_jT4_jjP12ihipStream_tbEUlT_E0_NS1_11comp_targetILNS1_3genE10ELNS1_11target_archE1201ELNS1_3gpuE5ELNS1_3repE0EEENS1_52radix_sort_onesweep_histogram_config_static_selectorELNS0_4arch9wavefront6targetE1EEEvSG_.numbered_sgpr, 0
	.set _ZN7rocprim17ROCPRIM_400000_NS6detail17trampoline_kernelINS0_14default_configENS1_35radix_sort_onesweep_config_selectorIddEEZNS1_34radix_sort_onesweep_global_offsetsIS3_Lb0EN6thrust23THRUST_200600_302600_NS6detail15normal_iteratorINS8_10device_ptrIdEEEESD_jNS0_19identity_decomposerEEE10hipError_tT1_T2_PT3_SI_jT4_jjP12ihipStream_tbEUlT_E0_NS1_11comp_targetILNS1_3genE10ELNS1_11target_archE1201ELNS1_3gpuE5ELNS1_3repE0EEENS1_52radix_sort_onesweep_histogram_config_static_selectorELNS0_4arch9wavefront6targetE1EEEvSG_.num_named_barrier, 0
	.set _ZN7rocprim17ROCPRIM_400000_NS6detail17trampoline_kernelINS0_14default_configENS1_35radix_sort_onesweep_config_selectorIddEEZNS1_34radix_sort_onesweep_global_offsetsIS3_Lb0EN6thrust23THRUST_200600_302600_NS6detail15normal_iteratorINS8_10device_ptrIdEEEESD_jNS0_19identity_decomposerEEE10hipError_tT1_T2_PT3_SI_jT4_jjP12ihipStream_tbEUlT_E0_NS1_11comp_targetILNS1_3genE10ELNS1_11target_archE1201ELNS1_3gpuE5ELNS1_3repE0EEENS1_52radix_sort_onesweep_histogram_config_static_selectorELNS0_4arch9wavefront6targetE1EEEvSG_.private_seg_size, 0
	.set _ZN7rocprim17ROCPRIM_400000_NS6detail17trampoline_kernelINS0_14default_configENS1_35radix_sort_onesweep_config_selectorIddEEZNS1_34radix_sort_onesweep_global_offsetsIS3_Lb0EN6thrust23THRUST_200600_302600_NS6detail15normal_iteratorINS8_10device_ptrIdEEEESD_jNS0_19identity_decomposerEEE10hipError_tT1_T2_PT3_SI_jT4_jjP12ihipStream_tbEUlT_E0_NS1_11comp_targetILNS1_3genE10ELNS1_11target_archE1201ELNS1_3gpuE5ELNS1_3repE0EEENS1_52radix_sort_onesweep_histogram_config_static_selectorELNS0_4arch9wavefront6targetE1EEEvSG_.uses_vcc, 0
	.set _ZN7rocprim17ROCPRIM_400000_NS6detail17trampoline_kernelINS0_14default_configENS1_35radix_sort_onesweep_config_selectorIddEEZNS1_34radix_sort_onesweep_global_offsetsIS3_Lb0EN6thrust23THRUST_200600_302600_NS6detail15normal_iteratorINS8_10device_ptrIdEEEESD_jNS0_19identity_decomposerEEE10hipError_tT1_T2_PT3_SI_jT4_jjP12ihipStream_tbEUlT_E0_NS1_11comp_targetILNS1_3genE10ELNS1_11target_archE1201ELNS1_3gpuE5ELNS1_3repE0EEENS1_52radix_sort_onesweep_histogram_config_static_selectorELNS0_4arch9wavefront6targetE1EEEvSG_.uses_flat_scratch, 0
	.set _ZN7rocprim17ROCPRIM_400000_NS6detail17trampoline_kernelINS0_14default_configENS1_35radix_sort_onesweep_config_selectorIddEEZNS1_34radix_sort_onesweep_global_offsetsIS3_Lb0EN6thrust23THRUST_200600_302600_NS6detail15normal_iteratorINS8_10device_ptrIdEEEESD_jNS0_19identity_decomposerEEE10hipError_tT1_T2_PT3_SI_jT4_jjP12ihipStream_tbEUlT_E0_NS1_11comp_targetILNS1_3genE10ELNS1_11target_archE1201ELNS1_3gpuE5ELNS1_3repE0EEENS1_52radix_sort_onesweep_histogram_config_static_selectorELNS0_4arch9wavefront6targetE1EEEvSG_.has_dyn_sized_stack, 0
	.set _ZN7rocprim17ROCPRIM_400000_NS6detail17trampoline_kernelINS0_14default_configENS1_35radix_sort_onesweep_config_selectorIddEEZNS1_34radix_sort_onesweep_global_offsetsIS3_Lb0EN6thrust23THRUST_200600_302600_NS6detail15normal_iteratorINS8_10device_ptrIdEEEESD_jNS0_19identity_decomposerEEE10hipError_tT1_T2_PT3_SI_jT4_jjP12ihipStream_tbEUlT_E0_NS1_11comp_targetILNS1_3genE10ELNS1_11target_archE1201ELNS1_3gpuE5ELNS1_3repE0EEENS1_52radix_sort_onesweep_histogram_config_static_selectorELNS0_4arch9wavefront6targetE1EEEvSG_.has_recursion, 0
	.set _ZN7rocprim17ROCPRIM_400000_NS6detail17trampoline_kernelINS0_14default_configENS1_35radix_sort_onesweep_config_selectorIddEEZNS1_34radix_sort_onesweep_global_offsetsIS3_Lb0EN6thrust23THRUST_200600_302600_NS6detail15normal_iteratorINS8_10device_ptrIdEEEESD_jNS0_19identity_decomposerEEE10hipError_tT1_T2_PT3_SI_jT4_jjP12ihipStream_tbEUlT_E0_NS1_11comp_targetILNS1_3genE10ELNS1_11target_archE1201ELNS1_3gpuE5ELNS1_3repE0EEENS1_52radix_sort_onesweep_histogram_config_static_selectorELNS0_4arch9wavefront6targetE1EEEvSG_.has_indirect_call, 0
	.section	.AMDGPU.csdata,"",@progbits
; Kernel info:
; codeLenInByte = 0
; TotalNumSgprs: 6
; NumVgprs: 0
; NumAgprs: 0
; TotalNumVgprs: 0
; ScratchSize: 0
; MemoryBound: 0
; FloatMode: 240
; IeeeMode: 1
; LDSByteSize: 0 bytes/workgroup (compile time only)
; SGPRBlocks: 0
; VGPRBlocks: 0
; NumSGPRsForWavesPerEU: 6
; NumVGPRsForWavesPerEU: 1
; AccumOffset: 4
; Occupancy: 8
; WaveLimiterHint : 0
; COMPUTE_PGM_RSRC2:SCRATCH_EN: 0
; COMPUTE_PGM_RSRC2:USER_SGPR: 2
; COMPUTE_PGM_RSRC2:TRAP_HANDLER: 0
; COMPUTE_PGM_RSRC2:TGID_X_EN: 1
; COMPUTE_PGM_RSRC2:TGID_Y_EN: 0
; COMPUTE_PGM_RSRC2:TGID_Z_EN: 0
; COMPUTE_PGM_RSRC2:TIDIG_COMP_CNT: 0
; COMPUTE_PGM_RSRC3_GFX90A:ACCUM_OFFSET: 0
; COMPUTE_PGM_RSRC3_GFX90A:TG_SPLIT: 0
	.section	.text._ZN7rocprim17ROCPRIM_400000_NS6detail17trampoline_kernelINS0_14default_configENS1_35radix_sort_onesweep_config_selectorIddEEZNS1_34radix_sort_onesweep_global_offsetsIS3_Lb0EN6thrust23THRUST_200600_302600_NS6detail15normal_iteratorINS8_10device_ptrIdEEEESD_jNS0_19identity_decomposerEEE10hipError_tT1_T2_PT3_SI_jT4_jjP12ihipStream_tbEUlT_E0_NS1_11comp_targetILNS1_3genE9ELNS1_11target_archE1100ELNS1_3gpuE3ELNS1_3repE0EEENS1_52radix_sort_onesweep_histogram_config_static_selectorELNS0_4arch9wavefront6targetE1EEEvSG_,"axG",@progbits,_ZN7rocprim17ROCPRIM_400000_NS6detail17trampoline_kernelINS0_14default_configENS1_35radix_sort_onesweep_config_selectorIddEEZNS1_34radix_sort_onesweep_global_offsetsIS3_Lb0EN6thrust23THRUST_200600_302600_NS6detail15normal_iteratorINS8_10device_ptrIdEEEESD_jNS0_19identity_decomposerEEE10hipError_tT1_T2_PT3_SI_jT4_jjP12ihipStream_tbEUlT_E0_NS1_11comp_targetILNS1_3genE9ELNS1_11target_archE1100ELNS1_3gpuE3ELNS1_3repE0EEENS1_52radix_sort_onesweep_histogram_config_static_selectorELNS0_4arch9wavefront6targetE1EEEvSG_,comdat
	.protected	_ZN7rocprim17ROCPRIM_400000_NS6detail17trampoline_kernelINS0_14default_configENS1_35radix_sort_onesweep_config_selectorIddEEZNS1_34radix_sort_onesweep_global_offsetsIS3_Lb0EN6thrust23THRUST_200600_302600_NS6detail15normal_iteratorINS8_10device_ptrIdEEEESD_jNS0_19identity_decomposerEEE10hipError_tT1_T2_PT3_SI_jT4_jjP12ihipStream_tbEUlT_E0_NS1_11comp_targetILNS1_3genE9ELNS1_11target_archE1100ELNS1_3gpuE3ELNS1_3repE0EEENS1_52radix_sort_onesweep_histogram_config_static_selectorELNS0_4arch9wavefront6targetE1EEEvSG_ ; -- Begin function _ZN7rocprim17ROCPRIM_400000_NS6detail17trampoline_kernelINS0_14default_configENS1_35radix_sort_onesweep_config_selectorIddEEZNS1_34radix_sort_onesweep_global_offsetsIS3_Lb0EN6thrust23THRUST_200600_302600_NS6detail15normal_iteratorINS8_10device_ptrIdEEEESD_jNS0_19identity_decomposerEEE10hipError_tT1_T2_PT3_SI_jT4_jjP12ihipStream_tbEUlT_E0_NS1_11comp_targetILNS1_3genE9ELNS1_11target_archE1100ELNS1_3gpuE3ELNS1_3repE0EEENS1_52radix_sort_onesweep_histogram_config_static_selectorELNS0_4arch9wavefront6targetE1EEEvSG_
	.globl	_ZN7rocprim17ROCPRIM_400000_NS6detail17trampoline_kernelINS0_14default_configENS1_35radix_sort_onesweep_config_selectorIddEEZNS1_34radix_sort_onesweep_global_offsetsIS3_Lb0EN6thrust23THRUST_200600_302600_NS6detail15normal_iteratorINS8_10device_ptrIdEEEESD_jNS0_19identity_decomposerEEE10hipError_tT1_T2_PT3_SI_jT4_jjP12ihipStream_tbEUlT_E0_NS1_11comp_targetILNS1_3genE9ELNS1_11target_archE1100ELNS1_3gpuE3ELNS1_3repE0EEENS1_52radix_sort_onesweep_histogram_config_static_selectorELNS0_4arch9wavefront6targetE1EEEvSG_
	.p2align	8
	.type	_ZN7rocprim17ROCPRIM_400000_NS6detail17trampoline_kernelINS0_14default_configENS1_35radix_sort_onesweep_config_selectorIddEEZNS1_34radix_sort_onesweep_global_offsetsIS3_Lb0EN6thrust23THRUST_200600_302600_NS6detail15normal_iteratorINS8_10device_ptrIdEEEESD_jNS0_19identity_decomposerEEE10hipError_tT1_T2_PT3_SI_jT4_jjP12ihipStream_tbEUlT_E0_NS1_11comp_targetILNS1_3genE9ELNS1_11target_archE1100ELNS1_3gpuE3ELNS1_3repE0EEENS1_52radix_sort_onesweep_histogram_config_static_selectorELNS0_4arch9wavefront6targetE1EEEvSG_,@function
_ZN7rocprim17ROCPRIM_400000_NS6detail17trampoline_kernelINS0_14default_configENS1_35radix_sort_onesweep_config_selectorIddEEZNS1_34radix_sort_onesweep_global_offsetsIS3_Lb0EN6thrust23THRUST_200600_302600_NS6detail15normal_iteratorINS8_10device_ptrIdEEEESD_jNS0_19identity_decomposerEEE10hipError_tT1_T2_PT3_SI_jT4_jjP12ihipStream_tbEUlT_E0_NS1_11comp_targetILNS1_3genE9ELNS1_11target_archE1100ELNS1_3gpuE3ELNS1_3repE0EEENS1_52radix_sort_onesweep_histogram_config_static_selectorELNS0_4arch9wavefront6targetE1EEEvSG_: ; @_ZN7rocprim17ROCPRIM_400000_NS6detail17trampoline_kernelINS0_14default_configENS1_35radix_sort_onesweep_config_selectorIddEEZNS1_34radix_sort_onesweep_global_offsetsIS3_Lb0EN6thrust23THRUST_200600_302600_NS6detail15normal_iteratorINS8_10device_ptrIdEEEESD_jNS0_19identity_decomposerEEE10hipError_tT1_T2_PT3_SI_jT4_jjP12ihipStream_tbEUlT_E0_NS1_11comp_targetILNS1_3genE9ELNS1_11target_archE1100ELNS1_3gpuE3ELNS1_3repE0EEENS1_52radix_sort_onesweep_histogram_config_static_selectorELNS0_4arch9wavefront6targetE1EEEvSG_
; %bb.0:
	.section	.rodata,"a",@progbits
	.p2align	6, 0x0
	.amdhsa_kernel _ZN7rocprim17ROCPRIM_400000_NS6detail17trampoline_kernelINS0_14default_configENS1_35radix_sort_onesweep_config_selectorIddEEZNS1_34radix_sort_onesweep_global_offsetsIS3_Lb0EN6thrust23THRUST_200600_302600_NS6detail15normal_iteratorINS8_10device_ptrIdEEEESD_jNS0_19identity_decomposerEEE10hipError_tT1_T2_PT3_SI_jT4_jjP12ihipStream_tbEUlT_E0_NS1_11comp_targetILNS1_3genE9ELNS1_11target_archE1100ELNS1_3gpuE3ELNS1_3repE0EEENS1_52radix_sort_onesweep_histogram_config_static_selectorELNS0_4arch9wavefront6targetE1EEEvSG_
		.amdhsa_group_segment_fixed_size 0
		.amdhsa_private_segment_fixed_size 0
		.amdhsa_kernarg_size 8
		.amdhsa_user_sgpr_count 2
		.amdhsa_user_sgpr_dispatch_ptr 0
		.amdhsa_user_sgpr_queue_ptr 0
		.amdhsa_user_sgpr_kernarg_segment_ptr 1
		.amdhsa_user_sgpr_dispatch_id 0
		.amdhsa_user_sgpr_kernarg_preload_length 0
		.amdhsa_user_sgpr_kernarg_preload_offset 0
		.amdhsa_user_sgpr_private_segment_size 0
		.amdhsa_uses_dynamic_stack 0
		.amdhsa_enable_private_segment 0
		.amdhsa_system_sgpr_workgroup_id_x 1
		.amdhsa_system_sgpr_workgroup_id_y 0
		.amdhsa_system_sgpr_workgroup_id_z 0
		.amdhsa_system_sgpr_workgroup_info 0
		.amdhsa_system_vgpr_workitem_id 0
		.amdhsa_next_free_vgpr 1
		.amdhsa_next_free_sgpr 0
		.amdhsa_accum_offset 4
		.amdhsa_reserve_vcc 0
		.amdhsa_float_round_mode_32 0
		.amdhsa_float_round_mode_16_64 0
		.amdhsa_float_denorm_mode_32 3
		.amdhsa_float_denorm_mode_16_64 3
		.amdhsa_dx10_clamp 1
		.amdhsa_ieee_mode 1
		.amdhsa_fp16_overflow 0
		.amdhsa_tg_split 0
		.amdhsa_exception_fp_ieee_invalid_op 0
		.amdhsa_exception_fp_denorm_src 0
		.amdhsa_exception_fp_ieee_div_zero 0
		.amdhsa_exception_fp_ieee_overflow 0
		.amdhsa_exception_fp_ieee_underflow 0
		.amdhsa_exception_fp_ieee_inexact 0
		.amdhsa_exception_int_div_zero 0
	.end_amdhsa_kernel
	.section	.text._ZN7rocprim17ROCPRIM_400000_NS6detail17trampoline_kernelINS0_14default_configENS1_35radix_sort_onesweep_config_selectorIddEEZNS1_34radix_sort_onesweep_global_offsetsIS3_Lb0EN6thrust23THRUST_200600_302600_NS6detail15normal_iteratorINS8_10device_ptrIdEEEESD_jNS0_19identity_decomposerEEE10hipError_tT1_T2_PT3_SI_jT4_jjP12ihipStream_tbEUlT_E0_NS1_11comp_targetILNS1_3genE9ELNS1_11target_archE1100ELNS1_3gpuE3ELNS1_3repE0EEENS1_52radix_sort_onesweep_histogram_config_static_selectorELNS0_4arch9wavefront6targetE1EEEvSG_,"axG",@progbits,_ZN7rocprim17ROCPRIM_400000_NS6detail17trampoline_kernelINS0_14default_configENS1_35radix_sort_onesweep_config_selectorIddEEZNS1_34radix_sort_onesweep_global_offsetsIS3_Lb0EN6thrust23THRUST_200600_302600_NS6detail15normal_iteratorINS8_10device_ptrIdEEEESD_jNS0_19identity_decomposerEEE10hipError_tT1_T2_PT3_SI_jT4_jjP12ihipStream_tbEUlT_E0_NS1_11comp_targetILNS1_3genE9ELNS1_11target_archE1100ELNS1_3gpuE3ELNS1_3repE0EEENS1_52radix_sort_onesweep_histogram_config_static_selectorELNS0_4arch9wavefront6targetE1EEEvSG_,comdat
.Lfunc_end98:
	.size	_ZN7rocprim17ROCPRIM_400000_NS6detail17trampoline_kernelINS0_14default_configENS1_35radix_sort_onesweep_config_selectorIddEEZNS1_34radix_sort_onesweep_global_offsetsIS3_Lb0EN6thrust23THRUST_200600_302600_NS6detail15normal_iteratorINS8_10device_ptrIdEEEESD_jNS0_19identity_decomposerEEE10hipError_tT1_T2_PT3_SI_jT4_jjP12ihipStream_tbEUlT_E0_NS1_11comp_targetILNS1_3genE9ELNS1_11target_archE1100ELNS1_3gpuE3ELNS1_3repE0EEENS1_52radix_sort_onesweep_histogram_config_static_selectorELNS0_4arch9wavefront6targetE1EEEvSG_, .Lfunc_end98-_ZN7rocprim17ROCPRIM_400000_NS6detail17trampoline_kernelINS0_14default_configENS1_35radix_sort_onesweep_config_selectorIddEEZNS1_34radix_sort_onesweep_global_offsetsIS3_Lb0EN6thrust23THRUST_200600_302600_NS6detail15normal_iteratorINS8_10device_ptrIdEEEESD_jNS0_19identity_decomposerEEE10hipError_tT1_T2_PT3_SI_jT4_jjP12ihipStream_tbEUlT_E0_NS1_11comp_targetILNS1_3genE9ELNS1_11target_archE1100ELNS1_3gpuE3ELNS1_3repE0EEENS1_52radix_sort_onesweep_histogram_config_static_selectorELNS0_4arch9wavefront6targetE1EEEvSG_
                                        ; -- End function
	.set _ZN7rocprim17ROCPRIM_400000_NS6detail17trampoline_kernelINS0_14default_configENS1_35radix_sort_onesweep_config_selectorIddEEZNS1_34radix_sort_onesweep_global_offsetsIS3_Lb0EN6thrust23THRUST_200600_302600_NS6detail15normal_iteratorINS8_10device_ptrIdEEEESD_jNS0_19identity_decomposerEEE10hipError_tT1_T2_PT3_SI_jT4_jjP12ihipStream_tbEUlT_E0_NS1_11comp_targetILNS1_3genE9ELNS1_11target_archE1100ELNS1_3gpuE3ELNS1_3repE0EEENS1_52radix_sort_onesweep_histogram_config_static_selectorELNS0_4arch9wavefront6targetE1EEEvSG_.num_vgpr, 0
	.set _ZN7rocprim17ROCPRIM_400000_NS6detail17trampoline_kernelINS0_14default_configENS1_35radix_sort_onesweep_config_selectorIddEEZNS1_34radix_sort_onesweep_global_offsetsIS3_Lb0EN6thrust23THRUST_200600_302600_NS6detail15normal_iteratorINS8_10device_ptrIdEEEESD_jNS0_19identity_decomposerEEE10hipError_tT1_T2_PT3_SI_jT4_jjP12ihipStream_tbEUlT_E0_NS1_11comp_targetILNS1_3genE9ELNS1_11target_archE1100ELNS1_3gpuE3ELNS1_3repE0EEENS1_52radix_sort_onesweep_histogram_config_static_selectorELNS0_4arch9wavefront6targetE1EEEvSG_.num_agpr, 0
	.set _ZN7rocprim17ROCPRIM_400000_NS6detail17trampoline_kernelINS0_14default_configENS1_35radix_sort_onesweep_config_selectorIddEEZNS1_34radix_sort_onesweep_global_offsetsIS3_Lb0EN6thrust23THRUST_200600_302600_NS6detail15normal_iteratorINS8_10device_ptrIdEEEESD_jNS0_19identity_decomposerEEE10hipError_tT1_T2_PT3_SI_jT4_jjP12ihipStream_tbEUlT_E0_NS1_11comp_targetILNS1_3genE9ELNS1_11target_archE1100ELNS1_3gpuE3ELNS1_3repE0EEENS1_52radix_sort_onesweep_histogram_config_static_selectorELNS0_4arch9wavefront6targetE1EEEvSG_.numbered_sgpr, 0
	.set _ZN7rocprim17ROCPRIM_400000_NS6detail17trampoline_kernelINS0_14default_configENS1_35radix_sort_onesweep_config_selectorIddEEZNS1_34radix_sort_onesweep_global_offsetsIS3_Lb0EN6thrust23THRUST_200600_302600_NS6detail15normal_iteratorINS8_10device_ptrIdEEEESD_jNS0_19identity_decomposerEEE10hipError_tT1_T2_PT3_SI_jT4_jjP12ihipStream_tbEUlT_E0_NS1_11comp_targetILNS1_3genE9ELNS1_11target_archE1100ELNS1_3gpuE3ELNS1_3repE0EEENS1_52radix_sort_onesweep_histogram_config_static_selectorELNS0_4arch9wavefront6targetE1EEEvSG_.num_named_barrier, 0
	.set _ZN7rocprim17ROCPRIM_400000_NS6detail17trampoline_kernelINS0_14default_configENS1_35radix_sort_onesweep_config_selectorIddEEZNS1_34radix_sort_onesweep_global_offsetsIS3_Lb0EN6thrust23THRUST_200600_302600_NS6detail15normal_iteratorINS8_10device_ptrIdEEEESD_jNS0_19identity_decomposerEEE10hipError_tT1_T2_PT3_SI_jT4_jjP12ihipStream_tbEUlT_E0_NS1_11comp_targetILNS1_3genE9ELNS1_11target_archE1100ELNS1_3gpuE3ELNS1_3repE0EEENS1_52radix_sort_onesweep_histogram_config_static_selectorELNS0_4arch9wavefront6targetE1EEEvSG_.private_seg_size, 0
	.set _ZN7rocprim17ROCPRIM_400000_NS6detail17trampoline_kernelINS0_14default_configENS1_35radix_sort_onesweep_config_selectorIddEEZNS1_34radix_sort_onesweep_global_offsetsIS3_Lb0EN6thrust23THRUST_200600_302600_NS6detail15normal_iteratorINS8_10device_ptrIdEEEESD_jNS0_19identity_decomposerEEE10hipError_tT1_T2_PT3_SI_jT4_jjP12ihipStream_tbEUlT_E0_NS1_11comp_targetILNS1_3genE9ELNS1_11target_archE1100ELNS1_3gpuE3ELNS1_3repE0EEENS1_52radix_sort_onesweep_histogram_config_static_selectorELNS0_4arch9wavefront6targetE1EEEvSG_.uses_vcc, 0
	.set _ZN7rocprim17ROCPRIM_400000_NS6detail17trampoline_kernelINS0_14default_configENS1_35radix_sort_onesweep_config_selectorIddEEZNS1_34radix_sort_onesweep_global_offsetsIS3_Lb0EN6thrust23THRUST_200600_302600_NS6detail15normal_iteratorINS8_10device_ptrIdEEEESD_jNS0_19identity_decomposerEEE10hipError_tT1_T2_PT3_SI_jT4_jjP12ihipStream_tbEUlT_E0_NS1_11comp_targetILNS1_3genE9ELNS1_11target_archE1100ELNS1_3gpuE3ELNS1_3repE0EEENS1_52radix_sort_onesweep_histogram_config_static_selectorELNS0_4arch9wavefront6targetE1EEEvSG_.uses_flat_scratch, 0
	.set _ZN7rocprim17ROCPRIM_400000_NS6detail17trampoline_kernelINS0_14default_configENS1_35radix_sort_onesweep_config_selectorIddEEZNS1_34radix_sort_onesweep_global_offsetsIS3_Lb0EN6thrust23THRUST_200600_302600_NS6detail15normal_iteratorINS8_10device_ptrIdEEEESD_jNS0_19identity_decomposerEEE10hipError_tT1_T2_PT3_SI_jT4_jjP12ihipStream_tbEUlT_E0_NS1_11comp_targetILNS1_3genE9ELNS1_11target_archE1100ELNS1_3gpuE3ELNS1_3repE0EEENS1_52radix_sort_onesweep_histogram_config_static_selectorELNS0_4arch9wavefront6targetE1EEEvSG_.has_dyn_sized_stack, 0
	.set _ZN7rocprim17ROCPRIM_400000_NS6detail17trampoline_kernelINS0_14default_configENS1_35radix_sort_onesweep_config_selectorIddEEZNS1_34radix_sort_onesweep_global_offsetsIS3_Lb0EN6thrust23THRUST_200600_302600_NS6detail15normal_iteratorINS8_10device_ptrIdEEEESD_jNS0_19identity_decomposerEEE10hipError_tT1_T2_PT3_SI_jT4_jjP12ihipStream_tbEUlT_E0_NS1_11comp_targetILNS1_3genE9ELNS1_11target_archE1100ELNS1_3gpuE3ELNS1_3repE0EEENS1_52radix_sort_onesweep_histogram_config_static_selectorELNS0_4arch9wavefront6targetE1EEEvSG_.has_recursion, 0
	.set _ZN7rocprim17ROCPRIM_400000_NS6detail17trampoline_kernelINS0_14default_configENS1_35radix_sort_onesweep_config_selectorIddEEZNS1_34radix_sort_onesweep_global_offsetsIS3_Lb0EN6thrust23THRUST_200600_302600_NS6detail15normal_iteratorINS8_10device_ptrIdEEEESD_jNS0_19identity_decomposerEEE10hipError_tT1_T2_PT3_SI_jT4_jjP12ihipStream_tbEUlT_E0_NS1_11comp_targetILNS1_3genE9ELNS1_11target_archE1100ELNS1_3gpuE3ELNS1_3repE0EEENS1_52radix_sort_onesweep_histogram_config_static_selectorELNS0_4arch9wavefront6targetE1EEEvSG_.has_indirect_call, 0
	.section	.AMDGPU.csdata,"",@progbits
; Kernel info:
; codeLenInByte = 0
; TotalNumSgprs: 6
; NumVgprs: 0
; NumAgprs: 0
; TotalNumVgprs: 0
; ScratchSize: 0
; MemoryBound: 0
; FloatMode: 240
; IeeeMode: 1
; LDSByteSize: 0 bytes/workgroup (compile time only)
; SGPRBlocks: 0
; VGPRBlocks: 0
; NumSGPRsForWavesPerEU: 6
; NumVGPRsForWavesPerEU: 1
; AccumOffset: 4
; Occupancy: 8
; WaveLimiterHint : 0
; COMPUTE_PGM_RSRC2:SCRATCH_EN: 0
; COMPUTE_PGM_RSRC2:USER_SGPR: 2
; COMPUTE_PGM_RSRC2:TRAP_HANDLER: 0
; COMPUTE_PGM_RSRC2:TGID_X_EN: 1
; COMPUTE_PGM_RSRC2:TGID_Y_EN: 0
; COMPUTE_PGM_RSRC2:TGID_Z_EN: 0
; COMPUTE_PGM_RSRC2:TIDIG_COMP_CNT: 0
; COMPUTE_PGM_RSRC3_GFX90A:ACCUM_OFFSET: 0
; COMPUTE_PGM_RSRC3_GFX90A:TG_SPLIT: 0
	.section	.text._ZN7rocprim17ROCPRIM_400000_NS6detail17trampoline_kernelINS0_14default_configENS1_35radix_sort_onesweep_config_selectorIddEEZNS1_34radix_sort_onesweep_global_offsetsIS3_Lb0EN6thrust23THRUST_200600_302600_NS6detail15normal_iteratorINS8_10device_ptrIdEEEESD_jNS0_19identity_decomposerEEE10hipError_tT1_T2_PT3_SI_jT4_jjP12ihipStream_tbEUlT_E0_NS1_11comp_targetILNS1_3genE8ELNS1_11target_archE1030ELNS1_3gpuE2ELNS1_3repE0EEENS1_52radix_sort_onesweep_histogram_config_static_selectorELNS0_4arch9wavefront6targetE1EEEvSG_,"axG",@progbits,_ZN7rocprim17ROCPRIM_400000_NS6detail17trampoline_kernelINS0_14default_configENS1_35radix_sort_onesweep_config_selectorIddEEZNS1_34radix_sort_onesweep_global_offsetsIS3_Lb0EN6thrust23THRUST_200600_302600_NS6detail15normal_iteratorINS8_10device_ptrIdEEEESD_jNS0_19identity_decomposerEEE10hipError_tT1_T2_PT3_SI_jT4_jjP12ihipStream_tbEUlT_E0_NS1_11comp_targetILNS1_3genE8ELNS1_11target_archE1030ELNS1_3gpuE2ELNS1_3repE0EEENS1_52radix_sort_onesweep_histogram_config_static_selectorELNS0_4arch9wavefront6targetE1EEEvSG_,comdat
	.protected	_ZN7rocprim17ROCPRIM_400000_NS6detail17trampoline_kernelINS0_14default_configENS1_35radix_sort_onesweep_config_selectorIddEEZNS1_34radix_sort_onesweep_global_offsetsIS3_Lb0EN6thrust23THRUST_200600_302600_NS6detail15normal_iteratorINS8_10device_ptrIdEEEESD_jNS0_19identity_decomposerEEE10hipError_tT1_T2_PT3_SI_jT4_jjP12ihipStream_tbEUlT_E0_NS1_11comp_targetILNS1_3genE8ELNS1_11target_archE1030ELNS1_3gpuE2ELNS1_3repE0EEENS1_52radix_sort_onesweep_histogram_config_static_selectorELNS0_4arch9wavefront6targetE1EEEvSG_ ; -- Begin function _ZN7rocprim17ROCPRIM_400000_NS6detail17trampoline_kernelINS0_14default_configENS1_35radix_sort_onesweep_config_selectorIddEEZNS1_34radix_sort_onesweep_global_offsetsIS3_Lb0EN6thrust23THRUST_200600_302600_NS6detail15normal_iteratorINS8_10device_ptrIdEEEESD_jNS0_19identity_decomposerEEE10hipError_tT1_T2_PT3_SI_jT4_jjP12ihipStream_tbEUlT_E0_NS1_11comp_targetILNS1_3genE8ELNS1_11target_archE1030ELNS1_3gpuE2ELNS1_3repE0EEENS1_52radix_sort_onesweep_histogram_config_static_selectorELNS0_4arch9wavefront6targetE1EEEvSG_
	.globl	_ZN7rocprim17ROCPRIM_400000_NS6detail17trampoline_kernelINS0_14default_configENS1_35radix_sort_onesweep_config_selectorIddEEZNS1_34radix_sort_onesweep_global_offsetsIS3_Lb0EN6thrust23THRUST_200600_302600_NS6detail15normal_iteratorINS8_10device_ptrIdEEEESD_jNS0_19identity_decomposerEEE10hipError_tT1_T2_PT3_SI_jT4_jjP12ihipStream_tbEUlT_E0_NS1_11comp_targetILNS1_3genE8ELNS1_11target_archE1030ELNS1_3gpuE2ELNS1_3repE0EEENS1_52radix_sort_onesweep_histogram_config_static_selectorELNS0_4arch9wavefront6targetE1EEEvSG_
	.p2align	8
	.type	_ZN7rocprim17ROCPRIM_400000_NS6detail17trampoline_kernelINS0_14default_configENS1_35radix_sort_onesweep_config_selectorIddEEZNS1_34radix_sort_onesweep_global_offsetsIS3_Lb0EN6thrust23THRUST_200600_302600_NS6detail15normal_iteratorINS8_10device_ptrIdEEEESD_jNS0_19identity_decomposerEEE10hipError_tT1_T2_PT3_SI_jT4_jjP12ihipStream_tbEUlT_E0_NS1_11comp_targetILNS1_3genE8ELNS1_11target_archE1030ELNS1_3gpuE2ELNS1_3repE0EEENS1_52radix_sort_onesweep_histogram_config_static_selectorELNS0_4arch9wavefront6targetE1EEEvSG_,@function
_ZN7rocprim17ROCPRIM_400000_NS6detail17trampoline_kernelINS0_14default_configENS1_35radix_sort_onesweep_config_selectorIddEEZNS1_34radix_sort_onesweep_global_offsetsIS3_Lb0EN6thrust23THRUST_200600_302600_NS6detail15normal_iteratorINS8_10device_ptrIdEEEESD_jNS0_19identity_decomposerEEE10hipError_tT1_T2_PT3_SI_jT4_jjP12ihipStream_tbEUlT_E0_NS1_11comp_targetILNS1_3genE8ELNS1_11target_archE1030ELNS1_3gpuE2ELNS1_3repE0EEENS1_52radix_sort_onesweep_histogram_config_static_selectorELNS0_4arch9wavefront6targetE1EEEvSG_: ; @_ZN7rocprim17ROCPRIM_400000_NS6detail17trampoline_kernelINS0_14default_configENS1_35radix_sort_onesweep_config_selectorIddEEZNS1_34radix_sort_onesweep_global_offsetsIS3_Lb0EN6thrust23THRUST_200600_302600_NS6detail15normal_iteratorINS8_10device_ptrIdEEEESD_jNS0_19identity_decomposerEEE10hipError_tT1_T2_PT3_SI_jT4_jjP12ihipStream_tbEUlT_E0_NS1_11comp_targetILNS1_3genE8ELNS1_11target_archE1030ELNS1_3gpuE2ELNS1_3repE0EEENS1_52radix_sort_onesweep_histogram_config_static_selectorELNS0_4arch9wavefront6targetE1EEEvSG_
; %bb.0:
	.section	.rodata,"a",@progbits
	.p2align	6, 0x0
	.amdhsa_kernel _ZN7rocprim17ROCPRIM_400000_NS6detail17trampoline_kernelINS0_14default_configENS1_35radix_sort_onesweep_config_selectorIddEEZNS1_34radix_sort_onesweep_global_offsetsIS3_Lb0EN6thrust23THRUST_200600_302600_NS6detail15normal_iteratorINS8_10device_ptrIdEEEESD_jNS0_19identity_decomposerEEE10hipError_tT1_T2_PT3_SI_jT4_jjP12ihipStream_tbEUlT_E0_NS1_11comp_targetILNS1_3genE8ELNS1_11target_archE1030ELNS1_3gpuE2ELNS1_3repE0EEENS1_52radix_sort_onesweep_histogram_config_static_selectorELNS0_4arch9wavefront6targetE1EEEvSG_
		.amdhsa_group_segment_fixed_size 0
		.amdhsa_private_segment_fixed_size 0
		.amdhsa_kernarg_size 8
		.amdhsa_user_sgpr_count 2
		.amdhsa_user_sgpr_dispatch_ptr 0
		.amdhsa_user_sgpr_queue_ptr 0
		.amdhsa_user_sgpr_kernarg_segment_ptr 1
		.amdhsa_user_sgpr_dispatch_id 0
		.amdhsa_user_sgpr_kernarg_preload_length 0
		.amdhsa_user_sgpr_kernarg_preload_offset 0
		.amdhsa_user_sgpr_private_segment_size 0
		.amdhsa_uses_dynamic_stack 0
		.amdhsa_enable_private_segment 0
		.amdhsa_system_sgpr_workgroup_id_x 1
		.amdhsa_system_sgpr_workgroup_id_y 0
		.amdhsa_system_sgpr_workgroup_id_z 0
		.amdhsa_system_sgpr_workgroup_info 0
		.amdhsa_system_vgpr_workitem_id 0
		.amdhsa_next_free_vgpr 1
		.amdhsa_next_free_sgpr 0
		.amdhsa_accum_offset 4
		.amdhsa_reserve_vcc 0
		.amdhsa_float_round_mode_32 0
		.amdhsa_float_round_mode_16_64 0
		.amdhsa_float_denorm_mode_32 3
		.amdhsa_float_denorm_mode_16_64 3
		.amdhsa_dx10_clamp 1
		.amdhsa_ieee_mode 1
		.amdhsa_fp16_overflow 0
		.amdhsa_tg_split 0
		.amdhsa_exception_fp_ieee_invalid_op 0
		.amdhsa_exception_fp_denorm_src 0
		.amdhsa_exception_fp_ieee_div_zero 0
		.amdhsa_exception_fp_ieee_overflow 0
		.amdhsa_exception_fp_ieee_underflow 0
		.amdhsa_exception_fp_ieee_inexact 0
		.amdhsa_exception_int_div_zero 0
	.end_amdhsa_kernel
	.section	.text._ZN7rocprim17ROCPRIM_400000_NS6detail17trampoline_kernelINS0_14default_configENS1_35radix_sort_onesweep_config_selectorIddEEZNS1_34radix_sort_onesweep_global_offsetsIS3_Lb0EN6thrust23THRUST_200600_302600_NS6detail15normal_iteratorINS8_10device_ptrIdEEEESD_jNS0_19identity_decomposerEEE10hipError_tT1_T2_PT3_SI_jT4_jjP12ihipStream_tbEUlT_E0_NS1_11comp_targetILNS1_3genE8ELNS1_11target_archE1030ELNS1_3gpuE2ELNS1_3repE0EEENS1_52radix_sort_onesweep_histogram_config_static_selectorELNS0_4arch9wavefront6targetE1EEEvSG_,"axG",@progbits,_ZN7rocprim17ROCPRIM_400000_NS6detail17trampoline_kernelINS0_14default_configENS1_35radix_sort_onesweep_config_selectorIddEEZNS1_34radix_sort_onesweep_global_offsetsIS3_Lb0EN6thrust23THRUST_200600_302600_NS6detail15normal_iteratorINS8_10device_ptrIdEEEESD_jNS0_19identity_decomposerEEE10hipError_tT1_T2_PT3_SI_jT4_jjP12ihipStream_tbEUlT_E0_NS1_11comp_targetILNS1_3genE8ELNS1_11target_archE1030ELNS1_3gpuE2ELNS1_3repE0EEENS1_52radix_sort_onesweep_histogram_config_static_selectorELNS0_4arch9wavefront6targetE1EEEvSG_,comdat
.Lfunc_end99:
	.size	_ZN7rocprim17ROCPRIM_400000_NS6detail17trampoline_kernelINS0_14default_configENS1_35radix_sort_onesweep_config_selectorIddEEZNS1_34radix_sort_onesweep_global_offsetsIS3_Lb0EN6thrust23THRUST_200600_302600_NS6detail15normal_iteratorINS8_10device_ptrIdEEEESD_jNS0_19identity_decomposerEEE10hipError_tT1_T2_PT3_SI_jT4_jjP12ihipStream_tbEUlT_E0_NS1_11comp_targetILNS1_3genE8ELNS1_11target_archE1030ELNS1_3gpuE2ELNS1_3repE0EEENS1_52radix_sort_onesweep_histogram_config_static_selectorELNS0_4arch9wavefront6targetE1EEEvSG_, .Lfunc_end99-_ZN7rocprim17ROCPRIM_400000_NS6detail17trampoline_kernelINS0_14default_configENS1_35radix_sort_onesweep_config_selectorIddEEZNS1_34radix_sort_onesweep_global_offsetsIS3_Lb0EN6thrust23THRUST_200600_302600_NS6detail15normal_iteratorINS8_10device_ptrIdEEEESD_jNS0_19identity_decomposerEEE10hipError_tT1_T2_PT3_SI_jT4_jjP12ihipStream_tbEUlT_E0_NS1_11comp_targetILNS1_3genE8ELNS1_11target_archE1030ELNS1_3gpuE2ELNS1_3repE0EEENS1_52radix_sort_onesweep_histogram_config_static_selectorELNS0_4arch9wavefront6targetE1EEEvSG_
                                        ; -- End function
	.set _ZN7rocprim17ROCPRIM_400000_NS6detail17trampoline_kernelINS0_14default_configENS1_35radix_sort_onesweep_config_selectorIddEEZNS1_34radix_sort_onesweep_global_offsetsIS3_Lb0EN6thrust23THRUST_200600_302600_NS6detail15normal_iteratorINS8_10device_ptrIdEEEESD_jNS0_19identity_decomposerEEE10hipError_tT1_T2_PT3_SI_jT4_jjP12ihipStream_tbEUlT_E0_NS1_11comp_targetILNS1_3genE8ELNS1_11target_archE1030ELNS1_3gpuE2ELNS1_3repE0EEENS1_52radix_sort_onesweep_histogram_config_static_selectorELNS0_4arch9wavefront6targetE1EEEvSG_.num_vgpr, 0
	.set _ZN7rocprim17ROCPRIM_400000_NS6detail17trampoline_kernelINS0_14default_configENS1_35radix_sort_onesweep_config_selectorIddEEZNS1_34radix_sort_onesweep_global_offsetsIS3_Lb0EN6thrust23THRUST_200600_302600_NS6detail15normal_iteratorINS8_10device_ptrIdEEEESD_jNS0_19identity_decomposerEEE10hipError_tT1_T2_PT3_SI_jT4_jjP12ihipStream_tbEUlT_E0_NS1_11comp_targetILNS1_3genE8ELNS1_11target_archE1030ELNS1_3gpuE2ELNS1_3repE0EEENS1_52radix_sort_onesweep_histogram_config_static_selectorELNS0_4arch9wavefront6targetE1EEEvSG_.num_agpr, 0
	.set _ZN7rocprim17ROCPRIM_400000_NS6detail17trampoline_kernelINS0_14default_configENS1_35radix_sort_onesweep_config_selectorIddEEZNS1_34radix_sort_onesweep_global_offsetsIS3_Lb0EN6thrust23THRUST_200600_302600_NS6detail15normal_iteratorINS8_10device_ptrIdEEEESD_jNS0_19identity_decomposerEEE10hipError_tT1_T2_PT3_SI_jT4_jjP12ihipStream_tbEUlT_E0_NS1_11comp_targetILNS1_3genE8ELNS1_11target_archE1030ELNS1_3gpuE2ELNS1_3repE0EEENS1_52radix_sort_onesweep_histogram_config_static_selectorELNS0_4arch9wavefront6targetE1EEEvSG_.numbered_sgpr, 0
	.set _ZN7rocprim17ROCPRIM_400000_NS6detail17trampoline_kernelINS0_14default_configENS1_35radix_sort_onesweep_config_selectorIddEEZNS1_34radix_sort_onesweep_global_offsetsIS3_Lb0EN6thrust23THRUST_200600_302600_NS6detail15normal_iteratorINS8_10device_ptrIdEEEESD_jNS0_19identity_decomposerEEE10hipError_tT1_T2_PT3_SI_jT4_jjP12ihipStream_tbEUlT_E0_NS1_11comp_targetILNS1_3genE8ELNS1_11target_archE1030ELNS1_3gpuE2ELNS1_3repE0EEENS1_52radix_sort_onesweep_histogram_config_static_selectorELNS0_4arch9wavefront6targetE1EEEvSG_.num_named_barrier, 0
	.set _ZN7rocprim17ROCPRIM_400000_NS6detail17trampoline_kernelINS0_14default_configENS1_35radix_sort_onesweep_config_selectorIddEEZNS1_34radix_sort_onesweep_global_offsetsIS3_Lb0EN6thrust23THRUST_200600_302600_NS6detail15normal_iteratorINS8_10device_ptrIdEEEESD_jNS0_19identity_decomposerEEE10hipError_tT1_T2_PT3_SI_jT4_jjP12ihipStream_tbEUlT_E0_NS1_11comp_targetILNS1_3genE8ELNS1_11target_archE1030ELNS1_3gpuE2ELNS1_3repE0EEENS1_52radix_sort_onesweep_histogram_config_static_selectorELNS0_4arch9wavefront6targetE1EEEvSG_.private_seg_size, 0
	.set _ZN7rocprim17ROCPRIM_400000_NS6detail17trampoline_kernelINS0_14default_configENS1_35radix_sort_onesweep_config_selectorIddEEZNS1_34radix_sort_onesweep_global_offsetsIS3_Lb0EN6thrust23THRUST_200600_302600_NS6detail15normal_iteratorINS8_10device_ptrIdEEEESD_jNS0_19identity_decomposerEEE10hipError_tT1_T2_PT3_SI_jT4_jjP12ihipStream_tbEUlT_E0_NS1_11comp_targetILNS1_3genE8ELNS1_11target_archE1030ELNS1_3gpuE2ELNS1_3repE0EEENS1_52radix_sort_onesweep_histogram_config_static_selectorELNS0_4arch9wavefront6targetE1EEEvSG_.uses_vcc, 0
	.set _ZN7rocprim17ROCPRIM_400000_NS6detail17trampoline_kernelINS0_14default_configENS1_35radix_sort_onesweep_config_selectorIddEEZNS1_34radix_sort_onesweep_global_offsetsIS3_Lb0EN6thrust23THRUST_200600_302600_NS6detail15normal_iteratorINS8_10device_ptrIdEEEESD_jNS0_19identity_decomposerEEE10hipError_tT1_T2_PT3_SI_jT4_jjP12ihipStream_tbEUlT_E0_NS1_11comp_targetILNS1_3genE8ELNS1_11target_archE1030ELNS1_3gpuE2ELNS1_3repE0EEENS1_52radix_sort_onesweep_histogram_config_static_selectorELNS0_4arch9wavefront6targetE1EEEvSG_.uses_flat_scratch, 0
	.set _ZN7rocprim17ROCPRIM_400000_NS6detail17trampoline_kernelINS0_14default_configENS1_35radix_sort_onesweep_config_selectorIddEEZNS1_34radix_sort_onesweep_global_offsetsIS3_Lb0EN6thrust23THRUST_200600_302600_NS6detail15normal_iteratorINS8_10device_ptrIdEEEESD_jNS0_19identity_decomposerEEE10hipError_tT1_T2_PT3_SI_jT4_jjP12ihipStream_tbEUlT_E0_NS1_11comp_targetILNS1_3genE8ELNS1_11target_archE1030ELNS1_3gpuE2ELNS1_3repE0EEENS1_52radix_sort_onesweep_histogram_config_static_selectorELNS0_4arch9wavefront6targetE1EEEvSG_.has_dyn_sized_stack, 0
	.set _ZN7rocprim17ROCPRIM_400000_NS6detail17trampoline_kernelINS0_14default_configENS1_35radix_sort_onesweep_config_selectorIddEEZNS1_34radix_sort_onesweep_global_offsetsIS3_Lb0EN6thrust23THRUST_200600_302600_NS6detail15normal_iteratorINS8_10device_ptrIdEEEESD_jNS0_19identity_decomposerEEE10hipError_tT1_T2_PT3_SI_jT4_jjP12ihipStream_tbEUlT_E0_NS1_11comp_targetILNS1_3genE8ELNS1_11target_archE1030ELNS1_3gpuE2ELNS1_3repE0EEENS1_52radix_sort_onesweep_histogram_config_static_selectorELNS0_4arch9wavefront6targetE1EEEvSG_.has_recursion, 0
	.set _ZN7rocprim17ROCPRIM_400000_NS6detail17trampoline_kernelINS0_14default_configENS1_35radix_sort_onesweep_config_selectorIddEEZNS1_34radix_sort_onesweep_global_offsetsIS3_Lb0EN6thrust23THRUST_200600_302600_NS6detail15normal_iteratorINS8_10device_ptrIdEEEESD_jNS0_19identity_decomposerEEE10hipError_tT1_T2_PT3_SI_jT4_jjP12ihipStream_tbEUlT_E0_NS1_11comp_targetILNS1_3genE8ELNS1_11target_archE1030ELNS1_3gpuE2ELNS1_3repE0EEENS1_52radix_sort_onesweep_histogram_config_static_selectorELNS0_4arch9wavefront6targetE1EEEvSG_.has_indirect_call, 0
	.section	.AMDGPU.csdata,"",@progbits
; Kernel info:
; codeLenInByte = 0
; TotalNumSgprs: 6
; NumVgprs: 0
; NumAgprs: 0
; TotalNumVgprs: 0
; ScratchSize: 0
; MemoryBound: 0
; FloatMode: 240
; IeeeMode: 1
; LDSByteSize: 0 bytes/workgroup (compile time only)
; SGPRBlocks: 0
; VGPRBlocks: 0
; NumSGPRsForWavesPerEU: 6
; NumVGPRsForWavesPerEU: 1
; AccumOffset: 4
; Occupancy: 8
; WaveLimiterHint : 0
; COMPUTE_PGM_RSRC2:SCRATCH_EN: 0
; COMPUTE_PGM_RSRC2:USER_SGPR: 2
; COMPUTE_PGM_RSRC2:TRAP_HANDLER: 0
; COMPUTE_PGM_RSRC2:TGID_X_EN: 1
; COMPUTE_PGM_RSRC2:TGID_Y_EN: 0
; COMPUTE_PGM_RSRC2:TGID_Z_EN: 0
; COMPUTE_PGM_RSRC2:TIDIG_COMP_CNT: 0
; COMPUTE_PGM_RSRC3_GFX90A:ACCUM_OFFSET: 0
; COMPUTE_PGM_RSRC3_GFX90A:TG_SPLIT: 0
	.section	.text._ZN7rocprim17ROCPRIM_400000_NS6detail17trampoline_kernelINS0_14default_configENS1_25transform_config_selectorIdLb0EEEZNS1_14transform_implILb0ES3_S5_N6thrust23THRUST_200600_302600_NS6detail15normal_iteratorINS8_10device_ptrIdEEEEPdNS0_8identityIdEEEE10hipError_tT2_T3_mT4_P12ihipStream_tbEUlT_E_NS1_11comp_targetILNS1_3genE0ELNS1_11target_archE4294967295ELNS1_3gpuE0ELNS1_3repE0EEENS1_30default_config_static_selectorELNS0_4arch9wavefront6targetE1EEEvT1_,"axG",@progbits,_ZN7rocprim17ROCPRIM_400000_NS6detail17trampoline_kernelINS0_14default_configENS1_25transform_config_selectorIdLb0EEEZNS1_14transform_implILb0ES3_S5_N6thrust23THRUST_200600_302600_NS6detail15normal_iteratorINS8_10device_ptrIdEEEEPdNS0_8identityIdEEEE10hipError_tT2_T3_mT4_P12ihipStream_tbEUlT_E_NS1_11comp_targetILNS1_3genE0ELNS1_11target_archE4294967295ELNS1_3gpuE0ELNS1_3repE0EEENS1_30default_config_static_selectorELNS0_4arch9wavefront6targetE1EEEvT1_,comdat
	.protected	_ZN7rocprim17ROCPRIM_400000_NS6detail17trampoline_kernelINS0_14default_configENS1_25transform_config_selectorIdLb0EEEZNS1_14transform_implILb0ES3_S5_N6thrust23THRUST_200600_302600_NS6detail15normal_iteratorINS8_10device_ptrIdEEEEPdNS0_8identityIdEEEE10hipError_tT2_T3_mT4_P12ihipStream_tbEUlT_E_NS1_11comp_targetILNS1_3genE0ELNS1_11target_archE4294967295ELNS1_3gpuE0ELNS1_3repE0EEENS1_30default_config_static_selectorELNS0_4arch9wavefront6targetE1EEEvT1_ ; -- Begin function _ZN7rocprim17ROCPRIM_400000_NS6detail17trampoline_kernelINS0_14default_configENS1_25transform_config_selectorIdLb0EEEZNS1_14transform_implILb0ES3_S5_N6thrust23THRUST_200600_302600_NS6detail15normal_iteratorINS8_10device_ptrIdEEEEPdNS0_8identityIdEEEE10hipError_tT2_T3_mT4_P12ihipStream_tbEUlT_E_NS1_11comp_targetILNS1_3genE0ELNS1_11target_archE4294967295ELNS1_3gpuE0ELNS1_3repE0EEENS1_30default_config_static_selectorELNS0_4arch9wavefront6targetE1EEEvT1_
	.globl	_ZN7rocprim17ROCPRIM_400000_NS6detail17trampoline_kernelINS0_14default_configENS1_25transform_config_selectorIdLb0EEEZNS1_14transform_implILb0ES3_S5_N6thrust23THRUST_200600_302600_NS6detail15normal_iteratorINS8_10device_ptrIdEEEEPdNS0_8identityIdEEEE10hipError_tT2_T3_mT4_P12ihipStream_tbEUlT_E_NS1_11comp_targetILNS1_3genE0ELNS1_11target_archE4294967295ELNS1_3gpuE0ELNS1_3repE0EEENS1_30default_config_static_selectorELNS0_4arch9wavefront6targetE1EEEvT1_
	.p2align	8
	.type	_ZN7rocprim17ROCPRIM_400000_NS6detail17trampoline_kernelINS0_14default_configENS1_25transform_config_selectorIdLb0EEEZNS1_14transform_implILb0ES3_S5_N6thrust23THRUST_200600_302600_NS6detail15normal_iteratorINS8_10device_ptrIdEEEEPdNS0_8identityIdEEEE10hipError_tT2_T3_mT4_P12ihipStream_tbEUlT_E_NS1_11comp_targetILNS1_3genE0ELNS1_11target_archE4294967295ELNS1_3gpuE0ELNS1_3repE0EEENS1_30default_config_static_selectorELNS0_4arch9wavefront6targetE1EEEvT1_,@function
_ZN7rocprim17ROCPRIM_400000_NS6detail17trampoline_kernelINS0_14default_configENS1_25transform_config_selectorIdLb0EEEZNS1_14transform_implILb0ES3_S5_N6thrust23THRUST_200600_302600_NS6detail15normal_iteratorINS8_10device_ptrIdEEEEPdNS0_8identityIdEEEE10hipError_tT2_T3_mT4_P12ihipStream_tbEUlT_E_NS1_11comp_targetILNS1_3genE0ELNS1_11target_archE4294967295ELNS1_3gpuE0ELNS1_3repE0EEENS1_30default_config_static_selectorELNS0_4arch9wavefront6targetE1EEEvT1_: ; @_ZN7rocprim17ROCPRIM_400000_NS6detail17trampoline_kernelINS0_14default_configENS1_25transform_config_selectorIdLb0EEEZNS1_14transform_implILb0ES3_S5_N6thrust23THRUST_200600_302600_NS6detail15normal_iteratorINS8_10device_ptrIdEEEEPdNS0_8identityIdEEEE10hipError_tT2_T3_mT4_P12ihipStream_tbEUlT_E_NS1_11comp_targetILNS1_3genE0ELNS1_11target_archE4294967295ELNS1_3gpuE0ELNS1_3repE0EEENS1_30default_config_static_selectorELNS0_4arch9wavefront6targetE1EEEvT1_
; %bb.0:
	s_load_dword s3, s[0:1], 0x28
	s_load_dword s5, s[0:1], 0x10
	s_lshl_b32 s4, s2, 7
	s_waitcnt lgkmcnt(0)
	s_add_i32 s3, s3, -1
	s_cmp_lg_u32 s2, s3
	s_cselect_b64 s[2:3], -1, 0
	s_sub_i32 s5, s5, s4
	v_cmp_gt_u32_e32 vcc, s5, v0
	s_or_b64 s[2:3], vcc, s[2:3]
	s_and_saveexec_b64 s[6:7], s[2:3]
	s_cbranch_execz .LBB100_2
; %bb.1:
	s_load_dwordx4 s[8:11], s[0:1], 0x0
	s_load_dwordx2 s[2:3], s[0:1], 0x18
	s_mov_b32 s5, 0
	v_lshlrev_b32_e32 v0, 3, v0
	v_mov_b32_e32 v1, 0
	s_waitcnt lgkmcnt(0)
	s_lshl_b64 s[0:1], s[10:11], 3
	s_add_u32 s6, s8, s0
	s_addc_u32 s7, s9, s1
	s_lshl_b64 s[4:5], s[4:5], 3
	s_add_u32 s6, s6, s4
	s_addc_u32 s7, s7, s5
	v_lshl_add_u64 v[2:3], s[6:7], 0, v[0:1]
	flat_load_dwordx2 v[2:3], v[2:3]
	s_add_u32 s0, s2, s0
	s_addc_u32 s1, s3, s1
	s_add_u32 s0, s0, s4
	s_addc_u32 s1, s1, s5
	s_waitcnt vmcnt(0) lgkmcnt(0)
	global_store_dwordx2 v0, v[2:3], s[0:1]
.LBB100_2:
	s_endpgm
	.section	.rodata,"a",@progbits
	.p2align	6, 0x0
	.amdhsa_kernel _ZN7rocprim17ROCPRIM_400000_NS6detail17trampoline_kernelINS0_14default_configENS1_25transform_config_selectorIdLb0EEEZNS1_14transform_implILb0ES3_S5_N6thrust23THRUST_200600_302600_NS6detail15normal_iteratorINS8_10device_ptrIdEEEEPdNS0_8identityIdEEEE10hipError_tT2_T3_mT4_P12ihipStream_tbEUlT_E_NS1_11comp_targetILNS1_3genE0ELNS1_11target_archE4294967295ELNS1_3gpuE0ELNS1_3repE0EEENS1_30default_config_static_selectorELNS0_4arch9wavefront6targetE1EEEvT1_
		.amdhsa_group_segment_fixed_size 0
		.amdhsa_private_segment_fixed_size 0
		.amdhsa_kernarg_size 296
		.amdhsa_user_sgpr_count 2
		.amdhsa_user_sgpr_dispatch_ptr 0
		.amdhsa_user_sgpr_queue_ptr 0
		.amdhsa_user_sgpr_kernarg_segment_ptr 1
		.amdhsa_user_sgpr_dispatch_id 0
		.amdhsa_user_sgpr_kernarg_preload_length 0
		.amdhsa_user_sgpr_kernarg_preload_offset 0
		.amdhsa_user_sgpr_private_segment_size 0
		.amdhsa_uses_dynamic_stack 0
		.amdhsa_enable_private_segment 0
		.amdhsa_system_sgpr_workgroup_id_x 1
		.amdhsa_system_sgpr_workgroup_id_y 0
		.amdhsa_system_sgpr_workgroup_id_z 0
		.amdhsa_system_sgpr_workgroup_info 0
		.amdhsa_system_vgpr_workitem_id 0
		.amdhsa_next_free_vgpr 4
		.amdhsa_next_free_sgpr 12
		.amdhsa_accum_offset 4
		.amdhsa_reserve_vcc 1
		.amdhsa_float_round_mode_32 0
		.amdhsa_float_round_mode_16_64 0
		.amdhsa_float_denorm_mode_32 3
		.amdhsa_float_denorm_mode_16_64 3
		.amdhsa_dx10_clamp 1
		.amdhsa_ieee_mode 1
		.amdhsa_fp16_overflow 0
		.amdhsa_tg_split 0
		.amdhsa_exception_fp_ieee_invalid_op 0
		.amdhsa_exception_fp_denorm_src 0
		.amdhsa_exception_fp_ieee_div_zero 0
		.amdhsa_exception_fp_ieee_overflow 0
		.amdhsa_exception_fp_ieee_underflow 0
		.amdhsa_exception_fp_ieee_inexact 0
		.amdhsa_exception_int_div_zero 0
	.end_amdhsa_kernel
	.section	.text._ZN7rocprim17ROCPRIM_400000_NS6detail17trampoline_kernelINS0_14default_configENS1_25transform_config_selectorIdLb0EEEZNS1_14transform_implILb0ES3_S5_N6thrust23THRUST_200600_302600_NS6detail15normal_iteratorINS8_10device_ptrIdEEEEPdNS0_8identityIdEEEE10hipError_tT2_T3_mT4_P12ihipStream_tbEUlT_E_NS1_11comp_targetILNS1_3genE0ELNS1_11target_archE4294967295ELNS1_3gpuE0ELNS1_3repE0EEENS1_30default_config_static_selectorELNS0_4arch9wavefront6targetE1EEEvT1_,"axG",@progbits,_ZN7rocprim17ROCPRIM_400000_NS6detail17trampoline_kernelINS0_14default_configENS1_25transform_config_selectorIdLb0EEEZNS1_14transform_implILb0ES3_S5_N6thrust23THRUST_200600_302600_NS6detail15normal_iteratorINS8_10device_ptrIdEEEEPdNS0_8identityIdEEEE10hipError_tT2_T3_mT4_P12ihipStream_tbEUlT_E_NS1_11comp_targetILNS1_3genE0ELNS1_11target_archE4294967295ELNS1_3gpuE0ELNS1_3repE0EEENS1_30default_config_static_selectorELNS0_4arch9wavefront6targetE1EEEvT1_,comdat
.Lfunc_end100:
	.size	_ZN7rocprim17ROCPRIM_400000_NS6detail17trampoline_kernelINS0_14default_configENS1_25transform_config_selectorIdLb0EEEZNS1_14transform_implILb0ES3_S5_N6thrust23THRUST_200600_302600_NS6detail15normal_iteratorINS8_10device_ptrIdEEEEPdNS0_8identityIdEEEE10hipError_tT2_T3_mT4_P12ihipStream_tbEUlT_E_NS1_11comp_targetILNS1_3genE0ELNS1_11target_archE4294967295ELNS1_3gpuE0ELNS1_3repE0EEENS1_30default_config_static_selectorELNS0_4arch9wavefront6targetE1EEEvT1_, .Lfunc_end100-_ZN7rocprim17ROCPRIM_400000_NS6detail17trampoline_kernelINS0_14default_configENS1_25transform_config_selectorIdLb0EEEZNS1_14transform_implILb0ES3_S5_N6thrust23THRUST_200600_302600_NS6detail15normal_iteratorINS8_10device_ptrIdEEEEPdNS0_8identityIdEEEE10hipError_tT2_T3_mT4_P12ihipStream_tbEUlT_E_NS1_11comp_targetILNS1_3genE0ELNS1_11target_archE4294967295ELNS1_3gpuE0ELNS1_3repE0EEENS1_30default_config_static_selectorELNS0_4arch9wavefront6targetE1EEEvT1_
                                        ; -- End function
	.set _ZN7rocprim17ROCPRIM_400000_NS6detail17trampoline_kernelINS0_14default_configENS1_25transform_config_selectorIdLb0EEEZNS1_14transform_implILb0ES3_S5_N6thrust23THRUST_200600_302600_NS6detail15normal_iteratorINS8_10device_ptrIdEEEEPdNS0_8identityIdEEEE10hipError_tT2_T3_mT4_P12ihipStream_tbEUlT_E_NS1_11comp_targetILNS1_3genE0ELNS1_11target_archE4294967295ELNS1_3gpuE0ELNS1_3repE0EEENS1_30default_config_static_selectorELNS0_4arch9wavefront6targetE1EEEvT1_.num_vgpr, 4
	.set _ZN7rocprim17ROCPRIM_400000_NS6detail17trampoline_kernelINS0_14default_configENS1_25transform_config_selectorIdLb0EEEZNS1_14transform_implILb0ES3_S5_N6thrust23THRUST_200600_302600_NS6detail15normal_iteratorINS8_10device_ptrIdEEEEPdNS0_8identityIdEEEE10hipError_tT2_T3_mT4_P12ihipStream_tbEUlT_E_NS1_11comp_targetILNS1_3genE0ELNS1_11target_archE4294967295ELNS1_3gpuE0ELNS1_3repE0EEENS1_30default_config_static_selectorELNS0_4arch9wavefront6targetE1EEEvT1_.num_agpr, 0
	.set _ZN7rocprim17ROCPRIM_400000_NS6detail17trampoline_kernelINS0_14default_configENS1_25transform_config_selectorIdLb0EEEZNS1_14transform_implILb0ES3_S5_N6thrust23THRUST_200600_302600_NS6detail15normal_iteratorINS8_10device_ptrIdEEEEPdNS0_8identityIdEEEE10hipError_tT2_T3_mT4_P12ihipStream_tbEUlT_E_NS1_11comp_targetILNS1_3genE0ELNS1_11target_archE4294967295ELNS1_3gpuE0ELNS1_3repE0EEENS1_30default_config_static_selectorELNS0_4arch9wavefront6targetE1EEEvT1_.numbered_sgpr, 12
	.set _ZN7rocprim17ROCPRIM_400000_NS6detail17trampoline_kernelINS0_14default_configENS1_25transform_config_selectorIdLb0EEEZNS1_14transform_implILb0ES3_S5_N6thrust23THRUST_200600_302600_NS6detail15normal_iteratorINS8_10device_ptrIdEEEEPdNS0_8identityIdEEEE10hipError_tT2_T3_mT4_P12ihipStream_tbEUlT_E_NS1_11comp_targetILNS1_3genE0ELNS1_11target_archE4294967295ELNS1_3gpuE0ELNS1_3repE0EEENS1_30default_config_static_selectorELNS0_4arch9wavefront6targetE1EEEvT1_.num_named_barrier, 0
	.set _ZN7rocprim17ROCPRIM_400000_NS6detail17trampoline_kernelINS0_14default_configENS1_25transform_config_selectorIdLb0EEEZNS1_14transform_implILb0ES3_S5_N6thrust23THRUST_200600_302600_NS6detail15normal_iteratorINS8_10device_ptrIdEEEEPdNS0_8identityIdEEEE10hipError_tT2_T3_mT4_P12ihipStream_tbEUlT_E_NS1_11comp_targetILNS1_3genE0ELNS1_11target_archE4294967295ELNS1_3gpuE0ELNS1_3repE0EEENS1_30default_config_static_selectorELNS0_4arch9wavefront6targetE1EEEvT1_.private_seg_size, 0
	.set _ZN7rocprim17ROCPRIM_400000_NS6detail17trampoline_kernelINS0_14default_configENS1_25transform_config_selectorIdLb0EEEZNS1_14transform_implILb0ES3_S5_N6thrust23THRUST_200600_302600_NS6detail15normal_iteratorINS8_10device_ptrIdEEEEPdNS0_8identityIdEEEE10hipError_tT2_T3_mT4_P12ihipStream_tbEUlT_E_NS1_11comp_targetILNS1_3genE0ELNS1_11target_archE4294967295ELNS1_3gpuE0ELNS1_3repE0EEENS1_30default_config_static_selectorELNS0_4arch9wavefront6targetE1EEEvT1_.uses_vcc, 1
	.set _ZN7rocprim17ROCPRIM_400000_NS6detail17trampoline_kernelINS0_14default_configENS1_25transform_config_selectorIdLb0EEEZNS1_14transform_implILb0ES3_S5_N6thrust23THRUST_200600_302600_NS6detail15normal_iteratorINS8_10device_ptrIdEEEEPdNS0_8identityIdEEEE10hipError_tT2_T3_mT4_P12ihipStream_tbEUlT_E_NS1_11comp_targetILNS1_3genE0ELNS1_11target_archE4294967295ELNS1_3gpuE0ELNS1_3repE0EEENS1_30default_config_static_selectorELNS0_4arch9wavefront6targetE1EEEvT1_.uses_flat_scratch, 0
	.set _ZN7rocprim17ROCPRIM_400000_NS6detail17trampoline_kernelINS0_14default_configENS1_25transform_config_selectorIdLb0EEEZNS1_14transform_implILb0ES3_S5_N6thrust23THRUST_200600_302600_NS6detail15normal_iteratorINS8_10device_ptrIdEEEEPdNS0_8identityIdEEEE10hipError_tT2_T3_mT4_P12ihipStream_tbEUlT_E_NS1_11comp_targetILNS1_3genE0ELNS1_11target_archE4294967295ELNS1_3gpuE0ELNS1_3repE0EEENS1_30default_config_static_selectorELNS0_4arch9wavefront6targetE1EEEvT1_.has_dyn_sized_stack, 0
	.set _ZN7rocprim17ROCPRIM_400000_NS6detail17trampoline_kernelINS0_14default_configENS1_25transform_config_selectorIdLb0EEEZNS1_14transform_implILb0ES3_S5_N6thrust23THRUST_200600_302600_NS6detail15normal_iteratorINS8_10device_ptrIdEEEEPdNS0_8identityIdEEEE10hipError_tT2_T3_mT4_P12ihipStream_tbEUlT_E_NS1_11comp_targetILNS1_3genE0ELNS1_11target_archE4294967295ELNS1_3gpuE0ELNS1_3repE0EEENS1_30default_config_static_selectorELNS0_4arch9wavefront6targetE1EEEvT1_.has_recursion, 0
	.set _ZN7rocprim17ROCPRIM_400000_NS6detail17trampoline_kernelINS0_14default_configENS1_25transform_config_selectorIdLb0EEEZNS1_14transform_implILb0ES3_S5_N6thrust23THRUST_200600_302600_NS6detail15normal_iteratorINS8_10device_ptrIdEEEEPdNS0_8identityIdEEEE10hipError_tT2_T3_mT4_P12ihipStream_tbEUlT_E_NS1_11comp_targetILNS1_3genE0ELNS1_11target_archE4294967295ELNS1_3gpuE0ELNS1_3repE0EEENS1_30default_config_static_selectorELNS0_4arch9wavefront6targetE1EEEvT1_.has_indirect_call, 0
	.section	.AMDGPU.csdata,"",@progbits
; Kernel info:
; codeLenInByte = 160
; TotalNumSgprs: 18
; NumVgprs: 4
; NumAgprs: 0
; TotalNumVgprs: 4
; ScratchSize: 0
; MemoryBound: 0
; FloatMode: 240
; IeeeMode: 1
; LDSByteSize: 0 bytes/workgroup (compile time only)
; SGPRBlocks: 2
; VGPRBlocks: 0
; NumSGPRsForWavesPerEU: 18
; NumVGPRsForWavesPerEU: 4
; AccumOffset: 4
; Occupancy: 8
; WaveLimiterHint : 0
; COMPUTE_PGM_RSRC2:SCRATCH_EN: 0
; COMPUTE_PGM_RSRC2:USER_SGPR: 2
; COMPUTE_PGM_RSRC2:TRAP_HANDLER: 0
; COMPUTE_PGM_RSRC2:TGID_X_EN: 1
; COMPUTE_PGM_RSRC2:TGID_Y_EN: 0
; COMPUTE_PGM_RSRC2:TGID_Z_EN: 0
; COMPUTE_PGM_RSRC2:TIDIG_COMP_CNT: 0
; COMPUTE_PGM_RSRC3_GFX90A:ACCUM_OFFSET: 0
; COMPUTE_PGM_RSRC3_GFX90A:TG_SPLIT: 0
	.section	.text._ZN7rocprim17ROCPRIM_400000_NS6detail17trampoline_kernelINS0_14default_configENS1_25transform_config_selectorIdLb0EEEZNS1_14transform_implILb0ES3_S5_N6thrust23THRUST_200600_302600_NS6detail15normal_iteratorINS8_10device_ptrIdEEEEPdNS0_8identityIdEEEE10hipError_tT2_T3_mT4_P12ihipStream_tbEUlT_E_NS1_11comp_targetILNS1_3genE5ELNS1_11target_archE942ELNS1_3gpuE9ELNS1_3repE0EEENS1_30default_config_static_selectorELNS0_4arch9wavefront6targetE1EEEvT1_,"axG",@progbits,_ZN7rocprim17ROCPRIM_400000_NS6detail17trampoline_kernelINS0_14default_configENS1_25transform_config_selectorIdLb0EEEZNS1_14transform_implILb0ES3_S5_N6thrust23THRUST_200600_302600_NS6detail15normal_iteratorINS8_10device_ptrIdEEEEPdNS0_8identityIdEEEE10hipError_tT2_T3_mT4_P12ihipStream_tbEUlT_E_NS1_11comp_targetILNS1_3genE5ELNS1_11target_archE942ELNS1_3gpuE9ELNS1_3repE0EEENS1_30default_config_static_selectorELNS0_4arch9wavefront6targetE1EEEvT1_,comdat
	.protected	_ZN7rocprim17ROCPRIM_400000_NS6detail17trampoline_kernelINS0_14default_configENS1_25transform_config_selectorIdLb0EEEZNS1_14transform_implILb0ES3_S5_N6thrust23THRUST_200600_302600_NS6detail15normal_iteratorINS8_10device_ptrIdEEEEPdNS0_8identityIdEEEE10hipError_tT2_T3_mT4_P12ihipStream_tbEUlT_E_NS1_11comp_targetILNS1_3genE5ELNS1_11target_archE942ELNS1_3gpuE9ELNS1_3repE0EEENS1_30default_config_static_selectorELNS0_4arch9wavefront6targetE1EEEvT1_ ; -- Begin function _ZN7rocprim17ROCPRIM_400000_NS6detail17trampoline_kernelINS0_14default_configENS1_25transform_config_selectorIdLb0EEEZNS1_14transform_implILb0ES3_S5_N6thrust23THRUST_200600_302600_NS6detail15normal_iteratorINS8_10device_ptrIdEEEEPdNS0_8identityIdEEEE10hipError_tT2_T3_mT4_P12ihipStream_tbEUlT_E_NS1_11comp_targetILNS1_3genE5ELNS1_11target_archE942ELNS1_3gpuE9ELNS1_3repE0EEENS1_30default_config_static_selectorELNS0_4arch9wavefront6targetE1EEEvT1_
	.globl	_ZN7rocprim17ROCPRIM_400000_NS6detail17trampoline_kernelINS0_14default_configENS1_25transform_config_selectorIdLb0EEEZNS1_14transform_implILb0ES3_S5_N6thrust23THRUST_200600_302600_NS6detail15normal_iteratorINS8_10device_ptrIdEEEEPdNS0_8identityIdEEEE10hipError_tT2_T3_mT4_P12ihipStream_tbEUlT_E_NS1_11comp_targetILNS1_3genE5ELNS1_11target_archE942ELNS1_3gpuE9ELNS1_3repE0EEENS1_30default_config_static_selectorELNS0_4arch9wavefront6targetE1EEEvT1_
	.p2align	8
	.type	_ZN7rocprim17ROCPRIM_400000_NS6detail17trampoline_kernelINS0_14default_configENS1_25transform_config_selectorIdLb0EEEZNS1_14transform_implILb0ES3_S5_N6thrust23THRUST_200600_302600_NS6detail15normal_iteratorINS8_10device_ptrIdEEEEPdNS0_8identityIdEEEE10hipError_tT2_T3_mT4_P12ihipStream_tbEUlT_E_NS1_11comp_targetILNS1_3genE5ELNS1_11target_archE942ELNS1_3gpuE9ELNS1_3repE0EEENS1_30default_config_static_selectorELNS0_4arch9wavefront6targetE1EEEvT1_,@function
_ZN7rocprim17ROCPRIM_400000_NS6detail17trampoline_kernelINS0_14default_configENS1_25transform_config_selectorIdLb0EEEZNS1_14transform_implILb0ES3_S5_N6thrust23THRUST_200600_302600_NS6detail15normal_iteratorINS8_10device_ptrIdEEEEPdNS0_8identityIdEEEE10hipError_tT2_T3_mT4_P12ihipStream_tbEUlT_E_NS1_11comp_targetILNS1_3genE5ELNS1_11target_archE942ELNS1_3gpuE9ELNS1_3repE0EEENS1_30default_config_static_selectorELNS0_4arch9wavefront6targetE1EEEvT1_: ; @_ZN7rocprim17ROCPRIM_400000_NS6detail17trampoline_kernelINS0_14default_configENS1_25transform_config_selectorIdLb0EEEZNS1_14transform_implILb0ES3_S5_N6thrust23THRUST_200600_302600_NS6detail15normal_iteratorINS8_10device_ptrIdEEEEPdNS0_8identityIdEEEE10hipError_tT2_T3_mT4_P12ihipStream_tbEUlT_E_NS1_11comp_targetILNS1_3genE5ELNS1_11target_archE942ELNS1_3gpuE9ELNS1_3repE0EEENS1_30default_config_static_selectorELNS0_4arch9wavefront6targetE1EEEvT1_
; %bb.0:
	.section	.rodata,"a",@progbits
	.p2align	6, 0x0
	.amdhsa_kernel _ZN7rocprim17ROCPRIM_400000_NS6detail17trampoline_kernelINS0_14default_configENS1_25transform_config_selectorIdLb0EEEZNS1_14transform_implILb0ES3_S5_N6thrust23THRUST_200600_302600_NS6detail15normal_iteratorINS8_10device_ptrIdEEEEPdNS0_8identityIdEEEE10hipError_tT2_T3_mT4_P12ihipStream_tbEUlT_E_NS1_11comp_targetILNS1_3genE5ELNS1_11target_archE942ELNS1_3gpuE9ELNS1_3repE0EEENS1_30default_config_static_selectorELNS0_4arch9wavefront6targetE1EEEvT1_
		.amdhsa_group_segment_fixed_size 0
		.amdhsa_private_segment_fixed_size 0
		.amdhsa_kernarg_size 40
		.amdhsa_user_sgpr_count 2
		.amdhsa_user_sgpr_dispatch_ptr 0
		.amdhsa_user_sgpr_queue_ptr 0
		.amdhsa_user_sgpr_kernarg_segment_ptr 1
		.amdhsa_user_sgpr_dispatch_id 0
		.amdhsa_user_sgpr_kernarg_preload_length 0
		.amdhsa_user_sgpr_kernarg_preload_offset 0
		.amdhsa_user_sgpr_private_segment_size 0
		.amdhsa_uses_dynamic_stack 0
		.amdhsa_enable_private_segment 0
		.amdhsa_system_sgpr_workgroup_id_x 1
		.amdhsa_system_sgpr_workgroup_id_y 0
		.amdhsa_system_sgpr_workgroup_id_z 0
		.amdhsa_system_sgpr_workgroup_info 0
		.amdhsa_system_vgpr_workitem_id 0
		.amdhsa_next_free_vgpr 1
		.amdhsa_next_free_sgpr 0
		.amdhsa_accum_offset 4
		.amdhsa_reserve_vcc 0
		.amdhsa_float_round_mode_32 0
		.amdhsa_float_round_mode_16_64 0
		.amdhsa_float_denorm_mode_32 3
		.amdhsa_float_denorm_mode_16_64 3
		.amdhsa_dx10_clamp 1
		.amdhsa_ieee_mode 1
		.amdhsa_fp16_overflow 0
		.amdhsa_tg_split 0
		.amdhsa_exception_fp_ieee_invalid_op 0
		.amdhsa_exception_fp_denorm_src 0
		.amdhsa_exception_fp_ieee_div_zero 0
		.amdhsa_exception_fp_ieee_overflow 0
		.amdhsa_exception_fp_ieee_underflow 0
		.amdhsa_exception_fp_ieee_inexact 0
		.amdhsa_exception_int_div_zero 0
	.end_amdhsa_kernel
	.section	.text._ZN7rocprim17ROCPRIM_400000_NS6detail17trampoline_kernelINS0_14default_configENS1_25transform_config_selectorIdLb0EEEZNS1_14transform_implILb0ES3_S5_N6thrust23THRUST_200600_302600_NS6detail15normal_iteratorINS8_10device_ptrIdEEEEPdNS0_8identityIdEEEE10hipError_tT2_T3_mT4_P12ihipStream_tbEUlT_E_NS1_11comp_targetILNS1_3genE5ELNS1_11target_archE942ELNS1_3gpuE9ELNS1_3repE0EEENS1_30default_config_static_selectorELNS0_4arch9wavefront6targetE1EEEvT1_,"axG",@progbits,_ZN7rocprim17ROCPRIM_400000_NS6detail17trampoline_kernelINS0_14default_configENS1_25transform_config_selectorIdLb0EEEZNS1_14transform_implILb0ES3_S5_N6thrust23THRUST_200600_302600_NS6detail15normal_iteratorINS8_10device_ptrIdEEEEPdNS0_8identityIdEEEE10hipError_tT2_T3_mT4_P12ihipStream_tbEUlT_E_NS1_11comp_targetILNS1_3genE5ELNS1_11target_archE942ELNS1_3gpuE9ELNS1_3repE0EEENS1_30default_config_static_selectorELNS0_4arch9wavefront6targetE1EEEvT1_,comdat
.Lfunc_end101:
	.size	_ZN7rocprim17ROCPRIM_400000_NS6detail17trampoline_kernelINS0_14default_configENS1_25transform_config_selectorIdLb0EEEZNS1_14transform_implILb0ES3_S5_N6thrust23THRUST_200600_302600_NS6detail15normal_iteratorINS8_10device_ptrIdEEEEPdNS0_8identityIdEEEE10hipError_tT2_T3_mT4_P12ihipStream_tbEUlT_E_NS1_11comp_targetILNS1_3genE5ELNS1_11target_archE942ELNS1_3gpuE9ELNS1_3repE0EEENS1_30default_config_static_selectorELNS0_4arch9wavefront6targetE1EEEvT1_, .Lfunc_end101-_ZN7rocprim17ROCPRIM_400000_NS6detail17trampoline_kernelINS0_14default_configENS1_25transform_config_selectorIdLb0EEEZNS1_14transform_implILb0ES3_S5_N6thrust23THRUST_200600_302600_NS6detail15normal_iteratorINS8_10device_ptrIdEEEEPdNS0_8identityIdEEEE10hipError_tT2_T3_mT4_P12ihipStream_tbEUlT_E_NS1_11comp_targetILNS1_3genE5ELNS1_11target_archE942ELNS1_3gpuE9ELNS1_3repE0EEENS1_30default_config_static_selectorELNS0_4arch9wavefront6targetE1EEEvT1_
                                        ; -- End function
	.set _ZN7rocprim17ROCPRIM_400000_NS6detail17trampoline_kernelINS0_14default_configENS1_25transform_config_selectorIdLb0EEEZNS1_14transform_implILb0ES3_S5_N6thrust23THRUST_200600_302600_NS6detail15normal_iteratorINS8_10device_ptrIdEEEEPdNS0_8identityIdEEEE10hipError_tT2_T3_mT4_P12ihipStream_tbEUlT_E_NS1_11comp_targetILNS1_3genE5ELNS1_11target_archE942ELNS1_3gpuE9ELNS1_3repE0EEENS1_30default_config_static_selectorELNS0_4arch9wavefront6targetE1EEEvT1_.num_vgpr, 0
	.set _ZN7rocprim17ROCPRIM_400000_NS6detail17trampoline_kernelINS0_14default_configENS1_25transform_config_selectorIdLb0EEEZNS1_14transform_implILb0ES3_S5_N6thrust23THRUST_200600_302600_NS6detail15normal_iteratorINS8_10device_ptrIdEEEEPdNS0_8identityIdEEEE10hipError_tT2_T3_mT4_P12ihipStream_tbEUlT_E_NS1_11comp_targetILNS1_3genE5ELNS1_11target_archE942ELNS1_3gpuE9ELNS1_3repE0EEENS1_30default_config_static_selectorELNS0_4arch9wavefront6targetE1EEEvT1_.num_agpr, 0
	.set _ZN7rocprim17ROCPRIM_400000_NS6detail17trampoline_kernelINS0_14default_configENS1_25transform_config_selectorIdLb0EEEZNS1_14transform_implILb0ES3_S5_N6thrust23THRUST_200600_302600_NS6detail15normal_iteratorINS8_10device_ptrIdEEEEPdNS0_8identityIdEEEE10hipError_tT2_T3_mT4_P12ihipStream_tbEUlT_E_NS1_11comp_targetILNS1_3genE5ELNS1_11target_archE942ELNS1_3gpuE9ELNS1_3repE0EEENS1_30default_config_static_selectorELNS0_4arch9wavefront6targetE1EEEvT1_.numbered_sgpr, 0
	.set _ZN7rocprim17ROCPRIM_400000_NS6detail17trampoline_kernelINS0_14default_configENS1_25transform_config_selectorIdLb0EEEZNS1_14transform_implILb0ES3_S5_N6thrust23THRUST_200600_302600_NS6detail15normal_iteratorINS8_10device_ptrIdEEEEPdNS0_8identityIdEEEE10hipError_tT2_T3_mT4_P12ihipStream_tbEUlT_E_NS1_11comp_targetILNS1_3genE5ELNS1_11target_archE942ELNS1_3gpuE9ELNS1_3repE0EEENS1_30default_config_static_selectorELNS0_4arch9wavefront6targetE1EEEvT1_.num_named_barrier, 0
	.set _ZN7rocprim17ROCPRIM_400000_NS6detail17trampoline_kernelINS0_14default_configENS1_25transform_config_selectorIdLb0EEEZNS1_14transform_implILb0ES3_S5_N6thrust23THRUST_200600_302600_NS6detail15normal_iteratorINS8_10device_ptrIdEEEEPdNS0_8identityIdEEEE10hipError_tT2_T3_mT4_P12ihipStream_tbEUlT_E_NS1_11comp_targetILNS1_3genE5ELNS1_11target_archE942ELNS1_3gpuE9ELNS1_3repE0EEENS1_30default_config_static_selectorELNS0_4arch9wavefront6targetE1EEEvT1_.private_seg_size, 0
	.set _ZN7rocprim17ROCPRIM_400000_NS6detail17trampoline_kernelINS0_14default_configENS1_25transform_config_selectorIdLb0EEEZNS1_14transform_implILb0ES3_S5_N6thrust23THRUST_200600_302600_NS6detail15normal_iteratorINS8_10device_ptrIdEEEEPdNS0_8identityIdEEEE10hipError_tT2_T3_mT4_P12ihipStream_tbEUlT_E_NS1_11comp_targetILNS1_3genE5ELNS1_11target_archE942ELNS1_3gpuE9ELNS1_3repE0EEENS1_30default_config_static_selectorELNS0_4arch9wavefront6targetE1EEEvT1_.uses_vcc, 0
	.set _ZN7rocprim17ROCPRIM_400000_NS6detail17trampoline_kernelINS0_14default_configENS1_25transform_config_selectorIdLb0EEEZNS1_14transform_implILb0ES3_S5_N6thrust23THRUST_200600_302600_NS6detail15normal_iteratorINS8_10device_ptrIdEEEEPdNS0_8identityIdEEEE10hipError_tT2_T3_mT4_P12ihipStream_tbEUlT_E_NS1_11comp_targetILNS1_3genE5ELNS1_11target_archE942ELNS1_3gpuE9ELNS1_3repE0EEENS1_30default_config_static_selectorELNS0_4arch9wavefront6targetE1EEEvT1_.uses_flat_scratch, 0
	.set _ZN7rocprim17ROCPRIM_400000_NS6detail17trampoline_kernelINS0_14default_configENS1_25transform_config_selectorIdLb0EEEZNS1_14transform_implILb0ES3_S5_N6thrust23THRUST_200600_302600_NS6detail15normal_iteratorINS8_10device_ptrIdEEEEPdNS0_8identityIdEEEE10hipError_tT2_T3_mT4_P12ihipStream_tbEUlT_E_NS1_11comp_targetILNS1_3genE5ELNS1_11target_archE942ELNS1_3gpuE9ELNS1_3repE0EEENS1_30default_config_static_selectorELNS0_4arch9wavefront6targetE1EEEvT1_.has_dyn_sized_stack, 0
	.set _ZN7rocprim17ROCPRIM_400000_NS6detail17trampoline_kernelINS0_14default_configENS1_25transform_config_selectorIdLb0EEEZNS1_14transform_implILb0ES3_S5_N6thrust23THRUST_200600_302600_NS6detail15normal_iteratorINS8_10device_ptrIdEEEEPdNS0_8identityIdEEEE10hipError_tT2_T3_mT4_P12ihipStream_tbEUlT_E_NS1_11comp_targetILNS1_3genE5ELNS1_11target_archE942ELNS1_3gpuE9ELNS1_3repE0EEENS1_30default_config_static_selectorELNS0_4arch9wavefront6targetE1EEEvT1_.has_recursion, 0
	.set _ZN7rocprim17ROCPRIM_400000_NS6detail17trampoline_kernelINS0_14default_configENS1_25transform_config_selectorIdLb0EEEZNS1_14transform_implILb0ES3_S5_N6thrust23THRUST_200600_302600_NS6detail15normal_iteratorINS8_10device_ptrIdEEEEPdNS0_8identityIdEEEE10hipError_tT2_T3_mT4_P12ihipStream_tbEUlT_E_NS1_11comp_targetILNS1_3genE5ELNS1_11target_archE942ELNS1_3gpuE9ELNS1_3repE0EEENS1_30default_config_static_selectorELNS0_4arch9wavefront6targetE1EEEvT1_.has_indirect_call, 0
	.section	.AMDGPU.csdata,"",@progbits
; Kernel info:
; codeLenInByte = 0
; TotalNumSgprs: 6
; NumVgprs: 0
; NumAgprs: 0
; TotalNumVgprs: 0
; ScratchSize: 0
; MemoryBound: 0
; FloatMode: 240
; IeeeMode: 1
; LDSByteSize: 0 bytes/workgroup (compile time only)
; SGPRBlocks: 0
; VGPRBlocks: 0
; NumSGPRsForWavesPerEU: 6
; NumVGPRsForWavesPerEU: 1
; AccumOffset: 4
; Occupancy: 8
; WaveLimiterHint : 0
; COMPUTE_PGM_RSRC2:SCRATCH_EN: 0
; COMPUTE_PGM_RSRC2:USER_SGPR: 2
; COMPUTE_PGM_RSRC2:TRAP_HANDLER: 0
; COMPUTE_PGM_RSRC2:TGID_X_EN: 1
; COMPUTE_PGM_RSRC2:TGID_Y_EN: 0
; COMPUTE_PGM_RSRC2:TGID_Z_EN: 0
; COMPUTE_PGM_RSRC2:TIDIG_COMP_CNT: 0
; COMPUTE_PGM_RSRC3_GFX90A:ACCUM_OFFSET: 0
; COMPUTE_PGM_RSRC3_GFX90A:TG_SPLIT: 0
	.section	.text._ZN7rocprim17ROCPRIM_400000_NS6detail17trampoline_kernelINS0_14default_configENS1_25transform_config_selectorIdLb0EEEZNS1_14transform_implILb0ES3_S5_N6thrust23THRUST_200600_302600_NS6detail15normal_iteratorINS8_10device_ptrIdEEEEPdNS0_8identityIdEEEE10hipError_tT2_T3_mT4_P12ihipStream_tbEUlT_E_NS1_11comp_targetILNS1_3genE4ELNS1_11target_archE910ELNS1_3gpuE8ELNS1_3repE0EEENS1_30default_config_static_selectorELNS0_4arch9wavefront6targetE1EEEvT1_,"axG",@progbits,_ZN7rocprim17ROCPRIM_400000_NS6detail17trampoline_kernelINS0_14default_configENS1_25transform_config_selectorIdLb0EEEZNS1_14transform_implILb0ES3_S5_N6thrust23THRUST_200600_302600_NS6detail15normal_iteratorINS8_10device_ptrIdEEEEPdNS0_8identityIdEEEE10hipError_tT2_T3_mT4_P12ihipStream_tbEUlT_E_NS1_11comp_targetILNS1_3genE4ELNS1_11target_archE910ELNS1_3gpuE8ELNS1_3repE0EEENS1_30default_config_static_selectorELNS0_4arch9wavefront6targetE1EEEvT1_,comdat
	.protected	_ZN7rocprim17ROCPRIM_400000_NS6detail17trampoline_kernelINS0_14default_configENS1_25transform_config_selectorIdLb0EEEZNS1_14transform_implILb0ES3_S5_N6thrust23THRUST_200600_302600_NS6detail15normal_iteratorINS8_10device_ptrIdEEEEPdNS0_8identityIdEEEE10hipError_tT2_T3_mT4_P12ihipStream_tbEUlT_E_NS1_11comp_targetILNS1_3genE4ELNS1_11target_archE910ELNS1_3gpuE8ELNS1_3repE0EEENS1_30default_config_static_selectorELNS0_4arch9wavefront6targetE1EEEvT1_ ; -- Begin function _ZN7rocprim17ROCPRIM_400000_NS6detail17trampoline_kernelINS0_14default_configENS1_25transform_config_selectorIdLb0EEEZNS1_14transform_implILb0ES3_S5_N6thrust23THRUST_200600_302600_NS6detail15normal_iteratorINS8_10device_ptrIdEEEEPdNS0_8identityIdEEEE10hipError_tT2_T3_mT4_P12ihipStream_tbEUlT_E_NS1_11comp_targetILNS1_3genE4ELNS1_11target_archE910ELNS1_3gpuE8ELNS1_3repE0EEENS1_30default_config_static_selectorELNS0_4arch9wavefront6targetE1EEEvT1_
	.globl	_ZN7rocprim17ROCPRIM_400000_NS6detail17trampoline_kernelINS0_14default_configENS1_25transform_config_selectorIdLb0EEEZNS1_14transform_implILb0ES3_S5_N6thrust23THRUST_200600_302600_NS6detail15normal_iteratorINS8_10device_ptrIdEEEEPdNS0_8identityIdEEEE10hipError_tT2_T3_mT4_P12ihipStream_tbEUlT_E_NS1_11comp_targetILNS1_3genE4ELNS1_11target_archE910ELNS1_3gpuE8ELNS1_3repE0EEENS1_30default_config_static_selectorELNS0_4arch9wavefront6targetE1EEEvT1_
	.p2align	8
	.type	_ZN7rocprim17ROCPRIM_400000_NS6detail17trampoline_kernelINS0_14default_configENS1_25transform_config_selectorIdLb0EEEZNS1_14transform_implILb0ES3_S5_N6thrust23THRUST_200600_302600_NS6detail15normal_iteratorINS8_10device_ptrIdEEEEPdNS0_8identityIdEEEE10hipError_tT2_T3_mT4_P12ihipStream_tbEUlT_E_NS1_11comp_targetILNS1_3genE4ELNS1_11target_archE910ELNS1_3gpuE8ELNS1_3repE0EEENS1_30default_config_static_selectorELNS0_4arch9wavefront6targetE1EEEvT1_,@function
_ZN7rocprim17ROCPRIM_400000_NS6detail17trampoline_kernelINS0_14default_configENS1_25transform_config_selectorIdLb0EEEZNS1_14transform_implILb0ES3_S5_N6thrust23THRUST_200600_302600_NS6detail15normal_iteratorINS8_10device_ptrIdEEEEPdNS0_8identityIdEEEE10hipError_tT2_T3_mT4_P12ihipStream_tbEUlT_E_NS1_11comp_targetILNS1_3genE4ELNS1_11target_archE910ELNS1_3gpuE8ELNS1_3repE0EEENS1_30default_config_static_selectorELNS0_4arch9wavefront6targetE1EEEvT1_: ; @_ZN7rocprim17ROCPRIM_400000_NS6detail17trampoline_kernelINS0_14default_configENS1_25transform_config_selectorIdLb0EEEZNS1_14transform_implILb0ES3_S5_N6thrust23THRUST_200600_302600_NS6detail15normal_iteratorINS8_10device_ptrIdEEEEPdNS0_8identityIdEEEE10hipError_tT2_T3_mT4_P12ihipStream_tbEUlT_E_NS1_11comp_targetILNS1_3genE4ELNS1_11target_archE910ELNS1_3gpuE8ELNS1_3repE0EEENS1_30default_config_static_selectorELNS0_4arch9wavefront6targetE1EEEvT1_
; %bb.0:
	.section	.rodata,"a",@progbits
	.p2align	6, 0x0
	.amdhsa_kernel _ZN7rocprim17ROCPRIM_400000_NS6detail17trampoline_kernelINS0_14default_configENS1_25transform_config_selectorIdLb0EEEZNS1_14transform_implILb0ES3_S5_N6thrust23THRUST_200600_302600_NS6detail15normal_iteratorINS8_10device_ptrIdEEEEPdNS0_8identityIdEEEE10hipError_tT2_T3_mT4_P12ihipStream_tbEUlT_E_NS1_11comp_targetILNS1_3genE4ELNS1_11target_archE910ELNS1_3gpuE8ELNS1_3repE0EEENS1_30default_config_static_selectorELNS0_4arch9wavefront6targetE1EEEvT1_
		.amdhsa_group_segment_fixed_size 0
		.amdhsa_private_segment_fixed_size 0
		.amdhsa_kernarg_size 40
		.amdhsa_user_sgpr_count 2
		.amdhsa_user_sgpr_dispatch_ptr 0
		.amdhsa_user_sgpr_queue_ptr 0
		.amdhsa_user_sgpr_kernarg_segment_ptr 1
		.amdhsa_user_sgpr_dispatch_id 0
		.amdhsa_user_sgpr_kernarg_preload_length 0
		.amdhsa_user_sgpr_kernarg_preload_offset 0
		.amdhsa_user_sgpr_private_segment_size 0
		.amdhsa_uses_dynamic_stack 0
		.amdhsa_enable_private_segment 0
		.amdhsa_system_sgpr_workgroup_id_x 1
		.amdhsa_system_sgpr_workgroup_id_y 0
		.amdhsa_system_sgpr_workgroup_id_z 0
		.amdhsa_system_sgpr_workgroup_info 0
		.amdhsa_system_vgpr_workitem_id 0
		.amdhsa_next_free_vgpr 1
		.amdhsa_next_free_sgpr 0
		.amdhsa_accum_offset 4
		.amdhsa_reserve_vcc 0
		.amdhsa_float_round_mode_32 0
		.amdhsa_float_round_mode_16_64 0
		.amdhsa_float_denorm_mode_32 3
		.amdhsa_float_denorm_mode_16_64 3
		.amdhsa_dx10_clamp 1
		.amdhsa_ieee_mode 1
		.amdhsa_fp16_overflow 0
		.amdhsa_tg_split 0
		.amdhsa_exception_fp_ieee_invalid_op 0
		.amdhsa_exception_fp_denorm_src 0
		.amdhsa_exception_fp_ieee_div_zero 0
		.amdhsa_exception_fp_ieee_overflow 0
		.amdhsa_exception_fp_ieee_underflow 0
		.amdhsa_exception_fp_ieee_inexact 0
		.amdhsa_exception_int_div_zero 0
	.end_amdhsa_kernel
	.section	.text._ZN7rocprim17ROCPRIM_400000_NS6detail17trampoline_kernelINS0_14default_configENS1_25transform_config_selectorIdLb0EEEZNS1_14transform_implILb0ES3_S5_N6thrust23THRUST_200600_302600_NS6detail15normal_iteratorINS8_10device_ptrIdEEEEPdNS0_8identityIdEEEE10hipError_tT2_T3_mT4_P12ihipStream_tbEUlT_E_NS1_11comp_targetILNS1_3genE4ELNS1_11target_archE910ELNS1_3gpuE8ELNS1_3repE0EEENS1_30default_config_static_selectorELNS0_4arch9wavefront6targetE1EEEvT1_,"axG",@progbits,_ZN7rocprim17ROCPRIM_400000_NS6detail17trampoline_kernelINS0_14default_configENS1_25transform_config_selectorIdLb0EEEZNS1_14transform_implILb0ES3_S5_N6thrust23THRUST_200600_302600_NS6detail15normal_iteratorINS8_10device_ptrIdEEEEPdNS0_8identityIdEEEE10hipError_tT2_T3_mT4_P12ihipStream_tbEUlT_E_NS1_11comp_targetILNS1_3genE4ELNS1_11target_archE910ELNS1_3gpuE8ELNS1_3repE0EEENS1_30default_config_static_selectorELNS0_4arch9wavefront6targetE1EEEvT1_,comdat
.Lfunc_end102:
	.size	_ZN7rocprim17ROCPRIM_400000_NS6detail17trampoline_kernelINS0_14default_configENS1_25transform_config_selectorIdLb0EEEZNS1_14transform_implILb0ES3_S5_N6thrust23THRUST_200600_302600_NS6detail15normal_iteratorINS8_10device_ptrIdEEEEPdNS0_8identityIdEEEE10hipError_tT2_T3_mT4_P12ihipStream_tbEUlT_E_NS1_11comp_targetILNS1_3genE4ELNS1_11target_archE910ELNS1_3gpuE8ELNS1_3repE0EEENS1_30default_config_static_selectorELNS0_4arch9wavefront6targetE1EEEvT1_, .Lfunc_end102-_ZN7rocprim17ROCPRIM_400000_NS6detail17trampoline_kernelINS0_14default_configENS1_25transform_config_selectorIdLb0EEEZNS1_14transform_implILb0ES3_S5_N6thrust23THRUST_200600_302600_NS6detail15normal_iteratorINS8_10device_ptrIdEEEEPdNS0_8identityIdEEEE10hipError_tT2_T3_mT4_P12ihipStream_tbEUlT_E_NS1_11comp_targetILNS1_3genE4ELNS1_11target_archE910ELNS1_3gpuE8ELNS1_3repE0EEENS1_30default_config_static_selectorELNS0_4arch9wavefront6targetE1EEEvT1_
                                        ; -- End function
	.set _ZN7rocprim17ROCPRIM_400000_NS6detail17trampoline_kernelINS0_14default_configENS1_25transform_config_selectorIdLb0EEEZNS1_14transform_implILb0ES3_S5_N6thrust23THRUST_200600_302600_NS6detail15normal_iteratorINS8_10device_ptrIdEEEEPdNS0_8identityIdEEEE10hipError_tT2_T3_mT4_P12ihipStream_tbEUlT_E_NS1_11comp_targetILNS1_3genE4ELNS1_11target_archE910ELNS1_3gpuE8ELNS1_3repE0EEENS1_30default_config_static_selectorELNS0_4arch9wavefront6targetE1EEEvT1_.num_vgpr, 0
	.set _ZN7rocprim17ROCPRIM_400000_NS6detail17trampoline_kernelINS0_14default_configENS1_25transform_config_selectorIdLb0EEEZNS1_14transform_implILb0ES3_S5_N6thrust23THRUST_200600_302600_NS6detail15normal_iteratorINS8_10device_ptrIdEEEEPdNS0_8identityIdEEEE10hipError_tT2_T3_mT4_P12ihipStream_tbEUlT_E_NS1_11comp_targetILNS1_3genE4ELNS1_11target_archE910ELNS1_3gpuE8ELNS1_3repE0EEENS1_30default_config_static_selectorELNS0_4arch9wavefront6targetE1EEEvT1_.num_agpr, 0
	.set _ZN7rocprim17ROCPRIM_400000_NS6detail17trampoline_kernelINS0_14default_configENS1_25transform_config_selectorIdLb0EEEZNS1_14transform_implILb0ES3_S5_N6thrust23THRUST_200600_302600_NS6detail15normal_iteratorINS8_10device_ptrIdEEEEPdNS0_8identityIdEEEE10hipError_tT2_T3_mT4_P12ihipStream_tbEUlT_E_NS1_11comp_targetILNS1_3genE4ELNS1_11target_archE910ELNS1_3gpuE8ELNS1_3repE0EEENS1_30default_config_static_selectorELNS0_4arch9wavefront6targetE1EEEvT1_.numbered_sgpr, 0
	.set _ZN7rocprim17ROCPRIM_400000_NS6detail17trampoline_kernelINS0_14default_configENS1_25transform_config_selectorIdLb0EEEZNS1_14transform_implILb0ES3_S5_N6thrust23THRUST_200600_302600_NS6detail15normal_iteratorINS8_10device_ptrIdEEEEPdNS0_8identityIdEEEE10hipError_tT2_T3_mT4_P12ihipStream_tbEUlT_E_NS1_11comp_targetILNS1_3genE4ELNS1_11target_archE910ELNS1_3gpuE8ELNS1_3repE0EEENS1_30default_config_static_selectorELNS0_4arch9wavefront6targetE1EEEvT1_.num_named_barrier, 0
	.set _ZN7rocprim17ROCPRIM_400000_NS6detail17trampoline_kernelINS0_14default_configENS1_25transform_config_selectorIdLb0EEEZNS1_14transform_implILb0ES3_S5_N6thrust23THRUST_200600_302600_NS6detail15normal_iteratorINS8_10device_ptrIdEEEEPdNS0_8identityIdEEEE10hipError_tT2_T3_mT4_P12ihipStream_tbEUlT_E_NS1_11comp_targetILNS1_3genE4ELNS1_11target_archE910ELNS1_3gpuE8ELNS1_3repE0EEENS1_30default_config_static_selectorELNS0_4arch9wavefront6targetE1EEEvT1_.private_seg_size, 0
	.set _ZN7rocprim17ROCPRIM_400000_NS6detail17trampoline_kernelINS0_14default_configENS1_25transform_config_selectorIdLb0EEEZNS1_14transform_implILb0ES3_S5_N6thrust23THRUST_200600_302600_NS6detail15normal_iteratorINS8_10device_ptrIdEEEEPdNS0_8identityIdEEEE10hipError_tT2_T3_mT4_P12ihipStream_tbEUlT_E_NS1_11comp_targetILNS1_3genE4ELNS1_11target_archE910ELNS1_3gpuE8ELNS1_3repE0EEENS1_30default_config_static_selectorELNS0_4arch9wavefront6targetE1EEEvT1_.uses_vcc, 0
	.set _ZN7rocprim17ROCPRIM_400000_NS6detail17trampoline_kernelINS0_14default_configENS1_25transform_config_selectorIdLb0EEEZNS1_14transform_implILb0ES3_S5_N6thrust23THRUST_200600_302600_NS6detail15normal_iteratorINS8_10device_ptrIdEEEEPdNS0_8identityIdEEEE10hipError_tT2_T3_mT4_P12ihipStream_tbEUlT_E_NS1_11comp_targetILNS1_3genE4ELNS1_11target_archE910ELNS1_3gpuE8ELNS1_3repE0EEENS1_30default_config_static_selectorELNS0_4arch9wavefront6targetE1EEEvT1_.uses_flat_scratch, 0
	.set _ZN7rocprim17ROCPRIM_400000_NS6detail17trampoline_kernelINS0_14default_configENS1_25transform_config_selectorIdLb0EEEZNS1_14transform_implILb0ES3_S5_N6thrust23THRUST_200600_302600_NS6detail15normal_iteratorINS8_10device_ptrIdEEEEPdNS0_8identityIdEEEE10hipError_tT2_T3_mT4_P12ihipStream_tbEUlT_E_NS1_11comp_targetILNS1_3genE4ELNS1_11target_archE910ELNS1_3gpuE8ELNS1_3repE0EEENS1_30default_config_static_selectorELNS0_4arch9wavefront6targetE1EEEvT1_.has_dyn_sized_stack, 0
	.set _ZN7rocprim17ROCPRIM_400000_NS6detail17trampoline_kernelINS0_14default_configENS1_25transform_config_selectorIdLb0EEEZNS1_14transform_implILb0ES3_S5_N6thrust23THRUST_200600_302600_NS6detail15normal_iteratorINS8_10device_ptrIdEEEEPdNS0_8identityIdEEEE10hipError_tT2_T3_mT4_P12ihipStream_tbEUlT_E_NS1_11comp_targetILNS1_3genE4ELNS1_11target_archE910ELNS1_3gpuE8ELNS1_3repE0EEENS1_30default_config_static_selectorELNS0_4arch9wavefront6targetE1EEEvT1_.has_recursion, 0
	.set _ZN7rocprim17ROCPRIM_400000_NS6detail17trampoline_kernelINS0_14default_configENS1_25transform_config_selectorIdLb0EEEZNS1_14transform_implILb0ES3_S5_N6thrust23THRUST_200600_302600_NS6detail15normal_iteratorINS8_10device_ptrIdEEEEPdNS0_8identityIdEEEE10hipError_tT2_T3_mT4_P12ihipStream_tbEUlT_E_NS1_11comp_targetILNS1_3genE4ELNS1_11target_archE910ELNS1_3gpuE8ELNS1_3repE0EEENS1_30default_config_static_selectorELNS0_4arch9wavefront6targetE1EEEvT1_.has_indirect_call, 0
	.section	.AMDGPU.csdata,"",@progbits
; Kernel info:
; codeLenInByte = 0
; TotalNumSgprs: 6
; NumVgprs: 0
; NumAgprs: 0
; TotalNumVgprs: 0
; ScratchSize: 0
; MemoryBound: 0
; FloatMode: 240
; IeeeMode: 1
; LDSByteSize: 0 bytes/workgroup (compile time only)
; SGPRBlocks: 0
; VGPRBlocks: 0
; NumSGPRsForWavesPerEU: 6
; NumVGPRsForWavesPerEU: 1
; AccumOffset: 4
; Occupancy: 8
; WaveLimiterHint : 0
; COMPUTE_PGM_RSRC2:SCRATCH_EN: 0
; COMPUTE_PGM_RSRC2:USER_SGPR: 2
; COMPUTE_PGM_RSRC2:TRAP_HANDLER: 0
; COMPUTE_PGM_RSRC2:TGID_X_EN: 1
; COMPUTE_PGM_RSRC2:TGID_Y_EN: 0
; COMPUTE_PGM_RSRC2:TGID_Z_EN: 0
; COMPUTE_PGM_RSRC2:TIDIG_COMP_CNT: 0
; COMPUTE_PGM_RSRC3_GFX90A:ACCUM_OFFSET: 0
; COMPUTE_PGM_RSRC3_GFX90A:TG_SPLIT: 0
	.section	.text._ZN7rocprim17ROCPRIM_400000_NS6detail17trampoline_kernelINS0_14default_configENS1_25transform_config_selectorIdLb0EEEZNS1_14transform_implILb0ES3_S5_N6thrust23THRUST_200600_302600_NS6detail15normal_iteratorINS8_10device_ptrIdEEEEPdNS0_8identityIdEEEE10hipError_tT2_T3_mT4_P12ihipStream_tbEUlT_E_NS1_11comp_targetILNS1_3genE3ELNS1_11target_archE908ELNS1_3gpuE7ELNS1_3repE0EEENS1_30default_config_static_selectorELNS0_4arch9wavefront6targetE1EEEvT1_,"axG",@progbits,_ZN7rocprim17ROCPRIM_400000_NS6detail17trampoline_kernelINS0_14default_configENS1_25transform_config_selectorIdLb0EEEZNS1_14transform_implILb0ES3_S5_N6thrust23THRUST_200600_302600_NS6detail15normal_iteratorINS8_10device_ptrIdEEEEPdNS0_8identityIdEEEE10hipError_tT2_T3_mT4_P12ihipStream_tbEUlT_E_NS1_11comp_targetILNS1_3genE3ELNS1_11target_archE908ELNS1_3gpuE7ELNS1_3repE0EEENS1_30default_config_static_selectorELNS0_4arch9wavefront6targetE1EEEvT1_,comdat
	.protected	_ZN7rocprim17ROCPRIM_400000_NS6detail17trampoline_kernelINS0_14default_configENS1_25transform_config_selectorIdLb0EEEZNS1_14transform_implILb0ES3_S5_N6thrust23THRUST_200600_302600_NS6detail15normal_iteratorINS8_10device_ptrIdEEEEPdNS0_8identityIdEEEE10hipError_tT2_T3_mT4_P12ihipStream_tbEUlT_E_NS1_11comp_targetILNS1_3genE3ELNS1_11target_archE908ELNS1_3gpuE7ELNS1_3repE0EEENS1_30default_config_static_selectorELNS0_4arch9wavefront6targetE1EEEvT1_ ; -- Begin function _ZN7rocprim17ROCPRIM_400000_NS6detail17trampoline_kernelINS0_14default_configENS1_25transform_config_selectorIdLb0EEEZNS1_14transform_implILb0ES3_S5_N6thrust23THRUST_200600_302600_NS6detail15normal_iteratorINS8_10device_ptrIdEEEEPdNS0_8identityIdEEEE10hipError_tT2_T3_mT4_P12ihipStream_tbEUlT_E_NS1_11comp_targetILNS1_3genE3ELNS1_11target_archE908ELNS1_3gpuE7ELNS1_3repE0EEENS1_30default_config_static_selectorELNS0_4arch9wavefront6targetE1EEEvT1_
	.globl	_ZN7rocprim17ROCPRIM_400000_NS6detail17trampoline_kernelINS0_14default_configENS1_25transform_config_selectorIdLb0EEEZNS1_14transform_implILb0ES3_S5_N6thrust23THRUST_200600_302600_NS6detail15normal_iteratorINS8_10device_ptrIdEEEEPdNS0_8identityIdEEEE10hipError_tT2_T3_mT4_P12ihipStream_tbEUlT_E_NS1_11comp_targetILNS1_3genE3ELNS1_11target_archE908ELNS1_3gpuE7ELNS1_3repE0EEENS1_30default_config_static_selectorELNS0_4arch9wavefront6targetE1EEEvT1_
	.p2align	8
	.type	_ZN7rocprim17ROCPRIM_400000_NS6detail17trampoline_kernelINS0_14default_configENS1_25transform_config_selectorIdLb0EEEZNS1_14transform_implILb0ES3_S5_N6thrust23THRUST_200600_302600_NS6detail15normal_iteratorINS8_10device_ptrIdEEEEPdNS0_8identityIdEEEE10hipError_tT2_T3_mT4_P12ihipStream_tbEUlT_E_NS1_11comp_targetILNS1_3genE3ELNS1_11target_archE908ELNS1_3gpuE7ELNS1_3repE0EEENS1_30default_config_static_selectorELNS0_4arch9wavefront6targetE1EEEvT1_,@function
_ZN7rocprim17ROCPRIM_400000_NS6detail17trampoline_kernelINS0_14default_configENS1_25transform_config_selectorIdLb0EEEZNS1_14transform_implILb0ES3_S5_N6thrust23THRUST_200600_302600_NS6detail15normal_iteratorINS8_10device_ptrIdEEEEPdNS0_8identityIdEEEE10hipError_tT2_T3_mT4_P12ihipStream_tbEUlT_E_NS1_11comp_targetILNS1_3genE3ELNS1_11target_archE908ELNS1_3gpuE7ELNS1_3repE0EEENS1_30default_config_static_selectorELNS0_4arch9wavefront6targetE1EEEvT1_: ; @_ZN7rocprim17ROCPRIM_400000_NS6detail17trampoline_kernelINS0_14default_configENS1_25transform_config_selectorIdLb0EEEZNS1_14transform_implILb0ES3_S5_N6thrust23THRUST_200600_302600_NS6detail15normal_iteratorINS8_10device_ptrIdEEEEPdNS0_8identityIdEEEE10hipError_tT2_T3_mT4_P12ihipStream_tbEUlT_E_NS1_11comp_targetILNS1_3genE3ELNS1_11target_archE908ELNS1_3gpuE7ELNS1_3repE0EEENS1_30default_config_static_selectorELNS0_4arch9wavefront6targetE1EEEvT1_
; %bb.0:
	.section	.rodata,"a",@progbits
	.p2align	6, 0x0
	.amdhsa_kernel _ZN7rocprim17ROCPRIM_400000_NS6detail17trampoline_kernelINS0_14default_configENS1_25transform_config_selectorIdLb0EEEZNS1_14transform_implILb0ES3_S5_N6thrust23THRUST_200600_302600_NS6detail15normal_iteratorINS8_10device_ptrIdEEEEPdNS0_8identityIdEEEE10hipError_tT2_T3_mT4_P12ihipStream_tbEUlT_E_NS1_11comp_targetILNS1_3genE3ELNS1_11target_archE908ELNS1_3gpuE7ELNS1_3repE0EEENS1_30default_config_static_selectorELNS0_4arch9wavefront6targetE1EEEvT1_
		.amdhsa_group_segment_fixed_size 0
		.amdhsa_private_segment_fixed_size 0
		.amdhsa_kernarg_size 40
		.amdhsa_user_sgpr_count 2
		.amdhsa_user_sgpr_dispatch_ptr 0
		.amdhsa_user_sgpr_queue_ptr 0
		.amdhsa_user_sgpr_kernarg_segment_ptr 1
		.amdhsa_user_sgpr_dispatch_id 0
		.amdhsa_user_sgpr_kernarg_preload_length 0
		.amdhsa_user_sgpr_kernarg_preload_offset 0
		.amdhsa_user_sgpr_private_segment_size 0
		.amdhsa_uses_dynamic_stack 0
		.amdhsa_enable_private_segment 0
		.amdhsa_system_sgpr_workgroup_id_x 1
		.amdhsa_system_sgpr_workgroup_id_y 0
		.amdhsa_system_sgpr_workgroup_id_z 0
		.amdhsa_system_sgpr_workgroup_info 0
		.amdhsa_system_vgpr_workitem_id 0
		.amdhsa_next_free_vgpr 1
		.amdhsa_next_free_sgpr 0
		.amdhsa_accum_offset 4
		.amdhsa_reserve_vcc 0
		.amdhsa_float_round_mode_32 0
		.amdhsa_float_round_mode_16_64 0
		.amdhsa_float_denorm_mode_32 3
		.amdhsa_float_denorm_mode_16_64 3
		.amdhsa_dx10_clamp 1
		.amdhsa_ieee_mode 1
		.amdhsa_fp16_overflow 0
		.amdhsa_tg_split 0
		.amdhsa_exception_fp_ieee_invalid_op 0
		.amdhsa_exception_fp_denorm_src 0
		.amdhsa_exception_fp_ieee_div_zero 0
		.amdhsa_exception_fp_ieee_overflow 0
		.amdhsa_exception_fp_ieee_underflow 0
		.amdhsa_exception_fp_ieee_inexact 0
		.amdhsa_exception_int_div_zero 0
	.end_amdhsa_kernel
	.section	.text._ZN7rocprim17ROCPRIM_400000_NS6detail17trampoline_kernelINS0_14default_configENS1_25transform_config_selectorIdLb0EEEZNS1_14transform_implILb0ES3_S5_N6thrust23THRUST_200600_302600_NS6detail15normal_iteratorINS8_10device_ptrIdEEEEPdNS0_8identityIdEEEE10hipError_tT2_T3_mT4_P12ihipStream_tbEUlT_E_NS1_11comp_targetILNS1_3genE3ELNS1_11target_archE908ELNS1_3gpuE7ELNS1_3repE0EEENS1_30default_config_static_selectorELNS0_4arch9wavefront6targetE1EEEvT1_,"axG",@progbits,_ZN7rocprim17ROCPRIM_400000_NS6detail17trampoline_kernelINS0_14default_configENS1_25transform_config_selectorIdLb0EEEZNS1_14transform_implILb0ES3_S5_N6thrust23THRUST_200600_302600_NS6detail15normal_iteratorINS8_10device_ptrIdEEEEPdNS0_8identityIdEEEE10hipError_tT2_T3_mT4_P12ihipStream_tbEUlT_E_NS1_11comp_targetILNS1_3genE3ELNS1_11target_archE908ELNS1_3gpuE7ELNS1_3repE0EEENS1_30default_config_static_selectorELNS0_4arch9wavefront6targetE1EEEvT1_,comdat
.Lfunc_end103:
	.size	_ZN7rocprim17ROCPRIM_400000_NS6detail17trampoline_kernelINS0_14default_configENS1_25transform_config_selectorIdLb0EEEZNS1_14transform_implILb0ES3_S5_N6thrust23THRUST_200600_302600_NS6detail15normal_iteratorINS8_10device_ptrIdEEEEPdNS0_8identityIdEEEE10hipError_tT2_T3_mT4_P12ihipStream_tbEUlT_E_NS1_11comp_targetILNS1_3genE3ELNS1_11target_archE908ELNS1_3gpuE7ELNS1_3repE0EEENS1_30default_config_static_selectorELNS0_4arch9wavefront6targetE1EEEvT1_, .Lfunc_end103-_ZN7rocprim17ROCPRIM_400000_NS6detail17trampoline_kernelINS0_14default_configENS1_25transform_config_selectorIdLb0EEEZNS1_14transform_implILb0ES3_S5_N6thrust23THRUST_200600_302600_NS6detail15normal_iteratorINS8_10device_ptrIdEEEEPdNS0_8identityIdEEEE10hipError_tT2_T3_mT4_P12ihipStream_tbEUlT_E_NS1_11comp_targetILNS1_3genE3ELNS1_11target_archE908ELNS1_3gpuE7ELNS1_3repE0EEENS1_30default_config_static_selectorELNS0_4arch9wavefront6targetE1EEEvT1_
                                        ; -- End function
	.set _ZN7rocprim17ROCPRIM_400000_NS6detail17trampoline_kernelINS0_14default_configENS1_25transform_config_selectorIdLb0EEEZNS1_14transform_implILb0ES3_S5_N6thrust23THRUST_200600_302600_NS6detail15normal_iteratorINS8_10device_ptrIdEEEEPdNS0_8identityIdEEEE10hipError_tT2_T3_mT4_P12ihipStream_tbEUlT_E_NS1_11comp_targetILNS1_3genE3ELNS1_11target_archE908ELNS1_3gpuE7ELNS1_3repE0EEENS1_30default_config_static_selectorELNS0_4arch9wavefront6targetE1EEEvT1_.num_vgpr, 0
	.set _ZN7rocprim17ROCPRIM_400000_NS6detail17trampoline_kernelINS0_14default_configENS1_25transform_config_selectorIdLb0EEEZNS1_14transform_implILb0ES3_S5_N6thrust23THRUST_200600_302600_NS6detail15normal_iteratorINS8_10device_ptrIdEEEEPdNS0_8identityIdEEEE10hipError_tT2_T3_mT4_P12ihipStream_tbEUlT_E_NS1_11comp_targetILNS1_3genE3ELNS1_11target_archE908ELNS1_3gpuE7ELNS1_3repE0EEENS1_30default_config_static_selectorELNS0_4arch9wavefront6targetE1EEEvT1_.num_agpr, 0
	.set _ZN7rocprim17ROCPRIM_400000_NS6detail17trampoline_kernelINS0_14default_configENS1_25transform_config_selectorIdLb0EEEZNS1_14transform_implILb0ES3_S5_N6thrust23THRUST_200600_302600_NS6detail15normal_iteratorINS8_10device_ptrIdEEEEPdNS0_8identityIdEEEE10hipError_tT2_T3_mT4_P12ihipStream_tbEUlT_E_NS1_11comp_targetILNS1_3genE3ELNS1_11target_archE908ELNS1_3gpuE7ELNS1_3repE0EEENS1_30default_config_static_selectorELNS0_4arch9wavefront6targetE1EEEvT1_.numbered_sgpr, 0
	.set _ZN7rocprim17ROCPRIM_400000_NS6detail17trampoline_kernelINS0_14default_configENS1_25transform_config_selectorIdLb0EEEZNS1_14transform_implILb0ES3_S5_N6thrust23THRUST_200600_302600_NS6detail15normal_iteratorINS8_10device_ptrIdEEEEPdNS0_8identityIdEEEE10hipError_tT2_T3_mT4_P12ihipStream_tbEUlT_E_NS1_11comp_targetILNS1_3genE3ELNS1_11target_archE908ELNS1_3gpuE7ELNS1_3repE0EEENS1_30default_config_static_selectorELNS0_4arch9wavefront6targetE1EEEvT1_.num_named_barrier, 0
	.set _ZN7rocprim17ROCPRIM_400000_NS6detail17trampoline_kernelINS0_14default_configENS1_25transform_config_selectorIdLb0EEEZNS1_14transform_implILb0ES3_S5_N6thrust23THRUST_200600_302600_NS6detail15normal_iteratorINS8_10device_ptrIdEEEEPdNS0_8identityIdEEEE10hipError_tT2_T3_mT4_P12ihipStream_tbEUlT_E_NS1_11comp_targetILNS1_3genE3ELNS1_11target_archE908ELNS1_3gpuE7ELNS1_3repE0EEENS1_30default_config_static_selectorELNS0_4arch9wavefront6targetE1EEEvT1_.private_seg_size, 0
	.set _ZN7rocprim17ROCPRIM_400000_NS6detail17trampoline_kernelINS0_14default_configENS1_25transform_config_selectorIdLb0EEEZNS1_14transform_implILb0ES3_S5_N6thrust23THRUST_200600_302600_NS6detail15normal_iteratorINS8_10device_ptrIdEEEEPdNS0_8identityIdEEEE10hipError_tT2_T3_mT4_P12ihipStream_tbEUlT_E_NS1_11comp_targetILNS1_3genE3ELNS1_11target_archE908ELNS1_3gpuE7ELNS1_3repE0EEENS1_30default_config_static_selectorELNS0_4arch9wavefront6targetE1EEEvT1_.uses_vcc, 0
	.set _ZN7rocprim17ROCPRIM_400000_NS6detail17trampoline_kernelINS0_14default_configENS1_25transform_config_selectorIdLb0EEEZNS1_14transform_implILb0ES3_S5_N6thrust23THRUST_200600_302600_NS6detail15normal_iteratorINS8_10device_ptrIdEEEEPdNS0_8identityIdEEEE10hipError_tT2_T3_mT4_P12ihipStream_tbEUlT_E_NS1_11comp_targetILNS1_3genE3ELNS1_11target_archE908ELNS1_3gpuE7ELNS1_3repE0EEENS1_30default_config_static_selectorELNS0_4arch9wavefront6targetE1EEEvT1_.uses_flat_scratch, 0
	.set _ZN7rocprim17ROCPRIM_400000_NS6detail17trampoline_kernelINS0_14default_configENS1_25transform_config_selectorIdLb0EEEZNS1_14transform_implILb0ES3_S5_N6thrust23THRUST_200600_302600_NS6detail15normal_iteratorINS8_10device_ptrIdEEEEPdNS0_8identityIdEEEE10hipError_tT2_T3_mT4_P12ihipStream_tbEUlT_E_NS1_11comp_targetILNS1_3genE3ELNS1_11target_archE908ELNS1_3gpuE7ELNS1_3repE0EEENS1_30default_config_static_selectorELNS0_4arch9wavefront6targetE1EEEvT1_.has_dyn_sized_stack, 0
	.set _ZN7rocprim17ROCPRIM_400000_NS6detail17trampoline_kernelINS0_14default_configENS1_25transform_config_selectorIdLb0EEEZNS1_14transform_implILb0ES3_S5_N6thrust23THRUST_200600_302600_NS6detail15normal_iteratorINS8_10device_ptrIdEEEEPdNS0_8identityIdEEEE10hipError_tT2_T3_mT4_P12ihipStream_tbEUlT_E_NS1_11comp_targetILNS1_3genE3ELNS1_11target_archE908ELNS1_3gpuE7ELNS1_3repE0EEENS1_30default_config_static_selectorELNS0_4arch9wavefront6targetE1EEEvT1_.has_recursion, 0
	.set _ZN7rocprim17ROCPRIM_400000_NS6detail17trampoline_kernelINS0_14default_configENS1_25transform_config_selectorIdLb0EEEZNS1_14transform_implILb0ES3_S5_N6thrust23THRUST_200600_302600_NS6detail15normal_iteratorINS8_10device_ptrIdEEEEPdNS0_8identityIdEEEE10hipError_tT2_T3_mT4_P12ihipStream_tbEUlT_E_NS1_11comp_targetILNS1_3genE3ELNS1_11target_archE908ELNS1_3gpuE7ELNS1_3repE0EEENS1_30default_config_static_selectorELNS0_4arch9wavefront6targetE1EEEvT1_.has_indirect_call, 0
	.section	.AMDGPU.csdata,"",@progbits
; Kernel info:
; codeLenInByte = 0
; TotalNumSgprs: 6
; NumVgprs: 0
; NumAgprs: 0
; TotalNumVgprs: 0
; ScratchSize: 0
; MemoryBound: 0
; FloatMode: 240
; IeeeMode: 1
; LDSByteSize: 0 bytes/workgroup (compile time only)
; SGPRBlocks: 0
; VGPRBlocks: 0
; NumSGPRsForWavesPerEU: 6
; NumVGPRsForWavesPerEU: 1
; AccumOffset: 4
; Occupancy: 8
; WaveLimiterHint : 0
; COMPUTE_PGM_RSRC2:SCRATCH_EN: 0
; COMPUTE_PGM_RSRC2:USER_SGPR: 2
; COMPUTE_PGM_RSRC2:TRAP_HANDLER: 0
; COMPUTE_PGM_RSRC2:TGID_X_EN: 1
; COMPUTE_PGM_RSRC2:TGID_Y_EN: 0
; COMPUTE_PGM_RSRC2:TGID_Z_EN: 0
; COMPUTE_PGM_RSRC2:TIDIG_COMP_CNT: 0
; COMPUTE_PGM_RSRC3_GFX90A:ACCUM_OFFSET: 0
; COMPUTE_PGM_RSRC3_GFX90A:TG_SPLIT: 0
	.section	.text._ZN7rocprim17ROCPRIM_400000_NS6detail17trampoline_kernelINS0_14default_configENS1_25transform_config_selectorIdLb0EEEZNS1_14transform_implILb0ES3_S5_N6thrust23THRUST_200600_302600_NS6detail15normal_iteratorINS8_10device_ptrIdEEEEPdNS0_8identityIdEEEE10hipError_tT2_T3_mT4_P12ihipStream_tbEUlT_E_NS1_11comp_targetILNS1_3genE2ELNS1_11target_archE906ELNS1_3gpuE6ELNS1_3repE0EEENS1_30default_config_static_selectorELNS0_4arch9wavefront6targetE1EEEvT1_,"axG",@progbits,_ZN7rocprim17ROCPRIM_400000_NS6detail17trampoline_kernelINS0_14default_configENS1_25transform_config_selectorIdLb0EEEZNS1_14transform_implILb0ES3_S5_N6thrust23THRUST_200600_302600_NS6detail15normal_iteratorINS8_10device_ptrIdEEEEPdNS0_8identityIdEEEE10hipError_tT2_T3_mT4_P12ihipStream_tbEUlT_E_NS1_11comp_targetILNS1_3genE2ELNS1_11target_archE906ELNS1_3gpuE6ELNS1_3repE0EEENS1_30default_config_static_selectorELNS0_4arch9wavefront6targetE1EEEvT1_,comdat
	.protected	_ZN7rocprim17ROCPRIM_400000_NS6detail17trampoline_kernelINS0_14default_configENS1_25transform_config_selectorIdLb0EEEZNS1_14transform_implILb0ES3_S5_N6thrust23THRUST_200600_302600_NS6detail15normal_iteratorINS8_10device_ptrIdEEEEPdNS0_8identityIdEEEE10hipError_tT2_T3_mT4_P12ihipStream_tbEUlT_E_NS1_11comp_targetILNS1_3genE2ELNS1_11target_archE906ELNS1_3gpuE6ELNS1_3repE0EEENS1_30default_config_static_selectorELNS0_4arch9wavefront6targetE1EEEvT1_ ; -- Begin function _ZN7rocprim17ROCPRIM_400000_NS6detail17trampoline_kernelINS0_14default_configENS1_25transform_config_selectorIdLb0EEEZNS1_14transform_implILb0ES3_S5_N6thrust23THRUST_200600_302600_NS6detail15normal_iteratorINS8_10device_ptrIdEEEEPdNS0_8identityIdEEEE10hipError_tT2_T3_mT4_P12ihipStream_tbEUlT_E_NS1_11comp_targetILNS1_3genE2ELNS1_11target_archE906ELNS1_3gpuE6ELNS1_3repE0EEENS1_30default_config_static_selectorELNS0_4arch9wavefront6targetE1EEEvT1_
	.globl	_ZN7rocprim17ROCPRIM_400000_NS6detail17trampoline_kernelINS0_14default_configENS1_25transform_config_selectorIdLb0EEEZNS1_14transform_implILb0ES3_S5_N6thrust23THRUST_200600_302600_NS6detail15normal_iteratorINS8_10device_ptrIdEEEEPdNS0_8identityIdEEEE10hipError_tT2_T3_mT4_P12ihipStream_tbEUlT_E_NS1_11comp_targetILNS1_3genE2ELNS1_11target_archE906ELNS1_3gpuE6ELNS1_3repE0EEENS1_30default_config_static_selectorELNS0_4arch9wavefront6targetE1EEEvT1_
	.p2align	8
	.type	_ZN7rocprim17ROCPRIM_400000_NS6detail17trampoline_kernelINS0_14default_configENS1_25transform_config_selectorIdLb0EEEZNS1_14transform_implILb0ES3_S5_N6thrust23THRUST_200600_302600_NS6detail15normal_iteratorINS8_10device_ptrIdEEEEPdNS0_8identityIdEEEE10hipError_tT2_T3_mT4_P12ihipStream_tbEUlT_E_NS1_11comp_targetILNS1_3genE2ELNS1_11target_archE906ELNS1_3gpuE6ELNS1_3repE0EEENS1_30default_config_static_selectorELNS0_4arch9wavefront6targetE1EEEvT1_,@function
_ZN7rocprim17ROCPRIM_400000_NS6detail17trampoline_kernelINS0_14default_configENS1_25transform_config_selectorIdLb0EEEZNS1_14transform_implILb0ES3_S5_N6thrust23THRUST_200600_302600_NS6detail15normal_iteratorINS8_10device_ptrIdEEEEPdNS0_8identityIdEEEE10hipError_tT2_T3_mT4_P12ihipStream_tbEUlT_E_NS1_11comp_targetILNS1_3genE2ELNS1_11target_archE906ELNS1_3gpuE6ELNS1_3repE0EEENS1_30default_config_static_selectorELNS0_4arch9wavefront6targetE1EEEvT1_: ; @_ZN7rocprim17ROCPRIM_400000_NS6detail17trampoline_kernelINS0_14default_configENS1_25transform_config_selectorIdLb0EEEZNS1_14transform_implILb0ES3_S5_N6thrust23THRUST_200600_302600_NS6detail15normal_iteratorINS8_10device_ptrIdEEEEPdNS0_8identityIdEEEE10hipError_tT2_T3_mT4_P12ihipStream_tbEUlT_E_NS1_11comp_targetILNS1_3genE2ELNS1_11target_archE906ELNS1_3gpuE6ELNS1_3repE0EEENS1_30default_config_static_selectorELNS0_4arch9wavefront6targetE1EEEvT1_
; %bb.0:
	.section	.rodata,"a",@progbits
	.p2align	6, 0x0
	.amdhsa_kernel _ZN7rocprim17ROCPRIM_400000_NS6detail17trampoline_kernelINS0_14default_configENS1_25transform_config_selectorIdLb0EEEZNS1_14transform_implILb0ES3_S5_N6thrust23THRUST_200600_302600_NS6detail15normal_iteratorINS8_10device_ptrIdEEEEPdNS0_8identityIdEEEE10hipError_tT2_T3_mT4_P12ihipStream_tbEUlT_E_NS1_11comp_targetILNS1_3genE2ELNS1_11target_archE906ELNS1_3gpuE6ELNS1_3repE0EEENS1_30default_config_static_selectorELNS0_4arch9wavefront6targetE1EEEvT1_
		.amdhsa_group_segment_fixed_size 0
		.amdhsa_private_segment_fixed_size 0
		.amdhsa_kernarg_size 40
		.amdhsa_user_sgpr_count 2
		.amdhsa_user_sgpr_dispatch_ptr 0
		.amdhsa_user_sgpr_queue_ptr 0
		.amdhsa_user_sgpr_kernarg_segment_ptr 1
		.amdhsa_user_sgpr_dispatch_id 0
		.amdhsa_user_sgpr_kernarg_preload_length 0
		.amdhsa_user_sgpr_kernarg_preload_offset 0
		.amdhsa_user_sgpr_private_segment_size 0
		.amdhsa_uses_dynamic_stack 0
		.amdhsa_enable_private_segment 0
		.amdhsa_system_sgpr_workgroup_id_x 1
		.amdhsa_system_sgpr_workgroup_id_y 0
		.amdhsa_system_sgpr_workgroup_id_z 0
		.amdhsa_system_sgpr_workgroup_info 0
		.amdhsa_system_vgpr_workitem_id 0
		.amdhsa_next_free_vgpr 1
		.amdhsa_next_free_sgpr 0
		.amdhsa_accum_offset 4
		.amdhsa_reserve_vcc 0
		.amdhsa_float_round_mode_32 0
		.amdhsa_float_round_mode_16_64 0
		.amdhsa_float_denorm_mode_32 3
		.amdhsa_float_denorm_mode_16_64 3
		.amdhsa_dx10_clamp 1
		.amdhsa_ieee_mode 1
		.amdhsa_fp16_overflow 0
		.amdhsa_tg_split 0
		.amdhsa_exception_fp_ieee_invalid_op 0
		.amdhsa_exception_fp_denorm_src 0
		.amdhsa_exception_fp_ieee_div_zero 0
		.amdhsa_exception_fp_ieee_overflow 0
		.amdhsa_exception_fp_ieee_underflow 0
		.amdhsa_exception_fp_ieee_inexact 0
		.amdhsa_exception_int_div_zero 0
	.end_amdhsa_kernel
	.section	.text._ZN7rocprim17ROCPRIM_400000_NS6detail17trampoline_kernelINS0_14default_configENS1_25transform_config_selectorIdLb0EEEZNS1_14transform_implILb0ES3_S5_N6thrust23THRUST_200600_302600_NS6detail15normal_iteratorINS8_10device_ptrIdEEEEPdNS0_8identityIdEEEE10hipError_tT2_T3_mT4_P12ihipStream_tbEUlT_E_NS1_11comp_targetILNS1_3genE2ELNS1_11target_archE906ELNS1_3gpuE6ELNS1_3repE0EEENS1_30default_config_static_selectorELNS0_4arch9wavefront6targetE1EEEvT1_,"axG",@progbits,_ZN7rocprim17ROCPRIM_400000_NS6detail17trampoline_kernelINS0_14default_configENS1_25transform_config_selectorIdLb0EEEZNS1_14transform_implILb0ES3_S5_N6thrust23THRUST_200600_302600_NS6detail15normal_iteratorINS8_10device_ptrIdEEEEPdNS0_8identityIdEEEE10hipError_tT2_T3_mT4_P12ihipStream_tbEUlT_E_NS1_11comp_targetILNS1_3genE2ELNS1_11target_archE906ELNS1_3gpuE6ELNS1_3repE0EEENS1_30default_config_static_selectorELNS0_4arch9wavefront6targetE1EEEvT1_,comdat
.Lfunc_end104:
	.size	_ZN7rocprim17ROCPRIM_400000_NS6detail17trampoline_kernelINS0_14default_configENS1_25transform_config_selectorIdLb0EEEZNS1_14transform_implILb0ES3_S5_N6thrust23THRUST_200600_302600_NS6detail15normal_iteratorINS8_10device_ptrIdEEEEPdNS0_8identityIdEEEE10hipError_tT2_T3_mT4_P12ihipStream_tbEUlT_E_NS1_11comp_targetILNS1_3genE2ELNS1_11target_archE906ELNS1_3gpuE6ELNS1_3repE0EEENS1_30default_config_static_selectorELNS0_4arch9wavefront6targetE1EEEvT1_, .Lfunc_end104-_ZN7rocprim17ROCPRIM_400000_NS6detail17trampoline_kernelINS0_14default_configENS1_25transform_config_selectorIdLb0EEEZNS1_14transform_implILb0ES3_S5_N6thrust23THRUST_200600_302600_NS6detail15normal_iteratorINS8_10device_ptrIdEEEEPdNS0_8identityIdEEEE10hipError_tT2_T3_mT4_P12ihipStream_tbEUlT_E_NS1_11comp_targetILNS1_3genE2ELNS1_11target_archE906ELNS1_3gpuE6ELNS1_3repE0EEENS1_30default_config_static_selectorELNS0_4arch9wavefront6targetE1EEEvT1_
                                        ; -- End function
	.set _ZN7rocprim17ROCPRIM_400000_NS6detail17trampoline_kernelINS0_14default_configENS1_25transform_config_selectorIdLb0EEEZNS1_14transform_implILb0ES3_S5_N6thrust23THRUST_200600_302600_NS6detail15normal_iteratorINS8_10device_ptrIdEEEEPdNS0_8identityIdEEEE10hipError_tT2_T3_mT4_P12ihipStream_tbEUlT_E_NS1_11comp_targetILNS1_3genE2ELNS1_11target_archE906ELNS1_3gpuE6ELNS1_3repE0EEENS1_30default_config_static_selectorELNS0_4arch9wavefront6targetE1EEEvT1_.num_vgpr, 0
	.set _ZN7rocprim17ROCPRIM_400000_NS6detail17trampoline_kernelINS0_14default_configENS1_25transform_config_selectorIdLb0EEEZNS1_14transform_implILb0ES3_S5_N6thrust23THRUST_200600_302600_NS6detail15normal_iteratorINS8_10device_ptrIdEEEEPdNS0_8identityIdEEEE10hipError_tT2_T3_mT4_P12ihipStream_tbEUlT_E_NS1_11comp_targetILNS1_3genE2ELNS1_11target_archE906ELNS1_3gpuE6ELNS1_3repE0EEENS1_30default_config_static_selectorELNS0_4arch9wavefront6targetE1EEEvT1_.num_agpr, 0
	.set _ZN7rocprim17ROCPRIM_400000_NS6detail17trampoline_kernelINS0_14default_configENS1_25transform_config_selectorIdLb0EEEZNS1_14transform_implILb0ES3_S5_N6thrust23THRUST_200600_302600_NS6detail15normal_iteratorINS8_10device_ptrIdEEEEPdNS0_8identityIdEEEE10hipError_tT2_T3_mT4_P12ihipStream_tbEUlT_E_NS1_11comp_targetILNS1_3genE2ELNS1_11target_archE906ELNS1_3gpuE6ELNS1_3repE0EEENS1_30default_config_static_selectorELNS0_4arch9wavefront6targetE1EEEvT1_.numbered_sgpr, 0
	.set _ZN7rocprim17ROCPRIM_400000_NS6detail17trampoline_kernelINS0_14default_configENS1_25transform_config_selectorIdLb0EEEZNS1_14transform_implILb0ES3_S5_N6thrust23THRUST_200600_302600_NS6detail15normal_iteratorINS8_10device_ptrIdEEEEPdNS0_8identityIdEEEE10hipError_tT2_T3_mT4_P12ihipStream_tbEUlT_E_NS1_11comp_targetILNS1_3genE2ELNS1_11target_archE906ELNS1_3gpuE6ELNS1_3repE0EEENS1_30default_config_static_selectorELNS0_4arch9wavefront6targetE1EEEvT1_.num_named_barrier, 0
	.set _ZN7rocprim17ROCPRIM_400000_NS6detail17trampoline_kernelINS0_14default_configENS1_25transform_config_selectorIdLb0EEEZNS1_14transform_implILb0ES3_S5_N6thrust23THRUST_200600_302600_NS6detail15normal_iteratorINS8_10device_ptrIdEEEEPdNS0_8identityIdEEEE10hipError_tT2_T3_mT4_P12ihipStream_tbEUlT_E_NS1_11comp_targetILNS1_3genE2ELNS1_11target_archE906ELNS1_3gpuE6ELNS1_3repE0EEENS1_30default_config_static_selectorELNS0_4arch9wavefront6targetE1EEEvT1_.private_seg_size, 0
	.set _ZN7rocprim17ROCPRIM_400000_NS6detail17trampoline_kernelINS0_14default_configENS1_25transform_config_selectorIdLb0EEEZNS1_14transform_implILb0ES3_S5_N6thrust23THRUST_200600_302600_NS6detail15normal_iteratorINS8_10device_ptrIdEEEEPdNS0_8identityIdEEEE10hipError_tT2_T3_mT4_P12ihipStream_tbEUlT_E_NS1_11comp_targetILNS1_3genE2ELNS1_11target_archE906ELNS1_3gpuE6ELNS1_3repE0EEENS1_30default_config_static_selectorELNS0_4arch9wavefront6targetE1EEEvT1_.uses_vcc, 0
	.set _ZN7rocprim17ROCPRIM_400000_NS6detail17trampoline_kernelINS0_14default_configENS1_25transform_config_selectorIdLb0EEEZNS1_14transform_implILb0ES3_S5_N6thrust23THRUST_200600_302600_NS6detail15normal_iteratorINS8_10device_ptrIdEEEEPdNS0_8identityIdEEEE10hipError_tT2_T3_mT4_P12ihipStream_tbEUlT_E_NS1_11comp_targetILNS1_3genE2ELNS1_11target_archE906ELNS1_3gpuE6ELNS1_3repE0EEENS1_30default_config_static_selectorELNS0_4arch9wavefront6targetE1EEEvT1_.uses_flat_scratch, 0
	.set _ZN7rocprim17ROCPRIM_400000_NS6detail17trampoline_kernelINS0_14default_configENS1_25transform_config_selectorIdLb0EEEZNS1_14transform_implILb0ES3_S5_N6thrust23THRUST_200600_302600_NS6detail15normal_iteratorINS8_10device_ptrIdEEEEPdNS0_8identityIdEEEE10hipError_tT2_T3_mT4_P12ihipStream_tbEUlT_E_NS1_11comp_targetILNS1_3genE2ELNS1_11target_archE906ELNS1_3gpuE6ELNS1_3repE0EEENS1_30default_config_static_selectorELNS0_4arch9wavefront6targetE1EEEvT1_.has_dyn_sized_stack, 0
	.set _ZN7rocprim17ROCPRIM_400000_NS6detail17trampoline_kernelINS0_14default_configENS1_25transform_config_selectorIdLb0EEEZNS1_14transform_implILb0ES3_S5_N6thrust23THRUST_200600_302600_NS6detail15normal_iteratorINS8_10device_ptrIdEEEEPdNS0_8identityIdEEEE10hipError_tT2_T3_mT4_P12ihipStream_tbEUlT_E_NS1_11comp_targetILNS1_3genE2ELNS1_11target_archE906ELNS1_3gpuE6ELNS1_3repE0EEENS1_30default_config_static_selectorELNS0_4arch9wavefront6targetE1EEEvT1_.has_recursion, 0
	.set _ZN7rocprim17ROCPRIM_400000_NS6detail17trampoline_kernelINS0_14default_configENS1_25transform_config_selectorIdLb0EEEZNS1_14transform_implILb0ES3_S5_N6thrust23THRUST_200600_302600_NS6detail15normal_iteratorINS8_10device_ptrIdEEEEPdNS0_8identityIdEEEE10hipError_tT2_T3_mT4_P12ihipStream_tbEUlT_E_NS1_11comp_targetILNS1_3genE2ELNS1_11target_archE906ELNS1_3gpuE6ELNS1_3repE0EEENS1_30default_config_static_selectorELNS0_4arch9wavefront6targetE1EEEvT1_.has_indirect_call, 0
	.section	.AMDGPU.csdata,"",@progbits
; Kernel info:
; codeLenInByte = 0
; TotalNumSgprs: 6
; NumVgprs: 0
; NumAgprs: 0
; TotalNumVgprs: 0
; ScratchSize: 0
; MemoryBound: 0
; FloatMode: 240
; IeeeMode: 1
; LDSByteSize: 0 bytes/workgroup (compile time only)
; SGPRBlocks: 0
; VGPRBlocks: 0
; NumSGPRsForWavesPerEU: 6
; NumVGPRsForWavesPerEU: 1
; AccumOffset: 4
; Occupancy: 8
; WaveLimiterHint : 0
; COMPUTE_PGM_RSRC2:SCRATCH_EN: 0
; COMPUTE_PGM_RSRC2:USER_SGPR: 2
; COMPUTE_PGM_RSRC2:TRAP_HANDLER: 0
; COMPUTE_PGM_RSRC2:TGID_X_EN: 1
; COMPUTE_PGM_RSRC2:TGID_Y_EN: 0
; COMPUTE_PGM_RSRC2:TGID_Z_EN: 0
; COMPUTE_PGM_RSRC2:TIDIG_COMP_CNT: 0
; COMPUTE_PGM_RSRC3_GFX90A:ACCUM_OFFSET: 0
; COMPUTE_PGM_RSRC3_GFX90A:TG_SPLIT: 0
	.section	.text._ZN7rocprim17ROCPRIM_400000_NS6detail17trampoline_kernelINS0_14default_configENS1_25transform_config_selectorIdLb0EEEZNS1_14transform_implILb0ES3_S5_N6thrust23THRUST_200600_302600_NS6detail15normal_iteratorINS8_10device_ptrIdEEEEPdNS0_8identityIdEEEE10hipError_tT2_T3_mT4_P12ihipStream_tbEUlT_E_NS1_11comp_targetILNS1_3genE10ELNS1_11target_archE1201ELNS1_3gpuE5ELNS1_3repE0EEENS1_30default_config_static_selectorELNS0_4arch9wavefront6targetE1EEEvT1_,"axG",@progbits,_ZN7rocprim17ROCPRIM_400000_NS6detail17trampoline_kernelINS0_14default_configENS1_25transform_config_selectorIdLb0EEEZNS1_14transform_implILb0ES3_S5_N6thrust23THRUST_200600_302600_NS6detail15normal_iteratorINS8_10device_ptrIdEEEEPdNS0_8identityIdEEEE10hipError_tT2_T3_mT4_P12ihipStream_tbEUlT_E_NS1_11comp_targetILNS1_3genE10ELNS1_11target_archE1201ELNS1_3gpuE5ELNS1_3repE0EEENS1_30default_config_static_selectorELNS0_4arch9wavefront6targetE1EEEvT1_,comdat
	.protected	_ZN7rocprim17ROCPRIM_400000_NS6detail17trampoline_kernelINS0_14default_configENS1_25transform_config_selectorIdLb0EEEZNS1_14transform_implILb0ES3_S5_N6thrust23THRUST_200600_302600_NS6detail15normal_iteratorINS8_10device_ptrIdEEEEPdNS0_8identityIdEEEE10hipError_tT2_T3_mT4_P12ihipStream_tbEUlT_E_NS1_11comp_targetILNS1_3genE10ELNS1_11target_archE1201ELNS1_3gpuE5ELNS1_3repE0EEENS1_30default_config_static_selectorELNS0_4arch9wavefront6targetE1EEEvT1_ ; -- Begin function _ZN7rocprim17ROCPRIM_400000_NS6detail17trampoline_kernelINS0_14default_configENS1_25transform_config_selectorIdLb0EEEZNS1_14transform_implILb0ES3_S5_N6thrust23THRUST_200600_302600_NS6detail15normal_iteratorINS8_10device_ptrIdEEEEPdNS0_8identityIdEEEE10hipError_tT2_T3_mT4_P12ihipStream_tbEUlT_E_NS1_11comp_targetILNS1_3genE10ELNS1_11target_archE1201ELNS1_3gpuE5ELNS1_3repE0EEENS1_30default_config_static_selectorELNS0_4arch9wavefront6targetE1EEEvT1_
	.globl	_ZN7rocprim17ROCPRIM_400000_NS6detail17trampoline_kernelINS0_14default_configENS1_25transform_config_selectorIdLb0EEEZNS1_14transform_implILb0ES3_S5_N6thrust23THRUST_200600_302600_NS6detail15normal_iteratorINS8_10device_ptrIdEEEEPdNS0_8identityIdEEEE10hipError_tT2_T3_mT4_P12ihipStream_tbEUlT_E_NS1_11comp_targetILNS1_3genE10ELNS1_11target_archE1201ELNS1_3gpuE5ELNS1_3repE0EEENS1_30default_config_static_selectorELNS0_4arch9wavefront6targetE1EEEvT1_
	.p2align	8
	.type	_ZN7rocprim17ROCPRIM_400000_NS6detail17trampoline_kernelINS0_14default_configENS1_25transform_config_selectorIdLb0EEEZNS1_14transform_implILb0ES3_S5_N6thrust23THRUST_200600_302600_NS6detail15normal_iteratorINS8_10device_ptrIdEEEEPdNS0_8identityIdEEEE10hipError_tT2_T3_mT4_P12ihipStream_tbEUlT_E_NS1_11comp_targetILNS1_3genE10ELNS1_11target_archE1201ELNS1_3gpuE5ELNS1_3repE0EEENS1_30default_config_static_selectorELNS0_4arch9wavefront6targetE1EEEvT1_,@function
_ZN7rocprim17ROCPRIM_400000_NS6detail17trampoline_kernelINS0_14default_configENS1_25transform_config_selectorIdLb0EEEZNS1_14transform_implILb0ES3_S5_N6thrust23THRUST_200600_302600_NS6detail15normal_iteratorINS8_10device_ptrIdEEEEPdNS0_8identityIdEEEE10hipError_tT2_T3_mT4_P12ihipStream_tbEUlT_E_NS1_11comp_targetILNS1_3genE10ELNS1_11target_archE1201ELNS1_3gpuE5ELNS1_3repE0EEENS1_30default_config_static_selectorELNS0_4arch9wavefront6targetE1EEEvT1_: ; @_ZN7rocprim17ROCPRIM_400000_NS6detail17trampoline_kernelINS0_14default_configENS1_25transform_config_selectorIdLb0EEEZNS1_14transform_implILb0ES3_S5_N6thrust23THRUST_200600_302600_NS6detail15normal_iteratorINS8_10device_ptrIdEEEEPdNS0_8identityIdEEEE10hipError_tT2_T3_mT4_P12ihipStream_tbEUlT_E_NS1_11comp_targetILNS1_3genE10ELNS1_11target_archE1201ELNS1_3gpuE5ELNS1_3repE0EEENS1_30default_config_static_selectorELNS0_4arch9wavefront6targetE1EEEvT1_
; %bb.0:
	.section	.rodata,"a",@progbits
	.p2align	6, 0x0
	.amdhsa_kernel _ZN7rocprim17ROCPRIM_400000_NS6detail17trampoline_kernelINS0_14default_configENS1_25transform_config_selectorIdLb0EEEZNS1_14transform_implILb0ES3_S5_N6thrust23THRUST_200600_302600_NS6detail15normal_iteratorINS8_10device_ptrIdEEEEPdNS0_8identityIdEEEE10hipError_tT2_T3_mT4_P12ihipStream_tbEUlT_E_NS1_11comp_targetILNS1_3genE10ELNS1_11target_archE1201ELNS1_3gpuE5ELNS1_3repE0EEENS1_30default_config_static_selectorELNS0_4arch9wavefront6targetE1EEEvT1_
		.amdhsa_group_segment_fixed_size 0
		.amdhsa_private_segment_fixed_size 0
		.amdhsa_kernarg_size 40
		.amdhsa_user_sgpr_count 2
		.amdhsa_user_sgpr_dispatch_ptr 0
		.amdhsa_user_sgpr_queue_ptr 0
		.amdhsa_user_sgpr_kernarg_segment_ptr 1
		.amdhsa_user_sgpr_dispatch_id 0
		.amdhsa_user_sgpr_kernarg_preload_length 0
		.amdhsa_user_sgpr_kernarg_preload_offset 0
		.amdhsa_user_sgpr_private_segment_size 0
		.amdhsa_uses_dynamic_stack 0
		.amdhsa_enable_private_segment 0
		.amdhsa_system_sgpr_workgroup_id_x 1
		.amdhsa_system_sgpr_workgroup_id_y 0
		.amdhsa_system_sgpr_workgroup_id_z 0
		.amdhsa_system_sgpr_workgroup_info 0
		.amdhsa_system_vgpr_workitem_id 0
		.amdhsa_next_free_vgpr 1
		.amdhsa_next_free_sgpr 0
		.amdhsa_accum_offset 4
		.amdhsa_reserve_vcc 0
		.amdhsa_float_round_mode_32 0
		.amdhsa_float_round_mode_16_64 0
		.amdhsa_float_denorm_mode_32 3
		.amdhsa_float_denorm_mode_16_64 3
		.amdhsa_dx10_clamp 1
		.amdhsa_ieee_mode 1
		.amdhsa_fp16_overflow 0
		.amdhsa_tg_split 0
		.amdhsa_exception_fp_ieee_invalid_op 0
		.amdhsa_exception_fp_denorm_src 0
		.amdhsa_exception_fp_ieee_div_zero 0
		.amdhsa_exception_fp_ieee_overflow 0
		.amdhsa_exception_fp_ieee_underflow 0
		.amdhsa_exception_fp_ieee_inexact 0
		.amdhsa_exception_int_div_zero 0
	.end_amdhsa_kernel
	.section	.text._ZN7rocprim17ROCPRIM_400000_NS6detail17trampoline_kernelINS0_14default_configENS1_25transform_config_selectorIdLb0EEEZNS1_14transform_implILb0ES3_S5_N6thrust23THRUST_200600_302600_NS6detail15normal_iteratorINS8_10device_ptrIdEEEEPdNS0_8identityIdEEEE10hipError_tT2_T3_mT4_P12ihipStream_tbEUlT_E_NS1_11comp_targetILNS1_3genE10ELNS1_11target_archE1201ELNS1_3gpuE5ELNS1_3repE0EEENS1_30default_config_static_selectorELNS0_4arch9wavefront6targetE1EEEvT1_,"axG",@progbits,_ZN7rocprim17ROCPRIM_400000_NS6detail17trampoline_kernelINS0_14default_configENS1_25transform_config_selectorIdLb0EEEZNS1_14transform_implILb0ES3_S5_N6thrust23THRUST_200600_302600_NS6detail15normal_iteratorINS8_10device_ptrIdEEEEPdNS0_8identityIdEEEE10hipError_tT2_T3_mT4_P12ihipStream_tbEUlT_E_NS1_11comp_targetILNS1_3genE10ELNS1_11target_archE1201ELNS1_3gpuE5ELNS1_3repE0EEENS1_30default_config_static_selectorELNS0_4arch9wavefront6targetE1EEEvT1_,comdat
.Lfunc_end105:
	.size	_ZN7rocprim17ROCPRIM_400000_NS6detail17trampoline_kernelINS0_14default_configENS1_25transform_config_selectorIdLb0EEEZNS1_14transform_implILb0ES3_S5_N6thrust23THRUST_200600_302600_NS6detail15normal_iteratorINS8_10device_ptrIdEEEEPdNS0_8identityIdEEEE10hipError_tT2_T3_mT4_P12ihipStream_tbEUlT_E_NS1_11comp_targetILNS1_3genE10ELNS1_11target_archE1201ELNS1_3gpuE5ELNS1_3repE0EEENS1_30default_config_static_selectorELNS0_4arch9wavefront6targetE1EEEvT1_, .Lfunc_end105-_ZN7rocprim17ROCPRIM_400000_NS6detail17trampoline_kernelINS0_14default_configENS1_25transform_config_selectorIdLb0EEEZNS1_14transform_implILb0ES3_S5_N6thrust23THRUST_200600_302600_NS6detail15normal_iteratorINS8_10device_ptrIdEEEEPdNS0_8identityIdEEEE10hipError_tT2_T3_mT4_P12ihipStream_tbEUlT_E_NS1_11comp_targetILNS1_3genE10ELNS1_11target_archE1201ELNS1_3gpuE5ELNS1_3repE0EEENS1_30default_config_static_selectorELNS0_4arch9wavefront6targetE1EEEvT1_
                                        ; -- End function
	.set _ZN7rocprim17ROCPRIM_400000_NS6detail17trampoline_kernelINS0_14default_configENS1_25transform_config_selectorIdLb0EEEZNS1_14transform_implILb0ES3_S5_N6thrust23THRUST_200600_302600_NS6detail15normal_iteratorINS8_10device_ptrIdEEEEPdNS0_8identityIdEEEE10hipError_tT2_T3_mT4_P12ihipStream_tbEUlT_E_NS1_11comp_targetILNS1_3genE10ELNS1_11target_archE1201ELNS1_3gpuE5ELNS1_3repE0EEENS1_30default_config_static_selectorELNS0_4arch9wavefront6targetE1EEEvT1_.num_vgpr, 0
	.set _ZN7rocprim17ROCPRIM_400000_NS6detail17trampoline_kernelINS0_14default_configENS1_25transform_config_selectorIdLb0EEEZNS1_14transform_implILb0ES3_S5_N6thrust23THRUST_200600_302600_NS6detail15normal_iteratorINS8_10device_ptrIdEEEEPdNS0_8identityIdEEEE10hipError_tT2_T3_mT4_P12ihipStream_tbEUlT_E_NS1_11comp_targetILNS1_3genE10ELNS1_11target_archE1201ELNS1_3gpuE5ELNS1_3repE0EEENS1_30default_config_static_selectorELNS0_4arch9wavefront6targetE1EEEvT1_.num_agpr, 0
	.set _ZN7rocprim17ROCPRIM_400000_NS6detail17trampoline_kernelINS0_14default_configENS1_25transform_config_selectorIdLb0EEEZNS1_14transform_implILb0ES3_S5_N6thrust23THRUST_200600_302600_NS6detail15normal_iteratorINS8_10device_ptrIdEEEEPdNS0_8identityIdEEEE10hipError_tT2_T3_mT4_P12ihipStream_tbEUlT_E_NS1_11comp_targetILNS1_3genE10ELNS1_11target_archE1201ELNS1_3gpuE5ELNS1_3repE0EEENS1_30default_config_static_selectorELNS0_4arch9wavefront6targetE1EEEvT1_.numbered_sgpr, 0
	.set _ZN7rocprim17ROCPRIM_400000_NS6detail17trampoline_kernelINS0_14default_configENS1_25transform_config_selectorIdLb0EEEZNS1_14transform_implILb0ES3_S5_N6thrust23THRUST_200600_302600_NS6detail15normal_iteratorINS8_10device_ptrIdEEEEPdNS0_8identityIdEEEE10hipError_tT2_T3_mT4_P12ihipStream_tbEUlT_E_NS1_11comp_targetILNS1_3genE10ELNS1_11target_archE1201ELNS1_3gpuE5ELNS1_3repE0EEENS1_30default_config_static_selectorELNS0_4arch9wavefront6targetE1EEEvT1_.num_named_barrier, 0
	.set _ZN7rocprim17ROCPRIM_400000_NS6detail17trampoline_kernelINS0_14default_configENS1_25transform_config_selectorIdLb0EEEZNS1_14transform_implILb0ES3_S5_N6thrust23THRUST_200600_302600_NS6detail15normal_iteratorINS8_10device_ptrIdEEEEPdNS0_8identityIdEEEE10hipError_tT2_T3_mT4_P12ihipStream_tbEUlT_E_NS1_11comp_targetILNS1_3genE10ELNS1_11target_archE1201ELNS1_3gpuE5ELNS1_3repE0EEENS1_30default_config_static_selectorELNS0_4arch9wavefront6targetE1EEEvT1_.private_seg_size, 0
	.set _ZN7rocprim17ROCPRIM_400000_NS6detail17trampoline_kernelINS0_14default_configENS1_25transform_config_selectorIdLb0EEEZNS1_14transform_implILb0ES3_S5_N6thrust23THRUST_200600_302600_NS6detail15normal_iteratorINS8_10device_ptrIdEEEEPdNS0_8identityIdEEEE10hipError_tT2_T3_mT4_P12ihipStream_tbEUlT_E_NS1_11comp_targetILNS1_3genE10ELNS1_11target_archE1201ELNS1_3gpuE5ELNS1_3repE0EEENS1_30default_config_static_selectorELNS0_4arch9wavefront6targetE1EEEvT1_.uses_vcc, 0
	.set _ZN7rocprim17ROCPRIM_400000_NS6detail17trampoline_kernelINS0_14default_configENS1_25transform_config_selectorIdLb0EEEZNS1_14transform_implILb0ES3_S5_N6thrust23THRUST_200600_302600_NS6detail15normal_iteratorINS8_10device_ptrIdEEEEPdNS0_8identityIdEEEE10hipError_tT2_T3_mT4_P12ihipStream_tbEUlT_E_NS1_11comp_targetILNS1_3genE10ELNS1_11target_archE1201ELNS1_3gpuE5ELNS1_3repE0EEENS1_30default_config_static_selectorELNS0_4arch9wavefront6targetE1EEEvT1_.uses_flat_scratch, 0
	.set _ZN7rocprim17ROCPRIM_400000_NS6detail17trampoline_kernelINS0_14default_configENS1_25transform_config_selectorIdLb0EEEZNS1_14transform_implILb0ES3_S5_N6thrust23THRUST_200600_302600_NS6detail15normal_iteratorINS8_10device_ptrIdEEEEPdNS0_8identityIdEEEE10hipError_tT2_T3_mT4_P12ihipStream_tbEUlT_E_NS1_11comp_targetILNS1_3genE10ELNS1_11target_archE1201ELNS1_3gpuE5ELNS1_3repE0EEENS1_30default_config_static_selectorELNS0_4arch9wavefront6targetE1EEEvT1_.has_dyn_sized_stack, 0
	.set _ZN7rocprim17ROCPRIM_400000_NS6detail17trampoline_kernelINS0_14default_configENS1_25transform_config_selectorIdLb0EEEZNS1_14transform_implILb0ES3_S5_N6thrust23THRUST_200600_302600_NS6detail15normal_iteratorINS8_10device_ptrIdEEEEPdNS0_8identityIdEEEE10hipError_tT2_T3_mT4_P12ihipStream_tbEUlT_E_NS1_11comp_targetILNS1_3genE10ELNS1_11target_archE1201ELNS1_3gpuE5ELNS1_3repE0EEENS1_30default_config_static_selectorELNS0_4arch9wavefront6targetE1EEEvT1_.has_recursion, 0
	.set _ZN7rocprim17ROCPRIM_400000_NS6detail17trampoline_kernelINS0_14default_configENS1_25transform_config_selectorIdLb0EEEZNS1_14transform_implILb0ES3_S5_N6thrust23THRUST_200600_302600_NS6detail15normal_iteratorINS8_10device_ptrIdEEEEPdNS0_8identityIdEEEE10hipError_tT2_T3_mT4_P12ihipStream_tbEUlT_E_NS1_11comp_targetILNS1_3genE10ELNS1_11target_archE1201ELNS1_3gpuE5ELNS1_3repE0EEENS1_30default_config_static_selectorELNS0_4arch9wavefront6targetE1EEEvT1_.has_indirect_call, 0
	.section	.AMDGPU.csdata,"",@progbits
; Kernel info:
; codeLenInByte = 0
; TotalNumSgprs: 6
; NumVgprs: 0
; NumAgprs: 0
; TotalNumVgprs: 0
; ScratchSize: 0
; MemoryBound: 0
; FloatMode: 240
; IeeeMode: 1
; LDSByteSize: 0 bytes/workgroup (compile time only)
; SGPRBlocks: 0
; VGPRBlocks: 0
; NumSGPRsForWavesPerEU: 6
; NumVGPRsForWavesPerEU: 1
; AccumOffset: 4
; Occupancy: 8
; WaveLimiterHint : 0
; COMPUTE_PGM_RSRC2:SCRATCH_EN: 0
; COMPUTE_PGM_RSRC2:USER_SGPR: 2
; COMPUTE_PGM_RSRC2:TRAP_HANDLER: 0
; COMPUTE_PGM_RSRC2:TGID_X_EN: 1
; COMPUTE_PGM_RSRC2:TGID_Y_EN: 0
; COMPUTE_PGM_RSRC2:TGID_Z_EN: 0
; COMPUTE_PGM_RSRC2:TIDIG_COMP_CNT: 0
; COMPUTE_PGM_RSRC3_GFX90A:ACCUM_OFFSET: 0
; COMPUTE_PGM_RSRC3_GFX90A:TG_SPLIT: 0
	.section	.text._ZN7rocprim17ROCPRIM_400000_NS6detail17trampoline_kernelINS0_14default_configENS1_25transform_config_selectorIdLb0EEEZNS1_14transform_implILb0ES3_S5_N6thrust23THRUST_200600_302600_NS6detail15normal_iteratorINS8_10device_ptrIdEEEEPdNS0_8identityIdEEEE10hipError_tT2_T3_mT4_P12ihipStream_tbEUlT_E_NS1_11comp_targetILNS1_3genE10ELNS1_11target_archE1200ELNS1_3gpuE4ELNS1_3repE0EEENS1_30default_config_static_selectorELNS0_4arch9wavefront6targetE1EEEvT1_,"axG",@progbits,_ZN7rocprim17ROCPRIM_400000_NS6detail17trampoline_kernelINS0_14default_configENS1_25transform_config_selectorIdLb0EEEZNS1_14transform_implILb0ES3_S5_N6thrust23THRUST_200600_302600_NS6detail15normal_iteratorINS8_10device_ptrIdEEEEPdNS0_8identityIdEEEE10hipError_tT2_T3_mT4_P12ihipStream_tbEUlT_E_NS1_11comp_targetILNS1_3genE10ELNS1_11target_archE1200ELNS1_3gpuE4ELNS1_3repE0EEENS1_30default_config_static_selectorELNS0_4arch9wavefront6targetE1EEEvT1_,comdat
	.protected	_ZN7rocprim17ROCPRIM_400000_NS6detail17trampoline_kernelINS0_14default_configENS1_25transform_config_selectorIdLb0EEEZNS1_14transform_implILb0ES3_S5_N6thrust23THRUST_200600_302600_NS6detail15normal_iteratorINS8_10device_ptrIdEEEEPdNS0_8identityIdEEEE10hipError_tT2_T3_mT4_P12ihipStream_tbEUlT_E_NS1_11comp_targetILNS1_3genE10ELNS1_11target_archE1200ELNS1_3gpuE4ELNS1_3repE0EEENS1_30default_config_static_selectorELNS0_4arch9wavefront6targetE1EEEvT1_ ; -- Begin function _ZN7rocprim17ROCPRIM_400000_NS6detail17trampoline_kernelINS0_14default_configENS1_25transform_config_selectorIdLb0EEEZNS1_14transform_implILb0ES3_S5_N6thrust23THRUST_200600_302600_NS6detail15normal_iteratorINS8_10device_ptrIdEEEEPdNS0_8identityIdEEEE10hipError_tT2_T3_mT4_P12ihipStream_tbEUlT_E_NS1_11comp_targetILNS1_3genE10ELNS1_11target_archE1200ELNS1_3gpuE4ELNS1_3repE0EEENS1_30default_config_static_selectorELNS0_4arch9wavefront6targetE1EEEvT1_
	.globl	_ZN7rocprim17ROCPRIM_400000_NS6detail17trampoline_kernelINS0_14default_configENS1_25transform_config_selectorIdLb0EEEZNS1_14transform_implILb0ES3_S5_N6thrust23THRUST_200600_302600_NS6detail15normal_iteratorINS8_10device_ptrIdEEEEPdNS0_8identityIdEEEE10hipError_tT2_T3_mT4_P12ihipStream_tbEUlT_E_NS1_11comp_targetILNS1_3genE10ELNS1_11target_archE1200ELNS1_3gpuE4ELNS1_3repE0EEENS1_30default_config_static_selectorELNS0_4arch9wavefront6targetE1EEEvT1_
	.p2align	8
	.type	_ZN7rocprim17ROCPRIM_400000_NS6detail17trampoline_kernelINS0_14default_configENS1_25transform_config_selectorIdLb0EEEZNS1_14transform_implILb0ES3_S5_N6thrust23THRUST_200600_302600_NS6detail15normal_iteratorINS8_10device_ptrIdEEEEPdNS0_8identityIdEEEE10hipError_tT2_T3_mT4_P12ihipStream_tbEUlT_E_NS1_11comp_targetILNS1_3genE10ELNS1_11target_archE1200ELNS1_3gpuE4ELNS1_3repE0EEENS1_30default_config_static_selectorELNS0_4arch9wavefront6targetE1EEEvT1_,@function
_ZN7rocprim17ROCPRIM_400000_NS6detail17trampoline_kernelINS0_14default_configENS1_25transform_config_selectorIdLb0EEEZNS1_14transform_implILb0ES3_S5_N6thrust23THRUST_200600_302600_NS6detail15normal_iteratorINS8_10device_ptrIdEEEEPdNS0_8identityIdEEEE10hipError_tT2_T3_mT4_P12ihipStream_tbEUlT_E_NS1_11comp_targetILNS1_3genE10ELNS1_11target_archE1200ELNS1_3gpuE4ELNS1_3repE0EEENS1_30default_config_static_selectorELNS0_4arch9wavefront6targetE1EEEvT1_: ; @_ZN7rocprim17ROCPRIM_400000_NS6detail17trampoline_kernelINS0_14default_configENS1_25transform_config_selectorIdLb0EEEZNS1_14transform_implILb0ES3_S5_N6thrust23THRUST_200600_302600_NS6detail15normal_iteratorINS8_10device_ptrIdEEEEPdNS0_8identityIdEEEE10hipError_tT2_T3_mT4_P12ihipStream_tbEUlT_E_NS1_11comp_targetILNS1_3genE10ELNS1_11target_archE1200ELNS1_3gpuE4ELNS1_3repE0EEENS1_30default_config_static_selectorELNS0_4arch9wavefront6targetE1EEEvT1_
; %bb.0:
	.section	.rodata,"a",@progbits
	.p2align	6, 0x0
	.amdhsa_kernel _ZN7rocprim17ROCPRIM_400000_NS6detail17trampoline_kernelINS0_14default_configENS1_25transform_config_selectorIdLb0EEEZNS1_14transform_implILb0ES3_S5_N6thrust23THRUST_200600_302600_NS6detail15normal_iteratorINS8_10device_ptrIdEEEEPdNS0_8identityIdEEEE10hipError_tT2_T3_mT4_P12ihipStream_tbEUlT_E_NS1_11comp_targetILNS1_3genE10ELNS1_11target_archE1200ELNS1_3gpuE4ELNS1_3repE0EEENS1_30default_config_static_selectorELNS0_4arch9wavefront6targetE1EEEvT1_
		.amdhsa_group_segment_fixed_size 0
		.amdhsa_private_segment_fixed_size 0
		.amdhsa_kernarg_size 40
		.amdhsa_user_sgpr_count 2
		.amdhsa_user_sgpr_dispatch_ptr 0
		.amdhsa_user_sgpr_queue_ptr 0
		.amdhsa_user_sgpr_kernarg_segment_ptr 1
		.amdhsa_user_sgpr_dispatch_id 0
		.amdhsa_user_sgpr_kernarg_preload_length 0
		.amdhsa_user_sgpr_kernarg_preload_offset 0
		.amdhsa_user_sgpr_private_segment_size 0
		.amdhsa_uses_dynamic_stack 0
		.amdhsa_enable_private_segment 0
		.amdhsa_system_sgpr_workgroup_id_x 1
		.amdhsa_system_sgpr_workgroup_id_y 0
		.amdhsa_system_sgpr_workgroup_id_z 0
		.amdhsa_system_sgpr_workgroup_info 0
		.amdhsa_system_vgpr_workitem_id 0
		.amdhsa_next_free_vgpr 1
		.amdhsa_next_free_sgpr 0
		.amdhsa_accum_offset 4
		.amdhsa_reserve_vcc 0
		.amdhsa_float_round_mode_32 0
		.amdhsa_float_round_mode_16_64 0
		.amdhsa_float_denorm_mode_32 3
		.amdhsa_float_denorm_mode_16_64 3
		.amdhsa_dx10_clamp 1
		.amdhsa_ieee_mode 1
		.amdhsa_fp16_overflow 0
		.amdhsa_tg_split 0
		.amdhsa_exception_fp_ieee_invalid_op 0
		.amdhsa_exception_fp_denorm_src 0
		.amdhsa_exception_fp_ieee_div_zero 0
		.amdhsa_exception_fp_ieee_overflow 0
		.amdhsa_exception_fp_ieee_underflow 0
		.amdhsa_exception_fp_ieee_inexact 0
		.amdhsa_exception_int_div_zero 0
	.end_amdhsa_kernel
	.section	.text._ZN7rocprim17ROCPRIM_400000_NS6detail17trampoline_kernelINS0_14default_configENS1_25transform_config_selectorIdLb0EEEZNS1_14transform_implILb0ES3_S5_N6thrust23THRUST_200600_302600_NS6detail15normal_iteratorINS8_10device_ptrIdEEEEPdNS0_8identityIdEEEE10hipError_tT2_T3_mT4_P12ihipStream_tbEUlT_E_NS1_11comp_targetILNS1_3genE10ELNS1_11target_archE1200ELNS1_3gpuE4ELNS1_3repE0EEENS1_30default_config_static_selectorELNS0_4arch9wavefront6targetE1EEEvT1_,"axG",@progbits,_ZN7rocprim17ROCPRIM_400000_NS6detail17trampoline_kernelINS0_14default_configENS1_25transform_config_selectorIdLb0EEEZNS1_14transform_implILb0ES3_S5_N6thrust23THRUST_200600_302600_NS6detail15normal_iteratorINS8_10device_ptrIdEEEEPdNS0_8identityIdEEEE10hipError_tT2_T3_mT4_P12ihipStream_tbEUlT_E_NS1_11comp_targetILNS1_3genE10ELNS1_11target_archE1200ELNS1_3gpuE4ELNS1_3repE0EEENS1_30default_config_static_selectorELNS0_4arch9wavefront6targetE1EEEvT1_,comdat
.Lfunc_end106:
	.size	_ZN7rocprim17ROCPRIM_400000_NS6detail17trampoline_kernelINS0_14default_configENS1_25transform_config_selectorIdLb0EEEZNS1_14transform_implILb0ES3_S5_N6thrust23THRUST_200600_302600_NS6detail15normal_iteratorINS8_10device_ptrIdEEEEPdNS0_8identityIdEEEE10hipError_tT2_T3_mT4_P12ihipStream_tbEUlT_E_NS1_11comp_targetILNS1_3genE10ELNS1_11target_archE1200ELNS1_3gpuE4ELNS1_3repE0EEENS1_30default_config_static_selectorELNS0_4arch9wavefront6targetE1EEEvT1_, .Lfunc_end106-_ZN7rocprim17ROCPRIM_400000_NS6detail17trampoline_kernelINS0_14default_configENS1_25transform_config_selectorIdLb0EEEZNS1_14transform_implILb0ES3_S5_N6thrust23THRUST_200600_302600_NS6detail15normal_iteratorINS8_10device_ptrIdEEEEPdNS0_8identityIdEEEE10hipError_tT2_T3_mT4_P12ihipStream_tbEUlT_E_NS1_11comp_targetILNS1_3genE10ELNS1_11target_archE1200ELNS1_3gpuE4ELNS1_3repE0EEENS1_30default_config_static_selectorELNS0_4arch9wavefront6targetE1EEEvT1_
                                        ; -- End function
	.set _ZN7rocprim17ROCPRIM_400000_NS6detail17trampoline_kernelINS0_14default_configENS1_25transform_config_selectorIdLb0EEEZNS1_14transform_implILb0ES3_S5_N6thrust23THRUST_200600_302600_NS6detail15normal_iteratorINS8_10device_ptrIdEEEEPdNS0_8identityIdEEEE10hipError_tT2_T3_mT4_P12ihipStream_tbEUlT_E_NS1_11comp_targetILNS1_3genE10ELNS1_11target_archE1200ELNS1_3gpuE4ELNS1_3repE0EEENS1_30default_config_static_selectorELNS0_4arch9wavefront6targetE1EEEvT1_.num_vgpr, 0
	.set _ZN7rocprim17ROCPRIM_400000_NS6detail17trampoline_kernelINS0_14default_configENS1_25transform_config_selectorIdLb0EEEZNS1_14transform_implILb0ES3_S5_N6thrust23THRUST_200600_302600_NS6detail15normal_iteratorINS8_10device_ptrIdEEEEPdNS0_8identityIdEEEE10hipError_tT2_T3_mT4_P12ihipStream_tbEUlT_E_NS1_11comp_targetILNS1_3genE10ELNS1_11target_archE1200ELNS1_3gpuE4ELNS1_3repE0EEENS1_30default_config_static_selectorELNS0_4arch9wavefront6targetE1EEEvT1_.num_agpr, 0
	.set _ZN7rocprim17ROCPRIM_400000_NS6detail17trampoline_kernelINS0_14default_configENS1_25transform_config_selectorIdLb0EEEZNS1_14transform_implILb0ES3_S5_N6thrust23THRUST_200600_302600_NS6detail15normal_iteratorINS8_10device_ptrIdEEEEPdNS0_8identityIdEEEE10hipError_tT2_T3_mT4_P12ihipStream_tbEUlT_E_NS1_11comp_targetILNS1_3genE10ELNS1_11target_archE1200ELNS1_3gpuE4ELNS1_3repE0EEENS1_30default_config_static_selectorELNS0_4arch9wavefront6targetE1EEEvT1_.numbered_sgpr, 0
	.set _ZN7rocprim17ROCPRIM_400000_NS6detail17trampoline_kernelINS0_14default_configENS1_25transform_config_selectorIdLb0EEEZNS1_14transform_implILb0ES3_S5_N6thrust23THRUST_200600_302600_NS6detail15normal_iteratorINS8_10device_ptrIdEEEEPdNS0_8identityIdEEEE10hipError_tT2_T3_mT4_P12ihipStream_tbEUlT_E_NS1_11comp_targetILNS1_3genE10ELNS1_11target_archE1200ELNS1_3gpuE4ELNS1_3repE0EEENS1_30default_config_static_selectorELNS0_4arch9wavefront6targetE1EEEvT1_.num_named_barrier, 0
	.set _ZN7rocprim17ROCPRIM_400000_NS6detail17trampoline_kernelINS0_14default_configENS1_25transform_config_selectorIdLb0EEEZNS1_14transform_implILb0ES3_S5_N6thrust23THRUST_200600_302600_NS6detail15normal_iteratorINS8_10device_ptrIdEEEEPdNS0_8identityIdEEEE10hipError_tT2_T3_mT4_P12ihipStream_tbEUlT_E_NS1_11comp_targetILNS1_3genE10ELNS1_11target_archE1200ELNS1_3gpuE4ELNS1_3repE0EEENS1_30default_config_static_selectorELNS0_4arch9wavefront6targetE1EEEvT1_.private_seg_size, 0
	.set _ZN7rocprim17ROCPRIM_400000_NS6detail17trampoline_kernelINS0_14default_configENS1_25transform_config_selectorIdLb0EEEZNS1_14transform_implILb0ES3_S5_N6thrust23THRUST_200600_302600_NS6detail15normal_iteratorINS8_10device_ptrIdEEEEPdNS0_8identityIdEEEE10hipError_tT2_T3_mT4_P12ihipStream_tbEUlT_E_NS1_11comp_targetILNS1_3genE10ELNS1_11target_archE1200ELNS1_3gpuE4ELNS1_3repE0EEENS1_30default_config_static_selectorELNS0_4arch9wavefront6targetE1EEEvT1_.uses_vcc, 0
	.set _ZN7rocprim17ROCPRIM_400000_NS6detail17trampoline_kernelINS0_14default_configENS1_25transform_config_selectorIdLb0EEEZNS1_14transform_implILb0ES3_S5_N6thrust23THRUST_200600_302600_NS6detail15normal_iteratorINS8_10device_ptrIdEEEEPdNS0_8identityIdEEEE10hipError_tT2_T3_mT4_P12ihipStream_tbEUlT_E_NS1_11comp_targetILNS1_3genE10ELNS1_11target_archE1200ELNS1_3gpuE4ELNS1_3repE0EEENS1_30default_config_static_selectorELNS0_4arch9wavefront6targetE1EEEvT1_.uses_flat_scratch, 0
	.set _ZN7rocprim17ROCPRIM_400000_NS6detail17trampoline_kernelINS0_14default_configENS1_25transform_config_selectorIdLb0EEEZNS1_14transform_implILb0ES3_S5_N6thrust23THRUST_200600_302600_NS6detail15normal_iteratorINS8_10device_ptrIdEEEEPdNS0_8identityIdEEEE10hipError_tT2_T3_mT4_P12ihipStream_tbEUlT_E_NS1_11comp_targetILNS1_3genE10ELNS1_11target_archE1200ELNS1_3gpuE4ELNS1_3repE0EEENS1_30default_config_static_selectorELNS0_4arch9wavefront6targetE1EEEvT1_.has_dyn_sized_stack, 0
	.set _ZN7rocprim17ROCPRIM_400000_NS6detail17trampoline_kernelINS0_14default_configENS1_25transform_config_selectorIdLb0EEEZNS1_14transform_implILb0ES3_S5_N6thrust23THRUST_200600_302600_NS6detail15normal_iteratorINS8_10device_ptrIdEEEEPdNS0_8identityIdEEEE10hipError_tT2_T3_mT4_P12ihipStream_tbEUlT_E_NS1_11comp_targetILNS1_3genE10ELNS1_11target_archE1200ELNS1_3gpuE4ELNS1_3repE0EEENS1_30default_config_static_selectorELNS0_4arch9wavefront6targetE1EEEvT1_.has_recursion, 0
	.set _ZN7rocprim17ROCPRIM_400000_NS6detail17trampoline_kernelINS0_14default_configENS1_25transform_config_selectorIdLb0EEEZNS1_14transform_implILb0ES3_S5_N6thrust23THRUST_200600_302600_NS6detail15normal_iteratorINS8_10device_ptrIdEEEEPdNS0_8identityIdEEEE10hipError_tT2_T3_mT4_P12ihipStream_tbEUlT_E_NS1_11comp_targetILNS1_3genE10ELNS1_11target_archE1200ELNS1_3gpuE4ELNS1_3repE0EEENS1_30default_config_static_selectorELNS0_4arch9wavefront6targetE1EEEvT1_.has_indirect_call, 0
	.section	.AMDGPU.csdata,"",@progbits
; Kernel info:
; codeLenInByte = 0
; TotalNumSgprs: 6
; NumVgprs: 0
; NumAgprs: 0
; TotalNumVgprs: 0
; ScratchSize: 0
; MemoryBound: 0
; FloatMode: 240
; IeeeMode: 1
; LDSByteSize: 0 bytes/workgroup (compile time only)
; SGPRBlocks: 0
; VGPRBlocks: 0
; NumSGPRsForWavesPerEU: 6
; NumVGPRsForWavesPerEU: 1
; AccumOffset: 4
; Occupancy: 8
; WaveLimiterHint : 0
; COMPUTE_PGM_RSRC2:SCRATCH_EN: 0
; COMPUTE_PGM_RSRC2:USER_SGPR: 2
; COMPUTE_PGM_RSRC2:TRAP_HANDLER: 0
; COMPUTE_PGM_RSRC2:TGID_X_EN: 1
; COMPUTE_PGM_RSRC2:TGID_Y_EN: 0
; COMPUTE_PGM_RSRC2:TGID_Z_EN: 0
; COMPUTE_PGM_RSRC2:TIDIG_COMP_CNT: 0
; COMPUTE_PGM_RSRC3_GFX90A:ACCUM_OFFSET: 0
; COMPUTE_PGM_RSRC3_GFX90A:TG_SPLIT: 0
	.section	.text._ZN7rocprim17ROCPRIM_400000_NS6detail17trampoline_kernelINS0_14default_configENS1_25transform_config_selectorIdLb0EEEZNS1_14transform_implILb0ES3_S5_N6thrust23THRUST_200600_302600_NS6detail15normal_iteratorINS8_10device_ptrIdEEEEPdNS0_8identityIdEEEE10hipError_tT2_T3_mT4_P12ihipStream_tbEUlT_E_NS1_11comp_targetILNS1_3genE9ELNS1_11target_archE1100ELNS1_3gpuE3ELNS1_3repE0EEENS1_30default_config_static_selectorELNS0_4arch9wavefront6targetE1EEEvT1_,"axG",@progbits,_ZN7rocprim17ROCPRIM_400000_NS6detail17trampoline_kernelINS0_14default_configENS1_25transform_config_selectorIdLb0EEEZNS1_14transform_implILb0ES3_S5_N6thrust23THRUST_200600_302600_NS6detail15normal_iteratorINS8_10device_ptrIdEEEEPdNS0_8identityIdEEEE10hipError_tT2_T3_mT4_P12ihipStream_tbEUlT_E_NS1_11comp_targetILNS1_3genE9ELNS1_11target_archE1100ELNS1_3gpuE3ELNS1_3repE0EEENS1_30default_config_static_selectorELNS0_4arch9wavefront6targetE1EEEvT1_,comdat
	.protected	_ZN7rocprim17ROCPRIM_400000_NS6detail17trampoline_kernelINS0_14default_configENS1_25transform_config_selectorIdLb0EEEZNS1_14transform_implILb0ES3_S5_N6thrust23THRUST_200600_302600_NS6detail15normal_iteratorINS8_10device_ptrIdEEEEPdNS0_8identityIdEEEE10hipError_tT2_T3_mT4_P12ihipStream_tbEUlT_E_NS1_11comp_targetILNS1_3genE9ELNS1_11target_archE1100ELNS1_3gpuE3ELNS1_3repE0EEENS1_30default_config_static_selectorELNS0_4arch9wavefront6targetE1EEEvT1_ ; -- Begin function _ZN7rocprim17ROCPRIM_400000_NS6detail17trampoline_kernelINS0_14default_configENS1_25transform_config_selectorIdLb0EEEZNS1_14transform_implILb0ES3_S5_N6thrust23THRUST_200600_302600_NS6detail15normal_iteratorINS8_10device_ptrIdEEEEPdNS0_8identityIdEEEE10hipError_tT2_T3_mT4_P12ihipStream_tbEUlT_E_NS1_11comp_targetILNS1_3genE9ELNS1_11target_archE1100ELNS1_3gpuE3ELNS1_3repE0EEENS1_30default_config_static_selectorELNS0_4arch9wavefront6targetE1EEEvT1_
	.globl	_ZN7rocprim17ROCPRIM_400000_NS6detail17trampoline_kernelINS0_14default_configENS1_25transform_config_selectorIdLb0EEEZNS1_14transform_implILb0ES3_S5_N6thrust23THRUST_200600_302600_NS6detail15normal_iteratorINS8_10device_ptrIdEEEEPdNS0_8identityIdEEEE10hipError_tT2_T3_mT4_P12ihipStream_tbEUlT_E_NS1_11comp_targetILNS1_3genE9ELNS1_11target_archE1100ELNS1_3gpuE3ELNS1_3repE0EEENS1_30default_config_static_selectorELNS0_4arch9wavefront6targetE1EEEvT1_
	.p2align	8
	.type	_ZN7rocprim17ROCPRIM_400000_NS6detail17trampoline_kernelINS0_14default_configENS1_25transform_config_selectorIdLb0EEEZNS1_14transform_implILb0ES3_S5_N6thrust23THRUST_200600_302600_NS6detail15normal_iteratorINS8_10device_ptrIdEEEEPdNS0_8identityIdEEEE10hipError_tT2_T3_mT4_P12ihipStream_tbEUlT_E_NS1_11comp_targetILNS1_3genE9ELNS1_11target_archE1100ELNS1_3gpuE3ELNS1_3repE0EEENS1_30default_config_static_selectorELNS0_4arch9wavefront6targetE1EEEvT1_,@function
_ZN7rocprim17ROCPRIM_400000_NS6detail17trampoline_kernelINS0_14default_configENS1_25transform_config_selectorIdLb0EEEZNS1_14transform_implILb0ES3_S5_N6thrust23THRUST_200600_302600_NS6detail15normal_iteratorINS8_10device_ptrIdEEEEPdNS0_8identityIdEEEE10hipError_tT2_T3_mT4_P12ihipStream_tbEUlT_E_NS1_11comp_targetILNS1_3genE9ELNS1_11target_archE1100ELNS1_3gpuE3ELNS1_3repE0EEENS1_30default_config_static_selectorELNS0_4arch9wavefront6targetE1EEEvT1_: ; @_ZN7rocprim17ROCPRIM_400000_NS6detail17trampoline_kernelINS0_14default_configENS1_25transform_config_selectorIdLb0EEEZNS1_14transform_implILb0ES3_S5_N6thrust23THRUST_200600_302600_NS6detail15normal_iteratorINS8_10device_ptrIdEEEEPdNS0_8identityIdEEEE10hipError_tT2_T3_mT4_P12ihipStream_tbEUlT_E_NS1_11comp_targetILNS1_3genE9ELNS1_11target_archE1100ELNS1_3gpuE3ELNS1_3repE0EEENS1_30default_config_static_selectorELNS0_4arch9wavefront6targetE1EEEvT1_
; %bb.0:
	.section	.rodata,"a",@progbits
	.p2align	6, 0x0
	.amdhsa_kernel _ZN7rocprim17ROCPRIM_400000_NS6detail17trampoline_kernelINS0_14default_configENS1_25transform_config_selectorIdLb0EEEZNS1_14transform_implILb0ES3_S5_N6thrust23THRUST_200600_302600_NS6detail15normal_iteratorINS8_10device_ptrIdEEEEPdNS0_8identityIdEEEE10hipError_tT2_T3_mT4_P12ihipStream_tbEUlT_E_NS1_11comp_targetILNS1_3genE9ELNS1_11target_archE1100ELNS1_3gpuE3ELNS1_3repE0EEENS1_30default_config_static_selectorELNS0_4arch9wavefront6targetE1EEEvT1_
		.amdhsa_group_segment_fixed_size 0
		.amdhsa_private_segment_fixed_size 0
		.amdhsa_kernarg_size 40
		.amdhsa_user_sgpr_count 2
		.amdhsa_user_sgpr_dispatch_ptr 0
		.amdhsa_user_sgpr_queue_ptr 0
		.amdhsa_user_sgpr_kernarg_segment_ptr 1
		.amdhsa_user_sgpr_dispatch_id 0
		.amdhsa_user_sgpr_kernarg_preload_length 0
		.amdhsa_user_sgpr_kernarg_preload_offset 0
		.amdhsa_user_sgpr_private_segment_size 0
		.amdhsa_uses_dynamic_stack 0
		.amdhsa_enable_private_segment 0
		.amdhsa_system_sgpr_workgroup_id_x 1
		.amdhsa_system_sgpr_workgroup_id_y 0
		.amdhsa_system_sgpr_workgroup_id_z 0
		.amdhsa_system_sgpr_workgroup_info 0
		.amdhsa_system_vgpr_workitem_id 0
		.amdhsa_next_free_vgpr 1
		.amdhsa_next_free_sgpr 0
		.amdhsa_accum_offset 4
		.amdhsa_reserve_vcc 0
		.amdhsa_float_round_mode_32 0
		.amdhsa_float_round_mode_16_64 0
		.amdhsa_float_denorm_mode_32 3
		.amdhsa_float_denorm_mode_16_64 3
		.amdhsa_dx10_clamp 1
		.amdhsa_ieee_mode 1
		.amdhsa_fp16_overflow 0
		.amdhsa_tg_split 0
		.amdhsa_exception_fp_ieee_invalid_op 0
		.amdhsa_exception_fp_denorm_src 0
		.amdhsa_exception_fp_ieee_div_zero 0
		.amdhsa_exception_fp_ieee_overflow 0
		.amdhsa_exception_fp_ieee_underflow 0
		.amdhsa_exception_fp_ieee_inexact 0
		.amdhsa_exception_int_div_zero 0
	.end_amdhsa_kernel
	.section	.text._ZN7rocprim17ROCPRIM_400000_NS6detail17trampoline_kernelINS0_14default_configENS1_25transform_config_selectorIdLb0EEEZNS1_14transform_implILb0ES3_S5_N6thrust23THRUST_200600_302600_NS6detail15normal_iteratorINS8_10device_ptrIdEEEEPdNS0_8identityIdEEEE10hipError_tT2_T3_mT4_P12ihipStream_tbEUlT_E_NS1_11comp_targetILNS1_3genE9ELNS1_11target_archE1100ELNS1_3gpuE3ELNS1_3repE0EEENS1_30default_config_static_selectorELNS0_4arch9wavefront6targetE1EEEvT1_,"axG",@progbits,_ZN7rocprim17ROCPRIM_400000_NS6detail17trampoline_kernelINS0_14default_configENS1_25transform_config_selectorIdLb0EEEZNS1_14transform_implILb0ES3_S5_N6thrust23THRUST_200600_302600_NS6detail15normal_iteratorINS8_10device_ptrIdEEEEPdNS0_8identityIdEEEE10hipError_tT2_T3_mT4_P12ihipStream_tbEUlT_E_NS1_11comp_targetILNS1_3genE9ELNS1_11target_archE1100ELNS1_3gpuE3ELNS1_3repE0EEENS1_30default_config_static_selectorELNS0_4arch9wavefront6targetE1EEEvT1_,comdat
.Lfunc_end107:
	.size	_ZN7rocprim17ROCPRIM_400000_NS6detail17trampoline_kernelINS0_14default_configENS1_25transform_config_selectorIdLb0EEEZNS1_14transform_implILb0ES3_S5_N6thrust23THRUST_200600_302600_NS6detail15normal_iteratorINS8_10device_ptrIdEEEEPdNS0_8identityIdEEEE10hipError_tT2_T3_mT4_P12ihipStream_tbEUlT_E_NS1_11comp_targetILNS1_3genE9ELNS1_11target_archE1100ELNS1_3gpuE3ELNS1_3repE0EEENS1_30default_config_static_selectorELNS0_4arch9wavefront6targetE1EEEvT1_, .Lfunc_end107-_ZN7rocprim17ROCPRIM_400000_NS6detail17trampoline_kernelINS0_14default_configENS1_25transform_config_selectorIdLb0EEEZNS1_14transform_implILb0ES3_S5_N6thrust23THRUST_200600_302600_NS6detail15normal_iteratorINS8_10device_ptrIdEEEEPdNS0_8identityIdEEEE10hipError_tT2_T3_mT4_P12ihipStream_tbEUlT_E_NS1_11comp_targetILNS1_3genE9ELNS1_11target_archE1100ELNS1_3gpuE3ELNS1_3repE0EEENS1_30default_config_static_selectorELNS0_4arch9wavefront6targetE1EEEvT1_
                                        ; -- End function
	.set _ZN7rocprim17ROCPRIM_400000_NS6detail17trampoline_kernelINS0_14default_configENS1_25transform_config_selectorIdLb0EEEZNS1_14transform_implILb0ES3_S5_N6thrust23THRUST_200600_302600_NS6detail15normal_iteratorINS8_10device_ptrIdEEEEPdNS0_8identityIdEEEE10hipError_tT2_T3_mT4_P12ihipStream_tbEUlT_E_NS1_11comp_targetILNS1_3genE9ELNS1_11target_archE1100ELNS1_3gpuE3ELNS1_3repE0EEENS1_30default_config_static_selectorELNS0_4arch9wavefront6targetE1EEEvT1_.num_vgpr, 0
	.set _ZN7rocprim17ROCPRIM_400000_NS6detail17trampoline_kernelINS0_14default_configENS1_25transform_config_selectorIdLb0EEEZNS1_14transform_implILb0ES3_S5_N6thrust23THRUST_200600_302600_NS6detail15normal_iteratorINS8_10device_ptrIdEEEEPdNS0_8identityIdEEEE10hipError_tT2_T3_mT4_P12ihipStream_tbEUlT_E_NS1_11comp_targetILNS1_3genE9ELNS1_11target_archE1100ELNS1_3gpuE3ELNS1_3repE0EEENS1_30default_config_static_selectorELNS0_4arch9wavefront6targetE1EEEvT1_.num_agpr, 0
	.set _ZN7rocprim17ROCPRIM_400000_NS6detail17trampoline_kernelINS0_14default_configENS1_25transform_config_selectorIdLb0EEEZNS1_14transform_implILb0ES3_S5_N6thrust23THRUST_200600_302600_NS6detail15normal_iteratorINS8_10device_ptrIdEEEEPdNS0_8identityIdEEEE10hipError_tT2_T3_mT4_P12ihipStream_tbEUlT_E_NS1_11comp_targetILNS1_3genE9ELNS1_11target_archE1100ELNS1_3gpuE3ELNS1_3repE0EEENS1_30default_config_static_selectorELNS0_4arch9wavefront6targetE1EEEvT1_.numbered_sgpr, 0
	.set _ZN7rocprim17ROCPRIM_400000_NS6detail17trampoline_kernelINS0_14default_configENS1_25transform_config_selectorIdLb0EEEZNS1_14transform_implILb0ES3_S5_N6thrust23THRUST_200600_302600_NS6detail15normal_iteratorINS8_10device_ptrIdEEEEPdNS0_8identityIdEEEE10hipError_tT2_T3_mT4_P12ihipStream_tbEUlT_E_NS1_11comp_targetILNS1_3genE9ELNS1_11target_archE1100ELNS1_3gpuE3ELNS1_3repE0EEENS1_30default_config_static_selectorELNS0_4arch9wavefront6targetE1EEEvT1_.num_named_barrier, 0
	.set _ZN7rocprim17ROCPRIM_400000_NS6detail17trampoline_kernelINS0_14default_configENS1_25transform_config_selectorIdLb0EEEZNS1_14transform_implILb0ES3_S5_N6thrust23THRUST_200600_302600_NS6detail15normal_iteratorINS8_10device_ptrIdEEEEPdNS0_8identityIdEEEE10hipError_tT2_T3_mT4_P12ihipStream_tbEUlT_E_NS1_11comp_targetILNS1_3genE9ELNS1_11target_archE1100ELNS1_3gpuE3ELNS1_3repE0EEENS1_30default_config_static_selectorELNS0_4arch9wavefront6targetE1EEEvT1_.private_seg_size, 0
	.set _ZN7rocprim17ROCPRIM_400000_NS6detail17trampoline_kernelINS0_14default_configENS1_25transform_config_selectorIdLb0EEEZNS1_14transform_implILb0ES3_S5_N6thrust23THRUST_200600_302600_NS6detail15normal_iteratorINS8_10device_ptrIdEEEEPdNS0_8identityIdEEEE10hipError_tT2_T3_mT4_P12ihipStream_tbEUlT_E_NS1_11comp_targetILNS1_3genE9ELNS1_11target_archE1100ELNS1_3gpuE3ELNS1_3repE0EEENS1_30default_config_static_selectorELNS0_4arch9wavefront6targetE1EEEvT1_.uses_vcc, 0
	.set _ZN7rocprim17ROCPRIM_400000_NS6detail17trampoline_kernelINS0_14default_configENS1_25transform_config_selectorIdLb0EEEZNS1_14transform_implILb0ES3_S5_N6thrust23THRUST_200600_302600_NS6detail15normal_iteratorINS8_10device_ptrIdEEEEPdNS0_8identityIdEEEE10hipError_tT2_T3_mT4_P12ihipStream_tbEUlT_E_NS1_11comp_targetILNS1_3genE9ELNS1_11target_archE1100ELNS1_3gpuE3ELNS1_3repE0EEENS1_30default_config_static_selectorELNS0_4arch9wavefront6targetE1EEEvT1_.uses_flat_scratch, 0
	.set _ZN7rocprim17ROCPRIM_400000_NS6detail17trampoline_kernelINS0_14default_configENS1_25transform_config_selectorIdLb0EEEZNS1_14transform_implILb0ES3_S5_N6thrust23THRUST_200600_302600_NS6detail15normal_iteratorINS8_10device_ptrIdEEEEPdNS0_8identityIdEEEE10hipError_tT2_T3_mT4_P12ihipStream_tbEUlT_E_NS1_11comp_targetILNS1_3genE9ELNS1_11target_archE1100ELNS1_3gpuE3ELNS1_3repE0EEENS1_30default_config_static_selectorELNS0_4arch9wavefront6targetE1EEEvT1_.has_dyn_sized_stack, 0
	.set _ZN7rocprim17ROCPRIM_400000_NS6detail17trampoline_kernelINS0_14default_configENS1_25transform_config_selectorIdLb0EEEZNS1_14transform_implILb0ES3_S5_N6thrust23THRUST_200600_302600_NS6detail15normal_iteratorINS8_10device_ptrIdEEEEPdNS0_8identityIdEEEE10hipError_tT2_T3_mT4_P12ihipStream_tbEUlT_E_NS1_11comp_targetILNS1_3genE9ELNS1_11target_archE1100ELNS1_3gpuE3ELNS1_3repE0EEENS1_30default_config_static_selectorELNS0_4arch9wavefront6targetE1EEEvT1_.has_recursion, 0
	.set _ZN7rocprim17ROCPRIM_400000_NS6detail17trampoline_kernelINS0_14default_configENS1_25transform_config_selectorIdLb0EEEZNS1_14transform_implILb0ES3_S5_N6thrust23THRUST_200600_302600_NS6detail15normal_iteratorINS8_10device_ptrIdEEEEPdNS0_8identityIdEEEE10hipError_tT2_T3_mT4_P12ihipStream_tbEUlT_E_NS1_11comp_targetILNS1_3genE9ELNS1_11target_archE1100ELNS1_3gpuE3ELNS1_3repE0EEENS1_30default_config_static_selectorELNS0_4arch9wavefront6targetE1EEEvT1_.has_indirect_call, 0
	.section	.AMDGPU.csdata,"",@progbits
; Kernel info:
; codeLenInByte = 0
; TotalNumSgprs: 6
; NumVgprs: 0
; NumAgprs: 0
; TotalNumVgprs: 0
; ScratchSize: 0
; MemoryBound: 0
; FloatMode: 240
; IeeeMode: 1
; LDSByteSize: 0 bytes/workgroup (compile time only)
; SGPRBlocks: 0
; VGPRBlocks: 0
; NumSGPRsForWavesPerEU: 6
; NumVGPRsForWavesPerEU: 1
; AccumOffset: 4
; Occupancy: 8
; WaveLimiterHint : 0
; COMPUTE_PGM_RSRC2:SCRATCH_EN: 0
; COMPUTE_PGM_RSRC2:USER_SGPR: 2
; COMPUTE_PGM_RSRC2:TRAP_HANDLER: 0
; COMPUTE_PGM_RSRC2:TGID_X_EN: 1
; COMPUTE_PGM_RSRC2:TGID_Y_EN: 0
; COMPUTE_PGM_RSRC2:TGID_Z_EN: 0
; COMPUTE_PGM_RSRC2:TIDIG_COMP_CNT: 0
; COMPUTE_PGM_RSRC3_GFX90A:ACCUM_OFFSET: 0
; COMPUTE_PGM_RSRC3_GFX90A:TG_SPLIT: 0
	.section	.text._ZN7rocprim17ROCPRIM_400000_NS6detail17trampoline_kernelINS0_14default_configENS1_25transform_config_selectorIdLb0EEEZNS1_14transform_implILb0ES3_S5_N6thrust23THRUST_200600_302600_NS6detail15normal_iteratorINS8_10device_ptrIdEEEEPdNS0_8identityIdEEEE10hipError_tT2_T3_mT4_P12ihipStream_tbEUlT_E_NS1_11comp_targetILNS1_3genE8ELNS1_11target_archE1030ELNS1_3gpuE2ELNS1_3repE0EEENS1_30default_config_static_selectorELNS0_4arch9wavefront6targetE1EEEvT1_,"axG",@progbits,_ZN7rocprim17ROCPRIM_400000_NS6detail17trampoline_kernelINS0_14default_configENS1_25transform_config_selectorIdLb0EEEZNS1_14transform_implILb0ES3_S5_N6thrust23THRUST_200600_302600_NS6detail15normal_iteratorINS8_10device_ptrIdEEEEPdNS0_8identityIdEEEE10hipError_tT2_T3_mT4_P12ihipStream_tbEUlT_E_NS1_11comp_targetILNS1_3genE8ELNS1_11target_archE1030ELNS1_3gpuE2ELNS1_3repE0EEENS1_30default_config_static_selectorELNS0_4arch9wavefront6targetE1EEEvT1_,comdat
	.protected	_ZN7rocprim17ROCPRIM_400000_NS6detail17trampoline_kernelINS0_14default_configENS1_25transform_config_selectorIdLb0EEEZNS1_14transform_implILb0ES3_S5_N6thrust23THRUST_200600_302600_NS6detail15normal_iteratorINS8_10device_ptrIdEEEEPdNS0_8identityIdEEEE10hipError_tT2_T3_mT4_P12ihipStream_tbEUlT_E_NS1_11comp_targetILNS1_3genE8ELNS1_11target_archE1030ELNS1_3gpuE2ELNS1_3repE0EEENS1_30default_config_static_selectorELNS0_4arch9wavefront6targetE1EEEvT1_ ; -- Begin function _ZN7rocprim17ROCPRIM_400000_NS6detail17trampoline_kernelINS0_14default_configENS1_25transform_config_selectorIdLb0EEEZNS1_14transform_implILb0ES3_S5_N6thrust23THRUST_200600_302600_NS6detail15normal_iteratorINS8_10device_ptrIdEEEEPdNS0_8identityIdEEEE10hipError_tT2_T3_mT4_P12ihipStream_tbEUlT_E_NS1_11comp_targetILNS1_3genE8ELNS1_11target_archE1030ELNS1_3gpuE2ELNS1_3repE0EEENS1_30default_config_static_selectorELNS0_4arch9wavefront6targetE1EEEvT1_
	.globl	_ZN7rocprim17ROCPRIM_400000_NS6detail17trampoline_kernelINS0_14default_configENS1_25transform_config_selectorIdLb0EEEZNS1_14transform_implILb0ES3_S5_N6thrust23THRUST_200600_302600_NS6detail15normal_iteratorINS8_10device_ptrIdEEEEPdNS0_8identityIdEEEE10hipError_tT2_T3_mT4_P12ihipStream_tbEUlT_E_NS1_11comp_targetILNS1_3genE8ELNS1_11target_archE1030ELNS1_3gpuE2ELNS1_3repE0EEENS1_30default_config_static_selectorELNS0_4arch9wavefront6targetE1EEEvT1_
	.p2align	8
	.type	_ZN7rocprim17ROCPRIM_400000_NS6detail17trampoline_kernelINS0_14default_configENS1_25transform_config_selectorIdLb0EEEZNS1_14transform_implILb0ES3_S5_N6thrust23THRUST_200600_302600_NS6detail15normal_iteratorINS8_10device_ptrIdEEEEPdNS0_8identityIdEEEE10hipError_tT2_T3_mT4_P12ihipStream_tbEUlT_E_NS1_11comp_targetILNS1_3genE8ELNS1_11target_archE1030ELNS1_3gpuE2ELNS1_3repE0EEENS1_30default_config_static_selectorELNS0_4arch9wavefront6targetE1EEEvT1_,@function
_ZN7rocprim17ROCPRIM_400000_NS6detail17trampoline_kernelINS0_14default_configENS1_25transform_config_selectorIdLb0EEEZNS1_14transform_implILb0ES3_S5_N6thrust23THRUST_200600_302600_NS6detail15normal_iteratorINS8_10device_ptrIdEEEEPdNS0_8identityIdEEEE10hipError_tT2_T3_mT4_P12ihipStream_tbEUlT_E_NS1_11comp_targetILNS1_3genE8ELNS1_11target_archE1030ELNS1_3gpuE2ELNS1_3repE0EEENS1_30default_config_static_selectorELNS0_4arch9wavefront6targetE1EEEvT1_: ; @_ZN7rocprim17ROCPRIM_400000_NS6detail17trampoline_kernelINS0_14default_configENS1_25transform_config_selectorIdLb0EEEZNS1_14transform_implILb0ES3_S5_N6thrust23THRUST_200600_302600_NS6detail15normal_iteratorINS8_10device_ptrIdEEEEPdNS0_8identityIdEEEE10hipError_tT2_T3_mT4_P12ihipStream_tbEUlT_E_NS1_11comp_targetILNS1_3genE8ELNS1_11target_archE1030ELNS1_3gpuE2ELNS1_3repE0EEENS1_30default_config_static_selectorELNS0_4arch9wavefront6targetE1EEEvT1_
; %bb.0:
	.section	.rodata,"a",@progbits
	.p2align	6, 0x0
	.amdhsa_kernel _ZN7rocprim17ROCPRIM_400000_NS6detail17trampoline_kernelINS0_14default_configENS1_25transform_config_selectorIdLb0EEEZNS1_14transform_implILb0ES3_S5_N6thrust23THRUST_200600_302600_NS6detail15normal_iteratorINS8_10device_ptrIdEEEEPdNS0_8identityIdEEEE10hipError_tT2_T3_mT4_P12ihipStream_tbEUlT_E_NS1_11comp_targetILNS1_3genE8ELNS1_11target_archE1030ELNS1_3gpuE2ELNS1_3repE0EEENS1_30default_config_static_selectorELNS0_4arch9wavefront6targetE1EEEvT1_
		.amdhsa_group_segment_fixed_size 0
		.amdhsa_private_segment_fixed_size 0
		.amdhsa_kernarg_size 40
		.amdhsa_user_sgpr_count 2
		.amdhsa_user_sgpr_dispatch_ptr 0
		.amdhsa_user_sgpr_queue_ptr 0
		.amdhsa_user_sgpr_kernarg_segment_ptr 1
		.amdhsa_user_sgpr_dispatch_id 0
		.amdhsa_user_sgpr_kernarg_preload_length 0
		.amdhsa_user_sgpr_kernarg_preload_offset 0
		.amdhsa_user_sgpr_private_segment_size 0
		.amdhsa_uses_dynamic_stack 0
		.amdhsa_enable_private_segment 0
		.amdhsa_system_sgpr_workgroup_id_x 1
		.amdhsa_system_sgpr_workgroup_id_y 0
		.amdhsa_system_sgpr_workgroup_id_z 0
		.amdhsa_system_sgpr_workgroup_info 0
		.amdhsa_system_vgpr_workitem_id 0
		.amdhsa_next_free_vgpr 1
		.amdhsa_next_free_sgpr 0
		.amdhsa_accum_offset 4
		.amdhsa_reserve_vcc 0
		.amdhsa_float_round_mode_32 0
		.amdhsa_float_round_mode_16_64 0
		.amdhsa_float_denorm_mode_32 3
		.amdhsa_float_denorm_mode_16_64 3
		.amdhsa_dx10_clamp 1
		.amdhsa_ieee_mode 1
		.amdhsa_fp16_overflow 0
		.amdhsa_tg_split 0
		.amdhsa_exception_fp_ieee_invalid_op 0
		.amdhsa_exception_fp_denorm_src 0
		.amdhsa_exception_fp_ieee_div_zero 0
		.amdhsa_exception_fp_ieee_overflow 0
		.amdhsa_exception_fp_ieee_underflow 0
		.amdhsa_exception_fp_ieee_inexact 0
		.amdhsa_exception_int_div_zero 0
	.end_amdhsa_kernel
	.section	.text._ZN7rocprim17ROCPRIM_400000_NS6detail17trampoline_kernelINS0_14default_configENS1_25transform_config_selectorIdLb0EEEZNS1_14transform_implILb0ES3_S5_N6thrust23THRUST_200600_302600_NS6detail15normal_iteratorINS8_10device_ptrIdEEEEPdNS0_8identityIdEEEE10hipError_tT2_T3_mT4_P12ihipStream_tbEUlT_E_NS1_11comp_targetILNS1_3genE8ELNS1_11target_archE1030ELNS1_3gpuE2ELNS1_3repE0EEENS1_30default_config_static_selectorELNS0_4arch9wavefront6targetE1EEEvT1_,"axG",@progbits,_ZN7rocprim17ROCPRIM_400000_NS6detail17trampoline_kernelINS0_14default_configENS1_25transform_config_selectorIdLb0EEEZNS1_14transform_implILb0ES3_S5_N6thrust23THRUST_200600_302600_NS6detail15normal_iteratorINS8_10device_ptrIdEEEEPdNS0_8identityIdEEEE10hipError_tT2_T3_mT4_P12ihipStream_tbEUlT_E_NS1_11comp_targetILNS1_3genE8ELNS1_11target_archE1030ELNS1_3gpuE2ELNS1_3repE0EEENS1_30default_config_static_selectorELNS0_4arch9wavefront6targetE1EEEvT1_,comdat
.Lfunc_end108:
	.size	_ZN7rocprim17ROCPRIM_400000_NS6detail17trampoline_kernelINS0_14default_configENS1_25transform_config_selectorIdLb0EEEZNS1_14transform_implILb0ES3_S5_N6thrust23THRUST_200600_302600_NS6detail15normal_iteratorINS8_10device_ptrIdEEEEPdNS0_8identityIdEEEE10hipError_tT2_T3_mT4_P12ihipStream_tbEUlT_E_NS1_11comp_targetILNS1_3genE8ELNS1_11target_archE1030ELNS1_3gpuE2ELNS1_3repE0EEENS1_30default_config_static_selectorELNS0_4arch9wavefront6targetE1EEEvT1_, .Lfunc_end108-_ZN7rocprim17ROCPRIM_400000_NS6detail17trampoline_kernelINS0_14default_configENS1_25transform_config_selectorIdLb0EEEZNS1_14transform_implILb0ES3_S5_N6thrust23THRUST_200600_302600_NS6detail15normal_iteratorINS8_10device_ptrIdEEEEPdNS0_8identityIdEEEE10hipError_tT2_T3_mT4_P12ihipStream_tbEUlT_E_NS1_11comp_targetILNS1_3genE8ELNS1_11target_archE1030ELNS1_3gpuE2ELNS1_3repE0EEENS1_30default_config_static_selectorELNS0_4arch9wavefront6targetE1EEEvT1_
                                        ; -- End function
	.set _ZN7rocprim17ROCPRIM_400000_NS6detail17trampoline_kernelINS0_14default_configENS1_25transform_config_selectorIdLb0EEEZNS1_14transform_implILb0ES3_S5_N6thrust23THRUST_200600_302600_NS6detail15normal_iteratorINS8_10device_ptrIdEEEEPdNS0_8identityIdEEEE10hipError_tT2_T3_mT4_P12ihipStream_tbEUlT_E_NS1_11comp_targetILNS1_3genE8ELNS1_11target_archE1030ELNS1_3gpuE2ELNS1_3repE0EEENS1_30default_config_static_selectorELNS0_4arch9wavefront6targetE1EEEvT1_.num_vgpr, 0
	.set _ZN7rocprim17ROCPRIM_400000_NS6detail17trampoline_kernelINS0_14default_configENS1_25transform_config_selectorIdLb0EEEZNS1_14transform_implILb0ES3_S5_N6thrust23THRUST_200600_302600_NS6detail15normal_iteratorINS8_10device_ptrIdEEEEPdNS0_8identityIdEEEE10hipError_tT2_T3_mT4_P12ihipStream_tbEUlT_E_NS1_11comp_targetILNS1_3genE8ELNS1_11target_archE1030ELNS1_3gpuE2ELNS1_3repE0EEENS1_30default_config_static_selectorELNS0_4arch9wavefront6targetE1EEEvT1_.num_agpr, 0
	.set _ZN7rocprim17ROCPRIM_400000_NS6detail17trampoline_kernelINS0_14default_configENS1_25transform_config_selectorIdLb0EEEZNS1_14transform_implILb0ES3_S5_N6thrust23THRUST_200600_302600_NS6detail15normal_iteratorINS8_10device_ptrIdEEEEPdNS0_8identityIdEEEE10hipError_tT2_T3_mT4_P12ihipStream_tbEUlT_E_NS1_11comp_targetILNS1_3genE8ELNS1_11target_archE1030ELNS1_3gpuE2ELNS1_3repE0EEENS1_30default_config_static_selectorELNS0_4arch9wavefront6targetE1EEEvT1_.numbered_sgpr, 0
	.set _ZN7rocprim17ROCPRIM_400000_NS6detail17trampoline_kernelINS0_14default_configENS1_25transform_config_selectorIdLb0EEEZNS1_14transform_implILb0ES3_S5_N6thrust23THRUST_200600_302600_NS6detail15normal_iteratorINS8_10device_ptrIdEEEEPdNS0_8identityIdEEEE10hipError_tT2_T3_mT4_P12ihipStream_tbEUlT_E_NS1_11comp_targetILNS1_3genE8ELNS1_11target_archE1030ELNS1_3gpuE2ELNS1_3repE0EEENS1_30default_config_static_selectorELNS0_4arch9wavefront6targetE1EEEvT1_.num_named_barrier, 0
	.set _ZN7rocprim17ROCPRIM_400000_NS6detail17trampoline_kernelINS0_14default_configENS1_25transform_config_selectorIdLb0EEEZNS1_14transform_implILb0ES3_S5_N6thrust23THRUST_200600_302600_NS6detail15normal_iteratorINS8_10device_ptrIdEEEEPdNS0_8identityIdEEEE10hipError_tT2_T3_mT4_P12ihipStream_tbEUlT_E_NS1_11comp_targetILNS1_3genE8ELNS1_11target_archE1030ELNS1_3gpuE2ELNS1_3repE0EEENS1_30default_config_static_selectorELNS0_4arch9wavefront6targetE1EEEvT1_.private_seg_size, 0
	.set _ZN7rocprim17ROCPRIM_400000_NS6detail17trampoline_kernelINS0_14default_configENS1_25transform_config_selectorIdLb0EEEZNS1_14transform_implILb0ES3_S5_N6thrust23THRUST_200600_302600_NS6detail15normal_iteratorINS8_10device_ptrIdEEEEPdNS0_8identityIdEEEE10hipError_tT2_T3_mT4_P12ihipStream_tbEUlT_E_NS1_11comp_targetILNS1_3genE8ELNS1_11target_archE1030ELNS1_3gpuE2ELNS1_3repE0EEENS1_30default_config_static_selectorELNS0_4arch9wavefront6targetE1EEEvT1_.uses_vcc, 0
	.set _ZN7rocprim17ROCPRIM_400000_NS6detail17trampoline_kernelINS0_14default_configENS1_25transform_config_selectorIdLb0EEEZNS1_14transform_implILb0ES3_S5_N6thrust23THRUST_200600_302600_NS6detail15normal_iteratorINS8_10device_ptrIdEEEEPdNS0_8identityIdEEEE10hipError_tT2_T3_mT4_P12ihipStream_tbEUlT_E_NS1_11comp_targetILNS1_3genE8ELNS1_11target_archE1030ELNS1_3gpuE2ELNS1_3repE0EEENS1_30default_config_static_selectorELNS0_4arch9wavefront6targetE1EEEvT1_.uses_flat_scratch, 0
	.set _ZN7rocprim17ROCPRIM_400000_NS6detail17trampoline_kernelINS0_14default_configENS1_25transform_config_selectorIdLb0EEEZNS1_14transform_implILb0ES3_S5_N6thrust23THRUST_200600_302600_NS6detail15normal_iteratorINS8_10device_ptrIdEEEEPdNS0_8identityIdEEEE10hipError_tT2_T3_mT4_P12ihipStream_tbEUlT_E_NS1_11comp_targetILNS1_3genE8ELNS1_11target_archE1030ELNS1_3gpuE2ELNS1_3repE0EEENS1_30default_config_static_selectorELNS0_4arch9wavefront6targetE1EEEvT1_.has_dyn_sized_stack, 0
	.set _ZN7rocprim17ROCPRIM_400000_NS6detail17trampoline_kernelINS0_14default_configENS1_25transform_config_selectorIdLb0EEEZNS1_14transform_implILb0ES3_S5_N6thrust23THRUST_200600_302600_NS6detail15normal_iteratorINS8_10device_ptrIdEEEEPdNS0_8identityIdEEEE10hipError_tT2_T3_mT4_P12ihipStream_tbEUlT_E_NS1_11comp_targetILNS1_3genE8ELNS1_11target_archE1030ELNS1_3gpuE2ELNS1_3repE0EEENS1_30default_config_static_selectorELNS0_4arch9wavefront6targetE1EEEvT1_.has_recursion, 0
	.set _ZN7rocprim17ROCPRIM_400000_NS6detail17trampoline_kernelINS0_14default_configENS1_25transform_config_selectorIdLb0EEEZNS1_14transform_implILb0ES3_S5_N6thrust23THRUST_200600_302600_NS6detail15normal_iteratorINS8_10device_ptrIdEEEEPdNS0_8identityIdEEEE10hipError_tT2_T3_mT4_P12ihipStream_tbEUlT_E_NS1_11comp_targetILNS1_3genE8ELNS1_11target_archE1030ELNS1_3gpuE2ELNS1_3repE0EEENS1_30default_config_static_selectorELNS0_4arch9wavefront6targetE1EEEvT1_.has_indirect_call, 0
	.section	.AMDGPU.csdata,"",@progbits
; Kernel info:
; codeLenInByte = 0
; TotalNumSgprs: 6
; NumVgprs: 0
; NumAgprs: 0
; TotalNumVgprs: 0
; ScratchSize: 0
; MemoryBound: 0
; FloatMode: 240
; IeeeMode: 1
; LDSByteSize: 0 bytes/workgroup (compile time only)
; SGPRBlocks: 0
; VGPRBlocks: 0
; NumSGPRsForWavesPerEU: 6
; NumVGPRsForWavesPerEU: 1
; AccumOffset: 4
; Occupancy: 8
; WaveLimiterHint : 0
; COMPUTE_PGM_RSRC2:SCRATCH_EN: 0
; COMPUTE_PGM_RSRC2:USER_SGPR: 2
; COMPUTE_PGM_RSRC2:TRAP_HANDLER: 0
; COMPUTE_PGM_RSRC2:TGID_X_EN: 1
; COMPUTE_PGM_RSRC2:TGID_Y_EN: 0
; COMPUTE_PGM_RSRC2:TGID_Z_EN: 0
; COMPUTE_PGM_RSRC2:TIDIG_COMP_CNT: 0
; COMPUTE_PGM_RSRC3_GFX90A:ACCUM_OFFSET: 0
; COMPUTE_PGM_RSRC3_GFX90A:TG_SPLIT: 0
	.section	.text._ZN7rocprim17ROCPRIM_400000_NS6detail17trampoline_kernelINS0_14default_configENS1_35radix_sort_onesweep_config_selectorIddEEZZNS1_29radix_sort_onesweep_iterationIS3_Lb0EN6thrust23THRUST_200600_302600_NS6detail15normal_iteratorINS8_10device_ptrIdEEEESD_SD_SD_jNS0_19identity_decomposerENS1_16block_id_wrapperIjLb1EEEEE10hipError_tT1_PNSt15iterator_traitsISI_E10value_typeET2_T3_PNSJ_ISO_E10value_typeET4_T5_PST_SU_PNS1_23onesweep_lookback_stateEbbT6_jjT7_P12ihipStream_tbENKUlT_T0_SI_SN_E_clISD_SD_SD_SD_EEDaS11_S12_SI_SN_EUlS11_E_NS1_11comp_targetILNS1_3genE0ELNS1_11target_archE4294967295ELNS1_3gpuE0ELNS1_3repE0EEENS1_47radix_sort_onesweep_sort_config_static_selectorELNS0_4arch9wavefront6targetE1EEEvSI_,"axG",@progbits,_ZN7rocprim17ROCPRIM_400000_NS6detail17trampoline_kernelINS0_14default_configENS1_35radix_sort_onesweep_config_selectorIddEEZZNS1_29radix_sort_onesweep_iterationIS3_Lb0EN6thrust23THRUST_200600_302600_NS6detail15normal_iteratorINS8_10device_ptrIdEEEESD_SD_SD_jNS0_19identity_decomposerENS1_16block_id_wrapperIjLb1EEEEE10hipError_tT1_PNSt15iterator_traitsISI_E10value_typeET2_T3_PNSJ_ISO_E10value_typeET4_T5_PST_SU_PNS1_23onesweep_lookback_stateEbbT6_jjT7_P12ihipStream_tbENKUlT_T0_SI_SN_E_clISD_SD_SD_SD_EEDaS11_S12_SI_SN_EUlS11_E_NS1_11comp_targetILNS1_3genE0ELNS1_11target_archE4294967295ELNS1_3gpuE0ELNS1_3repE0EEENS1_47radix_sort_onesweep_sort_config_static_selectorELNS0_4arch9wavefront6targetE1EEEvSI_,comdat
	.protected	_ZN7rocprim17ROCPRIM_400000_NS6detail17trampoline_kernelINS0_14default_configENS1_35radix_sort_onesweep_config_selectorIddEEZZNS1_29radix_sort_onesweep_iterationIS3_Lb0EN6thrust23THRUST_200600_302600_NS6detail15normal_iteratorINS8_10device_ptrIdEEEESD_SD_SD_jNS0_19identity_decomposerENS1_16block_id_wrapperIjLb1EEEEE10hipError_tT1_PNSt15iterator_traitsISI_E10value_typeET2_T3_PNSJ_ISO_E10value_typeET4_T5_PST_SU_PNS1_23onesweep_lookback_stateEbbT6_jjT7_P12ihipStream_tbENKUlT_T0_SI_SN_E_clISD_SD_SD_SD_EEDaS11_S12_SI_SN_EUlS11_E_NS1_11comp_targetILNS1_3genE0ELNS1_11target_archE4294967295ELNS1_3gpuE0ELNS1_3repE0EEENS1_47radix_sort_onesweep_sort_config_static_selectorELNS0_4arch9wavefront6targetE1EEEvSI_ ; -- Begin function _ZN7rocprim17ROCPRIM_400000_NS6detail17trampoline_kernelINS0_14default_configENS1_35radix_sort_onesweep_config_selectorIddEEZZNS1_29radix_sort_onesweep_iterationIS3_Lb0EN6thrust23THRUST_200600_302600_NS6detail15normal_iteratorINS8_10device_ptrIdEEEESD_SD_SD_jNS0_19identity_decomposerENS1_16block_id_wrapperIjLb1EEEEE10hipError_tT1_PNSt15iterator_traitsISI_E10value_typeET2_T3_PNSJ_ISO_E10value_typeET4_T5_PST_SU_PNS1_23onesweep_lookback_stateEbbT6_jjT7_P12ihipStream_tbENKUlT_T0_SI_SN_E_clISD_SD_SD_SD_EEDaS11_S12_SI_SN_EUlS11_E_NS1_11comp_targetILNS1_3genE0ELNS1_11target_archE4294967295ELNS1_3gpuE0ELNS1_3repE0EEENS1_47radix_sort_onesweep_sort_config_static_selectorELNS0_4arch9wavefront6targetE1EEEvSI_
	.globl	_ZN7rocprim17ROCPRIM_400000_NS6detail17trampoline_kernelINS0_14default_configENS1_35radix_sort_onesweep_config_selectorIddEEZZNS1_29radix_sort_onesweep_iterationIS3_Lb0EN6thrust23THRUST_200600_302600_NS6detail15normal_iteratorINS8_10device_ptrIdEEEESD_SD_SD_jNS0_19identity_decomposerENS1_16block_id_wrapperIjLb1EEEEE10hipError_tT1_PNSt15iterator_traitsISI_E10value_typeET2_T3_PNSJ_ISO_E10value_typeET4_T5_PST_SU_PNS1_23onesweep_lookback_stateEbbT6_jjT7_P12ihipStream_tbENKUlT_T0_SI_SN_E_clISD_SD_SD_SD_EEDaS11_S12_SI_SN_EUlS11_E_NS1_11comp_targetILNS1_3genE0ELNS1_11target_archE4294967295ELNS1_3gpuE0ELNS1_3repE0EEENS1_47radix_sort_onesweep_sort_config_static_selectorELNS0_4arch9wavefront6targetE1EEEvSI_
	.p2align	8
	.type	_ZN7rocprim17ROCPRIM_400000_NS6detail17trampoline_kernelINS0_14default_configENS1_35radix_sort_onesweep_config_selectorIddEEZZNS1_29radix_sort_onesweep_iterationIS3_Lb0EN6thrust23THRUST_200600_302600_NS6detail15normal_iteratorINS8_10device_ptrIdEEEESD_SD_SD_jNS0_19identity_decomposerENS1_16block_id_wrapperIjLb1EEEEE10hipError_tT1_PNSt15iterator_traitsISI_E10value_typeET2_T3_PNSJ_ISO_E10value_typeET4_T5_PST_SU_PNS1_23onesweep_lookback_stateEbbT6_jjT7_P12ihipStream_tbENKUlT_T0_SI_SN_E_clISD_SD_SD_SD_EEDaS11_S12_SI_SN_EUlS11_E_NS1_11comp_targetILNS1_3genE0ELNS1_11target_archE4294967295ELNS1_3gpuE0ELNS1_3repE0EEENS1_47radix_sort_onesweep_sort_config_static_selectorELNS0_4arch9wavefront6targetE1EEEvSI_,@function
_ZN7rocprim17ROCPRIM_400000_NS6detail17trampoline_kernelINS0_14default_configENS1_35radix_sort_onesweep_config_selectorIddEEZZNS1_29radix_sort_onesweep_iterationIS3_Lb0EN6thrust23THRUST_200600_302600_NS6detail15normal_iteratorINS8_10device_ptrIdEEEESD_SD_SD_jNS0_19identity_decomposerENS1_16block_id_wrapperIjLb1EEEEE10hipError_tT1_PNSt15iterator_traitsISI_E10value_typeET2_T3_PNSJ_ISO_E10value_typeET4_T5_PST_SU_PNS1_23onesweep_lookback_stateEbbT6_jjT7_P12ihipStream_tbENKUlT_T0_SI_SN_E_clISD_SD_SD_SD_EEDaS11_S12_SI_SN_EUlS11_E_NS1_11comp_targetILNS1_3genE0ELNS1_11target_archE4294967295ELNS1_3gpuE0ELNS1_3repE0EEENS1_47radix_sort_onesweep_sort_config_static_selectorELNS0_4arch9wavefront6targetE1EEEvSI_: ; @_ZN7rocprim17ROCPRIM_400000_NS6detail17trampoline_kernelINS0_14default_configENS1_35radix_sort_onesweep_config_selectorIddEEZZNS1_29radix_sort_onesweep_iterationIS3_Lb0EN6thrust23THRUST_200600_302600_NS6detail15normal_iteratorINS8_10device_ptrIdEEEESD_SD_SD_jNS0_19identity_decomposerENS1_16block_id_wrapperIjLb1EEEEE10hipError_tT1_PNSt15iterator_traitsISI_E10value_typeET2_T3_PNSJ_ISO_E10value_typeET4_T5_PST_SU_PNS1_23onesweep_lookback_stateEbbT6_jjT7_P12ihipStream_tbENKUlT_T0_SI_SN_E_clISD_SD_SD_SD_EEDaS11_S12_SI_SN_EUlS11_E_NS1_11comp_targetILNS1_3genE0ELNS1_11target_archE4294967295ELNS1_3gpuE0ELNS1_3repE0EEENS1_47radix_sort_onesweep_sort_config_static_selectorELNS0_4arch9wavefront6targetE1EEEvSI_
; %bb.0:
	.section	.rodata,"a",@progbits
	.p2align	6, 0x0
	.amdhsa_kernel _ZN7rocprim17ROCPRIM_400000_NS6detail17trampoline_kernelINS0_14default_configENS1_35radix_sort_onesweep_config_selectorIddEEZZNS1_29radix_sort_onesweep_iterationIS3_Lb0EN6thrust23THRUST_200600_302600_NS6detail15normal_iteratorINS8_10device_ptrIdEEEESD_SD_SD_jNS0_19identity_decomposerENS1_16block_id_wrapperIjLb1EEEEE10hipError_tT1_PNSt15iterator_traitsISI_E10value_typeET2_T3_PNSJ_ISO_E10value_typeET4_T5_PST_SU_PNS1_23onesweep_lookback_stateEbbT6_jjT7_P12ihipStream_tbENKUlT_T0_SI_SN_E_clISD_SD_SD_SD_EEDaS11_S12_SI_SN_EUlS11_E_NS1_11comp_targetILNS1_3genE0ELNS1_11target_archE4294967295ELNS1_3gpuE0ELNS1_3repE0EEENS1_47radix_sort_onesweep_sort_config_static_selectorELNS0_4arch9wavefront6targetE1EEEvSI_
		.amdhsa_group_segment_fixed_size 0
		.amdhsa_private_segment_fixed_size 0
		.amdhsa_kernarg_size 88
		.amdhsa_user_sgpr_count 2
		.amdhsa_user_sgpr_dispatch_ptr 0
		.amdhsa_user_sgpr_queue_ptr 0
		.amdhsa_user_sgpr_kernarg_segment_ptr 1
		.amdhsa_user_sgpr_dispatch_id 0
		.amdhsa_user_sgpr_kernarg_preload_length 0
		.amdhsa_user_sgpr_kernarg_preload_offset 0
		.amdhsa_user_sgpr_private_segment_size 0
		.amdhsa_uses_dynamic_stack 0
		.amdhsa_enable_private_segment 0
		.amdhsa_system_sgpr_workgroup_id_x 1
		.amdhsa_system_sgpr_workgroup_id_y 0
		.amdhsa_system_sgpr_workgroup_id_z 0
		.amdhsa_system_sgpr_workgroup_info 0
		.amdhsa_system_vgpr_workitem_id 0
		.amdhsa_next_free_vgpr 1
		.amdhsa_next_free_sgpr 0
		.amdhsa_accum_offset 4
		.amdhsa_reserve_vcc 0
		.amdhsa_float_round_mode_32 0
		.amdhsa_float_round_mode_16_64 0
		.amdhsa_float_denorm_mode_32 3
		.amdhsa_float_denorm_mode_16_64 3
		.amdhsa_dx10_clamp 1
		.amdhsa_ieee_mode 1
		.amdhsa_fp16_overflow 0
		.amdhsa_tg_split 0
		.amdhsa_exception_fp_ieee_invalid_op 0
		.amdhsa_exception_fp_denorm_src 0
		.amdhsa_exception_fp_ieee_div_zero 0
		.amdhsa_exception_fp_ieee_overflow 0
		.amdhsa_exception_fp_ieee_underflow 0
		.amdhsa_exception_fp_ieee_inexact 0
		.amdhsa_exception_int_div_zero 0
	.end_amdhsa_kernel
	.section	.text._ZN7rocprim17ROCPRIM_400000_NS6detail17trampoline_kernelINS0_14default_configENS1_35radix_sort_onesweep_config_selectorIddEEZZNS1_29radix_sort_onesweep_iterationIS3_Lb0EN6thrust23THRUST_200600_302600_NS6detail15normal_iteratorINS8_10device_ptrIdEEEESD_SD_SD_jNS0_19identity_decomposerENS1_16block_id_wrapperIjLb1EEEEE10hipError_tT1_PNSt15iterator_traitsISI_E10value_typeET2_T3_PNSJ_ISO_E10value_typeET4_T5_PST_SU_PNS1_23onesweep_lookback_stateEbbT6_jjT7_P12ihipStream_tbENKUlT_T0_SI_SN_E_clISD_SD_SD_SD_EEDaS11_S12_SI_SN_EUlS11_E_NS1_11comp_targetILNS1_3genE0ELNS1_11target_archE4294967295ELNS1_3gpuE0ELNS1_3repE0EEENS1_47radix_sort_onesweep_sort_config_static_selectorELNS0_4arch9wavefront6targetE1EEEvSI_,"axG",@progbits,_ZN7rocprim17ROCPRIM_400000_NS6detail17trampoline_kernelINS0_14default_configENS1_35radix_sort_onesweep_config_selectorIddEEZZNS1_29radix_sort_onesweep_iterationIS3_Lb0EN6thrust23THRUST_200600_302600_NS6detail15normal_iteratorINS8_10device_ptrIdEEEESD_SD_SD_jNS0_19identity_decomposerENS1_16block_id_wrapperIjLb1EEEEE10hipError_tT1_PNSt15iterator_traitsISI_E10value_typeET2_T3_PNSJ_ISO_E10value_typeET4_T5_PST_SU_PNS1_23onesweep_lookback_stateEbbT6_jjT7_P12ihipStream_tbENKUlT_T0_SI_SN_E_clISD_SD_SD_SD_EEDaS11_S12_SI_SN_EUlS11_E_NS1_11comp_targetILNS1_3genE0ELNS1_11target_archE4294967295ELNS1_3gpuE0ELNS1_3repE0EEENS1_47radix_sort_onesweep_sort_config_static_selectorELNS0_4arch9wavefront6targetE1EEEvSI_,comdat
.Lfunc_end109:
	.size	_ZN7rocprim17ROCPRIM_400000_NS6detail17trampoline_kernelINS0_14default_configENS1_35radix_sort_onesweep_config_selectorIddEEZZNS1_29radix_sort_onesweep_iterationIS3_Lb0EN6thrust23THRUST_200600_302600_NS6detail15normal_iteratorINS8_10device_ptrIdEEEESD_SD_SD_jNS0_19identity_decomposerENS1_16block_id_wrapperIjLb1EEEEE10hipError_tT1_PNSt15iterator_traitsISI_E10value_typeET2_T3_PNSJ_ISO_E10value_typeET4_T5_PST_SU_PNS1_23onesweep_lookback_stateEbbT6_jjT7_P12ihipStream_tbENKUlT_T0_SI_SN_E_clISD_SD_SD_SD_EEDaS11_S12_SI_SN_EUlS11_E_NS1_11comp_targetILNS1_3genE0ELNS1_11target_archE4294967295ELNS1_3gpuE0ELNS1_3repE0EEENS1_47radix_sort_onesweep_sort_config_static_selectorELNS0_4arch9wavefront6targetE1EEEvSI_, .Lfunc_end109-_ZN7rocprim17ROCPRIM_400000_NS6detail17trampoline_kernelINS0_14default_configENS1_35radix_sort_onesweep_config_selectorIddEEZZNS1_29radix_sort_onesweep_iterationIS3_Lb0EN6thrust23THRUST_200600_302600_NS6detail15normal_iteratorINS8_10device_ptrIdEEEESD_SD_SD_jNS0_19identity_decomposerENS1_16block_id_wrapperIjLb1EEEEE10hipError_tT1_PNSt15iterator_traitsISI_E10value_typeET2_T3_PNSJ_ISO_E10value_typeET4_T5_PST_SU_PNS1_23onesweep_lookback_stateEbbT6_jjT7_P12ihipStream_tbENKUlT_T0_SI_SN_E_clISD_SD_SD_SD_EEDaS11_S12_SI_SN_EUlS11_E_NS1_11comp_targetILNS1_3genE0ELNS1_11target_archE4294967295ELNS1_3gpuE0ELNS1_3repE0EEENS1_47radix_sort_onesweep_sort_config_static_selectorELNS0_4arch9wavefront6targetE1EEEvSI_
                                        ; -- End function
	.set _ZN7rocprim17ROCPRIM_400000_NS6detail17trampoline_kernelINS0_14default_configENS1_35radix_sort_onesweep_config_selectorIddEEZZNS1_29radix_sort_onesweep_iterationIS3_Lb0EN6thrust23THRUST_200600_302600_NS6detail15normal_iteratorINS8_10device_ptrIdEEEESD_SD_SD_jNS0_19identity_decomposerENS1_16block_id_wrapperIjLb1EEEEE10hipError_tT1_PNSt15iterator_traitsISI_E10value_typeET2_T3_PNSJ_ISO_E10value_typeET4_T5_PST_SU_PNS1_23onesweep_lookback_stateEbbT6_jjT7_P12ihipStream_tbENKUlT_T0_SI_SN_E_clISD_SD_SD_SD_EEDaS11_S12_SI_SN_EUlS11_E_NS1_11comp_targetILNS1_3genE0ELNS1_11target_archE4294967295ELNS1_3gpuE0ELNS1_3repE0EEENS1_47radix_sort_onesweep_sort_config_static_selectorELNS0_4arch9wavefront6targetE1EEEvSI_.num_vgpr, 0
	.set _ZN7rocprim17ROCPRIM_400000_NS6detail17trampoline_kernelINS0_14default_configENS1_35radix_sort_onesweep_config_selectorIddEEZZNS1_29radix_sort_onesweep_iterationIS3_Lb0EN6thrust23THRUST_200600_302600_NS6detail15normal_iteratorINS8_10device_ptrIdEEEESD_SD_SD_jNS0_19identity_decomposerENS1_16block_id_wrapperIjLb1EEEEE10hipError_tT1_PNSt15iterator_traitsISI_E10value_typeET2_T3_PNSJ_ISO_E10value_typeET4_T5_PST_SU_PNS1_23onesweep_lookback_stateEbbT6_jjT7_P12ihipStream_tbENKUlT_T0_SI_SN_E_clISD_SD_SD_SD_EEDaS11_S12_SI_SN_EUlS11_E_NS1_11comp_targetILNS1_3genE0ELNS1_11target_archE4294967295ELNS1_3gpuE0ELNS1_3repE0EEENS1_47radix_sort_onesweep_sort_config_static_selectorELNS0_4arch9wavefront6targetE1EEEvSI_.num_agpr, 0
	.set _ZN7rocprim17ROCPRIM_400000_NS6detail17trampoline_kernelINS0_14default_configENS1_35radix_sort_onesweep_config_selectorIddEEZZNS1_29radix_sort_onesweep_iterationIS3_Lb0EN6thrust23THRUST_200600_302600_NS6detail15normal_iteratorINS8_10device_ptrIdEEEESD_SD_SD_jNS0_19identity_decomposerENS1_16block_id_wrapperIjLb1EEEEE10hipError_tT1_PNSt15iterator_traitsISI_E10value_typeET2_T3_PNSJ_ISO_E10value_typeET4_T5_PST_SU_PNS1_23onesweep_lookback_stateEbbT6_jjT7_P12ihipStream_tbENKUlT_T0_SI_SN_E_clISD_SD_SD_SD_EEDaS11_S12_SI_SN_EUlS11_E_NS1_11comp_targetILNS1_3genE0ELNS1_11target_archE4294967295ELNS1_3gpuE0ELNS1_3repE0EEENS1_47radix_sort_onesweep_sort_config_static_selectorELNS0_4arch9wavefront6targetE1EEEvSI_.numbered_sgpr, 0
	.set _ZN7rocprim17ROCPRIM_400000_NS6detail17trampoline_kernelINS0_14default_configENS1_35radix_sort_onesweep_config_selectorIddEEZZNS1_29radix_sort_onesweep_iterationIS3_Lb0EN6thrust23THRUST_200600_302600_NS6detail15normal_iteratorINS8_10device_ptrIdEEEESD_SD_SD_jNS0_19identity_decomposerENS1_16block_id_wrapperIjLb1EEEEE10hipError_tT1_PNSt15iterator_traitsISI_E10value_typeET2_T3_PNSJ_ISO_E10value_typeET4_T5_PST_SU_PNS1_23onesweep_lookback_stateEbbT6_jjT7_P12ihipStream_tbENKUlT_T0_SI_SN_E_clISD_SD_SD_SD_EEDaS11_S12_SI_SN_EUlS11_E_NS1_11comp_targetILNS1_3genE0ELNS1_11target_archE4294967295ELNS1_3gpuE0ELNS1_3repE0EEENS1_47radix_sort_onesweep_sort_config_static_selectorELNS0_4arch9wavefront6targetE1EEEvSI_.num_named_barrier, 0
	.set _ZN7rocprim17ROCPRIM_400000_NS6detail17trampoline_kernelINS0_14default_configENS1_35radix_sort_onesweep_config_selectorIddEEZZNS1_29radix_sort_onesweep_iterationIS3_Lb0EN6thrust23THRUST_200600_302600_NS6detail15normal_iteratorINS8_10device_ptrIdEEEESD_SD_SD_jNS0_19identity_decomposerENS1_16block_id_wrapperIjLb1EEEEE10hipError_tT1_PNSt15iterator_traitsISI_E10value_typeET2_T3_PNSJ_ISO_E10value_typeET4_T5_PST_SU_PNS1_23onesweep_lookback_stateEbbT6_jjT7_P12ihipStream_tbENKUlT_T0_SI_SN_E_clISD_SD_SD_SD_EEDaS11_S12_SI_SN_EUlS11_E_NS1_11comp_targetILNS1_3genE0ELNS1_11target_archE4294967295ELNS1_3gpuE0ELNS1_3repE0EEENS1_47radix_sort_onesweep_sort_config_static_selectorELNS0_4arch9wavefront6targetE1EEEvSI_.private_seg_size, 0
	.set _ZN7rocprim17ROCPRIM_400000_NS6detail17trampoline_kernelINS0_14default_configENS1_35radix_sort_onesweep_config_selectorIddEEZZNS1_29radix_sort_onesweep_iterationIS3_Lb0EN6thrust23THRUST_200600_302600_NS6detail15normal_iteratorINS8_10device_ptrIdEEEESD_SD_SD_jNS0_19identity_decomposerENS1_16block_id_wrapperIjLb1EEEEE10hipError_tT1_PNSt15iterator_traitsISI_E10value_typeET2_T3_PNSJ_ISO_E10value_typeET4_T5_PST_SU_PNS1_23onesweep_lookback_stateEbbT6_jjT7_P12ihipStream_tbENKUlT_T0_SI_SN_E_clISD_SD_SD_SD_EEDaS11_S12_SI_SN_EUlS11_E_NS1_11comp_targetILNS1_3genE0ELNS1_11target_archE4294967295ELNS1_3gpuE0ELNS1_3repE0EEENS1_47radix_sort_onesweep_sort_config_static_selectorELNS0_4arch9wavefront6targetE1EEEvSI_.uses_vcc, 0
	.set _ZN7rocprim17ROCPRIM_400000_NS6detail17trampoline_kernelINS0_14default_configENS1_35radix_sort_onesweep_config_selectorIddEEZZNS1_29radix_sort_onesweep_iterationIS3_Lb0EN6thrust23THRUST_200600_302600_NS6detail15normal_iteratorINS8_10device_ptrIdEEEESD_SD_SD_jNS0_19identity_decomposerENS1_16block_id_wrapperIjLb1EEEEE10hipError_tT1_PNSt15iterator_traitsISI_E10value_typeET2_T3_PNSJ_ISO_E10value_typeET4_T5_PST_SU_PNS1_23onesweep_lookback_stateEbbT6_jjT7_P12ihipStream_tbENKUlT_T0_SI_SN_E_clISD_SD_SD_SD_EEDaS11_S12_SI_SN_EUlS11_E_NS1_11comp_targetILNS1_3genE0ELNS1_11target_archE4294967295ELNS1_3gpuE0ELNS1_3repE0EEENS1_47radix_sort_onesweep_sort_config_static_selectorELNS0_4arch9wavefront6targetE1EEEvSI_.uses_flat_scratch, 0
	.set _ZN7rocprim17ROCPRIM_400000_NS6detail17trampoline_kernelINS0_14default_configENS1_35radix_sort_onesweep_config_selectorIddEEZZNS1_29radix_sort_onesweep_iterationIS3_Lb0EN6thrust23THRUST_200600_302600_NS6detail15normal_iteratorINS8_10device_ptrIdEEEESD_SD_SD_jNS0_19identity_decomposerENS1_16block_id_wrapperIjLb1EEEEE10hipError_tT1_PNSt15iterator_traitsISI_E10value_typeET2_T3_PNSJ_ISO_E10value_typeET4_T5_PST_SU_PNS1_23onesweep_lookback_stateEbbT6_jjT7_P12ihipStream_tbENKUlT_T0_SI_SN_E_clISD_SD_SD_SD_EEDaS11_S12_SI_SN_EUlS11_E_NS1_11comp_targetILNS1_3genE0ELNS1_11target_archE4294967295ELNS1_3gpuE0ELNS1_3repE0EEENS1_47radix_sort_onesweep_sort_config_static_selectorELNS0_4arch9wavefront6targetE1EEEvSI_.has_dyn_sized_stack, 0
	.set _ZN7rocprim17ROCPRIM_400000_NS6detail17trampoline_kernelINS0_14default_configENS1_35radix_sort_onesweep_config_selectorIddEEZZNS1_29radix_sort_onesweep_iterationIS3_Lb0EN6thrust23THRUST_200600_302600_NS6detail15normal_iteratorINS8_10device_ptrIdEEEESD_SD_SD_jNS0_19identity_decomposerENS1_16block_id_wrapperIjLb1EEEEE10hipError_tT1_PNSt15iterator_traitsISI_E10value_typeET2_T3_PNSJ_ISO_E10value_typeET4_T5_PST_SU_PNS1_23onesweep_lookback_stateEbbT6_jjT7_P12ihipStream_tbENKUlT_T0_SI_SN_E_clISD_SD_SD_SD_EEDaS11_S12_SI_SN_EUlS11_E_NS1_11comp_targetILNS1_3genE0ELNS1_11target_archE4294967295ELNS1_3gpuE0ELNS1_3repE0EEENS1_47radix_sort_onesweep_sort_config_static_selectorELNS0_4arch9wavefront6targetE1EEEvSI_.has_recursion, 0
	.set _ZN7rocprim17ROCPRIM_400000_NS6detail17trampoline_kernelINS0_14default_configENS1_35radix_sort_onesweep_config_selectorIddEEZZNS1_29radix_sort_onesweep_iterationIS3_Lb0EN6thrust23THRUST_200600_302600_NS6detail15normal_iteratorINS8_10device_ptrIdEEEESD_SD_SD_jNS0_19identity_decomposerENS1_16block_id_wrapperIjLb1EEEEE10hipError_tT1_PNSt15iterator_traitsISI_E10value_typeET2_T3_PNSJ_ISO_E10value_typeET4_T5_PST_SU_PNS1_23onesweep_lookback_stateEbbT6_jjT7_P12ihipStream_tbENKUlT_T0_SI_SN_E_clISD_SD_SD_SD_EEDaS11_S12_SI_SN_EUlS11_E_NS1_11comp_targetILNS1_3genE0ELNS1_11target_archE4294967295ELNS1_3gpuE0ELNS1_3repE0EEENS1_47radix_sort_onesweep_sort_config_static_selectorELNS0_4arch9wavefront6targetE1EEEvSI_.has_indirect_call, 0
	.section	.AMDGPU.csdata,"",@progbits
; Kernel info:
; codeLenInByte = 0
; TotalNumSgprs: 6
; NumVgprs: 0
; NumAgprs: 0
; TotalNumVgprs: 0
; ScratchSize: 0
; MemoryBound: 0
; FloatMode: 240
; IeeeMode: 1
; LDSByteSize: 0 bytes/workgroup (compile time only)
; SGPRBlocks: 0
; VGPRBlocks: 0
; NumSGPRsForWavesPerEU: 6
; NumVGPRsForWavesPerEU: 1
; AccumOffset: 4
; Occupancy: 8
; WaveLimiterHint : 0
; COMPUTE_PGM_RSRC2:SCRATCH_EN: 0
; COMPUTE_PGM_RSRC2:USER_SGPR: 2
; COMPUTE_PGM_RSRC2:TRAP_HANDLER: 0
; COMPUTE_PGM_RSRC2:TGID_X_EN: 1
; COMPUTE_PGM_RSRC2:TGID_Y_EN: 0
; COMPUTE_PGM_RSRC2:TGID_Z_EN: 0
; COMPUTE_PGM_RSRC2:TIDIG_COMP_CNT: 0
; COMPUTE_PGM_RSRC3_GFX90A:ACCUM_OFFSET: 0
; COMPUTE_PGM_RSRC3_GFX90A:TG_SPLIT: 0
	.section	.text._ZN7rocprim17ROCPRIM_400000_NS6detail17trampoline_kernelINS0_14default_configENS1_35radix_sort_onesweep_config_selectorIddEEZZNS1_29radix_sort_onesweep_iterationIS3_Lb0EN6thrust23THRUST_200600_302600_NS6detail15normal_iteratorINS8_10device_ptrIdEEEESD_SD_SD_jNS0_19identity_decomposerENS1_16block_id_wrapperIjLb1EEEEE10hipError_tT1_PNSt15iterator_traitsISI_E10value_typeET2_T3_PNSJ_ISO_E10value_typeET4_T5_PST_SU_PNS1_23onesweep_lookback_stateEbbT6_jjT7_P12ihipStream_tbENKUlT_T0_SI_SN_E_clISD_SD_SD_SD_EEDaS11_S12_SI_SN_EUlS11_E_NS1_11comp_targetILNS1_3genE6ELNS1_11target_archE950ELNS1_3gpuE13ELNS1_3repE0EEENS1_47radix_sort_onesweep_sort_config_static_selectorELNS0_4arch9wavefront6targetE1EEEvSI_,"axG",@progbits,_ZN7rocprim17ROCPRIM_400000_NS6detail17trampoline_kernelINS0_14default_configENS1_35radix_sort_onesweep_config_selectorIddEEZZNS1_29radix_sort_onesweep_iterationIS3_Lb0EN6thrust23THRUST_200600_302600_NS6detail15normal_iteratorINS8_10device_ptrIdEEEESD_SD_SD_jNS0_19identity_decomposerENS1_16block_id_wrapperIjLb1EEEEE10hipError_tT1_PNSt15iterator_traitsISI_E10value_typeET2_T3_PNSJ_ISO_E10value_typeET4_T5_PST_SU_PNS1_23onesweep_lookback_stateEbbT6_jjT7_P12ihipStream_tbENKUlT_T0_SI_SN_E_clISD_SD_SD_SD_EEDaS11_S12_SI_SN_EUlS11_E_NS1_11comp_targetILNS1_3genE6ELNS1_11target_archE950ELNS1_3gpuE13ELNS1_3repE0EEENS1_47radix_sort_onesweep_sort_config_static_selectorELNS0_4arch9wavefront6targetE1EEEvSI_,comdat
	.protected	_ZN7rocprim17ROCPRIM_400000_NS6detail17trampoline_kernelINS0_14default_configENS1_35radix_sort_onesweep_config_selectorIddEEZZNS1_29radix_sort_onesweep_iterationIS3_Lb0EN6thrust23THRUST_200600_302600_NS6detail15normal_iteratorINS8_10device_ptrIdEEEESD_SD_SD_jNS0_19identity_decomposerENS1_16block_id_wrapperIjLb1EEEEE10hipError_tT1_PNSt15iterator_traitsISI_E10value_typeET2_T3_PNSJ_ISO_E10value_typeET4_T5_PST_SU_PNS1_23onesweep_lookback_stateEbbT6_jjT7_P12ihipStream_tbENKUlT_T0_SI_SN_E_clISD_SD_SD_SD_EEDaS11_S12_SI_SN_EUlS11_E_NS1_11comp_targetILNS1_3genE6ELNS1_11target_archE950ELNS1_3gpuE13ELNS1_3repE0EEENS1_47radix_sort_onesweep_sort_config_static_selectorELNS0_4arch9wavefront6targetE1EEEvSI_ ; -- Begin function _ZN7rocprim17ROCPRIM_400000_NS6detail17trampoline_kernelINS0_14default_configENS1_35radix_sort_onesweep_config_selectorIddEEZZNS1_29radix_sort_onesweep_iterationIS3_Lb0EN6thrust23THRUST_200600_302600_NS6detail15normal_iteratorINS8_10device_ptrIdEEEESD_SD_SD_jNS0_19identity_decomposerENS1_16block_id_wrapperIjLb1EEEEE10hipError_tT1_PNSt15iterator_traitsISI_E10value_typeET2_T3_PNSJ_ISO_E10value_typeET4_T5_PST_SU_PNS1_23onesweep_lookback_stateEbbT6_jjT7_P12ihipStream_tbENKUlT_T0_SI_SN_E_clISD_SD_SD_SD_EEDaS11_S12_SI_SN_EUlS11_E_NS1_11comp_targetILNS1_3genE6ELNS1_11target_archE950ELNS1_3gpuE13ELNS1_3repE0EEENS1_47radix_sort_onesweep_sort_config_static_selectorELNS0_4arch9wavefront6targetE1EEEvSI_
	.globl	_ZN7rocprim17ROCPRIM_400000_NS6detail17trampoline_kernelINS0_14default_configENS1_35radix_sort_onesweep_config_selectorIddEEZZNS1_29radix_sort_onesweep_iterationIS3_Lb0EN6thrust23THRUST_200600_302600_NS6detail15normal_iteratorINS8_10device_ptrIdEEEESD_SD_SD_jNS0_19identity_decomposerENS1_16block_id_wrapperIjLb1EEEEE10hipError_tT1_PNSt15iterator_traitsISI_E10value_typeET2_T3_PNSJ_ISO_E10value_typeET4_T5_PST_SU_PNS1_23onesweep_lookback_stateEbbT6_jjT7_P12ihipStream_tbENKUlT_T0_SI_SN_E_clISD_SD_SD_SD_EEDaS11_S12_SI_SN_EUlS11_E_NS1_11comp_targetILNS1_3genE6ELNS1_11target_archE950ELNS1_3gpuE13ELNS1_3repE0EEENS1_47radix_sort_onesweep_sort_config_static_selectorELNS0_4arch9wavefront6targetE1EEEvSI_
	.p2align	8
	.type	_ZN7rocprim17ROCPRIM_400000_NS6detail17trampoline_kernelINS0_14default_configENS1_35radix_sort_onesweep_config_selectorIddEEZZNS1_29radix_sort_onesweep_iterationIS3_Lb0EN6thrust23THRUST_200600_302600_NS6detail15normal_iteratorINS8_10device_ptrIdEEEESD_SD_SD_jNS0_19identity_decomposerENS1_16block_id_wrapperIjLb1EEEEE10hipError_tT1_PNSt15iterator_traitsISI_E10value_typeET2_T3_PNSJ_ISO_E10value_typeET4_T5_PST_SU_PNS1_23onesweep_lookback_stateEbbT6_jjT7_P12ihipStream_tbENKUlT_T0_SI_SN_E_clISD_SD_SD_SD_EEDaS11_S12_SI_SN_EUlS11_E_NS1_11comp_targetILNS1_3genE6ELNS1_11target_archE950ELNS1_3gpuE13ELNS1_3repE0EEENS1_47radix_sort_onesweep_sort_config_static_selectorELNS0_4arch9wavefront6targetE1EEEvSI_,@function
_ZN7rocprim17ROCPRIM_400000_NS6detail17trampoline_kernelINS0_14default_configENS1_35radix_sort_onesweep_config_selectorIddEEZZNS1_29radix_sort_onesweep_iterationIS3_Lb0EN6thrust23THRUST_200600_302600_NS6detail15normal_iteratorINS8_10device_ptrIdEEEESD_SD_SD_jNS0_19identity_decomposerENS1_16block_id_wrapperIjLb1EEEEE10hipError_tT1_PNSt15iterator_traitsISI_E10value_typeET2_T3_PNSJ_ISO_E10value_typeET4_T5_PST_SU_PNS1_23onesweep_lookback_stateEbbT6_jjT7_P12ihipStream_tbENKUlT_T0_SI_SN_E_clISD_SD_SD_SD_EEDaS11_S12_SI_SN_EUlS11_E_NS1_11comp_targetILNS1_3genE6ELNS1_11target_archE950ELNS1_3gpuE13ELNS1_3repE0EEENS1_47radix_sort_onesweep_sort_config_static_selectorELNS0_4arch9wavefront6targetE1EEEvSI_: ; @_ZN7rocprim17ROCPRIM_400000_NS6detail17trampoline_kernelINS0_14default_configENS1_35radix_sort_onesweep_config_selectorIddEEZZNS1_29radix_sort_onesweep_iterationIS3_Lb0EN6thrust23THRUST_200600_302600_NS6detail15normal_iteratorINS8_10device_ptrIdEEEESD_SD_SD_jNS0_19identity_decomposerENS1_16block_id_wrapperIjLb1EEEEE10hipError_tT1_PNSt15iterator_traitsISI_E10value_typeET2_T3_PNSJ_ISO_E10value_typeET4_T5_PST_SU_PNS1_23onesweep_lookback_stateEbbT6_jjT7_P12ihipStream_tbENKUlT_T0_SI_SN_E_clISD_SD_SD_SD_EEDaS11_S12_SI_SN_EUlS11_E_NS1_11comp_targetILNS1_3genE6ELNS1_11target_archE950ELNS1_3gpuE13ELNS1_3repE0EEENS1_47radix_sort_onesweep_sort_config_static_selectorELNS0_4arch9wavefront6targetE1EEEvSI_
; %bb.0:
	s_load_dwordx4 s[48:51], s[2:3], 0x28
	s_load_dwordx2 s[38:39], s[2:3], 0x38
	s_load_dwordx4 s[52:55], s[2:3], 0x44
	v_and_b32_e32 v2, 0x3ff, v0
	v_cmp_eq_u32_e64 s[18:19], 0, v2
	s_and_saveexec_b64 s[6:7], s[18:19]
	s_cbranch_execz .LBB110_4
; %bb.1:
	s_mov_b64 s[10:11], exec
	v_mbcnt_lo_u32_b32 v1, s10, 0
	v_mbcnt_hi_u32_b32 v1, s11, v1
	v_cmp_eq_u32_e32 vcc, 0, v1
                                        ; implicit-def: $vgpr3
	s_and_saveexec_b64 s[8:9], vcc
	s_cbranch_execz .LBB110_3
; %bb.2:
	s_load_dwordx2 s[12:13], s[2:3], 0x50
	s_bcnt1_i32_b64 s5, s[10:11]
	v_mov_b32_e32 v3, 0
	v_mov_b32_e32 v4, s5
	s_waitcnt lgkmcnt(0)
	global_atomic_add v3, v3, v4, s[12:13] sc0
.LBB110_3:
	s_or_b64 exec, exec, s[8:9]
	s_waitcnt vmcnt(0)
	v_readfirstlane_b32 s5, v3
	v_mov_b32_e32 v3, 0
	s_nop 0
	v_add_u32_e32 v1, s5, v1
	ds_write_b32 v3, v1 offset:20544
.LBB110_4:
	s_or_b64 exec, exec, s[6:7]
	v_mov_b32_e32 v1, 0
	s_load_dwordx8 s[40:47], s[2:3], 0x0
	s_load_dword s5, s[2:3], 0x20
	s_waitcnt lgkmcnt(0)
	s_barrier
	ds_read_b32 v4, v1 offset:20544
	v_bfe_u32 v3, v0, 10, 10
	v_bfe_u32 v28, v0, 20, 10
	s_mov_b64 s[6:7], -1
	v_mbcnt_lo_u32_b32 v30, -1, 0
	s_waitcnt lgkmcnt(0)
	v_cmp_le_u32_e32 vcc, s54, v4
	v_readfirstlane_b32 s33, v4
	v_lshlrev_b32_e32 v29, 3, v2
	s_barrier
	s_cbranch_vccz .LBB110_120
; %bb.5:
	s_lshl_b32 s6, s54, 13
	s_sub_i32 s5, s5, s6
	s_lshl_b32 s6, s33, 13
	s_mov_b32 s7, 0
	s_lshl_b64 s[54:55], s[6:7], 3
	v_mbcnt_hi_u32_b32 v26, -1, v30
	s_add_u32 s6, s40, s54
	v_and_b32_e32 v8, 63, v26
	s_addc_u32 s7, s41, s55
	v_and_b32_e32 v9, 0x1e00, v29
	v_lshlrev_b32_e32 v0, 3, v8
	v_lshl_add_u64 v[6:7], s[6:7], 0, v[0:1]
	v_lshlrev_b32_e32 v4, 3, v9
	v_mov_b32_e32 v5, v1
	v_or_b32_e32 v1, v8, v9
	v_mov_b32_e32 v8, -1
	v_bfrev_b32_e32 v9, -2
	v_lshl_add_u64 v[22:23], v[6:7], 0, v[4:5]
	v_cmp_gt_u32_e32 vcc, s5, v1
	v_mov_b64_e32 v[6:7], v[8:9]
	s_and_saveexec_b64 s[6:7], vcc
	s_cbranch_execz .LBB110_7
; %bb.6:
	global_load_dwordx2 v[6:7], v[22:23], off
.LBB110_7:
	s_or_b64 exec, exec, s[6:7]
	v_or_b32_e32 v5, 64, v1
	v_cmp_gt_u32_e64 s[28:29], s5, v5
	s_and_saveexec_b64 s[6:7], s[28:29]
	s_cbranch_execz .LBB110_9
; %bb.8:
	global_load_dwordx2 v[8:9], v[22:23], off offset:512
.LBB110_9:
	s_or_b64 exec, exec, s[6:7]
	v_or_b32_e32 v5, 0x80, v1
	v_mov_b32_e32 v12, -1
	v_bfrev_b32_e32 v13, -2
	v_cmp_gt_u32_e64 s[6:7], s5, v5
	v_mov_b64_e32 v[10:11], v[12:13]
	s_and_saveexec_b64 s[8:9], s[6:7]
	s_cbranch_execz .LBB110_11
; %bb.10:
	global_load_dwordx2 v[10:11], v[22:23], off offset:1024
.LBB110_11:
	s_or_b64 exec, exec, s[8:9]
	v_or_b32_e32 v5, 0xc0, v1
	v_cmp_gt_u32_e64 s[8:9], s5, v5
	s_and_saveexec_b64 s[10:11], s[8:9]
	s_cbranch_execz .LBB110_13
; %bb.12:
	global_load_dwordx2 v[12:13], v[22:23], off offset:1536
.LBB110_13:
	s_or_b64 exec, exec, s[10:11]
	v_or_b32_e32 v5, 0x100, v1
	v_mov_b32_e32 v18, -1
	v_bfrev_b32_e32 v19, -2
	v_cmp_gt_u32_e64 s[10:11], s5, v5
	v_mov_b64_e32 v[16:17], v[18:19]
	s_and_saveexec_b64 s[12:13], s[10:11]
	s_cbranch_execz .LBB110_15
; %bb.14:
	global_load_dwordx2 v[16:17], v[22:23], off offset:2048
.LBB110_15:
	;; [unrolled: 19-line block ×3, first 2 shown]
	s_or_b64 exec, exec, s[16:17]
	v_or_b32_e32 v1, 0x1c0, v1
	s_mov_b32 s22, -1
	v_cmp_gt_u32_e64 s[16:17], s5, v1
	s_brev_b32 s23, -2
	s_and_saveexec_b64 s[20:21], s[16:17]
	s_cbranch_execz .LBB110_21
; %bb.20:
	global_load_dwordx2 v[14:15], v[22:23], off offset:3584
.LBB110_21:
	s_or_b64 exec, exec, s[20:21]
	s_load_dword s20, s[2:3], 0x64
	s_load_dword s56, s[2:3], 0x58
	s_add_u32 s21, s2, 0x58
	s_addc_u32 s24, s3, 0
	v_mov_b32_e32 v23, 0
	s_waitcnt lgkmcnt(0)
	s_lshr_b32 s25, s20, 16
	s_cmp_lt_u32 s4, s56
	s_cselect_b32 s20, 12, 18
	s_add_u32 s20, s21, s20
	s_addc_u32 s21, s24, 0
	global_load_ushort v5, v23, s[20:21]
	v_bfrev_b32_e32 v31, 1
	s_waitcnt vmcnt(1)
	v_cmp_lt_i64_e64 s[20:21], -1, v[6:7]
	v_ashrrev_i32_e32 v22, 31, v7
	v_xor_b32_e32 v6, v22, v6
	v_cndmask_b32_e64 v25, -1, v31, s[20:21]
	v_xor_b32_e32 v7, v25, v7
	v_cmp_ne_u64_e64 s[20:21], s[22:23], v[6:7]
	v_mov_b32_e32 v24, v23
	v_mov_b32_e32 v34, v23
	v_cndmask_b32_e64 v43, v31, v7, s[20:21]
	v_cndmask_b32_e64 v42, 0, v6, s[20:21]
	v_lshrrev_b64 v[42:43], s52, v[42:43]
	s_lshl_b32 s20, -1, s53
	v_bitop3_b32 v44, v42, s20, v42 bitop3:0x30
	v_and_b32_e32 v22, 1, v44
	v_lshlrev_b32_e32 v25, 30, v44
	s_not_b32 s57, s20
	v_lshlrev_b32_e32 v33, 29, v44
	v_lshlrev_b32_e32 v35, 28, v44
	v_lshl_add_u64 v[42:43], v[22:23], 0, -1
	v_cmp_ne_u32_e64 s[20:21], 0, v22
	v_not_b32_e32 v22, v25
	v_mov_b32_e32 v32, v23
	v_mov_b32_e32 v36, v23
	v_lshlrev_b32_e32 v37, 27, v44
	v_cmp_gt_i64_e64 s[22:23], 0, v[24:25]
	v_not_b32_e32 v24, v33
	v_cmp_gt_i64_e64 s[26:27], 0, v[34:35]
	v_xor_b32_e32 v34, s21, v43
	v_ashrrev_i32_e32 v22, 31, v22
	v_mad_u32_u24 v27, v28, s25, v3
	v_cmp_gt_i64_e64 s[24:25], 0, v[32:33]
	v_not_b32_e32 v25, v35
	v_cmp_gt_i64_e64 s[30:31], 0, v[36:37]
	v_xor_b32_e32 v35, s20, v42
	v_ashrrev_i32_e32 v24, 31, v24
	v_and_b32_e32 v34, exec_hi, v34
	v_xor_b32_e32 v36, s23, v22
	v_mov_b32_e32 v38, v23
	v_lshlrev_b32_e32 v39, 26, v44
	v_not_b32_e32 v32, v37
	v_ashrrev_i32_e32 v25, 31, v25
	v_and_b32_e32 v35, exec_lo, v35
	v_xor_b32_e32 v22, s22, v22
	v_xor_b32_e32 v37, s25, v24
	v_and_b32_e32 v34, v34, v36
	v_cmp_gt_i64_e64 s[34:35], 0, v[38:39]
	v_not_b32_e32 v33, v39
	v_ashrrev_i32_e32 v32, 31, v32
	v_xor_b32_e32 v24, s24, v24
	v_xor_b32_e32 v38, s27, v25
	v_and_b32_e32 v22, v35, v22
	v_and_b32_e32 v34, v34, v37
	v_mov_b32_e32 v40, v23
	v_lshlrev_b32_e32 v41, 25, v44
	v_ashrrev_i32_e32 v33, 31, v33
	v_xor_b32_e32 v25, s26, v25
	v_xor_b32_e32 v39, s31, v32
	v_and_b32_e32 v22, v22, v24
	v_and_b32_e32 v24, v34, v38
	v_cmp_gt_i64_e64 s[36:37], 0, v[40:41]
	v_xor_b32_e32 v32, s30, v32
	v_xor_b32_e32 v40, s35, v33
	v_and_b32_e32 v22, v22, v25
	v_and_b32_e32 v24, v24, v39
	;; [unrolled: 1-line block ×4, first 2 shown]
	v_xor_b32_e32 v33, s34, v33
	v_and_b32_e32 v22, v22, v33
	s_movk_i32 s58, 0x44
	v_mul_lo_u32 v45, v44, s58
	v_mul_u32_u24_e32 v1, 20, v2
	ds_write2_b32 v1, v23, v23 offset0:16 offset1:17
	ds_write2_b32 v1, v23, v23 offset0:18 offset1:19
	ds_write_b32 v1, v23 offset:80
	s_waitcnt lgkmcnt(0)
	s_barrier
	s_waitcnt vmcnt(0)
	; wave barrier
	v_mad_u64_u32 v[24:25], s[20:21], v27, v5, v[2:3]
	v_not_b32_e32 v5, v41
	v_ashrrev_i32_e32 v5, 31, v5
	v_lshrrev_b32_e32 v39, 6, v24
	v_xor_b32_e32 v24, s37, v5
	v_xor_b32_e32 v5, s36, v5
	v_lshlrev_b32_e32 v25, 24, v44
	v_and_b32_e32 v32, v32, v24
	v_and_b32_e32 v5, v22, v5
	v_mov_b32_e32 v24, v23
	v_not_b32_e32 v22, v25
	v_cmp_gt_i64_e64 s[20:21], 0, v[24:25]
	v_ashrrev_i32_e32 v22, 31, v22
	v_lshl_add_u32 v27, v39, 2, v45
	v_xor_b32_e32 v24, s21, v22
	v_xor_b32_e32 v22, s20, v22
	v_and_b32_e32 v25, v32, v24
	v_and_b32_e32 v24, v5, v22
	v_mbcnt_lo_u32_b32 v5, v24, 0
	v_mbcnt_hi_u32_b32 v5, v25, v5
	v_cmp_eq_u32_e64 s[20:21], 0, v5
	v_cmp_ne_u64_e64 s[22:23], 0, v[24:25]
	s_and_b64 s[22:23], s[22:23], s[20:21]
	s_and_saveexec_b64 s[20:21], s[22:23]
; %bb.22:
	v_bcnt_u32_b32 v22, v24, 0
	v_bcnt_u32_b32 v22, v25, v22
	ds_write_b32 v27, v22 offset:64
; %bb.23:
	s_or_b64 exec, exec, s[20:21]
	v_cmp_lt_i64_e64 s[20:21], -1, v[8:9]
	s_mov_b32 s24, -1
	v_ashrrev_i32_e32 v24, 31, v9
	v_cndmask_b32_e64 v22, -1, v31, s[20:21]
	s_brev_b32 s25, -2
	v_xor_b32_e32 v9, v22, v9
	v_xor_b32_e32 v8, v24, v8
	v_cmp_ne_u64_e64 s[20:21], s[24:25], v[8:9]
	; wave barrier
	s_nop 1
	v_cndmask_b32_e64 v25, v31, v9, s[20:21]
	v_cndmask_b32_e64 v24, 0, v8, s[20:21]
	v_lshrrev_b64 v[24:25], s52, v[24:25]
	v_and_b32_e32 v32, s57, v24
	v_mul_lo_u32 v22, v32, s58
	v_lshl_add_u32 v34, v39, 2, v22
	v_and_b32_e32 v22, 1, v32
	v_lshl_add_u64 v[24:25], v[22:23], 0, -1
	v_cmp_ne_u32_e64 s[20:21], 0, v22
	ds_read_b32 v31, v34 offset:64
	s_nop 0
	v_xor_b32_e32 v24, s20, v24
	v_xor_b32_e32 v22, s21, v25
	v_and_b32_e32 v33, exec_lo, v24
	v_lshlrev_b32_e32 v25, 30, v32
	v_mov_b32_e32 v24, v23
	v_cmp_gt_i64_e64 s[20:21], 0, v[24:25]
	v_not_b32_e32 v24, v25
	v_ashrrev_i32_e32 v24, 31, v24
	v_and_b32_e32 v22, exec_hi, v22
	v_xor_b32_e32 v25, s21, v24
	v_xor_b32_e32 v24, s20, v24
	v_and_b32_e32 v22, v22, v25
	v_and_b32_e32 v33, v33, v24
	v_lshlrev_b32_e32 v25, 29, v32
	v_mov_b32_e32 v24, v23
	v_cmp_gt_i64_e64 s[20:21], 0, v[24:25]
	v_not_b32_e32 v24, v25
	v_ashrrev_i32_e32 v24, 31, v24
	v_xor_b32_e32 v25, s21, v24
	v_xor_b32_e32 v24, s20, v24
	v_and_b32_e32 v22, v22, v25
	v_and_b32_e32 v33, v33, v24
	v_lshlrev_b32_e32 v25, 28, v32
	v_mov_b32_e32 v24, v23
	v_cmp_gt_i64_e64 s[20:21], 0, v[24:25]
	v_not_b32_e32 v24, v25
	v_ashrrev_i32_e32 v24, 31, v24
	;; [unrolled: 9-line block ×5, first 2 shown]
	v_xor_b32_e32 v25, s21, v24
	v_xor_b32_e32 v24, s20, v24
	v_and_b32_e32 v22, v22, v25
	v_lshlrev_b32_e32 v25, 24, v32
	v_and_b32_e32 v33, v33, v24
	v_mov_b32_e32 v24, v23
	v_not_b32_e32 v23, v25
	v_cmp_gt_i64_e64 s[20:21], 0, v[24:25]
	v_ashrrev_i32_e32 v23, 31, v23
	; wave barrier
	s_nop 0
	v_xor_b32_e32 v24, s21, v23
	v_xor_b32_e32 v25, s20, v23
	v_and_b32_e32 v23, v22, v24
	v_and_b32_e32 v22, v33, v25
	v_mbcnt_lo_u32_b32 v24, v22, 0
	v_mbcnt_hi_u32_b32 v32, v23, v24
	v_cmp_eq_u32_e64 s[20:21], 0, v32
	v_cmp_ne_u64_e64 s[22:23], 0, v[22:23]
	s_and_b64 s[22:23], s[22:23], s[20:21]
	s_and_saveexec_b64 s[20:21], s[22:23]
	s_cbranch_execz .LBB110_25
; %bb.24:
	v_bcnt_u32_b32 v22, v22, 0
	v_bcnt_u32_b32 v22, v23, v22
	s_waitcnt lgkmcnt(0)
	v_add_u32_e32 v22, v31, v22
	ds_write_b32 v34, v22 offset:64
.LBB110_25:
	s_or_b64 exec, exec, s[20:21]
	v_bfrev_b32_e32 v36, 1
	v_cmp_lt_i64_e64 s[20:21], -1, v[10:11]
	v_ashrrev_i32_e32 v23, 31, v11
	v_xor_b32_e32 v10, v23, v10
	v_cndmask_b32_e64 v22, -1, v36, s[20:21]
	v_xor_b32_e32 v11, v22, v11
	v_cmp_ne_u64_e64 s[20:21], s[24:25], v[10:11]
	s_movk_i32 s26, 0x44
	s_nop 0
	v_cndmask_b32_e64 v23, v36, v11, s[20:21]
	v_cndmask_b32_e64 v22, 0, v10, s[20:21]
	v_lshrrev_b64 v[22:23], s52, v[22:23]
	v_and_b32_e32 v35, s57, v22
	v_mul_lo_u32 v22, v35, s26
	v_lshl_add_u32 v37, v39, 2, v22
	v_and_b32_e32 v22, 1, v35
	v_mov_b32_e32 v23, 0
	v_lshl_add_u64 v[24:25], v[22:23], 0, -1
	v_cmp_ne_u32_e64 s[20:21], 0, v22
	; wave barrier
	ds_read_b32 v33, v37 offset:64
	s_nop 0
	v_xor_b32_e32 v24, s20, v24
	v_xor_b32_e32 v22, s21, v25
	v_and_b32_e32 v38, exec_lo, v24
	v_lshlrev_b32_e32 v25, 30, v35
	v_mov_b32_e32 v24, v23
	v_cmp_gt_i64_e64 s[20:21], 0, v[24:25]
	v_not_b32_e32 v24, v25
	v_ashrrev_i32_e32 v24, 31, v24
	v_and_b32_e32 v22, exec_hi, v22
	v_xor_b32_e32 v25, s21, v24
	v_xor_b32_e32 v24, s20, v24
	v_and_b32_e32 v22, v22, v25
	v_and_b32_e32 v38, v38, v24
	v_lshlrev_b32_e32 v25, 29, v35
	v_mov_b32_e32 v24, v23
	v_cmp_gt_i64_e64 s[20:21], 0, v[24:25]
	v_not_b32_e32 v24, v25
	v_ashrrev_i32_e32 v24, 31, v24
	v_xor_b32_e32 v25, s21, v24
	v_xor_b32_e32 v24, s20, v24
	v_and_b32_e32 v22, v22, v25
	v_and_b32_e32 v38, v38, v24
	v_lshlrev_b32_e32 v25, 28, v35
	v_mov_b32_e32 v24, v23
	v_cmp_gt_i64_e64 s[20:21], 0, v[24:25]
	v_not_b32_e32 v24, v25
	v_ashrrev_i32_e32 v24, 31, v24
	;; [unrolled: 9-line block ×6, first 2 shown]
	v_xor_b32_e32 v25, s21, v24
	v_xor_b32_e32 v24, s20, v24
	v_and_b32_e32 v24, v38, v24
	v_and_b32_e32 v25, v22, v25
	v_mbcnt_lo_u32_b32 v22, v24, 0
	v_mbcnt_hi_u32_b32 v35, v25, v22
	v_cmp_eq_u32_e64 s[20:21], 0, v35
	v_cmp_ne_u64_e64 s[22:23], 0, v[24:25]
	s_and_b64 s[22:23], s[22:23], s[20:21]
	; wave barrier
	s_and_saveexec_b64 s[20:21], s[22:23]
	s_cbranch_execz .LBB110_27
; %bb.26:
	v_bcnt_u32_b32 v22, v24, 0
	v_bcnt_u32_b32 v22, v25, v22
	s_waitcnt lgkmcnt(0)
	v_add_u32_e32 v22, v33, v22
	ds_write_b32 v37, v22 offset:64
.LBB110_27:
	s_or_b64 exec, exec, s[20:21]
	v_cmp_lt_i64_e64 s[20:21], -1, v[12:13]
	v_ashrrev_i32_e32 v24, 31, v13
	v_xor_b32_e32 v12, v24, v12
	v_cndmask_b32_e64 v22, -1, v36, s[20:21]
	v_xor_b32_e32 v13, v22, v13
	v_cmp_ne_u64_e64 s[20:21], s[24:25], v[12:13]
	; wave barrier
	s_nop 1
	v_cndmask_b32_e64 v25, v36, v13, s[20:21]
	v_cndmask_b32_e64 v24, 0, v12, s[20:21]
	v_lshrrev_b64 v[24:25], s52, v[24:25]
	v_and_b32_e32 v38, s57, v24
	v_mul_lo_u32 v22, v38, s26
	v_lshl_add_u32 v41, v39, 2, v22
	v_and_b32_e32 v22, 1, v38
	v_lshl_add_u64 v[24:25], v[22:23], 0, -1
	v_cmp_ne_u32_e64 s[20:21], 0, v22
	ds_read_b32 v36, v41 offset:64
	s_nop 0
	v_xor_b32_e32 v24, s20, v24
	v_xor_b32_e32 v22, s21, v25
	v_and_b32_e32 v40, exec_lo, v24
	v_lshlrev_b32_e32 v25, 30, v38
	v_mov_b32_e32 v24, v23
	v_cmp_gt_i64_e64 s[20:21], 0, v[24:25]
	v_not_b32_e32 v24, v25
	v_ashrrev_i32_e32 v24, 31, v24
	v_and_b32_e32 v22, exec_hi, v22
	v_xor_b32_e32 v25, s21, v24
	v_xor_b32_e32 v24, s20, v24
	v_and_b32_e32 v22, v22, v25
	v_and_b32_e32 v40, v40, v24
	v_lshlrev_b32_e32 v25, 29, v38
	v_mov_b32_e32 v24, v23
	v_cmp_gt_i64_e64 s[20:21], 0, v[24:25]
	v_not_b32_e32 v24, v25
	v_ashrrev_i32_e32 v24, 31, v24
	v_xor_b32_e32 v25, s21, v24
	v_xor_b32_e32 v24, s20, v24
	v_and_b32_e32 v22, v22, v25
	v_and_b32_e32 v40, v40, v24
	v_lshlrev_b32_e32 v25, 28, v38
	v_mov_b32_e32 v24, v23
	v_cmp_gt_i64_e64 s[20:21], 0, v[24:25]
	v_not_b32_e32 v24, v25
	v_ashrrev_i32_e32 v24, 31, v24
	;; [unrolled: 9-line block ×5, first 2 shown]
	v_xor_b32_e32 v25, s21, v24
	v_xor_b32_e32 v24, s20, v24
	v_and_b32_e32 v22, v22, v25
	v_lshlrev_b32_e32 v25, 24, v38
	v_and_b32_e32 v40, v40, v24
	v_mov_b32_e32 v24, v23
	v_not_b32_e32 v23, v25
	v_cmp_gt_i64_e64 s[20:21], 0, v[24:25]
	v_ashrrev_i32_e32 v23, 31, v23
	; wave barrier
	s_nop 0
	v_xor_b32_e32 v24, s21, v23
	v_xor_b32_e32 v25, s20, v23
	v_and_b32_e32 v23, v22, v24
	v_and_b32_e32 v22, v40, v25
	v_mbcnt_lo_u32_b32 v24, v22, 0
	v_mbcnt_hi_u32_b32 v38, v23, v24
	v_cmp_eq_u32_e64 s[20:21], 0, v38
	v_cmp_ne_u64_e64 s[22:23], 0, v[22:23]
	s_and_b64 s[22:23], s[22:23], s[20:21]
	s_and_saveexec_b64 s[20:21], s[22:23]
	s_cbranch_execz .LBB110_29
; %bb.28:
	v_bcnt_u32_b32 v22, v22, 0
	v_bcnt_u32_b32 v22, v23, v22
	s_waitcnt lgkmcnt(0)
	v_add_u32_e32 v22, v36, v22
	ds_write_b32 v41, v22 offset:64
.LBB110_29:
	s_or_b64 exec, exec, s[20:21]
	v_bfrev_b32_e32 v43, 1
	v_cmp_lt_i64_e64 s[20:21], -1, v[16:17]
	v_ashrrev_i32_e32 v23, 31, v17
	v_xor_b32_e32 v16, v23, v16
	v_cndmask_b32_e64 v22, -1, v43, s[20:21]
	v_xor_b32_e32 v17, v22, v17
	v_cmp_ne_u64_e64 s[20:21], s[24:25], v[16:17]
	; wave barrier
	s_nop 1
	v_cndmask_b32_e64 v23, v43, v17, s[20:21]
	v_cndmask_b32_e64 v22, 0, v16, s[20:21]
	v_lshrrev_b64 v[22:23], s52, v[22:23]
	v_and_b32_e32 v42, s57, v22
	v_mul_lo_u32 v22, v42, s26
	v_lshl_add_u32 v44, v39, 2, v22
	v_and_b32_e32 v22, 1, v42
	v_mov_b32_e32 v23, 0
	v_lshl_add_u64 v[24:25], v[22:23], 0, -1
	v_cmp_ne_u32_e64 s[20:21], 0, v22
	ds_read_b32 v40, v44 offset:64
	s_nop 0
	v_xor_b32_e32 v24, s20, v24
	v_xor_b32_e32 v22, s21, v25
	v_and_b32_e32 v45, exec_lo, v24
	v_lshlrev_b32_e32 v25, 30, v42
	v_mov_b32_e32 v24, v23
	v_cmp_gt_i64_e64 s[20:21], 0, v[24:25]
	v_not_b32_e32 v24, v25
	v_ashrrev_i32_e32 v24, 31, v24
	v_and_b32_e32 v22, exec_hi, v22
	v_xor_b32_e32 v25, s21, v24
	v_xor_b32_e32 v24, s20, v24
	v_and_b32_e32 v22, v22, v25
	v_and_b32_e32 v45, v45, v24
	v_lshlrev_b32_e32 v25, 29, v42
	v_mov_b32_e32 v24, v23
	v_cmp_gt_i64_e64 s[20:21], 0, v[24:25]
	v_not_b32_e32 v24, v25
	v_ashrrev_i32_e32 v24, 31, v24
	v_xor_b32_e32 v25, s21, v24
	v_xor_b32_e32 v24, s20, v24
	v_and_b32_e32 v22, v22, v25
	v_and_b32_e32 v45, v45, v24
	v_lshlrev_b32_e32 v25, 28, v42
	v_mov_b32_e32 v24, v23
	v_cmp_gt_i64_e64 s[20:21], 0, v[24:25]
	v_not_b32_e32 v24, v25
	v_ashrrev_i32_e32 v24, 31, v24
	;; [unrolled: 9-line block ×6, first 2 shown]
	v_xor_b32_e32 v25, s21, v24
	v_xor_b32_e32 v24, s20, v24
	v_and_b32_e32 v24, v45, v24
	v_and_b32_e32 v25, v22, v25
	v_mbcnt_lo_u32_b32 v22, v24, 0
	v_mbcnt_hi_u32_b32 v42, v25, v22
	v_cmp_eq_u32_e64 s[20:21], 0, v42
	v_cmp_ne_u64_e64 s[22:23], 0, v[24:25]
	s_and_b64 s[22:23], s[22:23], s[20:21]
	; wave barrier
	s_and_saveexec_b64 s[20:21], s[22:23]
	s_cbranch_execz .LBB110_31
; %bb.30:
	v_bcnt_u32_b32 v22, v24, 0
	v_bcnt_u32_b32 v22, v25, v22
	s_waitcnt lgkmcnt(0)
	v_add_u32_e32 v22, v40, v22
	ds_write_b32 v44, v22 offset:64
.LBB110_31:
	s_or_b64 exec, exec, s[20:21]
	v_cmp_lt_i64_e64 s[20:21], -1, v[18:19]
	v_ashrrev_i32_e32 v24, 31, v19
	v_xor_b32_e32 v18, v24, v18
	v_cndmask_b32_e64 v22, -1, v43, s[20:21]
	v_xor_b32_e32 v19, v22, v19
	v_cmp_ne_u64_e64 s[20:21], s[24:25], v[18:19]
	; wave barrier
	s_nop 1
	v_cndmask_b32_e64 v25, v43, v19, s[20:21]
	v_cndmask_b32_e64 v24, 0, v18, s[20:21]
	v_lshrrev_b64 v[24:25], s52, v[24:25]
	v_and_b32_e32 v45, s57, v24
	v_mul_lo_u32 v22, v45, s26
	v_lshl_add_u32 v47, v39, 2, v22
	v_and_b32_e32 v22, 1, v45
	v_lshl_add_u64 v[24:25], v[22:23], 0, -1
	v_cmp_ne_u32_e64 s[20:21], 0, v22
	ds_read_b32 v43, v47 offset:64
	s_nop 0
	v_xor_b32_e32 v24, s20, v24
	v_xor_b32_e32 v22, s21, v25
	v_and_b32_e32 v46, exec_lo, v24
	v_lshlrev_b32_e32 v25, 30, v45
	v_mov_b32_e32 v24, v23
	v_cmp_gt_i64_e64 s[20:21], 0, v[24:25]
	v_not_b32_e32 v24, v25
	v_ashrrev_i32_e32 v24, 31, v24
	v_and_b32_e32 v22, exec_hi, v22
	v_xor_b32_e32 v25, s21, v24
	v_xor_b32_e32 v24, s20, v24
	v_and_b32_e32 v22, v22, v25
	v_and_b32_e32 v46, v46, v24
	v_lshlrev_b32_e32 v25, 29, v45
	v_mov_b32_e32 v24, v23
	v_cmp_gt_i64_e64 s[20:21], 0, v[24:25]
	v_not_b32_e32 v24, v25
	v_ashrrev_i32_e32 v24, 31, v24
	v_xor_b32_e32 v25, s21, v24
	v_xor_b32_e32 v24, s20, v24
	v_and_b32_e32 v22, v22, v25
	v_and_b32_e32 v46, v46, v24
	v_lshlrev_b32_e32 v25, 28, v45
	v_mov_b32_e32 v24, v23
	v_cmp_gt_i64_e64 s[20:21], 0, v[24:25]
	v_not_b32_e32 v24, v25
	v_ashrrev_i32_e32 v24, 31, v24
	;; [unrolled: 9-line block ×5, first 2 shown]
	v_xor_b32_e32 v25, s21, v24
	v_xor_b32_e32 v24, s20, v24
	v_and_b32_e32 v22, v22, v25
	v_lshlrev_b32_e32 v25, 24, v45
	v_and_b32_e32 v46, v46, v24
	v_mov_b32_e32 v24, v23
	v_not_b32_e32 v23, v25
	v_cmp_gt_i64_e64 s[20:21], 0, v[24:25]
	v_ashrrev_i32_e32 v23, 31, v23
	; wave barrier
	s_nop 0
	v_xor_b32_e32 v24, s21, v23
	v_xor_b32_e32 v25, s20, v23
	v_and_b32_e32 v23, v22, v24
	v_and_b32_e32 v22, v46, v25
	v_mbcnt_lo_u32_b32 v24, v22, 0
	v_mbcnt_hi_u32_b32 v45, v23, v24
	v_cmp_eq_u32_e64 s[20:21], 0, v45
	v_cmp_ne_u64_e64 s[22:23], 0, v[22:23]
	s_and_b64 s[22:23], s[22:23], s[20:21]
	s_and_saveexec_b64 s[20:21], s[22:23]
	s_cbranch_execz .LBB110_33
; %bb.32:
	v_bcnt_u32_b32 v22, v22, 0
	v_bcnt_u32_b32 v22, v23, v22
	s_waitcnt lgkmcnt(0)
	v_add_u32_e32 v22, v43, v22
	ds_write_b32 v47, v22 offset:64
.LBB110_33:
	s_or_b64 exec, exec, s[20:21]
	v_bfrev_b32_e32 v49, 1
	v_cmp_lt_i64_e64 s[20:21], -1, v[20:21]
	v_ashrrev_i32_e32 v23, 31, v21
	v_xor_b32_e32 v20, v23, v20
	v_cndmask_b32_e64 v22, -1, v49, s[20:21]
	v_xor_b32_e32 v21, v22, v21
	v_cmp_ne_u64_e64 s[20:21], s[24:25], v[20:21]
	s_movk_i32 s24, 0x44
	s_nop 0
	v_cndmask_b32_e64 v23, v49, v21, s[20:21]
	v_cndmask_b32_e64 v22, 0, v20, s[20:21]
	v_lshrrev_b64 v[22:23], s52, v[22:23]
	v_and_b32_e32 v48, s57, v22
	v_mul_lo_u32 v22, v48, s24
	v_lshl_add_u32 v50, v39, 2, v22
	v_and_b32_e32 v22, 1, v48
	v_mov_b32_e32 v23, 0
	v_lshl_add_u64 v[24:25], v[22:23], 0, -1
	v_cmp_ne_u32_e64 s[20:21], 0, v22
	; wave barrier
	ds_read_b32 v46, v50 offset:64
	s_nop 0
	v_xor_b32_e32 v24, s20, v24
	v_xor_b32_e32 v22, s21, v25
	v_and_b32_e32 v51, exec_lo, v24
	v_lshlrev_b32_e32 v25, 30, v48
	v_mov_b32_e32 v24, v23
	v_cmp_gt_i64_e64 s[20:21], 0, v[24:25]
	v_not_b32_e32 v24, v25
	v_ashrrev_i32_e32 v24, 31, v24
	v_and_b32_e32 v22, exec_hi, v22
	v_xor_b32_e32 v25, s21, v24
	v_xor_b32_e32 v24, s20, v24
	v_and_b32_e32 v22, v22, v25
	v_and_b32_e32 v51, v51, v24
	v_lshlrev_b32_e32 v25, 29, v48
	v_mov_b32_e32 v24, v23
	v_cmp_gt_i64_e64 s[20:21], 0, v[24:25]
	v_not_b32_e32 v24, v25
	v_ashrrev_i32_e32 v24, 31, v24
	v_xor_b32_e32 v25, s21, v24
	v_xor_b32_e32 v24, s20, v24
	v_and_b32_e32 v22, v22, v25
	v_and_b32_e32 v51, v51, v24
	v_lshlrev_b32_e32 v25, 28, v48
	v_mov_b32_e32 v24, v23
	v_cmp_gt_i64_e64 s[20:21], 0, v[24:25]
	v_not_b32_e32 v24, v25
	v_ashrrev_i32_e32 v24, 31, v24
	;; [unrolled: 9-line block ×6, first 2 shown]
	v_xor_b32_e32 v25, s21, v24
	v_xor_b32_e32 v24, s20, v24
	v_and_b32_e32 v24, v51, v24
	v_and_b32_e32 v25, v22, v25
	v_mbcnt_lo_u32_b32 v22, v24, 0
	v_mbcnt_hi_u32_b32 v48, v25, v22
	v_cmp_eq_u32_e64 s[20:21], 0, v48
	v_cmp_ne_u64_e64 s[22:23], 0, v[24:25]
	s_and_b64 s[22:23], s[22:23], s[20:21]
	; wave barrier
	s_and_saveexec_b64 s[20:21], s[22:23]
	s_cbranch_execz .LBB110_35
; %bb.34:
	v_bcnt_u32_b32 v22, v24, 0
	v_bcnt_u32_b32 v22, v25, v22
	s_waitcnt lgkmcnt(0)
	v_add_u32_e32 v22, v46, v22
	ds_write_b32 v50, v22 offset:64
.LBB110_35:
	s_or_b64 exec, exec, s[20:21]
	v_cmp_lt_i64_e64 s[20:21], -1, v[14:15]
	s_mov_b32 s22, -1
	v_ashrrev_i32_e32 v24, 31, v15
	v_cndmask_b32_e64 v22, -1, v49, s[20:21]
	s_brev_b32 s23, -2
	v_xor_b32_e32 v15, v22, v15
	v_xor_b32_e32 v14, v24, v14
	v_cmp_ne_u64_e64 s[20:21], s[22:23], v[14:15]
	; wave barrier
	s_nop 1
	v_cndmask_b32_e64 v25, v49, v15, s[20:21]
	v_cndmask_b32_e64 v24, 0, v14, s[20:21]
	v_lshrrev_b64 v[24:25], s52, v[24:25]
	v_and_b32_e32 v51, s57, v24
	v_mul_lo_u32 v22, v51, s24
	v_lshl_add_u32 v39, v39, 2, v22
	v_and_b32_e32 v22, 1, v51
	v_lshl_add_u64 v[24:25], v[22:23], 0, -1
	v_cmp_ne_u32_e64 s[20:21], 0, v22
	ds_read_b32 v49, v39 offset:64
	s_nop 0
	v_xor_b32_e32 v24, s20, v24
	v_xor_b32_e32 v22, s21, v25
	v_and_b32_e32 v52, exec_lo, v24
	v_lshlrev_b32_e32 v25, 30, v51
	v_mov_b32_e32 v24, v23
	v_cmp_gt_i64_e64 s[20:21], 0, v[24:25]
	v_not_b32_e32 v24, v25
	v_ashrrev_i32_e32 v24, 31, v24
	v_and_b32_e32 v22, exec_hi, v22
	v_xor_b32_e32 v25, s21, v24
	v_xor_b32_e32 v24, s20, v24
	v_and_b32_e32 v22, v22, v25
	v_and_b32_e32 v52, v52, v24
	v_lshlrev_b32_e32 v25, 29, v51
	v_mov_b32_e32 v24, v23
	v_cmp_gt_i64_e64 s[20:21], 0, v[24:25]
	v_not_b32_e32 v24, v25
	v_ashrrev_i32_e32 v24, 31, v24
	v_xor_b32_e32 v25, s21, v24
	v_xor_b32_e32 v24, s20, v24
	v_and_b32_e32 v22, v22, v25
	v_and_b32_e32 v52, v52, v24
	v_lshlrev_b32_e32 v25, 28, v51
	v_mov_b32_e32 v24, v23
	v_cmp_gt_i64_e64 s[20:21], 0, v[24:25]
	v_not_b32_e32 v24, v25
	v_ashrrev_i32_e32 v24, 31, v24
	;; [unrolled: 9-line block ×5, first 2 shown]
	v_xor_b32_e32 v25, s21, v24
	v_xor_b32_e32 v24, s20, v24
	v_and_b32_e32 v22, v22, v25
	v_lshlrev_b32_e32 v25, 24, v51
	v_and_b32_e32 v52, v52, v24
	v_mov_b32_e32 v24, v23
	v_not_b32_e32 v23, v25
	v_cmp_gt_i64_e64 s[20:21], 0, v[24:25]
	v_ashrrev_i32_e32 v23, 31, v23
	; wave barrier
	s_nop 0
	v_xor_b32_e32 v24, s21, v23
	v_xor_b32_e32 v25, s20, v23
	v_and_b32_e32 v23, v22, v24
	v_and_b32_e32 v22, v52, v25
	v_mbcnt_lo_u32_b32 v24, v22, 0
	v_mbcnt_hi_u32_b32 v51, v23, v24
	v_cmp_eq_u32_e64 s[20:21], 0, v51
	v_cmp_ne_u64_e64 s[22:23], 0, v[22:23]
	s_and_b64 s[22:23], s[22:23], s[20:21]
	s_and_saveexec_b64 s[20:21], s[22:23]
	s_cbranch_execz .LBB110_37
; %bb.36:
	v_bcnt_u32_b32 v22, v22, 0
	v_bcnt_u32_b32 v22, v23, v22
	s_waitcnt lgkmcnt(0)
	v_add_u32_e32 v22, v49, v22
	ds_write_b32 v39, v22 offset:64
.LBB110_37:
	s_or_b64 exec, exec, s[20:21]
	; wave barrier
	s_waitcnt lgkmcnt(0)
	s_barrier
	ds_read2_b32 v[24:25], v1 offset0:16 offset1:17
	ds_read2_b32 v[22:23], v1 offset0:18 offset1:19
	ds_read_b32 v52, v1 offset:80
	v_cmp_lt_u32_e64 s[30:31], 31, v26
	s_waitcnt lgkmcnt(1)
	v_add3_u32 v53, v25, v24, v22
	s_waitcnt lgkmcnt(0)
	v_add3_u32 v52, v53, v23, v52
	v_and_b32_e32 v53, 15, v26
	v_cmp_eq_u32_e64 s[20:21], 0, v53
	v_mov_b32_dpp v54, v52 row_shr:1 row_mask:0xf bank_mask:0xf
	v_cmp_lt_u32_e64 s[22:23], 1, v53
	v_cndmask_b32_e64 v54, v54, 0, s[20:21]
	v_add_u32_e32 v52, v54, v52
	v_cmp_lt_u32_e64 s[24:25], 3, v53
	v_cmp_lt_u32_e64 s[26:27], 7, v53
	v_mov_b32_dpp v54, v52 row_shr:2 row_mask:0xf bank_mask:0xf
	v_cndmask_b32_e64 v54, 0, v54, s[22:23]
	v_add_u32_e32 v52, v52, v54
	s_nop 1
	v_mov_b32_dpp v54, v52 row_shr:4 row_mask:0xf bank_mask:0xf
	v_cndmask_b32_e64 v54, 0, v54, s[24:25]
	v_add_u32_e32 v52, v52, v54
	s_nop 1
	v_mov_b32_dpp v54, v52 row_shr:8 row_mask:0xf bank_mask:0xf
	v_cndmask_b32_e64 v53, 0, v54, s[26:27]
	v_add_u32_e32 v52, v52, v53
	v_bfe_i32 v54, v26, 4, 1
	s_nop 0
	v_mov_b32_dpp v53, v52 row_bcast:15 row_mask:0xf bank_mask:0xf
	v_and_b32_e32 v53, v54, v53
	v_add_u32_e32 v52, v52, v53
	v_and_b32_e32 v54, 63, v2
	s_nop 0
	v_mov_b32_dpp v53, v52 row_bcast:31 row_mask:0xf bank_mask:0xf
	v_cndmask_b32_e64 v53, 0, v53, s[30:31]
	v_add_u32_e32 v52, v52, v53
	v_lshrrev_b32_e32 v53, 6, v2
	v_cmp_eq_u32_e64 s[30:31], 63, v54
	s_and_saveexec_b64 s[34:35], s[30:31]
; %bb.38:
	v_lshlrev_b32_e32 v54, 2, v53
	ds_write_b32 v54, v52
; %bb.39:
	s_or_b64 exec, exec, s[34:35]
	v_cmp_gt_u32_e64 s[30:31], 16, v2
	s_waitcnt lgkmcnt(0)
	s_barrier
	s_and_saveexec_b64 s[34:35], s[30:31]
	s_cbranch_execz .LBB110_41
; %bb.40:
	v_lshlrev_b32_e32 v54, 2, v2
	ds_read_b32 v55, v54
	s_waitcnt lgkmcnt(0)
	s_nop 0
	v_mov_b32_dpp v56, v55 row_shr:1 row_mask:0xf bank_mask:0xf
	v_cndmask_b32_e64 v56, v56, 0, s[20:21]
	v_add_u32_e32 v55, v56, v55
	s_nop 1
	v_mov_b32_dpp v56, v55 row_shr:2 row_mask:0xf bank_mask:0xf
	v_cndmask_b32_e64 v56, 0, v56, s[22:23]
	v_add_u32_e32 v55, v55, v56
	;; [unrolled: 4-line block ×4, first 2 shown]
	ds_write_b32 v54, v55
.LBB110_41:
	s_or_b64 exec, exec, s[34:35]
	v_cmp_lt_u32_e64 s[20:21], 63, v2
	v_mov_b32_e32 v54, 0
	s_waitcnt lgkmcnt(0)
	s_barrier
	s_and_saveexec_b64 s[22:23], s[20:21]
; %bb.42:
	v_lshl_add_u32 v53, v53, 2, -4
	ds_read_b32 v54, v53
; %bb.43:
	s_or_b64 exec, exec, s[22:23]
	v_subrev_co_u32_e64 v53, s[20:21], 1, v26
	v_and_b32_e32 v55, 64, v26
	v_cmp_lt_i32_e64 s[22:23], v53, v55
	s_waitcnt lgkmcnt(0)
	v_add_u32_e32 v52, v54, v52
	s_movk_i32 s24, 0x100
	v_cndmask_b32_e64 v26, v53, v26, s[22:23]
	v_lshlrev_b32_e32 v26, 2, v26
	ds_bpermute_b32 v26, v26, v52
	v_cmp_gt_u32_e64 s[22:23], s24, v2
	s_waitcnt lgkmcnt(0)
	v_cndmask_b32_e64 v26, v26, v54, s[20:21]
	v_cndmask_b32_e64 v26, v26, 0, s[18:19]
	v_add_u32_e32 v24, v26, v24
	v_add_u32_e32 v25, v24, v25
	;; [unrolled: 1-line block ×4, first 2 shown]
	ds_write2_b32 v1, v26, v24 offset0:16 offset1:17
	ds_write2_b32 v1, v25, v22 offset0:18 offset1:19
	ds_write_b32 v1, v23 offset:80
	s_waitcnt lgkmcnt(0)
	s_barrier
	ds_read_b32 v55, v27 offset:64
	ds_read_b32 v1, v34 offset:64
	;; [unrolled: 1-line block ×8, first 2 shown]
	s_movk_i32 s20, 0xff
	v_cmp_lt_u32_e64 s[20:21], s20, v2
                                        ; implicit-def: $vgpr34
                                        ; implicit-def: $vgpr37
	s_and_saveexec_b64 s[26:27], s[22:23]
	s_cbranch_execz .LBB110_47
; %bb.44:
	v_mul_u32_u24_e32 v22, 0x44, v2
	ds_read_b32 v34, v22 offset:64
	v_add_u32_e32 v23, 1, v2
	v_cmp_ne_u32_e64 s[24:25], s24, v23
	v_mov_b32_e32 v22, 0x2000
	s_and_saveexec_b64 s[30:31], s[24:25]
; %bb.45:
	v_mul_u32_u24_e32 v22, 0x44, v23
	ds_read_b32 v22, v22 offset:64
; %bb.46:
	s_or_b64 exec, exec, s[30:31]
	s_waitcnt lgkmcnt(0)
	v_sub_u32_e32 v37, v22, v34
.LBB110_47:
	s_or_b64 exec, exec, s[26:27]
	v_mov_b32_e32 v23, 0
	v_lshlrev_b32_e32 v39, 2, v2
	s_waitcnt lgkmcnt(0)
	s_barrier
	s_and_saveexec_b64 s[24:25], s[22:23]
	s_cbranch_execz .LBB110_57
; %bb.48:
	v_lshl_add_u32 v22, s33, 8, v2
	v_lshl_add_u64 v[24:25], v[22:23], 2, s[38:39]
	v_or_b32_e32 v22, 2.0, v37
	s_mov_b64 s[26:27], 0
	s_brev_b32 s36, -4
	s_mov_b32 s37, s33
	v_mov_b32_e32 v50, 0
	global_store_dword v[24:25], v22, off sc1
                                        ; implicit-def: $sgpr22_sgpr23
	s_branch .LBB110_51
.LBB110_49:                             ;   in Loop: Header=BB110_51 Depth=1
	s_or_b64 exec, exec, s[34:35]
.LBB110_50:                             ;   in Loop: Header=BB110_51 Depth=1
	s_or_b64 exec, exec, s[30:31]
	v_and_b32_e32 v26, 0x3fffffff, v22
	v_add_u32_e32 v50, v26, v50
	v_cmp_gt_i32_e64 s[22:23], -2.0, v22
	s_and_b64 s[30:31], exec, s[22:23]
	s_or_b64 s[26:27], s[30:31], s[26:27]
	s_andn2_b64 exec, exec, s[26:27]
	s_cbranch_execz .LBB110_56
.LBB110_51:                             ; =>This Loop Header: Depth=1
                                        ;     Child Loop BB110_54 Depth 2
	s_or_b64 s[22:23], s[22:23], exec
	s_cmp_eq_u32 s37, 0
	s_cbranch_scc1 .LBB110_55
; %bb.52:                               ;   in Loop: Header=BB110_51 Depth=1
	s_add_i32 s37, s37, -1
	v_lshl_or_b32 v22, s37, 8, v2
	v_lshl_add_u64 v[26:27], v[22:23], 2, s[38:39]
	global_load_dword v22, v[26:27], off sc1
	s_waitcnt vmcnt(0)
	v_cmp_gt_u32_e64 s[22:23], 2.0, v22
	s_and_saveexec_b64 s[30:31], s[22:23]
	s_cbranch_execz .LBB110_50
; %bb.53:                               ;   in Loop: Header=BB110_51 Depth=1
	s_mov_b64 s[34:35], 0
.LBB110_54:                             ;   Parent Loop BB110_51 Depth=1
                                        ; =>  This Inner Loop Header: Depth=2
	global_load_dword v22, v[26:27], off sc1
	s_waitcnt vmcnt(0)
	v_cmp_lt_u32_e64 s[22:23], s36, v22
	s_or_b64 s[34:35], s[22:23], s[34:35]
	s_andn2_b64 exec, exec, s[34:35]
	s_cbranch_execnz .LBB110_54
	s_branch .LBB110_49
.LBB110_55:                             ;   in Loop: Header=BB110_51 Depth=1
                                        ; implicit-def: $sgpr37
	s_and_b64 s[30:31], exec, s[22:23]
	s_or_b64 s[26:27], s[30:31], s[26:27]
	s_andn2_b64 exec, exec, s[26:27]
	s_cbranch_execnz .LBB110_51
.LBB110_56:
	s_or_b64 exec, exec, s[26:27]
	v_add_u32_e32 v22, v50, v37
	v_or_b32_e32 v22, 0x80000000, v22
	global_store_dword v[24:25], v22, off sc1
	global_load_dword v22, v39, s[48:49]
	v_sub_u32_e32 v23, v50, v34
	s_waitcnt vmcnt(0)
	v_add_u32_e32 v22, v23, v22
	ds_write_b32 v39, v22
.LBB110_57:
	s_or_b64 exec, exec, s[24:25]
	s_load_dwordx2 s[22:23], s[0:1], 0x4
	v_add_u32_e32 v24, v55, v5
	v_add3_u32 v5, v32, v31, v1
	v_add3_u32 v22, v35, v33, v52
	;; [unrolled: 1-line block ×3, first 2 shown]
	s_waitcnt lgkmcnt(0)
	s_lshr_b32 s0, s22, 16
	s_mul_i32 s0, s0, s23
	v_mul_lo_u32 v25, s0, v2
	v_mul_u32_u24_e32 v27, s23, v3
	v_add3_u32 v25, v25, v27, v28
	v_mov_b32_e32 v27, 0x5050
	v_add3_u32 v50, v42, v40, v54
	v_add3_u32 v55, v45, v43, v47
	v_add3_u32 v56, v48, v46, v44
	v_add3_u32 v26, v51, v49, v41
	v_lshl_add_u32 v25, v25, 5, v27
	v_mov_b32_e32 v57, 0x400
	s_mov_b32 s24, -1
	s_movk_i32 s30, 0x400
	v_lshl_add_u32 v26, v26, 3, v57
	v_add3_u32 v27, v51, v41, v49
	v_lshl_add_u32 v41, v56, 3, v57
	v_add3_u32 v44, v48, v44, v46
	;; [unrolled: 2-line block ×7, first 2 shown]
	v_lshl_add_u32 v32, v24, 3, v57
	s_mov_b32 s31, 0
	s_movk_i32 s34, 0x800
	v_add_u32_e32 v47, v39, v39
	s_brev_b32 s25, -2
	v_mov_b32_e32 v23, 0
	v_bfrev_b32_e32 v1, 1
	v_mov_b32_e32 v5, v2
	v_mov_b32_e32 v48, v25
	s_mov_b32 s35, 0
	s_branch .LBB110_59
.LBB110_58:                             ;   in Loop: Header=BB110_59 Depth=1
	s_or_b64 exec, exec, s[26:27]
	s_addk_i32 s35, 0xc000
	s_addk_i32 s31, 0xf800
	v_add_u32_e32 v48, 8, v48
	s_cmp_eq_u32 s35, 0xffff0000
	v_add_u32_e32 v5, 0x800, v5
	s_waitcnt lgkmcnt(0)
	s_barrier
	s_cbranch_scc1 .LBB110_79
.LBB110_59:                             ; =>This Inner Loop Header: Depth=1
	v_add_u32_e32 v22, s31, v24
	v_cmp_gt_u32_e64 s[0:1], s34, v22
	s_and_saveexec_b64 s[22:23], s[0:1]
; %bb.60:                               ;   in Loop: Header=BB110_59 Depth=1
	v_add_u32_e32 v22, s35, v32
	ds_write_b64 v22, v[6:7]
; %bb.61:                               ;   in Loop: Header=BB110_59 Depth=1
	s_or_b64 exec, exec, s[22:23]
	v_add_u32_e32 v22, s31, v31
	v_cmp_gt_u32_e64 s[0:1], s34, v22
	s_and_saveexec_b64 s[22:23], s[0:1]
; %bb.62:                               ;   in Loop: Header=BB110_59 Depth=1
	v_add_u32_e32 v22, s35, v35
	ds_write_b64 v22, v[8:9]
; %bb.63:                               ;   in Loop: Header=BB110_59 Depth=1
	s_or_b64 exec, exec, s[22:23]
	;; [unrolled: 8-line block ×8, first 2 shown]
	v_cmp_gt_u32_e64 s[0:1], s5, v5
	s_waitcnt lgkmcnt(0)
	s_barrier
	s_and_saveexec_b64 s[26:27], s[0:1]
	s_cbranch_execz .LBB110_77
; %bb.76:                               ;   in Loop: Header=BB110_59 Depth=1
	ds_read_b64 v[50:51], v47 offset:1024
	s_waitcnt lgkmcnt(0)
	v_cmp_ne_u64_e64 s[0:1], s[24:25], v[50:51]
	s_nop 1
	v_cndmask_b32_e64 v53, v1, v51, s[0:1]
	v_cndmask_b32_e64 v52, 0, v50, s[0:1]
	v_lshrrev_b64 v[52:53], s52, v[52:53]
	v_and_b32_e32 v49, s57, v52
	v_lshlrev_b32_e32 v52, 2, v49
	ds_read_b32 v52, v52
	v_cmp_lt_i64_e64 s[22:23], -1, v[50:51]
	v_ashrrev_i32_e32 v53, 31, v51
	v_not_b32_e32 v53, v53
	v_cndmask_b32_e64 v22, v1, -1, s[22:23]
	v_xor_b32_e32 v51, v22, v51
	s_waitcnt lgkmcnt(0)
	v_add_u32_e32 v22, v5, v52
	v_xor_b32_e32 v50, v53, v50
	v_lshl_add_u64 v[52:53], v[22:23], 3, s[42:43]
	global_store_dwordx2 v[52:53], v[50:51], off
	ds_write_b32 v48, v49
.LBB110_77:                             ;   in Loop: Header=BB110_59 Depth=1
	s_or_b64 exec, exec, s[26:27]
	v_add_u32_e32 v22, 0x400, v5
	v_cmp_gt_u32_e64 s[0:1], s5, v22
	s_and_saveexec_b64 s[26:27], s[0:1]
	s_cbranch_execz .LBB110_58
; %bb.78:                               ;   in Loop: Header=BB110_59 Depth=1
	ds_read_b64 v[50:51], v47 offset:9216
	s_waitcnt lgkmcnt(0)
	v_cmp_ne_u64_e64 s[0:1], s[24:25], v[50:51]
	s_nop 1
	v_cndmask_b32_e64 v53, v1, v51, s[0:1]
	v_cndmask_b32_e64 v52, 0, v50, s[0:1]
	v_lshrrev_b64 v[52:53], s52, v[52:53]
	v_and_b32_e32 v49, s57, v52
	v_lshlrev_b32_e32 v52, 2, v49
	ds_read_b32 v52, v52
	v_cmp_lt_i64_e64 s[22:23], -1, v[50:51]
	v_ashrrev_i32_e32 v53, 31, v51
	v_not_b32_e32 v53, v53
	v_cndmask_b32_e64 v22, v1, -1, s[22:23]
	v_xor_b32_e32 v51, v22, v51
	s_waitcnt lgkmcnt(0)
	v_add3_u32 v22, v5, v52, s30
	v_xor_b32_e32 v50, v53, v50
	v_lshl_add_u64 v[52:53], v[22:23], 3, s[42:43]
	global_store_dwordx2 v[52:53], v[50:51], off
	ds_write_b32 v48, v49 offset:4
	s_branch .LBB110_58
.LBB110_79:
	s_add_u32 s0, s44, s54
	s_addc_u32 s1, s45, s55
	v_mov_b32_e32 v1, 0
	v_lshl_add_u64 v[6:7], s[0:1], 0, v[0:1]
	v_mov_b32_e32 v5, v1
	v_lshl_add_u64 v[18:19], v[6:7], 0, v[4:5]
                                        ; implicit-def: $vgpr0_vgpr1
	s_and_saveexec_b64 s[0:1], vcc
	s_cbranch_execz .LBB110_87
; %bb.80:
	global_load_dwordx2 v[0:1], v[18:19], off
	s_or_b64 exec, exec, s[0:1]
                                        ; implicit-def: $vgpr4_vgpr5
	s_and_saveexec_b64 s[0:1], s[28:29]
	s_cbranch_execnz .LBB110_88
.LBB110_81:
	s_or_b64 exec, exec, s[0:1]
                                        ; implicit-def: $vgpr6_vgpr7
	s_and_saveexec_b64 s[0:1], s[6:7]
	s_cbranch_execz .LBB110_89
.LBB110_82:
	global_load_dwordx2 v[6:7], v[18:19], off offset:1024
	s_or_b64 exec, exec, s[0:1]
                                        ; implicit-def: $vgpr8_vgpr9
	s_and_saveexec_b64 s[0:1], s[8:9]
	s_cbranch_execnz .LBB110_90
.LBB110_83:
	s_or_b64 exec, exec, s[0:1]
                                        ; implicit-def: $vgpr10_vgpr11
	s_and_saveexec_b64 s[0:1], s[10:11]
	s_cbranch_execz .LBB110_91
.LBB110_84:
	global_load_dwordx2 v[10:11], v[18:19], off offset:2048
	s_or_b64 exec, exec, s[0:1]
                                        ; implicit-def: $vgpr12_vgpr13
	s_and_saveexec_b64 s[0:1], s[12:13]
	s_cbranch_execnz .LBB110_92
.LBB110_85:
	s_or_b64 exec, exec, s[0:1]
                                        ; implicit-def: $vgpr14_vgpr15
	s_and_saveexec_b64 s[0:1], s[14:15]
	s_cbranch_execz .LBB110_93
.LBB110_86:
	global_load_dwordx2 v[14:15], v[18:19], off offset:3072
	s_or_b64 exec, exec, s[0:1]
                                        ; implicit-def: $vgpr16_vgpr17
	s_and_saveexec_b64 s[0:1], s[16:17]
	s_cbranch_execnz .LBB110_94
	s_branch .LBB110_95
.LBB110_87:
	s_or_b64 exec, exec, s[0:1]
                                        ; implicit-def: $vgpr4_vgpr5
	s_and_saveexec_b64 s[0:1], s[28:29]
	s_cbranch_execz .LBB110_81
.LBB110_88:
	global_load_dwordx2 v[4:5], v[18:19], off offset:512
	s_or_b64 exec, exec, s[0:1]
                                        ; implicit-def: $vgpr6_vgpr7
	s_and_saveexec_b64 s[0:1], s[6:7]
	s_cbranch_execnz .LBB110_82
.LBB110_89:
	s_or_b64 exec, exec, s[0:1]
                                        ; implicit-def: $vgpr8_vgpr9
	s_and_saveexec_b64 s[0:1], s[8:9]
	s_cbranch_execz .LBB110_83
.LBB110_90:
	global_load_dwordx2 v[8:9], v[18:19], off offset:1536
	s_or_b64 exec, exec, s[0:1]
                                        ; implicit-def: $vgpr10_vgpr11
	s_and_saveexec_b64 s[0:1], s[10:11]
	s_cbranch_execnz .LBB110_84
.LBB110_91:
	s_or_b64 exec, exec, s[0:1]
                                        ; implicit-def: $vgpr12_vgpr13
	s_and_saveexec_b64 s[0:1], s[12:13]
	s_cbranch_execz .LBB110_85
.LBB110_92:
	global_load_dwordx2 v[12:13], v[18:19], off offset:2560
	s_or_b64 exec, exec, s[0:1]
                                        ; implicit-def: $vgpr14_vgpr15
	s_and_saveexec_b64 s[0:1], s[14:15]
	s_cbranch_execnz .LBB110_86
.LBB110_93:
	s_or_b64 exec, exec, s[0:1]
                                        ; implicit-def: $vgpr16_vgpr17
	s_and_saveexec_b64 s[0:1], s[16:17]
	s_cbranch_execz .LBB110_95
.LBB110_94:
	global_load_dwordx2 v[16:17], v[18:19], off offset:3584
.LBB110_95:
	s_or_b64 exec, exec, s[0:1]
	s_mov_b32 s6, 0
	s_movk_i32 s7, 0x800
	v_mov_b32_e32 v19, 0
	s_movk_i32 s8, 0x400
	s_mov_b32 s9, 0
	v_mov_b32_e32 v20, v2
	s_waitcnt vmcnt(0)
	s_branch .LBB110_97
.LBB110_96:                             ;   in Loop: Header=BB110_97 Depth=1
	s_or_b64 exec, exec, s[0:1]
	s_addk_i32 s9, 0xc000
	s_addk_i32 s6, 0xf800
	v_add_u32_e32 v20, 0x800, v20
	s_cmp_eq_u32 s9, 0xffff0000
	v_add_u32_e32 v25, 8, v25
	s_barrier
	s_cbranch_scc1 .LBB110_117
.LBB110_97:                             ; =>This Inner Loop Header: Depth=1
	v_add_u32_e32 v18, s6, v24
	v_cmp_gt_u32_e32 vcc, s7, v18
	s_and_saveexec_b64 s[0:1], vcc
; %bb.98:                               ;   in Loop: Header=BB110_97 Depth=1
	v_add_u32_e32 v18, s9, v32
	ds_write_b64 v18, v[0:1]
; %bb.99:                               ;   in Loop: Header=BB110_97 Depth=1
	s_or_b64 exec, exec, s[0:1]
	v_add_u32_e32 v18, s6, v31
	v_cmp_gt_u32_e32 vcc, s7, v18
	s_and_saveexec_b64 s[0:1], vcc
; %bb.100:                              ;   in Loop: Header=BB110_97 Depth=1
	v_add_u32_e32 v18, s9, v35
	ds_write_b64 v18, v[4:5]
; %bb.101:                              ;   in Loop: Header=BB110_97 Depth=1
	s_or_b64 exec, exec, s[0:1]
	v_add_u32_e32 v18, s6, v33
	v_cmp_gt_u32_e32 vcc, s7, v18
	s_and_saveexec_b64 s[0:1], vcc
; %bb.102:                              ;   in Loop: Header=BB110_97 Depth=1
	v_add_u32_e32 v18, s9, v38
	ds_write_b64 v18, v[6:7]
; %bb.103:                              ;   in Loop: Header=BB110_97 Depth=1
	;; [unrolled: 8-line block ×7, first 2 shown]
	s_or_b64 exec, exec, s[0:1]
	v_cmp_gt_u32_e32 vcc, s5, v20
	s_waitcnt lgkmcnt(0)
	s_barrier
	s_and_saveexec_b64 s[0:1], vcc
	s_cbranch_execz .LBB110_115
; %bb.114:                              ;   in Loop: Header=BB110_97 Depth=1
	ds_read_b32 v18, v25
	s_waitcnt lgkmcnt(0)
	v_lshlrev_b32_e32 v18, 2, v18
	ds_read_b32 v18, v18
	ds_read_b64 v[22:23], v47 offset:1024
	s_waitcnt lgkmcnt(1)
	v_add_u32_e32 v18, v20, v18
	v_lshl_add_u64 v[48:49], v[18:19], 3, s[46:47]
	s_waitcnt lgkmcnt(0)
	global_store_dwordx2 v[48:49], v[22:23], off
.LBB110_115:                            ;   in Loop: Header=BB110_97 Depth=1
	s_or_b64 exec, exec, s[0:1]
	v_add_u32_e32 v18, 0x400, v20
	v_cmp_gt_u32_e32 vcc, s5, v18
	s_and_saveexec_b64 s[0:1], vcc
	s_cbranch_execz .LBB110_96
; %bb.116:                              ;   in Loop: Header=BB110_97 Depth=1
	ds_read_b32 v18, v25 offset:4
	s_waitcnt lgkmcnt(0)
	v_lshlrev_b32_e32 v18, 2, v18
	ds_read_b32 v18, v18
	ds_read_b64 v[22:23], v47 offset:9216
	s_waitcnt lgkmcnt(1)
	v_add3_u32 v18, v20, v18, s8
	v_lshl_add_u64 v[48:49], v[18:19], 3, s[46:47]
	s_waitcnt lgkmcnt(0)
	global_store_dwordx2 v[48:49], v[22:23], off
	s_branch .LBB110_96
.LBB110_117:
	s_add_i32 s56, s56, -1
	s_cmp_eq_u32 s33, s56
	s_cselect_b64 s[0:1], -1, 0
	s_xor_b64 s[6:7], s[20:21], -1
	s_and_b64 s[6:7], s[6:7], s[0:1]
	s_and_saveexec_b64 s[0:1], s[6:7]
	s_cbranch_execz .LBB110_119
; %bb.118:
	ds_read_b32 v0, v39
	s_waitcnt lgkmcnt(0)
	v_add3_u32 v0, v34, v37, v0
	global_store_dword v39, v0, s[50:51]
.LBB110_119:
	s_or_b64 exec, exec, s[0:1]
	s_mov_b64 s[6:7], 0
.LBB110_120:
	s_and_b64 vcc, exec, s[6:7]
	s_cbranch_vccz .LBB110_195
; %bb.121:
	s_lshl_b32 s0, s33, 13
	s_mov_b32 s1, 0
	s_lshl_b64 s[8:9], s[0:1], 3
	v_mbcnt_hi_u32_b32 v26, -1, v30
	s_add_u32 s0, s40, s8
	v_and_b32_e32 v0, 63, v26
	v_mov_b32_e32 v11, 0
	s_addc_u32 s1, s41, s9
	v_lshlrev_b32_e32 v0, 3, v0
	v_mov_b32_e32 v1, v11
	v_lshl_add_u64 v[6:7], s[0:1], 0, v[0:1]
	s_load_dword s12, s[2:3], 0x58
	s_load_dword s0, s[2:3], 0x64
	v_and_b32_e32 v4, 0x1e00, v29
	v_lshlrev_b32_e32 v4, 3, v4
	v_mov_b32_e32 v5, v11
	v_lshl_add_u64 v[6:7], v[6:7], 0, v[4:5]
	global_load_dwordx2 v[24:25], v[6:7], off
	s_add_u32 s1, s2, 0x58
	s_addc_u32 s2, s3, 0
	s_waitcnt lgkmcnt(0)
	s_lshr_b32 s3, s0, 16
	s_cmp_lt_u32 s4, s12
	s_cselect_b32 s0, 12, 18
	s_add_u32 s0, s1, s0
	s_addc_u32 s1, s2, 0
	global_load_ushort v10, v11, s[0:1]
	v_mul_u32_u24_e32 v1, 20, v2
	ds_write2_b32 v1, v11, v11 offset0:16 offset1:17
	ds_write2_b32 v1, v11, v11 offset0:18 offset1:19
	ds_write_b32 v1, v11 offset:80
	global_load_dwordx2 v[8:9], v[6:7], off offset:512
	global_load_dwordx2 v[22:23], v[6:7], off offset:1024
	;; [unrolled: 1-line block ×7, first 2 shown]
	v_bfrev_b32_e32 v5, 1
	s_mov_b32 s10, -1
	s_brev_b32 s11, -2
	v_mad_u32_u24 v3, v28, s3, v3
	s_lshl_b32 s2, -1, s53
	s_movk_i32 s14, 0x44
	v_mov_b32_e32 v30, v11
	v_mov_b32_e32 v34, v11
	s_not_b32 s13, s2
	v_mov_b32_e32 v36, v11
	v_mov_b32_e32 v38, v11
	s_waitcnt lgkmcnt(0)
	s_barrier
	s_waitcnt vmcnt(8)
	; wave barrier
	v_cmp_lt_i64_e32 vcc, -1, v[24:25]
	s_nop 1
	v_cndmask_b32_e32 v6, -1, v5, vcc
	v_ashrrev_i32_e32 v27, 31, v25
	v_xor_b32_e32 v7, v6, v25
	v_xor_b32_e32 v6, v27, v24
	v_cmp_ne_u64_e32 vcc, s[10:11], v[6:7]
	s_waitcnt vmcnt(7)
	v_mad_u64_u32 v[28:29], s[0:1], v3, v10, v[2:3]
	v_cndmask_b32_e32 v25, v5, v7, vcc
	v_cndmask_b32_e32 v24, 0, v6, vcc
	v_lshrrev_b64 v[24:25], s52, v[24:25]
	v_bitop3_b32 v3, v24, s2, v24 bitop3:0x30
	v_lshrrev_b32_e32 v33, 6, v28
	v_mul_lo_u32 v24, v3, s14
	v_and_b32_e32 v10, 1, v3
	v_lshlrev_b32_e32 v31, 30, v3
	v_lshlrev_b32_e32 v35, 29, v3
	v_lshl_add_u32 v27, v33, 2, v24
	v_lshl_add_u64 v[24:25], v[10:11], 0, -1
	v_cmp_ne_u32_e32 vcc, 0, v10
	v_not_b32_e32 v10, v31
	v_cmp_gt_i64_e64 s[0:1], 0, v[30:31]
	v_not_b32_e32 v28, v35
	v_xor_b32_e32 v25, vcc_hi, v25
	v_ashrrev_i32_e32 v10, 31, v10
	v_lshlrev_b32_e32 v37, 28, v3
	v_cmp_gt_i64_e64 s[2:3], 0, v[34:35]
	v_xor_b32_e32 v24, vcc_lo, v24
	v_ashrrev_i32_e32 v28, 31, v28
	v_and_b32_e32 v25, exec_hi, v25
	v_xor_b32_e32 v30, s1, v10
	v_lshlrev_b32_e32 v39, 27, v3
	v_not_b32_e32 v29, v37
	v_and_b32_e32 v24, exec_lo, v24
	v_xor_b32_e32 v10, s0, v10
	v_xor_b32_e32 v31, s3, v28
	v_and_b32_e32 v25, v25, v30
	v_cmp_gt_i64_e64 s[4:5], 0, v[36:37]
	v_ashrrev_i32_e32 v29, 31, v29
	v_xor_b32_e32 v28, s2, v28
	v_and_b32_e32 v10, v24, v10
	v_and_b32_e32 v24, v25, v31
	v_not_b32_e32 v25, v39
	v_cmp_gt_i64_e64 s[6:7], 0, v[38:39]
	v_xor_b32_e32 v32, s5, v29
	v_xor_b32_e32 v29, s4, v29
	v_and_b32_e32 v10, v10, v28
	v_ashrrev_i32_e32 v25, 31, v25
	v_and_b32_e32 v24, v24, v32
	v_and_b32_e32 v10, v10, v29
	v_xor_b32_e32 v28, s7, v25
	v_xor_b32_e32 v25, s6, v25
	v_and_b32_e32 v28, v24, v28
	v_and_b32_e32 v10, v10, v25
	v_lshlrev_b32_e32 v25, 26, v3
	v_mov_b32_e32 v24, v11
	v_cmp_gt_i64_e32 vcc, 0, v[24:25]
	v_not_b32_e32 v24, v25
	v_ashrrev_i32_e32 v24, 31, v24
	v_xor_b32_e32 v25, vcc_hi, v24
	v_xor_b32_e32 v24, vcc_lo, v24
	v_and_b32_e32 v28, v28, v25
	v_and_b32_e32 v10, v10, v24
	v_lshlrev_b32_e32 v25, 25, v3
	v_mov_b32_e32 v24, v11
	v_cmp_gt_i64_e32 vcc, 0, v[24:25]
	v_not_b32_e32 v24, v25
	v_ashrrev_i32_e32 v24, 31, v24
	v_xor_b32_e32 v25, vcc_hi, v24
	v_xor_b32_e32 v24, vcc_lo, v24
	v_and_b32_e32 v28, v28, v25
	v_lshlrev_b32_e32 v25, 24, v3
	v_and_b32_e32 v10, v10, v24
	v_mov_b32_e32 v24, v11
	v_not_b32_e32 v3, v25
	v_cmp_gt_i64_e32 vcc, 0, v[24:25]
	v_ashrrev_i32_e32 v3, 31, v3
	s_nop 0
	v_xor_b32_e32 v24, vcc_hi, v3
	v_xor_b32_e32 v3, vcc_lo, v3
	v_and_b32_e32 v25, v28, v24
	v_and_b32_e32 v24, v10, v3
	v_mbcnt_lo_u32_b32 v3, v24, 0
	v_mbcnt_hi_u32_b32 v3, v25, v3
	v_cmp_eq_u32_e32 vcc, 0, v3
	v_cmp_ne_u64_e64 s[0:1], 0, v[24:25]
	s_and_b64 s[2:3], s[0:1], vcc
	s_and_saveexec_b64 s[0:1], s[2:3]
; %bb.122:
	v_bcnt_u32_b32 v10, v24, 0
	v_bcnt_u32_b32 v10, v25, v10
	ds_write_b32 v27, v10 offset:64
; %bb.123:
	s_or_b64 exec, exec, s[0:1]
	s_waitcnt vmcnt(6)
	v_cmp_lt_i64_e32 vcc, -1, v[8:9]
	v_ashrrev_i32_e32 v24, 31, v9
	v_xor_b32_e32 v8, v24, v8
	v_cndmask_b32_e32 v10, -1, v5, vcc
	v_xor_b32_e32 v9, v10, v9
	v_cmp_ne_u64_e32 vcc, s[10:11], v[8:9]
	; wave barrier
	s_nop 1
	v_cndmask_b32_e32 v25, v5, v9, vcc
	v_cndmask_b32_e32 v24, 0, v8, vcc
	v_lshrrev_b64 v[24:25], s52, v[24:25]
	v_and_b32_e32 v28, s13, v24
	v_and_b32_e32 v10, 1, v28
	v_lshl_add_u64 v[24:25], v[10:11], 0, -1
	v_cmp_ne_u32_e32 vcc, 0, v10
	v_mul_lo_u32 v5, v28, s14
	v_lshl_add_u32 v30, v33, 2, v5
	v_xor_b32_e32 v24, vcc_lo, v24
	v_xor_b32_e32 v10, vcc_hi, v25
	v_and_b32_e32 v29, exec_lo, v24
	v_lshlrev_b32_e32 v25, 30, v28
	v_mov_b32_e32 v24, v11
	v_cmp_gt_i64_e32 vcc, 0, v[24:25]
	v_not_b32_e32 v24, v25
	v_ashrrev_i32_e32 v24, 31, v24
	v_and_b32_e32 v10, exec_hi, v10
	v_xor_b32_e32 v25, vcc_hi, v24
	v_xor_b32_e32 v24, vcc_lo, v24
	v_and_b32_e32 v10, v10, v25
	v_and_b32_e32 v29, v29, v24
	v_lshlrev_b32_e32 v25, 29, v28
	v_mov_b32_e32 v24, v11
	v_cmp_gt_i64_e32 vcc, 0, v[24:25]
	v_not_b32_e32 v24, v25
	v_ashrrev_i32_e32 v24, 31, v24
	v_xor_b32_e32 v25, vcc_hi, v24
	v_xor_b32_e32 v24, vcc_lo, v24
	v_and_b32_e32 v10, v10, v25
	v_and_b32_e32 v29, v29, v24
	v_lshlrev_b32_e32 v25, 28, v28
	v_mov_b32_e32 v24, v11
	v_cmp_gt_i64_e32 vcc, 0, v[24:25]
	v_not_b32_e32 v24, v25
	v_ashrrev_i32_e32 v24, 31, v24
	;; [unrolled: 9-line block ×5, first 2 shown]
	v_xor_b32_e32 v25, vcc_hi, v24
	v_xor_b32_e32 v24, vcc_lo, v24
	v_and_b32_e32 v10, v10, v25
	v_lshlrev_b32_e32 v25, 24, v28
	v_and_b32_e32 v29, v29, v24
	v_mov_b32_e32 v24, v11
	v_not_b32_e32 v11, v25
	v_cmp_gt_i64_e32 vcc, 0, v[24:25]
	v_ashrrev_i32_e32 v11, 31, v11
	ds_read_b32 v5, v30 offset:64
	v_xor_b32_e32 v24, vcc_hi, v11
	v_xor_b32_e32 v25, vcc_lo, v11
	v_and_b32_e32 v11, v10, v24
	v_and_b32_e32 v10, v29, v25
	v_mbcnt_lo_u32_b32 v24, v10, 0
	v_mbcnt_hi_u32_b32 v28, v11, v24
	v_cmp_eq_u32_e32 vcc, 0, v28
	v_cmp_ne_u64_e64 s[0:1], 0, v[10:11]
	s_and_b64 s[2:3], s[0:1], vcc
	; wave barrier
	s_and_saveexec_b64 s[0:1], s[2:3]
	s_cbranch_execz .LBB110_125
; %bb.124:
	v_bcnt_u32_b32 v10, v10, 0
	v_bcnt_u32_b32 v10, v11, v10
	s_waitcnt lgkmcnt(0)
	v_add_u32_e32 v10, v5, v10
	ds_write_b32 v30, v10 offset:64
.LBB110_125:
	s_or_b64 exec, exec, s[0:1]
	v_bfrev_b32_e32 v32, 1
	s_waitcnt vmcnt(5)
	v_cmp_lt_i64_e32 vcc, -1, v[22:23]
	s_mov_b32 s2, -1
	v_ashrrev_i32_e32 v24, 31, v23
	v_cndmask_b32_e32 v10, -1, v32, vcc
	s_brev_b32 s3, -2
	v_xor_b32_e32 v11, v10, v23
	v_xor_b32_e32 v10, v24, v22
	v_cmp_ne_u64_e32 vcc, s[2:3], v[10:11]
	s_movk_i32 s4, 0x44
	s_nop 0
	v_cndmask_b32_e32 v23, v32, v11, vcc
	v_cndmask_b32_e32 v22, 0, v10, vcc
	v_lshrrev_b64 v[22:23], s52, v[22:23]
	v_and_b32_e32 v31, s13, v22
	v_mul_lo_u32 v22, v31, s4
	v_lshl_add_u32 v34, v33, 2, v22
	v_and_b32_e32 v22, 1, v31
	v_mov_b32_e32 v23, 0
	v_lshl_add_u64 v[24:25], v[22:23], 0, -1
	v_cmp_ne_u32_e32 vcc, 0, v22
	; wave barrier
	ds_read_b32 v29, v34 offset:64
	s_nop 0
	v_xor_b32_e32 v24, vcc_lo, v24
	v_xor_b32_e32 v22, vcc_hi, v25
	v_and_b32_e32 v35, exec_lo, v24
	v_lshlrev_b32_e32 v25, 30, v31
	v_mov_b32_e32 v24, v23
	v_cmp_gt_i64_e32 vcc, 0, v[24:25]
	v_not_b32_e32 v24, v25
	v_ashrrev_i32_e32 v24, 31, v24
	v_and_b32_e32 v22, exec_hi, v22
	v_xor_b32_e32 v25, vcc_hi, v24
	v_xor_b32_e32 v24, vcc_lo, v24
	v_and_b32_e32 v22, v22, v25
	v_and_b32_e32 v35, v35, v24
	v_lshlrev_b32_e32 v25, 29, v31
	v_mov_b32_e32 v24, v23
	v_cmp_gt_i64_e32 vcc, 0, v[24:25]
	v_not_b32_e32 v24, v25
	v_ashrrev_i32_e32 v24, 31, v24
	v_xor_b32_e32 v25, vcc_hi, v24
	v_xor_b32_e32 v24, vcc_lo, v24
	v_and_b32_e32 v22, v22, v25
	v_and_b32_e32 v35, v35, v24
	v_lshlrev_b32_e32 v25, 28, v31
	v_mov_b32_e32 v24, v23
	v_cmp_gt_i64_e32 vcc, 0, v[24:25]
	v_not_b32_e32 v24, v25
	v_ashrrev_i32_e32 v24, 31, v24
	;; [unrolled: 9-line block ×6, first 2 shown]
	v_xor_b32_e32 v25, vcc_hi, v24
	v_xor_b32_e32 v24, vcc_lo, v24
	v_and_b32_e32 v24, v35, v24
	v_and_b32_e32 v25, v22, v25
	v_mbcnt_lo_u32_b32 v22, v24, 0
	v_mbcnt_hi_u32_b32 v31, v25, v22
	v_cmp_eq_u32_e32 vcc, 0, v31
	v_cmp_ne_u64_e64 s[0:1], 0, v[24:25]
	s_and_b64 s[6:7], s[0:1], vcc
	; wave barrier
	s_and_saveexec_b64 s[0:1], s[6:7]
	s_cbranch_execz .LBB110_127
; %bb.126:
	v_bcnt_u32_b32 v22, v24, 0
	v_bcnt_u32_b32 v22, v25, v22
	s_waitcnt lgkmcnt(0)
	v_add_u32_e32 v22, v29, v22
	ds_write_b32 v34, v22 offset:64
.LBB110_127:
	s_or_b64 exec, exec, s[0:1]
	s_waitcnt vmcnt(4)
	v_cmp_lt_i64_e32 vcc, -1, v[12:13]
	v_ashrrev_i32_e32 v24, 31, v13
	v_xor_b32_e32 v12, v24, v12
	v_cndmask_b32_e32 v22, -1, v32, vcc
	v_xor_b32_e32 v13, v22, v13
	v_cmp_ne_u64_e32 vcc, s[2:3], v[12:13]
	; wave barrier
	s_nop 1
	v_cndmask_b32_e32 v25, v32, v13, vcc
	v_cndmask_b32_e32 v24, 0, v12, vcc
	v_lshrrev_b64 v[24:25], s52, v[24:25]
	v_and_b32_e32 v35, s13, v24
	v_mul_lo_u32 v22, v35, s4
	v_lshl_add_u32 v37, v33, 2, v22
	v_and_b32_e32 v22, 1, v35
	v_lshl_add_u64 v[24:25], v[22:23], 0, -1
	v_cmp_ne_u32_e32 vcc, 0, v22
	ds_read_b32 v32, v37 offset:64
	s_nop 0
	v_xor_b32_e32 v24, vcc_lo, v24
	v_xor_b32_e32 v22, vcc_hi, v25
	v_and_b32_e32 v36, exec_lo, v24
	v_lshlrev_b32_e32 v25, 30, v35
	v_mov_b32_e32 v24, v23
	v_cmp_gt_i64_e32 vcc, 0, v[24:25]
	v_not_b32_e32 v24, v25
	v_ashrrev_i32_e32 v24, 31, v24
	v_and_b32_e32 v22, exec_hi, v22
	v_xor_b32_e32 v25, vcc_hi, v24
	v_xor_b32_e32 v24, vcc_lo, v24
	v_and_b32_e32 v22, v22, v25
	v_and_b32_e32 v36, v36, v24
	v_lshlrev_b32_e32 v25, 29, v35
	v_mov_b32_e32 v24, v23
	v_cmp_gt_i64_e32 vcc, 0, v[24:25]
	v_not_b32_e32 v24, v25
	v_ashrrev_i32_e32 v24, 31, v24
	v_xor_b32_e32 v25, vcc_hi, v24
	v_xor_b32_e32 v24, vcc_lo, v24
	v_and_b32_e32 v22, v22, v25
	v_and_b32_e32 v36, v36, v24
	v_lshlrev_b32_e32 v25, 28, v35
	v_mov_b32_e32 v24, v23
	v_cmp_gt_i64_e32 vcc, 0, v[24:25]
	v_not_b32_e32 v24, v25
	v_ashrrev_i32_e32 v24, 31, v24
	;; [unrolled: 9-line block ×5, first 2 shown]
	v_xor_b32_e32 v25, vcc_hi, v24
	v_xor_b32_e32 v24, vcc_lo, v24
	v_and_b32_e32 v22, v22, v25
	v_lshlrev_b32_e32 v25, 24, v35
	v_and_b32_e32 v36, v36, v24
	v_mov_b32_e32 v24, v23
	v_not_b32_e32 v23, v25
	v_cmp_gt_i64_e32 vcc, 0, v[24:25]
	v_ashrrev_i32_e32 v23, 31, v23
	; wave barrier
	s_nop 0
	v_xor_b32_e32 v24, vcc_hi, v23
	v_xor_b32_e32 v25, vcc_lo, v23
	v_and_b32_e32 v23, v22, v24
	v_and_b32_e32 v22, v36, v25
	v_mbcnt_lo_u32_b32 v24, v22, 0
	v_mbcnt_hi_u32_b32 v35, v23, v24
	v_cmp_eq_u32_e32 vcc, 0, v35
	v_cmp_ne_u64_e64 s[0:1], 0, v[22:23]
	s_and_b64 s[2:3], s[0:1], vcc
	s_and_saveexec_b64 s[0:1], s[2:3]
	s_cbranch_execz .LBB110_129
; %bb.128:
	v_bcnt_u32_b32 v22, v22, 0
	v_bcnt_u32_b32 v22, v23, v22
	s_waitcnt lgkmcnt(0)
	v_add_u32_e32 v22, v32, v22
	ds_write_b32 v37, v22 offset:64
.LBB110_129:
	s_or_b64 exec, exec, s[0:1]
	v_bfrev_b32_e32 v39, 1
	s_waitcnt vmcnt(3)
	v_cmp_lt_i64_e32 vcc, -1, v[14:15]
	s_mov_b32 s2, -1
	v_ashrrev_i32_e32 v23, 31, v15
	v_cndmask_b32_e32 v22, -1, v39, vcc
	s_brev_b32 s3, -2
	v_xor_b32_e32 v15, v22, v15
	v_xor_b32_e32 v14, v23, v14
	v_cmp_ne_u64_e32 vcc, s[2:3], v[14:15]
	; wave barrier
	s_nop 1
	v_cndmask_b32_e32 v23, v39, v15, vcc
	v_cndmask_b32_e32 v22, 0, v14, vcc
	v_lshrrev_b64 v[22:23], s52, v[22:23]
	v_and_b32_e32 v38, s13, v22
	v_mul_lo_u32 v22, v38, s4
	v_lshl_add_u32 v40, v33, 2, v22
	v_and_b32_e32 v22, 1, v38
	v_mov_b32_e32 v23, 0
	v_lshl_add_u64 v[24:25], v[22:23], 0, -1
	v_cmp_ne_u32_e32 vcc, 0, v22
	ds_read_b32 v36, v40 offset:64
	s_nop 0
	v_xor_b32_e32 v24, vcc_lo, v24
	v_xor_b32_e32 v22, vcc_hi, v25
	v_and_b32_e32 v41, exec_lo, v24
	v_lshlrev_b32_e32 v25, 30, v38
	v_mov_b32_e32 v24, v23
	v_cmp_gt_i64_e32 vcc, 0, v[24:25]
	v_not_b32_e32 v24, v25
	v_ashrrev_i32_e32 v24, 31, v24
	v_and_b32_e32 v22, exec_hi, v22
	v_xor_b32_e32 v25, vcc_hi, v24
	v_xor_b32_e32 v24, vcc_lo, v24
	v_and_b32_e32 v22, v22, v25
	v_and_b32_e32 v41, v41, v24
	v_lshlrev_b32_e32 v25, 29, v38
	v_mov_b32_e32 v24, v23
	v_cmp_gt_i64_e32 vcc, 0, v[24:25]
	v_not_b32_e32 v24, v25
	v_ashrrev_i32_e32 v24, 31, v24
	v_xor_b32_e32 v25, vcc_hi, v24
	v_xor_b32_e32 v24, vcc_lo, v24
	v_and_b32_e32 v22, v22, v25
	v_and_b32_e32 v41, v41, v24
	v_lshlrev_b32_e32 v25, 28, v38
	v_mov_b32_e32 v24, v23
	v_cmp_gt_i64_e32 vcc, 0, v[24:25]
	v_not_b32_e32 v24, v25
	v_ashrrev_i32_e32 v24, 31, v24
	;; [unrolled: 9-line block ×6, first 2 shown]
	v_xor_b32_e32 v25, vcc_hi, v24
	v_xor_b32_e32 v24, vcc_lo, v24
	v_and_b32_e32 v24, v41, v24
	v_and_b32_e32 v25, v22, v25
	v_mbcnt_lo_u32_b32 v22, v24, 0
	v_mbcnt_hi_u32_b32 v38, v25, v22
	v_cmp_eq_u32_e32 vcc, 0, v38
	v_cmp_ne_u64_e64 s[0:1], 0, v[24:25]
	s_and_b64 s[6:7], s[0:1], vcc
	; wave barrier
	s_and_saveexec_b64 s[0:1], s[6:7]
	s_cbranch_execz .LBB110_131
; %bb.130:
	v_bcnt_u32_b32 v22, v24, 0
	v_bcnt_u32_b32 v22, v25, v22
	s_waitcnt lgkmcnt(0)
	v_add_u32_e32 v22, v36, v22
	ds_write_b32 v40, v22 offset:64
.LBB110_131:
	s_or_b64 exec, exec, s[0:1]
	s_waitcnt vmcnt(2)
	v_cmp_lt_i64_e32 vcc, -1, v[18:19]
	v_ashrrev_i32_e32 v24, 31, v19
	v_xor_b32_e32 v18, v24, v18
	v_cndmask_b32_e32 v22, -1, v39, vcc
	v_xor_b32_e32 v19, v22, v19
	v_cmp_ne_u64_e32 vcc, s[2:3], v[18:19]
	; wave barrier
	s_nop 1
	v_cndmask_b32_e32 v25, v39, v19, vcc
	v_cndmask_b32_e32 v24, 0, v18, vcc
	v_lshrrev_b64 v[24:25], s52, v[24:25]
	v_and_b32_e32 v41, s13, v24
	v_mul_lo_u32 v22, v41, s4
	v_lshl_add_u32 v43, v33, 2, v22
	v_and_b32_e32 v22, 1, v41
	v_lshl_add_u64 v[24:25], v[22:23], 0, -1
	v_cmp_ne_u32_e32 vcc, 0, v22
	ds_read_b32 v39, v43 offset:64
	s_nop 0
	v_xor_b32_e32 v24, vcc_lo, v24
	v_xor_b32_e32 v22, vcc_hi, v25
	v_and_b32_e32 v42, exec_lo, v24
	v_lshlrev_b32_e32 v25, 30, v41
	v_mov_b32_e32 v24, v23
	v_cmp_gt_i64_e32 vcc, 0, v[24:25]
	v_not_b32_e32 v24, v25
	v_ashrrev_i32_e32 v24, 31, v24
	v_and_b32_e32 v22, exec_hi, v22
	v_xor_b32_e32 v25, vcc_hi, v24
	v_xor_b32_e32 v24, vcc_lo, v24
	v_and_b32_e32 v22, v22, v25
	v_and_b32_e32 v42, v42, v24
	v_lshlrev_b32_e32 v25, 29, v41
	v_mov_b32_e32 v24, v23
	v_cmp_gt_i64_e32 vcc, 0, v[24:25]
	v_not_b32_e32 v24, v25
	v_ashrrev_i32_e32 v24, 31, v24
	v_xor_b32_e32 v25, vcc_hi, v24
	v_xor_b32_e32 v24, vcc_lo, v24
	v_and_b32_e32 v22, v22, v25
	v_and_b32_e32 v42, v42, v24
	v_lshlrev_b32_e32 v25, 28, v41
	v_mov_b32_e32 v24, v23
	v_cmp_gt_i64_e32 vcc, 0, v[24:25]
	v_not_b32_e32 v24, v25
	v_ashrrev_i32_e32 v24, 31, v24
	;; [unrolled: 9-line block ×5, first 2 shown]
	v_xor_b32_e32 v25, vcc_hi, v24
	v_xor_b32_e32 v24, vcc_lo, v24
	v_and_b32_e32 v22, v22, v25
	v_lshlrev_b32_e32 v25, 24, v41
	v_and_b32_e32 v42, v42, v24
	v_mov_b32_e32 v24, v23
	v_not_b32_e32 v23, v25
	v_cmp_gt_i64_e32 vcc, 0, v[24:25]
	v_ashrrev_i32_e32 v23, 31, v23
	; wave barrier
	s_nop 0
	v_xor_b32_e32 v24, vcc_hi, v23
	v_xor_b32_e32 v25, vcc_lo, v23
	v_and_b32_e32 v23, v22, v24
	v_and_b32_e32 v22, v42, v25
	v_mbcnt_lo_u32_b32 v24, v22, 0
	v_mbcnt_hi_u32_b32 v41, v23, v24
	v_cmp_eq_u32_e32 vcc, 0, v41
	v_cmp_ne_u64_e64 s[0:1], 0, v[22:23]
	s_and_b64 s[2:3], s[0:1], vcc
	s_and_saveexec_b64 s[0:1], s[2:3]
	s_cbranch_execz .LBB110_133
; %bb.132:
	v_bcnt_u32_b32 v22, v22, 0
	v_bcnt_u32_b32 v22, v23, v22
	s_waitcnt lgkmcnt(0)
	v_add_u32_e32 v22, v39, v22
	ds_write_b32 v43, v22 offset:64
.LBB110_133:
	s_or_b64 exec, exec, s[0:1]
	v_bfrev_b32_e32 v45, 1
	s_waitcnt vmcnt(1)
	v_cmp_lt_i64_e32 vcc, -1, v[20:21]
	s_mov_b32 s2, -1
	v_ashrrev_i32_e32 v23, 31, v21
	v_cndmask_b32_e32 v22, -1, v45, vcc
	s_brev_b32 s3, -2
	v_xor_b32_e32 v21, v22, v21
	v_xor_b32_e32 v20, v23, v20
	v_cmp_ne_u64_e32 vcc, s[2:3], v[20:21]
	; wave barrier
	s_nop 1
	v_cndmask_b32_e32 v23, v45, v21, vcc
	v_cndmask_b32_e32 v22, 0, v20, vcc
	v_lshrrev_b64 v[22:23], s52, v[22:23]
	v_and_b32_e32 v44, s13, v22
	v_mul_lo_u32 v22, v44, s4
	v_lshl_add_u32 v46, v33, 2, v22
	v_and_b32_e32 v22, 1, v44
	v_mov_b32_e32 v23, 0
	v_lshl_add_u64 v[24:25], v[22:23], 0, -1
	v_cmp_ne_u32_e32 vcc, 0, v22
	ds_read_b32 v42, v46 offset:64
	s_nop 0
	v_xor_b32_e32 v24, vcc_lo, v24
	v_xor_b32_e32 v22, vcc_hi, v25
	v_and_b32_e32 v47, exec_lo, v24
	v_lshlrev_b32_e32 v25, 30, v44
	v_mov_b32_e32 v24, v23
	v_cmp_gt_i64_e32 vcc, 0, v[24:25]
	v_not_b32_e32 v24, v25
	v_ashrrev_i32_e32 v24, 31, v24
	v_and_b32_e32 v22, exec_hi, v22
	v_xor_b32_e32 v25, vcc_hi, v24
	v_xor_b32_e32 v24, vcc_lo, v24
	v_and_b32_e32 v22, v22, v25
	v_and_b32_e32 v47, v47, v24
	v_lshlrev_b32_e32 v25, 29, v44
	v_mov_b32_e32 v24, v23
	v_cmp_gt_i64_e32 vcc, 0, v[24:25]
	v_not_b32_e32 v24, v25
	v_ashrrev_i32_e32 v24, 31, v24
	v_xor_b32_e32 v25, vcc_hi, v24
	v_xor_b32_e32 v24, vcc_lo, v24
	v_and_b32_e32 v22, v22, v25
	v_and_b32_e32 v47, v47, v24
	v_lshlrev_b32_e32 v25, 28, v44
	v_mov_b32_e32 v24, v23
	v_cmp_gt_i64_e32 vcc, 0, v[24:25]
	v_not_b32_e32 v24, v25
	v_ashrrev_i32_e32 v24, 31, v24
	;; [unrolled: 9-line block ×6, first 2 shown]
	v_xor_b32_e32 v25, vcc_hi, v24
	v_xor_b32_e32 v24, vcc_lo, v24
	v_and_b32_e32 v24, v47, v24
	v_and_b32_e32 v25, v22, v25
	v_mbcnt_lo_u32_b32 v22, v24, 0
	v_mbcnt_hi_u32_b32 v44, v25, v22
	v_cmp_eq_u32_e32 vcc, 0, v44
	v_cmp_ne_u64_e64 s[0:1], 0, v[24:25]
	s_and_b64 s[6:7], s[0:1], vcc
	; wave barrier
	s_and_saveexec_b64 s[0:1], s[6:7]
	s_cbranch_execz .LBB110_135
; %bb.134:
	v_bcnt_u32_b32 v22, v24, 0
	v_bcnt_u32_b32 v22, v25, v22
	s_waitcnt lgkmcnt(0)
	v_add_u32_e32 v22, v42, v22
	ds_write_b32 v46, v22 offset:64
.LBB110_135:
	s_or_b64 exec, exec, s[0:1]
	s_waitcnt vmcnt(0)
	v_cmp_lt_i64_e32 vcc, -1, v[16:17]
	v_ashrrev_i32_e32 v24, 31, v17
	v_xor_b32_e32 v16, v24, v16
	v_cndmask_b32_e32 v22, -1, v45, vcc
	v_xor_b32_e32 v17, v22, v17
	v_cmp_ne_u64_e32 vcc, s[2:3], v[16:17]
	; wave barrier
	s_nop 1
	v_cndmask_b32_e32 v25, v45, v17, vcc
	v_cndmask_b32_e32 v24, 0, v16, vcc
	v_lshrrev_b64 v[24:25], s52, v[24:25]
	v_and_b32_e32 v47, s13, v24
	v_mul_lo_u32 v22, v47, s4
	v_lshl_add_u32 v48, v33, 2, v22
	v_and_b32_e32 v22, 1, v47
	v_lshl_add_u64 v[24:25], v[22:23], 0, -1
	v_cmp_ne_u32_e32 vcc, 0, v22
	ds_read_b32 v45, v48 offset:64
	s_nop 0
	v_xor_b32_e32 v24, vcc_lo, v24
	v_xor_b32_e32 v22, vcc_hi, v25
	v_and_b32_e32 v33, exec_lo, v24
	v_lshlrev_b32_e32 v25, 30, v47
	v_mov_b32_e32 v24, v23
	v_cmp_gt_i64_e32 vcc, 0, v[24:25]
	v_not_b32_e32 v24, v25
	v_ashrrev_i32_e32 v24, 31, v24
	v_and_b32_e32 v22, exec_hi, v22
	v_xor_b32_e32 v25, vcc_hi, v24
	v_xor_b32_e32 v24, vcc_lo, v24
	v_and_b32_e32 v22, v22, v25
	v_and_b32_e32 v33, v33, v24
	v_lshlrev_b32_e32 v25, 29, v47
	v_mov_b32_e32 v24, v23
	v_cmp_gt_i64_e32 vcc, 0, v[24:25]
	v_not_b32_e32 v24, v25
	v_ashrrev_i32_e32 v24, 31, v24
	v_xor_b32_e32 v25, vcc_hi, v24
	v_xor_b32_e32 v24, vcc_lo, v24
	v_and_b32_e32 v22, v22, v25
	v_and_b32_e32 v33, v33, v24
	v_lshlrev_b32_e32 v25, 28, v47
	v_mov_b32_e32 v24, v23
	v_cmp_gt_i64_e32 vcc, 0, v[24:25]
	v_not_b32_e32 v24, v25
	v_ashrrev_i32_e32 v24, 31, v24
	;; [unrolled: 9-line block ×5, first 2 shown]
	v_xor_b32_e32 v25, vcc_hi, v24
	v_xor_b32_e32 v24, vcc_lo, v24
	v_and_b32_e32 v22, v22, v25
	v_lshlrev_b32_e32 v25, 24, v47
	v_and_b32_e32 v33, v33, v24
	v_mov_b32_e32 v24, v23
	v_not_b32_e32 v23, v25
	v_cmp_gt_i64_e32 vcc, 0, v[24:25]
	v_ashrrev_i32_e32 v23, 31, v23
	; wave barrier
	s_nop 0
	v_xor_b32_e32 v24, vcc_hi, v23
	v_xor_b32_e32 v25, vcc_lo, v23
	v_and_b32_e32 v23, v22, v24
	v_and_b32_e32 v22, v33, v25
	v_mbcnt_lo_u32_b32 v24, v22, 0
	v_mbcnt_hi_u32_b32 v47, v23, v24
	v_cmp_eq_u32_e32 vcc, 0, v47
	v_cmp_ne_u64_e64 s[0:1], 0, v[22:23]
	s_and_b64 s[2:3], s[0:1], vcc
	s_and_saveexec_b64 s[0:1], s[2:3]
	s_cbranch_execz .LBB110_137
; %bb.136:
	v_bcnt_u32_b32 v22, v22, 0
	v_bcnt_u32_b32 v22, v23, v22
	s_waitcnt lgkmcnt(0)
	v_add_u32_e32 v22, v45, v22
	ds_write_b32 v48, v22 offset:64
.LBB110_137:
	s_or_b64 exec, exec, s[0:1]
	; wave barrier
	s_waitcnt lgkmcnt(0)
	s_barrier
	ds_read2_b32 v[24:25], v1 offset0:16 offset1:17
	ds_read2_b32 v[22:23], v1 offset0:18 offset1:19
	ds_read_b32 v33, v1 offset:80
	v_cmp_lt_u32_e64 s[6:7], 31, v26
	s_waitcnt lgkmcnt(1)
	v_add3_u32 v49, v25, v24, v22
	s_waitcnt lgkmcnt(0)
	v_add3_u32 v33, v49, v23, v33
	v_and_b32_e32 v49, 15, v26
	v_cmp_eq_u32_e32 vcc, 0, v49
	v_mov_b32_dpp v50, v33 row_shr:1 row_mask:0xf bank_mask:0xf
	v_cmp_lt_u32_e64 s[0:1], 1, v49
	v_cndmask_b32_e64 v50, v50, 0, vcc
	v_add_u32_e32 v33, v50, v33
	v_cmp_lt_u32_e64 s[2:3], 3, v49
	v_cmp_lt_u32_e64 s[4:5], 7, v49
	v_mov_b32_dpp v50, v33 row_shr:2 row_mask:0xf bank_mask:0xf
	v_cndmask_b32_e64 v50, 0, v50, s[0:1]
	v_add_u32_e32 v33, v33, v50
	s_nop 1
	v_mov_b32_dpp v50, v33 row_shr:4 row_mask:0xf bank_mask:0xf
	v_cndmask_b32_e64 v50, 0, v50, s[2:3]
	v_add_u32_e32 v33, v33, v50
	s_nop 1
	v_mov_b32_dpp v50, v33 row_shr:8 row_mask:0xf bank_mask:0xf
	v_cndmask_b32_e64 v49, 0, v50, s[4:5]
	v_add_u32_e32 v33, v33, v49
	v_bfe_i32 v50, v26, 4, 1
	s_nop 0
	v_mov_b32_dpp v49, v33 row_bcast:15 row_mask:0xf bank_mask:0xf
	v_and_b32_e32 v49, v50, v49
	v_add_u32_e32 v33, v33, v49
	v_lshrrev_b32_e32 v50, 6, v2
	s_nop 0
	v_mov_b32_dpp v49, v33 row_bcast:31 row_mask:0xf bank_mask:0xf
	v_cndmask_b32_e64 v49, 0, v49, s[6:7]
	v_add_u32_e32 v49, v33, v49
	v_and_b32_e32 v33, 63, v2
	v_cmp_eq_u32_e64 s[6:7], 63, v33
	s_and_saveexec_b64 s[10:11], s[6:7]
; %bb.138:
	v_lshlrev_b32_e32 v33, 2, v50
	ds_write_b32 v33, v49
; %bb.139:
	s_or_b64 exec, exec, s[10:11]
	v_cmp_gt_u32_e64 s[6:7], 16, v2
	v_lshlrev_b32_e32 v33, 2, v2
	s_waitcnt lgkmcnt(0)
	s_barrier
	s_and_saveexec_b64 s[10:11], s[6:7]
	s_cbranch_execz .LBB110_141
; %bb.140:
	ds_read_b32 v51, v33
	s_waitcnt lgkmcnt(0)
	s_nop 0
	v_mov_b32_dpp v52, v51 row_shr:1 row_mask:0xf bank_mask:0xf
	v_cndmask_b32_e64 v52, v52, 0, vcc
	v_add_u32_e32 v51, v52, v51
	s_nop 1
	v_mov_b32_dpp v52, v51 row_shr:2 row_mask:0xf bank_mask:0xf
	v_cndmask_b32_e64 v52, 0, v52, s[0:1]
	v_add_u32_e32 v51, v51, v52
	s_nop 1
	v_mov_b32_dpp v52, v51 row_shr:4 row_mask:0xf bank_mask:0xf
	v_cndmask_b32_e64 v52, 0, v52, s[2:3]
	;; [unrolled: 4-line block ×3, first 2 shown]
	v_add_u32_e32 v51, v51, v52
	ds_write_b32 v33, v51
.LBB110_141:
	s_or_b64 exec, exec, s[10:11]
	v_cmp_lt_u32_e32 vcc, 63, v2
	v_mov_b32_e32 v51, 0
	s_waitcnt lgkmcnt(0)
	s_barrier
	s_and_saveexec_b64 s[0:1], vcc
; %bb.142:
	v_lshl_add_u32 v50, v50, 2, -4
	ds_read_b32 v51, v50
; %bb.143:
	s_or_b64 exec, exec, s[0:1]
	v_subrev_co_u32_e32 v50, vcc, 1, v26
	v_and_b32_e32 v52, 64, v26
	v_cmp_lt_i32_e64 s[0:1], v50, v52
	s_waitcnt lgkmcnt(0)
	v_add_u32_e32 v49, v51, v49
	s_movk_i32 s2, 0x100
	v_cndmask_b32_e64 v26, v50, v26, s[0:1]
	v_lshlrev_b32_e32 v26, 2, v26
	ds_bpermute_b32 v26, v26, v49
	s_movk_i32 s0, 0xff
	s_waitcnt lgkmcnt(0)
	v_cndmask_b32_e32 v26, v26, v51, vcc
	v_cndmask_b32_e64 v26, v26, 0, s[18:19]
	v_add_u32_e32 v24, v26, v24
	v_add_u32_e32 v25, v24, v25
	;; [unrolled: 1-line block ×4, first 2 shown]
	ds_write2_b32 v1, v26, v24 offset0:16 offset1:17
	ds_write2_b32 v1, v25, v22 offset0:18 offset1:19
	ds_write_b32 v1, v23 offset:80
	s_waitcnt lgkmcnt(0)
	s_barrier
	ds_read_b32 v52, v27 offset:64
	ds_read_b32 v1, v30 offset:64
	;; [unrolled: 1-line block ×8, first 2 shown]
	v_cmp_lt_u32_e32 vcc, s0, v2
	v_cmp_gt_u32_e64 s[0:1], s2, v2
                                        ; implicit-def: $vgpr30
                                        ; implicit-def: $vgpr34
	s_and_saveexec_b64 s[4:5], s[0:1]
	s_cbranch_execz .LBB110_147
; %bb.144:
	v_mul_u32_u24_e32 v22, 0x44, v2
	ds_read_b32 v30, v22 offset:64
	v_add_u32_e32 v23, 1, v2
	v_cmp_ne_u32_e64 s[2:3], s2, v23
	v_mov_b32_e32 v22, 0x2000
	s_and_saveexec_b64 s[6:7], s[2:3]
; %bb.145:
	v_mul_u32_u24_e32 v22, 0x44, v23
	ds_read_b32 v22, v22 offset:64
; %bb.146:
	s_or_b64 exec, exec, s[6:7]
	s_waitcnt lgkmcnt(0)
	v_sub_u32_e32 v34, v22, v30
.LBB110_147:
	s_or_b64 exec, exec, s[4:5]
	v_mov_b32_e32 v23, 0
	s_waitcnt lgkmcnt(0)
	s_barrier
	s_and_saveexec_b64 s[2:3], s[0:1]
	s_cbranch_execz .LBB110_157
; %bb.148:
	v_lshl_add_u32 v22, s33, 8, v2
	v_lshl_add_u64 v[24:25], v[22:23], 2, s[38:39]
	v_or_b32_e32 v22, 2.0, v34
	s_mov_b64 s[4:5], 0
	s_brev_b32 s14, -4
	s_mov_b32 s15, s33
	v_mov_b32_e32 v46, 0
	global_store_dword v[24:25], v22, off sc1
                                        ; implicit-def: $sgpr0_sgpr1
	s_branch .LBB110_151
.LBB110_149:                            ;   in Loop: Header=BB110_151 Depth=1
	s_or_b64 exec, exec, s[10:11]
.LBB110_150:                            ;   in Loop: Header=BB110_151 Depth=1
	s_or_b64 exec, exec, s[6:7]
	v_and_b32_e32 v26, 0x3fffffff, v22
	v_add_u32_e32 v46, v26, v46
	v_cmp_gt_i32_e64 s[0:1], -2.0, v22
	s_and_b64 s[6:7], exec, s[0:1]
	s_or_b64 s[4:5], s[6:7], s[4:5]
	s_andn2_b64 exec, exec, s[4:5]
	s_cbranch_execz .LBB110_156
.LBB110_151:                            ; =>This Loop Header: Depth=1
                                        ;     Child Loop BB110_154 Depth 2
	s_or_b64 s[0:1], s[0:1], exec
	s_cmp_eq_u32 s15, 0
	s_cbranch_scc1 .LBB110_155
; %bb.152:                              ;   in Loop: Header=BB110_151 Depth=1
	s_add_i32 s15, s15, -1
	v_lshl_or_b32 v22, s15, 8, v2
	v_lshl_add_u64 v[26:27], v[22:23], 2, s[38:39]
	global_load_dword v22, v[26:27], off sc1
	s_waitcnt vmcnt(0)
	v_cmp_gt_u32_e64 s[0:1], 2.0, v22
	s_and_saveexec_b64 s[6:7], s[0:1]
	s_cbranch_execz .LBB110_150
; %bb.153:                              ;   in Loop: Header=BB110_151 Depth=1
	s_mov_b64 s[10:11], 0
.LBB110_154:                            ;   Parent Loop BB110_151 Depth=1
                                        ; =>  This Inner Loop Header: Depth=2
	global_load_dword v22, v[26:27], off sc1
	s_waitcnt vmcnt(0)
	v_cmp_lt_u32_e64 s[0:1], s14, v22
	s_or_b64 s[10:11], s[0:1], s[10:11]
	s_andn2_b64 exec, exec, s[10:11]
	s_cbranch_execnz .LBB110_154
	s_branch .LBB110_149
.LBB110_155:                            ;   in Loop: Header=BB110_151 Depth=1
                                        ; implicit-def: $sgpr15
	s_and_b64 s[6:7], exec, s[0:1]
	s_or_b64 s[4:5], s[6:7], s[4:5]
	s_andn2_b64 exec, exec, s[4:5]
	s_cbranch_execnz .LBB110_151
.LBB110_156:
	s_or_b64 exec, exec, s[4:5]
	v_add_u32_e32 v22, v46, v34
	v_or_b32_e32 v22, 0x80000000, v22
	global_store_dword v[24:25], v22, off sc1
	global_load_dword v22, v33, s[48:49]
	v_sub_u32_e32 v23, v46, v30
	s_waitcnt vmcnt(0)
	v_add_u32_e32 v22, v23, v22
	ds_write_b32 v33, v22
.LBB110_157:
	s_or_b64 exec, exec, s[2:3]
	v_add_u32_e32 v3, v52, v3
	v_add3_u32 v22, v28, v5, v1
	v_add3_u32 v23, v31, v29, v49
	;; [unrolled: 1-line block ×7, first 2 shown]
	v_mov_b32_e32 v53, 0x400
	s_mov_b32 s2, -1
	s_mov_b32 s6, s52
	s_mov_b32 s7, s13
	s_movk_i32 s10, 0x400
	v_lshl_add_u32 v24, v24, 3, v53
	v_add3_u32 v25, v47, v43, v45
	v_lshl_add_u32 v26, v26, 3, v53
	v_add3_u32 v27, v44, v37, v42
	;; [unrolled: 2-line block ×7, first 2 shown]
	v_lshl_add_u32 v41, v3, 3, v53
	s_mov_b32 s11, 0
	s_mov_b32 s14, 0
	s_movk_i32 s15, 0x800
	v_add_u32_e32 v42, v33, v33
	s_brev_b32 s3, -2
	v_bfrev_b32_e32 v1, 1
	v_mov_b32_e32 v23, 0
	v_mov_b32_e32 v5, v2
	s_mov_b32 s16, 0
	s_branch .LBB110_159
.LBB110_158:                            ;   in Loop: Header=BB110_159 Depth=1
	s_or_b64 exec, exec, s[4:5]
	s_waitcnt lgkmcnt(0)
	s_barrier
	ds_read2st64_b64 v[44:47], v42 offset0:2 offset1:18
	s_addk_i32 s16, 0xc000
	s_addk_i32 s14, 0xf800
	s_waitcnt lgkmcnt(0)
	v_cmp_lt_i64_e64 s[0:1], -1, v[44:45]
	s_nop 1
	v_cndmask_b32_e64 v22, v1, -1, s[0:1]
	v_cmp_lt_i64_e64 s[0:1], -1, v[46:47]
	v_ashrrev_i32_e32 v43, 31, v45
	v_xor_b32_e32 v49, v22, v45
	v_cndmask_b32_e64 v22, v1, -1, s[0:1]
	v_cmp_ne_u64_e64 s[0:1], s[2:3], v[46:47]
	v_not_b32_e32 v43, v43
	v_xor_b32_e32 v48, v43, v44
	v_cndmask_b32_e64 v53, v1, v47, s[0:1]
	v_cndmask_b32_e64 v52, 0, v46, s[0:1]
	v_cmp_ne_u64_e64 s[0:1], s[2:3], v[44:45]
	v_lshrrev_b64 v[52:53], s6, v[52:53]
	v_xor_b32_e32 v51, v22, v47
	v_cndmask_b32_e64 v45, v1, v45, s[0:1]
	v_cndmask_b32_e64 v44, 0, v44, s[0:1]
	v_lshrrev_b64 v[44:45], s52, v[44:45]
	v_and_b32_e32 v44, s13, v44
	v_lshlrev_b32_e32 v22, 2, v44
	v_and_b32_e32 v45, s7, v52
	v_ashrrev_i32_e32 v43, 31, v47
	ds_read_b32 v22, v22
	v_lshlrev_b32_e32 v47, 2, v45
	ds_read_b32 v52, v47
	v_not_b32_e32 v43, v43
	v_xor_b32_e32 v50, v43, v46
	s_waitcnt lgkmcnt(1)
	v_add_u32_e32 v22, v5, v22
	v_lshl_add_u64 v[46:47], v[22:23], 3, s[42:43]
	s_waitcnt lgkmcnt(0)
	v_add3_u32 v22, v5, v52, s10
	global_store_dwordx2 v[46:47], v[48:49], off
	v_lshl_add_u64 v[46:47], v[22:23], 3, s[42:43]
	global_store_dwordx2 v[46:47], v[50:51], off
	scratch_store_dwordx2 off, v[44:45], s11
	s_add_i32 s11, s11, 8
	s_cmp_eq_u32 s16, 0xffff0000
	v_add_u32_e32 v5, 0x800, v5
	s_barrier
	s_cbranch_scc1 .LBB110_175
.LBB110_159:                            ; =>This Inner Loop Header: Depth=1
	v_add_u32_e32 v22, s14, v3
	v_cmp_gt_u32_e64 s[0:1], s15, v22
	s_and_saveexec_b64 s[4:5], s[0:1]
; %bb.160:                              ;   in Loop: Header=BB110_159 Depth=1
	v_add_u32_e32 v22, s16, v41
	ds_write_b64 v22, v[6:7]
; %bb.161:                              ;   in Loop: Header=BB110_159 Depth=1
	s_or_b64 exec, exec, s[4:5]
	v_add_u32_e32 v22, s14, v28
	v_cmp_gt_u32_e64 s[0:1], s15, v22
	s_and_saveexec_b64 s[4:5], s[0:1]
; %bb.162:                              ;   in Loop: Header=BB110_159 Depth=1
	v_add_u32_e32 v22, s16, v31
	ds_write_b64 v22, v[8:9]
; %bb.163:                              ;   in Loop: Header=BB110_159 Depth=1
	s_or_b64 exec, exec, s[4:5]
	;; [unrolled: 8-line block ×7, first 2 shown]
	v_add_u32_e32 v22, s14, v25
	v_cmp_gt_u32_e64 s[0:1], s15, v22
	s_and_saveexec_b64 s[4:5], s[0:1]
	s_cbranch_execz .LBB110_158
; %bb.174:                              ;   in Loop: Header=BB110_159 Depth=1
	v_add_u32_e32 v22, s16, v24
	ds_write_b64 v22, v[16:17]
	s_branch .LBB110_158
.LBB110_175:
	s_add_u32 s0, s44, s8
	s_addc_u32 s1, s45, s9
	v_mov_b32_e32 v1, 0
	v_lshl_add_u64 v[6:7], s[0:1], 0, v[0:1]
	v_mov_b32_e32 v5, v1
	v_lshl_add_u64 v[20:21], v[6:7], 0, v[4:5]
	global_load_dwordx2 v[4:5], v[20:21], off
	global_load_dwordx2 v[6:7], v[20:21], off offset:512
	global_load_dwordx2 v[8:9], v[20:21], off offset:1024
	global_load_dwordx2 v[10:11], v[20:21], off offset:1536
	global_load_dwordx2 v[12:13], v[20:21], off offset:2048
	global_load_dwordx2 v[14:15], v[20:21], off offset:2560
	global_load_dwordx2 v[16:17], v[20:21], off offset:3072
	global_load_dwordx2 v[18:19], v[20:21], off offset:3584
	s_mov_b32 s4, 0
	s_mov_b32 s5, 0
	s_movk_i32 s6, 0x800
	s_movk_i32 s7, 0x400
	s_mov_b32 s8, 0
	s_branch .LBB110_177
.LBB110_176:                            ;   in Loop: Header=BB110_177 Depth=1
	s_or_b64 exec, exec, s[2:3]
	s_waitcnt lgkmcnt(0)
	s_barrier
	scratch_load_dwordx2 v[44:45], off, s4
	ds_read2st64_b64 v[20:23], v42 offset0:2 offset1:18
	s_addk_i32 s8, 0xc000
	s_addk_i32 s5, 0xf800
	s_add_i32 s4, s4, 8
	s_cmp_eq_u32 s8, 0xffff0000
	s_waitcnt vmcnt(0)
	v_lshlrev_b32_e32 v0, 2, v44
	ds_read_b32 v0, v0
	v_lshlrev_b32_e32 v43, 2, v45
	ds_read_b32 v43, v43
	s_waitcnt lgkmcnt(1)
	v_add_u32_e32 v0, v2, v0
	v_lshl_add_u64 v[44:45], v[0:1], 3, s[46:47]
	s_waitcnt lgkmcnt(0)
	v_add3_u32 v0, v2, v43, s7
	global_store_dwordx2 v[44:45], v[20:21], off
	v_lshl_add_u64 v[20:21], v[0:1], 3, s[46:47]
	v_add_u32_e32 v2, 0x800, v2
	global_store_dwordx2 v[20:21], v[22:23], off
	s_barrier
	s_cbranch_scc1 .LBB110_193
.LBB110_177:                            ; =>This Inner Loop Header: Depth=1
	v_add_u32_e32 v0, s5, v3
	v_cmp_gt_u32_e64 s[0:1], s6, v0
	s_and_saveexec_b64 s[2:3], s[0:1]
	s_cbranch_execz .LBB110_179
; %bb.178:                              ;   in Loop: Header=BB110_177 Depth=1
	v_add_u32_e32 v0, s8, v41
	s_waitcnt vmcnt(7)
	ds_write_b64 v0, v[4:5]
.LBB110_179:                            ;   in Loop: Header=BB110_177 Depth=1
	s_or_b64 exec, exec, s[2:3]
	v_add_u32_e32 v0, s5, v28
	v_cmp_gt_u32_e64 s[0:1], s6, v0
	s_and_saveexec_b64 s[2:3], s[0:1]
	s_cbranch_execz .LBB110_181
; %bb.180:                              ;   in Loop: Header=BB110_177 Depth=1
	v_add_u32_e32 v0, s8, v31
	s_waitcnt vmcnt(6)
	ds_write_b64 v0, v[6:7]
.LBB110_181:                            ;   in Loop: Header=BB110_177 Depth=1
	s_or_b64 exec, exec, s[2:3]
	;; [unrolled: 10-line block ×7, first 2 shown]
	v_add_u32_e32 v0, s5, v25
	v_cmp_gt_u32_e64 s[0:1], s6, v0
	s_and_saveexec_b64 s[2:3], s[0:1]
	s_cbranch_execz .LBB110_176
; %bb.192:                              ;   in Loop: Header=BB110_177 Depth=1
	v_add_u32_e32 v0, s8, v24
	s_waitcnt vmcnt(0)
	ds_write_b64 v0, v[18:19]
	s_branch .LBB110_176
.LBB110_193:
	s_add_i32 s12, s12, -1
	s_cmp_eq_u32 s33, s12
	s_cselect_b64 s[0:1], -1, 0
	s_xor_b64 s[2:3], vcc, -1
	s_and_b64 s[0:1], s[2:3], s[0:1]
	s_and_saveexec_b64 s[2:3], s[0:1]
	s_cbranch_execz .LBB110_195
; %bb.194:
	ds_read_b32 v0, v33
	s_waitcnt lgkmcnt(0)
	v_add3_u32 v0, v30, v34, v0
	global_store_dword v33, v0, s[50:51]
.LBB110_195:
	s_endpgm
	.section	.rodata,"a",@progbits
	.p2align	6, 0x0
	.amdhsa_kernel _ZN7rocprim17ROCPRIM_400000_NS6detail17trampoline_kernelINS0_14default_configENS1_35radix_sort_onesweep_config_selectorIddEEZZNS1_29radix_sort_onesweep_iterationIS3_Lb0EN6thrust23THRUST_200600_302600_NS6detail15normal_iteratorINS8_10device_ptrIdEEEESD_SD_SD_jNS0_19identity_decomposerENS1_16block_id_wrapperIjLb1EEEEE10hipError_tT1_PNSt15iterator_traitsISI_E10value_typeET2_T3_PNSJ_ISO_E10value_typeET4_T5_PST_SU_PNS1_23onesweep_lookback_stateEbbT6_jjT7_P12ihipStream_tbENKUlT_T0_SI_SN_E_clISD_SD_SD_SD_EEDaS11_S12_SI_SN_EUlS11_E_NS1_11comp_targetILNS1_3genE6ELNS1_11target_archE950ELNS1_3gpuE13ELNS1_3repE0EEENS1_47radix_sort_onesweep_sort_config_static_selectorELNS0_4arch9wavefront6targetE1EEEvSI_
		.amdhsa_group_segment_fixed_size 53328
		.amdhsa_private_segment_fixed_size 48
		.amdhsa_kernarg_size 344
		.amdhsa_user_sgpr_count 4
		.amdhsa_user_sgpr_dispatch_ptr 1
		.amdhsa_user_sgpr_queue_ptr 0
		.amdhsa_user_sgpr_kernarg_segment_ptr 1
		.amdhsa_user_sgpr_dispatch_id 0
		.amdhsa_user_sgpr_kernarg_preload_length 0
		.amdhsa_user_sgpr_kernarg_preload_offset 0
		.amdhsa_user_sgpr_private_segment_size 0
		.amdhsa_uses_dynamic_stack 0
		.amdhsa_enable_private_segment 1
		.amdhsa_system_sgpr_workgroup_id_x 1
		.amdhsa_system_sgpr_workgroup_id_y 0
		.amdhsa_system_sgpr_workgroup_id_z 0
		.amdhsa_system_sgpr_workgroup_info 0
		.amdhsa_system_vgpr_workitem_id 2
		.amdhsa_next_free_vgpr 58
		.amdhsa_next_free_sgpr 59
		.amdhsa_accum_offset 60
		.amdhsa_reserve_vcc 1
		.amdhsa_float_round_mode_32 0
		.amdhsa_float_round_mode_16_64 0
		.amdhsa_float_denorm_mode_32 3
		.amdhsa_float_denorm_mode_16_64 3
		.amdhsa_dx10_clamp 1
		.amdhsa_ieee_mode 1
		.amdhsa_fp16_overflow 0
		.amdhsa_tg_split 0
		.amdhsa_exception_fp_ieee_invalid_op 0
		.amdhsa_exception_fp_denorm_src 0
		.amdhsa_exception_fp_ieee_div_zero 0
		.amdhsa_exception_fp_ieee_overflow 0
		.amdhsa_exception_fp_ieee_underflow 0
		.amdhsa_exception_fp_ieee_inexact 0
		.amdhsa_exception_int_div_zero 0
	.end_amdhsa_kernel
	.section	.text._ZN7rocprim17ROCPRIM_400000_NS6detail17trampoline_kernelINS0_14default_configENS1_35radix_sort_onesweep_config_selectorIddEEZZNS1_29radix_sort_onesweep_iterationIS3_Lb0EN6thrust23THRUST_200600_302600_NS6detail15normal_iteratorINS8_10device_ptrIdEEEESD_SD_SD_jNS0_19identity_decomposerENS1_16block_id_wrapperIjLb1EEEEE10hipError_tT1_PNSt15iterator_traitsISI_E10value_typeET2_T3_PNSJ_ISO_E10value_typeET4_T5_PST_SU_PNS1_23onesweep_lookback_stateEbbT6_jjT7_P12ihipStream_tbENKUlT_T0_SI_SN_E_clISD_SD_SD_SD_EEDaS11_S12_SI_SN_EUlS11_E_NS1_11comp_targetILNS1_3genE6ELNS1_11target_archE950ELNS1_3gpuE13ELNS1_3repE0EEENS1_47radix_sort_onesweep_sort_config_static_selectorELNS0_4arch9wavefront6targetE1EEEvSI_,"axG",@progbits,_ZN7rocprim17ROCPRIM_400000_NS6detail17trampoline_kernelINS0_14default_configENS1_35radix_sort_onesweep_config_selectorIddEEZZNS1_29radix_sort_onesweep_iterationIS3_Lb0EN6thrust23THRUST_200600_302600_NS6detail15normal_iteratorINS8_10device_ptrIdEEEESD_SD_SD_jNS0_19identity_decomposerENS1_16block_id_wrapperIjLb1EEEEE10hipError_tT1_PNSt15iterator_traitsISI_E10value_typeET2_T3_PNSJ_ISO_E10value_typeET4_T5_PST_SU_PNS1_23onesweep_lookback_stateEbbT6_jjT7_P12ihipStream_tbENKUlT_T0_SI_SN_E_clISD_SD_SD_SD_EEDaS11_S12_SI_SN_EUlS11_E_NS1_11comp_targetILNS1_3genE6ELNS1_11target_archE950ELNS1_3gpuE13ELNS1_3repE0EEENS1_47radix_sort_onesweep_sort_config_static_selectorELNS0_4arch9wavefront6targetE1EEEvSI_,comdat
.Lfunc_end110:
	.size	_ZN7rocprim17ROCPRIM_400000_NS6detail17trampoline_kernelINS0_14default_configENS1_35radix_sort_onesweep_config_selectorIddEEZZNS1_29radix_sort_onesweep_iterationIS3_Lb0EN6thrust23THRUST_200600_302600_NS6detail15normal_iteratorINS8_10device_ptrIdEEEESD_SD_SD_jNS0_19identity_decomposerENS1_16block_id_wrapperIjLb1EEEEE10hipError_tT1_PNSt15iterator_traitsISI_E10value_typeET2_T3_PNSJ_ISO_E10value_typeET4_T5_PST_SU_PNS1_23onesweep_lookback_stateEbbT6_jjT7_P12ihipStream_tbENKUlT_T0_SI_SN_E_clISD_SD_SD_SD_EEDaS11_S12_SI_SN_EUlS11_E_NS1_11comp_targetILNS1_3genE6ELNS1_11target_archE950ELNS1_3gpuE13ELNS1_3repE0EEENS1_47radix_sort_onesweep_sort_config_static_selectorELNS0_4arch9wavefront6targetE1EEEvSI_, .Lfunc_end110-_ZN7rocprim17ROCPRIM_400000_NS6detail17trampoline_kernelINS0_14default_configENS1_35radix_sort_onesweep_config_selectorIddEEZZNS1_29radix_sort_onesweep_iterationIS3_Lb0EN6thrust23THRUST_200600_302600_NS6detail15normal_iteratorINS8_10device_ptrIdEEEESD_SD_SD_jNS0_19identity_decomposerENS1_16block_id_wrapperIjLb1EEEEE10hipError_tT1_PNSt15iterator_traitsISI_E10value_typeET2_T3_PNSJ_ISO_E10value_typeET4_T5_PST_SU_PNS1_23onesweep_lookback_stateEbbT6_jjT7_P12ihipStream_tbENKUlT_T0_SI_SN_E_clISD_SD_SD_SD_EEDaS11_S12_SI_SN_EUlS11_E_NS1_11comp_targetILNS1_3genE6ELNS1_11target_archE950ELNS1_3gpuE13ELNS1_3repE0EEENS1_47radix_sort_onesweep_sort_config_static_selectorELNS0_4arch9wavefront6targetE1EEEvSI_
                                        ; -- End function
	.set _ZN7rocprim17ROCPRIM_400000_NS6detail17trampoline_kernelINS0_14default_configENS1_35radix_sort_onesweep_config_selectorIddEEZZNS1_29radix_sort_onesweep_iterationIS3_Lb0EN6thrust23THRUST_200600_302600_NS6detail15normal_iteratorINS8_10device_ptrIdEEEESD_SD_SD_jNS0_19identity_decomposerENS1_16block_id_wrapperIjLb1EEEEE10hipError_tT1_PNSt15iterator_traitsISI_E10value_typeET2_T3_PNSJ_ISO_E10value_typeET4_T5_PST_SU_PNS1_23onesweep_lookback_stateEbbT6_jjT7_P12ihipStream_tbENKUlT_T0_SI_SN_E_clISD_SD_SD_SD_EEDaS11_S12_SI_SN_EUlS11_E_NS1_11comp_targetILNS1_3genE6ELNS1_11target_archE950ELNS1_3gpuE13ELNS1_3repE0EEENS1_47radix_sort_onesweep_sort_config_static_selectorELNS0_4arch9wavefront6targetE1EEEvSI_.num_vgpr, 58
	.set _ZN7rocprim17ROCPRIM_400000_NS6detail17trampoline_kernelINS0_14default_configENS1_35radix_sort_onesweep_config_selectorIddEEZZNS1_29radix_sort_onesweep_iterationIS3_Lb0EN6thrust23THRUST_200600_302600_NS6detail15normal_iteratorINS8_10device_ptrIdEEEESD_SD_SD_jNS0_19identity_decomposerENS1_16block_id_wrapperIjLb1EEEEE10hipError_tT1_PNSt15iterator_traitsISI_E10value_typeET2_T3_PNSJ_ISO_E10value_typeET4_T5_PST_SU_PNS1_23onesweep_lookback_stateEbbT6_jjT7_P12ihipStream_tbENKUlT_T0_SI_SN_E_clISD_SD_SD_SD_EEDaS11_S12_SI_SN_EUlS11_E_NS1_11comp_targetILNS1_3genE6ELNS1_11target_archE950ELNS1_3gpuE13ELNS1_3repE0EEENS1_47radix_sort_onesweep_sort_config_static_selectorELNS0_4arch9wavefront6targetE1EEEvSI_.num_agpr, 0
	.set _ZN7rocprim17ROCPRIM_400000_NS6detail17trampoline_kernelINS0_14default_configENS1_35radix_sort_onesweep_config_selectorIddEEZZNS1_29radix_sort_onesweep_iterationIS3_Lb0EN6thrust23THRUST_200600_302600_NS6detail15normal_iteratorINS8_10device_ptrIdEEEESD_SD_SD_jNS0_19identity_decomposerENS1_16block_id_wrapperIjLb1EEEEE10hipError_tT1_PNSt15iterator_traitsISI_E10value_typeET2_T3_PNSJ_ISO_E10value_typeET4_T5_PST_SU_PNS1_23onesweep_lookback_stateEbbT6_jjT7_P12ihipStream_tbENKUlT_T0_SI_SN_E_clISD_SD_SD_SD_EEDaS11_S12_SI_SN_EUlS11_E_NS1_11comp_targetILNS1_3genE6ELNS1_11target_archE950ELNS1_3gpuE13ELNS1_3repE0EEENS1_47radix_sort_onesweep_sort_config_static_selectorELNS0_4arch9wavefront6targetE1EEEvSI_.numbered_sgpr, 59
	.set _ZN7rocprim17ROCPRIM_400000_NS6detail17trampoline_kernelINS0_14default_configENS1_35radix_sort_onesweep_config_selectorIddEEZZNS1_29radix_sort_onesweep_iterationIS3_Lb0EN6thrust23THRUST_200600_302600_NS6detail15normal_iteratorINS8_10device_ptrIdEEEESD_SD_SD_jNS0_19identity_decomposerENS1_16block_id_wrapperIjLb1EEEEE10hipError_tT1_PNSt15iterator_traitsISI_E10value_typeET2_T3_PNSJ_ISO_E10value_typeET4_T5_PST_SU_PNS1_23onesweep_lookback_stateEbbT6_jjT7_P12ihipStream_tbENKUlT_T0_SI_SN_E_clISD_SD_SD_SD_EEDaS11_S12_SI_SN_EUlS11_E_NS1_11comp_targetILNS1_3genE6ELNS1_11target_archE950ELNS1_3gpuE13ELNS1_3repE0EEENS1_47radix_sort_onesweep_sort_config_static_selectorELNS0_4arch9wavefront6targetE1EEEvSI_.num_named_barrier, 0
	.set _ZN7rocprim17ROCPRIM_400000_NS6detail17trampoline_kernelINS0_14default_configENS1_35radix_sort_onesweep_config_selectorIddEEZZNS1_29radix_sort_onesweep_iterationIS3_Lb0EN6thrust23THRUST_200600_302600_NS6detail15normal_iteratorINS8_10device_ptrIdEEEESD_SD_SD_jNS0_19identity_decomposerENS1_16block_id_wrapperIjLb1EEEEE10hipError_tT1_PNSt15iterator_traitsISI_E10value_typeET2_T3_PNSJ_ISO_E10value_typeET4_T5_PST_SU_PNS1_23onesweep_lookback_stateEbbT6_jjT7_P12ihipStream_tbENKUlT_T0_SI_SN_E_clISD_SD_SD_SD_EEDaS11_S12_SI_SN_EUlS11_E_NS1_11comp_targetILNS1_3genE6ELNS1_11target_archE950ELNS1_3gpuE13ELNS1_3repE0EEENS1_47radix_sort_onesweep_sort_config_static_selectorELNS0_4arch9wavefront6targetE1EEEvSI_.private_seg_size, 48
	.set _ZN7rocprim17ROCPRIM_400000_NS6detail17trampoline_kernelINS0_14default_configENS1_35radix_sort_onesweep_config_selectorIddEEZZNS1_29radix_sort_onesweep_iterationIS3_Lb0EN6thrust23THRUST_200600_302600_NS6detail15normal_iteratorINS8_10device_ptrIdEEEESD_SD_SD_jNS0_19identity_decomposerENS1_16block_id_wrapperIjLb1EEEEE10hipError_tT1_PNSt15iterator_traitsISI_E10value_typeET2_T3_PNSJ_ISO_E10value_typeET4_T5_PST_SU_PNS1_23onesweep_lookback_stateEbbT6_jjT7_P12ihipStream_tbENKUlT_T0_SI_SN_E_clISD_SD_SD_SD_EEDaS11_S12_SI_SN_EUlS11_E_NS1_11comp_targetILNS1_3genE6ELNS1_11target_archE950ELNS1_3gpuE13ELNS1_3repE0EEENS1_47radix_sort_onesweep_sort_config_static_selectorELNS0_4arch9wavefront6targetE1EEEvSI_.uses_vcc, 1
	.set _ZN7rocprim17ROCPRIM_400000_NS6detail17trampoline_kernelINS0_14default_configENS1_35radix_sort_onesweep_config_selectorIddEEZZNS1_29radix_sort_onesweep_iterationIS3_Lb0EN6thrust23THRUST_200600_302600_NS6detail15normal_iteratorINS8_10device_ptrIdEEEESD_SD_SD_jNS0_19identity_decomposerENS1_16block_id_wrapperIjLb1EEEEE10hipError_tT1_PNSt15iterator_traitsISI_E10value_typeET2_T3_PNSJ_ISO_E10value_typeET4_T5_PST_SU_PNS1_23onesweep_lookback_stateEbbT6_jjT7_P12ihipStream_tbENKUlT_T0_SI_SN_E_clISD_SD_SD_SD_EEDaS11_S12_SI_SN_EUlS11_E_NS1_11comp_targetILNS1_3genE6ELNS1_11target_archE950ELNS1_3gpuE13ELNS1_3repE0EEENS1_47radix_sort_onesweep_sort_config_static_selectorELNS0_4arch9wavefront6targetE1EEEvSI_.uses_flat_scratch, 0
	.set _ZN7rocprim17ROCPRIM_400000_NS6detail17trampoline_kernelINS0_14default_configENS1_35radix_sort_onesweep_config_selectorIddEEZZNS1_29radix_sort_onesweep_iterationIS3_Lb0EN6thrust23THRUST_200600_302600_NS6detail15normal_iteratorINS8_10device_ptrIdEEEESD_SD_SD_jNS0_19identity_decomposerENS1_16block_id_wrapperIjLb1EEEEE10hipError_tT1_PNSt15iterator_traitsISI_E10value_typeET2_T3_PNSJ_ISO_E10value_typeET4_T5_PST_SU_PNS1_23onesweep_lookback_stateEbbT6_jjT7_P12ihipStream_tbENKUlT_T0_SI_SN_E_clISD_SD_SD_SD_EEDaS11_S12_SI_SN_EUlS11_E_NS1_11comp_targetILNS1_3genE6ELNS1_11target_archE950ELNS1_3gpuE13ELNS1_3repE0EEENS1_47radix_sort_onesweep_sort_config_static_selectorELNS0_4arch9wavefront6targetE1EEEvSI_.has_dyn_sized_stack, 0
	.set _ZN7rocprim17ROCPRIM_400000_NS6detail17trampoline_kernelINS0_14default_configENS1_35radix_sort_onesweep_config_selectorIddEEZZNS1_29radix_sort_onesweep_iterationIS3_Lb0EN6thrust23THRUST_200600_302600_NS6detail15normal_iteratorINS8_10device_ptrIdEEEESD_SD_SD_jNS0_19identity_decomposerENS1_16block_id_wrapperIjLb1EEEEE10hipError_tT1_PNSt15iterator_traitsISI_E10value_typeET2_T3_PNSJ_ISO_E10value_typeET4_T5_PST_SU_PNS1_23onesweep_lookback_stateEbbT6_jjT7_P12ihipStream_tbENKUlT_T0_SI_SN_E_clISD_SD_SD_SD_EEDaS11_S12_SI_SN_EUlS11_E_NS1_11comp_targetILNS1_3genE6ELNS1_11target_archE950ELNS1_3gpuE13ELNS1_3repE0EEENS1_47radix_sort_onesweep_sort_config_static_selectorELNS0_4arch9wavefront6targetE1EEEvSI_.has_recursion, 0
	.set _ZN7rocprim17ROCPRIM_400000_NS6detail17trampoline_kernelINS0_14default_configENS1_35radix_sort_onesweep_config_selectorIddEEZZNS1_29radix_sort_onesweep_iterationIS3_Lb0EN6thrust23THRUST_200600_302600_NS6detail15normal_iteratorINS8_10device_ptrIdEEEESD_SD_SD_jNS0_19identity_decomposerENS1_16block_id_wrapperIjLb1EEEEE10hipError_tT1_PNSt15iterator_traitsISI_E10value_typeET2_T3_PNSJ_ISO_E10value_typeET4_T5_PST_SU_PNS1_23onesweep_lookback_stateEbbT6_jjT7_P12ihipStream_tbENKUlT_T0_SI_SN_E_clISD_SD_SD_SD_EEDaS11_S12_SI_SN_EUlS11_E_NS1_11comp_targetILNS1_3genE6ELNS1_11target_archE950ELNS1_3gpuE13ELNS1_3repE0EEENS1_47radix_sort_onesweep_sort_config_static_selectorELNS0_4arch9wavefront6targetE1EEEvSI_.has_indirect_call, 0
	.section	.AMDGPU.csdata,"",@progbits
; Kernel info:
; codeLenInByte = 13844
; TotalNumSgprs: 65
; NumVgprs: 58
; NumAgprs: 0
; TotalNumVgprs: 58
; ScratchSize: 48
; MemoryBound: 0
; FloatMode: 240
; IeeeMode: 1
; LDSByteSize: 53328 bytes/workgroup (compile time only)
; SGPRBlocks: 8
; VGPRBlocks: 7
; NumSGPRsForWavesPerEU: 65
; NumVGPRsForWavesPerEU: 58
; AccumOffset: 60
; Occupancy: 8
; WaveLimiterHint : 1
; COMPUTE_PGM_RSRC2:SCRATCH_EN: 1
; COMPUTE_PGM_RSRC2:USER_SGPR: 4
; COMPUTE_PGM_RSRC2:TRAP_HANDLER: 0
; COMPUTE_PGM_RSRC2:TGID_X_EN: 1
; COMPUTE_PGM_RSRC2:TGID_Y_EN: 0
; COMPUTE_PGM_RSRC2:TGID_Z_EN: 0
; COMPUTE_PGM_RSRC2:TIDIG_COMP_CNT: 2
; COMPUTE_PGM_RSRC3_GFX90A:ACCUM_OFFSET: 14
; COMPUTE_PGM_RSRC3_GFX90A:TG_SPLIT: 0
	.section	.text._ZN7rocprim17ROCPRIM_400000_NS6detail17trampoline_kernelINS0_14default_configENS1_35radix_sort_onesweep_config_selectorIddEEZZNS1_29radix_sort_onesweep_iterationIS3_Lb0EN6thrust23THRUST_200600_302600_NS6detail15normal_iteratorINS8_10device_ptrIdEEEESD_SD_SD_jNS0_19identity_decomposerENS1_16block_id_wrapperIjLb1EEEEE10hipError_tT1_PNSt15iterator_traitsISI_E10value_typeET2_T3_PNSJ_ISO_E10value_typeET4_T5_PST_SU_PNS1_23onesweep_lookback_stateEbbT6_jjT7_P12ihipStream_tbENKUlT_T0_SI_SN_E_clISD_SD_SD_SD_EEDaS11_S12_SI_SN_EUlS11_E_NS1_11comp_targetILNS1_3genE5ELNS1_11target_archE942ELNS1_3gpuE9ELNS1_3repE0EEENS1_47radix_sort_onesweep_sort_config_static_selectorELNS0_4arch9wavefront6targetE1EEEvSI_,"axG",@progbits,_ZN7rocprim17ROCPRIM_400000_NS6detail17trampoline_kernelINS0_14default_configENS1_35radix_sort_onesweep_config_selectorIddEEZZNS1_29radix_sort_onesweep_iterationIS3_Lb0EN6thrust23THRUST_200600_302600_NS6detail15normal_iteratorINS8_10device_ptrIdEEEESD_SD_SD_jNS0_19identity_decomposerENS1_16block_id_wrapperIjLb1EEEEE10hipError_tT1_PNSt15iterator_traitsISI_E10value_typeET2_T3_PNSJ_ISO_E10value_typeET4_T5_PST_SU_PNS1_23onesweep_lookback_stateEbbT6_jjT7_P12ihipStream_tbENKUlT_T0_SI_SN_E_clISD_SD_SD_SD_EEDaS11_S12_SI_SN_EUlS11_E_NS1_11comp_targetILNS1_3genE5ELNS1_11target_archE942ELNS1_3gpuE9ELNS1_3repE0EEENS1_47radix_sort_onesweep_sort_config_static_selectorELNS0_4arch9wavefront6targetE1EEEvSI_,comdat
	.protected	_ZN7rocprim17ROCPRIM_400000_NS6detail17trampoline_kernelINS0_14default_configENS1_35radix_sort_onesweep_config_selectorIddEEZZNS1_29radix_sort_onesweep_iterationIS3_Lb0EN6thrust23THRUST_200600_302600_NS6detail15normal_iteratorINS8_10device_ptrIdEEEESD_SD_SD_jNS0_19identity_decomposerENS1_16block_id_wrapperIjLb1EEEEE10hipError_tT1_PNSt15iterator_traitsISI_E10value_typeET2_T3_PNSJ_ISO_E10value_typeET4_T5_PST_SU_PNS1_23onesweep_lookback_stateEbbT6_jjT7_P12ihipStream_tbENKUlT_T0_SI_SN_E_clISD_SD_SD_SD_EEDaS11_S12_SI_SN_EUlS11_E_NS1_11comp_targetILNS1_3genE5ELNS1_11target_archE942ELNS1_3gpuE9ELNS1_3repE0EEENS1_47radix_sort_onesweep_sort_config_static_selectorELNS0_4arch9wavefront6targetE1EEEvSI_ ; -- Begin function _ZN7rocprim17ROCPRIM_400000_NS6detail17trampoline_kernelINS0_14default_configENS1_35radix_sort_onesweep_config_selectorIddEEZZNS1_29radix_sort_onesweep_iterationIS3_Lb0EN6thrust23THRUST_200600_302600_NS6detail15normal_iteratorINS8_10device_ptrIdEEEESD_SD_SD_jNS0_19identity_decomposerENS1_16block_id_wrapperIjLb1EEEEE10hipError_tT1_PNSt15iterator_traitsISI_E10value_typeET2_T3_PNSJ_ISO_E10value_typeET4_T5_PST_SU_PNS1_23onesweep_lookback_stateEbbT6_jjT7_P12ihipStream_tbENKUlT_T0_SI_SN_E_clISD_SD_SD_SD_EEDaS11_S12_SI_SN_EUlS11_E_NS1_11comp_targetILNS1_3genE5ELNS1_11target_archE942ELNS1_3gpuE9ELNS1_3repE0EEENS1_47radix_sort_onesweep_sort_config_static_selectorELNS0_4arch9wavefront6targetE1EEEvSI_
	.globl	_ZN7rocprim17ROCPRIM_400000_NS6detail17trampoline_kernelINS0_14default_configENS1_35radix_sort_onesweep_config_selectorIddEEZZNS1_29radix_sort_onesweep_iterationIS3_Lb0EN6thrust23THRUST_200600_302600_NS6detail15normal_iteratorINS8_10device_ptrIdEEEESD_SD_SD_jNS0_19identity_decomposerENS1_16block_id_wrapperIjLb1EEEEE10hipError_tT1_PNSt15iterator_traitsISI_E10value_typeET2_T3_PNSJ_ISO_E10value_typeET4_T5_PST_SU_PNS1_23onesweep_lookback_stateEbbT6_jjT7_P12ihipStream_tbENKUlT_T0_SI_SN_E_clISD_SD_SD_SD_EEDaS11_S12_SI_SN_EUlS11_E_NS1_11comp_targetILNS1_3genE5ELNS1_11target_archE942ELNS1_3gpuE9ELNS1_3repE0EEENS1_47radix_sort_onesweep_sort_config_static_selectorELNS0_4arch9wavefront6targetE1EEEvSI_
	.p2align	8
	.type	_ZN7rocprim17ROCPRIM_400000_NS6detail17trampoline_kernelINS0_14default_configENS1_35radix_sort_onesweep_config_selectorIddEEZZNS1_29radix_sort_onesweep_iterationIS3_Lb0EN6thrust23THRUST_200600_302600_NS6detail15normal_iteratorINS8_10device_ptrIdEEEESD_SD_SD_jNS0_19identity_decomposerENS1_16block_id_wrapperIjLb1EEEEE10hipError_tT1_PNSt15iterator_traitsISI_E10value_typeET2_T3_PNSJ_ISO_E10value_typeET4_T5_PST_SU_PNS1_23onesweep_lookback_stateEbbT6_jjT7_P12ihipStream_tbENKUlT_T0_SI_SN_E_clISD_SD_SD_SD_EEDaS11_S12_SI_SN_EUlS11_E_NS1_11comp_targetILNS1_3genE5ELNS1_11target_archE942ELNS1_3gpuE9ELNS1_3repE0EEENS1_47radix_sort_onesweep_sort_config_static_selectorELNS0_4arch9wavefront6targetE1EEEvSI_,@function
_ZN7rocprim17ROCPRIM_400000_NS6detail17trampoline_kernelINS0_14default_configENS1_35radix_sort_onesweep_config_selectorIddEEZZNS1_29radix_sort_onesweep_iterationIS3_Lb0EN6thrust23THRUST_200600_302600_NS6detail15normal_iteratorINS8_10device_ptrIdEEEESD_SD_SD_jNS0_19identity_decomposerENS1_16block_id_wrapperIjLb1EEEEE10hipError_tT1_PNSt15iterator_traitsISI_E10value_typeET2_T3_PNSJ_ISO_E10value_typeET4_T5_PST_SU_PNS1_23onesweep_lookback_stateEbbT6_jjT7_P12ihipStream_tbENKUlT_T0_SI_SN_E_clISD_SD_SD_SD_EEDaS11_S12_SI_SN_EUlS11_E_NS1_11comp_targetILNS1_3genE5ELNS1_11target_archE942ELNS1_3gpuE9ELNS1_3repE0EEENS1_47radix_sort_onesweep_sort_config_static_selectorELNS0_4arch9wavefront6targetE1EEEvSI_: ; @_ZN7rocprim17ROCPRIM_400000_NS6detail17trampoline_kernelINS0_14default_configENS1_35radix_sort_onesweep_config_selectorIddEEZZNS1_29radix_sort_onesweep_iterationIS3_Lb0EN6thrust23THRUST_200600_302600_NS6detail15normal_iteratorINS8_10device_ptrIdEEEESD_SD_SD_jNS0_19identity_decomposerENS1_16block_id_wrapperIjLb1EEEEE10hipError_tT1_PNSt15iterator_traitsISI_E10value_typeET2_T3_PNSJ_ISO_E10value_typeET4_T5_PST_SU_PNS1_23onesweep_lookback_stateEbbT6_jjT7_P12ihipStream_tbENKUlT_T0_SI_SN_E_clISD_SD_SD_SD_EEDaS11_S12_SI_SN_EUlS11_E_NS1_11comp_targetILNS1_3genE5ELNS1_11target_archE942ELNS1_3gpuE9ELNS1_3repE0EEENS1_47radix_sort_onesweep_sort_config_static_selectorELNS0_4arch9wavefront6targetE1EEEvSI_
; %bb.0:
	.section	.rodata,"a",@progbits
	.p2align	6, 0x0
	.amdhsa_kernel _ZN7rocprim17ROCPRIM_400000_NS6detail17trampoline_kernelINS0_14default_configENS1_35radix_sort_onesweep_config_selectorIddEEZZNS1_29radix_sort_onesweep_iterationIS3_Lb0EN6thrust23THRUST_200600_302600_NS6detail15normal_iteratorINS8_10device_ptrIdEEEESD_SD_SD_jNS0_19identity_decomposerENS1_16block_id_wrapperIjLb1EEEEE10hipError_tT1_PNSt15iterator_traitsISI_E10value_typeET2_T3_PNSJ_ISO_E10value_typeET4_T5_PST_SU_PNS1_23onesweep_lookback_stateEbbT6_jjT7_P12ihipStream_tbENKUlT_T0_SI_SN_E_clISD_SD_SD_SD_EEDaS11_S12_SI_SN_EUlS11_E_NS1_11comp_targetILNS1_3genE5ELNS1_11target_archE942ELNS1_3gpuE9ELNS1_3repE0EEENS1_47radix_sort_onesweep_sort_config_static_selectorELNS0_4arch9wavefront6targetE1EEEvSI_
		.amdhsa_group_segment_fixed_size 0
		.amdhsa_private_segment_fixed_size 0
		.amdhsa_kernarg_size 88
		.amdhsa_user_sgpr_count 2
		.amdhsa_user_sgpr_dispatch_ptr 0
		.amdhsa_user_sgpr_queue_ptr 0
		.amdhsa_user_sgpr_kernarg_segment_ptr 1
		.amdhsa_user_sgpr_dispatch_id 0
		.amdhsa_user_sgpr_kernarg_preload_length 0
		.amdhsa_user_sgpr_kernarg_preload_offset 0
		.amdhsa_user_sgpr_private_segment_size 0
		.amdhsa_uses_dynamic_stack 0
		.amdhsa_enable_private_segment 0
		.amdhsa_system_sgpr_workgroup_id_x 1
		.amdhsa_system_sgpr_workgroup_id_y 0
		.amdhsa_system_sgpr_workgroup_id_z 0
		.amdhsa_system_sgpr_workgroup_info 0
		.amdhsa_system_vgpr_workitem_id 0
		.amdhsa_next_free_vgpr 1
		.amdhsa_next_free_sgpr 0
		.amdhsa_accum_offset 4
		.amdhsa_reserve_vcc 0
		.amdhsa_float_round_mode_32 0
		.amdhsa_float_round_mode_16_64 0
		.amdhsa_float_denorm_mode_32 3
		.amdhsa_float_denorm_mode_16_64 3
		.amdhsa_dx10_clamp 1
		.amdhsa_ieee_mode 1
		.amdhsa_fp16_overflow 0
		.amdhsa_tg_split 0
		.amdhsa_exception_fp_ieee_invalid_op 0
		.amdhsa_exception_fp_denorm_src 0
		.amdhsa_exception_fp_ieee_div_zero 0
		.amdhsa_exception_fp_ieee_overflow 0
		.amdhsa_exception_fp_ieee_underflow 0
		.amdhsa_exception_fp_ieee_inexact 0
		.amdhsa_exception_int_div_zero 0
	.end_amdhsa_kernel
	.section	.text._ZN7rocprim17ROCPRIM_400000_NS6detail17trampoline_kernelINS0_14default_configENS1_35radix_sort_onesweep_config_selectorIddEEZZNS1_29radix_sort_onesweep_iterationIS3_Lb0EN6thrust23THRUST_200600_302600_NS6detail15normal_iteratorINS8_10device_ptrIdEEEESD_SD_SD_jNS0_19identity_decomposerENS1_16block_id_wrapperIjLb1EEEEE10hipError_tT1_PNSt15iterator_traitsISI_E10value_typeET2_T3_PNSJ_ISO_E10value_typeET4_T5_PST_SU_PNS1_23onesweep_lookback_stateEbbT6_jjT7_P12ihipStream_tbENKUlT_T0_SI_SN_E_clISD_SD_SD_SD_EEDaS11_S12_SI_SN_EUlS11_E_NS1_11comp_targetILNS1_3genE5ELNS1_11target_archE942ELNS1_3gpuE9ELNS1_3repE0EEENS1_47radix_sort_onesweep_sort_config_static_selectorELNS0_4arch9wavefront6targetE1EEEvSI_,"axG",@progbits,_ZN7rocprim17ROCPRIM_400000_NS6detail17trampoline_kernelINS0_14default_configENS1_35radix_sort_onesweep_config_selectorIddEEZZNS1_29radix_sort_onesweep_iterationIS3_Lb0EN6thrust23THRUST_200600_302600_NS6detail15normal_iteratorINS8_10device_ptrIdEEEESD_SD_SD_jNS0_19identity_decomposerENS1_16block_id_wrapperIjLb1EEEEE10hipError_tT1_PNSt15iterator_traitsISI_E10value_typeET2_T3_PNSJ_ISO_E10value_typeET4_T5_PST_SU_PNS1_23onesweep_lookback_stateEbbT6_jjT7_P12ihipStream_tbENKUlT_T0_SI_SN_E_clISD_SD_SD_SD_EEDaS11_S12_SI_SN_EUlS11_E_NS1_11comp_targetILNS1_3genE5ELNS1_11target_archE942ELNS1_3gpuE9ELNS1_3repE0EEENS1_47radix_sort_onesweep_sort_config_static_selectorELNS0_4arch9wavefront6targetE1EEEvSI_,comdat
.Lfunc_end111:
	.size	_ZN7rocprim17ROCPRIM_400000_NS6detail17trampoline_kernelINS0_14default_configENS1_35radix_sort_onesweep_config_selectorIddEEZZNS1_29radix_sort_onesweep_iterationIS3_Lb0EN6thrust23THRUST_200600_302600_NS6detail15normal_iteratorINS8_10device_ptrIdEEEESD_SD_SD_jNS0_19identity_decomposerENS1_16block_id_wrapperIjLb1EEEEE10hipError_tT1_PNSt15iterator_traitsISI_E10value_typeET2_T3_PNSJ_ISO_E10value_typeET4_T5_PST_SU_PNS1_23onesweep_lookback_stateEbbT6_jjT7_P12ihipStream_tbENKUlT_T0_SI_SN_E_clISD_SD_SD_SD_EEDaS11_S12_SI_SN_EUlS11_E_NS1_11comp_targetILNS1_3genE5ELNS1_11target_archE942ELNS1_3gpuE9ELNS1_3repE0EEENS1_47radix_sort_onesweep_sort_config_static_selectorELNS0_4arch9wavefront6targetE1EEEvSI_, .Lfunc_end111-_ZN7rocprim17ROCPRIM_400000_NS6detail17trampoline_kernelINS0_14default_configENS1_35radix_sort_onesweep_config_selectorIddEEZZNS1_29radix_sort_onesweep_iterationIS3_Lb0EN6thrust23THRUST_200600_302600_NS6detail15normal_iteratorINS8_10device_ptrIdEEEESD_SD_SD_jNS0_19identity_decomposerENS1_16block_id_wrapperIjLb1EEEEE10hipError_tT1_PNSt15iterator_traitsISI_E10value_typeET2_T3_PNSJ_ISO_E10value_typeET4_T5_PST_SU_PNS1_23onesweep_lookback_stateEbbT6_jjT7_P12ihipStream_tbENKUlT_T0_SI_SN_E_clISD_SD_SD_SD_EEDaS11_S12_SI_SN_EUlS11_E_NS1_11comp_targetILNS1_3genE5ELNS1_11target_archE942ELNS1_3gpuE9ELNS1_3repE0EEENS1_47radix_sort_onesweep_sort_config_static_selectorELNS0_4arch9wavefront6targetE1EEEvSI_
                                        ; -- End function
	.set _ZN7rocprim17ROCPRIM_400000_NS6detail17trampoline_kernelINS0_14default_configENS1_35radix_sort_onesweep_config_selectorIddEEZZNS1_29radix_sort_onesweep_iterationIS3_Lb0EN6thrust23THRUST_200600_302600_NS6detail15normal_iteratorINS8_10device_ptrIdEEEESD_SD_SD_jNS0_19identity_decomposerENS1_16block_id_wrapperIjLb1EEEEE10hipError_tT1_PNSt15iterator_traitsISI_E10value_typeET2_T3_PNSJ_ISO_E10value_typeET4_T5_PST_SU_PNS1_23onesweep_lookback_stateEbbT6_jjT7_P12ihipStream_tbENKUlT_T0_SI_SN_E_clISD_SD_SD_SD_EEDaS11_S12_SI_SN_EUlS11_E_NS1_11comp_targetILNS1_3genE5ELNS1_11target_archE942ELNS1_3gpuE9ELNS1_3repE0EEENS1_47radix_sort_onesweep_sort_config_static_selectorELNS0_4arch9wavefront6targetE1EEEvSI_.num_vgpr, 0
	.set _ZN7rocprim17ROCPRIM_400000_NS6detail17trampoline_kernelINS0_14default_configENS1_35radix_sort_onesweep_config_selectorIddEEZZNS1_29radix_sort_onesweep_iterationIS3_Lb0EN6thrust23THRUST_200600_302600_NS6detail15normal_iteratorINS8_10device_ptrIdEEEESD_SD_SD_jNS0_19identity_decomposerENS1_16block_id_wrapperIjLb1EEEEE10hipError_tT1_PNSt15iterator_traitsISI_E10value_typeET2_T3_PNSJ_ISO_E10value_typeET4_T5_PST_SU_PNS1_23onesweep_lookback_stateEbbT6_jjT7_P12ihipStream_tbENKUlT_T0_SI_SN_E_clISD_SD_SD_SD_EEDaS11_S12_SI_SN_EUlS11_E_NS1_11comp_targetILNS1_3genE5ELNS1_11target_archE942ELNS1_3gpuE9ELNS1_3repE0EEENS1_47radix_sort_onesweep_sort_config_static_selectorELNS0_4arch9wavefront6targetE1EEEvSI_.num_agpr, 0
	.set _ZN7rocprim17ROCPRIM_400000_NS6detail17trampoline_kernelINS0_14default_configENS1_35radix_sort_onesweep_config_selectorIddEEZZNS1_29radix_sort_onesweep_iterationIS3_Lb0EN6thrust23THRUST_200600_302600_NS6detail15normal_iteratorINS8_10device_ptrIdEEEESD_SD_SD_jNS0_19identity_decomposerENS1_16block_id_wrapperIjLb1EEEEE10hipError_tT1_PNSt15iterator_traitsISI_E10value_typeET2_T3_PNSJ_ISO_E10value_typeET4_T5_PST_SU_PNS1_23onesweep_lookback_stateEbbT6_jjT7_P12ihipStream_tbENKUlT_T0_SI_SN_E_clISD_SD_SD_SD_EEDaS11_S12_SI_SN_EUlS11_E_NS1_11comp_targetILNS1_3genE5ELNS1_11target_archE942ELNS1_3gpuE9ELNS1_3repE0EEENS1_47radix_sort_onesweep_sort_config_static_selectorELNS0_4arch9wavefront6targetE1EEEvSI_.numbered_sgpr, 0
	.set _ZN7rocprim17ROCPRIM_400000_NS6detail17trampoline_kernelINS0_14default_configENS1_35radix_sort_onesweep_config_selectorIddEEZZNS1_29radix_sort_onesweep_iterationIS3_Lb0EN6thrust23THRUST_200600_302600_NS6detail15normal_iteratorINS8_10device_ptrIdEEEESD_SD_SD_jNS0_19identity_decomposerENS1_16block_id_wrapperIjLb1EEEEE10hipError_tT1_PNSt15iterator_traitsISI_E10value_typeET2_T3_PNSJ_ISO_E10value_typeET4_T5_PST_SU_PNS1_23onesweep_lookback_stateEbbT6_jjT7_P12ihipStream_tbENKUlT_T0_SI_SN_E_clISD_SD_SD_SD_EEDaS11_S12_SI_SN_EUlS11_E_NS1_11comp_targetILNS1_3genE5ELNS1_11target_archE942ELNS1_3gpuE9ELNS1_3repE0EEENS1_47radix_sort_onesweep_sort_config_static_selectorELNS0_4arch9wavefront6targetE1EEEvSI_.num_named_barrier, 0
	.set _ZN7rocprim17ROCPRIM_400000_NS6detail17trampoline_kernelINS0_14default_configENS1_35radix_sort_onesweep_config_selectorIddEEZZNS1_29radix_sort_onesweep_iterationIS3_Lb0EN6thrust23THRUST_200600_302600_NS6detail15normal_iteratorINS8_10device_ptrIdEEEESD_SD_SD_jNS0_19identity_decomposerENS1_16block_id_wrapperIjLb1EEEEE10hipError_tT1_PNSt15iterator_traitsISI_E10value_typeET2_T3_PNSJ_ISO_E10value_typeET4_T5_PST_SU_PNS1_23onesweep_lookback_stateEbbT6_jjT7_P12ihipStream_tbENKUlT_T0_SI_SN_E_clISD_SD_SD_SD_EEDaS11_S12_SI_SN_EUlS11_E_NS1_11comp_targetILNS1_3genE5ELNS1_11target_archE942ELNS1_3gpuE9ELNS1_3repE0EEENS1_47radix_sort_onesweep_sort_config_static_selectorELNS0_4arch9wavefront6targetE1EEEvSI_.private_seg_size, 0
	.set _ZN7rocprim17ROCPRIM_400000_NS6detail17trampoline_kernelINS0_14default_configENS1_35radix_sort_onesweep_config_selectorIddEEZZNS1_29radix_sort_onesweep_iterationIS3_Lb0EN6thrust23THRUST_200600_302600_NS6detail15normal_iteratorINS8_10device_ptrIdEEEESD_SD_SD_jNS0_19identity_decomposerENS1_16block_id_wrapperIjLb1EEEEE10hipError_tT1_PNSt15iterator_traitsISI_E10value_typeET2_T3_PNSJ_ISO_E10value_typeET4_T5_PST_SU_PNS1_23onesweep_lookback_stateEbbT6_jjT7_P12ihipStream_tbENKUlT_T0_SI_SN_E_clISD_SD_SD_SD_EEDaS11_S12_SI_SN_EUlS11_E_NS1_11comp_targetILNS1_3genE5ELNS1_11target_archE942ELNS1_3gpuE9ELNS1_3repE0EEENS1_47radix_sort_onesweep_sort_config_static_selectorELNS0_4arch9wavefront6targetE1EEEvSI_.uses_vcc, 0
	.set _ZN7rocprim17ROCPRIM_400000_NS6detail17trampoline_kernelINS0_14default_configENS1_35radix_sort_onesweep_config_selectorIddEEZZNS1_29radix_sort_onesweep_iterationIS3_Lb0EN6thrust23THRUST_200600_302600_NS6detail15normal_iteratorINS8_10device_ptrIdEEEESD_SD_SD_jNS0_19identity_decomposerENS1_16block_id_wrapperIjLb1EEEEE10hipError_tT1_PNSt15iterator_traitsISI_E10value_typeET2_T3_PNSJ_ISO_E10value_typeET4_T5_PST_SU_PNS1_23onesweep_lookback_stateEbbT6_jjT7_P12ihipStream_tbENKUlT_T0_SI_SN_E_clISD_SD_SD_SD_EEDaS11_S12_SI_SN_EUlS11_E_NS1_11comp_targetILNS1_3genE5ELNS1_11target_archE942ELNS1_3gpuE9ELNS1_3repE0EEENS1_47radix_sort_onesweep_sort_config_static_selectorELNS0_4arch9wavefront6targetE1EEEvSI_.uses_flat_scratch, 0
	.set _ZN7rocprim17ROCPRIM_400000_NS6detail17trampoline_kernelINS0_14default_configENS1_35radix_sort_onesweep_config_selectorIddEEZZNS1_29radix_sort_onesweep_iterationIS3_Lb0EN6thrust23THRUST_200600_302600_NS6detail15normal_iteratorINS8_10device_ptrIdEEEESD_SD_SD_jNS0_19identity_decomposerENS1_16block_id_wrapperIjLb1EEEEE10hipError_tT1_PNSt15iterator_traitsISI_E10value_typeET2_T3_PNSJ_ISO_E10value_typeET4_T5_PST_SU_PNS1_23onesweep_lookback_stateEbbT6_jjT7_P12ihipStream_tbENKUlT_T0_SI_SN_E_clISD_SD_SD_SD_EEDaS11_S12_SI_SN_EUlS11_E_NS1_11comp_targetILNS1_3genE5ELNS1_11target_archE942ELNS1_3gpuE9ELNS1_3repE0EEENS1_47radix_sort_onesweep_sort_config_static_selectorELNS0_4arch9wavefront6targetE1EEEvSI_.has_dyn_sized_stack, 0
	.set _ZN7rocprim17ROCPRIM_400000_NS6detail17trampoline_kernelINS0_14default_configENS1_35radix_sort_onesweep_config_selectorIddEEZZNS1_29radix_sort_onesweep_iterationIS3_Lb0EN6thrust23THRUST_200600_302600_NS6detail15normal_iteratorINS8_10device_ptrIdEEEESD_SD_SD_jNS0_19identity_decomposerENS1_16block_id_wrapperIjLb1EEEEE10hipError_tT1_PNSt15iterator_traitsISI_E10value_typeET2_T3_PNSJ_ISO_E10value_typeET4_T5_PST_SU_PNS1_23onesweep_lookback_stateEbbT6_jjT7_P12ihipStream_tbENKUlT_T0_SI_SN_E_clISD_SD_SD_SD_EEDaS11_S12_SI_SN_EUlS11_E_NS1_11comp_targetILNS1_3genE5ELNS1_11target_archE942ELNS1_3gpuE9ELNS1_3repE0EEENS1_47radix_sort_onesweep_sort_config_static_selectorELNS0_4arch9wavefront6targetE1EEEvSI_.has_recursion, 0
	.set _ZN7rocprim17ROCPRIM_400000_NS6detail17trampoline_kernelINS0_14default_configENS1_35radix_sort_onesweep_config_selectorIddEEZZNS1_29radix_sort_onesweep_iterationIS3_Lb0EN6thrust23THRUST_200600_302600_NS6detail15normal_iteratorINS8_10device_ptrIdEEEESD_SD_SD_jNS0_19identity_decomposerENS1_16block_id_wrapperIjLb1EEEEE10hipError_tT1_PNSt15iterator_traitsISI_E10value_typeET2_T3_PNSJ_ISO_E10value_typeET4_T5_PST_SU_PNS1_23onesweep_lookback_stateEbbT6_jjT7_P12ihipStream_tbENKUlT_T0_SI_SN_E_clISD_SD_SD_SD_EEDaS11_S12_SI_SN_EUlS11_E_NS1_11comp_targetILNS1_3genE5ELNS1_11target_archE942ELNS1_3gpuE9ELNS1_3repE0EEENS1_47radix_sort_onesweep_sort_config_static_selectorELNS0_4arch9wavefront6targetE1EEEvSI_.has_indirect_call, 0
	.section	.AMDGPU.csdata,"",@progbits
; Kernel info:
; codeLenInByte = 0
; TotalNumSgprs: 6
; NumVgprs: 0
; NumAgprs: 0
; TotalNumVgprs: 0
; ScratchSize: 0
; MemoryBound: 0
; FloatMode: 240
; IeeeMode: 1
; LDSByteSize: 0 bytes/workgroup (compile time only)
; SGPRBlocks: 0
; VGPRBlocks: 0
; NumSGPRsForWavesPerEU: 6
; NumVGPRsForWavesPerEU: 1
; AccumOffset: 4
; Occupancy: 8
; WaveLimiterHint : 0
; COMPUTE_PGM_RSRC2:SCRATCH_EN: 0
; COMPUTE_PGM_RSRC2:USER_SGPR: 2
; COMPUTE_PGM_RSRC2:TRAP_HANDLER: 0
; COMPUTE_PGM_RSRC2:TGID_X_EN: 1
; COMPUTE_PGM_RSRC2:TGID_Y_EN: 0
; COMPUTE_PGM_RSRC2:TGID_Z_EN: 0
; COMPUTE_PGM_RSRC2:TIDIG_COMP_CNT: 0
; COMPUTE_PGM_RSRC3_GFX90A:ACCUM_OFFSET: 0
; COMPUTE_PGM_RSRC3_GFX90A:TG_SPLIT: 0
	.section	.text._ZN7rocprim17ROCPRIM_400000_NS6detail17trampoline_kernelINS0_14default_configENS1_35radix_sort_onesweep_config_selectorIddEEZZNS1_29radix_sort_onesweep_iterationIS3_Lb0EN6thrust23THRUST_200600_302600_NS6detail15normal_iteratorINS8_10device_ptrIdEEEESD_SD_SD_jNS0_19identity_decomposerENS1_16block_id_wrapperIjLb1EEEEE10hipError_tT1_PNSt15iterator_traitsISI_E10value_typeET2_T3_PNSJ_ISO_E10value_typeET4_T5_PST_SU_PNS1_23onesweep_lookback_stateEbbT6_jjT7_P12ihipStream_tbENKUlT_T0_SI_SN_E_clISD_SD_SD_SD_EEDaS11_S12_SI_SN_EUlS11_E_NS1_11comp_targetILNS1_3genE2ELNS1_11target_archE906ELNS1_3gpuE6ELNS1_3repE0EEENS1_47radix_sort_onesweep_sort_config_static_selectorELNS0_4arch9wavefront6targetE1EEEvSI_,"axG",@progbits,_ZN7rocprim17ROCPRIM_400000_NS6detail17trampoline_kernelINS0_14default_configENS1_35radix_sort_onesweep_config_selectorIddEEZZNS1_29radix_sort_onesweep_iterationIS3_Lb0EN6thrust23THRUST_200600_302600_NS6detail15normal_iteratorINS8_10device_ptrIdEEEESD_SD_SD_jNS0_19identity_decomposerENS1_16block_id_wrapperIjLb1EEEEE10hipError_tT1_PNSt15iterator_traitsISI_E10value_typeET2_T3_PNSJ_ISO_E10value_typeET4_T5_PST_SU_PNS1_23onesweep_lookback_stateEbbT6_jjT7_P12ihipStream_tbENKUlT_T0_SI_SN_E_clISD_SD_SD_SD_EEDaS11_S12_SI_SN_EUlS11_E_NS1_11comp_targetILNS1_3genE2ELNS1_11target_archE906ELNS1_3gpuE6ELNS1_3repE0EEENS1_47radix_sort_onesweep_sort_config_static_selectorELNS0_4arch9wavefront6targetE1EEEvSI_,comdat
	.protected	_ZN7rocprim17ROCPRIM_400000_NS6detail17trampoline_kernelINS0_14default_configENS1_35radix_sort_onesweep_config_selectorIddEEZZNS1_29radix_sort_onesweep_iterationIS3_Lb0EN6thrust23THRUST_200600_302600_NS6detail15normal_iteratorINS8_10device_ptrIdEEEESD_SD_SD_jNS0_19identity_decomposerENS1_16block_id_wrapperIjLb1EEEEE10hipError_tT1_PNSt15iterator_traitsISI_E10value_typeET2_T3_PNSJ_ISO_E10value_typeET4_T5_PST_SU_PNS1_23onesweep_lookback_stateEbbT6_jjT7_P12ihipStream_tbENKUlT_T0_SI_SN_E_clISD_SD_SD_SD_EEDaS11_S12_SI_SN_EUlS11_E_NS1_11comp_targetILNS1_3genE2ELNS1_11target_archE906ELNS1_3gpuE6ELNS1_3repE0EEENS1_47radix_sort_onesweep_sort_config_static_selectorELNS0_4arch9wavefront6targetE1EEEvSI_ ; -- Begin function _ZN7rocprim17ROCPRIM_400000_NS6detail17trampoline_kernelINS0_14default_configENS1_35radix_sort_onesweep_config_selectorIddEEZZNS1_29radix_sort_onesweep_iterationIS3_Lb0EN6thrust23THRUST_200600_302600_NS6detail15normal_iteratorINS8_10device_ptrIdEEEESD_SD_SD_jNS0_19identity_decomposerENS1_16block_id_wrapperIjLb1EEEEE10hipError_tT1_PNSt15iterator_traitsISI_E10value_typeET2_T3_PNSJ_ISO_E10value_typeET4_T5_PST_SU_PNS1_23onesweep_lookback_stateEbbT6_jjT7_P12ihipStream_tbENKUlT_T0_SI_SN_E_clISD_SD_SD_SD_EEDaS11_S12_SI_SN_EUlS11_E_NS1_11comp_targetILNS1_3genE2ELNS1_11target_archE906ELNS1_3gpuE6ELNS1_3repE0EEENS1_47radix_sort_onesweep_sort_config_static_selectorELNS0_4arch9wavefront6targetE1EEEvSI_
	.globl	_ZN7rocprim17ROCPRIM_400000_NS6detail17trampoline_kernelINS0_14default_configENS1_35radix_sort_onesweep_config_selectorIddEEZZNS1_29radix_sort_onesweep_iterationIS3_Lb0EN6thrust23THRUST_200600_302600_NS6detail15normal_iteratorINS8_10device_ptrIdEEEESD_SD_SD_jNS0_19identity_decomposerENS1_16block_id_wrapperIjLb1EEEEE10hipError_tT1_PNSt15iterator_traitsISI_E10value_typeET2_T3_PNSJ_ISO_E10value_typeET4_T5_PST_SU_PNS1_23onesweep_lookback_stateEbbT6_jjT7_P12ihipStream_tbENKUlT_T0_SI_SN_E_clISD_SD_SD_SD_EEDaS11_S12_SI_SN_EUlS11_E_NS1_11comp_targetILNS1_3genE2ELNS1_11target_archE906ELNS1_3gpuE6ELNS1_3repE0EEENS1_47radix_sort_onesweep_sort_config_static_selectorELNS0_4arch9wavefront6targetE1EEEvSI_
	.p2align	8
	.type	_ZN7rocprim17ROCPRIM_400000_NS6detail17trampoline_kernelINS0_14default_configENS1_35radix_sort_onesweep_config_selectorIddEEZZNS1_29radix_sort_onesweep_iterationIS3_Lb0EN6thrust23THRUST_200600_302600_NS6detail15normal_iteratorINS8_10device_ptrIdEEEESD_SD_SD_jNS0_19identity_decomposerENS1_16block_id_wrapperIjLb1EEEEE10hipError_tT1_PNSt15iterator_traitsISI_E10value_typeET2_T3_PNSJ_ISO_E10value_typeET4_T5_PST_SU_PNS1_23onesweep_lookback_stateEbbT6_jjT7_P12ihipStream_tbENKUlT_T0_SI_SN_E_clISD_SD_SD_SD_EEDaS11_S12_SI_SN_EUlS11_E_NS1_11comp_targetILNS1_3genE2ELNS1_11target_archE906ELNS1_3gpuE6ELNS1_3repE0EEENS1_47radix_sort_onesweep_sort_config_static_selectorELNS0_4arch9wavefront6targetE1EEEvSI_,@function
_ZN7rocprim17ROCPRIM_400000_NS6detail17trampoline_kernelINS0_14default_configENS1_35radix_sort_onesweep_config_selectorIddEEZZNS1_29radix_sort_onesweep_iterationIS3_Lb0EN6thrust23THRUST_200600_302600_NS6detail15normal_iteratorINS8_10device_ptrIdEEEESD_SD_SD_jNS0_19identity_decomposerENS1_16block_id_wrapperIjLb1EEEEE10hipError_tT1_PNSt15iterator_traitsISI_E10value_typeET2_T3_PNSJ_ISO_E10value_typeET4_T5_PST_SU_PNS1_23onesweep_lookback_stateEbbT6_jjT7_P12ihipStream_tbENKUlT_T0_SI_SN_E_clISD_SD_SD_SD_EEDaS11_S12_SI_SN_EUlS11_E_NS1_11comp_targetILNS1_3genE2ELNS1_11target_archE906ELNS1_3gpuE6ELNS1_3repE0EEENS1_47radix_sort_onesweep_sort_config_static_selectorELNS0_4arch9wavefront6targetE1EEEvSI_: ; @_ZN7rocprim17ROCPRIM_400000_NS6detail17trampoline_kernelINS0_14default_configENS1_35radix_sort_onesweep_config_selectorIddEEZZNS1_29radix_sort_onesweep_iterationIS3_Lb0EN6thrust23THRUST_200600_302600_NS6detail15normal_iteratorINS8_10device_ptrIdEEEESD_SD_SD_jNS0_19identity_decomposerENS1_16block_id_wrapperIjLb1EEEEE10hipError_tT1_PNSt15iterator_traitsISI_E10value_typeET2_T3_PNSJ_ISO_E10value_typeET4_T5_PST_SU_PNS1_23onesweep_lookback_stateEbbT6_jjT7_P12ihipStream_tbENKUlT_T0_SI_SN_E_clISD_SD_SD_SD_EEDaS11_S12_SI_SN_EUlS11_E_NS1_11comp_targetILNS1_3genE2ELNS1_11target_archE906ELNS1_3gpuE6ELNS1_3repE0EEENS1_47radix_sort_onesweep_sort_config_static_selectorELNS0_4arch9wavefront6targetE1EEEvSI_
; %bb.0:
	.section	.rodata,"a",@progbits
	.p2align	6, 0x0
	.amdhsa_kernel _ZN7rocprim17ROCPRIM_400000_NS6detail17trampoline_kernelINS0_14default_configENS1_35radix_sort_onesweep_config_selectorIddEEZZNS1_29radix_sort_onesweep_iterationIS3_Lb0EN6thrust23THRUST_200600_302600_NS6detail15normal_iteratorINS8_10device_ptrIdEEEESD_SD_SD_jNS0_19identity_decomposerENS1_16block_id_wrapperIjLb1EEEEE10hipError_tT1_PNSt15iterator_traitsISI_E10value_typeET2_T3_PNSJ_ISO_E10value_typeET4_T5_PST_SU_PNS1_23onesweep_lookback_stateEbbT6_jjT7_P12ihipStream_tbENKUlT_T0_SI_SN_E_clISD_SD_SD_SD_EEDaS11_S12_SI_SN_EUlS11_E_NS1_11comp_targetILNS1_3genE2ELNS1_11target_archE906ELNS1_3gpuE6ELNS1_3repE0EEENS1_47radix_sort_onesweep_sort_config_static_selectorELNS0_4arch9wavefront6targetE1EEEvSI_
		.amdhsa_group_segment_fixed_size 0
		.amdhsa_private_segment_fixed_size 0
		.amdhsa_kernarg_size 88
		.amdhsa_user_sgpr_count 2
		.amdhsa_user_sgpr_dispatch_ptr 0
		.amdhsa_user_sgpr_queue_ptr 0
		.amdhsa_user_sgpr_kernarg_segment_ptr 1
		.amdhsa_user_sgpr_dispatch_id 0
		.amdhsa_user_sgpr_kernarg_preload_length 0
		.amdhsa_user_sgpr_kernarg_preload_offset 0
		.amdhsa_user_sgpr_private_segment_size 0
		.amdhsa_uses_dynamic_stack 0
		.amdhsa_enable_private_segment 0
		.amdhsa_system_sgpr_workgroup_id_x 1
		.amdhsa_system_sgpr_workgroup_id_y 0
		.amdhsa_system_sgpr_workgroup_id_z 0
		.amdhsa_system_sgpr_workgroup_info 0
		.amdhsa_system_vgpr_workitem_id 0
		.amdhsa_next_free_vgpr 1
		.amdhsa_next_free_sgpr 0
		.amdhsa_accum_offset 4
		.amdhsa_reserve_vcc 0
		.amdhsa_float_round_mode_32 0
		.amdhsa_float_round_mode_16_64 0
		.amdhsa_float_denorm_mode_32 3
		.amdhsa_float_denorm_mode_16_64 3
		.amdhsa_dx10_clamp 1
		.amdhsa_ieee_mode 1
		.amdhsa_fp16_overflow 0
		.amdhsa_tg_split 0
		.amdhsa_exception_fp_ieee_invalid_op 0
		.amdhsa_exception_fp_denorm_src 0
		.amdhsa_exception_fp_ieee_div_zero 0
		.amdhsa_exception_fp_ieee_overflow 0
		.amdhsa_exception_fp_ieee_underflow 0
		.amdhsa_exception_fp_ieee_inexact 0
		.amdhsa_exception_int_div_zero 0
	.end_amdhsa_kernel
	.section	.text._ZN7rocprim17ROCPRIM_400000_NS6detail17trampoline_kernelINS0_14default_configENS1_35radix_sort_onesweep_config_selectorIddEEZZNS1_29radix_sort_onesweep_iterationIS3_Lb0EN6thrust23THRUST_200600_302600_NS6detail15normal_iteratorINS8_10device_ptrIdEEEESD_SD_SD_jNS0_19identity_decomposerENS1_16block_id_wrapperIjLb1EEEEE10hipError_tT1_PNSt15iterator_traitsISI_E10value_typeET2_T3_PNSJ_ISO_E10value_typeET4_T5_PST_SU_PNS1_23onesweep_lookback_stateEbbT6_jjT7_P12ihipStream_tbENKUlT_T0_SI_SN_E_clISD_SD_SD_SD_EEDaS11_S12_SI_SN_EUlS11_E_NS1_11comp_targetILNS1_3genE2ELNS1_11target_archE906ELNS1_3gpuE6ELNS1_3repE0EEENS1_47radix_sort_onesweep_sort_config_static_selectorELNS0_4arch9wavefront6targetE1EEEvSI_,"axG",@progbits,_ZN7rocprim17ROCPRIM_400000_NS6detail17trampoline_kernelINS0_14default_configENS1_35radix_sort_onesweep_config_selectorIddEEZZNS1_29radix_sort_onesweep_iterationIS3_Lb0EN6thrust23THRUST_200600_302600_NS6detail15normal_iteratorINS8_10device_ptrIdEEEESD_SD_SD_jNS0_19identity_decomposerENS1_16block_id_wrapperIjLb1EEEEE10hipError_tT1_PNSt15iterator_traitsISI_E10value_typeET2_T3_PNSJ_ISO_E10value_typeET4_T5_PST_SU_PNS1_23onesweep_lookback_stateEbbT6_jjT7_P12ihipStream_tbENKUlT_T0_SI_SN_E_clISD_SD_SD_SD_EEDaS11_S12_SI_SN_EUlS11_E_NS1_11comp_targetILNS1_3genE2ELNS1_11target_archE906ELNS1_3gpuE6ELNS1_3repE0EEENS1_47radix_sort_onesweep_sort_config_static_selectorELNS0_4arch9wavefront6targetE1EEEvSI_,comdat
.Lfunc_end112:
	.size	_ZN7rocprim17ROCPRIM_400000_NS6detail17trampoline_kernelINS0_14default_configENS1_35radix_sort_onesweep_config_selectorIddEEZZNS1_29radix_sort_onesweep_iterationIS3_Lb0EN6thrust23THRUST_200600_302600_NS6detail15normal_iteratorINS8_10device_ptrIdEEEESD_SD_SD_jNS0_19identity_decomposerENS1_16block_id_wrapperIjLb1EEEEE10hipError_tT1_PNSt15iterator_traitsISI_E10value_typeET2_T3_PNSJ_ISO_E10value_typeET4_T5_PST_SU_PNS1_23onesweep_lookback_stateEbbT6_jjT7_P12ihipStream_tbENKUlT_T0_SI_SN_E_clISD_SD_SD_SD_EEDaS11_S12_SI_SN_EUlS11_E_NS1_11comp_targetILNS1_3genE2ELNS1_11target_archE906ELNS1_3gpuE6ELNS1_3repE0EEENS1_47radix_sort_onesweep_sort_config_static_selectorELNS0_4arch9wavefront6targetE1EEEvSI_, .Lfunc_end112-_ZN7rocprim17ROCPRIM_400000_NS6detail17trampoline_kernelINS0_14default_configENS1_35radix_sort_onesweep_config_selectorIddEEZZNS1_29radix_sort_onesweep_iterationIS3_Lb0EN6thrust23THRUST_200600_302600_NS6detail15normal_iteratorINS8_10device_ptrIdEEEESD_SD_SD_jNS0_19identity_decomposerENS1_16block_id_wrapperIjLb1EEEEE10hipError_tT1_PNSt15iterator_traitsISI_E10value_typeET2_T3_PNSJ_ISO_E10value_typeET4_T5_PST_SU_PNS1_23onesweep_lookback_stateEbbT6_jjT7_P12ihipStream_tbENKUlT_T0_SI_SN_E_clISD_SD_SD_SD_EEDaS11_S12_SI_SN_EUlS11_E_NS1_11comp_targetILNS1_3genE2ELNS1_11target_archE906ELNS1_3gpuE6ELNS1_3repE0EEENS1_47radix_sort_onesweep_sort_config_static_selectorELNS0_4arch9wavefront6targetE1EEEvSI_
                                        ; -- End function
	.set _ZN7rocprim17ROCPRIM_400000_NS6detail17trampoline_kernelINS0_14default_configENS1_35radix_sort_onesweep_config_selectorIddEEZZNS1_29radix_sort_onesweep_iterationIS3_Lb0EN6thrust23THRUST_200600_302600_NS6detail15normal_iteratorINS8_10device_ptrIdEEEESD_SD_SD_jNS0_19identity_decomposerENS1_16block_id_wrapperIjLb1EEEEE10hipError_tT1_PNSt15iterator_traitsISI_E10value_typeET2_T3_PNSJ_ISO_E10value_typeET4_T5_PST_SU_PNS1_23onesweep_lookback_stateEbbT6_jjT7_P12ihipStream_tbENKUlT_T0_SI_SN_E_clISD_SD_SD_SD_EEDaS11_S12_SI_SN_EUlS11_E_NS1_11comp_targetILNS1_3genE2ELNS1_11target_archE906ELNS1_3gpuE6ELNS1_3repE0EEENS1_47radix_sort_onesweep_sort_config_static_selectorELNS0_4arch9wavefront6targetE1EEEvSI_.num_vgpr, 0
	.set _ZN7rocprim17ROCPRIM_400000_NS6detail17trampoline_kernelINS0_14default_configENS1_35radix_sort_onesweep_config_selectorIddEEZZNS1_29radix_sort_onesweep_iterationIS3_Lb0EN6thrust23THRUST_200600_302600_NS6detail15normal_iteratorINS8_10device_ptrIdEEEESD_SD_SD_jNS0_19identity_decomposerENS1_16block_id_wrapperIjLb1EEEEE10hipError_tT1_PNSt15iterator_traitsISI_E10value_typeET2_T3_PNSJ_ISO_E10value_typeET4_T5_PST_SU_PNS1_23onesweep_lookback_stateEbbT6_jjT7_P12ihipStream_tbENKUlT_T0_SI_SN_E_clISD_SD_SD_SD_EEDaS11_S12_SI_SN_EUlS11_E_NS1_11comp_targetILNS1_3genE2ELNS1_11target_archE906ELNS1_3gpuE6ELNS1_3repE0EEENS1_47radix_sort_onesweep_sort_config_static_selectorELNS0_4arch9wavefront6targetE1EEEvSI_.num_agpr, 0
	.set _ZN7rocprim17ROCPRIM_400000_NS6detail17trampoline_kernelINS0_14default_configENS1_35radix_sort_onesweep_config_selectorIddEEZZNS1_29radix_sort_onesweep_iterationIS3_Lb0EN6thrust23THRUST_200600_302600_NS6detail15normal_iteratorINS8_10device_ptrIdEEEESD_SD_SD_jNS0_19identity_decomposerENS1_16block_id_wrapperIjLb1EEEEE10hipError_tT1_PNSt15iterator_traitsISI_E10value_typeET2_T3_PNSJ_ISO_E10value_typeET4_T5_PST_SU_PNS1_23onesweep_lookback_stateEbbT6_jjT7_P12ihipStream_tbENKUlT_T0_SI_SN_E_clISD_SD_SD_SD_EEDaS11_S12_SI_SN_EUlS11_E_NS1_11comp_targetILNS1_3genE2ELNS1_11target_archE906ELNS1_3gpuE6ELNS1_3repE0EEENS1_47radix_sort_onesweep_sort_config_static_selectorELNS0_4arch9wavefront6targetE1EEEvSI_.numbered_sgpr, 0
	.set _ZN7rocprim17ROCPRIM_400000_NS6detail17trampoline_kernelINS0_14default_configENS1_35radix_sort_onesweep_config_selectorIddEEZZNS1_29radix_sort_onesweep_iterationIS3_Lb0EN6thrust23THRUST_200600_302600_NS6detail15normal_iteratorINS8_10device_ptrIdEEEESD_SD_SD_jNS0_19identity_decomposerENS1_16block_id_wrapperIjLb1EEEEE10hipError_tT1_PNSt15iterator_traitsISI_E10value_typeET2_T3_PNSJ_ISO_E10value_typeET4_T5_PST_SU_PNS1_23onesweep_lookback_stateEbbT6_jjT7_P12ihipStream_tbENKUlT_T0_SI_SN_E_clISD_SD_SD_SD_EEDaS11_S12_SI_SN_EUlS11_E_NS1_11comp_targetILNS1_3genE2ELNS1_11target_archE906ELNS1_3gpuE6ELNS1_3repE0EEENS1_47radix_sort_onesweep_sort_config_static_selectorELNS0_4arch9wavefront6targetE1EEEvSI_.num_named_barrier, 0
	.set _ZN7rocprim17ROCPRIM_400000_NS6detail17trampoline_kernelINS0_14default_configENS1_35radix_sort_onesweep_config_selectorIddEEZZNS1_29radix_sort_onesweep_iterationIS3_Lb0EN6thrust23THRUST_200600_302600_NS6detail15normal_iteratorINS8_10device_ptrIdEEEESD_SD_SD_jNS0_19identity_decomposerENS1_16block_id_wrapperIjLb1EEEEE10hipError_tT1_PNSt15iterator_traitsISI_E10value_typeET2_T3_PNSJ_ISO_E10value_typeET4_T5_PST_SU_PNS1_23onesweep_lookback_stateEbbT6_jjT7_P12ihipStream_tbENKUlT_T0_SI_SN_E_clISD_SD_SD_SD_EEDaS11_S12_SI_SN_EUlS11_E_NS1_11comp_targetILNS1_3genE2ELNS1_11target_archE906ELNS1_3gpuE6ELNS1_3repE0EEENS1_47radix_sort_onesweep_sort_config_static_selectorELNS0_4arch9wavefront6targetE1EEEvSI_.private_seg_size, 0
	.set _ZN7rocprim17ROCPRIM_400000_NS6detail17trampoline_kernelINS0_14default_configENS1_35radix_sort_onesweep_config_selectorIddEEZZNS1_29radix_sort_onesweep_iterationIS3_Lb0EN6thrust23THRUST_200600_302600_NS6detail15normal_iteratorINS8_10device_ptrIdEEEESD_SD_SD_jNS0_19identity_decomposerENS1_16block_id_wrapperIjLb1EEEEE10hipError_tT1_PNSt15iterator_traitsISI_E10value_typeET2_T3_PNSJ_ISO_E10value_typeET4_T5_PST_SU_PNS1_23onesweep_lookback_stateEbbT6_jjT7_P12ihipStream_tbENKUlT_T0_SI_SN_E_clISD_SD_SD_SD_EEDaS11_S12_SI_SN_EUlS11_E_NS1_11comp_targetILNS1_3genE2ELNS1_11target_archE906ELNS1_3gpuE6ELNS1_3repE0EEENS1_47radix_sort_onesweep_sort_config_static_selectorELNS0_4arch9wavefront6targetE1EEEvSI_.uses_vcc, 0
	.set _ZN7rocprim17ROCPRIM_400000_NS6detail17trampoline_kernelINS0_14default_configENS1_35radix_sort_onesweep_config_selectorIddEEZZNS1_29radix_sort_onesweep_iterationIS3_Lb0EN6thrust23THRUST_200600_302600_NS6detail15normal_iteratorINS8_10device_ptrIdEEEESD_SD_SD_jNS0_19identity_decomposerENS1_16block_id_wrapperIjLb1EEEEE10hipError_tT1_PNSt15iterator_traitsISI_E10value_typeET2_T3_PNSJ_ISO_E10value_typeET4_T5_PST_SU_PNS1_23onesweep_lookback_stateEbbT6_jjT7_P12ihipStream_tbENKUlT_T0_SI_SN_E_clISD_SD_SD_SD_EEDaS11_S12_SI_SN_EUlS11_E_NS1_11comp_targetILNS1_3genE2ELNS1_11target_archE906ELNS1_3gpuE6ELNS1_3repE0EEENS1_47radix_sort_onesweep_sort_config_static_selectorELNS0_4arch9wavefront6targetE1EEEvSI_.uses_flat_scratch, 0
	.set _ZN7rocprim17ROCPRIM_400000_NS6detail17trampoline_kernelINS0_14default_configENS1_35radix_sort_onesweep_config_selectorIddEEZZNS1_29radix_sort_onesweep_iterationIS3_Lb0EN6thrust23THRUST_200600_302600_NS6detail15normal_iteratorINS8_10device_ptrIdEEEESD_SD_SD_jNS0_19identity_decomposerENS1_16block_id_wrapperIjLb1EEEEE10hipError_tT1_PNSt15iterator_traitsISI_E10value_typeET2_T3_PNSJ_ISO_E10value_typeET4_T5_PST_SU_PNS1_23onesweep_lookback_stateEbbT6_jjT7_P12ihipStream_tbENKUlT_T0_SI_SN_E_clISD_SD_SD_SD_EEDaS11_S12_SI_SN_EUlS11_E_NS1_11comp_targetILNS1_3genE2ELNS1_11target_archE906ELNS1_3gpuE6ELNS1_3repE0EEENS1_47radix_sort_onesweep_sort_config_static_selectorELNS0_4arch9wavefront6targetE1EEEvSI_.has_dyn_sized_stack, 0
	.set _ZN7rocprim17ROCPRIM_400000_NS6detail17trampoline_kernelINS0_14default_configENS1_35radix_sort_onesweep_config_selectorIddEEZZNS1_29radix_sort_onesweep_iterationIS3_Lb0EN6thrust23THRUST_200600_302600_NS6detail15normal_iteratorINS8_10device_ptrIdEEEESD_SD_SD_jNS0_19identity_decomposerENS1_16block_id_wrapperIjLb1EEEEE10hipError_tT1_PNSt15iterator_traitsISI_E10value_typeET2_T3_PNSJ_ISO_E10value_typeET4_T5_PST_SU_PNS1_23onesweep_lookback_stateEbbT6_jjT7_P12ihipStream_tbENKUlT_T0_SI_SN_E_clISD_SD_SD_SD_EEDaS11_S12_SI_SN_EUlS11_E_NS1_11comp_targetILNS1_3genE2ELNS1_11target_archE906ELNS1_3gpuE6ELNS1_3repE0EEENS1_47radix_sort_onesweep_sort_config_static_selectorELNS0_4arch9wavefront6targetE1EEEvSI_.has_recursion, 0
	.set _ZN7rocprim17ROCPRIM_400000_NS6detail17trampoline_kernelINS0_14default_configENS1_35radix_sort_onesweep_config_selectorIddEEZZNS1_29radix_sort_onesweep_iterationIS3_Lb0EN6thrust23THRUST_200600_302600_NS6detail15normal_iteratorINS8_10device_ptrIdEEEESD_SD_SD_jNS0_19identity_decomposerENS1_16block_id_wrapperIjLb1EEEEE10hipError_tT1_PNSt15iterator_traitsISI_E10value_typeET2_T3_PNSJ_ISO_E10value_typeET4_T5_PST_SU_PNS1_23onesweep_lookback_stateEbbT6_jjT7_P12ihipStream_tbENKUlT_T0_SI_SN_E_clISD_SD_SD_SD_EEDaS11_S12_SI_SN_EUlS11_E_NS1_11comp_targetILNS1_3genE2ELNS1_11target_archE906ELNS1_3gpuE6ELNS1_3repE0EEENS1_47radix_sort_onesweep_sort_config_static_selectorELNS0_4arch9wavefront6targetE1EEEvSI_.has_indirect_call, 0
	.section	.AMDGPU.csdata,"",@progbits
; Kernel info:
; codeLenInByte = 0
; TotalNumSgprs: 6
; NumVgprs: 0
; NumAgprs: 0
; TotalNumVgprs: 0
; ScratchSize: 0
; MemoryBound: 0
; FloatMode: 240
; IeeeMode: 1
; LDSByteSize: 0 bytes/workgroup (compile time only)
; SGPRBlocks: 0
; VGPRBlocks: 0
; NumSGPRsForWavesPerEU: 6
; NumVGPRsForWavesPerEU: 1
; AccumOffset: 4
; Occupancy: 8
; WaveLimiterHint : 0
; COMPUTE_PGM_RSRC2:SCRATCH_EN: 0
; COMPUTE_PGM_RSRC2:USER_SGPR: 2
; COMPUTE_PGM_RSRC2:TRAP_HANDLER: 0
; COMPUTE_PGM_RSRC2:TGID_X_EN: 1
; COMPUTE_PGM_RSRC2:TGID_Y_EN: 0
; COMPUTE_PGM_RSRC2:TGID_Z_EN: 0
; COMPUTE_PGM_RSRC2:TIDIG_COMP_CNT: 0
; COMPUTE_PGM_RSRC3_GFX90A:ACCUM_OFFSET: 0
; COMPUTE_PGM_RSRC3_GFX90A:TG_SPLIT: 0
	.section	.text._ZN7rocprim17ROCPRIM_400000_NS6detail17trampoline_kernelINS0_14default_configENS1_35radix_sort_onesweep_config_selectorIddEEZZNS1_29radix_sort_onesweep_iterationIS3_Lb0EN6thrust23THRUST_200600_302600_NS6detail15normal_iteratorINS8_10device_ptrIdEEEESD_SD_SD_jNS0_19identity_decomposerENS1_16block_id_wrapperIjLb1EEEEE10hipError_tT1_PNSt15iterator_traitsISI_E10value_typeET2_T3_PNSJ_ISO_E10value_typeET4_T5_PST_SU_PNS1_23onesweep_lookback_stateEbbT6_jjT7_P12ihipStream_tbENKUlT_T0_SI_SN_E_clISD_SD_SD_SD_EEDaS11_S12_SI_SN_EUlS11_E_NS1_11comp_targetILNS1_3genE4ELNS1_11target_archE910ELNS1_3gpuE8ELNS1_3repE0EEENS1_47radix_sort_onesweep_sort_config_static_selectorELNS0_4arch9wavefront6targetE1EEEvSI_,"axG",@progbits,_ZN7rocprim17ROCPRIM_400000_NS6detail17trampoline_kernelINS0_14default_configENS1_35radix_sort_onesweep_config_selectorIddEEZZNS1_29radix_sort_onesweep_iterationIS3_Lb0EN6thrust23THRUST_200600_302600_NS6detail15normal_iteratorINS8_10device_ptrIdEEEESD_SD_SD_jNS0_19identity_decomposerENS1_16block_id_wrapperIjLb1EEEEE10hipError_tT1_PNSt15iterator_traitsISI_E10value_typeET2_T3_PNSJ_ISO_E10value_typeET4_T5_PST_SU_PNS1_23onesweep_lookback_stateEbbT6_jjT7_P12ihipStream_tbENKUlT_T0_SI_SN_E_clISD_SD_SD_SD_EEDaS11_S12_SI_SN_EUlS11_E_NS1_11comp_targetILNS1_3genE4ELNS1_11target_archE910ELNS1_3gpuE8ELNS1_3repE0EEENS1_47radix_sort_onesweep_sort_config_static_selectorELNS0_4arch9wavefront6targetE1EEEvSI_,comdat
	.protected	_ZN7rocprim17ROCPRIM_400000_NS6detail17trampoline_kernelINS0_14default_configENS1_35radix_sort_onesweep_config_selectorIddEEZZNS1_29radix_sort_onesweep_iterationIS3_Lb0EN6thrust23THRUST_200600_302600_NS6detail15normal_iteratorINS8_10device_ptrIdEEEESD_SD_SD_jNS0_19identity_decomposerENS1_16block_id_wrapperIjLb1EEEEE10hipError_tT1_PNSt15iterator_traitsISI_E10value_typeET2_T3_PNSJ_ISO_E10value_typeET4_T5_PST_SU_PNS1_23onesweep_lookback_stateEbbT6_jjT7_P12ihipStream_tbENKUlT_T0_SI_SN_E_clISD_SD_SD_SD_EEDaS11_S12_SI_SN_EUlS11_E_NS1_11comp_targetILNS1_3genE4ELNS1_11target_archE910ELNS1_3gpuE8ELNS1_3repE0EEENS1_47radix_sort_onesweep_sort_config_static_selectorELNS0_4arch9wavefront6targetE1EEEvSI_ ; -- Begin function _ZN7rocprim17ROCPRIM_400000_NS6detail17trampoline_kernelINS0_14default_configENS1_35radix_sort_onesweep_config_selectorIddEEZZNS1_29radix_sort_onesweep_iterationIS3_Lb0EN6thrust23THRUST_200600_302600_NS6detail15normal_iteratorINS8_10device_ptrIdEEEESD_SD_SD_jNS0_19identity_decomposerENS1_16block_id_wrapperIjLb1EEEEE10hipError_tT1_PNSt15iterator_traitsISI_E10value_typeET2_T3_PNSJ_ISO_E10value_typeET4_T5_PST_SU_PNS1_23onesweep_lookback_stateEbbT6_jjT7_P12ihipStream_tbENKUlT_T0_SI_SN_E_clISD_SD_SD_SD_EEDaS11_S12_SI_SN_EUlS11_E_NS1_11comp_targetILNS1_3genE4ELNS1_11target_archE910ELNS1_3gpuE8ELNS1_3repE0EEENS1_47radix_sort_onesweep_sort_config_static_selectorELNS0_4arch9wavefront6targetE1EEEvSI_
	.globl	_ZN7rocprim17ROCPRIM_400000_NS6detail17trampoline_kernelINS0_14default_configENS1_35radix_sort_onesweep_config_selectorIddEEZZNS1_29radix_sort_onesweep_iterationIS3_Lb0EN6thrust23THRUST_200600_302600_NS6detail15normal_iteratorINS8_10device_ptrIdEEEESD_SD_SD_jNS0_19identity_decomposerENS1_16block_id_wrapperIjLb1EEEEE10hipError_tT1_PNSt15iterator_traitsISI_E10value_typeET2_T3_PNSJ_ISO_E10value_typeET4_T5_PST_SU_PNS1_23onesweep_lookback_stateEbbT6_jjT7_P12ihipStream_tbENKUlT_T0_SI_SN_E_clISD_SD_SD_SD_EEDaS11_S12_SI_SN_EUlS11_E_NS1_11comp_targetILNS1_3genE4ELNS1_11target_archE910ELNS1_3gpuE8ELNS1_3repE0EEENS1_47radix_sort_onesweep_sort_config_static_selectorELNS0_4arch9wavefront6targetE1EEEvSI_
	.p2align	8
	.type	_ZN7rocprim17ROCPRIM_400000_NS6detail17trampoline_kernelINS0_14default_configENS1_35radix_sort_onesweep_config_selectorIddEEZZNS1_29radix_sort_onesweep_iterationIS3_Lb0EN6thrust23THRUST_200600_302600_NS6detail15normal_iteratorINS8_10device_ptrIdEEEESD_SD_SD_jNS0_19identity_decomposerENS1_16block_id_wrapperIjLb1EEEEE10hipError_tT1_PNSt15iterator_traitsISI_E10value_typeET2_T3_PNSJ_ISO_E10value_typeET4_T5_PST_SU_PNS1_23onesweep_lookback_stateEbbT6_jjT7_P12ihipStream_tbENKUlT_T0_SI_SN_E_clISD_SD_SD_SD_EEDaS11_S12_SI_SN_EUlS11_E_NS1_11comp_targetILNS1_3genE4ELNS1_11target_archE910ELNS1_3gpuE8ELNS1_3repE0EEENS1_47radix_sort_onesweep_sort_config_static_selectorELNS0_4arch9wavefront6targetE1EEEvSI_,@function
_ZN7rocprim17ROCPRIM_400000_NS6detail17trampoline_kernelINS0_14default_configENS1_35radix_sort_onesweep_config_selectorIddEEZZNS1_29radix_sort_onesweep_iterationIS3_Lb0EN6thrust23THRUST_200600_302600_NS6detail15normal_iteratorINS8_10device_ptrIdEEEESD_SD_SD_jNS0_19identity_decomposerENS1_16block_id_wrapperIjLb1EEEEE10hipError_tT1_PNSt15iterator_traitsISI_E10value_typeET2_T3_PNSJ_ISO_E10value_typeET4_T5_PST_SU_PNS1_23onesweep_lookback_stateEbbT6_jjT7_P12ihipStream_tbENKUlT_T0_SI_SN_E_clISD_SD_SD_SD_EEDaS11_S12_SI_SN_EUlS11_E_NS1_11comp_targetILNS1_3genE4ELNS1_11target_archE910ELNS1_3gpuE8ELNS1_3repE0EEENS1_47radix_sort_onesweep_sort_config_static_selectorELNS0_4arch9wavefront6targetE1EEEvSI_: ; @_ZN7rocprim17ROCPRIM_400000_NS6detail17trampoline_kernelINS0_14default_configENS1_35radix_sort_onesweep_config_selectorIddEEZZNS1_29radix_sort_onesweep_iterationIS3_Lb0EN6thrust23THRUST_200600_302600_NS6detail15normal_iteratorINS8_10device_ptrIdEEEESD_SD_SD_jNS0_19identity_decomposerENS1_16block_id_wrapperIjLb1EEEEE10hipError_tT1_PNSt15iterator_traitsISI_E10value_typeET2_T3_PNSJ_ISO_E10value_typeET4_T5_PST_SU_PNS1_23onesweep_lookback_stateEbbT6_jjT7_P12ihipStream_tbENKUlT_T0_SI_SN_E_clISD_SD_SD_SD_EEDaS11_S12_SI_SN_EUlS11_E_NS1_11comp_targetILNS1_3genE4ELNS1_11target_archE910ELNS1_3gpuE8ELNS1_3repE0EEENS1_47radix_sort_onesweep_sort_config_static_selectorELNS0_4arch9wavefront6targetE1EEEvSI_
; %bb.0:
	.section	.rodata,"a",@progbits
	.p2align	6, 0x0
	.amdhsa_kernel _ZN7rocprim17ROCPRIM_400000_NS6detail17trampoline_kernelINS0_14default_configENS1_35radix_sort_onesweep_config_selectorIddEEZZNS1_29radix_sort_onesweep_iterationIS3_Lb0EN6thrust23THRUST_200600_302600_NS6detail15normal_iteratorINS8_10device_ptrIdEEEESD_SD_SD_jNS0_19identity_decomposerENS1_16block_id_wrapperIjLb1EEEEE10hipError_tT1_PNSt15iterator_traitsISI_E10value_typeET2_T3_PNSJ_ISO_E10value_typeET4_T5_PST_SU_PNS1_23onesweep_lookback_stateEbbT6_jjT7_P12ihipStream_tbENKUlT_T0_SI_SN_E_clISD_SD_SD_SD_EEDaS11_S12_SI_SN_EUlS11_E_NS1_11comp_targetILNS1_3genE4ELNS1_11target_archE910ELNS1_3gpuE8ELNS1_3repE0EEENS1_47radix_sort_onesweep_sort_config_static_selectorELNS0_4arch9wavefront6targetE1EEEvSI_
		.amdhsa_group_segment_fixed_size 0
		.amdhsa_private_segment_fixed_size 0
		.amdhsa_kernarg_size 88
		.amdhsa_user_sgpr_count 2
		.amdhsa_user_sgpr_dispatch_ptr 0
		.amdhsa_user_sgpr_queue_ptr 0
		.amdhsa_user_sgpr_kernarg_segment_ptr 1
		.amdhsa_user_sgpr_dispatch_id 0
		.amdhsa_user_sgpr_kernarg_preload_length 0
		.amdhsa_user_sgpr_kernarg_preload_offset 0
		.amdhsa_user_sgpr_private_segment_size 0
		.amdhsa_uses_dynamic_stack 0
		.amdhsa_enable_private_segment 0
		.amdhsa_system_sgpr_workgroup_id_x 1
		.amdhsa_system_sgpr_workgroup_id_y 0
		.amdhsa_system_sgpr_workgroup_id_z 0
		.amdhsa_system_sgpr_workgroup_info 0
		.amdhsa_system_vgpr_workitem_id 0
		.amdhsa_next_free_vgpr 1
		.amdhsa_next_free_sgpr 0
		.amdhsa_accum_offset 4
		.amdhsa_reserve_vcc 0
		.amdhsa_float_round_mode_32 0
		.amdhsa_float_round_mode_16_64 0
		.amdhsa_float_denorm_mode_32 3
		.amdhsa_float_denorm_mode_16_64 3
		.amdhsa_dx10_clamp 1
		.amdhsa_ieee_mode 1
		.amdhsa_fp16_overflow 0
		.amdhsa_tg_split 0
		.amdhsa_exception_fp_ieee_invalid_op 0
		.amdhsa_exception_fp_denorm_src 0
		.amdhsa_exception_fp_ieee_div_zero 0
		.amdhsa_exception_fp_ieee_overflow 0
		.amdhsa_exception_fp_ieee_underflow 0
		.amdhsa_exception_fp_ieee_inexact 0
		.amdhsa_exception_int_div_zero 0
	.end_amdhsa_kernel
	.section	.text._ZN7rocprim17ROCPRIM_400000_NS6detail17trampoline_kernelINS0_14default_configENS1_35radix_sort_onesweep_config_selectorIddEEZZNS1_29radix_sort_onesweep_iterationIS3_Lb0EN6thrust23THRUST_200600_302600_NS6detail15normal_iteratorINS8_10device_ptrIdEEEESD_SD_SD_jNS0_19identity_decomposerENS1_16block_id_wrapperIjLb1EEEEE10hipError_tT1_PNSt15iterator_traitsISI_E10value_typeET2_T3_PNSJ_ISO_E10value_typeET4_T5_PST_SU_PNS1_23onesweep_lookback_stateEbbT6_jjT7_P12ihipStream_tbENKUlT_T0_SI_SN_E_clISD_SD_SD_SD_EEDaS11_S12_SI_SN_EUlS11_E_NS1_11comp_targetILNS1_3genE4ELNS1_11target_archE910ELNS1_3gpuE8ELNS1_3repE0EEENS1_47radix_sort_onesweep_sort_config_static_selectorELNS0_4arch9wavefront6targetE1EEEvSI_,"axG",@progbits,_ZN7rocprim17ROCPRIM_400000_NS6detail17trampoline_kernelINS0_14default_configENS1_35radix_sort_onesweep_config_selectorIddEEZZNS1_29radix_sort_onesweep_iterationIS3_Lb0EN6thrust23THRUST_200600_302600_NS6detail15normal_iteratorINS8_10device_ptrIdEEEESD_SD_SD_jNS0_19identity_decomposerENS1_16block_id_wrapperIjLb1EEEEE10hipError_tT1_PNSt15iterator_traitsISI_E10value_typeET2_T3_PNSJ_ISO_E10value_typeET4_T5_PST_SU_PNS1_23onesweep_lookback_stateEbbT6_jjT7_P12ihipStream_tbENKUlT_T0_SI_SN_E_clISD_SD_SD_SD_EEDaS11_S12_SI_SN_EUlS11_E_NS1_11comp_targetILNS1_3genE4ELNS1_11target_archE910ELNS1_3gpuE8ELNS1_3repE0EEENS1_47radix_sort_onesweep_sort_config_static_selectorELNS0_4arch9wavefront6targetE1EEEvSI_,comdat
.Lfunc_end113:
	.size	_ZN7rocprim17ROCPRIM_400000_NS6detail17trampoline_kernelINS0_14default_configENS1_35radix_sort_onesweep_config_selectorIddEEZZNS1_29radix_sort_onesweep_iterationIS3_Lb0EN6thrust23THRUST_200600_302600_NS6detail15normal_iteratorINS8_10device_ptrIdEEEESD_SD_SD_jNS0_19identity_decomposerENS1_16block_id_wrapperIjLb1EEEEE10hipError_tT1_PNSt15iterator_traitsISI_E10value_typeET2_T3_PNSJ_ISO_E10value_typeET4_T5_PST_SU_PNS1_23onesweep_lookback_stateEbbT6_jjT7_P12ihipStream_tbENKUlT_T0_SI_SN_E_clISD_SD_SD_SD_EEDaS11_S12_SI_SN_EUlS11_E_NS1_11comp_targetILNS1_3genE4ELNS1_11target_archE910ELNS1_3gpuE8ELNS1_3repE0EEENS1_47radix_sort_onesweep_sort_config_static_selectorELNS0_4arch9wavefront6targetE1EEEvSI_, .Lfunc_end113-_ZN7rocprim17ROCPRIM_400000_NS6detail17trampoline_kernelINS0_14default_configENS1_35radix_sort_onesweep_config_selectorIddEEZZNS1_29radix_sort_onesweep_iterationIS3_Lb0EN6thrust23THRUST_200600_302600_NS6detail15normal_iteratorINS8_10device_ptrIdEEEESD_SD_SD_jNS0_19identity_decomposerENS1_16block_id_wrapperIjLb1EEEEE10hipError_tT1_PNSt15iterator_traitsISI_E10value_typeET2_T3_PNSJ_ISO_E10value_typeET4_T5_PST_SU_PNS1_23onesweep_lookback_stateEbbT6_jjT7_P12ihipStream_tbENKUlT_T0_SI_SN_E_clISD_SD_SD_SD_EEDaS11_S12_SI_SN_EUlS11_E_NS1_11comp_targetILNS1_3genE4ELNS1_11target_archE910ELNS1_3gpuE8ELNS1_3repE0EEENS1_47radix_sort_onesweep_sort_config_static_selectorELNS0_4arch9wavefront6targetE1EEEvSI_
                                        ; -- End function
	.set _ZN7rocprim17ROCPRIM_400000_NS6detail17trampoline_kernelINS0_14default_configENS1_35radix_sort_onesweep_config_selectorIddEEZZNS1_29radix_sort_onesweep_iterationIS3_Lb0EN6thrust23THRUST_200600_302600_NS6detail15normal_iteratorINS8_10device_ptrIdEEEESD_SD_SD_jNS0_19identity_decomposerENS1_16block_id_wrapperIjLb1EEEEE10hipError_tT1_PNSt15iterator_traitsISI_E10value_typeET2_T3_PNSJ_ISO_E10value_typeET4_T5_PST_SU_PNS1_23onesweep_lookback_stateEbbT6_jjT7_P12ihipStream_tbENKUlT_T0_SI_SN_E_clISD_SD_SD_SD_EEDaS11_S12_SI_SN_EUlS11_E_NS1_11comp_targetILNS1_3genE4ELNS1_11target_archE910ELNS1_3gpuE8ELNS1_3repE0EEENS1_47radix_sort_onesweep_sort_config_static_selectorELNS0_4arch9wavefront6targetE1EEEvSI_.num_vgpr, 0
	.set _ZN7rocprim17ROCPRIM_400000_NS6detail17trampoline_kernelINS0_14default_configENS1_35radix_sort_onesweep_config_selectorIddEEZZNS1_29radix_sort_onesweep_iterationIS3_Lb0EN6thrust23THRUST_200600_302600_NS6detail15normal_iteratorINS8_10device_ptrIdEEEESD_SD_SD_jNS0_19identity_decomposerENS1_16block_id_wrapperIjLb1EEEEE10hipError_tT1_PNSt15iterator_traitsISI_E10value_typeET2_T3_PNSJ_ISO_E10value_typeET4_T5_PST_SU_PNS1_23onesweep_lookback_stateEbbT6_jjT7_P12ihipStream_tbENKUlT_T0_SI_SN_E_clISD_SD_SD_SD_EEDaS11_S12_SI_SN_EUlS11_E_NS1_11comp_targetILNS1_3genE4ELNS1_11target_archE910ELNS1_3gpuE8ELNS1_3repE0EEENS1_47radix_sort_onesweep_sort_config_static_selectorELNS0_4arch9wavefront6targetE1EEEvSI_.num_agpr, 0
	.set _ZN7rocprim17ROCPRIM_400000_NS6detail17trampoline_kernelINS0_14default_configENS1_35radix_sort_onesweep_config_selectorIddEEZZNS1_29radix_sort_onesweep_iterationIS3_Lb0EN6thrust23THRUST_200600_302600_NS6detail15normal_iteratorINS8_10device_ptrIdEEEESD_SD_SD_jNS0_19identity_decomposerENS1_16block_id_wrapperIjLb1EEEEE10hipError_tT1_PNSt15iterator_traitsISI_E10value_typeET2_T3_PNSJ_ISO_E10value_typeET4_T5_PST_SU_PNS1_23onesweep_lookback_stateEbbT6_jjT7_P12ihipStream_tbENKUlT_T0_SI_SN_E_clISD_SD_SD_SD_EEDaS11_S12_SI_SN_EUlS11_E_NS1_11comp_targetILNS1_3genE4ELNS1_11target_archE910ELNS1_3gpuE8ELNS1_3repE0EEENS1_47radix_sort_onesweep_sort_config_static_selectorELNS0_4arch9wavefront6targetE1EEEvSI_.numbered_sgpr, 0
	.set _ZN7rocprim17ROCPRIM_400000_NS6detail17trampoline_kernelINS0_14default_configENS1_35radix_sort_onesweep_config_selectorIddEEZZNS1_29radix_sort_onesweep_iterationIS3_Lb0EN6thrust23THRUST_200600_302600_NS6detail15normal_iteratorINS8_10device_ptrIdEEEESD_SD_SD_jNS0_19identity_decomposerENS1_16block_id_wrapperIjLb1EEEEE10hipError_tT1_PNSt15iterator_traitsISI_E10value_typeET2_T3_PNSJ_ISO_E10value_typeET4_T5_PST_SU_PNS1_23onesweep_lookback_stateEbbT6_jjT7_P12ihipStream_tbENKUlT_T0_SI_SN_E_clISD_SD_SD_SD_EEDaS11_S12_SI_SN_EUlS11_E_NS1_11comp_targetILNS1_3genE4ELNS1_11target_archE910ELNS1_3gpuE8ELNS1_3repE0EEENS1_47radix_sort_onesweep_sort_config_static_selectorELNS0_4arch9wavefront6targetE1EEEvSI_.num_named_barrier, 0
	.set _ZN7rocprim17ROCPRIM_400000_NS6detail17trampoline_kernelINS0_14default_configENS1_35radix_sort_onesweep_config_selectorIddEEZZNS1_29radix_sort_onesweep_iterationIS3_Lb0EN6thrust23THRUST_200600_302600_NS6detail15normal_iteratorINS8_10device_ptrIdEEEESD_SD_SD_jNS0_19identity_decomposerENS1_16block_id_wrapperIjLb1EEEEE10hipError_tT1_PNSt15iterator_traitsISI_E10value_typeET2_T3_PNSJ_ISO_E10value_typeET4_T5_PST_SU_PNS1_23onesweep_lookback_stateEbbT6_jjT7_P12ihipStream_tbENKUlT_T0_SI_SN_E_clISD_SD_SD_SD_EEDaS11_S12_SI_SN_EUlS11_E_NS1_11comp_targetILNS1_3genE4ELNS1_11target_archE910ELNS1_3gpuE8ELNS1_3repE0EEENS1_47radix_sort_onesweep_sort_config_static_selectorELNS0_4arch9wavefront6targetE1EEEvSI_.private_seg_size, 0
	.set _ZN7rocprim17ROCPRIM_400000_NS6detail17trampoline_kernelINS0_14default_configENS1_35radix_sort_onesweep_config_selectorIddEEZZNS1_29radix_sort_onesweep_iterationIS3_Lb0EN6thrust23THRUST_200600_302600_NS6detail15normal_iteratorINS8_10device_ptrIdEEEESD_SD_SD_jNS0_19identity_decomposerENS1_16block_id_wrapperIjLb1EEEEE10hipError_tT1_PNSt15iterator_traitsISI_E10value_typeET2_T3_PNSJ_ISO_E10value_typeET4_T5_PST_SU_PNS1_23onesweep_lookback_stateEbbT6_jjT7_P12ihipStream_tbENKUlT_T0_SI_SN_E_clISD_SD_SD_SD_EEDaS11_S12_SI_SN_EUlS11_E_NS1_11comp_targetILNS1_3genE4ELNS1_11target_archE910ELNS1_3gpuE8ELNS1_3repE0EEENS1_47radix_sort_onesweep_sort_config_static_selectorELNS0_4arch9wavefront6targetE1EEEvSI_.uses_vcc, 0
	.set _ZN7rocprim17ROCPRIM_400000_NS6detail17trampoline_kernelINS0_14default_configENS1_35radix_sort_onesweep_config_selectorIddEEZZNS1_29radix_sort_onesweep_iterationIS3_Lb0EN6thrust23THRUST_200600_302600_NS6detail15normal_iteratorINS8_10device_ptrIdEEEESD_SD_SD_jNS0_19identity_decomposerENS1_16block_id_wrapperIjLb1EEEEE10hipError_tT1_PNSt15iterator_traitsISI_E10value_typeET2_T3_PNSJ_ISO_E10value_typeET4_T5_PST_SU_PNS1_23onesweep_lookback_stateEbbT6_jjT7_P12ihipStream_tbENKUlT_T0_SI_SN_E_clISD_SD_SD_SD_EEDaS11_S12_SI_SN_EUlS11_E_NS1_11comp_targetILNS1_3genE4ELNS1_11target_archE910ELNS1_3gpuE8ELNS1_3repE0EEENS1_47radix_sort_onesweep_sort_config_static_selectorELNS0_4arch9wavefront6targetE1EEEvSI_.uses_flat_scratch, 0
	.set _ZN7rocprim17ROCPRIM_400000_NS6detail17trampoline_kernelINS0_14default_configENS1_35radix_sort_onesweep_config_selectorIddEEZZNS1_29radix_sort_onesweep_iterationIS3_Lb0EN6thrust23THRUST_200600_302600_NS6detail15normal_iteratorINS8_10device_ptrIdEEEESD_SD_SD_jNS0_19identity_decomposerENS1_16block_id_wrapperIjLb1EEEEE10hipError_tT1_PNSt15iterator_traitsISI_E10value_typeET2_T3_PNSJ_ISO_E10value_typeET4_T5_PST_SU_PNS1_23onesweep_lookback_stateEbbT6_jjT7_P12ihipStream_tbENKUlT_T0_SI_SN_E_clISD_SD_SD_SD_EEDaS11_S12_SI_SN_EUlS11_E_NS1_11comp_targetILNS1_3genE4ELNS1_11target_archE910ELNS1_3gpuE8ELNS1_3repE0EEENS1_47radix_sort_onesweep_sort_config_static_selectorELNS0_4arch9wavefront6targetE1EEEvSI_.has_dyn_sized_stack, 0
	.set _ZN7rocprim17ROCPRIM_400000_NS6detail17trampoline_kernelINS0_14default_configENS1_35radix_sort_onesweep_config_selectorIddEEZZNS1_29radix_sort_onesweep_iterationIS3_Lb0EN6thrust23THRUST_200600_302600_NS6detail15normal_iteratorINS8_10device_ptrIdEEEESD_SD_SD_jNS0_19identity_decomposerENS1_16block_id_wrapperIjLb1EEEEE10hipError_tT1_PNSt15iterator_traitsISI_E10value_typeET2_T3_PNSJ_ISO_E10value_typeET4_T5_PST_SU_PNS1_23onesweep_lookback_stateEbbT6_jjT7_P12ihipStream_tbENKUlT_T0_SI_SN_E_clISD_SD_SD_SD_EEDaS11_S12_SI_SN_EUlS11_E_NS1_11comp_targetILNS1_3genE4ELNS1_11target_archE910ELNS1_3gpuE8ELNS1_3repE0EEENS1_47radix_sort_onesweep_sort_config_static_selectorELNS0_4arch9wavefront6targetE1EEEvSI_.has_recursion, 0
	.set _ZN7rocprim17ROCPRIM_400000_NS6detail17trampoline_kernelINS0_14default_configENS1_35radix_sort_onesweep_config_selectorIddEEZZNS1_29radix_sort_onesweep_iterationIS3_Lb0EN6thrust23THRUST_200600_302600_NS6detail15normal_iteratorINS8_10device_ptrIdEEEESD_SD_SD_jNS0_19identity_decomposerENS1_16block_id_wrapperIjLb1EEEEE10hipError_tT1_PNSt15iterator_traitsISI_E10value_typeET2_T3_PNSJ_ISO_E10value_typeET4_T5_PST_SU_PNS1_23onesweep_lookback_stateEbbT6_jjT7_P12ihipStream_tbENKUlT_T0_SI_SN_E_clISD_SD_SD_SD_EEDaS11_S12_SI_SN_EUlS11_E_NS1_11comp_targetILNS1_3genE4ELNS1_11target_archE910ELNS1_3gpuE8ELNS1_3repE0EEENS1_47radix_sort_onesweep_sort_config_static_selectorELNS0_4arch9wavefront6targetE1EEEvSI_.has_indirect_call, 0
	.section	.AMDGPU.csdata,"",@progbits
; Kernel info:
; codeLenInByte = 0
; TotalNumSgprs: 6
; NumVgprs: 0
; NumAgprs: 0
; TotalNumVgprs: 0
; ScratchSize: 0
; MemoryBound: 0
; FloatMode: 240
; IeeeMode: 1
; LDSByteSize: 0 bytes/workgroup (compile time only)
; SGPRBlocks: 0
; VGPRBlocks: 0
; NumSGPRsForWavesPerEU: 6
; NumVGPRsForWavesPerEU: 1
; AccumOffset: 4
; Occupancy: 8
; WaveLimiterHint : 0
; COMPUTE_PGM_RSRC2:SCRATCH_EN: 0
; COMPUTE_PGM_RSRC2:USER_SGPR: 2
; COMPUTE_PGM_RSRC2:TRAP_HANDLER: 0
; COMPUTE_PGM_RSRC2:TGID_X_EN: 1
; COMPUTE_PGM_RSRC2:TGID_Y_EN: 0
; COMPUTE_PGM_RSRC2:TGID_Z_EN: 0
; COMPUTE_PGM_RSRC2:TIDIG_COMP_CNT: 0
; COMPUTE_PGM_RSRC3_GFX90A:ACCUM_OFFSET: 0
; COMPUTE_PGM_RSRC3_GFX90A:TG_SPLIT: 0
	.section	.text._ZN7rocprim17ROCPRIM_400000_NS6detail17trampoline_kernelINS0_14default_configENS1_35radix_sort_onesweep_config_selectorIddEEZZNS1_29radix_sort_onesweep_iterationIS3_Lb0EN6thrust23THRUST_200600_302600_NS6detail15normal_iteratorINS8_10device_ptrIdEEEESD_SD_SD_jNS0_19identity_decomposerENS1_16block_id_wrapperIjLb1EEEEE10hipError_tT1_PNSt15iterator_traitsISI_E10value_typeET2_T3_PNSJ_ISO_E10value_typeET4_T5_PST_SU_PNS1_23onesweep_lookback_stateEbbT6_jjT7_P12ihipStream_tbENKUlT_T0_SI_SN_E_clISD_SD_SD_SD_EEDaS11_S12_SI_SN_EUlS11_E_NS1_11comp_targetILNS1_3genE3ELNS1_11target_archE908ELNS1_3gpuE7ELNS1_3repE0EEENS1_47radix_sort_onesweep_sort_config_static_selectorELNS0_4arch9wavefront6targetE1EEEvSI_,"axG",@progbits,_ZN7rocprim17ROCPRIM_400000_NS6detail17trampoline_kernelINS0_14default_configENS1_35radix_sort_onesweep_config_selectorIddEEZZNS1_29radix_sort_onesweep_iterationIS3_Lb0EN6thrust23THRUST_200600_302600_NS6detail15normal_iteratorINS8_10device_ptrIdEEEESD_SD_SD_jNS0_19identity_decomposerENS1_16block_id_wrapperIjLb1EEEEE10hipError_tT1_PNSt15iterator_traitsISI_E10value_typeET2_T3_PNSJ_ISO_E10value_typeET4_T5_PST_SU_PNS1_23onesweep_lookback_stateEbbT6_jjT7_P12ihipStream_tbENKUlT_T0_SI_SN_E_clISD_SD_SD_SD_EEDaS11_S12_SI_SN_EUlS11_E_NS1_11comp_targetILNS1_3genE3ELNS1_11target_archE908ELNS1_3gpuE7ELNS1_3repE0EEENS1_47radix_sort_onesweep_sort_config_static_selectorELNS0_4arch9wavefront6targetE1EEEvSI_,comdat
	.protected	_ZN7rocprim17ROCPRIM_400000_NS6detail17trampoline_kernelINS0_14default_configENS1_35radix_sort_onesweep_config_selectorIddEEZZNS1_29radix_sort_onesweep_iterationIS3_Lb0EN6thrust23THRUST_200600_302600_NS6detail15normal_iteratorINS8_10device_ptrIdEEEESD_SD_SD_jNS0_19identity_decomposerENS1_16block_id_wrapperIjLb1EEEEE10hipError_tT1_PNSt15iterator_traitsISI_E10value_typeET2_T3_PNSJ_ISO_E10value_typeET4_T5_PST_SU_PNS1_23onesweep_lookback_stateEbbT6_jjT7_P12ihipStream_tbENKUlT_T0_SI_SN_E_clISD_SD_SD_SD_EEDaS11_S12_SI_SN_EUlS11_E_NS1_11comp_targetILNS1_3genE3ELNS1_11target_archE908ELNS1_3gpuE7ELNS1_3repE0EEENS1_47radix_sort_onesweep_sort_config_static_selectorELNS0_4arch9wavefront6targetE1EEEvSI_ ; -- Begin function _ZN7rocprim17ROCPRIM_400000_NS6detail17trampoline_kernelINS0_14default_configENS1_35radix_sort_onesweep_config_selectorIddEEZZNS1_29radix_sort_onesweep_iterationIS3_Lb0EN6thrust23THRUST_200600_302600_NS6detail15normal_iteratorINS8_10device_ptrIdEEEESD_SD_SD_jNS0_19identity_decomposerENS1_16block_id_wrapperIjLb1EEEEE10hipError_tT1_PNSt15iterator_traitsISI_E10value_typeET2_T3_PNSJ_ISO_E10value_typeET4_T5_PST_SU_PNS1_23onesweep_lookback_stateEbbT6_jjT7_P12ihipStream_tbENKUlT_T0_SI_SN_E_clISD_SD_SD_SD_EEDaS11_S12_SI_SN_EUlS11_E_NS1_11comp_targetILNS1_3genE3ELNS1_11target_archE908ELNS1_3gpuE7ELNS1_3repE0EEENS1_47radix_sort_onesweep_sort_config_static_selectorELNS0_4arch9wavefront6targetE1EEEvSI_
	.globl	_ZN7rocprim17ROCPRIM_400000_NS6detail17trampoline_kernelINS0_14default_configENS1_35radix_sort_onesweep_config_selectorIddEEZZNS1_29radix_sort_onesweep_iterationIS3_Lb0EN6thrust23THRUST_200600_302600_NS6detail15normal_iteratorINS8_10device_ptrIdEEEESD_SD_SD_jNS0_19identity_decomposerENS1_16block_id_wrapperIjLb1EEEEE10hipError_tT1_PNSt15iterator_traitsISI_E10value_typeET2_T3_PNSJ_ISO_E10value_typeET4_T5_PST_SU_PNS1_23onesweep_lookback_stateEbbT6_jjT7_P12ihipStream_tbENKUlT_T0_SI_SN_E_clISD_SD_SD_SD_EEDaS11_S12_SI_SN_EUlS11_E_NS1_11comp_targetILNS1_3genE3ELNS1_11target_archE908ELNS1_3gpuE7ELNS1_3repE0EEENS1_47radix_sort_onesweep_sort_config_static_selectorELNS0_4arch9wavefront6targetE1EEEvSI_
	.p2align	8
	.type	_ZN7rocprim17ROCPRIM_400000_NS6detail17trampoline_kernelINS0_14default_configENS1_35radix_sort_onesweep_config_selectorIddEEZZNS1_29radix_sort_onesweep_iterationIS3_Lb0EN6thrust23THRUST_200600_302600_NS6detail15normal_iteratorINS8_10device_ptrIdEEEESD_SD_SD_jNS0_19identity_decomposerENS1_16block_id_wrapperIjLb1EEEEE10hipError_tT1_PNSt15iterator_traitsISI_E10value_typeET2_T3_PNSJ_ISO_E10value_typeET4_T5_PST_SU_PNS1_23onesweep_lookback_stateEbbT6_jjT7_P12ihipStream_tbENKUlT_T0_SI_SN_E_clISD_SD_SD_SD_EEDaS11_S12_SI_SN_EUlS11_E_NS1_11comp_targetILNS1_3genE3ELNS1_11target_archE908ELNS1_3gpuE7ELNS1_3repE0EEENS1_47radix_sort_onesweep_sort_config_static_selectorELNS0_4arch9wavefront6targetE1EEEvSI_,@function
_ZN7rocprim17ROCPRIM_400000_NS6detail17trampoline_kernelINS0_14default_configENS1_35radix_sort_onesweep_config_selectorIddEEZZNS1_29radix_sort_onesweep_iterationIS3_Lb0EN6thrust23THRUST_200600_302600_NS6detail15normal_iteratorINS8_10device_ptrIdEEEESD_SD_SD_jNS0_19identity_decomposerENS1_16block_id_wrapperIjLb1EEEEE10hipError_tT1_PNSt15iterator_traitsISI_E10value_typeET2_T3_PNSJ_ISO_E10value_typeET4_T5_PST_SU_PNS1_23onesweep_lookback_stateEbbT6_jjT7_P12ihipStream_tbENKUlT_T0_SI_SN_E_clISD_SD_SD_SD_EEDaS11_S12_SI_SN_EUlS11_E_NS1_11comp_targetILNS1_3genE3ELNS1_11target_archE908ELNS1_3gpuE7ELNS1_3repE0EEENS1_47radix_sort_onesweep_sort_config_static_selectorELNS0_4arch9wavefront6targetE1EEEvSI_: ; @_ZN7rocprim17ROCPRIM_400000_NS6detail17trampoline_kernelINS0_14default_configENS1_35radix_sort_onesweep_config_selectorIddEEZZNS1_29radix_sort_onesweep_iterationIS3_Lb0EN6thrust23THRUST_200600_302600_NS6detail15normal_iteratorINS8_10device_ptrIdEEEESD_SD_SD_jNS0_19identity_decomposerENS1_16block_id_wrapperIjLb1EEEEE10hipError_tT1_PNSt15iterator_traitsISI_E10value_typeET2_T3_PNSJ_ISO_E10value_typeET4_T5_PST_SU_PNS1_23onesweep_lookback_stateEbbT6_jjT7_P12ihipStream_tbENKUlT_T0_SI_SN_E_clISD_SD_SD_SD_EEDaS11_S12_SI_SN_EUlS11_E_NS1_11comp_targetILNS1_3genE3ELNS1_11target_archE908ELNS1_3gpuE7ELNS1_3repE0EEENS1_47radix_sort_onesweep_sort_config_static_selectorELNS0_4arch9wavefront6targetE1EEEvSI_
; %bb.0:
	.section	.rodata,"a",@progbits
	.p2align	6, 0x0
	.amdhsa_kernel _ZN7rocprim17ROCPRIM_400000_NS6detail17trampoline_kernelINS0_14default_configENS1_35radix_sort_onesweep_config_selectorIddEEZZNS1_29radix_sort_onesweep_iterationIS3_Lb0EN6thrust23THRUST_200600_302600_NS6detail15normal_iteratorINS8_10device_ptrIdEEEESD_SD_SD_jNS0_19identity_decomposerENS1_16block_id_wrapperIjLb1EEEEE10hipError_tT1_PNSt15iterator_traitsISI_E10value_typeET2_T3_PNSJ_ISO_E10value_typeET4_T5_PST_SU_PNS1_23onesweep_lookback_stateEbbT6_jjT7_P12ihipStream_tbENKUlT_T0_SI_SN_E_clISD_SD_SD_SD_EEDaS11_S12_SI_SN_EUlS11_E_NS1_11comp_targetILNS1_3genE3ELNS1_11target_archE908ELNS1_3gpuE7ELNS1_3repE0EEENS1_47radix_sort_onesweep_sort_config_static_selectorELNS0_4arch9wavefront6targetE1EEEvSI_
		.amdhsa_group_segment_fixed_size 0
		.amdhsa_private_segment_fixed_size 0
		.amdhsa_kernarg_size 88
		.amdhsa_user_sgpr_count 2
		.amdhsa_user_sgpr_dispatch_ptr 0
		.amdhsa_user_sgpr_queue_ptr 0
		.amdhsa_user_sgpr_kernarg_segment_ptr 1
		.amdhsa_user_sgpr_dispatch_id 0
		.amdhsa_user_sgpr_kernarg_preload_length 0
		.amdhsa_user_sgpr_kernarg_preload_offset 0
		.amdhsa_user_sgpr_private_segment_size 0
		.amdhsa_uses_dynamic_stack 0
		.amdhsa_enable_private_segment 0
		.amdhsa_system_sgpr_workgroup_id_x 1
		.amdhsa_system_sgpr_workgroup_id_y 0
		.amdhsa_system_sgpr_workgroup_id_z 0
		.amdhsa_system_sgpr_workgroup_info 0
		.amdhsa_system_vgpr_workitem_id 0
		.amdhsa_next_free_vgpr 1
		.amdhsa_next_free_sgpr 0
		.amdhsa_accum_offset 4
		.amdhsa_reserve_vcc 0
		.amdhsa_float_round_mode_32 0
		.amdhsa_float_round_mode_16_64 0
		.amdhsa_float_denorm_mode_32 3
		.amdhsa_float_denorm_mode_16_64 3
		.amdhsa_dx10_clamp 1
		.amdhsa_ieee_mode 1
		.amdhsa_fp16_overflow 0
		.amdhsa_tg_split 0
		.amdhsa_exception_fp_ieee_invalid_op 0
		.amdhsa_exception_fp_denorm_src 0
		.amdhsa_exception_fp_ieee_div_zero 0
		.amdhsa_exception_fp_ieee_overflow 0
		.amdhsa_exception_fp_ieee_underflow 0
		.amdhsa_exception_fp_ieee_inexact 0
		.amdhsa_exception_int_div_zero 0
	.end_amdhsa_kernel
	.section	.text._ZN7rocprim17ROCPRIM_400000_NS6detail17trampoline_kernelINS0_14default_configENS1_35radix_sort_onesweep_config_selectorIddEEZZNS1_29radix_sort_onesweep_iterationIS3_Lb0EN6thrust23THRUST_200600_302600_NS6detail15normal_iteratorINS8_10device_ptrIdEEEESD_SD_SD_jNS0_19identity_decomposerENS1_16block_id_wrapperIjLb1EEEEE10hipError_tT1_PNSt15iterator_traitsISI_E10value_typeET2_T3_PNSJ_ISO_E10value_typeET4_T5_PST_SU_PNS1_23onesweep_lookback_stateEbbT6_jjT7_P12ihipStream_tbENKUlT_T0_SI_SN_E_clISD_SD_SD_SD_EEDaS11_S12_SI_SN_EUlS11_E_NS1_11comp_targetILNS1_3genE3ELNS1_11target_archE908ELNS1_3gpuE7ELNS1_3repE0EEENS1_47radix_sort_onesweep_sort_config_static_selectorELNS0_4arch9wavefront6targetE1EEEvSI_,"axG",@progbits,_ZN7rocprim17ROCPRIM_400000_NS6detail17trampoline_kernelINS0_14default_configENS1_35radix_sort_onesweep_config_selectorIddEEZZNS1_29radix_sort_onesweep_iterationIS3_Lb0EN6thrust23THRUST_200600_302600_NS6detail15normal_iteratorINS8_10device_ptrIdEEEESD_SD_SD_jNS0_19identity_decomposerENS1_16block_id_wrapperIjLb1EEEEE10hipError_tT1_PNSt15iterator_traitsISI_E10value_typeET2_T3_PNSJ_ISO_E10value_typeET4_T5_PST_SU_PNS1_23onesweep_lookback_stateEbbT6_jjT7_P12ihipStream_tbENKUlT_T0_SI_SN_E_clISD_SD_SD_SD_EEDaS11_S12_SI_SN_EUlS11_E_NS1_11comp_targetILNS1_3genE3ELNS1_11target_archE908ELNS1_3gpuE7ELNS1_3repE0EEENS1_47radix_sort_onesweep_sort_config_static_selectorELNS0_4arch9wavefront6targetE1EEEvSI_,comdat
.Lfunc_end114:
	.size	_ZN7rocprim17ROCPRIM_400000_NS6detail17trampoline_kernelINS0_14default_configENS1_35radix_sort_onesweep_config_selectorIddEEZZNS1_29radix_sort_onesweep_iterationIS3_Lb0EN6thrust23THRUST_200600_302600_NS6detail15normal_iteratorINS8_10device_ptrIdEEEESD_SD_SD_jNS0_19identity_decomposerENS1_16block_id_wrapperIjLb1EEEEE10hipError_tT1_PNSt15iterator_traitsISI_E10value_typeET2_T3_PNSJ_ISO_E10value_typeET4_T5_PST_SU_PNS1_23onesweep_lookback_stateEbbT6_jjT7_P12ihipStream_tbENKUlT_T0_SI_SN_E_clISD_SD_SD_SD_EEDaS11_S12_SI_SN_EUlS11_E_NS1_11comp_targetILNS1_3genE3ELNS1_11target_archE908ELNS1_3gpuE7ELNS1_3repE0EEENS1_47radix_sort_onesweep_sort_config_static_selectorELNS0_4arch9wavefront6targetE1EEEvSI_, .Lfunc_end114-_ZN7rocprim17ROCPRIM_400000_NS6detail17trampoline_kernelINS0_14default_configENS1_35radix_sort_onesweep_config_selectorIddEEZZNS1_29radix_sort_onesweep_iterationIS3_Lb0EN6thrust23THRUST_200600_302600_NS6detail15normal_iteratorINS8_10device_ptrIdEEEESD_SD_SD_jNS0_19identity_decomposerENS1_16block_id_wrapperIjLb1EEEEE10hipError_tT1_PNSt15iterator_traitsISI_E10value_typeET2_T3_PNSJ_ISO_E10value_typeET4_T5_PST_SU_PNS1_23onesweep_lookback_stateEbbT6_jjT7_P12ihipStream_tbENKUlT_T0_SI_SN_E_clISD_SD_SD_SD_EEDaS11_S12_SI_SN_EUlS11_E_NS1_11comp_targetILNS1_3genE3ELNS1_11target_archE908ELNS1_3gpuE7ELNS1_3repE0EEENS1_47radix_sort_onesweep_sort_config_static_selectorELNS0_4arch9wavefront6targetE1EEEvSI_
                                        ; -- End function
	.set _ZN7rocprim17ROCPRIM_400000_NS6detail17trampoline_kernelINS0_14default_configENS1_35radix_sort_onesweep_config_selectorIddEEZZNS1_29radix_sort_onesweep_iterationIS3_Lb0EN6thrust23THRUST_200600_302600_NS6detail15normal_iteratorINS8_10device_ptrIdEEEESD_SD_SD_jNS0_19identity_decomposerENS1_16block_id_wrapperIjLb1EEEEE10hipError_tT1_PNSt15iterator_traitsISI_E10value_typeET2_T3_PNSJ_ISO_E10value_typeET4_T5_PST_SU_PNS1_23onesweep_lookback_stateEbbT6_jjT7_P12ihipStream_tbENKUlT_T0_SI_SN_E_clISD_SD_SD_SD_EEDaS11_S12_SI_SN_EUlS11_E_NS1_11comp_targetILNS1_3genE3ELNS1_11target_archE908ELNS1_3gpuE7ELNS1_3repE0EEENS1_47radix_sort_onesweep_sort_config_static_selectorELNS0_4arch9wavefront6targetE1EEEvSI_.num_vgpr, 0
	.set _ZN7rocprim17ROCPRIM_400000_NS6detail17trampoline_kernelINS0_14default_configENS1_35radix_sort_onesweep_config_selectorIddEEZZNS1_29radix_sort_onesweep_iterationIS3_Lb0EN6thrust23THRUST_200600_302600_NS6detail15normal_iteratorINS8_10device_ptrIdEEEESD_SD_SD_jNS0_19identity_decomposerENS1_16block_id_wrapperIjLb1EEEEE10hipError_tT1_PNSt15iterator_traitsISI_E10value_typeET2_T3_PNSJ_ISO_E10value_typeET4_T5_PST_SU_PNS1_23onesweep_lookback_stateEbbT6_jjT7_P12ihipStream_tbENKUlT_T0_SI_SN_E_clISD_SD_SD_SD_EEDaS11_S12_SI_SN_EUlS11_E_NS1_11comp_targetILNS1_3genE3ELNS1_11target_archE908ELNS1_3gpuE7ELNS1_3repE0EEENS1_47radix_sort_onesweep_sort_config_static_selectorELNS0_4arch9wavefront6targetE1EEEvSI_.num_agpr, 0
	.set _ZN7rocprim17ROCPRIM_400000_NS6detail17trampoline_kernelINS0_14default_configENS1_35radix_sort_onesweep_config_selectorIddEEZZNS1_29radix_sort_onesweep_iterationIS3_Lb0EN6thrust23THRUST_200600_302600_NS6detail15normal_iteratorINS8_10device_ptrIdEEEESD_SD_SD_jNS0_19identity_decomposerENS1_16block_id_wrapperIjLb1EEEEE10hipError_tT1_PNSt15iterator_traitsISI_E10value_typeET2_T3_PNSJ_ISO_E10value_typeET4_T5_PST_SU_PNS1_23onesweep_lookback_stateEbbT6_jjT7_P12ihipStream_tbENKUlT_T0_SI_SN_E_clISD_SD_SD_SD_EEDaS11_S12_SI_SN_EUlS11_E_NS1_11comp_targetILNS1_3genE3ELNS1_11target_archE908ELNS1_3gpuE7ELNS1_3repE0EEENS1_47radix_sort_onesweep_sort_config_static_selectorELNS0_4arch9wavefront6targetE1EEEvSI_.numbered_sgpr, 0
	.set _ZN7rocprim17ROCPRIM_400000_NS6detail17trampoline_kernelINS0_14default_configENS1_35radix_sort_onesweep_config_selectorIddEEZZNS1_29radix_sort_onesweep_iterationIS3_Lb0EN6thrust23THRUST_200600_302600_NS6detail15normal_iteratorINS8_10device_ptrIdEEEESD_SD_SD_jNS0_19identity_decomposerENS1_16block_id_wrapperIjLb1EEEEE10hipError_tT1_PNSt15iterator_traitsISI_E10value_typeET2_T3_PNSJ_ISO_E10value_typeET4_T5_PST_SU_PNS1_23onesweep_lookback_stateEbbT6_jjT7_P12ihipStream_tbENKUlT_T0_SI_SN_E_clISD_SD_SD_SD_EEDaS11_S12_SI_SN_EUlS11_E_NS1_11comp_targetILNS1_3genE3ELNS1_11target_archE908ELNS1_3gpuE7ELNS1_3repE0EEENS1_47radix_sort_onesweep_sort_config_static_selectorELNS0_4arch9wavefront6targetE1EEEvSI_.num_named_barrier, 0
	.set _ZN7rocprim17ROCPRIM_400000_NS6detail17trampoline_kernelINS0_14default_configENS1_35radix_sort_onesweep_config_selectorIddEEZZNS1_29radix_sort_onesweep_iterationIS3_Lb0EN6thrust23THRUST_200600_302600_NS6detail15normal_iteratorINS8_10device_ptrIdEEEESD_SD_SD_jNS0_19identity_decomposerENS1_16block_id_wrapperIjLb1EEEEE10hipError_tT1_PNSt15iterator_traitsISI_E10value_typeET2_T3_PNSJ_ISO_E10value_typeET4_T5_PST_SU_PNS1_23onesweep_lookback_stateEbbT6_jjT7_P12ihipStream_tbENKUlT_T0_SI_SN_E_clISD_SD_SD_SD_EEDaS11_S12_SI_SN_EUlS11_E_NS1_11comp_targetILNS1_3genE3ELNS1_11target_archE908ELNS1_3gpuE7ELNS1_3repE0EEENS1_47radix_sort_onesweep_sort_config_static_selectorELNS0_4arch9wavefront6targetE1EEEvSI_.private_seg_size, 0
	.set _ZN7rocprim17ROCPRIM_400000_NS6detail17trampoline_kernelINS0_14default_configENS1_35radix_sort_onesweep_config_selectorIddEEZZNS1_29radix_sort_onesweep_iterationIS3_Lb0EN6thrust23THRUST_200600_302600_NS6detail15normal_iteratorINS8_10device_ptrIdEEEESD_SD_SD_jNS0_19identity_decomposerENS1_16block_id_wrapperIjLb1EEEEE10hipError_tT1_PNSt15iterator_traitsISI_E10value_typeET2_T3_PNSJ_ISO_E10value_typeET4_T5_PST_SU_PNS1_23onesweep_lookback_stateEbbT6_jjT7_P12ihipStream_tbENKUlT_T0_SI_SN_E_clISD_SD_SD_SD_EEDaS11_S12_SI_SN_EUlS11_E_NS1_11comp_targetILNS1_3genE3ELNS1_11target_archE908ELNS1_3gpuE7ELNS1_3repE0EEENS1_47radix_sort_onesweep_sort_config_static_selectorELNS0_4arch9wavefront6targetE1EEEvSI_.uses_vcc, 0
	.set _ZN7rocprim17ROCPRIM_400000_NS6detail17trampoline_kernelINS0_14default_configENS1_35radix_sort_onesweep_config_selectorIddEEZZNS1_29radix_sort_onesweep_iterationIS3_Lb0EN6thrust23THRUST_200600_302600_NS6detail15normal_iteratorINS8_10device_ptrIdEEEESD_SD_SD_jNS0_19identity_decomposerENS1_16block_id_wrapperIjLb1EEEEE10hipError_tT1_PNSt15iterator_traitsISI_E10value_typeET2_T3_PNSJ_ISO_E10value_typeET4_T5_PST_SU_PNS1_23onesweep_lookback_stateEbbT6_jjT7_P12ihipStream_tbENKUlT_T0_SI_SN_E_clISD_SD_SD_SD_EEDaS11_S12_SI_SN_EUlS11_E_NS1_11comp_targetILNS1_3genE3ELNS1_11target_archE908ELNS1_3gpuE7ELNS1_3repE0EEENS1_47radix_sort_onesweep_sort_config_static_selectorELNS0_4arch9wavefront6targetE1EEEvSI_.uses_flat_scratch, 0
	.set _ZN7rocprim17ROCPRIM_400000_NS6detail17trampoline_kernelINS0_14default_configENS1_35radix_sort_onesweep_config_selectorIddEEZZNS1_29radix_sort_onesweep_iterationIS3_Lb0EN6thrust23THRUST_200600_302600_NS6detail15normal_iteratorINS8_10device_ptrIdEEEESD_SD_SD_jNS0_19identity_decomposerENS1_16block_id_wrapperIjLb1EEEEE10hipError_tT1_PNSt15iterator_traitsISI_E10value_typeET2_T3_PNSJ_ISO_E10value_typeET4_T5_PST_SU_PNS1_23onesweep_lookback_stateEbbT6_jjT7_P12ihipStream_tbENKUlT_T0_SI_SN_E_clISD_SD_SD_SD_EEDaS11_S12_SI_SN_EUlS11_E_NS1_11comp_targetILNS1_3genE3ELNS1_11target_archE908ELNS1_3gpuE7ELNS1_3repE0EEENS1_47radix_sort_onesweep_sort_config_static_selectorELNS0_4arch9wavefront6targetE1EEEvSI_.has_dyn_sized_stack, 0
	.set _ZN7rocprim17ROCPRIM_400000_NS6detail17trampoline_kernelINS0_14default_configENS1_35radix_sort_onesweep_config_selectorIddEEZZNS1_29radix_sort_onesweep_iterationIS3_Lb0EN6thrust23THRUST_200600_302600_NS6detail15normal_iteratorINS8_10device_ptrIdEEEESD_SD_SD_jNS0_19identity_decomposerENS1_16block_id_wrapperIjLb1EEEEE10hipError_tT1_PNSt15iterator_traitsISI_E10value_typeET2_T3_PNSJ_ISO_E10value_typeET4_T5_PST_SU_PNS1_23onesweep_lookback_stateEbbT6_jjT7_P12ihipStream_tbENKUlT_T0_SI_SN_E_clISD_SD_SD_SD_EEDaS11_S12_SI_SN_EUlS11_E_NS1_11comp_targetILNS1_3genE3ELNS1_11target_archE908ELNS1_3gpuE7ELNS1_3repE0EEENS1_47radix_sort_onesweep_sort_config_static_selectorELNS0_4arch9wavefront6targetE1EEEvSI_.has_recursion, 0
	.set _ZN7rocprim17ROCPRIM_400000_NS6detail17trampoline_kernelINS0_14default_configENS1_35radix_sort_onesweep_config_selectorIddEEZZNS1_29radix_sort_onesweep_iterationIS3_Lb0EN6thrust23THRUST_200600_302600_NS6detail15normal_iteratorINS8_10device_ptrIdEEEESD_SD_SD_jNS0_19identity_decomposerENS1_16block_id_wrapperIjLb1EEEEE10hipError_tT1_PNSt15iterator_traitsISI_E10value_typeET2_T3_PNSJ_ISO_E10value_typeET4_T5_PST_SU_PNS1_23onesweep_lookback_stateEbbT6_jjT7_P12ihipStream_tbENKUlT_T0_SI_SN_E_clISD_SD_SD_SD_EEDaS11_S12_SI_SN_EUlS11_E_NS1_11comp_targetILNS1_3genE3ELNS1_11target_archE908ELNS1_3gpuE7ELNS1_3repE0EEENS1_47radix_sort_onesweep_sort_config_static_selectorELNS0_4arch9wavefront6targetE1EEEvSI_.has_indirect_call, 0
	.section	.AMDGPU.csdata,"",@progbits
; Kernel info:
; codeLenInByte = 0
; TotalNumSgprs: 6
; NumVgprs: 0
; NumAgprs: 0
; TotalNumVgprs: 0
; ScratchSize: 0
; MemoryBound: 0
; FloatMode: 240
; IeeeMode: 1
; LDSByteSize: 0 bytes/workgroup (compile time only)
; SGPRBlocks: 0
; VGPRBlocks: 0
; NumSGPRsForWavesPerEU: 6
; NumVGPRsForWavesPerEU: 1
; AccumOffset: 4
; Occupancy: 8
; WaveLimiterHint : 0
; COMPUTE_PGM_RSRC2:SCRATCH_EN: 0
; COMPUTE_PGM_RSRC2:USER_SGPR: 2
; COMPUTE_PGM_RSRC2:TRAP_HANDLER: 0
; COMPUTE_PGM_RSRC2:TGID_X_EN: 1
; COMPUTE_PGM_RSRC2:TGID_Y_EN: 0
; COMPUTE_PGM_RSRC2:TGID_Z_EN: 0
; COMPUTE_PGM_RSRC2:TIDIG_COMP_CNT: 0
; COMPUTE_PGM_RSRC3_GFX90A:ACCUM_OFFSET: 0
; COMPUTE_PGM_RSRC3_GFX90A:TG_SPLIT: 0
	.section	.text._ZN7rocprim17ROCPRIM_400000_NS6detail17trampoline_kernelINS0_14default_configENS1_35radix_sort_onesweep_config_selectorIddEEZZNS1_29radix_sort_onesweep_iterationIS3_Lb0EN6thrust23THRUST_200600_302600_NS6detail15normal_iteratorINS8_10device_ptrIdEEEESD_SD_SD_jNS0_19identity_decomposerENS1_16block_id_wrapperIjLb1EEEEE10hipError_tT1_PNSt15iterator_traitsISI_E10value_typeET2_T3_PNSJ_ISO_E10value_typeET4_T5_PST_SU_PNS1_23onesweep_lookback_stateEbbT6_jjT7_P12ihipStream_tbENKUlT_T0_SI_SN_E_clISD_SD_SD_SD_EEDaS11_S12_SI_SN_EUlS11_E_NS1_11comp_targetILNS1_3genE10ELNS1_11target_archE1201ELNS1_3gpuE5ELNS1_3repE0EEENS1_47radix_sort_onesweep_sort_config_static_selectorELNS0_4arch9wavefront6targetE1EEEvSI_,"axG",@progbits,_ZN7rocprim17ROCPRIM_400000_NS6detail17trampoline_kernelINS0_14default_configENS1_35radix_sort_onesweep_config_selectorIddEEZZNS1_29radix_sort_onesweep_iterationIS3_Lb0EN6thrust23THRUST_200600_302600_NS6detail15normal_iteratorINS8_10device_ptrIdEEEESD_SD_SD_jNS0_19identity_decomposerENS1_16block_id_wrapperIjLb1EEEEE10hipError_tT1_PNSt15iterator_traitsISI_E10value_typeET2_T3_PNSJ_ISO_E10value_typeET4_T5_PST_SU_PNS1_23onesweep_lookback_stateEbbT6_jjT7_P12ihipStream_tbENKUlT_T0_SI_SN_E_clISD_SD_SD_SD_EEDaS11_S12_SI_SN_EUlS11_E_NS1_11comp_targetILNS1_3genE10ELNS1_11target_archE1201ELNS1_3gpuE5ELNS1_3repE0EEENS1_47radix_sort_onesweep_sort_config_static_selectorELNS0_4arch9wavefront6targetE1EEEvSI_,comdat
	.protected	_ZN7rocprim17ROCPRIM_400000_NS6detail17trampoline_kernelINS0_14default_configENS1_35radix_sort_onesweep_config_selectorIddEEZZNS1_29radix_sort_onesweep_iterationIS3_Lb0EN6thrust23THRUST_200600_302600_NS6detail15normal_iteratorINS8_10device_ptrIdEEEESD_SD_SD_jNS0_19identity_decomposerENS1_16block_id_wrapperIjLb1EEEEE10hipError_tT1_PNSt15iterator_traitsISI_E10value_typeET2_T3_PNSJ_ISO_E10value_typeET4_T5_PST_SU_PNS1_23onesweep_lookback_stateEbbT6_jjT7_P12ihipStream_tbENKUlT_T0_SI_SN_E_clISD_SD_SD_SD_EEDaS11_S12_SI_SN_EUlS11_E_NS1_11comp_targetILNS1_3genE10ELNS1_11target_archE1201ELNS1_3gpuE5ELNS1_3repE0EEENS1_47radix_sort_onesweep_sort_config_static_selectorELNS0_4arch9wavefront6targetE1EEEvSI_ ; -- Begin function _ZN7rocprim17ROCPRIM_400000_NS6detail17trampoline_kernelINS0_14default_configENS1_35radix_sort_onesweep_config_selectorIddEEZZNS1_29radix_sort_onesweep_iterationIS3_Lb0EN6thrust23THRUST_200600_302600_NS6detail15normal_iteratorINS8_10device_ptrIdEEEESD_SD_SD_jNS0_19identity_decomposerENS1_16block_id_wrapperIjLb1EEEEE10hipError_tT1_PNSt15iterator_traitsISI_E10value_typeET2_T3_PNSJ_ISO_E10value_typeET4_T5_PST_SU_PNS1_23onesweep_lookback_stateEbbT6_jjT7_P12ihipStream_tbENKUlT_T0_SI_SN_E_clISD_SD_SD_SD_EEDaS11_S12_SI_SN_EUlS11_E_NS1_11comp_targetILNS1_3genE10ELNS1_11target_archE1201ELNS1_3gpuE5ELNS1_3repE0EEENS1_47radix_sort_onesweep_sort_config_static_selectorELNS0_4arch9wavefront6targetE1EEEvSI_
	.globl	_ZN7rocprim17ROCPRIM_400000_NS6detail17trampoline_kernelINS0_14default_configENS1_35radix_sort_onesweep_config_selectorIddEEZZNS1_29radix_sort_onesweep_iterationIS3_Lb0EN6thrust23THRUST_200600_302600_NS6detail15normal_iteratorINS8_10device_ptrIdEEEESD_SD_SD_jNS0_19identity_decomposerENS1_16block_id_wrapperIjLb1EEEEE10hipError_tT1_PNSt15iterator_traitsISI_E10value_typeET2_T3_PNSJ_ISO_E10value_typeET4_T5_PST_SU_PNS1_23onesweep_lookback_stateEbbT6_jjT7_P12ihipStream_tbENKUlT_T0_SI_SN_E_clISD_SD_SD_SD_EEDaS11_S12_SI_SN_EUlS11_E_NS1_11comp_targetILNS1_3genE10ELNS1_11target_archE1201ELNS1_3gpuE5ELNS1_3repE0EEENS1_47radix_sort_onesweep_sort_config_static_selectorELNS0_4arch9wavefront6targetE1EEEvSI_
	.p2align	8
	.type	_ZN7rocprim17ROCPRIM_400000_NS6detail17trampoline_kernelINS0_14default_configENS1_35radix_sort_onesweep_config_selectorIddEEZZNS1_29radix_sort_onesweep_iterationIS3_Lb0EN6thrust23THRUST_200600_302600_NS6detail15normal_iteratorINS8_10device_ptrIdEEEESD_SD_SD_jNS0_19identity_decomposerENS1_16block_id_wrapperIjLb1EEEEE10hipError_tT1_PNSt15iterator_traitsISI_E10value_typeET2_T3_PNSJ_ISO_E10value_typeET4_T5_PST_SU_PNS1_23onesweep_lookback_stateEbbT6_jjT7_P12ihipStream_tbENKUlT_T0_SI_SN_E_clISD_SD_SD_SD_EEDaS11_S12_SI_SN_EUlS11_E_NS1_11comp_targetILNS1_3genE10ELNS1_11target_archE1201ELNS1_3gpuE5ELNS1_3repE0EEENS1_47radix_sort_onesweep_sort_config_static_selectorELNS0_4arch9wavefront6targetE1EEEvSI_,@function
_ZN7rocprim17ROCPRIM_400000_NS6detail17trampoline_kernelINS0_14default_configENS1_35radix_sort_onesweep_config_selectorIddEEZZNS1_29radix_sort_onesweep_iterationIS3_Lb0EN6thrust23THRUST_200600_302600_NS6detail15normal_iteratorINS8_10device_ptrIdEEEESD_SD_SD_jNS0_19identity_decomposerENS1_16block_id_wrapperIjLb1EEEEE10hipError_tT1_PNSt15iterator_traitsISI_E10value_typeET2_T3_PNSJ_ISO_E10value_typeET4_T5_PST_SU_PNS1_23onesweep_lookback_stateEbbT6_jjT7_P12ihipStream_tbENKUlT_T0_SI_SN_E_clISD_SD_SD_SD_EEDaS11_S12_SI_SN_EUlS11_E_NS1_11comp_targetILNS1_3genE10ELNS1_11target_archE1201ELNS1_3gpuE5ELNS1_3repE0EEENS1_47radix_sort_onesweep_sort_config_static_selectorELNS0_4arch9wavefront6targetE1EEEvSI_: ; @_ZN7rocprim17ROCPRIM_400000_NS6detail17trampoline_kernelINS0_14default_configENS1_35radix_sort_onesweep_config_selectorIddEEZZNS1_29radix_sort_onesweep_iterationIS3_Lb0EN6thrust23THRUST_200600_302600_NS6detail15normal_iteratorINS8_10device_ptrIdEEEESD_SD_SD_jNS0_19identity_decomposerENS1_16block_id_wrapperIjLb1EEEEE10hipError_tT1_PNSt15iterator_traitsISI_E10value_typeET2_T3_PNSJ_ISO_E10value_typeET4_T5_PST_SU_PNS1_23onesweep_lookback_stateEbbT6_jjT7_P12ihipStream_tbENKUlT_T0_SI_SN_E_clISD_SD_SD_SD_EEDaS11_S12_SI_SN_EUlS11_E_NS1_11comp_targetILNS1_3genE10ELNS1_11target_archE1201ELNS1_3gpuE5ELNS1_3repE0EEENS1_47radix_sort_onesweep_sort_config_static_selectorELNS0_4arch9wavefront6targetE1EEEvSI_
; %bb.0:
	.section	.rodata,"a",@progbits
	.p2align	6, 0x0
	.amdhsa_kernel _ZN7rocprim17ROCPRIM_400000_NS6detail17trampoline_kernelINS0_14default_configENS1_35radix_sort_onesweep_config_selectorIddEEZZNS1_29radix_sort_onesweep_iterationIS3_Lb0EN6thrust23THRUST_200600_302600_NS6detail15normal_iteratorINS8_10device_ptrIdEEEESD_SD_SD_jNS0_19identity_decomposerENS1_16block_id_wrapperIjLb1EEEEE10hipError_tT1_PNSt15iterator_traitsISI_E10value_typeET2_T3_PNSJ_ISO_E10value_typeET4_T5_PST_SU_PNS1_23onesweep_lookback_stateEbbT6_jjT7_P12ihipStream_tbENKUlT_T0_SI_SN_E_clISD_SD_SD_SD_EEDaS11_S12_SI_SN_EUlS11_E_NS1_11comp_targetILNS1_3genE10ELNS1_11target_archE1201ELNS1_3gpuE5ELNS1_3repE0EEENS1_47radix_sort_onesweep_sort_config_static_selectorELNS0_4arch9wavefront6targetE1EEEvSI_
		.amdhsa_group_segment_fixed_size 0
		.amdhsa_private_segment_fixed_size 0
		.amdhsa_kernarg_size 88
		.amdhsa_user_sgpr_count 2
		.amdhsa_user_sgpr_dispatch_ptr 0
		.amdhsa_user_sgpr_queue_ptr 0
		.amdhsa_user_sgpr_kernarg_segment_ptr 1
		.amdhsa_user_sgpr_dispatch_id 0
		.amdhsa_user_sgpr_kernarg_preload_length 0
		.amdhsa_user_sgpr_kernarg_preload_offset 0
		.amdhsa_user_sgpr_private_segment_size 0
		.amdhsa_uses_dynamic_stack 0
		.amdhsa_enable_private_segment 0
		.amdhsa_system_sgpr_workgroup_id_x 1
		.amdhsa_system_sgpr_workgroup_id_y 0
		.amdhsa_system_sgpr_workgroup_id_z 0
		.amdhsa_system_sgpr_workgroup_info 0
		.amdhsa_system_vgpr_workitem_id 0
		.amdhsa_next_free_vgpr 1
		.amdhsa_next_free_sgpr 0
		.amdhsa_accum_offset 4
		.amdhsa_reserve_vcc 0
		.amdhsa_float_round_mode_32 0
		.amdhsa_float_round_mode_16_64 0
		.amdhsa_float_denorm_mode_32 3
		.amdhsa_float_denorm_mode_16_64 3
		.amdhsa_dx10_clamp 1
		.amdhsa_ieee_mode 1
		.amdhsa_fp16_overflow 0
		.amdhsa_tg_split 0
		.amdhsa_exception_fp_ieee_invalid_op 0
		.amdhsa_exception_fp_denorm_src 0
		.amdhsa_exception_fp_ieee_div_zero 0
		.amdhsa_exception_fp_ieee_overflow 0
		.amdhsa_exception_fp_ieee_underflow 0
		.amdhsa_exception_fp_ieee_inexact 0
		.amdhsa_exception_int_div_zero 0
	.end_amdhsa_kernel
	.section	.text._ZN7rocprim17ROCPRIM_400000_NS6detail17trampoline_kernelINS0_14default_configENS1_35radix_sort_onesweep_config_selectorIddEEZZNS1_29radix_sort_onesweep_iterationIS3_Lb0EN6thrust23THRUST_200600_302600_NS6detail15normal_iteratorINS8_10device_ptrIdEEEESD_SD_SD_jNS0_19identity_decomposerENS1_16block_id_wrapperIjLb1EEEEE10hipError_tT1_PNSt15iterator_traitsISI_E10value_typeET2_T3_PNSJ_ISO_E10value_typeET4_T5_PST_SU_PNS1_23onesweep_lookback_stateEbbT6_jjT7_P12ihipStream_tbENKUlT_T0_SI_SN_E_clISD_SD_SD_SD_EEDaS11_S12_SI_SN_EUlS11_E_NS1_11comp_targetILNS1_3genE10ELNS1_11target_archE1201ELNS1_3gpuE5ELNS1_3repE0EEENS1_47radix_sort_onesweep_sort_config_static_selectorELNS0_4arch9wavefront6targetE1EEEvSI_,"axG",@progbits,_ZN7rocprim17ROCPRIM_400000_NS6detail17trampoline_kernelINS0_14default_configENS1_35radix_sort_onesweep_config_selectorIddEEZZNS1_29radix_sort_onesweep_iterationIS3_Lb0EN6thrust23THRUST_200600_302600_NS6detail15normal_iteratorINS8_10device_ptrIdEEEESD_SD_SD_jNS0_19identity_decomposerENS1_16block_id_wrapperIjLb1EEEEE10hipError_tT1_PNSt15iterator_traitsISI_E10value_typeET2_T3_PNSJ_ISO_E10value_typeET4_T5_PST_SU_PNS1_23onesweep_lookback_stateEbbT6_jjT7_P12ihipStream_tbENKUlT_T0_SI_SN_E_clISD_SD_SD_SD_EEDaS11_S12_SI_SN_EUlS11_E_NS1_11comp_targetILNS1_3genE10ELNS1_11target_archE1201ELNS1_3gpuE5ELNS1_3repE0EEENS1_47radix_sort_onesweep_sort_config_static_selectorELNS0_4arch9wavefront6targetE1EEEvSI_,comdat
.Lfunc_end115:
	.size	_ZN7rocprim17ROCPRIM_400000_NS6detail17trampoline_kernelINS0_14default_configENS1_35radix_sort_onesweep_config_selectorIddEEZZNS1_29radix_sort_onesweep_iterationIS3_Lb0EN6thrust23THRUST_200600_302600_NS6detail15normal_iteratorINS8_10device_ptrIdEEEESD_SD_SD_jNS0_19identity_decomposerENS1_16block_id_wrapperIjLb1EEEEE10hipError_tT1_PNSt15iterator_traitsISI_E10value_typeET2_T3_PNSJ_ISO_E10value_typeET4_T5_PST_SU_PNS1_23onesweep_lookback_stateEbbT6_jjT7_P12ihipStream_tbENKUlT_T0_SI_SN_E_clISD_SD_SD_SD_EEDaS11_S12_SI_SN_EUlS11_E_NS1_11comp_targetILNS1_3genE10ELNS1_11target_archE1201ELNS1_3gpuE5ELNS1_3repE0EEENS1_47radix_sort_onesweep_sort_config_static_selectorELNS0_4arch9wavefront6targetE1EEEvSI_, .Lfunc_end115-_ZN7rocprim17ROCPRIM_400000_NS6detail17trampoline_kernelINS0_14default_configENS1_35radix_sort_onesweep_config_selectorIddEEZZNS1_29radix_sort_onesweep_iterationIS3_Lb0EN6thrust23THRUST_200600_302600_NS6detail15normal_iteratorINS8_10device_ptrIdEEEESD_SD_SD_jNS0_19identity_decomposerENS1_16block_id_wrapperIjLb1EEEEE10hipError_tT1_PNSt15iterator_traitsISI_E10value_typeET2_T3_PNSJ_ISO_E10value_typeET4_T5_PST_SU_PNS1_23onesweep_lookback_stateEbbT6_jjT7_P12ihipStream_tbENKUlT_T0_SI_SN_E_clISD_SD_SD_SD_EEDaS11_S12_SI_SN_EUlS11_E_NS1_11comp_targetILNS1_3genE10ELNS1_11target_archE1201ELNS1_3gpuE5ELNS1_3repE0EEENS1_47radix_sort_onesweep_sort_config_static_selectorELNS0_4arch9wavefront6targetE1EEEvSI_
                                        ; -- End function
	.set _ZN7rocprim17ROCPRIM_400000_NS6detail17trampoline_kernelINS0_14default_configENS1_35radix_sort_onesweep_config_selectorIddEEZZNS1_29radix_sort_onesweep_iterationIS3_Lb0EN6thrust23THRUST_200600_302600_NS6detail15normal_iteratorINS8_10device_ptrIdEEEESD_SD_SD_jNS0_19identity_decomposerENS1_16block_id_wrapperIjLb1EEEEE10hipError_tT1_PNSt15iterator_traitsISI_E10value_typeET2_T3_PNSJ_ISO_E10value_typeET4_T5_PST_SU_PNS1_23onesweep_lookback_stateEbbT6_jjT7_P12ihipStream_tbENKUlT_T0_SI_SN_E_clISD_SD_SD_SD_EEDaS11_S12_SI_SN_EUlS11_E_NS1_11comp_targetILNS1_3genE10ELNS1_11target_archE1201ELNS1_3gpuE5ELNS1_3repE0EEENS1_47radix_sort_onesweep_sort_config_static_selectorELNS0_4arch9wavefront6targetE1EEEvSI_.num_vgpr, 0
	.set _ZN7rocprim17ROCPRIM_400000_NS6detail17trampoline_kernelINS0_14default_configENS1_35radix_sort_onesweep_config_selectorIddEEZZNS1_29radix_sort_onesweep_iterationIS3_Lb0EN6thrust23THRUST_200600_302600_NS6detail15normal_iteratorINS8_10device_ptrIdEEEESD_SD_SD_jNS0_19identity_decomposerENS1_16block_id_wrapperIjLb1EEEEE10hipError_tT1_PNSt15iterator_traitsISI_E10value_typeET2_T3_PNSJ_ISO_E10value_typeET4_T5_PST_SU_PNS1_23onesweep_lookback_stateEbbT6_jjT7_P12ihipStream_tbENKUlT_T0_SI_SN_E_clISD_SD_SD_SD_EEDaS11_S12_SI_SN_EUlS11_E_NS1_11comp_targetILNS1_3genE10ELNS1_11target_archE1201ELNS1_3gpuE5ELNS1_3repE0EEENS1_47radix_sort_onesweep_sort_config_static_selectorELNS0_4arch9wavefront6targetE1EEEvSI_.num_agpr, 0
	.set _ZN7rocprim17ROCPRIM_400000_NS6detail17trampoline_kernelINS0_14default_configENS1_35radix_sort_onesweep_config_selectorIddEEZZNS1_29radix_sort_onesweep_iterationIS3_Lb0EN6thrust23THRUST_200600_302600_NS6detail15normal_iteratorINS8_10device_ptrIdEEEESD_SD_SD_jNS0_19identity_decomposerENS1_16block_id_wrapperIjLb1EEEEE10hipError_tT1_PNSt15iterator_traitsISI_E10value_typeET2_T3_PNSJ_ISO_E10value_typeET4_T5_PST_SU_PNS1_23onesweep_lookback_stateEbbT6_jjT7_P12ihipStream_tbENKUlT_T0_SI_SN_E_clISD_SD_SD_SD_EEDaS11_S12_SI_SN_EUlS11_E_NS1_11comp_targetILNS1_3genE10ELNS1_11target_archE1201ELNS1_3gpuE5ELNS1_3repE0EEENS1_47radix_sort_onesweep_sort_config_static_selectorELNS0_4arch9wavefront6targetE1EEEvSI_.numbered_sgpr, 0
	.set _ZN7rocprim17ROCPRIM_400000_NS6detail17trampoline_kernelINS0_14default_configENS1_35radix_sort_onesweep_config_selectorIddEEZZNS1_29radix_sort_onesweep_iterationIS3_Lb0EN6thrust23THRUST_200600_302600_NS6detail15normal_iteratorINS8_10device_ptrIdEEEESD_SD_SD_jNS0_19identity_decomposerENS1_16block_id_wrapperIjLb1EEEEE10hipError_tT1_PNSt15iterator_traitsISI_E10value_typeET2_T3_PNSJ_ISO_E10value_typeET4_T5_PST_SU_PNS1_23onesweep_lookback_stateEbbT6_jjT7_P12ihipStream_tbENKUlT_T0_SI_SN_E_clISD_SD_SD_SD_EEDaS11_S12_SI_SN_EUlS11_E_NS1_11comp_targetILNS1_3genE10ELNS1_11target_archE1201ELNS1_3gpuE5ELNS1_3repE0EEENS1_47radix_sort_onesweep_sort_config_static_selectorELNS0_4arch9wavefront6targetE1EEEvSI_.num_named_barrier, 0
	.set _ZN7rocprim17ROCPRIM_400000_NS6detail17trampoline_kernelINS0_14default_configENS1_35radix_sort_onesweep_config_selectorIddEEZZNS1_29radix_sort_onesweep_iterationIS3_Lb0EN6thrust23THRUST_200600_302600_NS6detail15normal_iteratorINS8_10device_ptrIdEEEESD_SD_SD_jNS0_19identity_decomposerENS1_16block_id_wrapperIjLb1EEEEE10hipError_tT1_PNSt15iterator_traitsISI_E10value_typeET2_T3_PNSJ_ISO_E10value_typeET4_T5_PST_SU_PNS1_23onesweep_lookback_stateEbbT6_jjT7_P12ihipStream_tbENKUlT_T0_SI_SN_E_clISD_SD_SD_SD_EEDaS11_S12_SI_SN_EUlS11_E_NS1_11comp_targetILNS1_3genE10ELNS1_11target_archE1201ELNS1_3gpuE5ELNS1_3repE0EEENS1_47radix_sort_onesweep_sort_config_static_selectorELNS0_4arch9wavefront6targetE1EEEvSI_.private_seg_size, 0
	.set _ZN7rocprim17ROCPRIM_400000_NS6detail17trampoline_kernelINS0_14default_configENS1_35radix_sort_onesweep_config_selectorIddEEZZNS1_29radix_sort_onesweep_iterationIS3_Lb0EN6thrust23THRUST_200600_302600_NS6detail15normal_iteratorINS8_10device_ptrIdEEEESD_SD_SD_jNS0_19identity_decomposerENS1_16block_id_wrapperIjLb1EEEEE10hipError_tT1_PNSt15iterator_traitsISI_E10value_typeET2_T3_PNSJ_ISO_E10value_typeET4_T5_PST_SU_PNS1_23onesweep_lookback_stateEbbT6_jjT7_P12ihipStream_tbENKUlT_T0_SI_SN_E_clISD_SD_SD_SD_EEDaS11_S12_SI_SN_EUlS11_E_NS1_11comp_targetILNS1_3genE10ELNS1_11target_archE1201ELNS1_3gpuE5ELNS1_3repE0EEENS1_47radix_sort_onesweep_sort_config_static_selectorELNS0_4arch9wavefront6targetE1EEEvSI_.uses_vcc, 0
	.set _ZN7rocprim17ROCPRIM_400000_NS6detail17trampoline_kernelINS0_14default_configENS1_35radix_sort_onesweep_config_selectorIddEEZZNS1_29radix_sort_onesweep_iterationIS3_Lb0EN6thrust23THRUST_200600_302600_NS6detail15normal_iteratorINS8_10device_ptrIdEEEESD_SD_SD_jNS0_19identity_decomposerENS1_16block_id_wrapperIjLb1EEEEE10hipError_tT1_PNSt15iterator_traitsISI_E10value_typeET2_T3_PNSJ_ISO_E10value_typeET4_T5_PST_SU_PNS1_23onesweep_lookback_stateEbbT6_jjT7_P12ihipStream_tbENKUlT_T0_SI_SN_E_clISD_SD_SD_SD_EEDaS11_S12_SI_SN_EUlS11_E_NS1_11comp_targetILNS1_3genE10ELNS1_11target_archE1201ELNS1_3gpuE5ELNS1_3repE0EEENS1_47radix_sort_onesweep_sort_config_static_selectorELNS0_4arch9wavefront6targetE1EEEvSI_.uses_flat_scratch, 0
	.set _ZN7rocprim17ROCPRIM_400000_NS6detail17trampoline_kernelINS0_14default_configENS1_35radix_sort_onesweep_config_selectorIddEEZZNS1_29radix_sort_onesweep_iterationIS3_Lb0EN6thrust23THRUST_200600_302600_NS6detail15normal_iteratorINS8_10device_ptrIdEEEESD_SD_SD_jNS0_19identity_decomposerENS1_16block_id_wrapperIjLb1EEEEE10hipError_tT1_PNSt15iterator_traitsISI_E10value_typeET2_T3_PNSJ_ISO_E10value_typeET4_T5_PST_SU_PNS1_23onesweep_lookback_stateEbbT6_jjT7_P12ihipStream_tbENKUlT_T0_SI_SN_E_clISD_SD_SD_SD_EEDaS11_S12_SI_SN_EUlS11_E_NS1_11comp_targetILNS1_3genE10ELNS1_11target_archE1201ELNS1_3gpuE5ELNS1_3repE0EEENS1_47radix_sort_onesweep_sort_config_static_selectorELNS0_4arch9wavefront6targetE1EEEvSI_.has_dyn_sized_stack, 0
	.set _ZN7rocprim17ROCPRIM_400000_NS6detail17trampoline_kernelINS0_14default_configENS1_35radix_sort_onesweep_config_selectorIddEEZZNS1_29radix_sort_onesweep_iterationIS3_Lb0EN6thrust23THRUST_200600_302600_NS6detail15normal_iteratorINS8_10device_ptrIdEEEESD_SD_SD_jNS0_19identity_decomposerENS1_16block_id_wrapperIjLb1EEEEE10hipError_tT1_PNSt15iterator_traitsISI_E10value_typeET2_T3_PNSJ_ISO_E10value_typeET4_T5_PST_SU_PNS1_23onesweep_lookback_stateEbbT6_jjT7_P12ihipStream_tbENKUlT_T0_SI_SN_E_clISD_SD_SD_SD_EEDaS11_S12_SI_SN_EUlS11_E_NS1_11comp_targetILNS1_3genE10ELNS1_11target_archE1201ELNS1_3gpuE5ELNS1_3repE0EEENS1_47radix_sort_onesweep_sort_config_static_selectorELNS0_4arch9wavefront6targetE1EEEvSI_.has_recursion, 0
	.set _ZN7rocprim17ROCPRIM_400000_NS6detail17trampoline_kernelINS0_14default_configENS1_35radix_sort_onesweep_config_selectorIddEEZZNS1_29radix_sort_onesweep_iterationIS3_Lb0EN6thrust23THRUST_200600_302600_NS6detail15normal_iteratorINS8_10device_ptrIdEEEESD_SD_SD_jNS0_19identity_decomposerENS1_16block_id_wrapperIjLb1EEEEE10hipError_tT1_PNSt15iterator_traitsISI_E10value_typeET2_T3_PNSJ_ISO_E10value_typeET4_T5_PST_SU_PNS1_23onesweep_lookback_stateEbbT6_jjT7_P12ihipStream_tbENKUlT_T0_SI_SN_E_clISD_SD_SD_SD_EEDaS11_S12_SI_SN_EUlS11_E_NS1_11comp_targetILNS1_3genE10ELNS1_11target_archE1201ELNS1_3gpuE5ELNS1_3repE0EEENS1_47radix_sort_onesweep_sort_config_static_selectorELNS0_4arch9wavefront6targetE1EEEvSI_.has_indirect_call, 0
	.section	.AMDGPU.csdata,"",@progbits
; Kernel info:
; codeLenInByte = 0
; TotalNumSgprs: 6
; NumVgprs: 0
; NumAgprs: 0
; TotalNumVgprs: 0
; ScratchSize: 0
; MemoryBound: 0
; FloatMode: 240
; IeeeMode: 1
; LDSByteSize: 0 bytes/workgroup (compile time only)
; SGPRBlocks: 0
; VGPRBlocks: 0
; NumSGPRsForWavesPerEU: 6
; NumVGPRsForWavesPerEU: 1
; AccumOffset: 4
; Occupancy: 8
; WaveLimiterHint : 0
; COMPUTE_PGM_RSRC2:SCRATCH_EN: 0
; COMPUTE_PGM_RSRC2:USER_SGPR: 2
; COMPUTE_PGM_RSRC2:TRAP_HANDLER: 0
; COMPUTE_PGM_RSRC2:TGID_X_EN: 1
; COMPUTE_PGM_RSRC2:TGID_Y_EN: 0
; COMPUTE_PGM_RSRC2:TGID_Z_EN: 0
; COMPUTE_PGM_RSRC2:TIDIG_COMP_CNT: 0
; COMPUTE_PGM_RSRC3_GFX90A:ACCUM_OFFSET: 0
; COMPUTE_PGM_RSRC3_GFX90A:TG_SPLIT: 0
	.section	.text._ZN7rocprim17ROCPRIM_400000_NS6detail17trampoline_kernelINS0_14default_configENS1_35radix_sort_onesweep_config_selectorIddEEZZNS1_29radix_sort_onesweep_iterationIS3_Lb0EN6thrust23THRUST_200600_302600_NS6detail15normal_iteratorINS8_10device_ptrIdEEEESD_SD_SD_jNS0_19identity_decomposerENS1_16block_id_wrapperIjLb1EEEEE10hipError_tT1_PNSt15iterator_traitsISI_E10value_typeET2_T3_PNSJ_ISO_E10value_typeET4_T5_PST_SU_PNS1_23onesweep_lookback_stateEbbT6_jjT7_P12ihipStream_tbENKUlT_T0_SI_SN_E_clISD_SD_SD_SD_EEDaS11_S12_SI_SN_EUlS11_E_NS1_11comp_targetILNS1_3genE9ELNS1_11target_archE1100ELNS1_3gpuE3ELNS1_3repE0EEENS1_47radix_sort_onesweep_sort_config_static_selectorELNS0_4arch9wavefront6targetE1EEEvSI_,"axG",@progbits,_ZN7rocprim17ROCPRIM_400000_NS6detail17trampoline_kernelINS0_14default_configENS1_35radix_sort_onesweep_config_selectorIddEEZZNS1_29radix_sort_onesweep_iterationIS3_Lb0EN6thrust23THRUST_200600_302600_NS6detail15normal_iteratorINS8_10device_ptrIdEEEESD_SD_SD_jNS0_19identity_decomposerENS1_16block_id_wrapperIjLb1EEEEE10hipError_tT1_PNSt15iterator_traitsISI_E10value_typeET2_T3_PNSJ_ISO_E10value_typeET4_T5_PST_SU_PNS1_23onesweep_lookback_stateEbbT6_jjT7_P12ihipStream_tbENKUlT_T0_SI_SN_E_clISD_SD_SD_SD_EEDaS11_S12_SI_SN_EUlS11_E_NS1_11comp_targetILNS1_3genE9ELNS1_11target_archE1100ELNS1_3gpuE3ELNS1_3repE0EEENS1_47radix_sort_onesweep_sort_config_static_selectorELNS0_4arch9wavefront6targetE1EEEvSI_,comdat
	.protected	_ZN7rocprim17ROCPRIM_400000_NS6detail17trampoline_kernelINS0_14default_configENS1_35radix_sort_onesweep_config_selectorIddEEZZNS1_29radix_sort_onesweep_iterationIS3_Lb0EN6thrust23THRUST_200600_302600_NS6detail15normal_iteratorINS8_10device_ptrIdEEEESD_SD_SD_jNS0_19identity_decomposerENS1_16block_id_wrapperIjLb1EEEEE10hipError_tT1_PNSt15iterator_traitsISI_E10value_typeET2_T3_PNSJ_ISO_E10value_typeET4_T5_PST_SU_PNS1_23onesweep_lookback_stateEbbT6_jjT7_P12ihipStream_tbENKUlT_T0_SI_SN_E_clISD_SD_SD_SD_EEDaS11_S12_SI_SN_EUlS11_E_NS1_11comp_targetILNS1_3genE9ELNS1_11target_archE1100ELNS1_3gpuE3ELNS1_3repE0EEENS1_47radix_sort_onesweep_sort_config_static_selectorELNS0_4arch9wavefront6targetE1EEEvSI_ ; -- Begin function _ZN7rocprim17ROCPRIM_400000_NS6detail17trampoline_kernelINS0_14default_configENS1_35radix_sort_onesweep_config_selectorIddEEZZNS1_29radix_sort_onesweep_iterationIS3_Lb0EN6thrust23THRUST_200600_302600_NS6detail15normal_iteratorINS8_10device_ptrIdEEEESD_SD_SD_jNS0_19identity_decomposerENS1_16block_id_wrapperIjLb1EEEEE10hipError_tT1_PNSt15iterator_traitsISI_E10value_typeET2_T3_PNSJ_ISO_E10value_typeET4_T5_PST_SU_PNS1_23onesweep_lookback_stateEbbT6_jjT7_P12ihipStream_tbENKUlT_T0_SI_SN_E_clISD_SD_SD_SD_EEDaS11_S12_SI_SN_EUlS11_E_NS1_11comp_targetILNS1_3genE9ELNS1_11target_archE1100ELNS1_3gpuE3ELNS1_3repE0EEENS1_47radix_sort_onesweep_sort_config_static_selectorELNS0_4arch9wavefront6targetE1EEEvSI_
	.globl	_ZN7rocprim17ROCPRIM_400000_NS6detail17trampoline_kernelINS0_14default_configENS1_35radix_sort_onesweep_config_selectorIddEEZZNS1_29radix_sort_onesweep_iterationIS3_Lb0EN6thrust23THRUST_200600_302600_NS6detail15normal_iteratorINS8_10device_ptrIdEEEESD_SD_SD_jNS0_19identity_decomposerENS1_16block_id_wrapperIjLb1EEEEE10hipError_tT1_PNSt15iterator_traitsISI_E10value_typeET2_T3_PNSJ_ISO_E10value_typeET4_T5_PST_SU_PNS1_23onesweep_lookback_stateEbbT6_jjT7_P12ihipStream_tbENKUlT_T0_SI_SN_E_clISD_SD_SD_SD_EEDaS11_S12_SI_SN_EUlS11_E_NS1_11comp_targetILNS1_3genE9ELNS1_11target_archE1100ELNS1_3gpuE3ELNS1_3repE0EEENS1_47radix_sort_onesweep_sort_config_static_selectorELNS0_4arch9wavefront6targetE1EEEvSI_
	.p2align	8
	.type	_ZN7rocprim17ROCPRIM_400000_NS6detail17trampoline_kernelINS0_14default_configENS1_35radix_sort_onesweep_config_selectorIddEEZZNS1_29radix_sort_onesweep_iterationIS3_Lb0EN6thrust23THRUST_200600_302600_NS6detail15normal_iteratorINS8_10device_ptrIdEEEESD_SD_SD_jNS0_19identity_decomposerENS1_16block_id_wrapperIjLb1EEEEE10hipError_tT1_PNSt15iterator_traitsISI_E10value_typeET2_T3_PNSJ_ISO_E10value_typeET4_T5_PST_SU_PNS1_23onesweep_lookback_stateEbbT6_jjT7_P12ihipStream_tbENKUlT_T0_SI_SN_E_clISD_SD_SD_SD_EEDaS11_S12_SI_SN_EUlS11_E_NS1_11comp_targetILNS1_3genE9ELNS1_11target_archE1100ELNS1_3gpuE3ELNS1_3repE0EEENS1_47radix_sort_onesweep_sort_config_static_selectorELNS0_4arch9wavefront6targetE1EEEvSI_,@function
_ZN7rocprim17ROCPRIM_400000_NS6detail17trampoline_kernelINS0_14default_configENS1_35radix_sort_onesweep_config_selectorIddEEZZNS1_29radix_sort_onesweep_iterationIS3_Lb0EN6thrust23THRUST_200600_302600_NS6detail15normal_iteratorINS8_10device_ptrIdEEEESD_SD_SD_jNS0_19identity_decomposerENS1_16block_id_wrapperIjLb1EEEEE10hipError_tT1_PNSt15iterator_traitsISI_E10value_typeET2_T3_PNSJ_ISO_E10value_typeET4_T5_PST_SU_PNS1_23onesweep_lookback_stateEbbT6_jjT7_P12ihipStream_tbENKUlT_T0_SI_SN_E_clISD_SD_SD_SD_EEDaS11_S12_SI_SN_EUlS11_E_NS1_11comp_targetILNS1_3genE9ELNS1_11target_archE1100ELNS1_3gpuE3ELNS1_3repE0EEENS1_47radix_sort_onesweep_sort_config_static_selectorELNS0_4arch9wavefront6targetE1EEEvSI_: ; @_ZN7rocprim17ROCPRIM_400000_NS6detail17trampoline_kernelINS0_14default_configENS1_35radix_sort_onesweep_config_selectorIddEEZZNS1_29radix_sort_onesweep_iterationIS3_Lb0EN6thrust23THRUST_200600_302600_NS6detail15normal_iteratorINS8_10device_ptrIdEEEESD_SD_SD_jNS0_19identity_decomposerENS1_16block_id_wrapperIjLb1EEEEE10hipError_tT1_PNSt15iterator_traitsISI_E10value_typeET2_T3_PNSJ_ISO_E10value_typeET4_T5_PST_SU_PNS1_23onesweep_lookback_stateEbbT6_jjT7_P12ihipStream_tbENKUlT_T0_SI_SN_E_clISD_SD_SD_SD_EEDaS11_S12_SI_SN_EUlS11_E_NS1_11comp_targetILNS1_3genE9ELNS1_11target_archE1100ELNS1_3gpuE3ELNS1_3repE0EEENS1_47radix_sort_onesweep_sort_config_static_selectorELNS0_4arch9wavefront6targetE1EEEvSI_
; %bb.0:
	.section	.rodata,"a",@progbits
	.p2align	6, 0x0
	.amdhsa_kernel _ZN7rocprim17ROCPRIM_400000_NS6detail17trampoline_kernelINS0_14default_configENS1_35radix_sort_onesweep_config_selectorIddEEZZNS1_29radix_sort_onesweep_iterationIS3_Lb0EN6thrust23THRUST_200600_302600_NS6detail15normal_iteratorINS8_10device_ptrIdEEEESD_SD_SD_jNS0_19identity_decomposerENS1_16block_id_wrapperIjLb1EEEEE10hipError_tT1_PNSt15iterator_traitsISI_E10value_typeET2_T3_PNSJ_ISO_E10value_typeET4_T5_PST_SU_PNS1_23onesweep_lookback_stateEbbT6_jjT7_P12ihipStream_tbENKUlT_T0_SI_SN_E_clISD_SD_SD_SD_EEDaS11_S12_SI_SN_EUlS11_E_NS1_11comp_targetILNS1_3genE9ELNS1_11target_archE1100ELNS1_3gpuE3ELNS1_3repE0EEENS1_47radix_sort_onesweep_sort_config_static_selectorELNS0_4arch9wavefront6targetE1EEEvSI_
		.amdhsa_group_segment_fixed_size 0
		.amdhsa_private_segment_fixed_size 0
		.amdhsa_kernarg_size 88
		.amdhsa_user_sgpr_count 2
		.amdhsa_user_sgpr_dispatch_ptr 0
		.amdhsa_user_sgpr_queue_ptr 0
		.amdhsa_user_sgpr_kernarg_segment_ptr 1
		.amdhsa_user_sgpr_dispatch_id 0
		.amdhsa_user_sgpr_kernarg_preload_length 0
		.amdhsa_user_sgpr_kernarg_preload_offset 0
		.amdhsa_user_sgpr_private_segment_size 0
		.amdhsa_uses_dynamic_stack 0
		.amdhsa_enable_private_segment 0
		.amdhsa_system_sgpr_workgroup_id_x 1
		.amdhsa_system_sgpr_workgroup_id_y 0
		.amdhsa_system_sgpr_workgroup_id_z 0
		.amdhsa_system_sgpr_workgroup_info 0
		.amdhsa_system_vgpr_workitem_id 0
		.amdhsa_next_free_vgpr 1
		.amdhsa_next_free_sgpr 0
		.amdhsa_accum_offset 4
		.amdhsa_reserve_vcc 0
		.amdhsa_float_round_mode_32 0
		.amdhsa_float_round_mode_16_64 0
		.amdhsa_float_denorm_mode_32 3
		.amdhsa_float_denorm_mode_16_64 3
		.amdhsa_dx10_clamp 1
		.amdhsa_ieee_mode 1
		.amdhsa_fp16_overflow 0
		.amdhsa_tg_split 0
		.amdhsa_exception_fp_ieee_invalid_op 0
		.amdhsa_exception_fp_denorm_src 0
		.amdhsa_exception_fp_ieee_div_zero 0
		.amdhsa_exception_fp_ieee_overflow 0
		.amdhsa_exception_fp_ieee_underflow 0
		.amdhsa_exception_fp_ieee_inexact 0
		.amdhsa_exception_int_div_zero 0
	.end_amdhsa_kernel
	.section	.text._ZN7rocprim17ROCPRIM_400000_NS6detail17trampoline_kernelINS0_14default_configENS1_35radix_sort_onesweep_config_selectorIddEEZZNS1_29radix_sort_onesweep_iterationIS3_Lb0EN6thrust23THRUST_200600_302600_NS6detail15normal_iteratorINS8_10device_ptrIdEEEESD_SD_SD_jNS0_19identity_decomposerENS1_16block_id_wrapperIjLb1EEEEE10hipError_tT1_PNSt15iterator_traitsISI_E10value_typeET2_T3_PNSJ_ISO_E10value_typeET4_T5_PST_SU_PNS1_23onesweep_lookback_stateEbbT6_jjT7_P12ihipStream_tbENKUlT_T0_SI_SN_E_clISD_SD_SD_SD_EEDaS11_S12_SI_SN_EUlS11_E_NS1_11comp_targetILNS1_3genE9ELNS1_11target_archE1100ELNS1_3gpuE3ELNS1_3repE0EEENS1_47radix_sort_onesweep_sort_config_static_selectorELNS0_4arch9wavefront6targetE1EEEvSI_,"axG",@progbits,_ZN7rocprim17ROCPRIM_400000_NS6detail17trampoline_kernelINS0_14default_configENS1_35radix_sort_onesweep_config_selectorIddEEZZNS1_29radix_sort_onesweep_iterationIS3_Lb0EN6thrust23THRUST_200600_302600_NS6detail15normal_iteratorINS8_10device_ptrIdEEEESD_SD_SD_jNS0_19identity_decomposerENS1_16block_id_wrapperIjLb1EEEEE10hipError_tT1_PNSt15iterator_traitsISI_E10value_typeET2_T3_PNSJ_ISO_E10value_typeET4_T5_PST_SU_PNS1_23onesweep_lookback_stateEbbT6_jjT7_P12ihipStream_tbENKUlT_T0_SI_SN_E_clISD_SD_SD_SD_EEDaS11_S12_SI_SN_EUlS11_E_NS1_11comp_targetILNS1_3genE9ELNS1_11target_archE1100ELNS1_3gpuE3ELNS1_3repE0EEENS1_47radix_sort_onesweep_sort_config_static_selectorELNS0_4arch9wavefront6targetE1EEEvSI_,comdat
.Lfunc_end116:
	.size	_ZN7rocprim17ROCPRIM_400000_NS6detail17trampoline_kernelINS0_14default_configENS1_35radix_sort_onesweep_config_selectorIddEEZZNS1_29radix_sort_onesweep_iterationIS3_Lb0EN6thrust23THRUST_200600_302600_NS6detail15normal_iteratorINS8_10device_ptrIdEEEESD_SD_SD_jNS0_19identity_decomposerENS1_16block_id_wrapperIjLb1EEEEE10hipError_tT1_PNSt15iterator_traitsISI_E10value_typeET2_T3_PNSJ_ISO_E10value_typeET4_T5_PST_SU_PNS1_23onesweep_lookback_stateEbbT6_jjT7_P12ihipStream_tbENKUlT_T0_SI_SN_E_clISD_SD_SD_SD_EEDaS11_S12_SI_SN_EUlS11_E_NS1_11comp_targetILNS1_3genE9ELNS1_11target_archE1100ELNS1_3gpuE3ELNS1_3repE0EEENS1_47radix_sort_onesweep_sort_config_static_selectorELNS0_4arch9wavefront6targetE1EEEvSI_, .Lfunc_end116-_ZN7rocprim17ROCPRIM_400000_NS6detail17trampoline_kernelINS0_14default_configENS1_35radix_sort_onesweep_config_selectorIddEEZZNS1_29radix_sort_onesweep_iterationIS3_Lb0EN6thrust23THRUST_200600_302600_NS6detail15normal_iteratorINS8_10device_ptrIdEEEESD_SD_SD_jNS0_19identity_decomposerENS1_16block_id_wrapperIjLb1EEEEE10hipError_tT1_PNSt15iterator_traitsISI_E10value_typeET2_T3_PNSJ_ISO_E10value_typeET4_T5_PST_SU_PNS1_23onesweep_lookback_stateEbbT6_jjT7_P12ihipStream_tbENKUlT_T0_SI_SN_E_clISD_SD_SD_SD_EEDaS11_S12_SI_SN_EUlS11_E_NS1_11comp_targetILNS1_3genE9ELNS1_11target_archE1100ELNS1_3gpuE3ELNS1_3repE0EEENS1_47radix_sort_onesweep_sort_config_static_selectorELNS0_4arch9wavefront6targetE1EEEvSI_
                                        ; -- End function
	.set _ZN7rocprim17ROCPRIM_400000_NS6detail17trampoline_kernelINS0_14default_configENS1_35radix_sort_onesweep_config_selectorIddEEZZNS1_29radix_sort_onesweep_iterationIS3_Lb0EN6thrust23THRUST_200600_302600_NS6detail15normal_iteratorINS8_10device_ptrIdEEEESD_SD_SD_jNS0_19identity_decomposerENS1_16block_id_wrapperIjLb1EEEEE10hipError_tT1_PNSt15iterator_traitsISI_E10value_typeET2_T3_PNSJ_ISO_E10value_typeET4_T5_PST_SU_PNS1_23onesweep_lookback_stateEbbT6_jjT7_P12ihipStream_tbENKUlT_T0_SI_SN_E_clISD_SD_SD_SD_EEDaS11_S12_SI_SN_EUlS11_E_NS1_11comp_targetILNS1_3genE9ELNS1_11target_archE1100ELNS1_3gpuE3ELNS1_3repE0EEENS1_47radix_sort_onesweep_sort_config_static_selectorELNS0_4arch9wavefront6targetE1EEEvSI_.num_vgpr, 0
	.set _ZN7rocprim17ROCPRIM_400000_NS6detail17trampoline_kernelINS0_14default_configENS1_35radix_sort_onesweep_config_selectorIddEEZZNS1_29radix_sort_onesweep_iterationIS3_Lb0EN6thrust23THRUST_200600_302600_NS6detail15normal_iteratorINS8_10device_ptrIdEEEESD_SD_SD_jNS0_19identity_decomposerENS1_16block_id_wrapperIjLb1EEEEE10hipError_tT1_PNSt15iterator_traitsISI_E10value_typeET2_T3_PNSJ_ISO_E10value_typeET4_T5_PST_SU_PNS1_23onesweep_lookback_stateEbbT6_jjT7_P12ihipStream_tbENKUlT_T0_SI_SN_E_clISD_SD_SD_SD_EEDaS11_S12_SI_SN_EUlS11_E_NS1_11comp_targetILNS1_3genE9ELNS1_11target_archE1100ELNS1_3gpuE3ELNS1_3repE0EEENS1_47radix_sort_onesweep_sort_config_static_selectorELNS0_4arch9wavefront6targetE1EEEvSI_.num_agpr, 0
	.set _ZN7rocprim17ROCPRIM_400000_NS6detail17trampoline_kernelINS0_14default_configENS1_35radix_sort_onesweep_config_selectorIddEEZZNS1_29radix_sort_onesweep_iterationIS3_Lb0EN6thrust23THRUST_200600_302600_NS6detail15normal_iteratorINS8_10device_ptrIdEEEESD_SD_SD_jNS0_19identity_decomposerENS1_16block_id_wrapperIjLb1EEEEE10hipError_tT1_PNSt15iterator_traitsISI_E10value_typeET2_T3_PNSJ_ISO_E10value_typeET4_T5_PST_SU_PNS1_23onesweep_lookback_stateEbbT6_jjT7_P12ihipStream_tbENKUlT_T0_SI_SN_E_clISD_SD_SD_SD_EEDaS11_S12_SI_SN_EUlS11_E_NS1_11comp_targetILNS1_3genE9ELNS1_11target_archE1100ELNS1_3gpuE3ELNS1_3repE0EEENS1_47radix_sort_onesweep_sort_config_static_selectorELNS0_4arch9wavefront6targetE1EEEvSI_.numbered_sgpr, 0
	.set _ZN7rocprim17ROCPRIM_400000_NS6detail17trampoline_kernelINS0_14default_configENS1_35radix_sort_onesweep_config_selectorIddEEZZNS1_29radix_sort_onesweep_iterationIS3_Lb0EN6thrust23THRUST_200600_302600_NS6detail15normal_iteratorINS8_10device_ptrIdEEEESD_SD_SD_jNS0_19identity_decomposerENS1_16block_id_wrapperIjLb1EEEEE10hipError_tT1_PNSt15iterator_traitsISI_E10value_typeET2_T3_PNSJ_ISO_E10value_typeET4_T5_PST_SU_PNS1_23onesweep_lookback_stateEbbT6_jjT7_P12ihipStream_tbENKUlT_T0_SI_SN_E_clISD_SD_SD_SD_EEDaS11_S12_SI_SN_EUlS11_E_NS1_11comp_targetILNS1_3genE9ELNS1_11target_archE1100ELNS1_3gpuE3ELNS1_3repE0EEENS1_47radix_sort_onesweep_sort_config_static_selectorELNS0_4arch9wavefront6targetE1EEEvSI_.num_named_barrier, 0
	.set _ZN7rocprim17ROCPRIM_400000_NS6detail17trampoline_kernelINS0_14default_configENS1_35radix_sort_onesweep_config_selectorIddEEZZNS1_29radix_sort_onesweep_iterationIS3_Lb0EN6thrust23THRUST_200600_302600_NS6detail15normal_iteratorINS8_10device_ptrIdEEEESD_SD_SD_jNS0_19identity_decomposerENS1_16block_id_wrapperIjLb1EEEEE10hipError_tT1_PNSt15iterator_traitsISI_E10value_typeET2_T3_PNSJ_ISO_E10value_typeET4_T5_PST_SU_PNS1_23onesweep_lookback_stateEbbT6_jjT7_P12ihipStream_tbENKUlT_T0_SI_SN_E_clISD_SD_SD_SD_EEDaS11_S12_SI_SN_EUlS11_E_NS1_11comp_targetILNS1_3genE9ELNS1_11target_archE1100ELNS1_3gpuE3ELNS1_3repE0EEENS1_47radix_sort_onesweep_sort_config_static_selectorELNS0_4arch9wavefront6targetE1EEEvSI_.private_seg_size, 0
	.set _ZN7rocprim17ROCPRIM_400000_NS6detail17trampoline_kernelINS0_14default_configENS1_35radix_sort_onesweep_config_selectorIddEEZZNS1_29radix_sort_onesweep_iterationIS3_Lb0EN6thrust23THRUST_200600_302600_NS6detail15normal_iteratorINS8_10device_ptrIdEEEESD_SD_SD_jNS0_19identity_decomposerENS1_16block_id_wrapperIjLb1EEEEE10hipError_tT1_PNSt15iterator_traitsISI_E10value_typeET2_T3_PNSJ_ISO_E10value_typeET4_T5_PST_SU_PNS1_23onesweep_lookback_stateEbbT6_jjT7_P12ihipStream_tbENKUlT_T0_SI_SN_E_clISD_SD_SD_SD_EEDaS11_S12_SI_SN_EUlS11_E_NS1_11comp_targetILNS1_3genE9ELNS1_11target_archE1100ELNS1_3gpuE3ELNS1_3repE0EEENS1_47radix_sort_onesweep_sort_config_static_selectorELNS0_4arch9wavefront6targetE1EEEvSI_.uses_vcc, 0
	.set _ZN7rocprim17ROCPRIM_400000_NS6detail17trampoline_kernelINS0_14default_configENS1_35radix_sort_onesweep_config_selectorIddEEZZNS1_29radix_sort_onesweep_iterationIS3_Lb0EN6thrust23THRUST_200600_302600_NS6detail15normal_iteratorINS8_10device_ptrIdEEEESD_SD_SD_jNS0_19identity_decomposerENS1_16block_id_wrapperIjLb1EEEEE10hipError_tT1_PNSt15iterator_traitsISI_E10value_typeET2_T3_PNSJ_ISO_E10value_typeET4_T5_PST_SU_PNS1_23onesweep_lookback_stateEbbT6_jjT7_P12ihipStream_tbENKUlT_T0_SI_SN_E_clISD_SD_SD_SD_EEDaS11_S12_SI_SN_EUlS11_E_NS1_11comp_targetILNS1_3genE9ELNS1_11target_archE1100ELNS1_3gpuE3ELNS1_3repE0EEENS1_47radix_sort_onesweep_sort_config_static_selectorELNS0_4arch9wavefront6targetE1EEEvSI_.uses_flat_scratch, 0
	.set _ZN7rocprim17ROCPRIM_400000_NS6detail17trampoline_kernelINS0_14default_configENS1_35radix_sort_onesweep_config_selectorIddEEZZNS1_29radix_sort_onesweep_iterationIS3_Lb0EN6thrust23THRUST_200600_302600_NS6detail15normal_iteratorINS8_10device_ptrIdEEEESD_SD_SD_jNS0_19identity_decomposerENS1_16block_id_wrapperIjLb1EEEEE10hipError_tT1_PNSt15iterator_traitsISI_E10value_typeET2_T3_PNSJ_ISO_E10value_typeET4_T5_PST_SU_PNS1_23onesweep_lookback_stateEbbT6_jjT7_P12ihipStream_tbENKUlT_T0_SI_SN_E_clISD_SD_SD_SD_EEDaS11_S12_SI_SN_EUlS11_E_NS1_11comp_targetILNS1_3genE9ELNS1_11target_archE1100ELNS1_3gpuE3ELNS1_3repE0EEENS1_47radix_sort_onesweep_sort_config_static_selectorELNS0_4arch9wavefront6targetE1EEEvSI_.has_dyn_sized_stack, 0
	.set _ZN7rocprim17ROCPRIM_400000_NS6detail17trampoline_kernelINS0_14default_configENS1_35radix_sort_onesweep_config_selectorIddEEZZNS1_29radix_sort_onesweep_iterationIS3_Lb0EN6thrust23THRUST_200600_302600_NS6detail15normal_iteratorINS8_10device_ptrIdEEEESD_SD_SD_jNS0_19identity_decomposerENS1_16block_id_wrapperIjLb1EEEEE10hipError_tT1_PNSt15iterator_traitsISI_E10value_typeET2_T3_PNSJ_ISO_E10value_typeET4_T5_PST_SU_PNS1_23onesweep_lookback_stateEbbT6_jjT7_P12ihipStream_tbENKUlT_T0_SI_SN_E_clISD_SD_SD_SD_EEDaS11_S12_SI_SN_EUlS11_E_NS1_11comp_targetILNS1_3genE9ELNS1_11target_archE1100ELNS1_3gpuE3ELNS1_3repE0EEENS1_47radix_sort_onesweep_sort_config_static_selectorELNS0_4arch9wavefront6targetE1EEEvSI_.has_recursion, 0
	.set _ZN7rocprim17ROCPRIM_400000_NS6detail17trampoline_kernelINS0_14default_configENS1_35radix_sort_onesweep_config_selectorIddEEZZNS1_29radix_sort_onesweep_iterationIS3_Lb0EN6thrust23THRUST_200600_302600_NS6detail15normal_iteratorINS8_10device_ptrIdEEEESD_SD_SD_jNS0_19identity_decomposerENS1_16block_id_wrapperIjLb1EEEEE10hipError_tT1_PNSt15iterator_traitsISI_E10value_typeET2_T3_PNSJ_ISO_E10value_typeET4_T5_PST_SU_PNS1_23onesweep_lookback_stateEbbT6_jjT7_P12ihipStream_tbENKUlT_T0_SI_SN_E_clISD_SD_SD_SD_EEDaS11_S12_SI_SN_EUlS11_E_NS1_11comp_targetILNS1_3genE9ELNS1_11target_archE1100ELNS1_3gpuE3ELNS1_3repE0EEENS1_47radix_sort_onesweep_sort_config_static_selectorELNS0_4arch9wavefront6targetE1EEEvSI_.has_indirect_call, 0
	.section	.AMDGPU.csdata,"",@progbits
; Kernel info:
; codeLenInByte = 0
; TotalNumSgprs: 6
; NumVgprs: 0
; NumAgprs: 0
; TotalNumVgprs: 0
; ScratchSize: 0
; MemoryBound: 0
; FloatMode: 240
; IeeeMode: 1
; LDSByteSize: 0 bytes/workgroup (compile time only)
; SGPRBlocks: 0
; VGPRBlocks: 0
; NumSGPRsForWavesPerEU: 6
; NumVGPRsForWavesPerEU: 1
; AccumOffset: 4
; Occupancy: 8
; WaveLimiterHint : 0
; COMPUTE_PGM_RSRC2:SCRATCH_EN: 0
; COMPUTE_PGM_RSRC2:USER_SGPR: 2
; COMPUTE_PGM_RSRC2:TRAP_HANDLER: 0
; COMPUTE_PGM_RSRC2:TGID_X_EN: 1
; COMPUTE_PGM_RSRC2:TGID_Y_EN: 0
; COMPUTE_PGM_RSRC2:TGID_Z_EN: 0
; COMPUTE_PGM_RSRC2:TIDIG_COMP_CNT: 0
; COMPUTE_PGM_RSRC3_GFX90A:ACCUM_OFFSET: 0
; COMPUTE_PGM_RSRC3_GFX90A:TG_SPLIT: 0
	.section	.text._ZN7rocprim17ROCPRIM_400000_NS6detail17trampoline_kernelINS0_14default_configENS1_35radix_sort_onesweep_config_selectorIddEEZZNS1_29radix_sort_onesweep_iterationIS3_Lb0EN6thrust23THRUST_200600_302600_NS6detail15normal_iteratorINS8_10device_ptrIdEEEESD_SD_SD_jNS0_19identity_decomposerENS1_16block_id_wrapperIjLb1EEEEE10hipError_tT1_PNSt15iterator_traitsISI_E10value_typeET2_T3_PNSJ_ISO_E10value_typeET4_T5_PST_SU_PNS1_23onesweep_lookback_stateEbbT6_jjT7_P12ihipStream_tbENKUlT_T0_SI_SN_E_clISD_SD_SD_SD_EEDaS11_S12_SI_SN_EUlS11_E_NS1_11comp_targetILNS1_3genE8ELNS1_11target_archE1030ELNS1_3gpuE2ELNS1_3repE0EEENS1_47radix_sort_onesweep_sort_config_static_selectorELNS0_4arch9wavefront6targetE1EEEvSI_,"axG",@progbits,_ZN7rocprim17ROCPRIM_400000_NS6detail17trampoline_kernelINS0_14default_configENS1_35radix_sort_onesweep_config_selectorIddEEZZNS1_29radix_sort_onesweep_iterationIS3_Lb0EN6thrust23THRUST_200600_302600_NS6detail15normal_iteratorINS8_10device_ptrIdEEEESD_SD_SD_jNS0_19identity_decomposerENS1_16block_id_wrapperIjLb1EEEEE10hipError_tT1_PNSt15iterator_traitsISI_E10value_typeET2_T3_PNSJ_ISO_E10value_typeET4_T5_PST_SU_PNS1_23onesweep_lookback_stateEbbT6_jjT7_P12ihipStream_tbENKUlT_T0_SI_SN_E_clISD_SD_SD_SD_EEDaS11_S12_SI_SN_EUlS11_E_NS1_11comp_targetILNS1_3genE8ELNS1_11target_archE1030ELNS1_3gpuE2ELNS1_3repE0EEENS1_47radix_sort_onesweep_sort_config_static_selectorELNS0_4arch9wavefront6targetE1EEEvSI_,comdat
	.protected	_ZN7rocprim17ROCPRIM_400000_NS6detail17trampoline_kernelINS0_14default_configENS1_35radix_sort_onesweep_config_selectorIddEEZZNS1_29radix_sort_onesweep_iterationIS3_Lb0EN6thrust23THRUST_200600_302600_NS6detail15normal_iteratorINS8_10device_ptrIdEEEESD_SD_SD_jNS0_19identity_decomposerENS1_16block_id_wrapperIjLb1EEEEE10hipError_tT1_PNSt15iterator_traitsISI_E10value_typeET2_T3_PNSJ_ISO_E10value_typeET4_T5_PST_SU_PNS1_23onesweep_lookback_stateEbbT6_jjT7_P12ihipStream_tbENKUlT_T0_SI_SN_E_clISD_SD_SD_SD_EEDaS11_S12_SI_SN_EUlS11_E_NS1_11comp_targetILNS1_3genE8ELNS1_11target_archE1030ELNS1_3gpuE2ELNS1_3repE0EEENS1_47radix_sort_onesweep_sort_config_static_selectorELNS0_4arch9wavefront6targetE1EEEvSI_ ; -- Begin function _ZN7rocprim17ROCPRIM_400000_NS6detail17trampoline_kernelINS0_14default_configENS1_35radix_sort_onesweep_config_selectorIddEEZZNS1_29radix_sort_onesweep_iterationIS3_Lb0EN6thrust23THRUST_200600_302600_NS6detail15normal_iteratorINS8_10device_ptrIdEEEESD_SD_SD_jNS0_19identity_decomposerENS1_16block_id_wrapperIjLb1EEEEE10hipError_tT1_PNSt15iterator_traitsISI_E10value_typeET2_T3_PNSJ_ISO_E10value_typeET4_T5_PST_SU_PNS1_23onesweep_lookback_stateEbbT6_jjT7_P12ihipStream_tbENKUlT_T0_SI_SN_E_clISD_SD_SD_SD_EEDaS11_S12_SI_SN_EUlS11_E_NS1_11comp_targetILNS1_3genE8ELNS1_11target_archE1030ELNS1_3gpuE2ELNS1_3repE0EEENS1_47radix_sort_onesweep_sort_config_static_selectorELNS0_4arch9wavefront6targetE1EEEvSI_
	.globl	_ZN7rocprim17ROCPRIM_400000_NS6detail17trampoline_kernelINS0_14default_configENS1_35radix_sort_onesweep_config_selectorIddEEZZNS1_29radix_sort_onesweep_iterationIS3_Lb0EN6thrust23THRUST_200600_302600_NS6detail15normal_iteratorINS8_10device_ptrIdEEEESD_SD_SD_jNS0_19identity_decomposerENS1_16block_id_wrapperIjLb1EEEEE10hipError_tT1_PNSt15iterator_traitsISI_E10value_typeET2_T3_PNSJ_ISO_E10value_typeET4_T5_PST_SU_PNS1_23onesweep_lookback_stateEbbT6_jjT7_P12ihipStream_tbENKUlT_T0_SI_SN_E_clISD_SD_SD_SD_EEDaS11_S12_SI_SN_EUlS11_E_NS1_11comp_targetILNS1_3genE8ELNS1_11target_archE1030ELNS1_3gpuE2ELNS1_3repE0EEENS1_47radix_sort_onesweep_sort_config_static_selectorELNS0_4arch9wavefront6targetE1EEEvSI_
	.p2align	8
	.type	_ZN7rocprim17ROCPRIM_400000_NS6detail17trampoline_kernelINS0_14default_configENS1_35radix_sort_onesweep_config_selectorIddEEZZNS1_29radix_sort_onesweep_iterationIS3_Lb0EN6thrust23THRUST_200600_302600_NS6detail15normal_iteratorINS8_10device_ptrIdEEEESD_SD_SD_jNS0_19identity_decomposerENS1_16block_id_wrapperIjLb1EEEEE10hipError_tT1_PNSt15iterator_traitsISI_E10value_typeET2_T3_PNSJ_ISO_E10value_typeET4_T5_PST_SU_PNS1_23onesweep_lookback_stateEbbT6_jjT7_P12ihipStream_tbENKUlT_T0_SI_SN_E_clISD_SD_SD_SD_EEDaS11_S12_SI_SN_EUlS11_E_NS1_11comp_targetILNS1_3genE8ELNS1_11target_archE1030ELNS1_3gpuE2ELNS1_3repE0EEENS1_47radix_sort_onesweep_sort_config_static_selectorELNS0_4arch9wavefront6targetE1EEEvSI_,@function
_ZN7rocprim17ROCPRIM_400000_NS6detail17trampoline_kernelINS0_14default_configENS1_35radix_sort_onesweep_config_selectorIddEEZZNS1_29radix_sort_onesweep_iterationIS3_Lb0EN6thrust23THRUST_200600_302600_NS6detail15normal_iteratorINS8_10device_ptrIdEEEESD_SD_SD_jNS0_19identity_decomposerENS1_16block_id_wrapperIjLb1EEEEE10hipError_tT1_PNSt15iterator_traitsISI_E10value_typeET2_T3_PNSJ_ISO_E10value_typeET4_T5_PST_SU_PNS1_23onesweep_lookback_stateEbbT6_jjT7_P12ihipStream_tbENKUlT_T0_SI_SN_E_clISD_SD_SD_SD_EEDaS11_S12_SI_SN_EUlS11_E_NS1_11comp_targetILNS1_3genE8ELNS1_11target_archE1030ELNS1_3gpuE2ELNS1_3repE0EEENS1_47radix_sort_onesweep_sort_config_static_selectorELNS0_4arch9wavefront6targetE1EEEvSI_: ; @_ZN7rocprim17ROCPRIM_400000_NS6detail17trampoline_kernelINS0_14default_configENS1_35radix_sort_onesweep_config_selectorIddEEZZNS1_29radix_sort_onesweep_iterationIS3_Lb0EN6thrust23THRUST_200600_302600_NS6detail15normal_iteratorINS8_10device_ptrIdEEEESD_SD_SD_jNS0_19identity_decomposerENS1_16block_id_wrapperIjLb1EEEEE10hipError_tT1_PNSt15iterator_traitsISI_E10value_typeET2_T3_PNSJ_ISO_E10value_typeET4_T5_PST_SU_PNS1_23onesweep_lookback_stateEbbT6_jjT7_P12ihipStream_tbENKUlT_T0_SI_SN_E_clISD_SD_SD_SD_EEDaS11_S12_SI_SN_EUlS11_E_NS1_11comp_targetILNS1_3genE8ELNS1_11target_archE1030ELNS1_3gpuE2ELNS1_3repE0EEENS1_47radix_sort_onesweep_sort_config_static_selectorELNS0_4arch9wavefront6targetE1EEEvSI_
; %bb.0:
	.section	.rodata,"a",@progbits
	.p2align	6, 0x0
	.amdhsa_kernel _ZN7rocprim17ROCPRIM_400000_NS6detail17trampoline_kernelINS0_14default_configENS1_35radix_sort_onesweep_config_selectorIddEEZZNS1_29radix_sort_onesweep_iterationIS3_Lb0EN6thrust23THRUST_200600_302600_NS6detail15normal_iteratorINS8_10device_ptrIdEEEESD_SD_SD_jNS0_19identity_decomposerENS1_16block_id_wrapperIjLb1EEEEE10hipError_tT1_PNSt15iterator_traitsISI_E10value_typeET2_T3_PNSJ_ISO_E10value_typeET4_T5_PST_SU_PNS1_23onesweep_lookback_stateEbbT6_jjT7_P12ihipStream_tbENKUlT_T0_SI_SN_E_clISD_SD_SD_SD_EEDaS11_S12_SI_SN_EUlS11_E_NS1_11comp_targetILNS1_3genE8ELNS1_11target_archE1030ELNS1_3gpuE2ELNS1_3repE0EEENS1_47radix_sort_onesweep_sort_config_static_selectorELNS0_4arch9wavefront6targetE1EEEvSI_
		.amdhsa_group_segment_fixed_size 0
		.amdhsa_private_segment_fixed_size 0
		.amdhsa_kernarg_size 88
		.amdhsa_user_sgpr_count 2
		.amdhsa_user_sgpr_dispatch_ptr 0
		.amdhsa_user_sgpr_queue_ptr 0
		.amdhsa_user_sgpr_kernarg_segment_ptr 1
		.amdhsa_user_sgpr_dispatch_id 0
		.amdhsa_user_sgpr_kernarg_preload_length 0
		.amdhsa_user_sgpr_kernarg_preload_offset 0
		.amdhsa_user_sgpr_private_segment_size 0
		.amdhsa_uses_dynamic_stack 0
		.amdhsa_enable_private_segment 0
		.amdhsa_system_sgpr_workgroup_id_x 1
		.amdhsa_system_sgpr_workgroup_id_y 0
		.amdhsa_system_sgpr_workgroup_id_z 0
		.amdhsa_system_sgpr_workgroup_info 0
		.amdhsa_system_vgpr_workitem_id 0
		.amdhsa_next_free_vgpr 1
		.amdhsa_next_free_sgpr 0
		.amdhsa_accum_offset 4
		.amdhsa_reserve_vcc 0
		.amdhsa_float_round_mode_32 0
		.amdhsa_float_round_mode_16_64 0
		.amdhsa_float_denorm_mode_32 3
		.amdhsa_float_denorm_mode_16_64 3
		.amdhsa_dx10_clamp 1
		.amdhsa_ieee_mode 1
		.amdhsa_fp16_overflow 0
		.amdhsa_tg_split 0
		.amdhsa_exception_fp_ieee_invalid_op 0
		.amdhsa_exception_fp_denorm_src 0
		.amdhsa_exception_fp_ieee_div_zero 0
		.amdhsa_exception_fp_ieee_overflow 0
		.amdhsa_exception_fp_ieee_underflow 0
		.amdhsa_exception_fp_ieee_inexact 0
		.amdhsa_exception_int_div_zero 0
	.end_amdhsa_kernel
	.section	.text._ZN7rocprim17ROCPRIM_400000_NS6detail17trampoline_kernelINS0_14default_configENS1_35radix_sort_onesweep_config_selectorIddEEZZNS1_29radix_sort_onesweep_iterationIS3_Lb0EN6thrust23THRUST_200600_302600_NS6detail15normal_iteratorINS8_10device_ptrIdEEEESD_SD_SD_jNS0_19identity_decomposerENS1_16block_id_wrapperIjLb1EEEEE10hipError_tT1_PNSt15iterator_traitsISI_E10value_typeET2_T3_PNSJ_ISO_E10value_typeET4_T5_PST_SU_PNS1_23onesweep_lookback_stateEbbT6_jjT7_P12ihipStream_tbENKUlT_T0_SI_SN_E_clISD_SD_SD_SD_EEDaS11_S12_SI_SN_EUlS11_E_NS1_11comp_targetILNS1_3genE8ELNS1_11target_archE1030ELNS1_3gpuE2ELNS1_3repE0EEENS1_47radix_sort_onesweep_sort_config_static_selectorELNS0_4arch9wavefront6targetE1EEEvSI_,"axG",@progbits,_ZN7rocprim17ROCPRIM_400000_NS6detail17trampoline_kernelINS0_14default_configENS1_35radix_sort_onesweep_config_selectorIddEEZZNS1_29radix_sort_onesweep_iterationIS3_Lb0EN6thrust23THRUST_200600_302600_NS6detail15normal_iteratorINS8_10device_ptrIdEEEESD_SD_SD_jNS0_19identity_decomposerENS1_16block_id_wrapperIjLb1EEEEE10hipError_tT1_PNSt15iterator_traitsISI_E10value_typeET2_T3_PNSJ_ISO_E10value_typeET4_T5_PST_SU_PNS1_23onesweep_lookback_stateEbbT6_jjT7_P12ihipStream_tbENKUlT_T0_SI_SN_E_clISD_SD_SD_SD_EEDaS11_S12_SI_SN_EUlS11_E_NS1_11comp_targetILNS1_3genE8ELNS1_11target_archE1030ELNS1_3gpuE2ELNS1_3repE0EEENS1_47radix_sort_onesweep_sort_config_static_selectorELNS0_4arch9wavefront6targetE1EEEvSI_,comdat
.Lfunc_end117:
	.size	_ZN7rocprim17ROCPRIM_400000_NS6detail17trampoline_kernelINS0_14default_configENS1_35radix_sort_onesweep_config_selectorIddEEZZNS1_29radix_sort_onesweep_iterationIS3_Lb0EN6thrust23THRUST_200600_302600_NS6detail15normal_iteratorINS8_10device_ptrIdEEEESD_SD_SD_jNS0_19identity_decomposerENS1_16block_id_wrapperIjLb1EEEEE10hipError_tT1_PNSt15iterator_traitsISI_E10value_typeET2_T3_PNSJ_ISO_E10value_typeET4_T5_PST_SU_PNS1_23onesweep_lookback_stateEbbT6_jjT7_P12ihipStream_tbENKUlT_T0_SI_SN_E_clISD_SD_SD_SD_EEDaS11_S12_SI_SN_EUlS11_E_NS1_11comp_targetILNS1_3genE8ELNS1_11target_archE1030ELNS1_3gpuE2ELNS1_3repE0EEENS1_47radix_sort_onesweep_sort_config_static_selectorELNS0_4arch9wavefront6targetE1EEEvSI_, .Lfunc_end117-_ZN7rocprim17ROCPRIM_400000_NS6detail17trampoline_kernelINS0_14default_configENS1_35radix_sort_onesweep_config_selectorIddEEZZNS1_29radix_sort_onesweep_iterationIS3_Lb0EN6thrust23THRUST_200600_302600_NS6detail15normal_iteratorINS8_10device_ptrIdEEEESD_SD_SD_jNS0_19identity_decomposerENS1_16block_id_wrapperIjLb1EEEEE10hipError_tT1_PNSt15iterator_traitsISI_E10value_typeET2_T3_PNSJ_ISO_E10value_typeET4_T5_PST_SU_PNS1_23onesweep_lookback_stateEbbT6_jjT7_P12ihipStream_tbENKUlT_T0_SI_SN_E_clISD_SD_SD_SD_EEDaS11_S12_SI_SN_EUlS11_E_NS1_11comp_targetILNS1_3genE8ELNS1_11target_archE1030ELNS1_3gpuE2ELNS1_3repE0EEENS1_47radix_sort_onesweep_sort_config_static_selectorELNS0_4arch9wavefront6targetE1EEEvSI_
                                        ; -- End function
	.set _ZN7rocprim17ROCPRIM_400000_NS6detail17trampoline_kernelINS0_14default_configENS1_35radix_sort_onesweep_config_selectorIddEEZZNS1_29radix_sort_onesweep_iterationIS3_Lb0EN6thrust23THRUST_200600_302600_NS6detail15normal_iteratorINS8_10device_ptrIdEEEESD_SD_SD_jNS0_19identity_decomposerENS1_16block_id_wrapperIjLb1EEEEE10hipError_tT1_PNSt15iterator_traitsISI_E10value_typeET2_T3_PNSJ_ISO_E10value_typeET4_T5_PST_SU_PNS1_23onesweep_lookback_stateEbbT6_jjT7_P12ihipStream_tbENKUlT_T0_SI_SN_E_clISD_SD_SD_SD_EEDaS11_S12_SI_SN_EUlS11_E_NS1_11comp_targetILNS1_3genE8ELNS1_11target_archE1030ELNS1_3gpuE2ELNS1_3repE0EEENS1_47radix_sort_onesweep_sort_config_static_selectorELNS0_4arch9wavefront6targetE1EEEvSI_.num_vgpr, 0
	.set _ZN7rocprim17ROCPRIM_400000_NS6detail17trampoline_kernelINS0_14default_configENS1_35radix_sort_onesweep_config_selectorIddEEZZNS1_29radix_sort_onesweep_iterationIS3_Lb0EN6thrust23THRUST_200600_302600_NS6detail15normal_iteratorINS8_10device_ptrIdEEEESD_SD_SD_jNS0_19identity_decomposerENS1_16block_id_wrapperIjLb1EEEEE10hipError_tT1_PNSt15iterator_traitsISI_E10value_typeET2_T3_PNSJ_ISO_E10value_typeET4_T5_PST_SU_PNS1_23onesweep_lookback_stateEbbT6_jjT7_P12ihipStream_tbENKUlT_T0_SI_SN_E_clISD_SD_SD_SD_EEDaS11_S12_SI_SN_EUlS11_E_NS1_11comp_targetILNS1_3genE8ELNS1_11target_archE1030ELNS1_3gpuE2ELNS1_3repE0EEENS1_47radix_sort_onesweep_sort_config_static_selectorELNS0_4arch9wavefront6targetE1EEEvSI_.num_agpr, 0
	.set _ZN7rocprim17ROCPRIM_400000_NS6detail17trampoline_kernelINS0_14default_configENS1_35radix_sort_onesweep_config_selectorIddEEZZNS1_29radix_sort_onesweep_iterationIS3_Lb0EN6thrust23THRUST_200600_302600_NS6detail15normal_iteratorINS8_10device_ptrIdEEEESD_SD_SD_jNS0_19identity_decomposerENS1_16block_id_wrapperIjLb1EEEEE10hipError_tT1_PNSt15iterator_traitsISI_E10value_typeET2_T3_PNSJ_ISO_E10value_typeET4_T5_PST_SU_PNS1_23onesweep_lookback_stateEbbT6_jjT7_P12ihipStream_tbENKUlT_T0_SI_SN_E_clISD_SD_SD_SD_EEDaS11_S12_SI_SN_EUlS11_E_NS1_11comp_targetILNS1_3genE8ELNS1_11target_archE1030ELNS1_3gpuE2ELNS1_3repE0EEENS1_47radix_sort_onesweep_sort_config_static_selectorELNS0_4arch9wavefront6targetE1EEEvSI_.numbered_sgpr, 0
	.set _ZN7rocprim17ROCPRIM_400000_NS6detail17trampoline_kernelINS0_14default_configENS1_35radix_sort_onesweep_config_selectorIddEEZZNS1_29radix_sort_onesweep_iterationIS3_Lb0EN6thrust23THRUST_200600_302600_NS6detail15normal_iteratorINS8_10device_ptrIdEEEESD_SD_SD_jNS0_19identity_decomposerENS1_16block_id_wrapperIjLb1EEEEE10hipError_tT1_PNSt15iterator_traitsISI_E10value_typeET2_T3_PNSJ_ISO_E10value_typeET4_T5_PST_SU_PNS1_23onesweep_lookback_stateEbbT6_jjT7_P12ihipStream_tbENKUlT_T0_SI_SN_E_clISD_SD_SD_SD_EEDaS11_S12_SI_SN_EUlS11_E_NS1_11comp_targetILNS1_3genE8ELNS1_11target_archE1030ELNS1_3gpuE2ELNS1_3repE0EEENS1_47radix_sort_onesweep_sort_config_static_selectorELNS0_4arch9wavefront6targetE1EEEvSI_.num_named_barrier, 0
	.set _ZN7rocprim17ROCPRIM_400000_NS6detail17trampoline_kernelINS0_14default_configENS1_35radix_sort_onesweep_config_selectorIddEEZZNS1_29radix_sort_onesweep_iterationIS3_Lb0EN6thrust23THRUST_200600_302600_NS6detail15normal_iteratorINS8_10device_ptrIdEEEESD_SD_SD_jNS0_19identity_decomposerENS1_16block_id_wrapperIjLb1EEEEE10hipError_tT1_PNSt15iterator_traitsISI_E10value_typeET2_T3_PNSJ_ISO_E10value_typeET4_T5_PST_SU_PNS1_23onesweep_lookback_stateEbbT6_jjT7_P12ihipStream_tbENKUlT_T0_SI_SN_E_clISD_SD_SD_SD_EEDaS11_S12_SI_SN_EUlS11_E_NS1_11comp_targetILNS1_3genE8ELNS1_11target_archE1030ELNS1_3gpuE2ELNS1_3repE0EEENS1_47radix_sort_onesweep_sort_config_static_selectorELNS0_4arch9wavefront6targetE1EEEvSI_.private_seg_size, 0
	.set _ZN7rocprim17ROCPRIM_400000_NS6detail17trampoline_kernelINS0_14default_configENS1_35radix_sort_onesweep_config_selectorIddEEZZNS1_29radix_sort_onesweep_iterationIS3_Lb0EN6thrust23THRUST_200600_302600_NS6detail15normal_iteratorINS8_10device_ptrIdEEEESD_SD_SD_jNS0_19identity_decomposerENS1_16block_id_wrapperIjLb1EEEEE10hipError_tT1_PNSt15iterator_traitsISI_E10value_typeET2_T3_PNSJ_ISO_E10value_typeET4_T5_PST_SU_PNS1_23onesweep_lookback_stateEbbT6_jjT7_P12ihipStream_tbENKUlT_T0_SI_SN_E_clISD_SD_SD_SD_EEDaS11_S12_SI_SN_EUlS11_E_NS1_11comp_targetILNS1_3genE8ELNS1_11target_archE1030ELNS1_3gpuE2ELNS1_3repE0EEENS1_47radix_sort_onesweep_sort_config_static_selectorELNS0_4arch9wavefront6targetE1EEEvSI_.uses_vcc, 0
	.set _ZN7rocprim17ROCPRIM_400000_NS6detail17trampoline_kernelINS0_14default_configENS1_35radix_sort_onesweep_config_selectorIddEEZZNS1_29radix_sort_onesweep_iterationIS3_Lb0EN6thrust23THRUST_200600_302600_NS6detail15normal_iteratorINS8_10device_ptrIdEEEESD_SD_SD_jNS0_19identity_decomposerENS1_16block_id_wrapperIjLb1EEEEE10hipError_tT1_PNSt15iterator_traitsISI_E10value_typeET2_T3_PNSJ_ISO_E10value_typeET4_T5_PST_SU_PNS1_23onesweep_lookback_stateEbbT6_jjT7_P12ihipStream_tbENKUlT_T0_SI_SN_E_clISD_SD_SD_SD_EEDaS11_S12_SI_SN_EUlS11_E_NS1_11comp_targetILNS1_3genE8ELNS1_11target_archE1030ELNS1_3gpuE2ELNS1_3repE0EEENS1_47radix_sort_onesweep_sort_config_static_selectorELNS0_4arch9wavefront6targetE1EEEvSI_.uses_flat_scratch, 0
	.set _ZN7rocprim17ROCPRIM_400000_NS6detail17trampoline_kernelINS0_14default_configENS1_35radix_sort_onesweep_config_selectorIddEEZZNS1_29radix_sort_onesweep_iterationIS3_Lb0EN6thrust23THRUST_200600_302600_NS6detail15normal_iteratorINS8_10device_ptrIdEEEESD_SD_SD_jNS0_19identity_decomposerENS1_16block_id_wrapperIjLb1EEEEE10hipError_tT1_PNSt15iterator_traitsISI_E10value_typeET2_T3_PNSJ_ISO_E10value_typeET4_T5_PST_SU_PNS1_23onesweep_lookback_stateEbbT6_jjT7_P12ihipStream_tbENKUlT_T0_SI_SN_E_clISD_SD_SD_SD_EEDaS11_S12_SI_SN_EUlS11_E_NS1_11comp_targetILNS1_3genE8ELNS1_11target_archE1030ELNS1_3gpuE2ELNS1_3repE0EEENS1_47radix_sort_onesweep_sort_config_static_selectorELNS0_4arch9wavefront6targetE1EEEvSI_.has_dyn_sized_stack, 0
	.set _ZN7rocprim17ROCPRIM_400000_NS6detail17trampoline_kernelINS0_14default_configENS1_35radix_sort_onesweep_config_selectorIddEEZZNS1_29radix_sort_onesweep_iterationIS3_Lb0EN6thrust23THRUST_200600_302600_NS6detail15normal_iteratorINS8_10device_ptrIdEEEESD_SD_SD_jNS0_19identity_decomposerENS1_16block_id_wrapperIjLb1EEEEE10hipError_tT1_PNSt15iterator_traitsISI_E10value_typeET2_T3_PNSJ_ISO_E10value_typeET4_T5_PST_SU_PNS1_23onesweep_lookback_stateEbbT6_jjT7_P12ihipStream_tbENKUlT_T0_SI_SN_E_clISD_SD_SD_SD_EEDaS11_S12_SI_SN_EUlS11_E_NS1_11comp_targetILNS1_3genE8ELNS1_11target_archE1030ELNS1_3gpuE2ELNS1_3repE0EEENS1_47radix_sort_onesweep_sort_config_static_selectorELNS0_4arch9wavefront6targetE1EEEvSI_.has_recursion, 0
	.set _ZN7rocprim17ROCPRIM_400000_NS6detail17trampoline_kernelINS0_14default_configENS1_35radix_sort_onesweep_config_selectorIddEEZZNS1_29radix_sort_onesweep_iterationIS3_Lb0EN6thrust23THRUST_200600_302600_NS6detail15normal_iteratorINS8_10device_ptrIdEEEESD_SD_SD_jNS0_19identity_decomposerENS1_16block_id_wrapperIjLb1EEEEE10hipError_tT1_PNSt15iterator_traitsISI_E10value_typeET2_T3_PNSJ_ISO_E10value_typeET4_T5_PST_SU_PNS1_23onesweep_lookback_stateEbbT6_jjT7_P12ihipStream_tbENKUlT_T0_SI_SN_E_clISD_SD_SD_SD_EEDaS11_S12_SI_SN_EUlS11_E_NS1_11comp_targetILNS1_3genE8ELNS1_11target_archE1030ELNS1_3gpuE2ELNS1_3repE0EEENS1_47radix_sort_onesweep_sort_config_static_selectorELNS0_4arch9wavefront6targetE1EEEvSI_.has_indirect_call, 0
	.section	.AMDGPU.csdata,"",@progbits
; Kernel info:
; codeLenInByte = 0
; TotalNumSgprs: 6
; NumVgprs: 0
; NumAgprs: 0
; TotalNumVgprs: 0
; ScratchSize: 0
; MemoryBound: 0
; FloatMode: 240
; IeeeMode: 1
; LDSByteSize: 0 bytes/workgroup (compile time only)
; SGPRBlocks: 0
; VGPRBlocks: 0
; NumSGPRsForWavesPerEU: 6
; NumVGPRsForWavesPerEU: 1
; AccumOffset: 4
; Occupancy: 8
; WaveLimiterHint : 0
; COMPUTE_PGM_RSRC2:SCRATCH_EN: 0
; COMPUTE_PGM_RSRC2:USER_SGPR: 2
; COMPUTE_PGM_RSRC2:TRAP_HANDLER: 0
; COMPUTE_PGM_RSRC2:TGID_X_EN: 1
; COMPUTE_PGM_RSRC2:TGID_Y_EN: 0
; COMPUTE_PGM_RSRC2:TGID_Z_EN: 0
; COMPUTE_PGM_RSRC2:TIDIG_COMP_CNT: 0
; COMPUTE_PGM_RSRC3_GFX90A:ACCUM_OFFSET: 0
; COMPUTE_PGM_RSRC3_GFX90A:TG_SPLIT: 0
	.section	.text._ZN7rocprim17ROCPRIM_400000_NS6detail17trampoline_kernelINS0_14default_configENS1_35radix_sort_onesweep_config_selectorIddEEZZNS1_29radix_sort_onesweep_iterationIS3_Lb0EN6thrust23THRUST_200600_302600_NS6detail15normal_iteratorINS8_10device_ptrIdEEEESD_SD_SD_jNS0_19identity_decomposerENS1_16block_id_wrapperIjLb1EEEEE10hipError_tT1_PNSt15iterator_traitsISI_E10value_typeET2_T3_PNSJ_ISO_E10value_typeET4_T5_PST_SU_PNS1_23onesweep_lookback_stateEbbT6_jjT7_P12ihipStream_tbENKUlT_T0_SI_SN_E_clISD_PdSD_S15_EEDaS11_S12_SI_SN_EUlS11_E_NS1_11comp_targetILNS1_3genE0ELNS1_11target_archE4294967295ELNS1_3gpuE0ELNS1_3repE0EEENS1_47radix_sort_onesweep_sort_config_static_selectorELNS0_4arch9wavefront6targetE1EEEvSI_,"axG",@progbits,_ZN7rocprim17ROCPRIM_400000_NS6detail17trampoline_kernelINS0_14default_configENS1_35radix_sort_onesweep_config_selectorIddEEZZNS1_29radix_sort_onesweep_iterationIS3_Lb0EN6thrust23THRUST_200600_302600_NS6detail15normal_iteratorINS8_10device_ptrIdEEEESD_SD_SD_jNS0_19identity_decomposerENS1_16block_id_wrapperIjLb1EEEEE10hipError_tT1_PNSt15iterator_traitsISI_E10value_typeET2_T3_PNSJ_ISO_E10value_typeET4_T5_PST_SU_PNS1_23onesweep_lookback_stateEbbT6_jjT7_P12ihipStream_tbENKUlT_T0_SI_SN_E_clISD_PdSD_S15_EEDaS11_S12_SI_SN_EUlS11_E_NS1_11comp_targetILNS1_3genE0ELNS1_11target_archE4294967295ELNS1_3gpuE0ELNS1_3repE0EEENS1_47radix_sort_onesweep_sort_config_static_selectorELNS0_4arch9wavefront6targetE1EEEvSI_,comdat
	.protected	_ZN7rocprim17ROCPRIM_400000_NS6detail17trampoline_kernelINS0_14default_configENS1_35radix_sort_onesweep_config_selectorIddEEZZNS1_29radix_sort_onesweep_iterationIS3_Lb0EN6thrust23THRUST_200600_302600_NS6detail15normal_iteratorINS8_10device_ptrIdEEEESD_SD_SD_jNS0_19identity_decomposerENS1_16block_id_wrapperIjLb1EEEEE10hipError_tT1_PNSt15iterator_traitsISI_E10value_typeET2_T3_PNSJ_ISO_E10value_typeET4_T5_PST_SU_PNS1_23onesweep_lookback_stateEbbT6_jjT7_P12ihipStream_tbENKUlT_T0_SI_SN_E_clISD_PdSD_S15_EEDaS11_S12_SI_SN_EUlS11_E_NS1_11comp_targetILNS1_3genE0ELNS1_11target_archE4294967295ELNS1_3gpuE0ELNS1_3repE0EEENS1_47radix_sort_onesweep_sort_config_static_selectorELNS0_4arch9wavefront6targetE1EEEvSI_ ; -- Begin function _ZN7rocprim17ROCPRIM_400000_NS6detail17trampoline_kernelINS0_14default_configENS1_35radix_sort_onesweep_config_selectorIddEEZZNS1_29radix_sort_onesweep_iterationIS3_Lb0EN6thrust23THRUST_200600_302600_NS6detail15normal_iteratorINS8_10device_ptrIdEEEESD_SD_SD_jNS0_19identity_decomposerENS1_16block_id_wrapperIjLb1EEEEE10hipError_tT1_PNSt15iterator_traitsISI_E10value_typeET2_T3_PNSJ_ISO_E10value_typeET4_T5_PST_SU_PNS1_23onesweep_lookback_stateEbbT6_jjT7_P12ihipStream_tbENKUlT_T0_SI_SN_E_clISD_PdSD_S15_EEDaS11_S12_SI_SN_EUlS11_E_NS1_11comp_targetILNS1_3genE0ELNS1_11target_archE4294967295ELNS1_3gpuE0ELNS1_3repE0EEENS1_47radix_sort_onesweep_sort_config_static_selectorELNS0_4arch9wavefront6targetE1EEEvSI_
	.globl	_ZN7rocprim17ROCPRIM_400000_NS6detail17trampoline_kernelINS0_14default_configENS1_35radix_sort_onesweep_config_selectorIddEEZZNS1_29radix_sort_onesweep_iterationIS3_Lb0EN6thrust23THRUST_200600_302600_NS6detail15normal_iteratorINS8_10device_ptrIdEEEESD_SD_SD_jNS0_19identity_decomposerENS1_16block_id_wrapperIjLb1EEEEE10hipError_tT1_PNSt15iterator_traitsISI_E10value_typeET2_T3_PNSJ_ISO_E10value_typeET4_T5_PST_SU_PNS1_23onesweep_lookback_stateEbbT6_jjT7_P12ihipStream_tbENKUlT_T0_SI_SN_E_clISD_PdSD_S15_EEDaS11_S12_SI_SN_EUlS11_E_NS1_11comp_targetILNS1_3genE0ELNS1_11target_archE4294967295ELNS1_3gpuE0ELNS1_3repE0EEENS1_47radix_sort_onesweep_sort_config_static_selectorELNS0_4arch9wavefront6targetE1EEEvSI_
	.p2align	8
	.type	_ZN7rocprim17ROCPRIM_400000_NS6detail17trampoline_kernelINS0_14default_configENS1_35radix_sort_onesweep_config_selectorIddEEZZNS1_29radix_sort_onesweep_iterationIS3_Lb0EN6thrust23THRUST_200600_302600_NS6detail15normal_iteratorINS8_10device_ptrIdEEEESD_SD_SD_jNS0_19identity_decomposerENS1_16block_id_wrapperIjLb1EEEEE10hipError_tT1_PNSt15iterator_traitsISI_E10value_typeET2_T3_PNSJ_ISO_E10value_typeET4_T5_PST_SU_PNS1_23onesweep_lookback_stateEbbT6_jjT7_P12ihipStream_tbENKUlT_T0_SI_SN_E_clISD_PdSD_S15_EEDaS11_S12_SI_SN_EUlS11_E_NS1_11comp_targetILNS1_3genE0ELNS1_11target_archE4294967295ELNS1_3gpuE0ELNS1_3repE0EEENS1_47radix_sort_onesweep_sort_config_static_selectorELNS0_4arch9wavefront6targetE1EEEvSI_,@function
_ZN7rocprim17ROCPRIM_400000_NS6detail17trampoline_kernelINS0_14default_configENS1_35radix_sort_onesweep_config_selectorIddEEZZNS1_29radix_sort_onesweep_iterationIS3_Lb0EN6thrust23THRUST_200600_302600_NS6detail15normal_iteratorINS8_10device_ptrIdEEEESD_SD_SD_jNS0_19identity_decomposerENS1_16block_id_wrapperIjLb1EEEEE10hipError_tT1_PNSt15iterator_traitsISI_E10value_typeET2_T3_PNSJ_ISO_E10value_typeET4_T5_PST_SU_PNS1_23onesweep_lookback_stateEbbT6_jjT7_P12ihipStream_tbENKUlT_T0_SI_SN_E_clISD_PdSD_S15_EEDaS11_S12_SI_SN_EUlS11_E_NS1_11comp_targetILNS1_3genE0ELNS1_11target_archE4294967295ELNS1_3gpuE0ELNS1_3repE0EEENS1_47radix_sort_onesweep_sort_config_static_selectorELNS0_4arch9wavefront6targetE1EEEvSI_: ; @_ZN7rocprim17ROCPRIM_400000_NS6detail17trampoline_kernelINS0_14default_configENS1_35radix_sort_onesweep_config_selectorIddEEZZNS1_29radix_sort_onesweep_iterationIS3_Lb0EN6thrust23THRUST_200600_302600_NS6detail15normal_iteratorINS8_10device_ptrIdEEEESD_SD_SD_jNS0_19identity_decomposerENS1_16block_id_wrapperIjLb1EEEEE10hipError_tT1_PNSt15iterator_traitsISI_E10value_typeET2_T3_PNSJ_ISO_E10value_typeET4_T5_PST_SU_PNS1_23onesweep_lookback_stateEbbT6_jjT7_P12ihipStream_tbENKUlT_T0_SI_SN_E_clISD_PdSD_S15_EEDaS11_S12_SI_SN_EUlS11_E_NS1_11comp_targetILNS1_3genE0ELNS1_11target_archE4294967295ELNS1_3gpuE0ELNS1_3repE0EEENS1_47radix_sort_onesweep_sort_config_static_selectorELNS0_4arch9wavefront6targetE1EEEvSI_
; %bb.0:
	.section	.rodata,"a",@progbits
	.p2align	6, 0x0
	.amdhsa_kernel _ZN7rocprim17ROCPRIM_400000_NS6detail17trampoline_kernelINS0_14default_configENS1_35radix_sort_onesweep_config_selectorIddEEZZNS1_29radix_sort_onesweep_iterationIS3_Lb0EN6thrust23THRUST_200600_302600_NS6detail15normal_iteratorINS8_10device_ptrIdEEEESD_SD_SD_jNS0_19identity_decomposerENS1_16block_id_wrapperIjLb1EEEEE10hipError_tT1_PNSt15iterator_traitsISI_E10value_typeET2_T3_PNSJ_ISO_E10value_typeET4_T5_PST_SU_PNS1_23onesweep_lookback_stateEbbT6_jjT7_P12ihipStream_tbENKUlT_T0_SI_SN_E_clISD_PdSD_S15_EEDaS11_S12_SI_SN_EUlS11_E_NS1_11comp_targetILNS1_3genE0ELNS1_11target_archE4294967295ELNS1_3gpuE0ELNS1_3repE0EEENS1_47radix_sort_onesweep_sort_config_static_selectorELNS0_4arch9wavefront6targetE1EEEvSI_
		.amdhsa_group_segment_fixed_size 0
		.amdhsa_private_segment_fixed_size 0
		.amdhsa_kernarg_size 88
		.amdhsa_user_sgpr_count 2
		.amdhsa_user_sgpr_dispatch_ptr 0
		.amdhsa_user_sgpr_queue_ptr 0
		.amdhsa_user_sgpr_kernarg_segment_ptr 1
		.amdhsa_user_sgpr_dispatch_id 0
		.amdhsa_user_sgpr_kernarg_preload_length 0
		.amdhsa_user_sgpr_kernarg_preload_offset 0
		.amdhsa_user_sgpr_private_segment_size 0
		.amdhsa_uses_dynamic_stack 0
		.amdhsa_enable_private_segment 0
		.amdhsa_system_sgpr_workgroup_id_x 1
		.amdhsa_system_sgpr_workgroup_id_y 0
		.amdhsa_system_sgpr_workgroup_id_z 0
		.amdhsa_system_sgpr_workgroup_info 0
		.amdhsa_system_vgpr_workitem_id 0
		.amdhsa_next_free_vgpr 1
		.amdhsa_next_free_sgpr 0
		.amdhsa_accum_offset 4
		.amdhsa_reserve_vcc 0
		.amdhsa_float_round_mode_32 0
		.amdhsa_float_round_mode_16_64 0
		.amdhsa_float_denorm_mode_32 3
		.amdhsa_float_denorm_mode_16_64 3
		.amdhsa_dx10_clamp 1
		.amdhsa_ieee_mode 1
		.amdhsa_fp16_overflow 0
		.amdhsa_tg_split 0
		.amdhsa_exception_fp_ieee_invalid_op 0
		.amdhsa_exception_fp_denorm_src 0
		.amdhsa_exception_fp_ieee_div_zero 0
		.amdhsa_exception_fp_ieee_overflow 0
		.amdhsa_exception_fp_ieee_underflow 0
		.amdhsa_exception_fp_ieee_inexact 0
		.amdhsa_exception_int_div_zero 0
	.end_amdhsa_kernel
	.section	.text._ZN7rocprim17ROCPRIM_400000_NS6detail17trampoline_kernelINS0_14default_configENS1_35radix_sort_onesweep_config_selectorIddEEZZNS1_29radix_sort_onesweep_iterationIS3_Lb0EN6thrust23THRUST_200600_302600_NS6detail15normal_iteratorINS8_10device_ptrIdEEEESD_SD_SD_jNS0_19identity_decomposerENS1_16block_id_wrapperIjLb1EEEEE10hipError_tT1_PNSt15iterator_traitsISI_E10value_typeET2_T3_PNSJ_ISO_E10value_typeET4_T5_PST_SU_PNS1_23onesweep_lookback_stateEbbT6_jjT7_P12ihipStream_tbENKUlT_T0_SI_SN_E_clISD_PdSD_S15_EEDaS11_S12_SI_SN_EUlS11_E_NS1_11comp_targetILNS1_3genE0ELNS1_11target_archE4294967295ELNS1_3gpuE0ELNS1_3repE0EEENS1_47radix_sort_onesweep_sort_config_static_selectorELNS0_4arch9wavefront6targetE1EEEvSI_,"axG",@progbits,_ZN7rocprim17ROCPRIM_400000_NS6detail17trampoline_kernelINS0_14default_configENS1_35radix_sort_onesweep_config_selectorIddEEZZNS1_29radix_sort_onesweep_iterationIS3_Lb0EN6thrust23THRUST_200600_302600_NS6detail15normal_iteratorINS8_10device_ptrIdEEEESD_SD_SD_jNS0_19identity_decomposerENS1_16block_id_wrapperIjLb1EEEEE10hipError_tT1_PNSt15iterator_traitsISI_E10value_typeET2_T3_PNSJ_ISO_E10value_typeET4_T5_PST_SU_PNS1_23onesweep_lookback_stateEbbT6_jjT7_P12ihipStream_tbENKUlT_T0_SI_SN_E_clISD_PdSD_S15_EEDaS11_S12_SI_SN_EUlS11_E_NS1_11comp_targetILNS1_3genE0ELNS1_11target_archE4294967295ELNS1_3gpuE0ELNS1_3repE0EEENS1_47radix_sort_onesweep_sort_config_static_selectorELNS0_4arch9wavefront6targetE1EEEvSI_,comdat
.Lfunc_end118:
	.size	_ZN7rocprim17ROCPRIM_400000_NS6detail17trampoline_kernelINS0_14default_configENS1_35radix_sort_onesweep_config_selectorIddEEZZNS1_29radix_sort_onesweep_iterationIS3_Lb0EN6thrust23THRUST_200600_302600_NS6detail15normal_iteratorINS8_10device_ptrIdEEEESD_SD_SD_jNS0_19identity_decomposerENS1_16block_id_wrapperIjLb1EEEEE10hipError_tT1_PNSt15iterator_traitsISI_E10value_typeET2_T3_PNSJ_ISO_E10value_typeET4_T5_PST_SU_PNS1_23onesweep_lookback_stateEbbT6_jjT7_P12ihipStream_tbENKUlT_T0_SI_SN_E_clISD_PdSD_S15_EEDaS11_S12_SI_SN_EUlS11_E_NS1_11comp_targetILNS1_3genE0ELNS1_11target_archE4294967295ELNS1_3gpuE0ELNS1_3repE0EEENS1_47radix_sort_onesweep_sort_config_static_selectorELNS0_4arch9wavefront6targetE1EEEvSI_, .Lfunc_end118-_ZN7rocprim17ROCPRIM_400000_NS6detail17trampoline_kernelINS0_14default_configENS1_35radix_sort_onesweep_config_selectorIddEEZZNS1_29radix_sort_onesweep_iterationIS3_Lb0EN6thrust23THRUST_200600_302600_NS6detail15normal_iteratorINS8_10device_ptrIdEEEESD_SD_SD_jNS0_19identity_decomposerENS1_16block_id_wrapperIjLb1EEEEE10hipError_tT1_PNSt15iterator_traitsISI_E10value_typeET2_T3_PNSJ_ISO_E10value_typeET4_T5_PST_SU_PNS1_23onesweep_lookback_stateEbbT6_jjT7_P12ihipStream_tbENKUlT_T0_SI_SN_E_clISD_PdSD_S15_EEDaS11_S12_SI_SN_EUlS11_E_NS1_11comp_targetILNS1_3genE0ELNS1_11target_archE4294967295ELNS1_3gpuE0ELNS1_3repE0EEENS1_47radix_sort_onesweep_sort_config_static_selectorELNS0_4arch9wavefront6targetE1EEEvSI_
                                        ; -- End function
	.set _ZN7rocprim17ROCPRIM_400000_NS6detail17trampoline_kernelINS0_14default_configENS1_35radix_sort_onesweep_config_selectorIddEEZZNS1_29radix_sort_onesweep_iterationIS3_Lb0EN6thrust23THRUST_200600_302600_NS6detail15normal_iteratorINS8_10device_ptrIdEEEESD_SD_SD_jNS0_19identity_decomposerENS1_16block_id_wrapperIjLb1EEEEE10hipError_tT1_PNSt15iterator_traitsISI_E10value_typeET2_T3_PNSJ_ISO_E10value_typeET4_T5_PST_SU_PNS1_23onesweep_lookback_stateEbbT6_jjT7_P12ihipStream_tbENKUlT_T0_SI_SN_E_clISD_PdSD_S15_EEDaS11_S12_SI_SN_EUlS11_E_NS1_11comp_targetILNS1_3genE0ELNS1_11target_archE4294967295ELNS1_3gpuE0ELNS1_3repE0EEENS1_47radix_sort_onesweep_sort_config_static_selectorELNS0_4arch9wavefront6targetE1EEEvSI_.num_vgpr, 0
	.set _ZN7rocprim17ROCPRIM_400000_NS6detail17trampoline_kernelINS0_14default_configENS1_35radix_sort_onesweep_config_selectorIddEEZZNS1_29radix_sort_onesweep_iterationIS3_Lb0EN6thrust23THRUST_200600_302600_NS6detail15normal_iteratorINS8_10device_ptrIdEEEESD_SD_SD_jNS0_19identity_decomposerENS1_16block_id_wrapperIjLb1EEEEE10hipError_tT1_PNSt15iterator_traitsISI_E10value_typeET2_T3_PNSJ_ISO_E10value_typeET4_T5_PST_SU_PNS1_23onesweep_lookback_stateEbbT6_jjT7_P12ihipStream_tbENKUlT_T0_SI_SN_E_clISD_PdSD_S15_EEDaS11_S12_SI_SN_EUlS11_E_NS1_11comp_targetILNS1_3genE0ELNS1_11target_archE4294967295ELNS1_3gpuE0ELNS1_3repE0EEENS1_47radix_sort_onesweep_sort_config_static_selectorELNS0_4arch9wavefront6targetE1EEEvSI_.num_agpr, 0
	.set _ZN7rocprim17ROCPRIM_400000_NS6detail17trampoline_kernelINS0_14default_configENS1_35radix_sort_onesweep_config_selectorIddEEZZNS1_29radix_sort_onesweep_iterationIS3_Lb0EN6thrust23THRUST_200600_302600_NS6detail15normal_iteratorINS8_10device_ptrIdEEEESD_SD_SD_jNS0_19identity_decomposerENS1_16block_id_wrapperIjLb1EEEEE10hipError_tT1_PNSt15iterator_traitsISI_E10value_typeET2_T3_PNSJ_ISO_E10value_typeET4_T5_PST_SU_PNS1_23onesweep_lookback_stateEbbT6_jjT7_P12ihipStream_tbENKUlT_T0_SI_SN_E_clISD_PdSD_S15_EEDaS11_S12_SI_SN_EUlS11_E_NS1_11comp_targetILNS1_3genE0ELNS1_11target_archE4294967295ELNS1_3gpuE0ELNS1_3repE0EEENS1_47radix_sort_onesweep_sort_config_static_selectorELNS0_4arch9wavefront6targetE1EEEvSI_.numbered_sgpr, 0
	.set _ZN7rocprim17ROCPRIM_400000_NS6detail17trampoline_kernelINS0_14default_configENS1_35radix_sort_onesweep_config_selectorIddEEZZNS1_29radix_sort_onesweep_iterationIS3_Lb0EN6thrust23THRUST_200600_302600_NS6detail15normal_iteratorINS8_10device_ptrIdEEEESD_SD_SD_jNS0_19identity_decomposerENS1_16block_id_wrapperIjLb1EEEEE10hipError_tT1_PNSt15iterator_traitsISI_E10value_typeET2_T3_PNSJ_ISO_E10value_typeET4_T5_PST_SU_PNS1_23onesweep_lookback_stateEbbT6_jjT7_P12ihipStream_tbENKUlT_T0_SI_SN_E_clISD_PdSD_S15_EEDaS11_S12_SI_SN_EUlS11_E_NS1_11comp_targetILNS1_3genE0ELNS1_11target_archE4294967295ELNS1_3gpuE0ELNS1_3repE0EEENS1_47radix_sort_onesweep_sort_config_static_selectorELNS0_4arch9wavefront6targetE1EEEvSI_.num_named_barrier, 0
	.set _ZN7rocprim17ROCPRIM_400000_NS6detail17trampoline_kernelINS0_14default_configENS1_35radix_sort_onesweep_config_selectorIddEEZZNS1_29radix_sort_onesweep_iterationIS3_Lb0EN6thrust23THRUST_200600_302600_NS6detail15normal_iteratorINS8_10device_ptrIdEEEESD_SD_SD_jNS0_19identity_decomposerENS1_16block_id_wrapperIjLb1EEEEE10hipError_tT1_PNSt15iterator_traitsISI_E10value_typeET2_T3_PNSJ_ISO_E10value_typeET4_T5_PST_SU_PNS1_23onesweep_lookback_stateEbbT6_jjT7_P12ihipStream_tbENKUlT_T0_SI_SN_E_clISD_PdSD_S15_EEDaS11_S12_SI_SN_EUlS11_E_NS1_11comp_targetILNS1_3genE0ELNS1_11target_archE4294967295ELNS1_3gpuE0ELNS1_3repE0EEENS1_47radix_sort_onesweep_sort_config_static_selectorELNS0_4arch9wavefront6targetE1EEEvSI_.private_seg_size, 0
	.set _ZN7rocprim17ROCPRIM_400000_NS6detail17trampoline_kernelINS0_14default_configENS1_35radix_sort_onesweep_config_selectorIddEEZZNS1_29radix_sort_onesweep_iterationIS3_Lb0EN6thrust23THRUST_200600_302600_NS6detail15normal_iteratorINS8_10device_ptrIdEEEESD_SD_SD_jNS0_19identity_decomposerENS1_16block_id_wrapperIjLb1EEEEE10hipError_tT1_PNSt15iterator_traitsISI_E10value_typeET2_T3_PNSJ_ISO_E10value_typeET4_T5_PST_SU_PNS1_23onesweep_lookback_stateEbbT6_jjT7_P12ihipStream_tbENKUlT_T0_SI_SN_E_clISD_PdSD_S15_EEDaS11_S12_SI_SN_EUlS11_E_NS1_11comp_targetILNS1_3genE0ELNS1_11target_archE4294967295ELNS1_3gpuE0ELNS1_3repE0EEENS1_47radix_sort_onesweep_sort_config_static_selectorELNS0_4arch9wavefront6targetE1EEEvSI_.uses_vcc, 0
	.set _ZN7rocprim17ROCPRIM_400000_NS6detail17trampoline_kernelINS0_14default_configENS1_35radix_sort_onesweep_config_selectorIddEEZZNS1_29radix_sort_onesweep_iterationIS3_Lb0EN6thrust23THRUST_200600_302600_NS6detail15normal_iteratorINS8_10device_ptrIdEEEESD_SD_SD_jNS0_19identity_decomposerENS1_16block_id_wrapperIjLb1EEEEE10hipError_tT1_PNSt15iterator_traitsISI_E10value_typeET2_T3_PNSJ_ISO_E10value_typeET4_T5_PST_SU_PNS1_23onesweep_lookback_stateEbbT6_jjT7_P12ihipStream_tbENKUlT_T0_SI_SN_E_clISD_PdSD_S15_EEDaS11_S12_SI_SN_EUlS11_E_NS1_11comp_targetILNS1_3genE0ELNS1_11target_archE4294967295ELNS1_3gpuE0ELNS1_3repE0EEENS1_47radix_sort_onesweep_sort_config_static_selectorELNS0_4arch9wavefront6targetE1EEEvSI_.uses_flat_scratch, 0
	.set _ZN7rocprim17ROCPRIM_400000_NS6detail17trampoline_kernelINS0_14default_configENS1_35radix_sort_onesweep_config_selectorIddEEZZNS1_29radix_sort_onesweep_iterationIS3_Lb0EN6thrust23THRUST_200600_302600_NS6detail15normal_iteratorINS8_10device_ptrIdEEEESD_SD_SD_jNS0_19identity_decomposerENS1_16block_id_wrapperIjLb1EEEEE10hipError_tT1_PNSt15iterator_traitsISI_E10value_typeET2_T3_PNSJ_ISO_E10value_typeET4_T5_PST_SU_PNS1_23onesweep_lookback_stateEbbT6_jjT7_P12ihipStream_tbENKUlT_T0_SI_SN_E_clISD_PdSD_S15_EEDaS11_S12_SI_SN_EUlS11_E_NS1_11comp_targetILNS1_3genE0ELNS1_11target_archE4294967295ELNS1_3gpuE0ELNS1_3repE0EEENS1_47radix_sort_onesweep_sort_config_static_selectorELNS0_4arch9wavefront6targetE1EEEvSI_.has_dyn_sized_stack, 0
	.set _ZN7rocprim17ROCPRIM_400000_NS6detail17trampoline_kernelINS0_14default_configENS1_35radix_sort_onesweep_config_selectorIddEEZZNS1_29radix_sort_onesweep_iterationIS3_Lb0EN6thrust23THRUST_200600_302600_NS6detail15normal_iteratorINS8_10device_ptrIdEEEESD_SD_SD_jNS0_19identity_decomposerENS1_16block_id_wrapperIjLb1EEEEE10hipError_tT1_PNSt15iterator_traitsISI_E10value_typeET2_T3_PNSJ_ISO_E10value_typeET4_T5_PST_SU_PNS1_23onesweep_lookback_stateEbbT6_jjT7_P12ihipStream_tbENKUlT_T0_SI_SN_E_clISD_PdSD_S15_EEDaS11_S12_SI_SN_EUlS11_E_NS1_11comp_targetILNS1_3genE0ELNS1_11target_archE4294967295ELNS1_3gpuE0ELNS1_3repE0EEENS1_47radix_sort_onesweep_sort_config_static_selectorELNS0_4arch9wavefront6targetE1EEEvSI_.has_recursion, 0
	.set _ZN7rocprim17ROCPRIM_400000_NS6detail17trampoline_kernelINS0_14default_configENS1_35radix_sort_onesweep_config_selectorIddEEZZNS1_29radix_sort_onesweep_iterationIS3_Lb0EN6thrust23THRUST_200600_302600_NS6detail15normal_iteratorINS8_10device_ptrIdEEEESD_SD_SD_jNS0_19identity_decomposerENS1_16block_id_wrapperIjLb1EEEEE10hipError_tT1_PNSt15iterator_traitsISI_E10value_typeET2_T3_PNSJ_ISO_E10value_typeET4_T5_PST_SU_PNS1_23onesweep_lookback_stateEbbT6_jjT7_P12ihipStream_tbENKUlT_T0_SI_SN_E_clISD_PdSD_S15_EEDaS11_S12_SI_SN_EUlS11_E_NS1_11comp_targetILNS1_3genE0ELNS1_11target_archE4294967295ELNS1_3gpuE0ELNS1_3repE0EEENS1_47radix_sort_onesweep_sort_config_static_selectorELNS0_4arch9wavefront6targetE1EEEvSI_.has_indirect_call, 0
	.section	.AMDGPU.csdata,"",@progbits
; Kernel info:
; codeLenInByte = 0
; TotalNumSgprs: 6
; NumVgprs: 0
; NumAgprs: 0
; TotalNumVgprs: 0
; ScratchSize: 0
; MemoryBound: 0
; FloatMode: 240
; IeeeMode: 1
; LDSByteSize: 0 bytes/workgroup (compile time only)
; SGPRBlocks: 0
; VGPRBlocks: 0
; NumSGPRsForWavesPerEU: 6
; NumVGPRsForWavesPerEU: 1
; AccumOffset: 4
; Occupancy: 8
; WaveLimiterHint : 0
; COMPUTE_PGM_RSRC2:SCRATCH_EN: 0
; COMPUTE_PGM_RSRC2:USER_SGPR: 2
; COMPUTE_PGM_RSRC2:TRAP_HANDLER: 0
; COMPUTE_PGM_RSRC2:TGID_X_EN: 1
; COMPUTE_PGM_RSRC2:TGID_Y_EN: 0
; COMPUTE_PGM_RSRC2:TGID_Z_EN: 0
; COMPUTE_PGM_RSRC2:TIDIG_COMP_CNT: 0
; COMPUTE_PGM_RSRC3_GFX90A:ACCUM_OFFSET: 0
; COMPUTE_PGM_RSRC3_GFX90A:TG_SPLIT: 0
	.section	.text._ZN7rocprim17ROCPRIM_400000_NS6detail17trampoline_kernelINS0_14default_configENS1_35radix_sort_onesweep_config_selectorIddEEZZNS1_29radix_sort_onesweep_iterationIS3_Lb0EN6thrust23THRUST_200600_302600_NS6detail15normal_iteratorINS8_10device_ptrIdEEEESD_SD_SD_jNS0_19identity_decomposerENS1_16block_id_wrapperIjLb1EEEEE10hipError_tT1_PNSt15iterator_traitsISI_E10value_typeET2_T3_PNSJ_ISO_E10value_typeET4_T5_PST_SU_PNS1_23onesweep_lookback_stateEbbT6_jjT7_P12ihipStream_tbENKUlT_T0_SI_SN_E_clISD_PdSD_S15_EEDaS11_S12_SI_SN_EUlS11_E_NS1_11comp_targetILNS1_3genE6ELNS1_11target_archE950ELNS1_3gpuE13ELNS1_3repE0EEENS1_47radix_sort_onesweep_sort_config_static_selectorELNS0_4arch9wavefront6targetE1EEEvSI_,"axG",@progbits,_ZN7rocprim17ROCPRIM_400000_NS6detail17trampoline_kernelINS0_14default_configENS1_35radix_sort_onesweep_config_selectorIddEEZZNS1_29radix_sort_onesweep_iterationIS3_Lb0EN6thrust23THRUST_200600_302600_NS6detail15normal_iteratorINS8_10device_ptrIdEEEESD_SD_SD_jNS0_19identity_decomposerENS1_16block_id_wrapperIjLb1EEEEE10hipError_tT1_PNSt15iterator_traitsISI_E10value_typeET2_T3_PNSJ_ISO_E10value_typeET4_T5_PST_SU_PNS1_23onesweep_lookback_stateEbbT6_jjT7_P12ihipStream_tbENKUlT_T0_SI_SN_E_clISD_PdSD_S15_EEDaS11_S12_SI_SN_EUlS11_E_NS1_11comp_targetILNS1_3genE6ELNS1_11target_archE950ELNS1_3gpuE13ELNS1_3repE0EEENS1_47radix_sort_onesweep_sort_config_static_selectorELNS0_4arch9wavefront6targetE1EEEvSI_,comdat
	.protected	_ZN7rocprim17ROCPRIM_400000_NS6detail17trampoline_kernelINS0_14default_configENS1_35radix_sort_onesweep_config_selectorIddEEZZNS1_29radix_sort_onesweep_iterationIS3_Lb0EN6thrust23THRUST_200600_302600_NS6detail15normal_iteratorINS8_10device_ptrIdEEEESD_SD_SD_jNS0_19identity_decomposerENS1_16block_id_wrapperIjLb1EEEEE10hipError_tT1_PNSt15iterator_traitsISI_E10value_typeET2_T3_PNSJ_ISO_E10value_typeET4_T5_PST_SU_PNS1_23onesweep_lookback_stateEbbT6_jjT7_P12ihipStream_tbENKUlT_T0_SI_SN_E_clISD_PdSD_S15_EEDaS11_S12_SI_SN_EUlS11_E_NS1_11comp_targetILNS1_3genE6ELNS1_11target_archE950ELNS1_3gpuE13ELNS1_3repE0EEENS1_47radix_sort_onesweep_sort_config_static_selectorELNS0_4arch9wavefront6targetE1EEEvSI_ ; -- Begin function _ZN7rocprim17ROCPRIM_400000_NS6detail17trampoline_kernelINS0_14default_configENS1_35radix_sort_onesweep_config_selectorIddEEZZNS1_29radix_sort_onesweep_iterationIS3_Lb0EN6thrust23THRUST_200600_302600_NS6detail15normal_iteratorINS8_10device_ptrIdEEEESD_SD_SD_jNS0_19identity_decomposerENS1_16block_id_wrapperIjLb1EEEEE10hipError_tT1_PNSt15iterator_traitsISI_E10value_typeET2_T3_PNSJ_ISO_E10value_typeET4_T5_PST_SU_PNS1_23onesweep_lookback_stateEbbT6_jjT7_P12ihipStream_tbENKUlT_T0_SI_SN_E_clISD_PdSD_S15_EEDaS11_S12_SI_SN_EUlS11_E_NS1_11comp_targetILNS1_3genE6ELNS1_11target_archE950ELNS1_3gpuE13ELNS1_3repE0EEENS1_47radix_sort_onesweep_sort_config_static_selectorELNS0_4arch9wavefront6targetE1EEEvSI_
	.globl	_ZN7rocprim17ROCPRIM_400000_NS6detail17trampoline_kernelINS0_14default_configENS1_35radix_sort_onesweep_config_selectorIddEEZZNS1_29radix_sort_onesweep_iterationIS3_Lb0EN6thrust23THRUST_200600_302600_NS6detail15normal_iteratorINS8_10device_ptrIdEEEESD_SD_SD_jNS0_19identity_decomposerENS1_16block_id_wrapperIjLb1EEEEE10hipError_tT1_PNSt15iterator_traitsISI_E10value_typeET2_T3_PNSJ_ISO_E10value_typeET4_T5_PST_SU_PNS1_23onesweep_lookback_stateEbbT6_jjT7_P12ihipStream_tbENKUlT_T0_SI_SN_E_clISD_PdSD_S15_EEDaS11_S12_SI_SN_EUlS11_E_NS1_11comp_targetILNS1_3genE6ELNS1_11target_archE950ELNS1_3gpuE13ELNS1_3repE0EEENS1_47radix_sort_onesweep_sort_config_static_selectorELNS0_4arch9wavefront6targetE1EEEvSI_
	.p2align	8
	.type	_ZN7rocprim17ROCPRIM_400000_NS6detail17trampoline_kernelINS0_14default_configENS1_35radix_sort_onesweep_config_selectorIddEEZZNS1_29radix_sort_onesweep_iterationIS3_Lb0EN6thrust23THRUST_200600_302600_NS6detail15normal_iteratorINS8_10device_ptrIdEEEESD_SD_SD_jNS0_19identity_decomposerENS1_16block_id_wrapperIjLb1EEEEE10hipError_tT1_PNSt15iterator_traitsISI_E10value_typeET2_T3_PNSJ_ISO_E10value_typeET4_T5_PST_SU_PNS1_23onesweep_lookback_stateEbbT6_jjT7_P12ihipStream_tbENKUlT_T0_SI_SN_E_clISD_PdSD_S15_EEDaS11_S12_SI_SN_EUlS11_E_NS1_11comp_targetILNS1_3genE6ELNS1_11target_archE950ELNS1_3gpuE13ELNS1_3repE0EEENS1_47radix_sort_onesweep_sort_config_static_selectorELNS0_4arch9wavefront6targetE1EEEvSI_,@function
_ZN7rocprim17ROCPRIM_400000_NS6detail17trampoline_kernelINS0_14default_configENS1_35radix_sort_onesweep_config_selectorIddEEZZNS1_29radix_sort_onesweep_iterationIS3_Lb0EN6thrust23THRUST_200600_302600_NS6detail15normal_iteratorINS8_10device_ptrIdEEEESD_SD_SD_jNS0_19identity_decomposerENS1_16block_id_wrapperIjLb1EEEEE10hipError_tT1_PNSt15iterator_traitsISI_E10value_typeET2_T3_PNSJ_ISO_E10value_typeET4_T5_PST_SU_PNS1_23onesweep_lookback_stateEbbT6_jjT7_P12ihipStream_tbENKUlT_T0_SI_SN_E_clISD_PdSD_S15_EEDaS11_S12_SI_SN_EUlS11_E_NS1_11comp_targetILNS1_3genE6ELNS1_11target_archE950ELNS1_3gpuE13ELNS1_3repE0EEENS1_47radix_sort_onesweep_sort_config_static_selectorELNS0_4arch9wavefront6targetE1EEEvSI_: ; @_ZN7rocprim17ROCPRIM_400000_NS6detail17trampoline_kernelINS0_14default_configENS1_35radix_sort_onesweep_config_selectorIddEEZZNS1_29radix_sort_onesweep_iterationIS3_Lb0EN6thrust23THRUST_200600_302600_NS6detail15normal_iteratorINS8_10device_ptrIdEEEESD_SD_SD_jNS0_19identity_decomposerENS1_16block_id_wrapperIjLb1EEEEE10hipError_tT1_PNSt15iterator_traitsISI_E10value_typeET2_T3_PNSJ_ISO_E10value_typeET4_T5_PST_SU_PNS1_23onesweep_lookback_stateEbbT6_jjT7_P12ihipStream_tbENKUlT_T0_SI_SN_E_clISD_PdSD_S15_EEDaS11_S12_SI_SN_EUlS11_E_NS1_11comp_targetILNS1_3genE6ELNS1_11target_archE950ELNS1_3gpuE13ELNS1_3repE0EEENS1_47radix_sort_onesweep_sort_config_static_selectorELNS0_4arch9wavefront6targetE1EEEvSI_
; %bb.0:
	s_load_dwordx4 s[48:51], s[2:3], 0x28
	s_load_dwordx2 s[38:39], s[2:3], 0x38
	s_load_dwordx4 s[52:55], s[2:3], 0x44
	v_and_b32_e32 v2, 0x3ff, v0
	v_cmp_eq_u32_e64 s[18:19], 0, v2
	s_and_saveexec_b64 s[6:7], s[18:19]
	s_cbranch_execz .LBB119_4
; %bb.1:
	s_mov_b64 s[10:11], exec
	v_mbcnt_lo_u32_b32 v1, s10, 0
	v_mbcnt_hi_u32_b32 v1, s11, v1
	v_cmp_eq_u32_e32 vcc, 0, v1
                                        ; implicit-def: $vgpr3
	s_and_saveexec_b64 s[8:9], vcc
	s_cbranch_execz .LBB119_3
; %bb.2:
	s_load_dwordx2 s[12:13], s[2:3], 0x50
	s_bcnt1_i32_b64 s5, s[10:11]
	v_mov_b32_e32 v3, 0
	v_mov_b32_e32 v4, s5
	s_waitcnt lgkmcnt(0)
	global_atomic_add v3, v3, v4, s[12:13] sc0
.LBB119_3:
	s_or_b64 exec, exec, s[8:9]
	s_waitcnt vmcnt(0)
	v_readfirstlane_b32 s5, v3
	v_mov_b32_e32 v3, 0
	s_nop 0
	v_add_u32_e32 v1, s5, v1
	ds_write_b32 v3, v1 offset:20544
.LBB119_4:
	s_or_b64 exec, exec, s[6:7]
	v_mov_b32_e32 v1, 0
	s_load_dwordx8 s[40:47], s[2:3], 0x0
	s_load_dword s5, s[2:3], 0x20
	s_waitcnt lgkmcnt(0)
	s_barrier
	ds_read_b32 v4, v1 offset:20544
	v_bfe_u32 v3, v0, 10, 10
	v_bfe_u32 v28, v0, 20, 10
	s_mov_b64 s[6:7], -1
	v_mbcnt_lo_u32_b32 v30, -1, 0
	s_waitcnt lgkmcnt(0)
	v_cmp_le_u32_e32 vcc, s54, v4
	v_readfirstlane_b32 s33, v4
	v_lshlrev_b32_e32 v29, 3, v2
	s_barrier
	s_cbranch_vccz .LBB119_120
; %bb.5:
	s_lshl_b32 s6, s54, 13
	s_sub_i32 s5, s5, s6
	s_lshl_b32 s6, s33, 13
	s_mov_b32 s7, 0
	s_lshl_b64 s[54:55], s[6:7], 3
	v_mbcnt_hi_u32_b32 v26, -1, v30
	s_add_u32 s6, s40, s54
	v_and_b32_e32 v8, 63, v26
	s_addc_u32 s7, s41, s55
	v_and_b32_e32 v9, 0x1e00, v29
	v_lshlrev_b32_e32 v0, 3, v8
	v_lshl_add_u64 v[6:7], s[6:7], 0, v[0:1]
	v_lshlrev_b32_e32 v4, 3, v9
	v_mov_b32_e32 v5, v1
	v_or_b32_e32 v1, v8, v9
	v_mov_b32_e32 v8, -1
	v_bfrev_b32_e32 v9, -2
	v_lshl_add_u64 v[22:23], v[6:7], 0, v[4:5]
	v_cmp_gt_u32_e32 vcc, s5, v1
	v_mov_b64_e32 v[6:7], v[8:9]
	s_and_saveexec_b64 s[6:7], vcc
	s_cbranch_execz .LBB119_7
; %bb.6:
	global_load_dwordx2 v[6:7], v[22:23], off
.LBB119_7:
	s_or_b64 exec, exec, s[6:7]
	v_or_b32_e32 v5, 64, v1
	v_cmp_gt_u32_e64 s[28:29], s5, v5
	s_and_saveexec_b64 s[6:7], s[28:29]
	s_cbranch_execz .LBB119_9
; %bb.8:
	global_load_dwordx2 v[8:9], v[22:23], off offset:512
.LBB119_9:
	s_or_b64 exec, exec, s[6:7]
	v_or_b32_e32 v5, 0x80, v1
	v_mov_b32_e32 v12, -1
	v_bfrev_b32_e32 v13, -2
	v_cmp_gt_u32_e64 s[6:7], s5, v5
	v_mov_b64_e32 v[10:11], v[12:13]
	s_and_saveexec_b64 s[8:9], s[6:7]
	s_cbranch_execz .LBB119_11
; %bb.10:
	global_load_dwordx2 v[10:11], v[22:23], off offset:1024
.LBB119_11:
	s_or_b64 exec, exec, s[8:9]
	v_or_b32_e32 v5, 0xc0, v1
	v_cmp_gt_u32_e64 s[8:9], s5, v5
	s_and_saveexec_b64 s[10:11], s[8:9]
	s_cbranch_execz .LBB119_13
; %bb.12:
	global_load_dwordx2 v[12:13], v[22:23], off offset:1536
.LBB119_13:
	s_or_b64 exec, exec, s[10:11]
	v_or_b32_e32 v5, 0x100, v1
	v_mov_b32_e32 v18, -1
	v_bfrev_b32_e32 v19, -2
	v_cmp_gt_u32_e64 s[10:11], s5, v5
	v_mov_b64_e32 v[16:17], v[18:19]
	s_and_saveexec_b64 s[12:13], s[10:11]
	s_cbranch_execz .LBB119_15
; %bb.14:
	global_load_dwordx2 v[16:17], v[22:23], off offset:2048
.LBB119_15:
	;; [unrolled: 19-line block ×3, first 2 shown]
	s_or_b64 exec, exec, s[16:17]
	v_or_b32_e32 v1, 0x1c0, v1
	s_mov_b32 s22, -1
	v_cmp_gt_u32_e64 s[16:17], s5, v1
	s_brev_b32 s23, -2
	s_and_saveexec_b64 s[20:21], s[16:17]
	s_cbranch_execz .LBB119_21
; %bb.20:
	global_load_dwordx2 v[14:15], v[22:23], off offset:3584
.LBB119_21:
	s_or_b64 exec, exec, s[20:21]
	s_load_dword s20, s[2:3], 0x64
	s_load_dword s56, s[2:3], 0x58
	s_add_u32 s21, s2, 0x58
	s_addc_u32 s24, s3, 0
	v_mov_b32_e32 v23, 0
	s_waitcnt lgkmcnt(0)
	s_lshr_b32 s25, s20, 16
	s_cmp_lt_u32 s4, s56
	s_cselect_b32 s20, 12, 18
	s_add_u32 s20, s21, s20
	s_addc_u32 s21, s24, 0
	global_load_ushort v5, v23, s[20:21]
	v_bfrev_b32_e32 v31, 1
	s_waitcnt vmcnt(1)
	v_cmp_lt_i64_e64 s[20:21], -1, v[6:7]
	v_ashrrev_i32_e32 v22, 31, v7
	v_xor_b32_e32 v6, v22, v6
	v_cndmask_b32_e64 v25, -1, v31, s[20:21]
	v_xor_b32_e32 v7, v25, v7
	v_cmp_ne_u64_e64 s[20:21], s[22:23], v[6:7]
	v_mov_b32_e32 v24, v23
	v_mov_b32_e32 v34, v23
	v_cndmask_b32_e64 v43, v31, v7, s[20:21]
	v_cndmask_b32_e64 v42, 0, v6, s[20:21]
	v_lshrrev_b64 v[42:43], s52, v[42:43]
	s_lshl_b32 s20, -1, s53
	v_bitop3_b32 v44, v42, s20, v42 bitop3:0x30
	v_and_b32_e32 v22, 1, v44
	v_lshlrev_b32_e32 v25, 30, v44
	s_not_b32 s57, s20
	v_lshlrev_b32_e32 v33, 29, v44
	v_lshlrev_b32_e32 v35, 28, v44
	v_lshl_add_u64 v[42:43], v[22:23], 0, -1
	v_cmp_ne_u32_e64 s[20:21], 0, v22
	v_not_b32_e32 v22, v25
	v_mov_b32_e32 v32, v23
	v_mov_b32_e32 v36, v23
	v_lshlrev_b32_e32 v37, 27, v44
	v_cmp_gt_i64_e64 s[22:23], 0, v[24:25]
	v_not_b32_e32 v24, v33
	v_cmp_gt_i64_e64 s[26:27], 0, v[34:35]
	v_xor_b32_e32 v34, s21, v43
	v_ashrrev_i32_e32 v22, 31, v22
	v_mad_u32_u24 v27, v28, s25, v3
	v_cmp_gt_i64_e64 s[24:25], 0, v[32:33]
	v_not_b32_e32 v25, v35
	v_cmp_gt_i64_e64 s[30:31], 0, v[36:37]
	v_xor_b32_e32 v35, s20, v42
	v_ashrrev_i32_e32 v24, 31, v24
	v_and_b32_e32 v34, exec_hi, v34
	v_xor_b32_e32 v36, s23, v22
	v_mov_b32_e32 v38, v23
	v_lshlrev_b32_e32 v39, 26, v44
	v_not_b32_e32 v32, v37
	v_ashrrev_i32_e32 v25, 31, v25
	v_and_b32_e32 v35, exec_lo, v35
	v_xor_b32_e32 v22, s22, v22
	v_xor_b32_e32 v37, s25, v24
	v_and_b32_e32 v34, v34, v36
	v_cmp_gt_i64_e64 s[34:35], 0, v[38:39]
	v_not_b32_e32 v33, v39
	v_ashrrev_i32_e32 v32, 31, v32
	v_xor_b32_e32 v24, s24, v24
	v_xor_b32_e32 v38, s27, v25
	v_and_b32_e32 v22, v35, v22
	v_and_b32_e32 v34, v34, v37
	v_mov_b32_e32 v40, v23
	v_lshlrev_b32_e32 v41, 25, v44
	v_ashrrev_i32_e32 v33, 31, v33
	v_xor_b32_e32 v25, s26, v25
	v_xor_b32_e32 v39, s31, v32
	v_and_b32_e32 v22, v22, v24
	v_and_b32_e32 v24, v34, v38
	v_cmp_gt_i64_e64 s[36:37], 0, v[40:41]
	v_xor_b32_e32 v32, s30, v32
	v_xor_b32_e32 v40, s35, v33
	v_and_b32_e32 v22, v22, v25
	v_and_b32_e32 v24, v24, v39
	;; [unrolled: 1-line block ×4, first 2 shown]
	v_xor_b32_e32 v33, s34, v33
	v_and_b32_e32 v22, v22, v33
	s_movk_i32 s58, 0x44
	v_mul_lo_u32 v45, v44, s58
	v_mul_u32_u24_e32 v1, 20, v2
	ds_write2_b32 v1, v23, v23 offset0:16 offset1:17
	ds_write2_b32 v1, v23, v23 offset0:18 offset1:19
	ds_write_b32 v1, v23 offset:80
	s_waitcnt lgkmcnt(0)
	s_barrier
	s_waitcnt vmcnt(0)
	; wave barrier
	v_mad_u64_u32 v[24:25], s[20:21], v27, v5, v[2:3]
	v_not_b32_e32 v5, v41
	v_ashrrev_i32_e32 v5, 31, v5
	v_lshrrev_b32_e32 v39, 6, v24
	v_xor_b32_e32 v24, s37, v5
	v_xor_b32_e32 v5, s36, v5
	v_lshlrev_b32_e32 v25, 24, v44
	v_and_b32_e32 v32, v32, v24
	v_and_b32_e32 v5, v22, v5
	v_mov_b32_e32 v24, v23
	v_not_b32_e32 v22, v25
	v_cmp_gt_i64_e64 s[20:21], 0, v[24:25]
	v_ashrrev_i32_e32 v22, 31, v22
	v_lshl_add_u32 v27, v39, 2, v45
	v_xor_b32_e32 v24, s21, v22
	v_xor_b32_e32 v22, s20, v22
	v_and_b32_e32 v25, v32, v24
	v_and_b32_e32 v24, v5, v22
	v_mbcnt_lo_u32_b32 v5, v24, 0
	v_mbcnt_hi_u32_b32 v5, v25, v5
	v_cmp_eq_u32_e64 s[20:21], 0, v5
	v_cmp_ne_u64_e64 s[22:23], 0, v[24:25]
	s_and_b64 s[22:23], s[22:23], s[20:21]
	s_and_saveexec_b64 s[20:21], s[22:23]
; %bb.22:
	v_bcnt_u32_b32 v22, v24, 0
	v_bcnt_u32_b32 v22, v25, v22
	ds_write_b32 v27, v22 offset:64
; %bb.23:
	s_or_b64 exec, exec, s[20:21]
	v_cmp_lt_i64_e64 s[20:21], -1, v[8:9]
	s_mov_b32 s24, -1
	v_ashrrev_i32_e32 v24, 31, v9
	v_cndmask_b32_e64 v22, -1, v31, s[20:21]
	s_brev_b32 s25, -2
	v_xor_b32_e32 v9, v22, v9
	v_xor_b32_e32 v8, v24, v8
	v_cmp_ne_u64_e64 s[20:21], s[24:25], v[8:9]
	; wave barrier
	s_nop 1
	v_cndmask_b32_e64 v25, v31, v9, s[20:21]
	v_cndmask_b32_e64 v24, 0, v8, s[20:21]
	v_lshrrev_b64 v[24:25], s52, v[24:25]
	v_and_b32_e32 v32, s57, v24
	v_mul_lo_u32 v22, v32, s58
	v_lshl_add_u32 v34, v39, 2, v22
	v_and_b32_e32 v22, 1, v32
	v_lshl_add_u64 v[24:25], v[22:23], 0, -1
	v_cmp_ne_u32_e64 s[20:21], 0, v22
	ds_read_b32 v31, v34 offset:64
	s_nop 0
	v_xor_b32_e32 v24, s20, v24
	v_xor_b32_e32 v22, s21, v25
	v_and_b32_e32 v33, exec_lo, v24
	v_lshlrev_b32_e32 v25, 30, v32
	v_mov_b32_e32 v24, v23
	v_cmp_gt_i64_e64 s[20:21], 0, v[24:25]
	v_not_b32_e32 v24, v25
	v_ashrrev_i32_e32 v24, 31, v24
	v_and_b32_e32 v22, exec_hi, v22
	v_xor_b32_e32 v25, s21, v24
	v_xor_b32_e32 v24, s20, v24
	v_and_b32_e32 v22, v22, v25
	v_and_b32_e32 v33, v33, v24
	v_lshlrev_b32_e32 v25, 29, v32
	v_mov_b32_e32 v24, v23
	v_cmp_gt_i64_e64 s[20:21], 0, v[24:25]
	v_not_b32_e32 v24, v25
	v_ashrrev_i32_e32 v24, 31, v24
	v_xor_b32_e32 v25, s21, v24
	v_xor_b32_e32 v24, s20, v24
	v_and_b32_e32 v22, v22, v25
	v_and_b32_e32 v33, v33, v24
	v_lshlrev_b32_e32 v25, 28, v32
	v_mov_b32_e32 v24, v23
	v_cmp_gt_i64_e64 s[20:21], 0, v[24:25]
	v_not_b32_e32 v24, v25
	v_ashrrev_i32_e32 v24, 31, v24
	v_xor_b32_e32 v25, s21, v24
	v_xor_b32_e32 v24, s20, v24
	v_and_b32_e32 v22, v22, v25
	v_and_b32_e32 v33, v33, v24
	v_lshlrev_b32_e32 v25, 27, v32
	v_mov_b32_e32 v24, v23
	v_cmp_gt_i64_e64 s[20:21], 0, v[24:25]
	v_not_b32_e32 v24, v25
	v_ashrrev_i32_e32 v24, 31, v24
	v_xor_b32_e32 v25, s21, v24
	v_xor_b32_e32 v24, s20, v24
	v_and_b32_e32 v22, v22, v25
	v_and_b32_e32 v33, v33, v24
	v_lshlrev_b32_e32 v25, 26, v32
	v_mov_b32_e32 v24, v23
	v_cmp_gt_i64_e64 s[20:21], 0, v[24:25]
	v_not_b32_e32 v24, v25
	v_ashrrev_i32_e32 v24, 31, v24
	v_xor_b32_e32 v25, s21, v24
	v_xor_b32_e32 v24, s20, v24
	v_and_b32_e32 v22, v22, v25
	v_and_b32_e32 v33, v33, v24
	v_lshlrev_b32_e32 v25, 25, v32
	v_mov_b32_e32 v24, v23
	v_cmp_gt_i64_e64 s[20:21], 0, v[24:25]
	v_not_b32_e32 v24, v25
	v_ashrrev_i32_e32 v24, 31, v24
	v_xor_b32_e32 v25, s21, v24
	v_xor_b32_e32 v24, s20, v24
	v_and_b32_e32 v22, v22, v25
	v_lshlrev_b32_e32 v25, 24, v32
	v_and_b32_e32 v33, v33, v24
	v_mov_b32_e32 v24, v23
	v_not_b32_e32 v23, v25
	v_cmp_gt_i64_e64 s[20:21], 0, v[24:25]
	v_ashrrev_i32_e32 v23, 31, v23
	; wave barrier
	s_nop 0
	v_xor_b32_e32 v24, s21, v23
	v_xor_b32_e32 v25, s20, v23
	v_and_b32_e32 v23, v22, v24
	v_and_b32_e32 v22, v33, v25
	v_mbcnt_lo_u32_b32 v24, v22, 0
	v_mbcnt_hi_u32_b32 v32, v23, v24
	v_cmp_eq_u32_e64 s[20:21], 0, v32
	v_cmp_ne_u64_e64 s[22:23], 0, v[22:23]
	s_and_b64 s[22:23], s[22:23], s[20:21]
	s_and_saveexec_b64 s[20:21], s[22:23]
	s_cbranch_execz .LBB119_25
; %bb.24:
	v_bcnt_u32_b32 v22, v22, 0
	v_bcnt_u32_b32 v22, v23, v22
	s_waitcnt lgkmcnt(0)
	v_add_u32_e32 v22, v31, v22
	ds_write_b32 v34, v22 offset:64
.LBB119_25:
	s_or_b64 exec, exec, s[20:21]
	v_bfrev_b32_e32 v36, 1
	v_cmp_lt_i64_e64 s[20:21], -1, v[10:11]
	v_ashrrev_i32_e32 v23, 31, v11
	v_xor_b32_e32 v10, v23, v10
	v_cndmask_b32_e64 v22, -1, v36, s[20:21]
	v_xor_b32_e32 v11, v22, v11
	v_cmp_ne_u64_e64 s[20:21], s[24:25], v[10:11]
	s_movk_i32 s26, 0x44
	s_nop 0
	v_cndmask_b32_e64 v23, v36, v11, s[20:21]
	v_cndmask_b32_e64 v22, 0, v10, s[20:21]
	v_lshrrev_b64 v[22:23], s52, v[22:23]
	v_and_b32_e32 v35, s57, v22
	v_mul_lo_u32 v22, v35, s26
	v_lshl_add_u32 v37, v39, 2, v22
	v_and_b32_e32 v22, 1, v35
	v_mov_b32_e32 v23, 0
	v_lshl_add_u64 v[24:25], v[22:23], 0, -1
	v_cmp_ne_u32_e64 s[20:21], 0, v22
	; wave barrier
	ds_read_b32 v33, v37 offset:64
	s_nop 0
	v_xor_b32_e32 v24, s20, v24
	v_xor_b32_e32 v22, s21, v25
	v_and_b32_e32 v38, exec_lo, v24
	v_lshlrev_b32_e32 v25, 30, v35
	v_mov_b32_e32 v24, v23
	v_cmp_gt_i64_e64 s[20:21], 0, v[24:25]
	v_not_b32_e32 v24, v25
	v_ashrrev_i32_e32 v24, 31, v24
	v_and_b32_e32 v22, exec_hi, v22
	v_xor_b32_e32 v25, s21, v24
	v_xor_b32_e32 v24, s20, v24
	v_and_b32_e32 v22, v22, v25
	v_and_b32_e32 v38, v38, v24
	v_lshlrev_b32_e32 v25, 29, v35
	v_mov_b32_e32 v24, v23
	v_cmp_gt_i64_e64 s[20:21], 0, v[24:25]
	v_not_b32_e32 v24, v25
	v_ashrrev_i32_e32 v24, 31, v24
	v_xor_b32_e32 v25, s21, v24
	v_xor_b32_e32 v24, s20, v24
	v_and_b32_e32 v22, v22, v25
	v_and_b32_e32 v38, v38, v24
	v_lshlrev_b32_e32 v25, 28, v35
	v_mov_b32_e32 v24, v23
	v_cmp_gt_i64_e64 s[20:21], 0, v[24:25]
	v_not_b32_e32 v24, v25
	v_ashrrev_i32_e32 v24, 31, v24
	;; [unrolled: 9-line block ×6, first 2 shown]
	v_xor_b32_e32 v25, s21, v24
	v_xor_b32_e32 v24, s20, v24
	v_and_b32_e32 v24, v38, v24
	v_and_b32_e32 v25, v22, v25
	v_mbcnt_lo_u32_b32 v22, v24, 0
	v_mbcnt_hi_u32_b32 v35, v25, v22
	v_cmp_eq_u32_e64 s[20:21], 0, v35
	v_cmp_ne_u64_e64 s[22:23], 0, v[24:25]
	s_and_b64 s[22:23], s[22:23], s[20:21]
	; wave barrier
	s_and_saveexec_b64 s[20:21], s[22:23]
	s_cbranch_execz .LBB119_27
; %bb.26:
	v_bcnt_u32_b32 v22, v24, 0
	v_bcnt_u32_b32 v22, v25, v22
	s_waitcnt lgkmcnt(0)
	v_add_u32_e32 v22, v33, v22
	ds_write_b32 v37, v22 offset:64
.LBB119_27:
	s_or_b64 exec, exec, s[20:21]
	v_cmp_lt_i64_e64 s[20:21], -1, v[12:13]
	v_ashrrev_i32_e32 v24, 31, v13
	v_xor_b32_e32 v12, v24, v12
	v_cndmask_b32_e64 v22, -1, v36, s[20:21]
	v_xor_b32_e32 v13, v22, v13
	v_cmp_ne_u64_e64 s[20:21], s[24:25], v[12:13]
	; wave barrier
	s_nop 1
	v_cndmask_b32_e64 v25, v36, v13, s[20:21]
	v_cndmask_b32_e64 v24, 0, v12, s[20:21]
	v_lshrrev_b64 v[24:25], s52, v[24:25]
	v_and_b32_e32 v38, s57, v24
	v_mul_lo_u32 v22, v38, s26
	v_lshl_add_u32 v41, v39, 2, v22
	v_and_b32_e32 v22, 1, v38
	v_lshl_add_u64 v[24:25], v[22:23], 0, -1
	v_cmp_ne_u32_e64 s[20:21], 0, v22
	ds_read_b32 v36, v41 offset:64
	s_nop 0
	v_xor_b32_e32 v24, s20, v24
	v_xor_b32_e32 v22, s21, v25
	v_and_b32_e32 v40, exec_lo, v24
	v_lshlrev_b32_e32 v25, 30, v38
	v_mov_b32_e32 v24, v23
	v_cmp_gt_i64_e64 s[20:21], 0, v[24:25]
	v_not_b32_e32 v24, v25
	v_ashrrev_i32_e32 v24, 31, v24
	v_and_b32_e32 v22, exec_hi, v22
	v_xor_b32_e32 v25, s21, v24
	v_xor_b32_e32 v24, s20, v24
	v_and_b32_e32 v22, v22, v25
	v_and_b32_e32 v40, v40, v24
	v_lshlrev_b32_e32 v25, 29, v38
	v_mov_b32_e32 v24, v23
	v_cmp_gt_i64_e64 s[20:21], 0, v[24:25]
	v_not_b32_e32 v24, v25
	v_ashrrev_i32_e32 v24, 31, v24
	v_xor_b32_e32 v25, s21, v24
	v_xor_b32_e32 v24, s20, v24
	v_and_b32_e32 v22, v22, v25
	v_and_b32_e32 v40, v40, v24
	v_lshlrev_b32_e32 v25, 28, v38
	v_mov_b32_e32 v24, v23
	v_cmp_gt_i64_e64 s[20:21], 0, v[24:25]
	v_not_b32_e32 v24, v25
	v_ashrrev_i32_e32 v24, 31, v24
	;; [unrolled: 9-line block ×5, first 2 shown]
	v_xor_b32_e32 v25, s21, v24
	v_xor_b32_e32 v24, s20, v24
	v_and_b32_e32 v22, v22, v25
	v_lshlrev_b32_e32 v25, 24, v38
	v_and_b32_e32 v40, v40, v24
	v_mov_b32_e32 v24, v23
	v_not_b32_e32 v23, v25
	v_cmp_gt_i64_e64 s[20:21], 0, v[24:25]
	v_ashrrev_i32_e32 v23, 31, v23
	; wave barrier
	s_nop 0
	v_xor_b32_e32 v24, s21, v23
	v_xor_b32_e32 v25, s20, v23
	v_and_b32_e32 v23, v22, v24
	v_and_b32_e32 v22, v40, v25
	v_mbcnt_lo_u32_b32 v24, v22, 0
	v_mbcnt_hi_u32_b32 v38, v23, v24
	v_cmp_eq_u32_e64 s[20:21], 0, v38
	v_cmp_ne_u64_e64 s[22:23], 0, v[22:23]
	s_and_b64 s[22:23], s[22:23], s[20:21]
	s_and_saveexec_b64 s[20:21], s[22:23]
	s_cbranch_execz .LBB119_29
; %bb.28:
	v_bcnt_u32_b32 v22, v22, 0
	v_bcnt_u32_b32 v22, v23, v22
	s_waitcnt lgkmcnt(0)
	v_add_u32_e32 v22, v36, v22
	ds_write_b32 v41, v22 offset:64
.LBB119_29:
	s_or_b64 exec, exec, s[20:21]
	v_bfrev_b32_e32 v43, 1
	v_cmp_lt_i64_e64 s[20:21], -1, v[16:17]
	v_ashrrev_i32_e32 v23, 31, v17
	v_xor_b32_e32 v16, v23, v16
	v_cndmask_b32_e64 v22, -1, v43, s[20:21]
	v_xor_b32_e32 v17, v22, v17
	v_cmp_ne_u64_e64 s[20:21], s[24:25], v[16:17]
	; wave barrier
	s_nop 1
	v_cndmask_b32_e64 v23, v43, v17, s[20:21]
	v_cndmask_b32_e64 v22, 0, v16, s[20:21]
	v_lshrrev_b64 v[22:23], s52, v[22:23]
	v_and_b32_e32 v42, s57, v22
	v_mul_lo_u32 v22, v42, s26
	v_lshl_add_u32 v44, v39, 2, v22
	v_and_b32_e32 v22, 1, v42
	v_mov_b32_e32 v23, 0
	v_lshl_add_u64 v[24:25], v[22:23], 0, -1
	v_cmp_ne_u32_e64 s[20:21], 0, v22
	ds_read_b32 v40, v44 offset:64
	s_nop 0
	v_xor_b32_e32 v24, s20, v24
	v_xor_b32_e32 v22, s21, v25
	v_and_b32_e32 v45, exec_lo, v24
	v_lshlrev_b32_e32 v25, 30, v42
	v_mov_b32_e32 v24, v23
	v_cmp_gt_i64_e64 s[20:21], 0, v[24:25]
	v_not_b32_e32 v24, v25
	v_ashrrev_i32_e32 v24, 31, v24
	v_and_b32_e32 v22, exec_hi, v22
	v_xor_b32_e32 v25, s21, v24
	v_xor_b32_e32 v24, s20, v24
	v_and_b32_e32 v22, v22, v25
	v_and_b32_e32 v45, v45, v24
	v_lshlrev_b32_e32 v25, 29, v42
	v_mov_b32_e32 v24, v23
	v_cmp_gt_i64_e64 s[20:21], 0, v[24:25]
	v_not_b32_e32 v24, v25
	v_ashrrev_i32_e32 v24, 31, v24
	v_xor_b32_e32 v25, s21, v24
	v_xor_b32_e32 v24, s20, v24
	v_and_b32_e32 v22, v22, v25
	v_and_b32_e32 v45, v45, v24
	v_lshlrev_b32_e32 v25, 28, v42
	v_mov_b32_e32 v24, v23
	v_cmp_gt_i64_e64 s[20:21], 0, v[24:25]
	v_not_b32_e32 v24, v25
	v_ashrrev_i32_e32 v24, 31, v24
	v_xor_b32_e32 v25, s21, v24
	v_xor_b32_e32 v24, s20, v24
	v_and_b32_e32 v22, v22, v25
	v_and_b32_e32 v45, v45, v24
	v_lshlrev_b32_e32 v25, 27, v42
	v_mov_b32_e32 v24, v23
	v_cmp_gt_i64_e64 s[20:21], 0, v[24:25]
	v_not_b32_e32 v24, v25
	v_ashrrev_i32_e32 v24, 31, v24
	v_xor_b32_e32 v25, s21, v24
	v_xor_b32_e32 v24, s20, v24
	v_and_b32_e32 v22, v22, v25
	v_and_b32_e32 v45, v45, v24
	v_lshlrev_b32_e32 v25, 26, v42
	v_mov_b32_e32 v24, v23
	v_cmp_gt_i64_e64 s[20:21], 0, v[24:25]
	v_not_b32_e32 v24, v25
	v_ashrrev_i32_e32 v24, 31, v24
	v_xor_b32_e32 v25, s21, v24
	v_xor_b32_e32 v24, s20, v24
	v_and_b32_e32 v22, v22, v25
	v_and_b32_e32 v45, v45, v24
	v_lshlrev_b32_e32 v25, 25, v42
	v_mov_b32_e32 v24, v23
	v_cmp_gt_i64_e64 s[20:21], 0, v[24:25]
	v_not_b32_e32 v24, v25
	v_ashrrev_i32_e32 v24, 31, v24
	v_xor_b32_e32 v25, s21, v24
	v_xor_b32_e32 v24, s20, v24
	v_and_b32_e32 v22, v22, v25
	v_and_b32_e32 v45, v45, v24
	v_lshlrev_b32_e32 v25, 24, v42
	v_mov_b32_e32 v24, v23
	v_cmp_gt_i64_e64 s[20:21], 0, v[24:25]
	v_not_b32_e32 v24, v25
	v_ashrrev_i32_e32 v24, 31, v24
	v_xor_b32_e32 v25, s21, v24
	v_xor_b32_e32 v24, s20, v24
	v_and_b32_e32 v24, v45, v24
	v_and_b32_e32 v25, v22, v25
	v_mbcnt_lo_u32_b32 v22, v24, 0
	v_mbcnt_hi_u32_b32 v42, v25, v22
	v_cmp_eq_u32_e64 s[20:21], 0, v42
	v_cmp_ne_u64_e64 s[22:23], 0, v[24:25]
	s_and_b64 s[22:23], s[22:23], s[20:21]
	; wave barrier
	s_and_saveexec_b64 s[20:21], s[22:23]
	s_cbranch_execz .LBB119_31
; %bb.30:
	v_bcnt_u32_b32 v22, v24, 0
	v_bcnt_u32_b32 v22, v25, v22
	s_waitcnt lgkmcnt(0)
	v_add_u32_e32 v22, v40, v22
	ds_write_b32 v44, v22 offset:64
.LBB119_31:
	s_or_b64 exec, exec, s[20:21]
	v_cmp_lt_i64_e64 s[20:21], -1, v[18:19]
	v_ashrrev_i32_e32 v24, 31, v19
	v_xor_b32_e32 v18, v24, v18
	v_cndmask_b32_e64 v22, -1, v43, s[20:21]
	v_xor_b32_e32 v19, v22, v19
	v_cmp_ne_u64_e64 s[20:21], s[24:25], v[18:19]
	; wave barrier
	s_nop 1
	v_cndmask_b32_e64 v25, v43, v19, s[20:21]
	v_cndmask_b32_e64 v24, 0, v18, s[20:21]
	v_lshrrev_b64 v[24:25], s52, v[24:25]
	v_and_b32_e32 v45, s57, v24
	v_mul_lo_u32 v22, v45, s26
	v_lshl_add_u32 v47, v39, 2, v22
	v_and_b32_e32 v22, 1, v45
	v_lshl_add_u64 v[24:25], v[22:23], 0, -1
	v_cmp_ne_u32_e64 s[20:21], 0, v22
	ds_read_b32 v43, v47 offset:64
	s_nop 0
	v_xor_b32_e32 v24, s20, v24
	v_xor_b32_e32 v22, s21, v25
	v_and_b32_e32 v46, exec_lo, v24
	v_lshlrev_b32_e32 v25, 30, v45
	v_mov_b32_e32 v24, v23
	v_cmp_gt_i64_e64 s[20:21], 0, v[24:25]
	v_not_b32_e32 v24, v25
	v_ashrrev_i32_e32 v24, 31, v24
	v_and_b32_e32 v22, exec_hi, v22
	v_xor_b32_e32 v25, s21, v24
	v_xor_b32_e32 v24, s20, v24
	v_and_b32_e32 v22, v22, v25
	v_and_b32_e32 v46, v46, v24
	v_lshlrev_b32_e32 v25, 29, v45
	v_mov_b32_e32 v24, v23
	v_cmp_gt_i64_e64 s[20:21], 0, v[24:25]
	v_not_b32_e32 v24, v25
	v_ashrrev_i32_e32 v24, 31, v24
	v_xor_b32_e32 v25, s21, v24
	v_xor_b32_e32 v24, s20, v24
	v_and_b32_e32 v22, v22, v25
	v_and_b32_e32 v46, v46, v24
	v_lshlrev_b32_e32 v25, 28, v45
	v_mov_b32_e32 v24, v23
	v_cmp_gt_i64_e64 s[20:21], 0, v[24:25]
	v_not_b32_e32 v24, v25
	v_ashrrev_i32_e32 v24, 31, v24
	v_xor_b32_e32 v25, s21, v24
	v_xor_b32_e32 v24, s20, v24
	v_and_b32_e32 v22, v22, v25
	v_and_b32_e32 v46, v46, v24
	v_lshlrev_b32_e32 v25, 27, v45
	v_mov_b32_e32 v24, v23
	v_cmp_gt_i64_e64 s[20:21], 0, v[24:25]
	v_not_b32_e32 v24, v25
	v_ashrrev_i32_e32 v24, 31, v24
	v_xor_b32_e32 v25, s21, v24
	v_xor_b32_e32 v24, s20, v24
	v_and_b32_e32 v22, v22, v25
	v_and_b32_e32 v46, v46, v24
	v_lshlrev_b32_e32 v25, 26, v45
	v_mov_b32_e32 v24, v23
	v_cmp_gt_i64_e64 s[20:21], 0, v[24:25]
	v_not_b32_e32 v24, v25
	v_ashrrev_i32_e32 v24, 31, v24
	v_xor_b32_e32 v25, s21, v24
	v_xor_b32_e32 v24, s20, v24
	v_and_b32_e32 v22, v22, v25
	v_and_b32_e32 v46, v46, v24
	v_lshlrev_b32_e32 v25, 25, v45
	v_mov_b32_e32 v24, v23
	v_cmp_gt_i64_e64 s[20:21], 0, v[24:25]
	v_not_b32_e32 v24, v25
	v_ashrrev_i32_e32 v24, 31, v24
	v_xor_b32_e32 v25, s21, v24
	v_xor_b32_e32 v24, s20, v24
	v_and_b32_e32 v22, v22, v25
	v_lshlrev_b32_e32 v25, 24, v45
	v_and_b32_e32 v46, v46, v24
	v_mov_b32_e32 v24, v23
	v_not_b32_e32 v23, v25
	v_cmp_gt_i64_e64 s[20:21], 0, v[24:25]
	v_ashrrev_i32_e32 v23, 31, v23
	; wave barrier
	s_nop 0
	v_xor_b32_e32 v24, s21, v23
	v_xor_b32_e32 v25, s20, v23
	v_and_b32_e32 v23, v22, v24
	v_and_b32_e32 v22, v46, v25
	v_mbcnt_lo_u32_b32 v24, v22, 0
	v_mbcnt_hi_u32_b32 v45, v23, v24
	v_cmp_eq_u32_e64 s[20:21], 0, v45
	v_cmp_ne_u64_e64 s[22:23], 0, v[22:23]
	s_and_b64 s[22:23], s[22:23], s[20:21]
	s_and_saveexec_b64 s[20:21], s[22:23]
	s_cbranch_execz .LBB119_33
; %bb.32:
	v_bcnt_u32_b32 v22, v22, 0
	v_bcnt_u32_b32 v22, v23, v22
	s_waitcnt lgkmcnt(0)
	v_add_u32_e32 v22, v43, v22
	ds_write_b32 v47, v22 offset:64
.LBB119_33:
	s_or_b64 exec, exec, s[20:21]
	v_bfrev_b32_e32 v49, 1
	v_cmp_lt_i64_e64 s[20:21], -1, v[20:21]
	v_ashrrev_i32_e32 v23, 31, v21
	v_xor_b32_e32 v20, v23, v20
	v_cndmask_b32_e64 v22, -1, v49, s[20:21]
	v_xor_b32_e32 v21, v22, v21
	v_cmp_ne_u64_e64 s[20:21], s[24:25], v[20:21]
	s_movk_i32 s24, 0x44
	s_nop 0
	v_cndmask_b32_e64 v23, v49, v21, s[20:21]
	v_cndmask_b32_e64 v22, 0, v20, s[20:21]
	v_lshrrev_b64 v[22:23], s52, v[22:23]
	v_and_b32_e32 v48, s57, v22
	v_mul_lo_u32 v22, v48, s24
	v_lshl_add_u32 v50, v39, 2, v22
	v_and_b32_e32 v22, 1, v48
	v_mov_b32_e32 v23, 0
	v_lshl_add_u64 v[24:25], v[22:23], 0, -1
	v_cmp_ne_u32_e64 s[20:21], 0, v22
	; wave barrier
	ds_read_b32 v46, v50 offset:64
	s_nop 0
	v_xor_b32_e32 v24, s20, v24
	v_xor_b32_e32 v22, s21, v25
	v_and_b32_e32 v51, exec_lo, v24
	v_lshlrev_b32_e32 v25, 30, v48
	v_mov_b32_e32 v24, v23
	v_cmp_gt_i64_e64 s[20:21], 0, v[24:25]
	v_not_b32_e32 v24, v25
	v_ashrrev_i32_e32 v24, 31, v24
	v_and_b32_e32 v22, exec_hi, v22
	v_xor_b32_e32 v25, s21, v24
	v_xor_b32_e32 v24, s20, v24
	v_and_b32_e32 v22, v22, v25
	v_and_b32_e32 v51, v51, v24
	v_lshlrev_b32_e32 v25, 29, v48
	v_mov_b32_e32 v24, v23
	v_cmp_gt_i64_e64 s[20:21], 0, v[24:25]
	v_not_b32_e32 v24, v25
	v_ashrrev_i32_e32 v24, 31, v24
	v_xor_b32_e32 v25, s21, v24
	v_xor_b32_e32 v24, s20, v24
	v_and_b32_e32 v22, v22, v25
	v_and_b32_e32 v51, v51, v24
	v_lshlrev_b32_e32 v25, 28, v48
	v_mov_b32_e32 v24, v23
	v_cmp_gt_i64_e64 s[20:21], 0, v[24:25]
	v_not_b32_e32 v24, v25
	v_ashrrev_i32_e32 v24, 31, v24
	;; [unrolled: 9-line block ×6, first 2 shown]
	v_xor_b32_e32 v25, s21, v24
	v_xor_b32_e32 v24, s20, v24
	v_and_b32_e32 v24, v51, v24
	v_and_b32_e32 v25, v22, v25
	v_mbcnt_lo_u32_b32 v22, v24, 0
	v_mbcnt_hi_u32_b32 v48, v25, v22
	v_cmp_eq_u32_e64 s[20:21], 0, v48
	v_cmp_ne_u64_e64 s[22:23], 0, v[24:25]
	s_and_b64 s[22:23], s[22:23], s[20:21]
	; wave barrier
	s_and_saveexec_b64 s[20:21], s[22:23]
	s_cbranch_execz .LBB119_35
; %bb.34:
	v_bcnt_u32_b32 v22, v24, 0
	v_bcnt_u32_b32 v22, v25, v22
	s_waitcnt lgkmcnt(0)
	v_add_u32_e32 v22, v46, v22
	ds_write_b32 v50, v22 offset:64
.LBB119_35:
	s_or_b64 exec, exec, s[20:21]
	v_cmp_lt_i64_e64 s[20:21], -1, v[14:15]
	s_mov_b32 s22, -1
	v_ashrrev_i32_e32 v24, 31, v15
	v_cndmask_b32_e64 v22, -1, v49, s[20:21]
	s_brev_b32 s23, -2
	v_xor_b32_e32 v15, v22, v15
	v_xor_b32_e32 v14, v24, v14
	v_cmp_ne_u64_e64 s[20:21], s[22:23], v[14:15]
	; wave barrier
	s_nop 1
	v_cndmask_b32_e64 v25, v49, v15, s[20:21]
	v_cndmask_b32_e64 v24, 0, v14, s[20:21]
	v_lshrrev_b64 v[24:25], s52, v[24:25]
	v_and_b32_e32 v51, s57, v24
	v_mul_lo_u32 v22, v51, s24
	v_lshl_add_u32 v39, v39, 2, v22
	v_and_b32_e32 v22, 1, v51
	v_lshl_add_u64 v[24:25], v[22:23], 0, -1
	v_cmp_ne_u32_e64 s[20:21], 0, v22
	ds_read_b32 v49, v39 offset:64
	s_nop 0
	v_xor_b32_e32 v24, s20, v24
	v_xor_b32_e32 v22, s21, v25
	v_and_b32_e32 v52, exec_lo, v24
	v_lshlrev_b32_e32 v25, 30, v51
	v_mov_b32_e32 v24, v23
	v_cmp_gt_i64_e64 s[20:21], 0, v[24:25]
	v_not_b32_e32 v24, v25
	v_ashrrev_i32_e32 v24, 31, v24
	v_and_b32_e32 v22, exec_hi, v22
	v_xor_b32_e32 v25, s21, v24
	v_xor_b32_e32 v24, s20, v24
	v_and_b32_e32 v22, v22, v25
	v_and_b32_e32 v52, v52, v24
	v_lshlrev_b32_e32 v25, 29, v51
	v_mov_b32_e32 v24, v23
	v_cmp_gt_i64_e64 s[20:21], 0, v[24:25]
	v_not_b32_e32 v24, v25
	v_ashrrev_i32_e32 v24, 31, v24
	v_xor_b32_e32 v25, s21, v24
	v_xor_b32_e32 v24, s20, v24
	v_and_b32_e32 v22, v22, v25
	v_and_b32_e32 v52, v52, v24
	v_lshlrev_b32_e32 v25, 28, v51
	v_mov_b32_e32 v24, v23
	v_cmp_gt_i64_e64 s[20:21], 0, v[24:25]
	v_not_b32_e32 v24, v25
	v_ashrrev_i32_e32 v24, 31, v24
	;; [unrolled: 9-line block ×5, first 2 shown]
	v_xor_b32_e32 v25, s21, v24
	v_xor_b32_e32 v24, s20, v24
	v_and_b32_e32 v22, v22, v25
	v_lshlrev_b32_e32 v25, 24, v51
	v_and_b32_e32 v52, v52, v24
	v_mov_b32_e32 v24, v23
	v_not_b32_e32 v23, v25
	v_cmp_gt_i64_e64 s[20:21], 0, v[24:25]
	v_ashrrev_i32_e32 v23, 31, v23
	; wave barrier
	s_nop 0
	v_xor_b32_e32 v24, s21, v23
	v_xor_b32_e32 v25, s20, v23
	v_and_b32_e32 v23, v22, v24
	v_and_b32_e32 v22, v52, v25
	v_mbcnt_lo_u32_b32 v24, v22, 0
	v_mbcnt_hi_u32_b32 v51, v23, v24
	v_cmp_eq_u32_e64 s[20:21], 0, v51
	v_cmp_ne_u64_e64 s[22:23], 0, v[22:23]
	s_and_b64 s[22:23], s[22:23], s[20:21]
	s_and_saveexec_b64 s[20:21], s[22:23]
	s_cbranch_execz .LBB119_37
; %bb.36:
	v_bcnt_u32_b32 v22, v22, 0
	v_bcnt_u32_b32 v22, v23, v22
	s_waitcnt lgkmcnt(0)
	v_add_u32_e32 v22, v49, v22
	ds_write_b32 v39, v22 offset:64
.LBB119_37:
	s_or_b64 exec, exec, s[20:21]
	; wave barrier
	s_waitcnt lgkmcnt(0)
	s_barrier
	ds_read2_b32 v[24:25], v1 offset0:16 offset1:17
	ds_read2_b32 v[22:23], v1 offset0:18 offset1:19
	ds_read_b32 v52, v1 offset:80
	v_cmp_lt_u32_e64 s[30:31], 31, v26
	s_waitcnt lgkmcnt(1)
	v_add3_u32 v53, v25, v24, v22
	s_waitcnt lgkmcnt(0)
	v_add3_u32 v52, v53, v23, v52
	v_and_b32_e32 v53, 15, v26
	v_cmp_eq_u32_e64 s[20:21], 0, v53
	v_mov_b32_dpp v54, v52 row_shr:1 row_mask:0xf bank_mask:0xf
	v_cmp_lt_u32_e64 s[22:23], 1, v53
	v_cndmask_b32_e64 v54, v54, 0, s[20:21]
	v_add_u32_e32 v52, v54, v52
	v_cmp_lt_u32_e64 s[24:25], 3, v53
	v_cmp_lt_u32_e64 s[26:27], 7, v53
	v_mov_b32_dpp v54, v52 row_shr:2 row_mask:0xf bank_mask:0xf
	v_cndmask_b32_e64 v54, 0, v54, s[22:23]
	v_add_u32_e32 v52, v52, v54
	s_nop 1
	v_mov_b32_dpp v54, v52 row_shr:4 row_mask:0xf bank_mask:0xf
	v_cndmask_b32_e64 v54, 0, v54, s[24:25]
	v_add_u32_e32 v52, v52, v54
	s_nop 1
	v_mov_b32_dpp v54, v52 row_shr:8 row_mask:0xf bank_mask:0xf
	v_cndmask_b32_e64 v53, 0, v54, s[26:27]
	v_add_u32_e32 v52, v52, v53
	v_bfe_i32 v54, v26, 4, 1
	s_nop 0
	v_mov_b32_dpp v53, v52 row_bcast:15 row_mask:0xf bank_mask:0xf
	v_and_b32_e32 v53, v54, v53
	v_add_u32_e32 v52, v52, v53
	v_and_b32_e32 v54, 63, v2
	s_nop 0
	v_mov_b32_dpp v53, v52 row_bcast:31 row_mask:0xf bank_mask:0xf
	v_cndmask_b32_e64 v53, 0, v53, s[30:31]
	v_add_u32_e32 v52, v52, v53
	v_lshrrev_b32_e32 v53, 6, v2
	v_cmp_eq_u32_e64 s[30:31], 63, v54
	s_and_saveexec_b64 s[34:35], s[30:31]
; %bb.38:
	v_lshlrev_b32_e32 v54, 2, v53
	ds_write_b32 v54, v52
; %bb.39:
	s_or_b64 exec, exec, s[34:35]
	v_cmp_gt_u32_e64 s[30:31], 16, v2
	s_waitcnt lgkmcnt(0)
	s_barrier
	s_and_saveexec_b64 s[34:35], s[30:31]
	s_cbranch_execz .LBB119_41
; %bb.40:
	v_lshlrev_b32_e32 v54, 2, v2
	ds_read_b32 v55, v54
	s_waitcnt lgkmcnt(0)
	s_nop 0
	v_mov_b32_dpp v56, v55 row_shr:1 row_mask:0xf bank_mask:0xf
	v_cndmask_b32_e64 v56, v56, 0, s[20:21]
	v_add_u32_e32 v55, v56, v55
	s_nop 1
	v_mov_b32_dpp v56, v55 row_shr:2 row_mask:0xf bank_mask:0xf
	v_cndmask_b32_e64 v56, 0, v56, s[22:23]
	v_add_u32_e32 v55, v55, v56
	;; [unrolled: 4-line block ×4, first 2 shown]
	ds_write_b32 v54, v55
.LBB119_41:
	s_or_b64 exec, exec, s[34:35]
	v_cmp_lt_u32_e64 s[20:21], 63, v2
	v_mov_b32_e32 v54, 0
	s_waitcnt lgkmcnt(0)
	s_barrier
	s_and_saveexec_b64 s[22:23], s[20:21]
; %bb.42:
	v_lshl_add_u32 v53, v53, 2, -4
	ds_read_b32 v54, v53
; %bb.43:
	s_or_b64 exec, exec, s[22:23]
	v_subrev_co_u32_e64 v53, s[20:21], 1, v26
	v_and_b32_e32 v55, 64, v26
	v_cmp_lt_i32_e64 s[22:23], v53, v55
	s_waitcnt lgkmcnt(0)
	v_add_u32_e32 v52, v54, v52
	s_movk_i32 s24, 0x100
	v_cndmask_b32_e64 v26, v53, v26, s[22:23]
	v_lshlrev_b32_e32 v26, 2, v26
	ds_bpermute_b32 v26, v26, v52
	v_cmp_gt_u32_e64 s[22:23], s24, v2
	s_waitcnt lgkmcnt(0)
	v_cndmask_b32_e64 v26, v26, v54, s[20:21]
	v_cndmask_b32_e64 v26, v26, 0, s[18:19]
	v_add_u32_e32 v24, v26, v24
	v_add_u32_e32 v25, v24, v25
	;; [unrolled: 1-line block ×4, first 2 shown]
	ds_write2_b32 v1, v26, v24 offset0:16 offset1:17
	ds_write2_b32 v1, v25, v22 offset0:18 offset1:19
	ds_write_b32 v1, v23 offset:80
	s_waitcnt lgkmcnt(0)
	s_barrier
	ds_read_b32 v55, v27 offset:64
	ds_read_b32 v1, v34 offset:64
	;; [unrolled: 1-line block ×8, first 2 shown]
	s_movk_i32 s20, 0xff
	v_cmp_lt_u32_e64 s[20:21], s20, v2
                                        ; implicit-def: $vgpr34
                                        ; implicit-def: $vgpr37
	s_and_saveexec_b64 s[26:27], s[22:23]
	s_cbranch_execz .LBB119_47
; %bb.44:
	v_mul_u32_u24_e32 v22, 0x44, v2
	ds_read_b32 v34, v22 offset:64
	v_add_u32_e32 v23, 1, v2
	v_cmp_ne_u32_e64 s[24:25], s24, v23
	v_mov_b32_e32 v22, 0x2000
	s_and_saveexec_b64 s[30:31], s[24:25]
; %bb.45:
	v_mul_u32_u24_e32 v22, 0x44, v23
	ds_read_b32 v22, v22 offset:64
; %bb.46:
	s_or_b64 exec, exec, s[30:31]
	s_waitcnt lgkmcnt(0)
	v_sub_u32_e32 v37, v22, v34
.LBB119_47:
	s_or_b64 exec, exec, s[26:27]
	v_mov_b32_e32 v23, 0
	v_lshlrev_b32_e32 v39, 2, v2
	s_waitcnt lgkmcnt(0)
	s_barrier
	s_and_saveexec_b64 s[24:25], s[22:23]
	s_cbranch_execz .LBB119_57
; %bb.48:
	v_lshl_add_u32 v22, s33, 8, v2
	v_lshl_add_u64 v[24:25], v[22:23], 2, s[38:39]
	v_or_b32_e32 v22, 2.0, v37
	s_mov_b64 s[26:27], 0
	s_brev_b32 s36, -4
	s_mov_b32 s37, s33
	v_mov_b32_e32 v50, 0
	global_store_dword v[24:25], v22, off sc1
                                        ; implicit-def: $sgpr22_sgpr23
	s_branch .LBB119_51
.LBB119_49:                             ;   in Loop: Header=BB119_51 Depth=1
	s_or_b64 exec, exec, s[34:35]
.LBB119_50:                             ;   in Loop: Header=BB119_51 Depth=1
	s_or_b64 exec, exec, s[30:31]
	v_and_b32_e32 v26, 0x3fffffff, v22
	v_add_u32_e32 v50, v26, v50
	v_cmp_gt_i32_e64 s[22:23], -2.0, v22
	s_and_b64 s[30:31], exec, s[22:23]
	s_or_b64 s[26:27], s[30:31], s[26:27]
	s_andn2_b64 exec, exec, s[26:27]
	s_cbranch_execz .LBB119_56
.LBB119_51:                             ; =>This Loop Header: Depth=1
                                        ;     Child Loop BB119_54 Depth 2
	s_or_b64 s[22:23], s[22:23], exec
	s_cmp_eq_u32 s37, 0
	s_cbranch_scc1 .LBB119_55
; %bb.52:                               ;   in Loop: Header=BB119_51 Depth=1
	s_add_i32 s37, s37, -1
	v_lshl_or_b32 v22, s37, 8, v2
	v_lshl_add_u64 v[26:27], v[22:23], 2, s[38:39]
	global_load_dword v22, v[26:27], off sc1
	s_waitcnt vmcnt(0)
	v_cmp_gt_u32_e64 s[22:23], 2.0, v22
	s_and_saveexec_b64 s[30:31], s[22:23]
	s_cbranch_execz .LBB119_50
; %bb.53:                               ;   in Loop: Header=BB119_51 Depth=1
	s_mov_b64 s[34:35], 0
.LBB119_54:                             ;   Parent Loop BB119_51 Depth=1
                                        ; =>  This Inner Loop Header: Depth=2
	global_load_dword v22, v[26:27], off sc1
	s_waitcnt vmcnt(0)
	v_cmp_lt_u32_e64 s[22:23], s36, v22
	s_or_b64 s[34:35], s[22:23], s[34:35]
	s_andn2_b64 exec, exec, s[34:35]
	s_cbranch_execnz .LBB119_54
	s_branch .LBB119_49
.LBB119_55:                             ;   in Loop: Header=BB119_51 Depth=1
                                        ; implicit-def: $sgpr37
	s_and_b64 s[30:31], exec, s[22:23]
	s_or_b64 s[26:27], s[30:31], s[26:27]
	s_andn2_b64 exec, exec, s[26:27]
	s_cbranch_execnz .LBB119_51
.LBB119_56:
	s_or_b64 exec, exec, s[26:27]
	v_add_u32_e32 v22, v50, v37
	v_or_b32_e32 v22, 0x80000000, v22
	global_store_dword v[24:25], v22, off sc1
	global_load_dword v22, v39, s[48:49]
	v_sub_u32_e32 v23, v50, v34
	s_waitcnt vmcnt(0)
	v_add_u32_e32 v22, v23, v22
	ds_write_b32 v39, v22
.LBB119_57:
	s_or_b64 exec, exec, s[24:25]
	s_load_dwordx2 s[22:23], s[0:1], 0x4
	v_add_u32_e32 v24, v55, v5
	v_add3_u32 v5, v32, v31, v1
	v_add3_u32 v22, v35, v33, v52
	;; [unrolled: 1-line block ×3, first 2 shown]
	s_waitcnt lgkmcnt(0)
	s_lshr_b32 s0, s22, 16
	s_mul_i32 s0, s0, s23
	v_mul_lo_u32 v25, s0, v2
	v_mul_u32_u24_e32 v27, s23, v3
	v_add3_u32 v25, v25, v27, v28
	v_mov_b32_e32 v27, 0x5050
	v_add3_u32 v50, v42, v40, v54
	v_add3_u32 v55, v45, v43, v47
	;; [unrolled: 1-line block ×4, first 2 shown]
	v_lshl_add_u32 v25, v25, 5, v27
	v_mov_b32_e32 v57, 0x400
	s_mov_b32 s24, -1
	s_movk_i32 s30, 0x400
	v_lshl_add_u32 v26, v26, 3, v57
	v_add3_u32 v27, v51, v41, v49
	v_lshl_add_u32 v41, v56, 3, v57
	v_add3_u32 v44, v48, v44, v46
	;; [unrolled: 2-line block ×7, first 2 shown]
	v_lshl_add_u32 v32, v24, 3, v57
	s_mov_b32 s31, 0
	s_movk_i32 s34, 0x800
	v_add_u32_e32 v47, v39, v39
	s_brev_b32 s25, -2
	v_mov_b32_e32 v23, 0
	v_bfrev_b32_e32 v1, 1
	v_mov_b32_e32 v5, v2
	v_mov_b32_e32 v48, v25
	s_mov_b32 s35, 0
	s_branch .LBB119_59
.LBB119_58:                             ;   in Loop: Header=BB119_59 Depth=1
	s_or_b64 exec, exec, s[26:27]
	s_addk_i32 s35, 0xc000
	s_addk_i32 s31, 0xf800
	v_add_u32_e32 v48, 8, v48
	s_cmp_eq_u32 s35, 0xffff0000
	v_add_u32_e32 v5, 0x800, v5
	s_waitcnt lgkmcnt(0)
	s_barrier
	s_cbranch_scc1 .LBB119_79
.LBB119_59:                             ; =>This Inner Loop Header: Depth=1
	v_add_u32_e32 v22, s31, v24
	v_cmp_gt_u32_e64 s[0:1], s34, v22
	s_and_saveexec_b64 s[22:23], s[0:1]
; %bb.60:                               ;   in Loop: Header=BB119_59 Depth=1
	v_add_u32_e32 v22, s35, v32
	ds_write_b64 v22, v[6:7]
; %bb.61:                               ;   in Loop: Header=BB119_59 Depth=1
	s_or_b64 exec, exec, s[22:23]
	v_add_u32_e32 v22, s31, v31
	v_cmp_gt_u32_e64 s[0:1], s34, v22
	s_and_saveexec_b64 s[22:23], s[0:1]
; %bb.62:                               ;   in Loop: Header=BB119_59 Depth=1
	v_add_u32_e32 v22, s35, v35
	ds_write_b64 v22, v[8:9]
; %bb.63:                               ;   in Loop: Header=BB119_59 Depth=1
	s_or_b64 exec, exec, s[22:23]
	;; [unrolled: 8-line block ×8, first 2 shown]
	v_cmp_gt_u32_e64 s[0:1], s5, v5
	s_waitcnt lgkmcnt(0)
	s_barrier
	s_and_saveexec_b64 s[26:27], s[0:1]
	s_cbranch_execz .LBB119_77
; %bb.76:                               ;   in Loop: Header=BB119_59 Depth=1
	ds_read_b64 v[50:51], v47 offset:1024
	s_waitcnt lgkmcnt(0)
	v_cmp_ne_u64_e64 s[0:1], s[24:25], v[50:51]
	s_nop 1
	v_cndmask_b32_e64 v53, v1, v51, s[0:1]
	v_cndmask_b32_e64 v52, 0, v50, s[0:1]
	v_lshrrev_b64 v[52:53], s52, v[52:53]
	v_and_b32_e32 v49, s57, v52
	v_lshlrev_b32_e32 v52, 2, v49
	ds_read_b32 v52, v52
	v_cmp_lt_i64_e64 s[22:23], -1, v[50:51]
	v_ashrrev_i32_e32 v53, 31, v51
	v_not_b32_e32 v53, v53
	v_cndmask_b32_e64 v22, v1, -1, s[22:23]
	v_xor_b32_e32 v51, v22, v51
	s_waitcnt lgkmcnt(0)
	v_add_u32_e32 v22, v5, v52
	v_xor_b32_e32 v50, v53, v50
	v_lshl_add_u64 v[52:53], v[22:23], 3, s[42:43]
	global_store_dwordx2 v[52:53], v[50:51], off
	ds_write_b32 v48, v49
.LBB119_77:                             ;   in Loop: Header=BB119_59 Depth=1
	s_or_b64 exec, exec, s[26:27]
	v_add_u32_e32 v22, 0x400, v5
	v_cmp_gt_u32_e64 s[0:1], s5, v22
	s_and_saveexec_b64 s[26:27], s[0:1]
	s_cbranch_execz .LBB119_58
; %bb.78:                               ;   in Loop: Header=BB119_59 Depth=1
	ds_read_b64 v[50:51], v47 offset:9216
	s_waitcnt lgkmcnt(0)
	v_cmp_ne_u64_e64 s[0:1], s[24:25], v[50:51]
	s_nop 1
	v_cndmask_b32_e64 v53, v1, v51, s[0:1]
	v_cndmask_b32_e64 v52, 0, v50, s[0:1]
	v_lshrrev_b64 v[52:53], s52, v[52:53]
	v_and_b32_e32 v49, s57, v52
	v_lshlrev_b32_e32 v52, 2, v49
	ds_read_b32 v52, v52
	v_cmp_lt_i64_e64 s[22:23], -1, v[50:51]
	v_ashrrev_i32_e32 v53, 31, v51
	v_not_b32_e32 v53, v53
	v_cndmask_b32_e64 v22, v1, -1, s[22:23]
	v_xor_b32_e32 v51, v22, v51
	s_waitcnt lgkmcnt(0)
	v_add3_u32 v22, v5, v52, s30
	v_xor_b32_e32 v50, v53, v50
	v_lshl_add_u64 v[52:53], v[22:23], 3, s[42:43]
	global_store_dwordx2 v[52:53], v[50:51], off
	ds_write_b32 v48, v49 offset:4
	s_branch .LBB119_58
.LBB119_79:
	s_add_u32 s0, s44, s54
	s_addc_u32 s1, s45, s55
	v_mov_b32_e32 v1, 0
	v_lshl_add_u64 v[6:7], s[0:1], 0, v[0:1]
	v_mov_b32_e32 v5, v1
	v_lshl_add_u64 v[18:19], v[6:7], 0, v[4:5]
                                        ; implicit-def: $vgpr0_vgpr1
	s_and_saveexec_b64 s[0:1], vcc
	s_cbranch_execz .LBB119_87
; %bb.80:
	global_load_dwordx2 v[0:1], v[18:19], off
	s_or_b64 exec, exec, s[0:1]
                                        ; implicit-def: $vgpr4_vgpr5
	s_and_saveexec_b64 s[0:1], s[28:29]
	s_cbranch_execnz .LBB119_88
.LBB119_81:
	s_or_b64 exec, exec, s[0:1]
                                        ; implicit-def: $vgpr6_vgpr7
	s_and_saveexec_b64 s[0:1], s[6:7]
	s_cbranch_execz .LBB119_89
.LBB119_82:
	global_load_dwordx2 v[6:7], v[18:19], off offset:1024
	s_or_b64 exec, exec, s[0:1]
                                        ; implicit-def: $vgpr8_vgpr9
	s_and_saveexec_b64 s[0:1], s[8:9]
	s_cbranch_execnz .LBB119_90
.LBB119_83:
	s_or_b64 exec, exec, s[0:1]
                                        ; implicit-def: $vgpr10_vgpr11
	s_and_saveexec_b64 s[0:1], s[10:11]
	s_cbranch_execz .LBB119_91
.LBB119_84:
	global_load_dwordx2 v[10:11], v[18:19], off offset:2048
	s_or_b64 exec, exec, s[0:1]
                                        ; implicit-def: $vgpr12_vgpr13
	s_and_saveexec_b64 s[0:1], s[12:13]
	s_cbranch_execnz .LBB119_92
.LBB119_85:
	s_or_b64 exec, exec, s[0:1]
                                        ; implicit-def: $vgpr14_vgpr15
	s_and_saveexec_b64 s[0:1], s[14:15]
	s_cbranch_execz .LBB119_93
.LBB119_86:
	global_load_dwordx2 v[14:15], v[18:19], off offset:3072
	s_or_b64 exec, exec, s[0:1]
                                        ; implicit-def: $vgpr16_vgpr17
	s_and_saveexec_b64 s[0:1], s[16:17]
	s_cbranch_execnz .LBB119_94
	s_branch .LBB119_95
.LBB119_87:
	s_or_b64 exec, exec, s[0:1]
                                        ; implicit-def: $vgpr4_vgpr5
	s_and_saveexec_b64 s[0:1], s[28:29]
	s_cbranch_execz .LBB119_81
.LBB119_88:
	global_load_dwordx2 v[4:5], v[18:19], off offset:512
	s_or_b64 exec, exec, s[0:1]
                                        ; implicit-def: $vgpr6_vgpr7
	s_and_saveexec_b64 s[0:1], s[6:7]
	s_cbranch_execnz .LBB119_82
.LBB119_89:
	s_or_b64 exec, exec, s[0:1]
                                        ; implicit-def: $vgpr8_vgpr9
	s_and_saveexec_b64 s[0:1], s[8:9]
	s_cbranch_execz .LBB119_83
.LBB119_90:
	global_load_dwordx2 v[8:9], v[18:19], off offset:1536
	s_or_b64 exec, exec, s[0:1]
                                        ; implicit-def: $vgpr10_vgpr11
	s_and_saveexec_b64 s[0:1], s[10:11]
	s_cbranch_execnz .LBB119_84
.LBB119_91:
	s_or_b64 exec, exec, s[0:1]
                                        ; implicit-def: $vgpr12_vgpr13
	s_and_saveexec_b64 s[0:1], s[12:13]
	s_cbranch_execz .LBB119_85
.LBB119_92:
	global_load_dwordx2 v[12:13], v[18:19], off offset:2560
	s_or_b64 exec, exec, s[0:1]
                                        ; implicit-def: $vgpr14_vgpr15
	s_and_saveexec_b64 s[0:1], s[14:15]
	s_cbranch_execnz .LBB119_86
.LBB119_93:
	s_or_b64 exec, exec, s[0:1]
                                        ; implicit-def: $vgpr16_vgpr17
	s_and_saveexec_b64 s[0:1], s[16:17]
	s_cbranch_execz .LBB119_95
.LBB119_94:
	global_load_dwordx2 v[16:17], v[18:19], off offset:3584
.LBB119_95:
	s_or_b64 exec, exec, s[0:1]
	s_mov_b32 s6, 0
	s_movk_i32 s7, 0x800
	v_mov_b32_e32 v19, 0
	s_movk_i32 s8, 0x400
	s_mov_b32 s9, 0
	v_mov_b32_e32 v20, v2
	s_waitcnt vmcnt(0)
	s_branch .LBB119_97
.LBB119_96:                             ;   in Loop: Header=BB119_97 Depth=1
	s_or_b64 exec, exec, s[0:1]
	s_addk_i32 s9, 0xc000
	s_addk_i32 s6, 0xf800
	v_add_u32_e32 v20, 0x800, v20
	s_cmp_eq_u32 s9, 0xffff0000
	v_add_u32_e32 v25, 8, v25
	s_barrier
	s_cbranch_scc1 .LBB119_117
.LBB119_97:                             ; =>This Inner Loop Header: Depth=1
	v_add_u32_e32 v18, s6, v24
	v_cmp_gt_u32_e32 vcc, s7, v18
	s_and_saveexec_b64 s[0:1], vcc
; %bb.98:                               ;   in Loop: Header=BB119_97 Depth=1
	v_add_u32_e32 v18, s9, v32
	ds_write_b64 v18, v[0:1]
; %bb.99:                               ;   in Loop: Header=BB119_97 Depth=1
	s_or_b64 exec, exec, s[0:1]
	v_add_u32_e32 v18, s6, v31
	v_cmp_gt_u32_e32 vcc, s7, v18
	s_and_saveexec_b64 s[0:1], vcc
; %bb.100:                              ;   in Loop: Header=BB119_97 Depth=1
	v_add_u32_e32 v18, s9, v35
	ds_write_b64 v18, v[4:5]
; %bb.101:                              ;   in Loop: Header=BB119_97 Depth=1
	s_or_b64 exec, exec, s[0:1]
	v_add_u32_e32 v18, s6, v33
	v_cmp_gt_u32_e32 vcc, s7, v18
	s_and_saveexec_b64 s[0:1], vcc
; %bb.102:                              ;   in Loop: Header=BB119_97 Depth=1
	v_add_u32_e32 v18, s9, v38
	ds_write_b64 v18, v[6:7]
; %bb.103:                              ;   in Loop: Header=BB119_97 Depth=1
	s_or_b64 exec, exec, s[0:1]
	v_add_u32_e32 v18, s6, v36
	v_cmp_gt_u32_e32 vcc, s7, v18
	s_and_saveexec_b64 s[0:1], vcc
; %bb.104:                              ;   in Loop: Header=BB119_97 Depth=1
	v_add_u32_e32 v18, s9, v42
	ds_write_b64 v18, v[8:9]
; %bb.105:                              ;   in Loop: Header=BB119_97 Depth=1
	s_or_b64 exec, exec, s[0:1]
	v_add_u32_e32 v18, s6, v40
	v_cmp_gt_u32_e32 vcc, s7, v18
	s_and_saveexec_b64 s[0:1], vcc
; %bb.106:                              ;   in Loop: Header=BB119_97 Depth=1
	v_add_u32_e32 v18, s9, v45
	ds_write_b64 v18, v[10:11]
; %bb.107:                              ;   in Loop: Header=BB119_97 Depth=1
	s_or_b64 exec, exec, s[0:1]
	v_add_u32_e32 v18, s6, v43
	v_cmp_gt_u32_e32 vcc, s7, v18
	s_and_saveexec_b64 s[0:1], vcc
; %bb.108:                              ;   in Loop: Header=BB119_97 Depth=1
	v_add_u32_e32 v18, s9, v46
	ds_write_b64 v18, v[12:13]
; %bb.109:                              ;   in Loop: Header=BB119_97 Depth=1
	s_or_b64 exec, exec, s[0:1]
	v_add_u32_e32 v18, s6, v44
	v_cmp_gt_u32_e32 vcc, s7, v18
	s_and_saveexec_b64 s[0:1], vcc
; %bb.110:                              ;   in Loop: Header=BB119_97 Depth=1
	v_add_u32_e32 v18, s9, v41
	ds_write_b64 v18, v[14:15]
; %bb.111:                              ;   in Loop: Header=BB119_97 Depth=1
	s_or_b64 exec, exec, s[0:1]
	v_add_u32_e32 v18, s6, v27
	v_cmp_gt_u32_e32 vcc, s7, v18
	s_and_saveexec_b64 s[0:1], vcc
; %bb.112:                              ;   in Loop: Header=BB119_97 Depth=1
	v_add_u32_e32 v18, s9, v26
	ds_write_b64 v18, v[16:17]
; %bb.113:                              ;   in Loop: Header=BB119_97 Depth=1
	s_or_b64 exec, exec, s[0:1]
	v_cmp_gt_u32_e32 vcc, s5, v20
	s_waitcnt lgkmcnt(0)
	s_barrier
	s_and_saveexec_b64 s[0:1], vcc
	s_cbranch_execz .LBB119_115
; %bb.114:                              ;   in Loop: Header=BB119_97 Depth=1
	ds_read_b32 v18, v25
	s_waitcnt lgkmcnt(0)
	v_lshlrev_b32_e32 v18, 2, v18
	ds_read_b32 v18, v18
	ds_read_b64 v[22:23], v47 offset:1024
	s_waitcnt lgkmcnt(1)
	v_add_u32_e32 v18, v20, v18
	v_lshl_add_u64 v[48:49], v[18:19], 3, s[46:47]
	s_waitcnt lgkmcnt(0)
	global_store_dwordx2 v[48:49], v[22:23], off
.LBB119_115:                            ;   in Loop: Header=BB119_97 Depth=1
	s_or_b64 exec, exec, s[0:1]
	v_add_u32_e32 v18, 0x400, v20
	v_cmp_gt_u32_e32 vcc, s5, v18
	s_and_saveexec_b64 s[0:1], vcc
	s_cbranch_execz .LBB119_96
; %bb.116:                              ;   in Loop: Header=BB119_97 Depth=1
	ds_read_b32 v18, v25 offset:4
	s_waitcnt lgkmcnt(0)
	v_lshlrev_b32_e32 v18, 2, v18
	ds_read_b32 v18, v18
	ds_read_b64 v[22:23], v47 offset:9216
	s_waitcnt lgkmcnt(1)
	v_add3_u32 v18, v20, v18, s8
	v_lshl_add_u64 v[48:49], v[18:19], 3, s[46:47]
	s_waitcnt lgkmcnt(0)
	global_store_dwordx2 v[48:49], v[22:23], off
	s_branch .LBB119_96
.LBB119_117:
	s_add_i32 s56, s56, -1
	s_cmp_eq_u32 s33, s56
	s_cselect_b64 s[0:1], -1, 0
	s_xor_b64 s[6:7], s[20:21], -1
	s_and_b64 s[6:7], s[6:7], s[0:1]
	s_and_saveexec_b64 s[0:1], s[6:7]
	s_cbranch_execz .LBB119_119
; %bb.118:
	ds_read_b32 v0, v39
	s_waitcnt lgkmcnt(0)
	v_add3_u32 v0, v34, v37, v0
	global_store_dword v39, v0, s[50:51]
.LBB119_119:
	s_or_b64 exec, exec, s[0:1]
	s_mov_b64 s[6:7], 0
.LBB119_120:
	s_and_b64 vcc, exec, s[6:7]
	s_cbranch_vccz .LBB119_195
; %bb.121:
	s_lshl_b32 s0, s33, 13
	s_mov_b32 s1, 0
	s_lshl_b64 s[8:9], s[0:1], 3
	v_mbcnt_hi_u32_b32 v26, -1, v30
	s_add_u32 s0, s40, s8
	v_and_b32_e32 v0, 63, v26
	v_mov_b32_e32 v11, 0
	s_addc_u32 s1, s41, s9
	v_lshlrev_b32_e32 v0, 3, v0
	v_mov_b32_e32 v1, v11
	v_lshl_add_u64 v[6:7], s[0:1], 0, v[0:1]
	s_load_dword s12, s[2:3], 0x58
	s_load_dword s0, s[2:3], 0x64
	v_and_b32_e32 v4, 0x1e00, v29
	v_lshlrev_b32_e32 v4, 3, v4
	v_mov_b32_e32 v5, v11
	v_lshl_add_u64 v[6:7], v[6:7], 0, v[4:5]
	global_load_dwordx2 v[24:25], v[6:7], off
	s_add_u32 s1, s2, 0x58
	s_addc_u32 s2, s3, 0
	s_waitcnt lgkmcnt(0)
	s_lshr_b32 s3, s0, 16
	s_cmp_lt_u32 s4, s12
	s_cselect_b32 s0, 12, 18
	s_add_u32 s0, s1, s0
	s_addc_u32 s1, s2, 0
	global_load_ushort v10, v11, s[0:1]
	v_mul_u32_u24_e32 v1, 20, v2
	ds_write2_b32 v1, v11, v11 offset0:16 offset1:17
	ds_write2_b32 v1, v11, v11 offset0:18 offset1:19
	ds_write_b32 v1, v11 offset:80
	global_load_dwordx2 v[8:9], v[6:7], off offset:512
	global_load_dwordx2 v[22:23], v[6:7], off offset:1024
	global_load_dwordx2 v[12:13], v[6:7], off offset:1536
	global_load_dwordx2 v[14:15], v[6:7], off offset:2048
	global_load_dwordx2 v[18:19], v[6:7], off offset:2560
	global_load_dwordx2 v[20:21], v[6:7], off offset:3072
	global_load_dwordx2 v[16:17], v[6:7], off offset:3584
	v_bfrev_b32_e32 v5, 1
	s_mov_b32 s10, -1
	s_brev_b32 s11, -2
	v_mad_u32_u24 v3, v28, s3, v3
	s_lshl_b32 s2, -1, s53
	s_movk_i32 s14, 0x44
	v_mov_b32_e32 v30, v11
	v_mov_b32_e32 v34, v11
	s_not_b32 s13, s2
	v_mov_b32_e32 v36, v11
	v_mov_b32_e32 v38, v11
	s_waitcnt lgkmcnt(0)
	s_barrier
	s_waitcnt vmcnt(8)
	; wave barrier
	v_cmp_lt_i64_e32 vcc, -1, v[24:25]
	s_nop 1
	v_cndmask_b32_e32 v6, -1, v5, vcc
	v_ashrrev_i32_e32 v27, 31, v25
	v_xor_b32_e32 v7, v6, v25
	v_xor_b32_e32 v6, v27, v24
	v_cmp_ne_u64_e32 vcc, s[10:11], v[6:7]
	s_waitcnt vmcnt(7)
	v_mad_u64_u32 v[28:29], s[0:1], v3, v10, v[2:3]
	v_cndmask_b32_e32 v25, v5, v7, vcc
	v_cndmask_b32_e32 v24, 0, v6, vcc
	v_lshrrev_b64 v[24:25], s52, v[24:25]
	v_bitop3_b32 v3, v24, s2, v24 bitop3:0x30
	v_lshrrev_b32_e32 v33, 6, v28
	v_mul_lo_u32 v24, v3, s14
	v_and_b32_e32 v10, 1, v3
	v_lshlrev_b32_e32 v31, 30, v3
	v_lshlrev_b32_e32 v35, 29, v3
	v_lshl_add_u32 v27, v33, 2, v24
	v_lshl_add_u64 v[24:25], v[10:11], 0, -1
	v_cmp_ne_u32_e32 vcc, 0, v10
	v_not_b32_e32 v10, v31
	v_cmp_gt_i64_e64 s[0:1], 0, v[30:31]
	v_not_b32_e32 v28, v35
	v_xor_b32_e32 v25, vcc_hi, v25
	v_ashrrev_i32_e32 v10, 31, v10
	v_lshlrev_b32_e32 v37, 28, v3
	v_cmp_gt_i64_e64 s[2:3], 0, v[34:35]
	v_xor_b32_e32 v24, vcc_lo, v24
	v_ashrrev_i32_e32 v28, 31, v28
	v_and_b32_e32 v25, exec_hi, v25
	v_xor_b32_e32 v30, s1, v10
	v_lshlrev_b32_e32 v39, 27, v3
	v_not_b32_e32 v29, v37
	v_and_b32_e32 v24, exec_lo, v24
	v_xor_b32_e32 v10, s0, v10
	v_xor_b32_e32 v31, s3, v28
	v_and_b32_e32 v25, v25, v30
	v_cmp_gt_i64_e64 s[4:5], 0, v[36:37]
	v_ashrrev_i32_e32 v29, 31, v29
	v_xor_b32_e32 v28, s2, v28
	v_and_b32_e32 v10, v24, v10
	v_and_b32_e32 v24, v25, v31
	v_not_b32_e32 v25, v39
	v_cmp_gt_i64_e64 s[6:7], 0, v[38:39]
	v_xor_b32_e32 v32, s5, v29
	v_xor_b32_e32 v29, s4, v29
	v_and_b32_e32 v10, v10, v28
	v_ashrrev_i32_e32 v25, 31, v25
	v_and_b32_e32 v24, v24, v32
	v_and_b32_e32 v10, v10, v29
	v_xor_b32_e32 v28, s7, v25
	v_xor_b32_e32 v25, s6, v25
	v_and_b32_e32 v28, v24, v28
	v_and_b32_e32 v10, v10, v25
	v_lshlrev_b32_e32 v25, 26, v3
	v_mov_b32_e32 v24, v11
	v_cmp_gt_i64_e32 vcc, 0, v[24:25]
	v_not_b32_e32 v24, v25
	v_ashrrev_i32_e32 v24, 31, v24
	v_xor_b32_e32 v25, vcc_hi, v24
	v_xor_b32_e32 v24, vcc_lo, v24
	v_and_b32_e32 v28, v28, v25
	v_and_b32_e32 v10, v10, v24
	v_lshlrev_b32_e32 v25, 25, v3
	v_mov_b32_e32 v24, v11
	v_cmp_gt_i64_e32 vcc, 0, v[24:25]
	v_not_b32_e32 v24, v25
	v_ashrrev_i32_e32 v24, 31, v24
	v_xor_b32_e32 v25, vcc_hi, v24
	v_xor_b32_e32 v24, vcc_lo, v24
	v_and_b32_e32 v28, v28, v25
	v_lshlrev_b32_e32 v25, 24, v3
	v_and_b32_e32 v10, v10, v24
	v_mov_b32_e32 v24, v11
	v_not_b32_e32 v3, v25
	v_cmp_gt_i64_e32 vcc, 0, v[24:25]
	v_ashrrev_i32_e32 v3, 31, v3
	s_nop 0
	v_xor_b32_e32 v24, vcc_hi, v3
	v_xor_b32_e32 v3, vcc_lo, v3
	v_and_b32_e32 v25, v28, v24
	v_and_b32_e32 v24, v10, v3
	v_mbcnt_lo_u32_b32 v3, v24, 0
	v_mbcnt_hi_u32_b32 v3, v25, v3
	v_cmp_eq_u32_e32 vcc, 0, v3
	v_cmp_ne_u64_e64 s[0:1], 0, v[24:25]
	s_and_b64 s[2:3], s[0:1], vcc
	s_and_saveexec_b64 s[0:1], s[2:3]
; %bb.122:
	v_bcnt_u32_b32 v10, v24, 0
	v_bcnt_u32_b32 v10, v25, v10
	ds_write_b32 v27, v10 offset:64
; %bb.123:
	s_or_b64 exec, exec, s[0:1]
	s_waitcnt vmcnt(6)
	v_cmp_lt_i64_e32 vcc, -1, v[8:9]
	v_ashrrev_i32_e32 v24, 31, v9
	v_xor_b32_e32 v8, v24, v8
	v_cndmask_b32_e32 v10, -1, v5, vcc
	v_xor_b32_e32 v9, v10, v9
	v_cmp_ne_u64_e32 vcc, s[10:11], v[8:9]
	; wave barrier
	s_nop 1
	v_cndmask_b32_e32 v25, v5, v9, vcc
	v_cndmask_b32_e32 v24, 0, v8, vcc
	v_lshrrev_b64 v[24:25], s52, v[24:25]
	v_and_b32_e32 v28, s13, v24
	v_and_b32_e32 v10, 1, v28
	v_lshl_add_u64 v[24:25], v[10:11], 0, -1
	v_cmp_ne_u32_e32 vcc, 0, v10
	v_mul_lo_u32 v5, v28, s14
	v_lshl_add_u32 v30, v33, 2, v5
	v_xor_b32_e32 v24, vcc_lo, v24
	v_xor_b32_e32 v10, vcc_hi, v25
	v_and_b32_e32 v29, exec_lo, v24
	v_lshlrev_b32_e32 v25, 30, v28
	v_mov_b32_e32 v24, v11
	v_cmp_gt_i64_e32 vcc, 0, v[24:25]
	v_not_b32_e32 v24, v25
	v_ashrrev_i32_e32 v24, 31, v24
	v_and_b32_e32 v10, exec_hi, v10
	v_xor_b32_e32 v25, vcc_hi, v24
	v_xor_b32_e32 v24, vcc_lo, v24
	v_and_b32_e32 v10, v10, v25
	v_and_b32_e32 v29, v29, v24
	v_lshlrev_b32_e32 v25, 29, v28
	v_mov_b32_e32 v24, v11
	v_cmp_gt_i64_e32 vcc, 0, v[24:25]
	v_not_b32_e32 v24, v25
	v_ashrrev_i32_e32 v24, 31, v24
	v_xor_b32_e32 v25, vcc_hi, v24
	v_xor_b32_e32 v24, vcc_lo, v24
	v_and_b32_e32 v10, v10, v25
	v_and_b32_e32 v29, v29, v24
	v_lshlrev_b32_e32 v25, 28, v28
	v_mov_b32_e32 v24, v11
	v_cmp_gt_i64_e32 vcc, 0, v[24:25]
	v_not_b32_e32 v24, v25
	v_ashrrev_i32_e32 v24, 31, v24
	;; [unrolled: 9-line block ×5, first 2 shown]
	v_xor_b32_e32 v25, vcc_hi, v24
	v_xor_b32_e32 v24, vcc_lo, v24
	v_and_b32_e32 v10, v10, v25
	v_lshlrev_b32_e32 v25, 24, v28
	v_and_b32_e32 v29, v29, v24
	v_mov_b32_e32 v24, v11
	v_not_b32_e32 v11, v25
	v_cmp_gt_i64_e32 vcc, 0, v[24:25]
	v_ashrrev_i32_e32 v11, 31, v11
	ds_read_b32 v5, v30 offset:64
	v_xor_b32_e32 v24, vcc_hi, v11
	v_xor_b32_e32 v25, vcc_lo, v11
	v_and_b32_e32 v11, v10, v24
	v_and_b32_e32 v10, v29, v25
	v_mbcnt_lo_u32_b32 v24, v10, 0
	v_mbcnt_hi_u32_b32 v28, v11, v24
	v_cmp_eq_u32_e32 vcc, 0, v28
	v_cmp_ne_u64_e64 s[0:1], 0, v[10:11]
	s_and_b64 s[2:3], s[0:1], vcc
	; wave barrier
	s_and_saveexec_b64 s[0:1], s[2:3]
	s_cbranch_execz .LBB119_125
; %bb.124:
	v_bcnt_u32_b32 v10, v10, 0
	v_bcnt_u32_b32 v10, v11, v10
	s_waitcnt lgkmcnt(0)
	v_add_u32_e32 v10, v5, v10
	ds_write_b32 v30, v10 offset:64
.LBB119_125:
	s_or_b64 exec, exec, s[0:1]
	v_bfrev_b32_e32 v32, 1
	s_waitcnt vmcnt(5)
	v_cmp_lt_i64_e32 vcc, -1, v[22:23]
	s_mov_b32 s2, -1
	v_ashrrev_i32_e32 v24, 31, v23
	v_cndmask_b32_e32 v10, -1, v32, vcc
	s_brev_b32 s3, -2
	v_xor_b32_e32 v11, v10, v23
	v_xor_b32_e32 v10, v24, v22
	v_cmp_ne_u64_e32 vcc, s[2:3], v[10:11]
	s_movk_i32 s4, 0x44
	s_nop 0
	v_cndmask_b32_e32 v23, v32, v11, vcc
	v_cndmask_b32_e32 v22, 0, v10, vcc
	v_lshrrev_b64 v[22:23], s52, v[22:23]
	v_and_b32_e32 v31, s13, v22
	v_mul_lo_u32 v22, v31, s4
	v_lshl_add_u32 v34, v33, 2, v22
	v_and_b32_e32 v22, 1, v31
	v_mov_b32_e32 v23, 0
	v_lshl_add_u64 v[24:25], v[22:23], 0, -1
	v_cmp_ne_u32_e32 vcc, 0, v22
	; wave barrier
	ds_read_b32 v29, v34 offset:64
	s_nop 0
	v_xor_b32_e32 v24, vcc_lo, v24
	v_xor_b32_e32 v22, vcc_hi, v25
	v_and_b32_e32 v35, exec_lo, v24
	v_lshlrev_b32_e32 v25, 30, v31
	v_mov_b32_e32 v24, v23
	v_cmp_gt_i64_e32 vcc, 0, v[24:25]
	v_not_b32_e32 v24, v25
	v_ashrrev_i32_e32 v24, 31, v24
	v_and_b32_e32 v22, exec_hi, v22
	v_xor_b32_e32 v25, vcc_hi, v24
	v_xor_b32_e32 v24, vcc_lo, v24
	v_and_b32_e32 v22, v22, v25
	v_and_b32_e32 v35, v35, v24
	v_lshlrev_b32_e32 v25, 29, v31
	v_mov_b32_e32 v24, v23
	v_cmp_gt_i64_e32 vcc, 0, v[24:25]
	v_not_b32_e32 v24, v25
	v_ashrrev_i32_e32 v24, 31, v24
	v_xor_b32_e32 v25, vcc_hi, v24
	v_xor_b32_e32 v24, vcc_lo, v24
	v_and_b32_e32 v22, v22, v25
	v_and_b32_e32 v35, v35, v24
	v_lshlrev_b32_e32 v25, 28, v31
	v_mov_b32_e32 v24, v23
	v_cmp_gt_i64_e32 vcc, 0, v[24:25]
	v_not_b32_e32 v24, v25
	v_ashrrev_i32_e32 v24, 31, v24
	;; [unrolled: 9-line block ×6, first 2 shown]
	v_xor_b32_e32 v25, vcc_hi, v24
	v_xor_b32_e32 v24, vcc_lo, v24
	v_and_b32_e32 v24, v35, v24
	v_and_b32_e32 v25, v22, v25
	v_mbcnt_lo_u32_b32 v22, v24, 0
	v_mbcnt_hi_u32_b32 v31, v25, v22
	v_cmp_eq_u32_e32 vcc, 0, v31
	v_cmp_ne_u64_e64 s[0:1], 0, v[24:25]
	s_and_b64 s[6:7], s[0:1], vcc
	; wave barrier
	s_and_saveexec_b64 s[0:1], s[6:7]
	s_cbranch_execz .LBB119_127
; %bb.126:
	v_bcnt_u32_b32 v22, v24, 0
	v_bcnt_u32_b32 v22, v25, v22
	s_waitcnt lgkmcnt(0)
	v_add_u32_e32 v22, v29, v22
	ds_write_b32 v34, v22 offset:64
.LBB119_127:
	s_or_b64 exec, exec, s[0:1]
	s_waitcnt vmcnt(4)
	v_cmp_lt_i64_e32 vcc, -1, v[12:13]
	v_ashrrev_i32_e32 v24, 31, v13
	v_xor_b32_e32 v12, v24, v12
	v_cndmask_b32_e32 v22, -1, v32, vcc
	v_xor_b32_e32 v13, v22, v13
	v_cmp_ne_u64_e32 vcc, s[2:3], v[12:13]
	; wave barrier
	s_nop 1
	v_cndmask_b32_e32 v25, v32, v13, vcc
	v_cndmask_b32_e32 v24, 0, v12, vcc
	v_lshrrev_b64 v[24:25], s52, v[24:25]
	v_and_b32_e32 v35, s13, v24
	v_mul_lo_u32 v22, v35, s4
	v_lshl_add_u32 v37, v33, 2, v22
	v_and_b32_e32 v22, 1, v35
	v_lshl_add_u64 v[24:25], v[22:23], 0, -1
	v_cmp_ne_u32_e32 vcc, 0, v22
	ds_read_b32 v32, v37 offset:64
	s_nop 0
	v_xor_b32_e32 v24, vcc_lo, v24
	v_xor_b32_e32 v22, vcc_hi, v25
	v_and_b32_e32 v36, exec_lo, v24
	v_lshlrev_b32_e32 v25, 30, v35
	v_mov_b32_e32 v24, v23
	v_cmp_gt_i64_e32 vcc, 0, v[24:25]
	v_not_b32_e32 v24, v25
	v_ashrrev_i32_e32 v24, 31, v24
	v_and_b32_e32 v22, exec_hi, v22
	v_xor_b32_e32 v25, vcc_hi, v24
	v_xor_b32_e32 v24, vcc_lo, v24
	v_and_b32_e32 v22, v22, v25
	v_and_b32_e32 v36, v36, v24
	v_lshlrev_b32_e32 v25, 29, v35
	v_mov_b32_e32 v24, v23
	v_cmp_gt_i64_e32 vcc, 0, v[24:25]
	v_not_b32_e32 v24, v25
	v_ashrrev_i32_e32 v24, 31, v24
	v_xor_b32_e32 v25, vcc_hi, v24
	v_xor_b32_e32 v24, vcc_lo, v24
	v_and_b32_e32 v22, v22, v25
	v_and_b32_e32 v36, v36, v24
	v_lshlrev_b32_e32 v25, 28, v35
	v_mov_b32_e32 v24, v23
	v_cmp_gt_i64_e32 vcc, 0, v[24:25]
	v_not_b32_e32 v24, v25
	v_ashrrev_i32_e32 v24, 31, v24
	;; [unrolled: 9-line block ×5, first 2 shown]
	v_xor_b32_e32 v25, vcc_hi, v24
	v_xor_b32_e32 v24, vcc_lo, v24
	v_and_b32_e32 v22, v22, v25
	v_lshlrev_b32_e32 v25, 24, v35
	v_and_b32_e32 v36, v36, v24
	v_mov_b32_e32 v24, v23
	v_not_b32_e32 v23, v25
	v_cmp_gt_i64_e32 vcc, 0, v[24:25]
	v_ashrrev_i32_e32 v23, 31, v23
	; wave barrier
	s_nop 0
	v_xor_b32_e32 v24, vcc_hi, v23
	v_xor_b32_e32 v25, vcc_lo, v23
	v_and_b32_e32 v23, v22, v24
	v_and_b32_e32 v22, v36, v25
	v_mbcnt_lo_u32_b32 v24, v22, 0
	v_mbcnt_hi_u32_b32 v35, v23, v24
	v_cmp_eq_u32_e32 vcc, 0, v35
	v_cmp_ne_u64_e64 s[0:1], 0, v[22:23]
	s_and_b64 s[2:3], s[0:1], vcc
	s_and_saveexec_b64 s[0:1], s[2:3]
	s_cbranch_execz .LBB119_129
; %bb.128:
	v_bcnt_u32_b32 v22, v22, 0
	v_bcnt_u32_b32 v22, v23, v22
	s_waitcnt lgkmcnt(0)
	v_add_u32_e32 v22, v32, v22
	ds_write_b32 v37, v22 offset:64
.LBB119_129:
	s_or_b64 exec, exec, s[0:1]
	v_bfrev_b32_e32 v39, 1
	s_waitcnt vmcnt(3)
	v_cmp_lt_i64_e32 vcc, -1, v[14:15]
	s_mov_b32 s2, -1
	v_ashrrev_i32_e32 v23, 31, v15
	v_cndmask_b32_e32 v22, -1, v39, vcc
	s_brev_b32 s3, -2
	v_xor_b32_e32 v15, v22, v15
	v_xor_b32_e32 v14, v23, v14
	v_cmp_ne_u64_e32 vcc, s[2:3], v[14:15]
	; wave barrier
	s_nop 1
	v_cndmask_b32_e32 v23, v39, v15, vcc
	v_cndmask_b32_e32 v22, 0, v14, vcc
	v_lshrrev_b64 v[22:23], s52, v[22:23]
	v_and_b32_e32 v38, s13, v22
	v_mul_lo_u32 v22, v38, s4
	v_lshl_add_u32 v40, v33, 2, v22
	v_and_b32_e32 v22, 1, v38
	v_mov_b32_e32 v23, 0
	v_lshl_add_u64 v[24:25], v[22:23], 0, -1
	v_cmp_ne_u32_e32 vcc, 0, v22
	ds_read_b32 v36, v40 offset:64
	s_nop 0
	v_xor_b32_e32 v24, vcc_lo, v24
	v_xor_b32_e32 v22, vcc_hi, v25
	v_and_b32_e32 v41, exec_lo, v24
	v_lshlrev_b32_e32 v25, 30, v38
	v_mov_b32_e32 v24, v23
	v_cmp_gt_i64_e32 vcc, 0, v[24:25]
	v_not_b32_e32 v24, v25
	v_ashrrev_i32_e32 v24, 31, v24
	v_and_b32_e32 v22, exec_hi, v22
	v_xor_b32_e32 v25, vcc_hi, v24
	v_xor_b32_e32 v24, vcc_lo, v24
	v_and_b32_e32 v22, v22, v25
	v_and_b32_e32 v41, v41, v24
	v_lshlrev_b32_e32 v25, 29, v38
	v_mov_b32_e32 v24, v23
	v_cmp_gt_i64_e32 vcc, 0, v[24:25]
	v_not_b32_e32 v24, v25
	v_ashrrev_i32_e32 v24, 31, v24
	v_xor_b32_e32 v25, vcc_hi, v24
	v_xor_b32_e32 v24, vcc_lo, v24
	v_and_b32_e32 v22, v22, v25
	v_and_b32_e32 v41, v41, v24
	v_lshlrev_b32_e32 v25, 28, v38
	v_mov_b32_e32 v24, v23
	v_cmp_gt_i64_e32 vcc, 0, v[24:25]
	v_not_b32_e32 v24, v25
	v_ashrrev_i32_e32 v24, 31, v24
	;; [unrolled: 9-line block ×6, first 2 shown]
	v_xor_b32_e32 v25, vcc_hi, v24
	v_xor_b32_e32 v24, vcc_lo, v24
	v_and_b32_e32 v24, v41, v24
	v_and_b32_e32 v25, v22, v25
	v_mbcnt_lo_u32_b32 v22, v24, 0
	v_mbcnt_hi_u32_b32 v38, v25, v22
	v_cmp_eq_u32_e32 vcc, 0, v38
	v_cmp_ne_u64_e64 s[0:1], 0, v[24:25]
	s_and_b64 s[6:7], s[0:1], vcc
	; wave barrier
	s_and_saveexec_b64 s[0:1], s[6:7]
	s_cbranch_execz .LBB119_131
; %bb.130:
	v_bcnt_u32_b32 v22, v24, 0
	v_bcnt_u32_b32 v22, v25, v22
	s_waitcnt lgkmcnt(0)
	v_add_u32_e32 v22, v36, v22
	ds_write_b32 v40, v22 offset:64
.LBB119_131:
	s_or_b64 exec, exec, s[0:1]
	s_waitcnt vmcnt(2)
	v_cmp_lt_i64_e32 vcc, -1, v[18:19]
	v_ashrrev_i32_e32 v24, 31, v19
	v_xor_b32_e32 v18, v24, v18
	v_cndmask_b32_e32 v22, -1, v39, vcc
	v_xor_b32_e32 v19, v22, v19
	v_cmp_ne_u64_e32 vcc, s[2:3], v[18:19]
	; wave barrier
	s_nop 1
	v_cndmask_b32_e32 v25, v39, v19, vcc
	v_cndmask_b32_e32 v24, 0, v18, vcc
	v_lshrrev_b64 v[24:25], s52, v[24:25]
	v_and_b32_e32 v41, s13, v24
	v_mul_lo_u32 v22, v41, s4
	v_lshl_add_u32 v43, v33, 2, v22
	v_and_b32_e32 v22, 1, v41
	v_lshl_add_u64 v[24:25], v[22:23], 0, -1
	v_cmp_ne_u32_e32 vcc, 0, v22
	ds_read_b32 v39, v43 offset:64
	s_nop 0
	v_xor_b32_e32 v24, vcc_lo, v24
	v_xor_b32_e32 v22, vcc_hi, v25
	v_and_b32_e32 v42, exec_lo, v24
	v_lshlrev_b32_e32 v25, 30, v41
	v_mov_b32_e32 v24, v23
	v_cmp_gt_i64_e32 vcc, 0, v[24:25]
	v_not_b32_e32 v24, v25
	v_ashrrev_i32_e32 v24, 31, v24
	v_and_b32_e32 v22, exec_hi, v22
	v_xor_b32_e32 v25, vcc_hi, v24
	v_xor_b32_e32 v24, vcc_lo, v24
	v_and_b32_e32 v22, v22, v25
	v_and_b32_e32 v42, v42, v24
	v_lshlrev_b32_e32 v25, 29, v41
	v_mov_b32_e32 v24, v23
	v_cmp_gt_i64_e32 vcc, 0, v[24:25]
	v_not_b32_e32 v24, v25
	v_ashrrev_i32_e32 v24, 31, v24
	v_xor_b32_e32 v25, vcc_hi, v24
	v_xor_b32_e32 v24, vcc_lo, v24
	v_and_b32_e32 v22, v22, v25
	v_and_b32_e32 v42, v42, v24
	v_lshlrev_b32_e32 v25, 28, v41
	v_mov_b32_e32 v24, v23
	v_cmp_gt_i64_e32 vcc, 0, v[24:25]
	v_not_b32_e32 v24, v25
	v_ashrrev_i32_e32 v24, 31, v24
	;; [unrolled: 9-line block ×5, first 2 shown]
	v_xor_b32_e32 v25, vcc_hi, v24
	v_xor_b32_e32 v24, vcc_lo, v24
	v_and_b32_e32 v22, v22, v25
	v_lshlrev_b32_e32 v25, 24, v41
	v_and_b32_e32 v42, v42, v24
	v_mov_b32_e32 v24, v23
	v_not_b32_e32 v23, v25
	v_cmp_gt_i64_e32 vcc, 0, v[24:25]
	v_ashrrev_i32_e32 v23, 31, v23
	; wave barrier
	s_nop 0
	v_xor_b32_e32 v24, vcc_hi, v23
	v_xor_b32_e32 v25, vcc_lo, v23
	v_and_b32_e32 v23, v22, v24
	v_and_b32_e32 v22, v42, v25
	v_mbcnt_lo_u32_b32 v24, v22, 0
	v_mbcnt_hi_u32_b32 v41, v23, v24
	v_cmp_eq_u32_e32 vcc, 0, v41
	v_cmp_ne_u64_e64 s[0:1], 0, v[22:23]
	s_and_b64 s[2:3], s[0:1], vcc
	s_and_saveexec_b64 s[0:1], s[2:3]
	s_cbranch_execz .LBB119_133
; %bb.132:
	v_bcnt_u32_b32 v22, v22, 0
	v_bcnt_u32_b32 v22, v23, v22
	s_waitcnt lgkmcnt(0)
	v_add_u32_e32 v22, v39, v22
	ds_write_b32 v43, v22 offset:64
.LBB119_133:
	s_or_b64 exec, exec, s[0:1]
	v_bfrev_b32_e32 v45, 1
	s_waitcnt vmcnt(1)
	v_cmp_lt_i64_e32 vcc, -1, v[20:21]
	s_mov_b32 s2, -1
	v_ashrrev_i32_e32 v23, 31, v21
	v_cndmask_b32_e32 v22, -1, v45, vcc
	s_brev_b32 s3, -2
	v_xor_b32_e32 v21, v22, v21
	v_xor_b32_e32 v20, v23, v20
	v_cmp_ne_u64_e32 vcc, s[2:3], v[20:21]
	; wave barrier
	s_nop 1
	v_cndmask_b32_e32 v23, v45, v21, vcc
	v_cndmask_b32_e32 v22, 0, v20, vcc
	v_lshrrev_b64 v[22:23], s52, v[22:23]
	v_and_b32_e32 v44, s13, v22
	v_mul_lo_u32 v22, v44, s4
	v_lshl_add_u32 v46, v33, 2, v22
	v_and_b32_e32 v22, 1, v44
	v_mov_b32_e32 v23, 0
	v_lshl_add_u64 v[24:25], v[22:23], 0, -1
	v_cmp_ne_u32_e32 vcc, 0, v22
	ds_read_b32 v42, v46 offset:64
	s_nop 0
	v_xor_b32_e32 v24, vcc_lo, v24
	v_xor_b32_e32 v22, vcc_hi, v25
	v_and_b32_e32 v47, exec_lo, v24
	v_lshlrev_b32_e32 v25, 30, v44
	v_mov_b32_e32 v24, v23
	v_cmp_gt_i64_e32 vcc, 0, v[24:25]
	v_not_b32_e32 v24, v25
	v_ashrrev_i32_e32 v24, 31, v24
	v_and_b32_e32 v22, exec_hi, v22
	v_xor_b32_e32 v25, vcc_hi, v24
	v_xor_b32_e32 v24, vcc_lo, v24
	v_and_b32_e32 v22, v22, v25
	v_and_b32_e32 v47, v47, v24
	v_lshlrev_b32_e32 v25, 29, v44
	v_mov_b32_e32 v24, v23
	v_cmp_gt_i64_e32 vcc, 0, v[24:25]
	v_not_b32_e32 v24, v25
	v_ashrrev_i32_e32 v24, 31, v24
	v_xor_b32_e32 v25, vcc_hi, v24
	v_xor_b32_e32 v24, vcc_lo, v24
	v_and_b32_e32 v22, v22, v25
	v_and_b32_e32 v47, v47, v24
	v_lshlrev_b32_e32 v25, 28, v44
	v_mov_b32_e32 v24, v23
	v_cmp_gt_i64_e32 vcc, 0, v[24:25]
	v_not_b32_e32 v24, v25
	v_ashrrev_i32_e32 v24, 31, v24
	;; [unrolled: 9-line block ×6, first 2 shown]
	v_xor_b32_e32 v25, vcc_hi, v24
	v_xor_b32_e32 v24, vcc_lo, v24
	v_and_b32_e32 v24, v47, v24
	v_and_b32_e32 v25, v22, v25
	v_mbcnt_lo_u32_b32 v22, v24, 0
	v_mbcnt_hi_u32_b32 v44, v25, v22
	v_cmp_eq_u32_e32 vcc, 0, v44
	v_cmp_ne_u64_e64 s[0:1], 0, v[24:25]
	s_and_b64 s[6:7], s[0:1], vcc
	; wave barrier
	s_and_saveexec_b64 s[0:1], s[6:7]
	s_cbranch_execz .LBB119_135
; %bb.134:
	v_bcnt_u32_b32 v22, v24, 0
	v_bcnt_u32_b32 v22, v25, v22
	s_waitcnt lgkmcnt(0)
	v_add_u32_e32 v22, v42, v22
	ds_write_b32 v46, v22 offset:64
.LBB119_135:
	s_or_b64 exec, exec, s[0:1]
	s_waitcnt vmcnt(0)
	v_cmp_lt_i64_e32 vcc, -1, v[16:17]
	v_ashrrev_i32_e32 v24, 31, v17
	v_xor_b32_e32 v16, v24, v16
	v_cndmask_b32_e32 v22, -1, v45, vcc
	v_xor_b32_e32 v17, v22, v17
	v_cmp_ne_u64_e32 vcc, s[2:3], v[16:17]
	; wave barrier
	s_nop 1
	v_cndmask_b32_e32 v25, v45, v17, vcc
	v_cndmask_b32_e32 v24, 0, v16, vcc
	v_lshrrev_b64 v[24:25], s52, v[24:25]
	v_and_b32_e32 v47, s13, v24
	v_mul_lo_u32 v22, v47, s4
	v_lshl_add_u32 v48, v33, 2, v22
	v_and_b32_e32 v22, 1, v47
	v_lshl_add_u64 v[24:25], v[22:23], 0, -1
	v_cmp_ne_u32_e32 vcc, 0, v22
	ds_read_b32 v45, v48 offset:64
	s_nop 0
	v_xor_b32_e32 v24, vcc_lo, v24
	v_xor_b32_e32 v22, vcc_hi, v25
	v_and_b32_e32 v33, exec_lo, v24
	v_lshlrev_b32_e32 v25, 30, v47
	v_mov_b32_e32 v24, v23
	v_cmp_gt_i64_e32 vcc, 0, v[24:25]
	v_not_b32_e32 v24, v25
	v_ashrrev_i32_e32 v24, 31, v24
	v_and_b32_e32 v22, exec_hi, v22
	v_xor_b32_e32 v25, vcc_hi, v24
	v_xor_b32_e32 v24, vcc_lo, v24
	v_and_b32_e32 v22, v22, v25
	v_and_b32_e32 v33, v33, v24
	v_lshlrev_b32_e32 v25, 29, v47
	v_mov_b32_e32 v24, v23
	v_cmp_gt_i64_e32 vcc, 0, v[24:25]
	v_not_b32_e32 v24, v25
	v_ashrrev_i32_e32 v24, 31, v24
	v_xor_b32_e32 v25, vcc_hi, v24
	v_xor_b32_e32 v24, vcc_lo, v24
	v_and_b32_e32 v22, v22, v25
	v_and_b32_e32 v33, v33, v24
	v_lshlrev_b32_e32 v25, 28, v47
	v_mov_b32_e32 v24, v23
	v_cmp_gt_i64_e32 vcc, 0, v[24:25]
	v_not_b32_e32 v24, v25
	v_ashrrev_i32_e32 v24, 31, v24
	;; [unrolled: 9-line block ×5, first 2 shown]
	v_xor_b32_e32 v25, vcc_hi, v24
	v_xor_b32_e32 v24, vcc_lo, v24
	v_and_b32_e32 v22, v22, v25
	v_lshlrev_b32_e32 v25, 24, v47
	v_and_b32_e32 v33, v33, v24
	v_mov_b32_e32 v24, v23
	v_not_b32_e32 v23, v25
	v_cmp_gt_i64_e32 vcc, 0, v[24:25]
	v_ashrrev_i32_e32 v23, 31, v23
	; wave barrier
	s_nop 0
	v_xor_b32_e32 v24, vcc_hi, v23
	v_xor_b32_e32 v25, vcc_lo, v23
	v_and_b32_e32 v23, v22, v24
	v_and_b32_e32 v22, v33, v25
	v_mbcnt_lo_u32_b32 v24, v22, 0
	v_mbcnt_hi_u32_b32 v47, v23, v24
	v_cmp_eq_u32_e32 vcc, 0, v47
	v_cmp_ne_u64_e64 s[0:1], 0, v[22:23]
	s_and_b64 s[2:3], s[0:1], vcc
	s_and_saveexec_b64 s[0:1], s[2:3]
	s_cbranch_execz .LBB119_137
; %bb.136:
	v_bcnt_u32_b32 v22, v22, 0
	v_bcnt_u32_b32 v22, v23, v22
	s_waitcnt lgkmcnt(0)
	v_add_u32_e32 v22, v45, v22
	ds_write_b32 v48, v22 offset:64
.LBB119_137:
	s_or_b64 exec, exec, s[0:1]
	; wave barrier
	s_waitcnt lgkmcnt(0)
	s_barrier
	ds_read2_b32 v[24:25], v1 offset0:16 offset1:17
	ds_read2_b32 v[22:23], v1 offset0:18 offset1:19
	ds_read_b32 v33, v1 offset:80
	v_cmp_lt_u32_e64 s[6:7], 31, v26
	s_waitcnt lgkmcnt(1)
	v_add3_u32 v49, v25, v24, v22
	s_waitcnt lgkmcnt(0)
	v_add3_u32 v33, v49, v23, v33
	v_and_b32_e32 v49, 15, v26
	v_cmp_eq_u32_e32 vcc, 0, v49
	v_mov_b32_dpp v50, v33 row_shr:1 row_mask:0xf bank_mask:0xf
	v_cmp_lt_u32_e64 s[0:1], 1, v49
	v_cndmask_b32_e64 v50, v50, 0, vcc
	v_add_u32_e32 v33, v50, v33
	v_cmp_lt_u32_e64 s[2:3], 3, v49
	v_cmp_lt_u32_e64 s[4:5], 7, v49
	v_mov_b32_dpp v50, v33 row_shr:2 row_mask:0xf bank_mask:0xf
	v_cndmask_b32_e64 v50, 0, v50, s[0:1]
	v_add_u32_e32 v33, v33, v50
	s_nop 1
	v_mov_b32_dpp v50, v33 row_shr:4 row_mask:0xf bank_mask:0xf
	v_cndmask_b32_e64 v50, 0, v50, s[2:3]
	v_add_u32_e32 v33, v33, v50
	s_nop 1
	v_mov_b32_dpp v50, v33 row_shr:8 row_mask:0xf bank_mask:0xf
	v_cndmask_b32_e64 v49, 0, v50, s[4:5]
	v_add_u32_e32 v33, v33, v49
	v_bfe_i32 v50, v26, 4, 1
	s_nop 0
	v_mov_b32_dpp v49, v33 row_bcast:15 row_mask:0xf bank_mask:0xf
	v_and_b32_e32 v49, v50, v49
	v_add_u32_e32 v33, v33, v49
	v_lshrrev_b32_e32 v50, 6, v2
	s_nop 0
	v_mov_b32_dpp v49, v33 row_bcast:31 row_mask:0xf bank_mask:0xf
	v_cndmask_b32_e64 v49, 0, v49, s[6:7]
	v_add_u32_e32 v49, v33, v49
	v_and_b32_e32 v33, 63, v2
	v_cmp_eq_u32_e64 s[6:7], 63, v33
	s_and_saveexec_b64 s[10:11], s[6:7]
; %bb.138:
	v_lshlrev_b32_e32 v33, 2, v50
	ds_write_b32 v33, v49
; %bb.139:
	s_or_b64 exec, exec, s[10:11]
	v_cmp_gt_u32_e64 s[6:7], 16, v2
	v_lshlrev_b32_e32 v33, 2, v2
	s_waitcnt lgkmcnt(0)
	s_barrier
	s_and_saveexec_b64 s[10:11], s[6:7]
	s_cbranch_execz .LBB119_141
; %bb.140:
	ds_read_b32 v51, v33
	s_waitcnt lgkmcnt(0)
	s_nop 0
	v_mov_b32_dpp v52, v51 row_shr:1 row_mask:0xf bank_mask:0xf
	v_cndmask_b32_e64 v52, v52, 0, vcc
	v_add_u32_e32 v51, v52, v51
	s_nop 1
	v_mov_b32_dpp v52, v51 row_shr:2 row_mask:0xf bank_mask:0xf
	v_cndmask_b32_e64 v52, 0, v52, s[0:1]
	v_add_u32_e32 v51, v51, v52
	s_nop 1
	v_mov_b32_dpp v52, v51 row_shr:4 row_mask:0xf bank_mask:0xf
	v_cndmask_b32_e64 v52, 0, v52, s[2:3]
	;; [unrolled: 4-line block ×3, first 2 shown]
	v_add_u32_e32 v51, v51, v52
	ds_write_b32 v33, v51
.LBB119_141:
	s_or_b64 exec, exec, s[10:11]
	v_cmp_lt_u32_e32 vcc, 63, v2
	v_mov_b32_e32 v51, 0
	s_waitcnt lgkmcnt(0)
	s_barrier
	s_and_saveexec_b64 s[0:1], vcc
; %bb.142:
	v_lshl_add_u32 v50, v50, 2, -4
	ds_read_b32 v51, v50
; %bb.143:
	s_or_b64 exec, exec, s[0:1]
	v_subrev_co_u32_e32 v50, vcc, 1, v26
	v_and_b32_e32 v52, 64, v26
	v_cmp_lt_i32_e64 s[0:1], v50, v52
	s_waitcnt lgkmcnt(0)
	v_add_u32_e32 v49, v51, v49
	s_movk_i32 s2, 0x100
	v_cndmask_b32_e64 v26, v50, v26, s[0:1]
	v_lshlrev_b32_e32 v26, 2, v26
	ds_bpermute_b32 v26, v26, v49
	s_movk_i32 s0, 0xff
	s_waitcnt lgkmcnt(0)
	v_cndmask_b32_e32 v26, v26, v51, vcc
	v_cndmask_b32_e64 v26, v26, 0, s[18:19]
	v_add_u32_e32 v24, v26, v24
	v_add_u32_e32 v25, v24, v25
	;; [unrolled: 1-line block ×4, first 2 shown]
	ds_write2_b32 v1, v26, v24 offset0:16 offset1:17
	ds_write2_b32 v1, v25, v22 offset0:18 offset1:19
	ds_write_b32 v1, v23 offset:80
	s_waitcnt lgkmcnt(0)
	s_barrier
	ds_read_b32 v52, v27 offset:64
	ds_read_b32 v1, v30 offset:64
	;; [unrolled: 1-line block ×8, first 2 shown]
	v_cmp_lt_u32_e32 vcc, s0, v2
	v_cmp_gt_u32_e64 s[0:1], s2, v2
                                        ; implicit-def: $vgpr30
                                        ; implicit-def: $vgpr34
	s_and_saveexec_b64 s[4:5], s[0:1]
	s_cbranch_execz .LBB119_147
; %bb.144:
	v_mul_u32_u24_e32 v22, 0x44, v2
	ds_read_b32 v30, v22 offset:64
	v_add_u32_e32 v23, 1, v2
	v_cmp_ne_u32_e64 s[2:3], s2, v23
	v_mov_b32_e32 v22, 0x2000
	s_and_saveexec_b64 s[6:7], s[2:3]
; %bb.145:
	v_mul_u32_u24_e32 v22, 0x44, v23
	ds_read_b32 v22, v22 offset:64
; %bb.146:
	s_or_b64 exec, exec, s[6:7]
	s_waitcnt lgkmcnt(0)
	v_sub_u32_e32 v34, v22, v30
.LBB119_147:
	s_or_b64 exec, exec, s[4:5]
	v_mov_b32_e32 v23, 0
	s_waitcnt lgkmcnt(0)
	s_barrier
	s_and_saveexec_b64 s[2:3], s[0:1]
	s_cbranch_execz .LBB119_157
; %bb.148:
	v_lshl_add_u32 v22, s33, 8, v2
	v_lshl_add_u64 v[24:25], v[22:23], 2, s[38:39]
	v_or_b32_e32 v22, 2.0, v34
	s_mov_b64 s[4:5], 0
	s_brev_b32 s14, -4
	s_mov_b32 s15, s33
	v_mov_b32_e32 v46, 0
	global_store_dword v[24:25], v22, off sc1
                                        ; implicit-def: $sgpr0_sgpr1
	s_branch .LBB119_151
.LBB119_149:                            ;   in Loop: Header=BB119_151 Depth=1
	s_or_b64 exec, exec, s[10:11]
.LBB119_150:                            ;   in Loop: Header=BB119_151 Depth=1
	s_or_b64 exec, exec, s[6:7]
	v_and_b32_e32 v26, 0x3fffffff, v22
	v_add_u32_e32 v46, v26, v46
	v_cmp_gt_i32_e64 s[0:1], -2.0, v22
	s_and_b64 s[6:7], exec, s[0:1]
	s_or_b64 s[4:5], s[6:7], s[4:5]
	s_andn2_b64 exec, exec, s[4:5]
	s_cbranch_execz .LBB119_156
.LBB119_151:                            ; =>This Loop Header: Depth=1
                                        ;     Child Loop BB119_154 Depth 2
	s_or_b64 s[0:1], s[0:1], exec
	s_cmp_eq_u32 s15, 0
	s_cbranch_scc1 .LBB119_155
; %bb.152:                              ;   in Loop: Header=BB119_151 Depth=1
	s_add_i32 s15, s15, -1
	v_lshl_or_b32 v22, s15, 8, v2
	v_lshl_add_u64 v[26:27], v[22:23], 2, s[38:39]
	global_load_dword v22, v[26:27], off sc1
	s_waitcnt vmcnt(0)
	v_cmp_gt_u32_e64 s[0:1], 2.0, v22
	s_and_saveexec_b64 s[6:7], s[0:1]
	s_cbranch_execz .LBB119_150
; %bb.153:                              ;   in Loop: Header=BB119_151 Depth=1
	s_mov_b64 s[10:11], 0
.LBB119_154:                            ;   Parent Loop BB119_151 Depth=1
                                        ; =>  This Inner Loop Header: Depth=2
	global_load_dword v22, v[26:27], off sc1
	s_waitcnt vmcnt(0)
	v_cmp_lt_u32_e64 s[0:1], s14, v22
	s_or_b64 s[10:11], s[0:1], s[10:11]
	s_andn2_b64 exec, exec, s[10:11]
	s_cbranch_execnz .LBB119_154
	s_branch .LBB119_149
.LBB119_155:                            ;   in Loop: Header=BB119_151 Depth=1
                                        ; implicit-def: $sgpr15
	s_and_b64 s[6:7], exec, s[0:1]
	s_or_b64 s[4:5], s[6:7], s[4:5]
	s_andn2_b64 exec, exec, s[4:5]
	s_cbranch_execnz .LBB119_151
.LBB119_156:
	s_or_b64 exec, exec, s[4:5]
	v_add_u32_e32 v22, v46, v34
	v_or_b32_e32 v22, 0x80000000, v22
	global_store_dword v[24:25], v22, off sc1
	global_load_dword v22, v33, s[48:49]
	v_sub_u32_e32 v23, v46, v30
	s_waitcnt vmcnt(0)
	v_add_u32_e32 v22, v23, v22
	ds_write_b32 v33, v22
.LBB119_157:
	s_or_b64 exec, exec, s[2:3]
	v_add_u32_e32 v3, v52, v3
	v_add3_u32 v22, v28, v5, v1
	v_add3_u32 v23, v31, v29, v49
	v_add3_u32 v46, v35, v32, v50
	v_add3_u32 v48, v38, v36, v51
	v_add3_u32 v52, v41, v39, v40
	v_add3_u32 v26, v44, v42, v37
	v_add3_u32 v24, v47, v45, v43
	v_mov_b32_e32 v53, 0x400
	s_mov_b32 s2, -1
	s_mov_b32 s6, s52
	s_mov_b32 s7, s13
	s_movk_i32 s10, 0x400
	v_lshl_add_u32 v24, v24, 3, v53
	v_add3_u32 v25, v47, v43, v45
	v_lshl_add_u32 v26, v26, 3, v53
	v_add3_u32 v27, v44, v37, v42
	;; [unrolled: 2-line block ×7, first 2 shown]
	v_lshl_add_u32 v41, v3, 3, v53
	s_mov_b32 s11, 0
	s_mov_b32 s14, 0
	s_movk_i32 s15, 0x800
	v_add_u32_e32 v42, v33, v33
	s_brev_b32 s3, -2
	v_bfrev_b32_e32 v1, 1
	v_mov_b32_e32 v23, 0
	v_mov_b32_e32 v5, v2
	s_mov_b32 s16, 0
	s_branch .LBB119_159
.LBB119_158:                            ;   in Loop: Header=BB119_159 Depth=1
	s_or_b64 exec, exec, s[4:5]
	s_waitcnt lgkmcnt(0)
	s_barrier
	ds_read2st64_b64 v[44:47], v42 offset0:2 offset1:18
	s_addk_i32 s16, 0xc000
	s_addk_i32 s14, 0xf800
	s_waitcnt lgkmcnt(0)
	v_cmp_lt_i64_e64 s[0:1], -1, v[44:45]
	s_nop 1
	v_cndmask_b32_e64 v22, v1, -1, s[0:1]
	v_cmp_lt_i64_e64 s[0:1], -1, v[46:47]
	v_ashrrev_i32_e32 v43, 31, v45
	v_xor_b32_e32 v49, v22, v45
	v_cndmask_b32_e64 v22, v1, -1, s[0:1]
	v_cmp_ne_u64_e64 s[0:1], s[2:3], v[46:47]
	v_not_b32_e32 v43, v43
	v_xor_b32_e32 v48, v43, v44
	v_cndmask_b32_e64 v53, v1, v47, s[0:1]
	v_cndmask_b32_e64 v52, 0, v46, s[0:1]
	v_cmp_ne_u64_e64 s[0:1], s[2:3], v[44:45]
	v_lshrrev_b64 v[52:53], s6, v[52:53]
	v_xor_b32_e32 v51, v22, v47
	v_cndmask_b32_e64 v45, v1, v45, s[0:1]
	v_cndmask_b32_e64 v44, 0, v44, s[0:1]
	v_lshrrev_b64 v[44:45], s52, v[44:45]
	v_and_b32_e32 v44, s13, v44
	v_lshlrev_b32_e32 v22, 2, v44
	v_and_b32_e32 v45, s7, v52
	v_ashrrev_i32_e32 v43, 31, v47
	ds_read_b32 v22, v22
	v_lshlrev_b32_e32 v47, 2, v45
	ds_read_b32 v52, v47
	v_not_b32_e32 v43, v43
	v_xor_b32_e32 v50, v43, v46
	s_waitcnt lgkmcnt(1)
	v_add_u32_e32 v22, v5, v22
	v_lshl_add_u64 v[46:47], v[22:23], 3, s[42:43]
	s_waitcnt lgkmcnt(0)
	v_add3_u32 v22, v5, v52, s10
	global_store_dwordx2 v[46:47], v[48:49], off
	v_lshl_add_u64 v[46:47], v[22:23], 3, s[42:43]
	global_store_dwordx2 v[46:47], v[50:51], off
	scratch_store_dwordx2 off, v[44:45], s11
	s_add_i32 s11, s11, 8
	s_cmp_eq_u32 s16, 0xffff0000
	v_add_u32_e32 v5, 0x800, v5
	s_barrier
	s_cbranch_scc1 .LBB119_175
.LBB119_159:                            ; =>This Inner Loop Header: Depth=1
	v_add_u32_e32 v22, s14, v3
	v_cmp_gt_u32_e64 s[0:1], s15, v22
	s_and_saveexec_b64 s[4:5], s[0:1]
; %bb.160:                              ;   in Loop: Header=BB119_159 Depth=1
	v_add_u32_e32 v22, s16, v41
	ds_write_b64 v22, v[6:7]
; %bb.161:                              ;   in Loop: Header=BB119_159 Depth=1
	s_or_b64 exec, exec, s[4:5]
	v_add_u32_e32 v22, s14, v28
	v_cmp_gt_u32_e64 s[0:1], s15, v22
	s_and_saveexec_b64 s[4:5], s[0:1]
; %bb.162:                              ;   in Loop: Header=BB119_159 Depth=1
	v_add_u32_e32 v22, s16, v31
	ds_write_b64 v22, v[8:9]
; %bb.163:                              ;   in Loop: Header=BB119_159 Depth=1
	s_or_b64 exec, exec, s[4:5]
	;; [unrolled: 8-line block ×7, first 2 shown]
	v_add_u32_e32 v22, s14, v25
	v_cmp_gt_u32_e64 s[0:1], s15, v22
	s_and_saveexec_b64 s[4:5], s[0:1]
	s_cbranch_execz .LBB119_158
; %bb.174:                              ;   in Loop: Header=BB119_159 Depth=1
	v_add_u32_e32 v22, s16, v24
	ds_write_b64 v22, v[16:17]
	s_branch .LBB119_158
.LBB119_175:
	s_add_u32 s0, s44, s8
	s_addc_u32 s1, s45, s9
	v_mov_b32_e32 v1, 0
	v_lshl_add_u64 v[6:7], s[0:1], 0, v[0:1]
	v_mov_b32_e32 v5, v1
	v_lshl_add_u64 v[20:21], v[6:7], 0, v[4:5]
	global_load_dwordx2 v[4:5], v[20:21], off
	global_load_dwordx2 v[6:7], v[20:21], off offset:512
	global_load_dwordx2 v[8:9], v[20:21], off offset:1024
	;; [unrolled: 1-line block ×7, first 2 shown]
	s_mov_b32 s4, 0
	s_mov_b32 s5, 0
	s_movk_i32 s6, 0x800
	s_movk_i32 s7, 0x400
	s_mov_b32 s8, 0
	s_branch .LBB119_177
.LBB119_176:                            ;   in Loop: Header=BB119_177 Depth=1
	s_or_b64 exec, exec, s[2:3]
	s_waitcnt lgkmcnt(0)
	s_barrier
	scratch_load_dwordx2 v[44:45], off, s4
	ds_read2st64_b64 v[20:23], v42 offset0:2 offset1:18
	s_addk_i32 s8, 0xc000
	s_addk_i32 s5, 0xf800
	s_add_i32 s4, s4, 8
	s_cmp_eq_u32 s8, 0xffff0000
	s_waitcnt vmcnt(0)
	v_lshlrev_b32_e32 v0, 2, v44
	ds_read_b32 v0, v0
	v_lshlrev_b32_e32 v43, 2, v45
	ds_read_b32 v43, v43
	s_waitcnt lgkmcnt(1)
	v_add_u32_e32 v0, v2, v0
	v_lshl_add_u64 v[44:45], v[0:1], 3, s[46:47]
	s_waitcnt lgkmcnt(0)
	v_add3_u32 v0, v2, v43, s7
	global_store_dwordx2 v[44:45], v[20:21], off
	v_lshl_add_u64 v[20:21], v[0:1], 3, s[46:47]
	v_add_u32_e32 v2, 0x800, v2
	global_store_dwordx2 v[20:21], v[22:23], off
	s_barrier
	s_cbranch_scc1 .LBB119_193
.LBB119_177:                            ; =>This Inner Loop Header: Depth=1
	v_add_u32_e32 v0, s5, v3
	v_cmp_gt_u32_e64 s[0:1], s6, v0
	s_and_saveexec_b64 s[2:3], s[0:1]
	s_cbranch_execz .LBB119_179
; %bb.178:                              ;   in Loop: Header=BB119_177 Depth=1
	v_add_u32_e32 v0, s8, v41
	s_waitcnt vmcnt(7)
	ds_write_b64 v0, v[4:5]
.LBB119_179:                            ;   in Loop: Header=BB119_177 Depth=1
	s_or_b64 exec, exec, s[2:3]
	v_add_u32_e32 v0, s5, v28
	v_cmp_gt_u32_e64 s[0:1], s6, v0
	s_and_saveexec_b64 s[2:3], s[0:1]
	s_cbranch_execz .LBB119_181
; %bb.180:                              ;   in Loop: Header=BB119_177 Depth=1
	v_add_u32_e32 v0, s8, v31
	s_waitcnt vmcnt(6)
	ds_write_b64 v0, v[6:7]
.LBB119_181:                            ;   in Loop: Header=BB119_177 Depth=1
	s_or_b64 exec, exec, s[2:3]
	;; [unrolled: 10-line block ×7, first 2 shown]
	v_add_u32_e32 v0, s5, v25
	v_cmp_gt_u32_e64 s[0:1], s6, v0
	s_and_saveexec_b64 s[2:3], s[0:1]
	s_cbranch_execz .LBB119_176
; %bb.192:                              ;   in Loop: Header=BB119_177 Depth=1
	v_add_u32_e32 v0, s8, v24
	s_waitcnt vmcnt(0)
	ds_write_b64 v0, v[18:19]
	s_branch .LBB119_176
.LBB119_193:
	s_add_i32 s12, s12, -1
	s_cmp_eq_u32 s33, s12
	s_cselect_b64 s[0:1], -1, 0
	s_xor_b64 s[2:3], vcc, -1
	s_and_b64 s[0:1], s[2:3], s[0:1]
	s_and_saveexec_b64 s[2:3], s[0:1]
	s_cbranch_execz .LBB119_195
; %bb.194:
	ds_read_b32 v0, v33
	s_waitcnt lgkmcnt(0)
	v_add3_u32 v0, v30, v34, v0
	global_store_dword v33, v0, s[50:51]
.LBB119_195:
	s_endpgm
	.section	.rodata,"a",@progbits
	.p2align	6, 0x0
	.amdhsa_kernel _ZN7rocprim17ROCPRIM_400000_NS6detail17trampoline_kernelINS0_14default_configENS1_35radix_sort_onesweep_config_selectorIddEEZZNS1_29radix_sort_onesweep_iterationIS3_Lb0EN6thrust23THRUST_200600_302600_NS6detail15normal_iteratorINS8_10device_ptrIdEEEESD_SD_SD_jNS0_19identity_decomposerENS1_16block_id_wrapperIjLb1EEEEE10hipError_tT1_PNSt15iterator_traitsISI_E10value_typeET2_T3_PNSJ_ISO_E10value_typeET4_T5_PST_SU_PNS1_23onesweep_lookback_stateEbbT6_jjT7_P12ihipStream_tbENKUlT_T0_SI_SN_E_clISD_PdSD_S15_EEDaS11_S12_SI_SN_EUlS11_E_NS1_11comp_targetILNS1_3genE6ELNS1_11target_archE950ELNS1_3gpuE13ELNS1_3repE0EEENS1_47radix_sort_onesweep_sort_config_static_selectorELNS0_4arch9wavefront6targetE1EEEvSI_
		.amdhsa_group_segment_fixed_size 53328
		.amdhsa_private_segment_fixed_size 48
		.amdhsa_kernarg_size 344
		.amdhsa_user_sgpr_count 4
		.amdhsa_user_sgpr_dispatch_ptr 1
		.amdhsa_user_sgpr_queue_ptr 0
		.amdhsa_user_sgpr_kernarg_segment_ptr 1
		.amdhsa_user_sgpr_dispatch_id 0
		.amdhsa_user_sgpr_kernarg_preload_length 0
		.amdhsa_user_sgpr_kernarg_preload_offset 0
		.amdhsa_user_sgpr_private_segment_size 0
		.amdhsa_uses_dynamic_stack 0
		.amdhsa_enable_private_segment 1
		.amdhsa_system_sgpr_workgroup_id_x 1
		.amdhsa_system_sgpr_workgroup_id_y 0
		.amdhsa_system_sgpr_workgroup_id_z 0
		.amdhsa_system_sgpr_workgroup_info 0
		.amdhsa_system_vgpr_workitem_id 2
		.amdhsa_next_free_vgpr 58
		.amdhsa_next_free_sgpr 59
		.amdhsa_accum_offset 60
		.amdhsa_reserve_vcc 1
		.amdhsa_float_round_mode_32 0
		.amdhsa_float_round_mode_16_64 0
		.amdhsa_float_denorm_mode_32 3
		.amdhsa_float_denorm_mode_16_64 3
		.amdhsa_dx10_clamp 1
		.amdhsa_ieee_mode 1
		.amdhsa_fp16_overflow 0
		.amdhsa_tg_split 0
		.amdhsa_exception_fp_ieee_invalid_op 0
		.amdhsa_exception_fp_denorm_src 0
		.amdhsa_exception_fp_ieee_div_zero 0
		.amdhsa_exception_fp_ieee_overflow 0
		.amdhsa_exception_fp_ieee_underflow 0
		.amdhsa_exception_fp_ieee_inexact 0
		.amdhsa_exception_int_div_zero 0
	.end_amdhsa_kernel
	.section	.text._ZN7rocprim17ROCPRIM_400000_NS6detail17trampoline_kernelINS0_14default_configENS1_35radix_sort_onesweep_config_selectorIddEEZZNS1_29radix_sort_onesweep_iterationIS3_Lb0EN6thrust23THRUST_200600_302600_NS6detail15normal_iteratorINS8_10device_ptrIdEEEESD_SD_SD_jNS0_19identity_decomposerENS1_16block_id_wrapperIjLb1EEEEE10hipError_tT1_PNSt15iterator_traitsISI_E10value_typeET2_T3_PNSJ_ISO_E10value_typeET4_T5_PST_SU_PNS1_23onesweep_lookback_stateEbbT6_jjT7_P12ihipStream_tbENKUlT_T0_SI_SN_E_clISD_PdSD_S15_EEDaS11_S12_SI_SN_EUlS11_E_NS1_11comp_targetILNS1_3genE6ELNS1_11target_archE950ELNS1_3gpuE13ELNS1_3repE0EEENS1_47radix_sort_onesweep_sort_config_static_selectorELNS0_4arch9wavefront6targetE1EEEvSI_,"axG",@progbits,_ZN7rocprim17ROCPRIM_400000_NS6detail17trampoline_kernelINS0_14default_configENS1_35radix_sort_onesweep_config_selectorIddEEZZNS1_29radix_sort_onesweep_iterationIS3_Lb0EN6thrust23THRUST_200600_302600_NS6detail15normal_iteratorINS8_10device_ptrIdEEEESD_SD_SD_jNS0_19identity_decomposerENS1_16block_id_wrapperIjLb1EEEEE10hipError_tT1_PNSt15iterator_traitsISI_E10value_typeET2_T3_PNSJ_ISO_E10value_typeET4_T5_PST_SU_PNS1_23onesweep_lookback_stateEbbT6_jjT7_P12ihipStream_tbENKUlT_T0_SI_SN_E_clISD_PdSD_S15_EEDaS11_S12_SI_SN_EUlS11_E_NS1_11comp_targetILNS1_3genE6ELNS1_11target_archE950ELNS1_3gpuE13ELNS1_3repE0EEENS1_47radix_sort_onesweep_sort_config_static_selectorELNS0_4arch9wavefront6targetE1EEEvSI_,comdat
.Lfunc_end119:
	.size	_ZN7rocprim17ROCPRIM_400000_NS6detail17trampoline_kernelINS0_14default_configENS1_35radix_sort_onesweep_config_selectorIddEEZZNS1_29radix_sort_onesweep_iterationIS3_Lb0EN6thrust23THRUST_200600_302600_NS6detail15normal_iteratorINS8_10device_ptrIdEEEESD_SD_SD_jNS0_19identity_decomposerENS1_16block_id_wrapperIjLb1EEEEE10hipError_tT1_PNSt15iterator_traitsISI_E10value_typeET2_T3_PNSJ_ISO_E10value_typeET4_T5_PST_SU_PNS1_23onesweep_lookback_stateEbbT6_jjT7_P12ihipStream_tbENKUlT_T0_SI_SN_E_clISD_PdSD_S15_EEDaS11_S12_SI_SN_EUlS11_E_NS1_11comp_targetILNS1_3genE6ELNS1_11target_archE950ELNS1_3gpuE13ELNS1_3repE0EEENS1_47radix_sort_onesweep_sort_config_static_selectorELNS0_4arch9wavefront6targetE1EEEvSI_, .Lfunc_end119-_ZN7rocprim17ROCPRIM_400000_NS6detail17trampoline_kernelINS0_14default_configENS1_35radix_sort_onesweep_config_selectorIddEEZZNS1_29radix_sort_onesweep_iterationIS3_Lb0EN6thrust23THRUST_200600_302600_NS6detail15normal_iteratorINS8_10device_ptrIdEEEESD_SD_SD_jNS0_19identity_decomposerENS1_16block_id_wrapperIjLb1EEEEE10hipError_tT1_PNSt15iterator_traitsISI_E10value_typeET2_T3_PNSJ_ISO_E10value_typeET4_T5_PST_SU_PNS1_23onesweep_lookback_stateEbbT6_jjT7_P12ihipStream_tbENKUlT_T0_SI_SN_E_clISD_PdSD_S15_EEDaS11_S12_SI_SN_EUlS11_E_NS1_11comp_targetILNS1_3genE6ELNS1_11target_archE950ELNS1_3gpuE13ELNS1_3repE0EEENS1_47radix_sort_onesweep_sort_config_static_selectorELNS0_4arch9wavefront6targetE1EEEvSI_
                                        ; -- End function
	.set _ZN7rocprim17ROCPRIM_400000_NS6detail17trampoline_kernelINS0_14default_configENS1_35radix_sort_onesweep_config_selectorIddEEZZNS1_29radix_sort_onesweep_iterationIS3_Lb0EN6thrust23THRUST_200600_302600_NS6detail15normal_iteratorINS8_10device_ptrIdEEEESD_SD_SD_jNS0_19identity_decomposerENS1_16block_id_wrapperIjLb1EEEEE10hipError_tT1_PNSt15iterator_traitsISI_E10value_typeET2_T3_PNSJ_ISO_E10value_typeET4_T5_PST_SU_PNS1_23onesweep_lookback_stateEbbT6_jjT7_P12ihipStream_tbENKUlT_T0_SI_SN_E_clISD_PdSD_S15_EEDaS11_S12_SI_SN_EUlS11_E_NS1_11comp_targetILNS1_3genE6ELNS1_11target_archE950ELNS1_3gpuE13ELNS1_3repE0EEENS1_47radix_sort_onesweep_sort_config_static_selectorELNS0_4arch9wavefront6targetE1EEEvSI_.num_vgpr, 58
	.set _ZN7rocprim17ROCPRIM_400000_NS6detail17trampoline_kernelINS0_14default_configENS1_35radix_sort_onesweep_config_selectorIddEEZZNS1_29radix_sort_onesweep_iterationIS3_Lb0EN6thrust23THRUST_200600_302600_NS6detail15normal_iteratorINS8_10device_ptrIdEEEESD_SD_SD_jNS0_19identity_decomposerENS1_16block_id_wrapperIjLb1EEEEE10hipError_tT1_PNSt15iterator_traitsISI_E10value_typeET2_T3_PNSJ_ISO_E10value_typeET4_T5_PST_SU_PNS1_23onesweep_lookback_stateEbbT6_jjT7_P12ihipStream_tbENKUlT_T0_SI_SN_E_clISD_PdSD_S15_EEDaS11_S12_SI_SN_EUlS11_E_NS1_11comp_targetILNS1_3genE6ELNS1_11target_archE950ELNS1_3gpuE13ELNS1_3repE0EEENS1_47radix_sort_onesweep_sort_config_static_selectorELNS0_4arch9wavefront6targetE1EEEvSI_.num_agpr, 0
	.set _ZN7rocprim17ROCPRIM_400000_NS6detail17trampoline_kernelINS0_14default_configENS1_35radix_sort_onesweep_config_selectorIddEEZZNS1_29radix_sort_onesweep_iterationIS3_Lb0EN6thrust23THRUST_200600_302600_NS6detail15normal_iteratorINS8_10device_ptrIdEEEESD_SD_SD_jNS0_19identity_decomposerENS1_16block_id_wrapperIjLb1EEEEE10hipError_tT1_PNSt15iterator_traitsISI_E10value_typeET2_T3_PNSJ_ISO_E10value_typeET4_T5_PST_SU_PNS1_23onesweep_lookback_stateEbbT6_jjT7_P12ihipStream_tbENKUlT_T0_SI_SN_E_clISD_PdSD_S15_EEDaS11_S12_SI_SN_EUlS11_E_NS1_11comp_targetILNS1_3genE6ELNS1_11target_archE950ELNS1_3gpuE13ELNS1_3repE0EEENS1_47radix_sort_onesweep_sort_config_static_selectorELNS0_4arch9wavefront6targetE1EEEvSI_.numbered_sgpr, 59
	.set _ZN7rocprim17ROCPRIM_400000_NS6detail17trampoline_kernelINS0_14default_configENS1_35radix_sort_onesweep_config_selectorIddEEZZNS1_29radix_sort_onesweep_iterationIS3_Lb0EN6thrust23THRUST_200600_302600_NS6detail15normal_iteratorINS8_10device_ptrIdEEEESD_SD_SD_jNS0_19identity_decomposerENS1_16block_id_wrapperIjLb1EEEEE10hipError_tT1_PNSt15iterator_traitsISI_E10value_typeET2_T3_PNSJ_ISO_E10value_typeET4_T5_PST_SU_PNS1_23onesweep_lookback_stateEbbT6_jjT7_P12ihipStream_tbENKUlT_T0_SI_SN_E_clISD_PdSD_S15_EEDaS11_S12_SI_SN_EUlS11_E_NS1_11comp_targetILNS1_3genE6ELNS1_11target_archE950ELNS1_3gpuE13ELNS1_3repE0EEENS1_47radix_sort_onesweep_sort_config_static_selectorELNS0_4arch9wavefront6targetE1EEEvSI_.num_named_barrier, 0
	.set _ZN7rocprim17ROCPRIM_400000_NS6detail17trampoline_kernelINS0_14default_configENS1_35radix_sort_onesweep_config_selectorIddEEZZNS1_29radix_sort_onesweep_iterationIS3_Lb0EN6thrust23THRUST_200600_302600_NS6detail15normal_iteratorINS8_10device_ptrIdEEEESD_SD_SD_jNS0_19identity_decomposerENS1_16block_id_wrapperIjLb1EEEEE10hipError_tT1_PNSt15iterator_traitsISI_E10value_typeET2_T3_PNSJ_ISO_E10value_typeET4_T5_PST_SU_PNS1_23onesweep_lookback_stateEbbT6_jjT7_P12ihipStream_tbENKUlT_T0_SI_SN_E_clISD_PdSD_S15_EEDaS11_S12_SI_SN_EUlS11_E_NS1_11comp_targetILNS1_3genE6ELNS1_11target_archE950ELNS1_3gpuE13ELNS1_3repE0EEENS1_47radix_sort_onesweep_sort_config_static_selectorELNS0_4arch9wavefront6targetE1EEEvSI_.private_seg_size, 48
	.set _ZN7rocprim17ROCPRIM_400000_NS6detail17trampoline_kernelINS0_14default_configENS1_35radix_sort_onesweep_config_selectorIddEEZZNS1_29radix_sort_onesweep_iterationIS3_Lb0EN6thrust23THRUST_200600_302600_NS6detail15normal_iteratorINS8_10device_ptrIdEEEESD_SD_SD_jNS0_19identity_decomposerENS1_16block_id_wrapperIjLb1EEEEE10hipError_tT1_PNSt15iterator_traitsISI_E10value_typeET2_T3_PNSJ_ISO_E10value_typeET4_T5_PST_SU_PNS1_23onesweep_lookback_stateEbbT6_jjT7_P12ihipStream_tbENKUlT_T0_SI_SN_E_clISD_PdSD_S15_EEDaS11_S12_SI_SN_EUlS11_E_NS1_11comp_targetILNS1_3genE6ELNS1_11target_archE950ELNS1_3gpuE13ELNS1_3repE0EEENS1_47radix_sort_onesweep_sort_config_static_selectorELNS0_4arch9wavefront6targetE1EEEvSI_.uses_vcc, 1
	.set _ZN7rocprim17ROCPRIM_400000_NS6detail17trampoline_kernelINS0_14default_configENS1_35radix_sort_onesweep_config_selectorIddEEZZNS1_29radix_sort_onesweep_iterationIS3_Lb0EN6thrust23THRUST_200600_302600_NS6detail15normal_iteratorINS8_10device_ptrIdEEEESD_SD_SD_jNS0_19identity_decomposerENS1_16block_id_wrapperIjLb1EEEEE10hipError_tT1_PNSt15iterator_traitsISI_E10value_typeET2_T3_PNSJ_ISO_E10value_typeET4_T5_PST_SU_PNS1_23onesweep_lookback_stateEbbT6_jjT7_P12ihipStream_tbENKUlT_T0_SI_SN_E_clISD_PdSD_S15_EEDaS11_S12_SI_SN_EUlS11_E_NS1_11comp_targetILNS1_3genE6ELNS1_11target_archE950ELNS1_3gpuE13ELNS1_3repE0EEENS1_47radix_sort_onesweep_sort_config_static_selectorELNS0_4arch9wavefront6targetE1EEEvSI_.uses_flat_scratch, 0
	.set _ZN7rocprim17ROCPRIM_400000_NS6detail17trampoline_kernelINS0_14default_configENS1_35radix_sort_onesweep_config_selectorIddEEZZNS1_29radix_sort_onesweep_iterationIS3_Lb0EN6thrust23THRUST_200600_302600_NS6detail15normal_iteratorINS8_10device_ptrIdEEEESD_SD_SD_jNS0_19identity_decomposerENS1_16block_id_wrapperIjLb1EEEEE10hipError_tT1_PNSt15iterator_traitsISI_E10value_typeET2_T3_PNSJ_ISO_E10value_typeET4_T5_PST_SU_PNS1_23onesweep_lookback_stateEbbT6_jjT7_P12ihipStream_tbENKUlT_T0_SI_SN_E_clISD_PdSD_S15_EEDaS11_S12_SI_SN_EUlS11_E_NS1_11comp_targetILNS1_3genE6ELNS1_11target_archE950ELNS1_3gpuE13ELNS1_3repE0EEENS1_47radix_sort_onesweep_sort_config_static_selectorELNS0_4arch9wavefront6targetE1EEEvSI_.has_dyn_sized_stack, 0
	.set _ZN7rocprim17ROCPRIM_400000_NS6detail17trampoline_kernelINS0_14default_configENS1_35radix_sort_onesweep_config_selectorIddEEZZNS1_29radix_sort_onesweep_iterationIS3_Lb0EN6thrust23THRUST_200600_302600_NS6detail15normal_iteratorINS8_10device_ptrIdEEEESD_SD_SD_jNS0_19identity_decomposerENS1_16block_id_wrapperIjLb1EEEEE10hipError_tT1_PNSt15iterator_traitsISI_E10value_typeET2_T3_PNSJ_ISO_E10value_typeET4_T5_PST_SU_PNS1_23onesweep_lookback_stateEbbT6_jjT7_P12ihipStream_tbENKUlT_T0_SI_SN_E_clISD_PdSD_S15_EEDaS11_S12_SI_SN_EUlS11_E_NS1_11comp_targetILNS1_3genE6ELNS1_11target_archE950ELNS1_3gpuE13ELNS1_3repE0EEENS1_47radix_sort_onesweep_sort_config_static_selectorELNS0_4arch9wavefront6targetE1EEEvSI_.has_recursion, 0
	.set _ZN7rocprim17ROCPRIM_400000_NS6detail17trampoline_kernelINS0_14default_configENS1_35radix_sort_onesweep_config_selectorIddEEZZNS1_29radix_sort_onesweep_iterationIS3_Lb0EN6thrust23THRUST_200600_302600_NS6detail15normal_iteratorINS8_10device_ptrIdEEEESD_SD_SD_jNS0_19identity_decomposerENS1_16block_id_wrapperIjLb1EEEEE10hipError_tT1_PNSt15iterator_traitsISI_E10value_typeET2_T3_PNSJ_ISO_E10value_typeET4_T5_PST_SU_PNS1_23onesweep_lookback_stateEbbT6_jjT7_P12ihipStream_tbENKUlT_T0_SI_SN_E_clISD_PdSD_S15_EEDaS11_S12_SI_SN_EUlS11_E_NS1_11comp_targetILNS1_3genE6ELNS1_11target_archE950ELNS1_3gpuE13ELNS1_3repE0EEENS1_47radix_sort_onesweep_sort_config_static_selectorELNS0_4arch9wavefront6targetE1EEEvSI_.has_indirect_call, 0
	.section	.AMDGPU.csdata,"",@progbits
; Kernel info:
; codeLenInByte = 13844
; TotalNumSgprs: 65
; NumVgprs: 58
; NumAgprs: 0
; TotalNumVgprs: 58
; ScratchSize: 48
; MemoryBound: 0
; FloatMode: 240
; IeeeMode: 1
; LDSByteSize: 53328 bytes/workgroup (compile time only)
; SGPRBlocks: 8
; VGPRBlocks: 7
; NumSGPRsForWavesPerEU: 65
; NumVGPRsForWavesPerEU: 58
; AccumOffset: 60
; Occupancy: 8
; WaveLimiterHint : 1
; COMPUTE_PGM_RSRC2:SCRATCH_EN: 1
; COMPUTE_PGM_RSRC2:USER_SGPR: 4
; COMPUTE_PGM_RSRC2:TRAP_HANDLER: 0
; COMPUTE_PGM_RSRC2:TGID_X_EN: 1
; COMPUTE_PGM_RSRC2:TGID_Y_EN: 0
; COMPUTE_PGM_RSRC2:TGID_Z_EN: 0
; COMPUTE_PGM_RSRC2:TIDIG_COMP_CNT: 2
; COMPUTE_PGM_RSRC3_GFX90A:ACCUM_OFFSET: 14
; COMPUTE_PGM_RSRC3_GFX90A:TG_SPLIT: 0
	.section	.text._ZN7rocprim17ROCPRIM_400000_NS6detail17trampoline_kernelINS0_14default_configENS1_35radix_sort_onesweep_config_selectorIddEEZZNS1_29radix_sort_onesweep_iterationIS3_Lb0EN6thrust23THRUST_200600_302600_NS6detail15normal_iteratorINS8_10device_ptrIdEEEESD_SD_SD_jNS0_19identity_decomposerENS1_16block_id_wrapperIjLb1EEEEE10hipError_tT1_PNSt15iterator_traitsISI_E10value_typeET2_T3_PNSJ_ISO_E10value_typeET4_T5_PST_SU_PNS1_23onesweep_lookback_stateEbbT6_jjT7_P12ihipStream_tbENKUlT_T0_SI_SN_E_clISD_PdSD_S15_EEDaS11_S12_SI_SN_EUlS11_E_NS1_11comp_targetILNS1_3genE5ELNS1_11target_archE942ELNS1_3gpuE9ELNS1_3repE0EEENS1_47radix_sort_onesweep_sort_config_static_selectorELNS0_4arch9wavefront6targetE1EEEvSI_,"axG",@progbits,_ZN7rocprim17ROCPRIM_400000_NS6detail17trampoline_kernelINS0_14default_configENS1_35radix_sort_onesweep_config_selectorIddEEZZNS1_29radix_sort_onesweep_iterationIS3_Lb0EN6thrust23THRUST_200600_302600_NS6detail15normal_iteratorINS8_10device_ptrIdEEEESD_SD_SD_jNS0_19identity_decomposerENS1_16block_id_wrapperIjLb1EEEEE10hipError_tT1_PNSt15iterator_traitsISI_E10value_typeET2_T3_PNSJ_ISO_E10value_typeET4_T5_PST_SU_PNS1_23onesweep_lookback_stateEbbT6_jjT7_P12ihipStream_tbENKUlT_T0_SI_SN_E_clISD_PdSD_S15_EEDaS11_S12_SI_SN_EUlS11_E_NS1_11comp_targetILNS1_3genE5ELNS1_11target_archE942ELNS1_3gpuE9ELNS1_3repE0EEENS1_47radix_sort_onesweep_sort_config_static_selectorELNS0_4arch9wavefront6targetE1EEEvSI_,comdat
	.protected	_ZN7rocprim17ROCPRIM_400000_NS6detail17trampoline_kernelINS0_14default_configENS1_35radix_sort_onesweep_config_selectorIddEEZZNS1_29radix_sort_onesweep_iterationIS3_Lb0EN6thrust23THRUST_200600_302600_NS6detail15normal_iteratorINS8_10device_ptrIdEEEESD_SD_SD_jNS0_19identity_decomposerENS1_16block_id_wrapperIjLb1EEEEE10hipError_tT1_PNSt15iterator_traitsISI_E10value_typeET2_T3_PNSJ_ISO_E10value_typeET4_T5_PST_SU_PNS1_23onesweep_lookback_stateEbbT6_jjT7_P12ihipStream_tbENKUlT_T0_SI_SN_E_clISD_PdSD_S15_EEDaS11_S12_SI_SN_EUlS11_E_NS1_11comp_targetILNS1_3genE5ELNS1_11target_archE942ELNS1_3gpuE9ELNS1_3repE0EEENS1_47radix_sort_onesweep_sort_config_static_selectorELNS0_4arch9wavefront6targetE1EEEvSI_ ; -- Begin function _ZN7rocprim17ROCPRIM_400000_NS6detail17trampoline_kernelINS0_14default_configENS1_35radix_sort_onesweep_config_selectorIddEEZZNS1_29radix_sort_onesweep_iterationIS3_Lb0EN6thrust23THRUST_200600_302600_NS6detail15normal_iteratorINS8_10device_ptrIdEEEESD_SD_SD_jNS0_19identity_decomposerENS1_16block_id_wrapperIjLb1EEEEE10hipError_tT1_PNSt15iterator_traitsISI_E10value_typeET2_T3_PNSJ_ISO_E10value_typeET4_T5_PST_SU_PNS1_23onesweep_lookback_stateEbbT6_jjT7_P12ihipStream_tbENKUlT_T0_SI_SN_E_clISD_PdSD_S15_EEDaS11_S12_SI_SN_EUlS11_E_NS1_11comp_targetILNS1_3genE5ELNS1_11target_archE942ELNS1_3gpuE9ELNS1_3repE0EEENS1_47radix_sort_onesweep_sort_config_static_selectorELNS0_4arch9wavefront6targetE1EEEvSI_
	.globl	_ZN7rocprim17ROCPRIM_400000_NS6detail17trampoline_kernelINS0_14default_configENS1_35radix_sort_onesweep_config_selectorIddEEZZNS1_29radix_sort_onesweep_iterationIS3_Lb0EN6thrust23THRUST_200600_302600_NS6detail15normal_iteratorINS8_10device_ptrIdEEEESD_SD_SD_jNS0_19identity_decomposerENS1_16block_id_wrapperIjLb1EEEEE10hipError_tT1_PNSt15iterator_traitsISI_E10value_typeET2_T3_PNSJ_ISO_E10value_typeET4_T5_PST_SU_PNS1_23onesweep_lookback_stateEbbT6_jjT7_P12ihipStream_tbENKUlT_T0_SI_SN_E_clISD_PdSD_S15_EEDaS11_S12_SI_SN_EUlS11_E_NS1_11comp_targetILNS1_3genE5ELNS1_11target_archE942ELNS1_3gpuE9ELNS1_3repE0EEENS1_47radix_sort_onesweep_sort_config_static_selectorELNS0_4arch9wavefront6targetE1EEEvSI_
	.p2align	8
	.type	_ZN7rocprim17ROCPRIM_400000_NS6detail17trampoline_kernelINS0_14default_configENS1_35radix_sort_onesweep_config_selectorIddEEZZNS1_29radix_sort_onesweep_iterationIS3_Lb0EN6thrust23THRUST_200600_302600_NS6detail15normal_iteratorINS8_10device_ptrIdEEEESD_SD_SD_jNS0_19identity_decomposerENS1_16block_id_wrapperIjLb1EEEEE10hipError_tT1_PNSt15iterator_traitsISI_E10value_typeET2_T3_PNSJ_ISO_E10value_typeET4_T5_PST_SU_PNS1_23onesweep_lookback_stateEbbT6_jjT7_P12ihipStream_tbENKUlT_T0_SI_SN_E_clISD_PdSD_S15_EEDaS11_S12_SI_SN_EUlS11_E_NS1_11comp_targetILNS1_3genE5ELNS1_11target_archE942ELNS1_3gpuE9ELNS1_3repE0EEENS1_47radix_sort_onesweep_sort_config_static_selectorELNS0_4arch9wavefront6targetE1EEEvSI_,@function
_ZN7rocprim17ROCPRIM_400000_NS6detail17trampoline_kernelINS0_14default_configENS1_35radix_sort_onesweep_config_selectorIddEEZZNS1_29radix_sort_onesweep_iterationIS3_Lb0EN6thrust23THRUST_200600_302600_NS6detail15normal_iteratorINS8_10device_ptrIdEEEESD_SD_SD_jNS0_19identity_decomposerENS1_16block_id_wrapperIjLb1EEEEE10hipError_tT1_PNSt15iterator_traitsISI_E10value_typeET2_T3_PNSJ_ISO_E10value_typeET4_T5_PST_SU_PNS1_23onesweep_lookback_stateEbbT6_jjT7_P12ihipStream_tbENKUlT_T0_SI_SN_E_clISD_PdSD_S15_EEDaS11_S12_SI_SN_EUlS11_E_NS1_11comp_targetILNS1_3genE5ELNS1_11target_archE942ELNS1_3gpuE9ELNS1_3repE0EEENS1_47radix_sort_onesweep_sort_config_static_selectorELNS0_4arch9wavefront6targetE1EEEvSI_: ; @_ZN7rocprim17ROCPRIM_400000_NS6detail17trampoline_kernelINS0_14default_configENS1_35radix_sort_onesweep_config_selectorIddEEZZNS1_29radix_sort_onesweep_iterationIS3_Lb0EN6thrust23THRUST_200600_302600_NS6detail15normal_iteratorINS8_10device_ptrIdEEEESD_SD_SD_jNS0_19identity_decomposerENS1_16block_id_wrapperIjLb1EEEEE10hipError_tT1_PNSt15iterator_traitsISI_E10value_typeET2_T3_PNSJ_ISO_E10value_typeET4_T5_PST_SU_PNS1_23onesweep_lookback_stateEbbT6_jjT7_P12ihipStream_tbENKUlT_T0_SI_SN_E_clISD_PdSD_S15_EEDaS11_S12_SI_SN_EUlS11_E_NS1_11comp_targetILNS1_3genE5ELNS1_11target_archE942ELNS1_3gpuE9ELNS1_3repE0EEENS1_47radix_sort_onesweep_sort_config_static_selectorELNS0_4arch9wavefront6targetE1EEEvSI_
; %bb.0:
	.section	.rodata,"a",@progbits
	.p2align	6, 0x0
	.amdhsa_kernel _ZN7rocprim17ROCPRIM_400000_NS6detail17trampoline_kernelINS0_14default_configENS1_35radix_sort_onesweep_config_selectorIddEEZZNS1_29radix_sort_onesweep_iterationIS3_Lb0EN6thrust23THRUST_200600_302600_NS6detail15normal_iteratorINS8_10device_ptrIdEEEESD_SD_SD_jNS0_19identity_decomposerENS1_16block_id_wrapperIjLb1EEEEE10hipError_tT1_PNSt15iterator_traitsISI_E10value_typeET2_T3_PNSJ_ISO_E10value_typeET4_T5_PST_SU_PNS1_23onesweep_lookback_stateEbbT6_jjT7_P12ihipStream_tbENKUlT_T0_SI_SN_E_clISD_PdSD_S15_EEDaS11_S12_SI_SN_EUlS11_E_NS1_11comp_targetILNS1_3genE5ELNS1_11target_archE942ELNS1_3gpuE9ELNS1_3repE0EEENS1_47radix_sort_onesweep_sort_config_static_selectorELNS0_4arch9wavefront6targetE1EEEvSI_
		.amdhsa_group_segment_fixed_size 0
		.amdhsa_private_segment_fixed_size 0
		.amdhsa_kernarg_size 88
		.amdhsa_user_sgpr_count 2
		.amdhsa_user_sgpr_dispatch_ptr 0
		.amdhsa_user_sgpr_queue_ptr 0
		.amdhsa_user_sgpr_kernarg_segment_ptr 1
		.amdhsa_user_sgpr_dispatch_id 0
		.amdhsa_user_sgpr_kernarg_preload_length 0
		.amdhsa_user_sgpr_kernarg_preload_offset 0
		.amdhsa_user_sgpr_private_segment_size 0
		.amdhsa_uses_dynamic_stack 0
		.amdhsa_enable_private_segment 0
		.amdhsa_system_sgpr_workgroup_id_x 1
		.amdhsa_system_sgpr_workgroup_id_y 0
		.amdhsa_system_sgpr_workgroup_id_z 0
		.amdhsa_system_sgpr_workgroup_info 0
		.amdhsa_system_vgpr_workitem_id 0
		.amdhsa_next_free_vgpr 1
		.amdhsa_next_free_sgpr 0
		.amdhsa_accum_offset 4
		.amdhsa_reserve_vcc 0
		.amdhsa_float_round_mode_32 0
		.amdhsa_float_round_mode_16_64 0
		.amdhsa_float_denorm_mode_32 3
		.amdhsa_float_denorm_mode_16_64 3
		.amdhsa_dx10_clamp 1
		.amdhsa_ieee_mode 1
		.amdhsa_fp16_overflow 0
		.amdhsa_tg_split 0
		.amdhsa_exception_fp_ieee_invalid_op 0
		.amdhsa_exception_fp_denorm_src 0
		.amdhsa_exception_fp_ieee_div_zero 0
		.amdhsa_exception_fp_ieee_overflow 0
		.amdhsa_exception_fp_ieee_underflow 0
		.amdhsa_exception_fp_ieee_inexact 0
		.amdhsa_exception_int_div_zero 0
	.end_amdhsa_kernel
	.section	.text._ZN7rocprim17ROCPRIM_400000_NS6detail17trampoline_kernelINS0_14default_configENS1_35radix_sort_onesweep_config_selectorIddEEZZNS1_29radix_sort_onesweep_iterationIS3_Lb0EN6thrust23THRUST_200600_302600_NS6detail15normal_iteratorINS8_10device_ptrIdEEEESD_SD_SD_jNS0_19identity_decomposerENS1_16block_id_wrapperIjLb1EEEEE10hipError_tT1_PNSt15iterator_traitsISI_E10value_typeET2_T3_PNSJ_ISO_E10value_typeET4_T5_PST_SU_PNS1_23onesweep_lookback_stateEbbT6_jjT7_P12ihipStream_tbENKUlT_T0_SI_SN_E_clISD_PdSD_S15_EEDaS11_S12_SI_SN_EUlS11_E_NS1_11comp_targetILNS1_3genE5ELNS1_11target_archE942ELNS1_3gpuE9ELNS1_3repE0EEENS1_47radix_sort_onesweep_sort_config_static_selectorELNS0_4arch9wavefront6targetE1EEEvSI_,"axG",@progbits,_ZN7rocprim17ROCPRIM_400000_NS6detail17trampoline_kernelINS0_14default_configENS1_35radix_sort_onesweep_config_selectorIddEEZZNS1_29radix_sort_onesweep_iterationIS3_Lb0EN6thrust23THRUST_200600_302600_NS6detail15normal_iteratorINS8_10device_ptrIdEEEESD_SD_SD_jNS0_19identity_decomposerENS1_16block_id_wrapperIjLb1EEEEE10hipError_tT1_PNSt15iterator_traitsISI_E10value_typeET2_T3_PNSJ_ISO_E10value_typeET4_T5_PST_SU_PNS1_23onesweep_lookback_stateEbbT6_jjT7_P12ihipStream_tbENKUlT_T0_SI_SN_E_clISD_PdSD_S15_EEDaS11_S12_SI_SN_EUlS11_E_NS1_11comp_targetILNS1_3genE5ELNS1_11target_archE942ELNS1_3gpuE9ELNS1_3repE0EEENS1_47radix_sort_onesweep_sort_config_static_selectorELNS0_4arch9wavefront6targetE1EEEvSI_,comdat
.Lfunc_end120:
	.size	_ZN7rocprim17ROCPRIM_400000_NS6detail17trampoline_kernelINS0_14default_configENS1_35radix_sort_onesweep_config_selectorIddEEZZNS1_29radix_sort_onesweep_iterationIS3_Lb0EN6thrust23THRUST_200600_302600_NS6detail15normal_iteratorINS8_10device_ptrIdEEEESD_SD_SD_jNS0_19identity_decomposerENS1_16block_id_wrapperIjLb1EEEEE10hipError_tT1_PNSt15iterator_traitsISI_E10value_typeET2_T3_PNSJ_ISO_E10value_typeET4_T5_PST_SU_PNS1_23onesweep_lookback_stateEbbT6_jjT7_P12ihipStream_tbENKUlT_T0_SI_SN_E_clISD_PdSD_S15_EEDaS11_S12_SI_SN_EUlS11_E_NS1_11comp_targetILNS1_3genE5ELNS1_11target_archE942ELNS1_3gpuE9ELNS1_3repE0EEENS1_47radix_sort_onesweep_sort_config_static_selectorELNS0_4arch9wavefront6targetE1EEEvSI_, .Lfunc_end120-_ZN7rocprim17ROCPRIM_400000_NS6detail17trampoline_kernelINS0_14default_configENS1_35radix_sort_onesweep_config_selectorIddEEZZNS1_29radix_sort_onesweep_iterationIS3_Lb0EN6thrust23THRUST_200600_302600_NS6detail15normal_iteratorINS8_10device_ptrIdEEEESD_SD_SD_jNS0_19identity_decomposerENS1_16block_id_wrapperIjLb1EEEEE10hipError_tT1_PNSt15iterator_traitsISI_E10value_typeET2_T3_PNSJ_ISO_E10value_typeET4_T5_PST_SU_PNS1_23onesweep_lookback_stateEbbT6_jjT7_P12ihipStream_tbENKUlT_T0_SI_SN_E_clISD_PdSD_S15_EEDaS11_S12_SI_SN_EUlS11_E_NS1_11comp_targetILNS1_3genE5ELNS1_11target_archE942ELNS1_3gpuE9ELNS1_3repE0EEENS1_47radix_sort_onesweep_sort_config_static_selectorELNS0_4arch9wavefront6targetE1EEEvSI_
                                        ; -- End function
	.set _ZN7rocprim17ROCPRIM_400000_NS6detail17trampoline_kernelINS0_14default_configENS1_35radix_sort_onesweep_config_selectorIddEEZZNS1_29radix_sort_onesweep_iterationIS3_Lb0EN6thrust23THRUST_200600_302600_NS6detail15normal_iteratorINS8_10device_ptrIdEEEESD_SD_SD_jNS0_19identity_decomposerENS1_16block_id_wrapperIjLb1EEEEE10hipError_tT1_PNSt15iterator_traitsISI_E10value_typeET2_T3_PNSJ_ISO_E10value_typeET4_T5_PST_SU_PNS1_23onesweep_lookback_stateEbbT6_jjT7_P12ihipStream_tbENKUlT_T0_SI_SN_E_clISD_PdSD_S15_EEDaS11_S12_SI_SN_EUlS11_E_NS1_11comp_targetILNS1_3genE5ELNS1_11target_archE942ELNS1_3gpuE9ELNS1_3repE0EEENS1_47radix_sort_onesweep_sort_config_static_selectorELNS0_4arch9wavefront6targetE1EEEvSI_.num_vgpr, 0
	.set _ZN7rocprim17ROCPRIM_400000_NS6detail17trampoline_kernelINS0_14default_configENS1_35radix_sort_onesweep_config_selectorIddEEZZNS1_29radix_sort_onesweep_iterationIS3_Lb0EN6thrust23THRUST_200600_302600_NS6detail15normal_iteratorINS8_10device_ptrIdEEEESD_SD_SD_jNS0_19identity_decomposerENS1_16block_id_wrapperIjLb1EEEEE10hipError_tT1_PNSt15iterator_traitsISI_E10value_typeET2_T3_PNSJ_ISO_E10value_typeET4_T5_PST_SU_PNS1_23onesweep_lookback_stateEbbT6_jjT7_P12ihipStream_tbENKUlT_T0_SI_SN_E_clISD_PdSD_S15_EEDaS11_S12_SI_SN_EUlS11_E_NS1_11comp_targetILNS1_3genE5ELNS1_11target_archE942ELNS1_3gpuE9ELNS1_3repE0EEENS1_47radix_sort_onesweep_sort_config_static_selectorELNS0_4arch9wavefront6targetE1EEEvSI_.num_agpr, 0
	.set _ZN7rocprim17ROCPRIM_400000_NS6detail17trampoline_kernelINS0_14default_configENS1_35radix_sort_onesweep_config_selectorIddEEZZNS1_29radix_sort_onesweep_iterationIS3_Lb0EN6thrust23THRUST_200600_302600_NS6detail15normal_iteratorINS8_10device_ptrIdEEEESD_SD_SD_jNS0_19identity_decomposerENS1_16block_id_wrapperIjLb1EEEEE10hipError_tT1_PNSt15iterator_traitsISI_E10value_typeET2_T3_PNSJ_ISO_E10value_typeET4_T5_PST_SU_PNS1_23onesweep_lookback_stateEbbT6_jjT7_P12ihipStream_tbENKUlT_T0_SI_SN_E_clISD_PdSD_S15_EEDaS11_S12_SI_SN_EUlS11_E_NS1_11comp_targetILNS1_3genE5ELNS1_11target_archE942ELNS1_3gpuE9ELNS1_3repE0EEENS1_47radix_sort_onesweep_sort_config_static_selectorELNS0_4arch9wavefront6targetE1EEEvSI_.numbered_sgpr, 0
	.set _ZN7rocprim17ROCPRIM_400000_NS6detail17trampoline_kernelINS0_14default_configENS1_35radix_sort_onesweep_config_selectorIddEEZZNS1_29radix_sort_onesweep_iterationIS3_Lb0EN6thrust23THRUST_200600_302600_NS6detail15normal_iteratorINS8_10device_ptrIdEEEESD_SD_SD_jNS0_19identity_decomposerENS1_16block_id_wrapperIjLb1EEEEE10hipError_tT1_PNSt15iterator_traitsISI_E10value_typeET2_T3_PNSJ_ISO_E10value_typeET4_T5_PST_SU_PNS1_23onesweep_lookback_stateEbbT6_jjT7_P12ihipStream_tbENKUlT_T0_SI_SN_E_clISD_PdSD_S15_EEDaS11_S12_SI_SN_EUlS11_E_NS1_11comp_targetILNS1_3genE5ELNS1_11target_archE942ELNS1_3gpuE9ELNS1_3repE0EEENS1_47radix_sort_onesweep_sort_config_static_selectorELNS0_4arch9wavefront6targetE1EEEvSI_.num_named_barrier, 0
	.set _ZN7rocprim17ROCPRIM_400000_NS6detail17trampoline_kernelINS0_14default_configENS1_35radix_sort_onesweep_config_selectorIddEEZZNS1_29radix_sort_onesweep_iterationIS3_Lb0EN6thrust23THRUST_200600_302600_NS6detail15normal_iteratorINS8_10device_ptrIdEEEESD_SD_SD_jNS0_19identity_decomposerENS1_16block_id_wrapperIjLb1EEEEE10hipError_tT1_PNSt15iterator_traitsISI_E10value_typeET2_T3_PNSJ_ISO_E10value_typeET4_T5_PST_SU_PNS1_23onesweep_lookback_stateEbbT6_jjT7_P12ihipStream_tbENKUlT_T0_SI_SN_E_clISD_PdSD_S15_EEDaS11_S12_SI_SN_EUlS11_E_NS1_11comp_targetILNS1_3genE5ELNS1_11target_archE942ELNS1_3gpuE9ELNS1_3repE0EEENS1_47radix_sort_onesweep_sort_config_static_selectorELNS0_4arch9wavefront6targetE1EEEvSI_.private_seg_size, 0
	.set _ZN7rocprim17ROCPRIM_400000_NS6detail17trampoline_kernelINS0_14default_configENS1_35radix_sort_onesweep_config_selectorIddEEZZNS1_29radix_sort_onesweep_iterationIS3_Lb0EN6thrust23THRUST_200600_302600_NS6detail15normal_iteratorINS8_10device_ptrIdEEEESD_SD_SD_jNS0_19identity_decomposerENS1_16block_id_wrapperIjLb1EEEEE10hipError_tT1_PNSt15iterator_traitsISI_E10value_typeET2_T3_PNSJ_ISO_E10value_typeET4_T5_PST_SU_PNS1_23onesweep_lookback_stateEbbT6_jjT7_P12ihipStream_tbENKUlT_T0_SI_SN_E_clISD_PdSD_S15_EEDaS11_S12_SI_SN_EUlS11_E_NS1_11comp_targetILNS1_3genE5ELNS1_11target_archE942ELNS1_3gpuE9ELNS1_3repE0EEENS1_47radix_sort_onesweep_sort_config_static_selectorELNS0_4arch9wavefront6targetE1EEEvSI_.uses_vcc, 0
	.set _ZN7rocprim17ROCPRIM_400000_NS6detail17trampoline_kernelINS0_14default_configENS1_35radix_sort_onesweep_config_selectorIddEEZZNS1_29radix_sort_onesweep_iterationIS3_Lb0EN6thrust23THRUST_200600_302600_NS6detail15normal_iteratorINS8_10device_ptrIdEEEESD_SD_SD_jNS0_19identity_decomposerENS1_16block_id_wrapperIjLb1EEEEE10hipError_tT1_PNSt15iterator_traitsISI_E10value_typeET2_T3_PNSJ_ISO_E10value_typeET4_T5_PST_SU_PNS1_23onesweep_lookback_stateEbbT6_jjT7_P12ihipStream_tbENKUlT_T0_SI_SN_E_clISD_PdSD_S15_EEDaS11_S12_SI_SN_EUlS11_E_NS1_11comp_targetILNS1_3genE5ELNS1_11target_archE942ELNS1_3gpuE9ELNS1_3repE0EEENS1_47radix_sort_onesweep_sort_config_static_selectorELNS0_4arch9wavefront6targetE1EEEvSI_.uses_flat_scratch, 0
	.set _ZN7rocprim17ROCPRIM_400000_NS6detail17trampoline_kernelINS0_14default_configENS1_35radix_sort_onesweep_config_selectorIddEEZZNS1_29radix_sort_onesweep_iterationIS3_Lb0EN6thrust23THRUST_200600_302600_NS6detail15normal_iteratorINS8_10device_ptrIdEEEESD_SD_SD_jNS0_19identity_decomposerENS1_16block_id_wrapperIjLb1EEEEE10hipError_tT1_PNSt15iterator_traitsISI_E10value_typeET2_T3_PNSJ_ISO_E10value_typeET4_T5_PST_SU_PNS1_23onesweep_lookback_stateEbbT6_jjT7_P12ihipStream_tbENKUlT_T0_SI_SN_E_clISD_PdSD_S15_EEDaS11_S12_SI_SN_EUlS11_E_NS1_11comp_targetILNS1_3genE5ELNS1_11target_archE942ELNS1_3gpuE9ELNS1_3repE0EEENS1_47radix_sort_onesweep_sort_config_static_selectorELNS0_4arch9wavefront6targetE1EEEvSI_.has_dyn_sized_stack, 0
	.set _ZN7rocprim17ROCPRIM_400000_NS6detail17trampoline_kernelINS0_14default_configENS1_35radix_sort_onesweep_config_selectorIddEEZZNS1_29radix_sort_onesweep_iterationIS3_Lb0EN6thrust23THRUST_200600_302600_NS6detail15normal_iteratorINS8_10device_ptrIdEEEESD_SD_SD_jNS0_19identity_decomposerENS1_16block_id_wrapperIjLb1EEEEE10hipError_tT1_PNSt15iterator_traitsISI_E10value_typeET2_T3_PNSJ_ISO_E10value_typeET4_T5_PST_SU_PNS1_23onesweep_lookback_stateEbbT6_jjT7_P12ihipStream_tbENKUlT_T0_SI_SN_E_clISD_PdSD_S15_EEDaS11_S12_SI_SN_EUlS11_E_NS1_11comp_targetILNS1_3genE5ELNS1_11target_archE942ELNS1_3gpuE9ELNS1_3repE0EEENS1_47radix_sort_onesweep_sort_config_static_selectorELNS0_4arch9wavefront6targetE1EEEvSI_.has_recursion, 0
	.set _ZN7rocprim17ROCPRIM_400000_NS6detail17trampoline_kernelINS0_14default_configENS1_35radix_sort_onesweep_config_selectorIddEEZZNS1_29radix_sort_onesweep_iterationIS3_Lb0EN6thrust23THRUST_200600_302600_NS6detail15normal_iteratorINS8_10device_ptrIdEEEESD_SD_SD_jNS0_19identity_decomposerENS1_16block_id_wrapperIjLb1EEEEE10hipError_tT1_PNSt15iterator_traitsISI_E10value_typeET2_T3_PNSJ_ISO_E10value_typeET4_T5_PST_SU_PNS1_23onesweep_lookback_stateEbbT6_jjT7_P12ihipStream_tbENKUlT_T0_SI_SN_E_clISD_PdSD_S15_EEDaS11_S12_SI_SN_EUlS11_E_NS1_11comp_targetILNS1_3genE5ELNS1_11target_archE942ELNS1_3gpuE9ELNS1_3repE0EEENS1_47radix_sort_onesweep_sort_config_static_selectorELNS0_4arch9wavefront6targetE1EEEvSI_.has_indirect_call, 0
	.section	.AMDGPU.csdata,"",@progbits
; Kernel info:
; codeLenInByte = 0
; TotalNumSgprs: 6
; NumVgprs: 0
; NumAgprs: 0
; TotalNumVgprs: 0
; ScratchSize: 0
; MemoryBound: 0
; FloatMode: 240
; IeeeMode: 1
; LDSByteSize: 0 bytes/workgroup (compile time only)
; SGPRBlocks: 0
; VGPRBlocks: 0
; NumSGPRsForWavesPerEU: 6
; NumVGPRsForWavesPerEU: 1
; AccumOffset: 4
; Occupancy: 8
; WaveLimiterHint : 0
; COMPUTE_PGM_RSRC2:SCRATCH_EN: 0
; COMPUTE_PGM_RSRC2:USER_SGPR: 2
; COMPUTE_PGM_RSRC2:TRAP_HANDLER: 0
; COMPUTE_PGM_RSRC2:TGID_X_EN: 1
; COMPUTE_PGM_RSRC2:TGID_Y_EN: 0
; COMPUTE_PGM_RSRC2:TGID_Z_EN: 0
; COMPUTE_PGM_RSRC2:TIDIG_COMP_CNT: 0
; COMPUTE_PGM_RSRC3_GFX90A:ACCUM_OFFSET: 0
; COMPUTE_PGM_RSRC3_GFX90A:TG_SPLIT: 0
	.section	.text._ZN7rocprim17ROCPRIM_400000_NS6detail17trampoline_kernelINS0_14default_configENS1_35radix_sort_onesweep_config_selectorIddEEZZNS1_29radix_sort_onesweep_iterationIS3_Lb0EN6thrust23THRUST_200600_302600_NS6detail15normal_iteratorINS8_10device_ptrIdEEEESD_SD_SD_jNS0_19identity_decomposerENS1_16block_id_wrapperIjLb1EEEEE10hipError_tT1_PNSt15iterator_traitsISI_E10value_typeET2_T3_PNSJ_ISO_E10value_typeET4_T5_PST_SU_PNS1_23onesweep_lookback_stateEbbT6_jjT7_P12ihipStream_tbENKUlT_T0_SI_SN_E_clISD_PdSD_S15_EEDaS11_S12_SI_SN_EUlS11_E_NS1_11comp_targetILNS1_3genE2ELNS1_11target_archE906ELNS1_3gpuE6ELNS1_3repE0EEENS1_47radix_sort_onesweep_sort_config_static_selectorELNS0_4arch9wavefront6targetE1EEEvSI_,"axG",@progbits,_ZN7rocprim17ROCPRIM_400000_NS6detail17trampoline_kernelINS0_14default_configENS1_35radix_sort_onesweep_config_selectorIddEEZZNS1_29radix_sort_onesweep_iterationIS3_Lb0EN6thrust23THRUST_200600_302600_NS6detail15normal_iteratorINS8_10device_ptrIdEEEESD_SD_SD_jNS0_19identity_decomposerENS1_16block_id_wrapperIjLb1EEEEE10hipError_tT1_PNSt15iterator_traitsISI_E10value_typeET2_T3_PNSJ_ISO_E10value_typeET4_T5_PST_SU_PNS1_23onesweep_lookback_stateEbbT6_jjT7_P12ihipStream_tbENKUlT_T0_SI_SN_E_clISD_PdSD_S15_EEDaS11_S12_SI_SN_EUlS11_E_NS1_11comp_targetILNS1_3genE2ELNS1_11target_archE906ELNS1_3gpuE6ELNS1_3repE0EEENS1_47radix_sort_onesweep_sort_config_static_selectorELNS0_4arch9wavefront6targetE1EEEvSI_,comdat
	.protected	_ZN7rocprim17ROCPRIM_400000_NS6detail17trampoline_kernelINS0_14default_configENS1_35radix_sort_onesweep_config_selectorIddEEZZNS1_29radix_sort_onesweep_iterationIS3_Lb0EN6thrust23THRUST_200600_302600_NS6detail15normal_iteratorINS8_10device_ptrIdEEEESD_SD_SD_jNS0_19identity_decomposerENS1_16block_id_wrapperIjLb1EEEEE10hipError_tT1_PNSt15iterator_traitsISI_E10value_typeET2_T3_PNSJ_ISO_E10value_typeET4_T5_PST_SU_PNS1_23onesweep_lookback_stateEbbT6_jjT7_P12ihipStream_tbENKUlT_T0_SI_SN_E_clISD_PdSD_S15_EEDaS11_S12_SI_SN_EUlS11_E_NS1_11comp_targetILNS1_3genE2ELNS1_11target_archE906ELNS1_3gpuE6ELNS1_3repE0EEENS1_47radix_sort_onesweep_sort_config_static_selectorELNS0_4arch9wavefront6targetE1EEEvSI_ ; -- Begin function _ZN7rocprim17ROCPRIM_400000_NS6detail17trampoline_kernelINS0_14default_configENS1_35radix_sort_onesweep_config_selectorIddEEZZNS1_29radix_sort_onesweep_iterationIS3_Lb0EN6thrust23THRUST_200600_302600_NS6detail15normal_iteratorINS8_10device_ptrIdEEEESD_SD_SD_jNS0_19identity_decomposerENS1_16block_id_wrapperIjLb1EEEEE10hipError_tT1_PNSt15iterator_traitsISI_E10value_typeET2_T3_PNSJ_ISO_E10value_typeET4_T5_PST_SU_PNS1_23onesweep_lookback_stateEbbT6_jjT7_P12ihipStream_tbENKUlT_T0_SI_SN_E_clISD_PdSD_S15_EEDaS11_S12_SI_SN_EUlS11_E_NS1_11comp_targetILNS1_3genE2ELNS1_11target_archE906ELNS1_3gpuE6ELNS1_3repE0EEENS1_47radix_sort_onesweep_sort_config_static_selectorELNS0_4arch9wavefront6targetE1EEEvSI_
	.globl	_ZN7rocprim17ROCPRIM_400000_NS6detail17trampoline_kernelINS0_14default_configENS1_35radix_sort_onesweep_config_selectorIddEEZZNS1_29radix_sort_onesweep_iterationIS3_Lb0EN6thrust23THRUST_200600_302600_NS6detail15normal_iteratorINS8_10device_ptrIdEEEESD_SD_SD_jNS0_19identity_decomposerENS1_16block_id_wrapperIjLb1EEEEE10hipError_tT1_PNSt15iterator_traitsISI_E10value_typeET2_T3_PNSJ_ISO_E10value_typeET4_T5_PST_SU_PNS1_23onesweep_lookback_stateEbbT6_jjT7_P12ihipStream_tbENKUlT_T0_SI_SN_E_clISD_PdSD_S15_EEDaS11_S12_SI_SN_EUlS11_E_NS1_11comp_targetILNS1_3genE2ELNS1_11target_archE906ELNS1_3gpuE6ELNS1_3repE0EEENS1_47radix_sort_onesweep_sort_config_static_selectorELNS0_4arch9wavefront6targetE1EEEvSI_
	.p2align	8
	.type	_ZN7rocprim17ROCPRIM_400000_NS6detail17trampoline_kernelINS0_14default_configENS1_35radix_sort_onesweep_config_selectorIddEEZZNS1_29radix_sort_onesweep_iterationIS3_Lb0EN6thrust23THRUST_200600_302600_NS6detail15normal_iteratorINS8_10device_ptrIdEEEESD_SD_SD_jNS0_19identity_decomposerENS1_16block_id_wrapperIjLb1EEEEE10hipError_tT1_PNSt15iterator_traitsISI_E10value_typeET2_T3_PNSJ_ISO_E10value_typeET4_T5_PST_SU_PNS1_23onesweep_lookback_stateEbbT6_jjT7_P12ihipStream_tbENKUlT_T0_SI_SN_E_clISD_PdSD_S15_EEDaS11_S12_SI_SN_EUlS11_E_NS1_11comp_targetILNS1_3genE2ELNS1_11target_archE906ELNS1_3gpuE6ELNS1_3repE0EEENS1_47radix_sort_onesweep_sort_config_static_selectorELNS0_4arch9wavefront6targetE1EEEvSI_,@function
_ZN7rocprim17ROCPRIM_400000_NS6detail17trampoline_kernelINS0_14default_configENS1_35radix_sort_onesweep_config_selectorIddEEZZNS1_29radix_sort_onesweep_iterationIS3_Lb0EN6thrust23THRUST_200600_302600_NS6detail15normal_iteratorINS8_10device_ptrIdEEEESD_SD_SD_jNS0_19identity_decomposerENS1_16block_id_wrapperIjLb1EEEEE10hipError_tT1_PNSt15iterator_traitsISI_E10value_typeET2_T3_PNSJ_ISO_E10value_typeET4_T5_PST_SU_PNS1_23onesweep_lookback_stateEbbT6_jjT7_P12ihipStream_tbENKUlT_T0_SI_SN_E_clISD_PdSD_S15_EEDaS11_S12_SI_SN_EUlS11_E_NS1_11comp_targetILNS1_3genE2ELNS1_11target_archE906ELNS1_3gpuE6ELNS1_3repE0EEENS1_47radix_sort_onesweep_sort_config_static_selectorELNS0_4arch9wavefront6targetE1EEEvSI_: ; @_ZN7rocprim17ROCPRIM_400000_NS6detail17trampoline_kernelINS0_14default_configENS1_35radix_sort_onesweep_config_selectorIddEEZZNS1_29radix_sort_onesweep_iterationIS3_Lb0EN6thrust23THRUST_200600_302600_NS6detail15normal_iteratorINS8_10device_ptrIdEEEESD_SD_SD_jNS0_19identity_decomposerENS1_16block_id_wrapperIjLb1EEEEE10hipError_tT1_PNSt15iterator_traitsISI_E10value_typeET2_T3_PNSJ_ISO_E10value_typeET4_T5_PST_SU_PNS1_23onesweep_lookback_stateEbbT6_jjT7_P12ihipStream_tbENKUlT_T0_SI_SN_E_clISD_PdSD_S15_EEDaS11_S12_SI_SN_EUlS11_E_NS1_11comp_targetILNS1_3genE2ELNS1_11target_archE906ELNS1_3gpuE6ELNS1_3repE0EEENS1_47radix_sort_onesweep_sort_config_static_selectorELNS0_4arch9wavefront6targetE1EEEvSI_
; %bb.0:
	.section	.rodata,"a",@progbits
	.p2align	6, 0x0
	.amdhsa_kernel _ZN7rocprim17ROCPRIM_400000_NS6detail17trampoline_kernelINS0_14default_configENS1_35radix_sort_onesweep_config_selectorIddEEZZNS1_29radix_sort_onesweep_iterationIS3_Lb0EN6thrust23THRUST_200600_302600_NS6detail15normal_iteratorINS8_10device_ptrIdEEEESD_SD_SD_jNS0_19identity_decomposerENS1_16block_id_wrapperIjLb1EEEEE10hipError_tT1_PNSt15iterator_traitsISI_E10value_typeET2_T3_PNSJ_ISO_E10value_typeET4_T5_PST_SU_PNS1_23onesweep_lookback_stateEbbT6_jjT7_P12ihipStream_tbENKUlT_T0_SI_SN_E_clISD_PdSD_S15_EEDaS11_S12_SI_SN_EUlS11_E_NS1_11comp_targetILNS1_3genE2ELNS1_11target_archE906ELNS1_3gpuE6ELNS1_3repE0EEENS1_47radix_sort_onesweep_sort_config_static_selectorELNS0_4arch9wavefront6targetE1EEEvSI_
		.amdhsa_group_segment_fixed_size 0
		.amdhsa_private_segment_fixed_size 0
		.amdhsa_kernarg_size 88
		.amdhsa_user_sgpr_count 2
		.amdhsa_user_sgpr_dispatch_ptr 0
		.amdhsa_user_sgpr_queue_ptr 0
		.amdhsa_user_sgpr_kernarg_segment_ptr 1
		.amdhsa_user_sgpr_dispatch_id 0
		.amdhsa_user_sgpr_kernarg_preload_length 0
		.amdhsa_user_sgpr_kernarg_preload_offset 0
		.amdhsa_user_sgpr_private_segment_size 0
		.amdhsa_uses_dynamic_stack 0
		.amdhsa_enable_private_segment 0
		.amdhsa_system_sgpr_workgroup_id_x 1
		.amdhsa_system_sgpr_workgroup_id_y 0
		.amdhsa_system_sgpr_workgroup_id_z 0
		.amdhsa_system_sgpr_workgroup_info 0
		.amdhsa_system_vgpr_workitem_id 0
		.amdhsa_next_free_vgpr 1
		.amdhsa_next_free_sgpr 0
		.amdhsa_accum_offset 4
		.amdhsa_reserve_vcc 0
		.amdhsa_float_round_mode_32 0
		.amdhsa_float_round_mode_16_64 0
		.amdhsa_float_denorm_mode_32 3
		.amdhsa_float_denorm_mode_16_64 3
		.amdhsa_dx10_clamp 1
		.amdhsa_ieee_mode 1
		.amdhsa_fp16_overflow 0
		.amdhsa_tg_split 0
		.amdhsa_exception_fp_ieee_invalid_op 0
		.amdhsa_exception_fp_denorm_src 0
		.amdhsa_exception_fp_ieee_div_zero 0
		.amdhsa_exception_fp_ieee_overflow 0
		.amdhsa_exception_fp_ieee_underflow 0
		.amdhsa_exception_fp_ieee_inexact 0
		.amdhsa_exception_int_div_zero 0
	.end_amdhsa_kernel
	.section	.text._ZN7rocprim17ROCPRIM_400000_NS6detail17trampoline_kernelINS0_14default_configENS1_35radix_sort_onesweep_config_selectorIddEEZZNS1_29radix_sort_onesweep_iterationIS3_Lb0EN6thrust23THRUST_200600_302600_NS6detail15normal_iteratorINS8_10device_ptrIdEEEESD_SD_SD_jNS0_19identity_decomposerENS1_16block_id_wrapperIjLb1EEEEE10hipError_tT1_PNSt15iterator_traitsISI_E10value_typeET2_T3_PNSJ_ISO_E10value_typeET4_T5_PST_SU_PNS1_23onesweep_lookback_stateEbbT6_jjT7_P12ihipStream_tbENKUlT_T0_SI_SN_E_clISD_PdSD_S15_EEDaS11_S12_SI_SN_EUlS11_E_NS1_11comp_targetILNS1_3genE2ELNS1_11target_archE906ELNS1_3gpuE6ELNS1_3repE0EEENS1_47radix_sort_onesweep_sort_config_static_selectorELNS0_4arch9wavefront6targetE1EEEvSI_,"axG",@progbits,_ZN7rocprim17ROCPRIM_400000_NS6detail17trampoline_kernelINS0_14default_configENS1_35radix_sort_onesweep_config_selectorIddEEZZNS1_29radix_sort_onesweep_iterationIS3_Lb0EN6thrust23THRUST_200600_302600_NS6detail15normal_iteratorINS8_10device_ptrIdEEEESD_SD_SD_jNS0_19identity_decomposerENS1_16block_id_wrapperIjLb1EEEEE10hipError_tT1_PNSt15iterator_traitsISI_E10value_typeET2_T3_PNSJ_ISO_E10value_typeET4_T5_PST_SU_PNS1_23onesweep_lookback_stateEbbT6_jjT7_P12ihipStream_tbENKUlT_T0_SI_SN_E_clISD_PdSD_S15_EEDaS11_S12_SI_SN_EUlS11_E_NS1_11comp_targetILNS1_3genE2ELNS1_11target_archE906ELNS1_3gpuE6ELNS1_3repE0EEENS1_47radix_sort_onesweep_sort_config_static_selectorELNS0_4arch9wavefront6targetE1EEEvSI_,comdat
.Lfunc_end121:
	.size	_ZN7rocprim17ROCPRIM_400000_NS6detail17trampoline_kernelINS0_14default_configENS1_35radix_sort_onesweep_config_selectorIddEEZZNS1_29radix_sort_onesweep_iterationIS3_Lb0EN6thrust23THRUST_200600_302600_NS6detail15normal_iteratorINS8_10device_ptrIdEEEESD_SD_SD_jNS0_19identity_decomposerENS1_16block_id_wrapperIjLb1EEEEE10hipError_tT1_PNSt15iterator_traitsISI_E10value_typeET2_T3_PNSJ_ISO_E10value_typeET4_T5_PST_SU_PNS1_23onesweep_lookback_stateEbbT6_jjT7_P12ihipStream_tbENKUlT_T0_SI_SN_E_clISD_PdSD_S15_EEDaS11_S12_SI_SN_EUlS11_E_NS1_11comp_targetILNS1_3genE2ELNS1_11target_archE906ELNS1_3gpuE6ELNS1_3repE0EEENS1_47radix_sort_onesweep_sort_config_static_selectorELNS0_4arch9wavefront6targetE1EEEvSI_, .Lfunc_end121-_ZN7rocprim17ROCPRIM_400000_NS6detail17trampoline_kernelINS0_14default_configENS1_35radix_sort_onesweep_config_selectorIddEEZZNS1_29radix_sort_onesweep_iterationIS3_Lb0EN6thrust23THRUST_200600_302600_NS6detail15normal_iteratorINS8_10device_ptrIdEEEESD_SD_SD_jNS0_19identity_decomposerENS1_16block_id_wrapperIjLb1EEEEE10hipError_tT1_PNSt15iterator_traitsISI_E10value_typeET2_T3_PNSJ_ISO_E10value_typeET4_T5_PST_SU_PNS1_23onesweep_lookback_stateEbbT6_jjT7_P12ihipStream_tbENKUlT_T0_SI_SN_E_clISD_PdSD_S15_EEDaS11_S12_SI_SN_EUlS11_E_NS1_11comp_targetILNS1_3genE2ELNS1_11target_archE906ELNS1_3gpuE6ELNS1_3repE0EEENS1_47radix_sort_onesweep_sort_config_static_selectorELNS0_4arch9wavefront6targetE1EEEvSI_
                                        ; -- End function
	.set _ZN7rocprim17ROCPRIM_400000_NS6detail17trampoline_kernelINS0_14default_configENS1_35radix_sort_onesweep_config_selectorIddEEZZNS1_29radix_sort_onesweep_iterationIS3_Lb0EN6thrust23THRUST_200600_302600_NS6detail15normal_iteratorINS8_10device_ptrIdEEEESD_SD_SD_jNS0_19identity_decomposerENS1_16block_id_wrapperIjLb1EEEEE10hipError_tT1_PNSt15iterator_traitsISI_E10value_typeET2_T3_PNSJ_ISO_E10value_typeET4_T5_PST_SU_PNS1_23onesweep_lookback_stateEbbT6_jjT7_P12ihipStream_tbENKUlT_T0_SI_SN_E_clISD_PdSD_S15_EEDaS11_S12_SI_SN_EUlS11_E_NS1_11comp_targetILNS1_3genE2ELNS1_11target_archE906ELNS1_3gpuE6ELNS1_3repE0EEENS1_47radix_sort_onesweep_sort_config_static_selectorELNS0_4arch9wavefront6targetE1EEEvSI_.num_vgpr, 0
	.set _ZN7rocprim17ROCPRIM_400000_NS6detail17trampoline_kernelINS0_14default_configENS1_35radix_sort_onesweep_config_selectorIddEEZZNS1_29radix_sort_onesweep_iterationIS3_Lb0EN6thrust23THRUST_200600_302600_NS6detail15normal_iteratorINS8_10device_ptrIdEEEESD_SD_SD_jNS0_19identity_decomposerENS1_16block_id_wrapperIjLb1EEEEE10hipError_tT1_PNSt15iterator_traitsISI_E10value_typeET2_T3_PNSJ_ISO_E10value_typeET4_T5_PST_SU_PNS1_23onesweep_lookback_stateEbbT6_jjT7_P12ihipStream_tbENKUlT_T0_SI_SN_E_clISD_PdSD_S15_EEDaS11_S12_SI_SN_EUlS11_E_NS1_11comp_targetILNS1_3genE2ELNS1_11target_archE906ELNS1_3gpuE6ELNS1_3repE0EEENS1_47radix_sort_onesweep_sort_config_static_selectorELNS0_4arch9wavefront6targetE1EEEvSI_.num_agpr, 0
	.set _ZN7rocprim17ROCPRIM_400000_NS6detail17trampoline_kernelINS0_14default_configENS1_35radix_sort_onesweep_config_selectorIddEEZZNS1_29radix_sort_onesweep_iterationIS3_Lb0EN6thrust23THRUST_200600_302600_NS6detail15normal_iteratorINS8_10device_ptrIdEEEESD_SD_SD_jNS0_19identity_decomposerENS1_16block_id_wrapperIjLb1EEEEE10hipError_tT1_PNSt15iterator_traitsISI_E10value_typeET2_T3_PNSJ_ISO_E10value_typeET4_T5_PST_SU_PNS1_23onesweep_lookback_stateEbbT6_jjT7_P12ihipStream_tbENKUlT_T0_SI_SN_E_clISD_PdSD_S15_EEDaS11_S12_SI_SN_EUlS11_E_NS1_11comp_targetILNS1_3genE2ELNS1_11target_archE906ELNS1_3gpuE6ELNS1_3repE0EEENS1_47radix_sort_onesweep_sort_config_static_selectorELNS0_4arch9wavefront6targetE1EEEvSI_.numbered_sgpr, 0
	.set _ZN7rocprim17ROCPRIM_400000_NS6detail17trampoline_kernelINS0_14default_configENS1_35radix_sort_onesweep_config_selectorIddEEZZNS1_29radix_sort_onesweep_iterationIS3_Lb0EN6thrust23THRUST_200600_302600_NS6detail15normal_iteratorINS8_10device_ptrIdEEEESD_SD_SD_jNS0_19identity_decomposerENS1_16block_id_wrapperIjLb1EEEEE10hipError_tT1_PNSt15iterator_traitsISI_E10value_typeET2_T3_PNSJ_ISO_E10value_typeET4_T5_PST_SU_PNS1_23onesweep_lookback_stateEbbT6_jjT7_P12ihipStream_tbENKUlT_T0_SI_SN_E_clISD_PdSD_S15_EEDaS11_S12_SI_SN_EUlS11_E_NS1_11comp_targetILNS1_3genE2ELNS1_11target_archE906ELNS1_3gpuE6ELNS1_3repE0EEENS1_47radix_sort_onesweep_sort_config_static_selectorELNS0_4arch9wavefront6targetE1EEEvSI_.num_named_barrier, 0
	.set _ZN7rocprim17ROCPRIM_400000_NS6detail17trampoline_kernelINS0_14default_configENS1_35radix_sort_onesweep_config_selectorIddEEZZNS1_29radix_sort_onesweep_iterationIS3_Lb0EN6thrust23THRUST_200600_302600_NS6detail15normal_iteratorINS8_10device_ptrIdEEEESD_SD_SD_jNS0_19identity_decomposerENS1_16block_id_wrapperIjLb1EEEEE10hipError_tT1_PNSt15iterator_traitsISI_E10value_typeET2_T3_PNSJ_ISO_E10value_typeET4_T5_PST_SU_PNS1_23onesweep_lookback_stateEbbT6_jjT7_P12ihipStream_tbENKUlT_T0_SI_SN_E_clISD_PdSD_S15_EEDaS11_S12_SI_SN_EUlS11_E_NS1_11comp_targetILNS1_3genE2ELNS1_11target_archE906ELNS1_3gpuE6ELNS1_3repE0EEENS1_47radix_sort_onesweep_sort_config_static_selectorELNS0_4arch9wavefront6targetE1EEEvSI_.private_seg_size, 0
	.set _ZN7rocprim17ROCPRIM_400000_NS6detail17trampoline_kernelINS0_14default_configENS1_35radix_sort_onesweep_config_selectorIddEEZZNS1_29radix_sort_onesweep_iterationIS3_Lb0EN6thrust23THRUST_200600_302600_NS6detail15normal_iteratorINS8_10device_ptrIdEEEESD_SD_SD_jNS0_19identity_decomposerENS1_16block_id_wrapperIjLb1EEEEE10hipError_tT1_PNSt15iterator_traitsISI_E10value_typeET2_T3_PNSJ_ISO_E10value_typeET4_T5_PST_SU_PNS1_23onesweep_lookback_stateEbbT6_jjT7_P12ihipStream_tbENKUlT_T0_SI_SN_E_clISD_PdSD_S15_EEDaS11_S12_SI_SN_EUlS11_E_NS1_11comp_targetILNS1_3genE2ELNS1_11target_archE906ELNS1_3gpuE6ELNS1_3repE0EEENS1_47radix_sort_onesweep_sort_config_static_selectorELNS0_4arch9wavefront6targetE1EEEvSI_.uses_vcc, 0
	.set _ZN7rocprim17ROCPRIM_400000_NS6detail17trampoline_kernelINS0_14default_configENS1_35radix_sort_onesweep_config_selectorIddEEZZNS1_29radix_sort_onesweep_iterationIS3_Lb0EN6thrust23THRUST_200600_302600_NS6detail15normal_iteratorINS8_10device_ptrIdEEEESD_SD_SD_jNS0_19identity_decomposerENS1_16block_id_wrapperIjLb1EEEEE10hipError_tT1_PNSt15iterator_traitsISI_E10value_typeET2_T3_PNSJ_ISO_E10value_typeET4_T5_PST_SU_PNS1_23onesweep_lookback_stateEbbT6_jjT7_P12ihipStream_tbENKUlT_T0_SI_SN_E_clISD_PdSD_S15_EEDaS11_S12_SI_SN_EUlS11_E_NS1_11comp_targetILNS1_3genE2ELNS1_11target_archE906ELNS1_3gpuE6ELNS1_3repE0EEENS1_47radix_sort_onesweep_sort_config_static_selectorELNS0_4arch9wavefront6targetE1EEEvSI_.uses_flat_scratch, 0
	.set _ZN7rocprim17ROCPRIM_400000_NS6detail17trampoline_kernelINS0_14default_configENS1_35radix_sort_onesweep_config_selectorIddEEZZNS1_29radix_sort_onesweep_iterationIS3_Lb0EN6thrust23THRUST_200600_302600_NS6detail15normal_iteratorINS8_10device_ptrIdEEEESD_SD_SD_jNS0_19identity_decomposerENS1_16block_id_wrapperIjLb1EEEEE10hipError_tT1_PNSt15iterator_traitsISI_E10value_typeET2_T3_PNSJ_ISO_E10value_typeET4_T5_PST_SU_PNS1_23onesweep_lookback_stateEbbT6_jjT7_P12ihipStream_tbENKUlT_T0_SI_SN_E_clISD_PdSD_S15_EEDaS11_S12_SI_SN_EUlS11_E_NS1_11comp_targetILNS1_3genE2ELNS1_11target_archE906ELNS1_3gpuE6ELNS1_3repE0EEENS1_47radix_sort_onesweep_sort_config_static_selectorELNS0_4arch9wavefront6targetE1EEEvSI_.has_dyn_sized_stack, 0
	.set _ZN7rocprim17ROCPRIM_400000_NS6detail17trampoline_kernelINS0_14default_configENS1_35radix_sort_onesweep_config_selectorIddEEZZNS1_29radix_sort_onesweep_iterationIS3_Lb0EN6thrust23THRUST_200600_302600_NS6detail15normal_iteratorINS8_10device_ptrIdEEEESD_SD_SD_jNS0_19identity_decomposerENS1_16block_id_wrapperIjLb1EEEEE10hipError_tT1_PNSt15iterator_traitsISI_E10value_typeET2_T3_PNSJ_ISO_E10value_typeET4_T5_PST_SU_PNS1_23onesweep_lookback_stateEbbT6_jjT7_P12ihipStream_tbENKUlT_T0_SI_SN_E_clISD_PdSD_S15_EEDaS11_S12_SI_SN_EUlS11_E_NS1_11comp_targetILNS1_3genE2ELNS1_11target_archE906ELNS1_3gpuE6ELNS1_3repE0EEENS1_47radix_sort_onesweep_sort_config_static_selectorELNS0_4arch9wavefront6targetE1EEEvSI_.has_recursion, 0
	.set _ZN7rocprim17ROCPRIM_400000_NS6detail17trampoline_kernelINS0_14default_configENS1_35radix_sort_onesweep_config_selectorIddEEZZNS1_29radix_sort_onesweep_iterationIS3_Lb0EN6thrust23THRUST_200600_302600_NS6detail15normal_iteratorINS8_10device_ptrIdEEEESD_SD_SD_jNS0_19identity_decomposerENS1_16block_id_wrapperIjLb1EEEEE10hipError_tT1_PNSt15iterator_traitsISI_E10value_typeET2_T3_PNSJ_ISO_E10value_typeET4_T5_PST_SU_PNS1_23onesweep_lookback_stateEbbT6_jjT7_P12ihipStream_tbENKUlT_T0_SI_SN_E_clISD_PdSD_S15_EEDaS11_S12_SI_SN_EUlS11_E_NS1_11comp_targetILNS1_3genE2ELNS1_11target_archE906ELNS1_3gpuE6ELNS1_3repE0EEENS1_47radix_sort_onesweep_sort_config_static_selectorELNS0_4arch9wavefront6targetE1EEEvSI_.has_indirect_call, 0
	.section	.AMDGPU.csdata,"",@progbits
; Kernel info:
; codeLenInByte = 0
; TotalNumSgprs: 6
; NumVgprs: 0
; NumAgprs: 0
; TotalNumVgprs: 0
; ScratchSize: 0
; MemoryBound: 0
; FloatMode: 240
; IeeeMode: 1
; LDSByteSize: 0 bytes/workgroup (compile time only)
; SGPRBlocks: 0
; VGPRBlocks: 0
; NumSGPRsForWavesPerEU: 6
; NumVGPRsForWavesPerEU: 1
; AccumOffset: 4
; Occupancy: 8
; WaveLimiterHint : 0
; COMPUTE_PGM_RSRC2:SCRATCH_EN: 0
; COMPUTE_PGM_RSRC2:USER_SGPR: 2
; COMPUTE_PGM_RSRC2:TRAP_HANDLER: 0
; COMPUTE_PGM_RSRC2:TGID_X_EN: 1
; COMPUTE_PGM_RSRC2:TGID_Y_EN: 0
; COMPUTE_PGM_RSRC2:TGID_Z_EN: 0
; COMPUTE_PGM_RSRC2:TIDIG_COMP_CNT: 0
; COMPUTE_PGM_RSRC3_GFX90A:ACCUM_OFFSET: 0
; COMPUTE_PGM_RSRC3_GFX90A:TG_SPLIT: 0
	.section	.text._ZN7rocprim17ROCPRIM_400000_NS6detail17trampoline_kernelINS0_14default_configENS1_35radix_sort_onesweep_config_selectorIddEEZZNS1_29radix_sort_onesweep_iterationIS3_Lb0EN6thrust23THRUST_200600_302600_NS6detail15normal_iteratorINS8_10device_ptrIdEEEESD_SD_SD_jNS0_19identity_decomposerENS1_16block_id_wrapperIjLb1EEEEE10hipError_tT1_PNSt15iterator_traitsISI_E10value_typeET2_T3_PNSJ_ISO_E10value_typeET4_T5_PST_SU_PNS1_23onesweep_lookback_stateEbbT6_jjT7_P12ihipStream_tbENKUlT_T0_SI_SN_E_clISD_PdSD_S15_EEDaS11_S12_SI_SN_EUlS11_E_NS1_11comp_targetILNS1_3genE4ELNS1_11target_archE910ELNS1_3gpuE8ELNS1_3repE0EEENS1_47radix_sort_onesweep_sort_config_static_selectorELNS0_4arch9wavefront6targetE1EEEvSI_,"axG",@progbits,_ZN7rocprim17ROCPRIM_400000_NS6detail17trampoline_kernelINS0_14default_configENS1_35radix_sort_onesweep_config_selectorIddEEZZNS1_29radix_sort_onesweep_iterationIS3_Lb0EN6thrust23THRUST_200600_302600_NS6detail15normal_iteratorINS8_10device_ptrIdEEEESD_SD_SD_jNS0_19identity_decomposerENS1_16block_id_wrapperIjLb1EEEEE10hipError_tT1_PNSt15iterator_traitsISI_E10value_typeET2_T3_PNSJ_ISO_E10value_typeET4_T5_PST_SU_PNS1_23onesweep_lookback_stateEbbT6_jjT7_P12ihipStream_tbENKUlT_T0_SI_SN_E_clISD_PdSD_S15_EEDaS11_S12_SI_SN_EUlS11_E_NS1_11comp_targetILNS1_3genE4ELNS1_11target_archE910ELNS1_3gpuE8ELNS1_3repE0EEENS1_47radix_sort_onesweep_sort_config_static_selectorELNS0_4arch9wavefront6targetE1EEEvSI_,comdat
	.protected	_ZN7rocprim17ROCPRIM_400000_NS6detail17trampoline_kernelINS0_14default_configENS1_35radix_sort_onesweep_config_selectorIddEEZZNS1_29radix_sort_onesweep_iterationIS3_Lb0EN6thrust23THRUST_200600_302600_NS6detail15normal_iteratorINS8_10device_ptrIdEEEESD_SD_SD_jNS0_19identity_decomposerENS1_16block_id_wrapperIjLb1EEEEE10hipError_tT1_PNSt15iterator_traitsISI_E10value_typeET2_T3_PNSJ_ISO_E10value_typeET4_T5_PST_SU_PNS1_23onesweep_lookback_stateEbbT6_jjT7_P12ihipStream_tbENKUlT_T0_SI_SN_E_clISD_PdSD_S15_EEDaS11_S12_SI_SN_EUlS11_E_NS1_11comp_targetILNS1_3genE4ELNS1_11target_archE910ELNS1_3gpuE8ELNS1_3repE0EEENS1_47radix_sort_onesweep_sort_config_static_selectorELNS0_4arch9wavefront6targetE1EEEvSI_ ; -- Begin function _ZN7rocprim17ROCPRIM_400000_NS6detail17trampoline_kernelINS0_14default_configENS1_35radix_sort_onesweep_config_selectorIddEEZZNS1_29radix_sort_onesweep_iterationIS3_Lb0EN6thrust23THRUST_200600_302600_NS6detail15normal_iteratorINS8_10device_ptrIdEEEESD_SD_SD_jNS0_19identity_decomposerENS1_16block_id_wrapperIjLb1EEEEE10hipError_tT1_PNSt15iterator_traitsISI_E10value_typeET2_T3_PNSJ_ISO_E10value_typeET4_T5_PST_SU_PNS1_23onesweep_lookback_stateEbbT6_jjT7_P12ihipStream_tbENKUlT_T0_SI_SN_E_clISD_PdSD_S15_EEDaS11_S12_SI_SN_EUlS11_E_NS1_11comp_targetILNS1_3genE4ELNS1_11target_archE910ELNS1_3gpuE8ELNS1_3repE0EEENS1_47radix_sort_onesweep_sort_config_static_selectorELNS0_4arch9wavefront6targetE1EEEvSI_
	.globl	_ZN7rocprim17ROCPRIM_400000_NS6detail17trampoline_kernelINS0_14default_configENS1_35radix_sort_onesweep_config_selectorIddEEZZNS1_29radix_sort_onesweep_iterationIS3_Lb0EN6thrust23THRUST_200600_302600_NS6detail15normal_iteratorINS8_10device_ptrIdEEEESD_SD_SD_jNS0_19identity_decomposerENS1_16block_id_wrapperIjLb1EEEEE10hipError_tT1_PNSt15iterator_traitsISI_E10value_typeET2_T3_PNSJ_ISO_E10value_typeET4_T5_PST_SU_PNS1_23onesweep_lookback_stateEbbT6_jjT7_P12ihipStream_tbENKUlT_T0_SI_SN_E_clISD_PdSD_S15_EEDaS11_S12_SI_SN_EUlS11_E_NS1_11comp_targetILNS1_3genE4ELNS1_11target_archE910ELNS1_3gpuE8ELNS1_3repE0EEENS1_47radix_sort_onesweep_sort_config_static_selectorELNS0_4arch9wavefront6targetE1EEEvSI_
	.p2align	8
	.type	_ZN7rocprim17ROCPRIM_400000_NS6detail17trampoline_kernelINS0_14default_configENS1_35radix_sort_onesweep_config_selectorIddEEZZNS1_29radix_sort_onesweep_iterationIS3_Lb0EN6thrust23THRUST_200600_302600_NS6detail15normal_iteratorINS8_10device_ptrIdEEEESD_SD_SD_jNS0_19identity_decomposerENS1_16block_id_wrapperIjLb1EEEEE10hipError_tT1_PNSt15iterator_traitsISI_E10value_typeET2_T3_PNSJ_ISO_E10value_typeET4_T5_PST_SU_PNS1_23onesweep_lookback_stateEbbT6_jjT7_P12ihipStream_tbENKUlT_T0_SI_SN_E_clISD_PdSD_S15_EEDaS11_S12_SI_SN_EUlS11_E_NS1_11comp_targetILNS1_3genE4ELNS1_11target_archE910ELNS1_3gpuE8ELNS1_3repE0EEENS1_47radix_sort_onesweep_sort_config_static_selectorELNS0_4arch9wavefront6targetE1EEEvSI_,@function
_ZN7rocprim17ROCPRIM_400000_NS6detail17trampoline_kernelINS0_14default_configENS1_35radix_sort_onesweep_config_selectorIddEEZZNS1_29radix_sort_onesweep_iterationIS3_Lb0EN6thrust23THRUST_200600_302600_NS6detail15normal_iteratorINS8_10device_ptrIdEEEESD_SD_SD_jNS0_19identity_decomposerENS1_16block_id_wrapperIjLb1EEEEE10hipError_tT1_PNSt15iterator_traitsISI_E10value_typeET2_T3_PNSJ_ISO_E10value_typeET4_T5_PST_SU_PNS1_23onesweep_lookback_stateEbbT6_jjT7_P12ihipStream_tbENKUlT_T0_SI_SN_E_clISD_PdSD_S15_EEDaS11_S12_SI_SN_EUlS11_E_NS1_11comp_targetILNS1_3genE4ELNS1_11target_archE910ELNS1_3gpuE8ELNS1_3repE0EEENS1_47radix_sort_onesweep_sort_config_static_selectorELNS0_4arch9wavefront6targetE1EEEvSI_: ; @_ZN7rocprim17ROCPRIM_400000_NS6detail17trampoline_kernelINS0_14default_configENS1_35radix_sort_onesweep_config_selectorIddEEZZNS1_29radix_sort_onesweep_iterationIS3_Lb0EN6thrust23THRUST_200600_302600_NS6detail15normal_iteratorINS8_10device_ptrIdEEEESD_SD_SD_jNS0_19identity_decomposerENS1_16block_id_wrapperIjLb1EEEEE10hipError_tT1_PNSt15iterator_traitsISI_E10value_typeET2_T3_PNSJ_ISO_E10value_typeET4_T5_PST_SU_PNS1_23onesweep_lookback_stateEbbT6_jjT7_P12ihipStream_tbENKUlT_T0_SI_SN_E_clISD_PdSD_S15_EEDaS11_S12_SI_SN_EUlS11_E_NS1_11comp_targetILNS1_3genE4ELNS1_11target_archE910ELNS1_3gpuE8ELNS1_3repE0EEENS1_47radix_sort_onesweep_sort_config_static_selectorELNS0_4arch9wavefront6targetE1EEEvSI_
; %bb.0:
	.section	.rodata,"a",@progbits
	.p2align	6, 0x0
	.amdhsa_kernel _ZN7rocprim17ROCPRIM_400000_NS6detail17trampoline_kernelINS0_14default_configENS1_35radix_sort_onesweep_config_selectorIddEEZZNS1_29radix_sort_onesweep_iterationIS3_Lb0EN6thrust23THRUST_200600_302600_NS6detail15normal_iteratorINS8_10device_ptrIdEEEESD_SD_SD_jNS0_19identity_decomposerENS1_16block_id_wrapperIjLb1EEEEE10hipError_tT1_PNSt15iterator_traitsISI_E10value_typeET2_T3_PNSJ_ISO_E10value_typeET4_T5_PST_SU_PNS1_23onesweep_lookback_stateEbbT6_jjT7_P12ihipStream_tbENKUlT_T0_SI_SN_E_clISD_PdSD_S15_EEDaS11_S12_SI_SN_EUlS11_E_NS1_11comp_targetILNS1_3genE4ELNS1_11target_archE910ELNS1_3gpuE8ELNS1_3repE0EEENS1_47radix_sort_onesweep_sort_config_static_selectorELNS0_4arch9wavefront6targetE1EEEvSI_
		.amdhsa_group_segment_fixed_size 0
		.amdhsa_private_segment_fixed_size 0
		.amdhsa_kernarg_size 88
		.amdhsa_user_sgpr_count 2
		.amdhsa_user_sgpr_dispatch_ptr 0
		.amdhsa_user_sgpr_queue_ptr 0
		.amdhsa_user_sgpr_kernarg_segment_ptr 1
		.amdhsa_user_sgpr_dispatch_id 0
		.amdhsa_user_sgpr_kernarg_preload_length 0
		.amdhsa_user_sgpr_kernarg_preload_offset 0
		.amdhsa_user_sgpr_private_segment_size 0
		.amdhsa_uses_dynamic_stack 0
		.amdhsa_enable_private_segment 0
		.amdhsa_system_sgpr_workgroup_id_x 1
		.amdhsa_system_sgpr_workgroup_id_y 0
		.amdhsa_system_sgpr_workgroup_id_z 0
		.amdhsa_system_sgpr_workgroup_info 0
		.amdhsa_system_vgpr_workitem_id 0
		.amdhsa_next_free_vgpr 1
		.amdhsa_next_free_sgpr 0
		.amdhsa_accum_offset 4
		.amdhsa_reserve_vcc 0
		.amdhsa_float_round_mode_32 0
		.amdhsa_float_round_mode_16_64 0
		.amdhsa_float_denorm_mode_32 3
		.amdhsa_float_denorm_mode_16_64 3
		.amdhsa_dx10_clamp 1
		.amdhsa_ieee_mode 1
		.amdhsa_fp16_overflow 0
		.amdhsa_tg_split 0
		.amdhsa_exception_fp_ieee_invalid_op 0
		.amdhsa_exception_fp_denorm_src 0
		.amdhsa_exception_fp_ieee_div_zero 0
		.amdhsa_exception_fp_ieee_overflow 0
		.amdhsa_exception_fp_ieee_underflow 0
		.amdhsa_exception_fp_ieee_inexact 0
		.amdhsa_exception_int_div_zero 0
	.end_amdhsa_kernel
	.section	.text._ZN7rocprim17ROCPRIM_400000_NS6detail17trampoline_kernelINS0_14default_configENS1_35radix_sort_onesweep_config_selectorIddEEZZNS1_29radix_sort_onesweep_iterationIS3_Lb0EN6thrust23THRUST_200600_302600_NS6detail15normal_iteratorINS8_10device_ptrIdEEEESD_SD_SD_jNS0_19identity_decomposerENS1_16block_id_wrapperIjLb1EEEEE10hipError_tT1_PNSt15iterator_traitsISI_E10value_typeET2_T3_PNSJ_ISO_E10value_typeET4_T5_PST_SU_PNS1_23onesweep_lookback_stateEbbT6_jjT7_P12ihipStream_tbENKUlT_T0_SI_SN_E_clISD_PdSD_S15_EEDaS11_S12_SI_SN_EUlS11_E_NS1_11comp_targetILNS1_3genE4ELNS1_11target_archE910ELNS1_3gpuE8ELNS1_3repE0EEENS1_47radix_sort_onesweep_sort_config_static_selectorELNS0_4arch9wavefront6targetE1EEEvSI_,"axG",@progbits,_ZN7rocprim17ROCPRIM_400000_NS6detail17trampoline_kernelINS0_14default_configENS1_35radix_sort_onesweep_config_selectorIddEEZZNS1_29radix_sort_onesweep_iterationIS3_Lb0EN6thrust23THRUST_200600_302600_NS6detail15normal_iteratorINS8_10device_ptrIdEEEESD_SD_SD_jNS0_19identity_decomposerENS1_16block_id_wrapperIjLb1EEEEE10hipError_tT1_PNSt15iterator_traitsISI_E10value_typeET2_T3_PNSJ_ISO_E10value_typeET4_T5_PST_SU_PNS1_23onesweep_lookback_stateEbbT6_jjT7_P12ihipStream_tbENKUlT_T0_SI_SN_E_clISD_PdSD_S15_EEDaS11_S12_SI_SN_EUlS11_E_NS1_11comp_targetILNS1_3genE4ELNS1_11target_archE910ELNS1_3gpuE8ELNS1_3repE0EEENS1_47radix_sort_onesweep_sort_config_static_selectorELNS0_4arch9wavefront6targetE1EEEvSI_,comdat
.Lfunc_end122:
	.size	_ZN7rocprim17ROCPRIM_400000_NS6detail17trampoline_kernelINS0_14default_configENS1_35radix_sort_onesweep_config_selectorIddEEZZNS1_29radix_sort_onesweep_iterationIS3_Lb0EN6thrust23THRUST_200600_302600_NS6detail15normal_iteratorINS8_10device_ptrIdEEEESD_SD_SD_jNS0_19identity_decomposerENS1_16block_id_wrapperIjLb1EEEEE10hipError_tT1_PNSt15iterator_traitsISI_E10value_typeET2_T3_PNSJ_ISO_E10value_typeET4_T5_PST_SU_PNS1_23onesweep_lookback_stateEbbT6_jjT7_P12ihipStream_tbENKUlT_T0_SI_SN_E_clISD_PdSD_S15_EEDaS11_S12_SI_SN_EUlS11_E_NS1_11comp_targetILNS1_3genE4ELNS1_11target_archE910ELNS1_3gpuE8ELNS1_3repE0EEENS1_47radix_sort_onesweep_sort_config_static_selectorELNS0_4arch9wavefront6targetE1EEEvSI_, .Lfunc_end122-_ZN7rocprim17ROCPRIM_400000_NS6detail17trampoline_kernelINS0_14default_configENS1_35radix_sort_onesweep_config_selectorIddEEZZNS1_29radix_sort_onesweep_iterationIS3_Lb0EN6thrust23THRUST_200600_302600_NS6detail15normal_iteratorINS8_10device_ptrIdEEEESD_SD_SD_jNS0_19identity_decomposerENS1_16block_id_wrapperIjLb1EEEEE10hipError_tT1_PNSt15iterator_traitsISI_E10value_typeET2_T3_PNSJ_ISO_E10value_typeET4_T5_PST_SU_PNS1_23onesweep_lookback_stateEbbT6_jjT7_P12ihipStream_tbENKUlT_T0_SI_SN_E_clISD_PdSD_S15_EEDaS11_S12_SI_SN_EUlS11_E_NS1_11comp_targetILNS1_3genE4ELNS1_11target_archE910ELNS1_3gpuE8ELNS1_3repE0EEENS1_47radix_sort_onesweep_sort_config_static_selectorELNS0_4arch9wavefront6targetE1EEEvSI_
                                        ; -- End function
	.set _ZN7rocprim17ROCPRIM_400000_NS6detail17trampoline_kernelINS0_14default_configENS1_35radix_sort_onesweep_config_selectorIddEEZZNS1_29radix_sort_onesweep_iterationIS3_Lb0EN6thrust23THRUST_200600_302600_NS6detail15normal_iteratorINS8_10device_ptrIdEEEESD_SD_SD_jNS0_19identity_decomposerENS1_16block_id_wrapperIjLb1EEEEE10hipError_tT1_PNSt15iterator_traitsISI_E10value_typeET2_T3_PNSJ_ISO_E10value_typeET4_T5_PST_SU_PNS1_23onesweep_lookback_stateEbbT6_jjT7_P12ihipStream_tbENKUlT_T0_SI_SN_E_clISD_PdSD_S15_EEDaS11_S12_SI_SN_EUlS11_E_NS1_11comp_targetILNS1_3genE4ELNS1_11target_archE910ELNS1_3gpuE8ELNS1_3repE0EEENS1_47radix_sort_onesweep_sort_config_static_selectorELNS0_4arch9wavefront6targetE1EEEvSI_.num_vgpr, 0
	.set _ZN7rocprim17ROCPRIM_400000_NS6detail17trampoline_kernelINS0_14default_configENS1_35radix_sort_onesweep_config_selectorIddEEZZNS1_29radix_sort_onesweep_iterationIS3_Lb0EN6thrust23THRUST_200600_302600_NS6detail15normal_iteratorINS8_10device_ptrIdEEEESD_SD_SD_jNS0_19identity_decomposerENS1_16block_id_wrapperIjLb1EEEEE10hipError_tT1_PNSt15iterator_traitsISI_E10value_typeET2_T3_PNSJ_ISO_E10value_typeET4_T5_PST_SU_PNS1_23onesweep_lookback_stateEbbT6_jjT7_P12ihipStream_tbENKUlT_T0_SI_SN_E_clISD_PdSD_S15_EEDaS11_S12_SI_SN_EUlS11_E_NS1_11comp_targetILNS1_3genE4ELNS1_11target_archE910ELNS1_3gpuE8ELNS1_3repE0EEENS1_47radix_sort_onesweep_sort_config_static_selectorELNS0_4arch9wavefront6targetE1EEEvSI_.num_agpr, 0
	.set _ZN7rocprim17ROCPRIM_400000_NS6detail17trampoline_kernelINS0_14default_configENS1_35radix_sort_onesweep_config_selectorIddEEZZNS1_29radix_sort_onesweep_iterationIS3_Lb0EN6thrust23THRUST_200600_302600_NS6detail15normal_iteratorINS8_10device_ptrIdEEEESD_SD_SD_jNS0_19identity_decomposerENS1_16block_id_wrapperIjLb1EEEEE10hipError_tT1_PNSt15iterator_traitsISI_E10value_typeET2_T3_PNSJ_ISO_E10value_typeET4_T5_PST_SU_PNS1_23onesweep_lookback_stateEbbT6_jjT7_P12ihipStream_tbENKUlT_T0_SI_SN_E_clISD_PdSD_S15_EEDaS11_S12_SI_SN_EUlS11_E_NS1_11comp_targetILNS1_3genE4ELNS1_11target_archE910ELNS1_3gpuE8ELNS1_3repE0EEENS1_47radix_sort_onesweep_sort_config_static_selectorELNS0_4arch9wavefront6targetE1EEEvSI_.numbered_sgpr, 0
	.set _ZN7rocprim17ROCPRIM_400000_NS6detail17trampoline_kernelINS0_14default_configENS1_35radix_sort_onesweep_config_selectorIddEEZZNS1_29radix_sort_onesweep_iterationIS3_Lb0EN6thrust23THRUST_200600_302600_NS6detail15normal_iteratorINS8_10device_ptrIdEEEESD_SD_SD_jNS0_19identity_decomposerENS1_16block_id_wrapperIjLb1EEEEE10hipError_tT1_PNSt15iterator_traitsISI_E10value_typeET2_T3_PNSJ_ISO_E10value_typeET4_T5_PST_SU_PNS1_23onesweep_lookback_stateEbbT6_jjT7_P12ihipStream_tbENKUlT_T0_SI_SN_E_clISD_PdSD_S15_EEDaS11_S12_SI_SN_EUlS11_E_NS1_11comp_targetILNS1_3genE4ELNS1_11target_archE910ELNS1_3gpuE8ELNS1_3repE0EEENS1_47radix_sort_onesweep_sort_config_static_selectorELNS0_4arch9wavefront6targetE1EEEvSI_.num_named_barrier, 0
	.set _ZN7rocprim17ROCPRIM_400000_NS6detail17trampoline_kernelINS0_14default_configENS1_35radix_sort_onesweep_config_selectorIddEEZZNS1_29radix_sort_onesweep_iterationIS3_Lb0EN6thrust23THRUST_200600_302600_NS6detail15normal_iteratorINS8_10device_ptrIdEEEESD_SD_SD_jNS0_19identity_decomposerENS1_16block_id_wrapperIjLb1EEEEE10hipError_tT1_PNSt15iterator_traitsISI_E10value_typeET2_T3_PNSJ_ISO_E10value_typeET4_T5_PST_SU_PNS1_23onesweep_lookback_stateEbbT6_jjT7_P12ihipStream_tbENKUlT_T0_SI_SN_E_clISD_PdSD_S15_EEDaS11_S12_SI_SN_EUlS11_E_NS1_11comp_targetILNS1_3genE4ELNS1_11target_archE910ELNS1_3gpuE8ELNS1_3repE0EEENS1_47radix_sort_onesweep_sort_config_static_selectorELNS0_4arch9wavefront6targetE1EEEvSI_.private_seg_size, 0
	.set _ZN7rocprim17ROCPRIM_400000_NS6detail17trampoline_kernelINS0_14default_configENS1_35radix_sort_onesweep_config_selectorIddEEZZNS1_29radix_sort_onesweep_iterationIS3_Lb0EN6thrust23THRUST_200600_302600_NS6detail15normal_iteratorINS8_10device_ptrIdEEEESD_SD_SD_jNS0_19identity_decomposerENS1_16block_id_wrapperIjLb1EEEEE10hipError_tT1_PNSt15iterator_traitsISI_E10value_typeET2_T3_PNSJ_ISO_E10value_typeET4_T5_PST_SU_PNS1_23onesweep_lookback_stateEbbT6_jjT7_P12ihipStream_tbENKUlT_T0_SI_SN_E_clISD_PdSD_S15_EEDaS11_S12_SI_SN_EUlS11_E_NS1_11comp_targetILNS1_3genE4ELNS1_11target_archE910ELNS1_3gpuE8ELNS1_3repE0EEENS1_47radix_sort_onesweep_sort_config_static_selectorELNS0_4arch9wavefront6targetE1EEEvSI_.uses_vcc, 0
	.set _ZN7rocprim17ROCPRIM_400000_NS6detail17trampoline_kernelINS0_14default_configENS1_35radix_sort_onesweep_config_selectorIddEEZZNS1_29radix_sort_onesweep_iterationIS3_Lb0EN6thrust23THRUST_200600_302600_NS6detail15normal_iteratorINS8_10device_ptrIdEEEESD_SD_SD_jNS0_19identity_decomposerENS1_16block_id_wrapperIjLb1EEEEE10hipError_tT1_PNSt15iterator_traitsISI_E10value_typeET2_T3_PNSJ_ISO_E10value_typeET4_T5_PST_SU_PNS1_23onesweep_lookback_stateEbbT6_jjT7_P12ihipStream_tbENKUlT_T0_SI_SN_E_clISD_PdSD_S15_EEDaS11_S12_SI_SN_EUlS11_E_NS1_11comp_targetILNS1_3genE4ELNS1_11target_archE910ELNS1_3gpuE8ELNS1_3repE0EEENS1_47radix_sort_onesweep_sort_config_static_selectorELNS0_4arch9wavefront6targetE1EEEvSI_.uses_flat_scratch, 0
	.set _ZN7rocprim17ROCPRIM_400000_NS6detail17trampoline_kernelINS0_14default_configENS1_35radix_sort_onesweep_config_selectorIddEEZZNS1_29radix_sort_onesweep_iterationIS3_Lb0EN6thrust23THRUST_200600_302600_NS6detail15normal_iteratorINS8_10device_ptrIdEEEESD_SD_SD_jNS0_19identity_decomposerENS1_16block_id_wrapperIjLb1EEEEE10hipError_tT1_PNSt15iterator_traitsISI_E10value_typeET2_T3_PNSJ_ISO_E10value_typeET4_T5_PST_SU_PNS1_23onesweep_lookback_stateEbbT6_jjT7_P12ihipStream_tbENKUlT_T0_SI_SN_E_clISD_PdSD_S15_EEDaS11_S12_SI_SN_EUlS11_E_NS1_11comp_targetILNS1_3genE4ELNS1_11target_archE910ELNS1_3gpuE8ELNS1_3repE0EEENS1_47radix_sort_onesweep_sort_config_static_selectorELNS0_4arch9wavefront6targetE1EEEvSI_.has_dyn_sized_stack, 0
	.set _ZN7rocprim17ROCPRIM_400000_NS6detail17trampoline_kernelINS0_14default_configENS1_35radix_sort_onesweep_config_selectorIddEEZZNS1_29radix_sort_onesweep_iterationIS3_Lb0EN6thrust23THRUST_200600_302600_NS6detail15normal_iteratorINS8_10device_ptrIdEEEESD_SD_SD_jNS0_19identity_decomposerENS1_16block_id_wrapperIjLb1EEEEE10hipError_tT1_PNSt15iterator_traitsISI_E10value_typeET2_T3_PNSJ_ISO_E10value_typeET4_T5_PST_SU_PNS1_23onesweep_lookback_stateEbbT6_jjT7_P12ihipStream_tbENKUlT_T0_SI_SN_E_clISD_PdSD_S15_EEDaS11_S12_SI_SN_EUlS11_E_NS1_11comp_targetILNS1_3genE4ELNS1_11target_archE910ELNS1_3gpuE8ELNS1_3repE0EEENS1_47radix_sort_onesweep_sort_config_static_selectorELNS0_4arch9wavefront6targetE1EEEvSI_.has_recursion, 0
	.set _ZN7rocprim17ROCPRIM_400000_NS6detail17trampoline_kernelINS0_14default_configENS1_35radix_sort_onesweep_config_selectorIddEEZZNS1_29radix_sort_onesweep_iterationIS3_Lb0EN6thrust23THRUST_200600_302600_NS6detail15normal_iteratorINS8_10device_ptrIdEEEESD_SD_SD_jNS0_19identity_decomposerENS1_16block_id_wrapperIjLb1EEEEE10hipError_tT1_PNSt15iterator_traitsISI_E10value_typeET2_T3_PNSJ_ISO_E10value_typeET4_T5_PST_SU_PNS1_23onesweep_lookback_stateEbbT6_jjT7_P12ihipStream_tbENKUlT_T0_SI_SN_E_clISD_PdSD_S15_EEDaS11_S12_SI_SN_EUlS11_E_NS1_11comp_targetILNS1_3genE4ELNS1_11target_archE910ELNS1_3gpuE8ELNS1_3repE0EEENS1_47radix_sort_onesweep_sort_config_static_selectorELNS0_4arch9wavefront6targetE1EEEvSI_.has_indirect_call, 0
	.section	.AMDGPU.csdata,"",@progbits
; Kernel info:
; codeLenInByte = 0
; TotalNumSgprs: 6
; NumVgprs: 0
; NumAgprs: 0
; TotalNumVgprs: 0
; ScratchSize: 0
; MemoryBound: 0
; FloatMode: 240
; IeeeMode: 1
; LDSByteSize: 0 bytes/workgroup (compile time only)
; SGPRBlocks: 0
; VGPRBlocks: 0
; NumSGPRsForWavesPerEU: 6
; NumVGPRsForWavesPerEU: 1
; AccumOffset: 4
; Occupancy: 8
; WaveLimiterHint : 0
; COMPUTE_PGM_RSRC2:SCRATCH_EN: 0
; COMPUTE_PGM_RSRC2:USER_SGPR: 2
; COMPUTE_PGM_RSRC2:TRAP_HANDLER: 0
; COMPUTE_PGM_RSRC2:TGID_X_EN: 1
; COMPUTE_PGM_RSRC2:TGID_Y_EN: 0
; COMPUTE_PGM_RSRC2:TGID_Z_EN: 0
; COMPUTE_PGM_RSRC2:TIDIG_COMP_CNT: 0
; COMPUTE_PGM_RSRC3_GFX90A:ACCUM_OFFSET: 0
; COMPUTE_PGM_RSRC3_GFX90A:TG_SPLIT: 0
	.section	.text._ZN7rocprim17ROCPRIM_400000_NS6detail17trampoline_kernelINS0_14default_configENS1_35radix_sort_onesweep_config_selectorIddEEZZNS1_29radix_sort_onesweep_iterationIS3_Lb0EN6thrust23THRUST_200600_302600_NS6detail15normal_iteratorINS8_10device_ptrIdEEEESD_SD_SD_jNS0_19identity_decomposerENS1_16block_id_wrapperIjLb1EEEEE10hipError_tT1_PNSt15iterator_traitsISI_E10value_typeET2_T3_PNSJ_ISO_E10value_typeET4_T5_PST_SU_PNS1_23onesweep_lookback_stateEbbT6_jjT7_P12ihipStream_tbENKUlT_T0_SI_SN_E_clISD_PdSD_S15_EEDaS11_S12_SI_SN_EUlS11_E_NS1_11comp_targetILNS1_3genE3ELNS1_11target_archE908ELNS1_3gpuE7ELNS1_3repE0EEENS1_47radix_sort_onesweep_sort_config_static_selectorELNS0_4arch9wavefront6targetE1EEEvSI_,"axG",@progbits,_ZN7rocprim17ROCPRIM_400000_NS6detail17trampoline_kernelINS0_14default_configENS1_35radix_sort_onesweep_config_selectorIddEEZZNS1_29radix_sort_onesweep_iterationIS3_Lb0EN6thrust23THRUST_200600_302600_NS6detail15normal_iteratorINS8_10device_ptrIdEEEESD_SD_SD_jNS0_19identity_decomposerENS1_16block_id_wrapperIjLb1EEEEE10hipError_tT1_PNSt15iterator_traitsISI_E10value_typeET2_T3_PNSJ_ISO_E10value_typeET4_T5_PST_SU_PNS1_23onesweep_lookback_stateEbbT6_jjT7_P12ihipStream_tbENKUlT_T0_SI_SN_E_clISD_PdSD_S15_EEDaS11_S12_SI_SN_EUlS11_E_NS1_11comp_targetILNS1_3genE3ELNS1_11target_archE908ELNS1_3gpuE7ELNS1_3repE0EEENS1_47radix_sort_onesweep_sort_config_static_selectorELNS0_4arch9wavefront6targetE1EEEvSI_,comdat
	.protected	_ZN7rocprim17ROCPRIM_400000_NS6detail17trampoline_kernelINS0_14default_configENS1_35radix_sort_onesweep_config_selectorIddEEZZNS1_29radix_sort_onesweep_iterationIS3_Lb0EN6thrust23THRUST_200600_302600_NS6detail15normal_iteratorINS8_10device_ptrIdEEEESD_SD_SD_jNS0_19identity_decomposerENS1_16block_id_wrapperIjLb1EEEEE10hipError_tT1_PNSt15iterator_traitsISI_E10value_typeET2_T3_PNSJ_ISO_E10value_typeET4_T5_PST_SU_PNS1_23onesweep_lookback_stateEbbT6_jjT7_P12ihipStream_tbENKUlT_T0_SI_SN_E_clISD_PdSD_S15_EEDaS11_S12_SI_SN_EUlS11_E_NS1_11comp_targetILNS1_3genE3ELNS1_11target_archE908ELNS1_3gpuE7ELNS1_3repE0EEENS1_47radix_sort_onesweep_sort_config_static_selectorELNS0_4arch9wavefront6targetE1EEEvSI_ ; -- Begin function _ZN7rocprim17ROCPRIM_400000_NS6detail17trampoline_kernelINS0_14default_configENS1_35radix_sort_onesweep_config_selectorIddEEZZNS1_29radix_sort_onesweep_iterationIS3_Lb0EN6thrust23THRUST_200600_302600_NS6detail15normal_iteratorINS8_10device_ptrIdEEEESD_SD_SD_jNS0_19identity_decomposerENS1_16block_id_wrapperIjLb1EEEEE10hipError_tT1_PNSt15iterator_traitsISI_E10value_typeET2_T3_PNSJ_ISO_E10value_typeET4_T5_PST_SU_PNS1_23onesweep_lookback_stateEbbT6_jjT7_P12ihipStream_tbENKUlT_T0_SI_SN_E_clISD_PdSD_S15_EEDaS11_S12_SI_SN_EUlS11_E_NS1_11comp_targetILNS1_3genE3ELNS1_11target_archE908ELNS1_3gpuE7ELNS1_3repE0EEENS1_47radix_sort_onesweep_sort_config_static_selectorELNS0_4arch9wavefront6targetE1EEEvSI_
	.globl	_ZN7rocprim17ROCPRIM_400000_NS6detail17trampoline_kernelINS0_14default_configENS1_35radix_sort_onesweep_config_selectorIddEEZZNS1_29radix_sort_onesweep_iterationIS3_Lb0EN6thrust23THRUST_200600_302600_NS6detail15normal_iteratorINS8_10device_ptrIdEEEESD_SD_SD_jNS0_19identity_decomposerENS1_16block_id_wrapperIjLb1EEEEE10hipError_tT1_PNSt15iterator_traitsISI_E10value_typeET2_T3_PNSJ_ISO_E10value_typeET4_T5_PST_SU_PNS1_23onesweep_lookback_stateEbbT6_jjT7_P12ihipStream_tbENKUlT_T0_SI_SN_E_clISD_PdSD_S15_EEDaS11_S12_SI_SN_EUlS11_E_NS1_11comp_targetILNS1_3genE3ELNS1_11target_archE908ELNS1_3gpuE7ELNS1_3repE0EEENS1_47radix_sort_onesweep_sort_config_static_selectorELNS0_4arch9wavefront6targetE1EEEvSI_
	.p2align	8
	.type	_ZN7rocprim17ROCPRIM_400000_NS6detail17trampoline_kernelINS0_14default_configENS1_35radix_sort_onesweep_config_selectorIddEEZZNS1_29radix_sort_onesweep_iterationIS3_Lb0EN6thrust23THRUST_200600_302600_NS6detail15normal_iteratorINS8_10device_ptrIdEEEESD_SD_SD_jNS0_19identity_decomposerENS1_16block_id_wrapperIjLb1EEEEE10hipError_tT1_PNSt15iterator_traitsISI_E10value_typeET2_T3_PNSJ_ISO_E10value_typeET4_T5_PST_SU_PNS1_23onesweep_lookback_stateEbbT6_jjT7_P12ihipStream_tbENKUlT_T0_SI_SN_E_clISD_PdSD_S15_EEDaS11_S12_SI_SN_EUlS11_E_NS1_11comp_targetILNS1_3genE3ELNS1_11target_archE908ELNS1_3gpuE7ELNS1_3repE0EEENS1_47radix_sort_onesweep_sort_config_static_selectorELNS0_4arch9wavefront6targetE1EEEvSI_,@function
_ZN7rocprim17ROCPRIM_400000_NS6detail17trampoline_kernelINS0_14default_configENS1_35radix_sort_onesweep_config_selectorIddEEZZNS1_29radix_sort_onesweep_iterationIS3_Lb0EN6thrust23THRUST_200600_302600_NS6detail15normal_iteratorINS8_10device_ptrIdEEEESD_SD_SD_jNS0_19identity_decomposerENS1_16block_id_wrapperIjLb1EEEEE10hipError_tT1_PNSt15iterator_traitsISI_E10value_typeET2_T3_PNSJ_ISO_E10value_typeET4_T5_PST_SU_PNS1_23onesweep_lookback_stateEbbT6_jjT7_P12ihipStream_tbENKUlT_T0_SI_SN_E_clISD_PdSD_S15_EEDaS11_S12_SI_SN_EUlS11_E_NS1_11comp_targetILNS1_3genE3ELNS1_11target_archE908ELNS1_3gpuE7ELNS1_3repE0EEENS1_47radix_sort_onesweep_sort_config_static_selectorELNS0_4arch9wavefront6targetE1EEEvSI_: ; @_ZN7rocprim17ROCPRIM_400000_NS6detail17trampoline_kernelINS0_14default_configENS1_35radix_sort_onesweep_config_selectorIddEEZZNS1_29radix_sort_onesweep_iterationIS3_Lb0EN6thrust23THRUST_200600_302600_NS6detail15normal_iteratorINS8_10device_ptrIdEEEESD_SD_SD_jNS0_19identity_decomposerENS1_16block_id_wrapperIjLb1EEEEE10hipError_tT1_PNSt15iterator_traitsISI_E10value_typeET2_T3_PNSJ_ISO_E10value_typeET4_T5_PST_SU_PNS1_23onesweep_lookback_stateEbbT6_jjT7_P12ihipStream_tbENKUlT_T0_SI_SN_E_clISD_PdSD_S15_EEDaS11_S12_SI_SN_EUlS11_E_NS1_11comp_targetILNS1_3genE3ELNS1_11target_archE908ELNS1_3gpuE7ELNS1_3repE0EEENS1_47radix_sort_onesweep_sort_config_static_selectorELNS0_4arch9wavefront6targetE1EEEvSI_
; %bb.0:
	.section	.rodata,"a",@progbits
	.p2align	6, 0x0
	.amdhsa_kernel _ZN7rocprim17ROCPRIM_400000_NS6detail17trampoline_kernelINS0_14default_configENS1_35radix_sort_onesweep_config_selectorIddEEZZNS1_29radix_sort_onesweep_iterationIS3_Lb0EN6thrust23THRUST_200600_302600_NS6detail15normal_iteratorINS8_10device_ptrIdEEEESD_SD_SD_jNS0_19identity_decomposerENS1_16block_id_wrapperIjLb1EEEEE10hipError_tT1_PNSt15iterator_traitsISI_E10value_typeET2_T3_PNSJ_ISO_E10value_typeET4_T5_PST_SU_PNS1_23onesweep_lookback_stateEbbT6_jjT7_P12ihipStream_tbENKUlT_T0_SI_SN_E_clISD_PdSD_S15_EEDaS11_S12_SI_SN_EUlS11_E_NS1_11comp_targetILNS1_3genE3ELNS1_11target_archE908ELNS1_3gpuE7ELNS1_3repE0EEENS1_47radix_sort_onesweep_sort_config_static_selectorELNS0_4arch9wavefront6targetE1EEEvSI_
		.amdhsa_group_segment_fixed_size 0
		.amdhsa_private_segment_fixed_size 0
		.amdhsa_kernarg_size 88
		.amdhsa_user_sgpr_count 2
		.amdhsa_user_sgpr_dispatch_ptr 0
		.amdhsa_user_sgpr_queue_ptr 0
		.amdhsa_user_sgpr_kernarg_segment_ptr 1
		.amdhsa_user_sgpr_dispatch_id 0
		.amdhsa_user_sgpr_kernarg_preload_length 0
		.amdhsa_user_sgpr_kernarg_preload_offset 0
		.amdhsa_user_sgpr_private_segment_size 0
		.amdhsa_uses_dynamic_stack 0
		.amdhsa_enable_private_segment 0
		.amdhsa_system_sgpr_workgroup_id_x 1
		.amdhsa_system_sgpr_workgroup_id_y 0
		.amdhsa_system_sgpr_workgroup_id_z 0
		.amdhsa_system_sgpr_workgroup_info 0
		.amdhsa_system_vgpr_workitem_id 0
		.amdhsa_next_free_vgpr 1
		.amdhsa_next_free_sgpr 0
		.amdhsa_accum_offset 4
		.amdhsa_reserve_vcc 0
		.amdhsa_float_round_mode_32 0
		.amdhsa_float_round_mode_16_64 0
		.amdhsa_float_denorm_mode_32 3
		.amdhsa_float_denorm_mode_16_64 3
		.amdhsa_dx10_clamp 1
		.amdhsa_ieee_mode 1
		.amdhsa_fp16_overflow 0
		.amdhsa_tg_split 0
		.amdhsa_exception_fp_ieee_invalid_op 0
		.amdhsa_exception_fp_denorm_src 0
		.amdhsa_exception_fp_ieee_div_zero 0
		.amdhsa_exception_fp_ieee_overflow 0
		.amdhsa_exception_fp_ieee_underflow 0
		.amdhsa_exception_fp_ieee_inexact 0
		.amdhsa_exception_int_div_zero 0
	.end_amdhsa_kernel
	.section	.text._ZN7rocprim17ROCPRIM_400000_NS6detail17trampoline_kernelINS0_14default_configENS1_35radix_sort_onesweep_config_selectorIddEEZZNS1_29radix_sort_onesweep_iterationIS3_Lb0EN6thrust23THRUST_200600_302600_NS6detail15normal_iteratorINS8_10device_ptrIdEEEESD_SD_SD_jNS0_19identity_decomposerENS1_16block_id_wrapperIjLb1EEEEE10hipError_tT1_PNSt15iterator_traitsISI_E10value_typeET2_T3_PNSJ_ISO_E10value_typeET4_T5_PST_SU_PNS1_23onesweep_lookback_stateEbbT6_jjT7_P12ihipStream_tbENKUlT_T0_SI_SN_E_clISD_PdSD_S15_EEDaS11_S12_SI_SN_EUlS11_E_NS1_11comp_targetILNS1_3genE3ELNS1_11target_archE908ELNS1_3gpuE7ELNS1_3repE0EEENS1_47radix_sort_onesweep_sort_config_static_selectorELNS0_4arch9wavefront6targetE1EEEvSI_,"axG",@progbits,_ZN7rocprim17ROCPRIM_400000_NS6detail17trampoline_kernelINS0_14default_configENS1_35radix_sort_onesweep_config_selectorIddEEZZNS1_29radix_sort_onesweep_iterationIS3_Lb0EN6thrust23THRUST_200600_302600_NS6detail15normal_iteratorINS8_10device_ptrIdEEEESD_SD_SD_jNS0_19identity_decomposerENS1_16block_id_wrapperIjLb1EEEEE10hipError_tT1_PNSt15iterator_traitsISI_E10value_typeET2_T3_PNSJ_ISO_E10value_typeET4_T5_PST_SU_PNS1_23onesweep_lookback_stateEbbT6_jjT7_P12ihipStream_tbENKUlT_T0_SI_SN_E_clISD_PdSD_S15_EEDaS11_S12_SI_SN_EUlS11_E_NS1_11comp_targetILNS1_3genE3ELNS1_11target_archE908ELNS1_3gpuE7ELNS1_3repE0EEENS1_47radix_sort_onesweep_sort_config_static_selectorELNS0_4arch9wavefront6targetE1EEEvSI_,comdat
.Lfunc_end123:
	.size	_ZN7rocprim17ROCPRIM_400000_NS6detail17trampoline_kernelINS0_14default_configENS1_35radix_sort_onesweep_config_selectorIddEEZZNS1_29radix_sort_onesweep_iterationIS3_Lb0EN6thrust23THRUST_200600_302600_NS6detail15normal_iteratorINS8_10device_ptrIdEEEESD_SD_SD_jNS0_19identity_decomposerENS1_16block_id_wrapperIjLb1EEEEE10hipError_tT1_PNSt15iterator_traitsISI_E10value_typeET2_T3_PNSJ_ISO_E10value_typeET4_T5_PST_SU_PNS1_23onesweep_lookback_stateEbbT6_jjT7_P12ihipStream_tbENKUlT_T0_SI_SN_E_clISD_PdSD_S15_EEDaS11_S12_SI_SN_EUlS11_E_NS1_11comp_targetILNS1_3genE3ELNS1_11target_archE908ELNS1_3gpuE7ELNS1_3repE0EEENS1_47radix_sort_onesweep_sort_config_static_selectorELNS0_4arch9wavefront6targetE1EEEvSI_, .Lfunc_end123-_ZN7rocprim17ROCPRIM_400000_NS6detail17trampoline_kernelINS0_14default_configENS1_35radix_sort_onesweep_config_selectorIddEEZZNS1_29radix_sort_onesweep_iterationIS3_Lb0EN6thrust23THRUST_200600_302600_NS6detail15normal_iteratorINS8_10device_ptrIdEEEESD_SD_SD_jNS0_19identity_decomposerENS1_16block_id_wrapperIjLb1EEEEE10hipError_tT1_PNSt15iterator_traitsISI_E10value_typeET2_T3_PNSJ_ISO_E10value_typeET4_T5_PST_SU_PNS1_23onesweep_lookback_stateEbbT6_jjT7_P12ihipStream_tbENKUlT_T0_SI_SN_E_clISD_PdSD_S15_EEDaS11_S12_SI_SN_EUlS11_E_NS1_11comp_targetILNS1_3genE3ELNS1_11target_archE908ELNS1_3gpuE7ELNS1_3repE0EEENS1_47radix_sort_onesweep_sort_config_static_selectorELNS0_4arch9wavefront6targetE1EEEvSI_
                                        ; -- End function
	.set _ZN7rocprim17ROCPRIM_400000_NS6detail17trampoline_kernelINS0_14default_configENS1_35radix_sort_onesweep_config_selectorIddEEZZNS1_29radix_sort_onesweep_iterationIS3_Lb0EN6thrust23THRUST_200600_302600_NS6detail15normal_iteratorINS8_10device_ptrIdEEEESD_SD_SD_jNS0_19identity_decomposerENS1_16block_id_wrapperIjLb1EEEEE10hipError_tT1_PNSt15iterator_traitsISI_E10value_typeET2_T3_PNSJ_ISO_E10value_typeET4_T5_PST_SU_PNS1_23onesweep_lookback_stateEbbT6_jjT7_P12ihipStream_tbENKUlT_T0_SI_SN_E_clISD_PdSD_S15_EEDaS11_S12_SI_SN_EUlS11_E_NS1_11comp_targetILNS1_3genE3ELNS1_11target_archE908ELNS1_3gpuE7ELNS1_3repE0EEENS1_47radix_sort_onesweep_sort_config_static_selectorELNS0_4arch9wavefront6targetE1EEEvSI_.num_vgpr, 0
	.set _ZN7rocprim17ROCPRIM_400000_NS6detail17trampoline_kernelINS0_14default_configENS1_35radix_sort_onesweep_config_selectorIddEEZZNS1_29radix_sort_onesweep_iterationIS3_Lb0EN6thrust23THRUST_200600_302600_NS6detail15normal_iteratorINS8_10device_ptrIdEEEESD_SD_SD_jNS0_19identity_decomposerENS1_16block_id_wrapperIjLb1EEEEE10hipError_tT1_PNSt15iterator_traitsISI_E10value_typeET2_T3_PNSJ_ISO_E10value_typeET4_T5_PST_SU_PNS1_23onesweep_lookback_stateEbbT6_jjT7_P12ihipStream_tbENKUlT_T0_SI_SN_E_clISD_PdSD_S15_EEDaS11_S12_SI_SN_EUlS11_E_NS1_11comp_targetILNS1_3genE3ELNS1_11target_archE908ELNS1_3gpuE7ELNS1_3repE0EEENS1_47radix_sort_onesweep_sort_config_static_selectorELNS0_4arch9wavefront6targetE1EEEvSI_.num_agpr, 0
	.set _ZN7rocprim17ROCPRIM_400000_NS6detail17trampoline_kernelINS0_14default_configENS1_35radix_sort_onesweep_config_selectorIddEEZZNS1_29radix_sort_onesweep_iterationIS3_Lb0EN6thrust23THRUST_200600_302600_NS6detail15normal_iteratorINS8_10device_ptrIdEEEESD_SD_SD_jNS0_19identity_decomposerENS1_16block_id_wrapperIjLb1EEEEE10hipError_tT1_PNSt15iterator_traitsISI_E10value_typeET2_T3_PNSJ_ISO_E10value_typeET4_T5_PST_SU_PNS1_23onesweep_lookback_stateEbbT6_jjT7_P12ihipStream_tbENKUlT_T0_SI_SN_E_clISD_PdSD_S15_EEDaS11_S12_SI_SN_EUlS11_E_NS1_11comp_targetILNS1_3genE3ELNS1_11target_archE908ELNS1_3gpuE7ELNS1_3repE0EEENS1_47radix_sort_onesweep_sort_config_static_selectorELNS0_4arch9wavefront6targetE1EEEvSI_.numbered_sgpr, 0
	.set _ZN7rocprim17ROCPRIM_400000_NS6detail17trampoline_kernelINS0_14default_configENS1_35radix_sort_onesweep_config_selectorIddEEZZNS1_29radix_sort_onesweep_iterationIS3_Lb0EN6thrust23THRUST_200600_302600_NS6detail15normal_iteratorINS8_10device_ptrIdEEEESD_SD_SD_jNS0_19identity_decomposerENS1_16block_id_wrapperIjLb1EEEEE10hipError_tT1_PNSt15iterator_traitsISI_E10value_typeET2_T3_PNSJ_ISO_E10value_typeET4_T5_PST_SU_PNS1_23onesweep_lookback_stateEbbT6_jjT7_P12ihipStream_tbENKUlT_T0_SI_SN_E_clISD_PdSD_S15_EEDaS11_S12_SI_SN_EUlS11_E_NS1_11comp_targetILNS1_3genE3ELNS1_11target_archE908ELNS1_3gpuE7ELNS1_3repE0EEENS1_47radix_sort_onesweep_sort_config_static_selectorELNS0_4arch9wavefront6targetE1EEEvSI_.num_named_barrier, 0
	.set _ZN7rocprim17ROCPRIM_400000_NS6detail17trampoline_kernelINS0_14default_configENS1_35radix_sort_onesweep_config_selectorIddEEZZNS1_29radix_sort_onesweep_iterationIS3_Lb0EN6thrust23THRUST_200600_302600_NS6detail15normal_iteratorINS8_10device_ptrIdEEEESD_SD_SD_jNS0_19identity_decomposerENS1_16block_id_wrapperIjLb1EEEEE10hipError_tT1_PNSt15iterator_traitsISI_E10value_typeET2_T3_PNSJ_ISO_E10value_typeET4_T5_PST_SU_PNS1_23onesweep_lookback_stateEbbT6_jjT7_P12ihipStream_tbENKUlT_T0_SI_SN_E_clISD_PdSD_S15_EEDaS11_S12_SI_SN_EUlS11_E_NS1_11comp_targetILNS1_3genE3ELNS1_11target_archE908ELNS1_3gpuE7ELNS1_3repE0EEENS1_47radix_sort_onesweep_sort_config_static_selectorELNS0_4arch9wavefront6targetE1EEEvSI_.private_seg_size, 0
	.set _ZN7rocprim17ROCPRIM_400000_NS6detail17trampoline_kernelINS0_14default_configENS1_35radix_sort_onesweep_config_selectorIddEEZZNS1_29radix_sort_onesweep_iterationIS3_Lb0EN6thrust23THRUST_200600_302600_NS6detail15normal_iteratorINS8_10device_ptrIdEEEESD_SD_SD_jNS0_19identity_decomposerENS1_16block_id_wrapperIjLb1EEEEE10hipError_tT1_PNSt15iterator_traitsISI_E10value_typeET2_T3_PNSJ_ISO_E10value_typeET4_T5_PST_SU_PNS1_23onesweep_lookback_stateEbbT6_jjT7_P12ihipStream_tbENKUlT_T0_SI_SN_E_clISD_PdSD_S15_EEDaS11_S12_SI_SN_EUlS11_E_NS1_11comp_targetILNS1_3genE3ELNS1_11target_archE908ELNS1_3gpuE7ELNS1_3repE0EEENS1_47radix_sort_onesweep_sort_config_static_selectorELNS0_4arch9wavefront6targetE1EEEvSI_.uses_vcc, 0
	.set _ZN7rocprim17ROCPRIM_400000_NS6detail17trampoline_kernelINS0_14default_configENS1_35radix_sort_onesweep_config_selectorIddEEZZNS1_29radix_sort_onesweep_iterationIS3_Lb0EN6thrust23THRUST_200600_302600_NS6detail15normal_iteratorINS8_10device_ptrIdEEEESD_SD_SD_jNS0_19identity_decomposerENS1_16block_id_wrapperIjLb1EEEEE10hipError_tT1_PNSt15iterator_traitsISI_E10value_typeET2_T3_PNSJ_ISO_E10value_typeET4_T5_PST_SU_PNS1_23onesweep_lookback_stateEbbT6_jjT7_P12ihipStream_tbENKUlT_T0_SI_SN_E_clISD_PdSD_S15_EEDaS11_S12_SI_SN_EUlS11_E_NS1_11comp_targetILNS1_3genE3ELNS1_11target_archE908ELNS1_3gpuE7ELNS1_3repE0EEENS1_47radix_sort_onesweep_sort_config_static_selectorELNS0_4arch9wavefront6targetE1EEEvSI_.uses_flat_scratch, 0
	.set _ZN7rocprim17ROCPRIM_400000_NS6detail17trampoline_kernelINS0_14default_configENS1_35radix_sort_onesweep_config_selectorIddEEZZNS1_29radix_sort_onesweep_iterationIS3_Lb0EN6thrust23THRUST_200600_302600_NS6detail15normal_iteratorINS8_10device_ptrIdEEEESD_SD_SD_jNS0_19identity_decomposerENS1_16block_id_wrapperIjLb1EEEEE10hipError_tT1_PNSt15iterator_traitsISI_E10value_typeET2_T3_PNSJ_ISO_E10value_typeET4_T5_PST_SU_PNS1_23onesweep_lookback_stateEbbT6_jjT7_P12ihipStream_tbENKUlT_T0_SI_SN_E_clISD_PdSD_S15_EEDaS11_S12_SI_SN_EUlS11_E_NS1_11comp_targetILNS1_3genE3ELNS1_11target_archE908ELNS1_3gpuE7ELNS1_3repE0EEENS1_47radix_sort_onesweep_sort_config_static_selectorELNS0_4arch9wavefront6targetE1EEEvSI_.has_dyn_sized_stack, 0
	.set _ZN7rocprim17ROCPRIM_400000_NS6detail17trampoline_kernelINS0_14default_configENS1_35radix_sort_onesweep_config_selectorIddEEZZNS1_29radix_sort_onesweep_iterationIS3_Lb0EN6thrust23THRUST_200600_302600_NS6detail15normal_iteratorINS8_10device_ptrIdEEEESD_SD_SD_jNS0_19identity_decomposerENS1_16block_id_wrapperIjLb1EEEEE10hipError_tT1_PNSt15iterator_traitsISI_E10value_typeET2_T3_PNSJ_ISO_E10value_typeET4_T5_PST_SU_PNS1_23onesweep_lookback_stateEbbT6_jjT7_P12ihipStream_tbENKUlT_T0_SI_SN_E_clISD_PdSD_S15_EEDaS11_S12_SI_SN_EUlS11_E_NS1_11comp_targetILNS1_3genE3ELNS1_11target_archE908ELNS1_3gpuE7ELNS1_3repE0EEENS1_47radix_sort_onesweep_sort_config_static_selectorELNS0_4arch9wavefront6targetE1EEEvSI_.has_recursion, 0
	.set _ZN7rocprim17ROCPRIM_400000_NS6detail17trampoline_kernelINS0_14default_configENS1_35radix_sort_onesweep_config_selectorIddEEZZNS1_29radix_sort_onesweep_iterationIS3_Lb0EN6thrust23THRUST_200600_302600_NS6detail15normal_iteratorINS8_10device_ptrIdEEEESD_SD_SD_jNS0_19identity_decomposerENS1_16block_id_wrapperIjLb1EEEEE10hipError_tT1_PNSt15iterator_traitsISI_E10value_typeET2_T3_PNSJ_ISO_E10value_typeET4_T5_PST_SU_PNS1_23onesweep_lookback_stateEbbT6_jjT7_P12ihipStream_tbENKUlT_T0_SI_SN_E_clISD_PdSD_S15_EEDaS11_S12_SI_SN_EUlS11_E_NS1_11comp_targetILNS1_3genE3ELNS1_11target_archE908ELNS1_3gpuE7ELNS1_3repE0EEENS1_47radix_sort_onesweep_sort_config_static_selectorELNS0_4arch9wavefront6targetE1EEEvSI_.has_indirect_call, 0
	.section	.AMDGPU.csdata,"",@progbits
; Kernel info:
; codeLenInByte = 0
; TotalNumSgprs: 6
; NumVgprs: 0
; NumAgprs: 0
; TotalNumVgprs: 0
; ScratchSize: 0
; MemoryBound: 0
; FloatMode: 240
; IeeeMode: 1
; LDSByteSize: 0 bytes/workgroup (compile time only)
; SGPRBlocks: 0
; VGPRBlocks: 0
; NumSGPRsForWavesPerEU: 6
; NumVGPRsForWavesPerEU: 1
; AccumOffset: 4
; Occupancy: 8
; WaveLimiterHint : 0
; COMPUTE_PGM_RSRC2:SCRATCH_EN: 0
; COMPUTE_PGM_RSRC2:USER_SGPR: 2
; COMPUTE_PGM_RSRC2:TRAP_HANDLER: 0
; COMPUTE_PGM_RSRC2:TGID_X_EN: 1
; COMPUTE_PGM_RSRC2:TGID_Y_EN: 0
; COMPUTE_PGM_RSRC2:TGID_Z_EN: 0
; COMPUTE_PGM_RSRC2:TIDIG_COMP_CNT: 0
; COMPUTE_PGM_RSRC3_GFX90A:ACCUM_OFFSET: 0
; COMPUTE_PGM_RSRC3_GFX90A:TG_SPLIT: 0
	.section	.text._ZN7rocprim17ROCPRIM_400000_NS6detail17trampoline_kernelINS0_14default_configENS1_35radix_sort_onesweep_config_selectorIddEEZZNS1_29radix_sort_onesweep_iterationIS3_Lb0EN6thrust23THRUST_200600_302600_NS6detail15normal_iteratorINS8_10device_ptrIdEEEESD_SD_SD_jNS0_19identity_decomposerENS1_16block_id_wrapperIjLb1EEEEE10hipError_tT1_PNSt15iterator_traitsISI_E10value_typeET2_T3_PNSJ_ISO_E10value_typeET4_T5_PST_SU_PNS1_23onesweep_lookback_stateEbbT6_jjT7_P12ihipStream_tbENKUlT_T0_SI_SN_E_clISD_PdSD_S15_EEDaS11_S12_SI_SN_EUlS11_E_NS1_11comp_targetILNS1_3genE10ELNS1_11target_archE1201ELNS1_3gpuE5ELNS1_3repE0EEENS1_47radix_sort_onesweep_sort_config_static_selectorELNS0_4arch9wavefront6targetE1EEEvSI_,"axG",@progbits,_ZN7rocprim17ROCPRIM_400000_NS6detail17trampoline_kernelINS0_14default_configENS1_35radix_sort_onesweep_config_selectorIddEEZZNS1_29radix_sort_onesweep_iterationIS3_Lb0EN6thrust23THRUST_200600_302600_NS6detail15normal_iteratorINS8_10device_ptrIdEEEESD_SD_SD_jNS0_19identity_decomposerENS1_16block_id_wrapperIjLb1EEEEE10hipError_tT1_PNSt15iterator_traitsISI_E10value_typeET2_T3_PNSJ_ISO_E10value_typeET4_T5_PST_SU_PNS1_23onesweep_lookback_stateEbbT6_jjT7_P12ihipStream_tbENKUlT_T0_SI_SN_E_clISD_PdSD_S15_EEDaS11_S12_SI_SN_EUlS11_E_NS1_11comp_targetILNS1_3genE10ELNS1_11target_archE1201ELNS1_3gpuE5ELNS1_3repE0EEENS1_47radix_sort_onesweep_sort_config_static_selectorELNS0_4arch9wavefront6targetE1EEEvSI_,comdat
	.protected	_ZN7rocprim17ROCPRIM_400000_NS6detail17trampoline_kernelINS0_14default_configENS1_35radix_sort_onesweep_config_selectorIddEEZZNS1_29radix_sort_onesweep_iterationIS3_Lb0EN6thrust23THRUST_200600_302600_NS6detail15normal_iteratorINS8_10device_ptrIdEEEESD_SD_SD_jNS0_19identity_decomposerENS1_16block_id_wrapperIjLb1EEEEE10hipError_tT1_PNSt15iterator_traitsISI_E10value_typeET2_T3_PNSJ_ISO_E10value_typeET4_T5_PST_SU_PNS1_23onesweep_lookback_stateEbbT6_jjT7_P12ihipStream_tbENKUlT_T0_SI_SN_E_clISD_PdSD_S15_EEDaS11_S12_SI_SN_EUlS11_E_NS1_11comp_targetILNS1_3genE10ELNS1_11target_archE1201ELNS1_3gpuE5ELNS1_3repE0EEENS1_47radix_sort_onesweep_sort_config_static_selectorELNS0_4arch9wavefront6targetE1EEEvSI_ ; -- Begin function _ZN7rocprim17ROCPRIM_400000_NS6detail17trampoline_kernelINS0_14default_configENS1_35radix_sort_onesweep_config_selectorIddEEZZNS1_29radix_sort_onesweep_iterationIS3_Lb0EN6thrust23THRUST_200600_302600_NS6detail15normal_iteratorINS8_10device_ptrIdEEEESD_SD_SD_jNS0_19identity_decomposerENS1_16block_id_wrapperIjLb1EEEEE10hipError_tT1_PNSt15iterator_traitsISI_E10value_typeET2_T3_PNSJ_ISO_E10value_typeET4_T5_PST_SU_PNS1_23onesweep_lookback_stateEbbT6_jjT7_P12ihipStream_tbENKUlT_T0_SI_SN_E_clISD_PdSD_S15_EEDaS11_S12_SI_SN_EUlS11_E_NS1_11comp_targetILNS1_3genE10ELNS1_11target_archE1201ELNS1_3gpuE5ELNS1_3repE0EEENS1_47radix_sort_onesweep_sort_config_static_selectorELNS0_4arch9wavefront6targetE1EEEvSI_
	.globl	_ZN7rocprim17ROCPRIM_400000_NS6detail17trampoline_kernelINS0_14default_configENS1_35radix_sort_onesweep_config_selectorIddEEZZNS1_29radix_sort_onesweep_iterationIS3_Lb0EN6thrust23THRUST_200600_302600_NS6detail15normal_iteratorINS8_10device_ptrIdEEEESD_SD_SD_jNS0_19identity_decomposerENS1_16block_id_wrapperIjLb1EEEEE10hipError_tT1_PNSt15iterator_traitsISI_E10value_typeET2_T3_PNSJ_ISO_E10value_typeET4_T5_PST_SU_PNS1_23onesweep_lookback_stateEbbT6_jjT7_P12ihipStream_tbENKUlT_T0_SI_SN_E_clISD_PdSD_S15_EEDaS11_S12_SI_SN_EUlS11_E_NS1_11comp_targetILNS1_3genE10ELNS1_11target_archE1201ELNS1_3gpuE5ELNS1_3repE0EEENS1_47radix_sort_onesweep_sort_config_static_selectorELNS0_4arch9wavefront6targetE1EEEvSI_
	.p2align	8
	.type	_ZN7rocprim17ROCPRIM_400000_NS6detail17trampoline_kernelINS0_14default_configENS1_35radix_sort_onesweep_config_selectorIddEEZZNS1_29radix_sort_onesweep_iterationIS3_Lb0EN6thrust23THRUST_200600_302600_NS6detail15normal_iteratorINS8_10device_ptrIdEEEESD_SD_SD_jNS0_19identity_decomposerENS1_16block_id_wrapperIjLb1EEEEE10hipError_tT1_PNSt15iterator_traitsISI_E10value_typeET2_T3_PNSJ_ISO_E10value_typeET4_T5_PST_SU_PNS1_23onesweep_lookback_stateEbbT6_jjT7_P12ihipStream_tbENKUlT_T0_SI_SN_E_clISD_PdSD_S15_EEDaS11_S12_SI_SN_EUlS11_E_NS1_11comp_targetILNS1_3genE10ELNS1_11target_archE1201ELNS1_3gpuE5ELNS1_3repE0EEENS1_47radix_sort_onesweep_sort_config_static_selectorELNS0_4arch9wavefront6targetE1EEEvSI_,@function
_ZN7rocprim17ROCPRIM_400000_NS6detail17trampoline_kernelINS0_14default_configENS1_35radix_sort_onesweep_config_selectorIddEEZZNS1_29radix_sort_onesweep_iterationIS3_Lb0EN6thrust23THRUST_200600_302600_NS6detail15normal_iteratorINS8_10device_ptrIdEEEESD_SD_SD_jNS0_19identity_decomposerENS1_16block_id_wrapperIjLb1EEEEE10hipError_tT1_PNSt15iterator_traitsISI_E10value_typeET2_T3_PNSJ_ISO_E10value_typeET4_T5_PST_SU_PNS1_23onesweep_lookback_stateEbbT6_jjT7_P12ihipStream_tbENKUlT_T0_SI_SN_E_clISD_PdSD_S15_EEDaS11_S12_SI_SN_EUlS11_E_NS1_11comp_targetILNS1_3genE10ELNS1_11target_archE1201ELNS1_3gpuE5ELNS1_3repE0EEENS1_47radix_sort_onesweep_sort_config_static_selectorELNS0_4arch9wavefront6targetE1EEEvSI_: ; @_ZN7rocprim17ROCPRIM_400000_NS6detail17trampoline_kernelINS0_14default_configENS1_35radix_sort_onesweep_config_selectorIddEEZZNS1_29radix_sort_onesweep_iterationIS3_Lb0EN6thrust23THRUST_200600_302600_NS6detail15normal_iteratorINS8_10device_ptrIdEEEESD_SD_SD_jNS0_19identity_decomposerENS1_16block_id_wrapperIjLb1EEEEE10hipError_tT1_PNSt15iterator_traitsISI_E10value_typeET2_T3_PNSJ_ISO_E10value_typeET4_T5_PST_SU_PNS1_23onesweep_lookback_stateEbbT6_jjT7_P12ihipStream_tbENKUlT_T0_SI_SN_E_clISD_PdSD_S15_EEDaS11_S12_SI_SN_EUlS11_E_NS1_11comp_targetILNS1_3genE10ELNS1_11target_archE1201ELNS1_3gpuE5ELNS1_3repE0EEENS1_47radix_sort_onesweep_sort_config_static_selectorELNS0_4arch9wavefront6targetE1EEEvSI_
; %bb.0:
	.section	.rodata,"a",@progbits
	.p2align	6, 0x0
	.amdhsa_kernel _ZN7rocprim17ROCPRIM_400000_NS6detail17trampoline_kernelINS0_14default_configENS1_35radix_sort_onesweep_config_selectorIddEEZZNS1_29radix_sort_onesweep_iterationIS3_Lb0EN6thrust23THRUST_200600_302600_NS6detail15normal_iteratorINS8_10device_ptrIdEEEESD_SD_SD_jNS0_19identity_decomposerENS1_16block_id_wrapperIjLb1EEEEE10hipError_tT1_PNSt15iterator_traitsISI_E10value_typeET2_T3_PNSJ_ISO_E10value_typeET4_T5_PST_SU_PNS1_23onesweep_lookback_stateEbbT6_jjT7_P12ihipStream_tbENKUlT_T0_SI_SN_E_clISD_PdSD_S15_EEDaS11_S12_SI_SN_EUlS11_E_NS1_11comp_targetILNS1_3genE10ELNS1_11target_archE1201ELNS1_3gpuE5ELNS1_3repE0EEENS1_47radix_sort_onesweep_sort_config_static_selectorELNS0_4arch9wavefront6targetE1EEEvSI_
		.amdhsa_group_segment_fixed_size 0
		.amdhsa_private_segment_fixed_size 0
		.amdhsa_kernarg_size 88
		.amdhsa_user_sgpr_count 2
		.amdhsa_user_sgpr_dispatch_ptr 0
		.amdhsa_user_sgpr_queue_ptr 0
		.amdhsa_user_sgpr_kernarg_segment_ptr 1
		.amdhsa_user_sgpr_dispatch_id 0
		.amdhsa_user_sgpr_kernarg_preload_length 0
		.amdhsa_user_sgpr_kernarg_preload_offset 0
		.amdhsa_user_sgpr_private_segment_size 0
		.amdhsa_uses_dynamic_stack 0
		.amdhsa_enable_private_segment 0
		.amdhsa_system_sgpr_workgroup_id_x 1
		.amdhsa_system_sgpr_workgroup_id_y 0
		.amdhsa_system_sgpr_workgroup_id_z 0
		.amdhsa_system_sgpr_workgroup_info 0
		.amdhsa_system_vgpr_workitem_id 0
		.amdhsa_next_free_vgpr 1
		.amdhsa_next_free_sgpr 0
		.amdhsa_accum_offset 4
		.amdhsa_reserve_vcc 0
		.amdhsa_float_round_mode_32 0
		.amdhsa_float_round_mode_16_64 0
		.amdhsa_float_denorm_mode_32 3
		.amdhsa_float_denorm_mode_16_64 3
		.amdhsa_dx10_clamp 1
		.amdhsa_ieee_mode 1
		.amdhsa_fp16_overflow 0
		.amdhsa_tg_split 0
		.amdhsa_exception_fp_ieee_invalid_op 0
		.amdhsa_exception_fp_denorm_src 0
		.amdhsa_exception_fp_ieee_div_zero 0
		.amdhsa_exception_fp_ieee_overflow 0
		.amdhsa_exception_fp_ieee_underflow 0
		.amdhsa_exception_fp_ieee_inexact 0
		.amdhsa_exception_int_div_zero 0
	.end_amdhsa_kernel
	.section	.text._ZN7rocprim17ROCPRIM_400000_NS6detail17trampoline_kernelINS0_14default_configENS1_35radix_sort_onesweep_config_selectorIddEEZZNS1_29radix_sort_onesweep_iterationIS3_Lb0EN6thrust23THRUST_200600_302600_NS6detail15normal_iteratorINS8_10device_ptrIdEEEESD_SD_SD_jNS0_19identity_decomposerENS1_16block_id_wrapperIjLb1EEEEE10hipError_tT1_PNSt15iterator_traitsISI_E10value_typeET2_T3_PNSJ_ISO_E10value_typeET4_T5_PST_SU_PNS1_23onesweep_lookback_stateEbbT6_jjT7_P12ihipStream_tbENKUlT_T0_SI_SN_E_clISD_PdSD_S15_EEDaS11_S12_SI_SN_EUlS11_E_NS1_11comp_targetILNS1_3genE10ELNS1_11target_archE1201ELNS1_3gpuE5ELNS1_3repE0EEENS1_47radix_sort_onesweep_sort_config_static_selectorELNS0_4arch9wavefront6targetE1EEEvSI_,"axG",@progbits,_ZN7rocprim17ROCPRIM_400000_NS6detail17trampoline_kernelINS0_14default_configENS1_35radix_sort_onesweep_config_selectorIddEEZZNS1_29radix_sort_onesweep_iterationIS3_Lb0EN6thrust23THRUST_200600_302600_NS6detail15normal_iteratorINS8_10device_ptrIdEEEESD_SD_SD_jNS0_19identity_decomposerENS1_16block_id_wrapperIjLb1EEEEE10hipError_tT1_PNSt15iterator_traitsISI_E10value_typeET2_T3_PNSJ_ISO_E10value_typeET4_T5_PST_SU_PNS1_23onesweep_lookback_stateEbbT6_jjT7_P12ihipStream_tbENKUlT_T0_SI_SN_E_clISD_PdSD_S15_EEDaS11_S12_SI_SN_EUlS11_E_NS1_11comp_targetILNS1_3genE10ELNS1_11target_archE1201ELNS1_3gpuE5ELNS1_3repE0EEENS1_47radix_sort_onesweep_sort_config_static_selectorELNS0_4arch9wavefront6targetE1EEEvSI_,comdat
.Lfunc_end124:
	.size	_ZN7rocprim17ROCPRIM_400000_NS6detail17trampoline_kernelINS0_14default_configENS1_35radix_sort_onesweep_config_selectorIddEEZZNS1_29radix_sort_onesweep_iterationIS3_Lb0EN6thrust23THRUST_200600_302600_NS6detail15normal_iteratorINS8_10device_ptrIdEEEESD_SD_SD_jNS0_19identity_decomposerENS1_16block_id_wrapperIjLb1EEEEE10hipError_tT1_PNSt15iterator_traitsISI_E10value_typeET2_T3_PNSJ_ISO_E10value_typeET4_T5_PST_SU_PNS1_23onesweep_lookback_stateEbbT6_jjT7_P12ihipStream_tbENKUlT_T0_SI_SN_E_clISD_PdSD_S15_EEDaS11_S12_SI_SN_EUlS11_E_NS1_11comp_targetILNS1_3genE10ELNS1_11target_archE1201ELNS1_3gpuE5ELNS1_3repE0EEENS1_47radix_sort_onesweep_sort_config_static_selectorELNS0_4arch9wavefront6targetE1EEEvSI_, .Lfunc_end124-_ZN7rocprim17ROCPRIM_400000_NS6detail17trampoline_kernelINS0_14default_configENS1_35radix_sort_onesweep_config_selectorIddEEZZNS1_29radix_sort_onesweep_iterationIS3_Lb0EN6thrust23THRUST_200600_302600_NS6detail15normal_iteratorINS8_10device_ptrIdEEEESD_SD_SD_jNS0_19identity_decomposerENS1_16block_id_wrapperIjLb1EEEEE10hipError_tT1_PNSt15iterator_traitsISI_E10value_typeET2_T3_PNSJ_ISO_E10value_typeET4_T5_PST_SU_PNS1_23onesweep_lookback_stateEbbT6_jjT7_P12ihipStream_tbENKUlT_T0_SI_SN_E_clISD_PdSD_S15_EEDaS11_S12_SI_SN_EUlS11_E_NS1_11comp_targetILNS1_3genE10ELNS1_11target_archE1201ELNS1_3gpuE5ELNS1_3repE0EEENS1_47radix_sort_onesweep_sort_config_static_selectorELNS0_4arch9wavefront6targetE1EEEvSI_
                                        ; -- End function
	.set _ZN7rocprim17ROCPRIM_400000_NS6detail17trampoline_kernelINS0_14default_configENS1_35radix_sort_onesweep_config_selectorIddEEZZNS1_29radix_sort_onesweep_iterationIS3_Lb0EN6thrust23THRUST_200600_302600_NS6detail15normal_iteratorINS8_10device_ptrIdEEEESD_SD_SD_jNS0_19identity_decomposerENS1_16block_id_wrapperIjLb1EEEEE10hipError_tT1_PNSt15iterator_traitsISI_E10value_typeET2_T3_PNSJ_ISO_E10value_typeET4_T5_PST_SU_PNS1_23onesweep_lookback_stateEbbT6_jjT7_P12ihipStream_tbENKUlT_T0_SI_SN_E_clISD_PdSD_S15_EEDaS11_S12_SI_SN_EUlS11_E_NS1_11comp_targetILNS1_3genE10ELNS1_11target_archE1201ELNS1_3gpuE5ELNS1_3repE0EEENS1_47radix_sort_onesweep_sort_config_static_selectorELNS0_4arch9wavefront6targetE1EEEvSI_.num_vgpr, 0
	.set _ZN7rocprim17ROCPRIM_400000_NS6detail17trampoline_kernelINS0_14default_configENS1_35radix_sort_onesweep_config_selectorIddEEZZNS1_29radix_sort_onesweep_iterationIS3_Lb0EN6thrust23THRUST_200600_302600_NS6detail15normal_iteratorINS8_10device_ptrIdEEEESD_SD_SD_jNS0_19identity_decomposerENS1_16block_id_wrapperIjLb1EEEEE10hipError_tT1_PNSt15iterator_traitsISI_E10value_typeET2_T3_PNSJ_ISO_E10value_typeET4_T5_PST_SU_PNS1_23onesweep_lookback_stateEbbT6_jjT7_P12ihipStream_tbENKUlT_T0_SI_SN_E_clISD_PdSD_S15_EEDaS11_S12_SI_SN_EUlS11_E_NS1_11comp_targetILNS1_3genE10ELNS1_11target_archE1201ELNS1_3gpuE5ELNS1_3repE0EEENS1_47radix_sort_onesweep_sort_config_static_selectorELNS0_4arch9wavefront6targetE1EEEvSI_.num_agpr, 0
	.set _ZN7rocprim17ROCPRIM_400000_NS6detail17trampoline_kernelINS0_14default_configENS1_35radix_sort_onesweep_config_selectorIddEEZZNS1_29radix_sort_onesweep_iterationIS3_Lb0EN6thrust23THRUST_200600_302600_NS6detail15normal_iteratorINS8_10device_ptrIdEEEESD_SD_SD_jNS0_19identity_decomposerENS1_16block_id_wrapperIjLb1EEEEE10hipError_tT1_PNSt15iterator_traitsISI_E10value_typeET2_T3_PNSJ_ISO_E10value_typeET4_T5_PST_SU_PNS1_23onesweep_lookback_stateEbbT6_jjT7_P12ihipStream_tbENKUlT_T0_SI_SN_E_clISD_PdSD_S15_EEDaS11_S12_SI_SN_EUlS11_E_NS1_11comp_targetILNS1_3genE10ELNS1_11target_archE1201ELNS1_3gpuE5ELNS1_3repE0EEENS1_47radix_sort_onesweep_sort_config_static_selectorELNS0_4arch9wavefront6targetE1EEEvSI_.numbered_sgpr, 0
	.set _ZN7rocprim17ROCPRIM_400000_NS6detail17trampoline_kernelINS0_14default_configENS1_35radix_sort_onesweep_config_selectorIddEEZZNS1_29radix_sort_onesweep_iterationIS3_Lb0EN6thrust23THRUST_200600_302600_NS6detail15normal_iteratorINS8_10device_ptrIdEEEESD_SD_SD_jNS0_19identity_decomposerENS1_16block_id_wrapperIjLb1EEEEE10hipError_tT1_PNSt15iterator_traitsISI_E10value_typeET2_T3_PNSJ_ISO_E10value_typeET4_T5_PST_SU_PNS1_23onesweep_lookback_stateEbbT6_jjT7_P12ihipStream_tbENKUlT_T0_SI_SN_E_clISD_PdSD_S15_EEDaS11_S12_SI_SN_EUlS11_E_NS1_11comp_targetILNS1_3genE10ELNS1_11target_archE1201ELNS1_3gpuE5ELNS1_3repE0EEENS1_47radix_sort_onesweep_sort_config_static_selectorELNS0_4arch9wavefront6targetE1EEEvSI_.num_named_barrier, 0
	.set _ZN7rocprim17ROCPRIM_400000_NS6detail17trampoline_kernelINS0_14default_configENS1_35radix_sort_onesweep_config_selectorIddEEZZNS1_29radix_sort_onesweep_iterationIS3_Lb0EN6thrust23THRUST_200600_302600_NS6detail15normal_iteratorINS8_10device_ptrIdEEEESD_SD_SD_jNS0_19identity_decomposerENS1_16block_id_wrapperIjLb1EEEEE10hipError_tT1_PNSt15iterator_traitsISI_E10value_typeET2_T3_PNSJ_ISO_E10value_typeET4_T5_PST_SU_PNS1_23onesweep_lookback_stateEbbT6_jjT7_P12ihipStream_tbENKUlT_T0_SI_SN_E_clISD_PdSD_S15_EEDaS11_S12_SI_SN_EUlS11_E_NS1_11comp_targetILNS1_3genE10ELNS1_11target_archE1201ELNS1_3gpuE5ELNS1_3repE0EEENS1_47radix_sort_onesweep_sort_config_static_selectorELNS0_4arch9wavefront6targetE1EEEvSI_.private_seg_size, 0
	.set _ZN7rocprim17ROCPRIM_400000_NS6detail17trampoline_kernelINS0_14default_configENS1_35radix_sort_onesweep_config_selectorIddEEZZNS1_29radix_sort_onesweep_iterationIS3_Lb0EN6thrust23THRUST_200600_302600_NS6detail15normal_iteratorINS8_10device_ptrIdEEEESD_SD_SD_jNS0_19identity_decomposerENS1_16block_id_wrapperIjLb1EEEEE10hipError_tT1_PNSt15iterator_traitsISI_E10value_typeET2_T3_PNSJ_ISO_E10value_typeET4_T5_PST_SU_PNS1_23onesweep_lookback_stateEbbT6_jjT7_P12ihipStream_tbENKUlT_T0_SI_SN_E_clISD_PdSD_S15_EEDaS11_S12_SI_SN_EUlS11_E_NS1_11comp_targetILNS1_3genE10ELNS1_11target_archE1201ELNS1_3gpuE5ELNS1_3repE0EEENS1_47radix_sort_onesweep_sort_config_static_selectorELNS0_4arch9wavefront6targetE1EEEvSI_.uses_vcc, 0
	.set _ZN7rocprim17ROCPRIM_400000_NS6detail17trampoline_kernelINS0_14default_configENS1_35radix_sort_onesweep_config_selectorIddEEZZNS1_29radix_sort_onesweep_iterationIS3_Lb0EN6thrust23THRUST_200600_302600_NS6detail15normal_iteratorINS8_10device_ptrIdEEEESD_SD_SD_jNS0_19identity_decomposerENS1_16block_id_wrapperIjLb1EEEEE10hipError_tT1_PNSt15iterator_traitsISI_E10value_typeET2_T3_PNSJ_ISO_E10value_typeET4_T5_PST_SU_PNS1_23onesweep_lookback_stateEbbT6_jjT7_P12ihipStream_tbENKUlT_T0_SI_SN_E_clISD_PdSD_S15_EEDaS11_S12_SI_SN_EUlS11_E_NS1_11comp_targetILNS1_3genE10ELNS1_11target_archE1201ELNS1_3gpuE5ELNS1_3repE0EEENS1_47radix_sort_onesweep_sort_config_static_selectorELNS0_4arch9wavefront6targetE1EEEvSI_.uses_flat_scratch, 0
	.set _ZN7rocprim17ROCPRIM_400000_NS6detail17trampoline_kernelINS0_14default_configENS1_35radix_sort_onesweep_config_selectorIddEEZZNS1_29radix_sort_onesweep_iterationIS3_Lb0EN6thrust23THRUST_200600_302600_NS6detail15normal_iteratorINS8_10device_ptrIdEEEESD_SD_SD_jNS0_19identity_decomposerENS1_16block_id_wrapperIjLb1EEEEE10hipError_tT1_PNSt15iterator_traitsISI_E10value_typeET2_T3_PNSJ_ISO_E10value_typeET4_T5_PST_SU_PNS1_23onesweep_lookback_stateEbbT6_jjT7_P12ihipStream_tbENKUlT_T0_SI_SN_E_clISD_PdSD_S15_EEDaS11_S12_SI_SN_EUlS11_E_NS1_11comp_targetILNS1_3genE10ELNS1_11target_archE1201ELNS1_3gpuE5ELNS1_3repE0EEENS1_47radix_sort_onesweep_sort_config_static_selectorELNS0_4arch9wavefront6targetE1EEEvSI_.has_dyn_sized_stack, 0
	.set _ZN7rocprim17ROCPRIM_400000_NS6detail17trampoline_kernelINS0_14default_configENS1_35radix_sort_onesweep_config_selectorIddEEZZNS1_29radix_sort_onesweep_iterationIS3_Lb0EN6thrust23THRUST_200600_302600_NS6detail15normal_iteratorINS8_10device_ptrIdEEEESD_SD_SD_jNS0_19identity_decomposerENS1_16block_id_wrapperIjLb1EEEEE10hipError_tT1_PNSt15iterator_traitsISI_E10value_typeET2_T3_PNSJ_ISO_E10value_typeET4_T5_PST_SU_PNS1_23onesweep_lookback_stateEbbT6_jjT7_P12ihipStream_tbENKUlT_T0_SI_SN_E_clISD_PdSD_S15_EEDaS11_S12_SI_SN_EUlS11_E_NS1_11comp_targetILNS1_3genE10ELNS1_11target_archE1201ELNS1_3gpuE5ELNS1_3repE0EEENS1_47radix_sort_onesweep_sort_config_static_selectorELNS0_4arch9wavefront6targetE1EEEvSI_.has_recursion, 0
	.set _ZN7rocprim17ROCPRIM_400000_NS6detail17trampoline_kernelINS0_14default_configENS1_35radix_sort_onesweep_config_selectorIddEEZZNS1_29radix_sort_onesweep_iterationIS3_Lb0EN6thrust23THRUST_200600_302600_NS6detail15normal_iteratorINS8_10device_ptrIdEEEESD_SD_SD_jNS0_19identity_decomposerENS1_16block_id_wrapperIjLb1EEEEE10hipError_tT1_PNSt15iterator_traitsISI_E10value_typeET2_T3_PNSJ_ISO_E10value_typeET4_T5_PST_SU_PNS1_23onesweep_lookback_stateEbbT6_jjT7_P12ihipStream_tbENKUlT_T0_SI_SN_E_clISD_PdSD_S15_EEDaS11_S12_SI_SN_EUlS11_E_NS1_11comp_targetILNS1_3genE10ELNS1_11target_archE1201ELNS1_3gpuE5ELNS1_3repE0EEENS1_47radix_sort_onesweep_sort_config_static_selectorELNS0_4arch9wavefront6targetE1EEEvSI_.has_indirect_call, 0
	.section	.AMDGPU.csdata,"",@progbits
; Kernel info:
; codeLenInByte = 0
; TotalNumSgprs: 6
; NumVgprs: 0
; NumAgprs: 0
; TotalNumVgprs: 0
; ScratchSize: 0
; MemoryBound: 0
; FloatMode: 240
; IeeeMode: 1
; LDSByteSize: 0 bytes/workgroup (compile time only)
; SGPRBlocks: 0
; VGPRBlocks: 0
; NumSGPRsForWavesPerEU: 6
; NumVGPRsForWavesPerEU: 1
; AccumOffset: 4
; Occupancy: 8
; WaveLimiterHint : 0
; COMPUTE_PGM_RSRC2:SCRATCH_EN: 0
; COMPUTE_PGM_RSRC2:USER_SGPR: 2
; COMPUTE_PGM_RSRC2:TRAP_HANDLER: 0
; COMPUTE_PGM_RSRC2:TGID_X_EN: 1
; COMPUTE_PGM_RSRC2:TGID_Y_EN: 0
; COMPUTE_PGM_RSRC2:TGID_Z_EN: 0
; COMPUTE_PGM_RSRC2:TIDIG_COMP_CNT: 0
; COMPUTE_PGM_RSRC3_GFX90A:ACCUM_OFFSET: 0
; COMPUTE_PGM_RSRC3_GFX90A:TG_SPLIT: 0
	.section	.text._ZN7rocprim17ROCPRIM_400000_NS6detail17trampoline_kernelINS0_14default_configENS1_35radix_sort_onesweep_config_selectorIddEEZZNS1_29radix_sort_onesweep_iterationIS3_Lb0EN6thrust23THRUST_200600_302600_NS6detail15normal_iteratorINS8_10device_ptrIdEEEESD_SD_SD_jNS0_19identity_decomposerENS1_16block_id_wrapperIjLb1EEEEE10hipError_tT1_PNSt15iterator_traitsISI_E10value_typeET2_T3_PNSJ_ISO_E10value_typeET4_T5_PST_SU_PNS1_23onesweep_lookback_stateEbbT6_jjT7_P12ihipStream_tbENKUlT_T0_SI_SN_E_clISD_PdSD_S15_EEDaS11_S12_SI_SN_EUlS11_E_NS1_11comp_targetILNS1_3genE9ELNS1_11target_archE1100ELNS1_3gpuE3ELNS1_3repE0EEENS1_47radix_sort_onesweep_sort_config_static_selectorELNS0_4arch9wavefront6targetE1EEEvSI_,"axG",@progbits,_ZN7rocprim17ROCPRIM_400000_NS6detail17trampoline_kernelINS0_14default_configENS1_35radix_sort_onesweep_config_selectorIddEEZZNS1_29radix_sort_onesweep_iterationIS3_Lb0EN6thrust23THRUST_200600_302600_NS6detail15normal_iteratorINS8_10device_ptrIdEEEESD_SD_SD_jNS0_19identity_decomposerENS1_16block_id_wrapperIjLb1EEEEE10hipError_tT1_PNSt15iterator_traitsISI_E10value_typeET2_T3_PNSJ_ISO_E10value_typeET4_T5_PST_SU_PNS1_23onesweep_lookback_stateEbbT6_jjT7_P12ihipStream_tbENKUlT_T0_SI_SN_E_clISD_PdSD_S15_EEDaS11_S12_SI_SN_EUlS11_E_NS1_11comp_targetILNS1_3genE9ELNS1_11target_archE1100ELNS1_3gpuE3ELNS1_3repE0EEENS1_47radix_sort_onesweep_sort_config_static_selectorELNS0_4arch9wavefront6targetE1EEEvSI_,comdat
	.protected	_ZN7rocprim17ROCPRIM_400000_NS6detail17trampoline_kernelINS0_14default_configENS1_35radix_sort_onesweep_config_selectorIddEEZZNS1_29radix_sort_onesweep_iterationIS3_Lb0EN6thrust23THRUST_200600_302600_NS6detail15normal_iteratorINS8_10device_ptrIdEEEESD_SD_SD_jNS0_19identity_decomposerENS1_16block_id_wrapperIjLb1EEEEE10hipError_tT1_PNSt15iterator_traitsISI_E10value_typeET2_T3_PNSJ_ISO_E10value_typeET4_T5_PST_SU_PNS1_23onesweep_lookback_stateEbbT6_jjT7_P12ihipStream_tbENKUlT_T0_SI_SN_E_clISD_PdSD_S15_EEDaS11_S12_SI_SN_EUlS11_E_NS1_11comp_targetILNS1_3genE9ELNS1_11target_archE1100ELNS1_3gpuE3ELNS1_3repE0EEENS1_47radix_sort_onesweep_sort_config_static_selectorELNS0_4arch9wavefront6targetE1EEEvSI_ ; -- Begin function _ZN7rocprim17ROCPRIM_400000_NS6detail17trampoline_kernelINS0_14default_configENS1_35radix_sort_onesweep_config_selectorIddEEZZNS1_29radix_sort_onesweep_iterationIS3_Lb0EN6thrust23THRUST_200600_302600_NS6detail15normal_iteratorINS8_10device_ptrIdEEEESD_SD_SD_jNS0_19identity_decomposerENS1_16block_id_wrapperIjLb1EEEEE10hipError_tT1_PNSt15iterator_traitsISI_E10value_typeET2_T3_PNSJ_ISO_E10value_typeET4_T5_PST_SU_PNS1_23onesweep_lookback_stateEbbT6_jjT7_P12ihipStream_tbENKUlT_T0_SI_SN_E_clISD_PdSD_S15_EEDaS11_S12_SI_SN_EUlS11_E_NS1_11comp_targetILNS1_3genE9ELNS1_11target_archE1100ELNS1_3gpuE3ELNS1_3repE0EEENS1_47radix_sort_onesweep_sort_config_static_selectorELNS0_4arch9wavefront6targetE1EEEvSI_
	.globl	_ZN7rocprim17ROCPRIM_400000_NS6detail17trampoline_kernelINS0_14default_configENS1_35radix_sort_onesweep_config_selectorIddEEZZNS1_29radix_sort_onesweep_iterationIS3_Lb0EN6thrust23THRUST_200600_302600_NS6detail15normal_iteratorINS8_10device_ptrIdEEEESD_SD_SD_jNS0_19identity_decomposerENS1_16block_id_wrapperIjLb1EEEEE10hipError_tT1_PNSt15iterator_traitsISI_E10value_typeET2_T3_PNSJ_ISO_E10value_typeET4_T5_PST_SU_PNS1_23onesweep_lookback_stateEbbT6_jjT7_P12ihipStream_tbENKUlT_T0_SI_SN_E_clISD_PdSD_S15_EEDaS11_S12_SI_SN_EUlS11_E_NS1_11comp_targetILNS1_3genE9ELNS1_11target_archE1100ELNS1_3gpuE3ELNS1_3repE0EEENS1_47radix_sort_onesweep_sort_config_static_selectorELNS0_4arch9wavefront6targetE1EEEvSI_
	.p2align	8
	.type	_ZN7rocprim17ROCPRIM_400000_NS6detail17trampoline_kernelINS0_14default_configENS1_35radix_sort_onesweep_config_selectorIddEEZZNS1_29radix_sort_onesweep_iterationIS3_Lb0EN6thrust23THRUST_200600_302600_NS6detail15normal_iteratorINS8_10device_ptrIdEEEESD_SD_SD_jNS0_19identity_decomposerENS1_16block_id_wrapperIjLb1EEEEE10hipError_tT1_PNSt15iterator_traitsISI_E10value_typeET2_T3_PNSJ_ISO_E10value_typeET4_T5_PST_SU_PNS1_23onesweep_lookback_stateEbbT6_jjT7_P12ihipStream_tbENKUlT_T0_SI_SN_E_clISD_PdSD_S15_EEDaS11_S12_SI_SN_EUlS11_E_NS1_11comp_targetILNS1_3genE9ELNS1_11target_archE1100ELNS1_3gpuE3ELNS1_3repE0EEENS1_47radix_sort_onesweep_sort_config_static_selectorELNS0_4arch9wavefront6targetE1EEEvSI_,@function
_ZN7rocprim17ROCPRIM_400000_NS6detail17trampoline_kernelINS0_14default_configENS1_35radix_sort_onesweep_config_selectorIddEEZZNS1_29radix_sort_onesweep_iterationIS3_Lb0EN6thrust23THRUST_200600_302600_NS6detail15normal_iteratorINS8_10device_ptrIdEEEESD_SD_SD_jNS0_19identity_decomposerENS1_16block_id_wrapperIjLb1EEEEE10hipError_tT1_PNSt15iterator_traitsISI_E10value_typeET2_T3_PNSJ_ISO_E10value_typeET4_T5_PST_SU_PNS1_23onesweep_lookback_stateEbbT6_jjT7_P12ihipStream_tbENKUlT_T0_SI_SN_E_clISD_PdSD_S15_EEDaS11_S12_SI_SN_EUlS11_E_NS1_11comp_targetILNS1_3genE9ELNS1_11target_archE1100ELNS1_3gpuE3ELNS1_3repE0EEENS1_47radix_sort_onesweep_sort_config_static_selectorELNS0_4arch9wavefront6targetE1EEEvSI_: ; @_ZN7rocprim17ROCPRIM_400000_NS6detail17trampoline_kernelINS0_14default_configENS1_35radix_sort_onesweep_config_selectorIddEEZZNS1_29radix_sort_onesweep_iterationIS3_Lb0EN6thrust23THRUST_200600_302600_NS6detail15normal_iteratorINS8_10device_ptrIdEEEESD_SD_SD_jNS0_19identity_decomposerENS1_16block_id_wrapperIjLb1EEEEE10hipError_tT1_PNSt15iterator_traitsISI_E10value_typeET2_T3_PNSJ_ISO_E10value_typeET4_T5_PST_SU_PNS1_23onesweep_lookback_stateEbbT6_jjT7_P12ihipStream_tbENKUlT_T0_SI_SN_E_clISD_PdSD_S15_EEDaS11_S12_SI_SN_EUlS11_E_NS1_11comp_targetILNS1_3genE9ELNS1_11target_archE1100ELNS1_3gpuE3ELNS1_3repE0EEENS1_47radix_sort_onesweep_sort_config_static_selectorELNS0_4arch9wavefront6targetE1EEEvSI_
; %bb.0:
	.section	.rodata,"a",@progbits
	.p2align	6, 0x0
	.amdhsa_kernel _ZN7rocprim17ROCPRIM_400000_NS6detail17trampoline_kernelINS0_14default_configENS1_35radix_sort_onesweep_config_selectorIddEEZZNS1_29radix_sort_onesweep_iterationIS3_Lb0EN6thrust23THRUST_200600_302600_NS6detail15normal_iteratorINS8_10device_ptrIdEEEESD_SD_SD_jNS0_19identity_decomposerENS1_16block_id_wrapperIjLb1EEEEE10hipError_tT1_PNSt15iterator_traitsISI_E10value_typeET2_T3_PNSJ_ISO_E10value_typeET4_T5_PST_SU_PNS1_23onesweep_lookback_stateEbbT6_jjT7_P12ihipStream_tbENKUlT_T0_SI_SN_E_clISD_PdSD_S15_EEDaS11_S12_SI_SN_EUlS11_E_NS1_11comp_targetILNS1_3genE9ELNS1_11target_archE1100ELNS1_3gpuE3ELNS1_3repE0EEENS1_47radix_sort_onesweep_sort_config_static_selectorELNS0_4arch9wavefront6targetE1EEEvSI_
		.amdhsa_group_segment_fixed_size 0
		.amdhsa_private_segment_fixed_size 0
		.amdhsa_kernarg_size 88
		.amdhsa_user_sgpr_count 2
		.amdhsa_user_sgpr_dispatch_ptr 0
		.amdhsa_user_sgpr_queue_ptr 0
		.amdhsa_user_sgpr_kernarg_segment_ptr 1
		.amdhsa_user_sgpr_dispatch_id 0
		.amdhsa_user_sgpr_kernarg_preload_length 0
		.amdhsa_user_sgpr_kernarg_preload_offset 0
		.amdhsa_user_sgpr_private_segment_size 0
		.amdhsa_uses_dynamic_stack 0
		.amdhsa_enable_private_segment 0
		.amdhsa_system_sgpr_workgroup_id_x 1
		.amdhsa_system_sgpr_workgroup_id_y 0
		.amdhsa_system_sgpr_workgroup_id_z 0
		.amdhsa_system_sgpr_workgroup_info 0
		.amdhsa_system_vgpr_workitem_id 0
		.amdhsa_next_free_vgpr 1
		.amdhsa_next_free_sgpr 0
		.amdhsa_accum_offset 4
		.amdhsa_reserve_vcc 0
		.amdhsa_float_round_mode_32 0
		.amdhsa_float_round_mode_16_64 0
		.amdhsa_float_denorm_mode_32 3
		.amdhsa_float_denorm_mode_16_64 3
		.amdhsa_dx10_clamp 1
		.amdhsa_ieee_mode 1
		.amdhsa_fp16_overflow 0
		.amdhsa_tg_split 0
		.amdhsa_exception_fp_ieee_invalid_op 0
		.amdhsa_exception_fp_denorm_src 0
		.amdhsa_exception_fp_ieee_div_zero 0
		.amdhsa_exception_fp_ieee_overflow 0
		.amdhsa_exception_fp_ieee_underflow 0
		.amdhsa_exception_fp_ieee_inexact 0
		.amdhsa_exception_int_div_zero 0
	.end_amdhsa_kernel
	.section	.text._ZN7rocprim17ROCPRIM_400000_NS6detail17trampoline_kernelINS0_14default_configENS1_35radix_sort_onesweep_config_selectorIddEEZZNS1_29radix_sort_onesweep_iterationIS3_Lb0EN6thrust23THRUST_200600_302600_NS6detail15normal_iteratorINS8_10device_ptrIdEEEESD_SD_SD_jNS0_19identity_decomposerENS1_16block_id_wrapperIjLb1EEEEE10hipError_tT1_PNSt15iterator_traitsISI_E10value_typeET2_T3_PNSJ_ISO_E10value_typeET4_T5_PST_SU_PNS1_23onesweep_lookback_stateEbbT6_jjT7_P12ihipStream_tbENKUlT_T0_SI_SN_E_clISD_PdSD_S15_EEDaS11_S12_SI_SN_EUlS11_E_NS1_11comp_targetILNS1_3genE9ELNS1_11target_archE1100ELNS1_3gpuE3ELNS1_3repE0EEENS1_47radix_sort_onesweep_sort_config_static_selectorELNS0_4arch9wavefront6targetE1EEEvSI_,"axG",@progbits,_ZN7rocprim17ROCPRIM_400000_NS6detail17trampoline_kernelINS0_14default_configENS1_35radix_sort_onesweep_config_selectorIddEEZZNS1_29radix_sort_onesweep_iterationIS3_Lb0EN6thrust23THRUST_200600_302600_NS6detail15normal_iteratorINS8_10device_ptrIdEEEESD_SD_SD_jNS0_19identity_decomposerENS1_16block_id_wrapperIjLb1EEEEE10hipError_tT1_PNSt15iterator_traitsISI_E10value_typeET2_T3_PNSJ_ISO_E10value_typeET4_T5_PST_SU_PNS1_23onesweep_lookback_stateEbbT6_jjT7_P12ihipStream_tbENKUlT_T0_SI_SN_E_clISD_PdSD_S15_EEDaS11_S12_SI_SN_EUlS11_E_NS1_11comp_targetILNS1_3genE9ELNS1_11target_archE1100ELNS1_3gpuE3ELNS1_3repE0EEENS1_47radix_sort_onesweep_sort_config_static_selectorELNS0_4arch9wavefront6targetE1EEEvSI_,comdat
.Lfunc_end125:
	.size	_ZN7rocprim17ROCPRIM_400000_NS6detail17trampoline_kernelINS0_14default_configENS1_35radix_sort_onesweep_config_selectorIddEEZZNS1_29radix_sort_onesweep_iterationIS3_Lb0EN6thrust23THRUST_200600_302600_NS6detail15normal_iteratorINS8_10device_ptrIdEEEESD_SD_SD_jNS0_19identity_decomposerENS1_16block_id_wrapperIjLb1EEEEE10hipError_tT1_PNSt15iterator_traitsISI_E10value_typeET2_T3_PNSJ_ISO_E10value_typeET4_T5_PST_SU_PNS1_23onesweep_lookback_stateEbbT6_jjT7_P12ihipStream_tbENKUlT_T0_SI_SN_E_clISD_PdSD_S15_EEDaS11_S12_SI_SN_EUlS11_E_NS1_11comp_targetILNS1_3genE9ELNS1_11target_archE1100ELNS1_3gpuE3ELNS1_3repE0EEENS1_47radix_sort_onesweep_sort_config_static_selectorELNS0_4arch9wavefront6targetE1EEEvSI_, .Lfunc_end125-_ZN7rocprim17ROCPRIM_400000_NS6detail17trampoline_kernelINS0_14default_configENS1_35radix_sort_onesweep_config_selectorIddEEZZNS1_29radix_sort_onesweep_iterationIS3_Lb0EN6thrust23THRUST_200600_302600_NS6detail15normal_iteratorINS8_10device_ptrIdEEEESD_SD_SD_jNS0_19identity_decomposerENS1_16block_id_wrapperIjLb1EEEEE10hipError_tT1_PNSt15iterator_traitsISI_E10value_typeET2_T3_PNSJ_ISO_E10value_typeET4_T5_PST_SU_PNS1_23onesweep_lookback_stateEbbT6_jjT7_P12ihipStream_tbENKUlT_T0_SI_SN_E_clISD_PdSD_S15_EEDaS11_S12_SI_SN_EUlS11_E_NS1_11comp_targetILNS1_3genE9ELNS1_11target_archE1100ELNS1_3gpuE3ELNS1_3repE0EEENS1_47radix_sort_onesweep_sort_config_static_selectorELNS0_4arch9wavefront6targetE1EEEvSI_
                                        ; -- End function
	.set _ZN7rocprim17ROCPRIM_400000_NS6detail17trampoline_kernelINS0_14default_configENS1_35radix_sort_onesweep_config_selectorIddEEZZNS1_29radix_sort_onesweep_iterationIS3_Lb0EN6thrust23THRUST_200600_302600_NS6detail15normal_iteratorINS8_10device_ptrIdEEEESD_SD_SD_jNS0_19identity_decomposerENS1_16block_id_wrapperIjLb1EEEEE10hipError_tT1_PNSt15iterator_traitsISI_E10value_typeET2_T3_PNSJ_ISO_E10value_typeET4_T5_PST_SU_PNS1_23onesweep_lookback_stateEbbT6_jjT7_P12ihipStream_tbENKUlT_T0_SI_SN_E_clISD_PdSD_S15_EEDaS11_S12_SI_SN_EUlS11_E_NS1_11comp_targetILNS1_3genE9ELNS1_11target_archE1100ELNS1_3gpuE3ELNS1_3repE0EEENS1_47radix_sort_onesweep_sort_config_static_selectorELNS0_4arch9wavefront6targetE1EEEvSI_.num_vgpr, 0
	.set _ZN7rocprim17ROCPRIM_400000_NS6detail17trampoline_kernelINS0_14default_configENS1_35radix_sort_onesweep_config_selectorIddEEZZNS1_29radix_sort_onesweep_iterationIS3_Lb0EN6thrust23THRUST_200600_302600_NS6detail15normal_iteratorINS8_10device_ptrIdEEEESD_SD_SD_jNS0_19identity_decomposerENS1_16block_id_wrapperIjLb1EEEEE10hipError_tT1_PNSt15iterator_traitsISI_E10value_typeET2_T3_PNSJ_ISO_E10value_typeET4_T5_PST_SU_PNS1_23onesweep_lookback_stateEbbT6_jjT7_P12ihipStream_tbENKUlT_T0_SI_SN_E_clISD_PdSD_S15_EEDaS11_S12_SI_SN_EUlS11_E_NS1_11comp_targetILNS1_3genE9ELNS1_11target_archE1100ELNS1_3gpuE3ELNS1_3repE0EEENS1_47radix_sort_onesweep_sort_config_static_selectorELNS0_4arch9wavefront6targetE1EEEvSI_.num_agpr, 0
	.set _ZN7rocprim17ROCPRIM_400000_NS6detail17trampoline_kernelINS0_14default_configENS1_35radix_sort_onesweep_config_selectorIddEEZZNS1_29radix_sort_onesweep_iterationIS3_Lb0EN6thrust23THRUST_200600_302600_NS6detail15normal_iteratorINS8_10device_ptrIdEEEESD_SD_SD_jNS0_19identity_decomposerENS1_16block_id_wrapperIjLb1EEEEE10hipError_tT1_PNSt15iterator_traitsISI_E10value_typeET2_T3_PNSJ_ISO_E10value_typeET4_T5_PST_SU_PNS1_23onesweep_lookback_stateEbbT6_jjT7_P12ihipStream_tbENKUlT_T0_SI_SN_E_clISD_PdSD_S15_EEDaS11_S12_SI_SN_EUlS11_E_NS1_11comp_targetILNS1_3genE9ELNS1_11target_archE1100ELNS1_3gpuE3ELNS1_3repE0EEENS1_47radix_sort_onesweep_sort_config_static_selectorELNS0_4arch9wavefront6targetE1EEEvSI_.numbered_sgpr, 0
	.set _ZN7rocprim17ROCPRIM_400000_NS6detail17trampoline_kernelINS0_14default_configENS1_35radix_sort_onesweep_config_selectorIddEEZZNS1_29radix_sort_onesweep_iterationIS3_Lb0EN6thrust23THRUST_200600_302600_NS6detail15normal_iteratorINS8_10device_ptrIdEEEESD_SD_SD_jNS0_19identity_decomposerENS1_16block_id_wrapperIjLb1EEEEE10hipError_tT1_PNSt15iterator_traitsISI_E10value_typeET2_T3_PNSJ_ISO_E10value_typeET4_T5_PST_SU_PNS1_23onesweep_lookback_stateEbbT6_jjT7_P12ihipStream_tbENKUlT_T0_SI_SN_E_clISD_PdSD_S15_EEDaS11_S12_SI_SN_EUlS11_E_NS1_11comp_targetILNS1_3genE9ELNS1_11target_archE1100ELNS1_3gpuE3ELNS1_3repE0EEENS1_47radix_sort_onesweep_sort_config_static_selectorELNS0_4arch9wavefront6targetE1EEEvSI_.num_named_barrier, 0
	.set _ZN7rocprim17ROCPRIM_400000_NS6detail17trampoline_kernelINS0_14default_configENS1_35radix_sort_onesweep_config_selectorIddEEZZNS1_29radix_sort_onesweep_iterationIS3_Lb0EN6thrust23THRUST_200600_302600_NS6detail15normal_iteratorINS8_10device_ptrIdEEEESD_SD_SD_jNS0_19identity_decomposerENS1_16block_id_wrapperIjLb1EEEEE10hipError_tT1_PNSt15iterator_traitsISI_E10value_typeET2_T3_PNSJ_ISO_E10value_typeET4_T5_PST_SU_PNS1_23onesweep_lookback_stateEbbT6_jjT7_P12ihipStream_tbENKUlT_T0_SI_SN_E_clISD_PdSD_S15_EEDaS11_S12_SI_SN_EUlS11_E_NS1_11comp_targetILNS1_3genE9ELNS1_11target_archE1100ELNS1_3gpuE3ELNS1_3repE0EEENS1_47radix_sort_onesweep_sort_config_static_selectorELNS0_4arch9wavefront6targetE1EEEvSI_.private_seg_size, 0
	.set _ZN7rocprim17ROCPRIM_400000_NS6detail17trampoline_kernelINS0_14default_configENS1_35radix_sort_onesweep_config_selectorIddEEZZNS1_29radix_sort_onesweep_iterationIS3_Lb0EN6thrust23THRUST_200600_302600_NS6detail15normal_iteratorINS8_10device_ptrIdEEEESD_SD_SD_jNS0_19identity_decomposerENS1_16block_id_wrapperIjLb1EEEEE10hipError_tT1_PNSt15iterator_traitsISI_E10value_typeET2_T3_PNSJ_ISO_E10value_typeET4_T5_PST_SU_PNS1_23onesweep_lookback_stateEbbT6_jjT7_P12ihipStream_tbENKUlT_T0_SI_SN_E_clISD_PdSD_S15_EEDaS11_S12_SI_SN_EUlS11_E_NS1_11comp_targetILNS1_3genE9ELNS1_11target_archE1100ELNS1_3gpuE3ELNS1_3repE0EEENS1_47radix_sort_onesweep_sort_config_static_selectorELNS0_4arch9wavefront6targetE1EEEvSI_.uses_vcc, 0
	.set _ZN7rocprim17ROCPRIM_400000_NS6detail17trampoline_kernelINS0_14default_configENS1_35radix_sort_onesweep_config_selectorIddEEZZNS1_29radix_sort_onesweep_iterationIS3_Lb0EN6thrust23THRUST_200600_302600_NS6detail15normal_iteratorINS8_10device_ptrIdEEEESD_SD_SD_jNS0_19identity_decomposerENS1_16block_id_wrapperIjLb1EEEEE10hipError_tT1_PNSt15iterator_traitsISI_E10value_typeET2_T3_PNSJ_ISO_E10value_typeET4_T5_PST_SU_PNS1_23onesweep_lookback_stateEbbT6_jjT7_P12ihipStream_tbENKUlT_T0_SI_SN_E_clISD_PdSD_S15_EEDaS11_S12_SI_SN_EUlS11_E_NS1_11comp_targetILNS1_3genE9ELNS1_11target_archE1100ELNS1_3gpuE3ELNS1_3repE0EEENS1_47radix_sort_onesweep_sort_config_static_selectorELNS0_4arch9wavefront6targetE1EEEvSI_.uses_flat_scratch, 0
	.set _ZN7rocprim17ROCPRIM_400000_NS6detail17trampoline_kernelINS0_14default_configENS1_35radix_sort_onesweep_config_selectorIddEEZZNS1_29radix_sort_onesweep_iterationIS3_Lb0EN6thrust23THRUST_200600_302600_NS6detail15normal_iteratorINS8_10device_ptrIdEEEESD_SD_SD_jNS0_19identity_decomposerENS1_16block_id_wrapperIjLb1EEEEE10hipError_tT1_PNSt15iterator_traitsISI_E10value_typeET2_T3_PNSJ_ISO_E10value_typeET4_T5_PST_SU_PNS1_23onesweep_lookback_stateEbbT6_jjT7_P12ihipStream_tbENKUlT_T0_SI_SN_E_clISD_PdSD_S15_EEDaS11_S12_SI_SN_EUlS11_E_NS1_11comp_targetILNS1_3genE9ELNS1_11target_archE1100ELNS1_3gpuE3ELNS1_3repE0EEENS1_47radix_sort_onesweep_sort_config_static_selectorELNS0_4arch9wavefront6targetE1EEEvSI_.has_dyn_sized_stack, 0
	.set _ZN7rocprim17ROCPRIM_400000_NS6detail17trampoline_kernelINS0_14default_configENS1_35radix_sort_onesweep_config_selectorIddEEZZNS1_29radix_sort_onesweep_iterationIS3_Lb0EN6thrust23THRUST_200600_302600_NS6detail15normal_iteratorINS8_10device_ptrIdEEEESD_SD_SD_jNS0_19identity_decomposerENS1_16block_id_wrapperIjLb1EEEEE10hipError_tT1_PNSt15iterator_traitsISI_E10value_typeET2_T3_PNSJ_ISO_E10value_typeET4_T5_PST_SU_PNS1_23onesweep_lookback_stateEbbT6_jjT7_P12ihipStream_tbENKUlT_T0_SI_SN_E_clISD_PdSD_S15_EEDaS11_S12_SI_SN_EUlS11_E_NS1_11comp_targetILNS1_3genE9ELNS1_11target_archE1100ELNS1_3gpuE3ELNS1_3repE0EEENS1_47radix_sort_onesweep_sort_config_static_selectorELNS0_4arch9wavefront6targetE1EEEvSI_.has_recursion, 0
	.set _ZN7rocprim17ROCPRIM_400000_NS6detail17trampoline_kernelINS0_14default_configENS1_35radix_sort_onesweep_config_selectorIddEEZZNS1_29radix_sort_onesweep_iterationIS3_Lb0EN6thrust23THRUST_200600_302600_NS6detail15normal_iteratorINS8_10device_ptrIdEEEESD_SD_SD_jNS0_19identity_decomposerENS1_16block_id_wrapperIjLb1EEEEE10hipError_tT1_PNSt15iterator_traitsISI_E10value_typeET2_T3_PNSJ_ISO_E10value_typeET4_T5_PST_SU_PNS1_23onesweep_lookback_stateEbbT6_jjT7_P12ihipStream_tbENKUlT_T0_SI_SN_E_clISD_PdSD_S15_EEDaS11_S12_SI_SN_EUlS11_E_NS1_11comp_targetILNS1_3genE9ELNS1_11target_archE1100ELNS1_3gpuE3ELNS1_3repE0EEENS1_47radix_sort_onesweep_sort_config_static_selectorELNS0_4arch9wavefront6targetE1EEEvSI_.has_indirect_call, 0
	.section	.AMDGPU.csdata,"",@progbits
; Kernel info:
; codeLenInByte = 0
; TotalNumSgprs: 6
; NumVgprs: 0
; NumAgprs: 0
; TotalNumVgprs: 0
; ScratchSize: 0
; MemoryBound: 0
; FloatMode: 240
; IeeeMode: 1
; LDSByteSize: 0 bytes/workgroup (compile time only)
; SGPRBlocks: 0
; VGPRBlocks: 0
; NumSGPRsForWavesPerEU: 6
; NumVGPRsForWavesPerEU: 1
; AccumOffset: 4
; Occupancy: 8
; WaveLimiterHint : 0
; COMPUTE_PGM_RSRC2:SCRATCH_EN: 0
; COMPUTE_PGM_RSRC2:USER_SGPR: 2
; COMPUTE_PGM_RSRC2:TRAP_HANDLER: 0
; COMPUTE_PGM_RSRC2:TGID_X_EN: 1
; COMPUTE_PGM_RSRC2:TGID_Y_EN: 0
; COMPUTE_PGM_RSRC2:TGID_Z_EN: 0
; COMPUTE_PGM_RSRC2:TIDIG_COMP_CNT: 0
; COMPUTE_PGM_RSRC3_GFX90A:ACCUM_OFFSET: 0
; COMPUTE_PGM_RSRC3_GFX90A:TG_SPLIT: 0
	.section	.text._ZN7rocprim17ROCPRIM_400000_NS6detail17trampoline_kernelINS0_14default_configENS1_35radix_sort_onesweep_config_selectorIddEEZZNS1_29radix_sort_onesweep_iterationIS3_Lb0EN6thrust23THRUST_200600_302600_NS6detail15normal_iteratorINS8_10device_ptrIdEEEESD_SD_SD_jNS0_19identity_decomposerENS1_16block_id_wrapperIjLb1EEEEE10hipError_tT1_PNSt15iterator_traitsISI_E10value_typeET2_T3_PNSJ_ISO_E10value_typeET4_T5_PST_SU_PNS1_23onesweep_lookback_stateEbbT6_jjT7_P12ihipStream_tbENKUlT_T0_SI_SN_E_clISD_PdSD_S15_EEDaS11_S12_SI_SN_EUlS11_E_NS1_11comp_targetILNS1_3genE8ELNS1_11target_archE1030ELNS1_3gpuE2ELNS1_3repE0EEENS1_47radix_sort_onesweep_sort_config_static_selectorELNS0_4arch9wavefront6targetE1EEEvSI_,"axG",@progbits,_ZN7rocprim17ROCPRIM_400000_NS6detail17trampoline_kernelINS0_14default_configENS1_35radix_sort_onesweep_config_selectorIddEEZZNS1_29radix_sort_onesweep_iterationIS3_Lb0EN6thrust23THRUST_200600_302600_NS6detail15normal_iteratorINS8_10device_ptrIdEEEESD_SD_SD_jNS0_19identity_decomposerENS1_16block_id_wrapperIjLb1EEEEE10hipError_tT1_PNSt15iterator_traitsISI_E10value_typeET2_T3_PNSJ_ISO_E10value_typeET4_T5_PST_SU_PNS1_23onesweep_lookback_stateEbbT6_jjT7_P12ihipStream_tbENKUlT_T0_SI_SN_E_clISD_PdSD_S15_EEDaS11_S12_SI_SN_EUlS11_E_NS1_11comp_targetILNS1_3genE8ELNS1_11target_archE1030ELNS1_3gpuE2ELNS1_3repE0EEENS1_47radix_sort_onesweep_sort_config_static_selectorELNS0_4arch9wavefront6targetE1EEEvSI_,comdat
	.protected	_ZN7rocprim17ROCPRIM_400000_NS6detail17trampoline_kernelINS0_14default_configENS1_35radix_sort_onesweep_config_selectorIddEEZZNS1_29radix_sort_onesweep_iterationIS3_Lb0EN6thrust23THRUST_200600_302600_NS6detail15normal_iteratorINS8_10device_ptrIdEEEESD_SD_SD_jNS0_19identity_decomposerENS1_16block_id_wrapperIjLb1EEEEE10hipError_tT1_PNSt15iterator_traitsISI_E10value_typeET2_T3_PNSJ_ISO_E10value_typeET4_T5_PST_SU_PNS1_23onesweep_lookback_stateEbbT6_jjT7_P12ihipStream_tbENKUlT_T0_SI_SN_E_clISD_PdSD_S15_EEDaS11_S12_SI_SN_EUlS11_E_NS1_11comp_targetILNS1_3genE8ELNS1_11target_archE1030ELNS1_3gpuE2ELNS1_3repE0EEENS1_47radix_sort_onesweep_sort_config_static_selectorELNS0_4arch9wavefront6targetE1EEEvSI_ ; -- Begin function _ZN7rocprim17ROCPRIM_400000_NS6detail17trampoline_kernelINS0_14default_configENS1_35radix_sort_onesweep_config_selectorIddEEZZNS1_29radix_sort_onesweep_iterationIS3_Lb0EN6thrust23THRUST_200600_302600_NS6detail15normal_iteratorINS8_10device_ptrIdEEEESD_SD_SD_jNS0_19identity_decomposerENS1_16block_id_wrapperIjLb1EEEEE10hipError_tT1_PNSt15iterator_traitsISI_E10value_typeET2_T3_PNSJ_ISO_E10value_typeET4_T5_PST_SU_PNS1_23onesweep_lookback_stateEbbT6_jjT7_P12ihipStream_tbENKUlT_T0_SI_SN_E_clISD_PdSD_S15_EEDaS11_S12_SI_SN_EUlS11_E_NS1_11comp_targetILNS1_3genE8ELNS1_11target_archE1030ELNS1_3gpuE2ELNS1_3repE0EEENS1_47radix_sort_onesweep_sort_config_static_selectorELNS0_4arch9wavefront6targetE1EEEvSI_
	.globl	_ZN7rocprim17ROCPRIM_400000_NS6detail17trampoline_kernelINS0_14default_configENS1_35radix_sort_onesweep_config_selectorIddEEZZNS1_29radix_sort_onesweep_iterationIS3_Lb0EN6thrust23THRUST_200600_302600_NS6detail15normal_iteratorINS8_10device_ptrIdEEEESD_SD_SD_jNS0_19identity_decomposerENS1_16block_id_wrapperIjLb1EEEEE10hipError_tT1_PNSt15iterator_traitsISI_E10value_typeET2_T3_PNSJ_ISO_E10value_typeET4_T5_PST_SU_PNS1_23onesweep_lookback_stateEbbT6_jjT7_P12ihipStream_tbENKUlT_T0_SI_SN_E_clISD_PdSD_S15_EEDaS11_S12_SI_SN_EUlS11_E_NS1_11comp_targetILNS1_3genE8ELNS1_11target_archE1030ELNS1_3gpuE2ELNS1_3repE0EEENS1_47radix_sort_onesweep_sort_config_static_selectorELNS0_4arch9wavefront6targetE1EEEvSI_
	.p2align	8
	.type	_ZN7rocprim17ROCPRIM_400000_NS6detail17trampoline_kernelINS0_14default_configENS1_35radix_sort_onesweep_config_selectorIddEEZZNS1_29radix_sort_onesweep_iterationIS3_Lb0EN6thrust23THRUST_200600_302600_NS6detail15normal_iteratorINS8_10device_ptrIdEEEESD_SD_SD_jNS0_19identity_decomposerENS1_16block_id_wrapperIjLb1EEEEE10hipError_tT1_PNSt15iterator_traitsISI_E10value_typeET2_T3_PNSJ_ISO_E10value_typeET4_T5_PST_SU_PNS1_23onesweep_lookback_stateEbbT6_jjT7_P12ihipStream_tbENKUlT_T0_SI_SN_E_clISD_PdSD_S15_EEDaS11_S12_SI_SN_EUlS11_E_NS1_11comp_targetILNS1_3genE8ELNS1_11target_archE1030ELNS1_3gpuE2ELNS1_3repE0EEENS1_47radix_sort_onesweep_sort_config_static_selectorELNS0_4arch9wavefront6targetE1EEEvSI_,@function
_ZN7rocprim17ROCPRIM_400000_NS6detail17trampoline_kernelINS0_14default_configENS1_35radix_sort_onesweep_config_selectorIddEEZZNS1_29radix_sort_onesweep_iterationIS3_Lb0EN6thrust23THRUST_200600_302600_NS6detail15normal_iteratorINS8_10device_ptrIdEEEESD_SD_SD_jNS0_19identity_decomposerENS1_16block_id_wrapperIjLb1EEEEE10hipError_tT1_PNSt15iterator_traitsISI_E10value_typeET2_T3_PNSJ_ISO_E10value_typeET4_T5_PST_SU_PNS1_23onesweep_lookback_stateEbbT6_jjT7_P12ihipStream_tbENKUlT_T0_SI_SN_E_clISD_PdSD_S15_EEDaS11_S12_SI_SN_EUlS11_E_NS1_11comp_targetILNS1_3genE8ELNS1_11target_archE1030ELNS1_3gpuE2ELNS1_3repE0EEENS1_47radix_sort_onesweep_sort_config_static_selectorELNS0_4arch9wavefront6targetE1EEEvSI_: ; @_ZN7rocprim17ROCPRIM_400000_NS6detail17trampoline_kernelINS0_14default_configENS1_35radix_sort_onesweep_config_selectorIddEEZZNS1_29radix_sort_onesweep_iterationIS3_Lb0EN6thrust23THRUST_200600_302600_NS6detail15normal_iteratorINS8_10device_ptrIdEEEESD_SD_SD_jNS0_19identity_decomposerENS1_16block_id_wrapperIjLb1EEEEE10hipError_tT1_PNSt15iterator_traitsISI_E10value_typeET2_T3_PNSJ_ISO_E10value_typeET4_T5_PST_SU_PNS1_23onesweep_lookback_stateEbbT6_jjT7_P12ihipStream_tbENKUlT_T0_SI_SN_E_clISD_PdSD_S15_EEDaS11_S12_SI_SN_EUlS11_E_NS1_11comp_targetILNS1_3genE8ELNS1_11target_archE1030ELNS1_3gpuE2ELNS1_3repE0EEENS1_47radix_sort_onesweep_sort_config_static_selectorELNS0_4arch9wavefront6targetE1EEEvSI_
; %bb.0:
	.section	.rodata,"a",@progbits
	.p2align	6, 0x0
	.amdhsa_kernel _ZN7rocprim17ROCPRIM_400000_NS6detail17trampoline_kernelINS0_14default_configENS1_35radix_sort_onesweep_config_selectorIddEEZZNS1_29radix_sort_onesweep_iterationIS3_Lb0EN6thrust23THRUST_200600_302600_NS6detail15normal_iteratorINS8_10device_ptrIdEEEESD_SD_SD_jNS0_19identity_decomposerENS1_16block_id_wrapperIjLb1EEEEE10hipError_tT1_PNSt15iterator_traitsISI_E10value_typeET2_T3_PNSJ_ISO_E10value_typeET4_T5_PST_SU_PNS1_23onesweep_lookback_stateEbbT6_jjT7_P12ihipStream_tbENKUlT_T0_SI_SN_E_clISD_PdSD_S15_EEDaS11_S12_SI_SN_EUlS11_E_NS1_11comp_targetILNS1_3genE8ELNS1_11target_archE1030ELNS1_3gpuE2ELNS1_3repE0EEENS1_47radix_sort_onesweep_sort_config_static_selectorELNS0_4arch9wavefront6targetE1EEEvSI_
		.amdhsa_group_segment_fixed_size 0
		.amdhsa_private_segment_fixed_size 0
		.amdhsa_kernarg_size 88
		.amdhsa_user_sgpr_count 2
		.amdhsa_user_sgpr_dispatch_ptr 0
		.amdhsa_user_sgpr_queue_ptr 0
		.amdhsa_user_sgpr_kernarg_segment_ptr 1
		.amdhsa_user_sgpr_dispatch_id 0
		.amdhsa_user_sgpr_kernarg_preload_length 0
		.amdhsa_user_sgpr_kernarg_preload_offset 0
		.amdhsa_user_sgpr_private_segment_size 0
		.amdhsa_uses_dynamic_stack 0
		.amdhsa_enable_private_segment 0
		.amdhsa_system_sgpr_workgroup_id_x 1
		.amdhsa_system_sgpr_workgroup_id_y 0
		.amdhsa_system_sgpr_workgroup_id_z 0
		.amdhsa_system_sgpr_workgroup_info 0
		.amdhsa_system_vgpr_workitem_id 0
		.amdhsa_next_free_vgpr 1
		.amdhsa_next_free_sgpr 0
		.amdhsa_accum_offset 4
		.amdhsa_reserve_vcc 0
		.amdhsa_float_round_mode_32 0
		.amdhsa_float_round_mode_16_64 0
		.amdhsa_float_denorm_mode_32 3
		.amdhsa_float_denorm_mode_16_64 3
		.amdhsa_dx10_clamp 1
		.amdhsa_ieee_mode 1
		.amdhsa_fp16_overflow 0
		.amdhsa_tg_split 0
		.amdhsa_exception_fp_ieee_invalid_op 0
		.amdhsa_exception_fp_denorm_src 0
		.amdhsa_exception_fp_ieee_div_zero 0
		.amdhsa_exception_fp_ieee_overflow 0
		.amdhsa_exception_fp_ieee_underflow 0
		.amdhsa_exception_fp_ieee_inexact 0
		.amdhsa_exception_int_div_zero 0
	.end_amdhsa_kernel
	.section	.text._ZN7rocprim17ROCPRIM_400000_NS6detail17trampoline_kernelINS0_14default_configENS1_35radix_sort_onesweep_config_selectorIddEEZZNS1_29radix_sort_onesweep_iterationIS3_Lb0EN6thrust23THRUST_200600_302600_NS6detail15normal_iteratorINS8_10device_ptrIdEEEESD_SD_SD_jNS0_19identity_decomposerENS1_16block_id_wrapperIjLb1EEEEE10hipError_tT1_PNSt15iterator_traitsISI_E10value_typeET2_T3_PNSJ_ISO_E10value_typeET4_T5_PST_SU_PNS1_23onesweep_lookback_stateEbbT6_jjT7_P12ihipStream_tbENKUlT_T0_SI_SN_E_clISD_PdSD_S15_EEDaS11_S12_SI_SN_EUlS11_E_NS1_11comp_targetILNS1_3genE8ELNS1_11target_archE1030ELNS1_3gpuE2ELNS1_3repE0EEENS1_47radix_sort_onesweep_sort_config_static_selectorELNS0_4arch9wavefront6targetE1EEEvSI_,"axG",@progbits,_ZN7rocprim17ROCPRIM_400000_NS6detail17trampoline_kernelINS0_14default_configENS1_35radix_sort_onesweep_config_selectorIddEEZZNS1_29radix_sort_onesweep_iterationIS3_Lb0EN6thrust23THRUST_200600_302600_NS6detail15normal_iteratorINS8_10device_ptrIdEEEESD_SD_SD_jNS0_19identity_decomposerENS1_16block_id_wrapperIjLb1EEEEE10hipError_tT1_PNSt15iterator_traitsISI_E10value_typeET2_T3_PNSJ_ISO_E10value_typeET4_T5_PST_SU_PNS1_23onesweep_lookback_stateEbbT6_jjT7_P12ihipStream_tbENKUlT_T0_SI_SN_E_clISD_PdSD_S15_EEDaS11_S12_SI_SN_EUlS11_E_NS1_11comp_targetILNS1_3genE8ELNS1_11target_archE1030ELNS1_3gpuE2ELNS1_3repE0EEENS1_47radix_sort_onesweep_sort_config_static_selectorELNS0_4arch9wavefront6targetE1EEEvSI_,comdat
.Lfunc_end126:
	.size	_ZN7rocprim17ROCPRIM_400000_NS6detail17trampoline_kernelINS0_14default_configENS1_35radix_sort_onesweep_config_selectorIddEEZZNS1_29radix_sort_onesweep_iterationIS3_Lb0EN6thrust23THRUST_200600_302600_NS6detail15normal_iteratorINS8_10device_ptrIdEEEESD_SD_SD_jNS0_19identity_decomposerENS1_16block_id_wrapperIjLb1EEEEE10hipError_tT1_PNSt15iterator_traitsISI_E10value_typeET2_T3_PNSJ_ISO_E10value_typeET4_T5_PST_SU_PNS1_23onesweep_lookback_stateEbbT6_jjT7_P12ihipStream_tbENKUlT_T0_SI_SN_E_clISD_PdSD_S15_EEDaS11_S12_SI_SN_EUlS11_E_NS1_11comp_targetILNS1_3genE8ELNS1_11target_archE1030ELNS1_3gpuE2ELNS1_3repE0EEENS1_47radix_sort_onesweep_sort_config_static_selectorELNS0_4arch9wavefront6targetE1EEEvSI_, .Lfunc_end126-_ZN7rocprim17ROCPRIM_400000_NS6detail17trampoline_kernelINS0_14default_configENS1_35radix_sort_onesweep_config_selectorIddEEZZNS1_29radix_sort_onesweep_iterationIS3_Lb0EN6thrust23THRUST_200600_302600_NS6detail15normal_iteratorINS8_10device_ptrIdEEEESD_SD_SD_jNS0_19identity_decomposerENS1_16block_id_wrapperIjLb1EEEEE10hipError_tT1_PNSt15iterator_traitsISI_E10value_typeET2_T3_PNSJ_ISO_E10value_typeET4_T5_PST_SU_PNS1_23onesweep_lookback_stateEbbT6_jjT7_P12ihipStream_tbENKUlT_T0_SI_SN_E_clISD_PdSD_S15_EEDaS11_S12_SI_SN_EUlS11_E_NS1_11comp_targetILNS1_3genE8ELNS1_11target_archE1030ELNS1_3gpuE2ELNS1_3repE0EEENS1_47radix_sort_onesweep_sort_config_static_selectorELNS0_4arch9wavefront6targetE1EEEvSI_
                                        ; -- End function
	.set _ZN7rocprim17ROCPRIM_400000_NS6detail17trampoline_kernelINS0_14default_configENS1_35radix_sort_onesweep_config_selectorIddEEZZNS1_29radix_sort_onesweep_iterationIS3_Lb0EN6thrust23THRUST_200600_302600_NS6detail15normal_iteratorINS8_10device_ptrIdEEEESD_SD_SD_jNS0_19identity_decomposerENS1_16block_id_wrapperIjLb1EEEEE10hipError_tT1_PNSt15iterator_traitsISI_E10value_typeET2_T3_PNSJ_ISO_E10value_typeET4_T5_PST_SU_PNS1_23onesweep_lookback_stateEbbT6_jjT7_P12ihipStream_tbENKUlT_T0_SI_SN_E_clISD_PdSD_S15_EEDaS11_S12_SI_SN_EUlS11_E_NS1_11comp_targetILNS1_3genE8ELNS1_11target_archE1030ELNS1_3gpuE2ELNS1_3repE0EEENS1_47radix_sort_onesweep_sort_config_static_selectorELNS0_4arch9wavefront6targetE1EEEvSI_.num_vgpr, 0
	.set _ZN7rocprim17ROCPRIM_400000_NS6detail17trampoline_kernelINS0_14default_configENS1_35radix_sort_onesweep_config_selectorIddEEZZNS1_29radix_sort_onesweep_iterationIS3_Lb0EN6thrust23THRUST_200600_302600_NS6detail15normal_iteratorINS8_10device_ptrIdEEEESD_SD_SD_jNS0_19identity_decomposerENS1_16block_id_wrapperIjLb1EEEEE10hipError_tT1_PNSt15iterator_traitsISI_E10value_typeET2_T3_PNSJ_ISO_E10value_typeET4_T5_PST_SU_PNS1_23onesweep_lookback_stateEbbT6_jjT7_P12ihipStream_tbENKUlT_T0_SI_SN_E_clISD_PdSD_S15_EEDaS11_S12_SI_SN_EUlS11_E_NS1_11comp_targetILNS1_3genE8ELNS1_11target_archE1030ELNS1_3gpuE2ELNS1_3repE0EEENS1_47radix_sort_onesweep_sort_config_static_selectorELNS0_4arch9wavefront6targetE1EEEvSI_.num_agpr, 0
	.set _ZN7rocprim17ROCPRIM_400000_NS6detail17trampoline_kernelINS0_14default_configENS1_35radix_sort_onesweep_config_selectorIddEEZZNS1_29radix_sort_onesweep_iterationIS3_Lb0EN6thrust23THRUST_200600_302600_NS6detail15normal_iteratorINS8_10device_ptrIdEEEESD_SD_SD_jNS0_19identity_decomposerENS1_16block_id_wrapperIjLb1EEEEE10hipError_tT1_PNSt15iterator_traitsISI_E10value_typeET2_T3_PNSJ_ISO_E10value_typeET4_T5_PST_SU_PNS1_23onesweep_lookback_stateEbbT6_jjT7_P12ihipStream_tbENKUlT_T0_SI_SN_E_clISD_PdSD_S15_EEDaS11_S12_SI_SN_EUlS11_E_NS1_11comp_targetILNS1_3genE8ELNS1_11target_archE1030ELNS1_3gpuE2ELNS1_3repE0EEENS1_47radix_sort_onesweep_sort_config_static_selectorELNS0_4arch9wavefront6targetE1EEEvSI_.numbered_sgpr, 0
	.set _ZN7rocprim17ROCPRIM_400000_NS6detail17trampoline_kernelINS0_14default_configENS1_35radix_sort_onesweep_config_selectorIddEEZZNS1_29radix_sort_onesweep_iterationIS3_Lb0EN6thrust23THRUST_200600_302600_NS6detail15normal_iteratorINS8_10device_ptrIdEEEESD_SD_SD_jNS0_19identity_decomposerENS1_16block_id_wrapperIjLb1EEEEE10hipError_tT1_PNSt15iterator_traitsISI_E10value_typeET2_T3_PNSJ_ISO_E10value_typeET4_T5_PST_SU_PNS1_23onesweep_lookback_stateEbbT6_jjT7_P12ihipStream_tbENKUlT_T0_SI_SN_E_clISD_PdSD_S15_EEDaS11_S12_SI_SN_EUlS11_E_NS1_11comp_targetILNS1_3genE8ELNS1_11target_archE1030ELNS1_3gpuE2ELNS1_3repE0EEENS1_47radix_sort_onesweep_sort_config_static_selectorELNS0_4arch9wavefront6targetE1EEEvSI_.num_named_barrier, 0
	.set _ZN7rocprim17ROCPRIM_400000_NS6detail17trampoline_kernelINS0_14default_configENS1_35radix_sort_onesweep_config_selectorIddEEZZNS1_29radix_sort_onesweep_iterationIS3_Lb0EN6thrust23THRUST_200600_302600_NS6detail15normal_iteratorINS8_10device_ptrIdEEEESD_SD_SD_jNS0_19identity_decomposerENS1_16block_id_wrapperIjLb1EEEEE10hipError_tT1_PNSt15iterator_traitsISI_E10value_typeET2_T3_PNSJ_ISO_E10value_typeET4_T5_PST_SU_PNS1_23onesweep_lookback_stateEbbT6_jjT7_P12ihipStream_tbENKUlT_T0_SI_SN_E_clISD_PdSD_S15_EEDaS11_S12_SI_SN_EUlS11_E_NS1_11comp_targetILNS1_3genE8ELNS1_11target_archE1030ELNS1_3gpuE2ELNS1_3repE0EEENS1_47radix_sort_onesweep_sort_config_static_selectorELNS0_4arch9wavefront6targetE1EEEvSI_.private_seg_size, 0
	.set _ZN7rocprim17ROCPRIM_400000_NS6detail17trampoline_kernelINS0_14default_configENS1_35radix_sort_onesweep_config_selectorIddEEZZNS1_29radix_sort_onesweep_iterationIS3_Lb0EN6thrust23THRUST_200600_302600_NS6detail15normal_iteratorINS8_10device_ptrIdEEEESD_SD_SD_jNS0_19identity_decomposerENS1_16block_id_wrapperIjLb1EEEEE10hipError_tT1_PNSt15iterator_traitsISI_E10value_typeET2_T3_PNSJ_ISO_E10value_typeET4_T5_PST_SU_PNS1_23onesweep_lookback_stateEbbT6_jjT7_P12ihipStream_tbENKUlT_T0_SI_SN_E_clISD_PdSD_S15_EEDaS11_S12_SI_SN_EUlS11_E_NS1_11comp_targetILNS1_3genE8ELNS1_11target_archE1030ELNS1_3gpuE2ELNS1_3repE0EEENS1_47radix_sort_onesweep_sort_config_static_selectorELNS0_4arch9wavefront6targetE1EEEvSI_.uses_vcc, 0
	.set _ZN7rocprim17ROCPRIM_400000_NS6detail17trampoline_kernelINS0_14default_configENS1_35radix_sort_onesweep_config_selectorIddEEZZNS1_29radix_sort_onesweep_iterationIS3_Lb0EN6thrust23THRUST_200600_302600_NS6detail15normal_iteratorINS8_10device_ptrIdEEEESD_SD_SD_jNS0_19identity_decomposerENS1_16block_id_wrapperIjLb1EEEEE10hipError_tT1_PNSt15iterator_traitsISI_E10value_typeET2_T3_PNSJ_ISO_E10value_typeET4_T5_PST_SU_PNS1_23onesweep_lookback_stateEbbT6_jjT7_P12ihipStream_tbENKUlT_T0_SI_SN_E_clISD_PdSD_S15_EEDaS11_S12_SI_SN_EUlS11_E_NS1_11comp_targetILNS1_3genE8ELNS1_11target_archE1030ELNS1_3gpuE2ELNS1_3repE0EEENS1_47radix_sort_onesweep_sort_config_static_selectorELNS0_4arch9wavefront6targetE1EEEvSI_.uses_flat_scratch, 0
	.set _ZN7rocprim17ROCPRIM_400000_NS6detail17trampoline_kernelINS0_14default_configENS1_35radix_sort_onesweep_config_selectorIddEEZZNS1_29radix_sort_onesweep_iterationIS3_Lb0EN6thrust23THRUST_200600_302600_NS6detail15normal_iteratorINS8_10device_ptrIdEEEESD_SD_SD_jNS0_19identity_decomposerENS1_16block_id_wrapperIjLb1EEEEE10hipError_tT1_PNSt15iterator_traitsISI_E10value_typeET2_T3_PNSJ_ISO_E10value_typeET4_T5_PST_SU_PNS1_23onesweep_lookback_stateEbbT6_jjT7_P12ihipStream_tbENKUlT_T0_SI_SN_E_clISD_PdSD_S15_EEDaS11_S12_SI_SN_EUlS11_E_NS1_11comp_targetILNS1_3genE8ELNS1_11target_archE1030ELNS1_3gpuE2ELNS1_3repE0EEENS1_47radix_sort_onesweep_sort_config_static_selectorELNS0_4arch9wavefront6targetE1EEEvSI_.has_dyn_sized_stack, 0
	.set _ZN7rocprim17ROCPRIM_400000_NS6detail17trampoline_kernelINS0_14default_configENS1_35radix_sort_onesweep_config_selectorIddEEZZNS1_29radix_sort_onesweep_iterationIS3_Lb0EN6thrust23THRUST_200600_302600_NS6detail15normal_iteratorINS8_10device_ptrIdEEEESD_SD_SD_jNS0_19identity_decomposerENS1_16block_id_wrapperIjLb1EEEEE10hipError_tT1_PNSt15iterator_traitsISI_E10value_typeET2_T3_PNSJ_ISO_E10value_typeET4_T5_PST_SU_PNS1_23onesweep_lookback_stateEbbT6_jjT7_P12ihipStream_tbENKUlT_T0_SI_SN_E_clISD_PdSD_S15_EEDaS11_S12_SI_SN_EUlS11_E_NS1_11comp_targetILNS1_3genE8ELNS1_11target_archE1030ELNS1_3gpuE2ELNS1_3repE0EEENS1_47radix_sort_onesweep_sort_config_static_selectorELNS0_4arch9wavefront6targetE1EEEvSI_.has_recursion, 0
	.set _ZN7rocprim17ROCPRIM_400000_NS6detail17trampoline_kernelINS0_14default_configENS1_35radix_sort_onesweep_config_selectorIddEEZZNS1_29radix_sort_onesweep_iterationIS3_Lb0EN6thrust23THRUST_200600_302600_NS6detail15normal_iteratorINS8_10device_ptrIdEEEESD_SD_SD_jNS0_19identity_decomposerENS1_16block_id_wrapperIjLb1EEEEE10hipError_tT1_PNSt15iterator_traitsISI_E10value_typeET2_T3_PNSJ_ISO_E10value_typeET4_T5_PST_SU_PNS1_23onesweep_lookback_stateEbbT6_jjT7_P12ihipStream_tbENKUlT_T0_SI_SN_E_clISD_PdSD_S15_EEDaS11_S12_SI_SN_EUlS11_E_NS1_11comp_targetILNS1_3genE8ELNS1_11target_archE1030ELNS1_3gpuE2ELNS1_3repE0EEENS1_47radix_sort_onesweep_sort_config_static_selectorELNS0_4arch9wavefront6targetE1EEEvSI_.has_indirect_call, 0
	.section	.AMDGPU.csdata,"",@progbits
; Kernel info:
; codeLenInByte = 0
; TotalNumSgprs: 6
; NumVgprs: 0
; NumAgprs: 0
; TotalNumVgprs: 0
; ScratchSize: 0
; MemoryBound: 0
; FloatMode: 240
; IeeeMode: 1
; LDSByteSize: 0 bytes/workgroup (compile time only)
; SGPRBlocks: 0
; VGPRBlocks: 0
; NumSGPRsForWavesPerEU: 6
; NumVGPRsForWavesPerEU: 1
; AccumOffset: 4
; Occupancy: 8
; WaveLimiterHint : 0
; COMPUTE_PGM_RSRC2:SCRATCH_EN: 0
; COMPUTE_PGM_RSRC2:USER_SGPR: 2
; COMPUTE_PGM_RSRC2:TRAP_HANDLER: 0
; COMPUTE_PGM_RSRC2:TGID_X_EN: 1
; COMPUTE_PGM_RSRC2:TGID_Y_EN: 0
; COMPUTE_PGM_RSRC2:TGID_Z_EN: 0
; COMPUTE_PGM_RSRC2:TIDIG_COMP_CNT: 0
; COMPUTE_PGM_RSRC3_GFX90A:ACCUM_OFFSET: 0
; COMPUTE_PGM_RSRC3_GFX90A:TG_SPLIT: 0
	.section	.text._ZN7rocprim17ROCPRIM_400000_NS6detail17trampoline_kernelINS0_14default_configENS1_35radix_sort_onesweep_config_selectorIddEEZZNS1_29radix_sort_onesweep_iterationIS3_Lb0EN6thrust23THRUST_200600_302600_NS6detail15normal_iteratorINS8_10device_ptrIdEEEESD_SD_SD_jNS0_19identity_decomposerENS1_16block_id_wrapperIjLb1EEEEE10hipError_tT1_PNSt15iterator_traitsISI_E10value_typeET2_T3_PNSJ_ISO_E10value_typeET4_T5_PST_SU_PNS1_23onesweep_lookback_stateEbbT6_jjT7_P12ihipStream_tbENKUlT_T0_SI_SN_E_clIPdSD_S15_SD_EEDaS11_S12_SI_SN_EUlS11_E_NS1_11comp_targetILNS1_3genE0ELNS1_11target_archE4294967295ELNS1_3gpuE0ELNS1_3repE0EEENS1_47radix_sort_onesweep_sort_config_static_selectorELNS0_4arch9wavefront6targetE1EEEvSI_,"axG",@progbits,_ZN7rocprim17ROCPRIM_400000_NS6detail17trampoline_kernelINS0_14default_configENS1_35radix_sort_onesweep_config_selectorIddEEZZNS1_29radix_sort_onesweep_iterationIS3_Lb0EN6thrust23THRUST_200600_302600_NS6detail15normal_iteratorINS8_10device_ptrIdEEEESD_SD_SD_jNS0_19identity_decomposerENS1_16block_id_wrapperIjLb1EEEEE10hipError_tT1_PNSt15iterator_traitsISI_E10value_typeET2_T3_PNSJ_ISO_E10value_typeET4_T5_PST_SU_PNS1_23onesweep_lookback_stateEbbT6_jjT7_P12ihipStream_tbENKUlT_T0_SI_SN_E_clIPdSD_S15_SD_EEDaS11_S12_SI_SN_EUlS11_E_NS1_11comp_targetILNS1_3genE0ELNS1_11target_archE4294967295ELNS1_3gpuE0ELNS1_3repE0EEENS1_47radix_sort_onesweep_sort_config_static_selectorELNS0_4arch9wavefront6targetE1EEEvSI_,comdat
	.protected	_ZN7rocprim17ROCPRIM_400000_NS6detail17trampoline_kernelINS0_14default_configENS1_35radix_sort_onesweep_config_selectorIddEEZZNS1_29radix_sort_onesweep_iterationIS3_Lb0EN6thrust23THRUST_200600_302600_NS6detail15normal_iteratorINS8_10device_ptrIdEEEESD_SD_SD_jNS0_19identity_decomposerENS1_16block_id_wrapperIjLb1EEEEE10hipError_tT1_PNSt15iterator_traitsISI_E10value_typeET2_T3_PNSJ_ISO_E10value_typeET4_T5_PST_SU_PNS1_23onesweep_lookback_stateEbbT6_jjT7_P12ihipStream_tbENKUlT_T0_SI_SN_E_clIPdSD_S15_SD_EEDaS11_S12_SI_SN_EUlS11_E_NS1_11comp_targetILNS1_3genE0ELNS1_11target_archE4294967295ELNS1_3gpuE0ELNS1_3repE0EEENS1_47radix_sort_onesweep_sort_config_static_selectorELNS0_4arch9wavefront6targetE1EEEvSI_ ; -- Begin function _ZN7rocprim17ROCPRIM_400000_NS6detail17trampoline_kernelINS0_14default_configENS1_35radix_sort_onesweep_config_selectorIddEEZZNS1_29radix_sort_onesweep_iterationIS3_Lb0EN6thrust23THRUST_200600_302600_NS6detail15normal_iteratorINS8_10device_ptrIdEEEESD_SD_SD_jNS0_19identity_decomposerENS1_16block_id_wrapperIjLb1EEEEE10hipError_tT1_PNSt15iterator_traitsISI_E10value_typeET2_T3_PNSJ_ISO_E10value_typeET4_T5_PST_SU_PNS1_23onesweep_lookback_stateEbbT6_jjT7_P12ihipStream_tbENKUlT_T0_SI_SN_E_clIPdSD_S15_SD_EEDaS11_S12_SI_SN_EUlS11_E_NS1_11comp_targetILNS1_3genE0ELNS1_11target_archE4294967295ELNS1_3gpuE0ELNS1_3repE0EEENS1_47radix_sort_onesweep_sort_config_static_selectorELNS0_4arch9wavefront6targetE1EEEvSI_
	.globl	_ZN7rocprim17ROCPRIM_400000_NS6detail17trampoline_kernelINS0_14default_configENS1_35radix_sort_onesweep_config_selectorIddEEZZNS1_29radix_sort_onesweep_iterationIS3_Lb0EN6thrust23THRUST_200600_302600_NS6detail15normal_iteratorINS8_10device_ptrIdEEEESD_SD_SD_jNS0_19identity_decomposerENS1_16block_id_wrapperIjLb1EEEEE10hipError_tT1_PNSt15iterator_traitsISI_E10value_typeET2_T3_PNSJ_ISO_E10value_typeET4_T5_PST_SU_PNS1_23onesweep_lookback_stateEbbT6_jjT7_P12ihipStream_tbENKUlT_T0_SI_SN_E_clIPdSD_S15_SD_EEDaS11_S12_SI_SN_EUlS11_E_NS1_11comp_targetILNS1_3genE0ELNS1_11target_archE4294967295ELNS1_3gpuE0ELNS1_3repE0EEENS1_47radix_sort_onesweep_sort_config_static_selectorELNS0_4arch9wavefront6targetE1EEEvSI_
	.p2align	8
	.type	_ZN7rocprim17ROCPRIM_400000_NS6detail17trampoline_kernelINS0_14default_configENS1_35radix_sort_onesweep_config_selectorIddEEZZNS1_29radix_sort_onesweep_iterationIS3_Lb0EN6thrust23THRUST_200600_302600_NS6detail15normal_iteratorINS8_10device_ptrIdEEEESD_SD_SD_jNS0_19identity_decomposerENS1_16block_id_wrapperIjLb1EEEEE10hipError_tT1_PNSt15iterator_traitsISI_E10value_typeET2_T3_PNSJ_ISO_E10value_typeET4_T5_PST_SU_PNS1_23onesweep_lookback_stateEbbT6_jjT7_P12ihipStream_tbENKUlT_T0_SI_SN_E_clIPdSD_S15_SD_EEDaS11_S12_SI_SN_EUlS11_E_NS1_11comp_targetILNS1_3genE0ELNS1_11target_archE4294967295ELNS1_3gpuE0ELNS1_3repE0EEENS1_47radix_sort_onesweep_sort_config_static_selectorELNS0_4arch9wavefront6targetE1EEEvSI_,@function
_ZN7rocprim17ROCPRIM_400000_NS6detail17trampoline_kernelINS0_14default_configENS1_35radix_sort_onesweep_config_selectorIddEEZZNS1_29radix_sort_onesweep_iterationIS3_Lb0EN6thrust23THRUST_200600_302600_NS6detail15normal_iteratorINS8_10device_ptrIdEEEESD_SD_SD_jNS0_19identity_decomposerENS1_16block_id_wrapperIjLb1EEEEE10hipError_tT1_PNSt15iterator_traitsISI_E10value_typeET2_T3_PNSJ_ISO_E10value_typeET4_T5_PST_SU_PNS1_23onesweep_lookback_stateEbbT6_jjT7_P12ihipStream_tbENKUlT_T0_SI_SN_E_clIPdSD_S15_SD_EEDaS11_S12_SI_SN_EUlS11_E_NS1_11comp_targetILNS1_3genE0ELNS1_11target_archE4294967295ELNS1_3gpuE0ELNS1_3repE0EEENS1_47radix_sort_onesweep_sort_config_static_selectorELNS0_4arch9wavefront6targetE1EEEvSI_: ; @_ZN7rocprim17ROCPRIM_400000_NS6detail17trampoline_kernelINS0_14default_configENS1_35radix_sort_onesweep_config_selectorIddEEZZNS1_29radix_sort_onesweep_iterationIS3_Lb0EN6thrust23THRUST_200600_302600_NS6detail15normal_iteratorINS8_10device_ptrIdEEEESD_SD_SD_jNS0_19identity_decomposerENS1_16block_id_wrapperIjLb1EEEEE10hipError_tT1_PNSt15iterator_traitsISI_E10value_typeET2_T3_PNSJ_ISO_E10value_typeET4_T5_PST_SU_PNS1_23onesweep_lookback_stateEbbT6_jjT7_P12ihipStream_tbENKUlT_T0_SI_SN_E_clIPdSD_S15_SD_EEDaS11_S12_SI_SN_EUlS11_E_NS1_11comp_targetILNS1_3genE0ELNS1_11target_archE4294967295ELNS1_3gpuE0ELNS1_3repE0EEENS1_47radix_sort_onesweep_sort_config_static_selectorELNS0_4arch9wavefront6targetE1EEEvSI_
; %bb.0:
	.section	.rodata,"a",@progbits
	.p2align	6, 0x0
	.amdhsa_kernel _ZN7rocprim17ROCPRIM_400000_NS6detail17trampoline_kernelINS0_14default_configENS1_35radix_sort_onesweep_config_selectorIddEEZZNS1_29radix_sort_onesweep_iterationIS3_Lb0EN6thrust23THRUST_200600_302600_NS6detail15normal_iteratorINS8_10device_ptrIdEEEESD_SD_SD_jNS0_19identity_decomposerENS1_16block_id_wrapperIjLb1EEEEE10hipError_tT1_PNSt15iterator_traitsISI_E10value_typeET2_T3_PNSJ_ISO_E10value_typeET4_T5_PST_SU_PNS1_23onesweep_lookback_stateEbbT6_jjT7_P12ihipStream_tbENKUlT_T0_SI_SN_E_clIPdSD_S15_SD_EEDaS11_S12_SI_SN_EUlS11_E_NS1_11comp_targetILNS1_3genE0ELNS1_11target_archE4294967295ELNS1_3gpuE0ELNS1_3repE0EEENS1_47radix_sort_onesweep_sort_config_static_selectorELNS0_4arch9wavefront6targetE1EEEvSI_
		.amdhsa_group_segment_fixed_size 0
		.amdhsa_private_segment_fixed_size 0
		.amdhsa_kernarg_size 88
		.amdhsa_user_sgpr_count 2
		.amdhsa_user_sgpr_dispatch_ptr 0
		.amdhsa_user_sgpr_queue_ptr 0
		.amdhsa_user_sgpr_kernarg_segment_ptr 1
		.amdhsa_user_sgpr_dispatch_id 0
		.amdhsa_user_sgpr_kernarg_preload_length 0
		.amdhsa_user_sgpr_kernarg_preload_offset 0
		.amdhsa_user_sgpr_private_segment_size 0
		.amdhsa_uses_dynamic_stack 0
		.amdhsa_enable_private_segment 0
		.amdhsa_system_sgpr_workgroup_id_x 1
		.amdhsa_system_sgpr_workgroup_id_y 0
		.amdhsa_system_sgpr_workgroup_id_z 0
		.amdhsa_system_sgpr_workgroup_info 0
		.amdhsa_system_vgpr_workitem_id 0
		.amdhsa_next_free_vgpr 1
		.amdhsa_next_free_sgpr 0
		.amdhsa_accum_offset 4
		.amdhsa_reserve_vcc 0
		.amdhsa_float_round_mode_32 0
		.amdhsa_float_round_mode_16_64 0
		.amdhsa_float_denorm_mode_32 3
		.amdhsa_float_denorm_mode_16_64 3
		.amdhsa_dx10_clamp 1
		.amdhsa_ieee_mode 1
		.amdhsa_fp16_overflow 0
		.amdhsa_tg_split 0
		.amdhsa_exception_fp_ieee_invalid_op 0
		.amdhsa_exception_fp_denorm_src 0
		.amdhsa_exception_fp_ieee_div_zero 0
		.amdhsa_exception_fp_ieee_overflow 0
		.amdhsa_exception_fp_ieee_underflow 0
		.amdhsa_exception_fp_ieee_inexact 0
		.amdhsa_exception_int_div_zero 0
	.end_amdhsa_kernel
	.section	.text._ZN7rocprim17ROCPRIM_400000_NS6detail17trampoline_kernelINS0_14default_configENS1_35radix_sort_onesweep_config_selectorIddEEZZNS1_29radix_sort_onesweep_iterationIS3_Lb0EN6thrust23THRUST_200600_302600_NS6detail15normal_iteratorINS8_10device_ptrIdEEEESD_SD_SD_jNS0_19identity_decomposerENS1_16block_id_wrapperIjLb1EEEEE10hipError_tT1_PNSt15iterator_traitsISI_E10value_typeET2_T3_PNSJ_ISO_E10value_typeET4_T5_PST_SU_PNS1_23onesweep_lookback_stateEbbT6_jjT7_P12ihipStream_tbENKUlT_T0_SI_SN_E_clIPdSD_S15_SD_EEDaS11_S12_SI_SN_EUlS11_E_NS1_11comp_targetILNS1_3genE0ELNS1_11target_archE4294967295ELNS1_3gpuE0ELNS1_3repE0EEENS1_47radix_sort_onesweep_sort_config_static_selectorELNS0_4arch9wavefront6targetE1EEEvSI_,"axG",@progbits,_ZN7rocprim17ROCPRIM_400000_NS6detail17trampoline_kernelINS0_14default_configENS1_35radix_sort_onesweep_config_selectorIddEEZZNS1_29radix_sort_onesweep_iterationIS3_Lb0EN6thrust23THRUST_200600_302600_NS6detail15normal_iteratorINS8_10device_ptrIdEEEESD_SD_SD_jNS0_19identity_decomposerENS1_16block_id_wrapperIjLb1EEEEE10hipError_tT1_PNSt15iterator_traitsISI_E10value_typeET2_T3_PNSJ_ISO_E10value_typeET4_T5_PST_SU_PNS1_23onesweep_lookback_stateEbbT6_jjT7_P12ihipStream_tbENKUlT_T0_SI_SN_E_clIPdSD_S15_SD_EEDaS11_S12_SI_SN_EUlS11_E_NS1_11comp_targetILNS1_3genE0ELNS1_11target_archE4294967295ELNS1_3gpuE0ELNS1_3repE0EEENS1_47radix_sort_onesweep_sort_config_static_selectorELNS0_4arch9wavefront6targetE1EEEvSI_,comdat
.Lfunc_end127:
	.size	_ZN7rocprim17ROCPRIM_400000_NS6detail17trampoline_kernelINS0_14default_configENS1_35radix_sort_onesweep_config_selectorIddEEZZNS1_29radix_sort_onesweep_iterationIS3_Lb0EN6thrust23THRUST_200600_302600_NS6detail15normal_iteratorINS8_10device_ptrIdEEEESD_SD_SD_jNS0_19identity_decomposerENS1_16block_id_wrapperIjLb1EEEEE10hipError_tT1_PNSt15iterator_traitsISI_E10value_typeET2_T3_PNSJ_ISO_E10value_typeET4_T5_PST_SU_PNS1_23onesweep_lookback_stateEbbT6_jjT7_P12ihipStream_tbENKUlT_T0_SI_SN_E_clIPdSD_S15_SD_EEDaS11_S12_SI_SN_EUlS11_E_NS1_11comp_targetILNS1_3genE0ELNS1_11target_archE4294967295ELNS1_3gpuE0ELNS1_3repE0EEENS1_47radix_sort_onesweep_sort_config_static_selectorELNS0_4arch9wavefront6targetE1EEEvSI_, .Lfunc_end127-_ZN7rocprim17ROCPRIM_400000_NS6detail17trampoline_kernelINS0_14default_configENS1_35radix_sort_onesweep_config_selectorIddEEZZNS1_29radix_sort_onesweep_iterationIS3_Lb0EN6thrust23THRUST_200600_302600_NS6detail15normal_iteratorINS8_10device_ptrIdEEEESD_SD_SD_jNS0_19identity_decomposerENS1_16block_id_wrapperIjLb1EEEEE10hipError_tT1_PNSt15iterator_traitsISI_E10value_typeET2_T3_PNSJ_ISO_E10value_typeET4_T5_PST_SU_PNS1_23onesweep_lookback_stateEbbT6_jjT7_P12ihipStream_tbENKUlT_T0_SI_SN_E_clIPdSD_S15_SD_EEDaS11_S12_SI_SN_EUlS11_E_NS1_11comp_targetILNS1_3genE0ELNS1_11target_archE4294967295ELNS1_3gpuE0ELNS1_3repE0EEENS1_47radix_sort_onesweep_sort_config_static_selectorELNS0_4arch9wavefront6targetE1EEEvSI_
                                        ; -- End function
	.set _ZN7rocprim17ROCPRIM_400000_NS6detail17trampoline_kernelINS0_14default_configENS1_35radix_sort_onesweep_config_selectorIddEEZZNS1_29radix_sort_onesweep_iterationIS3_Lb0EN6thrust23THRUST_200600_302600_NS6detail15normal_iteratorINS8_10device_ptrIdEEEESD_SD_SD_jNS0_19identity_decomposerENS1_16block_id_wrapperIjLb1EEEEE10hipError_tT1_PNSt15iterator_traitsISI_E10value_typeET2_T3_PNSJ_ISO_E10value_typeET4_T5_PST_SU_PNS1_23onesweep_lookback_stateEbbT6_jjT7_P12ihipStream_tbENKUlT_T0_SI_SN_E_clIPdSD_S15_SD_EEDaS11_S12_SI_SN_EUlS11_E_NS1_11comp_targetILNS1_3genE0ELNS1_11target_archE4294967295ELNS1_3gpuE0ELNS1_3repE0EEENS1_47radix_sort_onesweep_sort_config_static_selectorELNS0_4arch9wavefront6targetE1EEEvSI_.num_vgpr, 0
	.set _ZN7rocprim17ROCPRIM_400000_NS6detail17trampoline_kernelINS0_14default_configENS1_35radix_sort_onesweep_config_selectorIddEEZZNS1_29radix_sort_onesweep_iterationIS3_Lb0EN6thrust23THRUST_200600_302600_NS6detail15normal_iteratorINS8_10device_ptrIdEEEESD_SD_SD_jNS0_19identity_decomposerENS1_16block_id_wrapperIjLb1EEEEE10hipError_tT1_PNSt15iterator_traitsISI_E10value_typeET2_T3_PNSJ_ISO_E10value_typeET4_T5_PST_SU_PNS1_23onesweep_lookback_stateEbbT6_jjT7_P12ihipStream_tbENKUlT_T0_SI_SN_E_clIPdSD_S15_SD_EEDaS11_S12_SI_SN_EUlS11_E_NS1_11comp_targetILNS1_3genE0ELNS1_11target_archE4294967295ELNS1_3gpuE0ELNS1_3repE0EEENS1_47radix_sort_onesweep_sort_config_static_selectorELNS0_4arch9wavefront6targetE1EEEvSI_.num_agpr, 0
	.set _ZN7rocprim17ROCPRIM_400000_NS6detail17trampoline_kernelINS0_14default_configENS1_35radix_sort_onesweep_config_selectorIddEEZZNS1_29radix_sort_onesweep_iterationIS3_Lb0EN6thrust23THRUST_200600_302600_NS6detail15normal_iteratorINS8_10device_ptrIdEEEESD_SD_SD_jNS0_19identity_decomposerENS1_16block_id_wrapperIjLb1EEEEE10hipError_tT1_PNSt15iterator_traitsISI_E10value_typeET2_T3_PNSJ_ISO_E10value_typeET4_T5_PST_SU_PNS1_23onesweep_lookback_stateEbbT6_jjT7_P12ihipStream_tbENKUlT_T0_SI_SN_E_clIPdSD_S15_SD_EEDaS11_S12_SI_SN_EUlS11_E_NS1_11comp_targetILNS1_3genE0ELNS1_11target_archE4294967295ELNS1_3gpuE0ELNS1_3repE0EEENS1_47radix_sort_onesweep_sort_config_static_selectorELNS0_4arch9wavefront6targetE1EEEvSI_.numbered_sgpr, 0
	.set _ZN7rocprim17ROCPRIM_400000_NS6detail17trampoline_kernelINS0_14default_configENS1_35radix_sort_onesweep_config_selectorIddEEZZNS1_29radix_sort_onesweep_iterationIS3_Lb0EN6thrust23THRUST_200600_302600_NS6detail15normal_iteratorINS8_10device_ptrIdEEEESD_SD_SD_jNS0_19identity_decomposerENS1_16block_id_wrapperIjLb1EEEEE10hipError_tT1_PNSt15iterator_traitsISI_E10value_typeET2_T3_PNSJ_ISO_E10value_typeET4_T5_PST_SU_PNS1_23onesweep_lookback_stateEbbT6_jjT7_P12ihipStream_tbENKUlT_T0_SI_SN_E_clIPdSD_S15_SD_EEDaS11_S12_SI_SN_EUlS11_E_NS1_11comp_targetILNS1_3genE0ELNS1_11target_archE4294967295ELNS1_3gpuE0ELNS1_3repE0EEENS1_47radix_sort_onesweep_sort_config_static_selectorELNS0_4arch9wavefront6targetE1EEEvSI_.num_named_barrier, 0
	.set _ZN7rocprim17ROCPRIM_400000_NS6detail17trampoline_kernelINS0_14default_configENS1_35radix_sort_onesweep_config_selectorIddEEZZNS1_29radix_sort_onesweep_iterationIS3_Lb0EN6thrust23THRUST_200600_302600_NS6detail15normal_iteratorINS8_10device_ptrIdEEEESD_SD_SD_jNS0_19identity_decomposerENS1_16block_id_wrapperIjLb1EEEEE10hipError_tT1_PNSt15iterator_traitsISI_E10value_typeET2_T3_PNSJ_ISO_E10value_typeET4_T5_PST_SU_PNS1_23onesweep_lookback_stateEbbT6_jjT7_P12ihipStream_tbENKUlT_T0_SI_SN_E_clIPdSD_S15_SD_EEDaS11_S12_SI_SN_EUlS11_E_NS1_11comp_targetILNS1_3genE0ELNS1_11target_archE4294967295ELNS1_3gpuE0ELNS1_3repE0EEENS1_47radix_sort_onesweep_sort_config_static_selectorELNS0_4arch9wavefront6targetE1EEEvSI_.private_seg_size, 0
	.set _ZN7rocprim17ROCPRIM_400000_NS6detail17trampoline_kernelINS0_14default_configENS1_35radix_sort_onesweep_config_selectorIddEEZZNS1_29radix_sort_onesweep_iterationIS3_Lb0EN6thrust23THRUST_200600_302600_NS6detail15normal_iteratorINS8_10device_ptrIdEEEESD_SD_SD_jNS0_19identity_decomposerENS1_16block_id_wrapperIjLb1EEEEE10hipError_tT1_PNSt15iterator_traitsISI_E10value_typeET2_T3_PNSJ_ISO_E10value_typeET4_T5_PST_SU_PNS1_23onesweep_lookback_stateEbbT6_jjT7_P12ihipStream_tbENKUlT_T0_SI_SN_E_clIPdSD_S15_SD_EEDaS11_S12_SI_SN_EUlS11_E_NS1_11comp_targetILNS1_3genE0ELNS1_11target_archE4294967295ELNS1_3gpuE0ELNS1_3repE0EEENS1_47radix_sort_onesweep_sort_config_static_selectorELNS0_4arch9wavefront6targetE1EEEvSI_.uses_vcc, 0
	.set _ZN7rocprim17ROCPRIM_400000_NS6detail17trampoline_kernelINS0_14default_configENS1_35radix_sort_onesweep_config_selectorIddEEZZNS1_29radix_sort_onesweep_iterationIS3_Lb0EN6thrust23THRUST_200600_302600_NS6detail15normal_iteratorINS8_10device_ptrIdEEEESD_SD_SD_jNS0_19identity_decomposerENS1_16block_id_wrapperIjLb1EEEEE10hipError_tT1_PNSt15iterator_traitsISI_E10value_typeET2_T3_PNSJ_ISO_E10value_typeET4_T5_PST_SU_PNS1_23onesweep_lookback_stateEbbT6_jjT7_P12ihipStream_tbENKUlT_T0_SI_SN_E_clIPdSD_S15_SD_EEDaS11_S12_SI_SN_EUlS11_E_NS1_11comp_targetILNS1_3genE0ELNS1_11target_archE4294967295ELNS1_3gpuE0ELNS1_3repE0EEENS1_47radix_sort_onesweep_sort_config_static_selectorELNS0_4arch9wavefront6targetE1EEEvSI_.uses_flat_scratch, 0
	.set _ZN7rocprim17ROCPRIM_400000_NS6detail17trampoline_kernelINS0_14default_configENS1_35radix_sort_onesweep_config_selectorIddEEZZNS1_29radix_sort_onesweep_iterationIS3_Lb0EN6thrust23THRUST_200600_302600_NS6detail15normal_iteratorINS8_10device_ptrIdEEEESD_SD_SD_jNS0_19identity_decomposerENS1_16block_id_wrapperIjLb1EEEEE10hipError_tT1_PNSt15iterator_traitsISI_E10value_typeET2_T3_PNSJ_ISO_E10value_typeET4_T5_PST_SU_PNS1_23onesweep_lookback_stateEbbT6_jjT7_P12ihipStream_tbENKUlT_T0_SI_SN_E_clIPdSD_S15_SD_EEDaS11_S12_SI_SN_EUlS11_E_NS1_11comp_targetILNS1_3genE0ELNS1_11target_archE4294967295ELNS1_3gpuE0ELNS1_3repE0EEENS1_47radix_sort_onesweep_sort_config_static_selectorELNS0_4arch9wavefront6targetE1EEEvSI_.has_dyn_sized_stack, 0
	.set _ZN7rocprim17ROCPRIM_400000_NS6detail17trampoline_kernelINS0_14default_configENS1_35radix_sort_onesweep_config_selectorIddEEZZNS1_29radix_sort_onesweep_iterationIS3_Lb0EN6thrust23THRUST_200600_302600_NS6detail15normal_iteratorINS8_10device_ptrIdEEEESD_SD_SD_jNS0_19identity_decomposerENS1_16block_id_wrapperIjLb1EEEEE10hipError_tT1_PNSt15iterator_traitsISI_E10value_typeET2_T3_PNSJ_ISO_E10value_typeET4_T5_PST_SU_PNS1_23onesweep_lookback_stateEbbT6_jjT7_P12ihipStream_tbENKUlT_T0_SI_SN_E_clIPdSD_S15_SD_EEDaS11_S12_SI_SN_EUlS11_E_NS1_11comp_targetILNS1_3genE0ELNS1_11target_archE4294967295ELNS1_3gpuE0ELNS1_3repE0EEENS1_47radix_sort_onesweep_sort_config_static_selectorELNS0_4arch9wavefront6targetE1EEEvSI_.has_recursion, 0
	.set _ZN7rocprim17ROCPRIM_400000_NS6detail17trampoline_kernelINS0_14default_configENS1_35radix_sort_onesweep_config_selectorIddEEZZNS1_29radix_sort_onesweep_iterationIS3_Lb0EN6thrust23THRUST_200600_302600_NS6detail15normal_iteratorINS8_10device_ptrIdEEEESD_SD_SD_jNS0_19identity_decomposerENS1_16block_id_wrapperIjLb1EEEEE10hipError_tT1_PNSt15iterator_traitsISI_E10value_typeET2_T3_PNSJ_ISO_E10value_typeET4_T5_PST_SU_PNS1_23onesweep_lookback_stateEbbT6_jjT7_P12ihipStream_tbENKUlT_T0_SI_SN_E_clIPdSD_S15_SD_EEDaS11_S12_SI_SN_EUlS11_E_NS1_11comp_targetILNS1_3genE0ELNS1_11target_archE4294967295ELNS1_3gpuE0ELNS1_3repE0EEENS1_47radix_sort_onesweep_sort_config_static_selectorELNS0_4arch9wavefront6targetE1EEEvSI_.has_indirect_call, 0
	.section	.AMDGPU.csdata,"",@progbits
; Kernel info:
; codeLenInByte = 0
; TotalNumSgprs: 6
; NumVgprs: 0
; NumAgprs: 0
; TotalNumVgprs: 0
; ScratchSize: 0
; MemoryBound: 0
; FloatMode: 240
; IeeeMode: 1
; LDSByteSize: 0 bytes/workgroup (compile time only)
; SGPRBlocks: 0
; VGPRBlocks: 0
; NumSGPRsForWavesPerEU: 6
; NumVGPRsForWavesPerEU: 1
; AccumOffset: 4
; Occupancy: 8
; WaveLimiterHint : 0
; COMPUTE_PGM_RSRC2:SCRATCH_EN: 0
; COMPUTE_PGM_RSRC2:USER_SGPR: 2
; COMPUTE_PGM_RSRC2:TRAP_HANDLER: 0
; COMPUTE_PGM_RSRC2:TGID_X_EN: 1
; COMPUTE_PGM_RSRC2:TGID_Y_EN: 0
; COMPUTE_PGM_RSRC2:TGID_Z_EN: 0
; COMPUTE_PGM_RSRC2:TIDIG_COMP_CNT: 0
; COMPUTE_PGM_RSRC3_GFX90A:ACCUM_OFFSET: 0
; COMPUTE_PGM_RSRC3_GFX90A:TG_SPLIT: 0
	.section	.text._ZN7rocprim17ROCPRIM_400000_NS6detail17trampoline_kernelINS0_14default_configENS1_35radix_sort_onesweep_config_selectorIddEEZZNS1_29radix_sort_onesweep_iterationIS3_Lb0EN6thrust23THRUST_200600_302600_NS6detail15normal_iteratorINS8_10device_ptrIdEEEESD_SD_SD_jNS0_19identity_decomposerENS1_16block_id_wrapperIjLb1EEEEE10hipError_tT1_PNSt15iterator_traitsISI_E10value_typeET2_T3_PNSJ_ISO_E10value_typeET4_T5_PST_SU_PNS1_23onesweep_lookback_stateEbbT6_jjT7_P12ihipStream_tbENKUlT_T0_SI_SN_E_clIPdSD_S15_SD_EEDaS11_S12_SI_SN_EUlS11_E_NS1_11comp_targetILNS1_3genE6ELNS1_11target_archE950ELNS1_3gpuE13ELNS1_3repE0EEENS1_47radix_sort_onesweep_sort_config_static_selectorELNS0_4arch9wavefront6targetE1EEEvSI_,"axG",@progbits,_ZN7rocprim17ROCPRIM_400000_NS6detail17trampoline_kernelINS0_14default_configENS1_35radix_sort_onesweep_config_selectorIddEEZZNS1_29radix_sort_onesweep_iterationIS3_Lb0EN6thrust23THRUST_200600_302600_NS6detail15normal_iteratorINS8_10device_ptrIdEEEESD_SD_SD_jNS0_19identity_decomposerENS1_16block_id_wrapperIjLb1EEEEE10hipError_tT1_PNSt15iterator_traitsISI_E10value_typeET2_T3_PNSJ_ISO_E10value_typeET4_T5_PST_SU_PNS1_23onesweep_lookback_stateEbbT6_jjT7_P12ihipStream_tbENKUlT_T0_SI_SN_E_clIPdSD_S15_SD_EEDaS11_S12_SI_SN_EUlS11_E_NS1_11comp_targetILNS1_3genE6ELNS1_11target_archE950ELNS1_3gpuE13ELNS1_3repE0EEENS1_47radix_sort_onesweep_sort_config_static_selectorELNS0_4arch9wavefront6targetE1EEEvSI_,comdat
	.protected	_ZN7rocprim17ROCPRIM_400000_NS6detail17trampoline_kernelINS0_14default_configENS1_35radix_sort_onesweep_config_selectorIddEEZZNS1_29radix_sort_onesweep_iterationIS3_Lb0EN6thrust23THRUST_200600_302600_NS6detail15normal_iteratorINS8_10device_ptrIdEEEESD_SD_SD_jNS0_19identity_decomposerENS1_16block_id_wrapperIjLb1EEEEE10hipError_tT1_PNSt15iterator_traitsISI_E10value_typeET2_T3_PNSJ_ISO_E10value_typeET4_T5_PST_SU_PNS1_23onesweep_lookback_stateEbbT6_jjT7_P12ihipStream_tbENKUlT_T0_SI_SN_E_clIPdSD_S15_SD_EEDaS11_S12_SI_SN_EUlS11_E_NS1_11comp_targetILNS1_3genE6ELNS1_11target_archE950ELNS1_3gpuE13ELNS1_3repE0EEENS1_47radix_sort_onesweep_sort_config_static_selectorELNS0_4arch9wavefront6targetE1EEEvSI_ ; -- Begin function _ZN7rocprim17ROCPRIM_400000_NS6detail17trampoline_kernelINS0_14default_configENS1_35radix_sort_onesweep_config_selectorIddEEZZNS1_29radix_sort_onesweep_iterationIS3_Lb0EN6thrust23THRUST_200600_302600_NS6detail15normal_iteratorINS8_10device_ptrIdEEEESD_SD_SD_jNS0_19identity_decomposerENS1_16block_id_wrapperIjLb1EEEEE10hipError_tT1_PNSt15iterator_traitsISI_E10value_typeET2_T3_PNSJ_ISO_E10value_typeET4_T5_PST_SU_PNS1_23onesweep_lookback_stateEbbT6_jjT7_P12ihipStream_tbENKUlT_T0_SI_SN_E_clIPdSD_S15_SD_EEDaS11_S12_SI_SN_EUlS11_E_NS1_11comp_targetILNS1_3genE6ELNS1_11target_archE950ELNS1_3gpuE13ELNS1_3repE0EEENS1_47radix_sort_onesweep_sort_config_static_selectorELNS0_4arch9wavefront6targetE1EEEvSI_
	.globl	_ZN7rocprim17ROCPRIM_400000_NS6detail17trampoline_kernelINS0_14default_configENS1_35radix_sort_onesweep_config_selectorIddEEZZNS1_29radix_sort_onesweep_iterationIS3_Lb0EN6thrust23THRUST_200600_302600_NS6detail15normal_iteratorINS8_10device_ptrIdEEEESD_SD_SD_jNS0_19identity_decomposerENS1_16block_id_wrapperIjLb1EEEEE10hipError_tT1_PNSt15iterator_traitsISI_E10value_typeET2_T3_PNSJ_ISO_E10value_typeET4_T5_PST_SU_PNS1_23onesweep_lookback_stateEbbT6_jjT7_P12ihipStream_tbENKUlT_T0_SI_SN_E_clIPdSD_S15_SD_EEDaS11_S12_SI_SN_EUlS11_E_NS1_11comp_targetILNS1_3genE6ELNS1_11target_archE950ELNS1_3gpuE13ELNS1_3repE0EEENS1_47radix_sort_onesweep_sort_config_static_selectorELNS0_4arch9wavefront6targetE1EEEvSI_
	.p2align	8
	.type	_ZN7rocprim17ROCPRIM_400000_NS6detail17trampoline_kernelINS0_14default_configENS1_35radix_sort_onesweep_config_selectorIddEEZZNS1_29radix_sort_onesweep_iterationIS3_Lb0EN6thrust23THRUST_200600_302600_NS6detail15normal_iteratorINS8_10device_ptrIdEEEESD_SD_SD_jNS0_19identity_decomposerENS1_16block_id_wrapperIjLb1EEEEE10hipError_tT1_PNSt15iterator_traitsISI_E10value_typeET2_T3_PNSJ_ISO_E10value_typeET4_T5_PST_SU_PNS1_23onesweep_lookback_stateEbbT6_jjT7_P12ihipStream_tbENKUlT_T0_SI_SN_E_clIPdSD_S15_SD_EEDaS11_S12_SI_SN_EUlS11_E_NS1_11comp_targetILNS1_3genE6ELNS1_11target_archE950ELNS1_3gpuE13ELNS1_3repE0EEENS1_47radix_sort_onesweep_sort_config_static_selectorELNS0_4arch9wavefront6targetE1EEEvSI_,@function
_ZN7rocprim17ROCPRIM_400000_NS6detail17trampoline_kernelINS0_14default_configENS1_35radix_sort_onesweep_config_selectorIddEEZZNS1_29radix_sort_onesweep_iterationIS3_Lb0EN6thrust23THRUST_200600_302600_NS6detail15normal_iteratorINS8_10device_ptrIdEEEESD_SD_SD_jNS0_19identity_decomposerENS1_16block_id_wrapperIjLb1EEEEE10hipError_tT1_PNSt15iterator_traitsISI_E10value_typeET2_T3_PNSJ_ISO_E10value_typeET4_T5_PST_SU_PNS1_23onesweep_lookback_stateEbbT6_jjT7_P12ihipStream_tbENKUlT_T0_SI_SN_E_clIPdSD_S15_SD_EEDaS11_S12_SI_SN_EUlS11_E_NS1_11comp_targetILNS1_3genE6ELNS1_11target_archE950ELNS1_3gpuE13ELNS1_3repE0EEENS1_47radix_sort_onesweep_sort_config_static_selectorELNS0_4arch9wavefront6targetE1EEEvSI_: ; @_ZN7rocprim17ROCPRIM_400000_NS6detail17trampoline_kernelINS0_14default_configENS1_35radix_sort_onesweep_config_selectorIddEEZZNS1_29radix_sort_onesweep_iterationIS3_Lb0EN6thrust23THRUST_200600_302600_NS6detail15normal_iteratorINS8_10device_ptrIdEEEESD_SD_SD_jNS0_19identity_decomposerENS1_16block_id_wrapperIjLb1EEEEE10hipError_tT1_PNSt15iterator_traitsISI_E10value_typeET2_T3_PNSJ_ISO_E10value_typeET4_T5_PST_SU_PNS1_23onesweep_lookback_stateEbbT6_jjT7_P12ihipStream_tbENKUlT_T0_SI_SN_E_clIPdSD_S15_SD_EEDaS11_S12_SI_SN_EUlS11_E_NS1_11comp_targetILNS1_3genE6ELNS1_11target_archE950ELNS1_3gpuE13ELNS1_3repE0EEENS1_47radix_sort_onesweep_sort_config_static_selectorELNS0_4arch9wavefront6targetE1EEEvSI_
; %bb.0:
	s_load_dwordx4 s[48:51], s[2:3], 0x28
	s_load_dwordx2 s[38:39], s[2:3], 0x38
	s_load_dwordx4 s[52:55], s[2:3], 0x44
	v_and_b32_e32 v2, 0x3ff, v0
	v_cmp_eq_u32_e64 s[18:19], 0, v2
	s_and_saveexec_b64 s[6:7], s[18:19]
	s_cbranch_execz .LBB128_4
; %bb.1:
	s_mov_b64 s[10:11], exec
	v_mbcnt_lo_u32_b32 v1, s10, 0
	v_mbcnt_hi_u32_b32 v1, s11, v1
	v_cmp_eq_u32_e32 vcc, 0, v1
                                        ; implicit-def: $vgpr3
	s_and_saveexec_b64 s[8:9], vcc
	s_cbranch_execz .LBB128_3
; %bb.2:
	s_load_dwordx2 s[12:13], s[2:3], 0x50
	s_bcnt1_i32_b64 s5, s[10:11]
	v_mov_b32_e32 v3, 0
	v_mov_b32_e32 v4, s5
	s_waitcnt lgkmcnt(0)
	global_atomic_add v3, v3, v4, s[12:13] sc0
.LBB128_3:
	s_or_b64 exec, exec, s[8:9]
	s_waitcnt vmcnt(0)
	v_readfirstlane_b32 s5, v3
	v_mov_b32_e32 v3, 0
	s_nop 0
	v_add_u32_e32 v1, s5, v1
	ds_write_b32 v3, v1 offset:20544
.LBB128_4:
	s_or_b64 exec, exec, s[6:7]
	v_mov_b32_e32 v1, 0
	s_load_dwordx8 s[40:47], s[2:3], 0x0
	s_load_dword s5, s[2:3], 0x20
	s_waitcnt lgkmcnt(0)
	s_barrier
	ds_read_b32 v4, v1 offset:20544
	v_bfe_u32 v3, v0, 10, 10
	v_bfe_u32 v28, v0, 20, 10
	s_mov_b64 s[6:7], -1
	v_mbcnt_lo_u32_b32 v30, -1, 0
	s_waitcnt lgkmcnt(0)
	v_cmp_le_u32_e32 vcc, s54, v4
	v_readfirstlane_b32 s33, v4
	v_lshlrev_b32_e32 v29, 3, v2
	s_barrier
	s_cbranch_vccz .LBB128_120
; %bb.5:
	s_lshl_b32 s6, s54, 13
	s_sub_i32 s5, s5, s6
	s_lshl_b32 s6, s33, 13
	s_mov_b32 s7, 0
	s_lshl_b64 s[54:55], s[6:7], 3
	v_mbcnt_hi_u32_b32 v26, -1, v30
	s_add_u32 s6, s40, s54
	v_and_b32_e32 v8, 63, v26
	s_addc_u32 s7, s41, s55
	v_and_b32_e32 v9, 0x1e00, v29
	v_lshlrev_b32_e32 v0, 3, v8
	v_lshl_add_u64 v[6:7], s[6:7], 0, v[0:1]
	v_lshlrev_b32_e32 v4, 3, v9
	v_mov_b32_e32 v5, v1
	v_or_b32_e32 v1, v8, v9
	v_mov_b32_e32 v8, -1
	v_bfrev_b32_e32 v9, -2
	v_lshl_add_u64 v[22:23], v[6:7], 0, v[4:5]
	v_cmp_gt_u32_e32 vcc, s5, v1
	v_mov_b64_e32 v[6:7], v[8:9]
	s_and_saveexec_b64 s[6:7], vcc
	s_cbranch_execz .LBB128_7
; %bb.6:
	global_load_dwordx2 v[6:7], v[22:23], off
.LBB128_7:
	s_or_b64 exec, exec, s[6:7]
	v_or_b32_e32 v5, 64, v1
	v_cmp_gt_u32_e64 s[28:29], s5, v5
	s_and_saveexec_b64 s[6:7], s[28:29]
	s_cbranch_execz .LBB128_9
; %bb.8:
	global_load_dwordx2 v[8:9], v[22:23], off offset:512
.LBB128_9:
	s_or_b64 exec, exec, s[6:7]
	v_or_b32_e32 v5, 0x80, v1
	v_mov_b32_e32 v12, -1
	v_bfrev_b32_e32 v13, -2
	v_cmp_gt_u32_e64 s[6:7], s5, v5
	v_mov_b64_e32 v[10:11], v[12:13]
	s_and_saveexec_b64 s[8:9], s[6:7]
	s_cbranch_execz .LBB128_11
; %bb.10:
	global_load_dwordx2 v[10:11], v[22:23], off offset:1024
.LBB128_11:
	s_or_b64 exec, exec, s[8:9]
	v_or_b32_e32 v5, 0xc0, v1
	v_cmp_gt_u32_e64 s[8:9], s5, v5
	s_and_saveexec_b64 s[10:11], s[8:9]
	s_cbranch_execz .LBB128_13
; %bb.12:
	global_load_dwordx2 v[12:13], v[22:23], off offset:1536
.LBB128_13:
	s_or_b64 exec, exec, s[10:11]
	v_or_b32_e32 v5, 0x100, v1
	v_mov_b32_e32 v18, -1
	v_bfrev_b32_e32 v19, -2
	v_cmp_gt_u32_e64 s[10:11], s5, v5
	v_mov_b64_e32 v[16:17], v[18:19]
	s_and_saveexec_b64 s[12:13], s[10:11]
	s_cbranch_execz .LBB128_15
; %bb.14:
	global_load_dwordx2 v[16:17], v[22:23], off offset:2048
.LBB128_15:
	s_or_b64 exec, exec, s[12:13]
	v_or_b32_e32 v5, 0x140, v1
	v_cmp_gt_u32_e64 s[12:13], s5, v5
	s_and_saveexec_b64 s[14:15], s[12:13]
	s_cbranch_execz .LBB128_17
; %bb.16:
	global_load_dwordx2 v[18:19], v[22:23], off offset:2560
.LBB128_17:
	s_or_b64 exec, exec, s[14:15]
	v_or_b32_e32 v5, 0x180, v1
	v_mov_b32_e32 v14, -1
	v_bfrev_b32_e32 v15, -2
	v_cmp_gt_u32_e64 s[14:15], s5, v5
	v_mov_b64_e32 v[20:21], v[14:15]
	s_and_saveexec_b64 s[16:17], s[14:15]
	s_cbranch_execz .LBB128_19
; %bb.18:
	global_load_dwordx2 v[20:21], v[22:23], off offset:3072
.LBB128_19:
	s_or_b64 exec, exec, s[16:17]
	v_or_b32_e32 v1, 0x1c0, v1
	s_mov_b32 s22, -1
	v_cmp_gt_u32_e64 s[16:17], s5, v1
	s_brev_b32 s23, -2
	s_and_saveexec_b64 s[20:21], s[16:17]
	s_cbranch_execz .LBB128_21
; %bb.20:
	global_load_dwordx2 v[14:15], v[22:23], off offset:3584
.LBB128_21:
	s_or_b64 exec, exec, s[20:21]
	s_load_dword s20, s[2:3], 0x64
	s_load_dword s56, s[2:3], 0x58
	s_add_u32 s21, s2, 0x58
	s_addc_u32 s24, s3, 0
	v_mov_b32_e32 v23, 0
	s_waitcnt lgkmcnt(0)
	s_lshr_b32 s25, s20, 16
	s_cmp_lt_u32 s4, s56
	s_cselect_b32 s20, 12, 18
	s_add_u32 s20, s21, s20
	s_addc_u32 s21, s24, 0
	global_load_ushort v5, v23, s[20:21]
	v_bfrev_b32_e32 v31, 1
	s_waitcnt vmcnt(1)
	v_cmp_lt_i64_e64 s[20:21], -1, v[6:7]
	v_ashrrev_i32_e32 v22, 31, v7
	v_xor_b32_e32 v6, v22, v6
	v_cndmask_b32_e64 v25, -1, v31, s[20:21]
	v_xor_b32_e32 v7, v25, v7
	v_cmp_ne_u64_e64 s[20:21], s[22:23], v[6:7]
	v_mov_b32_e32 v24, v23
	v_mov_b32_e32 v34, v23
	v_cndmask_b32_e64 v43, v31, v7, s[20:21]
	v_cndmask_b32_e64 v42, 0, v6, s[20:21]
	v_lshrrev_b64 v[42:43], s52, v[42:43]
	s_lshl_b32 s20, -1, s53
	v_bitop3_b32 v44, v42, s20, v42 bitop3:0x30
	v_and_b32_e32 v22, 1, v44
	v_lshlrev_b32_e32 v25, 30, v44
	s_not_b32 s57, s20
	v_lshlrev_b32_e32 v33, 29, v44
	v_lshlrev_b32_e32 v35, 28, v44
	v_lshl_add_u64 v[42:43], v[22:23], 0, -1
	v_cmp_ne_u32_e64 s[20:21], 0, v22
	v_not_b32_e32 v22, v25
	v_mov_b32_e32 v32, v23
	v_mov_b32_e32 v36, v23
	v_lshlrev_b32_e32 v37, 27, v44
	v_cmp_gt_i64_e64 s[22:23], 0, v[24:25]
	v_not_b32_e32 v24, v33
	v_cmp_gt_i64_e64 s[26:27], 0, v[34:35]
	v_xor_b32_e32 v34, s21, v43
	v_ashrrev_i32_e32 v22, 31, v22
	v_mad_u32_u24 v27, v28, s25, v3
	v_cmp_gt_i64_e64 s[24:25], 0, v[32:33]
	v_not_b32_e32 v25, v35
	v_cmp_gt_i64_e64 s[30:31], 0, v[36:37]
	v_xor_b32_e32 v35, s20, v42
	v_ashrrev_i32_e32 v24, 31, v24
	v_and_b32_e32 v34, exec_hi, v34
	v_xor_b32_e32 v36, s23, v22
	v_mov_b32_e32 v38, v23
	v_lshlrev_b32_e32 v39, 26, v44
	v_not_b32_e32 v32, v37
	v_ashrrev_i32_e32 v25, 31, v25
	v_and_b32_e32 v35, exec_lo, v35
	v_xor_b32_e32 v22, s22, v22
	v_xor_b32_e32 v37, s25, v24
	v_and_b32_e32 v34, v34, v36
	v_cmp_gt_i64_e64 s[34:35], 0, v[38:39]
	v_not_b32_e32 v33, v39
	v_ashrrev_i32_e32 v32, 31, v32
	v_xor_b32_e32 v24, s24, v24
	v_xor_b32_e32 v38, s27, v25
	v_and_b32_e32 v22, v35, v22
	v_and_b32_e32 v34, v34, v37
	v_mov_b32_e32 v40, v23
	v_lshlrev_b32_e32 v41, 25, v44
	v_ashrrev_i32_e32 v33, 31, v33
	v_xor_b32_e32 v25, s26, v25
	v_xor_b32_e32 v39, s31, v32
	v_and_b32_e32 v22, v22, v24
	v_and_b32_e32 v24, v34, v38
	v_cmp_gt_i64_e64 s[36:37], 0, v[40:41]
	v_xor_b32_e32 v32, s30, v32
	v_xor_b32_e32 v40, s35, v33
	v_and_b32_e32 v22, v22, v25
	v_and_b32_e32 v24, v24, v39
	;; [unrolled: 1-line block ×4, first 2 shown]
	v_xor_b32_e32 v33, s34, v33
	v_and_b32_e32 v22, v22, v33
	s_movk_i32 s58, 0x44
	v_mul_lo_u32 v45, v44, s58
	v_mul_u32_u24_e32 v1, 20, v2
	ds_write2_b32 v1, v23, v23 offset0:16 offset1:17
	ds_write2_b32 v1, v23, v23 offset0:18 offset1:19
	ds_write_b32 v1, v23 offset:80
	s_waitcnt lgkmcnt(0)
	s_barrier
	s_waitcnt vmcnt(0)
	; wave barrier
	v_mad_u64_u32 v[24:25], s[20:21], v27, v5, v[2:3]
	v_not_b32_e32 v5, v41
	v_ashrrev_i32_e32 v5, 31, v5
	v_lshrrev_b32_e32 v39, 6, v24
	v_xor_b32_e32 v24, s37, v5
	v_xor_b32_e32 v5, s36, v5
	v_lshlrev_b32_e32 v25, 24, v44
	v_and_b32_e32 v32, v32, v24
	v_and_b32_e32 v5, v22, v5
	v_mov_b32_e32 v24, v23
	v_not_b32_e32 v22, v25
	v_cmp_gt_i64_e64 s[20:21], 0, v[24:25]
	v_ashrrev_i32_e32 v22, 31, v22
	v_lshl_add_u32 v27, v39, 2, v45
	v_xor_b32_e32 v24, s21, v22
	v_xor_b32_e32 v22, s20, v22
	v_and_b32_e32 v25, v32, v24
	v_and_b32_e32 v24, v5, v22
	v_mbcnt_lo_u32_b32 v5, v24, 0
	v_mbcnt_hi_u32_b32 v5, v25, v5
	v_cmp_eq_u32_e64 s[20:21], 0, v5
	v_cmp_ne_u64_e64 s[22:23], 0, v[24:25]
	s_and_b64 s[22:23], s[22:23], s[20:21]
	s_and_saveexec_b64 s[20:21], s[22:23]
; %bb.22:
	v_bcnt_u32_b32 v22, v24, 0
	v_bcnt_u32_b32 v22, v25, v22
	ds_write_b32 v27, v22 offset:64
; %bb.23:
	s_or_b64 exec, exec, s[20:21]
	v_cmp_lt_i64_e64 s[20:21], -1, v[8:9]
	s_mov_b32 s24, -1
	v_ashrrev_i32_e32 v24, 31, v9
	v_cndmask_b32_e64 v22, -1, v31, s[20:21]
	s_brev_b32 s25, -2
	v_xor_b32_e32 v9, v22, v9
	v_xor_b32_e32 v8, v24, v8
	v_cmp_ne_u64_e64 s[20:21], s[24:25], v[8:9]
	; wave barrier
	s_nop 1
	v_cndmask_b32_e64 v25, v31, v9, s[20:21]
	v_cndmask_b32_e64 v24, 0, v8, s[20:21]
	v_lshrrev_b64 v[24:25], s52, v[24:25]
	v_and_b32_e32 v32, s57, v24
	v_mul_lo_u32 v22, v32, s58
	v_lshl_add_u32 v34, v39, 2, v22
	v_and_b32_e32 v22, 1, v32
	v_lshl_add_u64 v[24:25], v[22:23], 0, -1
	v_cmp_ne_u32_e64 s[20:21], 0, v22
	ds_read_b32 v31, v34 offset:64
	s_nop 0
	v_xor_b32_e32 v24, s20, v24
	v_xor_b32_e32 v22, s21, v25
	v_and_b32_e32 v33, exec_lo, v24
	v_lshlrev_b32_e32 v25, 30, v32
	v_mov_b32_e32 v24, v23
	v_cmp_gt_i64_e64 s[20:21], 0, v[24:25]
	v_not_b32_e32 v24, v25
	v_ashrrev_i32_e32 v24, 31, v24
	v_and_b32_e32 v22, exec_hi, v22
	v_xor_b32_e32 v25, s21, v24
	v_xor_b32_e32 v24, s20, v24
	v_and_b32_e32 v22, v22, v25
	v_and_b32_e32 v33, v33, v24
	v_lshlrev_b32_e32 v25, 29, v32
	v_mov_b32_e32 v24, v23
	v_cmp_gt_i64_e64 s[20:21], 0, v[24:25]
	v_not_b32_e32 v24, v25
	v_ashrrev_i32_e32 v24, 31, v24
	v_xor_b32_e32 v25, s21, v24
	v_xor_b32_e32 v24, s20, v24
	v_and_b32_e32 v22, v22, v25
	v_and_b32_e32 v33, v33, v24
	v_lshlrev_b32_e32 v25, 28, v32
	v_mov_b32_e32 v24, v23
	v_cmp_gt_i64_e64 s[20:21], 0, v[24:25]
	v_not_b32_e32 v24, v25
	v_ashrrev_i32_e32 v24, 31, v24
	;; [unrolled: 9-line block ×5, first 2 shown]
	v_xor_b32_e32 v25, s21, v24
	v_xor_b32_e32 v24, s20, v24
	v_and_b32_e32 v22, v22, v25
	v_lshlrev_b32_e32 v25, 24, v32
	v_and_b32_e32 v33, v33, v24
	v_mov_b32_e32 v24, v23
	v_not_b32_e32 v23, v25
	v_cmp_gt_i64_e64 s[20:21], 0, v[24:25]
	v_ashrrev_i32_e32 v23, 31, v23
	; wave barrier
	s_nop 0
	v_xor_b32_e32 v24, s21, v23
	v_xor_b32_e32 v25, s20, v23
	v_and_b32_e32 v23, v22, v24
	v_and_b32_e32 v22, v33, v25
	v_mbcnt_lo_u32_b32 v24, v22, 0
	v_mbcnt_hi_u32_b32 v32, v23, v24
	v_cmp_eq_u32_e64 s[20:21], 0, v32
	v_cmp_ne_u64_e64 s[22:23], 0, v[22:23]
	s_and_b64 s[22:23], s[22:23], s[20:21]
	s_and_saveexec_b64 s[20:21], s[22:23]
	s_cbranch_execz .LBB128_25
; %bb.24:
	v_bcnt_u32_b32 v22, v22, 0
	v_bcnt_u32_b32 v22, v23, v22
	s_waitcnt lgkmcnt(0)
	v_add_u32_e32 v22, v31, v22
	ds_write_b32 v34, v22 offset:64
.LBB128_25:
	s_or_b64 exec, exec, s[20:21]
	v_bfrev_b32_e32 v36, 1
	v_cmp_lt_i64_e64 s[20:21], -1, v[10:11]
	v_ashrrev_i32_e32 v23, 31, v11
	v_xor_b32_e32 v10, v23, v10
	v_cndmask_b32_e64 v22, -1, v36, s[20:21]
	v_xor_b32_e32 v11, v22, v11
	v_cmp_ne_u64_e64 s[20:21], s[24:25], v[10:11]
	s_movk_i32 s26, 0x44
	s_nop 0
	v_cndmask_b32_e64 v23, v36, v11, s[20:21]
	v_cndmask_b32_e64 v22, 0, v10, s[20:21]
	v_lshrrev_b64 v[22:23], s52, v[22:23]
	v_and_b32_e32 v35, s57, v22
	v_mul_lo_u32 v22, v35, s26
	v_lshl_add_u32 v37, v39, 2, v22
	v_and_b32_e32 v22, 1, v35
	v_mov_b32_e32 v23, 0
	v_lshl_add_u64 v[24:25], v[22:23], 0, -1
	v_cmp_ne_u32_e64 s[20:21], 0, v22
	; wave barrier
	ds_read_b32 v33, v37 offset:64
	s_nop 0
	v_xor_b32_e32 v24, s20, v24
	v_xor_b32_e32 v22, s21, v25
	v_and_b32_e32 v38, exec_lo, v24
	v_lshlrev_b32_e32 v25, 30, v35
	v_mov_b32_e32 v24, v23
	v_cmp_gt_i64_e64 s[20:21], 0, v[24:25]
	v_not_b32_e32 v24, v25
	v_ashrrev_i32_e32 v24, 31, v24
	v_and_b32_e32 v22, exec_hi, v22
	v_xor_b32_e32 v25, s21, v24
	v_xor_b32_e32 v24, s20, v24
	v_and_b32_e32 v22, v22, v25
	v_and_b32_e32 v38, v38, v24
	v_lshlrev_b32_e32 v25, 29, v35
	v_mov_b32_e32 v24, v23
	v_cmp_gt_i64_e64 s[20:21], 0, v[24:25]
	v_not_b32_e32 v24, v25
	v_ashrrev_i32_e32 v24, 31, v24
	v_xor_b32_e32 v25, s21, v24
	v_xor_b32_e32 v24, s20, v24
	v_and_b32_e32 v22, v22, v25
	v_and_b32_e32 v38, v38, v24
	v_lshlrev_b32_e32 v25, 28, v35
	v_mov_b32_e32 v24, v23
	v_cmp_gt_i64_e64 s[20:21], 0, v[24:25]
	v_not_b32_e32 v24, v25
	v_ashrrev_i32_e32 v24, 31, v24
	;; [unrolled: 9-line block ×6, first 2 shown]
	v_xor_b32_e32 v25, s21, v24
	v_xor_b32_e32 v24, s20, v24
	v_and_b32_e32 v24, v38, v24
	v_and_b32_e32 v25, v22, v25
	v_mbcnt_lo_u32_b32 v22, v24, 0
	v_mbcnt_hi_u32_b32 v35, v25, v22
	v_cmp_eq_u32_e64 s[20:21], 0, v35
	v_cmp_ne_u64_e64 s[22:23], 0, v[24:25]
	s_and_b64 s[22:23], s[22:23], s[20:21]
	; wave barrier
	s_and_saveexec_b64 s[20:21], s[22:23]
	s_cbranch_execz .LBB128_27
; %bb.26:
	v_bcnt_u32_b32 v22, v24, 0
	v_bcnt_u32_b32 v22, v25, v22
	s_waitcnt lgkmcnt(0)
	v_add_u32_e32 v22, v33, v22
	ds_write_b32 v37, v22 offset:64
.LBB128_27:
	s_or_b64 exec, exec, s[20:21]
	v_cmp_lt_i64_e64 s[20:21], -1, v[12:13]
	v_ashrrev_i32_e32 v24, 31, v13
	v_xor_b32_e32 v12, v24, v12
	v_cndmask_b32_e64 v22, -1, v36, s[20:21]
	v_xor_b32_e32 v13, v22, v13
	v_cmp_ne_u64_e64 s[20:21], s[24:25], v[12:13]
	; wave barrier
	s_nop 1
	v_cndmask_b32_e64 v25, v36, v13, s[20:21]
	v_cndmask_b32_e64 v24, 0, v12, s[20:21]
	v_lshrrev_b64 v[24:25], s52, v[24:25]
	v_and_b32_e32 v38, s57, v24
	v_mul_lo_u32 v22, v38, s26
	v_lshl_add_u32 v41, v39, 2, v22
	v_and_b32_e32 v22, 1, v38
	v_lshl_add_u64 v[24:25], v[22:23], 0, -1
	v_cmp_ne_u32_e64 s[20:21], 0, v22
	ds_read_b32 v36, v41 offset:64
	s_nop 0
	v_xor_b32_e32 v24, s20, v24
	v_xor_b32_e32 v22, s21, v25
	v_and_b32_e32 v40, exec_lo, v24
	v_lshlrev_b32_e32 v25, 30, v38
	v_mov_b32_e32 v24, v23
	v_cmp_gt_i64_e64 s[20:21], 0, v[24:25]
	v_not_b32_e32 v24, v25
	v_ashrrev_i32_e32 v24, 31, v24
	v_and_b32_e32 v22, exec_hi, v22
	v_xor_b32_e32 v25, s21, v24
	v_xor_b32_e32 v24, s20, v24
	v_and_b32_e32 v22, v22, v25
	v_and_b32_e32 v40, v40, v24
	v_lshlrev_b32_e32 v25, 29, v38
	v_mov_b32_e32 v24, v23
	v_cmp_gt_i64_e64 s[20:21], 0, v[24:25]
	v_not_b32_e32 v24, v25
	v_ashrrev_i32_e32 v24, 31, v24
	v_xor_b32_e32 v25, s21, v24
	v_xor_b32_e32 v24, s20, v24
	v_and_b32_e32 v22, v22, v25
	v_and_b32_e32 v40, v40, v24
	v_lshlrev_b32_e32 v25, 28, v38
	v_mov_b32_e32 v24, v23
	v_cmp_gt_i64_e64 s[20:21], 0, v[24:25]
	v_not_b32_e32 v24, v25
	v_ashrrev_i32_e32 v24, 31, v24
	;; [unrolled: 9-line block ×5, first 2 shown]
	v_xor_b32_e32 v25, s21, v24
	v_xor_b32_e32 v24, s20, v24
	v_and_b32_e32 v22, v22, v25
	v_lshlrev_b32_e32 v25, 24, v38
	v_and_b32_e32 v40, v40, v24
	v_mov_b32_e32 v24, v23
	v_not_b32_e32 v23, v25
	v_cmp_gt_i64_e64 s[20:21], 0, v[24:25]
	v_ashrrev_i32_e32 v23, 31, v23
	; wave barrier
	s_nop 0
	v_xor_b32_e32 v24, s21, v23
	v_xor_b32_e32 v25, s20, v23
	v_and_b32_e32 v23, v22, v24
	v_and_b32_e32 v22, v40, v25
	v_mbcnt_lo_u32_b32 v24, v22, 0
	v_mbcnt_hi_u32_b32 v38, v23, v24
	v_cmp_eq_u32_e64 s[20:21], 0, v38
	v_cmp_ne_u64_e64 s[22:23], 0, v[22:23]
	s_and_b64 s[22:23], s[22:23], s[20:21]
	s_and_saveexec_b64 s[20:21], s[22:23]
	s_cbranch_execz .LBB128_29
; %bb.28:
	v_bcnt_u32_b32 v22, v22, 0
	v_bcnt_u32_b32 v22, v23, v22
	s_waitcnt lgkmcnt(0)
	v_add_u32_e32 v22, v36, v22
	ds_write_b32 v41, v22 offset:64
.LBB128_29:
	s_or_b64 exec, exec, s[20:21]
	v_bfrev_b32_e32 v43, 1
	v_cmp_lt_i64_e64 s[20:21], -1, v[16:17]
	v_ashrrev_i32_e32 v23, 31, v17
	v_xor_b32_e32 v16, v23, v16
	v_cndmask_b32_e64 v22, -1, v43, s[20:21]
	v_xor_b32_e32 v17, v22, v17
	v_cmp_ne_u64_e64 s[20:21], s[24:25], v[16:17]
	; wave barrier
	s_nop 1
	v_cndmask_b32_e64 v23, v43, v17, s[20:21]
	v_cndmask_b32_e64 v22, 0, v16, s[20:21]
	v_lshrrev_b64 v[22:23], s52, v[22:23]
	v_and_b32_e32 v42, s57, v22
	v_mul_lo_u32 v22, v42, s26
	v_lshl_add_u32 v44, v39, 2, v22
	v_and_b32_e32 v22, 1, v42
	v_mov_b32_e32 v23, 0
	v_lshl_add_u64 v[24:25], v[22:23], 0, -1
	v_cmp_ne_u32_e64 s[20:21], 0, v22
	ds_read_b32 v40, v44 offset:64
	s_nop 0
	v_xor_b32_e32 v24, s20, v24
	v_xor_b32_e32 v22, s21, v25
	v_and_b32_e32 v45, exec_lo, v24
	v_lshlrev_b32_e32 v25, 30, v42
	v_mov_b32_e32 v24, v23
	v_cmp_gt_i64_e64 s[20:21], 0, v[24:25]
	v_not_b32_e32 v24, v25
	v_ashrrev_i32_e32 v24, 31, v24
	v_and_b32_e32 v22, exec_hi, v22
	v_xor_b32_e32 v25, s21, v24
	v_xor_b32_e32 v24, s20, v24
	v_and_b32_e32 v22, v22, v25
	v_and_b32_e32 v45, v45, v24
	v_lshlrev_b32_e32 v25, 29, v42
	v_mov_b32_e32 v24, v23
	v_cmp_gt_i64_e64 s[20:21], 0, v[24:25]
	v_not_b32_e32 v24, v25
	v_ashrrev_i32_e32 v24, 31, v24
	v_xor_b32_e32 v25, s21, v24
	v_xor_b32_e32 v24, s20, v24
	v_and_b32_e32 v22, v22, v25
	v_and_b32_e32 v45, v45, v24
	v_lshlrev_b32_e32 v25, 28, v42
	v_mov_b32_e32 v24, v23
	v_cmp_gt_i64_e64 s[20:21], 0, v[24:25]
	v_not_b32_e32 v24, v25
	v_ashrrev_i32_e32 v24, 31, v24
	;; [unrolled: 9-line block ×6, first 2 shown]
	v_xor_b32_e32 v25, s21, v24
	v_xor_b32_e32 v24, s20, v24
	v_and_b32_e32 v24, v45, v24
	v_and_b32_e32 v25, v22, v25
	v_mbcnt_lo_u32_b32 v22, v24, 0
	v_mbcnt_hi_u32_b32 v42, v25, v22
	v_cmp_eq_u32_e64 s[20:21], 0, v42
	v_cmp_ne_u64_e64 s[22:23], 0, v[24:25]
	s_and_b64 s[22:23], s[22:23], s[20:21]
	; wave barrier
	s_and_saveexec_b64 s[20:21], s[22:23]
	s_cbranch_execz .LBB128_31
; %bb.30:
	v_bcnt_u32_b32 v22, v24, 0
	v_bcnt_u32_b32 v22, v25, v22
	s_waitcnt lgkmcnt(0)
	v_add_u32_e32 v22, v40, v22
	ds_write_b32 v44, v22 offset:64
.LBB128_31:
	s_or_b64 exec, exec, s[20:21]
	v_cmp_lt_i64_e64 s[20:21], -1, v[18:19]
	v_ashrrev_i32_e32 v24, 31, v19
	v_xor_b32_e32 v18, v24, v18
	v_cndmask_b32_e64 v22, -1, v43, s[20:21]
	v_xor_b32_e32 v19, v22, v19
	v_cmp_ne_u64_e64 s[20:21], s[24:25], v[18:19]
	; wave barrier
	s_nop 1
	v_cndmask_b32_e64 v25, v43, v19, s[20:21]
	v_cndmask_b32_e64 v24, 0, v18, s[20:21]
	v_lshrrev_b64 v[24:25], s52, v[24:25]
	v_and_b32_e32 v45, s57, v24
	v_mul_lo_u32 v22, v45, s26
	v_lshl_add_u32 v47, v39, 2, v22
	v_and_b32_e32 v22, 1, v45
	v_lshl_add_u64 v[24:25], v[22:23], 0, -1
	v_cmp_ne_u32_e64 s[20:21], 0, v22
	ds_read_b32 v43, v47 offset:64
	s_nop 0
	v_xor_b32_e32 v24, s20, v24
	v_xor_b32_e32 v22, s21, v25
	v_and_b32_e32 v46, exec_lo, v24
	v_lshlrev_b32_e32 v25, 30, v45
	v_mov_b32_e32 v24, v23
	v_cmp_gt_i64_e64 s[20:21], 0, v[24:25]
	v_not_b32_e32 v24, v25
	v_ashrrev_i32_e32 v24, 31, v24
	v_and_b32_e32 v22, exec_hi, v22
	v_xor_b32_e32 v25, s21, v24
	v_xor_b32_e32 v24, s20, v24
	v_and_b32_e32 v22, v22, v25
	v_and_b32_e32 v46, v46, v24
	v_lshlrev_b32_e32 v25, 29, v45
	v_mov_b32_e32 v24, v23
	v_cmp_gt_i64_e64 s[20:21], 0, v[24:25]
	v_not_b32_e32 v24, v25
	v_ashrrev_i32_e32 v24, 31, v24
	v_xor_b32_e32 v25, s21, v24
	v_xor_b32_e32 v24, s20, v24
	v_and_b32_e32 v22, v22, v25
	v_and_b32_e32 v46, v46, v24
	v_lshlrev_b32_e32 v25, 28, v45
	v_mov_b32_e32 v24, v23
	v_cmp_gt_i64_e64 s[20:21], 0, v[24:25]
	v_not_b32_e32 v24, v25
	v_ashrrev_i32_e32 v24, 31, v24
	;; [unrolled: 9-line block ×5, first 2 shown]
	v_xor_b32_e32 v25, s21, v24
	v_xor_b32_e32 v24, s20, v24
	v_and_b32_e32 v22, v22, v25
	v_lshlrev_b32_e32 v25, 24, v45
	v_and_b32_e32 v46, v46, v24
	v_mov_b32_e32 v24, v23
	v_not_b32_e32 v23, v25
	v_cmp_gt_i64_e64 s[20:21], 0, v[24:25]
	v_ashrrev_i32_e32 v23, 31, v23
	; wave barrier
	s_nop 0
	v_xor_b32_e32 v24, s21, v23
	v_xor_b32_e32 v25, s20, v23
	v_and_b32_e32 v23, v22, v24
	v_and_b32_e32 v22, v46, v25
	v_mbcnt_lo_u32_b32 v24, v22, 0
	v_mbcnt_hi_u32_b32 v45, v23, v24
	v_cmp_eq_u32_e64 s[20:21], 0, v45
	v_cmp_ne_u64_e64 s[22:23], 0, v[22:23]
	s_and_b64 s[22:23], s[22:23], s[20:21]
	s_and_saveexec_b64 s[20:21], s[22:23]
	s_cbranch_execz .LBB128_33
; %bb.32:
	v_bcnt_u32_b32 v22, v22, 0
	v_bcnt_u32_b32 v22, v23, v22
	s_waitcnt lgkmcnt(0)
	v_add_u32_e32 v22, v43, v22
	ds_write_b32 v47, v22 offset:64
.LBB128_33:
	s_or_b64 exec, exec, s[20:21]
	v_bfrev_b32_e32 v49, 1
	v_cmp_lt_i64_e64 s[20:21], -1, v[20:21]
	v_ashrrev_i32_e32 v23, 31, v21
	v_xor_b32_e32 v20, v23, v20
	v_cndmask_b32_e64 v22, -1, v49, s[20:21]
	v_xor_b32_e32 v21, v22, v21
	v_cmp_ne_u64_e64 s[20:21], s[24:25], v[20:21]
	s_movk_i32 s24, 0x44
	s_nop 0
	v_cndmask_b32_e64 v23, v49, v21, s[20:21]
	v_cndmask_b32_e64 v22, 0, v20, s[20:21]
	v_lshrrev_b64 v[22:23], s52, v[22:23]
	v_and_b32_e32 v48, s57, v22
	v_mul_lo_u32 v22, v48, s24
	v_lshl_add_u32 v50, v39, 2, v22
	v_and_b32_e32 v22, 1, v48
	v_mov_b32_e32 v23, 0
	v_lshl_add_u64 v[24:25], v[22:23], 0, -1
	v_cmp_ne_u32_e64 s[20:21], 0, v22
	; wave barrier
	ds_read_b32 v46, v50 offset:64
	s_nop 0
	v_xor_b32_e32 v24, s20, v24
	v_xor_b32_e32 v22, s21, v25
	v_and_b32_e32 v51, exec_lo, v24
	v_lshlrev_b32_e32 v25, 30, v48
	v_mov_b32_e32 v24, v23
	v_cmp_gt_i64_e64 s[20:21], 0, v[24:25]
	v_not_b32_e32 v24, v25
	v_ashrrev_i32_e32 v24, 31, v24
	v_and_b32_e32 v22, exec_hi, v22
	v_xor_b32_e32 v25, s21, v24
	v_xor_b32_e32 v24, s20, v24
	v_and_b32_e32 v22, v22, v25
	v_and_b32_e32 v51, v51, v24
	v_lshlrev_b32_e32 v25, 29, v48
	v_mov_b32_e32 v24, v23
	v_cmp_gt_i64_e64 s[20:21], 0, v[24:25]
	v_not_b32_e32 v24, v25
	v_ashrrev_i32_e32 v24, 31, v24
	v_xor_b32_e32 v25, s21, v24
	v_xor_b32_e32 v24, s20, v24
	v_and_b32_e32 v22, v22, v25
	v_and_b32_e32 v51, v51, v24
	v_lshlrev_b32_e32 v25, 28, v48
	v_mov_b32_e32 v24, v23
	v_cmp_gt_i64_e64 s[20:21], 0, v[24:25]
	v_not_b32_e32 v24, v25
	v_ashrrev_i32_e32 v24, 31, v24
	;; [unrolled: 9-line block ×6, first 2 shown]
	v_xor_b32_e32 v25, s21, v24
	v_xor_b32_e32 v24, s20, v24
	v_and_b32_e32 v24, v51, v24
	v_and_b32_e32 v25, v22, v25
	v_mbcnt_lo_u32_b32 v22, v24, 0
	v_mbcnt_hi_u32_b32 v48, v25, v22
	v_cmp_eq_u32_e64 s[20:21], 0, v48
	v_cmp_ne_u64_e64 s[22:23], 0, v[24:25]
	s_and_b64 s[22:23], s[22:23], s[20:21]
	; wave barrier
	s_and_saveexec_b64 s[20:21], s[22:23]
	s_cbranch_execz .LBB128_35
; %bb.34:
	v_bcnt_u32_b32 v22, v24, 0
	v_bcnt_u32_b32 v22, v25, v22
	s_waitcnt lgkmcnt(0)
	v_add_u32_e32 v22, v46, v22
	ds_write_b32 v50, v22 offset:64
.LBB128_35:
	s_or_b64 exec, exec, s[20:21]
	v_cmp_lt_i64_e64 s[20:21], -1, v[14:15]
	s_mov_b32 s22, -1
	v_ashrrev_i32_e32 v24, 31, v15
	v_cndmask_b32_e64 v22, -1, v49, s[20:21]
	s_brev_b32 s23, -2
	v_xor_b32_e32 v15, v22, v15
	v_xor_b32_e32 v14, v24, v14
	v_cmp_ne_u64_e64 s[20:21], s[22:23], v[14:15]
	; wave barrier
	s_nop 1
	v_cndmask_b32_e64 v25, v49, v15, s[20:21]
	v_cndmask_b32_e64 v24, 0, v14, s[20:21]
	v_lshrrev_b64 v[24:25], s52, v[24:25]
	v_and_b32_e32 v51, s57, v24
	v_mul_lo_u32 v22, v51, s24
	v_lshl_add_u32 v39, v39, 2, v22
	v_and_b32_e32 v22, 1, v51
	v_lshl_add_u64 v[24:25], v[22:23], 0, -1
	v_cmp_ne_u32_e64 s[20:21], 0, v22
	ds_read_b32 v49, v39 offset:64
	s_nop 0
	v_xor_b32_e32 v24, s20, v24
	v_xor_b32_e32 v22, s21, v25
	v_and_b32_e32 v52, exec_lo, v24
	v_lshlrev_b32_e32 v25, 30, v51
	v_mov_b32_e32 v24, v23
	v_cmp_gt_i64_e64 s[20:21], 0, v[24:25]
	v_not_b32_e32 v24, v25
	v_ashrrev_i32_e32 v24, 31, v24
	v_and_b32_e32 v22, exec_hi, v22
	v_xor_b32_e32 v25, s21, v24
	v_xor_b32_e32 v24, s20, v24
	v_and_b32_e32 v22, v22, v25
	v_and_b32_e32 v52, v52, v24
	v_lshlrev_b32_e32 v25, 29, v51
	v_mov_b32_e32 v24, v23
	v_cmp_gt_i64_e64 s[20:21], 0, v[24:25]
	v_not_b32_e32 v24, v25
	v_ashrrev_i32_e32 v24, 31, v24
	v_xor_b32_e32 v25, s21, v24
	v_xor_b32_e32 v24, s20, v24
	v_and_b32_e32 v22, v22, v25
	v_and_b32_e32 v52, v52, v24
	v_lshlrev_b32_e32 v25, 28, v51
	v_mov_b32_e32 v24, v23
	v_cmp_gt_i64_e64 s[20:21], 0, v[24:25]
	v_not_b32_e32 v24, v25
	v_ashrrev_i32_e32 v24, 31, v24
	;; [unrolled: 9-line block ×5, first 2 shown]
	v_xor_b32_e32 v25, s21, v24
	v_xor_b32_e32 v24, s20, v24
	v_and_b32_e32 v22, v22, v25
	v_lshlrev_b32_e32 v25, 24, v51
	v_and_b32_e32 v52, v52, v24
	v_mov_b32_e32 v24, v23
	v_not_b32_e32 v23, v25
	v_cmp_gt_i64_e64 s[20:21], 0, v[24:25]
	v_ashrrev_i32_e32 v23, 31, v23
	; wave barrier
	s_nop 0
	v_xor_b32_e32 v24, s21, v23
	v_xor_b32_e32 v25, s20, v23
	v_and_b32_e32 v23, v22, v24
	v_and_b32_e32 v22, v52, v25
	v_mbcnt_lo_u32_b32 v24, v22, 0
	v_mbcnt_hi_u32_b32 v51, v23, v24
	v_cmp_eq_u32_e64 s[20:21], 0, v51
	v_cmp_ne_u64_e64 s[22:23], 0, v[22:23]
	s_and_b64 s[22:23], s[22:23], s[20:21]
	s_and_saveexec_b64 s[20:21], s[22:23]
	s_cbranch_execz .LBB128_37
; %bb.36:
	v_bcnt_u32_b32 v22, v22, 0
	v_bcnt_u32_b32 v22, v23, v22
	s_waitcnt lgkmcnt(0)
	v_add_u32_e32 v22, v49, v22
	ds_write_b32 v39, v22 offset:64
.LBB128_37:
	s_or_b64 exec, exec, s[20:21]
	; wave barrier
	s_waitcnt lgkmcnt(0)
	s_barrier
	ds_read2_b32 v[24:25], v1 offset0:16 offset1:17
	ds_read2_b32 v[22:23], v1 offset0:18 offset1:19
	ds_read_b32 v52, v1 offset:80
	v_cmp_lt_u32_e64 s[30:31], 31, v26
	s_waitcnt lgkmcnt(1)
	v_add3_u32 v53, v25, v24, v22
	s_waitcnt lgkmcnt(0)
	v_add3_u32 v52, v53, v23, v52
	v_and_b32_e32 v53, 15, v26
	v_cmp_eq_u32_e64 s[20:21], 0, v53
	v_mov_b32_dpp v54, v52 row_shr:1 row_mask:0xf bank_mask:0xf
	v_cmp_lt_u32_e64 s[22:23], 1, v53
	v_cndmask_b32_e64 v54, v54, 0, s[20:21]
	v_add_u32_e32 v52, v54, v52
	v_cmp_lt_u32_e64 s[24:25], 3, v53
	v_cmp_lt_u32_e64 s[26:27], 7, v53
	v_mov_b32_dpp v54, v52 row_shr:2 row_mask:0xf bank_mask:0xf
	v_cndmask_b32_e64 v54, 0, v54, s[22:23]
	v_add_u32_e32 v52, v52, v54
	s_nop 1
	v_mov_b32_dpp v54, v52 row_shr:4 row_mask:0xf bank_mask:0xf
	v_cndmask_b32_e64 v54, 0, v54, s[24:25]
	v_add_u32_e32 v52, v52, v54
	s_nop 1
	v_mov_b32_dpp v54, v52 row_shr:8 row_mask:0xf bank_mask:0xf
	v_cndmask_b32_e64 v53, 0, v54, s[26:27]
	v_add_u32_e32 v52, v52, v53
	v_bfe_i32 v54, v26, 4, 1
	s_nop 0
	v_mov_b32_dpp v53, v52 row_bcast:15 row_mask:0xf bank_mask:0xf
	v_and_b32_e32 v53, v54, v53
	v_add_u32_e32 v52, v52, v53
	v_and_b32_e32 v54, 63, v2
	s_nop 0
	v_mov_b32_dpp v53, v52 row_bcast:31 row_mask:0xf bank_mask:0xf
	v_cndmask_b32_e64 v53, 0, v53, s[30:31]
	v_add_u32_e32 v52, v52, v53
	v_lshrrev_b32_e32 v53, 6, v2
	v_cmp_eq_u32_e64 s[30:31], 63, v54
	s_and_saveexec_b64 s[34:35], s[30:31]
; %bb.38:
	v_lshlrev_b32_e32 v54, 2, v53
	ds_write_b32 v54, v52
; %bb.39:
	s_or_b64 exec, exec, s[34:35]
	v_cmp_gt_u32_e64 s[30:31], 16, v2
	s_waitcnt lgkmcnt(0)
	s_barrier
	s_and_saveexec_b64 s[34:35], s[30:31]
	s_cbranch_execz .LBB128_41
; %bb.40:
	v_lshlrev_b32_e32 v54, 2, v2
	ds_read_b32 v55, v54
	s_waitcnt lgkmcnt(0)
	s_nop 0
	v_mov_b32_dpp v56, v55 row_shr:1 row_mask:0xf bank_mask:0xf
	v_cndmask_b32_e64 v56, v56, 0, s[20:21]
	v_add_u32_e32 v55, v56, v55
	s_nop 1
	v_mov_b32_dpp v56, v55 row_shr:2 row_mask:0xf bank_mask:0xf
	v_cndmask_b32_e64 v56, 0, v56, s[22:23]
	v_add_u32_e32 v55, v55, v56
	;; [unrolled: 4-line block ×4, first 2 shown]
	ds_write_b32 v54, v55
.LBB128_41:
	s_or_b64 exec, exec, s[34:35]
	v_cmp_lt_u32_e64 s[20:21], 63, v2
	v_mov_b32_e32 v54, 0
	s_waitcnt lgkmcnt(0)
	s_barrier
	s_and_saveexec_b64 s[22:23], s[20:21]
; %bb.42:
	v_lshl_add_u32 v53, v53, 2, -4
	ds_read_b32 v54, v53
; %bb.43:
	s_or_b64 exec, exec, s[22:23]
	v_subrev_co_u32_e64 v53, s[20:21], 1, v26
	v_and_b32_e32 v55, 64, v26
	v_cmp_lt_i32_e64 s[22:23], v53, v55
	s_waitcnt lgkmcnt(0)
	v_add_u32_e32 v52, v54, v52
	s_movk_i32 s24, 0x100
	v_cndmask_b32_e64 v26, v53, v26, s[22:23]
	v_lshlrev_b32_e32 v26, 2, v26
	ds_bpermute_b32 v26, v26, v52
	v_cmp_gt_u32_e64 s[22:23], s24, v2
	s_waitcnt lgkmcnt(0)
	v_cndmask_b32_e64 v26, v26, v54, s[20:21]
	v_cndmask_b32_e64 v26, v26, 0, s[18:19]
	v_add_u32_e32 v24, v26, v24
	v_add_u32_e32 v25, v24, v25
	;; [unrolled: 1-line block ×4, first 2 shown]
	ds_write2_b32 v1, v26, v24 offset0:16 offset1:17
	ds_write2_b32 v1, v25, v22 offset0:18 offset1:19
	ds_write_b32 v1, v23 offset:80
	s_waitcnt lgkmcnt(0)
	s_barrier
	ds_read_b32 v55, v27 offset:64
	ds_read_b32 v1, v34 offset:64
	;; [unrolled: 1-line block ×8, first 2 shown]
	s_movk_i32 s20, 0xff
	v_cmp_lt_u32_e64 s[20:21], s20, v2
                                        ; implicit-def: $vgpr34
                                        ; implicit-def: $vgpr37
	s_and_saveexec_b64 s[26:27], s[22:23]
	s_cbranch_execz .LBB128_47
; %bb.44:
	v_mul_u32_u24_e32 v22, 0x44, v2
	ds_read_b32 v34, v22 offset:64
	v_add_u32_e32 v23, 1, v2
	v_cmp_ne_u32_e64 s[24:25], s24, v23
	v_mov_b32_e32 v22, 0x2000
	s_and_saveexec_b64 s[30:31], s[24:25]
; %bb.45:
	v_mul_u32_u24_e32 v22, 0x44, v23
	ds_read_b32 v22, v22 offset:64
; %bb.46:
	s_or_b64 exec, exec, s[30:31]
	s_waitcnt lgkmcnt(0)
	v_sub_u32_e32 v37, v22, v34
.LBB128_47:
	s_or_b64 exec, exec, s[26:27]
	v_mov_b32_e32 v23, 0
	v_lshlrev_b32_e32 v39, 2, v2
	s_waitcnt lgkmcnt(0)
	s_barrier
	s_and_saveexec_b64 s[24:25], s[22:23]
	s_cbranch_execz .LBB128_57
; %bb.48:
	v_lshl_add_u32 v22, s33, 8, v2
	v_lshl_add_u64 v[24:25], v[22:23], 2, s[38:39]
	v_or_b32_e32 v22, 2.0, v37
	s_mov_b64 s[26:27], 0
	s_brev_b32 s36, -4
	s_mov_b32 s37, s33
	v_mov_b32_e32 v50, 0
	global_store_dword v[24:25], v22, off sc1
                                        ; implicit-def: $sgpr22_sgpr23
	s_branch .LBB128_51
.LBB128_49:                             ;   in Loop: Header=BB128_51 Depth=1
	s_or_b64 exec, exec, s[34:35]
.LBB128_50:                             ;   in Loop: Header=BB128_51 Depth=1
	s_or_b64 exec, exec, s[30:31]
	v_and_b32_e32 v26, 0x3fffffff, v22
	v_add_u32_e32 v50, v26, v50
	v_cmp_gt_i32_e64 s[22:23], -2.0, v22
	s_and_b64 s[30:31], exec, s[22:23]
	s_or_b64 s[26:27], s[30:31], s[26:27]
	s_andn2_b64 exec, exec, s[26:27]
	s_cbranch_execz .LBB128_56
.LBB128_51:                             ; =>This Loop Header: Depth=1
                                        ;     Child Loop BB128_54 Depth 2
	s_or_b64 s[22:23], s[22:23], exec
	s_cmp_eq_u32 s37, 0
	s_cbranch_scc1 .LBB128_55
; %bb.52:                               ;   in Loop: Header=BB128_51 Depth=1
	s_add_i32 s37, s37, -1
	v_lshl_or_b32 v22, s37, 8, v2
	v_lshl_add_u64 v[26:27], v[22:23], 2, s[38:39]
	global_load_dword v22, v[26:27], off sc1
	s_waitcnt vmcnt(0)
	v_cmp_gt_u32_e64 s[22:23], 2.0, v22
	s_and_saveexec_b64 s[30:31], s[22:23]
	s_cbranch_execz .LBB128_50
; %bb.53:                               ;   in Loop: Header=BB128_51 Depth=1
	s_mov_b64 s[34:35], 0
.LBB128_54:                             ;   Parent Loop BB128_51 Depth=1
                                        ; =>  This Inner Loop Header: Depth=2
	global_load_dword v22, v[26:27], off sc1
	s_waitcnt vmcnt(0)
	v_cmp_lt_u32_e64 s[22:23], s36, v22
	s_or_b64 s[34:35], s[22:23], s[34:35]
	s_andn2_b64 exec, exec, s[34:35]
	s_cbranch_execnz .LBB128_54
	s_branch .LBB128_49
.LBB128_55:                             ;   in Loop: Header=BB128_51 Depth=1
                                        ; implicit-def: $sgpr37
	s_and_b64 s[30:31], exec, s[22:23]
	s_or_b64 s[26:27], s[30:31], s[26:27]
	s_andn2_b64 exec, exec, s[26:27]
	s_cbranch_execnz .LBB128_51
.LBB128_56:
	s_or_b64 exec, exec, s[26:27]
	v_add_u32_e32 v22, v50, v37
	v_or_b32_e32 v22, 0x80000000, v22
	global_store_dword v[24:25], v22, off sc1
	global_load_dword v22, v39, s[48:49]
	v_sub_u32_e32 v23, v50, v34
	s_waitcnt vmcnt(0)
	v_add_u32_e32 v22, v23, v22
	ds_write_b32 v39, v22
.LBB128_57:
	s_or_b64 exec, exec, s[24:25]
	s_load_dwordx2 s[22:23], s[0:1], 0x4
	v_add_u32_e32 v24, v55, v5
	v_add3_u32 v5, v32, v31, v1
	v_add3_u32 v22, v35, v33, v52
	v_add3_u32 v23, v38, v36, v53
	s_waitcnt lgkmcnt(0)
	s_lshr_b32 s0, s22, 16
	s_mul_i32 s0, s0, s23
	v_mul_lo_u32 v25, s0, v2
	v_mul_u32_u24_e32 v27, s23, v3
	v_add3_u32 v25, v25, v27, v28
	v_mov_b32_e32 v27, 0x5050
	v_add3_u32 v50, v42, v40, v54
	v_add3_u32 v55, v45, v43, v47
	;; [unrolled: 1-line block ×4, first 2 shown]
	v_lshl_add_u32 v25, v25, 5, v27
	v_mov_b32_e32 v57, 0x400
	s_mov_b32 s24, -1
	s_movk_i32 s30, 0x400
	v_lshl_add_u32 v26, v26, 3, v57
	v_add3_u32 v27, v51, v41, v49
	v_lshl_add_u32 v41, v56, 3, v57
	v_add3_u32 v44, v48, v44, v46
	;; [unrolled: 2-line block ×7, first 2 shown]
	v_lshl_add_u32 v32, v24, 3, v57
	s_mov_b32 s31, 0
	s_movk_i32 s34, 0x800
	v_add_u32_e32 v47, v39, v39
	s_brev_b32 s25, -2
	v_mov_b32_e32 v23, 0
	v_bfrev_b32_e32 v1, 1
	v_mov_b32_e32 v5, v2
	v_mov_b32_e32 v48, v25
	s_mov_b32 s35, 0
	s_branch .LBB128_59
.LBB128_58:                             ;   in Loop: Header=BB128_59 Depth=1
	s_or_b64 exec, exec, s[26:27]
	s_addk_i32 s35, 0xc000
	s_addk_i32 s31, 0xf800
	v_add_u32_e32 v48, 8, v48
	s_cmp_eq_u32 s35, 0xffff0000
	v_add_u32_e32 v5, 0x800, v5
	s_waitcnt lgkmcnt(0)
	s_barrier
	s_cbranch_scc1 .LBB128_79
.LBB128_59:                             ; =>This Inner Loop Header: Depth=1
	v_add_u32_e32 v22, s31, v24
	v_cmp_gt_u32_e64 s[0:1], s34, v22
	s_and_saveexec_b64 s[22:23], s[0:1]
; %bb.60:                               ;   in Loop: Header=BB128_59 Depth=1
	v_add_u32_e32 v22, s35, v32
	ds_write_b64 v22, v[6:7]
; %bb.61:                               ;   in Loop: Header=BB128_59 Depth=1
	s_or_b64 exec, exec, s[22:23]
	v_add_u32_e32 v22, s31, v31
	v_cmp_gt_u32_e64 s[0:1], s34, v22
	s_and_saveexec_b64 s[22:23], s[0:1]
; %bb.62:                               ;   in Loop: Header=BB128_59 Depth=1
	v_add_u32_e32 v22, s35, v35
	ds_write_b64 v22, v[8:9]
; %bb.63:                               ;   in Loop: Header=BB128_59 Depth=1
	s_or_b64 exec, exec, s[22:23]
	;; [unrolled: 8-line block ×8, first 2 shown]
	v_cmp_gt_u32_e64 s[0:1], s5, v5
	s_waitcnt lgkmcnt(0)
	s_barrier
	s_and_saveexec_b64 s[26:27], s[0:1]
	s_cbranch_execz .LBB128_77
; %bb.76:                               ;   in Loop: Header=BB128_59 Depth=1
	ds_read_b64 v[50:51], v47 offset:1024
	s_waitcnt lgkmcnt(0)
	v_cmp_ne_u64_e64 s[0:1], s[24:25], v[50:51]
	s_nop 1
	v_cndmask_b32_e64 v53, v1, v51, s[0:1]
	v_cndmask_b32_e64 v52, 0, v50, s[0:1]
	v_lshrrev_b64 v[52:53], s52, v[52:53]
	v_and_b32_e32 v49, s57, v52
	v_lshlrev_b32_e32 v52, 2, v49
	ds_read_b32 v52, v52
	v_cmp_lt_i64_e64 s[22:23], -1, v[50:51]
	v_ashrrev_i32_e32 v53, 31, v51
	v_not_b32_e32 v53, v53
	v_cndmask_b32_e64 v22, v1, -1, s[22:23]
	v_xor_b32_e32 v51, v22, v51
	s_waitcnt lgkmcnt(0)
	v_add_u32_e32 v22, v5, v52
	v_xor_b32_e32 v50, v53, v50
	v_lshl_add_u64 v[52:53], v[22:23], 3, s[42:43]
	global_store_dwordx2 v[52:53], v[50:51], off
	ds_write_b32 v48, v49
.LBB128_77:                             ;   in Loop: Header=BB128_59 Depth=1
	s_or_b64 exec, exec, s[26:27]
	v_add_u32_e32 v22, 0x400, v5
	v_cmp_gt_u32_e64 s[0:1], s5, v22
	s_and_saveexec_b64 s[26:27], s[0:1]
	s_cbranch_execz .LBB128_58
; %bb.78:                               ;   in Loop: Header=BB128_59 Depth=1
	ds_read_b64 v[50:51], v47 offset:9216
	s_waitcnt lgkmcnt(0)
	v_cmp_ne_u64_e64 s[0:1], s[24:25], v[50:51]
	s_nop 1
	v_cndmask_b32_e64 v53, v1, v51, s[0:1]
	v_cndmask_b32_e64 v52, 0, v50, s[0:1]
	v_lshrrev_b64 v[52:53], s52, v[52:53]
	v_and_b32_e32 v49, s57, v52
	v_lshlrev_b32_e32 v52, 2, v49
	ds_read_b32 v52, v52
	v_cmp_lt_i64_e64 s[22:23], -1, v[50:51]
	v_ashrrev_i32_e32 v53, 31, v51
	v_not_b32_e32 v53, v53
	v_cndmask_b32_e64 v22, v1, -1, s[22:23]
	v_xor_b32_e32 v51, v22, v51
	s_waitcnt lgkmcnt(0)
	v_add3_u32 v22, v5, v52, s30
	v_xor_b32_e32 v50, v53, v50
	v_lshl_add_u64 v[52:53], v[22:23], 3, s[42:43]
	global_store_dwordx2 v[52:53], v[50:51], off
	ds_write_b32 v48, v49 offset:4
	s_branch .LBB128_58
.LBB128_79:
	s_add_u32 s0, s44, s54
	s_addc_u32 s1, s45, s55
	v_mov_b32_e32 v1, 0
	v_lshl_add_u64 v[6:7], s[0:1], 0, v[0:1]
	v_mov_b32_e32 v5, v1
	v_lshl_add_u64 v[18:19], v[6:7], 0, v[4:5]
                                        ; implicit-def: $vgpr0_vgpr1
	s_and_saveexec_b64 s[0:1], vcc
	s_cbranch_execz .LBB128_87
; %bb.80:
	global_load_dwordx2 v[0:1], v[18:19], off
	s_or_b64 exec, exec, s[0:1]
                                        ; implicit-def: $vgpr4_vgpr5
	s_and_saveexec_b64 s[0:1], s[28:29]
	s_cbranch_execnz .LBB128_88
.LBB128_81:
	s_or_b64 exec, exec, s[0:1]
                                        ; implicit-def: $vgpr6_vgpr7
	s_and_saveexec_b64 s[0:1], s[6:7]
	s_cbranch_execz .LBB128_89
.LBB128_82:
	global_load_dwordx2 v[6:7], v[18:19], off offset:1024
	s_or_b64 exec, exec, s[0:1]
                                        ; implicit-def: $vgpr8_vgpr9
	s_and_saveexec_b64 s[0:1], s[8:9]
	s_cbranch_execnz .LBB128_90
.LBB128_83:
	s_or_b64 exec, exec, s[0:1]
                                        ; implicit-def: $vgpr10_vgpr11
	s_and_saveexec_b64 s[0:1], s[10:11]
	s_cbranch_execz .LBB128_91
.LBB128_84:
	global_load_dwordx2 v[10:11], v[18:19], off offset:2048
	s_or_b64 exec, exec, s[0:1]
                                        ; implicit-def: $vgpr12_vgpr13
	s_and_saveexec_b64 s[0:1], s[12:13]
	s_cbranch_execnz .LBB128_92
.LBB128_85:
	s_or_b64 exec, exec, s[0:1]
                                        ; implicit-def: $vgpr14_vgpr15
	s_and_saveexec_b64 s[0:1], s[14:15]
	s_cbranch_execz .LBB128_93
.LBB128_86:
	global_load_dwordx2 v[14:15], v[18:19], off offset:3072
	s_or_b64 exec, exec, s[0:1]
                                        ; implicit-def: $vgpr16_vgpr17
	s_and_saveexec_b64 s[0:1], s[16:17]
	s_cbranch_execnz .LBB128_94
	s_branch .LBB128_95
.LBB128_87:
	s_or_b64 exec, exec, s[0:1]
                                        ; implicit-def: $vgpr4_vgpr5
	s_and_saveexec_b64 s[0:1], s[28:29]
	s_cbranch_execz .LBB128_81
.LBB128_88:
	global_load_dwordx2 v[4:5], v[18:19], off offset:512
	s_or_b64 exec, exec, s[0:1]
                                        ; implicit-def: $vgpr6_vgpr7
	s_and_saveexec_b64 s[0:1], s[6:7]
	s_cbranch_execnz .LBB128_82
.LBB128_89:
	s_or_b64 exec, exec, s[0:1]
                                        ; implicit-def: $vgpr8_vgpr9
	s_and_saveexec_b64 s[0:1], s[8:9]
	s_cbranch_execz .LBB128_83
.LBB128_90:
	global_load_dwordx2 v[8:9], v[18:19], off offset:1536
	s_or_b64 exec, exec, s[0:1]
                                        ; implicit-def: $vgpr10_vgpr11
	s_and_saveexec_b64 s[0:1], s[10:11]
	s_cbranch_execnz .LBB128_84
.LBB128_91:
	s_or_b64 exec, exec, s[0:1]
                                        ; implicit-def: $vgpr12_vgpr13
	s_and_saveexec_b64 s[0:1], s[12:13]
	s_cbranch_execz .LBB128_85
.LBB128_92:
	global_load_dwordx2 v[12:13], v[18:19], off offset:2560
	s_or_b64 exec, exec, s[0:1]
                                        ; implicit-def: $vgpr14_vgpr15
	s_and_saveexec_b64 s[0:1], s[14:15]
	s_cbranch_execnz .LBB128_86
.LBB128_93:
	s_or_b64 exec, exec, s[0:1]
                                        ; implicit-def: $vgpr16_vgpr17
	s_and_saveexec_b64 s[0:1], s[16:17]
	s_cbranch_execz .LBB128_95
.LBB128_94:
	global_load_dwordx2 v[16:17], v[18:19], off offset:3584
.LBB128_95:
	s_or_b64 exec, exec, s[0:1]
	s_mov_b32 s6, 0
	s_movk_i32 s7, 0x800
	v_mov_b32_e32 v19, 0
	s_movk_i32 s8, 0x400
	s_mov_b32 s9, 0
	v_mov_b32_e32 v20, v2
	s_waitcnt vmcnt(0)
	s_branch .LBB128_97
.LBB128_96:                             ;   in Loop: Header=BB128_97 Depth=1
	s_or_b64 exec, exec, s[0:1]
	s_addk_i32 s9, 0xc000
	s_addk_i32 s6, 0xf800
	v_add_u32_e32 v20, 0x800, v20
	s_cmp_eq_u32 s9, 0xffff0000
	v_add_u32_e32 v25, 8, v25
	s_barrier
	s_cbranch_scc1 .LBB128_117
.LBB128_97:                             ; =>This Inner Loop Header: Depth=1
	v_add_u32_e32 v18, s6, v24
	v_cmp_gt_u32_e32 vcc, s7, v18
	s_and_saveexec_b64 s[0:1], vcc
; %bb.98:                               ;   in Loop: Header=BB128_97 Depth=1
	v_add_u32_e32 v18, s9, v32
	ds_write_b64 v18, v[0:1]
; %bb.99:                               ;   in Loop: Header=BB128_97 Depth=1
	s_or_b64 exec, exec, s[0:1]
	v_add_u32_e32 v18, s6, v31
	v_cmp_gt_u32_e32 vcc, s7, v18
	s_and_saveexec_b64 s[0:1], vcc
; %bb.100:                              ;   in Loop: Header=BB128_97 Depth=1
	v_add_u32_e32 v18, s9, v35
	ds_write_b64 v18, v[4:5]
; %bb.101:                              ;   in Loop: Header=BB128_97 Depth=1
	s_or_b64 exec, exec, s[0:1]
	v_add_u32_e32 v18, s6, v33
	v_cmp_gt_u32_e32 vcc, s7, v18
	s_and_saveexec_b64 s[0:1], vcc
; %bb.102:                              ;   in Loop: Header=BB128_97 Depth=1
	v_add_u32_e32 v18, s9, v38
	ds_write_b64 v18, v[6:7]
; %bb.103:                              ;   in Loop: Header=BB128_97 Depth=1
	;; [unrolled: 8-line block ×7, first 2 shown]
	s_or_b64 exec, exec, s[0:1]
	v_cmp_gt_u32_e32 vcc, s5, v20
	s_waitcnt lgkmcnt(0)
	s_barrier
	s_and_saveexec_b64 s[0:1], vcc
	s_cbranch_execz .LBB128_115
; %bb.114:                              ;   in Loop: Header=BB128_97 Depth=1
	ds_read_b32 v18, v25
	s_waitcnt lgkmcnt(0)
	v_lshlrev_b32_e32 v18, 2, v18
	ds_read_b32 v18, v18
	ds_read_b64 v[22:23], v47 offset:1024
	s_waitcnt lgkmcnt(1)
	v_add_u32_e32 v18, v20, v18
	v_lshl_add_u64 v[48:49], v[18:19], 3, s[46:47]
	s_waitcnt lgkmcnt(0)
	global_store_dwordx2 v[48:49], v[22:23], off
.LBB128_115:                            ;   in Loop: Header=BB128_97 Depth=1
	s_or_b64 exec, exec, s[0:1]
	v_add_u32_e32 v18, 0x400, v20
	v_cmp_gt_u32_e32 vcc, s5, v18
	s_and_saveexec_b64 s[0:1], vcc
	s_cbranch_execz .LBB128_96
; %bb.116:                              ;   in Loop: Header=BB128_97 Depth=1
	ds_read_b32 v18, v25 offset:4
	s_waitcnt lgkmcnt(0)
	v_lshlrev_b32_e32 v18, 2, v18
	ds_read_b32 v18, v18
	ds_read_b64 v[22:23], v47 offset:9216
	s_waitcnt lgkmcnt(1)
	v_add3_u32 v18, v20, v18, s8
	v_lshl_add_u64 v[48:49], v[18:19], 3, s[46:47]
	s_waitcnt lgkmcnt(0)
	global_store_dwordx2 v[48:49], v[22:23], off
	s_branch .LBB128_96
.LBB128_117:
	s_add_i32 s56, s56, -1
	s_cmp_eq_u32 s33, s56
	s_cselect_b64 s[0:1], -1, 0
	s_xor_b64 s[6:7], s[20:21], -1
	s_and_b64 s[6:7], s[6:7], s[0:1]
	s_and_saveexec_b64 s[0:1], s[6:7]
	s_cbranch_execz .LBB128_119
; %bb.118:
	ds_read_b32 v0, v39
	s_waitcnt lgkmcnt(0)
	v_add3_u32 v0, v34, v37, v0
	global_store_dword v39, v0, s[50:51]
.LBB128_119:
	s_or_b64 exec, exec, s[0:1]
	s_mov_b64 s[6:7], 0
.LBB128_120:
	s_and_b64 vcc, exec, s[6:7]
	s_cbranch_vccz .LBB128_195
; %bb.121:
	s_lshl_b32 s0, s33, 13
	s_mov_b32 s1, 0
	s_lshl_b64 s[8:9], s[0:1], 3
	v_mbcnt_hi_u32_b32 v26, -1, v30
	s_add_u32 s0, s40, s8
	v_and_b32_e32 v0, 63, v26
	v_mov_b32_e32 v11, 0
	s_addc_u32 s1, s41, s9
	v_lshlrev_b32_e32 v0, 3, v0
	v_mov_b32_e32 v1, v11
	v_lshl_add_u64 v[6:7], s[0:1], 0, v[0:1]
	s_load_dword s12, s[2:3], 0x58
	s_load_dword s0, s[2:3], 0x64
	v_and_b32_e32 v4, 0x1e00, v29
	v_lshlrev_b32_e32 v4, 3, v4
	v_mov_b32_e32 v5, v11
	v_lshl_add_u64 v[6:7], v[6:7], 0, v[4:5]
	global_load_dwordx2 v[24:25], v[6:7], off
	s_add_u32 s1, s2, 0x58
	s_addc_u32 s2, s3, 0
	s_waitcnt lgkmcnt(0)
	s_lshr_b32 s3, s0, 16
	s_cmp_lt_u32 s4, s12
	s_cselect_b32 s0, 12, 18
	s_add_u32 s0, s1, s0
	s_addc_u32 s1, s2, 0
	global_load_ushort v10, v11, s[0:1]
	v_mul_u32_u24_e32 v1, 20, v2
	ds_write2_b32 v1, v11, v11 offset0:16 offset1:17
	ds_write2_b32 v1, v11, v11 offset0:18 offset1:19
	ds_write_b32 v1, v11 offset:80
	global_load_dwordx2 v[8:9], v[6:7], off offset:512
	global_load_dwordx2 v[22:23], v[6:7], off offset:1024
	;; [unrolled: 1-line block ×7, first 2 shown]
	v_bfrev_b32_e32 v5, 1
	s_mov_b32 s10, -1
	s_brev_b32 s11, -2
	v_mad_u32_u24 v3, v28, s3, v3
	s_lshl_b32 s2, -1, s53
	s_movk_i32 s14, 0x44
	v_mov_b32_e32 v30, v11
	v_mov_b32_e32 v34, v11
	s_not_b32 s13, s2
	v_mov_b32_e32 v36, v11
	v_mov_b32_e32 v38, v11
	s_waitcnt lgkmcnt(0)
	s_barrier
	s_waitcnt vmcnt(8)
	; wave barrier
	v_cmp_lt_i64_e32 vcc, -1, v[24:25]
	s_nop 1
	v_cndmask_b32_e32 v6, -1, v5, vcc
	v_ashrrev_i32_e32 v27, 31, v25
	v_xor_b32_e32 v7, v6, v25
	v_xor_b32_e32 v6, v27, v24
	v_cmp_ne_u64_e32 vcc, s[10:11], v[6:7]
	s_waitcnt vmcnt(7)
	v_mad_u64_u32 v[28:29], s[0:1], v3, v10, v[2:3]
	v_cndmask_b32_e32 v25, v5, v7, vcc
	v_cndmask_b32_e32 v24, 0, v6, vcc
	v_lshrrev_b64 v[24:25], s52, v[24:25]
	v_bitop3_b32 v3, v24, s2, v24 bitop3:0x30
	v_lshrrev_b32_e32 v33, 6, v28
	v_mul_lo_u32 v24, v3, s14
	v_and_b32_e32 v10, 1, v3
	v_lshlrev_b32_e32 v31, 30, v3
	v_lshlrev_b32_e32 v35, 29, v3
	v_lshl_add_u32 v27, v33, 2, v24
	v_lshl_add_u64 v[24:25], v[10:11], 0, -1
	v_cmp_ne_u32_e32 vcc, 0, v10
	v_not_b32_e32 v10, v31
	v_cmp_gt_i64_e64 s[0:1], 0, v[30:31]
	v_not_b32_e32 v28, v35
	v_xor_b32_e32 v25, vcc_hi, v25
	v_ashrrev_i32_e32 v10, 31, v10
	v_lshlrev_b32_e32 v37, 28, v3
	v_cmp_gt_i64_e64 s[2:3], 0, v[34:35]
	v_xor_b32_e32 v24, vcc_lo, v24
	v_ashrrev_i32_e32 v28, 31, v28
	v_and_b32_e32 v25, exec_hi, v25
	v_xor_b32_e32 v30, s1, v10
	v_lshlrev_b32_e32 v39, 27, v3
	v_not_b32_e32 v29, v37
	v_and_b32_e32 v24, exec_lo, v24
	v_xor_b32_e32 v10, s0, v10
	v_xor_b32_e32 v31, s3, v28
	v_and_b32_e32 v25, v25, v30
	v_cmp_gt_i64_e64 s[4:5], 0, v[36:37]
	v_ashrrev_i32_e32 v29, 31, v29
	v_xor_b32_e32 v28, s2, v28
	v_and_b32_e32 v10, v24, v10
	v_and_b32_e32 v24, v25, v31
	v_not_b32_e32 v25, v39
	v_cmp_gt_i64_e64 s[6:7], 0, v[38:39]
	v_xor_b32_e32 v32, s5, v29
	v_xor_b32_e32 v29, s4, v29
	v_and_b32_e32 v10, v10, v28
	v_ashrrev_i32_e32 v25, 31, v25
	v_and_b32_e32 v24, v24, v32
	v_and_b32_e32 v10, v10, v29
	v_xor_b32_e32 v28, s7, v25
	v_xor_b32_e32 v25, s6, v25
	v_and_b32_e32 v28, v24, v28
	v_and_b32_e32 v10, v10, v25
	v_lshlrev_b32_e32 v25, 26, v3
	v_mov_b32_e32 v24, v11
	v_cmp_gt_i64_e32 vcc, 0, v[24:25]
	v_not_b32_e32 v24, v25
	v_ashrrev_i32_e32 v24, 31, v24
	v_xor_b32_e32 v25, vcc_hi, v24
	v_xor_b32_e32 v24, vcc_lo, v24
	v_and_b32_e32 v28, v28, v25
	v_and_b32_e32 v10, v10, v24
	v_lshlrev_b32_e32 v25, 25, v3
	v_mov_b32_e32 v24, v11
	v_cmp_gt_i64_e32 vcc, 0, v[24:25]
	v_not_b32_e32 v24, v25
	v_ashrrev_i32_e32 v24, 31, v24
	v_xor_b32_e32 v25, vcc_hi, v24
	v_xor_b32_e32 v24, vcc_lo, v24
	v_and_b32_e32 v28, v28, v25
	v_lshlrev_b32_e32 v25, 24, v3
	v_and_b32_e32 v10, v10, v24
	v_mov_b32_e32 v24, v11
	v_not_b32_e32 v3, v25
	v_cmp_gt_i64_e32 vcc, 0, v[24:25]
	v_ashrrev_i32_e32 v3, 31, v3
	s_nop 0
	v_xor_b32_e32 v24, vcc_hi, v3
	v_xor_b32_e32 v3, vcc_lo, v3
	v_and_b32_e32 v25, v28, v24
	v_and_b32_e32 v24, v10, v3
	v_mbcnt_lo_u32_b32 v3, v24, 0
	v_mbcnt_hi_u32_b32 v3, v25, v3
	v_cmp_eq_u32_e32 vcc, 0, v3
	v_cmp_ne_u64_e64 s[0:1], 0, v[24:25]
	s_and_b64 s[2:3], s[0:1], vcc
	s_and_saveexec_b64 s[0:1], s[2:3]
; %bb.122:
	v_bcnt_u32_b32 v10, v24, 0
	v_bcnt_u32_b32 v10, v25, v10
	ds_write_b32 v27, v10 offset:64
; %bb.123:
	s_or_b64 exec, exec, s[0:1]
	s_waitcnt vmcnt(6)
	v_cmp_lt_i64_e32 vcc, -1, v[8:9]
	v_ashrrev_i32_e32 v24, 31, v9
	v_xor_b32_e32 v8, v24, v8
	v_cndmask_b32_e32 v10, -1, v5, vcc
	v_xor_b32_e32 v9, v10, v9
	v_cmp_ne_u64_e32 vcc, s[10:11], v[8:9]
	; wave barrier
	s_nop 1
	v_cndmask_b32_e32 v25, v5, v9, vcc
	v_cndmask_b32_e32 v24, 0, v8, vcc
	v_lshrrev_b64 v[24:25], s52, v[24:25]
	v_and_b32_e32 v28, s13, v24
	v_and_b32_e32 v10, 1, v28
	v_lshl_add_u64 v[24:25], v[10:11], 0, -1
	v_cmp_ne_u32_e32 vcc, 0, v10
	v_mul_lo_u32 v5, v28, s14
	v_lshl_add_u32 v30, v33, 2, v5
	v_xor_b32_e32 v24, vcc_lo, v24
	v_xor_b32_e32 v10, vcc_hi, v25
	v_and_b32_e32 v29, exec_lo, v24
	v_lshlrev_b32_e32 v25, 30, v28
	v_mov_b32_e32 v24, v11
	v_cmp_gt_i64_e32 vcc, 0, v[24:25]
	v_not_b32_e32 v24, v25
	v_ashrrev_i32_e32 v24, 31, v24
	v_and_b32_e32 v10, exec_hi, v10
	v_xor_b32_e32 v25, vcc_hi, v24
	v_xor_b32_e32 v24, vcc_lo, v24
	v_and_b32_e32 v10, v10, v25
	v_and_b32_e32 v29, v29, v24
	v_lshlrev_b32_e32 v25, 29, v28
	v_mov_b32_e32 v24, v11
	v_cmp_gt_i64_e32 vcc, 0, v[24:25]
	v_not_b32_e32 v24, v25
	v_ashrrev_i32_e32 v24, 31, v24
	v_xor_b32_e32 v25, vcc_hi, v24
	v_xor_b32_e32 v24, vcc_lo, v24
	v_and_b32_e32 v10, v10, v25
	v_and_b32_e32 v29, v29, v24
	v_lshlrev_b32_e32 v25, 28, v28
	v_mov_b32_e32 v24, v11
	v_cmp_gt_i64_e32 vcc, 0, v[24:25]
	v_not_b32_e32 v24, v25
	v_ashrrev_i32_e32 v24, 31, v24
	;; [unrolled: 9-line block ×5, first 2 shown]
	v_xor_b32_e32 v25, vcc_hi, v24
	v_xor_b32_e32 v24, vcc_lo, v24
	v_and_b32_e32 v10, v10, v25
	v_lshlrev_b32_e32 v25, 24, v28
	v_and_b32_e32 v29, v29, v24
	v_mov_b32_e32 v24, v11
	v_not_b32_e32 v11, v25
	v_cmp_gt_i64_e32 vcc, 0, v[24:25]
	v_ashrrev_i32_e32 v11, 31, v11
	ds_read_b32 v5, v30 offset:64
	v_xor_b32_e32 v24, vcc_hi, v11
	v_xor_b32_e32 v25, vcc_lo, v11
	v_and_b32_e32 v11, v10, v24
	v_and_b32_e32 v10, v29, v25
	v_mbcnt_lo_u32_b32 v24, v10, 0
	v_mbcnt_hi_u32_b32 v28, v11, v24
	v_cmp_eq_u32_e32 vcc, 0, v28
	v_cmp_ne_u64_e64 s[0:1], 0, v[10:11]
	s_and_b64 s[2:3], s[0:1], vcc
	; wave barrier
	s_and_saveexec_b64 s[0:1], s[2:3]
	s_cbranch_execz .LBB128_125
; %bb.124:
	v_bcnt_u32_b32 v10, v10, 0
	v_bcnt_u32_b32 v10, v11, v10
	s_waitcnt lgkmcnt(0)
	v_add_u32_e32 v10, v5, v10
	ds_write_b32 v30, v10 offset:64
.LBB128_125:
	s_or_b64 exec, exec, s[0:1]
	v_bfrev_b32_e32 v32, 1
	s_waitcnt vmcnt(5)
	v_cmp_lt_i64_e32 vcc, -1, v[22:23]
	s_mov_b32 s2, -1
	v_ashrrev_i32_e32 v24, 31, v23
	v_cndmask_b32_e32 v10, -1, v32, vcc
	s_brev_b32 s3, -2
	v_xor_b32_e32 v11, v10, v23
	v_xor_b32_e32 v10, v24, v22
	v_cmp_ne_u64_e32 vcc, s[2:3], v[10:11]
	s_movk_i32 s4, 0x44
	s_nop 0
	v_cndmask_b32_e32 v23, v32, v11, vcc
	v_cndmask_b32_e32 v22, 0, v10, vcc
	v_lshrrev_b64 v[22:23], s52, v[22:23]
	v_and_b32_e32 v31, s13, v22
	v_mul_lo_u32 v22, v31, s4
	v_lshl_add_u32 v34, v33, 2, v22
	v_and_b32_e32 v22, 1, v31
	v_mov_b32_e32 v23, 0
	v_lshl_add_u64 v[24:25], v[22:23], 0, -1
	v_cmp_ne_u32_e32 vcc, 0, v22
	; wave barrier
	ds_read_b32 v29, v34 offset:64
	s_nop 0
	v_xor_b32_e32 v24, vcc_lo, v24
	v_xor_b32_e32 v22, vcc_hi, v25
	v_and_b32_e32 v35, exec_lo, v24
	v_lshlrev_b32_e32 v25, 30, v31
	v_mov_b32_e32 v24, v23
	v_cmp_gt_i64_e32 vcc, 0, v[24:25]
	v_not_b32_e32 v24, v25
	v_ashrrev_i32_e32 v24, 31, v24
	v_and_b32_e32 v22, exec_hi, v22
	v_xor_b32_e32 v25, vcc_hi, v24
	v_xor_b32_e32 v24, vcc_lo, v24
	v_and_b32_e32 v22, v22, v25
	v_and_b32_e32 v35, v35, v24
	v_lshlrev_b32_e32 v25, 29, v31
	v_mov_b32_e32 v24, v23
	v_cmp_gt_i64_e32 vcc, 0, v[24:25]
	v_not_b32_e32 v24, v25
	v_ashrrev_i32_e32 v24, 31, v24
	v_xor_b32_e32 v25, vcc_hi, v24
	v_xor_b32_e32 v24, vcc_lo, v24
	v_and_b32_e32 v22, v22, v25
	v_and_b32_e32 v35, v35, v24
	v_lshlrev_b32_e32 v25, 28, v31
	v_mov_b32_e32 v24, v23
	v_cmp_gt_i64_e32 vcc, 0, v[24:25]
	v_not_b32_e32 v24, v25
	v_ashrrev_i32_e32 v24, 31, v24
	;; [unrolled: 9-line block ×6, first 2 shown]
	v_xor_b32_e32 v25, vcc_hi, v24
	v_xor_b32_e32 v24, vcc_lo, v24
	v_and_b32_e32 v24, v35, v24
	v_and_b32_e32 v25, v22, v25
	v_mbcnt_lo_u32_b32 v22, v24, 0
	v_mbcnt_hi_u32_b32 v31, v25, v22
	v_cmp_eq_u32_e32 vcc, 0, v31
	v_cmp_ne_u64_e64 s[0:1], 0, v[24:25]
	s_and_b64 s[6:7], s[0:1], vcc
	; wave barrier
	s_and_saveexec_b64 s[0:1], s[6:7]
	s_cbranch_execz .LBB128_127
; %bb.126:
	v_bcnt_u32_b32 v22, v24, 0
	v_bcnt_u32_b32 v22, v25, v22
	s_waitcnt lgkmcnt(0)
	v_add_u32_e32 v22, v29, v22
	ds_write_b32 v34, v22 offset:64
.LBB128_127:
	s_or_b64 exec, exec, s[0:1]
	s_waitcnt vmcnt(4)
	v_cmp_lt_i64_e32 vcc, -1, v[12:13]
	v_ashrrev_i32_e32 v24, 31, v13
	v_xor_b32_e32 v12, v24, v12
	v_cndmask_b32_e32 v22, -1, v32, vcc
	v_xor_b32_e32 v13, v22, v13
	v_cmp_ne_u64_e32 vcc, s[2:3], v[12:13]
	; wave barrier
	s_nop 1
	v_cndmask_b32_e32 v25, v32, v13, vcc
	v_cndmask_b32_e32 v24, 0, v12, vcc
	v_lshrrev_b64 v[24:25], s52, v[24:25]
	v_and_b32_e32 v35, s13, v24
	v_mul_lo_u32 v22, v35, s4
	v_lshl_add_u32 v37, v33, 2, v22
	v_and_b32_e32 v22, 1, v35
	v_lshl_add_u64 v[24:25], v[22:23], 0, -1
	v_cmp_ne_u32_e32 vcc, 0, v22
	ds_read_b32 v32, v37 offset:64
	s_nop 0
	v_xor_b32_e32 v24, vcc_lo, v24
	v_xor_b32_e32 v22, vcc_hi, v25
	v_and_b32_e32 v36, exec_lo, v24
	v_lshlrev_b32_e32 v25, 30, v35
	v_mov_b32_e32 v24, v23
	v_cmp_gt_i64_e32 vcc, 0, v[24:25]
	v_not_b32_e32 v24, v25
	v_ashrrev_i32_e32 v24, 31, v24
	v_and_b32_e32 v22, exec_hi, v22
	v_xor_b32_e32 v25, vcc_hi, v24
	v_xor_b32_e32 v24, vcc_lo, v24
	v_and_b32_e32 v22, v22, v25
	v_and_b32_e32 v36, v36, v24
	v_lshlrev_b32_e32 v25, 29, v35
	v_mov_b32_e32 v24, v23
	v_cmp_gt_i64_e32 vcc, 0, v[24:25]
	v_not_b32_e32 v24, v25
	v_ashrrev_i32_e32 v24, 31, v24
	v_xor_b32_e32 v25, vcc_hi, v24
	v_xor_b32_e32 v24, vcc_lo, v24
	v_and_b32_e32 v22, v22, v25
	v_and_b32_e32 v36, v36, v24
	v_lshlrev_b32_e32 v25, 28, v35
	v_mov_b32_e32 v24, v23
	v_cmp_gt_i64_e32 vcc, 0, v[24:25]
	v_not_b32_e32 v24, v25
	v_ashrrev_i32_e32 v24, 31, v24
	;; [unrolled: 9-line block ×5, first 2 shown]
	v_xor_b32_e32 v25, vcc_hi, v24
	v_xor_b32_e32 v24, vcc_lo, v24
	v_and_b32_e32 v22, v22, v25
	v_lshlrev_b32_e32 v25, 24, v35
	v_and_b32_e32 v36, v36, v24
	v_mov_b32_e32 v24, v23
	v_not_b32_e32 v23, v25
	v_cmp_gt_i64_e32 vcc, 0, v[24:25]
	v_ashrrev_i32_e32 v23, 31, v23
	; wave barrier
	s_nop 0
	v_xor_b32_e32 v24, vcc_hi, v23
	v_xor_b32_e32 v25, vcc_lo, v23
	v_and_b32_e32 v23, v22, v24
	v_and_b32_e32 v22, v36, v25
	v_mbcnt_lo_u32_b32 v24, v22, 0
	v_mbcnt_hi_u32_b32 v35, v23, v24
	v_cmp_eq_u32_e32 vcc, 0, v35
	v_cmp_ne_u64_e64 s[0:1], 0, v[22:23]
	s_and_b64 s[2:3], s[0:1], vcc
	s_and_saveexec_b64 s[0:1], s[2:3]
	s_cbranch_execz .LBB128_129
; %bb.128:
	v_bcnt_u32_b32 v22, v22, 0
	v_bcnt_u32_b32 v22, v23, v22
	s_waitcnt lgkmcnt(0)
	v_add_u32_e32 v22, v32, v22
	ds_write_b32 v37, v22 offset:64
.LBB128_129:
	s_or_b64 exec, exec, s[0:1]
	v_bfrev_b32_e32 v39, 1
	s_waitcnt vmcnt(3)
	v_cmp_lt_i64_e32 vcc, -1, v[14:15]
	s_mov_b32 s2, -1
	v_ashrrev_i32_e32 v23, 31, v15
	v_cndmask_b32_e32 v22, -1, v39, vcc
	s_brev_b32 s3, -2
	v_xor_b32_e32 v15, v22, v15
	v_xor_b32_e32 v14, v23, v14
	v_cmp_ne_u64_e32 vcc, s[2:3], v[14:15]
	; wave barrier
	s_nop 1
	v_cndmask_b32_e32 v23, v39, v15, vcc
	v_cndmask_b32_e32 v22, 0, v14, vcc
	v_lshrrev_b64 v[22:23], s52, v[22:23]
	v_and_b32_e32 v38, s13, v22
	v_mul_lo_u32 v22, v38, s4
	v_lshl_add_u32 v40, v33, 2, v22
	v_and_b32_e32 v22, 1, v38
	v_mov_b32_e32 v23, 0
	v_lshl_add_u64 v[24:25], v[22:23], 0, -1
	v_cmp_ne_u32_e32 vcc, 0, v22
	ds_read_b32 v36, v40 offset:64
	s_nop 0
	v_xor_b32_e32 v24, vcc_lo, v24
	v_xor_b32_e32 v22, vcc_hi, v25
	v_and_b32_e32 v41, exec_lo, v24
	v_lshlrev_b32_e32 v25, 30, v38
	v_mov_b32_e32 v24, v23
	v_cmp_gt_i64_e32 vcc, 0, v[24:25]
	v_not_b32_e32 v24, v25
	v_ashrrev_i32_e32 v24, 31, v24
	v_and_b32_e32 v22, exec_hi, v22
	v_xor_b32_e32 v25, vcc_hi, v24
	v_xor_b32_e32 v24, vcc_lo, v24
	v_and_b32_e32 v22, v22, v25
	v_and_b32_e32 v41, v41, v24
	v_lshlrev_b32_e32 v25, 29, v38
	v_mov_b32_e32 v24, v23
	v_cmp_gt_i64_e32 vcc, 0, v[24:25]
	v_not_b32_e32 v24, v25
	v_ashrrev_i32_e32 v24, 31, v24
	v_xor_b32_e32 v25, vcc_hi, v24
	v_xor_b32_e32 v24, vcc_lo, v24
	v_and_b32_e32 v22, v22, v25
	v_and_b32_e32 v41, v41, v24
	v_lshlrev_b32_e32 v25, 28, v38
	v_mov_b32_e32 v24, v23
	v_cmp_gt_i64_e32 vcc, 0, v[24:25]
	v_not_b32_e32 v24, v25
	v_ashrrev_i32_e32 v24, 31, v24
	;; [unrolled: 9-line block ×6, first 2 shown]
	v_xor_b32_e32 v25, vcc_hi, v24
	v_xor_b32_e32 v24, vcc_lo, v24
	v_and_b32_e32 v24, v41, v24
	v_and_b32_e32 v25, v22, v25
	v_mbcnt_lo_u32_b32 v22, v24, 0
	v_mbcnt_hi_u32_b32 v38, v25, v22
	v_cmp_eq_u32_e32 vcc, 0, v38
	v_cmp_ne_u64_e64 s[0:1], 0, v[24:25]
	s_and_b64 s[6:7], s[0:1], vcc
	; wave barrier
	s_and_saveexec_b64 s[0:1], s[6:7]
	s_cbranch_execz .LBB128_131
; %bb.130:
	v_bcnt_u32_b32 v22, v24, 0
	v_bcnt_u32_b32 v22, v25, v22
	s_waitcnt lgkmcnt(0)
	v_add_u32_e32 v22, v36, v22
	ds_write_b32 v40, v22 offset:64
.LBB128_131:
	s_or_b64 exec, exec, s[0:1]
	s_waitcnt vmcnt(2)
	v_cmp_lt_i64_e32 vcc, -1, v[18:19]
	v_ashrrev_i32_e32 v24, 31, v19
	v_xor_b32_e32 v18, v24, v18
	v_cndmask_b32_e32 v22, -1, v39, vcc
	v_xor_b32_e32 v19, v22, v19
	v_cmp_ne_u64_e32 vcc, s[2:3], v[18:19]
	; wave barrier
	s_nop 1
	v_cndmask_b32_e32 v25, v39, v19, vcc
	v_cndmask_b32_e32 v24, 0, v18, vcc
	v_lshrrev_b64 v[24:25], s52, v[24:25]
	v_and_b32_e32 v41, s13, v24
	v_mul_lo_u32 v22, v41, s4
	v_lshl_add_u32 v43, v33, 2, v22
	v_and_b32_e32 v22, 1, v41
	v_lshl_add_u64 v[24:25], v[22:23], 0, -1
	v_cmp_ne_u32_e32 vcc, 0, v22
	ds_read_b32 v39, v43 offset:64
	s_nop 0
	v_xor_b32_e32 v24, vcc_lo, v24
	v_xor_b32_e32 v22, vcc_hi, v25
	v_and_b32_e32 v42, exec_lo, v24
	v_lshlrev_b32_e32 v25, 30, v41
	v_mov_b32_e32 v24, v23
	v_cmp_gt_i64_e32 vcc, 0, v[24:25]
	v_not_b32_e32 v24, v25
	v_ashrrev_i32_e32 v24, 31, v24
	v_and_b32_e32 v22, exec_hi, v22
	v_xor_b32_e32 v25, vcc_hi, v24
	v_xor_b32_e32 v24, vcc_lo, v24
	v_and_b32_e32 v22, v22, v25
	v_and_b32_e32 v42, v42, v24
	v_lshlrev_b32_e32 v25, 29, v41
	v_mov_b32_e32 v24, v23
	v_cmp_gt_i64_e32 vcc, 0, v[24:25]
	v_not_b32_e32 v24, v25
	v_ashrrev_i32_e32 v24, 31, v24
	v_xor_b32_e32 v25, vcc_hi, v24
	v_xor_b32_e32 v24, vcc_lo, v24
	v_and_b32_e32 v22, v22, v25
	v_and_b32_e32 v42, v42, v24
	v_lshlrev_b32_e32 v25, 28, v41
	v_mov_b32_e32 v24, v23
	v_cmp_gt_i64_e32 vcc, 0, v[24:25]
	v_not_b32_e32 v24, v25
	v_ashrrev_i32_e32 v24, 31, v24
	v_xor_b32_e32 v25, vcc_hi, v24
	v_xor_b32_e32 v24, vcc_lo, v24
	v_and_b32_e32 v22, v22, v25
	v_and_b32_e32 v42, v42, v24
	v_lshlrev_b32_e32 v25, 27, v41
	v_mov_b32_e32 v24, v23
	v_cmp_gt_i64_e32 vcc, 0, v[24:25]
	v_not_b32_e32 v24, v25
	v_ashrrev_i32_e32 v24, 31, v24
	v_xor_b32_e32 v25, vcc_hi, v24
	v_xor_b32_e32 v24, vcc_lo, v24
	v_and_b32_e32 v22, v22, v25
	v_and_b32_e32 v42, v42, v24
	v_lshlrev_b32_e32 v25, 26, v41
	v_mov_b32_e32 v24, v23
	v_cmp_gt_i64_e32 vcc, 0, v[24:25]
	v_not_b32_e32 v24, v25
	v_ashrrev_i32_e32 v24, 31, v24
	v_xor_b32_e32 v25, vcc_hi, v24
	v_xor_b32_e32 v24, vcc_lo, v24
	v_and_b32_e32 v22, v22, v25
	v_and_b32_e32 v42, v42, v24
	v_lshlrev_b32_e32 v25, 25, v41
	v_mov_b32_e32 v24, v23
	v_cmp_gt_i64_e32 vcc, 0, v[24:25]
	v_not_b32_e32 v24, v25
	v_ashrrev_i32_e32 v24, 31, v24
	v_xor_b32_e32 v25, vcc_hi, v24
	v_xor_b32_e32 v24, vcc_lo, v24
	v_and_b32_e32 v22, v22, v25
	v_lshlrev_b32_e32 v25, 24, v41
	v_and_b32_e32 v42, v42, v24
	v_mov_b32_e32 v24, v23
	v_not_b32_e32 v23, v25
	v_cmp_gt_i64_e32 vcc, 0, v[24:25]
	v_ashrrev_i32_e32 v23, 31, v23
	; wave barrier
	s_nop 0
	v_xor_b32_e32 v24, vcc_hi, v23
	v_xor_b32_e32 v25, vcc_lo, v23
	v_and_b32_e32 v23, v22, v24
	v_and_b32_e32 v22, v42, v25
	v_mbcnt_lo_u32_b32 v24, v22, 0
	v_mbcnt_hi_u32_b32 v41, v23, v24
	v_cmp_eq_u32_e32 vcc, 0, v41
	v_cmp_ne_u64_e64 s[0:1], 0, v[22:23]
	s_and_b64 s[2:3], s[0:1], vcc
	s_and_saveexec_b64 s[0:1], s[2:3]
	s_cbranch_execz .LBB128_133
; %bb.132:
	v_bcnt_u32_b32 v22, v22, 0
	v_bcnt_u32_b32 v22, v23, v22
	s_waitcnt lgkmcnt(0)
	v_add_u32_e32 v22, v39, v22
	ds_write_b32 v43, v22 offset:64
.LBB128_133:
	s_or_b64 exec, exec, s[0:1]
	v_bfrev_b32_e32 v45, 1
	s_waitcnt vmcnt(1)
	v_cmp_lt_i64_e32 vcc, -1, v[20:21]
	s_mov_b32 s2, -1
	v_ashrrev_i32_e32 v23, 31, v21
	v_cndmask_b32_e32 v22, -1, v45, vcc
	s_brev_b32 s3, -2
	v_xor_b32_e32 v21, v22, v21
	v_xor_b32_e32 v20, v23, v20
	v_cmp_ne_u64_e32 vcc, s[2:3], v[20:21]
	; wave barrier
	s_nop 1
	v_cndmask_b32_e32 v23, v45, v21, vcc
	v_cndmask_b32_e32 v22, 0, v20, vcc
	v_lshrrev_b64 v[22:23], s52, v[22:23]
	v_and_b32_e32 v44, s13, v22
	v_mul_lo_u32 v22, v44, s4
	v_lshl_add_u32 v46, v33, 2, v22
	v_and_b32_e32 v22, 1, v44
	v_mov_b32_e32 v23, 0
	v_lshl_add_u64 v[24:25], v[22:23], 0, -1
	v_cmp_ne_u32_e32 vcc, 0, v22
	ds_read_b32 v42, v46 offset:64
	s_nop 0
	v_xor_b32_e32 v24, vcc_lo, v24
	v_xor_b32_e32 v22, vcc_hi, v25
	v_and_b32_e32 v47, exec_lo, v24
	v_lshlrev_b32_e32 v25, 30, v44
	v_mov_b32_e32 v24, v23
	v_cmp_gt_i64_e32 vcc, 0, v[24:25]
	v_not_b32_e32 v24, v25
	v_ashrrev_i32_e32 v24, 31, v24
	v_and_b32_e32 v22, exec_hi, v22
	v_xor_b32_e32 v25, vcc_hi, v24
	v_xor_b32_e32 v24, vcc_lo, v24
	v_and_b32_e32 v22, v22, v25
	v_and_b32_e32 v47, v47, v24
	v_lshlrev_b32_e32 v25, 29, v44
	v_mov_b32_e32 v24, v23
	v_cmp_gt_i64_e32 vcc, 0, v[24:25]
	v_not_b32_e32 v24, v25
	v_ashrrev_i32_e32 v24, 31, v24
	v_xor_b32_e32 v25, vcc_hi, v24
	v_xor_b32_e32 v24, vcc_lo, v24
	v_and_b32_e32 v22, v22, v25
	v_and_b32_e32 v47, v47, v24
	v_lshlrev_b32_e32 v25, 28, v44
	v_mov_b32_e32 v24, v23
	v_cmp_gt_i64_e32 vcc, 0, v[24:25]
	v_not_b32_e32 v24, v25
	v_ashrrev_i32_e32 v24, 31, v24
	;; [unrolled: 9-line block ×6, first 2 shown]
	v_xor_b32_e32 v25, vcc_hi, v24
	v_xor_b32_e32 v24, vcc_lo, v24
	v_and_b32_e32 v24, v47, v24
	v_and_b32_e32 v25, v22, v25
	v_mbcnt_lo_u32_b32 v22, v24, 0
	v_mbcnt_hi_u32_b32 v44, v25, v22
	v_cmp_eq_u32_e32 vcc, 0, v44
	v_cmp_ne_u64_e64 s[0:1], 0, v[24:25]
	s_and_b64 s[6:7], s[0:1], vcc
	; wave barrier
	s_and_saveexec_b64 s[0:1], s[6:7]
	s_cbranch_execz .LBB128_135
; %bb.134:
	v_bcnt_u32_b32 v22, v24, 0
	v_bcnt_u32_b32 v22, v25, v22
	s_waitcnt lgkmcnt(0)
	v_add_u32_e32 v22, v42, v22
	ds_write_b32 v46, v22 offset:64
.LBB128_135:
	s_or_b64 exec, exec, s[0:1]
	s_waitcnt vmcnt(0)
	v_cmp_lt_i64_e32 vcc, -1, v[16:17]
	v_ashrrev_i32_e32 v24, 31, v17
	v_xor_b32_e32 v16, v24, v16
	v_cndmask_b32_e32 v22, -1, v45, vcc
	v_xor_b32_e32 v17, v22, v17
	v_cmp_ne_u64_e32 vcc, s[2:3], v[16:17]
	; wave barrier
	s_nop 1
	v_cndmask_b32_e32 v25, v45, v17, vcc
	v_cndmask_b32_e32 v24, 0, v16, vcc
	v_lshrrev_b64 v[24:25], s52, v[24:25]
	v_and_b32_e32 v47, s13, v24
	v_mul_lo_u32 v22, v47, s4
	v_lshl_add_u32 v48, v33, 2, v22
	v_and_b32_e32 v22, 1, v47
	v_lshl_add_u64 v[24:25], v[22:23], 0, -1
	v_cmp_ne_u32_e32 vcc, 0, v22
	ds_read_b32 v45, v48 offset:64
	s_nop 0
	v_xor_b32_e32 v24, vcc_lo, v24
	v_xor_b32_e32 v22, vcc_hi, v25
	v_and_b32_e32 v33, exec_lo, v24
	v_lshlrev_b32_e32 v25, 30, v47
	v_mov_b32_e32 v24, v23
	v_cmp_gt_i64_e32 vcc, 0, v[24:25]
	v_not_b32_e32 v24, v25
	v_ashrrev_i32_e32 v24, 31, v24
	v_and_b32_e32 v22, exec_hi, v22
	v_xor_b32_e32 v25, vcc_hi, v24
	v_xor_b32_e32 v24, vcc_lo, v24
	v_and_b32_e32 v22, v22, v25
	v_and_b32_e32 v33, v33, v24
	v_lshlrev_b32_e32 v25, 29, v47
	v_mov_b32_e32 v24, v23
	v_cmp_gt_i64_e32 vcc, 0, v[24:25]
	v_not_b32_e32 v24, v25
	v_ashrrev_i32_e32 v24, 31, v24
	v_xor_b32_e32 v25, vcc_hi, v24
	v_xor_b32_e32 v24, vcc_lo, v24
	v_and_b32_e32 v22, v22, v25
	v_and_b32_e32 v33, v33, v24
	v_lshlrev_b32_e32 v25, 28, v47
	v_mov_b32_e32 v24, v23
	v_cmp_gt_i64_e32 vcc, 0, v[24:25]
	v_not_b32_e32 v24, v25
	v_ashrrev_i32_e32 v24, 31, v24
	v_xor_b32_e32 v25, vcc_hi, v24
	v_xor_b32_e32 v24, vcc_lo, v24
	v_and_b32_e32 v22, v22, v25
	v_and_b32_e32 v33, v33, v24
	v_lshlrev_b32_e32 v25, 27, v47
	v_mov_b32_e32 v24, v23
	v_cmp_gt_i64_e32 vcc, 0, v[24:25]
	v_not_b32_e32 v24, v25
	v_ashrrev_i32_e32 v24, 31, v24
	v_xor_b32_e32 v25, vcc_hi, v24
	v_xor_b32_e32 v24, vcc_lo, v24
	v_and_b32_e32 v22, v22, v25
	v_and_b32_e32 v33, v33, v24
	v_lshlrev_b32_e32 v25, 26, v47
	v_mov_b32_e32 v24, v23
	v_cmp_gt_i64_e32 vcc, 0, v[24:25]
	v_not_b32_e32 v24, v25
	v_ashrrev_i32_e32 v24, 31, v24
	v_xor_b32_e32 v25, vcc_hi, v24
	v_xor_b32_e32 v24, vcc_lo, v24
	v_and_b32_e32 v22, v22, v25
	v_and_b32_e32 v33, v33, v24
	v_lshlrev_b32_e32 v25, 25, v47
	v_mov_b32_e32 v24, v23
	v_cmp_gt_i64_e32 vcc, 0, v[24:25]
	v_not_b32_e32 v24, v25
	v_ashrrev_i32_e32 v24, 31, v24
	v_xor_b32_e32 v25, vcc_hi, v24
	v_xor_b32_e32 v24, vcc_lo, v24
	v_and_b32_e32 v22, v22, v25
	v_lshlrev_b32_e32 v25, 24, v47
	v_and_b32_e32 v33, v33, v24
	v_mov_b32_e32 v24, v23
	v_not_b32_e32 v23, v25
	v_cmp_gt_i64_e32 vcc, 0, v[24:25]
	v_ashrrev_i32_e32 v23, 31, v23
	; wave barrier
	s_nop 0
	v_xor_b32_e32 v24, vcc_hi, v23
	v_xor_b32_e32 v25, vcc_lo, v23
	v_and_b32_e32 v23, v22, v24
	v_and_b32_e32 v22, v33, v25
	v_mbcnt_lo_u32_b32 v24, v22, 0
	v_mbcnt_hi_u32_b32 v47, v23, v24
	v_cmp_eq_u32_e32 vcc, 0, v47
	v_cmp_ne_u64_e64 s[0:1], 0, v[22:23]
	s_and_b64 s[2:3], s[0:1], vcc
	s_and_saveexec_b64 s[0:1], s[2:3]
	s_cbranch_execz .LBB128_137
; %bb.136:
	v_bcnt_u32_b32 v22, v22, 0
	v_bcnt_u32_b32 v22, v23, v22
	s_waitcnt lgkmcnt(0)
	v_add_u32_e32 v22, v45, v22
	ds_write_b32 v48, v22 offset:64
.LBB128_137:
	s_or_b64 exec, exec, s[0:1]
	; wave barrier
	s_waitcnt lgkmcnt(0)
	s_barrier
	ds_read2_b32 v[24:25], v1 offset0:16 offset1:17
	ds_read2_b32 v[22:23], v1 offset0:18 offset1:19
	ds_read_b32 v33, v1 offset:80
	v_cmp_lt_u32_e64 s[6:7], 31, v26
	s_waitcnt lgkmcnt(1)
	v_add3_u32 v49, v25, v24, v22
	s_waitcnt lgkmcnt(0)
	v_add3_u32 v33, v49, v23, v33
	v_and_b32_e32 v49, 15, v26
	v_cmp_eq_u32_e32 vcc, 0, v49
	v_mov_b32_dpp v50, v33 row_shr:1 row_mask:0xf bank_mask:0xf
	v_cmp_lt_u32_e64 s[0:1], 1, v49
	v_cndmask_b32_e64 v50, v50, 0, vcc
	v_add_u32_e32 v33, v50, v33
	v_cmp_lt_u32_e64 s[2:3], 3, v49
	v_cmp_lt_u32_e64 s[4:5], 7, v49
	v_mov_b32_dpp v50, v33 row_shr:2 row_mask:0xf bank_mask:0xf
	v_cndmask_b32_e64 v50, 0, v50, s[0:1]
	v_add_u32_e32 v33, v33, v50
	s_nop 1
	v_mov_b32_dpp v50, v33 row_shr:4 row_mask:0xf bank_mask:0xf
	v_cndmask_b32_e64 v50, 0, v50, s[2:3]
	v_add_u32_e32 v33, v33, v50
	s_nop 1
	v_mov_b32_dpp v50, v33 row_shr:8 row_mask:0xf bank_mask:0xf
	v_cndmask_b32_e64 v49, 0, v50, s[4:5]
	v_add_u32_e32 v33, v33, v49
	v_bfe_i32 v50, v26, 4, 1
	s_nop 0
	v_mov_b32_dpp v49, v33 row_bcast:15 row_mask:0xf bank_mask:0xf
	v_and_b32_e32 v49, v50, v49
	v_add_u32_e32 v33, v33, v49
	v_lshrrev_b32_e32 v50, 6, v2
	s_nop 0
	v_mov_b32_dpp v49, v33 row_bcast:31 row_mask:0xf bank_mask:0xf
	v_cndmask_b32_e64 v49, 0, v49, s[6:7]
	v_add_u32_e32 v49, v33, v49
	v_and_b32_e32 v33, 63, v2
	v_cmp_eq_u32_e64 s[6:7], 63, v33
	s_and_saveexec_b64 s[10:11], s[6:7]
; %bb.138:
	v_lshlrev_b32_e32 v33, 2, v50
	ds_write_b32 v33, v49
; %bb.139:
	s_or_b64 exec, exec, s[10:11]
	v_cmp_gt_u32_e64 s[6:7], 16, v2
	v_lshlrev_b32_e32 v33, 2, v2
	s_waitcnt lgkmcnt(0)
	s_barrier
	s_and_saveexec_b64 s[10:11], s[6:7]
	s_cbranch_execz .LBB128_141
; %bb.140:
	ds_read_b32 v51, v33
	s_waitcnt lgkmcnt(0)
	s_nop 0
	v_mov_b32_dpp v52, v51 row_shr:1 row_mask:0xf bank_mask:0xf
	v_cndmask_b32_e64 v52, v52, 0, vcc
	v_add_u32_e32 v51, v52, v51
	s_nop 1
	v_mov_b32_dpp v52, v51 row_shr:2 row_mask:0xf bank_mask:0xf
	v_cndmask_b32_e64 v52, 0, v52, s[0:1]
	v_add_u32_e32 v51, v51, v52
	s_nop 1
	v_mov_b32_dpp v52, v51 row_shr:4 row_mask:0xf bank_mask:0xf
	v_cndmask_b32_e64 v52, 0, v52, s[2:3]
	;; [unrolled: 4-line block ×3, first 2 shown]
	v_add_u32_e32 v51, v51, v52
	ds_write_b32 v33, v51
.LBB128_141:
	s_or_b64 exec, exec, s[10:11]
	v_cmp_lt_u32_e32 vcc, 63, v2
	v_mov_b32_e32 v51, 0
	s_waitcnt lgkmcnt(0)
	s_barrier
	s_and_saveexec_b64 s[0:1], vcc
; %bb.142:
	v_lshl_add_u32 v50, v50, 2, -4
	ds_read_b32 v51, v50
; %bb.143:
	s_or_b64 exec, exec, s[0:1]
	v_subrev_co_u32_e32 v50, vcc, 1, v26
	v_and_b32_e32 v52, 64, v26
	v_cmp_lt_i32_e64 s[0:1], v50, v52
	s_waitcnt lgkmcnt(0)
	v_add_u32_e32 v49, v51, v49
	s_movk_i32 s2, 0x100
	v_cndmask_b32_e64 v26, v50, v26, s[0:1]
	v_lshlrev_b32_e32 v26, 2, v26
	ds_bpermute_b32 v26, v26, v49
	s_movk_i32 s0, 0xff
	s_waitcnt lgkmcnt(0)
	v_cndmask_b32_e32 v26, v26, v51, vcc
	v_cndmask_b32_e64 v26, v26, 0, s[18:19]
	v_add_u32_e32 v24, v26, v24
	v_add_u32_e32 v25, v24, v25
	;; [unrolled: 1-line block ×4, first 2 shown]
	ds_write2_b32 v1, v26, v24 offset0:16 offset1:17
	ds_write2_b32 v1, v25, v22 offset0:18 offset1:19
	ds_write_b32 v1, v23 offset:80
	s_waitcnt lgkmcnt(0)
	s_barrier
	ds_read_b32 v52, v27 offset:64
	ds_read_b32 v1, v30 offset:64
	;; [unrolled: 1-line block ×8, first 2 shown]
	v_cmp_lt_u32_e32 vcc, s0, v2
	v_cmp_gt_u32_e64 s[0:1], s2, v2
                                        ; implicit-def: $vgpr30
                                        ; implicit-def: $vgpr34
	s_and_saveexec_b64 s[4:5], s[0:1]
	s_cbranch_execz .LBB128_147
; %bb.144:
	v_mul_u32_u24_e32 v22, 0x44, v2
	ds_read_b32 v30, v22 offset:64
	v_add_u32_e32 v23, 1, v2
	v_cmp_ne_u32_e64 s[2:3], s2, v23
	v_mov_b32_e32 v22, 0x2000
	s_and_saveexec_b64 s[6:7], s[2:3]
; %bb.145:
	v_mul_u32_u24_e32 v22, 0x44, v23
	ds_read_b32 v22, v22 offset:64
; %bb.146:
	s_or_b64 exec, exec, s[6:7]
	s_waitcnt lgkmcnt(0)
	v_sub_u32_e32 v34, v22, v30
.LBB128_147:
	s_or_b64 exec, exec, s[4:5]
	v_mov_b32_e32 v23, 0
	s_waitcnt lgkmcnt(0)
	s_barrier
	s_and_saveexec_b64 s[2:3], s[0:1]
	s_cbranch_execz .LBB128_157
; %bb.148:
	v_lshl_add_u32 v22, s33, 8, v2
	v_lshl_add_u64 v[24:25], v[22:23], 2, s[38:39]
	v_or_b32_e32 v22, 2.0, v34
	s_mov_b64 s[4:5], 0
	s_brev_b32 s14, -4
	s_mov_b32 s15, s33
	v_mov_b32_e32 v46, 0
	global_store_dword v[24:25], v22, off sc1
                                        ; implicit-def: $sgpr0_sgpr1
	s_branch .LBB128_151
.LBB128_149:                            ;   in Loop: Header=BB128_151 Depth=1
	s_or_b64 exec, exec, s[10:11]
.LBB128_150:                            ;   in Loop: Header=BB128_151 Depth=1
	s_or_b64 exec, exec, s[6:7]
	v_and_b32_e32 v26, 0x3fffffff, v22
	v_add_u32_e32 v46, v26, v46
	v_cmp_gt_i32_e64 s[0:1], -2.0, v22
	s_and_b64 s[6:7], exec, s[0:1]
	s_or_b64 s[4:5], s[6:7], s[4:5]
	s_andn2_b64 exec, exec, s[4:5]
	s_cbranch_execz .LBB128_156
.LBB128_151:                            ; =>This Loop Header: Depth=1
                                        ;     Child Loop BB128_154 Depth 2
	s_or_b64 s[0:1], s[0:1], exec
	s_cmp_eq_u32 s15, 0
	s_cbranch_scc1 .LBB128_155
; %bb.152:                              ;   in Loop: Header=BB128_151 Depth=1
	s_add_i32 s15, s15, -1
	v_lshl_or_b32 v22, s15, 8, v2
	v_lshl_add_u64 v[26:27], v[22:23], 2, s[38:39]
	global_load_dword v22, v[26:27], off sc1
	s_waitcnt vmcnt(0)
	v_cmp_gt_u32_e64 s[0:1], 2.0, v22
	s_and_saveexec_b64 s[6:7], s[0:1]
	s_cbranch_execz .LBB128_150
; %bb.153:                              ;   in Loop: Header=BB128_151 Depth=1
	s_mov_b64 s[10:11], 0
.LBB128_154:                            ;   Parent Loop BB128_151 Depth=1
                                        ; =>  This Inner Loop Header: Depth=2
	global_load_dword v22, v[26:27], off sc1
	s_waitcnt vmcnt(0)
	v_cmp_lt_u32_e64 s[0:1], s14, v22
	s_or_b64 s[10:11], s[0:1], s[10:11]
	s_andn2_b64 exec, exec, s[10:11]
	s_cbranch_execnz .LBB128_154
	s_branch .LBB128_149
.LBB128_155:                            ;   in Loop: Header=BB128_151 Depth=1
                                        ; implicit-def: $sgpr15
	s_and_b64 s[6:7], exec, s[0:1]
	s_or_b64 s[4:5], s[6:7], s[4:5]
	s_andn2_b64 exec, exec, s[4:5]
	s_cbranch_execnz .LBB128_151
.LBB128_156:
	s_or_b64 exec, exec, s[4:5]
	v_add_u32_e32 v22, v46, v34
	v_or_b32_e32 v22, 0x80000000, v22
	global_store_dword v[24:25], v22, off sc1
	global_load_dword v22, v33, s[48:49]
	v_sub_u32_e32 v23, v46, v30
	s_waitcnt vmcnt(0)
	v_add_u32_e32 v22, v23, v22
	ds_write_b32 v33, v22
.LBB128_157:
	s_or_b64 exec, exec, s[2:3]
	v_add_u32_e32 v3, v52, v3
	v_add3_u32 v22, v28, v5, v1
	v_add3_u32 v23, v31, v29, v49
	;; [unrolled: 1-line block ×7, first 2 shown]
	v_mov_b32_e32 v53, 0x400
	s_mov_b32 s2, -1
	s_mov_b32 s6, s52
	s_mov_b32 s7, s13
	s_movk_i32 s10, 0x400
	v_lshl_add_u32 v24, v24, 3, v53
	v_add3_u32 v25, v47, v43, v45
	v_lshl_add_u32 v26, v26, 3, v53
	v_add3_u32 v27, v44, v37, v42
	;; [unrolled: 2-line block ×7, first 2 shown]
	v_lshl_add_u32 v41, v3, 3, v53
	s_mov_b32 s11, 0
	s_mov_b32 s14, 0
	s_movk_i32 s15, 0x800
	v_add_u32_e32 v42, v33, v33
	s_brev_b32 s3, -2
	v_bfrev_b32_e32 v1, 1
	v_mov_b32_e32 v23, 0
	v_mov_b32_e32 v5, v2
	s_mov_b32 s16, 0
	s_branch .LBB128_159
.LBB128_158:                            ;   in Loop: Header=BB128_159 Depth=1
	s_or_b64 exec, exec, s[4:5]
	s_waitcnt lgkmcnt(0)
	s_barrier
	ds_read2st64_b64 v[44:47], v42 offset0:2 offset1:18
	s_addk_i32 s16, 0xc000
	s_addk_i32 s14, 0xf800
	s_waitcnt lgkmcnt(0)
	v_cmp_lt_i64_e64 s[0:1], -1, v[44:45]
	s_nop 1
	v_cndmask_b32_e64 v22, v1, -1, s[0:1]
	v_cmp_lt_i64_e64 s[0:1], -1, v[46:47]
	v_ashrrev_i32_e32 v43, 31, v45
	v_xor_b32_e32 v49, v22, v45
	v_cndmask_b32_e64 v22, v1, -1, s[0:1]
	v_cmp_ne_u64_e64 s[0:1], s[2:3], v[46:47]
	v_not_b32_e32 v43, v43
	v_xor_b32_e32 v48, v43, v44
	v_cndmask_b32_e64 v53, v1, v47, s[0:1]
	v_cndmask_b32_e64 v52, 0, v46, s[0:1]
	v_cmp_ne_u64_e64 s[0:1], s[2:3], v[44:45]
	v_lshrrev_b64 v[52:53], s6, v[52:53]
	v_xor_b32_e32 v51, v22, v47
	v_cndmask_b32_e64 v45, v1, v45, s[0:1]
	v_cndmask_b32_e64 v44, 0, v44, s[0:1]
	v_lshrrev_b64 v[44:45], s52, v[44:45]
	v_and_b32_e32 v44, s13, v44
	v_lshlrev_b32_e32 v22, 2, v44
	v_and_b32_e32 v45, s7, v52
	v_ashrrev_i32_e32 v43, 31, v47
	ds_read_b32 v22, v22
	v_lshlrev_b32_e32 v47, 2, v45
	ds_read_b32 v52, v47
	v_not_b32_e32 v43, v43
	v_xor_b32_e32 v50, v43, v46
	s_waitcnt lgkmcnt(1)
	v_add_u32_e32 v22, v5, v22
	v_lshl_add_u64 v[46:47], v[22:23], 3, s[42:43]
	s_waitcnt lgkmcnt(0)
	v_add3_u32 v22, v5, v52, s10
	global_store_dwordx2 v[46:47], v[48:49], off
	v_lshl_add_u64 v[46:47], v[22:23], 3, s[42:43]
	global_store_dwordx2 v[46:47], v[50:51], off
	scratch_store_dwordx2 off, v[44:45], s11
	s_add_i32 s11, s11, 8
	s_cmp_eq_u32 s16, 0xffff0000
	v_add_u32_e32 v5, 0x800, v5
	s_barrier
	s_cbranch_scc1 .LBB128_175
.LBB128_159:                            ; =>This Inner Loop Header: Depth=1
	v_add_u32_e32 v22, s14, v3
	v_cmp_gt_u32_e64 s[0:1], s15, v22
	s_and_saveexec_b64 s[4:5], s[0:1]
; %bb.160:                              ;   in Loop: Header=BB128_159 Depth=1
	v_add_u32_e32 v22, s16, v41
	ds_write_b64 v22, v[6:7]
; %bb.161:                              ;   in Loop: Header=BB128_159 Depth=1
	s_or_b64 exec, exec, s[4:5]
	v_add_u32_e32 v22, s14, v28
	v_cmp_gt_u32_e64 s[0:1], s15, v22
	s_and_saveexec_b64 s[4:5], s[0:1]
; %bb.162:                              ;   in Loop: Header=BB128_159 Depth=1
	v_add_u32_e32 v22, s16, v31
	ds_write_b64 v22, v[8:9]
; %bb.163:                              ;   in Loop: Header=BB128_159 Depth=1
	s_or_b64 exec, exec, s[4:5]
	v_add_u32_e32 v22, s14, v29
	v_cmp_gt_u32_e64 s[0:1], s15, v22
	s_and_saveexec_b64 s[4:5], s[0:1]
; %bb.164:                              ;   in Loop: Header=BB128_159 Depth=1
	v_add_u32_e32 v22, s16, v35
	ds_write_b64 v22, v[10:11]
; %bb.165:                              ;   in Loop: Header=BB128_159 Depth=1
	s_or_b64 exec, exec, s[4:5]
	v_add_u32_e32 v22, s14, v32
	v_cmp_gt_u32_e64 s[0:1], s15, v22
	s_and_saveexec_b64 s[4:5], s[0:1]
; %bb.166:                              ;   in Loop: Header=BB128_159 Depth=1
	v_add_u32_e32 v22, s16, v38
	ds_write_b64 v22, v[12:13]
; %bb.167:                              ;   in Loop: Header=BB128_159 Depth=1
	s_or_b64 exec, exec, s[4:5]
	v_add_u32_e32 v22, s14, v36
	v_cmp_gt_u32_e64 s[0:1], s15, v22
	s_and_saveexec_b64 s[4:5], s[0:1]
; %bb.168:                              ;   in Loop: Header=BB128_159 Depth=1
	v_add_u32_e32 v22, s16, v40
	ds_write_b64 v22, v[14:15]
; %bb.169:                              ;   in Loop: Header=BB128_159 Depth=1
	s_or_b64 exec, exec, s[4:5]
	v_add_u32_e32 v22, s14, v39
	v_cmp_gt_u32_e64 s[0:1], s15, v22
	s_and_saveexec_b64 s[4:5], s[0:1]
; %bb.170:                              ;   in Loop: Header=BB128_159 Depth=1
	v_add_u32_e32 v22, s16, v37
	ds_write_b64 v22, v[18:19]
; %bb.171:                              ;   in Loop: Header=BB128_159 Depth=1
	s_or_b64 exec, exec, s[4:5]
	v_add_u32_e32 v22, s14, v27
	v_cmp_gt_u32_e64 s[0:1], s15, v22
	s_and_saveexec_b64 s[4:5], s[0:1]
; %bb.172:                              ;   in Loop: Header=BB128_159 Depth=1
	v_add_u32_e32 v22, s16, v26
	ds_write_b64 v22, v[20:21]
; %bb.173:                              ;   in Loop: Header=BB128_159 Depth=1
	s_or_b64 exec, exec, s[4:5]
	v_add_u32_e32 v22, s14, v25
	v_cmp_gt_u32_e64 s[0:1], s15, v22
	s_and_saveexec_b64 s[4:5], s[0:1]
	s_cbranch_execz .LBB128_158
; %bb.174:                              ;   in Loop: Header=BB128_159 Depth=1
	v_add_u32_e32 v22, s16, v24
	ds_write_b64 v22, v[16:17]
	s_branch .LBB128_158
.LBB128_175:
	s_add_u32 s0, s44, s8
	s_addc_u32 s1, s45, s9
	v_mov_b32_e32 v1, 0
	v_lshl_add_u64 v[6:7], s[0:1], 0, v[0:1]
	v_mov_b32_e32 v5, v1
	v_lshl_add_u64 v[20:21], v[6:7], 0, v[4:5]
	global_load_dwordx2 v[4:5], v[20:21], off
	global_load_dwordx2 v[6:7], v[20:21], off offset:512
	global_load_dwordx2 v[8:9], v[20:21], off offset:1024
	;; [unrolled: 1-line block ×7, first 2 shown]
	s_mov_b32 s4, 0
	s_mov_b32 s5, 0
	s_movk_i32 s6, 0x800
	s_movk_i32 s7, 0x400
	s_mov_b32 s8, 0
	s_branch .LBB128_177
.LBB128_176:                            ;   in Loop: Header=BB128_177 Depth=1
	s_or_b64 exec, exec, s[2:3]
	s_waitcnt lgkmcnt(0)
	s_barrier
	scratch_load_dwordx2 v[44:45], off, s4
	ds_read2st64_b64 v[20:23], v42 offset0:2 offset1:18
	s_addk_i32 s8, 0xc000
	s_addk_i32 s5, 0xf800
	s_add_i32 s4, s4, 8
	s_cmp_eq_u32 s8, 0xffff0000
	s_waitcnt vmcnt(0)
	v_lshlrev_b32_e32 v0, 2, v44
	ds_read_b32 v0, v0
	v_lshlrev_b32_e32 v43, 2, v45
	ds_read_b32 v43, v43
	s_waitcnt lgkmcnt(1)
	v_add_u32_e32 v0, v2, v0
	v_lshl_add_u64 v[44:45], v[0:1], 3, s[46:47]
	s_waitcnt lgkmcnt(0)
	v_add3_u32 v0, v2, v43, s7
	global_store_dwordx2 v[44:45], v[20:21], off
	v_lshl_add_u64 v[20:21], v[0:1], 3, s[46:47]
	v_add_u32_e32 v2, 0x800, v2
	global_store_dwordx2 v[20:21], v[22:23], off
	s_barrier
	s_cbranch_scc1 .LBB128_193
.LBB128_177:                            ; =>This Inner Loop Header: Depth=1
	v_add_u32_e32 v0, s5, v3
	v_cmp_gt_u32_e64 s[0:1], s6, v0
	s_and_saveexec_b64 s[2:3], s[0:1]
	s_cbranch_execz .LBB128_179
; %bb.178:                              ;   in Loop: Header=BB128_177 Depth=1
	v_add_u32_e32 v0, s8, v41
	s_waitcnt vmcnt(7)
	ds_write_b64 v0, v[4:5]
.LBB128_179:                            ;   in Loop: Header=BB128_177 Depth=1
	s_or_b64 exec, exec, s[2:3]
	v_add_u32_e32 v0, s5, v28
	v_cmp_gt_u32_e64 s[0:1], s6, v0
	s_and_saveexec_b64 s[2:3], s[0:1]
	s_cbranch_execz .LBB128_181
; %bb.180:                              ;   in Loop: Header=BB128_177 Depth=1
	v_add_u32_e32 v0, s8, v31
	s_waitcnt vmcnt(6)
	ds_write_b64 v0, v[6:7]
.LBB128_181:                            ;   in Loop: Header=BB128_177 Depth=1
	s_or_b64 exec, exec, s[2:3]
	;; [unrolled: 10-line block ×7, first 2 shown]
	v_add_u32_e32 v0, s5, v25
	v_cmp_gt_u32_e64 s[0:1], s6, v0
	s_and_saveexec_b64 s[2:3], s[0:1]
	s_cbranch_execz .LBB128_176
; %bb.192:                              ;   in Loop: Header=BB128_177 Depth=1
	v_add_u32_e32 v0, s8, v24
	s_waitcnt vmcnt(0)
	ds_write_b64 v0, v[18:19]
	s_branch .LBB128_176
.LBB128_193:
	s_add_i32 s12, s12, -1
	s_cmp_eq_u32 s33, s12
	s_cselect_b64 s[0:1], -1, 0
	s_xor_b64 s[2:3], vcc, -1
	s_and_b64 s[0:1], s[2:3], s[0:1]
	s_and_saveexec_b64 s[2:3], s[0:1]
	s_cbranch_execz .LBB128_195
; %bb.194:
	ds_read_b32 v0, v33
	s_waitcnt lgkmcnt(0)
	v_add3_u32 v0, v30, v34, v0
	global_store_dword v33, v0, s[50:51]
.LBB128_195:
	s_endpgm
	.section	.rodata,"a",@progbits
	.p2align	6, 0x0
	.amdhsa_kernel _ZN7rocprim17ROCPRIM_400000_NS6detail17trampoline_kernelINS0_14default_configENS1_35radix_sort_onesweep_config_selectorIddEEZZNS1_29radix_sort_onesweep_iterationIS3_Lb0EN6thrust23THRUST_200600_302600_NS6detail15normal_iteratorINS8_10device_ptrIdEEEESD_SD_SD_jNS0_19identity_decomposerENS1_16block_id_wrapperIjLb1EEEEE10hipError_tT1_PNSt15iterator_traitsISI_E10value_typeET2_T3_PNSJ_ISO_E10value_typeET4_T5_PST_SU_PNS1_23onesweep_lookback_stateEbbT6_jjT7_P12ihipStream_tbENKUlT_T0_SI_SN_E_clIPdSD_S15_SD_EEDaS11_S12_SI_SN_EUlS11_E_NS1_11comp_targetILNS1_3genE6ELNS1_11target_archE950ELNS1_3gpuE13ELNS1_3repE0EEENS1_47radix_sort_onesweep_sort_config_static_selectorELNS0_4arch9wavefront6targetE1EEEvSI_
		.amdhsa_group_segment_fixed_size 53328
		.amdhsa_private_segment_fixed_size 48
		.amdhsa_kernarg_size 344
		.amdhsa_user_sgpr_count 4
		.amdhsa_user_sgpr_dispatch_ptr 1
		.amdhsa_user_sgpr_queue_ptr 0
		.amdhsa_user_sgpr_kernarg_segment_ptr 1
		.amdhsa_user_sgpr_dispatch_id 0
		.amdhsa_user_sgpr_kernarg_preload_length 0
		.amdhsa_user_sgpr_kernarg_preload_offset 0
		.amdhsa_user_sgpr_private_segment_size 0
		.amdhsa_uses_dynamic_stack 0
		.amdhsa_enable_private_segment 1
		.amdhsa_system_sgpr_workgroup_id_x 1
		.amdhsa_system_sgpr_workgroup_id_y 0
		.amdhsa_system_sgpr_workgroup_id_z 0
		.amdhsa_system_sgpr_workgroup_info 0
		.amdhsa_system_vgpr_workitem_id 2
		.amdhsa_next_free_vgpr 58
		.amdhsa_next_free_sgpr 59
		.amdhsa_accum_offset 60
		.amdhsa_reserve_vcc 1
		.amdhsa_float_round_mode_32 0
		.amdhsa_float_round_mode_16_64 0
		.amdhsa_float_denorm_mode_32 3
		.amdhsa_float_denorm_mode_16_64 3
		.amdhsa_dx10_clamp 1
		.amdhsa_ieee_mode 1
		.amdhsa_fp16_overflow 0
		.amdhsa_tg_split 0
		.amdhsa_exception_fp_ieee_invalid_op 0
		.amdhsa_exception_fp_denorm_src 0
		.amdhsa_exception_fp_ieee_div_zero 0
		.amdhsa_exception_fp_ieee_overflow 0
		.amdhsa_exception_fp_ieee_underflow 0
		.amdhsa_exception_fp_ieee_inexact 0
		.amdhsa_exception_int_div_zero 0
	.end_amdhsa_kernel
	.section	.text._ZN7rocprim17ROCPRIM_400000_NS6detail17trampoline_kernelINS0_14default_configENS1_35radix_sort_onesweep_config_selectorIddEEZZNS1_29radix_sort_onesweep_iterationIS3_Lb0EN6thrust23THRUST_200600_302600_NS6detail15normal_iteratorINS8_10device_ptrIdEEEESD_SD_SD_jNS0_19identity_decomposerENS1_16block_id_wrapperIjLb1EEEEE10hipError_tT1_PNSt15iterator_traitsISI_E10value_typeET2_T3_PNSJ_ISO_E10value_typeET4_T5_PST_SU_PNS1_23onesweep_lookback_stateEbbT6_jjT7_P12ihipStream_tbENKUlT_T0_SI_SN_E_clIPdSD_S15_SD_EEDaS11_S12_SI_SN_EUlS11_E_NS1_11comp_targetILNS1_3genE6ELNS1_11target_archE950ELNS1_3gpuE13ELNS1_3repE0EEENS1_47radix_sort_onesweep_sort_config_static_selectorELNS0_4arch9wavefront6targetE1EEEvSI_,"axG",@progbits,_ZN7rocprim17ROCPRIM_400000_NS6detail17trampoline_kernelINS0_14default_configENS1_35radix_sort_onesweep_config_selectorIddEEZZNS1_29radix_sort_onesweep_iterationIS3_Lb0EN6thrust23THRUST_200600_302600_NS6detail15normal_iteratorINS8_10device_ptrIdEEEESD_SD_SD_jNS0_19identity_decomposerENS1_16block_id_wrapperIjLb1EEEEE10hipError_tT1_PNSt15iterator_traitsISI_E10value_typeET2_T3_PNSJ_ISO_E10value_typeET4_T5_PST_SU_PNS1_23onesweep_lookback_stateEbbT6_jjT7_P12ihipStream_tbENKUlT_T0_SI_SN_E_clIPdSD_S15_SD_EEDaS11_S12_SI_SN_EUlS11_E_NS1_11comp_targetILNS1_3genE6ELNS1_11target_archE950ELNS1_3gpuE13ELNS1_3repE0EEENS1_47radix_sort_onesweep_sort_config_static_selectorELNS0_4arch9wavefront6targetE1EEEvSI_,comdat
.Lfunc_end128:
	.size	_ZN7rocprim17ROCPRIM_400000_NS6detail17trampoline_kernelINS0_14default_configENS1_35radix_sort_onesweep_config_selectorIddEEZZNS1_29radix_sort_onesweep_iterationIS3_Lb0EN6thrust23THRUST_200600_302600_NS6detail15normal_iteratorINS8_10device_ptrIdEEEESD_SD_SD_jNS0_19identity_decomposerENS1_16block_id_wrapperIjLb1EEEEE10hipError_tT1_PNSt15iterator_traitsISI_E10value_typeET2_T3_PNSJ_ISO_E10value_typeET4_T5_PST_SU_PNS1_23onesweep_lookback_stateEbbT6_jjT7_P12ihipStream_tbENKUlT_T0_SI_SN_E_clIPdSD_S15_SD_EEDaS11_S12_SI_SN_EUlS11_E_NS1_11comp_targetILNS1_3genE6ELNS1_11target_archE950ELNS1_3gpuE13ELNS1_3repE0EEENS1_47radix_sort_onesweep_sort_config_static_selectorELNS0_4arch9wavefront6targetE1EEEvSI_, .Lfunc_end128-_ZN7rocprim17ROCPRIM_400000_NS6detail17trampoline_kernelINS0_14default_configENS1_35radix_sort_onesweep_config_selectorIddEEZZNS1_29radix_sort_onesweep_iterationIS3_Lb0EN6thrust23THRUST_200600_302600_NS6detail15normal_iteratorINS8_10device_ptrIdEEEESD_SD_SD_jNS0_19identity_decomposerENS1_16block_id_wrapperIjLb1EEEEE10hipError_tT1_PNSt15iterator_traitsISI_E10value_typeET2_T3_PNSJ_ISO_E10value_typeET4_T5_PST_SU_PNS1_23onesweep_lookback_stateEbbT6_jjT7_P12ihipStream_tbENKUlT_T0_SI_SN_E_clIPdSD_S15_SD_EEDaS11_S12_SI_SN_EUlS11_E_NS1_11comp_targetILNS1_3genE6ELNS1_11target_archE950ELNS1_3gpuE13ELNS1_3repE0EEENS1_47radix_sort_onesweep_sort_config_static_selectorELNS0_4arch9wavefront6targetE1EEEvSI_
                                        ; -- End function
	.set _ZN7rocprim17ROCPRIM_400000_NS6detail17trampoline_kernelINS0_14default_configENS1_35radix_sort_onesweep_config_selectorIddEEZZNS1_29radix_sort_onesweep_iterationIS3_Lb0EN6thrust23THRUST_200600_302600_NS6detail15normal_iteratorINS8_10device_ptrIdEEEESD_SD_SD_jNS0_19identity_decomposerENS1_16block_id_wrapperIjLb1EEEEE10hipError_tT1_PNSt15iterator_traitsISI_E10value_typeET2_T3_PNSJ_ISO_E10value_typeET4_T5_PST_SU_PNS1_23onesweep_lookback_stateEbbT6_jjT7_P12ihipStream_tbENKUlT_T0_SI_SN_E_clIPdSD_S15_SD_EEDaS11_S12_SI_SN_EUlS11_E_NS1_11comp_targetILNS1_3genE6ELNS1_11target_archE950ELNS1_3gpuE13ELNS1_3repE0EEENS1_47radix_sort_onesweep_sort_config_static_selectorELNS0_4arch9wavefront6targetE1EEEvSI_.num_vgpr, 58
	.set _ZN7rocprim17ROCPRIM_400000_NS6detail17trampoline_kernelINS0_14default_configENS1_35radix_sort_onesweep_config_selectorIddEEZZNS1_29radix_sort_onesweep_iterationIS3_Lb0EN6thrust23THRUST_200600_302600_NS6detail15normal_iteratorINS8_10device_ptrIdEEEESD_SD_SD_jNS0_19identity_decomposerENS1_16block_id_wrapperIjLb1EEEEE10hipError_tT1_PNSt15iterator_traitsISI_E10value_typeET2_T3_PNSJ_ISO_E10value_typeET4_T5_PST_SU_PNS1_23onesweep_lookback_stateEbbT6_jjT7_P12ihipStream_tbENKUlT_T0_SI_SN_E_clIPdSD_S15_SD_EEDaS11_S12_SI_SN_EUlS11_E_NS1_11comp_targetILNS1_3genE6ELNS1_11target_archE950ELNS1_3gpuE13ELNS1_3repE0EEENS1_47radix_sort_onesweep_sort_config_static_selectorELNS0_4arch9wavefront6targetE1EEEvSI_.num_agpr, 0
	.set _ZN7rocprim17ROCPRIM_400000_NS6detail17trampoline_kernelINS0_14default_configENS1_35radix_sort_onesweep_config_selectorIddEEZZNS1_29radix_sort_onesweep_iterationIS3_Lb0EN6thrust23THRUST_200600_302600_NS6detail15normal_iteratorINS8_10device_ptrIdEEEESD_SD_SD_jNS0_19identity_decomposerENS1_16block_id_wrapperIjLb1EEEEE10hipError_tT1_PNSt15iterator_traitsISI_E10value_typeET2_T3_PNSJ_ISO_E10value_typeET4_T5_PST_SU_PNS1_23onesweep_lookback_stateEbbT6_jjT7_P12ihipStream_tbENKUlT_T0_SI_SN_E_clIPdSD_S15_SD_EEDaS11_S12_SI_SN_EUlS11_E_NS1_11comp_targetILNS1_3genE6ELNS1_11target_archE950ELNS1_3gpuE13ELNS1_3repE0EEENS1_47radix_sort_onesweep_sort_config_static_selectorELNS0_4arch9wavefront6targetE1EEEvSI_.numbered_sgpr, 59
	.set _ZN7rocprim17ROCPRIM_400000_NS6detail17trampoline_kernelINS0_14default_configENS1_35radix_sort_onesweep_config_selectorIddEEZZNS1_29radix_sort_onesweep_iterationIS3_Lb0EN6thrust23THRUST_200600_302600_NS6detail15normal_iteratorINS8_10device_ptrIdEEEESD_SD_SD_jNS0_19identity_decomposerENS1_16block_id_wrapperIjLb1EEEEE10hipError_tT1_PNSt15iterator_traitsISI_E10value_typeET2_T3_PNSJ_ISO_E10value_typeET4_T5_PST_SU_PNS1_23onesweep_lookback_stateEbbT6_jjT7_P12ihipStream_tbENKUlT_T0_SI_SN_E_clIPdSD_S15_SD_EEDaS11_S12_SI_SN_EUlS11_E_NS1_11comp_targetILNS1_3genE6ELNS1_11target_archE950ELNS1_3gpuE13ELNS1_3repE0EEENS1_47radix_sort_onesweep_sort_config_static_selectorELNS0_4arch9wavefront6targetE1EEEvSI_.num_named_barrier, 0
	.set _ZN7rocprim17ROCPRIM_400000_NS6detail17trampoline_kernelINS0_14default_configENS1_35radix_sort_onesweep_config_selectorIddEEZZNS1_29radix_sort_onesweep_iterationIS3_Lb0EN6thrust23THRUST_200600_302600_NS6detail15normal_iteratorINS8_10device_ptrIdEEEESD_SD_SD_jNS0_19identity_decomposerENS1_16block_id_wrapperIjLb1EEEEE10hipError_tT1_PNSt15iterator_traitsISI_E10value_typeET2_T3_PNSJ_ISO_E10value_typeET4_T5_PST_SU_PNS1_23onesweep_lookback_stateEbbT6_jjT7_P12ihipStream_tbENKUlT_T0_SI_SN_E_clIPdSD_S15_SD_EEDaS11_S12_SI_SN_EUlS11_E_NS1_11comp_targetILNS1_3genE6ELNS1_11target_archE950ELNS1_3gpuE13ELNS1_3repE0EEENS1_47radix_sort_onesweep_sort_config_static_selectorELNS0_4arch9wavefront6targetE1EEEvSI_.private_seg_size, 48
	.set _ZN7rocprim17ROCPRIM_400000_NS6detail17trampoline_kernelINS0_14default_configENS1_35radix_sort_onesweep_config_selectorIddEEZZNS1_29radix_sort_onesweep_iterationIS3_Lb0EN6thrust23THRUST_200600_302600_NS6detail15normal_iteratorINS8_10device_ptrIdEEEESD_SD_SD_jNS0_19identity_decomposerENS1_16block_id_wrapperIjLb1EEEEE10hipError_tT1_PNSt15iterator_traitsISI_E10value_typeET2_T3_PNSJ_ISO_E10value_typeET4_T5_PST_SU_PNS1_23onesweep_lookback_stateEbbT6_jjT7_P12ihipStream_tbENKUlT_T0_SI_SN_E_clIPdSD_S15_SD_EEDaS11_S12_SI_SN_EUlS11_E_NS1_11comp_targetILNS1_3genE6ELNS1_11target_archE950ELNS1_3gpuE13ELNS1_3repE0EEENS1_47radix_sort_onesweep_sort_config_static_selectorELNS0_4arch9wavefront6targetE1EEEvSI_.uses_vcc, 1
	.set _ZN7rocprim17ROCPRIM_400000_NS6detail17trampoline_kernelINS0_14default_configENS1_35radix_sort_onesweep_config_selectorIddEEZZNS1_29radix_sort_onesweep_iterationIS3_Lb0EN6thrust23THRUST_200600_302600_NS6detail15normal_iteratorINS8_10device_ptrIdEEEESD_SD_SD_jNS0_19identity_decomposerENS1_16block_id_wrapperIjLb1EEEEE10hipError_tT1_PNSt15iterator_traitsISI_E10value_typeET2_T3_PNSJ_ISO_E10value_typeET4_T5_PST_SU_PNS1_23onesweep_lookback_stateEbbT6_jjT7_P12ihipStream_tbENKUlT_T0_SI_SN_E_clIPdSD_S15_SD_EEDaS11_S12_SI_SN_EUlS11_E_NS1_11comp_targetILNS1_3genE6ELNS1_11target_archE950ELNS1_3gpuE13ELNS1_3repE0EEENS1_47radix_sort_onesweep_sort_config_static_selectorELNS0_4arch9wavefront6targetE1EEEvSI_.uses_flat_scratch, 0
	.set _ZN7rocprim17ROCPRIM_400000_NS6detail17trampoline_kernelINS0_14default_configENS1_35radix_sort_onesweep_config_selectorIddEEZZNS1_29radix_sort_onesweep_iterationIS3_Lb0EN6thrust23THRUST_200600_302600_NS6detail15normal_iteratorINS8_10device_ptrIdEEEESD_SD_SD_jNS0_19identity_decomposerENS1_16block_id_wrapperIjLb1EEEEE10hipError_tT1_PNSt15iterator_traitsISI_E10value_typeET2_T3_PNSJ_ISO_E10value_typeET4_T5_PST_SU_PNS1_23onesweep_lookback_stateEbbT6_jjT7_P12ihipStream_tbENKUlT_T0_SI_SN_E_clIPdSD_S15_SD_EEDaS11_S12_SI_SN_EUlS11_E_NS1_11comp_targetILNS1_3genE6ELNS1_11target_archE950ELNS1_3gpuE13ELNS1_3repE0EEENS1_47radix_sort_onesweep_sort_config_static_selectorELNS0_4arch9wavefront6targetE1EEEvSI_.has_dyn_sized_stack, 0
	.set _ZN7rocprim17ROCPRIM_400000_NS6detail17trampoline_kernelINS0_14default_configENS1_35radix_sort_onesweep_config_selectorIddEEZZNS1_29radix_sort_onesweep_iterationIS3_Lb0EN6thrust23THRUST_200600_302600_NS6detail15normal_iteratorINS8_10device_ptrIdEEEESD_SD_SD_jNS0_19identity_decomposerENS1_16block_id_wrapperIjLb1EEEEE10hipError_tT1_PNSt15iterator_traitsISI_E10value_typeET2_T3_PNSJ_ISO_E10value_typeET4_T5_PST_SU_PNS1_23onesweep_lookback_stateEbbT6_jjT7_P12ihipStream_tbENKUlT_T0_SI_SN_E_clIPdSD_S15_SD_EEDaS11_S12_SI_SN_EUlS11_E_NS1_11comp_targetILNS1_3genE6ELNS1_11target_archE950ELNS1_3gpuE13ELNS1_3repE0EEENS1_47radix_sort_onesweep_sort_config_static_selectorELNS0_4arch9wavefront6targetE1EEEvSI_.has_recursion, 0
	.set _ZN7rocprim17ROCPRIM_400000_NS6detail17trampoline_kernelINS0_14default_configENS1_35radix_sort_onesweep_config_selectorIddEEZZNS1_29radix_sort_onesweep_iterationIS3_Lb0EN6thrust23THRUST_200600_302600_NS6detail15normal_iteratorINS8_10device_ptrIdEEEESD_SD_SD_jNS0_19identity_decomposerENS1_16block_id_wrapperIjLb1EEEEE10hipError_tT1_PNSt15iterator_traitsISI_E10value_typeET2_T3_PNSJ_ISO_E10value_typeET4_T5_PST_SU_PNS1_23onesweep_lookback_stateEbbT6_jjT7_P12ihipStream_tbENKUlT_T0_SI_SN_E_clIPdSD_S15_SD_EEDaS11_S12_SI_SN_EUlS11_E_NS1_11comp_targetILNS1_3genE6ELNS1_11target_archE950ELNS1_3gpuE13ELNS1_3repE0EEENS1_47radix_sort_onesweep_sort_config_static_selectorELNS0_4arch9wavefront6targetE1EEEvSI_.has_indirect_call, 0
	.section	.AMDGPU.csdata,"",@progbits
; Kernel info:
; codeLenInByte = 13844
; TotalNumSgprs: 65
; NumVgprs: 58
; NumAgprs: 0
; TotalNumVgprs: 58
; ScratchSize: 48
; MemoryBound: 0
; FloatMode: 240
; IeeeMode: 1
; LDSByteSize: 53328 bytes/workgroup (compile time only)
; SGPRBlocks: 8
; VGPRBlocks: 7
; NumSGPRsForWavesPerEU: 65
; NumVGPRsForWavesPerEU: 58
; AccumOffset: 60
; Occupancy: 8
; WaveLimiterHint : 1
; COMPUTE_PGM_RSRC2:SCRATCH_EN: 1
; COMPUTE_PGM_RSRC2:USER_SGPR: 4
; COMPUTE_PGM_RSRC2:TRAP_HANDLER: 0
; COMPUTE_PGM_RSRC2:TGID_X_EN: 1
; COMPUTE_PGM_RSRC2:TGID_Y_EN: 0
; COMPUTE_PGM_RSRC2:TGID_Z_EN: 0
; COMPUTE_PGM_RSRC2:TIDIG_COMP_CNT: 2
; COMPUTE_PGM_RSRC3_GFX90A:ACCUM_OFFSET: 14
; COMPUTE_PGM_RSRC3_GFX90A:TG_SPLIT: 0
	.section	.text._ZN7rocprim17ROCPRIM_400000_NS6detail17trampoline_kernelINS0_14default_configENS1_35radix_sort_onesweep_config_selectorIddEEZZNS1_29radix_sort_onesweep_iterationIS3_Lb0EN6thrust23THRUST_200600_302600_NS6detail15normal_iteratorINS8_10device_ptrIdEEEESD_SD_SD_jNS0_19identity_decomposerENS1_16block_id_wrapperIjLb1EEEEE10hipError_tT1_PNSt15iterator_traitsISI_E10value_typeET2_T3_PNSJ_ISO_E10value_typeET4_T5_PST_SU_PNS1_23onesweep_lookback_stateEbbT6_jjT7_P12ihipStream_tbENKUlT_T0_SI_SN_E_clIPdSD_S15_SD_EEDaS11_S12_SI_SN_EUlS11_E_NS1_11comp_targetILNS1_3genE5ELNS1_11target_archE942ELNS1_3gpuE9ELNS1_3repE0EEENS1_47radix_sort_onesweep_sort_config_static_selectorELNS0_4arch9wavefront6targetE1EEEvSI_,"axG",@progbits,_ZN7rocprim17ROCPRIM_400000_NS6detail17trampoline_kernelINS0_14default_configENS1_35radix_sort_onesweep_config_selectorIddEEZZNS1_29radix_sort_onesweep_iterationIS3_Lb0EN6thrust23THRUST_200600_302600_NS6detail15normal_iteratorINS8_10device_ptrIdEEEESD_SD_SD_jNS0_19identity_decomposerENS1_16block_id_wrapperIjLb1EEEEE10hipError_tT1_PNSt15iterator_traitsISI_E10value_typeET2_T3_PNSJ_ISO_E10value_typeET4_T5_PST_SU_PNS1_23onesweep_lookback_stateEbbT6_jjT7_P12ihipStream_tbENKUlT_T0_SI_SN_E_clIPdSD_S15_SD_EEDaS11_S12_SI_SN_EUlS11_E_NS1_11comp_targetILNS1_3genE5ELNS1_11target_archE942ELNS1_3gpuE9ELNS1_3repE0EEENS1_47radix_sort_onesweep_sort_config_static_selectorELNS0_4arch9wavefront6targetE1EEEvSI_,comdat
	.protected	_ZN7rocprim17ROCPRIM_400000_NS6detail17trampoline_kernelINS0_14default_configENS1_35radix_sort_onesweep_config_selectorIddEEZZNS1_29radix_sort_onesweep_iterationIS3_Lb0EN6thrust23THRUST_200600_302600_NS6detail15normal_iteratorINS8_10device_ptrIdEEEESD_SD_SD_jNS0_19identity_decomposerENS1_16block_id_wrapperIjLb1EEEEE10hipError_tT1_PNSt15iterator_traitsISI_E10value_typeET2_T3_PNSJ_ISO_E10value_typeET4_T5_PST_SU_PNS1_23onesweep_lookback_stateEbbT6_jjT7_P12ihipStream_tbENKUlT_T0_SI_SN_E_clIPdSD_S15_SD_EEDaS11_S12_SI_SN_EUlS11_E_NS1_11comp_targetILNS1_3genE5ELNS1_11target_archE942ELNS1_3gpuE9ELNS1_3repE0EEENS1_47radix_sort_onesweep_sort_config_static_selectorELNS0_4arch9wavefront6targetE1EEEvSI_ ; -- Begin function _ZN7rocprim17ROCPRIM_400000_NS6detail17trampoline_kernelINS0_14default_configENS1_35radix_sort_onesweep_config_selectorIddEEZZNS1_29radix_sort_onesweep_iterationIS3_Lb0EN6thrust23THRUST_200600_302600_NS6detail15normal_iteratorINS8_10device_ptrIdEEEESD_SD_SD_jNS0_19identity_decomposerENS1_16block_id_wrapperIjLb1EEEEE10hipError_tT1_PNSt15iterator_traitsISI_E10value_typeET2_T3_PNSJ_ISO_E10value_typeET4_T5_PST_SU_PNS1_23onesweep_lookback_stateEbbT6_jjT7_P12ihipStream_tbENKUlT_T0_SI_SN_E_clIPdSD_S15_SD_EEDaS11_S12_SI_SN_EUlS11_E_NS1_11comp_targetILNS1_3genE5ELNS1_11target_archE942ELNS1_3gpuE9ELNS1_3repE0EEENS1_47radix_sort_onesweep_sort_config_static_selectorELNS0_4arch9wavefront6targetE1EEEvSI_
	.globl	_ZN7rocprim17ROCPRIM_400000_NS6detail17trampoline_kernelINS0_14default_configENS1_35radix_sort_onesweep_config_selectorIddEEZZNS1_29radix_sort_onesweep_iterationIS3_Lb0EN6thrust23THRUST_200600_302600_NS6detail15normal_iteratorINS8_10device_ptrIdEEEESD_SD_SD_jNS0_19identity_decomposerENS1_16block_id_wrapperIjLb1EEEEE10hipError_tT1_PNSt15iterator_traitsISI_E10value_typeET2_T3_PNSJ_ISO_E10value_typeET4_T5_PST_SU_PNS1_23onesweep_lookback_stateEbbT6_jjT7_P12ihipStream_tbENKUlT_T0_SI_SN_E_clIPdSD_S15_SD_EEDaS11_S12_SI_SN_EUlS11_E_NS1_11comp_targetILNS1_3genE5ELNS1_11target_archE942ELNS1_3gpuE9ELNS1_3repE0EEENS1_47radix_sort_onesweep_sort_config_static_selectorELNS0_4arch9wavefront6targetE1EEEvSI_
	.p2align	8
	.type	_ZN7rocprim17ROCPRIM_400000_NS6detail17trampoline_kernelINS0_14default_configENS1_35radix_sort_onesweep_config_selectorIddEEZZNS1_29radix_sort_onesweep_iterationIS3_Lb0EN6thrust23THRUST_200600_302600_NS6detail15normal_iteratorINS8_10device_ptrIdEEEESD_SD_SD_jNS0_19identity_decomposerENS1_16block_id_wrapperIjLb1EEEEE10hipError_tT1_PNSt15iterator_traitsISI_E10value_typeET2_T3_PNSJ_ISO_E10value_typeET4_T5_PST_SU_PNS1_23onesweep_lookback_stateEbbT6_jjT7_P12ihipStream_tbENKUlT_T0_SI_SN_E_clIPdSD_S15_SD_EEDaS11_S12_SI_SN_EUlS11_E_NS1_11comp_targetILNS1_3genE5ELNS1_11target_archE942ELNS1_3gpuE9ELNS1_3repE0EEENS1_47radix_sort_onesweep_sort_config_static_selectorELNS0_4arch9wavefront6targetE1EEEvSI_,@function
_ZN7rocprim17ROCPRIM_400000_NS6detail17trampoline_kernelINS0_14default_configENS1_35radix_sort_onesweep_config_selectorIddEEZZNS1_29radix_sort_onesweep_iterationIS3_Lb0EN6thrust23THRUST_200600_302600_NS6detail15normal_iteratorINS8_10device_ptrIdEEEESD_SD_SD_jNS0_19identity_decomposerENS1_16block_id_wrapperIjLb1EEEEE10hipError_tT1_PNSt15iterator_traitsISI_E10value_typeET2_T3_PNSJ_ISO_E10value_typeET4_T5_PST_SU_PNS1_23onesweep_lookback_stateEbbT6_jjT7_P12ihipStream_tbENKUlT_T0_SI_SN_E_clIPdSD_S15_SD_EEDaS11_S12_SI_SN_EUlS11_E_NS1_11comp_targetILNS1_3genE5ELNS1_11target_archE942ELNS1_3gpuE9ELNS1_3repE0EEENS1_47radix_sort_onesweep_sort_config_static_selectorELNS0_4arch9wavefront6targetE1EEEvSI_: ; @_ZN7rocprim17ROCPRIM_400000_NS6detail17trampoline_kernelINS0_14default_configENS1_35radix_sort_onesweep_config_selectorIddEEZZNS1_29radix_sort_onesweep_iterationIS3_Lb0EN6thrust23THRUST_200600_302600_NS6detail15normal_iteratorINS8_10device_ptrIdEEEESD_SD_SD_jNS0_19identity_decomposerENS1_16block_id_wrapperIjLb1EEEEE10hipError_tT1_PNSt15iterator_traitsISI_E10value_typeET2_T3_PNSJ_ISO_E10value_typeET4_T5_PST_SU_PNS1_23onesweep_lookback_stateEbbT6_jjT7_P12ihipStream_tbENKUlT_T0_SI_SN_E_clIPdSD_S15_SD_EEDaS11_S12_SI_SN_EUlS11_E_NS1_11comp_targetILNS1_3genE5ELNS1_11target_archE942ELNS1_3gpuE9ELNS1_3repE0EEENS1_47radix_sort_onesweep_sort_config_static_selectorELNS0_4arch9wavefront6targetE1EEEvSI_
; %bb.0:
	.section	.rodata,"a",@progbits
	.p2align	6, 0x0
	.amdhsa_kernel _ZN7rocprim17ROCPRIM_400000_NS6detail17trampoline_kernelINS0_14default_configENS1_35radix_sort_onesweep_config_selectorIddEEZZNS1_29radix_sort_onesweep_iterationIS3_Lb0EN6thrust23THRUST_200600_302600_NS6detail15normal_iteratorINS8_10device_ptrIdEEEESD_SD_SD_jNS0_19identity_decomposerENS1_16block_id_wrapperIjLb1EEEEE10hipError_tT1_PNSt15iterator_traitsISI_E10value_typeET2_T3_PNSJ_ISO_E10value_typeET4_T5_PST_SU_PNS1_23onesweep_lookback_stateEbbT6_jjT7_P12ihipStream_tbENKUlT_T0_SI_SN_E_clIPdSD_S15_SD_EEDaS11_S12_SI_SN_EUlS11_E_NS1_11comp_targetILNS1_3genE5ELNS1_11target_archE942ELNS1_3gpuE9ELNS1_3repE0EEENS1_47radix_sort_onesweep_sort_config_static_selectorELNS0_4arch9wavefront6targetE1EEEvSI_
		.amdhsa_group_segment_fixed_size 0
		.amdhsa_private_segment_fixed_size 0
		.amdhsa_kernarg_size 88
		.amdhsa_user_sgpr_count 2
		.amdhsa_user_sgpr_dispatch_ptr 0
		.amdhsa_user_sgpr_queue_ptr 0
		.amdhsa_user_sgpr_kernarg_segment_ptr 1
		.amdhsa_user_sgpr_dispatch_id 0
		.amdhsa_user_sgpr_kernarg_preload_length 0
		.amdhsa_user_sgpr_kernarg_preload_offset 0
		.amdhsa_user_sgpr_private_segment_size 0
		.amdhsa_uses_dynamic_stack 0
		.amdhsa_enable_private_segment 0
		.amdhsa_system_sgpr_workgroup_id_x 1
		.amdhsa_system_sgpr_workgroup_id_y 0
		.amdhsa_system_sgpr_workgroup_id_z 0
		.amdhsa_system_sgpr_workgroup_info 0
		.amdhsa_system_vgpr_workitem_id 0
		.amdhsa_next_free_vgpr 1
		.amdhsa_next_free_sgpr 0
		.amdhsa_accum_offset 4
		.amdhsa_reserve_vcc 0
		.amdhsa_float_round_mode_32 0
		.amdhsa_float_round_mode_16_64 0
		.amdhsa_float_denorm_mode_32 3
		.amdhsa_float_denorm_mode_16_64 3
		.amdhsa_dx10_clamp 1
		.amdhsa_ieee_mode 1
		.amdhsa_fp16_overflow 0
		.amdhsa_tg_split 0
		.amdhsa_exception_fp_ieee_invalid_op 0
		.amdhsa_exception_fp_denorm_src 0
		.amdhsa_exception_fp_ieee_div_zero 0
		.amdhsa_exception_fp_ieee_overflow 0
		.amdhsa_exception_fp_ieee_underflow 0
		.amdhsa_exception_fp_ieee_inexact 0
		.amdhsa_exception_int_div_zero 0
	.end_amdhsa_kernel
	.section	.text._ZN7rocprim17ROCPRIM_400000_NS6detail17trampoline_kernelINS0_14default_configENS1_35radix_sort_onesweep_config_selectorIddEEZZNS1_29radix_sort_onesweep_iterationIS3_Lb0EN6thrust23THRUST_200600_302600_NS6detail15normal_iteratorINS8_10device_ptrIdEEEESD_SD_SD_jNS0_19identity_decomposerENS1_16block_id_wrapperIjLb1EEEEE10hipError_tT1_PNSt15iterator_traitsISI_E10value_typeET2_T3_PNSJ_ISO_E10value_typeET4_T5_PST_SU_PNS1_23onesweep_lookback_stateEbbT6_jjT7_P12ihipStream_tbENKUlT_T0_SI_SN_E_clIPdSD_S15_SD_EEDaS11_S12_SI_SN_EUlS11_E_NS1_11comp_targetILNS1_3genE5ELNS1_11target_archE942ELNS1_3gpuE9ELNS1_3repE0EEENS1_47radix_sort_onesweep_sort_config_static_selectorELNS0_4arch9wavefront6targetE1EEEvSI_,"axG",@progbits,_ZN7rocprim17ROCPRIM_400000_NS6detail17trampoline_kernelINS0_14default_configENS1_35radix_sort_onesweep_config_selectorIddEEZZNS1_29radix_sort_onesweep_iterationIS3_Lb0EN6thrust23THRUST_200600_302600_NS6detail15normal_iteratorINS8_10device_ptrIdEEEESD_SD_SD_jNS0_19identity_decomposerENS1_16block_id_wrapperIjLb1EEEEE10hipError_tT1_PNSt15iterator_traitsISI_E10value_typeET2_T3_PNSJ_ISO_E10value_typeET4_T5_PST_SU_PNS1_23onesweep_lookback_stateEbbT6_jjT7_P12ihipStream_tbENKUlT_T0_SI_SN_E_clIPdSD_S15_SD_EEDaS11_S12_SI_SN_EUlS11_E_NS1_11comp_targetILNS1_3genE5ELNS1_11target_archE942ELNS1_3gpuE9ELNS1_3repE0EEENS1_47radix_sort_onesweep_sort_config_static_selectorELNS0_4arch9wavefront6targetE1EEEvSI_,comdat
.Lfunc_end129:
	.size	_ZN7rocprim17ROCPRIM_400000_NS6detail17trampoline_kernelINS0_14default_configENS1_35radix_sort_onesweep_config_selectorIddEEZZNS1_29radix_sort_onesweep_iterationIS3_Lb0EN6thrust23THRUST_200600_302600_NS6detail15normal_iteratorINS8_10device_ptrIdEEEESD_SD_SD_jNS0_19identity_decomposerENS1_16block_id_wrapperIjLb1EEEEE10hipError_tT1_PNSt15iterator_traitsISI_E10value_typeET2_T3_PNSJ_ISO_E10value_typeET4_T5_PST_SU_PNS1_23onesweep_lookback_stateEbbT6_jjT7_P12ihipStream_tbENKUlT_T0_SI_SN_E_clIPdSD_S15_SD_EEDaS11_S12_SI_SN_EUlS11_E_NS1_11comp_targetILNS1_3genE5ELNS1_11target_archE942ELNS1_3gpuE9ELNS1_3repE0EEENS1_47radix_sort_onesweep_sort_config_static_selectorELNS0_4arch9wavefront6targetE1EEEvSI_, .Lfunc_end129-_ZN7rocprim17ROCPRIM_400000_NS6detail17trampoline_kernelINS0_14default_configENS1_35radix_sort_onesweep_config_selectorIddEEZZNS1_29radix_sort_onesweep_iterationIS3_Lb0EN6thrust23THRUST_200600_302600_NS6detail15normal_iteratorINS8_10device_ptrIdEEEESD_SD_SD_jNS0_19identity_decomposerENS1_16block_id_wrapperIjLb1EEEEE10hipError_tT1_PNSt15iterator_traitsISI_E10value_typeET2_T3_PNSJ_ISO_E10value_typeET4_T5_PST_SU_PNS1_23onesweep_lookback_stateEbbT6_jjT7_P12ihipStream_tbENKUlT_T0_SI_SN_E_clIPdSD_S15_SD_EEDaS11_S12_SI_SN_EUlS11_E_NS1_11comp_targetILNS1_3genE5ELNS1_11target_archE942ELNS1_3gpuE9ELNS1_3repE0EEENS1_47radix_sort_onesweep_sort_config_static_selectorELNS0_4arch9wavefront6targetE1EEEvSI_
                                        ; -- End function
	.set _ZN7rocprim17ROCPRIM_400000_NS6detail17trampoline_kernelINS0_14default_configENS1_35radix_sort_onesweep_config_selectorIddEEZZNS1_29radix_sort_onesweep_iterationIS3_Lb0EN6thrust23THRUST_200600_302600_NS6detail15normal_iteratorINS8_10device_ptrIdEEEESD_SD_SD_jNS0_19identity_decomposerENS1_16block_id_wrapperIjLb1EEEEE10hipError_tT1_PNSt15iterator_traitsISI_E10value_typeET2_T3_PNSJ_ISO_E10value_typeET4_T5_PST_SU_PNS1_23onesweep_lookback_stateEbbT6_jjT7_P12ihipStream_tbENKUlT_T0_SI_SN_E_clIPdSD_S15_SD_EEDaS11_S12_SI_SN_EUlS11_E_NS1_11comp_targetILNS1_3genE5ELNS1_11target_archE942ELNS1_3gpuE9ELNS1_3repE0EEENS1_47radix_sort_onesweep_sort_config_static_selectorELNS0_4arch9wavefront6targetE1EEEvSI_.num_vgpr, 0
	.set _ZN7rocprim17ROCPRIM_400000_NS6detail17trampoline_kernelINS0_14default_configENS1_35radix_sort_onesweep_config_selectorIddEEZZNS1_29radix_sort_onesweep_iterationIS3_Lb0EN6thrust23THRUST_200600_302600_NS6detail15normal_iteratorINS8_10device_ptrIdEEEESD_SD_SD_jNS0_19identity_decomposerENS1_16block_id_wrapperIjLb1EEEEE10hipError_tT1_PNSt15iterator_traitsISI_E10value_typeET2_T3_PNSJ_ISO_E10value_typeET4_T5_PST_SU_PNS1_23onesweep_lookback_stateEbbT6_jjT7_P12ihipStream_tbENKUlT_T0_SI_SN_E_clIPdSD_S15_SD_EEDaS11_S12_SI_SN_EUlS11_E_NS1_11comp_targetILNS1_3genE5ELNS1_11target_archE942ELNS1_3gpuE9ELNS1_3repE0EEENS1_47radix_sort_onesweep_sort_config_static_selectorELNS0_4arch9wavefront6targetE1EEEvSI_.num_agpr, 0
	.set _ZN7rocprim17ROCPRIM_400000_NS6detail17trampoline_kernelINS0_14default_configENS1_35radix_sort_onesweep_config_selectorIddEEZZNS1_29radix_sort_onesweep_iterationIS3_Lb0EN6thrust23THRUST_200600_302600_NS6detail15normal_iteratorINS8_10device_ptrIdEEEESD_SD_SD_jNS0_19identity_decomposerENS1_16block_id_wrapperIjLb1EEEEE10hipError_tT1_PNSt15iterator_traitsISI_E10value_typeET2_T3_PNSJ_ISO_E10value_typeET4_T5_PST_SU_PNS1_23onesweep_lookback_stateEbbT6_jjT7_P12ihipStream_tbENKUlT_T0_SI_SN_E_clIPdSD_S15_SD_EEDaS11_S12_SI_SN_EUlS11_E_NS1_11comp_targetILNS1_3genE5ELNS1_11target_archE942ELNS1_3gpuE9ELNS1_3repE0EEENS1_47radix_sort_onesweep_sort_config_static_selectorELNS0_4arch9wavefront6targetE1EEEvSI_.numbered_sgpr, 0
	.set _ZN7rocprim17ROCPRIM_400000_NS6detail17trampoline_kernelINS0_14default_configENS1_35radix_sort_onesweep_config_selectorIddEEZZNS1_29radix_sort_onesweep_iterationIS3_Lb0EN6thrust23THRUST_200600_302600_NS6detail15normal_iteratorINS8_10device_ptrIdEEEESD_SD_SD_jNS0_19identity_decomposerENS1_16block_id_wrapperIjLb1EEEEE10hipError_tT1_PNSt15iterator_traitsISI_E10value_typeET2_T3_PNSJ_ISO_E10value_typeET4_T5_PST_SU_PNS1_23onesweep_lookback_stateEbbT6_jjT7_P12ihipStream_tbENKUlT_T0_SI_SN_E_clIPdSD_S15_SD_EEDaS11_S12_SI_SN_EUlS11_E_NS1_11comp_targetILNS1_3genE5ELNS1_11target_archE942ELNS1_3gpuE9ELNS1_3repE0EEENS1_47radix_sort_onesweep_sort_config_static_selectorELNS0_4arch9wavefront6targetE1EEEvSI_.num_named_barrier, 0
	.set _ZN7rocprim17ROCPRIM_400000_NS6detail17trampoline_kernelINS0_14default_configENS1_35radix_sort_onesweep_config_selectorIddEEZZNS1_29radix_sort_onesweep_iterationIS3_Lb0EN6thrust23THRUST_200600_302600_NS6detail15normal_iteratorINS8_10device_ptrIdEEEESD_SD_SD_jNS0_19identity_decomposerENS1_16block_id_wrapperIjLb1EEEEE10hipError_tT1_PNSt15iterator_traitsISI_E10value_typeET2_T3_PNSJ_ISO_E10value_typeET4_T5_PST_SU_PNS1_23onesweep_lookback_stateEbbT6_jjT7_P12ihipStream_tbENKUlT_T0_SI_SN_E_clIPdSD_S15_SD_EEDaS11_S12_SI_SN_EUlS11_E_NS1_11comp_targetILNS1_3genE5ELNS1_11target_archE942ELNS1_3gpuE9ELNS1_3repE0EEENS1_47radix_sort_onesweep_sort_config_static_selectorELNS0_4arch9wavefront6targetE1EEEvSI_.private_seg_size, 0
	.set _ZN7rocprim17ROCPRIM_400000_NS6detail17trampoline_kernelINS0_14default_configENS1_35radix_sort_onesweep_config_selectorIddEEZZNS1_29radix_sort_onesweep_iterationIS3_Lb0EN6thrust23THRUST_200600_302600_NS6detail15normal_iteratorINS8_10device_ptrIdEEEESD_SD_SD_jNS0_19identity_decomposerENS1_16block_id_wrapperIjLb1EEEEE10hipError_tT1_PNSt15iterator_traitsISI_E10value_typeET2_T3_PNSJ_ISO_E10value_typeET4_T5_PST_SU_PNS1_23onesweep_lookback_stateEbbT6_jjT7_P12ihipStream_tbENKUlT_T0_SI_SN_E_clIPdSD_S15_SD_EEDaS11_S12_SI_SN_EUlS11_E_NS1_11comp_targetILNS1_3genE5ELNS1_11target_archE942ELNS1_3gpuE9ELNS1_3repE0EEENS1_47radix_sort_onesweep_sort_config_static_selectorELNS0_4arch9wavefront6targetE1EEEvSI_.uses_vcc, 0
	.set _ZN7rocprim17ROCPRIM_400000_NS6detail17trampoline_kernelINS0_14default_configENS1_35radix_sort_onesweep_config_selectorIddEEZZNS1_29radix_sort_onesweep_iterationIS3_Lb0EN6thrust23THRUST_200600_302600_NS6detail15normal_iteratorINS8_10device_ptrIdEEEESD_SD_SD_jNS0_19identity_decomposerENS1_16block_id_wrapperIjLb1EEEEE10hipError_tT1_PNSt15iterator_traitsISI_E10value_typeET2_T3_PNSJ_ISO_E10value_typeET4_T5_PST_SU_PNS1_23onesweep_lookback_stateEbbT6_jjT7_P12ihipStream_tbENKUlT_T0_SI_SN_E_clIPdSD_S15_SD_EEDaS11_S12_SI_SN_EUlS11_E_NS1_11comp_targetILNS1_3genE5ELNS1_11target_archE942ELNS1_3gpuE9ELNS1_3repE0EEENS1_47radix_sort_onesweep_sort_config_static_selectorELNS0_4arch9wavefront6targetE1EEEvSI_.uses_flat_scratch, 0
	.set _ZN7rocprim17ROCPRIM_400000_NS6detail17trampoline_kernelINS0_14default_configENS1_35radix_sort_onesweep_config_selectorIddEEZZNS1_29radix_sort_onesweep_iterationIS3_Lb0EN6thrust23THRUST_200600_302600_NS6detail15normal_iteratorINS8_10device_ptrIdEEEESD_SD_SD_jNS0_19identity_decomposerENS1_16block_id_wrapperIjLb1EEEEE10hipError_tT1_PNSt15iterator_traitsISI_E10value_typeET2_T3_PNSJ_ISO_E10value_typeET4_T5_PST_SU_PNS1_23onesweep_lookback_stateEbbT6_jjT7_P12ihipStream_tbENKUlT_T0_SI_SN_E_clIPdSD_S15_SD_EEDaS11_S12_SI_SN_EUlS11_E_NS1_11comp_targetILNS1_3genE5ELNS1_11target_archE942ELNS1_3gpuE9ELNS1_3repE0EEENS1_47radix_sort_onesweep_sort_config_static_selectorELNS0_4arch9wavefront6targetE1EEEvSI_.has_dyn_sized_stack, 0
	.set _ZN7rocprim17ROCPRIM_400000_NS6detail17trampoline_kernelINS0_14default_configENS1_35radix_sort_onesweep_config_selectorIddEEZZNS1_29radix_sort_onesweep_iterationIS3_Lb0EN6thrust23THRUST_200600_302600_NS6detail15normal_iteratorINS8_10device_ptrIdEEEESD_SD_SD_jNS0_19identity_decomposerENS1_16block_id_wrapperIjLb1EEEEE10hipError_tT1_PNSt15iterator_traitsISI_E10value_typeET2_T3_PNSJ_ISO_E10value_typeET4_T5_PST_SU_PNS1_23onesweep_lookback_stateEbbT6_jjT7_P12ihipStream_tbENKUlT_T0_SI_SN_E_clIPdSD_S15_SD_EEDaS11_S12_SI_SN_EUlS11_E_NS1_11comp_targetILNS1_3genE5ELNS1_11target_archE942ELNS1_3gpuE9ELNS1_3repE0EEENS1_47radix_sort_onesweep_sort_config_static_selectorELNS0_4arch9wavefront6targetE1EEEvSI_.has_recursion, 0
	.set _ZN7rocprim17ROCPRIM_400000_NS6detail17trampoline_kernelINS0_14default_configENS1_35radix_sort_onesweep_config_selectorIddEEZZNS1_29radix_sort_onesweep_iterationIS3_Lb0EN6thrust23THRUST_200600_302600_NS6detail15normal_iteratorINS8_10device_ptrIdEEEESD_SD_SD_jNS0_19identity_decomposerENS1_16block_id_wrapperIjLb1EEEEE10hipError_tT1_PNSt15iterator_traitsISI_E10value_typeET2_T3_PNSJ_ISO_E10value_typeET4_T5_PST_SU_PNS1_23onesweep_lookback_stateEbbT6_jjT7_P12ihipStream_tbENKUlT_T0_SI_SN_E_clIPdSD_S15_SD_EEDaS11_S12_SI_SN_EUlS11_E_NS1_11comp_targetILNS1_3genE5ELNS1_11target_archE942ELNS1_3gpuE9ELNS1_3repE0EEENS1_47radix_sort_onesweep_sort_config_static_selectorELNS0_4arch9wavefront6targetE1EEEvSI_.has_indirect_call, 0
	.section	.AMDGPU.csdata,"",@progbits
; Kernel info:
; codeLenInByte = 0
; TotalNumSgprs: 6
; NumVgprs: 0
; NumAgprs: 0
; TotalNumVgprs: 0
; ScratchSize: 0
; MemoryBound: 0
; FloatMode: 240
; IeeeMode: 1
; LDSByteSize: 0 bytes/workgroup (compile time only)
; SGPRBlocks: 0
; VGPRBlocks: 0
; NumSGPRsForWavesPerEU: 6
; NumVGPRsForWavesPerEU: 1
; AccumOffset: 4
; Occupancy: 8
; WaveLimiterHint : 0
; COMPUTE_PGM_RSRC2:SCRATCH_EN: 0
; COMPUTE_PGM_RSRC2:USER_SGPR: 2
; COMPUTE_PGM_RSRC2:TRAP_HANDLER: 0
; COMPUTE_PGM_RSRC2:TGID_X_EN: 1
; COMPUTE_PGM_RSRC2:TGID_Y_EN: 0
; COMPUTE_PGM_RSRC2:TGID_Z_EN: 0
; COMPUTE_PGM_RSRC2:TIDIG_COMP_CNT: 0
; COMPUTE_PGM_RSRC3_GFX90A:ACCUM_OFFSET: 0
; COMPUTE_PGM_RSRC3_GFX90A:TG_SPLIT: 0
	.section	.text._ZN7rocprim17ROCPRIM_400000_NS6detail17trampoline_kernelINS0_14default_configENS1_35radix_sort_onesweep_config_selectorIddEEZZNS1_29radix_sort_onesweep_iterationIS3_Lb0EN6thrust23THRUST_200600_302600_NS6detail15normal_iteratorINS8_10device_ptrIdEEEESD_SD_SD_jNS0_19identity_decomposerENS1_16block_id_wrapperIjLb1EEEEE10hipError_tT1_PNSt15iterator_traitsISI_E10value_typeET2_T3_PNSJ_ISO_E10value_typeET4_T5_PST_SU_PNS1_23onesweep_lookback_stateEbbT6_jjT7_P12ihipStream_tbENKUlT_T0_SI_SN_E_clIPdSD_S15_SD_EEDaS11_S12_SI_SN_EUlS11_E_NS1_11comp_targetILNS1_3genE2ELNS1_11target_archE906ELNS1_3gpuE6ELNS1_3repE0EEENS1_47radix_sort_onesweep_sort_config_static_selectorELNS0_4arch9wavefront6targetE1EEEvSI_,"axG",@progbits,_ZN7rocprim17ROCPRIM_400000_NS6detail17trampoline_kernelINS0_14default_configENS1_35radix_sort_onesweep_config_selectorIddEEZZNS1_29radix_sort_onesweep_iterationIS3_Lb0EN6thrust23THRUST_200600_302600_NS6detail15normal_iteratorINS8_10device_ptrIdEEEESD_SD_SD_jNS0_19identity_decomposerENS1_16block_id_wrapperIjLb1EEEEE10hipError_tT1_PNSt15iterator_traitsISI_E10value_typeET2_T3_PNSJ_ISO_E10value_typeET4_T5_PST_SU_PNS1_23onesweep_lookback_stateEbbT6_jjT7_P12ihipStream_tbENKUlT_T0_SI_SN_E_clIPdSD_S15_SD_EEDaS11_S12_SI_SN_EUlS11_E_NS1_11comp_targetILNS1_3genE2ELNS1_11target_archE906ELNS1_3gpuE6ELNS1_3repE0EEENS1_47radix_sort_onesweep_sort_config_static_selectorELNS0_4arch9wavefront6targetE1EEEvSI_,comdat
	.protected	_ZN7rocprim17ROCPRIM_400000_NS6detail17trampoline_kernelINS0_14default_configENS1_35radix_sort_onesweep_config_selectorIddEEZZNS1_29radix_sort_onesweep_iterationIS3_Lb0EN6thrust23THRUST_200600_302600_NS6detail15normal_iteratorINS8_10device_ptrIdEEEESD_SD_SD_jNS0_19identity_decomposerENS1_16block_id_wrapperIjLb1EEEEE10hipError_tT1_PNSt15iterator_traitsISI_E10value_typeET2_T3_PNSJ_ISO_E10value_typeET4_T5_PST_SU_PNS1_23onesweep_lookback_stateEbbT6_jjT7_P12ihipStream_tbENKUlT_T0_SI_SN_E_clIPdSD_S15_SD_EEDaS11_S12_SI_SN_EUlS11_E_NS1_11comp_targetILNS1_3genE2ELNS1_11target_archE906ELNS1_3gpuE6ELNS1_3repE0EEENS1_47radix_sort_onesweep_sort_config_static_selectorELNS0_4arch9wavefront6targetE1EEEvSI_ ; -- Begin function _ZN7rocprim17ROCPRIM_400000_NS6detail17trampoline_kernelINS0_14default_configENS1_35radix_sort_onesweep_config_selectorIddEEZZNS1_29radix_sort_onesweep_iterationIS3_Lb0EN6thrust23THRUST_200600_302600_NS6detail15normal_iteratorINS8_10device_ptrIdEEEESD_SD_SD_jNS0_19identity_decomposerENS1_16block_id_wrapperIjLb1EEEEE10hipError_tT1_PNSt15iterator_traitsISI_E10value_typeET2_T3_PNSJ_ISO_E10value_typeET4_T5_PST_SU_PNS1_23onesweep_lookback_stateEbbT6_jjT7_P12ihipStream_tbENKUlT_T0_SI_SN_E_clIPdSD_S15_SD_EEDaS11_S12_SI_SN_EUlS11_E_NS1_11comp_targetILNS1_3genE2ELNS1_11target_archE906ELNS1_3gpuE6ELNS1_3repE0EEENS1_47radix_sort_onesweep_sort_config_static_selectorELNS0_4arch9wavefront6targetE1EEEvSI_
	.globl	_ZN7rocprim17ROCPRIM_400000_NS6detail17trampoline_kernelINS0_14default_configENS1_35radix_sort_onesweep_config_selectorIddEEZZNS1_29radix_sort_onesweep_iterationIS3_Lb0EN6thrust23THRUST_200600_302600_NS6detail15normal_iteratorINS8_10device_ptrIdEEEESD_SD_SD_jNS0_19identity_decomposerENS1_16block_id_wrapperIjLb1EEEEE10hipError_tT1_PNSt15iterator_traitsISI_E10value_typeET2_T3_PNSJ_ISO_E10value_typeET4_T5_PST_SU_PNS1_23onesweep_lookback_stateEbbT6_jjT7_P12ihipStream_tbENKUlT_T0_SI_SN_E_clIPdSD_S15_SD_EEDaS11_S12_SI_SN_EUlS11_E_NS1_11comp_targetILNS1_3genE2ELNS1_11target_archE906ELNS1_3gpuE6ELNS1_3repE0EEENS1_47radix_sort_onesweep_sort_config_static_selectorELNS0_4arch9wavefront6targetE1EEEvSI_
	.p2align	8
	.type	_ZN7rocprim17ROCPRIM_400000_NS6detail17trampoline_kernelINS0_14default_configENS1_35radix_sort_onesweep_config_selectorIddEEZZNS1_29radix_sort_onesweep_iterationIS3_Lb0EN6thrust23THRUST_200600_302600_NS6detail15normal_iteratorINS8_10device_ptrIdEEEESD_SD_SD_jNS0_19identity_decomposerENS1_16block_id_wrapperIjLb1EEEEE10hipError_tT1_PNSt15iterator_traitsISI_E10value_typeET2_T3_PNSJ_ISO_E10value_typeET4_T5_PST_SU_PNS1_23onesweep_lookback_stateEbbT6_jjT7_P12ihipStream_tbENKUlT_T0_SI_SN_E_clIPdSD_S15_SD_EEDaS11_S12_SI_SN_EUlS11_E_NS1_11comp_targetILNS1_3genE2ELNS1_11target_archE906ELNS1_3gpuE6ELNS1_3repE0EEENS1_47radix_sort_onesweep_sort_config_static_selectorELNS0_4arch9wavefront6targetE1EEEvSI_,@function
_ZN7rocprim17ROCPRIM_400000_NS6detail17trampoline_kernelINS0_14default_configENS1_35radix_sort_onesweep_config_selectorIddEEZZNS1_29radix_sort_onesweep_iterationIS3_Lb0EN6thrust23THRUST_200600_302600_NS6detail15normal_iteratorINS8_10device_ptrIdEEEESD_SD_SD_jNS0_19identity_decomposerENS1_16block_id_wrapperIjLb1EEEEE10hipError_tT1_PNSt15iterator_traitsISI_E10value_typeET2_T3_PNSJ_ISO_E10value_typeET4_T5_PST_SU_PNS1_23onesweep_lookback_stateEbbT6_jjT7_P12ihipStream_tbENKUlT_T0_SI_SN_E_clIPdSD_S15_SD_EEDaS11_S12_SI_SN_EUlS11_E_NS1_11comp_targetILNS1_3genE2ELNS1_11target_archE906ELNS1_3gpuE6ELNS1_3repE0EEENS1_47radix_sort_onesweep_sort_config_static_selectorELNS0_4arch9wavefront6targetE1EEEvSI_: ; @_ZN7rocprim17ROCPRIM_400000_NS6detail17trampoline_kernelINS0_14default_configENS1_35radix_sort_onesweep_config_selectorIddEEZZNS1_29radix_sort_onesweep_iterationIS3_Lb0EN6thrust23THRUST_200600_302600_NS6detail15normal_iteratorINS8_10device_ptrIdEEEESD_SD_SD_jNS0_19identity_decomposerENS1_16block_id_wrapperIjLb1EEEEE10hipError_tT1_PNSt15iterator_traitsISI_E10value_typeET2_T3_PNSJ_ISO_E10value_typeET4_T5_PST_SU_PNS1_23onesweep_lookback_stateEbbT6_jjT7_P12ihipStream_tbENKUlT_T0_SI_SN_E_clIPdSD_S15_SD_EEDaS11_S12_SI_SN_EUlS11_E_NS1_11comp_targetILNS1_3genE2ELNS1_11target_archE906ELNS1_3gpuE6ELNS1_3repE0EEENS1_47radix_sort_onesweep_sort_config_static_selectorELNS0_4arch9wavefront6targetE1EEEvSI_
; %bb.0:
	.section	.rodata,"a",@progbits
	.p2align	6, 0x0
	.amdhsa_kernel _ZN7rocprim17ROCPRIM_400000_NS6detail17trampoline_kernelINS0_14default_configENS1_35radix_sort_onesweep_config_selectorIddEEZZNS1_29radix_sort_onesweep_iterationIS3_Lb0EN6thrust23THRUST_200600_302600_NS6detail15normal_iteratorINS8_10device_ptrIdEEEESD_SD_SD_jNS0_19identity_decomposerENS1_16block_id_wrapperIjLb1EEEEE10hipError_tT1_PNSt15iterator_traitsISI_E10value_typeET2_T3_PNSJ_ISO_E10value_typeET4_T5_PST_SU_PNS1_23onesweep_lookback_stateEbbT6_jjT7_P12ihipStream_tbENKUlT_T0_SI_SN_E_clIPdSD_S15_SD_EEDaS11_S12_SI_SN_EUlS11_E_NS1_11comp_targetILNS1_3genE2ELNS1_11target_archE906ELNS1_3gpuE6ELNS1_3repE0EEENS1_47radix_sort_onesweep_sort_config_static_selectorELNS0_4arch9wavefront6targetE1EEEvSI_
		.amdhsa_group_segment_fixed_size 0
		.amdhsa_private_segment_fixed_size 0
		.amdhsa_kernarg_size 88
		.amdhsa_user_sgpr_count 2
		.amdhsa_user_sgpr_dispatch_ptr 0
		.amdhsa_user_sgpr_queue_ptr 0
		.amdhsa_user_sgpr_kernarg_segment_ptr 1
		.amdhsa_user_sgpr_dispatch_id 0
		.amdhsa_user_sgpr_kernarg_preload_length 0
		.amdhsa_user_sgpr_kernarg_preload_offset 0
		.amdhsa_user_sgpr_private_segment_size 0
		.amdhsa_uses_dynamic_stack 0
		.amdhsa_enable_private_segment 0
		.amdhsa_system_sgpr_workgroup_id_x 1
		.amdhsa_system_sgpr_workgroup_id_y 0
		.amdhsa_system_sgpr_workgroup_id_z 0
		.amdhsa_system_sgpr_workgroup_info 0
		.amdhsa_system_vgpr_workitem_id 0
		.amdhsa_next_free_vgpr 1
		.amdhsa_next_free_sgpr 0
		.amdhsa_accum_offset 4
		.amdhsa_reserve_vcc 0
		.amdhsa_float_round_mode_32 0
		.amdhsa_float_round_mode_16_64 0
		.amdhsa_float_denorm_mode_32 3
		.amdhsa_float_denorm_mode_16_64 3
		.amdhsa_dx10_clamp 1
		.amdhsa_ieee_mode 1
		.amdhsa_fp16_overflow 0
		.amdhsa_tg_split 0
		.amdhsa_exception_fp_ieee_invalid_op 0
		.amdhsa_exception_fp_denorm_src 0
		.amdhsa_exception_fp_ieee_div_zero 0
		.amdhsa_exception_fp_ieee_overflow 0
		.amdhsa_exception_fp_ieee_underflow 0
		.amdhsa_exception_fp_ieee_inexact 0
		.amdhsa_exception_int_div_zero 0
	.end_amdhsa_kernel
	.section	.text._ZN7rocprim17ROCPRIM_400000_NS6detail17trampoline_kernelINS0_14default_configENS1_35radix_sort_onesweep_config_selectorIddEEZZNS1_29radix_sort_onesweep_iterationIS3_Lb0EN6thrust23THRUST_200600_302600_NS6detail15normal_iteratorINS8_10device_ptrIdEEEESD_SD_SD_jNS0_19identity_decomposerENS1_16block_id_wrapperIjLb1EEEEE10hipError_tT1_PNSt15iterator_traitsISI_E10value_typeET2_T3_PNSJ_ISO_E10value_typeET4_T5_PST_SU_PNS1_23onesweep_lookback_stateEbbT6_jjT7_P12ihipStream_tbENKUlT_T0_SI_SN_E_clIPdSD_S15_SD_EEDaS11_S12_SI_SN_EUlS11_E_NS1_11comp_targetILNS1_3genE2ELNS1_11target_archE906ELNS1_3gpuE6ELNS1_3repE0EEENS1_47radix_sort_onesweep_sort_config_static_selectorELNS0_4arch9wavefront6targetE1EEEvSI_,"axG",@progbits,_ZN7rocprim17ROCPRIM_400000_NS6detail17trampoline_kernelINS0_14default_configENS1_35radix_sort_onesweep_config_selectorIddEEZZNS1_29radix_sort_onesweep_iterationIS3_Lb0EN6thrust23THRUST_200600_302600_NS6detail15normal_iteratorINS8_10device_ptrIdEEEESD_SD_SD_jNS0_19identity_decomposerENS1_16block_id_wrapperIjLb1EEEEE10hipError_tT1_PNSt15iterator_traitsISI_E10value_typeET2_T3_PNSJ_ISO_E10value_typeET4_T5_PST_SU_PNS1_23onesweep_lookback_stateEbbT6_jjT7_P12ihipStream_tbENKUlT_T0_SI_SN_E_clIPdSD_S15_SD_EEDaS11_S12_SI_SN_EUlS11_E_NS1_11comp_targetILNS1_3genE2ELNS1_11target_archE906ELNS1_3gpuE6ELNS1_3repE0EEENS1_47radix_sort_onesweep_sort_config_static_selectorELNS0_4arch9wavefront6targetE1EEEvSI_,comdat
.Lfunc_end130:
	.size	_ZN7rocprim17ROCPRIM_400000_NS6detail17trampoline_kernelINS0_14default_configENS1_35radix_sort_onesweep_config_selectorIddEEZZNS1_29radix_sort_onesweep_iterationIS3_Lb0EN6thrust23THRUST_200600_302600_NS6detail15normal_iteratorINS8_10device_ptrIdEEEESD_SD_SD_jNS0_19identity_decomposerENS1_16block_id_wrapperIjLb1EEEEE10hipError_tT1_PNSt15iterator_traitsISI_E10value_typeET2_T3_PNSJ_ISO_E10value_typeET4_T5_PST_SU_PNS1_23onesweep_lookback_stateEbbT6_jjT7_P12ihipStream_tbENKUlT_T0_SI_SN_E_clIPdSD_S15_SD_EEDaS11_S12_SI_SN_EUlS11_E_NS1_11comp_targetILNS1_3genE2ELNS1_11target_archE906ELNS1_3gpuE6ELNS1_3repE0EEENS1_47radix_sort_onesweep_sort_config_static_selectorELNS0_4arch9wavefront6targetE1EEEvSI_, .Lfunc_end130-_ZN7rocprim17ROCPRIM_400000_NS6detail17trampoline_kernelINS0_14default_configENS1_35radix_sort_onesweep_config_selectorIddEEZZNS1_29radix_sort_onesweep_iterationIS3_Lb0EN6thrust23THRUST_200600_302600_NS6detail15normal_iteratorINS8_10device_ptrIdEEEESD_SD_SD_jNS0_19identity_decomposerENS1_16block_id_wrapperIjLb1EEEEE10hipError_tT1_PNSt15iterator_traitsISI_E10value_typeET2_T3_PNSJ_ISO_E10value_typeET4_T5_PST_SU_PNS1_23onesweep_lookback_stateEbbT6_jjT7_P12ihipStream_tbENKUlT_T0_SI_SN_E_clIPdSD_S15_SD_EEDaS11_S12_SI_SN_EUlS11_E_NS1_11comp_targetILNS1_3genE2ELNS1_11target_archE906ELNS1_3gpuE6ELNS1_3repE0EEENS1_47radix_sort_onesweep_sort_config_static_selectorELNS0_4arch9wavefront6targetE1EEEvSI_
                                        ; -- End function
	.set _ZN7rocprim17ROCPRIM_400000_NS6detail17trampoline_kernelINS0_14default_configENS1_35radix_sort_onesweep_config_selectorIddEEZZNS1_29radix_sort_onesweep_iterationIS3_Lb0EN6thrust23THRUST_200600_302600_NS6detail15normal_iteratorINS8_10device_ptrIdEEEESD_SD_SD_jNS0_19identity_decomposerENS1_16block_id_wrapperIjLb1EEEEE10hipError_tT1_PNSt15iterator_traitsISI_E10value_typeET2_T3_PNSJ_ISO_E10value_typeET4_T5_PST_SU_PNS1_23onesweep_lookback_stateEbbT6_jjT7_P12ihipStream_tbENKUlT_T0_SI_SN_E_clIPdSD_S15_SD_EEDaS11_S12_SI_SN_EUlS11_E_NS1_11comp_targetILNS1_3genE2ELNS1_11target_archE906ELNS1_3gpuE6ELNS1_3repE0EEENS1_47radix_sort_onesweep_sort_config_static_selectorELNS0_4arch9wavefront6targetE1EEEvSI_.num_vgpr, 0
	.set _ZN7rocprim17ROCPRIM_400000_NS6detail17trampoline_kernelINS0_14default_configENS1_35radix_sort_onesweep_config_selectorIddEEZZNS1_29radix_sort_onesweep_iterationIS3_Lb0EN6thrust23THRUST_200600_302600_NS6detail15normal_iteratorINS8_10device_ptrIdEEEESD_SD_SD_jNS0_19identity_decomposerENS1_16block_id_wrapperIjLb1EEEEE10hipError_tT1_PNSt15iterator_traitsISI_E10value_typeET2_T3_PNSJ_ISO_E10value_typeET4_T5_PST_SU_PNS1_23onesweep_lookback_stateEbbT6_jjT7_P12ihipStream_tbENKUlT_T0_SI_SN_E_clIPdSD_S15_SD_EEDaS11_S12_SI_SN_EUlS11_E_NS1_11comp_targetILNS1_3genE2ELNS1_11target_archE906ELNS1_3gpuE6ELNS1_3repE0EEENS1_47radix_sort_onesweep_sort_config_static_selectorELNS0_4arch9wavefront6targetE1EEEvSI_.num_agpr, 0
	.set _ZN7rocprim17ROCPRIM_400000_NS6detail17trampoline_kernelINS0_14default_configENS1_35radix_sort_onesweep_config_selectorIddEEZZNS1_29radix_sort_onesweep_iterationIS3_Lb0EN6thrust23THRUST_200600_302600_NS6detail15normal_iteratorINS8_10device_ptrIdEEEESD_SD_SD_jNS0_19identity_decomposerENS1_16block_id_wrapperIjLb1EEEEE10hipError_tT1_PNSt15iterator_traitsISI_E10value_typeET2_T3_PNSJ_ISO_E10value_typeET4_T5_PST_SU_PNS1_23onesweep_lookback_stateEbbT6_jjT7_P12ihipStream_tbENKUlT_T0_SI_SN_E_clIPdSD_S15_SD_EEDaS11_S12_SI_SN_EUlS11_E_NS1_11comp_targetILNS1_3genE2ELNS1_11target_archE906ELNS1_3gpuE6ELNS1_3repE0EEENS1_47radix_sort_onesweep_sort_config_static_selectorELNS0_4arch9wavefront6targetE1EEEvSI_.numbered_sgpr, 0
	.set _ZN7rocprim17ROCPRIM_400000_NS6detail17trampoline_kernelINS0_14default_configENS1_35radix_sort_onesweep_config_selectorIddEEZZNS1_29radix_sort_onesweep_iterationIS3_Lb0EN6thrust23THRUST_200600_302600_NS6detail15normal_iteratorINS8_10device_ptrIdEEEESD_SD_SD_jNS0_19identity_decomposerENS1_16block_id_wrapperIjLb1EEEEE10hipError_tT1_PNSt15iterator_traitsISI_E10value_typeET2_T3_PNSJ_ISO_E10value_typeET4_T5_PST_SU_PNS1_23onesweep_lookback_stateEbbT6_jjT7_P12ihipStream_tbENKUlT_T0_SI_SN_E_clIPdSD_S15_SD_EEDaS11_S12_SI_SN_EUlS11_E_NS1_11comp_targetILNS1_3genE2ELNS1_11target_archE906ELNS1_3gpuE6ELNS1_3repE0EEENS1_47radix_sort_onesweep_sort_config_static_selectorELNS0_4arch9wavefront6targetE1EEEvSI_.num_named_barrier, 0
	.set _ZN7rocprim17ROCPRIM_400000_NS6detail17trampoline_kernelINS0_14default_configENS1_35radix_sort_onesweep_config_selectorIddEEZZNS1_29radix_sort_onesweep_iterationIS3_Lb0EN6thrust23THRUST_200600_302600_NS6detail15normal_iteratorINS8_10device_ptrIdEEEESD_SD_SD_jNS0_19identity_decomposerENS1_16block_id_wrapperIjLb1EEEEE10hipError_tT1_PNSt15iterator_traitsISI_E10value_typeET2_T3_PNSJ_ISO_E10value_typeET4_T5_PST_SU_PNS1_23onesweep_lookback_stateEbbT6_jjT7_P12ihipStream_tbENKUlT_T0_SI_SN_E_clIPdSD_S15_SD_EEDaS11_S12_SI_SN_EUlS11_E_NS1_11comp_targetILNS1_3genE2ELNS1_11target_archE906ELNS1_3gpuE6ELNS1_3repE0EEENS1_47radix_sort_onesweep_sort_config_static_selectorELNS0_4arch9wavefront6targetE1EEEvSI_.private_seg_size, 0
	.set _ZN7rocprim17ROCPRIM_400000_NS6detail17trampoline_kernelINS0_14default_configENS1_35radix_sort_onesweep_config_selectorIddEEZZNS1_29radix_sort_onesweep_iterationIS3_Lb0EN6thrust23THRUST_200600_302600_NS6detail15normal_iteratorINS8_10device_ptrIdEEEESD_SD_SD_jNS0_19identity_decomposerENS1_16block_id_wrapperIjLb1EEEEE10hipError_tT1_PNSt15iterator_traitsISI_E10value_typeET2_T3_PNSJ_ISO_E10value_typeET4_T5_PST_SU_PNS1_23onesweep_lookback_stateEbbT6_jjT7_P12ihipStream_tbENKUlT_T0_SI_SN_E_clIPdSD_S15_SD_EEDaS11_S12_SI_SN_EUlS11_E_NS1_11comp_targetILNS1_3genE2ELNS1_11target_archE906ELNS1_3gpuE6ELNS1_3repE0EEENS1_47radix_sort_onesweep_sort_config_static_selectorELNS0_4arch9wavefront6targetE1EEEvSI_.uses_vcc, 0
	.set _ZN7rocprim17ROCPRIM_400000_NS6detail17trampoline_kernelINS0_14default_configENS1_35radix_sort_onesweep_config_selectorIddEEZZNS1_29radix_sort_onesweep_iterationIS3_Lb0EN6thrust23THRUST_200600_302600_NS6detail15normal_iteratorINS8_10device_ptrIdEEEESD_SD_SD_jNS0_19identity_decomposerENS1_16block_id_wrapperIjLb1EEEEE10hipError_tT1_PNSt15iterator_traitsISI_E10value_typeET2_T3_PNSJ_ISO_E10value_typeET4_T5_PST_SU_PNS1_23onesweep_lookback_stateEbbT6_jjT7_P12ihipStream_tbENKUlT_T0_SI_SN_E_clIPdSD_S15_SD_EEDaS11_S12_SI_SN_EUlS11_E_NS1_11comp_targetILNS1_3genE2ELNS1_11target_archE906ELNS1_3gpuE6ELNS1_3repE0EEENS1_47radix_sort_onesweep_sort_config_static_selectorELNS0_4arch9wavefront6targetE1EEEvSI_.uses_flat_scratch, 0
	.set _ZN7rocprim17ROCPRIM_400000_NS6detail17trampoline_kernelINS0_14default_configENS1_35radix_sort_onesweep_config_selectorIddEEZZNS1_29radix_sort_onesweep_iterationIS3_Lb0EN6thrust23THRUST_200600_302600_NS6detail15normal_iteratorINS8_10device_ptrIdEEEESD_SD_SD_jNS0_19identity_decomposerENS1_16block_id_wrapperIjLb1EEEEE10hipError_tT1_PNSt15iterator_traitsISI_E10value_typeET2_T3_PNSJ_ISO_E10value_typeET4_T5_PST_SU_PNS1_23onesweep_lookback_stateEbbT6_jjT7_P12ihipStream_tbENKUlT_T0_SI_SN_E_clIPdSD_S15_SD_EEDaS11_S12_SI_SN_EUlS11_E_NS1_11comp_targetILNS1_3genE2ELNS1_11target_archE906ELNS1_3gpuE6ELNS1_3repE0EEENS1_47radix_sort_onesweep_sort_config_static_selectorELNS0_4arch9wavefront6targetE1EEEvSI_.has_dyn_sized_stack, 0
	.set _ZN7rocprim17ROCPRIM_400000_NS6detail17trampoline_kernelINS0_14default_configENS1_35radix_sort_onesweep_config_selectorIddEEZZNS1_29radix_sort_onesweep_iterationIS3_Lb0EN6thrust23THRUST_200600_302600_NS6detail15normal_iteratorINS8_10device_ptrIdEEEESD_SD_SD_jNS0_19identity_decomposerENS1_16block_id_wrapperIjLb1EEEEE10hipError_tT1_PNSt15iterator_traitsISI_E10value_typeET2_T3_PNSJ_ISO_E10value_typeET4_T5_PST_SU_PNS1_23onesweep_lookback_stateEbbT6_jjT7_P12ihipStream_tbENKUlT_T0_SI_SN_E_clIPdSD_S15_SD_EEDaS11_S12_SI_SN_EUlS11_E_NS1_11comp_targetILNS1_3genE2ELNS1_11target_archE906ELNS1_3gpuE6ELNS1_3repE0EEENS1_47radix_sort_onesweep_sort_config_static_selectorELNS0_4arch9wavefront6targetE1EEEvSI_.has_recursion, 0
	.set _ZN7rocprim17ROCPRIM_400000_NS6detail17trampoline_kernelINS0_14default_configENS1_35radix_sort_onesweep_config_selectorIddEEZZNS1_29radix_sort_onesweep_iterationIS3_Lb0EN6thrust23THRUST_200600_302600_NS6detail15normal_iteratorINS8_10device_ptrIdEEEESD_SD_SD_jNS0_19identity_decomposerENS1_16block_id_wrapperIjLb1EEEEE10hipError_tT1_PNSt15iterator_traitsISI_E10value_typeET2_T3_PNSJ_ISO_E10value_typeET4_T5_PST_SU_PNS1_23onesweep_lookback_stateEbbT6_jjT7_P12ihipStream_tbENKUlT_T0_SI_SN_E_clIPdSD_S15_SD_EEDaS11_S12_SI_SN_EUlS11_E_NS1_11comp_targetILNS1_3genE2ELNS1_11target_archE906ELNS1_3gpuE6ELNS1_3repE0EEENS1_47radix_sort_onesweep_sort_config_static_selectorELNS0_4arch9wavefront6targetE1EEEvSI_.has_indirect_call, 0
	.section	.AMDGPU.csdata,"",@progbits
; Kernel info:
; codeLenInByte = 0
; TotalNumSgprs: 6
; NumVgprs: 0
; NumAgprs: 0
; TotalNumVgprs: 0
; ScratchSize: 0
; MemoryBound: 0
; FloatMode: 240
; IeeeMode: 1
; LDSByteSize: 0 bytes/workgroup (compile time only)
; SGPRBlocks: 0
; VGPRBlocks: 0
; NumSGPRsForWavesPerEU: 6
; NumVGPRsForWavesPerEU: 1
; AccumOffset: 4
; Occupancy: 8
; WaveLimiterHint : 0
; COMPUTE_PGM_RSRC2:SCRATCH_EN: 0
; COMPUTE_PGM_RSRC2:USER_SGPR: 2
; COMPUTE_PGM_RSRC2:TRAP_HANDLER: 0
; COMPUTE_PGM_RSRC2:TGID_X_EN: 1
; COMPUTE_PGM_RSRC2:TGID_Y_EN: 0
; COMPUTE_PGM_RSRC2:TGID_Z_EN: 0
; COMPUTE_PGM_RSRC2:TIDIG_COMP_CNT: 0
; COMPUTE_PGM_RSRC3_GFX90A:ACCUM_OFFSET: 0
; COMPUTE_PGM_RSRC3_GFX90A:TG_SPLIT: 0
	.section	.text._ZN7rocprim17ROCPRIM_400000_NS6detail17trampoline_kernelINS0_14default_configENS1_35radix_sort_onesweep_config_selectorIddEEZZNS1_29radix_sort_onesweep_iterationIS3_Lb0EN6thrust23THRUST_200600_302600_NS6detail15normal_iteratorINS8_10device_ptrIdEEEESD_SD_SD_jNS0_19identity_decomposerENS1_16block_id_wrapperIjLb1EEEEE10hipError_tT1_PNSt15iterator_traitsISI_E10value_typeET2_T3_PNSJ_ISO_E10value_typeET4_T5_PST_SU_PNS1_23onesweep_lookback_stateEbbT6_jjT7_P12ihipStream_tbENKUlT_T0_SI_SN_E_clIPdSD_S15_SD_EEDaS11_S12_SI_SN_EUlS11_E_NS1_11comp_targetILNS1_3genE4ELNS1_11target_archE910ELNS1_3gpuE8ELNS1_3repE0EEENS1_47radix_sort_onesweep_sort_config_static_selectorELNS0_4arch9wavefront6targetE1EEEvSI_,"axG",@progbits,_ZN7rocprim17ROCPRIM_400000_NS6detail17trampoline_kernelINS0_14default_configENS1_35radix_sort_onesweep_config_selectorIddEEZZNS1_29radix_sort_onesweep_iterationIS3_Lb0EN6thrust23THRUST_200600_302600_NS6detail15normal_iteratorINS8_10device_ptrIdEEEESD_SD_SD_jNS0_19identity_decomposerENS1_16block_id_wrapperIjLb1EEEEE10hipError_tT1_PNSt15iterator_traitsISI_E10value_typeET2_T3_PNSJ_ISO_E10value_typeET4_T5_PST_SU_PNS1_23onesweep_lookback_stateEbbT6_jjT7_P12ihipStream_tbENKUlT_T0_SI_SN_E_clIPdSD_S15_SD_EEDaS11_S12_SI_SN_EUlS11_E_NS1_11comp_targetILNS1_3genE4ELNS1_11target_archE910ELNS1_3gpuE8ELNS1_3repE0EEENS1_47radix_sort_onesweep_sort_config_static_selectorELNS0_4arch9wavefront6targetE1EEEvSI_,comdat
	.protected	_ZN7rocprim17ROCPRIM_400000_NS6detail17trampoline_kernelINS0_14default_configENS1_35radix_sort_onesweep_config_selectorIddEEZZNS1_29radix_sort_onesweep_iterationIS3_Lb0EN6thrust23THRUST_200600_302600_NS6detail15normal_iteratorINS8_10device_ptrIdEEEESD_SD_SD_jNS0_19identity_decomposerENS1_16block_id_wrapperIjLb1EEEEE10hipError_tT1_PNSt15iterator_traitsISI_E10value_typeET2_T3_PNSJ_ISO_E10value_typeET4_T5_PST_SU_PNS1_23onesweep_lookback_stateEbbT6_jjT7_P12ihipStream_tbENKUlT_T0_SI_SN_E_clIPdSD_S15_SD_EEDaS11_S12_SI_SN_EUlS11_E_NS1_11comp_targetILNS1_3genE4ELNS1_11target_archE910ELNS1_3gpuE8ELNS1_3repE0EEENS1_47radix_sort_onesweep_sort_config_static_selectorELNS0_4arch9wavefront6targetE1EEEvSI_ ; -- Begin function _ZN7rocprim17ROCPRIM_400000_NS6detail17trampoline_kernelINS0_14default_configENS1_35radix_sort_onesweep_config_selectorIddEEZZNS1_29radix_sort_onesweep_iterationIS3_Lb0EN6thrust23THRUST_200600_302600_NS6detail15normal_iteratorINS8_10device_ptrIdEEEESD_SD_SD_jNS0_19identity_decomposerENS1_16block_id_wrapperIjLb1EEEEE10hipError_tT1_PNSt15iterator_traitsISI_E10value_typeET2_T3_PNSJ_ISO_E10value_typeET4_T5_PST_SU_PNS1_23onesweep_lookback_stateEbbT6_jjT7_P12ihipStream_tbENKUlT_T0_SI_SN_E_clIPdSD_S15_SD_EEDaS11_S12_SI_SN_EUlS11_E_NS1_11comp_targetILNS1_3genE4ELNS1_11target_archE910ELNS1_3gpuE8ELNS1_3repE0EEENS1_47radix_sort_onesweep_sort_config_static_selectorELNS0_4arch9wavefront6targetE1EEEvSI_
	.globl	_ZN7rocprim17ROCPRIM_400000_NS6detail17trampoline_kernelINS0_14default_configENS1_35radix_sort_onesweep_config_selectorIddEEZZNS1_29radix_sort_onesweep_iterationIS3_Lb0EN6thrust23THRUST_200600_302600_NS6detail15normal_iteratorINS8_10device_ptrIdEEEESD_SD_SD_jNS0_19identity_decomposerENS1_16block_id_wrapperIjLb1EEEEE10hipError_tT1_PNSt15iterator_traitsISI_E10value_typeET2_T3_PNSJ_ISO_E10value_typeET4_T5_PST_SU_PNS1_23onesweep_lookback_stateEbbT6_jjT7_P12ihipStream_tbENKUlT_T0_SI_SN_E_clIPdSD_S15_SD_EEDaS11_S12_SI_SN_EUlS11_E_NS1_11comp_targetILNS1_3genE4ELNS1_11target_archE910ELNS1_3gpuE8ELNS1_3repE0EEENS1_47radix_sort_onesweep_sort_config_static_selectorELNS0_4arch9wavefront6targetE1EEEvSI_
	.p2align	8
	.type	_ZN7rocprim17ROCPRIM_400000_NS6detail17trampoline_kernelINS0_14default_configENS1_35radix_sort_onesweep_config_selectorIddEEZZNS1_29radix_sort_onesweep_iterationIS3_Lb0EN6thrust23THRUST_200600_302600_NS6detail15normal_iteratorINS8_10device_ptrIdEEEESD_SD_SD_jNS0_19identity_decomposerENS1_16block_id_wrapperIjLb1EEEEE10hipError_tT1_PNSt15iterator_traitsISI_E10value_typeET2_T3_PNSJ_ISO_E10value_typeET4_T5_PST_SU_PNS1_23onesweep_lookback_stateEbbT6_jjT7_P12ihipStream_tbENKUlT_T0_SI_SN_E_clIPdSD_S15_SD_EEDaS11_S12_SI_SN_EUlS11_E_NS1_11comp_targetILNS1_3genE4ELNS1_11target_archE910ELNS1_3gpuE8ELNS1_3repE0EEENS1_47radix_sort_onesweep_sort_config_static_selectorELNS0_4arch9wavefront6targetE1EEEvSI_,@function
_ZN7rocprim17ROCPRIM_400000_NS6detail17trampoline_kernelINS0_14default_configENS1_35radix_sort_onesweep_config_selectorIddEEZZNS1_29radix_sort_onesweep_iterationIS3_Lb0EN6thrust23THRUST_200600_302600_NS6detail15normal_iteratorINS8_10device_ptrIdEEEESD_SD_SD_jNS0_19identity_decomposerENS1_16block_id_wrapperIjLb1EEEEE10hipError_tT1_PNSt15iterator_traitsISI_E10value_typeET2_T3_PNSJ_ISO_E10value_typeET4_T5_PST_SU_PNS1_23onesweep_lookback_stateEbbT6_jjT7_P12ihipStream_tbENKUlT_T0_SI_SN_E_clIPdSD_S15_SD_EEDaS11_S12_SI_SN_EUlS11_E_NS1_11comp_targetILNS1_3genE4ELNS1_11target_archE910ELNS1_3gpuE8ELNS1_3repE0EEENS1_47radix_sort_onesweep_sort_config_static_selectorELNS0_4arch9wavefront6targetE1EEEvSI_: ; @_ZN7rocprim17ROCPRIM_400000_NS6detail17trampoline_kernelINS0_14default_configENS1_35radix_sort_onesweep_config_selectorIddEEZZNS1_29radix_sort_onesweep_iterationIS3_Lb0EN6thrust23THRUST_200600_302600_NS6detail15normal_iteratorINS8_10device_ptrIdEEEESD_SD_SD_jNS0_19identity_decomposerENS1_16block_id_wrapperIjLb1EEEEE10hipError_tT1_PNSt15iterator_traitsISI_E10value_typeET2_T3_PNSJ_ISO_E10value_typeET4_T5_PST_SU_PNS1_23onesweep_lookback_stateEbbT6_jjT7_P12ihipStream_tbENKUlT_T0_SI_SN_E_clIPdSD_S15_SD_EEDaS11_S12_SI_SN_EUlS11_E_NS1_11comp_targetILNS1_3genE4ELNS1_11target_archE910ELNS1_3gpuE8ELNS1_3repE0EEENS1_47radix_sort_onesweep_sort_config_static_selectorELNS0_4arch9wavefront6targetE1EEEvSI_
; %bb.0:
	.section	.rodata,"a",@progbits
	.p2align	6, 0x0
	.amdhsa_kernel _ZN7rocprim17ROCPRIM_400000_NS6detail17trampoline_kernelINS0_14default_configENS1_35radix_sort_onesweep_config_selectorIddEEZZNS1_29radix_sort_onesweep_iterationIS3_Lb0EN6thrust23THRUST_200600_302600_NS6detail15normal_iteratorINS8_10device_ptrIdEEEESD_SD_SD_jNS0_19identity_decomposerENS1_16block_id_wrapperIjLb1EEEEE10hipError_tT1_PNSt15iterator_traitsISI_E10value_typeET2_T3_PNSJ_ISO_E10value_typeET4_T5_PST_SU_PNS1_23onesweep_lookback_stateEbbT6_jjT7_P12ihipStream_tbENKUlT_T0_SI_SN_E_clIPdSD_S15_SD_EEDaS11_S12_SI_SN_EUlS11_E_NS1_11comp_targetILNS1_3genE4ELNS1_11target_archE910ELNS1_3gpuE8ELNS1_3repE0EEENS1_47radix_sort_onesweep_sort_config_static_selectorELNS0_4arch9wavefront6targetE1EEEvSI_
		.amdhsa_group_segment_fixed_size 0
		.amdhsa_private_segment_fixed_size 0
		.amdhsa_kernarg_size 88
		.amdhsa_user_sgpr_count 2
		.amdhsa_user_sgpr_dispatch_ptr 0
		.amdhsa_user_sgpr_queue_ptr 0
		.amdhsa_user_sgpr_kernarg_segment_ptr 1
		.amdhsa_user_sgpr_dispatch_id 0
		.amdhsa_user_sgpr_kernarg_preload_length 0
		.amdhsa_user_sgpr_kernarg_preload_offset 0
		.amdhsa_user_sgpr_private_segment_size 0
		.amdhsa_uses_dynamic_stack 0
		.amdhsa_enable_private_segment 0
		.amdhsa_system_sgpr_workgroup_id_x 1
		.amdhsa_system_sgpr_workgroup_id_y 0
		.amdhsa_system_sgpr_workgroup_id_z 0
		.amdhsa_system_sgpr_workgroup_info 0
		.amdhsa_system_vgpr_workitem_id 0
		.amdhsa_next_free_vgpr 1
		.amdhsa_next_free_sgpr 0
		.amdhsa_accum_offset 4
		.amdhsa_reserve_vcc 0
		.amdhsa_float_round_mode_32 0
		.amdhsa_float_round_mode_16_64 0
		.amdhsa_float_denorm_mode_32 3
		.amdhsa_float_denorm_mode_16_64 3
		.amdhsa_dx10_clamp 1
		.amdhsa_ieee_mode 1
		.amdhsa_fp16_overflow 0
		.amdhsa_tg_split 0
		.amdhsa_exception_fp_ieee_invalid_op 0
		.amdhsa_exception_fp_denorm_src 0
		.amdhsa_exception_fp_ieee_div_zero 0
		.amdhsa_exception_fp_ieee_overflow 0
		.amdhsa_exception_fp_ieee_underflow 0
		.amdhsa_exception_fp_ieee_inexact 0
		.amdhsa_exception_int_div_zero 0
	.end_amdhsa_kernel
	.section	.text._ZN7rocprim17ROCPRIM_400000_NS6detail17trampoline_kernelINS0_14default_configENS1_35radix_sort_onesweep_config_selectorIddEEZZNS1_29radix_sort_onesweep_iterationIS3_Lb0EN6thrust23THRUST_200600_302600_NS6detail15normal_iteratorINS8_10device_ptrIdEEEESD_SD_SD_jNS0_19identity_decomposerENS1_16block_id_wrapperIjLb1EEEEE10hipError_tT1_PNSt15iterator_traitsISI_E10value_typeET2_T3_PNSJ_ISO_E10value_typeET4_T5_PST_SU_PNS1_23onesweep_lookback_stateEbbT6_jjT7_P12ihipStream_tbENKUlT_T0_SI_SN_E_clIPdSD_S15_SD_EEDaS11_S12_SI_SN_EUlS11_E_NS1_11comp_targetILNS1_3genE4ELNS1_11target_archE910ELNS1_3gpuE8ELNS1_3repE0EEENS1_47radix_sort_onesweep_sort_config_static_selectorELNS0_4arch9wavefront6targetE1EEEvSI_,"axG",@progbits,_ZN7rocprim17ROCPRIM_400000_NS6detail17trampoline_kernelINS0_14default_configENS1_35radix_sort_onesweep_config_selectorIddEEZZNS1_29radix_sort_onesweep_iterationIS3_Lb0EN6thrust23THRUST_200600_302600_NS6detail15normal_iteratorINS8_10device_ptrIdEEEESD_SD_SD_jNS0_19identity_decomposerENS1_16block_id_wrapperIjLb1EEEEE10hipError_tT1_PNSt15iterator_traitsISI_E10value_typeET2_T3_PNSJ_ISO_E10value_typeET4_T5_PST_SU_PNS1_23onesweep_lookback_stateEbbT6_jjT7_P12ihipStream_tbENKUlT_T0_SI_SN_E_clIPdSD_S15_SD_EEDaS11_S12_SI_SN_EUlS11_E_NS1_11comp_targetILNS1_3genE4ELNS1_11target_archE910ELNS1_3gpuE8ELNS1_3repE0EEENS1_47radix_sort_onesweep_sort_config_static_selectorELNS0_4arch9wavefront6targetE1EEEvSI_,comdat
.Lfunc_end131:
	.size	_ZN7rocprim17ROCPRIM_400000_NS6detail17trampoline_kernelINS0_14default_configENS1_35radix_sort_onesweep_config_selectorIddEEZZNS1_29radix_sort_onesweep_iterationIS3_Lb0EN6thrust23THRUST_200600_302600_NS6detail15normal_iteratorINS8_10device_ptrIdEEEESD_SD_SD_jNS0_19identity_decomposerENS1_16block_id_wrapperIjLb1EEEEE10hipError_tT1_PNSt15iterator_traitsISI_E10value_typeET2_T3_PNSJ_ISO_E10value_typeET4_T5_PST_SU_PNS1_23onesweep_lookback_stateEbbT6_jjT7_P12ihipStream_tbENKUlT_T0_SI_SN_E_clIPdSD_S15_SD_EEDaS11_S12_SI_SN_EUlS11_E_NS1_11comp_targetILNS1_3genE4ELNS1_11target_archE910ELNS1_3gpuE8ELNS1_3repE0EEENS1_47radix_sort_onesweep_sort_config_static_selectorELNS0_4arch9wavefront6targetE1EEEvSI_, .Lfunc_end131-_ZN7rocprim17ROCPRIM_400000_NS6detail17trampoline_kernelINS0_14default_configENS1_35radix_sort_onesweep_config_selectorIddEEZZNS1_29radix_sort_onesweep_iterationIS3_Lb0EN6thrust23THRUST_200600_302600_NS6detail15normal_iteratorINS8_10device_ptrIdEEEESD_SD_SD_jNS0_19identity_decomposerENS1_16block_id_wrapperIjLb1EEEEE10hipError_tT1_PNSt15iterator_traitsISI_E10value_typeET2_T3_PNSJ_ISO_E10value_typeET4_T5_PST_SU_PNS1_23onesweep_lookback_stateEbbT6_jjT7_P12ihipStream_tbENKUlT_T0_SI_SN_E_clIPdSD_S15_SD_EEDaS11_S12_SI_SN_EUlS11_E_NS1_11comp_targetILNS1_3genE4ELNS1_11target_archE910ELNS1_3gpuE8ELNS1_3repE0EEENS1_47radix_sort_onesweep_sort_config_static_selectorELNS0_4arch9wavefront6targetE1EEEvSI_
                                        ; -- End function
	.set _ZN7rocprim17ROCPRIM_400000_NS6detail17trampoline_kernelINS0_14default_configENS1_35radix_sort_onesweep_config_selectorIddEEZZNS1_29radix_sort_onesweep_iterationIS3_Lb0EN6thrust23THRUST_200600_302600_NS6detail15normal_iteratorINS8_10device_ptrIdEEEESD_SD_SD_jNS0_19identity_decomposerENS1_16block_id_wrapperIjLb1EEEEE10hipError_tT1_PNSt15iterator_traitsISI_E10value_typeET2_T3_PNSJ_ISO_E10value_typeET4_T5_PST_SU_PNS1_23onesweep_lookback_stateEbbT6_jjT7_P12ihipStream_tbENKUlT_T0_SI_SN_E_clIPdSD_S15_SD_EEDaS11_S12_SI_SN_EUlS11_E_NS1_11comp_targetILNS1_3genE4ELNS1_11target_archE910ELNS1_3gpuE8ELNS1_3repE0EEENS1_47radix_sort_onesweep_sort_config_static_selectorELNS0_4arch9wavefront6targetE1EEEvSI_.num_vgpr, 0
	.set _ZN7rocprim17ROCPRIM_400000_NS6detail17trampoline_kernelINS0_14default_configENS1_35radix_sort_onesweep_config_selectorIddEEZZNS1_29radix_sort_onesweep_iterationIS3_Lb0EN6thrust23THRUST_200600_302600_NS6detail15normal_iteratorINS8_10device_ptrIdEEEESD_SD_SD_jNS0_19identity_decomposerENS1_16block_id_wrapperIjLb1EEEEE10hipError_tT1_PNSt15iterator_traitsISI_E10value_typeET2_T3_PNSJ_ISO_E10value_typeET4_T5_PST_SU_PNS1_23onesweep_lookback_stateEbbT6_jjT7_P12ihipStream_tbENKUlT_T0_SI_SN_E_clIPdSD_S15_SD_EEDaS11_S12_SI_SN_EUlS11_E_NS1_11comp_targetILNS1_3genE4ELNS1_11target_archE910ELNS1_3gpuE8ELNS1_3repE0EEENS1_47radix_sort_onesweep_sort_config_static_selectorELNS0_4arch9wavefront6targetE1EEEvSI_.num_agpr, 0
	.set _ZN7rocprim17ROCPRIM_400000_NS6detail17trampoline_kernelINS0_14default_configENS1_35radix_sort_onesweep_config_selectorIddEEZZNS1_29radix_sort_onesweep_iterationIS3_Lb0EN6thrust23THRUST_200600_302600_NS6detail15normal_iteratorINS8_10device_ptrIdEEEESD_SD_SD_jNS0_19identity_decomposerENS1_16block_id_wrapperIjLb1EEEEE10hipError_tT1_PNSt15iterator_traitsISI_E10value_typeET2_T3_PNSJ_ISO_E10value_typeET4_T5_PST_SU_PNS1_23onesweep_lookback_stateEbbT6_jjT7_P12ihipStream_tbENKUlT_T0_SI_SN_E_clIPdSD_S15_SD_EEDaS11_S12_SI_SN_EUlS11_E_NS1_11comp_targetILNS1_3genE4ELNS1_11target_archE910ELNS1_3gpuE8ELNS1_3repE0EEENS1_47radix_sort_onesweep_sort_config_static_selectorELNS0_4arch9wavefront6targetE1EEEvSI_.numbered_sgpr, 0
	.set _ZN7rocprim17ROCPRIM_400000_NS6detail17trampoline_kernelINS0_14default_configENS1_35radix_sort_onesweep_config_selectorIddEEZZNS1_29radix_sort_onesweep_iterationIS3_Lb0EN6thrust23THRUST_200600_302600_NS6detail15normal_iteratorINS8_10device_ptrIdEEEESD_SD_SD_jNS0_19identity_decomposerENS1_16block_id_wrapperIjLb1EEEEE10hipError_tT1_PNSt15iterator_traitsISI_E10value_typeET2_T3_PNSJ_ISO_E10value_typeET4_T5_PST_SU_PNS1_23onesweep_lookback_stateEbbT6_jjT7_P12ihipStream_tbENKUlT_T0_SI_SN_E_clIPdSD_S15_SD_EEDaS11_S12_SI_SN_EUlS11_E_NS1_11comp_targetILNS1_3genE4ELNS1_11target_archE910ELNS1_3gpuE8ELNS1_3repE0EEENS1_47radix_sort_onesweep_sort_config_static_selectorELNS0_4arch9wavefront6targetE1EEEvSI_.num_named_barrier, 0
	.set _ZN7rocprim17ROCPRIM_400000_NS6detail17trampoline_kernelINS0_14default_configENS1_35radix_sort_onesweep_config_selectorIddEEZZNS1_29radix_sort_onesweep_iterationIS3_Lb0EN6thrust23THRUST_200600_302600_NS6detail15normal_iteratorINS8_10device_ptrIdEEEESD_SD_SD_jNS0_19identity_decomposerENS1_16block_id_wrapperIjLb1EEEEE10hipError_tT1_PNSt15iterator_traitsISI_E10value_typeET2_T3_PNSJ_ISO_E10value_typeET4_T5_PST_SU_PNS1_23onesweep_lookback_stateEbbT6_jjT7_P12ihipStream_tbENKUlT_T0_SI_SN_E_clIPdSD_S15_SD_EEDaS11_S12_SI_SN_EUlS11_E_NS1_11comp_targetILNS1_3genE4ELNS1_11target_archE910ELNS1_3gpuE8ELNS1_3repE0EEENS1_47radix_sort_onesweep_sort_config_static_selectorELNS0_4arch9wavefront6targetE1EEEvSI_.private_seg_size, 0
	.set _ZN7rocprim17ROCPRIM_400000_NS6detail17trampoline_kernelINS0_14default_configENS1_35radix_sort_onesweep_config_selectorIddEEZZNS1_29radix_sort_onesweep_iterationIS3_Lb0EN6thrust23THRUST_200600_302600_NS6detail15normal_iteratorINS8_10device_ptrIdEEEESD_SD_SD_jNS0_19identity_decomposerENS1_16block_id_wrapperIjLb1EEEEE10hipError_tT1_PNSt15iterator_traitsISI_E10value_typeET2_T3_PNSJ_ISO_E10value_typeET4_T5_PST_SU_PNS1_23onesweep_lookback_stateEbbT6_jjT7_P12ihipStream_tbENKUlT_T0_SI_SN_E_clIPdSD_S15_SD_EEDaS11_S12_SI_SN_EUlS11_E_NS1_11comp_targetILNS1_3genE4ELNS1_11target_archE910ELNS1_3gpuE8ELNS1_3repE0EEENS1_47radix_sort_onesweep_sort_config_static_selectorELNS0_4arch9wavefront6targetE1EEEvSI_.uses_vcc, 0
	.set _ZN7rocprim17ROCPRIM_400000_NS6detail17trampoline_kernelINS0_14default_configENS1_35radix_sort_onesweep_config_selectorIddEEZZNS1_29radix_sort_onesweep_iterationIS3_Lb0EN6thrust23THRUST_200600_302600_NS6detail15normal_iteratorINS8_10device_ptrIdEEEESD_SD_SD_jNS0_19identity_decomposerENS1_16block_id_wrapperIjLb1EEEEE10hipError_tT1_PNSt15iterator_traitsISI_E10value_typeET2_T3_PNSJ_ISO_E10value_typeET4_T5_PST_SU_PNS1_23onesweep_lookback_stateEbbT6_jjT7_P12ihipStream_tbENKUlT_T0_SI_SN_E_clIPdSD_S15_SD_EEDaS11_S12_SI_SN_EUlS11_E_NS1_11comp_targetILNS1_3genE4ELNS1_11target_archE910ELNS1_3gpuE8ELNS1_3repE0EEENS1_47radix_sort_onesweep_sort_config_static_selectorELNS0_4arch9wavefront6targetE1EEEvSI_.uses_flat_scratch, 0
	.set _ZN7rocprim17ROCPRIM_400000_NS6detail17trampoline_kernelINS0_14default_configENS1_35radix_sort_onesweep_config_selectorIddEEZZNS1_29radix_sort_onesweep_iterationIS3_Lb0EN6thrust23THRUST_200600_302600_NS6detail15normal_iteratorINS8_10device_ptrIdEEEESD_SD_SD_jNS0_19identity_decomposerENS1_16block_id_wrapperIjLb1EEEEE10hipError_tT1_PNSt15iterator_traitsISI_E10value_typeET2_T3_PNSJ_ISO_E10value_typeET4_T5_PST_SU_PNS1_23onesweep_lookback_stateEbbT6_jjT7_P12ihipStream_tbENKUlT_T0_SI_SN_E_clIPdSD_S15_SD_EEDaS11_S12_SI_SN_EUlS11_E_NS1_11comp_targetILNS1_3genE4ELNS1_11target_archE910ELNS1_3gpuE8ELNS1_3repE0EEENS1_47radix_sort_onesweep_sort_config_static_selectorELNS0_4arch9wavefront6targetE1EEEvSI_.has_dyn_sized_stack, 0
	.set _ZN7rocprim17ROCPRIM_400000_NS6detail17trampoline_kernelINS0_14default_configENS1_35radix_sort_onesweep_config_selectorIddEEZZNS1_29radix_sort_onesweep_iterationIS3_Lb0EN6thrust23THRUST_200600_302600_NS6detail15normal_iteratorINS8_10device_ptrIdEEEESD_SD_SD_jNS0_19identity_decomposerENS1_16block_id_wrapperIjLb1EEEEE10hipError_tT1_PNSt15iterator_traitsISI_E10value_typeET2_T3_PNSJ_ISO_E10value_typeET4_T5_PST_SU_PNS1_23onesweep_lookback_stateEbbT6_jjT7_P12ihipStream_tbENKUlT_T0_SI_SN_E_clIPdSD_S15_SD_EEDaS11_S12_SI_SN_EUlS11_E_NS1_11comp_targetILNS1_3genE4ELNS1_11target_archE910ELNS1_3gpuE8ELNS1_3repE0EEENS1_47radix_sort_onesweep_sort_config_static_selectorELNS0_4arch9wavefront6targetE1EEEvSI_.has_recursion, 0
	.set _ZN7rocprim17ROCPRIM_400000_NS6detail17trampoline_kernelINS0_14default_configENS1_35radix_sort_onesweep_config_selectorIddEEZZNS1_29radix_sort_onesweep_iterationIS3_Lb0EN6thrust23THRUST_200600_302600_NS6detail15normal_iteratorINS8_10device_ptrIdEEEESD_SD_SD_jNS0_19identity_decomposerENS1_16block_id_wrapperIjLb1EEEEE10hipError_tT1_PNSt15iterator_traitsISI_E10value_typeET2_T3_PNSJ_ISO_E10value_typeET4_T5_PST_SU_PNS1_23onesweep_lookback_stateEbbT6_jjT7_P12ihipStream_tbENKUlT_T0_SI_SN_E_clIPdSD_S15_SD_EEDaS11_S12_SI_SN_EUlS11_E_NS1_11comp_targetILNS1_3genE4ELNS1_11target_archE910ELNS1_3gpuE8ELNS1_3repE0EEENS1_47radix_sort_onesweep_sort_config_static_selectorELNS0_4arch9wavefront6targetE1EEEvSI_.has_indirect_call, 0
	.section	.AMDGPU.csdata,"",@progbits
; Kernel info:
; codeLenInByte = 0
; TotalNumSgprs: 6
; NumVgprs: 0
; NumAgprs: 0
; TotalNumVgprs: 0
; ScratchSize: 0
; MemoryBound: 0
; FloatMode: 240
; IeeeMode: 1
; LDSByteSize: 0 bytes/workgroup (compile time only)
; SGPRBlocks: 0
; VGPRBlocks: 0
; NumSGPRsForWavesPerEU: 6
; NumVGPRsForWavesPerEU: 1
; AccumOffset: 4
; Occupancy: 8
; WaveLimiterHint : 0
; COMPUTE_PGM_RSRC2:SCRATCH_EN: 0
; COMPUTE_PGM_RSRC2:USER_SGPR: 2
; COMPUTE_PGM_RSRC2:TRAP_HANDLER: 0
; COMPUTE_PGM_RSRC2:TGID_X_EN: 1
; COMPUTE_PGM_RSRC2:TGID_Y_EN: 0
; COMPUTE_PGM_RSRC2:TGID_Z_EN: 0
; COMPUTE_PGM_RSRC2:TIDIG_COMP_CNT: 0
; COMPUTE_PGM_RSRC3_GFX90A:ACCUM_OFFSET: 0
; COMPUTE_PGM_RSRC3_GFX90A:TG_SPLIT: 0
	.section	.text._ZN7rocprim17ROCPRIM_400000_NS6detail17trampoline_kernelINS0_14default_configENS1_35radix_sort_onesweep_config_selectorIddEEZZNS1_29radix_sort_onesweep_iterationIS3_Lb0EN6thrust23THRUST_200600_302600_NS6detail15normal_iteratorINS8_10device_ptrIdEEEESD_SD_SD_jNS0_19identity_decomposerENS1_16block_id_wrapperIjLb1EEEEE10hipError_tT1_PNSt15iterator_traitsISI_E10value_typeET2_T3_PNSJ_ISO_E10value_typeET4_T5_PST_SU_PNS1_23onesweep_lookback_stateEbbT6_jjT7_P12ihipStream_tbENKUlT_T0_SI_SN_E_clIPdSD_S15_SD_EEDaS11_S12_SI_SN_EUlS11_E_NS1_11comp_targetILNS1_3genE3ELNS1_11target_archE908ELNS1_3gpuE7ELNS1_3repE0EEENS1_47radix_sort_onesweep_sort_config_static_selectorELNS0_4arch9wavefront6targetE1EEEvSI_,"axG",@progbits,_ZN7rocprim17ROCPRIM_400000_NS6detail17trampoline_kernelINS0_14default_configENS1_35radix_sort_onesweep_config_selectorIddEEZZNS1_29radix_sort_onesweep_iterationIS3_Lb0EN6thrust23THRUST_200600_302600_NS6detail15normal_iteratorINS8_10device_ptrIdEEEESD_SD_SD_jNS0_19identity_decomposerENS1_16block_id_wrapperIjLb1EEEEE10hipError_tT1_PNSt15iterator_traitsISI_E10value_typeET2_T3_PNSJ_ISO_E10value_typeET4_T5_PST_SU_PNS1_23onesweep_lookback_stateEbbT6_jjT7_P12ihipStream_tbENKUlT_T0_SI_SN_E_clIPdSD_S15_SD_EEDaS11_S12_SI_SN_EUlS11_E_NS1_11comp_targetILNS1_3genE3ELNS1_11target_archE908ELNS1_3gpuE7ELNS1_3repE0EEENS1_47radix_sort_onesweep_sort_config_static_selectorELNS0_4arch9wavefront6targetE1EEEvSI_,comdat
	.protected	_ZN7rocprim17ROCPRIM_400000_NS6detail17trampoline_kernelINS0_14default_configENS1_35radix_sort_onesweep_config_selectorIddEEZZNS1_29radix_sort_onesweep_iterationIS3_Lb0EN6thrust23THRUST_200600_302600_NS6detail15normal_iteratorINS8_10device_ptrIdEEEESD_SD_SD_jNS0_19identity_decomposerENS1_16block_id_wrapperIjLb1EEEEE10hipError_tT1_PNSt15iterator_traitsISI_E10value_typeET2_T3_PNSJ_ISO_E10value_typeET4_T5_PST_SU_PNS1_23onesweep_lookback_stateEbbT6_jjT7_P12ihipStream_tbENKUlT_T0_SI_SN_E_clIPdSD_S15_SD_EEDaS11_S12_SI_SN_EUlS11_E_NS1_11comp_targetILNS1_3genE3ELNS1_11target_archE908ELNS1_3gpuE7ELNS1_3repE0EEENS1_47radix_sort_onesweep_sort_config_static_selectorELNS0_4arch9wavefront6targetE1EEEvSI_ ; -- Begin function _ZN7rocprim17ROCPRIM_400000_NS6detail17trampoline_kernelINS0_14default_configENS1_35radix_sort_onesweep_config_selectorIddEEZZNS1_29radix_sort_onesweep_iterationIS3_Lb0EN6thrust23THRUST_200600_302600_NS6detail15normal_iteratorINS8_10device_ptrIdEEEESD_SD_SD_jNS0_19identity_decomposerENS1_16block_id_wrapperIjLb1EEEEE10hipError_tT1_PNSt15iterator_traitsISI_E10value_typeET2_T3_PNSJ_ISO_E10value_typeET4_T5_PST_SU_PNS1_23onesweep_lookback_stateEbbT6_jjT7_P12ihipStream_tbENKUlT_T0_SI_SN_E_clIPdSD_S15_SD_EEDaS11_S12_SI_SN_EUlS11_E_NS1_11comp_targetILNS1_3genE3ELNS1_11target_archE908ELNS1_3gpuE7ELNS1_3repE0EEENS1_47radix_sort_onesweep_sort_config_static_selectorELNS0_4arch9wavefront6targetE1EEEvSI_
	.globl	_ZN7rocprim17ROCPRIM_400000_NS6detail17trampoline_kernelINS0_14default_configENS1_35radix_sort_onesweep_config_selectorIddEEZZNS1_29radix_sort_onesweep_iterationIS3_Lb0EN6thrust23THRUST_200600_302600_NS6detail15normal_iteratorINS8_10device_ptrIdEEEESD_SD_SD_jNS0_19identity_decomposerENS1_16block_id_wrapperIjLb1EEEEE10hipError_tT1_PNSt15iterator_traitsISI_E10value_typeET2_T3_PNSJ_ISO_E10value_typeET4_T5_PST_SU_PNS1_23onesweep_lookback_stateEbbT6_jjT7_P12ihipStream_tbENKUlT_T0_SI_SN_E_clIPdSD_S15_SD_EEDaS11_S12_SI_SN_EUlS11_E_NS1_11comp_targetILNS1_3genE3ELNS1_11target_archE908ELNS1_3gpuE7ELNS1_3repE0EEENS1_47radix_sort_onesweep_sort_config_static_selectorELNS0_4arch9wavefront6targetE1EEEvSI_
	.p2align	8
	.type	_ZN7rocprim17ROCPRIM_400000_NS6detail17trampoline_kernelINS0_14default_configENS1_35radix_sort_onesweep_config_selectorIddEEZZNS1_29radix_sort_onesweep_iterationIS3_Lb0EN6thrust23THRUST_200600_302600_NS6detail15normal_iteratorINS8_10device_ptrIdEEEESD_SD_SD_jNS0_19identity_decomposerENS1_16block_id_wrapperIjLb1EEEEE10hipError_tT1_PNSt15iterator_traitsISI_E10value_typeET2_T3_PNSJ_ISO_E10value_typeET4_T5_PST_SU_PNS1_23onesweep_lookback_stateEbbT6_jjT7_P12ihipStream_tbENKUlT_T0_SI_SN_E_clIPdSD_S15_SD_EEDaS11_S12_SI_SN_EUlS11_E_NS1_11comp_targetILNS1_3genE3ELNS1_11target_archE908ELNS1_3gpuE7ELNS1_3repE0EEENS1_47radix_sort_onesweep_sort_config_static_selectorELNS0_4arch9wavefront6targetE1EEEvSI_,@function
_ZN7rocprim17ROCPRIM_400000_NS6detail17trampoline_kernelINS0_14default_configENS1_35radix_sort_onesweep_config_selectorIddEEZZNS1_29radix_sort_onesweep_iterationIS3_Lb0EN6thrust23THRUST_200600_302600_NS6detail15normal_iteratorINS8_10device_ptrIdEEEESD_SD_SD_jNS0_19identity_decomposerENS1_16block_id_wrapperIjLb1EEEEE10hipError_tT1_PNSt15iterator_traitsISI_E10value_typeET2_T3_PNSJ_ISO_E10value_typeET4_T5_PST_SU_PNS1_23onesweep_lookback_stateEbbT6_jjT7_P12ihipStream_tbENKUlT_T0_SI_SN_E_clIPdSD_S15_SD_EEDaS11_S12_SI_SN_EUlS11_E_NS1_11comp_targetILNS1_3genE3ELNS1_11target_archE908ELNS1_3gpuE7ELNS1_3repE0EEENS1_47radix_sort_onesweep_sort_config_static_selectorELNS0_4arch9wavefront6targetE1EEEvSI_: ; @_ZN7rocprim17ROCPRIM_400000_NS6detail17trampoline_kernelINS0_14default_configENS1_35radix_sort_onesweep_config_selectorIddEEZZNS1_29radix_sort_onesweep_iterationIS3_Lb0EN6thrust23THRUST_200600_302600_NS6detail15normal_iteratorINS8_10device_ptrIdEEEESD_SD_SD_jNS0_19identity_decomposerENS1_16block_id_wrapperIjLb1EEEEE10hipError_tT1_PNSt15iterator_traitsISI_E10value_typeET2_T3_PNSJ_ISO_E10value_typeET4_T5_PST_SU_PNS1_23onesweep_lookback_stateEbbT6_jjT7_P12ihipStream_tbENKUlT_T0_SI_SN_E_clIPdSD_S15_SD_EEDaS11_S12_SI_SN_EUlS11_E_NS1_11comp_targetILNS1_3genE3ELNS1_11target_archE908ELNS1_3gpuE7ELNS1_3repE0EEENS1_47radix_sort_onesweep_sort_config_static_selectorELNS0_4arch9wavefront6targetE1EEEvSI_
; %bb.0:
	.section	.rodata,"a",@progbits
	.p2align	6, 0x0
	.amdhsa_kernel _ZN7rocprim17ROCPRIM_400000_NS6detail17trampoline_kernelINS0_14default_configENS1_35radix_sort_onesweep_config_selectorIddEEZZNS1_29radix_sort_onesweep_iterationIS3_Lb0EN6thrust23THRUST_200600_302600_NS6detail15normal_iteratorINS8_10device_ptrIdEEEESD_SD_SD_jNS0_19identity_decomposerENS1_16block_id_wrapperIjLb1EEEEE10hipError_tT1_PNSt15iterator_traitsISI_E10value_typeET2_T3_PNSJ_ISO_E10value_typeET4_T5_PST_SU_PNS1_23onesweep_lookback_stateEbbT6_jjT7_P12ihipStream_tbENKUlT_T0_SI_SN_E_clIPdSD_S15_SD_EEDaS11_S12_SI_SN_EUlS11_E_NS1_11comp_targetILNS1_3genE3ELNS1_11target_archE908ELNS1_3gpuE7ELNS1_3repE0EEENS1_47radix_sort_onesweep_sort_config_static_selectorELNS0_4arch9wavefront6targetE1EEEvSI_
		.amdhsa_group_segment_fixed_size 0
		.amdhsa_private_segment_fixed_size 0
		.amdhsa_kernarg_size 88
		.amdhsa_user_sgpr_count 2
		.amdhsa_user_sgpr_dispatch_ptr 0
		.amdhsa_user_sgpr_queue_ptr 0
		.amdhsa_user_sgpr_kernarg_segment_ptr 1
		.amdhsa_user_sgpr_dispatch_id 0
		.amdhsa_user_sgpr_kernarg_preload_length 0
		.amdhsa_user_sgpr_kernarg_preload_offset 0
		.amdhsa_user_sgpr_private_segment_size 0
		.amdhsa_uses_dynamic_stack 0
		.amdhsa_enable_private_segment 0
		.amdhsa_system_sgpr_workgroup_id_x 1
		.amdhsa_system_sgpr_workgroup_id_y 0
		.amdhsa_system_sgpr_workgroup_id_z 0
		.amdhsa_system_sgpr_workgroup_info 0
		.amdhsa_system_vgpr_workitem_id 0
		.amdhsa_next_free_vgpr 1
		.amdhsa_next_free_sgpr 0
		.amdhsa_accum_offset 4
		.amdhsa_reserve_vcc 0
		.amdhsa_float_round_mode_32 0
		.amdhsa_float_round_mode_16_64 0
		.amdhsa_float_denorm_mode_32 3
		.amdhsa_float_denorm_mode_16_64 3
		.amdhsa_dx10_clamp 1
		.amdhsa_ieee_mode 1
		.amdhsa_fp16_overflow 0
		.amdhsa_tg_split 0
		.amdhsa_exception_fp_ieee_invalid_op 0
		.amdhsa_exception_fp_denorm_src 0
		.amdhsa_exception_fp_ieee_div_zero 0
		.amdhsa_exception_fp_ieee_overflow 0
		.amdhsa_exception_fp_ieee_underflow 0
		.amdhsa_exception_fp_ieee_inexact 0
		.amdhsa_exception_int_div_zero 0
	.end_amdhsa_kernel
	.section	.text._ZN7rocprim17ROCPRIM_400000_NS6detail17trampoline_kernelINS0_14default_configENS1_35radix_sort_onesweep_config_selectorIddEEZZNS1_29radix_sort_onesweep_iterationIS3_Lb0EN6thrust23THRUST_200600_302600_NS6detail15normal_iteratorINS8_10device_ptrIdEEEESD_SD_SD_jNS0_19identity_decomposerENS1_16block_id_wrapperIjLb1EEEEE10hipError_tT1_PNSt15iterator_traitsISI_E10value_typeET2_T3_PNSJ_ISO_E10value_typeET4_T5_PST_SU_PNS1_23onesweep_lookback_stateEbbT6_jjT7_P12ihipStream_tbENKUlT_T0_SI_SN_E_clIPdSD_S15_SD_EEDaS11_S12_SI_SN_EUlS11_E_NS1_11comp_targetILNS1_3genE3ELNS1_11target_archE908ELNS1_3gpuE7ELNS1_3repE0EEENS1_47radix_sort_onesweep_sort_config_static_selectorELNS0_4arch9wavefront6targetE1EEEvSI_,"axG",@progbits,_ZN7rocprim17ROCPRIM_400000_NS6detail17trampoline_kernelINS0_14default_configENS1_35radix_sort_onesweep_config_selectorIddEEZZNS1_29radix_sort_onesweep_iterationIS3_Lb0EN6thrust23THRUST_200600_302600_NS6detail15normal_iteratorINS8_10device_ptrIdEEEESD_SD_SD_jNS0_19identity_decomposerENS1_16block_id_wrapperIjLb1EEEEE10hipError_tT1_PNSt15iterator_traitsISI_E10value_typeET2_T3_PNSJ_ISO_E10value_typeET4_T5_PST_SU_PNS1_23onesweep_lookback_stateEbbT6_jjT7_P12ihipStream_tbENKUlT_T0_SI_SN_E_clIPdSD_S15_SD_EEDaS11_S12_SI_SN_EUlS11_E_NS1_11comp_targetILNS1_3genE3ELNS1_11target_archE908ELNS1_3gpuE7ELNS1_3repE0EEENS1_47radix_sort_onesweep_sort_config_static_selectorELNS0_4arch9wavefront6targetE1EEEvSI_,comdat
.Lfunc_end132:
	.size	_ZN7rocprim17ROCPRIM_400000_NS6detail17trampoline_kernelINS0_14default_configENS1_35radix_sort_onesweep_config_selectorIddEEZZNS1_29radix_sort_onesweep_iterationIS3_Lb0EN6thrust23THRUST_200600_302600_NS6detail15normal_iteratorINS8_10device_ptrIdEEEESD_SD_SD_jNS0_19identity_decomposerENS1_16block_id_wrapperIjLb1EEEEE10hipError_tT1_PNSt15iterator_traitsISI_E10value_typeET2_T3_PNSJ_ISO_E10value_typeET4_T5_PST_SU_PNS1_23onesweep_lookback_stateEbbT6_jjT7_P12ihipStream_tbENKUlT_T0_SI_SN_E_clIPdSD_S15_SD_EEDaS11_S12_SI_SN_EUlS11_E_NS1_11comp_targetILNS1_3genE3ELNS1_11target_archE908ELNS1_3gpuE7ELNS1_3repE0EEENS1_47radix_sort_onesweep_sort_config_static_selectorELNS0_4arch9wavefront6targetE1EEEvSI_, .Lfunc_end132-_ZN7rocprim17ROCPRIM_400000_NS6detail17trampoline_kernelINS0_14default_configENS1_35radix_sort_onesweep_config_selectorIddEEZZNS1_29radix_sort_onesweep_iterationIS3_Lb0EN6thrust23THRUST_200600_302600_NS6detail15normal_iteratorINS8_10device_ptrIdEEEESD_SD_SD_jNS0_19identity_decomposerENS1_16block_id_wrapperIjLb1EEEEE10hipError_tT1_PNSt15iterator_traitsISI_E10value_typeET2_T3_PNSJ_ISO_E10value_typeET4_T5_PST_SU_PNS1_23onesweep_lookback_stateEbbT6_jjT7_P12ihipStream_tbENKUlT_T0_SI_SN_E_clIPdSD_S15_SD_EEDaS11_S12_SI_SN_EUlS11_E_NS1_11comp_targetILNS1_3genE3ELNS1_11target_archE908ELNS1_3gpuE7ELNS1_3repE0EEENS1_47radix_sort_onesweep_sort_config_static_selectorELNS0_4arch9wavefront6targetE1EEEvSI_
                                        ; -- End function
	.set _ZN7rocprim17ROCPRIM_400000_NS6detail17trampoline_kernelINS0_14default_configENS1_35radix_sort_onesweep_config_selectorIddEEZZNS1_29radix_sort_onesweep_iterationIS3_Lb0EN6thrust23THRUST_200600_302600_NS6detail15normal_iteratorINS8_10device_ptrIdEEEESD_SD_SD_jNS0_19identity_decomposerENS1_16block_id_wrapperIjLb1EEEEE10hipError_tT1_PNSt15iterator_traitsISI_E10value_typeET2_T3_PNSJ_ISO_E10value_typeET4_T5_PST_SU_PNS1_23onesweep_lookback_stateEbbT6_jjT7_P12ihipStream_tbENKUlT_T0_SI_SN_E_clIPdSD_S15_SD_EEDaS11_S12_SI_SN_EUlS11_E_NS1_11comp_targetILNS1_3genE3ELNS1_11target_archE908ELNS1_3gpuE7ELNS1_3repE0EEENS1_47radix_sort_onesweep_sort_config_static_selectorELNS0_4arch9wavefront6targetE1EEEvSI_.num_vgpr, 0
	.set _ZN7rocprim17ROCPRIM_400000_NS6detail17trampoline_kernelINS0_14default_configENS1_35radix_sort_onesweep_config_selectorIddEEZZNS1_29radix_sort_onesweep_iterationIS3_Lb0EN6thrust23THRUST_200600_302600_NS6detail15normal_iteratorINS8_10device_ptrIdEEEESD_SD_SD_jNS0_19identity_decomposerENS1_16block_id_wrapperIjLb1EEEEE10hipError_tT1_PNSt15iterator_traitsISI_E10value_typeET2_T3_PNSJ_ISO_E10value_typeET4_T5_PST_SU_PNS1_23onesweep_lookback_stateEbbT6_jjT7_P12ihipStream_tbENKUlT_T0_SI_SN_E_clIPdSD_S15_SD_EEDaS11_S12_SI_SN_EUlS11_E_NS1_11comp_targetILNS1_3genE3ELNS1_11target_archE908ELNS1_3gpuE7ELNS1_3repE0EEENS1_47radix_sort_onesweep_sort_config_static_selectorELNS0_4arch9wavefront6targetE1EEEvSI_.num_agpr, 0
	.set _ZN7rocprim17ROCPRIM_400000_NS6detail17trampoline_kernelINS0_14default_configENS1_35radix_sort_onesweep_config_selectorIddEEZZNS1_29radix_sort_onesweep_iterationIS3_Lb0EN6thrust23THRUST_200600_302600_NS6detail15normal_iteratorINS8_10device_ptrIdEEEESD_SD_SD_jNS0_19identity_decomposerENS1_16block_id_wrapperIjLb1EEEEE10hipError_tT1_PNSt15iterator_traitsISI_E10value_typeET2_T3_PNSJ_ISO_E10value_typeET4_T5_PST_SU_PNS1_23onesweep_lookback_stateEbbT6_jjT7_P12ihipStream_tbENKUlT_T0_SI_SN_E_clIPdSD_S15_SD_EEDaS11_S12_SI_SN_EUlS11_E_NS1_11comp_targetILNS1_3genE3ELNS1_11target_archE908ELNS1_3gpuE7ELNS1_3repE0EEENS1_47radix_sort_onesweep_sort_config_static_selectorELNS0_4arch9wavefront6targetE1EEEvSI_.numbered_sgpr, 0
	.set _ZN7rocprim17ROCPRIM_400000_NS6detail17trampoline_kernelINS0_14default_configENS1_35radix_sort_onesweep_config_selectorIddEEZZNS1_29radix_sort_onesweep_iterationIS3_Lb0EN6thrust23THRUST_200600_302600_NS6detail15normal_iteratorINS8_10device_ptrIdEEEESD_SD_SD_jNS0_19identity_decomposerENS1_16block_id_wrapperIjLb1EEEEE10hipError_tT1_PNSt15iterator_traitsISI_E10value_typeET2_T3_PNSJ_ISO_E10value_typeET4_T5_PST_SU_PNS1_23onesweep_lookback_stateEbbT6_jjT7_P12ihipStream_tbENKUlT_T0_SI_SN_E_clIPdSD_S15_SD_EEDaS11_S12_SI_SN_EUlS11_E_NS1_11comp_targetILNS1_3genE3ELNS1_11target_archE908ELNS1_3gpuE7ELNS1_3repE0EEENS1_47radix_sort_onesweep_sort_config_static_selectorELNS0_4arch9wavefront6targetE1EEEvSI_.num_named_barrier, 0
	.set _ZN7rocprim17ROCPRIM_400000_NS6detail17trampoline_kernelINS0_14default_configENS1_35radix_sort_onesweep_config_selectorIddEEZZNS1_29radix_sort_onesweep_iterationIS3_Lb0EN6thrust23THRUST_200600_302600_NS6detail15normal_iteratorINS8_10device_ptrIdEEEESD_SD_SD_jNS0_19identity_decomposerENS1_16block_id_wrapperIjLb1EEEEE10hipError_tT1_PNSt15iterator_traitsISI_E10value_typeET2_T3_PNSJ_ISO_E10value_typeET4_T5_PST_SU_PNS1_23onesweep_lookback_stateEbbT6_jjT7_P12ihipStream_tbENKUlT_T0_SI_SN_E_clIPdSD_S15_SD_EEDaS11_S12_SI_SN_EUlS11_E_NS1_11comp_targetILNS1_3genE3ELNS1_11target_archE908ELNS1_3gpuE7ELNS1_3repE0EEENS1_47radix_sort_onesweep_sort_config_static_selectorELNS0_4arch9wavefront6targetE1EEEvSI_.private_seg_size, 0
	.set _ZN7rocprim17ROCPRIM_400000_NS6detail17trampoline_kernelINS0_14default_configENS1_35radix_sort_onesweep_config_selectorIddEEZZNS1_29radix_sort_onesweep_iterationIS3_Lb0EN6thrust23THRUST_200600_302600_NS6detail15normal_iteratorINS8_10device_ptrIdEEEESD_SD_SD_jNS0_19identity_decomposerENS1_16block_id_wrapperIjLb1EEEEE10hipError_tT1_PNSt15iterator_traitsISI_E10value_typeET2_T3_PNSJ_ISO_E10value_typeET4_T5_PST_SU_PNS1_23onesweep_lookback_stateEbbT6_jjT7_P12ihipStream_tbENKUlT_T0_SI_SN_E_clIPdSD_S15_SD_EEDaS11_S12_SI_SN_EUlS11_E_NS1_11comp_targetILNS1_3genE3ELNS1_11target_archE908ELNS1_3gpuE7ELNS1_3repE0EEENS1_47radix_sort_onesweep_sort_config_static_selectorELNS0_4arch9wavefront6targetE1EEEvSI_.uses_vcc, 0
	.set _ZN7rocprim17ROCPRIM_400000_NS6detail17trampoline_kernelINS0_14default_configENS1_35radix_sort_onesweep_config_selectorIddEEZZNS1_29radix_sort_onesweep_iterationIS3_Lb0EN6thrust23THRUST_200600_302600_NS6detail15normal_iteratorINS8_10device_ptrIdEEEESD_SD_SD_jNS0_19identity_decomposerENS1_16block_id_wrapperIjLb1EEEEE10hipError_tT1_PNSt15iterator_traitsISI_E10value_typeET2_T3_PNSJ_ISO_E10value_typeET4_T5_PST_SU_PNS1_23onesweep_lookback_stateEbbT6_jjT7_P12ihipStream_tbENKUlT_T0_SI_SN_E_clIPdSD_S15_SD_EEDaS11_S12_SI_SN_EUlS11_E_NS1_11comp_targetILNS1_3genE3ELNS1_11target_archE908ELNS1_3gpuE7ELNS1_3repE0EEENS1_47radix_sort_onesweep_sort_config_static_selectorELNS0_4arch9wavefront6targetE1EEEvSI_.uses_flat_scratch, 0
	.set _ZN7rocprim17ROCPRIM_400000_NS6detail17trampoline_kernelINS0_14default_configENS1_35radix_sort_onesweep_config_selectorIddEEZZNS1_29radix_sort_onesweep_iterationIS3_Lb0EN6thrust23THRUST_200600_302600_NS6detail15normal_iteratorINS8_10device_ptrIdEEEESD_SD_SD_jNS0_19identity_decomposerENS1_16block_id_wrapperIjLb1EEEEE10hipError_tT1_PNSt15iterator_traitsISI_E10value_typeET2_T3_PNSJ_ISO_E10value_typeET4_T5_PST_SU_PNS1_23onesweep_lookback_stateEbbT6_jjT7_P12ihipStream_tbENKUlT_T0_SI_SN_E_clIPdSD_S15_SD_EEDaS11_S12_SI_SN_EUlS11_E_NS1_11comp_targetILNS1_3genE3ELNS1_11target_archE908ELNS1_3gpuE7ELNS1_3repE0EEENS1_47radix_sort_onesweep_sort_config_static_selectorELNS0_4arch9wavefront6targetE1EEEvSI_.has_dyn_sized_stack, 0
	.set _ZN7rocprim17ROCPRIM_400000_NS6detail17trampoline_kernelINS0_14default_configENS1_35radix_sort_onesweep_config_selectorIddEEZZNS1_29radix_sort_onesweep_iterationIS3_Lb0EN6thrust23THRUST_200600_302600_NS6detail15normal_iteratorINS8_10device_ptrIdEEEESD_SD_SD_jNS0_19identity_decomposerENS1_16block_id_wrapperIjLb1EEEEE10hipError_tT1_PNSt15iterator_traitsISI_E10value_typeET2_T3_PNSJ_ISO_E10value_typeET4_T5_PST_SU_PNS1_23onesweep_lookback_stateEbbT6_jjT7_P12ihipStream_tbENKUlT_T0_SI_SN_E_clIPdSD_S15_SD_EEDaS11_S12_SI_SN_EUlS11_E_NS1_11comp_targetILNS1_3genE3ELNS1_11target_archE908ELNS1_3gpuE7ELNS1_3repE0EEENS1_47radix_sort_onesweep_sort_config_static_selectorELNS0_4arch9wavefront6targetE1EEEvSI_.has_recursion, 0
	.set _ZN7rocprim17ROCPRIM_400000_NS6detail17trampoline_kernelINS0_14default_configENS1_35radix_sort_onesweep_config_selectorIddEEZZNS1_29radix_sort_onesweep_iterationIS3_Lb0EN6thrust23THRUST_200600_302600_NS6detail15normal_iteratorINS8_10device_ptrIdEEEESD_SD_SD_jNS0_19identity_decomposerENS1_16block_id_wrapperIjLb1EEEEE10hipError_tT1_PNSt15iterator_traitsISI_E10value_typeET2_T3_PNSJ_ISO_E10value_typeET4_T5_PST_SU_PNS1_23onesweep_lookback_stateEbbT6_jjT7_P12ihipStream_tbENKUlT_T0_SI_SN_E_clIPdSD_S15_SD_EEDaS11_S12_SI_SN_EUlS11_E_NS1_11comp_targetILNS1_3genE3ELNS1_11target_archE908ELNS1_3gpuE7ELNS1_3repE0EEENS1_47radix_sort_onesweep_sort_config_static_selectorELNS0_4arch9wavefront6targetE1EEEvSI_.has_indirect_call, 0
	.section	.AMDGPU.csdata,"",@progbits
; Kernel info:
; codeLenInByte = 0
; TotalNumSgprs: 6
; NumVgprs: 0
; NumAgprs: 0
; TotalNumVgprs: 0
; ScratchSize: 0
; MemoryBound: 0
; FloatMode: 240
; IeeeMode: 1
; LDSByteSize: 0 bytes/workgroup (compile time only)
; SGPRBlocks: 0
; VGPRBlocks: 0
; NumSGPRsForWavesPerEU: 6
; NumVGPRsForWavesPerEU: 1
; AccumOffset: 4
; Occupancy: 8
; WaveLimiterHint : 0
; COMPUTE_PGM_RSRC2:SCRATCH_EN: 0
; COMPUTE_PGM_RSRC2:USER_SGPR: 2
; COMPUTE_PGM_RSRC2:TRAP_HANDLER: 0
; COMPUTE_PGM_RSRC2:TGID_X_EN: 1
; COMPUTE_PGM_RSRC2:TGID_Y_EN: 0
; COMPUTE_PGM_RSRC2:TGID_Z_EN: 0
; COMPUTE_PGM_RSRC2:TIDIG_COMP_CNT: 0
; COMPUTE_PGM_RSRC3_GFX90A:ACCUM_OFFSET: 0
; COMPUTE_PGM_RSRC3_GFX90A:TG_SPLIT: 0
	.section	.text._ZN7rocprim17ROCPRIM_400000_NS6detail17trampoline_kernelINS0_14default_configENS1_35radix_sort_onesweep_config_selectorIddEEZZNS1_29radix_sort_onesweep_iterationIS3_Lb0EN6thrust23THRUST_200600_302600_NS6detail15normal_iteratorINS8_10device_ptrIdEEEESD_SD_SD_jNS0_19identity_decomposerENS1_16block_id_wrapperIjLb1EEEEE10hipError_tT1_PNSt15iterator_traitsISI_E10value_typeET2_T3_PNSJ_ISO_E10value_typeET4_T5_PST_SU_PNS1_23onesweep_lookback_stateEbbT6_jjT7_P12ihipStream_tbENKUlT_T0_SI_SN_E_clIPdSD_S15_SD_EEDaS11_S12_SI_SN_EUlS11_E_NS1_11comp_targetILNS1_3genE10ELNS1_11target_archE1201ELNS1_3gpuE5ELNS1_3repE0EEENS1_47radix_sort_onesweep_sort_config_static_selectorELNS0_4arch9wavefront6targetE1EEEvSI_,"axG",@progbits,_ZN7rocprim17ROCPRIM_400000_NS6detail17trampoline_kernelINS0_14default_configENS1_35radix_sort_onesweep_config_selectorIddEEZZNS1_29radix_sort_onesweep_iterationIS3_Lb0EN6thrust23THRUST_200600_302600_NS6detail15normal_iteratorINS8_10device_ptrIdEEEESD_SD_SD_jNS0_19identity_decomposerENS1_16block_id_wrapperIjLb1EEEEE10hipError_tT1_PNSt15iterator_traitsISI_E10value_typeET2_T3_PNSJ_ISO_E10value_typeET4_T5_PST_SU_PNS1_23onesweep_lookback_stateEbbT6_jjT7_P12ihipStream_tbENKUlT_T0_SI_SN_E_clIPdSD_S15_SD_EEDaS11_S12_SI_SN_EUlS11_E_NS1_11comp_targetILNS1_3genE10ELNS1_11target_archE1201ELNS1_3gpuE5ELNS1_3repE0EEENS1_47radix_sort_onesweep_sort_config_static_selectorELNS0_4arch9wavefront6targetE1EEEvSI_,comdat
	.protected	_ZN7rocprim17ROCPRIM_400000_NS6detail17trampoline_kernelINS0_14default_configENS1_35radix_sort_onesweep_config_selectorIddEEZZNS1_29radix_sort_onesweep_iterationIS3_Lb0EN6thrust23THRUST_200600_302600_NS6detail15normal_iteratorINS8_10device_ptrIdEEEESD_SD_SD_jNS0_19identity_decomposerENS1_16block_id_wrapperIjLb1EEEEE10hipError_tT1_PNSt15iterator_traitsISI_E10value_typeET2_T3_PNSJ_ISO_E10value_typeET4_T5_PST_SU_PNS1_23onesweep_lookback_stateEbbT6_jjT7_P12ihipStream_tbENKUlT_T0_SI_SN_E_clIPdSD_S15_SD_EEDaS11_S12_SI_SN_EUlS11_E_NS1_11comp_targetILNS1_3genE10ELNS1_11target_archE1201ELNS1_3gpuE5ELNS1_3repE0EEENS1_47radix_sort_onesweep_sort_config_static_selectorELNS0_4arch9wavefront6targetE1EEEvSI_ ; -- Begin function _ZN7rocprim17ROCPRIM_400000_NS6detail17trampoline_kernelINS0_14default_configENS1_35radix_sort_onesweep_config_selectorIddEEZZNS1_29radix_sort_onesweep_iterationIS3_Lb0EN6thrust23THRUST_200600_302600_NS6detail15normal_iteratorINS8_10device_ptrIdEEEESD_SD_SD_jNS0_19identity_decomposerENS1_16block_id_wrapperIjLb1EEEEE10hipError_tT1_PNSt15iterator_traitsISI_E10value_typeET2_T3_PNSJ_ISO_E10value_typeET4_T5_PST_SU_PNS1_23onesweep_lookback_stateEbbT6_jjT7_P12ihipStream_tbENKUlT_T0_SI_SN_E_clIPdSD_S15_SD_EEDaS11_S12_SI_SN_EUlS11_E_NS1_11comp_targetILNS1_3genE10ELNS1_11target_archE1201ELNS1_3gpuE5ELNS1_3repE0EEENS1_47radix_sort_onesweep_sort_config_static_selectorELNS0_4arch9wavefront6targetE1EEEvSI_
	.globl	_ZN7rocprim17ROCPRIM_400000_NS6detail17trampoline_kernelINS0_14default_configENS1_35radix_sort_onesweep_config_selectorIddEEZZNS1_29radix_sort_onesweep_iterationIS3_Lb0EN6thrust23THRUST_200600_302600_NS6detail15normal_iteratorINS8_10device_ptrIdEEEESD_SD_SD_jNS0_19identity_decomposerENS1_16block_id_wrapperIjLb1EEEEE10hipError_tT1_PNSt15iterator_traitsISI_E10value_typeET2_T3_PNSJ_ISO_E10value_typeET4_T5_PST_SU_PNS1_23onesweep_lookback_stateEbbT6_jjT7_P12ihipStream_tbENKUlT_T0_SI_SN_E_clIPdSD_S15_SD_EEDaS11_S12_SI_SN_EUlS11_E_NS1_11comp_targetILNS1_3genE10ELNS1_11target_archE1201ELNS1_3gpuE5ELNS1_3repE0EEENS1_47radix_sort_onesweep_sort_config_static_selectorELNS0_4arch9wavefront6targetE1EEEvSI_
	.p2align	8
	.type	_ZN7rocprim17ROCPRIM_400000_NS6detail17trampoline_kernelINS0_14default_configENS1_35radix_sort_onesweep_config_selectorIddEEZZNS1_29radix_sort_onesweep_iterationIS3_Lb0EN6thrust23THRUST_200600_302600_NS6detail15normal_iteratorINS8_10device_ptrIdEEEESD_SD_SD_jNS0_19identity_decomposerENS1_16block_id_wrapperIjLb1EEEEE10hipError_tT1_PNSt15iterator_traitsISI_E10value_typeET2_T3_PNSJ_ISO_E10value_typeET4_T5_PST_SU_PNS1_23onesweep_lookback_stateEbbT6_jjT7_P12ihipStream_tbENKUlT_T0_SI_SN_E_clIPdSD_S15_SD_EEDaS11_S12_SI_SN_EUlS11_E_NS1_11comp_targetILNS1_3genE10ELNS1_11target_archE1201ELNS1_3gpuE5ELNS1_3repE0EEENS1_47radix_sort_onesweep_sort_config_static_selectorELNS0_4arch9wavefront6targetE1EEEvSI_,@function
_ZN7rocprim17ROCPRIM_400000_NS6detail17trampoline_kernelINS0_14default_configENS1_35radix_sort_onesweep_config_selectorIddEEZZNS1_29radix_sort_onesweep_iterationIS3_Lb0EN6thrust23THRUST_200600_302600_NS6detail15normal_iteratorINS8_10device_ptrIdEEEESD_SD_SD_jNS0_19identity_decomposerENS1_16block_id_wrapperIjLb1EEEEE10hipError_tT1_PNSt15iterator_traitsISI_E10value_typeET2_T3_PNSJ_ISO_E10value_typeET4_T5_PST_SU_PNS1_23onesweep_lookback_stateEbbT6_jjT7_P12ihipStream_tbENKUlT_T0_SI_SN_E_clIPdSD_S15_SD_EEDaS11_S12_SI_SN_EUlS11_E_NS1_11comp_targetILNS1_3genE10ELNS1_11target_archE1201ELNS1_3gpuE5ELNS1_3repE0EEENS1_47radix_sort_onesweep_sort_config_static_selectorELNS0_4arch9wavefront6targetE1EEEvSI_: ; @_ZN7rocprim17ROCPRIM_400000_NS6detail17trampoline_kernelINS0_14default_configENS1_35radix_sort_onesweep_config_selectorIddEEZZNS1_29radix_sort_onesweep_iterationIS3_Lb0EN6thrust23THRUST_200600_302600_NS6detail15normal_iteratorINS8_10device_ptrIdEEEESD_SD_SD_jNS0_19identity_decomposerENS1_16block_id_wrapperIjLb1EEEEE10hipError_tT1_PNSt15iterator_traitsISI_E10value_typeET2_T3_PNSJ_ISO_E10value_typeET4_T5_PST_SU_PNS1_23onesweep_lookback_stateEbbT6_jjT7_P12ihipStream_tbENKUlT_T0_SI_SN_E_clIPdSD_S15_SD_EEDaS11_S12_SI_SN_EUlS11_E_NS1_11comp_targetILNS1_3genE10ELNS1_11target_archE1201ELNS1_3gpuE5ELNS1_3repE0EEENS1_47radix_sort_onesweep_sort_config_static_selectorELNS0_4arch9wavefront6targetE1EEEvSI_
; %bb.0:
	.section	.rodata,"a",@progbits
	.p2align	6, 0x0
	.amdhsa_kernel _ZN7rocprim17ROCPRIM_400000_NS6detail17trampoline_kernelINS0_14default_configENS1_35radix_sort_onesweep_config_selectorIddEEZZNS1_29radix_sort_onesweep_iterationIS3_Lb0EN6thrust23THRUST_200600_302600_NS6detail15normal_iteratorINS8_10device_ptrIdEEEESD_SD_SD_jNS0_19identity_decomposerENS1_16block_id_wrapperIjLb1EEEEE10hipError_tT1_PNSt15iterator_traitsISI_E10value_typeET2_T3_PNSJ_ISO_E10value_typeET4_T5_PST_SU_PNS1_23onesweep_lookback_stateEbbT6_jjT7_P12ihipStream_tbENKUlT_T0_SI_SN_E_clIPdSD_S15_SD_EEDaS11_S12_SI_SN_EUlS11_E_NS1_11comp_targetILNS1_3genE10ELNS1_11target_archE1201ELNS1_3gpuE5ELNS1_3repE0EEENS1_47radix_sort_onesweep_sort_config_static_selectorELNS0_4arch9wavefront6targetE1EEEvSI_
		.amdhsa_group_segment_fixed_size 0
		.amdhsa_private_segment_fixed_size 0
		.amdhsa_kernarg_size 88
		.amdhsa_user_sgpr_count 2
		.amdhsa_user_sgpr_dispatch_ptr 0
		.amdhsa_user_sgpr_queue_ptr 0
		.amdhsa_user_sgpr_kernarg_segment_ptr 1
		.amdhsa_user_sgpr_dispatch_id 0
		.amdhsa_user_sgpr_kernarg_preload_length 0
		.amdhsa_user_sgpr_kernarg_preload_offset 0
		.amdhsa_user_sgpr_private_segment_size 0
		.amdhsa_uses_dynamic_stack 0
		.amdhsa_enable_private_segment 0
		.amdhsa_system_sgpr_workgroup_id_x 1
		.amdhsa_system_sgpr_workgroup_id_y 0
		.amdhsa_system_sgpr_workgroup_id_z 0
		.amdhsa_system_sgpr_workgroup_info 0
		.amdhsa_system_vgpr_workitem_id 0
		.amdhsa_next_free_vgpr 1
		.amdhsa_next_free_sgpr 0
		.amdhsa_accum_offset 4
		.amdhsa_reserve_vcc 0
		.amdhsa_float_round_mode_32 0
		.amdhsa_float_round_mode_16_64 0
		.amdhsa_float_denorm_mode_32 3
		.amdhsa_float_denorm_mode_16_64 3
		.amdhsa_dx10_clamp 1
		.amdhsa_ieee_mode 1
		.amdhsa_fp16_overflow 0
		.amdhsa_tg_split 0
		.amdhsa_exception_fp_ieee_invalid_op 0
		.amdhsa_exception_fp_denorm_src 0
		.amdhsa_exception_fp_ieee_div_zero 0
		.amdhsa_exception_fp_ieee_overflow 0
		.amdhsa_exception_fp_ieee_underflow 0
		.amdhsa_exception_fp_ieee_inexact 0
		.amdhsa_exception_int_div_zero 0
	.end_amdhsa_kernel
	.section	.text._ZN7rocprim17ROCPRIM_400000_NS6detail17trampoline_kernelINS0_14default_configENS1_35radix_sort_onesweep_config_selectorIddEEZZNS1_29radix_sort_onesweep_iterationIS3_Lb0EN6thrust23THRUST_200600_302600_NS6detail15normal_iteratorINS8_10device_ptrIdEEEESD_SD_SD_jNS0_19identity_decomposerENS1_16block_id_wrapperIjLb1EEEEE10hipError_tT1_PNSt15iterator_traitsISI_E10value_typeET2_T3_PNSJ_ISO_E10value_typeET4_T5_PST_SU_PNS1_23onesweep_lookback_stateEbbT6_jjT7_P12ihipStream_tbENKUlT_T0_SI_SN_E_clIPdSD_S15_SD_EEDaS11_S12_SI_SN_EUlS11_E_NS1_11comp_targetILNS1_3genE10ELNS1_11target_archE1201ELNS1_3gpuE5ELNS1_3repE0EEENS1_47radix_sort_onesweep_sort_config_static_selectorELNS0_4arch9wavefront6targetE1EEEvSI_,"axG",@progbits,_ZN7rocprim17ROCPRIM_400000_NS6detail17trampoline_kernelINS0_14default_configENS1_35radix_sort_onesweep_config_selectorIddEEZZNS1_29radix_sort_onesweep_iterationIS3_Lb0EN6thrust23THRUST_200600_302600_NS6detail15normal_iteratorINS8_10device_ptrIdEEEESD_SD_SD_jNS0_19identity_decomposerENS1_16block_id_wrapperIjLb1EEEEE10hipError_tT1_PNSt15iterator_traitsISI_E10value_typeET2_T3_PNSJ_ISO_E10value_typeET4_T5_PST_SU_PNS1_23onesweep_lookback_stateEbbT6_jjT7_P12ihipStream_tbENKUlT_T0_SI_SN_E_clIPdSD_S15_SD_EEDaS11_S12_SI_SN_EUlS11_E_NS1_11comp_targetILNS1_3genE10ELNS1_11target_archE1201ELNS1_3gpuE5ELNS1_3repE0EEENS1_47radix_sort_onesweep_sort_config_static_selectorELNS0_4arch9wavefront6targetE1EEEvSI_,comdat
.Lfunc_end133:
	.size	_ZN7rocprim17ROCPRIM_400000_NS6detail17trampoline_kernelINS0_14default_configENS1_35radix_sort_onesweep_config_selectorIddEEZZNS1_29radix_sort_onesweep_iterationIS3_Lb0EN6thrust23THRUST_200600_302600_NS6detail15normal_iteratorINS8_10device_ptrIdEEEESD_SD_SD_jNS0_19identity_decomposerENS1_16block_id_wrapperIjLb1EEEEE10hipError_tT1_PNSt15iterator_traitsISI_E10value_typeET2_T3_PNSJ_ISO_E10value_typeET4_T5_PST_SU_PNS1_23onesweep_lookback_stateEbbT6_jjT7_P12ihipStream_tbENKUlT_T0_SI_SN_E_clIPdSD_S15_SD_EEDaS11_S12_SI_SN_EUlS11_E_NS1_11comp_targetILNS1_3genE10ELNS1_11target_archE1201ELNS1_3gpuE5ELNS1_3repE0EEENS1_47radix_sort_onesweep_sort_config_static_selectorELNS0_4arch9wavefront6targetE1EEEvSI_, .Lfunc_end133-_ZN7rocprim17ROCPRIM_400000_NS6detail17trampoline_kernelINS0_14default_configENS1_35radix_sort_onesweep_config_selectorIddEEZZNS1_29radix_sort_onesweep_iterationIS3_Lb0EN6thrust23THRUST_200600_302600_NS6detail15normal_iteratorINS8_10device_ptrIdEEEESD_SD_SD_jNS0_19identity_decomposerENS1_16block_id_wrapperIjLb1EEEEE10hipError_tT1_PNSt15iterator_traitsISI_E10value_typeET2_T3_PNSJ_ISO_E10value_typeET4_T5_PST_SU_PNS1_23onesweep_lookback_stateEbbT6_jjT7_P12ihipStream_tbENKUlT_T0_SI_SN_E_clIPdSD_S15_SD_EEDaS11_S12_SI_SN_EUlS11_E_NS1_11comp_targetILNS1_3genE10ELNS1_11target_archE1201ELNS1_3gpuE5ELNS1_3repE0EEENS1_47radix_sort_onesweep_sort_config_static_selectorELNS0_4arch9wavefront6targetE1EEEvSI_
                                        ; -- End function
	.set _ZN7rocprim17ROCPRIM_400000_NS6detail17trampoline_kernelINS0_14default_configENS1_35radix_sort_onesweep_config_selectorIddEEZZNS1_29radix_sort_onesweep_iterationIS3_Lb0EN6thrust23THRUST_200600_302600_NS6detail15normal_iteratorINS8_10device_ptrIdEEEESD_SD_SD_jNS0_19identity_decomposerENS1_16block_id_wrapperIjLb1EEEEE10hipError_tT1_PNSt15iterator_traitsISI_E10value_typeET2_T3_PNSJ_ISO_E10value_typeET4_T5_PST_SU_PNS1_23onesweep_lookback_stateEbbT6_jjT7_P12ihipStream_tbENKUlT_T0_SI_SN_E_clIPdSD_S15_SD_EEDaS11_S12_SI_SN_EUlS11_E_NS1_11comp_targetILNS1_3genE10ELNS1_11target_archE1201ELNS1_3gpuE5ELNS1_3repE0EEENS1_47radix_sort_onesweep_sort_config_static_selectorELNS0_4arch9wavefront6targetE1EEEvSI_.num_vgpr, 0
	.set _ZN7rocprim17ROCPRIM_400000_NS6detail17trampoline_kernelINS0_14default_configENS1_35radix_sort_onesweep_config_selectorIddEEZZNS1_29radix_sort_onesweep_iterationIS3_Lb0EN6thrust23THRUST_200600_302600_NS6detail15normal_iteratorINS8_10device_ptrIdEEEESD_SD_SD_jNS0_19identity_decomposerENS1_16block_id_wrapperIjLb1EEEEE10hipError_tT1_PNSt15iterator_traitsISI_E10value_typeET2_T3_PNSJ_ISO_E10value_typeET4_T5_PST_SU_PNS1_23onesweep_lookback_stateEbbT6_jjT7_P12ihipStream_tbENKUlT_T0_SI_SN_E_clIPdSD_S15_SD_EEDaS11_S12_SI_SN_EUlS11_E_NS1_11comp_targetILNS1_3genE10ELNS1_11target_archE1201ELNS1_3gpuE5ELNS1_3repE0EEENS1_47radix_sort_onesweep_sort_config_static_selectorELNS0_4arch9wavefront6targetE1EEEvSI_.num_agpr, 0
	.set _ZN7rocprim17ROCPRIM_400000_NS6detail17trampoline_kernelINS0_14default_configENS1_35radix_sort_onesweep_config_selectorIddEEZZNS1_29radix_sort_onesweep_iterationIS3_Lb0EN6thrust23THRUST_200600_302600_NS6detail15normal_iteratorINS8_10device_ptrIdEEEESD_SD_SD_jNS0_19identity_decomposerENS1_16block_id_wrapperIjLb1EEEEE10hipError_tT1_PNSt15iterator_traitsISI_E10value_typeET2_T3_PNSJ_ISO_E10value_typeET4_T5_PST_SU_PNS1_23onesweep_lookback_stateEbbT6_jjT7_P12ihipStream_tbENKUlT_T0_SI_SN_E_clIPdSD_S15_SD_EEDaS11_S12_SI_SN_EUlS11_E_NS1_11comp_targetILNS1_3genE10ELNS1_11target_archE1201ELNS1_3gpuE5ELNS1_3repE0EEENS1_47radix_sort_onesweep_sort_config_static_selectorELNS0_4arch9wavefront6targetE1EEEvSI_.numbered_sgpr, 0
	.set _ZN7rocprim17ROCPRIM_400000_NS6detail17trampoline_kernelINS0_14default_configENS1_35radix_sort_onesweep_config_selectorIddEEZZNS1_29radix_sort_onesweep_iterationIS3_Lb0EN6thrust23THRUST_200600_302600_NS6detail15normal_iteratorINS8_10device_ptrIdEEEESD_SD_SD_jNS0_19identity_decomposerENS1_16block_id_wrapperIjLb1EEEEE10hipError_tT1_PNSt15iterator_traitsISI_E10value_typeET2_T3_PNSJ_ISO_E10value_typeET4_T5_PST_SU_PNS1_23onesweep_lookback_stateEbbT6_jjT7_P12ihipStream_tbENKUlT_T0_SI_SN_E_clIPdSD_S15_SD_EEDaS11_S12_SI_SN_EUlS11_E_NS1_11comp_targetILNS1_3genE10ELNS1_11target_archE1201ELNS1_3gpuE5ELNS1_3repE0EEENS1_47radix_sort_onesweep_sort_config_static_selectorELNS0_4arch9wavefront6targetE1EEEvSI_.num_named_barrier, 0
	.set _ZN7rocprim17ROCPRIM_400000_NS6detail17trampoline_kernelINS0_14default_configENS1_35radix_sort_onesweep_config_selectorIddEEZZNS1_29radix_sort_onesweep_iterationIS3_Lb0EN6thrust23THRUST_200600_302600_NS6detail15normal_iteratorINS8_10device_ptrIdEEEESD_SD_SD_jNS0_19identity_decomposerENS1_16block_id_wrapperIjLb1EEEEE10hipError_tT1_PNSt15iterator_traitsISI_E10value_typeET2_T3_PNSJ_ISO_E10value_typeET4_T5_PST_SU_PNS1_23onesweep_lookback_stateEbbT6_jjT7_P12ihipStream_tbENKUlT_T0_SI_SN_E_clIPdSD_S15_SD_EEDaS11_S12_SI_SN_EUlS11_E_NS1_11comp_targetILNS1_3genE10ELNS1_11target_archE1201ELNS1_3gpuE5ELNS1_3repE0EEENS1_47radix_sort_onesweep_sort_config_static_selectorELNS0_4arch9wavefront6targetE1EEEvSI_.private_seg_size, 0
	.set _ZN7rocprim17ROCPRIM_400000_NS6detail17trampoline_kernelINS0_14default_configENS1_35radix_sort_onesweep_config_selectorIddEEZZNS1_29radix_sort_onesweep_iterationIS3_Lb0EN6thrust23THRUST_200600_302600_NS6detail15normal_iteratorINS8_10device_ptrIdEEEESD_SD_SD_jNS0_19identity_decomposerENS1_16block_id_wrapperIjLb1EEEEE10hipError_tT1_PNSt15iterator_traitsISI_E10value_typeET2_T3_PNSJ_ISO_E10value_typeET4_T5_PST_SU_PNS1_23onesweep_lookback_stateEbbT6_jjT7_P12ihipStream_tbENKUlT_T0_SI_SN_E_clIPdSD_S15_SD_EEDaS11_S12_SI_SN_EUlS11_E_NS1_11comp_targetILNS1_3genE10ELNS1_11target_archE1201ELNS1_3gpuE5ELNS1_3repE0EEENS1_47radix_sort_onesweep_sort_config_static_selectorELNS0_4arch9wavefront6targetE1EEEvSI_.uses_vcc, 0
	.set _ZN7rocprim17ROCPRIM_400000_NS6detail17trampoline_kernelINS0_14default_configENS1_35radix_sort_onesweep_config_selectorIddEEZZNS1_29radix_sort_onesweep_iterationIS3_Lb0EN6thrust23THRUST_200600_302600_NS6detail15normal_iteratorINS8_10device_ptrIdEEEESD_SD_SD_jNS0_19identity_decomposerENS1_16block_id_wrapperIjLb1EEEEE10hipError_tT1_PNSt15iterator_traitsISI_E10value_typeET2_T3_PNSJ_ISO_E10value_typeET4_T5_PST_SU_PNS1_23onesweep_lookback_stateEbbT6_jjT7_P12ihipStream_tbENKUlT_T0_SI_SN_E_clIPdSD_S15_SD_EEDaS11_S12_SI_SN_EUlS11_E_NS1_11comp_targetILNS1_3genE10ELNS1_11target_archE1201ELNS1_3gpuE5ELNS1_3repE0EEENS1_47radix_sort_onesweep_sort_config_static_selectorELNS0_4arch9wavefront6targetE1EEEvSI_.uses_flat_scratch, 0
	.set _ZN7rocprim17ROCPRIM_400000_NS6detail17trampoline_kernelINS0_14default_configENS1_35radix_sort_onesweep_config_selectorIddEEZZNS1_29radix_sort_onesweep_iterationIS3_Lb0EN6thrust23THRUST_200600_302600_NS6detail15normal_iteratorINS8_10device_ptrIdEEEESD_SD_SD_jNS0_19identity_decomposerENS1_16block_id_wrapperIjLb1EEEEE10hipError_tT1_PNSt15iterator_traitsISI_E10value_typeET2_T3_PNSJ_ISO_E10value_typeET4_T5_PST_SU_PNS1_23onesweep_lookback_stateEbbT6_jjT7_P12ihipStream_tbENKUlT_T0_SI_SN_E_clIPdSD_S15_SD_EEDaS11_S12_SI_SN_EUlS11_E_NS1_11comp_targetILNS1_3genE10ELNS1_11target_archE1201ELNS1_3gpuE5ELNS1_3repE0EEENS1_47radix_sort_onesweep_sort_config_static_selectorELNS0_4arch9wavefront6targetE1EEEvSI_.has_dyn_sized_stack, 0
	.set _ZN7rocprim17ROCPRIM_400000_NS6detail17trampoline_kernelINS0_14default_configENS1_35radix_sort_onesweep_config_selectorIddEEZZNS1_29radix_sort_onesweep_iterationIS3_Lb0EN6thrust23THRUST_200600_302600_NS6detail15normal_iteratorINS8_10device_ptrIdEEEESD_SD_SD_jNS0_19identity_decomposerENS1_16block_id_wrapperIjLb1EEEEE10hipError_tT1_PNSt15iterator_traitsISI_E10value_typeET2_T3_PNSJ_ISO_E10value_typeET4_T5_PST_SU_PNS1_23onesweep_lookback_stateEbbT6_jjT7_P12ihipStream_tbENKUlT_T0_SI_SN_E_clIPdSD_S15_SD_EEDaS11_S12_SI_SN_EUlS11_E_NS1_11comp_targetILNS1_3genE10ELNS1_11target_archE1201ELNS1_3gpuE5ELNS1_3repE0EEENS1_47radix_sort_onesweep_sort_config_static_selectorELNS0_4arch9wavefront6targetE1EEEvSI_.has_recursion, 0
	.set _ZN7rocprim17ROCPRIM_400000_NS6detail17trampoline_kernelINS0_14default_configENS1_35radix_sort_onesweep_config_selectorIddEEZZNS1_29radix_sort_onesweep_iterationIS3_Lb0EN6thrust23THRUST_200600_302600_NS6detail15normal_iteratorINS8_10device_ptrIdEEEESD_SD_SD_jNS0_19identity_decomposerENS1_16block_id_wrapperIjLb1EEEEE10hipError_tT1_PNSt15iterator_traitsISI_E10value_typeET2_T3_PNSJ_ISO_E10value_typeET4_T5_PST_SU_PNS1_23onesweep_lookback_stateEbbT6_jjT7_P12ihipStream_tbENKUlT_T0_SI_SN_E_clIPdSD_S15_SD_EEDaS11_S12_SI_SN_EUlS11_E_NS1_11comp_targetILNS1_3genE10ELNS1_11target_archE1201ELNS1_3gpuE5ELNS1_3repE0EEENS1_47radix_sort_onesweep_sort_config_static_selectorELNS0_4arch9wavefront6targetE1EEEvSI_.has_indirect_call, 0
	.section	.AMDGPU.csdata,"",@progbits
; Kernel info:
; codeLenInByte = 0
; TotalNumSgprs: 6
; NumVgprs: 0
; NumAgprs: 0
; TotalNumVgprs: 0
; ScratchSize: 0
; MemoryBound: 0
; FloatMode: 240
; IeeeMode: 1
; LDSByteSize: 0 bytes/workgroup (compile time only)
; SGPRBlocks: 0
; VGPRBlocks: 0
; NumSGPRsForWavesPerEU: 6
; NumVGPRsForWavesPerEU: 1
; AccumOffset: 4
; Occupancy: 8
; WaveLimiterHint : 0
; COMPUTE_PGM_RSRC2:SCRATCH_EN: 0
; COMPUTE_PGM_RSRC2:USER_SGPR: 2
; COMPUTE_PGM_RSRC2:TRAP_HANDLER: 0
; COMPUTE_PGM_RSRC2:TGID_X_EN: 1
; COMPUTE_PGM_RSRC2:TGID_Y_EN: 0
; COMPUTE_PGM_RSRC2:TGID_Z_EN: 0
; COMPUTE_PGM_RSRC2:TIDIG_COMP_CNT: 0
; COMPUTE_PGM_RSRC3_GFX90A:ACCUM_OFFSET: 0
; COMPUTE_PGM_RSRC3_GFX90A:TG_SPLIT: 0
	.section	.text._ZN7rocprim17ROCPRIM_400000_NS6detail17trampoline_kernelINS0_14default_configENS1_35radix_sort_onesweep_config_selectorIddEEZZNS1_29radix_sort_onesweep_iterationIS3_Lb0EN6thrust23THRUST_200600_302600_NS6detail15normal_iteratorINS8_10device_ptrIdEEEESD_SD_SD_jNS0_19identity_decomposerENS1_16block_id_wrapperIjLb1EEEEE10hipError_tT1_PNSt15iterator_traitsISI_E10value_typeET2_T3_PNSJ_ISO_E10value_typeET4_T5_PST_SU_PNS1_23onesweep_lookback_stateEbbT6_jjT7_P12ihipStream_tbENKUlT_T0_SI_SN_E_clIPdSD_S15_SD_EEDaS11_S12_SI_SN_EUlS11_E_NS1_11comp_targetILNS1_3genE9ELNS1_11target_archE1100ELNS1_3gpuE3ELNS1_3repE0EEENS1_47radix_sort_onesweep_sort_config_static_selectorELNS0_4arch9wavefront6targetE1EEEvSI_,"axG",@progbits,_ZN7rocprim17ROCPRIM_400000_NS6detail17trampoline_kernelINS0_14default_configENS1_35radix_sort_onesweep_config_selectorIddEEZZNS1_29radix_sort_onesweep_iterationIS3_Lb0EN6thrust23THRUST_200600_302600_NS6detail15normal_iteratorINS8_10device_ptrIdEEEESD_SD_SD_jNS0_19identity_decomposerENS1_16block_id_wrapperIjLb1EEEEE10hipError_tT1_PNSt15iterator_traitsISI_E10value_typeET2_T3_PNSJ_ISO_E10value_typeET4_T5_PST_SU_PNS1_23onesweep_lookback_stateEbbT6_jjT7_P12ihipStream_tbENKUlT_T0_SI_SN_E_clIPdSD_S15_SD_EEDaS11_S12_SI_SN_EUlS11_E_NS1_11comp_targetILNS1_3genE9ELNS1_11target_archE1100ELNS1_3gpuE3ELNS1_3repE0EEENS1_47radix_sort_onesweep_sort_config_static_selectorELNS0_4arch9wavefront6targetE1EEEvSI_,comdat
	.protected	_ZN7rocprim17ROCPRIM_400000_NS6detail17trampoline_kernelINS0_14default_configENS1_35radix_sort_onesweep_config_selectorIddEEZZNS1_29radix_sort_onesweep_iterationIS3_Lb0EN6thrust23THRUST_200600_302600_NS6detail15normal_iteratorINS8_10device_ptrIdEEEESD_SD_SD_jNS0_19identity_decomposerENS1_16block_id_wrapperIjLb1EEEEE10hipError_tT1_PNSt15iterator_traitsISI_E10value_typeET2_T3_PNSJ_ISO_E10value_typeET4_T5_PST_SU_PNS1_23onesweep_lookback_stateEbbT6_jjT7_P12ihipStream_tbENKUlT_T0_SI_SN_E_clIPdSD_S15_SD_EEDaS11_S12_SI_SN_EUlS11_E_NS1_11comp_targetILNS1_3genE9ELNS1_11target_archE1100ELNS1_3gpuE3ELNS1_3repE0EEENS1_47radix_sort_onesweep_sort_config_static_selectorELNS0_4arch9wavefront6targetE1EEEvSI_ ; -- Begin function _ZN7rocprim17ROCPRIM_400000_NS6detail17trampoline_kernelINS0_14default_configENS1_35radix_sort_onesweep_config_selectorIddEEZZNS1_29radix_sort_onesweep_iterationIS3_Lb0EN6thrust23THRUST_200600_302600_NS6detail15normal_iteratorINS8_10device_ptrIdEEEESD_SD_SD_jNS0_19identity_decomposerENS1_16block_id_wrapperIjLb1EEEEE10hipError_tT1_PNSt15iterator_traitsISI_E10value_typeET2_T3_PNSJ_ISO_E10value_typeET4_T5_PST_SU_PNS1_23onesweep_lookback_stateEbbT6_jjT7_P12ihipStream_tbENKUlT_T0_SI_SN_E_clIPdSD_S15_SD_EEDaS11_S12_SI_SN_EUlS11_E_NS1_11comp_targetILNS1_3genE9ELNS1_11target_archE1100ELNS1_3gpuE3ELNS1_3repE0EEENS1_47radix_sort_onesweep_sort_config_static_selectorELNS0_4arch9wavefront6targetE1EEEvSI_
	.globl	_ZN7rocprim17ROCPRIM_400000_NS6detail17trampoline_kernelINS0_14default_configENS1_35radix_sort_onesweep_config_selectorIddEEZZNS1_29radix_sort_onesweep_iterationIS3_Lb0EN6thrust23THRUST_200600_302600_NS6detail15normal_iteratorINS8_10device_ptrIdEEEESD_SD_SD_jNS0_19identity_decomposerENS1_16block_id_wrapperIjLb1EEEEE10hipError_tT1_PNSt15iterator_traitsISI_E10value_typeET2_T3_PNSJ_ISO_E10value_typeET4_T5_PST_SU_PNS1_23onesweep_lookback_stateEbbT6_jjT7_P12ihipStream_tbENKUlT_T0_SI_SN_E_clIPdSD_S15_SD_EEDaS11_S12_SI_SN_EUlS11_E_NS1_11comp_targetILNS1_3genE9ELNS1_11target_archE1100ELNS1_3gpuE3ELNS1_3repE0EEENS1_47radix_sort_onesweep_sort_config_static_selectorELNS0_4arch9wavefront6targetE1EEEvSI_
	.p2align	8
	.type	_ZN7rocprim17ROCPRIM_400000_NS6detail17trampoline_kernelINS0_14default_configENS1_35radix_sort_onesweep_config_selectorIddEEZZNS1_29radix_sort_onesweep_iterationIS3_Lb0EN6thrust23THRUST_200600_302600_NS6detail15normal_iteratorINS8_10device_ptrIdEEEESD_SD_SD_jNS0_19identity_decomposerENS1_16block_id_wrapperIjLb1EEEEE10hipError_tT1_PNSt15iterator_traitsISI_E10value_typeET2_T3_PNSJ_ISO_E10value_typeET4_T5_PST_SU_PNS1_23onesweep_lookback_stateEbbT6_jjT7_P12ihipStream_tbENKUlT_T0_SI_SN_E_clIPdSD_S15_SD_EEDaS11_S12_SI_SN_EUlS11_E_NS1_11comp_targetILNS1_3genE9ELNS1_11target_archE1100ELNS1_3gpuE3ELNS1_3repE0EEENS1_47radix_sort_onesweep_sort_config_static_selectorELNS0_4arch9wavefront6targetE1EEEvSI_,@function
_ZN7rocprim17ROCPRIM_400000_NS6detail17trampoline_kernelINS0_14default_configENS1_35radix_sort_onesweep_config_selectorIddEEZZNS1_29radix_sort_onesweep_iterationIS3_Lb0EN6thrust23THRUST_200600_302600_NS6detail15normal_iteratorINS8_10device_ptrIdEEEESD_SD_SD_jNS0_19identity_decomposerENS1_16block_id_wrapperIjLb1EEEEE10hipError_tT1_PNSt15iterator_traitsISI_E10value_typeET2_T3_PNSJ_ISO_E10value_typeET4_T5_PST_SU_PNS1_23onesweep_lookback_stateEbbT6_jjT7_P12ihipStream_tbENKUlT_T0_SI_SN_E_clIPdSD_S15_SD_EEDaS11_S12_SI_SN_EUlS11_E_NS1_11comp_targetILNS1_3genE9ELNS1_11target_archE1100ELNS1_3gpuE3ELNS1_3repE0EEENS1_47radix_sort_onesweep_sort_config_static_selectorELNS0_4arch9wavefront6targetE1EEEvSI_: ; @_ZN7rocprim17ROCPRIM_400000_NS6detail17trampoline_kernelINS0_14default_configENS1_35radix_sort_onesweep_config_selectorIddEEZZNS1_29radix_sort_onesweep_iterationIS3_Lb0EN6thrust23THRUST_200600_302600_NS6detail15normal_iteratorINS8_10device_ptrIdEEEESD_SD_SD_jNS0_19identity_decomposerENS1_16block_id_wrapperIjLb1EEEEE10hipError_tT1_PNSt15iterator_traitsISI_E10value_typeET2_T3_PNSJ_ISO_E10value_typeET4_T5_PST_SU_PNS1_23onesweep_lookback_stateEbbT6_jjT7_P12ihipStream_tbENKUlT_T0_SI_SN_E_clIPdSD_S15_SD_EEDaS11_S12_SI_SN_EUlS11_E_NS1_11comp_targetILNS1_3genE9ELNS1_11target_archE1100ELNS1_3gpuE3ELNS1_3repE0EEENS1_47radix_sort_onesweep_sort_config_static_selectorELNS0_4arch9wavefront6targetE1EEEvSI_
; %bb.0:
	.section	.rodata,"a",@progbits
	.p2align	6, 0x0
	.amdhsa_kernel _ZN7rocprim17ROCPRIM_400000_NS6detail17trampoline_kernelINS0_14default_configENS1_35radix_sort_onesweep_config_selectorIddEEZZNS1_29radix_sort_onesweep_iterationIS3_Lb0EN6thrust23THRUST_200600_302600_NS6detail15normal_iteratorINS8_10device_ptrIdEEEESD_SD_SD_jNS0_19identity_decomposerENS1_16block_id_wrapperIjLb1EEEEE10hipError_tT1_PNSt15iterator_traitsISI_E10value_typeET2_T3_PNSJ_ISO_E10value_typeET4_T5_PST_SU_PNS1_23onesweep_lookback_stateEbbT6_jjT7_P12ihipStream_tbENKUlT_T0_SI_SN_E_clIPdSD_S15_SD_EEDaS11_S12_SI_SN_EUlS11_E_NS1_11comp_targetILNS1_3genE9ELNS1_11target_archE1100ELNS1_3gpuE3ELNS1_3repE0EEENS1_47radix_sort_onesweep_sort_config_static_selectorELNS0_4arch9wavefront6targetE1EEEvSI_
		.amdhsa_group_segment_fixed_size 0
		.amdhsa_private_segment_fixed_size 0
		.amdhsa_kernarg_size 88
		.amdhsa_user_sgpr_count 2
		.amdhsa_user_sgpr_dispatch_ptr 0
		.amdhsa_user_sgpr_queue_ptr 0
		.amdhsa_user_sgpr_kernarg_segment_ptr 1
		.amdhsa_user_sgpr_dispatch_id 0
		.amdhsa_user_sgpr_kernarg_preload_length 0
		.amdhsa_user_sgpr_kernarg_preload_offset 0
		.amdhsa_user_sgpr_private_segment_size 0
		.amdhsa_uses_dynamic_stack 0
		.amdhsa_enable_private_segment 0
		.amdhsa_system_sgpr_workgroup_id_x 1
		.amdhsa_system_sgpr_workgroup_id_y 0
		.amdhsa_system_sgpr_workgroup_id_z 0
		.amdhsa_system_sgpr_workgroup_info 0
		.amdhsa_system_vgpr_workitem_id 0
		.amdhsa_next_free_vgpr 1
		.amdhsa_next_free_sgpr 0
		.amdhsa_accum_offset 4
		.amdhsa_reserve_vcc 0
		.amdhsa_float_round_mode_32 0
		.amdhsa_float_round_mode_16_64 0
		.amdhsa_float_denorm_mode_32 3
		.amdhsa_float_denorm_mode_16_64 3
		.amdhsa_dx10_clamp 1
		.amdhsa_ieee_mode 1
		.amdhsa_fp16_overflow 0
		.amdhsa_tg_split 0
		.amdhsa_exception_fp_ieee_invalid_op 0
		.amdhsa_exception_fp_denorm_src 0
		.amdhsa_exception_fp_ieee_div_zero 0
		.amdhsa_exception_fp_ieee_overflow 0
		.amdhsa_exception_fp_ieee_underflow 0
		.amdhsa_exception_fp_ieee_inexact 0
		.amdhsa_exception_int_div_zero 0
	.end_amdhsa_kernel
	.section	.text._ZN7rocprim17ROCPRIM_400000_NS6detail17trampoline_kernelINS0_14default_configENS1_35radix_sort_onesweep_config_selectorIddEEZZNS1_29radix_sort_onesweep_iterationIS3_Lb0EN6thrust23THRUST_200600_302600_NS6detail15normal_iteratorINS8_10device_ptrIdEEEESD_SD_SD_jNS0_19identity_decomposerENS1_16block_id_wrapperIjLb1EEEEE10hipError_tT1_PNSt15iterator_traitsISI_E10value_typeET2_T3_PNSJ_ISO_E10value_typeET4_T5_PST_SU_PNS1_23onesweep_lookback_stateEbbT6_jjT7_P12ihipStream_tbENKUlT_T0_SI_SN_E_clIPdSD_S15_SD_EEDaS11_S12_SI_SN_EUlS11_E_NS1_11comp_targetILNS1_3genE9ELNS1_11target_archE1100ELNS1_3gpuE3ELNS1_3repE0EEENS1_47radix_sort_onesweep_sort_config_static_selectorELNS0_4arch9wavefront6targetE1EEEvSI_,"axG",@progbits,_ZN7rocprim17ROCPRIM_400000_NS6detail17trampoline_kernelINS0_14default_configENS1_35radix_sort_onesweep_config_selectorIddEEZZNS1_29radix_sort_onesweep_iterationIS3_Lb0EN6thrust23THRUST_200600_302600_NS6detail15normal_iteratorINS8_10device_ptrIdEEEESD_SD_SD_jNS0_19identity_decomposerENS1_16block_id_wrapperIjLb1EEEEE10hipError_tT1_PNSt15iterator_traitsISI_E10value_typeET2_T3_PNSJ_ISO_E10value_typeET4_T5_PST_SU_PNS1_23onesweep_lookback_stateEbbT6_jjT7_P12ihipStream_tbENKUlT_T0_SI_SN_E_clIPdSD_S15_SD_EEDaS11_S12_SI_SN_EUlS11_E_NS1_11comp_targetILNS1_3genE9ELNS1_11target_archE1100ELNS1_3gpuE3ELNS1_3repE0EEENS1_47radix_sort_onesweep_sort_config_static_selectorELNS0_4arch9wavefront6targetE1EEEvSI_,comdat
.Lfunc_end134:
	.size	_ZN7rocprim17ROCPRIM_400000_NS6detail17trampoline_kernelINS0_14default_configENS1_35radix_sort_onesweep_config_selectorIddEEZZNS1_29radix_sort_onesweep_iterationIS3_Lb0EN6thrust23THRUST_200600_302600_NS6detail15normal_iteratorINS8_10device_ptrIdEEEESD_SD_SD_jNS0_19identity_decomposerENS1_16block_id_wrapperIjLb1EEEEE10hipError_tT1_PNSt15iterator_traitsISI_E10value_typeET2_T3_PNSJ_ISO_E10value_typeET4_T5_PST_SU_PNS1_23onesweep_lookback_stateEbbT6_jjT7_P12ihipStream_tbENKUlT_T0_SI_SN_E_clIPdSD_S15_SD_EEDaS11_S12_SI_SN_EUlS11_E_NS1_11comp_targetILNS1_3genE9ELNS1_11target_archE1100ELNS1_3gpuE3ELNS1_3repE0EEENS1_47radix_sort_onesweep_sort_config_static_selectorELNS0_4arch9wavefront6targetE1EEEvSI_, .Lfunc_end134-_ZN7rocprim17ROCPRIM_400000_NS6detail17trampoline_kernelINS0_14default_configENS1_35radix_sort_onesweep_config_selectorIddEEZZNS1_29radix_sort_onesweep_iterationIS3_Lb0EN6thrust23THRUST_200600_302600_NS6detail15normal_iteratorINS8_10device_ptrIdEEEESD_SD_SD_jNS0_19identity_decomposerENS1_16block_id_wrapperIjLb1EEEEE10hipError_tT1_PNSt15iterator_traitsISI_E10value_typeET2_T3_PNSJ_ISO_E10value_typeET4_T5_PST_SU_PNS1_23onesweep_lookback_stateEbbT6_jjT7_P12ihipStream_tbENKUlT_T0_SI_SN_E_clIPdSD_S15_SD_EEDaS11_S12_SI_SN_EUlS11_E_NS1_11comp_targetILNS1_3genE9ELNS1_11target_archE1100ELNS1_3gpuE3ELNS1_3repE0EEENS1_47radix_sort_onesweep_sort_config_static_selectorELNS0_4arch9wavefront6targetE1EEEvSI_
                                        ; -- End function
	.set _ZN7rocprim17ROCPRIM_400000_NS6detail17trampoline_kernelINS0_14default_configENS1_35radix_sort_onesweep_config_selectorIddEEZZNS1_29radix_sort_onesweep_iterationIS3_Lb0EN6thrust23THRUST_200600_302600_NS6detail15normal_iteratorINS8_10device_ptrIdEEEESD_SD_SD_jNS0_19identity_decomposerENS1_16block_id_wrapperIjLb1EEEEE10hipError_tT1_PNSt15iterator_traitsISI_E10value_typeET2_T3_PNSJ_ISO_E10value_typeET4_T5_PST_SU_PNS1_23onesweep_lookback_stateEbbT6_jjT7_P12ihipStream_tbENKUlT_T0_SI_SN_E_clIPdSD_S15_SD_EEDaS11_S12_SI_SN_EUlS11_E_NS1_11comp_targetILNS1_3genE9ELNS1_11target_archE1100ELNS1_3gpuE3ELNS1_3repE0EEENS1_47radix_sort_onesweep_sort_config_static_selectorELNS0_4arch9wavefront6targetE1EEEvSI_.num_vgpr, 0
	.set _ZN7rocprim17ROCPRIM_400000_NS6detail17trampoline_kernelINS0_14default_configENS1_35radix_sort_onesweep_config_selectorIddEEZZNS1_29radix_sort_onesweep_iterationIS3_Lb0EN6thrust23THRUST_200600_302600_NS6detail15normal_iteratorINS8_10device_ptrIdEEEESD_SD_SD_jNS0_19identity_decomposerENS1_16block_id_wrapperIjLb1EEEEE10hipError_tT1_PNSt15iterator_traitsISI_E10value_typeET2_T3_PNSJ_ISO_E10value_typeET4_T5_PST_SU_PNS1_23onesweep_lookback_stateEbbT6_jjT7_P12ihipStream_tbENKUlT_T0_SI_SN_E_clIPdSD_S15_SD_EEDaS11_S12_SI_SN_EUlS11_E_NS1_11comp_targetILNS1_3genE9ELNS1_11target_archE1100ELNS1_3gpuE3ELNS1_3repE0EEENS1_47radix_sort_onesweep_sort_config_static_selectorELNS0_4arch9wavefront6targetE1EEEvSI_.num_agpr, 0
	.set _ZN7rocprim17ROCPRIM_400000_NS6detail17trampoline_kernelINS0_14default_configENS1_35radix_sort_onesweep_config_selectorIddEEZZNS1_29radix_sort_onesweep_iterationIS3_Lb0EN6thrust23THRUST_200600_302600_NS6detail15normal_iteratorINS8_10device_ptrIdEEEESD_SD_SD_jNS0_19identity_decomposerENS1_16block_id_wrapperIjLb1EEEEE10hipError_tT1_PNSt15iterator_traitsISI_E10value_typeET2_T3_PNSJ_ISO_E10value_typeET4_T5_PST_SU_PNS1_23onesweep_lookback_stateEbbT6_jjT7_P12ihipStream_tbENKUlT_T0_SI_SN_E_clIPdSD_S15_SD_EEDaS11_S12_SI_SN_EUlS11_E_NS1_11comp_targetILNS1_3genE9ELNS1_11target_archE1100ELNS1_3gpuE3ELNS1_3repE0EEENS1_47radix_sort_onesweep_sort_config_static_selectorELNS0_4arch9wavefront6targetE1EEEvSI_.numbered_sgpr, 0
	.set _ZN7rocprim17ROCPRIM_400000_NS6detail17trampoline_kernelINS0_14default_configENS1_35radix_sort_onesweep_config_selectorIddEEZZNS1_29radix_sort_onesweep_iterationIS3_Lb0EN6thrust23THRUST_200600_302600_NS6detail15normal_iteratorINS8_10device_ptrIdEEEESD_SD_SD_jNS0_19identity_decomposerENS1_16block_id_wrapperIjLb1EEEEE10hipError_tT1_PNSt15iterator_traitsISI_E10value_typeET2_T3_PNSJ_ISO_E10value_typeET4_T5_PST_SU_PNS1_23onesweep_lookback_stateEbbT6_jjT7_P12ihipStream_tbENKUlT_T0_SI_SN_E_clIPdSD_S15_SD_EEDaS11_S12_SI_SN_EUlS11_E_NS1_11comp_targetILNS1_3genE9ELNS1_11target_archE1100ELNS1_3gpuE3ELNS1_3repE0EEENS1_47radix_sort_onesweep_sort_config_static_selectorELNS0_4arch9wavefront6targetE1EEEvSI_.num_named_barrier, 0
	.set _ZN7rocprim17ROCPRIM_400000_NS6detail17trampoline_kernelINS0_14default_configENS1_35radix_sort_onesweep_config_selectorIddEEZZNS1_29radix_sort_onesweep_iterationIS3_Lb0EN6thrust23THRUST_200600_302600_NS6detail15normal_iteratorINS8_10device_ptrIdEEEESD_SD_SD_jNS0_19identity_decomposerENS1_16block_id_wrapperIjLb1EEEEE10hipError_tT1_PNSt15iterator_traitsISI_E10value_typeET2_T3_PNSJ_ISO_E10value_typeET4_T5_PST_SU_PNS1_23onesweep_lookback_stateEbbT6_jjT7_P12ihipStream_tbENKUlT_T0_SI_SN_E_clIPdSD_S15_SD_EEDaS11_S12_SI_SN_EUlS11_E_NS1_11comp_targetILNS1_3genE9ELNS1_11target_archE1100ELNS1_3gpuE3ELNS1_3repE0EEENS1_47radix_sort_onesweep_sort_config_static_selectorELNS0_4arch9wavefront6targetE1EEEvSI_.private_seg_size, 0
	.set _ZN7rocprim17ROCPRIM_400000_NS6detail17trampoline_kernelINS0_14default_configENS1_35radix_sort_onesweep_config_selectorIddEEZZNS1_29radix_sort_onesweep_iterationIS3_Lb0EN6thrust23THRUST_200600_302600_NS6detail15normal_iteratorINS8_10device_ptrIdEEEESD_SD_SD_jNS0_19identity_decomposerENS1_16block_id_wrapperIjLb1EEEEE10hipError_tT1_PNSt15iterator_traitsISI_E10value_typeET2_T3_PNSJ_ISO_E10value_typeET4_T5_PST_SU_PNS1_23onesweep_lookback_stateEbbT6_jjT7_P12ihipStream_tbENKUlT_T0_SI_SN_E_clIPdSD_S15_SD_EEDaS11_S12_SI_SN_EUlS11_E_NS1_11comp_targetILNS1_3genE9ELNS1_11target_archE1100ELNS1_3gpuE3ELNS1_3repE0EEENS1_47radix_sort_onesweep_sort_config_static_selectorELNS0_4arch9wavefront6targetE1EEEvSI_.uses_vcc, 0
	.set _ZN7rocprim17ROCPRIM_400000_NS6detail17trampoline_kernelINS0_14default_configENS1_35radix_sort_onesweep_config_selectorIddEEZZNS1_29radix_sort_onesweep_iterationIS3_Lb0EN6thrust23THRUST_200600_302600_NS6detail15normal_iteratorINS8_10device_ptrIdEEEESD_SD_SD_jNS0_19identity_decomposerENS1_16block_id_wrapperIjLb1EEEEE10hipError_tT1_PNSt15iterator_traitsISI_E10value_typeET2_T3_PNSJ_ISO_E10value_typeET4_T5_PST_SU_PNS1_23onesweep_lookback_stateEbbT6_jjT7_P12ihipStream_tbENKUlT_T0_SI_SN_E_clIPdSD_S15_SD_EEDaS11_S12_SI_SN_EUlS11_E_NS1_11comp_targetILNS1_3genE9ELNS1_11target_archE1100ELNS1_3gpuE3ELNS1_3repE0EEENS1_47radix_sort_onesweep_sort_config_static_selectorELNS0_4arch9wavefront6targetE1EEEvSI_.uses_flat_scratch, 0
	.set _ZN7rocprim17ROCPRIM_400000_NS6detail17trampoline_kernelINS0_14default_configENS1_35radix_sort_onesweep_config_selectorIddEEZZNS1_29radix_sort_onesweep_iterationIS3_Lb0EN6thrust23THRUST_200600_302600_NS6detail15normal_iteratorINS8_10device_ptrIdEEEESD_SD_SD_jNS0_19identity_decomposerENS1_16block_id_wrapperIjLb1EEEEE10hipError_tT1_PNSt15iterator_traitsISI_E10value_typeET2_T3_PNSJ_ISO_E10value_typeET4_T5_PST_SU_PNS1_23onesweep_lookback_stateEbbT6_jjT7_P12ihipStream_tbENKUlT_T0_SI_SN_E_clIPdSD_S15_SD_EEDaS11_S12_SI_SN_EUlS11_E_NS1_11comp_targetILNS1_3genE9ELNS1_11target_archE1100ELNS1_3gpuE3ELNS1_3repE0EEENS1_47radix_sort_onesweep_sort_config_static_selectorELNS0_4arch9wavefront6targetE1EEEvSI_.has_dyn_sized_stack, 0
	.set _ZN7rocprim17ROCPRIM_400000_NS6detail17trampoline_kernelINS0_14default_configENS1_35radix_sort_onesweep_config_selectorIddEEZZNS1_29radix_sort_onesweep_iterationIS3_Lb0EN6thrust23THRUST_200600_302600_NS6detail15normal_iteratorINS8_10device_ptrIdEEEESD_SD_SD_jNS0_19identity_decomposerENS1_16block_id_wrapperIjLb1EEEEE10hipError_tT1_PNSt15iterator_traitsISI_E10value_typeET2_T3_PNSJ_ISO_E10value_typeET4_T5_PST_SU_PNS1_23onesweep_lookback_stateEbbT6_jjT7_P12ihipStream_tbENKUlT_T0_SI_SN_E_clIPdSD_S15_SD_EEDaS11_S12_SI_SN_EUlS11_E_NS1_11comp_targetILNS1_3genE9ELNS1_11target_archE1100ELNS1_3gpuE3ELNS1_3repE0EEENS1_47radix_sort_onesweep_sort_config_static_selectorELNS0_4arch9wavefront6targetE1EEEvSI_.has_recursion, 0
	.set _ZN7rocprim17ROCPRIM_400000_NS6detail17trampoline_kernelINS0_14default_configENS1_35radix_sort_onesweep_config_selectorIddEEZZNS1_29radix_sort_onesweep_iterationIS3_Lb0EN6thrust23THRUST_200600_302600_NS6detail15normal_iteratorINS8_10device_ptrIdEEEESD_SD_SD_jNS0_19identity_decomposerENS1_16block_id_wrapperIjLb1EEEEE10hipError_tT1_PNSt15iterator_traitsISI_E10value_typeET2_T3_PNSJ_ISO_E10value_typeET4_T5_PST_SU_PNS1_23onesweep_lookback_stateEbbT6_jjT7_P12ihipStream_tbENKUlT_T0_SI_SN_E_clIPdSD_S15_SD_EEDaS11_S12_SI_SN_EUlS11_E_NS1_11comp_targetILNS1_3genE9ELNS1_11target_archE1100ELNS1_3gpuE3ELNS1_3repE0EEENS1_47radix_sort_onesweep_sort_config_static_selectorELNS0_4arch9wavefront6targetE1EEEvSI_.has_indirect_call, 0
	.section	.AMDGPU.csdata,"",@progbits
; Kernel info:
; codeLenInByte = 0
; TotalNumSgprs: 6
; NumVgprs: 0
; NumAgprs: 0
; TotalNumVgprs: 0
; ScratchSize: 0
; MemoryBound: 0
; FloatMode: 240
; IeeeMode: 1
; LDSByteSize: 0 bytes/workgroup (compile time only)
; SGPRBlocks: 0
; VGPRBlocks: 0
; NumSGPRsForWavesPerEU: 6
; NumVGPRsForWavesPerEU: 1
; AccumOffset: 4
; Occupancy: 8
; WaveLimiterHint : 0
; COMPUTE_PGM_RSRC2:SCRATCH_EN: 0
; COMPUTE_PGM_RSRC2:USER_SGPR: 2
; COMPUTE_PGM_RSRC2:TRAP_HANDLER: 0
; COMPUTE_PGM_RSRC2:TGID_X_EN: 1
; COMPUTE_PGM_RSRC2:TGID_Y_EN: 0
; COMPUTE_PGM_RSRC2:TGID_Z_EN: 0
; COMPUTE_PGM_RSRC2:TIDIG_COMP_CNT: 0
; COMPUTE_PGM_RSRC3_GFX90A:ACCUM_OFFSET: 0
; COMPUTE_PGM_RSRC3_GFX90A:TG_SPLIT: 0
	.section	.text._ZN7rocprim17ROCPRIM_400000_NS6detail17trampoline_kernelINS0_14default_configENS1_35radix_sort_onesweep_config_selectorIddEEZZNS1_29radix_sort_onesweep_iterationIS3_Lb0EN6thrust23THRUST_200600_302600_NS6detail15normal_iteratorINS8_10device_ptrIdEEEESD_SD_SD_jNS0_19identity_decomposerENS1_16block_id_wrapperIjLb1EEEEE10hipError_tT1_PNSt15iterator_traitsISI_E10value_typeET2_T3_PNSJ_ISO_E10value_typeET4_T5_PST_SU_PNS1_23onesweep_lookback_stateEbbT6_jjT7_P12ihipStream_tbENKUlT_T0_SI_SN_E_clIPdSD_S15_SD_EEDaS11_S12_SI_SN_EUlS11_E_NS1_11comp_targetILNS1_3genE8ELNS1_11target_archE1030ELNS1_3gpuE2ELNS1_3repE0EEENS1_47radix_sort_onesweep_sort_config_static_selectorELNS0_4arch9wavefront6targetE1EEEvSI_,"axG",@progbits,_ZN7rocprim17ROCPRIM_400000_NS6detail17trampoline_kernelINS0_14default_configENS1_35radix_sort_onesweep_config_selectorIddEEZZNS1_29radix_sort_onesweep_iterationIS3_Lb0EN6thrust23THRUST_200600_302600_NS6detail15normal_iteratorINS8_10device_ptrIdEEEESD_SD_SD_jNS0_19identity_decomposerENS1_16block_id_wrapperIjLb1EEEEE10hipError_tT1_PNSt15iterator_traitsISI_E10value_typeET2_T3_PNSJ_ISO_E10value_typeET4_T5_PST_SU_PNS1_23onesweep_lookback_stateEbbT6_jjT7_P12ihipStream_tbENKUlT_T0_SI_SN_E_clIPdSD_S15_SD_EEDaS11_S12_SI_SN_EUlS11_E_NS1_11comp_targetILNS1_3genE8ELNS1_11target_archE1030ELNS1_3gpuE2ELNS1_3repE0EEENS1_47radix_sort_onesweep_sort_config_static_selectorELNS0_4arch9wavefront6targetE1EEEvSI_,comdat
	.protected	_ZN7rocprim17ROCPRIM_400000_NS6detail17trampoline_kernelINS0_14default_configENS1_35radix_sort_onesweep_config_selectorIddEEZZNS1_29radix_sort_onesweep_iterationIS3_Lb0EN6thrust23THRUST_200600_302600_NS6detail15normal_iteratorINS8_10device_ptrIdEEEESD_SD_SD_jNS0_19identity_decomposerENS1_16block_id_wrapperIjLb1EEEEE10hipError_tT1_PNSt15iterator_traitsISI_E10value_typeET2_T3_PNSJ_ISO_E10value_typeET4_T5_PST_SU_PNS1_23onesweep_lookback_stateEbbT6_jjT7_P12ihipStream_tbENKUlT_T0_SI_SN_E_clIPdSD_S15_SD_EEDaS11_S12_SI_SN_EUlS11_E_NS1_11comp_targetILNS1_3genE8ELNS1_11target_archE1030ELNS1_3gpuE2ELNS1_3repE0EEENS1_47radix_sort_onesweep_sort_config_static_selectorELNS0_4arch9wavefront6targetE1EEEvSI_ ; -- Begin function _ZN7rocprim17ROCPRIM_400000_NS6detail17trampoline_kernelINS0_14default_configENS1_35radix_sort_onesweep_config_selectorIddEEZZNS1_29radix_sort_onesweep_iterationIS3_Lb0EN6thrust23THRUST_200600_302600_NS6detail15normal_iteratorINS8_10device_ptrIdEEEESD_SD_SD_jNS0_19identity_decomposerENS1_16block_id_wrapperIjLb1EEEEE10hipError_tT1_PNSt15iterator_traitsISI_E10value_typeET2_T3_PNSJ_ISO_E10value_typeET4_T5_PST_SU_PNS1_23onesweep_lookback_stateEbbT6_jjT7_P12ihipStream_tbENKUlT_T0_SI_SN_E_clIPdSD_S15_SD_EEDaS11_S12_SI_SN_EUlS11_E_NS1_11comp_targetILNS1_3genE8ELNS1_11target_archE1030ELNS1_3gpuE2ELNS1_3repE0EEENS1_47radix_sort_onesweep_sort_config_static_selectorELNS0_4arch9wavefront6targetE1EEEvSI_
	.globl	_ZN7rocprim17ROCPRIM_400000_NS6detail17trampoline_kernelINS0_14default_configENS1_35radix_sort_onesweep_config_selectorIddEEZZNS1_29radix_sort_onesweep_iterationIS3_Lb0EN6thrust23THRUST_200600_302600_NS6detail15normal_iteratorINS8_10device_ptrIdEEEESD_SD_SD_jNS0_19identity_decomposerENS1_16block_id_wrapperIjLb1EEEEE10hipError_tT1_PNSt15iterator_traitsISI_E10value_typeET2_T3_PNSJ_ISO_E10value_typeET4_T5_PST_SU_PNS1_23onesweep_lookback_stateEbbT6_jjT7_P12ihipStream_tbENKUlT_T0_SI_SN_E_clIPdSD_S15_SD_EEDaS11_S12_SI_SN_EUlS11_E_NS1_11comp_targetILNS1_3genE8ELNS1_11target_archE1030ELNS1_3gpuE2ELNS1_3repE0EEENS1_47radix_sort_onesweep_sort_config_static_selectorELNS0_4arch9wavefront6targetE1EEEvSI_
	.p2align	8
	.type	_ZN7rocprim17ROCPRIM_400000_NS6detail17trampoline_kernelINS0_14default_configENS1_35radix_sort_onesweep_config_selectorIddEEZZNS1_29radix_sort_onesweep_iterationIS3_Lb0EN6thrust23THRUST_200600_302600_NS6detail15normal_iteratorINS8_10device_ptrIdEEEESD_SD_SD_jNS0_19identity_decomposerENS1_16block_id_wrapperIjLb1EEEEE10hipError_tT1_PNSt15iterator_traitsISI_E10value_typeET2_T3_PNSJ_ISO_E10value_typeET4_T5_PST_SU_PNS1_23onesweep_lookback_stateEbbT6_jjT7_P12ihipStream_tbENKUlT_T0_SI_SN_E_clIPdSD_S15_SD_EEDaS11_S12_SI_SN_EUlS11_E_NS1_11comp_targetILNS1_3genE8ELNS1_11target_archE1030ELNS1_3gpuE2ELNS1_3repE0EEENS1_47radix_sort_onesweep_sort_config_static_selectorELNS0_4arch9wavefront6targetE1EEEvSI_,@function
_ZN7rocprim17ROCPRIM_400000_NS6detail17trampoline_kernelINS0_14default_configENS1_35radix_sort_onesweep_config_selectorIddEEZZNS1_29radix_sort_onesweep_iterationIS3_Lb0EN6thrust23THRUST_200600_302600_NS6detail15normal_iteratorINS8_10device_ptrIdEEEESD_SD_SD_jNS0_19identity_decomposerENS1_16block_id_wrapperIjLb1EEEEE10hipError_tT1_PNSt15iterator_traitsISI_E10value_typeET2_T3_PNSJ_ISO_E10value_typeET4_T5_PST_SU_PNS1_23onesweep_lookback_stateEbbT6_jjT7_P12ihipStream_tbENKUlT_T0_SI_SN_E_clIPdSD_S15_SD_EEDaS11_S12_SI_SN_EUlS11_E_NS1_11comp_targetILNS1_3genE8ELNS1_11target_archE1030ELNS1_3gpuE2ELNS1_3repE0EEENS1_47radix_sort_onesweep_sort_config_static_selectorELNS0_4arch9wavefront6targetE1EEEvSI_: ; @_ZN7rocprim17ROCPRIM_400000_NS6detail17trampoline_kernelINS0_14default_configENS1_35radix_sort_onesweep_config_selectorIddEEZZNS1_29radix_sort_onesweep_iterationIS3_Lb0EN6thrust23THRUST_200600_302600_NS6detail15normal_iteratorINS8_10device_ptrIdEEEESD_SD_SD_jNS0_19identity_decomposerENS1_16block_id_wrapperIjLb1EEEEE10hipError_tT1_PNSt15iterator_traitsISI_E10value_typeET2_T3_PNSJ_ISO_E10value_typeET4_T5_PST_SU_PNS1_23onesweep_lookback_stateEbbT6_jjT7_P12ihipStream_tbENKUlT_T0_SI_SN_E_clIPdSD_S15_SD_EEDaS11_S12_SI_SN_EUlS11_E_NS1_11comp_targetILNS1_3genE8ELNS1_11target_archE1030ELNS1_3gpuE2ELNS1_3repE0EEENS1_47radix_sort_onesweep_sort_config_static_selectorELNS0_4arch9wavefront6targetE1EEEvSI_
; %bb.0:
	.section	.rodata,"a",@progbits
	.p2align	6, 0x0
	.amdhsa_kernel _ZN7rocprim17ROCPRIM_400000_NS6detail17trampoline_kernelINS0_14default_configENS1_35radix_sort_onesweep_config_selectorIddEEZZNS1_29radix_sort_onesweep_iterationIS3_Lb0EN6thrust23THRUST_200600_302600_NS6detail15normal_iteratorINS8_10device_ptrIdEEEESD_SD_SD_jNS0_19identity_decomposerENS1_16block_id_wrapperIjLb1EEEEE10hipError_tT1_PNSt15iterator_traitsISI_E10value_typeET2_T3_PNSJ_ISO_E10value_typeET4_T5_PST_SU_PNS1_23onesweep_lookback_stateEbbT6_jjT7_P12ihipStream_tbENKUlT_T0_SI_SN_E_clIPdSD_S15_SD_EEDaS11_S12_SI_SN_EUlS11_E_NS1_11comp_targetILNS1_3genE8ELNS1_11target_archE1030ELNS1_3gpuE2ELNS1_3repE0EEENS1_47radix_sort_onesweep_sort_config_static_selectorELNS0_4arch9wavefront6targetE1EEEvSI_
		.amdhsa_group_segment_fixed_size 0
		.amdhsa_private_segment_fixed_size 0
		.amdhsa_kernarg_size 88
		.amdhsa_user_sgpr_count 2
		.amdhsa_user_sgpr_dispatch_ptr 0
		.amdhsa_user_sgpr_queue_ptr 0
		.amdhsa_user_sgpr_kernarg_segment_ptr 1
		.amdhsa_user_sgpr_dispatch_id 0
		.amdhsa_user_sgpr_kernarg_preload_length 0
		.amdhsa_user_sgpr_kernarg_preload_offset 0
		.amdhsa_user_sgpr_private_segment_size 0
		.amdhsa_uses_dynamic_stack 0
		.amdhsa_enable_private_segment 0
		.amdhsa_system_sgpr_workgroup_id_x 1
		.amdhsa_system_sgpr_workgroup_id_y 0
		.amdhsa_system_sgpr_workgroup_id_z 0
		.amdhsa_system_sgpr_workgroup_info 0
		.amdhsa_system_vgpr_workitem_id 0
		.amdhsa_next_free_vgpr 1
		.amdhsa_next_free_sgpr 0
		.amdhsa_accum_offset 4
		.amdhsa_reserve_vcc 0
		.amdhsa_float_round_mode_32 0
		.amdhsa_float_round_mode_16_64 0
		.amdhsa_float_denorm_mode_32 3
		.amdhsa_float_denorm_mode_16_64 3
		.amdhsa_dx10_clamp 1
		.amdhsa_ieee_mode 1
		.amdhsa_fp16_overflow 0
		.amdhsa_tg_split 0
		.amdhsa_exception_fp_ieee_invalid_op 0
		.amdhsa_exception_fp_denorm_src 0
		.amdhsa_exception_fp_ieee_div_zero 0
		.amdhsa_exception_fp_ieee_overflow 0
		.amdhsa_exception_fp_ieee_underflow 0
		.amdhsa_exception_fp_ieee_inexact 0
		.amdhsa_exception_int_div_zero 0
	.end_amdhsa_kernel
	.section	.text._ZN7rocprim17ROCPRIM_400000_NS6detail17trampoline_kernelINS0_14default_configENS1_35radix_sort_onesweep_config_selectorIddEEZZNS1_29radix_sort_onesweep_iterationIS3_Lb0EN6thrust23THRUST_200600_302600_NS6detail15normal_iteratorINS8_10device_ptrIdEEEESD_SD_SD_jNS0_19identity_decomposerENS1_16block_id_wrapperIjLb1EEEEE10hipError_tT1_PNSt15iterator_traitsISI_E10value_typeET2_T3_PNSJ_ISO_E10value_typeET4_T5_PST_SU_PNS1_23onesweep_lookback_stateEbbT6_jjT7_P12ihipStream_tbENKUlT_T0_SI_SN_E_clIPdSD_S15_SD_EEDaS11_S12_SI_SN_EUlS11_E_NS1_11comp_targetILNS1_3genE8ELNS1_11target_archE1030ELNS1_3gpuE2ELNS1_3repE0EEENS1_47radix_sort_onesweep_sort_config_static_selectorELNS0_4arch9wavefront6targetE1EEEvSI_,"axG",@progbits,_ZN7rocprim17ROCPRIM_400000_NS6detail17trampoline_kernelINS0_14default_configENS1_35radix_sort_onesweep_config_selectorIddEEZZNS1_29radix_sort_onesweep_iterationIS3_Lb0EN6thrust23THRUST_200600_302600_NS6detail15normal_iteratorINS8_10device_ptrIdEEEESD_SD_SD_jNS0_19identity_decomposerENS1_16block_id_wrapperIjLb1EEEEE10hipError_tT1_PNSt15iterator_traitsISI_E10value_typeET2_T3_PNSJ_ISO_E10value_typeET4_T5_PST_SU_PNS1_23onesweep_lookback_stateEbbT6_jjT7_P12ihipStream_tbENKUlT_T0_SI_SN_E_clIPdSD_S15_SD_EEDaS11_S12_SI_SN_EUlS11_E_NS1_11comp_targetILNS1_3genE8ELNS1_11target_archE1030ELNS1_3gpuE2ELNS1_3repE0EEENS1_47radix_sort_onesweep_sort_config_static_selectorELNS0_4arch9wavefront6targetE1EEEvSI_,comdat
.Lfunc_end135:
	.size	_ZN7rocprim17ROCPRIM_400000_NS6detail17trampoline_kernelINS0_14default_configENS1_35radix_sort_onesweep_config_selectorIddEEZZNS1_29radix_sort_onesweep_iterationIS3_Lb0EN6thrust23THRUST_200600_302600_NS6detail15normal_iteratorINS8_10device_ptrIdEEEESD_SD_SD_jNS0_19identity_decomposerENS1_16block_id_wrapperIjLb1EEEEE10hipError_tT1_PNSt15iterator_traitsISI_E10value_typeET2_T3_PNSJ_ISO_E10value_typeET4_T5_PST_SU_PNS1_23onesweep_lookback_stateEbbT6_jjT7_P12ihipStream_tbENKUlT_T0_SI_SN_E_clIPdSD_S15_SD_EEDaS11_S12_SI_SN_EUlS11_E_NS1_11comp_targetILNS1_3genE8ELNS1_11target_archE1030ELNS1_3gpuE2ELNS1_3repE0EEENS1_47radix_sort_onesweep_sort_config_static_selectorELNS0_4arch9wavefront6targetE1EEEvSI_, .Lfunc_end135-_ZN7rocprim17ROCPRIM_400000_NS6detail17trampoline_kernelINS0_14default_configENS1_35radix_sort_onesweep_config_selectorIddEEZZNS1_29radix_sort_onesweep_iterationIS3_Lb0EN6thrust23THRUST_200600_302600_NS6detail15normal_iteratorINS8_10device_ptrIdEEEESD_SD_SD_jNS0_19identity_decomposerENS1_16block_id_wrapperIjLb1EEEEE10hipError_tT1_PNSt15iterator_traitsISI_E10value_typeET2_T3_PNSJ_ISO_E10value_typeET4_T5_PST_SU_PNS1_23onesweep_lookback_stateEbbT6_jjT7_P12ihipStream_tbENKUlT_T0_SI_SN_E_clIPdSD_S15_SD_EEDaS11_S12_SI_SN_EUlS11_E_NS1_11comp_targetILNS1_3genE8ELNS1_11target_archE1030ELNS1_3gpuE2ELNS1_3repE0EEENS1_47radix_sort_onesweep_sort_config_static_selectorELNS0_4arch9wavefront6targetE1EEEvSI_
                                        ; -- End function
	.set _ZN7rocprim17ROCPRIM_400000_NS6detail17trampoline_kernelINS0_14default_configENS1_35radix_sort_onesweep_config_selectorIddEEZZNS1_29radix_sort_onesweep_iterationIS3_Lb0EN6thrust23THRUST_200600_302600_NS6detail15normal_iteratorINS8_10device_ptrIdEEEESD_SD_SD_jNS0_19identity_decomposerENS1_16block_id_wrapperIjLb1EEEEE10hipError_tT1_PNSt15iterator_traitsISI_E10value_typeET2_T3_PNSJ_ISO_E10value_typeET4_T5_PST_SU_PNS1_23onesweep_lookback_stateEbbT6_jjT7_P12ihipStream_tbENKUlT_T0_SI_SN_E_clIPdSD_S15_SD_EEDaS11_S12_SI_SN_EUlS11_E_NS1_11comp_targetILNS1_3genE8ELNS1_11target_archE1030ELNS1_3gpuE2ELNS1_3repE0EEENS1_47radix_sort_onesweep_sort_config_static_selectorELNS0_4arch9wavefront6targetE1EEEvSI_.num_vgpr, 0
	.set _ZN7rocprim17ROCPRIM_400000_NS6detail17trampoline_kernelINS0_14default_configENS1_35radix_sort_onesweep_config_selectorIddEEZZNS1_29radix_sort_onesweep_iterationIS3_Lb0EN6thrust23THRUST_200600_302600_NS6detail15normal_iteratorINS8_10device_ptrIdEEEESD_SD_SD_jNS0_19identity_decomposerENS1_16block_id_wrapperIjLb1EEEEE10hipError_tT1_PNSt15iterator_traitsISI_E10value_typeET2_T3_PNSJ_ISO_E10value_typeET4_T5_PST_SU_PNS1_23onesweep_lookback_stateEbbT6_jjT7_P12ihipStream_tbENKUlT_T0_SI_SN_E_clIPdSD_S15_SD_EEDaS11_S12_SI_SN_EUlS11_E_NS1_11comp_targetILNS1_3genE8ELNS1_11target_archE1030ELNS1_3gpuE2ELNS1_3repE0EEENS1_47radix_sort_onesweep_sort_config_static_selectorELNS0_4arch9wavefront6targetE1EEEvSI_.num_agpr, 0
	.set _ZN7rocprim17ROCPRIM_400000_NS6detail17trampoline_kernelINS0_14default_configENS1_35radix_sort_onesweep_config_selectorIddEEZZNS1_29radix_sort_onesweep_iterationIS3_Lb0EN6thrust23THRUST_200600_302600_NS6detail15normal_iteratorINS8_10device_ptrIdEEEESD_SD_SD_jNS0_19identity_decomposerENS1_16block_id_wrapperIjLb1EEEEE10hipError_tT1_PNSt15iterator_traitsISI_E10value_typeET2_T3_PNSJ_ISO_E10value_typeET4_T5_PST_SU_PNS1_23onesweep_lookback_stateEbbT6_jjT7_P12ihipStream_tbENKUlT_T0_SI_SN_E_clIPdSD_S15_SD_EEDaS11_S12_SI_SN_EUlS11_E_NS1_11comp_targetILNS1_3genE8ELNS1_11target_archE1030ELNS1_3gpuE2ELNS1_3repE0EEENS1_47radix_sort_onesweep_sort_config_static_selectorELNS0_4arch9wavefront6targetE1EEEvSI_.numbered_sgpr, 0
	.set _ZN7rocprim17ROCPRIM_400000_NS6detail17trampoline_kernelINS0_14default_configENS1_35radix_sort_onesweep_config_selectorIddEEZZNS1_29radix_sort_onesweep_iterationIS3_Lb0EN6thrust23THRUST_200600_302600_NS6detail15normal_iteratorINS8_10device_ptrIdEEEESD_SD_SD_jNS0_19identity_decomposerENS1_16block_id_wrapperIjLb1EEEEE10hipError_tT1_PNSt15iterator_traitsISI_E10value_typeET2_T3_PNSJ_ISO_E10value_typeET4_T5_PST_SU_PNS1_23onesweep_lookback_stateEbbT6_jjT7_P12ihipStream_tbENKUlT_T0_SI_SN_E_clIPdSD_S15_SD_EEDaS11_S12_SI_SN_EUlS11_E_NS1_11comp_targetILNS1_3genE8ELNS1_11target_archE1030ELNS1_3gpuE2ELNS1_3repE0EEENS1_47radix_sort_onesweep_sort_config_static_selectorELNS0_4arch9wavefront6targetE1EEEvSI_.num_named_barrier, 0
	.set _ZN7rocprim17ROCPRIM_400000_NS6detail17trampoline_kernelINS0_14default_configENS1_35radix_sort_onesweep_config_selectorIddEEZZNS1_29radix_sort_onesweep_iterationIS3_Lb0EN6thrust23THRUST_200600_302600_NS6detail15normal_iteratorINS8_10device_ptrIdEEEESD_SD_SD_jNS0_19identity_decomposerENS1_16block_id_wrapperIjLb1EEEEE10hipError_tT1_PNSt15iterator_traitsISI_E10value_typeET2_T3_PNSJ_ISO_E10value_typeET4_T5_PST_SU_PNS1_23onesweep_lookback_stateEbbT6_jjT7_P12ihipStream_tbENKUlT_T0_SI_SN_E_clIPdSD_S15_SD_EEDaS11_S12_SI_SN_EUlS11_E_NS1_11comp_targetILNS1_3genE8ELNS1_11target_archE1030ELNS1_3gpuE2ELNS1_3repE0EEENS1_47radix_sort_onesweep_sort_config_static_selectorELNS0_4arch9wavefront6targetE1EEEvSI_.private_seg_size, 0
	.set _ZN7rocprim17ROCPRIM_400000_NS6detail17trampoline_kernelINS0_14default_configENS1_35radix_sort_onesweep_config_selectorIddEEZZNS1_29radix_sort_onesweep_iterationIS3_Lb0EN6thrust23THRUST_200600_302600_NS6detail15normal_iteratorINS8_10device_ptrIdEEEESD_SD_SD_jNS0_19identity_decomposerENS1_16block_id_wrapperIjLb1EEEEE10hipError_tT1_PNSt15iterator_traitsISI_E10value_typeET2_T3_PNSJ_ISO_E10value_typeET4_T5_PST_SU_PNS1_23onesweep_lookback_stateEbbT6_jjT7_P12ihipStream_tbENKUlT_T0_SI_SN_E_clIPdSD_S15_SD_EEDaS11_S12_SI_SN_EUlS11_E_NS1_11comp_targetILNS1_3genE8ELNS1_11target_archE1030ELNS1_3gpuE2ELNS1_3repE0EEENS1_47radix_sort_onesweep_sort_config_static_selectorELNS0_4arch9wavefront6targetE1EEEvSI_.uses_vcc, 0
	.set _ZN7rocprim17ROCPRIM_400000_NS6detail17trampoline_kernelINS0_14default_configENS1_35radix_sort_onesweep_config_selectorIddEEZZNS1_29radix_sort_onesweep_iterationIS3_Lb0EN6thrust23THRUST_200600_302600_NS6detail15normal_iteratorINS8_10device_ptrIdEEEESD_SD_SD_jNS0_19identity_decomposerENS1_16block_id_wrapperIjLb1EEEEE10hipError_tT1_PNSt15iterator_traitsISI_E10value_typeET2_T3_PNSJ_ISO_E10value_typeET4_T5_PST_SU_PNS1_23onesweep_lookback_stateEbbT6_jjT7_P12ihipStream_tbENKUlT_T0_SI_SN_E_clIPdSD_S15_SD_EEDaS11_S12_SI_SN_EUlS11_E_NS1_11comp_targetILNS1_3genE8ELNS1_11target_archE1030ELNS1_3gpuE2ELNS1_3repE0EEENS1_47radix_sort_onesweep_sort_config_static_selectorELNS0_4arch9wavefront6targetE1EEEvSI_.uses_flat_scratch, 0
	.set _ZN7rocprim17ROCPRIM_400000_NS6detail17trampoline_kernelINS0_14default_configENS1_35radix_sort_onesweep_config_selectorIddEEZZNS1_29radix_sort_onesweep_iterationIS3_Lb0EN6thrust23THRUST_200600_302600_NS6detail15normal_iteratorINS8_10device_ptrIdEEEESD_SD_SD_jNS0_19identity_decomposerENS1_16block_id_wrapperIjLb1EEEEE10hipError_tT1_PNSt15iterator_traitsISI_E10value_typeET2_T3_PNSJ_ISO_E10value_typeET4_T5_PST_SU_PNS1_23onesweep_lookback_stateEbbT6_jjT7_P12ihipStream_tbENKUlT_T0_SI_SN_E_clIPdSD_S15_SD_EEDaS11_S12_SI_SN_EUlS11_E_NS1_11comp_targetILNS1_3genE8ELNS1_11target_archE1030ELNS1_3gpuE2ELNS1_3repE0EEENS1_47radix_sort_onesweep_sort_config_static_selectorELNS0_4arch9wavefront6targetE1EEEvSI_.has_dyn_sized_stack, 0
	.set _ZN7rocprim17ROCPRIM_400000_NS6detail17trampoline_kernelINS0_14default_configENS1_35radix_sort_onesweep_config_selectorIddEEZZNS1_29radix_sort_onesweep_iterationIS3_Lb0EN6thrust23THRUST_200600_302600_NS6detail15normal_iteratorINS8_10device_ptrIdEEEESD_SD_SD_jNS0_19identity_decomposerENS1_16block_id_wrapperIjLb1EEEEE10hipError_tT1_PNSt15iterator_traitsISI_E10value_typeET2_T3_PNSJ_ISO_E10value_typeET4_T5_PST_SU_PNS1_23onesweep_lookback_stateEbbT6_jjT7_P12ihipStream_tbENKUlT_T0_SI_SN_E_clIPdSD_S15_SD_EEDaS11_S12_SI_SN_EUlS11_E_NS1_11comp_targetILNS1_3genE8ELNS1_11target_archE1030ELNS1_3gpuE2ELNS1_3repE0EEENS1_47radix_sort_onesweep_sort_config_static_selectorELNS0_4arch9wavefront6targetE1EEEvSI_.has_recursion, 0
	.set _ZN7rocprim17ROCPRIM_400000_NS6detail17trampoline_kernelINS0_14default_configENS1_35radix_sort_onesweep_config_selectorIddEEZZNS1_29radix_sort_onesweep_iterationIS3_Lb0EN6thrust23THRUST_200600_302600_NS6detail15normal_iteratorINS8_10device_ptrIdEEEESD_SD_SD_jNS0_19identity_decomposerENS1_16block_id_wrapperIjLb1EEEEE10hipError_tT1_PNSt15iterator_traitsISI_E10value_typeET2_T3_PNSJ_ISO_E10value_typeET4_T5_PST_SU_PNS1_23onesweep_lookback_stateEbbT6_jjT7_P12ihipStream_tbENKUlT_T0_SI_SN_E_clIPdSD_S15_SD_EEDaS11_S12_SI_SN_EUlS11_E_NS1_11comp_targetILNS1_3genE8ELNS1_11target_archE1030ELNS1_3gpuE2ELNS1_3repE0EEENS1_47radix_sort_onesweep_sort_config_static_selectorELNS0_4arch9wavefront6targetE1EEEvSI_.has_indirect_call, 0
	.section	.AMDGPU.csdata,"",@progbits
; Kernel info:
; codeLenInByte = 0
; TotalNumSgprs: 6
; NumVgprs: 0
; NumAgprs: 0
; TotalNumVgprs: 0
; ScratchSize: 0
; MemoryBound: 0
; FloatMode: 240
; IeeeMode: 1
; LDSByteSize: 0 bytes/workgroup (compile time only)
; SGPRBlocks: 0
; VGPRBlocks: 0
; NumSGPRsForWavesPerEU: 6
; NumVGPRsForWavesPerEU: 1
; AccumOffset: 4
; Occupancy: 8
; WaveLimiterHint : 0
; COMPUTE_PGM_RSRC2:SCRATCH_EN: 0
; COMPUTE_PGM_RSRC2:USER_SGPR: 2
; COMPUTE_PGM_RSRC2:TRAP_HANDLER: 0
; COMPUTE_PGM_RSRC2:TGID_X_EN: 1
; COMPUTE_PGM_RSRC2:TGID_Y_EN: 0
; COMPUTE_PGM_RSRC2:TGID_Z_EN: 0
; COMPUTE_PGM_RSRC2:TIDIG_COMP_CNT: 0
; COMPUTE_PGM_RSRC3_GFX90A:ACCUM_OFFSET: 0
; COMPUTE_PGM_RSRC3_GFX90A:TG_SPLIT: 0
	.section	.text._ZN7rocprim17ROCPRIM_400000_NS6detail17trampoline_kernelINS0_14default_configENS1_35radix_sort_onesweep_config_selectorIddEEZZNS1_29radix_sort_onesweep_iterationIS3_Lb0EN6thrust23THRUST_200600_302600_NS6detail15normal_iteratorINS8_10device_ptrIdEEEESD_SD_SD_jNS0_19identity_decomposerENS1_16block_id_wrapperIjLb0EEEEE10hipError_tT1_PNSt15iterator_traitsISI_E10value_typeET2_T3_PNSJ_ISO_E10value_typeET4_T5_PST_SU_PNS1_23onesweep_lookback_stateEbbT6_jjT7_P12ihipStream_tbENKUlT_T0_SI_SN_E_clISD_SD_SD_SD_EEDaS11_S12_SI_SN_EUlS11_E_NS1_11comp_targetILNS1_3genE0ELNS1_11target_archE4294967295ELNS1_3gpuE0ELNS1_3repE0EEENS1_47radix_sort_onesweep_sort_config_static_selectorELNS0_4arch9wavefront6targetE1EEEvSI_,"axG",@progbits,_ZN7rocprim17ROCPRIM_400000_NS6detail17trampoline_kernelINS0_14default_configENS1_35radix_sort_onesweep_config_selectorIddEEZZNS1_29radix_sort_onesweep_iterationIS3_Lb0EN6thrust23THRUST_200600_302600_NS6detail15normal_iteratorINS8_10device_ptrIdEEEESD_SD_SD_jNS0_19identity_decomposerENS1_16block_id_wrapperIjLb0EEEEE10hipError_tT1_PNSt15iterator_traitsISI_E10value_typeET2_T3_PNSJ_ISO_E10value_typeET4_T5_PST_SU_PNS1_23onesweep_lookback_stateEbbT6_jjT7_P12ihipStream_tbENKUlT_T0_SI_SN_E_clISD_SD_SD_SD_EEDaS11_S12_SI_SN_EUlS11_E_NS1_11comp_targetILNS1_3genE0ELNS1_11target_archE4294967295ELNS1_3gpuE0ELNS1_3repE0EEENS1_47radix_sort_onesweep_sort_config_static_selectorELNS0_4arch9wavefront6targetE1EEEvSI_,comdat
	.protected	_ZN7rocprim17ROCPRIM_400000_NS6detail17trampoline_kernelINS0_14default_configENS1_35radix_sort_onesweep_config_selectorIddEEZZNS1_29radix_sort_onesweep_iterationIS3_Lb0EN6thrust23THRUST_200600_302600_NS6detail15normal_iteratorINS8_10device_ptrIdEEEESD_SD_SD_jNS0_19identity_decomposerENS1_16block_id_wrapperIjLb0EEEEE10hipError_tT1_PNSt15iterator_traitsISI_E10value_typeET2_T3_PNSJ_ISO_E10value_typeET4_T5_PST_SU_PNS1_23onesweep_lookback_stateEbbT6_jjT7_P12ihipStream_tbENKUlT_T0_SI_SN_E_clISD_SD_SD_SD_EEDaS11_S12_SI_SN_EUlS11_E_NS1_11comp_targetILNS1_3genE0ELNS1_11target_archE4294967295ELNS1_3gpuE0ELNS1_3repE0EEENS1_47radix_sort_onesweep_sort_config_static_selectorELNS0_4arch9wavefront6targetE1EEEvSI_ ; -- Begin function _ZN7rocprim17ROCPRIM_400000_NS6detail17trampoline_kernelINS0_14default_configENS1_35radix_sort_onesweep_config_selectorIddEEZZNS1_29radix_sort_onesweep_iterationIS3_Lb0EN6thrust23THRUST_200600_302600_NS6detail15normal_iteratorINS8_10device_ptrIdEEEESD_SD_SD_jNS0_19identity_decomposerENS1_16block_id_wrapperIjLb0EEEEE10hipError_tT1_PNSt15iterator_traitsISI_E10value_typeET2_T3_PNSJ_ISO_E10value_typeET4_T5_PST_SU_PNS1_23onesweep_lookback_stateEbbT6_jjT7_P12ihipStream_tbENKUlT_T0_SI_SN_E_clISD_SD_SD_SD_EEDaS11_S12_SI_SN_EUlS11_E_NS1_11comp_targetILNS1_3genE0ELNS1_11target_archE4294967295ELNS1_3gpuE0ELNS1_3repE0EEENS1_47radix_sort_onesweep_sort_config_static_selectorELNS0_4arch9wavefront6targetE1EEEvSI_
	.globl	_ZN7rocprim17ROCPRIM_400000_NS6detail17trampoline_kernelINS0_14default_configENS1_35radix_sort_onesweep_config_selectorIddEEZZNS1_29radix_sort_onesweep_iterationIS3_Lb0EN6thrust23THRUST_200600_302600_NS6detail15normal_iteratorINS8_10device_ptrIdEEEESD_SD_SD_jNS0_19identity_decomposerENS1_16block_id_wrapperIjLb0EEEEE10hipError_tT1_PNSt15iterator_traitsISI_E10value_typeET2_T3_PNSJ_ISO_E10value_typeET4_T5_PST_SU_PNS1_23onesweep_lookback_stateEbbT6_jjT7_P12ihipStream_tbENKUlT_T0_SI_SN_E_clISD_SD_SD_SD_EEDaS11_S12_SI_SN_EUlS11_E_NS1_11comp_targetILNS1_3genE0ELNS1_11target_archE4294967295ELNS1_3gpuE0ELNS1_3repE0EEENS1_47radix_sort_onesweep_sort_config_static_selectorELNS0_4arch9wavefront6targetE1EEEvSI_
	.p2align	8
	.type	_ZN7rocprim17ROCPRIM_400000_NS6detail17trampoline_kernelINS0_14default_configENS1_35radix_sort_onesweep_config_selectorIddEEZZNS1_29radix_sort_onesweep_iterationIS3_Lb0EN6thrust23THRUST_200600_302600_NS6detail15normal_iteratorINS8_10device_ptrIdEEEESD_SD_SD_jNS0_19identity_decomposerENS1_16block_id_wrapperIjLb0EEEEE10hipError_tT1_PNSt15iterator_traitsISI_E10value_typeET2_T3_PNSJ_ISO_E10value_typeET4_T5_PST_SU_PNS1_23onesweep_lookback_stateEbbT6_jjT7_P12ihipStream_tbENKUlT_T0_SI_SN_E_clISD_SD_SD_SD_EEDaS11_S12_SI_SN_EUlS11_E_NS1_11comp_targetILNS1_3genE0ELNS1_11target_archE4294967295ELNS1_3gpuE0ELNS1_3repE0EEENS1_47radix_sort_onesweep_sort_config_static_selectorELNS0_4arch9wavefront6targetE1EEEvSI_,@function
_ZN7rocprim17ROCPRIM_400000_NS6detail17trampoline_kernelINS0_14default_configENS1_35radix_sort_onesweep_config_selectorIddEEZZNS1_29radix_sort_onesweep_iterationIS3_Lb0EN6thrust23THRUST_200600_302600_NS6detail15normal_iteratorINS8_10device_ptrIdEEEESD_SD_SD_jNS0_19identity_decomposerENS1_16block_id_wrapperIjLb0EEEEE10hipError_tT1_PNSt15iterator_traitsISI_E10value_typeET2_T3_PNSJ_ISO_E10value_typeET4_T5_PST_SU_PNS1_23onesweep_lookback_stateEbbT6_jjT7_P12ihipStream_tbENKUlT_T0_SI_SN_E_clISD_SD_SD_SD_EEDaS11_S12_SI_SN_EUlS11_E_NS1_11comp_targetILNS1_3genE0ELNS1_11target_archE4294967295ELNS1_3gpuE0ELNS1_3repE0EEENS1_47radix_sort_onesweep_sort_config_static_selectorELNS0_4arch9wavefront6targetE1EEEvSI_: ; @_ZN7rocprim17ROCPRIM_400000_NS6detail17trampoline_kernelINS0_14default_configENS1_35radix_sort_onesweep_config_selectorIddEEZZNS1_29radix_sort_onesweep_iterationIS3_Lb0EN6thrust23THRUST_200600_302600_NS6detail15normal_iteratorINS8_10device_ptrIdEEEESD_SD_SD_jNS0_19identity_decomposerENS1_16block_id_wrapperIjLb0EEEEE10hipError_tT1_PNSt15iterator_traitsISI_E10value_typeET2_T3_PNSJ_ISO_E10value_typeET4_T5_PST_SU_PNS1_23onesweep_lookback_stateEbbT6_jjT7_P12ihipStream_tbENKUlT_T0_SI_SN_E_clISD_SD_SD_SD_EEDaS11_S12_SI_SN_EUlS11_E_NS1_11comp_targetILNS1_3genE0ELNS1_11target_archE4294967295ELNS1_3gpuE0ELNS1_3repE0EEENS1_47radix_sort_onesweep_sort_config_static_selectorELNS0_4arch9wavefront6targetE1EEEvSI_
; %bb.0:
	.section	.rodata,"a",@progbits
	.p2align	6, 0x0
	.amdhsa_kernel _ZN7rocprim17ROCPRIM_400000_NS6detail17trampoline_kernelINS0_14default_configENS1_35radix_sort_onesweep_config_selectorIddEEZZNS1_29radix_sort_onesweep_iterationIS3_Lb0EN6thrust23THRUST_200600_302600_NS6detail15normal_iteratorINS8_10device_ptrIdEEEESD_SD_SD_jNS0_19identity_decomposerENS1_16block_id_wrapperIjLb0EEEEE10hipError_tT1_PNSt15iterator_traitsISI_E10value_typeET2_T3_PNSJ_ISO_E10value_typeET4_T5_PST_SU_PNS1_23onesweep_lookback_stateEbbT6_jjT7_P12ihipStream_tbENKUlT_T0_SI_SN_E_clISD_SD_SD_SD_EEDaS11_S12_SI_SN_EUlS11_E_NS1_11comp_targetILNS1_3genE0ELNS1_11target_archE4294967295ELNS1_3gpuE0ELNS1_3repE0EEENS1_47radix_sort_onesweep_sort_config_static_selectorELNS0_4arch9wavefront6targetE1EEEvSI_
		.amdhsa_group_segment_fixed_size 0
		.amdhsa_private_segment_fixed_size 0
		.amdhsa_kernarg_size 88
		.amdhsa_user_sgpr_count 2
		.amdhsa_user_sgpr_dispatch_ptr 0
		.amdhsa_user_sgpr_queue_ptr 0
		.amdhsa_user_sgpr_kernarg_segment_ptr 1
		.amdhsa_user_sgpr_dispatch_id 0
		.amdhsa_user_sgpr_kernarg_preload_length 0
		.amdhsa_user_sgpr_kernarg_preload_offset 0
		.amdhsa_user_sgpr_private_segment_size 0
		.amdhsa_uses_dynamic_stack 0
		.amdhsa_enable_private_segment 0
		.amdhsa_system_sgpr_workgroup_id_x 1
		.amdhsa_system_sgpr_workgroup_id_y 0
		.amdhsa_system_sgpr_workgroup_id_z 0
		.amdhsa_system_sgpr_workgroup_info 0
		.amdhsa_system_vgpr_workitem_id 0
		.amdhsa_next_free_vgpr 1
		.amdhsa_next_free_sgpr 0
		.amdhsa_accum_offset 4
		.amdhsa_reserve_vcc 0
		.amdhsa_float_round_mode_32 0
		.amdhsa_float_round_mode_16_64 0
		.amdhsa_float_denorm_mode_32 3
		.amdhsa_float_denorm_mode_16_64 3
		.amdhsa_dx10_clamp 1
		.amdhsa_ieee_mode 1
		.amdhsa_fp16_overflow 0
		.amdhsa_tg_split 0
		.amdhsa_exception_fp_ieee_invalid_op 0
		.amdhsa_exception_fp_denorm_src 0
		.amdhsa_exception_fp_ieee_div_zero 0
		.amdhsa_exception_fp_ieee_overflow 0
		.amdhsa_exception_fp_ieee_underflow 0
		.amdhsa_exception_fp_ieee_inexact 0
		.amdhsa_exception_int_div_zero 0
	.end_amdhsa_kernel
	.section	.text._ZN7rocprim17ROCPRIM_400000_NS6detail17trampoline_kernelINS0_14default_configENS1_35radix_sort_onesweep_config_selectorIddEEZZNS1_29radix_sort_onesweep_iterationIS3_Lb0EN6thrust23THRUST_200600_302600_NS6detail15normal_iteratorINS8_10device_ptrIdEEEESD_SD_SD_jNS0_19identity_decomposerENS1_16block_id_wrapperIjLb0EEEEE10hipError_tT1_PNSt15iterator_traitsISI_E10value_typeET2_T3_PNSJ_ISO_E10value_typeET4_T5_PST_SU_PNS1_23onesweep_lookback_stateEbbT6_jjT7_P12ihipStream_tbENKUlT_T0_SI_SN_E_clISD_SD_SD_SD_EEDaS11_S12_SI_SN_EUlS11_E_NS1_11comp_targetILNS1_3genE0ELNS1_11target_archE4294967295ELNS1_3gpuE0ELNS1_3repE0EEENS1_47radix_sort_onesweep_sort_config_static_selectorELNS0_4arch9wavefront6targetE1EEEvSI_,"axG",@progbits,_ZN7rocprim17ROCPRIM_400000_NS6detail17trampoline_kernelINS0_14default_configENS1_35radix_sort_onesweep_config_selectorIddEEZZNS1_29radix_sort_onesweep_iterationIS3_Lb0EN6thrust23THRUST_200600_302600_NS6detail15normal_iteratorINS8_10device_ptrIdEEEESD_SD_SD_jNS0_19identity_decomposerENS1_16block_id_wrapperIjLb0EEEEE10hipError_tT1_PNSt15iterator_traitsISI_E10value_typeET2_T3_PNSJ_ISO_E10value_typeET4_T5_PST_SU_PNS1_23onesweep_lookback_stateEbbT6_jjT7_P12ihipStream_tbENKUlT_T0_SI_SN_E_clISD_SD_SD_SD_EEDaS11_S12_SI_SN_EUlS11_E_NS1_11comp_targetILNS1_3genE0ELNS1_11target_archE4294967295ELNS1_3gpuE0ELNS1_3repE0EEENS1_47radix_sort_onesweep_sort_config_static_selectorELNS0_4arch9wavefront6targetE1EEEvSI_,comdat
.Lfunc_end136:
	.size	_ZN7rocprim17ROCPRIM_400000_NS6detail17trampoline_kernelINS0_14default_configENS1_35radix_sort_onesweep_config_selectorIddEEZZNS1_29radix_sort_onesweep_iterationIS3_Lb0EN6thrust23THRUST_200600_302600_NS6detail15normal_iteratorINS8_10device_ptrIdEEEESD_SD_SD_jNS0_19identity_decomposerENS1_16block_id_wrapperIjLb0EEEEE10hipError_tT1_PNSt15iterator_traitsISI_E10value_typeET2_T3_PNSJ_ISO_E10value_typeET4_T5_PST_SU_PNS1_23onesweep_lookback_stateEbbT6_jjT7_P12ihipStream_tbENKUlT_T0_SI_SN_E_clISD_SD_SD_SD_EEDaS11_S12_SI_SN_EUlS11_E_NS1_11comp_targetILNS1_3genE0ELNS1_11target_archE4294967295ELNS1_3gpuE0ELNS1_3repE0EEENS1_47radix_sort_onesweep_sort_config_static_selectorELNS0_4arch9wavefront6targetE1EEEvSI_, .Lfunc_end136-_ZN7rocprim17ROCPRIM_400000_NS6detail17trampoline_kernelINS0_14default_configENS1_35radix_sort_onesweep_config_selectorIddEEZZNS1_29radix_sort_onesweep_iterationIS3_Lb0EN6thrust23THRUST_200600_302600_NS6detail15normal_iteratorINS8_10device_ptrIdEEEESD_SD_SD_jNS0_19identity_decomposerENS1_16block_id_wrapperIjLb0EEEEE10hipError_tT1_PNSt15iterator_traitsISI_E10value_typeET2_T3_PNSJ_ISO_E10value_typeET4_T5_PST_SU_PNS1_23onesweep_lookback_stateEbbT6_jjT7_P12ihipStream_tbENKUlT_T0_SI_SN_E_clISD_SD_SD_SD_EEDaS11_S12_SI_SN_EUlS11_E_NS1_11comp_targetILNS1_3genE0ELNS1_11target_archE4294967295ELNS1_3gpuE0ELNS1_3repE0EEENS1_47radix_sort_onesweep_sort_config_static_selectorELNS0_4arch9wavefront6targetE1EEEvSI_
                                        ; -- End function
	.set _ZN7rocprim17ROCPRIM_400000_NS6detail17trampoline_kernelINS0_14default_configENS1_35radix_sort_onesweep_config_selectorIddEEZZNS1_29radix_sort_onesweep_iterationIS3_Lb0EN6thrust23THRUST_200600_302600_NS6detail15normal_iteratorINS8_10device_ptrIdEEEESD_SD_SD_jNS0_19identity_decomposerENS1_16block_id_wrapperIjLb0EEEEE10hipError_tT1_PNSt15iterator_traitsISI_E10value_typeET2_T3_PNSJ_ISO_E10value_typeET4_T5_PST_SU_PNS1_23onesweep_lookback_stateEbbT6_jjT7_P12ihipStream_tbENKUlT_T0_SI_SN_E_clISD_SD_SD_SD_EEDaS11_S12_SI_SN_EUlS11_E_NS1_11comp_targetILNS1_3genE0ELNS1_11target_archE4294967295ELNS1_3gpuE0ELNS1_3repE0EEENS1_47radix_sort_onesweep_sort_config_static_selectorELNS0_4arch9wavefront6targetE1EEEvSI_.num_vgpr, 0
	.set _ZN7rocprim17ROCPRIM_400000_NS6detail17trampoline_kernelINS0_14default_configENS1_35radix_sort_onesweep_config_selectorIddEEZZNS1_29radix_sort_onesweep_iterationIS3_Lb0EN6thrust23THRUST_200600_302600_NS6detail15normal_iteratorINS8_10device_ptrIdEEEESD_SD_SD_jNS0_19identity_decomposerENS1_16block_id_wrapperIjLb0EEEEE10hipError_tT1_PNSt15iterator_traitsISI_E10value_typeET2_T3_PNSJ_ISO_E10value_typeET4_T5_PST_SU_PNS1_23onesweep_lookback_stateEbbT6_jjT7_P12ihipStream_tbENKUlT_T0_SI_SN_E_clISD_SD_SD_SD_EEDaS11_S12_SI_SN_EUlS11_E_NS1_11comp_targetILNS1_3genE0ELNS1_11target_archE4294967295ELNS1_3gpuE0ELNS1_3repE0EEENS1_47radix_sort_onesweep_sort_config_static_selectorELNS0_4arch9wavefront6targetE1EEEvSI_.num_agpr, 0
	.set _ZN7rocprim17ROCPRIM_400000_NS6detail17trampoline_kernelINS0_14default_configENS1_35radix_sort_onesweep_config_selectorIddEEZZNS1_29radix_sort_onesweep_iterationIS3_Lb0EN6thrust23THRUST_200600_302600_NS6detail15normal_iteratorINS8_10device_ptrIdEEEESD_SD_SD_jNS0_19identity_decomposerENS1_16block_id_wrapperIjLb0EEEEE10hipError_tT1_PNSt15iterator_traitsISI_E10value_typeET2_T3_PNSJ_ISO_E10value_typeET4_T5_PST_SU_PNS1_23onesweep_lookback_stateEbbT6_jjT7_P12ihipStream_tbENKUlT_T0_SI_SN_E_clISD_SD_SD_SD_EEDaS11_S12_SI_SN_EUlS11_E_NS1_11comp_targetILNS1_3genE0ELNS1_11target_archE4294967295ELNS1_3gpuE0ELNS1_3repE0EEENS1_47radix_sort_onesweep_sort_config_static_selectorELNS0_4arch9wavefront6targetE1EEEvSI_.numbered_sgpr, 0
	.set _ZN7rocprim17ROCPRIM_400000_NS6detail17trampoline_kernelINS0_14default_configENS1_35radix_sort_onesweep_config_selectorIddEEZZNS1_29radix_sort_onesweep_iterationIS3_Lb0EN6thrust23THRUST_200600_302600_NS6detail15normal_iteratorINS8_10device_ptrIdEEEESD_SD_SD_jNS0_19identity_decomposerENS1_16block_id_wrapperIjLb0EEEEE10hipError_tT1_PNSt15iterator_traitsISI_E10value_typeET2_T3_PNSJ_ISO_E10value_typeET4_T5_PST_SU_PNS1_23onesweep_lookback_stateEbbT6_jjT7_P12ihipStream_tbENKUlT_T0_SI_SN_E_clISD_SD_SD_SD_EEDaS11_S12_SI_SN_EUlS11_E_NS1_11comp_targetILNS1_3genE0ELNS1_11target_archE4294967295ELNS1_3gpuE0ELNS1_3repE0EEENS1_47radix_sort_onesweep_sort_config_static_selectorELNS0_4arch9wavefront6targetE1EEEvSI_.num_named_barrier, 0
	.set _ZN7rocprim17ROCPRIM_400000_NS6detail17trampoline_kernelINS0_14default_configENS1_35radix_sort_onesweep_config_selectorIddEEZZNS1_29radix_sort_onesweep_iterationIS3_Lb0EN6thrust23THRUST_200600_302600_NS6detail15normal_iteratorINS8_10device_ptrIdEEEESD_SD_SD_jNS0_19identity_decomposerENS1_16block_id_wrapperIjLb0EEEEE10hipError_tT1_PNSt15iterator_traitsISI_E10value_typeET2_T3_PNSJ_ISO_E10value_typeET4_T5_PST_SU_PNS1_23onesweep_lookback_stateEbbT6_jjT7_P12ihipStream_tbENKUlT_T0_SI_SN_E_clISD_SD_SD_SD_EEDaS11_S12_SI_SN_EUlS11_E_NS1_11comp_targetILNS1_3genE0ELNS1_11target_archE4294967295ELNS1_3gpuE0ELNS1_3repE0EEENS1_47radix_sort_onesweep_sort_config_static_selectorELNS0_4arch9wavefront6targetE1EEEvSI_.private_seg_size, 0
	.set _ZN7rocprim17ROCPRIM_400000_NS6detail17trampoline_kernelINS0_14default_configENS1_35radix_sort_onesweep_config_selectorIddEEZZNS1_29radix_sort_onesweep_iterationIS3_Lb0EN6thrust23THRUST_200600_302600_NS6detail15normal_iteratorINS8_10device_ptrIdEEEESD_SD_SD_jNS0_19identity_decomposerENS1_16block_id_wrapperIjLb0EEEEE10hipError_tT1_PNSt15iterator_traitsISI_E10value_typeET2_T3_PNSJ_ISO_E10value_typeET4_T5_PST_SU_PNS1_23onesweep_lookback_stateEbbT6_jjT7_P12ihipStream_tbENKUlT_T0_SI_SN_E_clISD_SD_SD_SD_EEDaS11_S12_SI_SN_EUlS11_E_NS1_11comp_targetILNS1_3genE0ELNS1_11target_archE4294967295ELNS1_3gpuE0ELNS1_3repE0EEENS1_47radix_sort_onesweep_sort_config_static_selectorELNS0_4arch9wavefront6targetE1EEEvSI_.uses_vcc, 0
	.set _ZN7rocprim17ROCPRIM_400000_NS6detail17trampoline_kernelINS0_14default_configENS1_35radix_sort_onesweep_config_selectorIddEEZZNS1_29radix_sort_onesweep_iterationIS3_Lb0EN6thrust23THRUST_200600_302600_NS6detail15normal_iteratorINS8_10device_ptrIdEEEESD_SD_SD_jNS0_19identity_decomposerENS1_16block_id_wrapperIjLb0EEEEE10hipError_tT1_PNSt15iterator_traitsISI_E10value_typeET2_T3_PNSJ_ISO_E10value_typeET4_T5_PST_SU_PNS1_23onesweep_lookback_stateEbbT6_jjT7_P12ihipStream_tbENKUlT_T0_SI_SN_E_clISD_SD_SD_SD_EEDaS11_S12_SI_SN_EUlS11_E_NS1_11comp_targetILNS1_3genE0ELNS1_11target_archE4294967295ELNS1_3gpuE0ELNS1_3repE0EEENS1_47radix_sort_onesweep_sort_config_static_selectorELNS0_4arch9wavefront6targetE1EEEvSI_.uses_flat_scratch, 0
	.set _ZN7rocprim17ROCPRIM_400000_NS6detail17trampoline_kernelINS0_14default_configENS1_35radix_sort_onesweep_config_selectorIddEEZZNS1_29radix_sort_onesweep_iterationIS3_Lb0EN6thrust23THRUST_200600_302600_NS6detail15normal_iteratorINS8_10device_ptrIdEEEESD_SD_SD_jNS0_19identity_decomposerENS1_16block_id_wrapperIjLb0EEEEE10hipError_tT1_PNSt15iterator_traitsISI_E10value_typeET2_T3_PNSJ_ISO_E10value_typeET4_T5_PST_SU_PNS1_23onesweep_lookback_stateEbbT6_jjT7_P12ihipStream_tbENKUlT_T0_SI_SN_E_clISD_SD_SD_SD_EEDaS11_S12_SI_SN_EUlS11_E_NS1_11comp_targetILNS1_3genE0ELNS1_11target_archE4294967295ELNS1_3gpuE0ELNS1_3repE0EEENS1_47radix_sort_onesweep_sort_config_static_selectorELNS0_4arch9wavefront6targetE1EEEvSI_.has_dyn_sized_stack, 0
	.set _ZN7rocprim17ROCPRIM_400000_NS6detail17trampoline_kernelINS0_14default_configENS1_35radix_sort_onesweep_config_selectorIddEEZZNS1_29radix_sort_onesweep_iterationIS3_Lb0EN6thrust23THRUST_200600_302600_NS6detail15normal_iteratorINS8_10device_ptrIdEEEESD_SD_SD_jNS0_19identity_decomposerENS1_16block_id_wrapperIjLb0EEEEE10hipError_tT1_PNSt15iterator_traitsISI_E10value_typeET2_T3_PNSJ_ISO_E10value_typeET4_T5_PST_SU_PNS1_23onesweep_lookback_stateEbbT6_jjT7_P12ihipStream_tbENKUlT_T0_SI_SN_E_clISD_SD_SD_SD_EEDaS11_S12_SI_SN_EUlS11_E_NS1_11comp_targetILNS1_3genE0ELNS1_11target_archE4294967295ELNS1_3gpuE0ELNS1_3repE0EEENS1_47radix_sort_onesweep_sort_config_static_selectorELNS0_4arch9wavefront6targetE1EEEvSI_.has_recursion, 0
	.set _ZN7rocprim17ROCPRIM_400000_NS6detail17trampoline_kernelINS0_14default_configENS1_35radix_sort_onesweep_config_selectorIddEEZZNS1_29radix_sort_onesweep_iterationIS3_Lb0EN6thrust23THRUST_200600_302600_NS6detail15normal_iteratorINS8_10device_ptrIdEEEESD_SD_SD_jNS0_19identity_decomposerENS1_16block_id_wrapperIjLb0EEEEE10hipError_tT1_PNSt15iterator_traitsISI_E10value_typeET2_T3_PNSJ_ISO_E10value_typeET4_T5_PST_SU_PNS1_23onesweep_lookback_stateEbbT6_jjT7_P12ihipStream_tbENKUlT_T0_SI_SN_E_clISD_SD_SD_SD_EEDaS11_S12_SI_SN_EUlS11_E_NS1_11comp_targetILNS1_3genE0ELNS1_11target_archE4294967295ELNS1_3gpuE0ELNS1_3repE0EEENS1_47radix_sort_onesweep_sort_config_static_selectorELNS0_4arch9wavefront6targetE1EEEvSI_.has_indirect_call, 0
	.section	.AMDGPU.csdata,"",@progbits
; Kernel info:
; codeLenInByte = 0
; TotalNumSgprs: 6
; NumVgprs: 0
; NumAgprs: 0
; TotalNumVgprs: 0
; ScratchSize: 0
; MemoryBound: 0
; FloatMode: 240
; IeeeMode: 1
; LDSByteSize: 0 bytes/workgroup (compile time only)
; SGPRBlocks: 0
; VGPRBlocks: 0
; NumSGPRsForWavesPerEU: 6
; NumVGPRsForWavesPerEU: 1
; AccumOffset: 4
; Occupancy: 8
; WaveLimiterHint : 0
; COMPUTE_PGM_RSRC2:SCRATCH_EN: 0
; COMPUTE_PGM_RSRC2:USER_SGPR: 2
; COMPUTE_PGM_RSRC2:TRAP_HANDLER: 0
; COMPUTE_PGM_RSRC2:TGID_X_EN: 1
; COMPUTE_PGM_RSRC2:TGID_Y_EN: 0
; COMPUTE_PGM_RSRC2:TGID_Z_EN: 0
; COMPUTE_PGM_RSRC2:TIDIG_COMP_CNT: 0
; COMPUTE_PGM_RSRC3_GFX90A:ACCUM_OFFSET: 0
; COMPUTE_PGM_RSRC3_GFX90A:TG_SPLIT: 0
	.section	.text._ZN7rocprim17ROCPRIM_400000_NS6detail17trampoline_kernelINS0_14default_configENS1_35radix_sort_onesweep_config_selectorIddEEZZNS1_29radix_sort_onesweep_iterationIS3_Lb0EN6thrust23THRUST_200600_302600_NS6detail15normal_iteratorINS8_10device_ptrIdEEEESD_SD_SD_jNS0_19identity_decomposerENS1_16block_id_wrapperIjLb0EEEEE10hipError_tT1_PNSt15iterator_traitsISI_E10value_typeET2_T3_PNSJ_ISO_E10value_typeET4_T5_PST_SU_PNS1_23onesweep_lookback_stateEbbT6_jjT7_P12ihipStream_tbENKUlT_T0_SI_SN_E_clISD_SD_SD_SD_EEDaS11_S12_SI_SN_EUlS11_E_NS1_11comp_targetILNS1_3genE6ELNS1_11target_archE950ELNS1_3gpuE13ELNS1_3repE0EEENS1_47radix_sort_onesweep_sort_config_static_selectorELNS0_4arch9wavefront6targetE1EEEvSI_,"axG",@progbits,_ZN7rocprim17ROCPRIM_400000_NS6detail17trampoline_kernelINS0_14default_configENS1_35radix_sort_onesweep_config_selectorIddEEZZNS1_29radix_sort_onesweep_iterationIS3_Lb0EN6thrust23THRUST_200600_302600_NS6detail15normal_iteratorINS8_10device_ptrIdEEEESD_SD_SD_jNS0_19identity_decomposerENS1_16block_id_wrapperIjLb0EEEEE10hipError_tT1_PNSt15iterator_traitsISI_E10value_typeET2_T3_PNSJ_ISO_E10value_typeET4_T5_PST_SU_PNS1_23onesweep_lookback_stateEbbT6_jjT7_P12ihipStream_tbENKUlT_T0_SI_SN_E_clISD_SD_SD_SD_EEDaS11_S12_SI_SN_EUlS11_E_NS1_11comp_targetILNS1_3genE6ELNS1_11target_archE950ELNS1_3gpuE13ELNS1_3repE0EEENS1_47radix_sort_onesweep_sort_config_static_selectorELNS0_4arch9wavefront6targetE1EEEvSI_,comdat
	.protected	_ZN7rocprim17ROCPRIM_400000_NS6detail17trampoline_kernelINS0_14default_configENS1_35radix_sort_onesweep_config_selectorIddEEZZNS1_29radix_sort_onesweep_iterationIS3_Lb0EN6thrust23THRUST_200600_302600_NS6detail15normal_iteratorINS8_10device_ptrIdEEEESD_SD_SD_jNS0_19identity_decomposerENS1_16block_id_wrapperIjLb0EEEEE10hipError_tT1_PNSt15iterator_traitsISI_E10value_typeET2_T3_PNSJ_ISO_E10value_typeET4_T5_PST_SU_PNS1_23onesweep_lookback_stateEbbT6_jjT7_P12ihipStream_tbENKUlT_T0_SI_SN_E_clISD_SD_SD_SD_EEDaS11_S12_SI_SN_EUlS11_E_NS1_11comp_targetILNS1_3genE6ELNS1_11target_archE950ELNS1_3gpuE13ELNS1_3repE0EEENS1_47radix_sort_onesweep_sort_config_static_selectorELNS0_4arch9wavefront6targetE1EEEvSI_ ; -- Begin function _ZN7rocprim17ROCPRIM_400000_NS6detail17trampoline_kernelINS0_14default_configENS1_35radix_sort_onesweep_config_selectorIddEEZZNS1_29radix_sort_onesweep_iterationIS3_Lb0EN6thrust23THRUST_200600_302600_NS6detail15normal_iteratorINS8_10device_ptrIdEEEESD_SD_SD_jNS0_19identity_decomposerENS1_16block_id_wrapperIjLb0EEEEE10hipError_tT1_PNSt15iterator_traitsISI_E10value_typeET2_T3_PNSJ_ISO_E10value_typeET4_T5_PST_SU_PNS1_23onesweep_lookback_stateEbbT6_jjT7_P12ihipStream_tbENKUlT_T0_SI_SN_E_clISD_SD_SD_SD_EEDaS11_S12_SI_SN_EUlS11_E_NS1_11comp_targetILNS1_3genE6ELNS1_11target_archE950ELNS1_3gpuE13ELNS1_3repE0EEENS1_47radix_sort_onesweep_sort_config_static_selectorELNS0_4arch9wavefront6targetE1EEEvSI_
	.globl	_ZN7rocprim17ROCPRIM_400000_NS6detail17trampoline_kernelINS0_14default_configENS1_35radix_sort_onesweep_config_selectorIddEEZZNS1_29radix_sort_onesweep_iterationIS3_Lb0EN6thrust23THRUST_200600_302600_NS6detail15normal_iteratorINS8_10device_ptrIdEEEESD_SD_SD_jNS0_19identity_decomposerENS1_16block_id_wrapperIjLb0EEEEE10hipError_tT1_PNSt15iterator_traitsISI_E10value_typeET2_T3_PNSJ_ISO_E10value_typeET4_T5_PST_SU_PNS1_23onesweep_lookback_stateEbbT6_jjT7_P12ihipStream_tbENKUlT_T0_SI_SN_E_clISD_SD_SD_SD_EEDaS11_S12_SI_SN_EUlS11_E_NS1_11comp_targetILNS1_3genE6ELNS1_11target_archE950ELNS1_3gpuE13ELNS1_3repE0EEENS1_47radix_sort_onesweep_sort_config_static_selectorELNS0_4arch9wavefront6targetE1EEEvSI_
	.p2align	8
	.type	_ZN7rocprim17ROCPRIM_400000_NS6detail17trampoline_kernelINS0_14default_configENS1_35radix_sort_onesweep_config_selectorIddEEZZNS1_29radix_sort_onesweep_iterationIS3_Lb0EN6thrust23THRUST_200600_302600_NS6detail15normal_iteratorINS8_10device_ptrIdEEEESD_SD_SD_jNS0_19identity_decomposerENS1_16block_id_wrapperIjLb0EEEEE10hipError_tT1_PNSt15iterator_traitsISI_E10value_typeET2_T3_PNSJ_ISO_E10value_typeET4_T5_PST_SU_PNS1_23onesweep_lookback_stateEbbT6_jjT7_P12ihipStream_tbENKUlT_T0_SI_SN_E_clISD_SD_SD_SD_EEDaS11_S12_SI_SN_EUlS11_E_NS1_11comp_targetILNS1_3genE6ELNS1_11target_archE950ELNS1_3gpuE13ELNS1_3repE0EEENS1_47radix_sort_onesweep_sort_config_static_selectorELNS0_4arch9wavefront6targetE1EEEvSI_,@function
_ZN7rocprim17ROCPRIM_400000_NS6detail17trampoline_kernelINS0_14default_configENS1_35radix_sort_onesweep_config_selectorIddEEZZNS1_29radix_sort_onesweep_iterationIS3_Lb0EN6thrust23THRUST_200600_302600_NS6detail15normal_iteratorINS8_10device_ptrIdEEEESD_SD_SD_jNS0_19identity_decomposerENS1_16block_id_wrapperIjLb0EEEEE10hipError_tT1_PNSt15iterator_traitsISI_E10value_typeET2_T3_PNSJ_ISO_E10value_typeET4_T5_PST_SU_PNS1_23onesweep_lookback_stateEbbT6_jjT7_P12ihipStream_tbENKUlT_T0_SI_SN_E_clISD_SD_SD_SD_EEDaS11_S12_SI_SN_EUlS11_E_NS1_11comp_targetILNS1_3genE6ELNS1_11target_archE950ELNS1_3gpuE13ELNS1_3repE0EEENS1_47radix_sort_onesweep_sort_config_static_selectorELNS0_4arch9wavefront6targetE1EEEvSI_: ; @_ZN7rocprim17ROCPRIM_400000_NS6detail17trampoline_kernelINS0_14default_configENS1_35radix_sort_onesweep_config_selectorIddEEZZNS1_29radix_sort_onesweep_iterationIS3_Lb0EN6thrust23THRUST_200600_302600_NS6detail15normal_iteratorINS8_10device_ptrIdEEEESD_SD_SD_jNS0_19identity_decomposerENS1_16block_id_wrapperIjLb0EEEEE10hipError_tT1_PNSt15iterator_traitsISI_E10value_typeET2_T3_PNSJ_ISO_E10value_typeET4_T5_PST_SU_PNS1_23onesweep_lookback_stateEbbT6_jjT7_P12ihipStream_tbENKUlT_T0_SI_SN_E_clISD_SD_SD_SD_EEDaS11_S12_SI_SN_EUlS11_E_NS1_11comp_targetILNS1_3genE6ELNS1_11target_archE950ELNS1_3gpuE13ELNS1_3repE0EEENS1_47radix_sort_onesweep_sort_config_static_selectorELNS0_4arch9wavefront6targetE1EEEvSI_
; %bb.0:
	s_load_dwordx4 s[48:51], s[2:3], 0x44
	s_load_dwordx8 s[36:43], s[2:3], 0x0
	s_load_dwordx4 s[44:47], s[2:3], 0x28
	s_load_dwordx2 s[52:53], s[2:3], 0x38
	v_and_b32_e32 v2, 0x3ff, v0
	v_bfe_u32 v3, v0, 10, 10
	v_bfe_u32 v28, v0, 20, 10
	s_mov_b64 s[6:7], -1
	s_waitcnt lgkmcnt(0)
	s_cmp_ge_u32 s4, s50
	v_mbcnt_lo_u32_b32 v30, -1, 0
	v_lshlrev_b32_e32 v29, 3, v2
	s_cbranch_scc0 .LBB137_116
; %bb.1:
	s_load_dword s5, s[2:3], 0x20
	s_lshl_b32 s8, s50, 13
	s_lshl_b32 s6, s4, 13
	s_mov_b32 s7, 0
	s_lshl_b64 s[50:51], s[6:7], 3
	s_waitcnt lgkmcnt(0)
	s_sub_i32 s5, s5, s8
	v_mbcnt_hi_u32_b32 v26, -1, v30
	s_add_u32 s6, s36, s50
	v_and_b32_e32 v8, 63, v26
	s_addc_u32 s7, s37, s51
	v_and_b32_e32 v9, 0x1e00, v29
	v_mov_b32_e32 v1, 0
	v_lshlrev_b32_e32 v0, 3, v8
	v_lshl_add_u64 v[6:7], s[6:7], 0, v[0:1]
	v_lshlrev_b32_e32 v4, 3, v9
	v_mov_b32_e32 v5, v1
	v_or_b32_e32 v1, v8, v9
	v_mov_b32_e32 v8, -1
	v_bfrev_b32_e32 v9, -2
	v_lshl_add_u64 v[22:23], v[6:7], 0, v[4:5]
	v_cmp_gt_u32_e32 vcc, s5, v1
	v_mov_b64_e32 v[6:7], v[8:9]
	s_and_saveexec_b64 s[6:7], vcc
	s_cbranch_execz .LBB137_3
; %bb.2:
	global_load_dwordx2 v[6:7], v[22:23], off
.LBB137_3:
	s_or_b64 exec, exec, s[6:7]
	v_or_b32_e32 v5, 64, v1
	v_cmp_gt_u32_e64 s[16:17], s5, v5
	s_and_saveexec_b64 s[6:7], s[16:17]
	s_cbranch_execz .LBB137_5
; %bb.4:
	global_load_dwordx2 v[8:9], v[22:23], off offset:512
.LBB137_5:
	s_or_b64 exec, exec, s[6:7]
	v_or_b32_e32 v5, 0x80, v1
	v_mov_b32_e32 v12, -1
	v_bfrev_b32_e32 v13, -2
	v_cmp_gt_u32_e64 s[26:27], s5, v5
	v_mov_b64_e32 v[10:11], v[12:13]
	s_and_saveexec_b64 s[6:7], s[26:27]
	s_cbranch_execz .LBB137_7
; %bb.6:
	global_load_dwordx2 v[10:11], v[22:23], off offset:1024
.LBB137_7:
	s_or_b64 exec, exec, s[6:7]
	v_or_b32_e32 v5, 0xc0, v1
	v_cmp_gt_u32_e64 s[6:7], s5, v5
	s_and_saveexec_b64 s[8:9], s[6:7]
	s_cbranch_execz .LBB137_9
; %bb.8:
	global_load_dwordx2 v[12:13], v[22:23], off offset:1536
.LBB137_9:
	s_or_b64 exec, exec, s[8:9]
	v_or_b32_e32 v5, 0x100, v1
	v_mov_b32_e32 v18, -1
	v_bfrev_b32_e32 v19, -2
	v_cmp_gt_u32_e64 s[8:9], s5, v5
	v_mov_b64_e32 v[14:15], v[18:19]
	s_and_saveexec_b64 s[10:11], s[8:9]
	s_cbranch_execz .LBB137_11
; %bb.10:
	global_load_dwordx2 v[14:15], v[22:23], off offset:2048
.LBB137_11:
	;; [unrolled: 19-line block ×3, first 2 shown]
	s_or_b64 exec, exec, s[14:15]
	v_or_b32_e32 v1, 0x1c0, v1
	s_mov_b32 s20, -1
	v_cmp_gt_u32_e64 s[14:15], s5, v1
	s_brev_b32 s21, -2
	s_and_saveexec_b64 s[18:19], s[14:15]
	s_cbranch_execz .LBB137_17
; %bb.16:
	global_load_dwordx2 v[16:17], v[22:23], off offset:3584
.LBB137_17:
	s_or_b64 exec, exec, s[18:19]
	s_load_dword s18, s[2:3], 0x64
	s_load_dword s33, s[2:3], 0x58
	s_add_u32 s19, s2, 0x58
	s_addc_u32 s22, s3, 0
	v_mov_b32_e32 v23, 0
	s_waitcnt lgkmcnt(0)
	s_lshr_b32 s23, s18, 16
	s_cmp_lt_u32 s4, s33
	s_cselect_b32 s18, 12, 18
	s_add_u32 s18, s19, s18
	s_addc_u32 s19, s22, 0
	global_load_ushort v5, v23, s[18:19]
	v_bfrev_b32_e32 v31, 1
	s_waitcnt vmcnt(1)
	v_cmp_lt_i64_e64 s[18:19], -1, v[6:7]
	v_ashrrev_i32_e32 v22, 31, v7
	v_xor_b32_e32 v6, v22, v6
	v_cndmask_b32_e64 v25, -1, v31, s[18:19]
	v_xor_b32_e32 v7, v25, v7
	v_cmp_ne_u64_e64 s[18:19], s[20:21], v[6:7]
	v_mov_b32_e32 v24, v23
	v_mov_b32_e32 v34, v23
	v_cndmask_b32_e64 v43, v31, v7, s[18:19]
	v_cndmask_b32_e64 v42, 0, v6, s[18:19]
	v_lshrrev_b64 v[42:43], s48, v[42:43]
	s_lshl_b32 s18, -1, s49
	v_bitop3_b32 v44, v42, s18, v42 bitop3:0x30
	v_and_b32_e32 v22, 1, v44
	v_lshlrev_b32_e32 v25, 30, v44
	s_not_b32 s54, s18
	v_lshlrev_b32_e32 v33, 29, v44
	v_lshlrev_b32_e32 v35, 28, v44
	v_lshl_add_u64 v[42:43], v[22:23], 0, -1
	v_cmp_ne_u32_e64 s[18:19], 0, v22
	v_not_b32_e32 v22, v25
	v_mov_b32_e32 v32, v23
	v_mov_b32_e32 v36, v23
	v_lshlrev_b32_e32 v37, 27, v44
	v_cmp_gt_i64_e64 s[20:21], 0, v[24:25]
	v_not_b32_e32 v24, v33
	v_cmp_gt_i64_e64 s[24:25], 0, v[34:35]
	v_xor_b32_e32 v34, s19, v43
	v_ashrrev_i32_e32 v22, 31, v22
	v_mad_u32_u24 v27, v28, s23, v3
	v_cmp_gt_i64_e64 s[22:23], 0, v[32:33]
	v_not_b32_e32 v25, v35
	v_cmp_gt_i64_e64 s[28:29], 0, v[36:37]
	v_xor_b32_e32 v35, s18, v42
	v_ashrrev_i32_e32 v24, 31, v24
	v_and_b32_e32 v34, exec_hi, v34
	v_xor_b32_e32 v36, s21, v22
	v_mov_b32_e32 v38, v23
	v_lshlrev_b32_e32 v39, 26, v44
	v_not_b32_e32 v32, v37
	v_ashrrev_i32_e32 v25, 31, v25
	v_and_b32_e32 v35, exec_lo, v35
	v_xor_b32_e32 v22, s20, v22
	v_xor_b32_e32 v37, s23, v24
	v_and_b32_e32 v34, v34, v36
	v_cmp_gt_i64_e64 s[30:31], 0, v[38:39]
	v_not_b32_e32 v33, v39
	v_ashrrev_i32_e32 v32, 31, v32
	v_xor_b32_e32 v24, s22, v24
	v_xor_b32_e32 v38, s25, v25
	v_and_b32_e32 v22, v35, v22
	v_and_b32_e32 v34, v34, v37
	v_mov_b32_e32 v40, v23
	v_lshlrev_b32_e32 v41, 25, v44
	v_ashrrev_i32_e32 v33, 31, v33
	v_xor_b32_e32 v25, s24, v25
	v_xor_b32_e32 v39, s29, v32
	v_and_b32_e32 v22, v22, v24
	v_and_b32_e32 v24, v34, v38
	v_cmp_gt_i64_e64 s[34:35], 0, v[40:41]
	v_xor_b32_e32 v32, s28, v32
	v_xor_b32_e32 v40, s31, v33
	v_and_b32_e32 v22, v22, v25
	v_and_b32_e32 v24, v24, v39
	v_and_b32_e32 v22, v22, v32
	v_and_b32_e32 v32, v24, v40
	v_xor_b32_e32 v33, s30, v33
	v_and_b32_e32 v22, v22, v33
	s_movk_i32 s55, 0x44
	v_mul_lo_u32 v45, v44, s55
	v_mul_u32_u24_e32 v1, 20, v2
	ds_write2_b32 v1, v23, v23 offset0:16 offset1:17
	ds_write2_b32 v1, v23, v23 offset0:18 offset1:19
	ds_write_b32 v1, v23 offset:80
	s_waitcnt lgkmcnt(0)
	s_barrier
	s_waitcnt vmcnt(0)
	; wave barrier
	v_mad_u64_u32 v[24:25], s[18:19], v27, v5, v[2:3]
	v_not_b32_e32 v5, v41
	v_ashrrev_i32_e32 v5, 31, v5
	v_lshrrev_b32_e32 v39, 6, v24
	v_xor_b32_e32 v24, s35, v5
	v_xor_b32_e32 v5, s34, v5
	v_lshlrev_b32_e32 v25, 24, v44
	v_and_b32_e32 v32, v32, v24
	v_and_b32_e32 v5, v22, v5
	v_mov_b32_e32 v24, v23
	v_not_b32_e32 v22, v25
	v_cmp_gt_i64_e64 s[18:19], 0, v[24:25]
	v_ashrrev_i32_e32 v22, 31, v22
	v_lshl_add_u32 v27, v39, 2, v45
	v_xor_b32_e32 v24, s19, v22
	v_xor_b32_e32 v22, s18, v22
	v_and_b32_e32 v25, v32, v24
	v_and_b32_e32 v24, v5, v22
	v_mbcnt_lo_u32_b32 v5, v24, 0
	v_mbcnt_hi_u32_b32 v5, v25, v5
	v_cmp_eq_u32_e64 s[18:19], 0, v5
	v_cmp_ne_u64_e64 s[20:21], 0, v[24:25]
	s_and_b64 s[20:21], s[20:21], s[18:19]
	s_and_saveexec_b64 s[18:19], s[20:21]
; %bb.18:
	v_bcnt_u32_b32 v22, v24, 0
	v_bcnt_u32_b32 v22, v25, v22
	ds_write_b32 v27, v22 offset:64
; %bb.19:
	s_or_b64 exec, exec, s[18:19]
	v_cmp_lt_i64_e64 s[18:19], -1, v[8:9]
	s_mov_b32 s22, -1
	v_ashrrev_i32_e32 v24, 31, v9
	v_cndmask_b32_e64 v22, -1, v31, s[18:19]
	s_brev_b32 s23, -2
	v_xor_b32_e32 v9, v22, v9
	v_xor_b32_e32 v8, v24, v8
	v_cmp_ne_u64_e64 s[18:19], s[22:23], v[8:9]
	; wave barrier
	s_nop 1
	v_cndmask_b32_e64 v25, v31, v9, s[18:19]
	v_cndmask_b32_e64 v24, 0, v8, s[18:19]
	v_lshrrev_b64 v[24:25], s48, v[24:25]
	v_and_b32_e32 v32, s54, v24
	v_mul_lo_u32 v22, v32, s55
	v_lshl_add_u32 v34, v39, 2, v22
	v_and_b32_e32 v22, 1, v32
	v_lshl_add_u64 v[24:25], v[22:23], 0, -1
	v_cmp_ne_u32_e64 s[18:19], 0, v22
	ds_read_b32 v31, v34 offset:64
	s_nop 0
	v_xor_b32_e32 v24, s18, v24
	v_xor_b32_e32 v22, s19, v25
	v_and_b32_e32 v33, exec_lo, v24
	v_lshlrev_b32_e32 v25, 30, v32
	v_mov_b32_e32 v24, v23
	v_cmp_gt_i64_e64 s[18:19], 0, v[24:25]
	v_not_b32_e32 v24, v25
	v_ashrrev_i32_e32 v24, 31, v24
	v_and_b32_e32 v22, exec_hi, v22
	v_xor_b32_e32 v25, s19, v24
	v_xor_b32_e32 v24, s18, v24
	v_and_b32_e32 v22, v22, v25
	v_and_b32_e32 v33, v33, v24
	v_lshlrev_b32_e32 v25, 29, v32
	v_mov_b32_e32 v24, v23
	v_cmp_gt_i64_e64 s[18:19], 0, v[24:25]
	v_not_b32_e32 v24, v25
	v_ashrrev_i32_e32 v24, 31, v24
	v_xor_b32_e32 v25, s19, v24
	v_xor_b32_e32 v24, s18, v24
	v_and_b32_e32 v22, v22, v25
	v_and_b32_e32 v33, v33, v24
	v_lshlrev_b32_e32 v25, 28, v32
	v_mov_b32_e32 v24, v23
	v_cmp_gt_i64_e64 s[18:19], 0, v[24:25]
	v_not_b32_e32 v24, v25
	v_ashrrev_i32_e32 v24, 31, v24
	;; [unrolled: 9-line block ×5, first 2 shown]
	v_xor_b32_e32 v25, s19, v24
	v_xor_b32_e32 v24, s18, v24
	v_and_b32_e32 v22, v22, v25
	v_lshlrev_b32_e32 v25, 24, v32
	v_and_b32_e32 v33, v33, v24
	v_mov_b32_e32 v24, v23
	v_not_b32_e32 v23, v25
	v_cmp_gt_i64_e64 s[18:19], 0, v[24:25]
	v_ashrrev_i32_e32 v23, 31, v23
	; wave barrier
	s_nop 0
	v_xor_b32_e32 v24, s19, v23
	v_xor_b32_e32 v25, s18, v23
	v_and_b32_e32 v23, v22, v24
	v_and_b32_e32 v22, v33, v25
	v_mbcnt_lo_u32_b32 v24, v22, 0
	v_mbcnt_hi_u32_b32 v32, v23, v24
	v_cmp_eq_u32_e64 s[18:19], 0, v32
	v_cmp_ne_u64_e64 s[20:21], 0, v[22:23]
	s_and_b64 s[20:21], s[20:21], s[18:19]
	s_and_saveexec_b64 s[18:19], s[20:21]
	s_cbranch_execz .LBB137_21
; %bb.20:
	v_bcnt_u32_b32 v22, v22, 0
	v_bcnt_u32_b32 v22, v23, v22
	s_waitcnt lgkmcnt(0)
	v_add_u32_e32 v22, v31, v22
	ds_write_b32 v34, v22 offset:64
.LBB137_21:
	s_or_b64 exec, exec, s[18:19]
	v_bfrev_b32_e32 v36, 1
	v_cmp_lt_i64_e64 s[18:19], -1, v[10:11]
	v_ashrrev_i32_e32 v23, 31, v11
	v_xor_b32_e32 v10, v23, v10
	v_cndmask_b32_e64 v22, -1, v36, s[18:19]
	v_xor_b32_e32 v11, v22, v11
	v_cmp_ne_u64_e64 s[18:19], s[22:23], v[10:11]
	s_movk_i32 s24, 0x44
	s_nop 0
	v_cndmask_b32_e64 v23, v36, v11, s[18:19]
	v_cndmask_b32_e64 v22, 0, v10, s[18:19]
	v_lshrrev_b64 v[22:23], s48, v[22:23]
	v_and_b32_e32 v35, s54, v22
	v_mul_lo_u32 v22, v35, s24
	v_lshl_add_u32 v37, v39, 2, v22
	v_and_b32_e32 v22, 1, v35
	v_mov_b32_e32 v23, 0
	v_lshl_add_u64 v[24:25], v[22:23], 0, -1
	v_cmp_ne_u32_e64 s[18:19], 0, v22
	; wave barrier
	ds_read_b32 v33, v37 offset:64
	s_nop 0
	v_xor_b32_e32 v24, s18, v24
	v_xor_b32_e32 v22, s19, v25
	v_and_b32_e32 v38, exec_lo, v24
	v_lshlrev_b32_e32 v25, 30, v35
	v_mov_b32_e32 v24, v23
	v_cmp_gt_i64_e64 s[18:19], 0, v[24:25]
	v_not_b32_e32 v24, v25
	v_ashrrev_i32_e32 v24, 31, v24
	v_and_b32_e32 v22, exec_hi, v22
	v_xor_b32_e32 v25, s19, v24
	v_xor_b32_e32 v24, s18, v24
	v_and_b32_e32 v22, v22, v25
	v_and_b32_e32 v38, v38, v24
	v_lshlrev_b32_e32 v25, 29, v35
	v_mov_b32_e32 v24, v23
	v_cmp_gt_i64_e64 s[18:19], 0, v[24:25]
	v_not_b32_e32 v24, v25
	v_ashrrev_i32_e32 v24, 31, v24
	v_xor_b32_e32 v25, s19, v24
	v_xor_b32_e32 v24, s18, v24
	v_and_b32_e32 v22, v22, v25
	v_and_b32_e32 v38, v38, v24
	v_lshlrev_b32_e32 v25, 28, v35
	v_mov_b32_e32 v24, v23
	v_cmp_gt_i64_e64 s[18:19], 0, v[24:25]
	v_not_b32_e32 v24, v25
	v_ashrrev_i32_e32 v24, 31, v24
	;; [unrolled: 9-line block ×6, first 2 shown]
	v_xor_b32_e32 v25, s19, v24
	v_xor_b32_e32 v24, s18, v24
	v_and_b32_e32 v24, v38, v24
	v_and_b32_e32 v25, v22, v25
	v_mbcnt_lo_u32_b32 v22, v24, 0
	v_mbcnt_hi_u32_b32 v35, v25, v22
	v_cmp_eq_u32_e64 s[18:19], 0, v35
	v_cmp_ne_u64_e64 s[20:21], 0, v[24:25]
	s_and_b64 s[20:21], s[20:21], s[18:19]
	; wave barrier
	s_and_saveexec_b64 s[18:19], s[20:21]
	s_cbranch_execz .LBB137_23
; %bb.22:
	v_bcnt_u32_b32 v22, v24, 0
	v_bcnt_u32_b32 v22, v25, v22
	s_waitcnt lgkmcnt(0)
	v_add_u32_e32 v22, v33, v22
	ds_write_b32 v37, v22 offset:64
.LBB137_23:
	s_or_b64 exec, exec, s[18:19]
	v_cmp_lt_i64_e64 s[18:19], -1, v[12:13]
	v_ashrrev_i32_e32 v24, 31, v13
	v_xor_b32_e32 v12, v24, v12
	v_cndmask_b32_e64 v22, -1, v36, s[18:19]
	v_xor_b32_e32 v13, v22, v13
	v_cmp_ne_u64_e64 s[18:19], s[22:23], v[12:13]
	; wave barrier
	s_nop 1
	v_cndmask_b32_e64 v25, v36, v13, s[18:19]
	v_cndmask_b32_e64 v24, 0, v12, s[18:19]
	v_lshrrev_b64 v[24:25], s48, v[24:25]
	v_and_b32_e32 v38, s54, v24
	v_mul_lo_u32 v22, v38, s24
	v_lshl_add_u32 v41, v39, 2, v22
	v_and_b32_e32 v22, 1, v38
	v_lshl_add_u64 v[24:25], v[22:23], 0, -1
	v_cmp_ne_u32_e64 s[18:19], 0, v22
	ds_read_b32 v36, v41 offset:64
	s_nop 0
	v_xor_b32_e32 v24, s18, v24
	v_xor_b32_e32 v22, s19, v25
	v_and_b32_e32 v40, exec_lo, v24
	v_lshlrev_b32_e32 v25, 30, v38
	v_mov_b32_e32 v24, v23
	v_cmp_gt_i64_e64 s[18:19], 0, v[24:25]
	v_not_b32_e32 v24, v25
	v_ashrrev_i32_e32 v24, 31, v24
	v_and_b32_e32 v22, exec_hi, v22
	v_xor_b32_e32 v25, s19, v24
	v_xor_b32_e32 v24, s18, v24
	v_and_b32_e32 v22, v22, v25
	v_and_b32_e32 v40, v40, v24
	v_lshlrev_b32_e32 v25, 29, v38
	v_mov_b32_e32 v24, v23
	v_cmp_gt_i64_e64 s[18:19], 0, v[24:25]
	v_not_b32_e32 v24, v25
	v_ashrrev_i32_e32 v24, 31, v24
	v_xor_b32_e32 v25, s19, v24
	v_xor_b32_e32 v24, s18, v24
	v_and_b32_e32 v22, v22, v25
	v_and_b32_e32 v40, v40, v24
	v_lshlrev_b32_e32 v25, 28, v38
	v_mov_b32_e32 v24, v23
	v_cmp_gt_i64_e64 s[18:19], 0, v[24:25]
	v_not_b32_e32 v24, v25
	v_ashrrev_i32_e32 v24, 31, v24
	;; [unrolled: 9-line block ×5, first 2 shown]
	v_xor_b32_e32 v25, s19, v24
	v_xor_b32_e32 v24, s18, v24
	v_and_b32_e32 v22, v22, v25
	v_lshlrev_b32_e32 v25, 24, v38
	v_and_b32_e32 v40, v40, v24
	v_mov_b32_e32 v24, v23
	v_not_b32_e32 v23, v25
	v_cmp_gt_i64_e64 s[18:19], 0, v[24:25]
	v_ashrrev_i32_e32 v23, 31, v23
	; wave barrier
	s_nop 0
	v_xor_b32_e32 v24, s19, v23
	v_xor_b32_e32 v25, s18, v23
	v_and_b32_e32 v23, v22, v24
	v_and_b32_e32 v22, v40, v25
	v_mbcnt_lo_u32_b32 v24, v22, 0
	v_mbcnt_hi_u32_b32 v38, v23, v24
	v_cmp_eq_u32_e64 s[18:19], 0, v38
	v_cmp_ne_u64_e64 s[20:21], 0, v[22:23]
	s_and_b64 s[20:21], s[20:21], s[18:19]
	s_and_saveexec_b64 s[18:19], s[20:21]
	s_cbranch_execz .LBB137_25
; %bb.24:
	v_bcnt_u32_b32 v22, v22, 0
	v_bcnt_u32_b32 v22, v23, v22
	s_waitcnt lgkmcnt(0)
	v_add_u32_e32 v22, v36, v22
	ds_write_b32 v41, v22 offset:64
.LBB137_25:
	s_or_b64 exec, exec, s[18:19]
	v_bfrev_b32_e32 v43, 1
	v_cmp_lt_i64_e64 s[18:19], -1, v[14:15]
	v_ashrrev_i32_e32 v23, 31, v15
	v_xor_b32_e32 v14, v23, v14
	v_cndmask_b32_e64 v22, -1, v43, s[18:19]
	v_xor_b32_e32 v15, v22, v15
	v_cmp_ne_u64_e64 s[18:19], s[22:23], v[14:15]
	; wave barrier
	s_nop 1
	v_cndmask_b32_e64 v23, v43, v15, s[18:19]
	v_cndmask_b32_e64 v22, 0, v14, s[18:19]
	v_lshrrev_b64 v[22:23], s48, v[22:23]
	v_and_b32_e32 v42, s54, v22
	v_mul_lo_u32 v22, v42, s24
	v_lshl_add_u32 v44, v39, 2, v22
	v_and_b32_e32 v22, 1, v42
	v_mov_b32_e32 v23, 0
	v_lshl_add_u64 v[24:25], v[22:23], 0, -1
	v_cmp_ne_u32_e64 s[18:19], 0, v22
	ds_read_b32 v40, v44 offset:64
	s_nop 0
	v_xor_b32_e32 v24, s18, v24
	v_xor_b32_e32 v22, s19, v25
	v_and_b32_e32 v45, exec_lo, v24
	v_lshlrev_b32_e32 v25, 30, v42
	v_mov_b32_e32 v24, v23
	v_cmp_gt_i64_e64 s[18:19], 0, v[24:25]
	v_not_b32_e32 v24, v25
	v_ashrrev_i32_e32 v24, 31, v24
	v_and_b32_e32 v22, exec_hi, v22
	v_xor_b32_e32 v25, s19, v24
	v_xor_b32_e32 v24, s18, v24
	v_and_b32_e32 v22, v22, v25
	v_and_b32_e32 v45, v45, v24
	v_lshlrev_b32_e32 v25, 29, v42
	v_mov_b32_e32 v24, v23
	v_cmp_gt_i64_e64 s[18:19], 0, v[24:25]
	v_not_b32_e32 v24, v25
	v_ashrrev_i32_e32 v24, 31, v24
	v_xor_b32_e32 v25, s19, v24
	v_xor_b32_e32 v24, s18, v24
	v_and_b32_e32 v22, v22, v25
	v_and_b32_e32 v45, v45, v24
	v_lshlrev_b32_e32 v25, 28, v42
	v_mov_b32_e32 v24, v23
	v_cmp_gt_i64_e64 s[18:19], 0, v[24:25]
	v_not_b32_e32 v24, v25
	v_ashrrev_i32_e32 v24, 31, v24
	;; [unrolled: 9-line block ×6, first 2 shown]
	v_xor_b32_e32 v25, s19, v24
	v_xor_b32_e32 v24, s18, v24
	v_and_b32_e32 v24, v45, v24
	v_and_b32_e32 v25, v22, v25
	v_mbcnt_lo_u32_b32 v22, v24, 0
	v_mbcnt_hi_u32_b32 v42, v25, v22
	v_cmp_eq_u32_e64 s[18:19], 0, v42
	v_cmp_ne_u64_e64 s[20:21], 0, v[24:25]
	s_and_b64 s[20:21], s[20:21], s[18:19]
	; wave barrier
	s_and_saveexec_b64 s[18:19], s[20:21]
	s_cbranch_execz .LBB137_27
; %bb.26:
	v_bcnt_u32_b32 v22, v24, 0
	v_bcnt_u32_b32 v22, v25, v22
	s_waitcnt lgkmcnt(0)
	v_add_u32_e32 v22, v40, v22
	ds_write_b32 v44, v22 offset:64
.LBB137_27:
	s_or_b64 exec, exec, s[18:19]
	v_cmp_lt_i64_e64 s[18:19], -1, v[18:19]
	v_ashrrev_i32_e32 v24, 31, v19
	v_xor_b32_e32 v18, v24, v18
	v_cndmask_b32_e64 v22, -1, v43, s[18:19]
	v_xor_b32_e32 v19, v22, v19
	v_cmp_ne_u64_e64 s[18:19], s[22:23], v[18:19]
	; wave barrier
	s_nop 1
	v_cndmask_b32_e64 v25, v43, v19, s[18:19]
	v_cndmask_b32_e64 v24, 0, v18, s[18:19]
	v_lshrrev_b64 v[24:25], s48, v[24:25]
	v_and_b32_e32 v45, s54, v24
	v_mul_lo_u32 v22, v45, s24
	v_lshl_add_u32 v47, v39, 2, v22
	v_and_b32_e32 v22, 1, v45
	v_lshl_add_u64 v[24:25], v[22:23], 0, -1
	v_cmp_ne_u32_e64 s[18:19], 0, v22
	ds_read_b32 v43, v47 offset:64
	s_nop 0
	v_xor_b32_e32 v24, s18, v24
	v_xor_b32_e32 v22, s19, v25
	v_and_b32_e32 v46, exec_lo, v24
	v_lshlrev_b32_e32 v25, 30, v45
	v_mov_b32_e32 v24, v23
	v_cmp_gt_i64_e64 s[18:19], 0, v[24:25]
	v_not_b32_e32 v24, v25
	v_ashrrev_i32_e32 v24, 31, v24
	v_and_b32_e32 v22, exec_hi, v22
	v_xor_b32_e32 v25, s19, v24
	v_xor_b32_e32 v24, s18, v24
	v_and_b32_e32 v22, v22, v25
	v_and_b32_e32 v46, v46, v24
	v_lshlrev_b32_e32 v25, 29, v45
	v_mov_b32_e32 v24, v23
	v_cmp_gt_i64_e64 s[18:19], 0, v[24:25]
	v_not_b32_e32 v24, v25
	v_ashrrev_i32_e32 v24, 31, v24
	v_xor_b32_e32 v25, s19, v24
	v_xor_b32_e32 v24, s18, v24
	v_and_b32_e32 v22, v22, v25
	v_and_b32_e32 v46, v46, v24
	v_lshlrev_b32_e32 v25, 28, v45
	v_mov_b32_e32 v24, v23
	v_cmp_gt_i64_e64 s[18:19], 0, v[24:25]
	v_not_b32_e32 v24, v25
	v_ashrrev_i32_e32 v24, 31, v24
	;; [unrolled: 9-line block ×5, first 2 shown]
	v_xor_b32_e32 v25, s19, v24
	v_xor_b32_e32 v24, s18, v24
	v_and_b32_e32 v22, v22, v25
	v_lshlrev_b32_e32 v25, 24, v45
	v_and_b32_e32 v46, v46, v24
	v_mov_b32_e32 v24, v23
	v_not_b32_e32 v23, v25
	v_cmp_gt_i64_e64 s[18:19], 0, v[24:25]
	v_ashrrev_i32_e32 v23, 31, v23
	; wave barrier
	s_nop 0
	v_xor_b32_e32 v24, s19, v23
	v_xor_b32_e32 v25, s18, v23
	v_and_b32_e32 v23, v22, v24
	v_and_b32_e32 v22, v46, v25
	v_mbcnt_lo_u32_b32 v24, v22, 0
	v_mbcnt_hi_u32_b32 v45, v23, v24
	v_cmp_eq_u32_e64 s[18:19], 0, v45
	v_cmp_ne_u64_e64 s[20:21], 0, v[22:23]
	s_and_b64 s[20:21], s[20:21], s[18:19]
	s_and_saveexec_b64 s[18:19], s[20:21]
	s_cbranch_execz .LBB137_29
; %bb.28:
	v_bcnt_u32_b32 v22, v22, 0
	v_bcnt_u32_b32 v22, v23, v22
	s_waitcnt lgkmcnt(0)
	v_add_u32_e32 v22, v43, v22
	ds_write_b32 v47, v22 offset:64
.LBB137_29:
	s_or_b64 exec, exec, s[18:19]
	v_bfrev_b32_e32 v49, 1
	v_cmp_lt_i64_e64 s[18:19], -1, v[20:21]
	v_ashrrev_i32_e32 v23, 31, v21
	v_xor_b32_e32 v20, v23, v20
	v_cndmask_b32_e64 v22, -1, v49, s[18:19]
	v_xor_b32_e32 v21, v22, v21
	v_cmp_ne_u64_e64 s[18:19], s[22:23], v[20:21]
	s_movk_i32 s22, 0x44
	s_nop 0
	v_cndmask_b32_e64 v23, v49, v21, s[18:19]
	v_cndmask_b32_e64 v22, 0, v20, s[18:19]
	v_lshrrev_b64 v[22:23], s48, v[22:23]
	v_and_b32_e32 v48, s54, v22
	v_mul_lo_u32 v22, v48, s22
	v_lshl_add_u32 v50, v39, 2, v22
	v_and_b32_e32 v22, 1, v48
	v_mov_b32_e32 v23, 0
	v_lshl_add_u64 v[24:25], v[22:23], 0, -1
	v_cmp_ne_u32_e64 s[18:19], 0, v22
	; wave barrier
	ds_read_b32 v46, v50 offset:64
	s_nop 0
	v_xor_b32_e32 v24, s18, v24
	v_xor_b32_e32 v22, s19, v25
	v_and_b32_e32 v51, exec_lo, v24
	v_lshlrev_b32_e32 v25, 30, v48
	v_mov_b32_e32 v24, v23
	v_cmp_gt_i64_e64 s[18:19], 0, v[24:25]
	v_not_b32_e32 v24, v25
	v_ashrrev_i32_e32 v24, 31, v24
	v_and_b32_e32 v22, exec_hi, v22
	v_xor_b32_e32 v25, s19, v24
	v_xor_b32_e32 v24, s18, v24
	v_and_b32_e32 v22, v22, v25
	v_and_b32_e32 v51, v51, v24
	v_lshlrev_b32_e32 v25, 29, v48
	v_mov_b32_e32 v24, v23
	v_cmp_gt_i64_e64 s[18:19], 0, v[24:25]
	v_not_b32_e32 v24, v25
	v_ashrrev_i32_e32 v24, 31, v24
	v_xor_b32_e32 v25, s19, v24
	v_xor_b32_e32 v24, s18, v24
	v_and_b32_e32 v22, v22, v25
	v_and_b32_e32 v51, v51, v24
	v_lshlrev_b32_e32 v25, 28, v48
	v_mov_b32_e32 v24, v23
	v_cmp_gt_i64_e64 s[18:19], 0, v[24:25]
	v_not_b32_e32 v24, v25
	v_ashrrev_i32_e32 v24, 31, v24
	;; [unrolled: 9-line block ×6, first 2 shown]
	v_xor_b32_e32 v25, s19, v24
	v_xor_b32_e32 v24, s18, v24
	v_and_b32_e32 v24, v51, v24
	v_and_b32_e32 v25, v22, v25
	v_mbcnt_lo_u32_b32 v22, v24, 0
	v_mbcnt_hi_u32_b32 v48, v25, v22
	v_cmp_eq_u32_e64 s[18:19], 0, v48
	v_cmp_ne_u64_e64 s[20:21], 0, v[24:25]
	s_and_b64 s[20:21], s[20:21], s[18:19]
	; wave barrier
	s_and_saveexec_b64 s[18:19], s[20:21]
	s_cbranch_execz .LBB137_31
; %bb.30:
	v_bcnt_u32_b32 v22, v24, 0
	v_bcnt_u32_b32 v22, v25, v22
	s_waitcnt lgkmcnt(0)
	v_add_u32_e32 v22, v46, v22
	ds_write_b32 v50, v22 offset:64
.LBB137_31:
	s_or_b64 exec, exec, s[18:19]
	v_cmp_lt_i64_e64 s[18:19], -1, v[16:17]
	s_mov_b32 s20, -1
	v_ashrrev_i32_e32 v24, 31, v17
	v_cndmask_b32_e64 v22, -1, v49, s[18:19]
	s_brev_b32 s21, -2
	v_xor_b32_e32 v17, v22, v17
	v_xor_b32_e32 v16, v24, v16
	v_cmp_ne_u64_e64 s[18:19], s[20:21], v[16:17]
	; wave barrier
	s_nop 1
	v_cndmask_b32_e64 v25, v49, v17, s[18:19]
	v_cndmask_b32_e64 v24, 0, v16, s[18:19]
	v_lshrrev_b64 v[24:25], s48, v[24:25]
	v_and_b32_e32 v51, s54, v24
	v_mul_lo_u32 v22, v51, s22
	v_lshl_add_u32 v39, v39, 2, v22
	v_and_b32_e32 v22, 1, v51
	v_lshl_add_u64 v[24:25], v[22:23], 0, -1
	v_cmp_ne_u32_e64 s[18:19], 0, v22
	ds_read_b32 v49, v39 offset:64
	s_nop 0
	v_xor_b32_e32 v24, s18, v24
	v_xor_b32_e32 v22, s19, v25
	v_and_b32_e32 v52, exec_lo, v24
	v_lshlrev_b32_e32 v25, 30, v51
	v_mov_b32_e32 v24, v23
	v_cmp_gt_i64_e64 s[18:19], 0, v[24:25]
	v_not_b32_e32 v24, v25
	v_ashrrev_i32_e32 v24, 31, v24
	v_and_b32_e32 v22, exec_hi, v22
	v_xor_b32_e32 v25, s19, v24
	v_xor_b32_e32 v24, s18, v24
	v_and_b32_e32 v22, v22, v25
	v_and_b32_e32 v52, v52, v24
	v_lshlrev_b32_e32 v25, 29, v51
	v_mov_b32_e32 v24, v23
	v_cmp_gt_i64_e64 s[18:19], 0, v[24:25]
	v_not_b32_e32 v24, v25
	v_ashrrev_i32_e32 v24, 31, v24
	v_xor_b32_e32 v25, s19, v24
	v_xor_b32_e32 v24, s18, v24
	v_and_b32_e32 v22, v22, v25
	v_and_b32_e32 v52, v52, v24
	v_lshlrev_b32_e32 v25, 28, v51
	v_mov_b32_e32 v24, v23
	v_cmp_gt_i64_e64 s[18:19], 0, v[24:25]
	v_not_b32_e32 v24, v25
	v_ashrrev_i32_e32 v24, 31, v24
	;; [unrolled: 9-line block ×5, first 2 shown]
	v_xor_b32_e32 v25, s19, v24
	v_xor_b32_e32 v24, s18, v24
	v_and_b32_e32 v22, v22, v25
	v_lshlrev_b32_e32 v25, 24, v51
	v_and_b32_e32 v52, v52, v24
	v_mov_b32_e32 v24, v23
	v_not_b32_e32 v23, v25
	v_cmp_gt_i64_e64 s[18:19], 0, v[24:25]
	v_ashrrev_i32_e32 v23, 31, v23
	; wave barrier
	s_nop 0
	v_xor_b32_e32 v24, s19, v23
	v_xor_b32_e32 v25, s18, v23
	v_and_b32_e32 v23, v22, v24
	v_and_b32_e32 v22, v52, v25
	v_mbcnt_lo_u32_b32 v24, v22, 0
	v_mbcnt_hi_u32_b32 v51, v23, v24
	v_cmp_eq_u32_e64 s[18:19], 0, v51
	v_cmp_ne_u64_e64 s[20:21], 0, v[22:23]
	s_and_b64 s[20:21], s[20:21], s[18:19]
	s_and_saveexec_b64 s[18:19], s[20:21]
	s_cbranch_execz .LBB137_33
; %bb.32:
	v_bcnt_u32_b32 v22, v22, 0
	v_bcnt_u32_b32 v22, v23, v22
	s_waitcnt lgkmcnt(0)
	v_add_u32_e32 v22, v49, v22
	ds_write_b32 v39, v22 offset:64
.LBB137_33:
	s_or_b64 exec, exec, s[18:19]
	; wave barrier
	s_waitcnt lgkmcnt(0)
	s_barrier
	ds_read2_b32 v[24:25], v1 offset0:16 offset1:17
	ds_read2_b32 v[22:23], v1 offset0:18 offset1:19
	ds_read_b32 v52, v1 offset:80
	v_cmp_lt_u32_e64 s[28:29], 31, v26
	s_waitcnt lgkmcnt(1)
	v_add3_u32 v53, v25, v24, v22
	s_waitcnt lgkmcnt(0)
	v_add3_u32 v52, v53, v23, v52
	v_and_b32_e32 v53, 15, v26
	v_cmp_eq_u32_e64 s[18:19], 0, v53
	v_mov_b32_dpp v54, v52 row_shr:1 row_mask:0xf bank_mask:0xf
	v_cmp_lt_u32_e64 s[20:21], 1, v53
	v_cndmask_b32_e64 v54, v54, 0, s[18:19]
	v_add_u32_e32 v52, v54, v52
	v_cmp_lt_u32_e64 s[22:23], 3, v53
	v_cmp_lt_u32_e64 s[24:25], 7, v53
	v_mov_b32_dpp v54, v52 row_shr:2 row_mask:0xf bank_mask:0xf
	v_cndmask_b32_e64 v54, 0, v54, s[20:21]
	v_add_u32_e32 v52, v52, v54
	s_nop 1
	v_mov_b32_dpp v54, v52 row_shr:4 row_mask:0xf bank_mask:0xf
	v_cndmask_b32_e64 v54, 0, v54, s[22:23]
	v_add_u32_e32 v52, v52, v54
	s_nop 1
	v_mov_b32_dpp v54, v52 row_shr:8 row_mask:0xf bank_mask:0xf
	v_cndmask_b32_e64 v53, 0, v54, s[24:25]
	v_add_u32_e32 v52, v52, v53
	v_bfe_i32 v54, v26, 4, 1
	s_nop 0
	v_mov_b32_dpp v53, v52 row_bcast:15 row_mask:0xf bank_mask:0xf
	v_and_b32_e32 v53, v54, v53
	v_add_u32_e32 v52, v52, v53
	v_and_b32_e32 v54, 63, v2
	s_nop 0
	v_mov_b32_dpp v53, v52 row_bcast:31 row_mask:0xf bank_mask:0xf
	v_cndmask_b32_e64 v53, 0, v53, s[28:29]
	v_add_u32_e32 v52, v52, v53
	v_lshrrev_b32_e32 v53, 6, v2
	v_cmp_eq_u32_e64 s[28:29], 63, v54
	s_and_saveexec_b64 s[30:31], s[28:29]
; %bb.34:
	v_lshlrev_b32_e32 v54, 2, v53
	ds_write_b32 v54, v52
; %bb.35:
	s_or_b64 exec, exec, s[30:31]
	v_cmp_gt_u32_e64 s[28:29], 16, v2
	s_waitcnt lgkmcnt(0)
	s_barrier
	s_and_saveexec_b64 s[30:31], s[28:29]
	s_cbranch_execz .LBB137_37
; %bb.36:
	v_lshlrev_b32_e32 v54, 2, v2
	ds_read_b32 v55, v54
	s_waitcnt lgkmcnt(0)
	s_nop 0
	v_mov_b32_dpp v56, v55 row_shr:1 row_mask:0xf bank_mask:0xf
	v_cndmask_b32_e64 v56, v56, 0, s[18:19]
	v_add_u32_e32 v55, v56, v55
	s_nop 1
	v_mov_b32_dpp v56, v55 row_shr:2 row_mask:0xf bank_mask:0xf
	v_cndmask_b32_e64 v56, 0, v56, s[20:21]
	v_add_u32_e32 v55, v55, v56
	;; [unrolled: 4-line block ×4, first 2 shown]
	ds_write_b32 v54, v55
.LBB137_37:
	s_or_b64 exec, exec, s[30:31]
	v_cmp_lt_u32_e64 s[18:19], 63, v2
	v_mov_b32_e32 v54, 0
	s_waitcnt lgkmcnt(0)
	s_barrier
	s_and_saveexec_b64 s[20:21], s[18:19]
; %bb.38:
	v_lshl_add_u32 v53, v53, 2, -4
	ds_read_b32 v54, v53
; %bb.39:
	s_or_b64 exec, exec, s[20:21]
	v_subrev_co_u32_e64 v53, s[18:19], 1, v26
	v_and_b32_e32 v55, 64, v26
	v_cmp_lt_i32_e64 s[20:21], v53, v55
	s_waitcnt lgkmcnt(0)
	v_add_u32_e32 v52, v54, v52
	s_movk_i32 s22, 0x100
	v_cndmask_b32_e64 v26, v53, v26, s[20:21]
	v_lshlrev_b32_e32 v26, 2, v26
	ds_bpermute_b32 v26, v26, v52
	v_cmp_gt_u32_e64 s[20:21], s22, v2
	s_waitcnt lgkmcnt(0)
	v_cndmask_b32_e64 v26, v26, v54, s[18:19]
	v_cmp_ne_u32_e64 s[18:19], 0, v2
	s_nop 1
	v_cndmask_b32_e64 v26, 0, v26, s[18:19]
	v_add_u32_e32 v24, v26, v24
	v_add_u32_e32 v25, v24, v25
	;; [unrolled: 1-line block ×4, first 2 shown]
	ds_write2_b32 v1, v26, v24 offset0:16 offset1:17
	ds_write2_b32 v1, v25, v22 offset0:18 offset1:19
	ds_write_b32 v1, v23 offset:80
	s_waitcnt lgkmcnt(0)
	s_barrier
	ds_read_b32 v55, v27 offset:64
	ds_read_b32 v1, v34 offset:64
	;; [unrolled: 1-line block ×8, first 2 shown]
	s_movk_i32 s18, 0xff
	v_cmp_lt_u32_e64 s[18:19], s18, v2
                                        ; implicit-def: $vgpr34
                                        ; implicit-def: $vgpr37
	s_and_saveexec_b64 s[24:25], s[20:21]
	s_cbranch_execz .LBB137_43
; %bb.40:
	v_mul_u32_u24_e32 v22, 0x44, v2
	ds_read_b32 v34, v22 offset:64
	v_add_u32_e32 v23, 1, v2
	v_cmp_ne_u32_e64 s[22:23], s22, v23
	v_mov_b32_e32 v22, 0x2000
	s_and_saveexec_b64 s[28:29], s[22:23]
; %bb.41:
	v_mul_u32_u24_e32 v22, 0x44, v23
	ds_read_b32 v22, v22 offset:64
; %bb.42:
	s_or_b64 exec, exec, s[28:29]
	s_waitcnt lgkmcnt(0)
	v_sub_u32_e32 v37, v22, v34
.LBB137_43:
	s_or_b64 exec, exec, s[24:25]
	v_mov_b32_e32 v23, 0
	v_lshlrev_b32_e32 v39, 2, v2
	s_waitcnt lgkmcnt(0)
	s_barrier
	s_and_saveexec_b64 s[22:23], s[20:21]
	s_cbranch_execz .LBB137_53
; %bb.44:
	v_lshl_add_u32 v22, s4, 8, v2
	v_lshl_add_u64 v[24:25], v[22:23], 2, s[52:53]
	v_or_b32_e32 v22, 2.0, v37
	s_mov_b64 s[24:25], 0
	s_brev_b32 s34, -4
	s_mov_b32 s35, s4
	v_mov_b32_e32 v50, 0
	global_store_dword v[24:25], v22, off sc1
                                        ; implicit-def: $sgpr20_sgpr21
	s_branch .LBB137_47
.LBB137_45:                             ;   in Loop: Header=BB137_47 Depth=1
	s_or_b64 exec, exec, s[30:31]
.LBB137_46:                             ;   in Loop: Header=BB137_47 Depth=1
	s_or_b64 exec, exec, s[28:29]
	v_and_b32_e32 v26, 0x3fffffff, v22
	v_add_u32_e32 v50, v26, v50
	v_cmp_gt_i32_e64 s[20:21], -2.0, v22
	s_and_b64 s[28:29], exec, s[20:21]
	s_or_b64 s[24:25], s[28:29], s[24:25]
	s_andn2_b64 exec, exec, s[24:25]
	s_cbranch_execz .LBB137_52
.LBB137_47:                             ; =>This Loop Header: Depth=1
                                        ;     Child Loop BB137_50 Depth 2
	s_or_b64 s[20:21], s[20:21], exec
	s_cmp_eq_u32 s35, 0
	s_cbranch_scc1 .LBB137_51
; %bb.48:                               ;   in Loop: Header=BB137_47 Depth=1
	s_add_i32 s35, s35, -1
	v_lshl_or_b32 v22, s35, 8, v2
	v_lshl_add_u64 v[26:27], v[22:23], 2, s[52:53]
	global_load_dword v22, v[26:27], off sc1
	s_waitcnt vmcnt(0)
	v_cmp_gt_u32_e64 s[20:21], 2.0, v22
	s_and_saveexec_b64 s[28:29], s[20:21]
	s_cbranch_execz .LBB137_46
; %bb.49:                               ;   in Loop: Header=BB137_47 Depth=1
	s_mov_b64 s[30:31], 0
.LBB137_50:                             ;   Parent Loop BB137_47 Depth=1
                                        ; =>  This Inner Loop Header: Depth=2
	global_load_dword v22, v[26:27], off sc1
	s_waitcnt vmcnt(0)
	v_cmp_lt_u32_e64 s[20:21], s34, v22
	s_or_b64 s[30:31], s[20:21], s[30:31]
	s_andn2_b64 exec, exec, s[30:31]
	s_cbranch_execnz .LBB137_50
	s_branch .LBB137_45
.LBB137_51:                             ;   in Loop: Header=BB137_47 Depth=1
                                        ; implicit-def: $sgpr35
	s_and_b64 s[28:29], exec, s[20:21]
	s_or_b64 s[24:25], s[28:29], s[24:25]
	s_andn2_b64 exec, exec, s[24:25]
	s_cbranch_execnz .LBB137_47
.LBB137_52:
	s_or_b64 exec, exec, s[24:25]
	v_add_u32_e32 v22, v50, v37
	v_or_b32_e32 v22, 0x80000000, v22
	global_store_dword v[24:25], v22, off sc1
	global_load_dword v22, v39, s[44:45]
	v_sub_u32_e32 v23, v50, v34
	s_waitcnt vmcnt(0)
	v_add_u32_e32 v22, v23, v22
	ds_write_b32 v39, v22
.LBB137_53:
	s_or_b64 exec, exec, s[22:23]
	s_load_dwordx2 s[20:21], s[0:1], 0x4
	v_add_u32_e32 v24, v55, v5
	v_add3_u32 v5, v32, v31, v1
	v_add3_u32 v22, v35, v33, v52
	;; [unrolled: 1-line block ×3, first 2 shown]
	s_waitcnt lgkmcnt(0)
	s_lshr_b32 s0, s20, 16
	s_mul_i32 s0, s0, s21
	v_mul_lo_u32 v25, s0, v2
	v_mul_u32_u24_e32 v27, s21, v3
	v_add3_u32 v25, v25, v27, v28
	v_mov_b32_e32 v27, 0x5050
	v_add3_u32 v50, v42, v40, v54
	v_add3_u32 v55, v45, v43, v47
	;; [unrolled: 1-line block ×4, first 2 shown]
	v_lshl_add_u32 v25, v25, 5, v27
	v_mov_b32_e32 v57, 0x400
	s_mov_b32 s22, -1
	s_movk_i32 s28, 0x400
	v_lshl_add_u32 v26, v26, 3, v57
	v_add3_u32 v27, v51, v41, v49
	v_lshl_add_u32 v41, v56, 3, v57
	v_add3_u32 v44, v48, v44, v46
	;; [unrolled: 2-line block ×7, first 2 shown]
	v_lshl_add_u32 v32, v24, 3, v57
	s_mov_b32 s29, 0
	s_movk_i32 s30, 0x800
	v_add_u32_e32 v47, v39, v39
	s_brev_b32 s23, -2
	v_mov_b32_e32 v23, 0
	v_bfrev_b32_e32 v1, 1
	v_mov_b32_e32 v5, v2
	v_mov_b32_e32 v48, v25
	s_mov_b32 s31, 0
	s_branch .LBB137_55
.LBB137_54:                             ;   in Loop: Header=BB137_55 Depth=1
	s_or_b64 exec, exec, s[24:25]
	s_addk_i32 s31, 0xc000
	s_addk_i32 s29, 0xf800
	v_add_u32_e32 v48, 8, v48
	s_cmp_eq_u32 s31, 0xffff0000
	v_add_u32_e32 v5, 0x800, v5
	s_waitcnt lgkmcnt(0)
	s_barrier
	s_cbranch_scc1 .LBB137_75
.LBB137_55:                             ; =>This Inner Loop Header: Depth=1
	v_add_u32_e32 v22, s29, v24
	v_cmp_gt_u32_e64 s[0:1], s30, v22
	s_and_saveexec_b64 s[20:21], s[0:1]
; %bb.56:                               ;   in Loop: Header=BB137_55 Depth=1
	v_add_u32_e32 v22, s31, v32
	ds_write_b64 v22, v[6:7]
; %bb.57:                               ;   in Loop: Header=BB137_55 Depth=1
	s_or_b64 exec, exec, s[20:21]
	v_add_u32_e32 v22, s29, v31
	v_cmp_gt_u32_e64 s[0:1], s30, v22
	s_and_saveexec_b64 s[20:21], s[0:1]
; %bb.58:                               ;   in Loop: Header=BB137_55 Depth=1
	v_add_u32_e32 v22, s31, v35
	ds_write_b64 v22, v[8:9]
; %bb.59:                               ;   in Loop: Header=BB137_55 Depth=1
	s_or_b64 exec, exec, s[20:21]
	;; [unrolled: 8-line block ×8, first 2 shown]
	v_cmp_gt_u32_e64 s[0:1], s5, v5
	s_waitcnt lgkmcnt(0)
	s_barrier
	s_and_saveexec_b64 s[24:25], s[0:1]
	s_cbranch_execz .LBB137_73
; %bb.72:                               ;   in Loop: Header=BB137_55 Depth=1
	ds_read_b64 v[50:51], v47 offset:1024
	s_waitcnt lgkmcnt(0)
	v_cmp_ne_u64_e64 s[0:1], s[22:23], v[50:51]
	s_nop 1
	v_cndmask_b32_e64 v53, v1, v51, s[0:1]
	v_cndmask_b32_e64 v52, 0, v50, s[0:1]
	v_lshrrev_b64 v[52:53], s48, v[52:53]
	v_and_b32_e32 v49, s54, v52
	v_lshlrev_b32_e32 v52, 2, v49
	ds_read_b32 v52, v52
	v_cmp_lt_i64_e64 s[20:21], -1, v[50:51]
	v_ashrrev_i32_e32 v53, 31, v51
	v_not_b32_e32 v53, v53
	v_cndmask_b32_e64 v22, v1, -1, s[20:21]
	v_xor_b32_e32 v51, v22, v51
	s_waitcnt lgkmcnt(0)
	v_add_u32_e32 v22, v5, v52
	v_xor_b32_e32 v50, v53, v50
	v_lshl_add_u64 v[52:53], v[22:23], 3, s[38:39]
	global_store_dwordx2 v[52:53], v[50:51], off
	ds_write_b32 v48, v49
.LBB137_73:                             ;   in Loop: Header=BB137_55 Depth=1
	s_or_b64 exec, exec, s[24:25]
	v_add_u32_e32 v22, 0x400, v5
	v_cmp_gt_u32_e64 s[0:1], s5, v22
	s_and_saveexec_b64 s[24:25], s[0:1]
	s_cbranch_execz .LBB137_54
; %bb.74:                               ;   in Loop: Header=BB137_55 Depth=1
	ds_read_b64 v[50:51], v47 offset:9216
	s_waitcnt lgkmcnt(0)
	v_cmp_ne_u64_e64 s[0:1], s[22:23], v[50:51]
	s_nop 1
	v_cndmask_b32_e64 v53, v1, v51, s[0:1]
	v_cndmask_b32_e64 v52, 0, v50, s[0:1]
	v_lshrrev_b64 v[52:53], s48, v[52:53]
	v_and_b32_e32 v49, s54, v52
	v_lshlrev_b32_e32 v52, 2, v49
	ds_read_b32 v52, v52
	v_cmp_lt_i64_e64 s[20:21], -1, v[50:51]
	v_ashrrev_i32_e32 v53, 31, v51
	v_not_b32_e32 v53, v53
	v_cndmask_b32_e64 v22, v1, -1, s[20:21]
	v_xor_b32_e32 v51, v22, v51
	s_waitcnt lgkmcnt(0)
	v_add3_u32 v22, v5, v52, s28
	v_xor_b32_e32 v50, v53, v50
	v_lshl_add_u64 v[52:53], v[22:23], 3, s[38:39]
	global_store_dwordx2 v[52:53], v[50:51], off
	ds_write_b32 v48, v49 offset:4
	s_branch .LBB137_54
.LBB137_75:
	s_add_u32 s0, s40, s50
	s_addc_u32 s1, s41, s51
	v_mov_b32_e32 v1, 0
	v_lshl_add_u64 v[6:7], s[0:1], 0, v[0:1]
	v_mov_b32_e32 v5, v1
	v_lshl_add_u64 v[18:19], v[6:7], 0, v[4:5]
                                        ; implicit-def: $vgpr0_vgpr1
	s_and_saveexec_b64 s[0:1], vcc
	s_cbranch_execz .LBB137_83
; %bb.76:
	global_load_dwordx2 v[0:1], v[18:19], off
	s_or_b64 exec, exec, s[0:1]
                                        ; implicit-def: $vgpr4_vgpr5
	s_and_saveexec_b64 s[0:1], s[16:17]
	s_cbranch_execnz .LBB137_84
.LBB137_77:
	s_or_b64 exec, exec, s[0:1]
                                        ; implicit-def: $vgpr6_vgpr7
	s_and_saveexec_b64 s[0:1], s[26:27]
	s_cbranch_execz .LBB137_85
.LBB137_78:
	global_load_dwordx2 v[6:7], v[18:19], off offset:1024
	s_or_b64 exec, exec, s[0:1]
                                        ; implicit-def: $vgpr8_vgpr9
	s_and_saveexec_b64 s[0:1], s[6:7]
	s_cbranch_execnz .LBB137_86
.LBB137_79:
	s_or_b64 exec, exec, s[0:1]
                                        ; implicit-def: $vgpr10_vgpr11
	s_and_saveexec_b64 s[0:1], s[8:9]
	s_cbranch_execz .LBB137_87
.LBB137_80:
	global_load_dwordx2 v[10:11], v[18:19], off offset:2048
	s_or_b64 exec, exec, s[0:1]
                                        ; implicit-def: $vgpr12_vgpr13
	s_and_saveexec_b64 s[0:1], s[10:11]
	s_cbranch_execnz .LBB137_88
.LBB137_81:
	s_or_b64 exec, exec, s[0:1]
                                        ; implicit-def: $vgpr14_vgpr15
	s_and_saveexec_b64 s[0:1], s[12:13]
	s_cbranch_execz .LBB137_89
.LBB137_82:
	global_load_dwordx2 v[14:15], v[18:19], off offset:3072
	s_or_b64 exec, exec, s[0:1]
                                        ; implicit-def: $vgpr16_vgpr17
	s_and_saveexec_b64 s[0:1], s[14:15]
	s_cbranch_execnz .LBB137_90
	s_branch .LBB137_91
.LBB137_83:
	s_or_b64 exec, exec, s[0:1]
                                        ; implicit-def: $vgpr4_vgpr5
	s_and_saveexec_b64 s[0:1], s[16:17]
	s_cbranch_execz .LBB137_77
.LBB137_84:
	global_load_dwordx2 v[4:5], v[18:19], off offset:512
	s_or_b64 exec, exec, s[0:1]
                                        ; implicit-def: $vgpr6_vgpr7
	s_and_saveexec_b64 s[0:1], s[26:27]
	s_cbranch_execnz .LBB137_78
.LBB137_85:
	s_or_b64 exec, exec, s[0:1]
                                        ; implicit-def: $vgpr8_vgpr9
	s_and_saveexec_b64 s[0:1], s[6:7]
	s_cbranch_execz .LBB137_79
.LBB137_86:
	global_load_dwordx2 v[8:9], v[18:19], off offset:1536
	s_or_b64 exec, exec, s[0:1]
                                        ; implicit-def: $vgpr10_vgpr11
	s_and_saveexec_b64 s[0:1], s[8:9]
	s_cbranch_execnz .LBB137_80
.LBB137_87:
	s_or_b64 exec, exec, s[0:1]
                                        ; implicit-def: $vgpr12_vgpr13
	s_and_saveexec_b64 s[0:1], s[10:11]
	s_cbranch_execz .LBB137_81
.LBB137_88:
	global_load_dwordx2 v[12:13], v[18:19], off offset:2560
	s_or_b64 exec, exec, s[0:1]
                                        ; implicit-def: $vgpr14_vgpr15
	s_and_saveexec_b64 s[0:1], s[12:13]
	s_cbranch_execnz .LBB137_82
.LBB137_89:
	s_or_b64 exec, exec, s[0:1]
                                        ; implicit-def: $vgpr16_vgpr17
	s_and_saveexec_b64 s[0:1], s[14:15]
	s_cbranch_execz .LBB137_91
.LBB137_90:
	global_load_dwordx2 v[16:17], v[18:19], off offset:3584
.LBB137_91:
	s_or_b64 exec, exec, s[0:1]
	s_mov_b32 s6, 0
	s_movk_i32 s7, 0x800
	v_mov_b32_e32 v19, 0
	s_movk_i32 s8, 0x400
	s_mov_b32 s9, 0
	v_mov_b32_e32 v20, v2
	s_waitcnt vmcnt(0)
	s_branch .LBB137_93
.LBB137_92:                             ;   in Loop: Header=BB137_93 Depth=1
	s_or_b64 exec, exec, s[0:1]
	s_addk_i32 s9, 0xc000
	s_addk_i32 s6, 0xf800
	v_add_u32_e32 v20, 0x800, v20
	s_cmp_eq_u32 s9, 0xffff0000
	v_add_u32_e32 v25, 8, v25
	s_barrier
	s_cbranch_scc1 .LBB137_113
.LBB137_93:                             ; =>This Inner Loop Header: Depth=1
	v_add_u32_e32 v18, s6, v24
	v_cmp_gt_u32_e32 vcc, s7, v18
	s_and_saveexec_b64 s[0:1], vcc
; %bb.94:                               ;   in Loop: Header=BB137_93 Depth=1
	v_add_u32_e32 v18, s9, v32
	ds_write_b64 v18, v[0:1]
; %bb.95:                               ;   in Loop: Header=BB137_93 Depth=1
	s_or_b64 exec, exec, s[0:1]
	v_add_u32_e32 v18, s6, v31
	v_cmp_gt_u32_e32 vcc, s7, v18
	s_and_saveexec_b64 s[0:1], vcc
; %bb.96:                               ;   in Loop: Header=BB137_93 Depth=1
	v_add_u32_e32 v18, s9, v35
	ds_write_b64 v18, v[4:5]
; %bb.97:                               ;   in Loop: Header=BB137_93 Depth=1
	s_or_b64 exec, exec, s[0:1]
	;; [unrolled: 8-line block ×3, first 2 shown]
	v_add_u32_e32 v18, s6, v36
	v_cmp_gt_u32_e32 vcc, s7, v18
	s_and_saveexec_b64 s[0:1], vcc
; %bb.100:                              ;   in Loop: Header=BB137_93 Depth=1
	v_add_u32_e32 v18, s9, v42
	ds_write_b64 v18, v[8:9]
; %bb.101:                              ;   in Loop: Header=BB137_93 Depth=1
	s_or_b64 exec, exec, s[0:1]
	v_add_u32_e32 v18, s6, v40
	v_cmp_gt_u32_e32 vcc, s7, v18
	s_and_saveexec_b64 s[0:1], vcc
; %bb.102:                              ;   in Loop: Header=BB137_93 Depth=1
	v_add_u32_e32 v18, s9, v45
	ds_write_b64 v18, v[10:11]
; %bb.103:                              ;   in Loop: Header=BB137_93 Depth=1
	s_or_b64 exec, exec, s[0:1]
	;; [unrolled: 8-line block ×5, first 2 shown]
	v_cmp_gt_u32_e32 vcc, s5, v20
	s_waitcnt lgkmcnt(0)
	s_barrier
	s_and_saveexec_b64 s[0:1], vcc
	s_cbranch_execz .LBB137_111
; %bb.110:                              ;   in Loop: Header=BB137_93 Depth=1
	ds_read_b32 v18, v25
	s_waitcnt lgkmcnt(0)
	v_lshlrev_b32_e32 v18, 2, v18
	ds_read_b32 v18, v18
	ds_read_b64 v[22:23], v47 offset:1024
	s_waitcnt lgkmcnt(1)
	v_add_u32_e32 v18, v20, v18
	v_lshl_add_u64 v[48:49], v[18:19], 3, s[42:43]
	s_waitcnt lgkmcnt(0)
	global_store_dwordx2 v[48:49], v[22:23], off
.LBB137_111:                            ;   in Loop: Header=BB137_93 Depth=1
	s_or_b64 exec, exec, s[0:1]
	v_add_u32_e32 v18, 0x400, v20
	v_cmp_gt_u32_e32 vcc, s5, v18
	s_and_saveexec_b64 s[0:1], vcc
	s_cbranch_execz .LBB137_92
; %bb.112:                              ;   in Loop: Header=BB137_93 Depth=1
	ds_read_b32 v18, v25 offset:4
	s_waitcnt lgkmcnt(0)
	v_lshlrev_b32_e32 v18, 2, v18
	ds_read_b32 v18, v18
	ds_read_b64 v[22:23], v47 offset:9216
	s_waitcnt lgkmcnt(1)
	v_add3_u32 v18, v20, v18, s8
	v_lshl_add_u64 v[48:49], v[18:19], 3, s[42:43]
	s_waitcnt lgkmcnt(0)
	global_store_dwordx2 v[48:49], v[22:23], off
	s_branch .LBB137_92
.LBB137_113:
	s_add_i32 s33, s33, -1
	s_cmp_eq_u32 s4, s33
	s_cselect_b64 s[0:1], -1, 0
	s_xor_b64 s[6:7], s[18:19], -1
	s_and_b64 s[6:7], s[6:7], s[0:1]
	s_and_saveexec_b64 s[0:1], s[6:7]
	s_cbranch_execz .LBB137_115
; %bb.114:
	ds_read_b32 v0, v39
	s_waitcnt lgkmcnt(0)
	v_add3_u32 v0, v34, v37, v0
	global_store_dword v39, v0, s[46:47]
.LBB137_115:
	s_or_b64 exec, exec, s[0:1]
	s_mov_b64 s[6:7], 0
.LBB137_116:
	s_and_b64 vcc, exec, s[6:7]
	s_cbranch_vccz .LBB137_191
; %bb.117:
	s_lshl_b32 s0, s4, 13
	s_mov_b32 s1, 0
	s_lshl_b64 s[10:11], s[0:1], 3
	v_mbcnt_hi_u32_b32 v26, -1, v30
	s_add_u32 s0, s36, s10
	v_and_b32_e32 v0, 63, v26
	v_mov_b32_e32 v11, 0
	s_addc_u32 s1, s37, s11
	v_lshlrev_b32_e32 v0, 3, v0
	v_mov_b32_e32 v1, v11
	v_lshl_add_u64 v[6:7], s[0:1], 0, v[0:1]
	s_load_dword s5, s[2:3], 0x58
	s_load_dword s0, s[2:3], 0x64
	v_and_b32_e32 v4, 0x1e00, v29
	v_lshlrev_b32_e32 v4, 3, v4
	v_mov_b32_e32 v5, v11
	v_lshl_add_u64 v[6:7], v[6:7], 0, v[4:5]
	global_load_dwordx2 v[24:25], v[6:7], off
	s_add_u32 s1, s2, 0x58
	s_addc_u32 s2, s3, 0
	s_waitcnt lgkmcnt(0)
	s_lshr_b32 s3, s0, 16
	s_cmp_lt_u32 s4, s5
	s_cselect_b32 s0, 12, 18
	s_add_u32 s0, s1, s0
	s_addc_u32 s1, s2, 0
	global_load_ushort v10, v11, s[0:1]
	v_mul_u32_u24_e32 v1, 20, v2
	ds_write2_b32 v1, v11, v11 offset0:16 offset1:17
	ds_write2_b32 v1, v11, v11 offset0:18 offset1:19
	ds_write_b32 v1, v11 offset:80
	global_load_dwordx2 v[8:9], v[6:7], off offset:512
	global_load_dwordx2 v[22:23], v[6:7], off offset:1024
	global_load_dwordx2 v[12:13], v[6:7], off offset:1536
	global_load_dwordx2 v[14:15], v[6:7], off offset:2048
	global_load_dwordx2 v[18:19], v[6:7], off offset:2560
	global_load_dwordx2 v[20:21], v[6:7], off offset:3072
	global_load_dwordx2 v[16:17], v[6:7], off offset:3584
	v_bfrev_b32_e32 v5, 1
	s_mov_b32 s12, -1
	s_brev_b32 s13, -2
	v_mad_u32_u24 v3, v28, s3, v3
	s_lshl_b32 s2, -1, s49
	s_movk_i32 s15, 0x44
	v_mov_b32_e32 v30, v11
	v_mov_b32_e32 v34, v11
	s_not_b32 s14, s2
	v_mov_b32_e32 v36, v11
	v_mov_b32_e32 v38, v11
	s_waitcnt lgkmcnt(0)
	s_barrier
	s_waitcnt vmcnt(8)
	; wave barrier
	v_cmp_lt_i64_e32 vcc, -1, v[24:25]
	s_nop 1
	v_cndmask_b32_e32 v6, -1, v5, vcc
	v_ashrrev_i32_e32 v27, 31, v25
	v_xor_b32_e32 v7, v6, v25
	v_xor_b32_e32 v6, v27, v24
	v_cmp_ne_u64_e32 vcc, s[12:13], v[6:7]
	s_waitcnt vmcnt(7)
	v_mad_u64_u32 v[28:29], s[0:1], v3, v10, v[2:3]
	v_cndmask_b32_e32 v25, v5, v7, vcc
	v_cndmask_b32_e32 v24, 0, v6, vcc
	v_lshrrev_b64 v[24:25], s48, v[24:25]
	v_bitop3_b32 v3, v24, s2, v24 bitop3:0x30
	v_lshrrev_b32_e32 v33, 6, v28
	v_mul_lo_u32 v24, v3, s15
	v_and_b32_e32 v10, 1, v3
	v_lshlrev_b32_e32 v31, 30, v3
	v_lshlrev_b32_e32 v35, 29, v3
	v_lshl_add_u32 v27, v33, 2, v24
	v_lshl_add_u64 v[24:25], v[10:11], 0, -1
	v_cmp_ne_u32_e32 vcc, 0, v10
	v_not_b32_e32 v10, v31
	v_cmp_gt_i64_e64 s[0:1], 0, v[30:31]
	v_not_b32_e32 v28, v35
	v_xor_b32_e32 v25, vcc_hi, v25
	v_ashrrev_i32_e32 v10, 31, v10
	v_lshlrev_b32_e32 v37, 28, v3
	v_cmp_gt_i64_e64 s[2:3], 0, v[34:35]
	v_xor_b32_e32 v24, vcc_lo, v24
	v_ashrrev_i32_e32 v28, 31, v28
	v_and_b32_e32 v25, exec_hi, v25
	v_xor_b32_e32 v30, s1, v10
	v_lshlrev_b32_e32 v39, 27, v3
	v_not_b32_e32 v29, v37
	v_and_b32_e32 v24, exec_lo, v24
	v_xor_b32_e32 v10, s0, v10
	v_xor_b32_e32 v31, s3, v28
	v_and_b32_e32 v25, v25, v30
	v_cmp_gt_i64_e64 s[6:7], 0, v[36:37]
	v_ashrrev_i32_e32 v29, 31, v29
	v_xor_b32_e32 v28, s2, v28
	v_and_b32_e32 v10, v24, v10
	v_and_b32_e32 v24, v25, v31
	v_not_b32_e32 v25, v39
	v_cmp_gt_i64_e64 s[8:9], 0, v[38:39]
	v_xor_b32_e32 v32, s7, v29
	v_xor_b32_e32 v29, s6, v29
	v_and_b32_e32 v10, v10, v28
	v_ashrrev_i32_e32 v25, 31, v25
	v_and_b32_e32 v24, v24, v32
	v_and_b32_e32 v10, v10, v29
	v_xor_b32_e32 v28, s9, v25
	v_xor_b32_e32 v25, s8, v25
	v_and_b32_e32 v28, v24, v28
	v_and_b32_e32 v10, v10, v25
	v_lshlrev_b32_e32 v25, 26, v3
	v_mov_b32_e32 v24, v11
	v_cmp_gt_i64_e32 vcc, 0, v[24:25]
	v_not_b32_e32 v24, v25
	v_ashrrev_i32_e32 v24, 31, v24
	v_xor_b32_e32 v25, vcc_hi, v24
	v_xor_b32_e32 v24, vcc_lo, v24
	v_and_b32_e32 v28, v28, v25
	v_and_b32_e32 v10, v10, v24
	v_lshlrev_b32_e32 v25, 25, v3
	v_mov_b32_e32 v24, v11
	v_cmp_gt_i64_e32 vcc, 0, v[24:25]
	v_not_b32_e32 v24, v25
	v_ashrrev_i32_e32 v24, 31, v24
	v_xor_b32_e32 v25, vcc_hi, v24
	v_xor_b32_e32 v24, vcc_lo, v24
	v_and_b32_e32 v28, v28, v25
	v_lshlrev_b32_e32 v25, 24, v3
	v_and_b32_e32 v10, v10, v24
	v_mov_b32_e32 v24, v11
	v_not_b32_e32 v3, v25
	v_cmp_gt_i64_e32 vcc, 0, v[24:25]
	v_ashrrev_i32_e32 v3, 31, v3
	s_nop 0
	v_xor_b32_e32 v24, vcc_hi, v3
	v_xor_b32_e32 v3, vcc_lo, v3
	v_and_b32_e32 v25, v28, v24
	v_and_b32_e32 v24, v10, v3
	v_mbcnt_lo_u32_b32 v3, v24, 0
	v_mbcnt_hi_u32_b32 v3, v25, v3
	v_cmp_eq_u32_e32 vcc, 0, v3
	v_cmp_ne_u64_e64 s[0:1], 0, v[24:25]
	s_and_b64 s[2:3], s[0:1], vcc
	s_and_saveexec_b64 s[0:1], s[2:3]
; %bb.118:
	v_bcnt_u32_b32 v10, v24, 0
	v_bcnt_u32_b32 v10, v25, v10
	ds_write_b32 v27, v10 offset:64
; %bb.119:
	s_or_b64 exec, exec, s[0:1]
	s_waitcnt vmcnt(6)
	v_cmp_lt_i64_e32 vcc, -1, v[8:9]
	v_ashrrev_i32_e32 v24, 31, v9
	v_xor_b32_e32 v8, v24, v8
	v_cndmask_b32_e32 v10, -1, v5, vcc
	v_xor_b32_e32 v9, v10, v9
	v_cmp_ne_u64_e32 vcc, s[12:13], v[8:9]
	; wave barrier
	s_nop 1
	v_cndmask_b32_e32 v25, v5, v9, vcc
	v_cndmask_b32_e32 v24, 0, v8, vcc
	v_lshrrev_b64 v[24:25], s48, v[24:25]
	v_and_b32_e32 v28, s14, v24
	v_and_b32_e32 v10, 1, v28
	v_lshl_add_u64 v[24:25], v[10:11], 0, -1
	v_cmp_ne_u32_e32 vcc, 0, v10
	v_mul_lo_u32 v5, v28, s15
	v_lshl_add_u32 v30, v33, 2, v5
	v_xor_b32_e32 v24, vcc_lo, v24
	v_xor_b32_e32 v10, vcc_hi, v25
	v_and_b32_e32 v29, exec_lo, v24
	v_lshlrev_b32_e32 v25, 30, v28
	v_mov_b32_e32 v24, v11
	v_cmp_gt_i64_e32 vcc, 0, v[24:25]
	v_not_b32_e32 v24, v25
	v_ashrrev_i32_e32 v24, 31, v24
	v_and_b32_e32 v10, exec_hi, v10
	v_xor_b32_e32 v25, vcc_hi, v24
	v_xor_b32_e32 v24, vcc_lo, v24
	v_and_b32_e32 v10, v10, v25
	v_and_b32_e32 v29, v29, v24
	v_lshlrev_b32_e32 v25, 29, v28
	v_mov_b32_e32 v24, v11
	v_cmp_gt_i64_e32 vcc, 0, v[24:25]
	v_not_b32_e32 v24, v25
	v_ashrrev_i32_e32 v24, 31, v24
	v_xor_b32_e32 v25, vcc_hi, v24
	v_xor_b32_e32 v24, vcc_lo, v24
	v_and_b32_e32 v10, v10, v25
	v_and_b32_e32 v29, v29, v24
	v_lshlrev_b32_e32 v25, 28, v28
	v_mov_b32_e32 v24, v11
	v_cmp_gt_i64_e32 vcc, 0, v[24:25]
	v_not_b32_e32 v24, v25
	v_ashrrev_i32_e32 v24, 31, v24
	;; [unrolled: 9-line block ×5, first 2 shown]
	v_xor_b32_e32 v25, vcc_hi, v24
	v_xor_b32_e32 v24, vcc_lo, v24
	v_and_b32_e32 v10, v10, v25
	v_lshlrev_b32_e32 v25, 24, v28
	v_and_b32_e32 v29, v29, v24
	v_mov_b32_e32 v24, v11
	v_not_b32_e32 v11, v25
	v_cmp_gt_i64_e32 vcc, 0, v[24:25]
	v_ashrrev_i32_e32 v11, 31, v11
	ds_read_b32 v5, v30 offset:64
	v_xor_b32_e32 v24, vcc_hi, v11
	v_xor_b32_e32 v25, vcc_lo, v11
	v_and_b32_e32 v11, v10, v24
	v_and_b32_e32 v10, v29, v25
	v_mbcnt_lo_u32_b32 v24, v10, 0
	v_mbcnt_hi_u32_b32 v28, v11, v24
	v_cmp_eq_u32_e32 vcc, 0, v28
	v_cmp_ne_u64_e64 s[0:1], 0, v[10:11]
	s_and_b64 s[2:3], s[0:1], vcc
	; wave barrier
	s_and_saveexec_b64 s[0:1], s[2:3]
	s_cbranch_execz .LBB137_121
; %bb.120:
	v_bcnt_u32_b32 v10, v10, 0
	v_bcnt_u32_b32 v10, v11, v10
	s_waitcnt lgkmcnt(0)
	v_add_u32_e32 v10, v5, v10
	ds_write_b32 v30, v10 offset:64
.LBB137_121:
	s_or_b64 exec, exec, s[0:1]
	v_bfrev_b32_e32 v32, 1
	s_waitcnt vmcnt(5)
	v_cmp_lt_i64_e32 vcc, -1, v[22:23]
	s_mov_b32 s2, -1
	v_ashrrev_i32_e32 v24, 31, v23
	v_cndmask_b32_e32 v10, -1, v32, vcc
	s_brev_b32 s3, -2
	v_xor_b32_e32 v11, v10, v23
	v_xor_b32_e32 v10, v24, v22
	v_cmp_ne_u64_e32 vcc, s[2:3], v[10:11]
	s_movk_i32 s6, 0x44
	s_nop 0
	v_cndmask_b32_e32 v23, v32, v11, vcc
	v_cndmask_b32_e32 v22, 0, v10, vcc
	v_lshrrev_b64 v[22:23], s48, v[22:23]
	v_and_b32_e32 v31, s14, v22
	v_mul_lo_u32 v22, v31, s6
	v_lshl_add_u32 v34, v33, 2, v22
	v_and_b32_e32 v22, 1, v31
	v_mov_b32_e32 v23, 0
	v_lshl_add_u64 v[24:25], v[22:23], 0, -1
	v_cmp_ne_u32_e32 vcc, 0, v22
	; wave barrier
	ds_read_b32 v29, v34 offset:64
	s_nop 0
	v_xor_b32_e32 v24, vcc_lo, v24
	v_xor_b32_e32 v22, vcc_hi, v25
	v_and_b32_e32 v35, exec_lo, v24
	v_lshlrev_b32_e32 v25, 30, v31
	v_mov_b32_e32 v24, v23
	v_cmp_gt_i64_e32 vcc, 0, v[24:25]
	v_not_b32_e32 v24, v25
	v_ashrrev_i32_e32 v24, 31, v24
	v_and_b32_e32 v22, exec_hi, v22
	v_xor_b32_e32 v25, vcc_hi, v24
	v_xor_b32_e32 v24, vcc_lo, v24
	v_and_b32_e32 v22, v22, v25
	v_and_b32_e32 v35, v35, v24
	v_lshlrev_b32_e32 v25, 29, v31
	v_mov_b32_e32 v24, v23
	v_cmp_gt_i64_e32 vcc, 0, v[24:25]
	v_not_b32_e32 v24, v25
	v_ashrrev_i32_e32 v24, 31, v24
	v_xor_b32_e32 v25, vcc_hi, v24
	v_xor_b32_e32 v24, vcc_lo, v24
	v_and_b32_e32 v22, v22, v25
	v_and_b32_e32 v35, v35, v24
	v_lshlrev_b32_e32 v25, 28, v31
	v_mov_b32_e32 v24, v23
	v_cmp_gt_i64_e32 vcc, 0, v[24:25]
	v_not_b32_e32 v24, v25
	v_ashrrev_i32_e32 v24, 31, v24
	;; [unrolled: 9-line block ×6, first 2 shown]
	v_xor_b32_e32 v25, vcc_hi, v24
	v_xor_b32_e32 v24, vcc_lo, v24
	v_and_b32_e32 v24, v35, v24
	v_and_b32_e32 v25, v22, v25
	v_mbcnt_lo_u32_b32 v22, v24, 0
	v_mbcnt_hi_u32_b32 v31, v25, v22
	v_cmp_eq_u32_e32 vcc, 0, v31
	v_cmp_ne_u64_e64 s[0:1], 0, v[24:25]
	s_and_b64 s[8:9], s[0:1], vcc
	; wave barrier
	s_and_saveexec_b64 s[0:1], s[8:9]
	s_cbranch_execz .LBB137_123
; %bb.122:
	v_bcnt_u32_b32 v22, v24, 0
	v_bcnt_u32_b32 v22, v25, v22
	s_waitcnt lgkmcnt(0)
	v_add_u32_e32 v22, v29, v22
	ds_write_b32 v34, v22 offset:64
.LBB137_123:
	s_or_b64 exec, exec, s[0:1]
	s_waitcnt vmcnt(4)
	v_cmp_lt_i64_e32 vcc, -1, v[12:13]
	v_ashrrev_i32_e32 v24, 31, v13
	v_xor_b32_e32 v12, v24, v12
	v_cndmask_b32_e32 v22, -1, v32, vcc
	v_xor_b32_e32 v13, v22, v13
	v_cmp_ne_u64_e32 vcc, s[2:3], v[12:13]
	; wave barrier
	s_nop 1
	v_cndmask_b32_e32 v25, v32, v13, vcc
	v_cndmask_b32_e32 v24, 0, v12, vcc
	v_lshrrev_b64 v[24:25], s48, v[24:25]
	v_and_b32_e32 v35, s14, v24
	v_mul_lo_u32 v22, v35, s6
	v_lshl_add_u32 v37, v33, 2, v22
	v_and_b32_e32 v22, 1, v35
	v_lshl_add_u64 v[24:25], v[22:23], 0, -1
	v_cmp_ne_u32_e32 vcc, 0, v22
	ds_read_b32 v32, v37 offset:64
	s_nop 0
	v_xor_b32_e32 v24, vcc_lo, v24
	v_xor_b32_e32 v22, vcc_hi, v25
	v_and_b32_e32 v36, exec_lo, v24
	v_lshlrev_b32_e32 v25, 30, v35
	v_mov_b32_e32 v24, v23
	v_cmp_gt_i64_e32 vcc, 0, v[24:25]
	v_not_b32_e32 v24, v25
	v_ashrrev_i32_e32 v24, 31, v24
	v_and_b32_e32 v22, exec_hi, v22
	v_xor_b32_e32 v25, vcc_hi, v24
	v_xor_b32_e32 v24, vcc_lo, v24
	v_and_b32_e32 v22, v22, v25
	v_and_b32_e32 v36, v36, v24
	v_lshlrev_b32_e32 v25, 29, v35
	v_mov_b32_e32 v24, v23
	v_cmp_gt_i64_e32 vcc, 0, v[24:25]
	v_not_b32_e32 v24, v25
	v_ashrrev_i32_e32 v24, 31, v24
	v_xor_b32_e32 v25, vcc_hi, v24
	v_xor_b32_e32 v24, vcc_lo, v24
	v_and_b32_e32 v22, v22, v25
	v_and_b32_e32 v36, v36, v24
	v_lshlrev_b32_e32 v25, 28, v35
	v_mov_b32_e32 v24, v23
	v_cmp_gt_i64_e32 vcc, 0, v[24:25]
	v_not_b32_e32 v24, v25
	v_ashrrev_i32_e32 v24, 31, v24
	;; [unrolled: 9-line block ×5, first 2 shown]
	v_xor_b32_e32 v25, vcc_hi, v24
	v_xor_b32_e32 v24, vcc_lo, v24
	v_and_b32_e32 v22, v22, v25
	v_lshlrev_b32_e32 v25, 24, v35
	v_and_b32_e32 v36, v36, v24
	v_mov_b32_e32 v24, v23
	v_not_b32_e32 v23, v25
	v_cmp_gt_i64_e32 vcc, 0, v[24:25]
	v_ashrrev_i32_e32 v23, 31, v23
	; wave barrier
	s_nop 0
	v_xor_b32_e32 v24, vcc_hi, v23
	v_xor_b32_e32 v25, vcc_lo, v23
	v_and_b32_e32 v23, v22, v24
	v_and_b32_e32 v22, v36, v25
	v_mbcnt_lo_u32_b32 v24, v22, 0
	v_mbcnt_hi_u32_b32 v35, v23, v24
	v_cmp_eq_u32_e32 vcc, 0, v35
	v_cmp_ne_u64_e64 s[0:1], 0, v[22:23]
	s_and_b64 s[2:3], s[0:1], vcc
	s_and_saveexec_b64 s[0:1], s[2:3]
	s_cbranch_execz .LBB137_125
; %bb.124:
	v_bcnt_u32_b32 v22, v22, 0
	v_bcnt_u32_b32 v22, v23, v22
	s_waitcnt lgkmcnt(0)
	v_add_u32_e32 v22, v32, v22
	ds_write_b32 v37, v22 offset:64
.LBB137_125:
	s_or_b64 exec, exec, s[0:1]
	v_bfrev_b32_e32 v39, 1
	s_waitcnt vmcnt(3)
	v_cmp_lt_i64_e32 vcc, -1, v[14:15]
	s_mov_b32 s2, -1
	v_ashrrev_i32_e32 v23, 31, v15
	v_cndmask_b32_e32 v22, -1, v39, vcc
	s_brev_b32 s3, -2
	v_xor_b32_e32 v15, v22, v15
	v_xor_b32_e32 v14, v23, v14
	v_cmp_ne_u64_e32 vcc, s[2:3], v[14:15]
	; wave barrier
	s_nop 1
	v_cndmask_b32_e32 v23, v39, v15, vcc
	v_cndmask_b32_e32 v22, 0, v14, vcc
	v_lshrrev_b64 v[22:23], s48, v[22:23]
	v_and_b32_e32 v38, s14, v22
	v_mul_lo_u32 v22, v38, s6
	v_lshl_add_u32 v40, v33, 2, v22
	v_and_b32_e32 v22, 1, v38
	v_mov_b32_e32 v23, 0
	v_lshl_add_u64 v[24:25], v[22:23], 0, -1
	v_cmp_ne_u32_e32 vcc, 0, v22
	ds_read_b32 v36, v40 offset:64
	s_nop 0
	v_xor_b32_e32 v24, vcc_lo, v24
	v_xor_b32_e32 v22, vcc_hi, v25
	v_and_b32_e32 v41, exec_lo, v24
	v_lshlrev_b32_e32 v25, 30, v38
	v_mov_b32_e32 v24, v23
	v_cmp_gt_i64_e32 vcc, 0, v[24:25]
	v_not_b32_e32 v24, v25
	v_ashrrev_i32_e32 v24, 31, v24
	v_and_b32_e32 v22, exec_hi, v22
	v_xor_b32_e32 v25, vcc_hi, v24
	v_xor_b32_e32 v24, vcc_lo, v24
	v_and_b32_e32 v22, v22, v25
	v_and_b32_e32 v41, v41, v24
	v_lshlrev_b32_e32 v25, 29, v38
	v_mov_b32_e32 v24, v23
	v_cmp_gt_i64_e32 vcc, 0, v[24:25]
	v_not_b32_e32 v24, v25
	v_ashrrev_i32_e32 v24, 31, v24
	v_xor_b32_e32 v25, vcc_hi, v24
	v_xor_b32_e32 v24, vcc_lo, v24
	v_and_b32_e32 v22, v22, v25
	v_and_b32_e32 v41, v41, v24
	v_lshlrev_b32_e32 v25, 28, v38
	v_mov_b32_e32 v24, v23
	v_cmp_gt_i64_e32 vcc, 0, v[24:25]
	v_not_b32_e32 v24, v25
	v_ashrrev_i32_e32 v24, 31, v24
	;; [unrolled: 9-line block ×6, first 2 shown]
	v_xor_b32_e32 v25, vcc_hi, v24
	v_xor_b32_e32 v24, vcc_lo, v24
	v_and_b32_e32 v24, v41, v24
	v_and_b32_e32 v25, v22, v25
	v_mbcnt_lo_u32_b32 v22, v24, 0
	v_mbcnt_hi_u32_b32 v38, v25, v22
	v_cmp_eq_u32_e32 vcc, 0, v38
	v_cmp_ne_u64_e64 s[0:1], 0, v[24:25]
	s_and_b64 s[8:9], s[0:1], vcc
	; wave barrier
	s_and_saveexec_b64 s[0:1], s[8:9]
	s_cbranch_execz .LBB137_127
; %bb.126:
	v_bcnt_u32_b32 v22, v24, 0
	v_bcnt_u32_b32 v22, v25, v22
	s_waitcnt lgkmcnt(0)
	v_add_u32_e32 v22, v36, v22
	ds_write_b32 v40, v22 offset:64
.LBB137_127:
	s_or_b64 exec, exec, s[0:1]
	s_waitcnt vmcnt(2)
	v_cmp_lt_i64_e32 vcc, -1, v[18:19]
	v_ashrrev_i32_e32 v24, 31, v19
	v_xor_b32_e32 v18, v24, v18
	v_cndmask_b32_e32 v22, -1, v39, vcc
	v_xor_b32_e32 v19, v22, v19
	v_cmp_ne_u64_e32 vcc, s[2:3], v[18:19]
	; wave barrier
	s_nop 1
	v_cndmask_b32_e32 v25, v39, v19, vcc
	v_cndmask_b32_e32 v24, 0, v18, vcc
	v_lshrrev_b64 v[24:25], s48, v[24:25]
	v_and_b32_e32 v41, s14, v24
	v_mul_lo_u32 v22, v41, s6
	v_lshl_add_u32 v43, v33, 2, v22
	v_and_b32_e32 v22, 1, v41
	v_lshl_add_u64 v[24:25], v[22:23], 0, -1
	v_cmp_ne_u32_e32 vcc, 0, v22
	ds_read_b32 v39, v43 offset:64
	s_nop 0
	v_xor_b32_e32 v24, vcc_lo, v24
	v_xor_b32_e32 v22, vcc_hi, v25
	v_and_b32_e32 v42, exec_lo, v24
	v_lshlrev_b32_e32 v25, 30, v41
	v_mov_b32_e32 v24, v23
	v_cmp_gt_i64_e32 vcc, 0, v[24:25]
	v_not_b32_e32 v24, v25
	v_ashrrev_i32_e32 v24, 31, v24
	v_and_b32_e32 v22, exec_hi, v22
	v_xor_b32_e32 v25, vcc_hi, v24
	v_xor_b32_e32 v24, vcc_lo, v24
	v_and_b32_e32 v22, v22, v25
	v_and_b32_e32 v42, v42, v24
	v_lshlrev_b32_e32 v25, 29, v41
	v_mov_b32_e32 v24, v23
	v_cmp_gt_i64_e32 vcc, 0, v[24:25]
	v_not_b32_e32 v24, v25
	v_ashrrev_i32_e32 v24, 31, v24
	v_xor_b32_e32 v25, vcc_hi, v24
	v_xor_b32_e32 v24, vcc_lo, v24
	v_and_b32_e32 v22, v22, v25
	v_and_b32_e32 v42, v42, v24
	v_lshlrev_b32_e32 v25, 28, v41
	v_mov_b32_e32 v24, v23
	v_cmp_gt_i64_e32 vcc, 0, v[24:25]
	v_not_b32_e32 v24, v25
	v_ashrrev_i32_e32 v24, 31, v24
	;; [unrolled: 9-line block ×5, first 2 shown]
	v_xor_b32_e32 v25, vcc_hi, v24
	v_xor_b32_e32 v24, vcc_lo, v24
	v_and_b32_e32 v22, v22, v25
	v_lshlrev_b32_e32 v25, 24, v41
	v_and_b32_e32 v42, v42, v24
	v_mov_b32_e32 v24, v23
	v_not_b32_e32 v23, v25
	v_cmp_gt_i64_e32 vcc, 0, v[24:25]
	v_ashrrev_i32_e32 v23, 31, v23
	; wave barrier
	s_nop 0
	v_xor_b32_e32 v24, vcc_hi, v23
	v_xor_b32_e32 v25, vcc_lo, v23
	v_and_b32_e32 v23, v22, v24
	v_and_b32_e32 v22, v42, v25
	v_mbcnt_lo_u32_b32 v24, v22, 0
	v_mbcnt_hi_u32_b32 v41, v23, v24
	v_cmp_eq_u32_e32 vcc, 0, v41
	v_cmp_ne_u64_e64 s[0:1], 0, v[22:23]
	s_and_b64 s[2:3], s[0:1], vcc
	s_and_saveexec_b64 s[0:1], s[2:3]
	s_cbranch_execz .LBB137_129
; %bb.128:
	v_bcnt_u32_b32 v22, v22, 0
	v_bcnt_u32_b32 v22, v23, v22
	s_waitcnt lgkmcnt(0)
	v_add_u32_e32 v22, v39, v22
	ds_write_b32 v43, v22 offset:64
.LBB137_129:
	s_or_b64 exec, exec, s[0:1]
	v_bfrev_b32_e32 v45, 1
	s_waitcnt vmcnt(1)
	v_cmp_lt_i64_e32 vcc, -1, v[20:21]
	s_mov_b32 s2, -1
	v_ashrrev_i32_e32 v23, 31, v21
	v_cndmask_b32_e32 v22, -1, v45, vcc
	s_brev_b32 s3, -2
	v_xor_b32_e32 v21, v22, v21
	v_xor_b32_e32 v20, v23, v20
	v_cmp_ne_u64_e32 vcc, s[2:3], v[20:21]
	; wave barrier
	s_nop 1
	v_cndmask_b32_e32 v23, v45, v21, vcc
	v_cndmask_b32_e32 v22, 0, v20, vcc
	v_lshrrev_b64 v[22:23], s48, v[22:23]
	v_and_b32_e32 v44, s14, v22
	v_mul_lo_u32 v22, v44, s6
	v_lshl_add_u32 v46, v33, 2, v22
	v_and_b32_e32 v22, 1, v44
	v_mov_b32_e32 v23, 0
	v_lshl_add_u64 v[24:25], v[22:23], 0, -1
	v_cmp_ne_u32_e32 vcc, 0, v22
	ds_read_b32 v42, v46 offset:64
	s_nop 0
	v_xor_b32_e32 v24, vcc_lo, v24
	v_xor_b32_e32 v22, vcc_hi, v25
	v_and_b32_e32 v47, exec_lo, v24
	v_lshlrev_b32_e32 v25, 30, v44
	v_mov_b32_e32 v24, v23
	v_cmp_gt_i64_e32 vcc, 0, v[24:25]
	v_not_b32_e32 v24, v25
	v_ashrrev_i32_e32 v24, 31, v24
	v_and_b32_e32 v22, exec_hi, v22
	v_xor_b32_e32 v25, vcc_hi, v24
	v_xor_b32_e32 v24, vcc_lo, v24
	v_and_b32_e32 v22, v22, v25
	v_and_b32_e32 v47, v47, v24
	v_lshlrev_b32_e32 v25, 29, v44
	v_mov_b32_e32 v24, v23
	v_cmp_gt_i64_e32 vcc, 0, v[24:25]
	v_not_b32_e32 v24, v25
	v_ashrrev_i32_e32 v24, 31, v24
	v_xor_b32_e32 v25, vcc_hi, v24
	v_xor_b32_e32 v24, vcc_lo, v24
	v_and_b32_e32 v22, v22, v25
	v_and_b32_e32 v47, v47, v24
	v_lshlrev_b32_e32 v25, 28, v44
	v_mov_b32_e32 v24, v23
	v_cmp_gt_i64_e32 vcc, 0, v[24:25]
	v_not_b32_e32 v24, v25
	v_ashrrev_i32_e32 v24, 31, v24
	v_xor_b32_e32 v25, vcc_hi, v24
	v_xor_b32_e32 v24, vcc_lo, v24
	v_and_b32_e32 v22, v22, v25
	v_and_b32_e32 v47, v47, v24
	v_lshlrev_b32_e32 v25, 27, v44
	v_mov_b32_e32 v24, v23
	v_cmp_gt_i64_e32 vcc, 0, v[24:25]
	v_not_b32_e32 v24, v25
	v_ashrrev_i32_e32 v24, 31, v24
	v_xor_b32_e32 v25, vcc_hi, v24
	v_xor_b32_e32 v24, vcc_lo, v24
	v_and_b32_e32 v22, v22, v25
	v_and_b32_e32 v47, v47, v24
	v_lshlrev_b32_e32 v25, 26, v44
	v_mov_b32_e32 v24, v23
	v_cmp_gt_i64_e32 vcc, 0, v[24:25]
	v_not_b32_e32 v24, v25
	v_ashrrev_i32_e32 v24, 31, v24
	v_xor_b32_e32 v25, vcc_hi, v24
	v_xor_b32_e32 v24, vcc_lo, v24
	v_and_b32_e32 v22, v22, v25
	v_and_b32_e32 v47, v47, v24
	v_lshlrev_b32_e32 v25, 25, v44
	v_mov_b32_e32 v24, v23
	v_cmp_gt_i64_e32 vcc, 0, v[24:25]
	v_not_b32_e32 v24, v25
	v_ashrrev_i32_e32 v24, 31, v24
	v_xor_b32_e32 v25, vcc_hi, v24
	v_xor_b32_e32 v24, vcc_lo, v24
	v_and_b32_e32 v22, v22, v25
	v_and_b32_e32 v47, v47, v24
	v_lshlrev_b32_e32 v25, 24, v44
	v_mov_b32_e32 v24, v23
	v_cmp_gt_i64_e32 vcc, 0, v[24:25]
	v_not_b32_e32 v24, v25
	v_ashrrev_i32_e32 v24, 31, v24
	v_xor_b32_e32 v25, vcc_hi, v24
	v_xor_b32_e32 v24, vcc_lo, v24
	v_and_b32_e32 v24, v47, v24
	v_and_b32_e32 v25, v22, v25
	v_mbcnt_lo_u32_b32 v22, v24, 0
	v_mbcnt_hi_u32_b32 v44, v25, v22
	v_cmp_eq_u32_e32 vcc, 0, v44
	v_cmp_ne_u64_e64 s[0:1], 0, v[24:25]
	s_and_b64 s[8:9], s[0:1], vcc
	; wave barrier
	s_and_saveexec_b64 s[0:1], s[8:9]
	s_cbranch_execz .LBB137_131
; %bb.130:
	v_bcnt_u32_b32 v22, v24, 0
	v_bcnt_u32_b32 v22, v25, v22
	s_waitcnt lgkmcnt(0)
	v_add_u32_e32 v22, v42, v22
	ds_write_b32 v46, v22 offset:64
.LBB137_131:
	s_or_b64 exec, exec, s[0:1]
	s_waitcnt vmcnt(0)
	v_cmp_lt_i64_e32 vcc, -1, v[16:17]
	v_ashrrev_i32_e32 v24, 31, v17
	v_xor_b32_e32 v16, v24, v16
	v_cndmask_b32_e32 v22, -1, v45, vcc
	v_xor_b32_e32 v17, v22, v17
	v_cmp_ne_u64_e32 vcc, s[2:3], v[16:17]
	; wave barrier
	s_nop 1
	v_cndmask_b32_e32 v25, v45, v17, vcc
	v_cndmask_b32_e32 v24, 0, v16, vcc
	v_lshrrev_b64 v[24:25], s48, v[24:25]
	v_and_b32_e32 v47, s14, v24
	v_mul_lo_u32 v22, v47, s6
	v_lshl_add_u32 v48, v33, 2, v22
	v_and_b32_e32 v22, 1, v47
	v_lshl_add_u64 v[24:25], v[22:23], 0, -1
	v_cmp_ne_u32_e32 vcc, 0, v22
	ds_read_b32 v45, v48 offset:64
	s_nop 0
	v_xor_b32_e32 v24, vcc_lo, v24
	v_xor_b32_e32 v22, vcc_hi, v25
	v_and_b32_e32 v33, exec_lo, v24
	v_lshlrev_b32_e32 v25, 30, v47
	v_mov_b32_e32 v24, v23
	v_cmp_gt_i64_e32 vcc, 0, v[24:25]
	v_not_b32_e32 v24, v25
	v_ashrrev_i32_e32 v24, 31, v24
	v_and_b32_e32 v22, exec_hi, v22
	v_xor_b32_e32 v25, vcc_hi, v24
	v_xor_b32_e32 v24, vcc_lo, v24
	v_and_b32_e32 v22, v22, v25
	v_and_b32_e32 v33, v33, v24
	v_lshlrev_b32_e32 v25, 29, v47
	v_mov_b32_e32 v24, v23
	v_cmp_gt_i64_e32 vcc, 0, v[24:25]
	v_not_b32_e32 v24, v25
	v_ashrrev_i32_e32 v24, 31, v24
	v_xor_b32_e32 v25, vcc_hi, v24
	v_xor_b32_e32 v24, vcc_lo, v24
	v_and_b32_e32 v22, v22, v25
	v_and_b32_e32 v33, v33, v24
	v_lshlrev_b32_e32 v25, 28, v47
	v_mov_b32_e32 v24, v23
	v_cmp_gt_i64_e32 vcc, 0, v[24:25]
	v_not_b32_e32 v24, v25
	v_ashrrev_i32_e32 v24, 31, v24
	;; [unrolled: 9-line block ×5, first 2 shown]
	v_xor_b32_e32 v25, vcc_hi, v24
	v_xor_b32_e32 v24, vcc_lo, v24
	v_and_b32_e32 v22, v22, v25
	v_lshlrev_b32_e32 v25, 24, v47
	v_and_b32_e32 v33, v33, v24
	v_mov_b32_e32 v24, v23
	v_not_b32_e32 v23, v25
	v_cmp_gt_i64_e32 vcc, 0, v[24:25]
	v_ashrrev_i32_e32 v23, 31, v23
	; wave barrier
	s_nop 0
	v_xor_b32_e32 v24, vcc_hi, v23
	v_xor_b32_e32 v25, vcc_lo, v23
	v_and_b32_e32 v23, v22, v24
	v_and_b32_e32 v22, v33, v25
	v_mbcnt_lo_u32_b32 v24, v22, 0
	v_mbcnt_hi_u32_b32 v47, v23, v24
	v_cmp_eq_u32_e32 vcc, 0, v47
	v_cmp_ne_u64_e64 s[0:1], 0, v[22:23]
	s_and_b64 s[2:3], s[0:1], vcc
	s_and_saveexec_b64 s[0:1], s[2:3]
	s_cbranch_execz .LBB137_133
; %bb.132:
	v_bcnt_u32_b32 v22, v22, 0
	v_bcnt_u32_b32 v22, v23, v22
	s_waitcnt lgkmcnt(0)
	v_add_u32_e32 v22, v45, v22
	ds_write_b32 v48, v22 offset:64
.LBB137_133:
	s_or_b64 exec, exec, s[0:1]
	; wave barrier
	s_waitcnt lgkmcnt(0)
	s_barrier
	ds_read2_b32 v[24:25], v1 offset0:16 offset1:17
	ds_read2_b32 v[22:23], v1 offset0:18 offset1:19
	ds_read_b32 v33, v1 offset:80
	v_cmp_lt_u32_e64 s[8:9], 31, v26
	s_waitcnt lgkmcnt(1)
	v_add3_u32 v49, v25, v24, v22
	s_waitcnt lgkmcnt(0)
	v_add3_u32 v33, v49, v23, v33
	v_and_b32_e32 v49, 15, v26
	v_cmp_eq_u32_e32 vcc, 0, v49
	v_mov_b32_dpp v50, v33 row_shr:1 row_mask:0xf bank_mask:0xf
	v_cmp_lt_u32_e64 s[0:1], 1, v49
	v_cndmask_b32_e64 v50, v50, 0, vcc
	v_add_u32_e32 v33, v50, v33
	v_cmp_lt_u32_e64 s[2:3], 3, v49
	v_cmp_lt_u32_e64 s[6:7], 7, v49
	v_mov_b32_dpp v50, v33 row_shr:2 row_mask:0xf bank_mask:0xf
	v_cndmask_b32_e64 v50, 0, v50, s[0:1]
	v_add_u32_e32 v33, v33, v50
	s_nop 1
	v_mov_b32_dpp v50, v33 row_shr:4 row_mask:0xf bank_mask:0xf
	v_cndmask_b32_e64 v50, 0, v50, s[2:3]
	v_add_u32_e32 v33, v33, v50
	s_nop 1
	v_mov_b32_dpp v50, v33 row_shr:8 row_mask:0xf bank_mask:0xf
	v_cndmask_b32_e64 v49, 0, v50, s[6:7]
	v_add_u32_e32 v33, v33, v49
	v_bfe_i32 v50, v26, 4, 1
	s_nop 0
	v_mov_b32_dpp v49, v33 row_bcast:15 row_mask:0xf bank_mask:0xf
	v_and_b32_e32 v49, v50, v49
	v_add_u32_e32 v33, v33, v49
	v_lshrrev_b32_e32 v50, 6, v2
	s_nop 0
	v_mov_b32_dpp v49, v33 row_bcast:31 row_mask:0xf bank_mask:0xf
	v_cndmask_b32_e64 v49, 0, v49, s[8:9]
	v_add_u32_e32 v49, v33, v49
	v_and_b32_e32 v33, 63, v2
	v_cmp_eq_u32_e64 s[8:9], 63, v33
	s_and_saveexec_b64 s[12:13], s[8:9]
; %bb.134:
	v_lshlrev_b32_e32 v33, 2, v50
	ds_write_b32 v33, v49
; %bb.135:
	s_or_b64 exec, exec, s[12:13]
	v_cmp_gt_u32_e64 s[8:9], 16, v2
	v_lshlrev_b32_e32 v33, 2, v2
	s_waitcnt lgkmcnt(0)
	s_barrier
	s_and_saveexec_b64 s[12:13], s[8:9]
	s_cbranch_execz .LBB137_137
; %bb.136:
	ds_read_b32 v51, v33
	s_waitcnt lgkmcnt(0)
	s_nop 0
	v_mov_b32_dpp v52, v51 row_shr:1 row_mask:0xf bank_mask:0xf
	v_cndmask_b32_e64 v52, v52, 0, vcc
	v_add_u32_e32 v51, v52, v51
	s_nop 1
	v_mov_b32_dpp v52, v51 row_shr:2 row_mask:0xf bank_mask:0xf
	v_cndmask_b32_e64 v52, 0, v52, s[0:1]
	v_add_u32_e32 v51, v51, v52
	s_nop 1
	v_mov_b32_dpp v52, v51 row_shr:4 row_mask:0xf bank_mask:0xf
	v_cndmask_b32_e64 v52, 0, v52, s[2:3]
	;; [unrolled: 4-line block ×3, first 2 shown]
	v_add_u32_e32 v51, v51, v52
	ds_write_b32 v33, v51
.LBB137_137:
	s_or_b64 exec, exec, s[12:13]
	v_cmp_lt_u32_e32 vcc, 63, v2
	v_mov_b32_e32 v51, 0
	s_waitcnt lgkmcnt(0)
	s_barrier
	s_and_saveexec_b64 s[0:1], vcc
; %bb.138:
	v_lshl_add_u32 v50, v50, 2, -4
	ds_read_b32 v51, v50
; %bb.139:
	s_or_b64 exec, exec, s[0:1]
	v_subrev_co_u32_e32 v50, vcc, 1, v26
	v_and_b32_e32 v52, 64, v26
	v_cmp_lt_i32_e64 s[0:1], v50, v52
	s_waitcnt lgkmcnt(0)
	v_add_u32_e32 v49, v51, v49
	s_movk_i32 s2, 0x100
	v_cndmask_b32_e64 v26, v50, v26, s[0:1]
	v_lshlrev_b32_e32 v26, 2, v26
	ds_bpermute_b32 v26, v26, v49
	s_movk_i32 s0, 0xff
	s_waitcnt lgkmcnt(0)
	v_cndmask_b32_e32 v26, v26, v51, vcc
	v_cmp_ne_u32_e32 vcc, 0, v2
	s_nop 1
	v_cndmask_b32_e32 v26, 0, v26, vcc
	v_add_u32_e32 v24, v26, v24
	v_add_u32_e32 v25, v24, v25
	;; [unrolled: 1-line block ×4, first 2 shown]
	ds_write2_b32 v1, v26, v24 offset0:16 offset1:17
	ds_write2_b32 v1, v25, v22 offset0:18 offset1:19
	ds_write_b32 v1, v23 offset:80
	s_waitcnt lgkmcnt(0)
	s_barrier
	ds_read_b32 v52, v27 offset:64
	ds_read_b32 v1, v30 offset:64
	;; [unrolled: 1-line block ×8, first 2 shown]
	v_cmp_lt_u32_e32 vcc, s0, v2
	v_cmp_gt_u32_e64 s[0:1], s2, v2
                                        ; implicit-def: $vgpr30
                                        ; implicit-def: $vgpr34
	s_and_saveexec_b64 s[6:7], s[0:1]
	s_cbranch_execz .LBB137_143
; %bb.140:
	v_mul_u32_u24_e32 v22, 0x44, v2
	ds_read_b32 v30, v22 offset:64
	v_add_u32_e32 v23, 1, v2
	v_cmp_ne_u32_e64 s[2:3], s2, v23
	v_mov_b32_e32 v22, 0x2000
	s_and_saveexec_b64 s[8:9], s[2:3]
; %bb.141:
	v_mul_u32_u24_e32 v22, 0x44, v23
	ds_read_b32 v22, v22 offset:64
; %bb.142:
	s_or_b64 exec, exec, s[8:9]
	s_waitcnt lgkmcnt(0)
	v_sub_u32_e32 v34, v22, v30
.LBB137_143:
	s_or_b64 exec, exec, s[6:7]
	v_mov_b32_e32 v23, 0
	s_waitcnt lgkmcnt(0)
	s_barrier
	s_and_saveexec_b64 s[2:3], s[0:1]
	s_cbranch_execz .LBB137_153
; %bb.144:
	v_lshl_add_u32 v22, s4, 8, v2
	v_lshl_add_u64 v[24:25], v[22:23], 2, s[52:53]
	v_or_b32_e32 v22, 2.0, v34
	s_mov_b64 s[6:7], 0
	s_brev_b32 s15, -4
	s_mov_b32 s16, s4
	v_mov_b32_e32 v46, 0
	global_store_dword v[24:25], v22, off sc1
                                        ; implicit-def: $sgpr0_sgpr1
	s_branch .LBB137_147
.LBB137_145:                            ;   in Loop: Header=BB137_147 Depth=1
	s_or_b64 exec, exec, s[12:13]
.LBB137_146:                            ;   in Loop: Header=BB137_147 Depth=1
	s_or_b64 exec, exec, s[8:9]
	v_and_b32_e32 v26, 0x3fffffff, v22
	v_add_u32_e32 v46, v26, v46
	v_cmp_gt_i32_e64 s[0:1], -2.0, v22
	s_and_b64 s[8:9], exec, s[0:1]
	s_or_b64 s[6:7], s[8:9], s[6:7]
	s_andn2_b64 exec, exec, s[6:7]
	s_cbranch_execz .LBB137_152
.LBB137_147:                            ; =>This Loop Header: Depth=1
                                        ;     Child Loop BB137_150 Depth 2
	s_or_b64 s[0:1], s[0:1], exec
	s_cmp_eq_u32 s16, 0
	s_cbranch_scc1 .LBB137_151
; %bb.148:                              ;   in Loop: Header=BB137_147 Depth=1
	s_add_i32 s16, s16, -1
	v_lshl_or_b32 v22, s16, 8, v2
	v_lshl_add_u64 v[26:27], v[22:23], 2, s[52:53]
	global_load_dword v22, v[26:27], off sc1
	s_waitcnt vmcnt(0)
	v_cmp_gt_u32_e64 s[0:1], 2.0, v22
	s_and_saveexec_b64 s[8:9], s[0:1]
	s_cbranch_execz .LBB137_146
; %bb.149:                              ;   in Loop: Header=BB137_147 Depth=1
	s_mov_b64 s[12:13], 0
.LBB137_150:                            ;   Parent Loop BB137_147 Depth=1
                                        ; =>  This Inner Loop Header: Depth=2
	global_load_dword v22, v[26:27], off sc1
	s_waitcnt vmcnt(0)
	v_cmp_lt_u32_e64 s[0:1], s15, v22
	s_or_b64 s[12:13], s[0:1], s[12:13]
	s_andn2_b64 exec, exec, s[12:13]
	s_cbranch_execnz .LBB137_150
	s_branch .LBB137_145
.LBB137_151:                            ;   in Loop: Header=BB137_147 Depth=1
                                        ; implicit-def: $sgpr16
	s_and_b64 s[8:9], exec, s[0:1]
	s_or_b64 s[6:7], s[8:9], s[6:7]
	s_andn2_b64 exec, exec, s[6:7]
	s_cbranch_execnz .LBB137_147
.LBB137_152:
	s_or_b64 exec, exec, s[6:7]
	v_add_u32_e32 v22, v46, v34
	v_or_b32_e32 v22, 0x80000000, v22
	global_store_dword v[24:25], v22, off sc1
	global_load_dword v22, v33, s[44:45]
	v_sub_u32_e32 v23, v46, v30
	s_waitcnt vmcnt(0)
	v_add_u32_e32 v22, v23, v22
	ds_write_b32 v33, v22
.LBB137_153:
	s_or_b64 exec, exec, s[2:3]
	v_add_u32_e32 v3, v52, v3
	v_add3_u32 v22, v28, v5, v1
	v_add3_u32 v23, v31, v29, v49
	;; [unrolled: 1-line block ×7, first 2 shown]
	v_mov_b32_e32 v53, 0x400
	s_mov_b32 s2, -1
	s_mov_b32 s8, s48
	s_mov_b32 s9, s14
	s_movk_i32 s12, 0x400
	v_lshl_add_u32 v24, v24, 3, v53
	v_add3_u32 v25, v47, v43, v45
	v_lshl_add_u32 v26, v26, 3, v53
	v_add3_u32 v27, v44, v37, v42
	;; [unrolled: 2-line block ×7, first 2 shown]
	v_lshl_add_u32 v41, v3, 3, v53
	s_mov_b32 s13, 0
	s_mov_b32 s15, 0
	s_movk_i32 s16, 0x800
	v_add_u32_e32 v42, v33, v33
	s_brev_b32 s3, -2
	v_bfrev_b32_e32 v1, 1
	v_mov_b32_e32 v23, 0
	v_mov_b32_e32 v5, v2
	s_mov_b32 s17, 0
	s_branch .LBB137_155
.LBB137_154:                            ;   in Loop: Header=BB137_155 Depth=1
	s_or_b64 exec, exec, s[6:7]
	s_waitcnt lgkmcnt(0)
	s_barrier
	ds_read2st64_b64 v[44:47], v42 offset0:2 offset1:18
	s_addk_i32 s17, 0xc000
	s_addk_i32 s15, 0xf800
	s_waitcnt lgkmcnt(0)
	v_cmp_lt_i64_e64 s[0:1], -1, v[44:45]
	s_nop 1
	v_cndmask_b32_e64 v22, v1, -1, s[0:1]
	v_cmp_lt_i64_e64 s[0:1], -1, v[46:47]
	v_ashrrev_i32_e32 v43, 31, v45
	v_xor_b32_e32 v49, v22, v45
	v_cndmask_b32_e64 v22, v1, -1, s[0:1]
	v_cmp_ne_u64_e64 s[0:1], s[2:3], v[46:47]
	v_not_b32_e32 v43, v43
	v_xor_b32_e32 v48, v43, v44
	v_cndmask_b32_e64 v53, v1, v47, s[0:1]
	v_cndmask_b32_e64 v52, 0, v46, s[0:1]
	v_cmp_ne_u64_e64 s[0:1], s[2:3], v[44:45]
	v_lshrrev_b64 v[52:53], s8, v[52:53]
	v_xor_b32_e32 v51, v22, v47
	v_cndmask_b32_e64 v45, v1, v45, s[0:1]
	v_cndmask_b32_e64 v44, 0, v44, s[0:1]
	v_lshrrev_b64 v[44:45], s48, v[44:45]
	v_and_b32_e32 v44, s14, v44
	v_lshlrev_b32_e32 v22, 2, v44
	v_and_b32_e32 v45, s9, v52
	v_ashrrev_i32_e32 v43, 31, v47
	ds_read_b32 v22, v22
	v_lshlrev_b32_e32 v47, 2, v45
	ds_read_b32 v52, v47
	v_not_b32_e32 v43, v43
	v_xor_b32_e32 v50, v43, v46
	s_waitcnt lgkmcnt(1)
	v_add_u32_e32 v22, v5, v22
	v_lshl_add_u64 v[46:47], v[22:23], 3, s[38:39]
	s_waitcnt lgkmcnt(0)
	v_add3_u32 v22, v5, v52, s12
	global_store_dwordx2 v[46:47], v[48:49], off
	v_lshl_add_u64 v[46:47], v[22:23], 3, s[38:39]
	global_store_dwordx2 v[46:47], v[50:51], off
	scratch_store_dwordx2 off, v[44:45], s13
	s_add_i32 s13, s13, 8
	s_cmp_eq_u32 s17, 0xffff0000
	v_add_u32_e32 v5, 0x800, v5
	s_barrier
	s_cbranch_scc1 .LBB137_171
.LBB137_155:                            ; =>This Inner Loop Header: Depth=1
	v_add_u32_e32 v22, s15, v3
	v_cmp_gt_u32_e64 s[0:1], s16, v22
	s_and_saveexec_b64 s[6:7], s[0:1]
; %bb.156:                              ;   in Loop: Header=BB137_155 Depth=1
	v_add_u32_e32 v22, s17, v41
	ds_write_b64 v22, v[6:7]
; %bb.157:                              ;   in Loop: Header=BB137_155 Depth=1
	s_or_b64 exec, exec, s[6:7]
	v_add_u32_e32 v22, s15, v28
	v_cmp_gt_u32_e64 s[0:1], s16, v22
	s_and_saveexec_b64 s[6:7], s[0:1]
; %bb.158:                              ;   in Loop: Header=BB137_155 Depth=1
	v_add_u32_e32 v22, s17, v31
	ds_write_b64 v22, v[8:9]
; %bb.159:                              ;   in Loop: Header=BB137_155 Depth=1
	s_or_b64 exec, exec, s[6:7]
	;; [unrolled: 8-line block ×7, first 2 shown]
	v_add_u32_e32 v22, s15, v25
	v_cmp_gt_u32_e64 s[0:1], s16, v22
	s_and_saveexec_b64 s[6:7], s[0:1]
	s_cbranch_execz .LBB137_154
; %bb.170:                              ;   in Loop: Header=BB137_155 Depth=1
	v_add_u32_e32 v22, s17, v24
	ds_write_b64 v22, v[16:17]
	s_branch .LBB137_154
.LBB137_171:
	s_add_u32 s0, s40, s10
	s_addc_u32 s1, s41, s11
	v_mov_b32_e32 v1, 0
	v_lshl_add_u64 v[6:7], s[0:1], 0, v[0:1]
	v_mov_b32_e32 v5, v1
	v_lshl_add_u64 v[20:21], v[6:7], 0, v[4:5]
	global_load_dwordx2 v[4:5], v[20:21], off
	global_load_dwordx2 v[6:7], v[20:21], off offset:512
	global_load_dwordx2 v[8:9], v[20:21], off offset:1024
	;; [unrolled: 1-line block ×7, first 2 shown]
	s_mov_b32 s6, 0
	s_mov_b32 s7, 0
	s_movk_i32 s8, 0x800
	s_movk_i32 s9, 0x400
	s_mov_b32 s10, 0
	s_branch .LBB137_173
.LBB137_172:                            ;   in Loop: Header=BB137_173 Depth=1
	s_or_b64 exec, exec, s[2:3]
	s_waitcnt lgkmcnt(0)
	s_barrier
	scratch_load_dwordx2 v[44:45], off, s6
	ds_read2st64_b64 v[20:23], v42 offset0:2 offset1:18
	s_addk_i32 s10, 0xc000
	s_addk_i32 s7, 0xf800
	s_add_i32 s6, s6, 8
	s_cmp_eq_u32 s10, 0xffff0000
	s_waitcnt vmcnt(0)
	v_lshlrev_b32_e32 v0, 2, v44
	ds_read_b32 v0, v0
	v_lshlrev_b32_e32 v43, 2, v45
	ds_read_b32 v43, v43
	s_waitcnt lgkmcnt(1)
	v_add_u32_e32 v0, v2, v0
	v_lshl_add_u64 v[44:45], v[0:1], 3, s[42:43]
	s_waitcnt lgkmcnt(0)
	v_add3_u32 v0, v2, v43, s9
	global_store_dwordx2 v[44:45], v[20:21], off
	v_lshl_add_u64 v[20:21], v[0:1], 3, s[42:43]
	v_add_u32_e32 v2, 0x800, v2
	global_store_dwordx2 v[20:21], v[22:23], off
	s_barrier
	s_cbranch_scc1 .LBB137_189
.LBB137_173:                            ; =>This Inner Loop Header: Depth=1
	v_add_u32_e32 v0, s7, v3
	v_cmp_gt_u32_e64 s[0:1], s8, v0
	s_and_saveexec_b64 s[2:3], s[0:1]
	s_cbranch_execz .LBB137_175
; %bb.174:                              ;   in Loop: Header=BB137_173 Depth=1
	v_add_u32_e32 v0, s10, v41
	s_waitcnt vmcnt(7)
	ds_write_b64 v0, v[4:5]
.LBB137_175:                            ;   in Loop: Header=BB137_173 Depth=1
	s_or_b64 exec, exec, s[2:3]
	v_add_u32_e32 v0, s7, v28
	v_cmp_gt_u32_e64 s[0:1], s8, v0
	s_and_saveexec_b64 s[2:3], s[0:1]
	s_cbranch_execz .LBB137_177
; %bb.176:                              ;   in Loop: Header=BB137_173 Depth=1
	v_add_u32_e32 v0, s10, v31
	s_waitcnt vmcnt(6)
	ds_write_b64 v0, v[6:7]
.LBB137_177:                            ;   in Loop: Header=BB137_173 Depth=1
	s_or_b64 exec, exec, s[2:3]
	;; [unrolled: 10-line block ×7, first 2 shown]
	v_add_u32_e32 v0, s7, v25
	v_cmp_gt_u32_e64 s[0:1], s8, v0
	s_and_saveexec_b64 s[2:3], s[0:1]
	s_cbranch_execz .LBB137_172
; %bb.188:                              ;   in Loop: Header=BB137_173 Depth=1
	v_add_u32_e32 v0, s10, v24
	s_waitcnt vmcnt(0)
	ds_write_b64 v0, v[18:19]
	s_branch .LBB137_172
.LBB137_189:
	s_add_i32 s5, s5, -1
	s_cmp_eq_u32 s4, s5
	s_cselect_b64 s[0:1], -1, 0
	s_xor_b64 s[2:3], vcc, -1
	s_and_b64 s[0:1], s[2:3], s[0:1]
	s_and_saveexec_b64 s[2:3], s[0:1]
	s_cbranch_execz .LBB137_191
; %bb.190:
	ds_read_b32 v0, v33
	s_waitcnt lgkmcnt(0)
	v_add3_u32 v0, v30, v34, v0
	global_store_dword v33, v0, s[46:47]
.LBB137_191:
	s_endpgm
	.section	.rodata,"a",@progbits
	.p2align	6, 0x0
	.amdhsa_kernel _ZN7rocprim17ROCPRIM_400000_NS6detail17trampoline_kernelINS0_14default_configENS1_35radix_sort_onesweep_config_selectorIddEEZZNS1_29radix_sort_onesweep_iterationIS3_Lb0EN6thrust23THRUST_200600_302600_NS6detail15normal_iteratorINS8_10device_ptrIdEEEESD_SD_SD_jNS0_19identity_decomposerENS1_16block_id_wrapperIjLb0EEEEE10hipError_tT1_PNSt15iterator_traitsISI_E10value_typeET2_T3_PNSJ_ISO_E10value_typeET4_T5_PST_SU_PNS1_23onesweep_lookback_stateEbbT6_jjT7_P12ihipStream_tbENKUlT_T0_SI_SN_E_clISD_SD_SD_SD_EEDaS11_S12_SI_SN_EUlS11_E_NS1_11comp_targetILNS1_3genE6ELNS1_11target_archE950ELNS1_3gpuE13ELNS1_3repE0EEENS1_47radix_sort_onesweep_sort_config_static_selectorELNS0_4arch9wavefront6targetE1EEEvSI_
		.amdhsa_group_segment_fixed_size 53328
		.amdhsa_private_segment_fixed_size 48
		.amdhsa_kernarg_size 344
		.amdhsa_user_sgpr_count 4
		.amdhsa_user_sgpr_dispatch_ptr 1
		.amdhsa_user_sgpr_queue_ptr 0
		.amdhsa_user_sgpr_kernarg_segment_ptr 1
		.amdhsa_user_sgpr_dispatch_id 0
		.amdhsa_user_sgpr_kernarg_preload_length 0
		.amdhsa_user_sgpr_kernarg_preload_offset 0
		.amdhsa_user_sgpr_private_segment_size 0
		.amdhsa_uses_dynamic_stack 0
		.amdhsa_enable_private_segment 1
		.amdhsa_system_sgpr_workgroup_id_x 1
		.amdhsa_system_sgpr_workgroup_id_y 0
		.amdhsa_system_sgpr_workgroup_id_z 0
		.amdhsa_system_sgpr_workgroup_info 0
		.amdhsa_system_vgpr_workitem_id 2
		.amdhsa_next_free_vgpr 58
		.amdhsa_next_free_sgpr 56
		.amdhsa_accum_offset 60
		.amdhsa_reserve_vcc 1
		.amdhsa_float_round_mode_32 0
		.amdhsa_float_round_mode_16_64 0
		.amdhsa_float_denorm_mode_32 3
		.amdhsa_float_denorm_mode_16_64 3
		.amdhsa_dx10_clamp 1
		.amdhsa_ieee_mode 1
		.amdhsa_fp16_overflow 0
		.amdhsa_tg_split 0
		.amdhsa_exception_fp_ieee_invalid_op 0
		.amdhsa_exception_fp_denorm_src 0
		.amdhsa_exception_fp_ieee_div_zero 0
		.amdhsa_exception_fp_ieee_overflow 0
		.amdhsa_exception_fp_ieee_underflow 0
		.amdhsa_exception_fp_ieee_inexact 0
		.amdhsa_exception_int_div_zero 0
	.end_amdhsa_kernel
	.section	.text._ZN7rocprim17ROCPRIM_400000_NS6detail17trampoline_kernelINS0_14default_configENS1_35radix_sort_onesweep_config_selectorIddEEZZNS1_29radix_sort_onesweep_iterationIS3_Lb0EN6thrust23THRUST_200600_302600_NS6detail15normal_iteratorINS8_10device_ptrIdEEEESD_SD_SD_jNS0_19identity_decomposerENS1_16block_id_wrapperIjLb0EEEEE10hipError_tT1_PNSt15iterator_traitsISI_E10value_typeET2_T3_PNSJ_ISO_E10value_typeET4_T5_PST_SU_PNS1_23onesweep_lookback_stateEbbT6_jjT7_P12ihipStream_tbENKUlT_T0_SI_SN_E_clISD_SD_SD_SD_EEDaS11_S12_SI_SN_EUlS11_E_NS1_11comp_targetILNS1_3genE6ELNS1_11target_archE950ELNS1_3gpuE13ELNS1_3repE0EEENS1_47radix_sort_onesweep_sort_config_static_selectorELNS0_4arch9wavefront6targetE1EEEvSI_,"axG",@progbits,_ZN7rocprim17ROCPRIM_400000_NS6detail17trampoline_kernelINS0_14default_configENS1_35radix_sort_onesweep_config_selectorIddEEZZNS1_29radix_sort_onesweep_iterationIS3_Lb0EN6thrust23THRUST_200600_302600_NS6detail15normal_iteratorINS8_10device_ptrIdEEEESD_SD_SD_jNS0_19identity_decomposerENS1_16block_id_wrapperIjLb0EEEEE10hipError_tT1_PNSt15iterator_traitsISI_E10value_typeET2_T3_PNSJ_ISO_E10value_typeET4_T5_PST_SU_PNS1_23onesweep_lookback_stateEbbT6_jjT7_P12ihipStream_tbENKUlT_T0_SI_SN_E_clISD_SD_SD_SD_EEDaS11_S12_SI_SN_EUlS11_E_NS1_11comp_targetILNS1_3genE6ELNS1_11target_archE950ELNS1_3gpuE13ELNS1_3repE0EEENS1_47radix_sort_onesweep_sort_config_static_selectorELNS0_4arch9wavefront6targetE1EEEvSI_,comdat
.Lfunc_end137:
	.size	_ZN7rocprim17ROCPRIM_400000_NS6detail17trampoline_kernelINS0_14default_configENS1_35radix_sort_onesweep_config_selectorIddEEZZNS1_29radix_sort_onesweep_iterationIS3_Lb0EN6thrust23THRUST_200600_302600_NS6detail15normal_iteratorINS8_10device_ptrIdEEEESD_SD_SD_jNS0_19identity_decomposerENS1_16block_id_wrapperIjLb0EEEEE10hipError_tT1_PNSt15iterator_traitsISI_E10value_typeET2_T3_PNSJ_ISO_E10value_typeET4_T5_PST_SU_PNS1_23onesweep_lookback_stateEbbT6_jjT7_P12ihipStream_tbENKUlT_T0_SI_SN_E_clISD_SD_SD_SD_EEDaS11_S12_SI_SN_EUlS11_E_NS1_11comp_targetILNS1_3genE6ELNS1_11target_archE950ELNS1_3gpuE13ELNS1_3repE0EEENS1_47radix_sort_onesweep_sort_config_static_selectorELNS0_4arch9wavefront6targetE1EEEvSI_, .Lfunc_end137-_ZN7rocprim17ROCPRIM_400000_NS6detail17trampoline_kernelINS0_14default_configENS1_35radix_sort_onesweep_config_selectorIddEEZZNS1_29radix_sort_onesweep_iterationIS3_Lb0EN6thrust23THRUST_200600_302600_NS6detail15normal_iteratorINS8_10device_ptrIdEEEESD_SD_SD_jNS0_19identity_decomposerENS1_16block_id_wrapperIjLb0EEEEE10hipError_tT1_PNSt15iterator_traitsISI_E10value_typeET2_T3_PNSJ_ISO_E10value_typeET4_T5_PST_SU_PNS1_23onesweep_lookback_stateEbbT6_jjT7_P12ihipStream_tbENKUlT_T0_SI_SN_E_clISD_SD_SD_SD_EEDaS11_S12_SI_SN_EUlS11_E_NS1_11comp_targetILNS1_3genE6ELNS1_11target_archE950ELNS1_3gpuE13ELNS1_3repE0EEENS1_47radix_sort_onesweep_sort_config_static_selectorELNS0_4arch9wavefront6targetE1EEEvSI_
                                        ; -- End function
	.set _ZN7rocprim17ROCPRIM_400000_NS6detail17trampoline_kernelINS0_14default_configENS1_35radix_sort_onesweep_config_selectorIddEEZZNS1_29radix_sort_onesweep_iterationIS3_Lb0EN6thrust23THRUST_200600_302600_NS6detail15normal_iteratorINS8_10device_ptrIdEEEESD_SD_SD_jNS0_19identity_decomposerENS1_16block_id_wrapperIjLb0EEEEE10hipError_tT1_PNSt15iterator_traitsISI_E10value_typeET2_T3_PNSJ_ISO_E10value_typeET4_T5_PST_SU_PNS1_23onesweep_lookback_stateEbbT6_jjT7_P12ihipStream_tbENKUlT_T0_SI_SN_E_clISD_SD_SD_SD_EEDaS11_S12_SI_SN_EUlS11_E_NS1_11comp_targetILNS1_3genE6ELNS1_11target_archE950ELNS1_3gpuE13ELNS1_3repE0EEENS1_47radix_sort_onesweep_sort_config_static_selectorELNS0_4arch9wavefront6targetE1EEEvSI_.num_vgpr, 58
	.set _ZN7rocprim17ROCPRIM_400000_NS6detail17trampoline_kernelINS0_14default_configENS1_35radix_sort_onesweep_config_selectorIddEEZZNS1_29radix_sort_onesweep_iterationIS3_Lb0EN6thrust23THRUST_200600_302600_NS6detail15normal_iteratorINS8_10device_ptrIdEEEESD_SD_SD_jNS0_19identity_decomposerENS1_16block_id_wrapperIjLb0EEEEE10hipError_tT1_PNSt15iterator_traitsISI_E10value_typeET2_T3_PNSJ_ISO_E10value_typeET4_T5_PST_SU_PNS1_23onesweep_lookback_stateEbbT6_jjT7_P12ihipStream_tbENKUlT_T0_SI_SN_E_clISD_SD_SD_SD_EEDaS11_S12_SI_SN_EUlS11_E_NS1_11comp_targetILNS1_3genE6ELNS1_11target_archE950ELNS1_3gpuE13ELNS1_3repE0EEENS1_47radix_sort_onesweep_sort_config_static_selectorELNS0_4arch9wavefront6targetE1EEEvSI_.num_agpr, 0
	.set _ZN7rocprim17ROCPRIM_400000_NS6detail17trampoline_kernelINS0_14default_configENS1_35radix_sort_onesweep_config_selectorIddEEZZNS1_29radix_sort_onesweep_iterationIS3_Lb0EN6thrust23THRUST_200600_302600_NS6detail15normal_iteratorINS8_10device_ptrIdEEEESD_SD_SD_jNS0_19identity_decomposerENS1_16block_id_wrapperIjLb0EEEEE10hipError_tT1_PNSt15iterator_traitsISI_E10value_typeET2_T3_PNSJ_ISO_E10value_typeET4_T5_PST_SU_PNS1_23onesweep_lookback_stateEbbT6_jjT7_P12ihipStream_tbENKUlT_T0_SI_SN_E_clISD_SD_SD_SD_EEDaS11_S12_SI_SN_EUlS11_E_NS1_11comp_targetILNS1_3genE6ELNS1_11target_archE950ELNS1_3gpuE13ELNS1_3repE0EEENS1_47radix_sort_onesweep_sort_config_static_selectorELNS0_4arch9wavefront6targetE1EEEvSI_.numbered_sgpr, 56
	.set _ZN7rocprim17ROCPRIM_400000_NS6detail17trampoline_kernelINS0_14default_configENS1_35radix_sort_onesweep_config_selectorIddEEZZNS1_29radix_sort_onesweep_iterationIS3_Lb0EN6thrust23THRUST_200600_302600_NS6detail15normal_iteratorINS8_10device_ptrIdEEEESD_SD_SD_jNS0_19identity_decomposerENS1_16block_id_wrapperIjLb0EEEEE10hipError_tT1_PNSt15iterator_traitsISI_E10value_typeET2_T3_PNSJ_ISO_E10value_typeET4_T5_PST_SU_PNS1_23onesweep_lookback_stateEbbT6_jjT7_P12ihipStream_tbENKUlT_T0_SI_SN_E_clISD_SD_SD_SD_EEDaS11_S12_SI_SN_EUlS11_E_NS1_11comp_targetILNS1_3genE6ELNS1_11target_archE950ELNS1_3gpuE13ELNS1_3repE0EEENS1_47radix_sort_onesweep_sort_config_static_selectorELNS0_4arch9wavefront6targetE1EEEvSI_.num_named_barrier, 0
	.set _ZN7rocprim17ROCPRIM_400000_NS6detail17trampoline_kernelINS0_14default_configENS1_35radix_sort_onesweep_config_selectorIddEEZZNS1_29radix_sort_onesweep_iterationIS3_Lb0EN6thrust23THRUST_200600_302600_NS6detail15normal_iteratorINS8_10device_ptrIdEEEESD_SD_SD_jNS0_19identity_decomposerENS1_16block_id_wrapperIjLb0EEEEE10hipError_tT1_PNSt15iterator_traitsISI_E10value_typeET2_T3_PNSJ_ISO_E10value_typeET4_T5_PST_SU_PNS1_23onesweep_lookback_stateEbbT6_jjT7_P12ihipStream_tbENKUlT_T0_SI_SN_E_clISD_SD_SD_SD_EEDaS11_S12_SI_SN_EUlS11_E_NS1_11comp_targetILNS1_3genE6ELNS1_11target_archE950ELNS1_3gpuE13ELNS1_3repE0EEENS1_47radix_sort_onesweep_sort_config_static_selectorELNS0_4arch9wavefront6targetE1EEEvSI_.private_seg_size, 48
	.set _ZN7rocprim17ROCPRIM_400000_NS6detail17trampoline_kernelINS0_14default_configENS1_35radix_sort_onesweep_config_selectorIddEEZZNS1_29radix_sort_onesweep_iterationIS3_Lb0EN6thrust23THRUST_200600_302600_NS6detail15normal_iteratorINS8_10device_ptrIdEEEESD_SD_SD_jNS0_19identity_decomposerENS1_16block_id_wrapperIjLb0EEEEE10hipError_tT1_PNSt15iterator_traitsISI_E10value_typeET2_T3_PNSJ_ISO_E10value_typeET4_T5_PST_SU_PNS1_23onesweep_lookback_stateEbbT6_jjT7_P12ihipStream_tbENKUlT_T0_SI_SN_E_clISD_SD_SD_SD_EEDaS11_S12_SI_SN_EUlS11_E_NS1_11comp_targetILNS1_3genE6ELNS1_11target_archE950ELNS1_3gpuE13ELNS1_3repE0EEENS1_47radix_sort_onesweep_sort_config_static_selectorELNS0_4arch9wavefront6targetE1EEEvSI_.uses_vcc, 1
	.set _ZN7rocprim17ROCPRIM_400000_NS6detail17trampoline_kernelINS0_14default_configENS1_35radix_sort_onesweep_config_selectorIddEEZZNS1_29radix_sort_onesweep_iterationIS3_Lb0EN6thrust23THRUST_200600_302600_NS6detail15normal_iteratorINS8_10device_ptrIdEEEESD_SD_SD_jNS0_19identity_decomposerENS1_16block_id_wrapperIjLb0EEEEE10hipError_tT1_PNSt15iterator_traitsISI_E10value_typeET2_T3_PNSJ_ISO_E10value_typeET4_T5_PST_SU_PNS1_23onesweep_lookback_stateEbbT6_jjT7_P12ihipStream_tbENKUlT_T0_SI_SN_E_clISD_SD_SD_SD_EEDaS11_S12_SI_SN_EUlS11_E_NS1_11comp_targetILNS1_3genE6ELNS1_11target_archE950ELNS1_3gpuE13ELNS1_3repE0EEENS1_47radix_sort_onesweep_sort_config_static_selectorELNS0_4arch9wavefront6targetE1EEEvSI_.uses_flat_scratch, 0
	.set _ZN7rocprim17ROCPRIM_400000_NS6detail17trampoline_kernelINS0_14default_configENS1_35radix_sort_onesweep_config_selectorIddEEZZNS1_29radix_sort_onesweep_iterationIS3_Lb0EN6thrust23THRUST_200600_302600_NS6detail15normal_iteratorINS8_10device_ptrIdEEEESD_SD_SD_jNS0_19identity_decomposerENS1_16block_id_wrapperIjLb0EEEEE10hipError_tT1_PNSt15iterator_traitsISI_E10value_typeET2_T3_PNSJ_ISO_E10value_typeET4_T5_PST_SU_PNS1_23onesweep_lookback_stateEbbT6_jjT7_P12ihipStream_tbENKUlT_T0_SI_SN_E_clISD_SD_SD_SD_EEDaS11_S12_SI_SN_EUlS11_E_NS1_11comp_targetILNS1_3genE6ELNS1_11target_archE950ELNS1_3gpuE13ELNS1_3repE0EEENS1_47radix_sort_onesweep_sort_config_static_selectorELNS0_4arch9wavefront6targetE1EEEvSI_.has_dyn_sized_stack, 0
	.set _ZN7rocprim17ROCPRIM_400000_NS6detail17trampoline_kernelINS0_14default_configENS1_35radix_sort_onesweep_config_selectorIddEEZZNS1_29radix_sort_onesweep_iterationIS3_Lb0EN6thrust23THRUST_200600_302600_NS6detail15normal_iteratorINS8_10device_ptrIdEEEESD_SD_SD_jNS0_19identity_decomposerENS1_16block_id_wrapperIjLb0EEEEE10hipError_tT1_PNSt15iterator_traitsISI_E10value_typeET2_T3_PNSJ_ISO_E10value_typeET4_T5_PST_SU_PNS1_23onesweep_lookback_stateEbbT6_jjT7_P12ihipStream_tbENKUlT_T0_SI_SN_E_clISD_SD_SD_SD_EEDaS11_S12_SI_SN_EUlS11_E_NS1_11comp_targetILNS1_3genE6ELNS1_11target_archE950ELNS1_3gpuE13ELNS1_3repE0EEENS1_47radix_sort_onesweep_sort_config_static_selectorELNS0_4arch9wavefront6targetE1EEEvSI_.has_recursion, 0
	.set _ZN7rocprim17ROCPRIM_400000_NS6detail17trampoline_kernelINS0_14default_configENS1_35radix_sort_onesweep_config_selectorIddEEZZNS1_29radix_sort_onesweep_iterationIS3_Lb0EN6thrust23THRUST_200600_302600_NS6detail15normal_iteratorINS8_10device_ptrIdEEEESD_SD_SD_jNS0_19identity_decomposerENS1_16block_id_wrapperIjLb0EEEEE10hipError_tT1_PNSt15iterator_traitsISI_E10value_typeET2_T3_PNSJ_ISO_E10value_typeET4_T5_PST_SU_PNS1_23onesweep_lookback_stateEbbT6_jjT7_P12ihipStream_tbENKUlT_T0_SI_SN_E_clISD_SD_SD_SD_EEDaS11_S12_SI_SN_EUlS11_E_NS1_11comp_targetILNS1_3genE6ELNS1_11target_archE950ELNS1_3gpuE13ELNS1_3repE0EEENS1_47radix_sort_onesweep_sort_config_static_selectorELNS0_4arch9wavefront6targetE1EEEvSI_.has_indirect_call, 0
	.section	.AMDGPU.csdata,"",@progbits
; Kernel info:
; codeLenInByte = 13724
; TotalNumSgprs: 62
; NumVgprs: 58
; NumAgprs: 0
; TotalNumVgprs: 58
; ScratchSize: 48
; MemoryBound: 0
; FloatMode: 240
; IeeeMode: 1
; LDSByteSize: 53328 bytes/workgroup (compile time only)
; SGPRBlocks: 7
; VGPRBlocks: 7
; NumSGPRsForWavesPerEU: 62
; NumVGPRsForWavesPerEU: 58
; AccumOffset: 60
; Occupancy: 8
; WaveLimiterHint : 1
; COMPUTE_PGM_RSRC2:SCRATCH_EN: 1
; COMPUTE_PGM_RSRC2:USER_SGPR: 4
; COMPUTE_PGM_RSRC2:TRAP_HANDLER: 0
; COMPUTE_PGM_RSRC2:TGID_X_EN: 1
; COMPUTE_PGM_RSRC2:TGID_Y_EN: 0
; COMPUTE_PGM_RSRC2:TGID_Z_EN: 0
; COMPUTE_PGM_RSRC2:TIDIG_COMP_CNT: 2
; COMPUTE_PGM_RSRC3_GFX90A:ACCUM_OFFSET: 14
; COMPUTE_PGM_RSRC3_GFX90A:TG_SPLIT: 0
	.section	.text._ZN7rocprim17ROCPRIM_400000_NS6detail17trampoline_kernelINS0_14default_configENS1_35radix_sort_onesweep_config_selectorIddEEZZNS1_29radix_sort_onesweep_iterationIS3_Lb0EN6thrust23THRUST_200600_302600_NS6detail15normal_iteratorINS8_10device_ptrIdEEEESD_SD_SD_jNS0_19identity_decomposerENS1_16block_id_wrapperIjLb0EEEEE10hipError_tT1_PNSt15iterator_traitsISI_E10value_typeET2_T3_PNSJ_ISO_E10value_typeET4_T5_PST_SU_PNS1_23onesweep_lookback_stateEbbT6_jjT7_P12ihipStream_tbENKUlT_T0_SI_SN_E_clISD_SD_SD_SD_EEDaS11_S12_SI_SN_EUlS11_E_NS1_11comp_targetILNS1_3genE5ELNS1_11target_archE942ELNS1_3gpuE9ELNS1_3repE0EEENS1_47radix_sort_onesweep_sort_config_static_selectorELNS0_4arch9wavefront6targetE1EEEvSI_,"axG",@progbits,_ZN7rocprim17ROCPRIM_400000_NS6detail17trampoline_kernelINS0_14default_configENS1_35radix_sort_onesweep_config_selectorIddEEZZNS1_29radix_sort_onesweep_iterationIS3_Lb0EN6thrust23THRUST_200600_302600_NS6detail15normal_iteratorINS8_10device_ptrIdEEEESD_SD_SD_jNS0_19identity_decomposerENS1_16block_id_wrapperIjLb0EEEEE10hipError_tT1_PNSt15iterator_traitsISI_E10value_typeET2_T3_PNSJ_ISO_E10value_typeET4_T5_PST_SU_PNS1_23onesweep_lookback_stateEbbT6_jjT7_P12ihipStream_tbENKUlT_T0_SI_SN_E_clISD_SD_SD_SD_EEDaS11_S12_SI_SN_EUlS11_E_NS1_11comp_targetILNS1_3genE5ELNS1_11target_archE942ELNS1_3gpuE9ELNS1_3repE0EEENS1_47radix_sort_onesweep_sort_config_static_selectorELNS0_4arch9wavefront6targetE1EEEvSI_,comdat
	.protected	_ZN7rocprim17ROCPRIM_400000_NS6detail17trampoline_kernelINS0_14default_configENS1_35radix_sort_onesweep_config_selectorIddEEZZNS1_29radix_sort_onesweep_iterationIS3_Lb0EN6thrust23THRUST_200600_302600_NS6detail15normal_iteratorINS8_10device_ptrIdEEEESD_SD_SD_jNS0_19identity_decomposerENS1_16block_id_wrapperIjLb0EEEEE10hipError_tT1_PNSt15iterator_traitsISI_E10value_typeET2_T3_PNSJ_ISO_E10value_typeET4_T5_PST_SU_PNS1_23onesweep_lookback_stateEbbT6_jjT7_P12ihipStream_tbENKUlT_T0_SI_SN_E_clISD_SD_SD_SD_EEDaS11_S12_SI_SN_EUlS11_E_NS1_11comp_targetILNS1_3genE5ELNS1_11target_archE942ELNS1_3gpuE9ELNS1_3repE0EEENS1_47radix_sort_onesweep_sort_config_static_selectorELNS0_4arch9wavefront6targetE1EEEvSI_ ; -- Begin function _ZN7rocprim17ROCPRIM_400000_NS6detail17trampoline_kernelINS0_14default_configENS1_35radix_sort_onesweep_config_selectorIddEEZZNS1_29radix_sort_onesweep_iterationIS3_Lb0EN6thrust23THRUST_200600_302600_NS6detail15normal_iteratorINS8_10device_ptrIdEEEESD_SD_SD_jNS0_19identity_decomposerENS1_16block_id_wrapperIjLb0EEEEE10hipError_tT1_PNSt15iterator_traitsISI_E10value_typeET2_T3_PNSJ_ISO_E10value_typeET4_T5_PST_SU_PNS1_23onesweep_lookback_stateEbbT6_jjT7_P12ihipStream_tbENKUlT_T0_SI_SN_E_clISD_SD_SD_SD_EEDaS11_S12_SI_SN_EUlS11_E_NS1_11comp_targetILNS1_3genE5ELNS1_11target_archE942ELNS1_3gpuE9ELNS1_3repE0EEENS1_47radix_sort_onesweep_sort_config_static_selectorELNS0_4arch9wavefront6targetE1EEEvSI_
	.globl	_ZN7rocprim17ROCPRIM_400000_NS6detail17trampoline_kernelINS0_14default_configENS1_35radix_sort_onesweep_config_selectorIddEEZZNS1_29radix_sort_onesweep_iterationIS3_Lb0EN6thrust23THRUST_200600_302600_NS6detail15normal_iteratorINS8_10device_ptrIdEEEESD_SD_SD_jNS0_19identity_decomposerENS1_16block_id_wrapperIjLb0EEEEE10hipError_tT1_PNSt15iterator_traitsISI_E10value_typeET2_T3_PNSJ_ISO_E10value_typeET4_T5_PST_SU_PNS1_23onesweep_lookback_stateEbbT6_jjT7_P12ihipStream_tbENKUlT_T0_SI_SN_E_clISD_SD_SD_SD_EEDaS11_S12_SI_SN_EUlS11_E_NS1_11comp_targetILNS1_3genE5ELNS1_11target_archE942ELNS1_3gpuE9ELNS1_3repE0EEENS1_47radix_sort_onesweep_sort_config_static_selectorELNS0_4arch9wavefront6targetE1EEEvSI_
	.p2align	8
	.type	_ZN7rocprim17ROCPRIM_400000_NS6detail17trampoline_kernelINS0_14default_configENS1_35radix_sort_onesweep_config_selectorIddEEZZNS1_29radix_sort_onesweep_iterationIS3_Lb0EN6thrust23THRUST_200600_302600_NS6detail15normal_iteratorINS8_10device_ptrIdEEEESD_SD_SD_jNS0_19identity_decomposerENS1_16block_id_wrapperIjLb0EEEEE10hipError_tT1_PNSt15iterator_traitsISI_E10value_typeET2_T3_PNSJ_ISO_E10value_typeET4_T5_PST_SU_PNS1_23onesweep_lookback_stateEbbT6_jjT7_P12ihipStream_tbENKUlT_T0_SI_SN_E_clISD_SD_SD_SD_EEDaS11_S12_SI_SN_EUlS11_E_NS1_11comp_targetILNS1_3genE5ELNS1_11target_archE942ELNS1_3gpuE9ELNS1_3repE0EEENS1_47radix_sort_onesweep_sort_config_static_selectorELNS0_4arch9wavefront6targetE1EEEvSI_,@function
_ZN7rocprim17ROCPRIM_400000_NS6detail17trampoline_kernelINS0_14default_configENS1_35radix_sort_onesweep_config_selectorIddEEZZNS1_29radix_sort_onesweep_iterationIS3_Lb0EN6thrust23THRUST_200600_302600_NS6detail15normal_iteratorINS8_10device_ptrIdEEEESD_SD_SD_jNS0_19identity_decomposerENS1_16block_id_wrapperIjLb0EEEEE10hipError_tT1_PNSt15iterator_traitsISI_E10value_typeET2_T3_PNSJ_ISO_E10value_typeET4_T5_PST_SU_PNS1_23onesweep_lookback_stateEbbT6_jjT7_P12ihipStream_tbENKUlT_T0_SI_SN_E_clISD_SD_SD_SD_EEDaS11_S12_SI_SN_EUlS11_E_NS1_11comp_targetILNS1_3genE5ELNS1_11target_archE942ELNS1_3gpuE9ELNS1_3repE0EEENS1_47radix_sort_onesweep_sort_config_static_selectorELNS0_4arch9wavefront6targetE1EEEvSI_: ; @_ZN7rocprim17ROCPRIM_400000_NS6detail17trampoline_kernelINS0_14default_configENS1_35radix_sort_onesweep_config_selectorIddEEZZNS1_29radix_sort_onesweep_iterationIS3_Lb0EN6thrust23THRUST_200600_302600_NS6detail15normal_iteratorINS8_10device_ptrIdEEEESD_SD_SD_jNS0_19identity_decomposerENS1_16block_id_wrapperIjLb0EEEEE10hipError_tT1_PNSt15iterator_traitsISI_E10value_typeET2_T3_PNSJ_ISO_E10value_typeET4_T5_PST_SU_PNS1_23onesweep_lookback_stateEbbT6_jjT7_P12ihipStream_tbENKUlT_T0_SI_SN_E_clISD_SD_SD_SD_EEDaS11_S12_SI_SN_EUlS11_E_NS1_11comp_targetILNS1_3genE5ELNS1_11target_archE942ELNS1_3gpuE9ELNS1_3repE0EEENS1_47radix_sort_onesweep_sort_config_static_selectorELNS0_4arch9wavefront6targetE1EEEvSI_
; %bb.0:
	.section	.rodata,"a",@progbits
	.p2align	6, 0x0
	.amdhsa_kernel _ZN7rocprim17ROCPRIM_400000_NS6detail17trampoline_kernelINS0_14default_configENS1_35radix_sort_onesweep_config_selectorIddEEZZNS1_29radix_sort_onesweep_iterationIS3_Lb0EN6thrust23THRUST_200600_302600_NS6detail15normal_iteratorINS8_10device_ptrIdEEEESD_SD_SD_jNS0_19identity_decomposerENS1_16block_id_wrapperIjLb0EEEEE10hipError_tT1_PNSt15iterator_traitsISI_E10value_typeET2_T3_PNSJ_ISO_E10value_typeET4_T5_PST_SU_PNS1_23onesweep_lookback_stateEbbT6_jjT7_P12ihipStream_tbENKUlT_T0_SI_SN_E_clISD_SD_SD_SD_EEDaS11_S12_SI_SN_EUlS11_E_NS1_11comp_targetILNS1_3genE5ELNS1_11target_archE942ELNS1_3gpuE9ELNS1_3repE0EEENS1_47radix_sort_onesweep_sort_config_static_selectorELNS0_4arch9wavefront6targetE1EEEvSI_
		.amdhsa_group_segment_fixed_size 0
		.amdhsa_private_segment_fixed_size 0
		.amdhsa_kernarg_size 88
		.amdhsa_user_sgpr_count 2
		.amdhsa_user_sgpr_dispatch_ptr 0
		.amdhsa_user_sgpr_queue_ptr 0
		.amdhsa_user_sgpr_kernarg_segment_ptr 1
		.amdhsa_user_sgpr_dispatch_id 0
		.amdhsa_user_sgpr_kernarg_preload_length 0
		.amdhsa_user_sgpr_kernarg_preload_offset 0
		.amdhsa_user_sgpr_private_segment_size 0
		.amdhsa_uses_dynamic_stack 0
		.amdhsa_enable_private_segment 0
		.amdhsa_system_sgpr_workgroup_id_x 1
		.amdhsa_system_sgpr_workgroup_id_y 0
		.amdhsa_system_sgpr_workgroup_id_z 0
		.amdhsa_system_sgpr_workgroup_info 0
		.amdhsa_system_vgpr_workitem_id 0
		.amdhsa_next_free_vgpr 1
		.amdhsa_next_free_sgpr 0
		.amdhsa_accum_offset 4
		.amdhsa_reserve_vcc 0
		.amdhsa_float_round_mode_32 0
		.amdhsa_float_round_mode_16_64 0
		.amdhsa_float_denorm_mode_32 3
		.amdhsa_float_denorm_mode_16_64 3
		.amdhsa_dx10_clamp 1
		.amdhsa_ieee_mode 1
		.amdhsa_fp16_overflow 0
		.amdhsa_tg_split 0
		.amdhsa_exception_fp_ieee_invalid_op 0
		.amdhsa_exception_fp_denorm_src 0
		.amdhsa_exception_fp_ieee_div_zero 0
		.amdhsa_exception_fp_ieee_overflow 0
		.amdhsa_exception_fp_ieee_underflow 0
		.amdhsa_exception_fp_ieee_inexact 0
		.amdhsa_exception_int_div_zero 0
	.end_amdhsa_kernel
	.section	.text._ZN7rocprim17ROCPRIM_400000_NS6detail17trampoline_kernelINS0_14default_configENS1_35radix_sort_onesweep_config_selectorIddEEZZNS1_29radix_sort_onesweep_iterationIS3_Lb0EN6thrust23THRUST_200600_302600_NS6detail15normal_iteratorINS8_10device_ptrIdEEEESD_SD_SD_jNS0_19identity_decomposerENS1_16block_id_wrapperIjLb0EEEEE10hipError_tT1_PNSt15iterator_traitsISI_E10value_typeET2_T3_PNSJ_ISO_E10value_typeET4_T5_PST_SU_PNS1_23onesweep_lookback_stateEbbT6_jjT7_P12ihipStream_tbENKUlT_T0_SI_SN_E_clISD_SD_SD_SD_EEDaS11_S12_SI_SN_EUlS11_E_NS1_11comp_targetILNS1_3genE5ELNS1_11target_archE942ELNS1_3gpuE9ELNS1_3repE0EEENS1_47radix_sort_onesweep_sort_config_static_selectorELNS0_4arch9wavefront6targetE1EEEvSI_,"axG",@progbits,_ZN7rocprim17ROCPRIM_400000_NS6detail17trampoline_kernelINS0_14default_configENS1_35radix_sort_onesweep_config_selectorIddEEZZNS1_29radix_sort_onesweep_iterationIS3_Lb0EN6thrust23THRUST_200600_302600_NS6detail15normal_iteratorINS8_10device_ptrIdEEEESD_SD_SD_jNS0_19identity_decomposerENS1_16block_id_wrapperIjLb0EEEEE10hipError_tT1_PNSt15iterator_traitsISI_E10value_typeET2_T3_PNSJ_ISO_E10value_typeET4_T5_PST_SU_PNS1_23onesweep_lookback_stateEbbT6_jjT7_P12ihipStream_tbENKUlT_T0_SI_SN_E_clISD_SD_SD_SD_EEDaS11_S12_SI_SN_EUlS11_E_NS1_11comp_targetILNS1_3genE5ELNS1_11target_archE942ELNS1_3gpuE9ELNS1_3repE0EEENS1_47radix_sort_onesweep_sort_config_static_selectorELNS0_4arch9wavefront6targetE1EEEvSI_,comdat
.Lfunc_end138:
	.size	_ZN7rocprim17ROCPRIM_400000_NS6detail17trampoline_kernelINS0_14default_configENS1_35radix_sort_onesweep_config_selectorIddEEZZNS1_29radix_sort_onesweep_iterationIS3_Lb0EN6thrust23THRUST_200600_302600_NS6detail15normal_iteratorINS8_10device_ptrIdEEEESD_SD_SD_jNS0_19identity_decomposerENS1_16block_id_wrapperIjLb0EEEEE10hipError_tT1_PNSt15iterator_traitsISI_E10value_typeET2_T3_PNSJ_ISO_E10value_typeET4_T5_PST_SU_PNS1_23onesweep_lookback_stateEbbT6_jjT7_P12ihipStream_tbENKUlT_T0_SI_SN_E_clISD_SD_SD_SD_EEDaS11_S12_SI_SN_EUlS11_E_NS1_11comp_targetILNS1_3genE5ELNS1_11target_archE942ELNS1_3gpuE9ELNS1_3repE0EEENS1_47radix_sort_onesweep_sort_config_static_selectorELNS0_4arch9wavefront6targetE1EEEvSI_, .Lfunc_end138-_ZN7rocprim17ROCPRIM_400000_NS6detail17trampoline_kernelINS0_14default_configENS1_35radix_sort_onesweep_config_selectorIddEEZZNS1_29radix_sort_onesweep_iterationIS3_Lb0EN6thrust23THRUST_200600_302600_NS6detail15normal_iteratorINS8_10device_ptrIdEEEESD_SD_SD_jNS0_19identity_decomposerENS1_16block_id_wrapperIjLb0EEEEE10hipError_tT1_PNSt15iterator_traitsISI_E10value_typeET2_T3_PNSJ_ISO_E10value_typeET4_T5_PST_SU_PNS1_23onesweep_lookback_stateEbbT6_jjT7_P12ihipStream_tbENKUlT_T0_SI_SN_E_clISD_SD_SD_SD_EEDaS11_S12_SI_SN_EUlS11_E_NS1_11comp_targetILNS1_3genE5ELNS1_11target_archE942ELNS1_3gpuE9ELNS1_3repE0EEENS1_47radix_sort_onesweep_sort_config_static_selectorELNS0_4arch9wavefront6targetE1EEEvSI_
                                        ; -- End function
	.set _ZN7rocprim17ROCPRIM_400000_NS6detail17trampoline_kernelINS0_14default_configENS1_35radix_sort_onesweep_config_selectorIddEEZZNS1_29radix_sort_onesweep_iterationIS3_Lb0EN6thrust23THRUST_200600_302600_NS6detail15normal_iteratorINS8_10device_ptrIdEEEESD_SD_SD_jNS0_19identity_decomposerENS1_16block_id_wrapperIjLb0EEEEE10hipError_tT1_PNSt15iterator_traitsISI_E10value_typeET2_T3_PNSJ_ISO_E10value_typeET4_T5_PST_SU_PNS1_23onesweep_lookback_stateEbbT6_jjT7_P12ihipStream_tbENKUlT_T0_SI_SN_E_clISD_SD_SD_SD_EEDaS11_S12_SI_SN_EUlS11_E_NS1_11comp_targetILNS1_3genE5ELNS1_11target_archE942ELNS1_3gpuE9ELNS1_3repE0EEENS1_47radix_sort_onesweep_sort_config_static_selectorELNS0_4arch9wavefront6targetE1EEEvSI_.num_vgpr, 0
	.set _ZN7rocprim17ROCPRIM_400000_NS6detail17trampoline_kernelINS0_14default_configENS1_35radix_sort_onesweep_config_selectorIddEEZZNS1_29radix_sort_onesweep_iterationIS3_Lb0EN6thrust23THRUST_200600_302600_NS6detail15normal_iteratorINS8_10device_ptrIdEEEESD_SD_SD_jNS0_19identity_decomposerENS1_16block_id_wrapperIjLb0EEEEE10hipError_tT1_PNSt15iterator_traitsISI_E10value_typeET2_T3_PNSJ_ISO_E10value_typeET4_T5_PST_SU_PNS1_23onesweep_lookback_stateEbbT6_jjT7_P12ihipStream_tbENKUlT_T0_SI_SN_E_clISD_SD_SD_SD_EEDaS11_S12_SI_SN_EUlS11_E_NS1_11comp_targetILNS1_3genE5ELNS1_11target_archE942ELNS1_3gpuE9ELNS1_3repE0EEENS1_47radix_sort_onesweep_sort_config_static_selectorELNS0_4arch9wavefront6targetE1EEEvSI_.num_agpr, 0
	.set _ZN7rocprim17ROCPRIM_400000_NS6detail17trampoline_kernelINS0_14default_configENS1_35radix_sort_onesweep_config_selectorIddEEZZNS1_29radix_sort_onesweep_iterationIS3_Lb0EN6thrust23THRUST_200600_302600_NS6detail15normal_iteratorINS8_10device_ptrIdEEEESD_SD_SD_jNS0_19identity_decomposerENS1_16block_id_wrapperIjLb0EEEEE10hipError_tT1_PNSt15iterator_traitsISI_E10value_typeET2_T3_PNSJ_ISO_E10value_typeET4_T5_PST_SU_PNS1_23onesweep_lookback_stateEbbT6_jjT7_P12ihipStream_tbENKUlT_T0_SI_SN_E_clISD_SD_SD_SD_EEDaS11_S12_SI_SN_EUlS11_E_NS1_11comp_targetILNS1_3genE5ELNS1_11target_archE942ELNS1_3gpuE9ELNS1_3repE0EEENS1_47radix_sort_onesweep_sort_config_static_selectorELNS0_4arch9wavefront6targetE1EEEvSI_.numbered_sgpr, 0
	.set _ZN7rocprim17ROCPRIM_400000_NS6detail17trampoline_kernelINS0_14default_configENS1_35radix_sort_onesweep_config_selectorIddEEZZNS1_29radix_sort_onesweep_iterationIS3_Lb0EN6thrust23THRUST_200600_302600_NS6detail15normal_iteratorINS8_10device_ptrIdEEEESD_SD_SD_jNS0_19identity_decomposerENS1_16block_id_wrapperIjLb0EEEEE10hipError_tT1_PNSt15iterator_traitsISI_E10value_typeET2_T3_PNSJ_ISO_E10value_typeET4_T5_PST_SU_PNS1_23onesweep_lookback_stateEbbT6_jjT7_P12ihipStream_tbENKUlT_T0_SI_SN_E_clISD_SD_SD_SD_EEDaS11_S12_SI_SN_EUlS11_E_NS1_11comp_targetILNS1_3genE5ELNS1_11target_archE942ELNS1_3gpuE9ELNS1_3repE0EEENS1_47radix_sort_onesweep_sort_config_static_selectorELNS0_4arch9wavefront6targetE1EEEvSI_.num_named_barrier, 0
	.set _ZN7rocprim17ROCPRIM_400000_NS6detail17trampoline_kernelINS0_14default_configENS1_35radix_sort_onesweep_config_selectorIddEEZZNS1_29radix_sort_onesweep_iterationIS3_Lb0EN6thrust23THRUST_200600_302600_NS6detail15normal_iteratorINS8_10device_ptrIdEEEESD_SD_SD_jNS0_19identity_decomposerENS1_16block_id_wrapperIjLb0EEEEE10hipError_tT1_PNSt15iterator_traitsISI_E10value_typeET2_T3_PNSJ_ISO_E10value_typeET4_T5_PST_SU_PNS1_23onesweep_lookback_stateEbbT6_jjT7_P12ihipStream_tbENKUlT_T0_SI_SN_E_clISD_SD_SD_SD_EEDaS11_S12_SI_SN_EUlS11_E_NS1_11comp_targetILNS1_3genE5ELNS1_11target_archE942ELNS1_3gpuE9ELNS1_3repE0EEENS1_47radix_sort_onesweep_sort_config_static_selectorELNS0_4arch9wavefront6targetE1EEEvSI_.private_seg_size, 0
	.set _ZN7rocprim17ROCPRIM_400000_NS6detail17trampoline_kernelINS0_14default_configENS1_35radix_sort_onesweep_config_selectorIddEEZZNS1_29radix_sort_onesweep_iterationIS3_Lb0EN6thrust23THRUST_200600_302600_NS6detail15normal_iteratorINS8_10device_ptrIdEEEESD_SD_SD_jNS0_19identity_decomposerENS1_16block_id_wrapperIjLb0EEEEE10hipError_tT1_PNSt15iterator_traitsISI_E10value_typeET2_T3_PNSJ_ISO_E10value_typeET4_T5_PST_SU_PNS1_23onesweep_lookback_stateEbbT6_jjT7_P12ihipStream_tbENKUlT_T0_SI_SN_E_clISD_SD_SD_SD_EEDaS11_S12_SI_SN_EUlS11_E_NS1_11comp_targetILNS1_3genE5ELNS1_11target_archE942ELNS1_3gpuE9ELNS1_3repE0EEENS1_47radix_sort_onesweep_sort_config_static_selectorELNS0_4arch9wavefront6targetE1EEEvSI_.uses_vcc, 0
	.set _ZN7rocprim17ROCPRIM_400000_NS6detail17trampoline_kernelINS0_14default_configENS1_35radix_sort_onesweep_config_selectorIddEEZZNS1_29radix_sort_onesweep_iterationIS3_Lb0EN6thrust23THRUST_200600_302600_NS6detail15normal_iteratorINS8_10device_ptrIdEEEESD_SD_SD_jNS0_19identity_decomposerENS1_16block_id_wrapperIjLb0EEEEE10hipError_tT1_PNSt15iterator_traitsISI_E10value_typeET2_T3_PNSJ_ISO_E10value_typeET4_T5_PST_SU_PNS1_23onesweep_lookback_stateEbbT6_jjT7_P12ihipStream_tbENKUlT_T0_SI_SN_E_clISD_SD_SD_SD_EEDaS11_S12_SI_SN_EUlS11_E_NS1_11comp_targetILNS1_3genE5ELNS1_11target_archE942ELNS1_3gpuE9ELNS1_3repE0EEENS1_47radix_sort_onesweep_sort_config_static_selectorELNS0_4arch9wavefront6targetE1EEEvSI_.uses_flat_scratch, 0
	.set _ZN7rocprim17ROCPRIM_400000_NS6detail17trampoline_kernelINS0_14default_configENS1_35radix_sort_onesweep_config_selectorIddEEZZNS1_29radix_sort_onesweep_iterationIS3_Lb0EN6thrust23THRUST_200600_302600_NS6detail15normal_iteratorINS8_10device_ptrIdEEEESD_SD_SD_jNS0_19identity_decomposerENS1_16block_id_wrapperIjLb0EEEEE10hipError_tT1_PNSt15iterator_traitsISI_E10value_typeET2_T3_PNSJ_ISO_E10value_typeET4_T5_PST_SU_PNS1_23onesweep_lookback_stateEbbT6_jjT7_P12ihipStream_tbENKUlT_T0_SI_SN_E_clISD_SD_SD_SD_EEDaS11_S12_SI_SN_EUlS11_E_NS1_11comp_targetILNS1_3genE5ELNS1_11target_archE942ELNS1_3gpuE9ELNS1_3repE0EEENS1_47radix_sort_onesweep_sort_config_static_selectorELNS0_4arch9wavefront6targetE1EEEvSI_.has_dyn_sized_stack, 0
	.set _ZN7rocprim17ROCPRIM_400000_NS6detail17trampoline_kernelINS0_14default_configENS1_35radix_sort_onesweep_config_selectorIddEEZZNS1_29radix_sort_onesweep_iterationIS3_Lb0EN6thrust23THRUST_200600_302600_NS6detail15normal_iteratorINS8_10device_ptrIdEEEESD_SD_SD_jNS0_19identity_decomposerENS1_16block_id_wrapperIjLb0EEEEE10hipError_tT1_PNSt15iterator_traitsISI_E10value_typeET2_T3_PNSJ_ISO_E10value_typeET4_T5_PST_SU_PNS1_23onesweep_lookback_stateEbbT6_jjT7_P12ihipStream_tbENKUlT_T0_SI_SN_E_clISD_SD_SD_SD_EEDaS11_S12_SI_SN_EUlS11_E_NS1_11comp_targetILNS1_3genE5ELNS1_11target_archE942ELNS1_3gpuE9ELNS1_3repE0EEENS1_47radix_sort_onesweep_sort_config_static_selectorELNS0_4arch9wavefront6targetE1EEEvSI_.has_recursion, 0
	.set _ZN7rocprim17ROCPRIM_400000_NS6detail17trampoline_kernelINS0_14default_configENS1_35radix_sort_onesweep_config_selectorIddEEZZNS1_29radix_sort_onesweep_iterationIS3_Lb0EN6thrust23THRUST_200600_302600_NS6detail15normal_iteratorINS8_10device_ptrIdEEEESD_SD_SD_jNS0_19identity_decomposerENS1_16block_id_wrapperIjLb0EEEEE10hipError_tT1_PNSt15iterator_traitsISI_E10value_typeET2_T3_PNSJ_ISO_E10value_typeET4_T5_PST_SU_PNS1_23onesweep_lookback_stateEbbT6_jjT7_P12ihipStream_tbENKUlT_T0_SI_SN_E_clISD_SD_SD_SD_EEDaS11_S12_SI_SN_EUlS11_E_NS1_11comp_targetILNS1_3genE5ELNS1_11target_archE942ELNS1_3gpuE9ELNS1_3repE0EEENS1_47radix_sort_onesweep_sort_config_static_selectorELNS0_4arch9wavefront6targetE1EEEvSI_.has_indirect_call, 0
	.section	.AMDGPU.csdata,"",@progbits
; Kernel info:
; codeLenInByte = 0
; TotalNumSgprs: 6
; NumVgprs: 0
; NumAgprs: 0
; TotalNumVgprs: 0
; ScratchSize: 0
; MemoryBound: 0
; FloatMode: 240
; IeeeMode: 1
; LDSByteSize: 0 bytes/workgroup (compile time only)
; SGPRBlocks: 0
; VGPRBlocks: 0
; NumSGPRsForWavesPerEU: 6
; NumVGPRsForWavesPerEU: 1
; AccumOffset: 4
; Occupancy: 8
; WaveLimiterHint : 0
; COMPUTE_PGM_RSRC2:SCRATCH_EN: 0
; COMPUTE_PGM_RSRC2:USER_SGPR: 2
; COMPUTE_PGM_RSRC2:TRAP_HANDLER: 0
; COMPUTE_PGM_RSRC2:TGID_X_EN: 1
; COMPUTE_PGM_RSRC2:TGID_Y_EN: 0
; COMPUTE_PGM_RSRC2:TGID_Z_EN: 0
; COMPUTE_PGM_RSRC2:TIDIG_COMP_CNT: 0
; COMPUTE_PGM_RSRC3_GFX90A:ACCUM_OFFSET: 0
; COMPUTE_PGM_RSRC3_GFX90A:TG_SPLIT: 0
	.section	.text._ZN7rocprim17ROCPRIM_400000_NS6detail17trampoline_kernelINS0_14default_configENS1_35radix_sort_onesweep_config_selectorIddEEZZNS1_29radix_sort_onesweep_iterationIS3_Lb0EN6thrust23THRUST_200600_302600_NS6detail15normal_iteratorINS8_10device_ptrIdEEEESD_SD_SD_jNS0_19identity_decomposerENS1_16block_id_wrapperIjLb0EEEEE10hipError_tT1_PNSt15iterator_traitsISI_E10value_typeET2_T3_PNSJ_ISO_E10value_typeET4_T5_PST_SU_PNS1_23onesweep_lookback_stateEbbT6_jjT7_P12ihipStream_tbENKUlT_T0_SI_SN_E_clISD_SD_SD_SD_EEDaS11_S12_SI_SN_EUlS11_E_NS1_11comp_targetILNS1_3genE2ELNS1_11target_archE906ELNS1_3gpuE6ELNS1_3repE0EEENS1_47radix_sort_onesweep_sort_config_static_selectorELNS0_4arch9wavefront6targetE1EEEvSI_,"axG",@progbits,_ZN7rocprim17ROCPRIM_400000_NS6detail17trampoline_kernelINS0_14default_configENS1_35radix_sort_onesweep_config_selectorIddEEZZNS1_29radix_sort_onesweep_iterationIS3_Lb0EN6thrust23THRUST_200600_302600_NS6detail15normal_iteratorINS8_10device_ptrIdEEEESD_SD_SD_jNS0_19identity_decomposerENS1_16block_id_wrapperIjLb0EEEEE10hipError_tT1_PNSt15iterator_traitsISI_E10value_typeET2_T3_PNSJ_ISO_E10value_typeET4_T5_PST_SU_PNS1_23onesweep_lookback_stateEbbT6_jjT7_P12ihipStream_tbENKUlT_T0_SI_SN_E_clISD_SD_SD_SD_EEDaS11_S12_SI_SN_EUlS11_E_NS1_11comp_targetILNS1_3genE2ELNS1_11target_archE906ELNS1_3gpuE6ELNS1_3repE0EEENS1_47radix_sort_onesweep_sort_config_static_selectorELNS0_4arch9wavefront6targetE1EEEvSI_,comdat
	.protected	_ZN7rocprim17ROCPRIM_400000_NS6detail17trampoline_kernelINS0_14default_configENS1_35radix_sort_onesweep_config_selectorIddEEZZNS1_29radix_sort_onesweep_iterationIS3_Lb0EN6thrust23THRUST_200600_302600_NS6detail15normal_iteratorINS8_10device_ptrIdEEEESD_SD_SD_jNS0_19identity_decomposerENS1_16block_id_wrapperIjLb0EEEEE10hipError_tT1_PNSt15iterator_traitsISI_E10value_typeET2_T3_PNSJ_ISO_E10value_typeET4_T5_PST_SU_PNS1_23onesweep_lookback_stateEbbT6_jjT7_P12ihipStream_tbENKUlT_T0_SI_SN_E_clISD_SD_SD_SD_EEDaS11_S12_SI_SN_EUlS11_E_NS1_11comp_targetILNS1_3genE2ELNS1_11target_archE906ELNS1_3gpuE6ELNS1_3repE0EEENS1_47radix_sort_onesweep_sort_config_static_selectorELNS0_4arch9wavefront6targetE1EEEvSI_ ; -- Begin function _ZN7rocprim17ROCPRIM_400000_NS6detail17trampoline_kernelINS0_14default_configENS1_35radix_sort_onesweep_config_selectorIddEEZZNS1_29radix_sort_onesweep_iterationIS3_Lb0EN6thrust23THRUST_200600_302600_NS6detail15normal_iteratorINS8_10device_ptrIdEEEESD_SD_SD_jNS0_19identity_decomposerENS1_16block_id_wrapperIjLb0EEEEE10hipError_tT1_PNSt15iterator_traitsISI_E10value_typeET2_T3_PNSJ_ISO_E10value_typeET4_T5_PST_SU_PNS1_23onesweep_lookback_stateEbbT6_jjT7_P12ihipStream_tbENKUlT_T0_SI_SN_E_clISD_SD_SD_SD_EEDaS11_S12_SI_SN_EUlS11_E_NS1_11comp_targetILNS1_3genE2ELNS1_11target_archE906ELNS1_3gpuE6ELNS1_3repE0EEENS1_47radix_sort_onesweep_sort_config_static_selectorELNS0_4arch9wavefront6targetE1EEEvSI_
	.globl	_ZN7rocprim17ROCPRIM_400000_NS6detail17trampoline_kernelINS0_14default_configENS1_35radix_sort_onesweep_config_selectorIddEEZZNS1_29radix_sort_onesweep_iterationIS3_Lb0EN6thrust23THRUST_200600_302600_NS6detail15normal_iteratorINS8_10device_ptrIdEEEESD_SD_SD_jNS0_19identity_decomposerENS1_16block_id_wrapperIjLb0EEEEE10hipError_tT1_PNSt15iterator_traitsISI_E10value_typeET2_T3_PNSJ_ISO_E10value_typeET4_T5_PST_SU_PNS1_23onesweep_lookback_stateEbbT6_jjT7_P12ihipStream_tbENKUlT_T0_SI_SN_E_clISD_SD_SD_SD_EEDaS11_S12_SI_SN_EUlS11_E_NS1_11comp_targetILNS1_3genE2ELNS1_11target_archE906ELNS1_3gpuE6ELNS1_3repE0EEENS1_47radix_sort_onesweep_sort_config_static_selectorELNS0_4arch9wavefront6targetE1EEEvSI_
	.p2align	8
	.type	_ZN7rocprim17ROCPRIM_400000_NS6detail17trampoline_kernelINS0_14default_configENS1_35radix_sort_onesweep_config_selectorIddEEZZNS1_29radix_sort_onesweep_iterationIS3_Lb0EN6thrust23THRUST_200600_302600_NS6detail15normal_iteratorINS8_10device_ptrIdEEEESD_SD_SD_jNS0_19identity_decomposerENS1_16block_id_wrapperIjLb0EEEEE10hipError_tT1_PNSt15iterator_traitsISI_E10value_typeET2_T3_PNSJ_ISO_E10value_typeET4_T5_PST_SU_PNS1_23onesweep_lookback_stateEbbT6_jjT7_P12ihipStream_tbENKUlT_T0_SI_SN_E_clISD_SD_SD_SD_EEDaS11_S12_SI_SN_EUlS11_E_NS1_11comp_targetILNS1_3genE2ELNS1_11target_archE906ELNS1_3gpuE6ELNS1_3repE0EEENS1_47radix_sort_onesweep_sort_config_static_selectorELNS0_4arch9wavefront6targetE1EEEvSI_,@function
_ZN7rocprim17ROCPRIM_400000_NS6detail17trampoline_kernelINS0_14default_configENS1_35radix_sort_onesweep_config_selectorIddEEZZNS1_29radix_sort_onesweep_iterationIS3_Lb0EN6thrust23THRUST_200600_302600_NS6detail15normal_iteratorINS8_10device_ptrIdEEEESD_SD_SD_jNS0_19identity_decomposerENS1_16block_id_wrapperIjLb0EEEEE10hipError_tT1_PNSt15iterator_traitsISI_E10value_typeET2_T3_PNSJ_ISO_E10value_typeET4_T5_PST_SU_PNS1_23onesweep_lookback_stateEbbT6_jjT7_P12ihipStream_tbENKUlT_T0_SI_SN_E_clISD_SD_SD_SD_EEDaS11_S12_SI_SN_EUlS11_E_NS1_11comp_targetILNS1_3genE2ELNS1_11target_archE906ELNS1_3gpuE6ELNS1_3repE0EEENS1_47radix_sort_onesweep_sort_config_static_selectorELNS0_4arch9wavefront6targetE1EEEvSI_: ; @_ZN7rocprim17ROCPRIM_400000_NS6detail17trampoline_kernelINS0_14default_configENS1_35radix_sort_onesweep_config_selectorIddEEZZNS1_29radix_sort_onesweep_iterationIS3_Lb0EN6thrust23THRUST_200600_302600_NS6detail15normal_iteratorINS8_10device_ptrIdEEEESD_SD_SD_jNS0_19identity_decomposerENS1_16block_id_wrapperIjLb0EEEEE10hipError_tT1_PNSt15iterator_traitsISI_E10value_typeET2_T3_PNSJ_ISO_E10value_typeET4_T5_PST_SU_PNS1_23onesweep_lookback_stateEbbT6_jjT7_P12ihipStream_tbENKUlT_T0_SI_SN_E_clISD_SD_SD_SD_EEDaS11_S12_SI_SN_EUlS11_E_NS1_11comp_targetILNS1_3genE2ELNS1_11target_archE906ELNS1_3gpuE6ELNS1_3repE0EEENS1_47radix_sort_onesweep_sort_config_static_selectorELNS0_4arch9wavefront6targetE1EEEvSI_
; %bb.0:
	.section	.rodata,"a",@progbits
	.p2align	6, 0x0
	.amdhsa_kernel _ZN7rocprim17ROCPRIM_400000_NS6detail17trampoline_kernelINS0_14default_configENS1_35radix_sort_onesweep_config_selectorIddEEZZNS1_29radix_sort_onesweep_iterationIS3_Lb0EN6thrust23THRUST_200600_302600_NS6detail15normal_iteratorINS8_10device_ptrIdEEEESD_SD_SD_jNS0_19identity_decomposerENS1_16block_id_wrapperIjLb0EEEEE10hipError_tT1_PNSt15iterator_traitsISI_E10value_typeET2_T3_PNSJ_ISO_E10value_typeET4_T5_PST_SU_PNS1_23onesweep_lookback_stateEbbT6_jjT7_P12ihipStream_tbENKUlT_T0_SI_SN_E_clISD_SD_SD_SD_EEDaS11_S12_SI_SN_EUlS11_E_NS1_11comp_targetILNS1_3genE2ELNS1_11target_archE906ELNS1_3gpuE6ELNS1_3repE0EEENS1_47radix_sort_onesweep_sort_config_static_selectorELNS0_4arch9wavefront6targetE1EEEvSI_
		.amdhsa_group_segment_fixed_size 0
		.amdhsa_private_segment_fixed_size 0
		.amdhsa_kernarg_size 88
		.amdhsa_user_sgpr_count 2
		.amdhsa_user_sgpr_dispatch_ptr 0
		.amdhsa_user_sgpr_queue_ptr 0
		.amdhsa_user_sgpr_kernarg_segment_ptr 1
		.amdhsa_user_sgpr_dispatch_id 0
		.amdhsa_user_sgpr_kernarg_preload_length 0
		.amdhsa_user_sgpr_kernarg_preload_offset 0
		.amdhsa_user_sgpr_private_segment_size 0
		.amdhsa_uses_dynamic_stack 0
		.amdhsa_enable_private_segment 0
		.amdhsa_system_sgpr_workgroup_id_x 1
		.amdhsa_system_sgpr_workgroup_id_y 0
		.amdhsa_system_sgpr_workgroup_id_z 0
		.amdhsa_system_sgpr_workgroup_info 0
		.amdhsa_system_vgpr_workitem_id 0
		.amdhsa_next_free_vgpr 1
		.amdhsa_next_free_sgpr 0
		.amdhsa_accum_offset 4
		.amdhsa_reserve_vcc 0
		.amdhsa_float_round_mode_32 0
		.amdhsa_float_round_mode_16_64 0
		.amdhsa_float_denorm_mode_32 3
		.amdhsa_float_denorm_mode_16_64 3
		.amdhsa_dx10_clamp 1
		.amdhsa_ieee_mode 1
		.amdhsa_fp16_overflow 0
		.amdhsa_tg_split 0
		.amdhsa_exception_fp_ieee_invalid_op 0
		.amdhsa_exception_fp_denorm_src 0
		.amdhsa_exception_fp_ieee_div_zero 0
		.amdhsa_exception_fp_ieee_overflow 0
		.amdhsa_exception_fp_ieee_underflow 0
		.amdhsa_exception_fp_ieee_inexact 0
		.amdhsa_exception_int_div_zero 0
	.end_amdhsa_kernel
	.section	.text._ZN7rocprim17ROCPRIM_400000_NS6detail17trampoline_kernelINS0_14default_configENS1_35radix_sort_onesweep_config_selectorIddEEZZNS1_29radix_sort_onesweep_iterationIS3_Lb0EN6thrust23THRUST_200600_302600_NS6detail15normal_iteratorINS8_10device_ptrIdEEEESD_SD_SD_jNS0_19identity_decomposerENS1_16block_id_wrapperIjLb0EEEEE10hipError_tT1_PNSt15iterator_traitsISI_E10value_typeET2_T3_PNSJ_ISO_E10value_typeET4_T5_PST_SU_PNS1_23onesweep_lookback_stateEbbT6_jjT7_P12ihipStream_tbENKUlT_T0_SI_SN_E_clISD_SD_SD_SD_EEDaS11_S12_SI_SN_EUlS11_E_NS1_11comp_targetILNS1_3genE2ELNS1_11target_archE906ELNS1_3gpuE6ELNS1_3repE0EEENS1_47radix_sort_onesweep_sort_config_static_selectorELNS0_4arch9wavefront6targetE1EEEvSI_,"axG",@progbits,_ZN7rocprim17ROCPRIM_400000_NS6detail17trampoline_kernelINS0_14default_configENS1_35radix_sort_onesweep_config_selectorIddEEZZNS1_29radix_sort_onesweep_iterationIS3_Lb0EN6thrust23THRUST_200600_302600_NS6detail15normal_iteratorINS8_10device_ptrIdEEEESD_SD_SD_jNS0_19identity_decomposerENS1_16block_id_wrapperIjLb0EEEEE10hipError_tT1_PNSt15iterator_traitsISI_E10value_typeET2_T3_PNSJ_ISO_E10value_typeET4_T5_PST_SU_PNS1_23onesweep_lookback_stateEbbT6_jjT7_P12ihipStream_tbENKUlT_T0_SI_SN_E_clISD_SD_SD_SD_EEDaS11_S12_SI_SN_EUlS11_E_NS1_11comp_targetILNS1_3genE2ELNS1_11target_archE906ELNS1_3gpuE6ELNS1_3repE0EEENS1_47radix_sort_onesweep_sort_config_static_selectorELNS0_4arch9wavefront6targetE1EEEvSI_,comdat
.Lfunc_end139:
	.size	_ZN7rocprim17ROCPRIM_400000_NS6detail17trampoline_kernelINS0_14default_configENS1_35radix_sort_onesweep_config_selectorIddEEZZNS1_29radix_sort_onesweep_iterationIS3_Lb0EN6thrust23THRUST_200600_302600_NS6detail15normal_iteratorINS8_10device_ptrIdEEEESD_SD_SD_jNS0_19identity_decomposerENS1_16block_id_wrapperIjLb0EEEEE10hipError_tT1_PNSt15iterator_traitsISI_E10value_typeET2_T3_PNSJ_ISO_E10value_typeET4_T5_PST_SU_PNS1_23onesweep_lookback_stateEbbT6_jjT7_P12ihipStream_tbENKUlT_T0_SI_SN_E_clISD_SD_SD_SD_EEDaS11_S12_SI_SN_EUlS11_E_NS1_11comp_targetILNS1_3genE2ELNS1_11target_archE906ELNS1_3gpuE6ELNS1_3repE0EEENS1_47radix_sort_onesweep_sort_config_static_selectorELNS0_4arch9wavefront6targetE1EEEvSI_, .Lfunc_end139-_ZN7rocprim17ROCPRIM_400000_NS6detail17trampoline_kernelINS0_14default_configENS1_35radix_sort_onesweep_config_selectorIddEEZZNS1_29radix_sort_onesweep_iterationIS3_Lb0EN6thrust23THRUST_200600_302600_NS6detail15normal_iteratorINS8_10device_ptrIdEEEESD_SD_SD_jNS0_19identity_decomposerENS1_16block_id_wrapperIjLb0EEEEE10hipError_tT1_PNSt15iterator_traitsISI_E10value_typeET2_T3_PNSJ_ISO_E10value_typeET4_T5_PST_SU_PNS1_23onesweep_lookback_stateEbbT6_jjT7_P12ihipStream_tbENKUlT_T0_SI_SN_E_clISD_SD_SD_SD_EEDaS11_S12_SI_SN_EUlS11_E_NS1_11comp_targetILNS1_3genE2ELNS1_11target_archE906ELNS1_3gpuE6ELNS1_3repE0EEENS1_47radix_sort_onesweep_sort_config_static_selectorELNS0_4arch9wavefront6targetE1EEEvSI_
                                        ; -- End function
	.set _ZN7rocprim17ROCPRIM_400000_NS6detail17trampoline_kernelINS0_14default_configENS1_35radix_sort_onesweep_config_selectorIddEEZZNS1_29radix_sort_onesweep_iterationIS3_Lb0EN6thrust23THRUST_200600_302600_NS6detail15normal_iteratorINS8_10device_ptrIdEEEESD_SD_SD_jNS0_19identity_decomposerENS1_16block_id_wrapperIjLb0EEEEE10hipError_tT1_PNSt15iterator_traitsISI_E10value_typeET2_T3_PNSJ_ISO_E10value_typeET4_T5_PST_SU_PNS1_23onesweep_lookback_stateEbbT6_jjT7_P12ihipStream_tbENKUlT_T0_SI_SN_E_clISD_SD_SD_SD_EEDaS11_S12_SI_SN_EUlS11_E_NS1_11comp_targetILNS1_3genE2ELNS1_11target_archE906ELNS1_3gpuE6ELNS1_3repE0EEENS1_47radix_sort_onesweep_sort_config_static_selectorELNS0_4arch9wavefront6targetE1EEEvSI_.num_vgpr, 0
	.set _ZN7rocprim17ROCPRIM_400000_NS6detail17trampoline_kernelINS0_14default_configENS1_35radix_sort_onesweep_config_selectorIddEEZZNS1_29radix_sort_onesweep_iterationIS3_Lb0EN6thrust23THRUST_200600_302600_NS6detail15normal_iteratorINS8_10device_ptrIdEEEESD_SD_SD_jNS0_19identity_decomposerENS1_16block_id_wrapperIjLb0EEEEE10hipError_tT1_PNSt15iterator_traitsISI_E10value_typeET2_T3_PNSJ_ISO_E10value_typeET4_T5_PST_SU_PNS1_23onesweep_lookback_stateEbbT6_jjT7_P12ihipStream_tbENKUlT_T0_SI_SN_E_clISD_SD_SD_SD_EEDaS11_S12_SI_SN_EUlS11_E_NS1_11comp_targetILNS1_3genE2ELNS1_11target_archE906ELNS1_3gpuE6ELNS1_3repE0EEENS1_47radix_sort_onesweep_sort_config_static_selectorELNS0_4arch9wavefront6targetE1EEEvSI_.num_agpr, 0
	.set _ZN7rocprim17ROCPRIM_400000_NS6detail17trampoline_kernelINS0_14default_configENS1_35radix_sort_onesweep_config_selectorIddEEZZNS1_29radix_sort_onesweep_iterationIS3_Lb0EN6thrust23THRUST_200600_302600_NS6detail15normal_iteratorINS8_10device_ptrIdEEEESD_SD_SD_jNS0_19identity_decomposerENS1_16block_id_wrapperIjLb0EEEEE10hipError_tT1_PNSt15iterator_traitsISI_E10value_typeET2_T3_PNSJ_ISO_E10value_typeET4_T5_PST_SU_PNS1_23onesweep_lookback_stateEbbT6_jjT7_P12ihipStream_tbENKUlT_T0_SI_SN_E_clISD_SD_SD_SD_EEDaS11_S12_SI_SN_EUlS11_E_NS1_11comp_targetILNS1_3genE2ELNS1_11target_archE906ELNS1_3gpuE6ELNS1_3repE0EEENS1_47radix_sort_onesweep_sort_config_static_selectorELNS0_4arch9wavefront6targetE1EEEvSI_.numbered_sgpr, 0
	.set _ZN7rocprim17ROCPRIM_400000_NS6detail17trampoline_kernelINS0_14default_configENS1_35radix_sort_onesweep_config_selectorIddEEZZNS1_29radix_sort_onesweep_iterationIS3_Lb0EN6thrust23THRUST_200600_302600_NS6detail15normal_iteratorINS8_10device_ptrIdEEEESD_SD_SD_jNS0_19identity_decomposerENS1_16block_id_wrapperIjLb0EEEEE10hipError_tT1_PNSt15iterator_traitsISI_E10value_typeET2_T3_PNSJ_ISO_E10value_typeET4_T5_PST_SU_PNS1_23onesweep_lookback_stateEbbT6_jjT7_P12ihipStream_tbENKUlT_T0_SI_SN_E_clISD_SD_SD_SD_EEDaS11_S12_SI_SN_EUlS11_E_NS1_11comp_targetILNS1_3genE2ELNS1_11target_archE906ELNS1_3gpuE6ELNS1_3repE0EEENS1_47radix_sort_onesweep_sort_config_static_selectorELNS0_4arch9wavefront6targetE1EEEvSI_.num_named_barrier, 0
	.set _ZN7rocprim17ROCPRIM_400000_NS6detail17trampoline_kernelINS0_14default_configENS1_35radix_sort_onesweep_config_selectorIddEEZZNS1_29radix_sort_onesweep_iterationIS3_Lb0EN6thrust23THRUST_200600_302600_NS6detail15normal_iteratorINS8_10device_ptrIdEEEESD_SD_SD_jNS0_19identity_decomposerENS1_16block_id_wrapperIjLb0EEEEE10hipError_tT1_PNSt15iterator_traitsISI_E10value_typeET2_T3_PNSJ_ISO_E10value_typeET4_T5_PST_SU_PNS1_23onesweep_lookback_stateEbbT6_jjT7_P12ihipStream_tbENKUlT_T0_SI_SN_E_clISD_SD_SD_SD_EEDaS11_S12_SI_SN_EUlS11_E_NS1_11comp_targetILNS1_3genE2ELNS1_11target_archE906ELNS1_3gpuE6ELNS1_3repE0EEENS1_47radix_sort_onesweep_sort_config_static_selectorELNS0_4arch9wavefront6targetE1EEEvSI_.private_seg_size, 0
	.set _ZN7rocprim17ROCPRIM_400000_NS6detail17trampoline_kernelINS0_14default_configENS1_35radix_sort_onesweep_config_selectorIddEEZZNS1_29radix_sort_onesweep_iterationIS3_Lb0EN6thrust23THRUST_200600_302600_NS6detail15normal_iteratorINS8_10device_ptrIdEEEESD_SD_SD_jNS0_19identity_decomposerENS1_16block_id_wrapperIjLb0EEEEE10hipError_tT1_PNSt15iterator_traitsISI_E10value_typeET2_T3_PNSJ_ISO_E10value_typeET4_T5_PST_SU_PNS1_23onesweep_lookback_stateEbbT6_jjT7_P12ihipStream_tbENKUlT_T0_SI_SN_E_clISD_SD_SD_SD_EEDaS11_S12_SI_SN_EUlS11_E_NS1_11comp_targetILNS1_3genE2ELNS1_11target_archE906ELNS1_3gpuE6ELNS1_3repE0EEENS1_47radix_sort_onesweep_sort_config_static_selectorELNS0_4arch9wavefront6targetE1EEEvSI_.uses_vcc, 0
	.set _ZN7rocprim17ROCPRIM_400000_NS6detail17trampoline_kernelINS0_14default_configENS1_35radix_sort_onesweep_config_selectorIddEEZZNS1_29radix_sort_onesweep_iterationIS3_Lb0EN6thrust23THRUST_200600_302600_NS6detail15normal_iteratorINS8_10device_ptrIdEEEESD_SD_SD_jNS0_19identity_decomposerENS1_16block_id_wrapperIjLb0EEEEE10hipError_tT1_PNSt15iterator_traitsISI_E10value_typeET2_T3_PNSJ_ISO_E10value_typeET4_T5_PST_SU_PNS1_23onesweep_lookback_stateEbbT6_jjT7_P12ihipStream_tbENKUlT_T0_SI_SN_E_clISD_SD_SD_SD_EEDaS11_S12_SI_SN_EUlS11_E_NS1_11comp_targetILNS1_3genE2ELNS1_11target_archE906ELNS1_3gpuE6ELNS1_3repE0EEENS1_47radix_sort_onesweep_sort_config_static_selectorELNS0_4arch9wavefront6targetE1EEEvSI_.uses_flat_scratch, 0
	.set _ZN7rocprim17ROCPRIM_400000_NS6detail17trampoline_kernelINS0_14default_configENS1_35radix_sort_onesweep_config_selectorIddEEZZNS1_29radix_sort_onesweep_iterationIS3_Lb0EN6thrust23THRUST_200600_302600_NS6detail15normal_iteratorINS8_10device_ptrIdEEEESD_SD_SD_jNS0_19identity_decomposerENS1_16block_id_wrapperIjLb0EEEEE10hipError_tT1_PNSt15iterator_traitsISI_E10value_typeET2_T3_PNSJ_ISO_E10value_typeET4_T5_PST_SU_PNS1_23onesweep_lookback_stateEbbT6_jjT7_P12ihipStream_tbENKUlT_T0_SI_SN_E_clISD_SD_SD_SD_EEDaS11_S12_SI_SN_EUlS11_E_NS1_11comp_targetILNS1_3genE2ELNS1_11target_archE906ELNS1_3gpuE6ELNS1_3repE0EEENS1_47radix_sort_onesweep_sort_config_static_selectorELNS0_4arch9wavefront6targetE1EEEvSI_.has_dyn_sized_stack, 0
	.set _ZN7rocprim17ROCPRIM_400000_NS6detail17trampoline_kernelINS0_14default_configENS1_35radix_sort_onesweep_config_selectorIddEEZZNS1_29radix_sort_onesweep_iterationIS3_Lb0EN6thrust23THRUST_200600_302600_NS6detail15normal_iteratorINS8_10device_ptrIdEEEESD_SD_SD_jNS0_19identity_decomposerENS1_16block_id_wrapperIjLb0EEEEE10hipError_tT1_PNSt15iterator_traitsISI_E10value_typeET2_T3_PNSJ_ISO_E10value_typeET4_T5_PST_SU_PNS1_23onesweep_lookback_stateEbbT6_jjT7_P12ihipStream_tbENKUlT_T0_SI_SN_E_clISD_SD_SD_SD_EEDaS11_S12_SI_SN_EUlS11_E_NS1_11comp_targetILNS1_3genE2ELNS1_11target_archE906ELNS1_3gpuE6ELNS1_3repE0EEENS1_47radix_sort_onesweep_sort_config_static_selectorELNS0_4arch9wavefront6targetE1EEEvSI_.has_recursion, 0
	.set _ZN7rocprim17ROCPRIM_400000_NS6detail17trampoline_kernelINS0_14default_configENS1_35radix_sort_onesweep_config_selectorIddEEZZNS1_29radix_sort_onesweep_iterationIS3_Lb0EN6thrust23THRUST_200600_302600_NS6detail15normal_iteratorINS8_10device_ptrIdEEEESD_SD_SD_jNS0_19identity_decomposerENS1_16block_id_wrapperIjLb0EEEEE10hipError_tT1_PNSt15iterator_traitsISI_E10value_typeET2_T3_PNSJ_ISO_E10value_typeET4_T5_PST_SU_PNS1_23onesweep_lookback_stateEbbT6_jjT7_P12ihipStream_tbENKUlT_T0_SI_SN_E_clISD_SD_SD_SD_EEDaS11_S12_SI_SN_EUlS11_E_NS1_11comp_targetILNS1_3genE2ELNS1_11target_archE906ELNS1_3gpuE6ELNS1_3repE0EEENS1_47radix_sort_onesweep_sort_config_static_selectorELNS0_4arch9wavefront6targetE1EEEvSI_.has_indirect_call, 0
	.section	.AMDGPU.csdata,"",@progbits
; Kernel info:
; codeLenInByte = 0
; TotalNumSgprs: 6
; NumVgprs: 0
; NumAgprs: 0
; TotalNumVgprs: 0
; ScratchSize: 0
; MemoryBound: 0
; FloatMode: 240
; IeeeMode: 1
; LDSByteSize: 0 bytes/workgroup (compile time only)
; SGPRBlocks: 0
; VGPRBlocks: 0
; NumSGPRsForWavesPerEU: 6
; NumVGPRsForWavesPerEU: 1
; AccumOffset: 4
; Occupancy: 8
; WaveLimiterHint : 0
; COMPUTE_PGM_RSRC2:SCRATCH_EN: 0
; COMPUTE_PGM_RSRC2:USER_SGPR: 2
; COMPUTE_PGM_RSRC2:TRAP_HANDLER: 0
; COMPUTE_PGM_RSRC2:TGID_X_EN: 1
; COMPUTE_PGM_RSRC2:TGID_Y_EN: 0
; COMPUTE_PGM_RSRC2:TGID_Z_EN: 0
; COMPUTE_PGM_RSRC2:TIDIG_COMP_CNT: 0
; COMPUTE_PGM_RSRC3_GFX90A:ACCUM_OFFSET: 0
; COMPUTE_PGM_RSRC3_GFX90A:TG_SPLIT: 0
	.section	.text._ZN7rocprim17ROCPRIM_400000_NS6detail17trampoline_kernelINS0_14default_configENS1_35radix_sort_onesweep_config_selectorIddEEZZNS1_29radix_sort_onesweep_iterationIS3_Lb0EN6thrust23THRUST_200600_302600_NS6detail15normal_iteratorINS8_10device_ptrIdEEEESD_SD_SD_jNS0_19identity_decomposerENS1_16block_id_wrapperIjLb0EEEEE10hipError_tT1_PNSt15iterator_traitsISI_E10value_typeET2_T3_PNSJ_ISO_E10value_typeET4_T5_PST_SU_PNS1_23onesweep_lookback_stateEbbT6_jjT7_P12ihipStream_tbENKUlT_T0_SI_SN_E_clISD_SD_SD_SD_EEDaS11_S12_SI_SN_EUlS11_E_NS1_11comp_targetILNS1_3genE4ELNS1_11target_archE910ELNS1_3gpuE8ELNS1_3repE0EEENS1_47radix_sort_onesweep_sort_config_static_selectorELNS0_4arch9wavefront6targetE1EEEvSI_,"axG",@progbits,_ZN7rocprim17ROCPRIM_400000_NS6detail17trampoline_kernelINS0_14default_configENS1_35radix_sort_onesweep_config_selectorIddEEZZNS1_29radix_sort_onesweep_iterationIS3_Lb0EN6thrust23THRUST_200600_302600_NS6detail15normal_iteratorINS8_10device_ptrIdEEEESD_SD_SD_jNS0_19identity_decomposerENS1_16block_id_wrapperIjLb0EEEEE10hipError_tT1_PNSt15iterator_traitsISI_E10value_typeET2_T3_PNSJ_ISO_E10value_typeET4_T5_PST_SU_PNS1_23onesweep_lookback_stateEbbT6_jjT7_P12ihipStream_tbENKUlT_T0_SI_SN_E_clISD_SD_SD_SD_EEDaS11_S12_SI_SN_EUlS11_E_NS1_11comp_targetILNS1_3genE4ELNS1_11target_archE910ELNS1_3gpuE8ELNS1_3repE0EEENS1_47radix_sort_onesweep_sort_config_static_selectorELNS0_4arch9wavefront6targetE1EEEvSI_,comdat
	.protected	_ZN7rocprim17ROCPRIM_400000_NS6detail17trampoline_kernelINS0_14default_configENS1_35radix_sort_onesweep_config_selectorIddEEZZNS1_29radix_sort_onesweep_iterationIS3_Lb0EN6thrust23THRUST_200600_302600_NS6detail15normal_iteratorINS8_10device_ptrIdEEEESD_SD_SD_jNS0_19identity_decomposerENS1_16block_id_wrapperIjLb0EEEEE10hipError_tT1_PNSt15iterator_traitsISI_E10value_typeET2_T3_PNSJ_ISO_E10value_typeET4_T5_PST_SU_PNS1_23onesweep_lookback_stateEbbT6_jjT7_P12ihipStream_tbENKUlT_T0_SI_SN_E_clISD_SD_SD_SD_EEDaS11_S12_SI_SN_EUlS11_E_NS1_11comp_targetILNS1_3genE4ELNS1_11target_archE910ELNS1_3gpuE8ELNS1_3repE0EEENS1_47radix_sort_onesweep_sort_config_static_selectorELNS0_4arch9wavefront6targetE1EEEvSI_ ; -- Begin function _ZN7rocprim17ROCPRIM_400000_NS6detail17trampoline_kernelINS0_14default_configENS1_35radix_sort_onesweep_config_selectorIddEEZZNS1_29radix_sort_onesweep_iterationIS3_Lb0EN6thrust23THRUST_200600_302600_NS6detail15normal_iteratorINS8_10device_ptrIdEEEESD_SD_SD_jNS0_19identity_decomposerENS1_16block_id_wrapperIjLb0EEEEE10hipError_tT1_PNSt15iterator_traitsISI_E10value_typeET2_T3_PNSJ_ISO_E10value_typeET4_T5_PST_SU_PNS1_23onesweep_lookback_stateEbbT6_jjT7_P12ihipStream_tbENKUlT_T0_SI_SN_E_clISD_SD_SD_SD_EEDaS11_S12_SI_SN_EUlS11_E_NS1_11comp_targetILNS1_3genE4ELNS1_11target_archE910ELNS1_3gpuE8ELNS1_3repE0EEENS1_47radix_sort_onesweep_sort_config_static_selectorELNS0_4arch9wavefront6targetE1EEEvSI_
	.globl	_ZN7rocprim17ROCPRIM_400000_NS6detail17trampoline_kernelINS0_14default_configENS1_35radix_sort_onesweep_config_selectorIddEEZZNS1_29radix_sort_onesweep_iterationIS3_Lb0EN6thrust23THRUST_200600_302600_NS6detail15normal_iteratorINS8_10device_ptrIdEEEESD_SD_SD_jNS0_19identity_decomposerENS1_16block_id_wrapperIjLb0EEEEE10hipError_tT1_PNSt15iterator_traitsISI_E10value_typeET2_T3_PNSJ_ISO_E10value_typeET4_T5_PST_SU_PNS1_23onesweep_lookback_stateEbbT6_jjT7_P12ihipStream_tbENKUlT_T0_SI_SN_E_clISD_SD_SD_SD_EEDaS11_S12_SI_SN_EUlS11_E_NS1_11comp_targetILNS1_3genE4ELNS1_11target_archE910ELNS1_3gpuE8ELNS1_3repE0EEENS1_47radix_sort_onesweep_sort_config_static_selectorELNS0_4arch9wavefront6targetE1EEEvSI_
	.p2align	8
	.type	_ZN7rocprim17ROCPRIM_400000_NS6detail17trampoline_kernelINS0_14default_configENS1_35radix_sort_onesweep_config_selectorIddEEZZNS1_29radix_sort_onesweep_iterationIS3_Lb0EN6thrust23THRUST_200600_302600_NS6detail15normal_iteratorINS8_10device_ptrIdEEEESD_SD_SD_jNS0_19identity_decomposerENS1_16block_id_wrapperIjLb0EEEEE10hipError_tT1_PNSt15iterator_traitsISI_E10value_typeET2_T3_PNSJ_ISO_E10value_typeET4_T5_PST_SU_PNS1_23onesweep_lookback_stateEbbT6_jjT7_P12ihipStream_tbENKUlT_T0_SI_SN_E_clISD_SD_SD_SD_EEDaS11_S12_SI_SN_EUlS11_E_NS1_11comp_targetILNS1_3genE4ELNS1_11target_archE910ELNS1_3gpuE8ELNS1_3repE0EEENS1_47radix_sort_onesweep_sort_config_static_selectorELNS0_4arch9wavefront6targetE1EEEvSI_,@function
_ZN7rocprim17ROCPRIM_400000_NS6detail17trampoline_kernelINS0_14default_configENS1_35radix_sort_onesweep_config_selectorIddEEZZNS1_29radix_sort_onesweep_iterationIS3_Lb0EN6thrust23THRUST_200600_302600_NS6detail15normal_iteratorINS8_10device_ptrIdEEEESD_SD_SD_jNS0_19identity_decomposerENS1_16block_id_wrapperIjLb0EEEEE10hipError_tT1_PNSt15iterator_traitsISI_E10value_typeET2_T3_PNSJ_ISO_E10value_typeET4_T5_PST_SU_PNS1_23onesweep_lookback_stateEbbT6_jjT7_P12ihipStream_tbENKUlT_T0_SI_SN_E_clISD_SD_SD_SD_EEDaS11_S12_SI_SN_EUlS11_E_NS1_11comp_targetILNS1_3genE4ELNS1_11target_archE910ELNS1_3gpuE8ELNS1_3repE0EEENS1_47radix_sort_onesweep_sort_config_static_selectorELNS0_4arch9wavefront6targetE1EEEvSI_: ; @_ZN7rocprim17ROCPRIM_400000_NS6detail17trampoline_kernelINS0_14default_configENS1_35radix_sort_onesweep_config_selectorIddEEZZNS1_29radix_sort_onesweep_iterationIS3_Lb0EN6thrust23THRUST_200600_302600_NS6detail15normal_iteratorINS8_10device_ptrIdEEEESD_SD_SD_jNS0_19identity_decomposerENS1_16block_id_wrapperIjLb0EEEEE10hipError_tT1_PNSt15iterator_traitsISI_E10value_typeET2_T3_PNSJ_ISO_E10value_typeET4_T5_PST_SU_PNS1_23onesweep_lookback_stateEbbT6_jjT7_P12ihipStream_tbENKUlT_T0_SI_SN_E_clISD_SD_SD_SD_EEDaS11_S12_SI_SN_EUlS11_E_NS1_11comp_targetILNS1_3genE4ELNS1_11target_archE910ELNS1_3gpuE8ELNS1_3repE0EEENS1_47radix_sort_onesweep_sort_config_static_selectorELNS0_4arch9wavefront6targetE1EEEvSI_
; %bb.0:
	.section	.rodata,"a",@progbits
	.p2align	6, 0x0
	.amdhsa_kernel _ZN7rocprim17ROCPRIM_400000_NS6detail17trampoline_kernelINS0_14default_configENS1_35radix_sort_onesweep_config_selectorIddEEZZNS1_29radix_sort_onesweep_iterationIS3_Lb0EN6thrust23THRUST_200600_302600_NS6detail15normal_iteratorINS8_10device_ptrIdEEEESD_SD_SD_jNS0_19identity_decomposerENS1_16block_id_wrapperIjLb0EEEEE10hipError_tT1_PNSt15iterator_traitsISI_E10value_typeET2_T3_PNSJ_ISO_E10value_typeET4_T5_PST_SU_PNS1_23onesweep_lookback_stateEbbT6_jjT7_P12ihipStream_tbENKUlT_T0_SI_SN_E_clISD_SD_SD_SD_EEDaS11_S12_SI_SN_EUlS11_E_NS1_11comp_targetILNS1_3genE4ELNS1_11target_archE910ELNS1_3gpuE8ELNS1_3repE0EEENS1_47radix_sort_onesweep_sort_config_static_selectorELNS0_4arch9wavefront6targetE1EEEvSI_
		.amdhsa_group_segment_fixed_size 0
		.amdhsa_private_segment_fixed_size 0
		.amdhsa_kernarg_size 88
		.amdhsa_user_sgpr_count 2
		.amdhsa_user_sgpr_dispatch_ptr 0
		.amdhsa_user_sgpr_queue_ptr 0
		.amdhsa_user_sgpr_kernarg_segment_ptr 1
		.amdhsa_user_sgpr_dispatch_id 0
		.amdhsa_user_sgpr_kernarg_preload_length 0
		.amdhsa_user_sgpr_kernarg_preload_offset 0
		.amdhsa_user_sgpr_private_segment_size 0
		.amdhsa_uses_dynamic_stack 0
		.amdhsa_enable_private_segment 0
		.amdhsa_system_sgpr_workgroup_id_x 1
		.amdhsa_system_sgpr_workgroup_id_y 0
		.amdhsa_system_sgpr_workgroup_id_z 0
		.amdhsa_system_sgpr_workgroup_info 0
		.amdhsa_system_vgpr_workitem_id 0
		.amdhsa_next_free_vgpr 1
		.amdhsa_next_free_sgpr 0
		.amdhsa_accum_offset 4
		.amdhsa_reserve_vcc 0
		.amdhsa_float_round_mode_32 0
		.amdhsa_float_round_mode_16_64 0
		.amdhsa_float_denorm_mode_32 3
		.amdhsa_float_denorm_mode_16_64 3
		.amdhsa_dx10_clamp 1
		.amdhsa_ieee_mode 1
		.amdhsa_fp16_overflow 0
		.amdhsa_tg_split 0
		.amdhsa_exception_fp_ieee_invalid_op 0
		.amdhsa_exception_fp_denorm_src 0
		.amdhsa_exception_fp_ieee_div_zero 0
		.amdhsa_exception_fp_ieee_overflow 0
		.amdhsa_exception_fp_ieee_underflow 0
		.amdhsa_exception_fp_ieee_inexact 0
		.amdhsa_exception_int_div_zero 0
	.end_amdhsa_kernel
	.section	.text._ZN7rocprim17ROCPRIM_400000_NS6detail17trampoline_kernelINS0_14default_configENS1_35radix_sort_onesweep_config_selectorIddEEZZNS1_29radix_sort_onesweep_iterationIS3_Lb0EN6thrust23THRUST_200600_302600_NS6detail15normal_iteratorINS8_10device_ptrIdEEEESD_SD_SD_jNS0_19identity_decomposerENS1_16block_id_wrapperIjLb0EEEEE10hipError_tT1_PNSt15iterator_traitsISI_E10value_typeET2_T3_PNSJ_ISO_E10value_typeET4_T5_PST_SU_PNS1_23onesweep_lookback_stateEbbT6_jjT7_P12ihipStream_tbENKUlT_T0_SI_SN_E_clISD_SD_SD_SD_EEDaS11_S12_SI_SN_EUlS11_E_NS1_11comp_targetILNS1_3genE4ELNS1_11target_archE910ELNS1_3gpuE8ELNS1_3repE0EEENS1_47radix_sort_onesweep_sort_config_static_selectorELNS0_4arch9wavefront6targetE1EEEvSI_,"axG",@progbits,_ZN7rocprim17ROCPRIM_400000_NS6detail17trampoline_kernelINS0_14default_configENS1_35radix_sort_onesweep_config_selectorIddEEZZNS1_29radix_sort_onesweep_iterationIS3_Lb0EN6thrust23THRUST_200600_302600_NS6detail15normal_iteratorINS8_10device_ptrIdEEEESD_SD_SD_jNS0_19identity_decomposerENS1_16block_id_wrapperIjLb0EEEEE10hipError_tT1_PNSt15iterator_traitsISI_E10value_typeET2_T3_PNSJ_ISO_E10value_typeET4_T5_PST_SU_PNS1_23onesweep_lookback_stateEbbT6_jjT7_P12ihipStream_tbENKUlT_T0_SI_SN_E_clISD_SD_SD_SD_EEDaS11_S12_SI_SN_EUlS11_E_NS1_11comp_targetILNS1_3genE4ELNS1_11target_archE910ELNS1_3gpuE8ELNS1_3repE0EEENS1_47radix_sort_onesweep_sort_config_static_selectorELNS0_4arch9wavefront6targetE1EEEvSI_,comdat
.Lfunc_end140:
	.size	_ZN7rocprim17ROCPRIM_400000_NS6detail17trampoline_kernelINS0_14default_configENS1_35radix_sort_onesweep_config_selectorIddEEZZNS1_29radix_sort_onesweep_iterationIS3_Lb0EN6thrust23THRUST_200600_302600_NS6detail15normal_iteratorINS8_10device_ptrIdEEEESD_SD_SD_jNS0_19identity_decomposerENS1_16block_id_wrapperIjLb0EEEEE10hipError_tT1_PNSt15iterator_traitsISI_E10value_typeET2_T3_PNSJ_ISO_E10value_typeET4_T5_PST_SU_PNS1_23onesweep_lookback_stateEbbT6_jjT7_P12ihipStream_tbENKUlT_T0_SI_SN_E_clISD_SD_SD_SD_EEDaS11_S12_SI_SN_EUlS11_E_NS1_11comp_targetILNS1_3genE4ELNS1_11target_archE910ELNS1_3gpuE8ELNS1_3repE0EEENS1_47radix_sort_onesweep_sort_config_static_selectorELNS0_4arch9wavefront6targetE1EEEvSI_, .Lfunc_end140-_ZN7rocprim17ROCPRIM_400000_NS6detail17trampoline_kernelINS0_14default_configENS1_35radix_sort_onesweep_config_selectorIddEEZZNS1_29radix_sort_onesweep_iterationIS3_Lb0EN6thrust23THRUST_200600_302600_NS6detail15normal_iteratorINS8_10device_ptrIdEEEESD_SD_SD_jNS0_19identity_decomposerENS1_16block_id_wrapperIjLb0EEEEE10hipError_tT1_PNSt15iterator_traitsISI_E10value_typeET2_T3_PNSJ_ISO_E10value_typeET4_T5_PST_SU_PNS1_23onesweep_lookback_stateEbbT6_jjT7_P12ihipStream_tbENKUlT_T0_SI_SN_E_clISD_SD_SD_SD_EEDaS11_S12_SI_SN_EUlS11_E_NS1_11comp_targetILNS1_3genE4ELNS1_11target_archE910ELNS1_3gpuE8ELNS1_3repE0EEENS1_47radix_sort_onesweep_sort_config_static_selectorELNS0_4arch9wavefront6targetE1EEEvSI_
                                        ; -- End function
	.set _ZN7rocprim17ROCPRIM_400000_NS6detail17trampoline_kernelINS0_14default_configENS1_35radix_sort_onesweep_config_selectorIddEEZZNS1_29radix_sort_onesweep_iterationIS3_Lb0EN6thrust23THRUST_200600_302600_NS6detail15normal_iteratorINS8_10device_ptrIdEEEESD_SD_SD_jNS0_19identity_decomposerENS1_16block_id_wrapperIjLb0EEEEE10hipError_tT1_PNSt15iterator_traitsISI_E10value_typeET2_T3_PNSJ_ISO_E10value_typeET4_T5_PST_SU_PNS1_23onesweep_lookback_stateEbbT6_jjT7_P12ihipStream_tbENKUlT_T0_SI_SN_E_clISD_SD_SD_SD_EEDaS11_S12_SI_SN_EUlS11_E_NS1_11comp_targetILNS1_3genE4ELNS1_11target_archE910ELNS1_3gpuE8ELNS1_3repE0EEENS1_47radix_sort_onesweep_sort_config_static_selectorELNS0_4arch9wavefront6targetE1EEEvSI_.num_vgpr, 0
	.set _ZN7rocprim17ROCPRIM_400000_NS6detail17trampoline_kernelINS0_14default_configENS1_35radix_sort_onesweep_config_selectorIddEEZZNS1_29radix_sort_onesweep_iterationIS3_Lb0EN6thrust23THRUST_200600_302600_NS6detail15normal_iteratorINS8_10device_ptrIdEEEESD_SD_SD_jNS0_19identity_decomposerENS1_16block_id_wrapperIjLb0EEEEE10hipError_tT1_PNSt15iterator_traitsISI_E10value_typeET2_T3_PNSJ_ISO_E10value_typeET4_T5_PST_SU_PNS1_23onesweep_lookback_stateEbbT6_jjT7_P12ihipStream_tbENKUlT_T0_SI_SN_E_clISD_SD_SD_SD_EEDaS11_S12_SI_SN_EUlS11_E_NS1_11comp_targetILNS1_3genE4ELNS1_11target_archE910ELNS1_3gpuE8ELNS1_3repE0EEENS1_47radix_sort_onesweep_sort_config_static_selectorELNS0_4arch9wavefront6targetE1EEEvSI_.num_agpr, 0
	.set _ZN7rocprim17ROCPRIM_400000_NS6detail17trampoline_kernelINS0_14default_configENS1_35radix_sort_onesweep_config_selectorIddEEZZNS1_29radix_sort_onesweep_iterationIS3_Lb0EN6thrust23THRUST_200600_302600_NS6detail15normal_iteratorINS8_10device_ptrIdEEEESD_SD_SD_jNS0_19identity_decomposerENS1_16block_id_wrapperIjLb0EEEEE10hipError_tT1_PNSt15iterator_traitsISI_E10value_typeET2_T3_PNSJ_ISO_E10value_typeET4_T5_PST_SU_PNS1_23onesweep_lookback_stateEbbT6_jjT7_P12ihipStream_tbENKUlT_T0_SI_SN_E_clISD_SD_SD_SD_EEDaS11_S12_SI_SN_EUlS11_E_NS1_11comp_targetILNS1_3genE4ELNS1_11target_archE910ELNS1_3gpuE8ELNS1_3repE0EEENS1_47radix_sort_onesweep_sort_config_static_selectorELNS0_4arch9wavefront6targetE1EEEvSI_.numbered_sgpr, 0
	.set _ZN7rocprim17ROCPRIM_400000_NS6detail17trampoline_kernelINS0_14default_configENS1_35radix_sort_onesweep_config_selectorIddEEZZNS1_29radix_sort_onesweep_iterationIS3_Lb0EN6thrust23THRUST_200600_302600_NS6detail15normal_iteratorINS8_10device_ptrIdEEEESD_SD_SD_jNS0_19identity_decomposerENS1_16block_id_wrapperIjLb0EEEEE10hipError_tT1_PNSt15iterator_traitsISI_E10value_typeET2_T3_PNSJ_ISO_E10value_typeET4_T5_PST_SU_PNS1_23onesweep_lookback_stateEbbT6_jjT7_P12ihipStream_tbENKUlT_T0_SI_SN_E_clISD_SD_SD_SD_EEDaS11_S12_SI_SN_EUlS11_E_NS1_11comp_targetILNS1_3genE4ELNS1_11target_archE910ELNS1_3gpuE8ELNS1_3repE0EEENS1_47radix_sort_onesweep_sort_config_static_selectorELNS0_4arch9wavefront6targetE1EEEvSI_.num_named_barrier, 0
	.set _ZN7rocprim17ROCPRIM_400000_NS6detail17trampoline_kernelINS0_14default_configENS1_35radix_sort_onesweep_config_selectorIddEEZZNS1_29radix_sort_onesweep_iterationIS3_Lb0EN6thrust23THRUST_200600_302600_NS6detail15normal_iteratorINS8_10device_ptrIdEEEESD_SD_SD_jNS0_19identity_decomposerENS1_16block_id_wrapperIjLb0EEEEE10hipError_tT1_PNSt15iterator_traitsISI_E10value_typeET2_T3_PNSJ_ISO_E10value_typeET4_T5_PST_SU_PNS1_23onesweep_lookback_stateEbbT6_jjT7_P12ihipStream_tbENKUlT_T0_SI_SN_E_clISD_SD_SD_SD_EEDaS11_S12_SI_SN_EUlS11_E_NS1_11comp_targetILNS1_3genE4ELNS1_11target_archE910ELNS1_3gpuE8ELNS1_3repE0EEENS1_47radix_sort_onesweep_sort_config_static_selectorELNS0_4arch9wavefront6targetE1EEEvSI_.private_seg_size, 0
	.set _ZN7rocprim17ROCPRIM_400000_NS6detail17trampoline_kernelINS0_14default_configENS1_35radix_sort_onesweep_config_selectorIddEEZZNS1_29radix_sort_onesweep_iterationIS3_Lb0EN6thrust23THRUST_200600_302600_NS6detail15normal_iteratorINS8_10device_ptrIdEEEESD_SD_SD_jNS0_19identity_decomposerENS1_16block_id_wrapperIjLb0EEEEE10hipError_tT1_PNSt15iterator_traitsISI_E10value_typeET2_T3_PNSJ_ISO_E10value_typeET4_T5_PST_SU_PNS1_23onesweep_lookback_stateEbbT6_jjT7_P12ihipStream_tbENKUlT_T0_SI_SN_E_clISD_SD_SD_SD_EEDaS11_S12_SI_SN_EUlS11_E_NS1_11comp_targetILNS1_3genE4ELNS1_11target_archE910ELNS1_3gpuE8ELNS1_3repE0EEENS1_47radix_sort_onesweep_sort_config_static_selectorELNS0_4arch9wavefront6targetE1EEEvSI_.uses_vcc, 0
	.set _ZN7rocprim17ROCPRIM_400000_NS6detail17trampoline_kernelINS0_14default_configENS1_35radix_sort_onesweep_config_selectorIddEEZZNS1_29radix_sort_onesweep_iterationIS3_Lb0EN6thrust23THRUST_200600_302600_NS6detail15normal_iteratorINS8_10device_ptrIdEEEESD_SD_SD_jNS0_19identity_decomposerENS1_16block_id_wrapperIjLb0EEEEE10hipError_tT1_PNSt15iterator_traitsISI_E10value_typeET2_T3_PNSJ_ISO_E10value_typeET4_T5_PST_SU_PNS1_23onesweep_lookback_stateEbbT6_jjT7_P12ihipStream_tbENKUlT_T0_SI_SN_E_clISD_SD_SD_SD_EEDaS11_S12_SI_SN_EUlS11_E_NS1_11comp_targetILNS1_3genE4ELNS1_11target_archE910ELNS1_3gpuE8ELNS1_3repE0EEENS1_47radix_sort_onesweep_sort_config_static_selectorELNS0_4arch9wavefront6targetE1EEEvSI_.uses_flat_scratch, 0
	.set _ZN7rocprim17ROCPRIM_400000_NS6detail17trampoline_kernelINS0_14default_configENS1_35radix_sort_onesweep_config_selectorIddEEZZNS1_29radix_sort_onesweep_iterationIS3_Lb0EN6thrust23THRUST_200600_302600_NS6detail15normal_iteratorINS8_10device_ptrIdEEEESD_SD_SD_jNS0_19identity_decomposerENS1_16block_id_wrapperIjLb0EEEEE10hipError_tT1_PNSt15iterator_traitsISI_E10value_typeET2_T3_PNSJ_ISO_E10value_typeET4_T5_PST_SU_PNS1_23onesweep_lookback_stateEbbT6_jjT7_P12ihipStream_tbENKUlT_T0_SI_SN_E_clISD_SD_SD_SD_EEDaS11_S12_SI_SN_EUlS11_E_NS1_11comp_targetILNS1_3genE4ELNS1_11target_archE910ELNS1_3gpuE8ELNS1_3repE0EEENS1_47radix_sort_onesweep_sort_config_static_selectorELNS0_4arch9wavefront6targetE1EEEvSI_.has_dyn_sized_stack, 0
	.set _ZN7rocprim17ROCPRIM_400000_NS6detail17trampoline_kernelINS0_14default_configENS1_35radix_sort_onesweep_config_selectorIddEEZZNS1_29radix_sort_onesweep_iterationIS3_Lb0EN6thrust23THRUST_200600_302600_NS6detail15normal_iteratorINS8_10device_ptrIdEEEESD_SD_SD_jNS0_19identity_decomposerENS1_16block_id_wrapperIjLb0EEEEE10hipError_tT1_PNSt15iterator_traitsISI_E10value_typeET2_T3_PNSJ_ISO_E10value_typeET4_T5_PST_SU_PNS1_23onesweep_lookback_stateEbbT6_jjT7_P12ihipStream_tbENKUlT_T0_SI_SN_E_clISD_SD_SD_SD_EEDaS11_S12_SI_SN_EUlS11_E_NS1_11comp_targetILNS1_3genE4ELNS1_11target_archE910ELNS1_3gpuE8ELNS1_3repE0EEENS1_47radix_sort_onesweep_sort_config_static_selectorELNS0_4arch9wavefront6targetE1EEEvSI_.has_recursion, 0
	.set _ZN7rocprim17ROCPRIM_400000_NS6detail17trampoline_kernelINS0_14default_configENS1_35radix_sort_onesweep_config_selectorIddEEZZNS1_29radix_sort_onesweep_iterationIS3_Lb0EN6thrust23THRUST_200600_302600_NS6detail15normal_iteratorINS8_10device_ptrIdEEEESD_SD_SD_jNS0_19identity_decomposerENS1_16block_id_wrapperIjLb0EEEEE10hipError_tT1_PNSt15iterator_traitsISI_E10value_typeET2_T3_PNSJ_ISO_E10value_typeET4_T5_PST_SU_PNS1_23onesweep_lookback_stateEbbT6_jjT7_P12ihipStream_tbENKUlT_T0_SI_SN_E_clISD_SD_SD_SD_EEDaS11_S12_SI_SN_EUlS11_E_NS1_11comp_targetILNS1_3genE4ELNS1_11target_archE910ELNS1_3gpuE8ELNS1_3repE0EEENS1_47radix_sort_onesweep_sort_config_static_selectorELNS0_4arch9wavefront6targetE1EEEvSI_.has_indirect_call, 0
	.section	.AMDGPU.csdata,"",@progbits
; Kernel info:
; codeLenInByte = 0
; TotalNumSgprs: 6
; NumVgprs: 0
; NumAgprs: 0
; TotalNumVgprs: 0
; ScratchSize: 0
; MemoryBound: 0
; FloatMode: 240
; IeeeMode: 1
; LDSByteSize: 0 bytes/workgroup (compile time only)
; SGPRBlocks: 0
; VGPRBlocks: 0
; NumSGPRsForWavesPerEU: 6
; NumVGPRsForWavesPerEU: 1
; AccumOffset: 4
; Occupancy: 8
; WaveLimiterHint : 0
; COMPUTE_PGM_RSRC2:SCRATCH_EN: 0
; COMPUTE_PGM_RSRC2:USER_SGPR: 2
; COMPUTE_PGM_RSRC2:TRAP_HANDLER: 0
; COMPUTE_PGM_RSRC2:TGID_X_EN: 1
; COMPUTE_PGM_RSRC2:TGID_Y_EN: 0
; COMPUTE_PGM_RSRC2:TGID_Z_EN: 0
; COMPUTE_PGM_RSRC2:TIDIG_COMP_CNT: 0
; COMPUTE_PGM_RSRC3_GFX90A:ACCUM_OFFSET: 0
; COMPUTE_PGM_RSRC3_GFX90A:TG_SPLIT: 0
	.section	.text._ZN7rocprim17ROCPRIM_400000_NS6detail17trampoline_kernelINS0_14default_configENS1_35radix_sort_onesweep_config_selectorIddEEZZNS1_29radix_sort_onesweep_iterationIS3_Lb0EN6thrust23THRUST_200600_302600_NS6detail15normal_iteratorINS8_10device_ptrIdEEEESD_SD_SD_jNS0_19identity_decomposerENS1_16block_id_wrapperIjLb0EEEEE10hipError_tT1_PNSt15iterator_traitsISI_E10value_typeET2_T3_PNSJ_ISO_E10value_typeET4_T5_PST_SU_PNS1_23onesweep_lookback_stateEbbT6_jjT7_P12ihipStream_tbENKUlT_T0_SI_SN_E_clISD_SD_SD_SD_EEDaS11_S12_SI_SN_EUlS11_E_NS1_11comp_targetILNS1_3genE3ELNS1_11target_archE908ELNS1_3gpuE7ELNS1_3repE0EEENS1_47radix_sort_onesweep_sort_config_static_selectorELNS0_4arch9wavefront6targetE1EEEvSI_,"axG",@progbits,_ZN7rocprim17ROCPRIM_400000_NS6detail17trampoline_kernelINS0_14default_configENS1_35radix_sort_onesweep_config_selectorIddEEZZNS1_29radix_sort_onesweep_iterationIS3_Lb0EN6thrust23THRUST_200600_302600_NS6detail15normal_iteratorINS8_10device_ptrIdEEEESD_SD_SD_jNS0_19identity_decomposerENS1_16block_id_wrapperIjLb0EEEEE10hipError_tT1_PNSt15iterator_traitsISI_E10value_typeET2_T3_PNSJ_ISO_E10value_typeET4_T5_PST_SU_PNS1_23onesweep_lookback_stateEbbT6_jjT7_P12ihipStream_tbENKUlT_T0_SI_SN_E_clISD_SD_SD_SD_EEDaS11_S12_SI_SN_EUlS11_E_NS1_11comp_targetILNS1_3genE3ELNS1_11target_archE908ELNS1_3gpuE7ELNS1_3repE0EEENS1_47radix_sort_onesweep_sort_config_static_selectorELNS0_4arch9wavefront6targetE1EEEvSI_,comdat
	.protected	_ZN7rocprim17ROCPRIM_400000_NS6detail17trampoline_kernelINS0_14default_configENS1_35radix_sort_onesweep_config_selectorIddEEZZNS1_29radix_sort_onesweep_iterationIS3_Lb0EN6thrust23THRUST_200600_302600_NS6detail15normal_iteratorINS8_10device_ptrIdEEEESD_SD_SD_jNS0_19identity_decomposerENS1_16block_id_wrapperIjLb0EEEEE10hipError_tT1_PNSt15iterator_traitsISI_E10value_typeET2_T3_PNSJ_ISO_E10value_typeET4_T5_PST_SU_PNS1_23onesweep_lookback_stateEbbT6_jjT7_P12ihipStream_tbENKUlT_T0_SI_SN_E_clISD_SD_SD_SD_EEDaS11_S12_SI_SN_EUlS11_E_NS1_11comp_targetILNS1_3genE3ELNS1_11target_archE908ELNS1_3gpuE7ELNS1_3repE0EEENS1_47radix_sort_onesweep_sort_config_static_selectorELNS0_4arch9wavefront6targetE1EEEvSI_ ; -- Begin function _ZN7rocprim17ROCPRIM_400000_NS6detail17trampoline_kernelINS0_14default_configENS1_35radix_sort_onesweep_config_selectorIddEEZZNS1_29radix_sort_onesweep_iterationIS3_Lb0EN6thrust23THRUST_200600_302600_NS6detail15normal_iteratorINS8_10device_ptrIdEEEESD_SD_SD_jNS0_19identity_decomposerENS1_16block_id_wrapperIjLb0EEEEE10hipError_tT1_PNSt15iterator_traitsISI_E10value_typeET2_T3_PNSJ_ISO_E10value_typeET4_T5_PST_SU_PNS1_23onesweep_lookback_stateEbbT6_jjT7_P12ihipStream_tbENKUlT_T0_SI_SN_E_clISD_SD_SD_SD_EEDaS11_S12_SI_SN_EUlS11_E_NS1_11comp_targetILNS1_3genE3ELNS1_11target_archE908ELNS1_3gpuE7ELNS1_3repE0EEENS1_47radix_sort_onesweep_sort_config_static_selectorELNS0_4arch9wavefront6targetE1EEEvSI_
	.globl	_ZN7rocprim17ROCPRIM_400000_NS6detail17trampoline_kernelINS0_14default_configENS1_35radix_sort_onesweep_config_selectorIddEEZZNS1_29radix_sort_onesweep_iterationIS3_Lb0EN6thrust23THRUST_200600_302600_NS6detail15normal_iteratorINS8_10device_ptrIdEEEESD_SD_SD_jNS0_19identity_decomposerENS1_16block_id_wrapperIjLb0EEEEE10hipError_tT1_PNSt15iterator_traitsISI_E10value_typeET2_T3_PNSJ_ISO_E10value_typeET4_T5_PST_SU_PNS1_23onesweep_lookback_stateEbbT6_jjT7_P12ihipStream_tbENKUlT_T0_SI_SN_E_clISD_SD_SD_SD_EEDaS11_S12_SI_SN_EUlS11_E_NS1_11comp_targetILNS1_3genE3ELNS1_11target_archE908ELNS1_3gpuE7ELNS1_3repE0EEENS1_47radix_sort_onesweep_sort_config_static_selectorELNS0_4arch9wavefront6targetE1EEEvSI_
	.p2align	8
	.type	_ZN7rocprim17ROCPRIM_400000_NS6detail17trampoline_kernelINS0_14default_configENS1_35radix_sort_onesweep_config_selectorIddEEZZNS1_29radix_sort_onesweep_iterationIS3_Lb0EN6thrust23THRUST_200600_302600_NS6detail15normal_iteratorINS8_10device_ptrIdEEEESD_SD_SD_jNS0_19identity_decomposerENS1_16block_id_wrapperIjLb0EEEEE10hipError_tT1_PNSt15iterator_traitsISI_E10value_typeET2_T3_PNSJ_ISO_E10value_typeET4_T5_PST_SU_PNS1_23onesweep_lookback_stateEbbT6_jjT7_P12ihipStream_tbENKUlT_T0_SI_SN_E_clISD_SD_SD_SD_EEDaS11_S12_SI_SN_EUlS11_E_NS1_11comp_targetILNS1_3genE3ELNS1_11target_archE908ELNS1_3gpuE7ELNS1_3repE0EEENS1_47radix_sort_onesweep_sort_config_static_selectorELNS0_4arch9wavefront6targetE1EEEvSI_,@function
_ZN7rocprim17ROCPRIM_400000_NS6detail17trampoline_kernelINS0_14default_configENS1_35radix_sort_onesweep_config_selectorIddEEZZNS1_29radix_sort_onesweep_iterationIS3_Lb0EN6thrust23THRUST_200600_302600_NS6detail15normal_iteratorINS8_10device_ptrIdEEEESD_SD_SD_jNS0_19identity_decomposerENS1_16block_id_wrapperIjLb0EEEEE10hipError_tT1_PNSt15iterator_traitsISI_E10value_typeET2_T3_PNSJ_ISO_E10value_typeET4_T5_PST_SU_PNS1_23onesweep_lookback_stateEbbT6_jjT7_P12ihipStream_tbENKUlT_T0_SI_SN_E_clISD_SD_SD_SD_EEDaS11_S12_SI_SN_EUlS11_E_NS1_11comp_targetILNS1_3genE3ELNS1_11target_archE908ELNS1_3gpuE7ELNS1_3repE0EEENS1_47radix_sort_onesweep_sort_config_static_selectorELNS0_4arch9wavefront6targetE1EEEvSI_: ; @_ZN7rocprim17ROCPRIM_400000_NS6detail17trampoline_kernelINS0_14default_configENS1_35radix_sort_onesweep_config_selectorIddEEZZNS1_29radix_sort_onesweep_iterationIS3_Lb0EN6thrust23THRUST_200600_302600_NS6detail15normal_iteratorINS8_10device_ptrIdEEEESD_SD_SD_jNS0_19identity_decomposerENS1_16block_id_wrapperIjLb0EEEEE10hipError_tT1_PNSt15iterator_traitsISI_E10value_typeET2_T3_PNSJ_ISO_E10value_typeET4_T5_PST_SU_PNS1_23onesweep_lookback_stateEbbT6_jjT7_P12ihipStream_tbENKUlT_T0_SI_SN_E_clISD_SD_SD_SD_EEDaS11_S12_SI_SN_EUlS11_E_NS1_11comp_targetILNS1_3genE3ELNS1_11target_archE908ELNS1_3gpuE7ELNS1_3repE0EEENS1_47radix_sort_onesweep_sort_config_static_selectorELNS0_4arch9wavefront6targetE1EEEvSI_
; %bb.0:
	.section	.rodata,"a",@progbits
	.p2align	6, 0x0
	.amdhsa_kernel _ZN7rocprim17ROCPRIM_400000_NS6detail17trampoline_kernelINS0_14default_configENS1_35radix_sort_onesweep_config_selectorIddEEZZNS1_29radix_sort_onesweep_iterationIS3_Lb0EN6thrust23THRUST_200600_302600_NS6detail15normal_iteratorINS8_10device_ptrIdEEEESD_SD_SD_jNS0_19identity_decomposerENS1_16block_id_wrapperIjLb0EEEEE10hipError_tT1_PNSt15iterator_traitsISI_E10value_typeET2_T3_PNSJ_ISO_E10value_typeET4_T5_PST_SU_PNS1_23onesweep_lookback_stateEbbT6_jjT7_P12ihipStream_tbENKUlT_T0_SI_SN_E_clISD_SD_SD_SD_EEDaS11_S12_SI_SN_EUlS11_E_NS1_11comp_targetILNS1_3genE3ELNS1_11target_archE908ELNS1_3gpuE7ELNS1_3repE0EEENS1_47radix_sort_onesweep_sort_config_static_selectorELNS0_4arch9wavefront6targetE1EEEvSI_
		.amdhsa_group_segment_fixed_size 0
		.amdhsa_private_segment_fixed_size 0
		.amdhsa_kernarg_size 88
		.amdhsa_user_sgpr_count 2
		.amdhsa_user_sgpr_dispatch_ptr 0
		.amdhsa_user_sgpr_queue_ptr 0
		.amdhsa_user_sgpr_kernarg_segment_ptr 1
		.amdhsa_user_sgpr_dispatch_id 0
		.amdhsa_user_sgpr_kernarg_preload_length 0
		.amdhsa_user_sgpr_kernarg_preload_offset 0
		.amdhsa_user_sgpr_private_segment_size 0
		.amdhsa_uses_dynamic_stack 0
		.amdhsa_enable_private_segment 0
		.amdhsa_system_sgpr_workgroup_id_x 1
		.amdhsa_system_sgpr_workgroup_id_y 0
		.amdhsa_system_sgpr_workgroup_id_z 0
		.amdhsa_system_sgpr_workgroup_info 0
		.amdhsa_system_vgpr_workitem_id 0
		.amdhsa_next_free_vgpr 1
		.amdhsa_next_free_sgpr 0
		.amdhsa_accum_offset 4
		.amdhsa_reserve_vcc 0
		.amdhsa_float_round_mode_32 0
		.amdhsa_float_round_mode_16_64 0
		.amdhsa_float_denorm_mode_32 3
		.amdhsa_float_denorm_mode_16_64 3
		.amdhsa_dx10_clamp 1
		.amdhsa_ieee_mode 1
		.amdhsa_fp16_overflow 0
		.amdhsa_tg_split 0
		.amdhsa_exception_fp_ieee_invalid_op 0
		.amdhsa_exception_fp_denorm_src 0
		.amdhsa_exception_fp_ieee_div_zero 0
		.amdhsa_exception_fp_ieee_overflow 0
		.amdhsa_exception_fp_ieee_underflow 0
		.amdhsa_exception_fp_ieee_inexact 0
		.amdhsa_exception_int_div_zero 0
	.end_amdhsa_kernel
	.section	.text._ZN7rocprim17ROCPRIM_400000_NS6detail17trampoline_kernelINS0_14default_configENS1_35radix_sort_onesweep_config_selectorIddEEZZNS1_29radix_sort_onesweep_iterationIS3_Lb0EN6thrust23THRUST_200600_302600_NS6detail15normal_iteratorINS8_10device_ptrIdEEEESD_SD_SD_jNS0_19identity_decomposerENS1_16block_id_wrapperIjLb0EEEEE10hipError_tT1_PNSt15iterator_traitsISI_E10value_typeET2_T3_PNSJ_ISO_E10value_typeET4_T5_PST_SU_PNS1_23onesweep_lookback_stateEbbT6_jjT7_P12ihipStream_tbENKUlT_T0_SI_SN_E_clISD_SD_SD_SD_EEDaS11_S12_SI_SN_EUlS11_E_NS1_11comp_targetILNS1_3genE3ELNS1_11target_archE908ELNS1_3gpuE7ELNS1_3repE0EEENS1_47radix_sort_onesweep_sort_config_static_selectorELNS0_4arch9wavefront6targetE1EEEvSI_,"axG",@progbits,_ZN7rocprim17ROCPRIM_400000_NS6detail17trampoline_kernelINS0_14default_configENS1_35radix_sort_onesweep_config_selectorIddEEZZNS1_29radix_sort_onesweep_iterationIS3_Lb0EN6thrust23THRUST_200600_302600_NS6detail15normal_iteratorINS8_10device_ptrIdEEEESD_SD_SD_jNS0_19identity_decomposerENS1_16block_id_wrapperIjLb0EEEEE10hipError_tT1_PNSt15iterator_traitsISI_E10value_typeET2_T3_PNSJ_ISO_E10value_typeET4_T5_PST_SU_PNS1_23onesweep_lookback_stateEbbT6_jjT7_P12ihipStream_tbENKUlT_T0_SI_SN_E_clISD_SD_SD_SD_EEDaS11_S12_SI_SN_EUlS11_E_NS1_11comp_targetILNS1_3genE3ELNS1_11target_archE908ELNS1_3gpuE7ELNS1_3repE0EEENS1_47radix_sort_onesweep_sort_config_static_selectorELNS0_4arch9wavefront6targetE1EEEvSI_,comdat
.Lfunc_end141:
	.size	_ZN7rocprim17ROCPRIM_400000_NS6detail17trampoline_kernelINS0_14default_configENS1_35radix_sort_onesweep_config_selectorIddEEZZNS1_29radix_sort_onesweep_iterationIS3_Lb0EN6thrust23THRUST_200600_302600_NS6detail15normal_iteratorINS8_10device_ptrIdEEEESD_SD_SD_jNS0_19identity_decomposerENS1_16block_id_wrapperIjLb0EEEEE10hipError_tT1_PNSt15iterator_traitsISI_E10value_typeET2_T3_PNSJ_ISO_E10value_typeET4_T5_PST_SU_PNS1_23onesweep_lookback_stateEbbT6_jjT7_P12ihipStream_tbENKUlT_T0_SI_SN_E_clISD_SD_SD_SD_EEDaS11_S12_SI_SN_EUlS11_E_NS1_11comp_targetILNS1_3genE3ELNS1_11target_archE908ELNS1_3gpuE7ELNS1_3repE0EEENS1_47radix_sort_onesweep_sort_config_static_selectorELNS0_4arch9wavefront6targetE1EEEvSI_, .Lfunc_end141-_ZN7rocprim17ROCPRIM_400000_NS6detail17trampoline_kernelINS0_14default_configENS1_35radix_sort_onesweep_config_selectorIddEEZZNS1_29radix_sort_onesweep_iterationIS3_Lb0EN6thrust23THRUST_200600_302600_NS6detail15normal_iteratorINS8_10device_ptrIdEEEESD_SD_SD_jNS0_19identity_decomposerENS1_16block_id_wrapperIjLb0EEEEE10hipError_tT1_PNSt15iterator_traitsISI_E10value_typeET2_T3_PNSJ_ISO_E10value_typeET4_T5_PST_SU_PNS1_23onesweep_lookback_stateEbbT6_jjT7_P12ihipStream_tbENKUlT_T0_SI_SN_E_clISD_SD_SD_SD_EEDaS11_S12_SI_SN_EUlS11_E_NS1_11comp_targetILNS1_3genE3ELNS1_11target_archE908ELNS1_3gpuE7ELNS1_3repE0EEENS1_47radix_sort_onesweep_sort_config_static_selectorELNS0_4arch9wavefront6targetE1EEEvSI_
                                        ; -- End function
	.set _ZN7rocprim17ROCPRIM_400000_NS6detail17trampoline_kernelINS0_14default_configENS1_35radix_sort_onesweep_config_selectorIddEEZZNS1_29radix_sort_onesweep_iterationIS3_Lb0EN6thrust23THRUST_200600_302600_NS6detail15normal_iteratorINS8_10device_ptrIdEEEESD_SD_SD_jNS0_19identity_decomposerENS1_16block_id_wrapperIjLb0EEEEE10hipError_tT1_PNSt15iterator_traitsISI_E10value_typeET2_T3_PNSJ_ISO_E10value_typeET4_T5_PST_SU_PNS1_23onesweep_lookback_stateEbbT6_jjT7_P12ihipStream_tbENKUlT_T0_SI_SN_E_clISD_SD_SD_SD_EEDaS11_S12_SI_SN_EUlS11_E_NS1_11comp_targetILNS1_3genE3ELNS1_11target_archE908ELNS1_3gpuE7ELNS1_3repE0EEENS1_47radix_sort_onesweep_sort_config_static_selectorELNS0_4arch9wavefront6targetE1EEEvSI_.num_vgpr, 0
	.set _ZN7rocprim17ROCPRIM_400000_NS6detail17trampoline_kernelINS0_14default_configENS1_35radix_sort_onesweep_config_selectorIddEEZZNS1_29radix_sort_onesweep_iterationIS3_Lb0EN6thrust23THRUST_200600_302600_NS6detail15normal_iteratorINS8_10device_ptrIdEEEESD_SD_SD_jNS0_19identity_decomposerENS1_16block_id_wrapperIjLb0EEEEE10hipError_tT1_PNSt15iterator_traitsISI_E10value_typeET2_T3_PNSJ_ISO_E10value_typeET4_T5_PST_SU_PNS1_23onesweep_lookback_stateEbbT6_jjT7_P12ihipStream_tbENKUlT_T0_SI_SN_E_clISD_SD_SD_SD_EEDaS11_S12_SI_SN_EUlS11_E_NS1_11comp_targetILNS1_3genE3ELNS1_11target_archE908ELNS1_3gpuE7ELNS1_3repE0EEENS1_47radix_sort_onesweep_sort_config_static_selectorELNS0_4arch9wavefront6targetE1EEEvSI_.num_agpr, 0
	.set _ZN7rocprim17ROCPRIM_400000_NS6detail17trampoline_kernelINS0_14default_configENS1_35radix_sort_onesweep_config_selectorIddEEZZNS1_29radix_sort_onesweep_iterationIS3_Lb0EN6thrust23THRUST_200600_302600_NS6detail15normal_iteratorINS8_10device_ptrIdEEEESD_SD_SD_jNS0_19identity_decomposerENS1_16block_id_wrapperIjLb0EEEEE10hipError_tT1_PNSt15iterator_traitsISI_E10value_typeET2_T3_PNSJ_ISO_E10value_typeET4_T5_PST_SU_PNS1_23onesweep_lookback_stateEbbT6_jjT7_P12ihipStream_tbENKUlT_T0_SI_SN_E_clISD_SD_SD_SD_EEDaS11_S12_SI_SN_EUlS11_E_NS1_11comp_targetILNS1_3genE3ELNS1_11target_archE908ELNS1_3gpuE7ELNS1_3repE0EEENS1_47radix_sort_onesweep_sort_config_static_selectorELNS0_4arch9wavefront6targetE1EEEvSI_.numbered_sgpr, 0
	.set _ZN7rocprim17ROCPRIM_400000_NS6detail17trampoline_kernelINS0_14default_configENS1_35radix_sort_onesweep_config_selectorIddEEZZNS1_29radix_sort_onesweep_iterationIS3_Lb0EN6thrust23THRUST_200600_302600_NS6detail15normal_iteratorINS8_10device_ptrIdEEEESD_SD_SD_jNS0_19identity_decomposerENS1_16block_id_wrapperIjLb0EEEEE10hipError_tT1_PNSt15iterator_traitsISI_E10value_typeET2_T3_PNSJ_ISO_E10value_typeET4_T5_PST_SU_PNS1_23onesweep_lookback_stateEbbT6_jjT7_P12ihipStream_tbENKUlT_T0_SI_SN_E_clISD_SD_SD_SD_EEDaS11_S12_SI_SN_EUlS11_E_NS1_11comp_targetILNS1_3genE3ELNS1_11target_archE908ELNS1_3gpuE7ELNS1_3repE0EEENS1_47radix_sort_onesweep_sort_config_static_selectorELNS0_4arch9wavefront6targetE1EEEvSI_.num_named_barrier, 0
	.set _ZN7rocprim17ROCPRIM_400000_NS6detail17trampoline_kernelINS0_14default_configENS1_35radix_sort_onesweep_config_selectorIddEEZZNS1_29radix_sort_onesweep_iterationIS3_Lb0EN6thrust23THRUST_200600_302600_NS6detail15normal_iteratorINS8_10device_ptrIdEEEESD_SD_SD_jNS0_19identity_decomposerENS1_16block_id_wrapperIjLb0EEEEE10hipError_tT1_PNSt15iterator_traitsISI_E10value_typeET2_T3_PNSJ_ISO_E10value_typeET4_T5_PST_SU_PNS1_23onesweep_lookback_stateEbbT6_jjT7_P12ihipStream_tbENKUlT_T0_SI_SN_E_clISD_SD_SD_SD_EEDaS11_S12_SI_SN_EUlS11_E_NS1_11comp_targetILNS1_3genE3ELNS1_11target_archE908ELNS1_3gpuE7ELNS1_3repE0EEENS1_47radix_sort_onesweep_sort_config_static_selectorELNS0_4arch9wavefront6targetE1EEEvSI_.private_seg_size, 0
	.set _ZN7rocprim17ROCPRIM_400000_NS6detail17trampoline_kernelINS0_14default_configENS1_35radix_sort_onesweep_config_selectorIddEEZZNS1_29radix_sort_onesweep_iterationIS3_Lb0EN6thrust23THRUST_200600_302600_NS6detail15normal_iteratorINS8_10device_ptrIdEEEESD_SD_SD_jNS0_19identity_decomposerENS1_16block_id_wrapperIjLb0EEEEE10hipError_tT1_PNSt15iterator_traitsISI_E10value_typeET2_T3_PNSJ_ISO_E10value_typeET4_T5_PST_SU_PNS1_23onesweep_lookback_stateEbbT6_jjT7_P12ihipStream_tbENKUlT_T0_SI_SN_E_clISD_SD_SD_SD_EEDaS11_S12_SI_SN_EUlS11_E_NS1_11comp_targetILNS1_3genE3ELNS1_11target_archE908ELNS1_3gpuE7ELNS1_3repE0EEENS1_47radix_sort_onesweep_sort_config_static_selectorELNS0_4arch9wavefront6targetE1EEEvSI_.uses_vcc, 0
	.set _ZN7rocprim17ROCPRIM_400000_NS6detail17trampoline_kernelINS0_14default_configENS1_35radix_sort_onesweep_config_selectorIddEEZZNS1_29radix_sort_onesweep_iterationIS3_Lb0EN6thrust23THRUST_200600_302600_NS6detail15normal_iteratorINS8_10device_ptrIdEEEESD_SD_SD_jNS0_19identity_decomposerENS1_16block_id_wrapperIjLb0EEEEE10hipError_tT1_PNSt15iterator_traitsISI_E10value_typeET2_T3_PNSJ_ISO_E10value_typeET4_T5_PST_SU_PNS1_23onesweep_lookback_stateEbbT6_jjT7_P12ihipStream_tbENKUlT_T0_SI_SN_E_clISD_SD_SD_SD_EEDaS11_S12_SI_SN_EUlS11_E_NS1_11comp_targetILNS1_3genE3ELNS1_11target_archE908ELNS1_3gpuE7ELNS1_3repE0EEENS1_47radix_sort_onesweep_sort_config_static_selectorELNS0_4arch9wavefront6targetE1EEEvSI_.uses_flat_scratch, 0
	.set _ZN7rocprim17ROCPRIM_400000_NS6detail17trampoline_kernelINS0_14default_configENS1_35radix_sort_onesweep_config_selectorIddEEZZNS1_29radix_sort_onesweep_iterationIS3_Lb0EN6thrust23THRUST_200600_302600_NS6detail15normal_iteratorINS8_10device_ptrIdEEEESD_SD_SD_jNS0_19identity_decomposerENS1_16block_id_wrapperIjLb0EEEEE10hipError_tT1_PNSt15iterator_traitsISI_E10value_typeET2_T3_PNSJ_ISO_E10value_typeET4_T5_PST_SU_PNS1_23onesweep_lookback_stateEbbT6_jjT7_P12ihipStream_tbENKUlT_T0_SI_SN_E_clISD_SD_SD_SD_EEDaS11_S12_SI_SN_EUlS11_E_NS1_11comp_targetILNS1_3genE3ELNS1_11target_archE908ELNS1_3gpuE7ELNS1_3repE0EEENS1_47radix_sort_onesweep_sort_config_static_selectorELNS0_4arch9wavefront6targetE1EEEvSI_.has_dyn_sized_stack, 0
	.set _ZN7rocprim17ROCPRIM_400000_NS6detail17trampoline_kernelINS0_14default_configENS1_35radix_sort_onesweep_config_selectorIddEEZZNS1_29radix_sort_onesweep_iterationIS3_Lb0EN6thrust23THRUST_200600_302600_NS6detail15normal_iteratorINS8_10device_ptrIdEEEESD_SD_SD_jNS0_19identity_decomposerENS1_16block_id_wrapperIjLb0EEEEE10hipError_tT1_PNSt15iterator_traitsISI_E10value_typeET2_T3_PNSJ_ISO_E10value_typeET4_T5_PST_SU_PNS1_23onesweep_lookback_stateEbbT6_jjT7_P12ihipStream_tbENKUlT_T0_SI_SN_E_clISD_SD_SD_SD_EEDaS11_S12_SI_SN_EUlS11_E_NS1_11comp_targetILNS1_3genE3ELNS1_11target_archE908ELNS1_3gpuE7ELNS1_3repE0EEENS1_47radix_sort_onesweep_sort_config_static_selectorELNS0_4arch9wavefront6targetE1EEEvSI_.has_recursion, 0
	.set _ZN7rocprim17ROCPRIM_400000_NS6detail17trampoline_kernelINS0_14default_configENS1_35radix_sort_onesweep_config_selectorIddEEZZNS1_29radix_sort_onesweep_iterationIS3_Lb0EN6thrust23THRUST_200600_302600_NS6detail15normal_iteratorINS8_10device_ptrIdEEEESD_SD_SD_jNS0_19identity_decomposerENS1_16block_id_wrapperIjLb0EEEEE10hipError_tT1_PNSt15iterator_traitsISI_E10value_typeET2_T3_PNSJ_ISO_E10value_typeET4_T5_PST_SU_PNS1_23onesweep_lookback_stateEbbT6_jjT7_P12ihipStream_tbENKUlT_T0_SI_SN_E_clISD_SD_SD_SD_EEDaS11_S12_SI_SN_EUlS11_E_NS1_11comp_targetILNS1_3genE3ELNS1_11target_archE908ELNS1_3gpuE7ELNS1_3repE0EEENS1_47radix_sort_onesweep_sort_config_static_selectorELNS0_4arch9wavefront6targetE1EEEvSI_.has_indirect_call, 0
	.section	.AMDGPU.csdata,"",@progbits
; Kernel info:
; codeLenInByte = 0
; TotalNumSgprs: 6
; NumVgprs: 0
; NumAgprs: 0
; TotalNumVgprs: 0
; ScratchSize: 0
; MemoryBound: 0
; FloatMode: 240
; IeeeMode: 1
; LDSByteSize: 0 bytes/workgroup (compile time only)
; SGPRBlocks: 0
; VGPRBlocks: 0
; NumSGPRsForWavesPerEU: 6
; NumVGPRsForWavesPerEU: 1
; AccumOffset: 4
; Occupancy: 8
; WaveLimiterHint : 0
; COMPUTE_PGM_RSRC2:SCRATCH_EN: 0
; COMPUTE_PGM_RSRC2:USER_SGPR: 2
; COMPUTE_PGM_RSRC2:TRAP_HANDLER: 0
; COMPUTE_PGM_RSRC2:TGID_X_EN: 1
; COMPUTE_PGM_RSRC2:TGID_Y_EN: 0
; COMPUTE_PGM_RSRC2:TGID_Z_EN: 0
; COMPUTE_PGM_RSRC2:TIDIG_COMP_CNT: 0
; COMPUTE_PGM_RSRC3_GFX90A:ACCUM_OFFSET: 0
; COMPUTE_PGM_RSRC3_GFX90A:TG_SPLIT: 0
	.section	.text._ZN7rocprim17ROCPRIM_400000_NS6detail17trampoline_kernelINS0_14default_configENS1_35radix_sort_onesweep_config_selectorIddEEZZNS1_29radix_sort_onesweep_iterationIS3_Lb0EN6thrust23THRUST_200600_302600_NS6detail15normal_iteratorINS8_10device_ptrIdEEEESD_SD_SD_jNS0_19identity_decomposerENS1_16block_id_wrapperIjLb0EEEEE10hipError_tT1_PNSt15iterator_traitsISI_E10value_typeET2_T3_PNSJ_ISO_E10value_typeET4_T5_PST_SU_PNS1_23onesweep_lookback_stateEbbT6_jjT7_P12ihipStream_tbENKUlT_T0_SI_SN_E_clISD_SD_SD_SD_EEDaS11_S12_SI_SN_EUlS11_E_NS1_11comp_targetILNS1_3genE10ELNS1_11target_archE1201ELNS1_3gpuE5ELNS1_3repE0EEENS1_47radix_sort_onesweep_sort_config_static_selectorELNS0_4arch9wavefront6targetE1EEEvSI_,"axG",@progbits,_ZN7rocprim17ROCPRIM_400000_NS6detail17trampoline_kernelINS0_14default_configENS1_35radix_sort_onesweep_config_selectorIddEEZZNS1_29radix_sort_onesweep_iterationIS3_Lb0EN6thrust23THRUST_200600_302600_NS6detail15normal_iteratorINS8_10device_ptrIdEEEESD_SD_SD_jNS0_19identity_decomposerENS1_16block_id_wrapperIjLb0EEEEE10hipError_tT1_PNSt15iterator_traitsISI_E10value_typeET2_T3_PNSJ_ISO_E10value_typeET4_T5_PST_SU_PNS1_23onesweep_lookback_stateEbbT6_jjT7_P12ihipStream_tbENKUlT_T0_SI_SN_E_clISD_SD_SD_SD_EEDaS11_S12_SI_SN_EUlS11_E_NS1_11comp_targetILNS1_3genE10ELNS1_11target_archE1201ELNS1_3gpuE5ELNS1_3repE0EEENS1_47radix_sort_onesweep_sort_config_static_selectorELNS0_4arch9wavefront6targetE1EEEvSI_,comdat
	.protected	_ZN7rocprim17ROCPRIM_400000_NS6detail17trampoline_kernelINS0_14default_configENS1_35radix_sort_onesweep_config_selectorIddEEZZNS1_29radix_sort_onesweep_iterationIS3_Lb0EN6thrust23THRUST_200600_302600_NS6detail15normal_iteratorINS8_10device_ptrIdEEEESD_SD_SD_jNS0_19identity_decomposerENS1_16block_id_wrapperIjLb0EEEEE10hipError_tT1_PNSt15iterator_traitsISI_E10value_typeET2_T3_PNSJ_ISO_E10value_typeET4_T5_PST_SU_PNS1_23onesweep_lookback_stateEbbT6_jjT7_P12ihipStream_tbENKUlT_T0_SI_SN_E_clISD_SD_SD_SD_EEDaS11_S12_SI_SN_EUlS11_E_NS1_11comp_targetILNS1_3genE10ELNS1_11target_archE1201ELNS1_3gpuE5ELNS1_3repE0EEENS1_47radix_sort_onesweep_sort_config_static_selectorELNS0_4arch9wavefront6targetE1EEEvSI_ ; -- Begin function _ZN7rocprim17ROCPRIM_400000_NS6detail17trampoline_kernelINS0_14default_configENS1_35radix_sort_onesweep_config_selectorIddEEZZNS1_29radix_sort_onesweep_iterationIS3_Lb0EN6thrust23THRUST_200600_302600_NS6detail15normal_iteratorINS8_10device_ptrIdEEEESD_SD_SD_jNS0_19identity_decomposerENS1_16block_id_wrapperIjLb0EEEEE10hipError_tT1_PNSt15iterator_traitsISI_E10value_typeET2_T3_PNSJ_ISO_E10value_typeET4_T5_PST_SU_PNS1_23onesweep_lookback_stateEbbT6_jjT7_P12ihipStream_tbENKUlT_T0_SI_SN_E_clISD_SD_SD_SD_EEDaS11_S12_SI_SN_EUlS11_E_NS1_11comp_targetILNS1_3genE10ELNS1_11target_archE1201ELNS1_3gpuE5ELNS1_3repE0EEENS1_47radix_sort_onesweep_sort_config_static_selectorELNS0_4arch9wavefront6targetE1EEEvSI_
	.globl	_ZN7rocprim17ROCPRIM_400000_NS6detail17trampoline_kernelINS0_14default_configENS1_35radix_sort_onesweep_config_selectorIddEEZZNS1_29radix_sort_onesweep_iterationIS3_Lb0EN6thrust23THRUST_200600_302600_NS6detail15normal_iteratorINS8_10device_ptrIdEEEESD_SD_SD_jNS0_19identity_decomposerENS1_16block_id_wrapperIjLb0EEEEE10hipError_tT1_PNSt15iterator_traitsISI_E10value_typeET2_T3_PNSJ_ISO_E10value_typeET4_T5_PST_SU_PNS1_23onesweep_lookback_stateEbbT6_jjT7_P12ihipStream_tbENKUlT_T0_SI_SN_E_clISD_SD_SD_SD_EEDaS11_S12_SI_SN_EUlS11_E_NS1_11comp_targetILNS1_3genE10ELNS1_11target_archE1201ELNS1_3gpuE5ELNS1_3repE0EEENS1_47radix_sort_onesweep_sort_config_static_selectorELNS0_4arch9wavefront6targetE1EEEvSI_
	.p2align	8
	.type	_ZN7rocprim17ROCPRIM_400000_NS6detail17trampoline_kernelINS0_14default_configENS1_35radix_sort_onesweep_config_selectorIddEEZZNS1_29radix_sort_onesweep_iterationIS3_Lb0EN6thrust23THRUST_200600_302600_NS6detail15normal_iteratorINS8_10device_ptrIdEEEESD_SD_SD_jNS0_19identity_decomposerENS1_16block_id_wrapperIjLb0EEEEE10hipError_tT1_PNSt15iterator_traitsISI_E10value_typeET2_T3_PNSJ_ISO_E10value_typeET4_T5_PST_SU_PNS1_23onesweep_lookback_stateEbbT6_jjT7_P12ihipStream_tbENKUlT_T0_SI_SN_E_clISD_SD_SD_SD_EEDaS11_S12_SI_SN_EUlS11_E_NS1_11comp_targetILNS1_3genE10ELNS1_11target_archE1201ELNS1_3gpuE5ELNS1_3repE0EEENS1_47radix_sort_onesweep_sort_config_static_selectorELNS0_4arch9wavefront6targetE1EEEvSI_,@function
_ZN7rocprim17ROCPRIM_400000_NS6detail17trampoline_kernelINS0_14default_configENS1_35radix_sort_onesweep_config_selectorIddEEZZNS1_29radix_sort_onesweep_iterationIS3_Lb0EN6thrust23THRUST_200600_302600_NS6detail15normal_iteratorINS8_10device_ptrIdEEEESD_SD_SD_jNS0_19identity_decomposerENS1_16block_id_wrapperIjLb0EEEEE10hipError_tT1_PNSt15iterator_traitsISI_E10value_typeET2_T3_PNSJ_ISO_E10value_typeET4_T5_PST_SU_PNS1_23onesweep_lookback_stateEbbT6_jjT7_P12ihipStream_tbENKUlT_T0_SI_SN_E_clISD_SD_SD_SD_EEDaS11_S12_SI_SN_EUlS11_E_NS1_11comp_targetILNS1_3genE10ELNS1_11target_archE1201ELNS1_3gpuE5ELNS1_3repE0EEENS1_47radix_sort_onesweep_sort_config_static_selectorELNS0_4arch9wavefront6targetE1EEEvSI_: ; @_ZN7rocprim17ROCPRIM_400000_NS6detail17trampoline_kernelINS0_14default_configENS1_35radix_sort_onesweep_config_selectorIddEEZZNS1_29radix_sort_onesweep_iterationIS3_Lb0EN6thrust23THRUST_200600_302600_NS6detail15normal_iteratorINS8_10device_ptrIdEEEESD_SD_SD_jNS0_19identity_decomposerENS1_16block_id_wrapperIjLb0EEEEE10hipError_tT1_PNSt15iterator_traitsISI_E10value_typeET2_T3_PNSJ_ISO_E10value_typeET4_T5_PST_SU_PNS1_23onesweep_lookback_stateEbbT6_jjT7_P12ihipStream_tbENKUlT_T0_SI_SN_E_clISD_SD_SD_SD_EEDaS11_S12_SI_SN_EUlS11_E_NS1_11comp_targetILNS1_3genE10ELNS1_11target_archE1201ELNS1_3gpuE5ELNS1_3repE0EEENS1_47radix_sort_onesweep_sort_config_static_selectorELNS0_4arch9wavefront6targetE1EEEvSI_
; %bb.0:
	.section	.rodata,"a",@progbits
	.p2align	6, 0x0
	.amdhsa_kernel _ZN7rocprim17ROCPRIM_400000_NS6detail17trampoline_kernelINS0_14default_configENS1_35radix_sort_onesweep_config_selectorIddEEZZNS1_29radix_sort_onesweep_iterationIS3_Lb0EN6thrust23THRUST_200600_302600_NS6detail15normal_iteratorINS8_10device_ptrIdEEEESD_SD_SD_jNS0_19identity_decomposerENS1_16block_id_wrapperIjLb0EEEEE10hipError_tT1_PNSt15iterator_traitsISI_E10value_typeET2_T3_PNSJ_ISO_E10value_typeET4_T5_PST_SU_PNS1_23onesweep_lookback_stateEbbT6_jjT7_P12ihipStream_tbENKUlT_T0_SI_SN_E_clISD_SD_SD_SD_EEDaS11_S12_SI_SN_EUlS11_E_NS1_11comp_targetILNS1_3genE10ELNS1_11target_archE1201ELNS1_3gpuE5ELNS1_3repE0EEENS1_47radix_sort_onesweep_sort_config_static_selectorELNS0_4arch9wavefront6targetE1EEEvSI_
		.amdhsa_group_segment_fixed_size 0
		.amdhsa_private_segment_fixed_size 0
		.amdhsa_kernarg_size 88
		.amdhsa_user_sgpr_count 2
		.amdhsa_user_sgpr_dispatch_ptr 0
		.amdhsa_user_sgpr_queue_ptr 0
		.amdhsa_user_sgpr_kernarg_segment_ptr 1
		.amdhsa_user_sgpr_dispatch_id 0
		.amdhsa_user_sgpr_kernarg_preload_length 0
		.amdhsa_user_sgpr_kernarg_preload_offset 0
		.amdhsa_user_sgpr_private_segment_size 0
		.amdhsa_uses_dynamic_stack 0
		.amdhsa_enable_private_segment 0
		.amdhsa_system_sgpr_workgroup_id_x 1
		.amdhsa_system_sgpr_workgroup_id_y 0
		.amdhsa_system_sgpr_workgroup_id_z 0
		.amdhsa_system_sgpr_workgroup_info 0
		.amdhsa_system_vgpr_workitem_id 0
		.amdhsa_next_free_vgpr 1
		.amdhsa_next_free_sgpr 0
		.amdhsa_accum_offset 4
		.amdhsa_reserve_vcc 0
		.amdhsa_float_round_mode_32 0
		.amdhsa_float_round_mode_16_64 0
		.amdhsa_float_denorm_mode_32 3
		.amdhsa_float_denorm_mode_16_64 3
		.amdhsa_dx10_clamp 1
		.amdhsa_ieee_mode 1
		.amdhsa_fp16_overflow 0
		.amdhsa_tg_split 0
		.amdhsa_exception_fp_ieee_invalid_op 0
		.amdhsa_exception_fp_denorm_src 0
		.amdhsa_exception_fp_ieee_div_zero 0
		.amdhsa_exception_fp_ieee_overflow 0
		.amdhsa_exception_fp_ieee_underflow 0
		.amdhsa_exception_fp_ieee_inexact 0
		.amdhsa_exception_int_div_zero 0
	.end_amdhsa_kernel
	.section	.text._ZN7rocprim17ROCPRIM_400000_NS6detail17trampoline_kernelINS0_14default_configENS1_35radix_sort_onesweep_config_selectorIddEEZZNS1_29radix_sort_onesweep_iterationIS3_Lb0EN6thrust23THRUST_200600_302600_NS6detail15normal_iteratorINS8_10device_ptrIdEEEESD_SD_SD_jNS0_19identity_decomposerENS1_16block_id_wrapperIjLb0EEEEE10hipError_tT1_PNSt15iterator_traitsISI_E10value_typeET2_T3_PNSJ_ISO_E10value_typeET4_T5_PST_SU_PNS1_23onesweep_lookback_stateEbbT6_jjT7_P12ihipStream_tbENKUlT_T0_SI_SN_E_clISD_SD_SD_SD_EEDaS11_S12_SI_SN_EUlS11_E_NS1_11comp_targetILNS1_3genE10ELNS1_11target_archE1201ELNS1_3gpuE5ELNS1_3repE0EEENS1_47radix_sort_onesweep_sort_config_static_selectorELNS0_4arch9wavefront6targetE1EEEvSI_,"axG",@progbits,_ZN7rocprim17ROCPRIM_400000_NS6detail17trampoline_kernelINS0_14default_configENS1_35radix_sort_onesweep_config_selectorIddEEZZNS1_29radix_sort_onesweep_iterationIS3_Lb0EN6thrust23THRUST_200600_302600_NS6detail15normal_iteratorINS8_10device_ptrIdEEEESD_SD_SD_jNS0_19identity_decomposerENS1_16block_id_wrapperIjLb0EEEEE10hipError_tT1_PNSt15iterator_traitsISI_E10value_typeET2_T3_PNSJ_ISO_E10value_typeET4_T5_PST_SU_PNS1_23onesweep_lookback_stateEbbT6_jjT7_P12ihipStream_tbENKUlT_T0_SI_SN_E_clISD_SD_SD_SD_EEDaS11_S12_SI_SN_EUlS11_E_NS1_11comp_targetILNS1_3genE10ELNS1_11target_archE1201ELNS1_3gpuE5ELNS1_3repE0EEENS1_47radix_sort_onesweep_sort_config_static_selectorELNS0_4arch9wavefront6targetE1EEEvSI_,comdat
.Lfunc_end142:
	.size	_ZN7rocprim17ROCPRIM_400000_NS6detail17trampoline_kernelINS0_14default_configENS1_35radix_sort_onesweep_config_selectorIddEEZZNS1_29radix_sort_onesweep_iterationIS3_Lb0EN6thrust23THRUST_200600_302600_NS6detail15normal_iteratorINS8_10device_ptrIdEEEESD_SD_SD_jNS0_19identity_decomposerENS1_16block_id_wrapperIjLb0EEEEE10hipError_tT1_PNSt15iterator_traitsISI_E10value_typeET2_T3_PNSJ_ISO_E10value_typeET4_T5_PST_SU_PNS1_23onesweep_lookback_stateEbbT6_jjT7_P12ihipStream_tbENKUlT_T0_SI_SN_E_clISD_SD_SD_SD_EEDaS11_S12_SI_SN_EUlS11_E_NS1_11comp_targetILNS1_3genE10ELNS1_11target_archE1201ELNS1_3gpuE5ELNS1_3repE0EEENS1_47radix_sort_onesweep_sort_config_static_selectorELNS0_4arch9wavefront6targetE1EEEvSI_, .Lfunc_end142-_ZN7rocprim17ROCPRIM_400000_NS6detail17trampoline_kernelINS0_14default_configENS1_35radix_sort_onesweep_config_selectorIddEEZZNS1_29radix_sort_onesweep_iterationIS3_Lb0EN6thrust23THRUST_200600_302600_NS6detail15normal_iteratorINS8_10device_ptrIdEEEESD_SD_SD_jNS0_19identity_decomposerENS1_16block_id_wrapperIjLb0EEEEE10hipError_tT1_PNSt15iterator_traitsISI_E10value_typeET2_T3_PNSJ_ISO_E10value_typeET4_T5_PST_SU_PNS1_23onesweep_lookback_stateEbbT6_jjT7_P12ihipStream_tbENKUlT_T0_SI_SN_E_clISD_SD_SD_SD_EEDaS11_S12_SI_SN_EUlS11_E_NS1_11comp_targetILNS1_3genE10ELNS1_11target_archE1201ELNS1_3gpuE5ELNS1_3repE0EEENS1_47radix_sort_onesweep_sort_config_static_selectorELNS0_4arch9wavefront6targetE1EEEvSI_
                                        ; -- End function
	.set _ZN7rocprim17ROCPRIM_400000_NS6detail17trampoline_kernelINS0_14default_configENS1_35radix_sort_onesweep_config_selectorIddEEZZNS1_29radix_sort_onesweep_iterationIS3_Lb0EN6thrust23THRUST_200600_302600_NS6detail15normal_iteratorINS8_10device_ptrIdEEEESD_SD_SD_jNS0_19identity_decomposerENS1_16block_id_wrapperIjLb0EEEEE10hipError_tT1_PNSt15iterator_traitsISI_E10value_typeET2_T3_PNSJ_ISO_E10value_typeET4_T5_PST_SU_PNS1_23onesweep_lookback_stateEbbT6_jjT7_P12ihipStream_tbENKUlT_T0_SI_SN_E_clISD_SD_SD_SD_EEDaS11_S12_SI_SN_EUlS11_E_NS1_11comp_targetILNS1_3genE10ELNS1_11target_archE1201ELNS1_3gpuE5ELNS1_3repE0EEENS1_47radix_sort_onesweep_sort_config_static_selectorELNS0_4arch9wavefront6targetE1EEEvSI_.num_vgpr, 0
	.set _ZN7rocprim17ROCPRIM_400000_NS6detail17trampoline_kernelINS0_14default_configENS1_35radix_sort_onesweep_config_selectorIddEEZZNS1_29radix_sort_onesweep_iterationIS3_Lb0EN6thrust23THRUST_200600_302600_NS6detail15normal_iteratorINS8_10device_ptrIdEEEESD_SD_SD_jNS0_19identity_decomposerENS1_16block_id_wrapperIjLb0EEEEE10hipError_tT1_PNSt15iterator_traitsISI_E10value_typeET2_T3_PNSJ_ISO_E10value_typeET4_T5_PST_SU_PNS1_23onesweep_lookback_stateEbbT6_jjT7_P12ihipStream_tbENKUlT_T0_SI_SN_E_clISD_SD_SD_SD_EEDaS11_S12_SI_SN_EUlS11_E_NS1_11comp_targetILNS1_3genE10ELNS1_11target_archE1201ELNS1_3gpuE5ELNS1_3repE0EEENS1_47radix_sort_onesweep_sort_config_static_selectorELNS0_4arch9wavefront6targetE1EEEvSI_.num_agpr, 0
	.set _ZN7rocprim17ROCPRIM_400000_NS6detail17trampoline_kernelINS0_14default_configENS1_35radix_sort_onesweep_config_selectorIddEEZZNS1_29radix_sort_onesweep_iterationIS3_Lb0EN6thrust23THRUST_200600_302600_NS6detail15normal_iteratorINS8_10device_ptrIdEEEESD_SD_SD_jNS0_19identity_decomposerENS1_16block_id_wrapperIjLb0EEEEE10hipError_tT1_PNSt15iterator_traitsISI_E10value_typeET2_T3_PNSJ_ISO_E10value_typeET4_T5_PST_SU_PNS1_23onesweep_lookback_stateEbbT6_jjT7_P12ihipStream_tbENKUlT_T0_SI_SN_E_clISD_SD_SD_SD_EEDaS11_S12_SI_SN_EUlS11_E_NS1_11comp_targetILNS1_3genE10ELNS1_11target_archE1201ELNS1_3gpuE5ELNS1_3repE0EEENS1_47radix_sort_onesweep_sort_config_static_selectorELNS0_4arch9wavefront6targetE1EEEvSI_.numbered_sgpr, 0
	.set _ZN7rocprim17ROCPRIM_400000_NS6detail17trampoline_kernelINS0_14default_configENS1_35radix_sort_onesweep_config_selectorIddEEZZNS1_29radix_sort_onesweep_iterationIS3_Lb0EN6thrust23THRUST_200600_302600_NS6detail15normal_iteratorINS8_10device_ptrIdEEEESD_SD_SD_jNS0_19identity_decomposerENS1_16block_id_wrapperIjLb0EEEEE10hipError_tT1_PNSt15iterator_traitsISI_E10value_typeET2_T3_PNSJ_ISO_E10value_typeET4_T5_PST_SU_PNS1_23onesweep_lookback_stateEbbT6_jjT7_P12ihipStream_tbENKUlT_T0_SI_SN_E_clISD_SD_SD_SD_EEDaS11_S12_SI_SN_EUlS11_E_NS1_11comp_targetILNS1_3genE10ELNS1_11target_archE1201ELNS1_3gpuE5ELNS1_3repE0EEENS1_47radix_sort_onesweep_sort_config_static_selectorELNS0_4arch9wavefront6targetE1EEEvSI_.num_named_barrier, 0
	.set _ZN7rocprim17ROCPRIM_400000_NS6detail17trampoline_kernelINS0_14default_configENS1_35radix_sort_onesweep_config_selectorIddEEZZNS1_29radix_sort_onesweep_iterationIS3_Lb0EN6thrust23THRUST_200600_302600_NS6detail15normal_iteratorINS8_10device_ptrIdEEEESD_SD_SD_jNS0_19identity_decomposerENS1_16block_id_wrapperIjLb0EEEEE10hipError_tT1_PNSt15iterator_traitsISI_E10value_typeET2_T3_PNSJ_ISO_E10value_typeET4_T5_PST_SU_PNS1_23onesweep_lookback_stateEbbT6_jjT7_P12ihipStream_tbENKUlT_T0_SI_SN_E_clISD_SD_SD_SD_EEDaS11_S12_SI_SN_EUlS11_E_NS1_11comp_targetILNS1_3genE10ELNS1_11target_archE1201ELNS1_3gpuE5ELNS1_3repE0EEENS1_47radix_sort_onesweep_sort_config_static_selectorELNS0_4arch9wavefront6targetE1EEEvSI_.private_seg_size, 0
	.set _ZN7rocprim17ROCPRIM_400000_NS6detail17trampoline_kernelINS0_14default_configENS1_35radix_sort_onesweep_config_selectorIddEEZZNS1_29radix_sort_onesweep_iterationIS3_Lb0EN6thrust23THRUST_200600_302600_NS6detail15normal_iteratorINS8_10device_ptrIdEEEESD_SD_SD_jNS0_19identity_decomposerENS1_16block_id_wrapperIjLb0EEEEE10hipError_tT1_PNSt15iterator_traitsISI_E10value_typeET2_T3_PNSJ_ISO_E10value_typeET4_T5_PST_SU_PNS1_23onesweep_lookback_stateEbbT6_jjT7_P12ihipStream_tbENKUlT_T0_SI_SN_E_clISD_SD_SD_SD_EEDaS11_S12_SI_SN_EUlS11_E_NS1_11comp_targetILNS1_3genE10ELNS1_11target_archE1201ELNS1_3gpuE5ELNS1_3repE0EEENS1_47radix_sort_onesweep_sort_config_static_selectorELNS0_4arch9wavefront6targetE1EEEvSI_.uses_vcc, 0
	.set _ZN7rocprim17ROCPRIM_400000_NS6detail17trampoline_kernelINS0_14default_configENS1_35radix_sort_onesweep_config_selectorIddEEZZNS1_29radix_sort_onesweep_iterationIS3_Lb0EN6thrust23THRUST_200600_302600_NS6detail15normal_iteratorINS8_10device_ptrIdEEEESD_SD_SD_jNS0_19identity_decomposerENS1_16block_id_wrapperIjLb0EEEEE10hipError_tT1_PNSt15iterator_traitsISI_E10value_typeET2_T3_PNSJ_ISO_E10value_typeET4_T5_PST_SU_PNS1_23onesweep_lookback_stateEbbT6_jjT7_P12ihipStream_tbENKUlT_T0_SI_SN_E_clISD_SD_SD_SD_EEDaS11_S12_SI_SN_EUlS11_E_NS1_11comp_targetILNS1_3genE10ELNS1_11target_archE1201ELNS1_3gpuE5ELNS1_3repE0EEENS1_47radix_sort_onesweep_sort_config_static_selectorELNS0_4arch9wavefront6targetE1EEEvSI_.uses_flat_scratch, 0
	.set _ZN7rocprim17ROCPRIM_400000_NS6detail17trampoline_kernelINS0_14default_configENS1_35radix_sort_onesweep_config_selectorIddEEZZNS1_29radix_sort_onesweep_iterationIS3_Lb0EN6thrust23THRUST_200600_302600_NS6detail15normal_iteratorINS8_10device_ptrIdEEEESD_SD_SD_jNS0_19identity_decomposerENS1_16block_id_wrapperIjLb0EEEEE10hipError_tT1_PNSt15iterator_traitsISI_E10value_typeET2_T3_PNSJ_ISO_E10value_typeET4_T5_PST_SU_PNS1_23onesweep_lookback_stateEbbT6_jjT7_P12ihipStream_tbENKUlT_T0_SI_SN_E_clISD_SD_SD_SD_EEDaS11_S12_SI_SN_EUlS11_E_NS1_11comp_targetILNS1_3genE10ELNS1_11target_archE1201ELNS1_3gpuE5ELNS1_3repE0EEENS1_47radix_sort_onesweep_sort_config_static_selectorELNS0_4arch9wavefront6targetE1EEEvSI_.has_dyn_sized_stack, 0
	.set _ZN7rocprim17ROCPRIM_400000_NS6detail17trampoline_kernelINS0_14default_configENS1_35radix_sort_onesweep_config_selectorIddEEZZNS1_29radix_sort_onesweep_iterationIS3_Lb0EN6thrust23THRUST_200600_302600_NS6detail15normal_iteratorINS8_10device_ptrIdEEEESD_SD_SD_jNS0_19identity_decomposerENS1_16block_id_wrapperIjLb0EEEEE10hipError_tT1_PNSt15iterator_traitsISI_E10value_typeET2_T3_PNSJ_ISO_E10value_typeET4_T5_PST_SU_PNS1_23onesweep_lookback_stateEbbT6_jjT7_P12ihipStream_tbENKUlT_T0_SI_SN_E_clISD_SD_SD_SD_EEDaS11_S12_SI_SN_EUlS11_E_NS1_11comp_targetILNS1_3genE10ELNS1_11target_archE1201ELNS1_3gpuE5ELNS1_3repE0EEENS1_47radix_sort_onesweep_sort_config_static_selectorELNS0_4arch9wavefront6targetE1EEEvSI_.has_recursion, 0
	.set _ZN7rocprim17ROCPRIM_400000_NS6detail17trampoline_kernelINS0_14default_configENS1_35radix_sort_onesweep_config_selectorIddEEZZNS1_29radix_sort_onesweep_iterationIS3_Lb0EN6thrust23THRUST_200600_302600_NS6detail15normal_iteratorINS8_10device_ptrIdEEEESD_SD_SD_jNS0_19identity_decomposerENS1_16block_id_wrapperIjLb0EEEEE10hipError_tT1_PNSt15iterator_traitsISI_E10value_typeET2_T3_PNSJ_ISO_E10value_typeET4_T5_PST_SU_PNS1_23onesweep_lookback_stateEbbT6_jjT7_P12ihipStream_tbENKUlT_T0_SI_SN_E_clISD_SD_SD_SD_EEDaS11_S12_SI_SN_EUlS11_E_NS1_11comp_targetILNS1_3genE10ELNS1_11target_archE1201ELNS1_3gpuE5ELNS1_3repE0EEENS1_47radix_sort_onesweep_sort_config_static_selectorELNS0_4arch9wavefront6targetE1EEEvSI_.has_indirect_call, 0
	.section	.AMDGPU.csdata,"",@progbits
; Kernel info:
; codeLenInByte = 0
; TotalNumSgprs: 6
; NumVgprs: 0
; NumAgprs: 0
; TotalNumVgprs: 0
; ScratchSize: 0
; MemoryBound: 0
; FloatMode: 240
; IeeeMode: 1
; LDSByteSize: 0 bytes/workgroup (compile time only)
; SGPRBlocks: 0
; VGPRBlocks: 0
; NumSGPRsForWavesPerEU: 6
; NumVGPRsForWavesPerEU: 1
; AccumOffset: 4
; Occupancy: 8
; WaveLimiterHint : 0
; COMPUTE_PGM_RSRC2:SCRATCH_EN: 0
; COMPUTE_PGM_RSRC2:USER_SGPR: 2
; COMPUTE_PGM_RSRC2:TRAP_HANDLER: 0
; COMPUTE_PGM_RSRC2:TGID_X_EN: 1
; COMPUTE_PGM_RSRC2:TGID_Y_EN: 0
; COMPUTE_PGM_RSRC2:TGID_Z_EN: 0
; COMPUTE_PGM_RSRC2:TIDIG_COMP_CNT: 0
; COMPUTE_PGM_RSRC3_GFX90A:ACCUM_OFFSET: 0
; COMPUTE_PGM_RSRC3_GFX90A:TG_SPLIT: 0
	.section	.text._ZN7rocprim17ROCPRIM_400000_NS6detail17trampoline_kernelINS0_14default_configENS1_35radix_sort_onesweep_config_selectorIddEEZZNS1_29radix_sort_onesweep_iterationIS3_Lb0EN6thrust23THRUST_200600_302600_NS6detail15normal_iteratorINS8_10device_ptrIdEEEESD_SD_SD_jNS0_19identity_decomposerENS1_16block_id_wrapperIjLb0EEEEE10hipError_tT1_PNSt15iterator_traitsISI_E10value_typeET2_T3_PNSJ_ISO_E10value_typeET4_T5_PST_SU_PNS1_23onesweep_lookback_stateEbbT6_jjT7_P12ihipStream_tbENKUlT_T0_SI_SN_E_clISD_SD_SD_SD_EEDaS11_S12_SI_SN_EUlS11_E_NS1_11comp_targetILNS1_3genE9ELNS1_11target_archE1100ELNS1_3gpuE3ELNS1_3repE0EEENS1_47radix_sort_onesweep_sort_config_static_selectorELNS0_4arch9wavefront6targetE1EEEvSI_,"axG",@progbits,_ZN7rocprim17ROCPRIM_400000_NS6detail17trampoline_kernelINS0_14default_configENS1_35radix_sort_onesweep_config_selectorIddEEZZNS1_29radix_sort_onesweep_iterationIS3_Lb0EN6thrust23THRUST_200600_302600_NS6detail15normal_iteratorINS8_10device_ptrIdEEEESD_SD_SD_jNS0_19identity_decomposerENS1_16block_id_wrapperIjLb0EEEEE10hipError_tT1_PNSt15iterator_traitsISI_E10value_typeET2_T3_PNSJ_ISO_E10value_typeET4_T5_PST_SU_PNS1_23onesweep_lookback_stateEbbT6_jjT7_P12ihipStream_tbENKUlT_T0_SI_SN_E_clISD_SD_SD_SD_EEDaS11_S12_SI_SN_EUlS11_E_NS1_11comp_targetILNS1_3genE9ELNS1_11target_archE1100ELNS1_3gpuE3ELNS1_3repE0EEENS1_47radix_sort_onesweep_sort_config_static_selectorELNS0_4arch9wavefront6targetE1EEEvSI_,comdat
	.protected	_ZN7rocprim17ROCPRIM_400000_NS6detail17trampoline_kernelINS0_14default_configENS1_35radix_sort_onesweep_config_selectorIddEEZZNS1_29radix_sort_onesweep_iterationIS3_Lb0EN6thrust23THRUST_200600_302600_NS6detail15normal_iteratorINS8_10device_ptrIdEEEESD_SD_SD_jNS0_19identity_decomposerENS1_16block_id_wrapperIjLb0EEEEE10hipError_tT1_PNSt15iterator_traitsISI_E10value_typeET2_T3_PNSJ_ISO_E10value_typeET4_T5_PST_SU_PNS1_23onesweep_lookback_stateEbbT6_jjT7_P12ihipStream_tbENKUlT_T0_SI_SN_E_clISD_SD_SD_SD_EEDaS11_S12_SI_SN_EUlS11_E_NS1_11comp_targetILNS1_3genE9ELNS1_11target_archE1100ELNS1_3gpuE3ELNS1_3repE0EEENS1_47radix_sort_onesweep_sort_config_static_selectorELNS0_4arch9wavefront6targetE1EEEvSI_ ; -- Begin function _ZN7rocprim17ROCPRIM_400000_NS6detail17trampoline_kernelINS0_14default_configENS1_35radix_sort_onesweep_config_selectorIddEEZZNS1_29radix_sort_onesweep_iterationIS3_Lb0EN6thrust23THRUST_200600_302600_NS6detail15normal_iteratorINS8_10device_ptrIdEEEESD_SD_SD_jNS0_19identity_decomposerENS1_16block_id_wrapperIjLb0EEEEE10hipError_tT1_PNSt15iterator_traitsISI_E10value_typeET2_T3_PNSJ_ISO_E10value_typeET4_T5_PST_SU_PNS1_23onesweep_lookback_stateEbbT6_jjT7_P12ihipStream_tbENKUlT_T0_SI_SN_E_clISD_SD_SD_SD_EEDaS11_S12_SI_SN_EUlS11_E_NS1_11comp_targetILNS1_3genE9ELNS1_11target_archE1100ELNS1_3gpuE3ELNS1_3repE0EEENS1_47radix_sort_onesweep_sort_config_static_selectorELNS0_4arch9wavefront6targetE1EEEvSI_
	.globl	_ZN7rocprim17ROCPRIM_400000_NS6detail17trampoline_kernelINS0_14default_configENS1_35radix_sort_onesweep_config_selectorIddEEZZNS1_29radix_sort_onesweep_iterationIS3_Lb0EN6thrust23THRUST_200600_302600_NS6detail15normal_iteratorINS8_10device_ptrIdEEEESD_SD_SD_jNS0_19identity_decomposerENS1_16block_id_wrapperIjLb0EEEEE10hipError_tT1_PNSt15iterator_traitsISI_E10value_typeET2_T3_PNSJ_ISO_E10value_typeET4_T5_PST_SU_PNS1_23onesweep_lookback_stateEbbT6_jjT7_P12ihipStream_tbENKUlT_T0_SI_SN_E_clISD_SD_SD_SD_EEDaS11_S12_SI_SN_EUlS11_E_NS1_11comp_targetILNS1_3genE9ELNS1_11target_archE1100ELNS1_3gpuE3ELNS1_3repE0EEENS1_47radix_sort_onesweep_sort_config_static_selectorELNS0_4arch9wavefront6targetE1EEEvSI_
	.p2align	8
	.type	_ZN7rocprim17ROCPRIM_400000_NS6detail17trampoline_kernelINS0_14default_configENS1_35radix_sort_onesweep_config_selectorIddEEZZNS1_29radix_sort_onesweep_iterationIS3_Lb0EN6thrust23THRUST_200600_302600_NS6detail15normal_iteratorINS8_10device_ptrIdEEEESD_SD_SD_jNS0_19identity_decomposerENS1_16block_id_wrapperIjLb0EEEEE10hipError_tT1_PNSt15iterator_traitsISI_E10value_typeET2_T3_PNSJ_ISO_E10value_typeET4_T5_PST_SU_PNS1_23onesweep_lookback_stateEbbT6_jjT7_P12ihipStream_tbENKUlT_T0_SI_SN_E_clISD_SD_SD_SD_EEDaS11_S12_SI_SN_EUlS11_E_NS1_11comp_targetILNS1_3genE9ELNS1_11target_archE1100ELNS1_3gpuE3ELNS1_3repE0EEENS1_47radix_sort_onesweep_sort_config_static_selectorELNS0_4arch9wavefront6targetE1EEEvSI_,@function
_ZN7rocprim17ROCPRIM_400000_NS6detail17trampoline_kernelINS0_14default_configENS1_35radix_sort_onesweep_config_selectorIddEEZZNS1_29radix_sort_onesweep_iterationIS3_Lb0EN6thrust23THRUST_200600_302600_NS6detail15normal_iteratorINS8_10device_ptrIdEEEESD_SD_SD_jNS0_19identity_decomposerENS1_16block_id_wrapperIjLb0EEEEE10hipError_tT1_PNSt15iterator_traitsISI_E10value_typeET2_T3_PNSJ_ISO_E10value_typeET4_T5_PST_SU_PNS1_23onesweep_lookback_stateEbbT6_jjT7_P12ihipStream_tbENKUlT_T0_SI_SN_E_clISD_SD_SD_SD_EEDaS11_S12_SI_SN_EUlS11_E_NS1_11comp_targetILNS1_3genE9ELNS1_11target_archE1100ELNS1_3gpuE3ELNS1_3repE0EEENS1_47radix_sort_onesweep_sort_config_static_selectorELNS0_4arch9wavefront6targetE1EEEvSI_: ; @_ZN7rocprim17ROCPRIM_400000_NS6detail17trampoline_kernelINS0_14default_configENS1_35radix_sort_onesweep_config_selectorIddEEZZNS1_29radix_sort_onesweep_iterationIS3_Lb0EN6thrust23THRUST_200600_302600_NS6detail15normal_iteratorINS8_10device_ptrIdEEEESD_SD_SD_jNS0_19identity_decomposerENS1_16block_id_wrapperIjLb0EEEEE10hipError_tT1_PNSt15iterator_traitsISI_E10value_typeET2_T3_PNSJ_ISO_E10value_typeET4_T5_PST_SU_PNS1_23onesweep_lookback_stateEbbT6_jjT7_P12ihipStream_tbENKUlT_T0_SI_SN_E_clISD_SD_SD_SD_EEDaS11_S12_SI_SN_EUlS11_E_NS1_11comp_targetILNS1_3genE9ELNS1_11target_archE1100ELNS1_3gpuE3ELNS1_3repE0EEENS1_47radix_sort_onesweep_sort_config_static_selectorELNS0_4arch9wavefront6targetE1EEEvSI_
; %bb.0:
	.section	.rodata,"a",@progbits
	.p2align	6, 0x0
	.amdhsa_kernel _ZN7rocprim17ROCPRIM_400000_NS6detail17trampoline_kernelINS0_14default_configENS1_35radix_sort_onesweep_config_selectorIddEEZZNS1_29radix_sort_onesweep_iterationIS3_Lb0EN6thrust23THRUST_200600_302600_NS6detail15normal_iteratorINS8_10device_ptrIdEEEESD_SD_SD_jNS0_19identity_decomposerENS1_16block_id_wrapperIjLb0EEEEE10hipError_tT1_PNSt15iterator_traitsISI_E10value_typeET2_T3_PNSJ_ISO_E10value_typeET4_T5_PST_SU_PNS1_23onesweep_lookback_stateEbbT6_jjT7_P12ihipStream_tbENKUlT_T0_SI_SN_E_clISD_SD_SD_SD_EEDaS11_S12_SI_SN_EUlS11_E_NS1_11comp_targetILNS1_3genE9ELNS1_11target_archE1100ELNS1_3gpuE3ELNS1_3repE0EEENS1_47radix_sort_onesweep_sort_config_static_selectorELNS0_4arch9wavefront6targetE1EEEvSI_
		.amdhsa_group_segment_fixed_size 0
		.amdhsa_private_segment_fixed_size 0
		.amdhsa_kernarg_size 88
		.amdhsa_user_sgpr_count 2
		.amdhsa_user_sgpr_dispatch_ptr 0
		.amdhsa_user_sgpr_queue_ptr 0
		.amdhsa_user_sgpr_kernarg_segment_ptr 1
		.amdhsa_user_sgpr_dispatch_id 0
		.amdhsa_user_sgpr_kernarg_preload_length 0
		.amdhsa_user_sgpr_kernarg_preload_offset 0
		.amdhsa_user_sgpr_private_segment_size 0
		.amdhsa_uses_dynamic_stack 0
		.amdhsa_enable_private_segment 0
		.amdhsa_system_sgpr_workgroup_id_x 1
		.amdhsa_system_sgpr_workgroup_id_y 0
		.amdhsa_system_sgpr_workgroup_id_z 0
		.amdhsa_system_sgpr_workgroup_info 0
		.amdhsa_system_vgpr_workitem_id 0
		.amdhsa_next_free_vgpr 1
		.amdhsa_next_free_sgpr 0
		.amdhsa_accum_offset 4
		.amdhsa_reserve_vcc 0
		.amdhsa_float_round_mode_32 0
		.amdhsa_float_round_mode_16_64 0
		.amdhsa_float_denorm_mode_32 3
		.amdhsa_float_denorm_mode_16_64 3
		.amdhsa_dx10_clamp 1
		.amdhsa_ieee_mode 1
		.amdhsa_fp16_overflow 0
		.amdhsa_tg_split 0
		.amdhsa_exception_fp_ieee_invalid_op 0
		.amdhsa_exception_fp_denorm_src 0
		.amdhsa_exception_fp_ieee_div_zero 0
		.amdhsa_exception_fp_ieee_overflow 0
		.amdhsa_exception_fp_ieee_underflow 0
		.amdhsa_exception_fp_ieee_inexact 0
		.amdhsa_exception_int_div_zero 0
	.end_amdhsa_kernel
	.section	.text._ZN7rocprim17ROCPRIM_400000_NS6detail17trampoline_kernelINS0_14default_configENS1_35radix_sort_onesweep_config_selectorIddEEZZNS1_29radix_sort_onesweep_iterationIS3_Lb0EN6thrust23THRUST_200600_302600_NS6detail15normal_iteratorINS8_10device_ptrIdEEEESD_SD_SD_jNS0_19identity_decomposerENS1_16block_id_wrapperIjLb0EEEEE10hipError_tT1_PNSt15iterator_traitsISI_E10value_typeET2_T3_PNSJ_ISO_E10value_typeET4_T5_PST_SU_PNS1_23onesweep_lookback_stateEbbT6_jjT7_P12ihipStream_tbENKUlT_T0_SI_SN_E_clISD_SD_SD_SD_EEDaS11_S12_SI_SN_EUlS11_E_NS1_11comp_targetILNS1_3genE9ELNS1_11target_archE1100ELNS1_3gpuE3ELNS1_3repE0EEENS1_47radix_sort_onesweep_sort_config_static_selectorELNS0_4arch9wavefront6targetE1EEEvSI_,"axG",@progbits,_ZN7rocprim17ROCPRIM_400000_NS6detail17trampoline_kernelINS0_14default_configENS1_35radix_sort_onesweep_config_selectorIddEEZZNS1_29radix_sort_onesweep_iterationIS3_Lb0EN6thrust23THRUST_200600_302600_NS6detail15normal_iteratorINS8_10device_ptrIdEEEESD_SD_SD_jNS0_19identity_decomposerENS1_16block_id_wrapperIjLb0EEEEE10hipError_tT1_PNSt15iterator_traitsISI_E10value_typeET2_T3_PNSJ_ISO_E10value_typeET4_T5_PST_SU_PNS1_23onesweep_lookback_stateEbbT6_jjT7_P12ihipStream_tbENKUlT_T0_SI_SN_E_clISD_SD_SD_SD_EEDaS11_S12_SI_SN_EUlS11_E_NS1_11comp_targetILNS1_3genE9ELNS1_11target_archE1100ELNS1_3gpuE3ELNS1_3repE0EEENS1_47radix_sort_onesweep_sort_config_static_selectorELNS0_4arch9wavefront6targetE1EEEvSI_,comdat
.Lfunc_end143:
	.size	_ZN7rocprim17ROCPRIM_400000_NS6detail17trampoline_kernelINS0_14default_configENS1_35radix_sort_onesweep_config_selectorIddEEZZNS1_29radix_sort_onesweep_iterationIS3_Lb0EN6thrust23THRUST_200600_302600_NS6detail15normal_iteratorINS8_10device_ptrIdEEEESD_SD_SD_jNS0_19identity_decomposerENS1_16block_id_wrapperIjLb0EEEEE10hipError_tT1_PNSt15iterator_traitsISI_E10value_typeET2_T3_PNSJ_ISO_E10value_typeET4_T5_PST_SU_PNS1_23onesweep_lookback_stateEbbT6_jjT7_P12ihipStream_tbENKUlT_T0_SI_SN_E_clISD_SD_SD_SD_EEDaS11_S12_SI_SN_EUlS11_E_NS1_11comp_targetILNS1_3genE9ELNS1_11target_archE1100ELNS1_3gpuE3ELNS1_3repE0EEENS1_47radix_sort_onesweep_sort_config_static_selectorELNS0_4arch9wavefront6targetE1EEEvSI_, .Lfunc_end143-_ZN7rocprim17ROCPRIM_400000_NS6detail17trampoline_kernelINS0_14default_configENS1_35radix_sort_onesweep_config_selectorIddEEZZNS1_29radix_sort_onesweep_iterationIS3_Lb0EN6thrust23THRUST_200600_302600_NS6detail15normal_iteratorINS8_10device_ptrIdEEEESD_SD_SD_jNS0_19identity_decomposerENS1_16block_id_wrapperIjLb0EEEEE10hipError_tT1_PNSt15iterator_traitsISI_E10value_typeET2_T3_PNSJ_ISO_E10value_typeET4_T5_PST_SU_PNS1_23onesweep_lookback_stateEbbT6_jjT7_P12ihipStream_tbENKUlT_T0_SI_SN_E_clISD_SD_SD_SD_EEDaS11_S12_SI_SN_EUlS11_E_NS1_11comp_targetILNS1_3genE9ELNS1_11target_archE1100ELNS1_3gpuE3ELNS1_3repE0EEENS1_47radix_sort_onesweep_sort_config_static_selectorELNS0_4arch9wavefront6targetE1EEEvSI_
                                        ; -- End function
	.set _ZN7rocprim17ROCPRIM_400000_NS6detail17trampoline_kernelINS0_14default_configENS1_35radix_sort_onesweep_config_selectorIddEEZZNS1_29radix_sort_onesweep_iterationIS3_Lb0EN6thrust23THRUST_200600_302600_NS6detail15normal_iteratorINS8_10device_ptrIdEEEESD_SD_SD_jNS0_19identity_decomposerENS1_16block_id_wrapperIjLb0EEEEE10hipError_tT1_PNSt15iterator_traitsISI_E10value_typeET2_T3_PNSJ_ISO_E10value_typeET4_T5_PST_SU_PNS1_23onesweep_lookback_stateEbbT6_jjT7_P12ihipStream_tbENKUlT_T0_SI_SN_E_clISD_SD_SD_SD_EEDaS11_S12_SI_SN_EUlS11_E_NS1_11comp_targetILNS1_3genE9ELNS1_11target_archE1100ELNS1_3gpuE3ELNS1_3repE0EEENS1_47radix_sort_onesweep_sort_config_static_selectorELNS0_4arch9wavefront6targetE1EEEvSI_.num_vgpr, 0
	.set _ZN7rocprim17ROCPRIM_400000_NS6detail17trampoline_kernelINS0_14default_configENS1_35radix_sort_onesweep_config_selectorIddEEZZNS1_29radix_sort_onesweep_iterationIS3_Lb0EN6thrust23THRUST_200600_302600_NS6detail15normal_iteratorINS8_10device_ptrIdEEEESD_SD_SD_jNS0_19identity_decomposerENS1_16block_id_wrapperIjLb0EEEEE10hipError_tT1_PNSt15iterator_traitsISI_E10value_typeET2_T3_PNSJ_ISO_E10value_typeET4_T5_PST_SU_PNS1_23onesweep_lookback_stateEbbT6_jjT7_P12ihipStream_tbENKUlT_T0_SI_SN_E_clISD_SD_SD_SD_EEDaS11_S12_SI_SN_EUlS11_E_NS1_11comp_targetILNS1_3genE9ELNS1_11target_archE1100ELNS1_3gpuE3ELNS1_3repE0EEENS1_47radix_sort_onesweep_sort_config_static_selectorELNS0_4arch9wavefront6targetE1EEEvSI_.num_agpr, 0
	.set _ZN7rocprim17ROCPRIM_400000_NS6detail17trampoline_kernelINS0_14default_configENS1_35radix_sort_onesweep_config_selectorIddEEZZNS1_29radix_sort_onesweep_iterationIS3_Lb0EN6thrust23THRUST_200600_302600_NS6detail15normal_iteratorINS8_10device_ptrIdEEEESD_SD_SD_jNS0_19identity_decomposerENS1_16block_id_wrapperIjLb0EEEEE10hipError_tT1_PNSt15iterator_traitsISI_E10value_typeET2_T3_PNSJ_ISO_E10value_typeET4_T5_PST_SU_PNS1_23onesweep_lookback_stateEbbT6_jjT7_P12ihipStream_tbENKUlT_T0_SI_SN_E_clISD_SD_SD_SD_EEDaS11_S12_SI_SN_EUlS11_E_NS1_11comp_targetILNS1_3genE9ELNS1_11target_archE1100ELNS1_3gpuE3ELNS1_3repE0EEENS1_47radix_sort_onesweep_sort_config_static_selectorELNS0_4arch9wavefront6targetE1EEEvSI_.numbered_sgpr, 0
	.set _ZN7rocprim17ROCPRIM_400000_NS6detail17trampoline_kernelINS0_14default_configENS1_35radix_sort_onesweep_config_selectorIddEEZZNS1_29radix_sort_onesweep_iterationIS3_Lb0EN6thrust23THRUST_200600_302600_NS6detail15normal_iteratorINS8_10device_ptrIdEEEESD_SD_SD_jNS0_19identity_decomposerENS1_16block_id_wrapperIjLb0EEEEE10hipError_tT1_PNSt15iterator_traitsISI_E10value_typeET2_T3_PNSJ_ISO_E10value_typeET4_T5_PST_SU_PNS1_23onesweep_lookback_stateEbbT6_jjT7_P12ihipStream_tbENKUlT_T0_SI_SN_E_clISD_SD_SD_SD_EEDaS11_S12_SI_SN_EUlS11_E_NS1_11comp_targetILNS1_3genE9ELNS1_11target_archE1100ELNS1_3gpuE3ELNS1_3repE0EEENS1_47radix_sort_onesweep_sort_config_static_selectorELNS0_4arch9wavefront6targetE1EEEvSI_.num_named_barrier, 0
	.set _ZN7rocprim17ROCPRIM_400000_NS6detail17trampoline_kernelINS0_14default_configENS1_35radix_sort_onesweep_config_selectorIddEEZZNS1_29radix_sort_onesweep_iterationIS3_Lb0EN6thrust23THRUST_200600_302600_NS6detail15normal_iteratorINS8_10device_ptrIdEEEESD_SD_SD_jNS0_19identity_decomposerENS1_16block_id_wrapperIjLb0EEEEE10hipError_tT1_PNSt15iterator_traitsISI_E10value_typeET2_T3_PNSJ_ISO_E10value_typeET4_T5_PST_SU_PNS1_23onesweep_lookback_stateEbbT6_jjT7_P12ihipStream_tbENKUlT_T0_SI_SN_E_clISD_SD_SD_SD_EEDaS11_S12_SI_SN_EUlS11_E_NS1_11comp_targetILNS1_3genE9ELNS1_11target_archE1100ELNS1_3gpuE3ELNS1_3repE0EEENS1_47radix_sort_onesweep_sort_config_static_selectorELNS0_4arch9wavefront6targetE1EEEvSI_.private_seg_size, 0
	.set _ZN7rocprim17ROCPRIM_400000_NS6detail17trampoline_kernelINS0_14default_configENS1_35radix_sort_onesweep_config_selectorIddEEZZNS1_29radix_sort_onesweep_iterationIS3_Lb0EN6thrust23THRUST_200600_302600_NS6detail15normal_iteratorINS8_10device_ptrIdEEEESD_SD_SD_jNS0_19identity_decomposerENS1_16block_id_wrapperIjLb0EEEEE10hipError_tT1_PNSt15iterator_traitsISI_E10value_typeET2_T3_PNSJ_ISO_E10value_typeET4_T5_PST_SU_PNS1_23onesweep_lookback_stateEbbT6_jjT7_P12ihipStream_tbENKUlT_T0_SI_SN_E_clISD_SD_SD_SD_EEDaS11_S12_SI_SN_EUlS11_E_NS1_11comp_targetILNS1_3genE9ELNS1_11target_archE1100ELNS1_3gpuE3ELNS1_3repE0EEENS1_47radix_sort_onesweep_sort_config_static_selectorELNS0_4arch9wavefront6targetE1EEEvSI_.uses_vcc, 0
	.set _ZN7rocprim17ROCPRIM_400000_NS6detail17trampoline_kernelINS0_14default_configENS1_35radix_sort_onesweep_config_selectorIddEEZZNS1_29radix_sort_onesweep_iterationIS3_Lb0EN6thrust23THRUST_200600_302600_NS6detail15normal_iteratorINS8_10device_ptrIdEEEESD_SD_SD_jNS0_19identity_decomposerENS1_16block_id_wrapperIjLb0EEEEE10hipError_tT1_PNSt15iterator_traitsISI_E10value_typeET2_T3_PNSJ_ISO_E10value_typeET4_T5_PST_SU_PNS1_23onesweep_lookback_stateEbbT6_jjT7_P12ihipStream_tbENKUlT_T0_SI_SN_E_clISD_SD_SD_SD_EEDaS11_S12_SI_SN_EUlS11_E_NS1_11comp_targetILNS1_3genE9ELNS1_11target_archE1100ELNS1_3gpuE3ELNS1_3repE0EEENS1_47radix_sort_onesweep_sort_config_static_selectorELNS0_4arch9wavefront6targetE1EEEvSI_.uses_flat_scratch, 0
	.set _ZN7rocprim17ROCPRIM_400000_NS6detail17trampoline_kernelINS0_14default_configENS1_35radix_sort_onesweep_config_selectorIddEEZZNS1_29radix_sort_onesweep_iterationIS3_Lb0EN6thrust23THRUST_200600_302600_NS6detail15normal_iteratorINS8_10device_ptrIdEEEESD_SD_SD_jNS0_19identity_decomposerENS1_16block_id_wrapperIjLb0EEEEE10hipError_tT1_PNSt15iterator_traitsISI_E10value_typeET2_T3_PNSJ_ISO_E10value_typeET4_T5_PST_SU_PNS1_23onesweep_lookback_stateEbbT6_jjT7_P12ihipStream_tbENKUlT_T0_SI_SN_E_clISD_SD_SD_SD_EEDaS11_S12_SI_SN_EUlS11_E_NS1_11comp_targetILNS1_3genE9ELNS1_11target_archE1100ELNS1_3gpuE3ELNS1_3repE0EEENS1_47radix_sort_onesweep_sort_config_static_selectorELNS0_4arch9wavefront6targetE1EEEvSI_.has_dyn_sized_stack, 0
	.set _ZN7rocprim17ROCPRIM_400000_NS6detail17trampoline_kernelINS0_14default_configENS1_35radix_sort_onesweep_config_selectorIddEEZZNS1_29radix_sort_onesweep_iterationIS3_Lb0EN6thrust23THRUST_200600_302600_NS6detail15normal_iteratorINS8_10device_ptrIdEEEESD_SD_SD_jNS0_19identity_decomposerENS1_16block_id_wrapperIjLb0EEEEE10hipError_tT1_PNSt15iterator_traitsISI_E10value_typeET2_T3_PNSJ_ISO_E10value_typeET4_T5_PST_SU_PNS1_23onesweep_lookback_stateEbbT6_jjT7_P12ihipStream_tbENKUlT_T0_SI_SN_E_clISD_SD_SD_SD_EEDaS11_S12_SI_SN_EUlS11_E_NS1_11comp_targetILNS1_3genE9ELNS1_11target_archE1100ELNS1_3gpuE3ELNS1_3repE0EEENS1_47radix_sort_onesweep_sort_config_static_selectorELNS0_4arch9wavefront6targetE1EEEvSI_.has_recursion, 0
	.set _ZN7rocprim17ROCPRIM_400000_NS6detail17trampoline_kernelINS0_14default_configENS1_35radix_sort_onesweep_config_selectorIddEEZZNS1_29radix_sort_onesweep_iterationIS3_Lb0EN6thrust23THRUST_200600_302600_NS6detail15normal_iteratorINS8_10device_ptrIdEEEESD_SD_SD_jNS0_19identity_decomposerENS1_16block_id_wrapperIjLb0EEEEE10hipError_tT1_PNSt15iterator_traitsISI_E10value_typeET2_T3_PNSJ_ISO_E10value_typeET4_T5_PST_SU_PNS1_23onesweep_lookback_stateEbbT6_jjT7_P12ihipStream_tbENKUlT_T0_SI_SN_E_clISD_SD_SD_SD_EEDaS11_S12_SI_SN_EUlS11_E_NS1_11comp_targetILNS1_3genE9ELNS1_11target_archE1100ELNS1_3gpuE3ELNS1_3repE0EEENS1_47radix_sort_onesweep_sort_config_static_selectorELNS0_4arch9wavefront6targetE1EEEvSI_.has_indirect_call, 0
	.section	.AMDGPU.csdata,"",@progbits
; Kernel info:
; codeLenInByte = 0
; TotalNumSgprs: 6
; NumVgprs: 0
; NumAgprs: 0
; TotalNumVgprs: 0
; ScratchSize: 0
; MemoryBound: 0
; FloatMode: 240
; IeeeMode: 1
; LDSByteSize: 0 bytes/workgroup (compile time only)
; SGPRBlocks: 0
; VGPRBlocks: 0
; NumSGPRsForWavesPerEU: 6
; NumVGPRsForWavesPerEU: 1
; AccumOffset: 4
; Occupancy: 8
; WaveLimiterHint : 0
; COMPUTE_PGM_RSRC2:SCRATCH_EN: 0
; COMPUTE_PGM_RSRC2:USER_SGPR: 2
; COMPUTE_PGM_RSRC2:TRAP_HANDLER: 0
; COMPUTE_PGM_RSRC2:TGID_X_EN: 1
; COMPUTE_PGM_RSRC2:TGID_Y_EN: 0
; COMPUTE_PGM_RSRC2:TGID_Z_EN: 0
; COMPUTE_PGM_RSRC2:TIDIG_COMP_CNT: 0
; COMPUTE_PGM_RSRC3_GFX90A:ACCUM_OFFSET: 0
; COMPUTE_PGM_RSRC3_GFX90A:TG_SPLIT: 0
	.section	.text._ZN7rocprim17ROCPRIM_400000_NS6detail17trampoline_kernelINS0_14default_configENS1_35radix_sort_onesweep_config_selectorIddEEZZNS1_29radix_sort_onesweep_iterationIS3_Lb0EN6thrust23THRUST_200600_302600_NS6detail15normal_iteratorINS8_10device_ptrIdEEEESD_SD_SD_jNS0_19identity_decomposerENS1_16block_id_wrapperIjLb0EEEEE10hipError_tT1_PNSt15iterator_traitsISI_E10value_typeET2_T3_PNSJ_ISO_E10value_typeET4_T5_PST_SU_PNS1_23onesweep_lookback_stateEbbT6_jjT7_P12ihipStream_tbENKUlT_T0_SI_SN_E_clISD_SD_SD_SD_EEDaS11_S12_SI_SN_EUlS11_E_NS1_11comp_targetILNS1_3genE8ELNS1_11target_archE1030ELNS1_3gpuE2ELNS1_3repE0EEENS1_47radix_sort_onesweep_sort_config_static_selectorELNS0_4arch9wavefront6targetE1EEEvSI_,"axG",@progbits,_ZN7rocprim17ROCPRIM_400000_NS6detail17trampoline_kernelINS0_14default_configENS1_35radix_sort_onesweep_config_selectorIddEEZZNS1_29radix_sort_onesweep_iterationIS3_Lb0EN6thrust23THRUST_200600_302600_NS6detail15normal_iteratorINS8_10device_ptrIdEEEESD_SD_SD_jNS0_19identity_decomposerENS1_16block_id_wrapperIjLb0EEEEE10hipError_tT1_PNSt15iterator_traitsISI_E10value_typeET2_T3_PNSJ_ISO_E10value_typeET4_T5_PST_SU_PNS1_23onesweep_lookback_stateEbbT6_jjT7_P12ihipStream_tbENKUlT_T0_SI_SN_E_clISD_SD_SD_SD_EEDaS11_S12_SI_SN_EUlS11_E_NS1_11comp_targetILNS1_3genE8ELNS1_11target_archE1030ELNS1_3gpuE2ELNS1_3repE0EEENS1_47radix_sort_onesweep_sort_config_static_selectorELNS0_4arch9wavefront6targetE1EEEvSI_,comdat
	.protected	_ZN7rocprim17ROCPRIM_400000_NS6detail17trampoline_kernelINS0_14default_configENS1_35radix_sort_onesweep_config_selectorIddEEZZNS1_29radix_sort_onesweep_iterationIS3_Lb0EN6thrust23THRUST_200600_302600_NS6detail15normal_iteratorINS8_10device_ptrIdEEEESD_SD_SD_jNS0_19identity_decomposerENS1_16block_id_wrapperIjLb0EEEEE10hipError_tT1_PNSt15iterator_traitsISI_E10value_typeET2_T3_PNSJ_ISO_E10value_typeET4_T5_PST_SU_PNS1_23onesweep_lookback_stateEbbT6_jjT7_P12ihipStream_tbENKUlT_T0_SI_SN_E_clISD_SD_SD_SD_EEDaS11_S12_SI_SN_EUlS11_E_NS1_11comp_targetILNS1_3genE8ELNS1_11target_archE1030ELNS1_3gpuE2ELNS1_3repE0EEENS1_47radix_sort_onesweep_sort_config_static_selectorELNS0_4arch9wavefront6targetE1EEEvSI_ ; -- Begin function _ZN7rocprim17ROCPRIM_400000_NS6detail17trampoline_kernelINS0_14default_configENS1_35radix_sort_onesweep_config_selectorIddEEZZNS1_29radix_sort_onesweep_iterationIS3_Lb0EN6thrust23THRUST_200600_302600_NS6detail15normal_iteratorINS8_10device_ptrIdEEEESD_SD_SD_jNS0_19identity_decomposerENS1_16block_id_wrapperIjLb0EEEEE10hipError_tT1_PNSt15iterator_traitsISI_E10value_typeET2_T3_PNSJ_ISO_E10value_typeET4_T5_PST_SU_PNS1_23onesweep_lookback_stateEbbT6_jjT7_P12ihipStream_tbENKUlT_T0_SI_SN_E_clISD_SD_SD_SD_EEDaS11_S12_SI_SN_EUlS11_E_NS1_11comp_targetILNS1_3genE8ELNS1_11target_archE1030ELNS1_3gpuE2ELNS1_3repE0EEENS1_47radix_sort_onesweep_sort_config_static_selectorELNS0_4arch9wavefront6targetE1EEEvSI_
	.globl	_ZN7rocprim17ROCPRIM_400000_NS6detail17trampoline_kernelINS0_14default_configENS1_35radix_sort_onesweep_config_selectorIddEEZZNS1_29radix_sort_onesweep_iterationIS3_Lb0EN6thrust23THRUST_200600_302600_NS6detail15normal_iteratorINS8_10device_ptrIdEEEESD_SD_SD_jNS0_19identity_decomposerENS1_16block_id_wrapperIjLb0EEEEE10hipError_tT1_PNSt15iterator_traitsISI_E10value_typeET2_T3_PNSJ_ISO_E10value_typeET4_T5_PST_SU_PNS1_23onesweep_lookback_stateEbbT6_jjT7_P12ihipStream_tbENKUlT_T0_SI_SN_E_clISD_SD_SD_SD_EEDaS11_S12_SI_SN_EUlS11_E_NS1_11comp_targetILNS1_3genE8ELNS1_11target_archE1030ELNS1_3gpuE2ELNS1_3repE0EEENS1_47radix_sort_onesweep_sort_config_static_selectorELNS0_4arch9wavefront6targetE1EEEvSI_
	.p2align	8
	.type	_ZN7rocprim17ROCPRIM_400000_NS6detail17trampoline_kernelINS0_14default_configENS1_35radix_sort_onesweep_config_selectorIddEEZZNS1_29radix_sort_onesweep_iterationIS3_Lb0EN6thrust23THRUST_200600_302600_NS6detail15normal_iteratorINS8_10device_ptrIdEEEESD_SD_SD_jNS0_19identity_decomposerENS1_16block_id_wrapperIjLb0EEEEE10hipError_tT1_PNSt15iterator_traitsISI_E10value_typeET2_T3_PNSJ_ISO_E10value_typeET4_T5_PST_SU_PNS1_23onesweep_lookback_stateEbbT6_jjT7_P12ihipStream_tbENKUlT_T0_SI_SN_E_clISD_SD_SD_SD_EEDaS11_S12_SI_SN_EUlS11_E_NS1_11comp_targetILNS1_3genE8ELNS1_11target_archE1030ELNS1_3gpuE2ELNS1_3repE0EEENS1_47radix_sort_onesweep_sort_config_static_selectorELNS0_4arch9wavefront6targetE1EEEvSI_,@function
_ZN7rocprim17ROCPRIM_400000_NS6detail17trampoline_kernelINS0_14default_configENS1_35radix_sort_onesweep_config_selectorIddEEZZNS1_29radix_sort_onesweep_iterationIS3_Lb0EN6thrust23THRUST_200600_302600_NS6detail15normal_iteratorINS8_10device_ptrIdEEEESD_SD_SD_jNS0_19identity_decomposerENS1_16block_id_wrapperIjLb0EEEEE10hipError_tT1_PNSt15iterator_traitsISI_E10value_typeET2_T3_PNSJ_ISO_E10value_typeET4_T5_PST_SU_PNS1_23onesweep_lookback_stateEbbT6_jjT7_P12ihipStream_tbENKUlT_T0_SI_SN_E_clISD_SD_SD_SD_EEDaS11_S12_SI_SN_EUlS11_E_NS1_11comp_targetILNS1_3genE8ELNS1_11target_archE1030ELNS1_3gpuE2ELNS1_3repE0EEENS1_47radix_sort_onesweep_sort_config_static_selectorELNS0_4arch9wavefront6targetE1EEEvSI_: ; @_ZN7rocprim17ROCPRIM_400000_NS6detail17trampoline_kernelINS0_14default_configENS1_35radix_sort_onesweep_config_selectorIddEEZZNS1_29radix_sort_onesweep_iterationIS3_Lb0EN6thrust23THRUST_200600_302600_NS6detail15normal_iteratorINS8_10device_ptrIdEEEESD_SD_SD_jNS0_19identity_decomposerENS1_16block_id_wrapperIjLb0EEEEE10hipError_tT1_PNSt15iterator_traitsISI_E10value_typeET2_T3_PNSJ_ISO_E10value_typeET4_T5_PST_SU_PNS1_23onesweep_lookback_stateEbbT6_jjT7_P12ihipStream_tbENKUlT_T0_SI_SN_E_clISD_SD_SD_SD_EEDaS11_S12_SI_SN_EUlS11_E_NS1_11comp_targetILNS1_3genE8ELNS1_11target_archE1030ELNS1_3gpuE2ELNS1_3repE0EEENS1_47radix_sort_onesweep_sort_config_static_selectorELNS0_4arch9wavefront6targetE1EEEvSI_
; %bb.0:
	.section	.rodata,"a",@progbits
	.p2align	6, 0x0
	.amdhsa_kernel _ZN7rocprim17ROCPRIM_400000_NS6detail17trampoline_kernelINS0_14default_configENS1_35radix_sort_onesweep_config_selectorIddEEZZNS1_29radix_sort_onesweep_iterationIS3_Lb0EN6thrust23THRUST_200600_302600_NS6detail15normal_iteratorINS8_10device_ptrIdEEEESD_SD_SD_jNS0_19identity_decomposerENS1_16block_id_wrapperIjLb0EEEEE10hipError_tT1_PNSt15iterator_traitsISI_E10value_typeET2_T3_PNSJ_ISO_E10value_typeET4_T5_PST_SU_PNS1_23onesweep_lookback_stateEbbT6_jjT7_P12ihipStream_tbENKUlT_T0_SI_SN_E_clISD_SD_SD_SD_EEDaS11_S12_SI_SN_EUlS11_E_NS1_11comp_targetILNS1_3genE8ELNS1_11target_archE1030ELNS1_3gpuE2ELNS1_3repE0EEENS1_47radix_sort_onesweep_sort_config_static_selectorELNS0_4arch9wavefront6targetE1EEEvSI_
		.amdhsa_group_segment_fixed_size 0
		.amdhsa_private_segment_fixed_size 0
		.amdhsa_kernarg_size 88
		.amdhsa_user_sgpr_count 2
		.amdhsa_user_sgpr_dispatch_ptr 0
		.amdhsa_user_sgpr_queue_ptr 0
		.amdhsa_user_sgpr_kernarg_segment_ptr 1
		.amdhsa_user_sgpr_dispatch_id 0
		.amdhsa_user_sgpr_kernarg_preload_length 0
		.amdhsa_user_sgpr_kernarg_preload_offset 0
		.amdhsa_user_sgpr_private_segment_size 0
		.amdhsa_uses_dynamic_stack 0
		.amdhsa_enable_private_segment 0
		.amdhsa_system_sgpr_workgroup_id_x 1
		.amdhsa_system_sgpr_workgroup_id_y 0
		.amdhsa_system_sgpr_workgroup_id_z 0
		.amdhsa_system_sgpr_workgroup_info 0
		.amdhsa_system_vgpr_workitem_id 0
		.amdhsa_next_free_vgpr 1
		.amdhsa_next_free_sgpr 0
		.amdhsa_accum_offset 4
		.amdhsa_reserve_vcc 0
		.amdhsa_float_round_mode_32 0
		.amdhsa_float_round_mode_16_64 0
		.amdhsa_float_denorm_mode_32 3
		.amdhsa_float_denorm_mode_16_64 3
		.amdhsa_dx10_clamp 1
		.amdhsa_ieee_mode 1
		.amdhsa_fp16_overflow 0
		.amdhsa_tg_split 0
		.amdhsa_exception_fp_ieee_invalid_op 0
		.amdhsa_exception_fp_denorm_src 0
		.amdhsa_exception_fp_ieee_div_zero 0
		.amdhsa_exception_fp_ieee_overflow 0
		.amdhsa_exception_fp_ieee_underflow 0
		.amdhsa_exception_fp_ieee_inexact 0
		.amdhsa_exception_int_div_zero 0
	.end_amdhsa_kernel
	.section	.text._ZN7rocprim17ROCPRIM_400000_NS6detail17trampoline_kernelINS0_14default_configENS1_35radix_sort_onesweep_config_selectorIddEEZZNS1_29radix_sort_onesweep_iterationIS3_Lb0EN6thrust23THRUST_200600_302600_NS6detail15normal_iteratorINS8_10device_ptrIdEEEESD_SD_SD_jNS0_19identity_decomposerENS1_16block_id_wrapperIjLb0EEEEE10hipError_tT1_PNSt15iterator_traitsISI_E10value_typeET2_T3_PNSJ_ISO_E10value_typeET4_T5_PST_SU_PNS1_23onesweep_lookback_stateEbbT6_jjT7_P12ihipStream_tbENKUlT_T0_SI_SN_E_clISD_SD_SD_SD_EEDaS11_S12_SI_SN_EUlS11_E_NS1_11comp_targetILNS1_3genE8ELNS1_11target_archE1030ELNS1_3gpuE2ELNS1_3repE0EEENS1_47radix_sort_onesweep_sort_config_static_selectorELNS0_4arch9wavefront6targetE1EEEvSI_,"axG",@progbits,_ZN7rocprim17ROCPRIM_400000_NS6detail17trampoline_kernelINS0_14default_configENS1_35radix_sort_onesweep_config_selectorIddEEZZNS1_29radix_sort_onesweep_iterationIS3_Lb0EN6thrust23THRUST_200600_302600_NS6detail15normal_iteratorINS8_10device_ptrIdEEEESD_SD_SD_jNS0_19identity_decomposerENS1_16block_id_wrapperIjLb0EEEEE10hipError_tT1_PNSt15iterator_traitsISI_E10value_typeET2_T3_PNSJ_ISO_E10value_typeET4_T5_PST_SU_PNS1_23onesweep_lookback_stateEbbT6_jjT7_P12ihipStream_tbENKUlT_T0_SI_SN_E_clISD_SD_SD_SD_EEDaS11_S12_SI_SN_EUlS11_E_NS1_11comp_targetILNS1_3genE8ELNS1_11target_archE1030ELNS1_3gpuE2ELNS1_3repE0EEENS1_47radix_sort_onesweep_sort_config_static_selectorELNS0_4arch9wavefront6targetE1EEEvSI_,comdat
.Lfunc_end144:
	.size	_ZN7rocprim17ROCPRIM_400000_NS6detail17trampoline_kernelINS0_14default_configENS1_35radix_sort_onesweep_config_selectorIddEEZZNS1_29radix_sort_onesweep_iterationIS3_Lb0EN6thrust23THRUST_200600_302600_NS6detail15normal_iteratorINS8_10device_ptrIdEEEESD_SD_SD_jNS0_19identity_decomposerENS1_16block_id_wrapperIjLb0EEEEE10hipError_tT1_PNSt15iterator_traitsISI_E10value_typeET2_T3_PNSJ_ISO_E10value_typeET4_T5_PST_SU_PNS1_23onesweep_lookback_stateEbbT6_jjT7_P12ihipStream_tbENKUlT_T0_SI_SN_E_clISD_SD_SD_SD_EEDaS11_S12_SI_SN_EUlS11_E_NS1_11comp_targetILNS1_3genE8ELNS1_11target_archE1030ELNS1_3gpuE2ELNS1_3repE0EEENS1_47radix_sort_onesweep_sort_config_static_selectorELNS0_4arch9wavefront6targetE1EEEvSI_, .Lfunc_end144-_ZN7rocprim17ROCPRIM_400000_NS6detail17trampoline_kernelINS0_14default_configENS1_35radix_sort_onesweep_config_selectorIddEEZZNS1_29radix_sort_onesweep_iterationIS3_Lb0EN6thrust23THRUST_200600_302600_NS6detail15normal_iteratorINS8_10device_ptrIdEEEESD_SD_SD_jNS0_19identity_decomposerENS1_16block_id_wrapperIjLb0EEEEE10hipError_tT1_PNSt15iterator_traitsISI_E10value_typeET2_T3_PNSJ_ISO_E10value_typeET4_T5_PST_SU_PNS1_23onesweep_lookback_stateEbbT6_jjT7_P12ihipStream_tbENKUlT_T0_SI_SN_E_clISD_SD_SD_SD_EEDaS11_S12_SI_SN_EUlS11_E_NS1_11comp_targetILNS1_3genE8ELNS1_11target_archE1030ELNS1_3gpuE2ELNS1_3repE0EEENS1_47radix_sort_onesweep_sort_config_static_selectorELNS0_4arch9wavefront6targetE1EEEvSI_
                                        ; -- End function
	.set _ZN7rocprim17ROCPRIM_400000_NS6detail17trampoline_kernelINS0_14default_configENS1_35radix_sort_onesweep_config_selectorIddEEZZNS1_29radix_sort_onesweep_iterationIS3_Lb0EN6thrust23THRUST_200600_302600_NS6detail15normal_iteratorINS8_10device_ptrIdEEEESD_SD_SD_jNS0_19identity_decomposerENS1_16block_id_wrapperIjLb0EEEEE10hipError_tT1_PNSt15iterator_traitsISI_E10value_typeET2_T3_PNSJ_ISO_E10value_typeET4_T5_PST_SU_PNS1_23onesweep_lookback_stateEbbT6_jjT7_P12ihipStream_tbENKUlT_T0_SI_SN_E_clISD_SD_SD_SD_EEDaS11_S12_SI_SN_EUlS11_E_NS1_11comp_targetILNS1_3genE8ELNS1_11target_archE1030ELNS1_3gpuE2ELNS1_3repE0EEENS1_47radix_sort_onesweep_sort_config_static_selectorELNS0_4arch9wavefront6targetE1EEEvSI_.num_vgpr, 0
	.set _ZN7rocprim17ROCPRIM_400000_NS6detail17trampoline_kernelINS0_14default_configENS1_35radix_sort_onesweep_config_selectorIddEEZZNS1_29radix_sort_onesweep_iterationIS3_Lb0EN6thrust23THRUST_200600_302600_NS6detail15normal_iteratorINS8_10device_ptrIdEEEESD_SD_SD_jNS0_19identity_decomposerENS1_16block_id_wrapperIjLb0EEEEE10hipError_tT1_PNSt15iterator_traitsISI_E10value_typeET2_T3_PNSJ_ISO_E10value_typeET4_T5_PST_SU_PNS1_23onesweep_lookback_stateEbbT6_jjT7_P12ihipStream_tbENKUlT_T0_SI_SN_E_clISD_SD_SD_SD_EEDaS11_S12_SI_SN_EUlS11_E_NS1_11comp_targetILNS1_3genE8ELNS1_11target_archE1030ELNS1_3gpuE2ELNS1_3repE0EEENS1_47radix_sort_onesweep_sort_config_static_selectorELNS0_4arch9wavefront6targetE1EEEvSI_.num_agpr, 0
	.set _ZN7rocprim17ROCPRIM_400000_NS6detail17trampoline_kernelINS0_14default_configENS1_35radix_sort_onesweep_config_selectorIddEEZZNS1_29radix_sort_onesweep_iterationIS3_Lb0EN6thrust23THRUST_200600_302600_NS6detail15normal_iteratorINS8_10device_ptrIdEEEESD_SD_SD_jNS0_19identity_decomposerENS1_16block_id_wrapperIjLb0EEEEE10hipError_tT1_PNSt15iterator_traitsISI_E10value_typeET2_T3_PNSJ_ISO_E10value_typeET4_T5_PST_SU_PNS1_23onesweep_lookback_stateEbbT6_jjT7_P12ihipStream_tbENKUlT_T0_SI_SN_E_clISD_SD_SD_SD_EEDaS11_S12_SI_SN_EUlS11_E_NS1_11comp_targetILNS1_3genE8ELNS1_11target_archE1030ELNS1_3gpuE2ELNS1_3repE0EEENS1_47radix_sort_onesweep_sort_config_static_selectorELNS0_4arch9wavefront6targetE1EEEvSI_.numbered_sgpr, 0
	.set _ZN7rocprim17ROCPRIM_400000_NS6detail17trampoline_kernelINS0_14default_configENS1_35radix_sort_onesweep_config_selectorIddEEZZNS1_29radix_sort_onesweep_iterationIS3_Lb0EN6thrust23THRUST_200600_302600_NS6detail15normal_iteratorINS8_10device_ptrIdEEEESD_SD_SD_jNS0_19identity_decomposerENS1_16block_id_wrapperIjLb0EEEEE10hipError_tT1_PNSt15iterator_traitsISI_E10value_typeET2_T3_PNSJ_ISO_E10value_typeET4_T5_PST_SU_PNS1_23onesweep_lookback_stateEbbT6_jjT7_P12ihipStream_tbENKUlT_T0_SI_SN_E_clISD_SD_SD_SD_EEDaS11_S12_SI_SN_EUlS11_E_NS1_11comp_targetILNS1_3genE8ELNS1_11target_archE1030ELNS1_3gpuE2ELNS1_3repE0EEENS1_47radix_sort_onesweep_sort_config_static_selectorELNS0_4arch9wavefront6targetE1EEEvSI_.num_named_barrier, 0
	.set _ZN7rocprim17ROCPRIM_400000_NS6detail17trampoline_kernelINS0_14default_configENS1_35radix_sort_onesweep_config_selectorIddEEZZNS1_29radix_sort_onesweep_iterationIS3_Lb0EN6thrust23THRUST_200600_302600_NS6detail15normal_iteratorINS8_10device_ptrIdEEEESD_SD_SD_jNS0_19identity_decomposerENS1_16block_id_wrapperIjLb0EEEEE10hipError_tT1_PNSt15iterator_traitsISI_E10value_typeET2_T3_PNSJ_ISO_E10value_typeET4_T5_PST_SU_PNS1_23onesweep_lookback_stateEbbT6_jjT7_P12ihipStream_tbENKUlT_T0_SI_SN_E_clISD_SD_SD_SD_EEDaS11_S12_SI_SN_EUlS11_E_NS1_11comp_targetILNS1_3genE8ELNS1_11target_archE1030ELNS1_3gpuE2ELNS1_3repE0EEENS1_47radix_sort_onesweep_sort_config_static_selectorELNS0_4arch9wavefront6targetE1EEEvSI_.private_seg_size, 0
	.set _ZN7rocprim17ROCPRIM_400000_NS6detail17trampoline_kernelINS0_14default_configENS1_35radix_sort_onesweep_config_selectorIddEEZZNS1_29radix_sort_onesweep_iterationIS3_Lb0EN6thrust23THRUST_200600_302600_NS6detail15normal_iteratorINS8_10device_ptrIdEEEESD_SD_SD_jNS0_19identity_decomposerENS1_16block_id_wrapperIjLb0EEEEE10hipError_tT1_PNSt15iterator_traitsISI_E10value_typeET2_T3_PNSJ_ISO_E10value_typeET4_T5_PST_SU_PNS1_23onesweep_lookback_stateEbbT6_jjT7_P12ihipStream_tbENKUlT_T0_SI_SN_E_clISD_SD_SD_SD_EEDaS11_S12_SI_SN_EUlS11_E_NS1_11comp_targetILNS1_3genE8ELNS1_11target_archE1030ELNS1_3gpuE2ELNS1_3repE0EEENS1_47radix_sort_onesweep_sort_config_static_selectorELNS0_4arch9wavefront6targetE1EEEvSI_.uses_vcc, 0
	.set _ZN7rocprim17ROCPRIM_400000_NS6detail17trampoline_kernelINS0_14default_configENS1_35radix_sort_onesweep_config_selectorIddEEZZNS1_29radix_sort_onesweep_iterationIS3_Lb0EN6thrust23THRUST_200600_302600_NS6detail15normal_iteratorINS8_10device_ptrIdEEEESD_SD_SD_jNS0_19identity_decomposerENS1_16block_id_wrapperIjLb0EEEEE10hipError_tT1_PNSt15iterator_traitsISI_E10value_typeET2_T3_PNSJ_ISO_E10value_typeET4_T5_PST_SU_PNS1_23onesweep_lookback_stateEbbT6_jjT7_P12ihipStream_tbENKUlT_T0_SI_SN_E_clISD_SD_SD_SD_EEDaS11_S12_SI_SN_EUlS11_E_NS1_11comp_targetILNS1_3genE8ELNS1_11target_archE1030ELNS1_3gpuE2ELNS1_3repE0EEENS1_47radix_sort_onesweep_sort_config_static_selectorELNS0_4arch9wavefront6targetE1EEEvSI_.uses_flat_scratch, 0
	.set _ZN7rocprim17ROCPRIM_400000_NS6detail17trampoline_kernelINS0_14default_configENS1_35radix_sort_onesweep_config_selectorIddEEZZNS1_29radix_sort_onesweep_iterationIS3_Lb0EN6thrust23THRUST_200600_302600_NS6detail15normal_iteratorINS8_10device_ptrIdEEEESD_SD_SD_jNS0_19identity_decomposerENS1_16block_id_wrapperIjLb0EEEEE10hipError_tT1_PNSt15iterator_traitsISI_E10value_typeET2_T3_PNSJ_ISO_E10value_typeET4_T5_PST_SU_PNS1_23onesweep_lookback_stateEbbT6_jjT7_P12ihipStream_tbENKUlT_T0_SI_SN_E_clISD_SD_SD_SD_EEDaS11_S12_SI_SN_EUlS11_E_NS1_11comp_targetILNS1_3genE8ELNS1_11target_archE1030ELNS1_3gpuE2ELNS1_3repE0EEENS1_47radix_sort_onesweep_sort_config_static_selectorELNS0_4arch9wavefront6targetE1EEEvSI_.has_dyn_sized_stack, 0
	.set _ZN7rocprim17ROCPRIM_400000_NS6detail17trampoline_kernelINS0_14default_configENS1_35radix_sort_onesweep_config_selectorIddEEZZNS1_29radix_sort_onesweep_iterationIS3_Lb0EN6thrust23THRUST_200600_302600_NS6detail15normal_iteratorINS8_10device_ptrIdEEEESD_SD_SD_jNS0_19identity_decomposerENS1_16block_id_wrapperIjLb0EEEEE10hipError_tT1_PNSt15iterator_traitsISI_E10value_typeET2_T3_PNSJ_ISO_E10value_typeET4_T5_PST_SU_PNS1_23onesweep_lookback_stateEbbT6_jjT7_P12ihipStream_tbENKUlT_T0_SI_SN_E_clISD_SD_SD_SD_EEDaS11_S12_SI_SN_EUlS11_E_NS1_11comp_targetILNS1_3genE8ELNS1_11target_archE1030ELNS1_3gpuE2ELNS1_3repE0EEENS1_47radix_sort_onesweep_sort_config_static_selectorELNS0_4arch9wavefront6targetE1EEEvSI_.has_recursion, 0
	.set _ZN7rocprim17ROCPRIM_400000_NS6detail17trampoline_kernelINS0_14default_configENS1_35radix_sort_onesweep_config_selectorIddEEZZNS1_29radix_sort_onesweep_iterationIS3_Lb0EN6thrust23THRUST_200600_302600_NS6detail15normal_iteratorINS8_10device_ptrIdEEEESD_SD_SD_jNS0_19identity_decomposerENS1_16block_id_wrapperIjLb0EEEEE10hipError_tT1_PNSt15iterator_traitsISI_E10value_typeET2_T3_PNSJ_ISO_E10value_typeET4_T5_PST_SU_PNS1_23onesweep_lookback_stateEbbT6_jjT7_P12ihipStream_tbENKUlT_T0_SI_SN_E_clISD_SD_SD_SD_EEDaS11_S12_SI_SN_EUlS11_E_NS1_11comp_targetILNS1_3genE8ELNS1_11target_archE1030ELNS1_3gpuE2ELNS1_3repE0EEENS1_47radix_sort_onesweep_sort_config_static_selectorELNS0_4arch9wavefront6targetE1EEEvSI_.has_indirect_call, 0
	.section	.AMDGPU.csdata,"",@progbits
; Kernel info:
; codeLenInByte = 0
; TotalNumSgprs: 6
; NumVgprs: 0
; NumAgprs: 0
; TotalNumVgprs: 0
; ScratchSize: 0
; MemoryBound: 0
; FloatMode: 240
; IeeeMode: 1
; LDSByteSize: 0 bytes/workgroup (compile time only)
; SGPRBlocks: 0
; VGPRBlocks: 0
; NumSGPRsForWavesPerEU: 6
; NumVGPRsForWavesPerEU: 1
; AccumOffset: 4
; Occupancy: 8
; WaveLimiterHint : 0
; COMPUTE_PGM_RSRC2:SCRATCH_EN: 0
; COMPUTE_PGM_RSRC2:USER_SGPR: 2
; COMPUTE_PGM_RSRC2:TRAP_HANDLER: 0
; COMPUTE_PGM_RSRC2:TGID_X_EN: 1
; COMPUTE_PGM_RSRC2:TGID_Y_EN: 0
; COMPUTE_PGM_RSRC2:TGID_Z_EN: 0
; COMPUTE_PGM_RSRC2:TIDIG_COMP_CNT: 0
; COMPUTE_PGM_RSRC3_GFX90A:ACCUM_OFFSET: 0
; COMPUTE_PGM_RSRC3_GFX90A:TG_SPLIT: 0
	.section	.text._ZN7rocprim17ROCPRIM_400000_NS6detail17trampoline_kernelINS0_14default_configENS1_35radix_sort_onesweep_config_selectorIddEEZZNS1_29radix_sort_onesweep_iterationIS3_Lb0EN6thrust23THRUST_200600_302600_NS6detail15normal_iteratorINS8_10device_ptrIdEEEESD_SD_SD_jNS0_19identity_decomposerENS1_16block_id_wrapperIjLb0EEEEE10hipError_tT1_PNSt15iterator_traitsISI_E10value_typeET2_T3_PNSJ_ISO_E10value_typeET4_T5_PST_SU_PNS1_23onesweep_lookback_stateEbbT6_jjT7_P12ihipStream_tbENKUlT_T0_SI_SN_E_clISD_PdSD_S15_EEDaS11_S12_SI_SN_EUlS11_E_NS1_11comp_targetILNS1_3genE0ELNS1_11target_archE4294967295ELNS1_3gpuE0ELNS1_3repE0EEENS1_47radix_sort_onesweep_sort_config_static_selectorELNS0_4arch9wavefront6targetE1EEEvSI_,"axG",@progbits,_ZN7rocprim17ROCPRIM_400000_NS6detail17trampoline_kernelINS0_14default_configENS1_35radix_sort_onesweep_config_selectorIddEEZZNS1_29radix_sort_onesweep_iterationIS3_Lb0EN6thrust23THRUST_200600_302600_NS6detail15normal_iteratorINS8_10device_ptrIdEEEESD_SD_SD_jNS0_19identity_decomposerENS1_16block_id_wrapperIjLb0EEEEE10hipError_tT1_PNSt15iterator_traitsISI_E10value_typeET2_T3_PNSJ_ISO_E10value_typeET4_T5_PST_SU_PNS1_23onesweep_lookback_stateEbbT6_jjT7_P12ihipStream_tbENKUlT_T0_SI_SN_E_clISD_PdSD_S15_EEDaS11_S12_SI_SN_EUlS11_E_NS1_11comp_targetILNS1_3genE0ELNS1_11target_archE4294967295ELNS1_3gpuE0ELNS1_3repE0EEENS1_47radix_sort_onesweep_sort_config_static_selectorELNS0_4arch9wavefront6targetE1EEEvSI_,comdat
	.protected	_ZN7rocprim17ROCPRIM_400000_NS6detail17trampoline_kernelINS0_14default_configENS1_35radix_sort_onesweep_config_selectorIddEEZZNS1_29radix_sort_onesweep_iterationIS3_Lb0EN6thrust23THRUST_200600_302600_NS6detail15normal_iteratorINS8_10device_ptrIdEEEESD_SD_SD_jNS0_19identity_decomposerENS1_16block_id_wrapperIjLb0EEEEE10hipError_tT1_PNSt15iterator_traitsISI_E10value_typeET2_T3_PNSJ_ISO_E10value_typeET4_T5_PST_SU_PNS1_23onesweep_lookback_stateEbbT6_jjT7_P12ihipStream_tbENKUlT_T0_SI_SN_E_clISD_PdSD_S15_EEDaS11_S12_SI_SN_EUlS11_E_NS1_11comp_targetILNS1_3genE0ELNS1_11target_archE4294967295ELNS1_3gpuE0ELNS1_3repE0EEENS1_47radix_sort_onesweep_sort_config_static_selectorELNS0_4arch9wavefront6targetE1EEEvSI_ ; -- Begin function _ZN7rocprim17ROCPRIM_400000_NS6detail17trampoline_kernelINS0_14default_configENS1_35radix_sort_onesweep_config_selectorIddEEZZNS1_29radix_sort_onesweep_iterationIS3_Lb0EN6thrust23THRUST_200600_302600_NS6detail15normal_iteratorINS8_10device_ptrIdEEEESD_SD_SD_jNS0_19identity_decomposerENS1_16block_id_wrapperIjLb0EEEEE10hipError_tT1_PNSt15iterator_traitsISI_E10value_typeET2_T3_PNSJ_ISO_E10value_typeET4_T5_PST_SU_PNS1_23onesweep_lookback_stateEbbT6_jjT7_P12ihipStream_tbENKUlT_T0_SI_SN_E_clISD_PdSD_S15_EEDaS11_S12_SI_SN_EUlS11_E_NS1_11comp_targetILNS1_3genE0ELNS1_11target_archE4294967295ELNS1_3gpuE0ELNS1_3repE0EEENS1_47radix_sort_onesweep_sort_config_static_selectorELNS0_4arch9wavefront6targetE1EEEvSI_
	.globl	_ZN7rocprim17ROCPRIM_400000_NS6detail17trampoline_kernelINS0_14default_configENS1_35radix_sort_onesweep_config_selectorIddEEZZNS1_29radix_sort_onesweep_iterationIS3_Lb0EN6thrust23THRUST_200600_302600_NS6detail15normal_iteratorINS8_10device_ptrIdEEEESD_SD_SD_jNS0_19identity_decomposerENS1_16block_id_wrapperIjLb0EEEEE10hipError_tT1_PNSt15iterator_traitsISI_E10value_typeET2_T3_PNSJ_ISO_E10value_typeET4_T5_PST_SU_PNS1_23onesweep_lookback_stateEbbT6_jjT7_P12ihipStream_tbENKUlT_T0_SI_SN_E_clISD_PdSD_S15_EEDaS11_S12_SI_SN_EUlS11_E_NS1_11comp_targetILNS1_3genE0ELNS1_11target_archE4294967295ELNS1_3gpuE0ELNS1_3repE0EEENS1_47radix_sort_onesweep_sort_config_static_selectorELNS0_4arch9wavefront6targetE1EEEvSI_
	.p2align	8
	.type	_ZN7rocprim17ROCPRIM_400000_NS6detail17trampoline_kernelINS0_14default_configENS1_35radix_sort_onesweep_config_selectorIddEEZZNS1_29radix_sort_onesweep_iterationIS3_Lb0EN6thrust23THRUST_200600_302600_NS6detail15normal_iteratorINS8_10device_ptrIdEEEESD_SD_SD_jNS0_19identity_decomposerENS1_16block_id_wrapperIjLb0EEEEE10hipError_tT1_PNSt15iterator_traitsISI_E10value_typeET2_T3_PNSJ_ISO_E10value_typeET4_T5_PST_SU_PNS1_23onesweep_lookback_stateEbbT6_jjT7_P12ihipStream_tbENKUlT_T0_SI_SN_E_clISD_PdSD_S15_EEDaS11_S12_SI_SN_EUlS11_E_NS1_11comp_targetILNS1_3genE0ELNS1_11target_archE4294967295ELNS1_3gpuE0ELNS1_3repE0EEENS1_47radix_sort_onesweep_sort_config_static_selectorELNS0_4arch9wavefront6targetE1EEEvSI_,@function
_ZN7rocprim17ROCPRIM_400000_NS6detail17trampoline_kernelINS0_14default_configENS1_35radix_sort_onesweep_config_selectorIddEEZZNS1_29radix_sort_onesweep_iterationIS3_Lb0EN6thrust23THRUST_200600_302600_NS6detail15normal_iteratorINS8_10device_ptrIdEEEESD_SD_SD_jNS0_19identity_decomposerENS1_16block_id_wrapperIjLb0EEEEE10hipError_tT1_PNSt15iterator_traitsISI_E10value_typeET2_T3_PNSJ_ISO_E10value_typeET4_T5_PST_SU_PNS1_23onesweep_lookback_stateEbbT6_jjT7_P12ihipStream_tbENKUlT_T0_SI_SN_E_clISD_PdSD_S15_EEDaS11_S12_SI_SN_EUlS11_E_NS1_11comp_targetILNS1_3genE0ELNS1_11target_archE4294967295ELNS1_3gpuE0ELNS1_3repE0EEENS1_47radix_sort_onesweep_sort_config_static_selectorELNS0_4arch9wavefront6targetE1EEEvSI_: ; @_ZN7rocprim17ROCPRIM_400000_NS6detail17trampoline_kernelINS0_14default_configENS1_35radix_sort_onesweep_config_selectorIddEEZZNS1_29radix_sort_onesweep_iterationIS3_Lb0EN6thrust23THRUST_200600_302600_NS6detail15normal_iteratorINS8_10device_ptrIdEEEESD_SD_SD_jNS0_19identity_decomposerENS1_16block_id_wrapperIjLb0EEEEE10hipError_tT1_PNSt15iterator_traitsISI_E10value_typeET2_T3_PNSJ_ISO_E10value_typeET4_T5_PST_SU_PNS1_23onesweep_lookback_stateEbbT6_jjT7_P12ihipStream_tbENKUlT_T0_SI_SN_E_clISD_PdSD_S15_EEDaS11_S12_SI_SN_EUlS11_E_NS1_11comp_targetILNS1_3genE0ELNS1_11target_archE4294967295ELNS1_3gpuE0ELNS1_3repE0EEENS1_47radix_sort_onesweep_sort_config_static_selectorELNS0_4arch9wavefront6targetE1EEEvSI_
; %bb.0:
	.section	.rodata,"a",@progbits
	.p2align	6, 0x0
	.amdhsa_kernel _ZN7rocprim17ROCPRIM_400000_NS6detail17trampoline_kernelINS0_14default_configENS1_35radix_sort_onesweep_config_selectorIddEEZZNS1_29radix_sort_onesweep_iterationIS3_Lb0EN6thrust23THRUST_200600_302600_NS6detail15normal_iteratorINS8_10device_ptrIdEEEESD_SD_SD_jNS0_19identity_decomposerENS1_16block_id_wrapperIjLb0EEEEE10hipError_tT1_PNSt15iterator_traitsISI_E10value_typeET2_T3_PNSJ_ISO_E10value_typeET4_T5_PST_SU_PNS1_23onesweep_lookback_stateEbbT6_jjT7_P12ihipStream_tbENKUlT_T0_SI_SN_E_clISD_PdSD_S15_EEDaS11_S12_SI_SN_EUlS11_E_NS1_11comp_targetILNS1_3genE0ELNS1_11target_archE4294967295ELNS1_3gpuE0ELNS1_3repE0EEENS1_47radix_sort_onesweep_sort_config_static_selectorELNS0_4arch9wavefront6targetE1EEEvSI_
		.amdhsa_group_segment_fixed_size 0
		.amdhsa_private_segment_fixed_size 0
		.amdhsa_kernarg_size 88
		.amdhsa_user_sgpr_count 2
		.amdhsa_user_sgpr_dispatch_ptr 0
		.amdhsa_user_sgpr_queue_ptr 0
		.amdhsa_user_sgpr_kernarg_segment_ptr 1
		.amdhsa_user_sgpr_dispatch_id 0
		.amdhsa_user_sgpr_kernarg_preload_length 0
		.amdhsa_user_sgpr_kernarg_preload_offset 0
		.amdhsa_user_sgpr_private_segment_size 0
		.amdhsa_uses_dynamic_stack 0
		.amdhsa_enable_private_segment 0
		.amdhsa_system_sgpr_workgroup_id_x 1
		.amdhsa_system_sgpr_workgroup_id_y 0
		.amdhsa_system_sgpr_workgroup_id_z 0
		.amdhsa_system_sgpr_workgroup_info 0
		.amdhsa_system_vgpr_workitem_id 0
		.amdhsa_next_free_vgpr 1
		.amdhsa_next_free_sgpr 0
		.amdhsa_accum_offset 4
		.amdhsa_reserve_vcc 0
		.amdhsa_float_round_mode_32 0
		.amdhsa_float_round_mode_16_64 0
		.amdhsa_float_denorm_mode_32 3
		.amdhsa_float_denorm_mode_16_64 3
		.amdhsa_dx10_clamp 1
		.amdhsa_ieee_mode 1
		.amdhsa_fp16_overflow 0
		.amdhsa_tg_split 0
		.amdhsa_exception_fp_ieee_invalid_op 0
		.amdhsa_exception_fp_denorm_src 0
		.amdhsa_exception_fp_ieee_div_zero 0
		.amdhsa_exception_fp_ieee_overflow 0
		.amdhsa_exception_fp_ieee_underflow 0
		.amdhsa_exception_fp_ieee_inexact 0
		.amdhsa_exception_int_div_zero 0
	.end_amdhsa_kernel
	.section	.text._ZN7rocprim17ROCPRIM_400000_NS6detail17trampoline_kernelINS0_14default_configENS1_35radix_sort_onesweep_config_selectorIddEEZZNS1_29radix_sort_onesweep_iterationIS3_Lb0EN6thrust23THRUST_200600_302600_NS6detail15normal_iteratorINS8_10device_ptrIdEEEESD_SD_SD_jNS0_19identity_decomposerENS1_16block_id_wrapperIjLb0EEEEE10hipError_tT1_PNSt15iterator_traitsISI_E10value_typeET2_T3_PNSJ_ISO_E10value_typeET4_T5_PST_SU_PNS1_23onesweep_lookback_stateEbbT6_jjT7_P12ihipStream_tbENKUlT_T0_SI_SN_E_clISD_PdSD_S15_EEDaS11_S12_SI_SN_EUlS11_E_NS1_11comp_targetILNS1_3genE0ELNS1_11target_archE4294967295ELNS1_3gpuE0ELNS1_3repE0EEENS1_47radix_sort_onesweep_sort_config_static_selectorELNS0_4arch9wavefront6targetE1EEEvSI_,"axG",@progbits,_ZN7rocprim17ROCPRIM_400000_NS6detail17trampoline_kernelINS0_14default_configENS1_35radix_sort_onesweep_config_selectorIddEEZZNS1_29radix_sort_onesweep_iterationIS3_Lb0EN6thrust23THRUST_200600_302600_NS6detail15normal_iteratorINS8_10device_ptrIdEEEESD_SD_SD_jNS0_19identity_decomposerENS1_16block_id_wrapperIjLb0EEEEE10hipError_tT1_PNSt15iterator_traitsISI_E10value_typeET2_T3_PNSJ_ISO_E10value_typeET4_T5_PST_SU_PNS1_23onesweep_lookback_stateEbbT6_jjT7_P12ihipStream_tbENKUlT_T0_SI_SN_E_clISD_PdSD_S15_EEDaS11_S12_SI_SN_EUlS11_E_NS1_11comp_targetILNS1_3genE0ELNS1_11target_archE4294967295ELNS1_3gpuE0ELNS1_3repE0EEENS1_47radix_sort_onesweep_sort_config_static_selectorELNS0_4arch9wavefront6targetE1EEEvSI_,comdat
.Lfunc_end145:
	.size	_ZN7rocprim17ROCPRIM_400000_NS6detail17trampoline_kernelINS0_14default_configENS1_35radix_sort_onesweep_config_selectorIddEEZZNS1_29radix_sort_onesweep_iterationIS3_Lb0EN6thrust23THRUST_200600_302600_NS6detail15normal_iteratorINS8_10device_ptrIdEEEESD_SD_SD_jNS0_19identity_decomposerENS1_16block_id_wrapperIjLb0EEEEE10hipError_tT1_PNSt15iterator_traitsISI_E10value_typeET2_T3_PNSJ_ISO_E10value_typeET4_T5_PST_SU_PNS1_23onesweep_lookback_stateEbbT6_jjT7_P12ihipStream_tbENKUlT_T0_SI_SN_E_clISD_PdSD_S15_EEDaS11_S12_SI_SN_EUlS11_E_NS1_11comp_targetILNS1_3genE0ELNS1_11target_archE4294967295ELNS1_3gpuE0ELNS1_3repE0EEENS1_47radix_sort_onesweep_sort_config_static_selectorELNS0_4arch9wavefront6targetE1EEEvSI_, .Lfunc_end145-_ZN7rocprim17ROCPRIM_400000_NS6detail17trampoline_kernelINS0_14default_configENS1_35radix_sort_onesweep_config_selectorIddEEZZNS1_29radix_sort_onesweep_iterationIS3_Lb0EN6thrust23THRUST_200600_302600_NS6detail15normal_iteratorINS8_10device_ptrIdEEEESD_SD_SD_jNS0_19identity_decomposerENS1_16block_id_wrapperIjLb0EEEEE10hipError_tT1_PNSt15iterator_traitsISI_E10value_typeET2_T3_PNSJ_ISO_E10value_typeET4_T5_PST_SU_PNS1_23onesweep_lookback_stateEbbT6_jjT7_P12ihipStream_tbENKUlT_T0_SI_SN_E_clISD_PdSD_S15_EEDaS11_S12_SI_SN_EUlS11_E_NS1_11comp_targetILNS1_3genE0ELNS1_11target_archE4294967295ELNS1_3gpuE0ELNS1_3repE0EEENS1_47radix_sort_onesweep_sort_config_static_selectorELNS0_4arch9wavefront6targetE1EEEvSI_
                                        ; -- End function
	.set _ZN7rocprim17ROCPRIM_400000_NS6detail17trampoline_kernelINS0_14default_configENS1_35radix_sort_onesweep_config_selectorIddEEZZNS1_29radix_sort_onesweep_iterationIS3_Lb0EN6thrust23THRUST_200600_302600_NS6detail15normal_iteratorINS8_10device_ptrIdEEEESD_SD_SD_jNS0_19identity_decomposerENS1_16block_id_wrapperIjLb0EEEEE10hipError_tT1_PNSt15iterator_traitsISI_E10value_typeET2_T3_PNSJ_ISO_E10value_typeET4_T5_PST_SU_PNS1_23onesweep_lookback_stateEbbT6_jjT7_P12ihipStream_tbENKUlT_T0_SI_SN_E_clISD_PdSD_S15_EEDaS11_S12_SI_SN_EUlS11_E_NS1_11comp_targetILNS1_3genE0ELNS1_11target_archE4294967295ELNS1_3gpuE0ELNS1_3repE0EEENS1_47radix_sort_onesweep_sort_config_static_selectorELNS0_4arch9wavefront6targetE1EEEvSI_.num_vgpr, 0
	.set _ZN7rocprim17ROCPRIM_400000_NS6detail17trampoline_kernelINS0_14default_configENS1_35radix_sort_onesweep_config_selectorIddEEZZNS1_29radix_sort_onesweep_iterationIS3_Lb0EN6thrust23THRUST_200600_302600_NS6detail15normal_iteratorINS8_10device_ptrIdEEEESD_SD_SD_jNS0_19identity_decomposerENS1_16block_id_wrapperIjLb0EEEEE10hipError_tT1_PNSt15iterator_traitsISI_E10value_typeET2_T3_PNSJ_ISO_E10value_typeET4_T5_PST_SU_PNS1_23onesweep_lookback_stateEbbT6_jjT7_P12ihipStream_tbENKUlT_T0_SI_SN_E_clISD_PdSD_S15_EEDaS11_S12_SI_SN_EUlS11_E_NS1_11comp_targetILNS1_3genE0ELNS1_11target_archE4294967295ELNS1_3gpuE0ELNS1_3repE0EEENS1_47radix_sort_onesweep_sort_config_static_selectorELNS0_4arch9wavefront6targetE1EEEvSI_.num_agpr, 0
	.set _ZN7rocprim17ROCPRIM_400000_NS6detail17trampoline_kernelINS0_14default_configENS1_35radix_sort_onesweep_config_selectorIddEEZZNS1_29radix_sort_onesweep_iterationIS3_Lb0EN6thrust23THRUST_200600_302600_NS6detail15normal_iteratorINS8_10device_ptrIdEEEESD_SD_SD_jNS0_19identity_decomposerENS1_16block_id_wrapperIjLb0EEEEE10hipError_tT1_PNSt15iterator_traitsISI_E10value_typeET2_T3_PNSJ_ISO_E10value_typeET4_T5_PST_SU_PNS1_23onesweep_lookback_stateEbbT6_jjT7_P12ihipStream_tbENKUlT_T0_SI_SN_E_clISD_PdSD_S15_EEDaS11_S12_SI_SN_EUlS11_E_NS1_11comp_targetILNS1_3genE0ELNS1_11target_archE4294967295ELNS1_3gpuE0ELNS1_3repE0EEENS1_47radix_sort_onesweep_sort_config_static_selectorELNS0_4arch9wavefront6targetE1EEEvSI_.numbered_sgpr, 0
	.set _ZN7rocprim17ROCPRIM_400000_NS6detail17trampoline_kernelINS0_14default_configENS1_35radix_sort_onesweep_config_selectorIddEEZZNS1_29radix_sort_onesweep_iterationIS3_Lb0EN6thrust23THRUST_200600_302600_NS6detail15normal_iteratorINS8_10device_ptrIdEEEESD_SD_SD_jNS0_19identity_decomposerENS1_16block_id_wrapperIjLb0EEEEE10hipError_tT1_PNSt15iterator_traitsISI_E10value_typeET2_T3_PNSJ_ISO_E10value_typeET4_T5_PST_SU_PNS1_23onesweep_lookback_stateEbbT6_jjT7_P12ihipStream_tbENKUlT_T0_SI_SN_E_clISD_PdSD_S15_EEDaS11_S12_SI_SN_EUlS11_E_NS1_11comp_targetILNS1_3genE0ELNS1_11target_archE4294967295ELNS1_3gpuE0ELNS1_3repE0EEENS1_47radix_sort_onesweep_sort_config_static_selectorELNS0_4arch9wavefront6targetE1EEEvSI_.num_named_barrier, 0
	.set _ZN7rocprim17ROCPRIM_400000_NS6detail17trampoline_kernelINS0_14default_configENS1_35radix_sort_onesweep_config_selectorIddEEZZNS1_29radix_sort_onesweep_iterationIS3_Lb0EN6thrust23THRUST_200600_302600_NS6detail15normal_iteratorINS8_10device_ptrIdEEEESD_SD_SD_jNS0_19identity_decomposerENS1_16block_id_wrapperIjLb0EEEEE10hipError_tT1_PNSt15iterator_traitsISI_E10value_typeET2_T3_PNSJ_ISO_E10value_typeET4_T5_PST_SU_PNS1_23onesweep_lookback_stateEbbT6_jjT7_P12ihipStream_tbENKUlT_T0_SI_SN_E_clISD_PdSD_S15_EEDaS11_S12_SI_SN_EUlS11_E_NS1_11comp_targetILNS1_3genE0ELNS1_11target_archE4294967295ELNS1_3gpuE0ELNS1_3repE0EEENS1_47radix_sort_onesweep_sort_config_static_selectorELNS0_4arch9wavefront6targetE1EEEvSI_.private_seg_size, 0
	.set _ZN7rocprim17ROCPRIM_400000_NS6detail17trampoline_kernelINS0_14default_configENS1_35radix_sort_onesweep_config_selectorIddEEZZNS1_29radix_sort_onesweep_iterationIS3_Lb0EN6thrust23THRUST_200600_302600_NS6detail15normal_iteratorINS8_10device_ptrIdEEEESD_SD_SD_jNS0_19identity_decomposerENS1_16block_id_wrapperIjLb0EEEEE10hipError_tT1_PNSt15iterator_traitsISI_E10value_typeET2_T3_PNSJ_ISO_E10value_typeET4_T5_PST_SU_PNS1_23onesweep_lookback_stateEbbT6_jjT7_P12ihipStream_tbENKUlT_T0_SI_SN_E_clISD_PdSD_S15_EEDaS11_S12_SI_SN_EUlS11_E_NS1_11comp_targetILNS1_3genE0ELNS1_11target_archE4294967295ELNS1_3gpuE0ELNS1_3repE0EEENS1_47radix_sort_onesweep_sort_config_static_selectorELNS0_4arch9wavefront6targetE1EEEvSI_.uses_vcc, 0
	.set _ZN7rocprim17ROCPRIM_400000_NS6detail17trampoline_kernelINS0_14default_configENS1_35radix_sort_onesweep_config_selectorIddEEZZNS1_29radix_sort_onesweep_iterationIS3_Lb0EN6thrust23THRUST_200600_302600_NS6detail15normal_iteratorINS8_10device_ptrIdEEEESD_SD_SD_jNS0_19identity_decomposerENS1_16block_id_wrapperIjLb0EEEEE10hipError_tT1_PNSt15iterator_traitsISI_E10value_typeET2_T3_PNSJ_ISO_E10value_typeET4_T5_PST_SU_PNS1_23onesweep_lookback_stateEbbT6_jjT7_P12ihipStream_tbENKUlT_T0_SI_SN_E_clISD_PdSD_S15_EEDaS11_S12_SI_SN_EUlS11_E_NS1_11comp_targetILNS1_3genE0ELNS1_11target_archE4294967295ELNS1_3gpuE0ELNS1_3repE0EEENS1_47radix_sort_onesweep_sort_config_static_selectorELNS0_4arch9wavefront6targetE1EEEvSI_.uses_flat_scratch, 0
	.set _ZN7rocprim17ROCPRIM_400000_NS6detail17trampoline_kernelINS0_14default_configENS1_35radix_sort_onesweep_config_selectorIddEEZZNS1_29radix_sort_onesweep_iterationIS3_Lb0EN6thrust23THRUST_200600_302600_NS6detail15normal_iteratorINS8_10device_ptrIdEEEESD_SD_SD_jNS0_19identity_decomposerENS1_16block_id_wrapperIjLb0EEEEE10hipError_tT1_PNSt15iterator_traitsISI_E10value_typeET2_T3_PNSJ_ISO_E10value_typeET4_T5_PST_SU_PNS1_23onesweep_lookback_stateEbbT6_jjT7_P12ihipStream_tbENKUlT_T0_SI_SN_E_clISD_PdSD_S15_EEDaS11_S12_SI_SN_EUlS11_E_NS1_11comp_targetILNS1_3genE0ELNS1_11target_archE4294967295ELNS1_3gpuE0ELNS1_3repE0EEENS1_47radix_sort_onesweep_sort_config_static_selectorELNS0_4arch9wavefront6targetE1EEEvSI_.has_dyn_sized_stack, 0
	.set _ZN7rocprim17ROCPRIM_400000_NS6detail17trampoline_kernelINS0_14default_configENS1_35radix_sort_onesweep_config_selectorIddEEZZNS1_29radix_sort_onesweep_iterationIS3_Lb0EN6thrust23THRUST_200600_302600_NS6detail15normal_iteratorINS8_10device_ptrIdEEEESD_SD_SD_jNS0_19identity_decomposerENS1_16block_id_wrapperIjLb0EEEEE10hipError_tT1_PNSt15iterator_traitsISI_E10value_typeET2_T3_PNSJ_ISO_E10value_typeET4_T5_PST_SU_PNS1_23onesweep_lookback_stateEbbT6_jjT7_P12ihipStream_tbENKUlT_T0_SI_SN_E_clISD_PdSD_S15_EEDaS11_S12_SI_SN_EUlS11_E_NS1_11comp_targetILNS1_3genE0ELNS1_11target_archE4294967295ELNS1_3gpuE0ELNS1_3repE0EEENS1_47radix_sort_onesweep_sort_config_static_selectorELNS0_4arch9wavefront6targetE1EEEvSI_.has_recursion, 0
	.set _ZN7rocprim17ROCPRIM_400000_NS6detail17trampoline_kernelINS0_14default_configENS1_35radix_sort_onesweep_config_selectorIddEEZZNS1_29radix_sort_onesweep_iterationIS3_Lb0EN6thrust23THRUST_200600_302600_NS6detail15normal_iteratorINS8_10device_ptrIdEEEESD_SD_SD_jNS0_19identity_decomposerENS1_16block_id_wrapperIjLb0EEEEE10hipError_tT1_PNSt15iterator_traitsISI_E10value_typeET2_T3_PNSJ_ISO_E10value_typeET4_T5_PST_SU_PNS1_23onesweep_lookback_stateEbbT6_jjT7_P12ihipStream_tbENKUlT_T0_SI_SN_E_clISD_PdSD_S15_EEDaS11_S12_SI_SN_EUlS11_E_NS1_11comp_targetILNS1_3genE0ELNS1_11target_archE4294967295ELNS1_3gpuE0ELNS1_3repE0EEENS1_47radix_sort_onesweep_sort_config_static_selectorELNS0_4arch9wavefront6targetE1EEEvSI_.has_indirect_call, 0
	.section	.AMDGPU.csdata,"",@progbits
; Kernel info:
; codeLenInByte = 0
; TotalNumSgprs: 6
; NumVgprs: 0
; NumAgprs: 0
; TotalNumVgprs: 0
; ScratchSize: 0
; MemoryBound: 0
; FloatMode: 240
; IeeeMode: 1
; LDSByteSize: 0 bytes/workgroup (compile time only)
; SGPRBlocks: 0
; VGPRBlocks: 0
; NumSGPRsForWavesPerEU: 6
; NumVGPRsForWavesPerEU: 1
; AccumOffset: 4
; Occupancy: 8
; WaveLimiterHint : 0
; COMPUTE_PGM_RSRC2:SCRATCH_EN: 0
; COMPUTE_PGM_RSRC2:USER_SGPR: 2
; COMPUTE_PGM_RSRC2:TRAP_HANDLER: 0
; COMPUTE_PGM_RSRC2:TGID_X_EN: 1
; COMPUTE_PGM_RSRC2:TGID_Y_EN: 0
; COMPUTE_PGM_RSRC2:TGID_Z_EN: 0
; COMPUTE_PGM_RSRC2:TIDIG_COMP_CNT: 0
; COMPUTE_PGM_RSRC3_GFX90A:ACCUM_OFFSET: 0
; COMPUTE_PGM_RSRC3_GFX90A:TG_SPLIT: 0
	.section	.text._ZN7rocprim17ROCPRIM_400000_NS6detail17trampoline_kernelINS0_14default_configENS1_35radix_sort_onesweep_config_selectorIddEEZZNS1_29radix_sort_onesweep_iterationIS3_Lb0EN6thrust23THRUST_200600_302600_NS6detail15normal_iteratorINS8_10device_ptrIdEEEESD_SD_SD_jNS0_19identity_decomposerENS1_16block_id_wrapperIjLb0EEEEE10hipError_tT1_PNSt15iterator_traitsISI_E10value_typeET2_T3_PNSJ_ISO_E10value_typeET4_T5_PST_SU_PNS1_23onesweep_lookback_stateEbbT6_jjT7_P12ihipStream_tbENKUlT_T0_SI_SN_E_clISD_PdSD_S15_EEDaS11_S12_SI_SN_EUlS11_E_NS1_11comp_targetILNS1_3genE6ELNS1_11target_archE950ELNS1_3gpuE13ELNS1_3repE0EEENS1_47radix_sort_onesweep_sort_config_static_selectorELNS0_4arch9wavefront6targetE1EEEvSI_,"axG",@progbits,_ZN7rocprim17ROCPRIM_400000_NS6detail17trampoline_kernelINS0_14default_configENS1_35radix_sort_onesweep_config_selectorIddEEZZNS1_29radix_sort_onesweep_iterationIS3_Lb0EN6thrust23THRUST_200600_302600_NS6detail15normal_iteratorINS8_10device_ptrIdEEEESD_SD_SD_jNS0_19identity_decomposerENS1_16block_id_wrapperIjLb0EEEEE10hipError_tT1_PNSt15iterator_traitsISI_E10value_typeET2_T3_PNSJ_ISO_E10value_typeET4_T5_PST_SU_PNS1_23onesweep_lookback_stateEbbT6_jjT7_P12ihipStream_tbENKUlT_T0_SI_SN_E_clISD_PdSD_S15_EEDaS11_S12_SI_SN_EUlS11_E_NS1_11comp_targetILNS1_3genE6ELNS1_11target_archE950ELNS1_3gpuE13ELNS1_3repE0EEENS1_47radix_sort_onesweep_sort_config_static_selectorELNS0_4arch9wavefront6targetE1EEEvSI_,comdat
	.protected	_ZN7rocprim17ROCPRIM_400000_NS6detail17trampoline_kernelINS0_14default_configENS1_35radix_sort_onesweep_config_selectorIddEEZZNS1_29radix_sort_onesweep_iterationIS3_Lb0EN6thrust23THRUST_200600_302600_NS6detail15normal_iteratorINS8_10device_ptrIdEEEESD_SD_SD_jNS0_19identity_decomposerENS1_16block_id_wrapperIjLb0EEEEE10hipError_tT1_PNSt15iterator_traitsISI_E10value_typeET2_T3_PNSJ_ISO_E10value_typeET4_T5_PST_SU_PNS1_23onesweep_lookback_stateEbbT6_jjT7_P12ihipStream_tbENKUlT_T0_SI_SN_E_clISD_PdSD_S15_EEDaS11_S12_SI_SN_EUlS11_E_NS1_11comp_targetILNS1_3genE6ELNS1_11target_archE950ELNS1_3gpuE13ELNS1_3repE0EEENS1_47radix_sort_onesweep_sort_config_static_selectorELNS0_4arch9wavefront6targetE1EEEvSI_ ; -- Begin function _ZN7rocprim17ROCPRIM_400000_NS6detail17trampoline_kernelINS0_14default_configENS1_35radix_sort_onesweep_config_selectorIddEEZZNS1_29radix_sort_onesweep_iterationIS3_Lb0EN6thrust23THRUST_200600_302600_NS6detail15normal_iteratorINS8_10device_ptrIdEEEESD_SD_SD_jNS0_19identity_decomposerENS1_16block_id_wrapperIjLb0EEEEE10hipError_tT1_PNSt15iterator_traitsISI_E10value_typeET2_T3_PNSJ_ISO_E10value_typeET4_T5_PST_SU_PNS1_23onesweep_lookback_stateEbbT6_jjT7_P12ihipStream_tbENKUlT_T0_SI_SN_E_clISD_PdSD_S15_EEDaS11_S12_SI_SN_EUlS11_E_NS1_11comp_targetILNS1_3genE6ELNS1_11target_archE950ELNS1_3gpuE13ELNS1_3repE0EEENS1_47radix_sort_onesweep_sort_config_static_selectorELNS0_4arch9wavefront6targetE1EEEvSI_
	.globl	_ZN7rocprim17ROCPRIM_400000_NS6detail17trampoline_kernelINS0_14default_configENS1_35radix_sort_onesweep_config_selectorIddEEZZNS1_29radix_sort_onesweep_iterationIS3_Lb0EN6thrust23THRUST_200600_302600_NS6detail15normal_iteratorINS8_10device_ptrIdEEEESD_SD_SD_jNS0_19identity_decomposerENS1_16block_id_wrapperIjLb0EEEEE10hipError_tT1_PNSt15iterator_traitsISI_E10value_typeET2_T3_PNSJ_ISO_E10value_typeET4_T5_PST_SU_PNS1_23onesweep_lookback_stateEbbT6_jjT7_P12ihipStream_tbENKUlT_T0_SI_SN_E_clISD_PdSD_S15_EEDaS11_S12_SI_SN_EUlS11_E_NS1_11comp_targetILNS1_3genE6ELNS1_11target_archE950ELNS1_3gpuE13ELNS1_3repE0EEENS1_47radix_sort_onesweep_sort_config_static_selectorELNS0_4arch9wavefront6targetE1EEEvSI_
	.p2align	8
	.type	_ZN7rocprim17ROCPRIM_400000_NS6detail17trampoline_kernelINS0_14default_configENS1_35radix_sort_onesweep_config_selectorIddEEZZNS1_29radix_sort_onesweep_iterationIS3_Lb0EN6thrust23THRUST_200600_302600_NS6detail15normal_iteratorINS8_10device_ptrIdEEEESD_SD_SD_jNS0_19identity_decomposerENS1_16block_id_wrapperIjLb0EEEEE10hipError_tT1_PNSt15iterator_traitsISI_E10value_typeET2_T3_PNSJ_ISO_E10value_typeET4_T5_PST_SU_PNS1_23onesweep_lookback_stateEbbT6_jjT7_P12ihipStream_tbENKUlT_T0_SI_SN_E_clISD_PdSD_S15_EEDaS11_S12_SI_SN_EUlS11_E_NS1_11comp_targetILNS1_3genE6ELNS1_11target_archE950ELNS1_3gpuE13ELNS1_3repE0EEENS1_47radix_sort_onesweep_sort_config_static_selectorELNS0_4arch9wavefront6targetE1EEEvSI_,@function
_ZN7rocprim17ROCPRIM_400000_NS6detail17trampoline_kernelINS0_14default_configENS1_35radix_sort_onesweep_config_selectorIddEEZZNS1_29radix_sort_onesweep_iterationIS3_Lb0EN6thrust23THRUST_200600_302600_NS6detail15normal_iteratorINS8_10device_ptrIdEEEESD_SD_SD_jNS0_19identity_decomposerENS1_16block_id_wrapperIjLb0EEEEE10hipError_tT1_PNSt15iterator_traitsISI_E10value_typeET2_T3_PNSJ_ISO_E10value_typeET4_T5_PST_SU_PNS1_23onesweep_lookback_stateEbbT6_jjT7_P12ihipStream_tbENKUlT_T0_SI_SN_E_clISD_PdSD_S15_EEDaS11_S12_SI_SN_EUlS11_E_NS1_11comp_targetILNS1_3genE6ELNS1_11target_archE950ELNS1_3gpuE13ELNS1_3repE0EEENS1_47radix_sort_onesweep_sort_config_static_selectorELNS0_4arch9wavefront6targetE1EEEvSI_: ; @_ZN7rocprim17ROCPRIM_400000_NS6detail17trampoline_kernelINS0_14default_configENS1_35radix_sort_onesweep_config_selectorIddEEZZNS1_29radix_sort_onesweep_iterationIS3_Lb0EN6thrust23THRUST_200600_302600_NS6detail15normal_iteratorINS8_10device_ptrIdEEEESD_SD_SD_jNS0_19identity_decomposerENS1_16block_id_wrapperIjLb0EEEEE10hipError_tT1_PNSt15iterator_traitsISI_E10value_typeET2_T3_PNSJ_ISO_E10value_typeET4_T5_PST_SU_PNS1_23onesweep_lookback_stateEbbT6_jjT7_P12ihipStream_tbENKUlT_T0_SI_SN_E_clISD_PdSD_S15_EEDaS11_S12_SI_SN_EUlS11_E_NS1_11comp_targetILNS1_3genE6ELNS1_11target_archE950ELNS1_3gpuE13ELNS1_3repE0EEENS1_47radix_sort_onesweep_sort_config_static_selectorELNS0_4arch9wavefront6targetE1EEEvSI_
; %bb.0:
	s_load_dwordx4 s[48:51], s[2:3], 0x44
	s_load_dwordx8 s[36:43], s[2:3], 0x0
	s_load_dwordx4 s[44:47], s[2:3], 0x28
	s_load_dwordx2 s[52:53], s[2:3], 0x38
	v_and_b32_e32 v2, 0x3ff, v0
	v_bfe_u32 v3, v0, 10, 10
	v_bfe_u32 v28, v0, 20, 10
	s_mov_b64 s[6:7], -1
	s_waitcnt lgkmcnt(0)
	s_cmp_ge_u32 s4, s50
	v_mbcnt_lo_u32_b32 v30, -1, 0
	v_lshlrev_b32_e32 v29, 3, v2
	s_cbranch_scc0 .LBB146_116
; %bb.1:
	s_load_dword s5, s[2:3], 0x20
	s_lshl_b32 s8, s50, 13
	s_lshl_b32 s6, s4, 13
	s_mov_b32 s7, 0
	s_lshl_b64 s[50:51], s[6:7], 3
	s_waitcnt lgkmcnt(0)
	s_sub_i32 s5, s5, s8
	v_mbcnt_hi_u32_b32 v26, -1, v30
	s_add_u32 s6, s36, s50
	v_and_b32_e32 v8, 63, v26
	s_addc_u32 s7, s37, s51
	v_and_b32_e32 v9, 0x1e00, v29
	v_mov_b32_e32 v1, 0
	v_lshlrev_b32_e32 v0, 3, v8
	v_lshl_add_u64 v[6:7], s[6:7], 0, v[0:1]
	v_lshlrev_b32_e32 v4, 3, v9
	v_mov_b32_e32 v5, v1
	v_or_b32_e32 v1, v8, v9
	v_mov_b32_e32 v8, -1
	v_bfrev_b32_e32 v9, -2
	v_lshl_add_u64 v[22:23], v[6:7], 0, v[4:5]
	v_cmp_gt_u32_e32 vcc, s5, v1
	v_mov_b64_e32 v[6:7], v[8:9]
	s_and_saveexec_b64 s[6:7], vcc
	s_cbranch_execz .LBB146_3
; %bb.2:
	global_load_dwordx2 v[6:7], v[22:23], off
.LBB146_3:
	s_or_b64 exec, exec, s[6:7]
	v_or_b32_e32 v5, 64, v1
	v_cmp_gt_u32_e64 s[16:17], s5, v5
	s_and_saveexec_b64 s[6:7], s[16:17]
	s_cbranch_execz .LBB146_5
; %bb.4:
	global_load_dwordx2 v[8:9], v[22:23], off offset:512
.LBB146_5:
	s_or_b64 exec, exec, s[6:7]
	v_or_b32_e32 v5, 0x80, v1
	v_mov_b32_e32 v12, -1
	v_bfrev_b32_e32 v13, -2
	v_cmp_gt_u32_e64 s[26:27], s5, v5
	v_mov_b64_e32 v[10:11], v[12:13]
	s_and_saveexec_b64 s[6:7], s[26:27]
	s_cbranch_execz .LBB146_7
; %bb.6:
	global_load_dwordx2 v[10:11], v[22:23], off offset:1024
.LBB146_7:
	s_or_b64 exec, exec, s[6:7]
	v_or_b32_e32 v5, 0xc0, v1
	v_cmp_gt_u32_e64 s[6:7], s5, v5
	s_and_saveexec_b64 s[8:9], s[6:7]
	s_cbranch_execz .LBB146_9
; %bb.8:
	global_load_dwordx2 v[12:13], v[22:23], off offset:1536
.LBB146_9:
	s_or_b64 exec, exec, s[8:9]
	v_or_b32_e32 v5, 0x100, v1
	v_mov_b32_e32 v18, -1
	v_bfrev_b32_e32 v19, -2
	v_cmp_gt_u32_e64 s[8:9], s5, v5
	v_mov_b64_e32 v[14:15], v[18:19]
	s_and_saveexec_b64 s[10:11], s[8:9]
	s_cbranch_execz .LBB146_11
; %bb.10:
	global_load_dwordx2 v[14:15], v[22:23], off offset:2048
.LBB146_11:
	;; [unrolled: 19-line block ×3, first 2 shown]
	s_or_b64 exec, exec, s[14:15]
	v_or_b32_e32 v1, 0x1c0, v1
	s_mov_b32 s20, -1
	v_cmp_gt_u32_e64 s[14:15], s5, v1
	s_brev_b32 s21, -2
	s_and_saveexec_b64 s[18:19], s[14:15]
	s_cbranch_execz .LBB146_17
; %bb.16:
	global_load_dwordx2 v[16:17], v[22:23], off offset:3584
.LBB146_17:
	s_or_b64 exec, exec, s[18:19]
	s_load_dword s18, s[2:3], 0x64
	s_load_dword s33, s[2:3], 0x58
	s_add_u32 s19, s2, 0x58
	s_addc_u32 s22, s3, 0
	v_mov_b32_e32 v23, 0
	s_waitcnt lgkmcnt(0)
	s_lshr_b32 s23, s18, 16
	s_cmp_lt_u32 s4, s33
	s_cselect_b32 s18, 12, 18
	s_add_u32 s18, s19, s18
	s_addc_u32 s19, s22, 0
	global_load_ushort v5, v23, s[18:19]
	v_bfrev_b32_e32 v31, 1
	s_waitcnt vmcnt(1)
	v_cmp_lt_i64_e64 s[18:19], -1, v[6:7]
	v_ashrrev_i32_e32 v22, 31, v7
	v_xor_b32_e32 v6, v22, v6
	v_cndmask_b32_e64 v25, -1, v31, s[18:19]
	v_xor_b32_e32 v7, v25, v7
	v_cmp_ne_u64_e64 s[18:19], s[20:21], v[6:7]
	v_mov_b32_e32 v24, v23
	v_mov_b32_e32 v34, v23
	v_cndmask_b32_e64 v43, v31, v7, s[18:19]
	v_cndmask_b32_e64 v42, 0, v6, s[18:19]
	v_lshrrev_b64 v[42:43], s48, v[42:43]
	s_lshl_b32 s18, -1, s49
	v_bitop3_b32 v44, v42, s18, v42 bitop3:0x30
	v_and_b32_e32 v22, 1, v44
	v_lshlrev_b32_e32 v25, 30, v44
	s_not_b32 s54, s18
	v_lshlrev_b32_e32 v33, 29, v44
	v_lshlrev_b32_e32 v35, 28, v44
	v_lshl_add_u64 v[42:43], v[22:23], 0, -1
	v_cmp_ne_u32_e64 s[18:19], 0, v22
	v_not_b32_e32 v22, v25
	v_mov_b32_e32 v32, v23
	v_mov_b32_e32 v36, v23
	v_lshlrev_b32_e32 v37, 27, v44
	v_cmp_gt_i64_e64 s[20:21], 0, v[24:25]
	v_not_b32_e32 v24, v33
	v_cmp_gt_i64_e64 s[24:25], 0, v[34:35]
	v_xor_b32_e32 v34, s19, v43
	v_ashrrev_i32_e32 v22, 31, v22
	v_mad_u32_u24 v27, v28, s23, v3
	v_cmp_gt_i64_e64 s[22:23], 0, v[32:33]
	v_not_b32_e32 v25, v35
	v_cmp_gt_i64_e64 s[28:29], 0, v[36:37]
	v_xor_b32_e32 v35, s18, v42
	v_ashrrev_i32_e32 v24, 31, v24
	v_and_b32_e32 v34, exec_hi, v34
	v_xor_b32_e32 v36, s21, v22
	v_mov_b32_e32 v38, v23
	v_lshlrev_b32_e32 v39, 26, v44
	v_not_b32_e32 v32, v37
	v_ashrrev_i32_e32 v25, 31, v25
	v_and_b32_e32 v35, exec_lo, v35
	v_xor_b32_e32 v22, s20, v22
	v_xor_b32_e32 v37, s23, v24
	v_and_b32_e32 v34, v34, v36
	v_cmp_gt_i64_e64 s[30:31], 0, v[38:39]
	v_not_b32_e32 v33, v39
	v_ashrrev_i32_e32 v32, 31, v32
	v_xor_b32_e32 v24, s22, v24
	v_xor_b32_e32 v38, s25, v25
	v_and_b32_e32 v22, v35, v22
	v_and_b32_e32 v34, v34, v37
	v_mov_b32_e32 v40, v23
	v_lshlrev_b32_e32 v41, 25, v44
	v_ashrrev_i32_e32 v33, 31, v33
	v_xor_b32_e32 v25, s24, v25
	v_xor_b32_e32 v39, s29, v32
	v_and_b32_e32 v22, v22, v24
	v_and_b32_e32 v24, v34, v38
	v_cmp_gt_i64_e64 s[34:35], 0, v[40:41]
	v_xor_b32_e32 v32, s28, v32
	v_xor_b32_e32 v40, s31, v33
	v_and_b32_e32 v22, v22, v25
	v_and_b32_e32 v24, v24, v39
	;; [unrolled: 1-line block ×4, first 2 shown]
	v_xor_b32_e32 v33, s30, v33
	v_and_b32_e32 v22, v22, v33
	s_movk_i32 s55, 0x44
	v_mul_lo_u32 v45, v44, s55
	v_mul_u32_u24_e32 v1, 20, v2
	ds_write2_b32 v1, v23, v23 offset0:16 offset1:17
	ds_write2_b32 v1, v23, v23 offset0:18 offset1:19
	ds_write_b32 v1, v23 offset:80
	s_waitcnt lgkmcnt(0)
	s_barrier
	s_waitcnt vmcnt(0)
	; wave barrier
	v_mad_u64_u32 v[24:25], s[18:19], v27, v5, v[2:3]
	v_not_b32_e32 v5, v41
	v_ashrrev_i32_e32 v5, 31, v5
	v_lshrrev_b32_e32 v39, 6, v24
	v_xor_b32_e32 v24, s35, v5
	v_xor_b32_e32 v5, s34, v5
	v_lshlrev_b32_e32 v25, 24, v44
	v_and_b32_e32 v32, v32, v24
	v_and_b32_e32 v5, v22, v5
	v_mov_b32_e32 v24, v23
	v_not_b32_e32 v22, v25
	v_cmp_gt_i64_e64 s[18:19], 0, v[24:25]
	v_ashrrev_i32_e32 v22, 31, v22
	v_lshl_add_u32 v27, v39, 2, v45
	v_xor_b32_e32 v24, s19, v22
	v_xor_b32_e32 v22, s18, v22
	v_and_b32_e32 v25, v32, v24
	v_and_b32_e32 v24, v5, v22
	v_mbcnt_lo_u32_b32 v5, v24, 0
	v_mbcnt_hi_u32_b32 v5, v25, v5
	v_cmp_eq_u32_e64 s[18:19], 0, v5
	v_cmp_ne_u64_e64 s[20:21], 0, v[24:25]
	s_and_b64 s[20:21], s[20:21], s[18:19]
	s_and_saveexec_b64 s[18:19], s[20:21]
; %bb.18:
	v_bcnt_u32_b32 v22, v24, 0
	v_bcnt_u32_b32 v22, v25, v22
	ds_write_b32 v27, v22 offset:64
; %bb.19:
	s_or_b64 exec, exec, s[18:19]
	v_cmp_lt_i64_e64 s[18:19], -1, v[8:9]
	s_mov_b32 s22, -1
	v_ashrrev_i32_e32 v24, 31, v9
	v_cndmask_b32_e64 v22, -1, v31, s[18:19]
	s_brev_b32 s23, -2
	v_xor_b32_e32 v9, v22, v9
	v_xor_b32_e32 v8, v24, v8
	v_cmp_ne_u64_e64 s[18:19], s[22:23], v[8:9]
	; wave barrier
	s_nop 1
	v_cndmask_b32_e64 v25, v31, v9, s[18:19]
	v_cndmask_b32_e64 v24, 0, v8, s[18:19]
	v_lshrrev_b64 v[24:25], s48, v[24:25]
	v_and_b32_e32 v32, s54, v24
	v_mul_lo_u32 v22, v32, s55
	v_lshl_add_u32 v34, v39, 2, v22
	v_and_b32_e32 v22, 1, v32
	v_lshl_add_u64 v[24:25], v[22:23], 0, -1
	v_cmp_ne_u32_e64 s[18:19], 0, v22
	ds_read_b32 v31, v34 offset:64
	s_nop 0
	v_xor_b32_e32 v24, s18, v24
	v_xor_b32_e32 v22, s19, v25
	v_and_b32_e32 v33, exec_lo, v24
	v_lshlrev_b32_e32 v25, 30, v32
	v_mov_b32_e32 v24, v23
	v_cmp_gt_i64_e64 s[18:19], 0, v[24:25]
	v_not_b32_e32 v24, v25
	v_ashrrev_i32_e32 v24, 31, v24
	v_and_b32_e32 v22, exec_hi, v22
	v_xor_b32_e32 v25, s19, v24
	v_xor_b32_e32 v24, s18, v24
	v_and_b32_e32 v22, v22, v25
	v_and_b32_e32 v33, v33, v24
	v_lshlrev_b32_e32 v25, 29, v32
	v_mov_b32_e32 v24, v23
	v_cmp_gt_i64_e64 s[18:19], 0, v[24:25]
	v_not_b32_e32 v24, v25
	v_ashrrev_i32_e32 v24, 31, v24
	v_xor_b32_e32 v25, s19, v24
	v_xor_b32_e32 v24, s18, v24
	v_and_b32_e32 v22, v22, v25
	v_and_b32_e32 v33, v33, v24
	v_lshlrev_b32_e32 v25, 28, v32
	v_mov_b32_e32 v24, v23
	v_cmp_gt_i64_e64 s[18:19], 0, v[24:25]
	v_not_b32_e32 v24, v25
	v_ashrrev_i32_e32 v24, 31, v24
	;; [unrolled: 9-line block ×5, first 2 shown]
	v_xor_b32_e32 v25, s19, v24
	v_xor_b32_e32 v24, s18, v24
	v_and_b32_e32 v22, v22, v25
	v_lshlrev_b32_e32 v25, 24, v32
	v_and_b32_e32 v33, v33, v24
	v_mov_b32_e32 v24, v23
	v_not_b32_e32 v23, v25
	v_cmp_gt_i64_e64 s[18:19], 0, v[24:25]
	v_ashrrev_i32_e32 v23, 31, v23
	; wave barrier
	s_nop 0
	v_xor_b32_e32 v24, s19, v23
	v_xor_b32_e32 v25, s18, v23
	v_and_b32_e32 v23, v22, v24
	v_and_b32_e32 v22, v33, v25
	v_mbcnt_lo_u32_b32 v24, v22, 0
	v_mbcnt_hi_u32_b32 v32, v23, v24
	v_cmp_eq_u32_e64 s[18:19], 0, v32
	v_cmp_ne_u64_e64 s[20:21], 0, v[22:23]
	s_and_b64 s[20:21], s[20:21], s[18:19]
	s_and_saveexec_b64 s[18:19], s[20:21]
	s_cbranch_execz .LBB146_21
; %bb.20:
	v_bcnt_u32_b32 v22, v22, 0
	v_bcnt_u32_b32 v22, v23, v22
	s_waitcnt lgkmcnt(0)
	v_add_u32_e32 v22, v31, v22
	ds_write_b32 v34, v22 offset:64
.LBB146_21:
	s_or_b64 exec, exec, s[18:19]
	v_bfrev_b32_e32 v36, 1
	v_cmp_lt_i64_e64 s[18:19], -1, v[10:11]
	v_ashrrev_i32_e32 v23, 31, v11
	v_xor_b32_e32 v10, v23, v10
	v_cndmask_b32_e64 v22, -1, v36, s[18:19]
	v_xor_b32_e32 v11, v22, v11
	v_cmp_ne_u64_e64 s[18:19], s[22:23], v[10:11]
	s_movk_i32 s24, 0x44
	s_nop 0
	v_cndmask_b32_e64 v23, v36, v11, s[18:19]
	v_cndmask_b32_e64 v22, 0, v10, s[18:19]
	v_lshrrev_b64 v[22:23], s48, v[22:23]
	v_and_b32_e32 v35, s54, v22
	v_mul_lo_u32 v22, v35, s24
	v_lshl_add_u32 v37, v39, 2, v22
	v_and_b32_e32 v22, 1, v35
	v_mov_b32_e32 v23, 0
	v_lshl_add_u64 v[24:25], v[22:23], 0, -1
	v_cmp_ne_u32_e64 s[18:19], 0, v22
	; wave barrier
	ds_read_b32 v33, v37 offset:64
	s_nop 0
	v_xor_b32_e32 v24, s18, v24
	v_xor_b32_e32 v22, s19, v25
	v_and_b32_e32 v38, exec_lo, v24
	v_lshlrev_b32_e32 v25, 30, v35
	v_mov_b32_e32 v24, v23
	v_cmp_gt_i64_e64 s[18:19], 0, v[24:25]
	v_not_b32_e32 v24, v25
	v_ashrrev_i32_e32 v24, 31, v24
	v_and_b32_e32 v22, exec_hi, v22
	v_xor_b32_e32 v25, s19, v24
	v_xor_b32_e32 v24, s18, v24
	v_and_b32_e32 v22, v22, v25
	v_and_b32_e32 v38, v38, v24
	v_lshlrev_b32_e32 v25, 29, v35
	v_mov_b32_e32 v24, v23
	v_cmp_gt_i64_e64 s[18:19], 0, v[24:25]
	v_not_b32_e32 v24, v25
	v_ashrrev_i32_e32 v24, 31, v24
	v_xor_b32_e32 v25, s19, v24
	v_xor_b32_e32 v24, s18, v24
	v_and_b32_e32 v22, v22, v25
	v_and_b32_e32 v38, v38, v24
	v_lshlrev_b32_e32 v25, 28, v35
	v_mov_b32_e32 v24, v23
	v_cmp_gt_i64_e64 s[18:19], 0, v[24:25]
	v_not_b32_e32 v24, v25
	v_ashrrev_i32_e32 v24, 31, v24
	;; [unrolled: 9-line block ×6, first 2 shown]
	v_xor_b32_e32 v25, s19, v24
	v_xor_b32_e32 v24, s18, v24
	v_and_b32_e32 v24, v38, v24
	v_and_b32_e32 v25, v22, v25
	v_mbcnt_lo_u32_b32 v22, v24, 0
	v_mbcnt_hi_u32_b32 v35, v25, v22
	v_cmp_eq_u32_e64 s[18:19], 0, v35
	v_cmp_ne_u64_e64 s[20:21], 0, v[24:25]
	s_and_b64 s[20:21], s[20:21], s[18:19]
	; wave barrier
	s_and_saveexec_b64 s[18:19], s[20:21]
	s_cbranch_execz .LBB146_23
; %bb.22:
	v_bcnt_u32_b32 v22, v24, 0
	v_bcnt_u32_b32 v22, v25, v22
	s_waitcnt lgkmcnt(0)
	v_add_u32_e32 v22, v33, v22
	ds_write_b32 v37, v22 offset:64
.LBB146_23:
	s_or_b64 exec, exec, s[18:19]
	v_cmp_lt_i64_e64 s[18:19], -1, v[12:13]
	v_ashrrev_i32_e32 v24, 31, v13
	v_xor_b32_e32 v12, v24, v12
	v_cndmask_b32_e64 v22, -1, v36, s[18:19]
	v_xor_b32_e32 v13, v22, v13
	v_cmp_ne_u64_e64 s[18:19], s[22:23], v[12:13]
	; wave barrier
	s_nop 1
	v_cndmask_b32_e64 v25, v36, v13, s[18:19]
	v_cndmask_b32_e64 v24, 0, v12, s[18:19]
	v_lshrrev_b64 v[24:25], s48, v[24:25]
	v_and_b32_e32 v38, s54, v24
	v_mul_lo_u32 v22, v38, s24
	v_lshl_add_u32 v41, v39, 2, v22
	v_and_b32_e32 v22, 1, v38
	v_lshl_add_u64 v[24:25], v[22:23], 0, -1
	v_cmp_ne_u32_e64 s[18:19], 0, v22
	ds_read_b32 v36, v41 offset:64
	s_nop 0
	v_xor_b32_e32 v24, s18, v24
	v_xor_b32_e32 v22, s19, v25
	v_and_b32_e32 v40, exec_lo, v24
	v_lshlrev_b32_e32 v25, 30, v38
	v_mov_b32_e32 v24, v23
	v_cmp_gt_i64_e64 s[18:19], 0, v[24:25]
	v_not_b32_e32 v24, v25
	v_ashrrev_i32_e32 v24, 31, v24
	v_and_b32_e32 v22, exec_hi, v22
	v_xor_b32_e32 v25, s19, v24
	v_xor_b32_e32 v24, s18, v24
	v_and_b32_e32 v22, v22, v25
	v_and_b32_e32 v40, v40, v24
	v_lshlrev_b32_e32 v25, 29, v38
	v_mov_b32_e32 v24, v23
	v_cmp_gt_i64_e64 s[18:19], 0, v[24:25]
	v_not_b32_e32 v24, v25
	v_ashrrev_i32_e32 v24, 31, v24
	v_xor_b32_e32 v25, s19, v24
	v_xor_b32_e32 v24, s18, v24
	v_and_b32_e32 v22, v22, v25
	v_and_b32_e32 v40, v40, v24
	v_lshlrev_b32_e32 v25, 28, v38
	v_mov_b32_e32 v24, v23
	v_cmp_gt_i64_e64 s[18:19], 0, v[24:25]
	v_not_b32_e32 v24, v25
	v_ashrrev_i32_e32 v24, 31, v24
	;; [unrolled: 9-line block ×5, first 2 shown]
	v_xor_b32_e32 v25, s19, v24
	v_xor_b32_e32 v24, s18, v24
	v_and_b32_e32 v22, v22, v25
	v_lshlrev_b32_e32 v25, 24, v38
	v_and_b32_e32 v40, v40, v24
	v_mov_b32_e32 v24, v23
	v_not_b32_e32 v23, v25
	v_cmp_gt_i64_e64 s[18:19], 0, v[24:25]
	v_ashrrev_i32_e32 v23, 31, v23
	; wave barrier
	s_nop 0
	v_xor_b32_e32 v24, s19, v23
	v_xor_b32_e32 v25, s18, v23
	v_and_b32_e32 v23, v22, v24
	v_and_b32_e32 v22, v40, v25
	v_mbcnt_lo_u32_b32 v24, v22, 0
	v_mbcnt_hi_u32_b32 v38, v23, v24
	v_cmp_eq_u32_e64 s[18:19], 0, v38
	v_cmp_ne_u64_e64 s[20:21], 0, v[22:23]
	s_and_b64 s[20:21], s[20:21], s[18:19]
	s_and_saveexec_b64 s[18:19], s[20:21]
	s_cbranch_execz .LBB146_25
; %bb.24:
	v_bcnt_u32_b32 v22, v22, 0
	v_bcnt_u32_b32 v22, v23, v22
	s_waitcnt lgkmcnt(0)
	v_add_u32_e32 v22, v36, v22
	ds_write_b32 v41, v22 offset:64
.LBB146_25:
	s_or_b64 exec, exec, s[18:19]
	v_bfrev_b32_e32 v43, 1
	v_cmp_lt_i64_e64 s[18:19], -1, v[14:15]
	v_ashrrev_i32_e32 v23, 31, v15
	v_xor_b32_e32 v14, v23, v14
	v_cndmask_b32_e64 v22, -1, v43, s[18:19]
	v_xor_b32_e32 v15, v22, v15
	v_cmp_ne_u64_e64 s[18:19], s[22:23], v[14:15]
	; wave barrier
	s_nop 1
	v_cndmask_b32_e64 v23, v43, v15, s[18:19]
	v_cndmask_b32_e64 v22, 0, v14, s[18:19]
	v_lshrrev_b64 v[22:23], s48, v[22:23]
	v_and_b32_e32 v42, s54, v22
	v_mul_lo_u32 v22, v42, s24
	v_lshl_add_u32 v44, v39, 2, v22
	v_and_b32_e32 v22, 1, v42
	v_mov_b32_e32 v23, 0
	v_lshl_add_u64 v[24:25], v[22:23], 0, -1
	v_cmp_ne_u32_e64 s[18:19], 0, v22
	ds_read_b32 v40, v44 offset:64
	s_nop 0
	v_xor_b32_e32 v24, s18, v24
	v_xor_b32_e32 v22, s19, v25
	v_and_b32_e32 v45, exec_lo, v24
	v_lshlrev_b32_e32 v25, 30, v42
	v_mov_b32_e32 v24, v23
	v_cmp_gt_i64_e64 s[18:19], 0, v[24:25]
	v_not_b32_e32 v24, v25
	v_ashrrev_i32_e32 v24, 31, v24
	v_and_b32_e32 v22, exec_hi, v22
	v_xor_b32_e32 v25, s19, v24
	v_xor_b32_e32 v24, s18, v24
	v_and_b32_e32 v22, v22, v25
	v_and_b32_e32 v45, v45, v24
	v_lshlrev_b32_e32 v25, 29, v42
	v_mov_b32_e32 v24, v23
	v_cmp_gt_i64_e64 s[18:19], 0, v[24:25]
	v_not_b32_e32 v24, v25
	v_ashrrev_i32_e32 v24, 31, v24
	v_xor_b32_e32 v25, s19, v24
	v_xor_b32_e32 v24, s18, v24
	v_and_b32_e32 v22, v22, v25
	v_and_b32_e32 v45, v45, v24
	v_lshlrev_b32_e32 v25, 28, v42
	v_mov_b32_e32 v24, v23
	v_cmp_gt_i64_e64 s[18:19], 0, v[24:25]
	v_not_b32_e32 v24, v25
	v_ashrrev_i32_e32 v24, 31, v24
	;; [unrolled: 9-line block ×6, first 2 shown]
	v_xor_b32_e32 v25, s19, v24
	v_xor_b32_e32 v24, s18, v24
	v_and_b32_e32 v24, v45, v24
	v_and_b32_e32 v25, v22, v25
	v_mbcnt_lo_u32_b32 v22, v24, 0
	v_mbcnt_hi_u32_b32 v42, v25, v22
	v_cmp_eq_u32_e64 s[18:19], 0, v42
	v_cmp_ne_u64_e64 s[20:21], 0, v[24:25]
	s_and_b64 s[20:21], s[20:21], s[18:19]
	; wave barrier
	s_and_saveexec_b64 s[18:19], s[20:21]
	s_cbranch_execz .LBB146_27
; %bb.26:
	v_bcnt_u32_b32 v22, v24, 0
	v_bcnt_u32_b32 v22, v25, v22
	s_waitcnt lgkmcnt(0)
	v_add_u32_e32 v22, v40, v22
	ds_write_b32 v44, v22 offset:64
.LBB146_27:
	s_or_b64 exec, exec, s[18:19]
	v_cmp_lt_i64_e64 s[18:19], -1, v[18:19]
	v_ashrrev_i32_e32 v24, 31, v19
	v_xor_b32_e32 v18, v24, v18
	v_cndmask_b32_e64 v22, -1, v43, s[18:19]
	v_xor_b32_e32 v19, v22, v19
	v_cmp_ne_u64_e64 s[18:19], s[22:23], v[18:19]
	; wave barrier
	s_nop 1
	v_cndmask_b32_e64 v25, v43, v19, s[18:19]
	v_cndmask_b32_e64 v24, 0, v18, s[18:19]
	v_lshrrev_b64 v[24:25], s48, v[24:25]
	v_and_b32_e32 v45, s54, v24
	v_mul_lo_u32 v22, v45, s24
	v_lshl_add_u32 v47, v39, 2, v22
	v_and_b32_e32 v22, 1, v45
	v_lshl_add_u64 v[24:25], v[22:23], 0, -1
	v_cmp_ne_u32_e64 s[18:19], 0, v22
	ds_read_b32 v43, v47 offset:64
	s_nop 0
	v_xor_b32_e32 v24, s18, v24
	v_xor_b32_e32 v22, s19, v25
	v_and_b32_e32 v46, exec_lo, v24
	v_lshlrev_b32_e32 v25, 30, v45
	v_mov_b32_e32 v24, v23
	v_cmp_gt_i64_e64 s[18:19], 0, v[24:25]
	v_not_b32_e32 v24, v25
	v_ashrrev_i32_e32 v24, 31, v24
	v_and_b32_e32 v22, exec_hi, v22
	v_xor_b32_e32 v25, s19, v24
	v_xor_b32_e32 v24, s18, v24
	v_and_b32_e32 v22, v22, v25
	v_and_b32_e32 v46, v46, v24
	v_lshlrev_b32_e32 v25, 29, v45
	v_mov_b32_e32 v24, v23
	v_cmp_gt_i64_e64 s[18:19], 0, v[24:25]
	v_not_b32_e32 v24, v25
	v_ashrrev_i32_e32 v24, 31, v24
	v_xor_b32_e32 v25, s19, v24
	v_xor_b32_e32 v24, s18, v24
	v_and_b32_e32 v22, v22, v25
	v_and_b32_e32 v46, v46, v24
	v_lshlrev_b32_e32 v25, 28, v45
	v_mov_b32_e32 v24, v23
	v_cmp_gt_i64_e64 s[18:19], 0, v[24:25]
	v_not_b32_e32 v24, v25
	v_ashrrev_i32_e32 v24, 31, v24
	;; [unrolled: 9-line block ×5, first 2 shown]
	v_xor_b32_e32 v25, s19, v24
	v_xor_b32_e32 v24, s18, v24
	v_and_b32_e32 v22, v22, v25
	v_lshlrev_b32_e32 v25, 24, v45
	v_and_b32_e32 v46, v46, v24
	v_mov_b32_e32 v24, v23
	v_not_b32_e32 v23, v25
	v_cmp_gt_i64_e64 s[18:19], 0, v[24:25]
	v_ashrrev_i32_e32 v23, 31, v23
	; wave barrier
	s_nop 0
	v_xor_b32_e32 v24, s19, v23
	v_xor_b32_e32 v25, s18, v23
	v_and_b32_e32 v23, v22, v24
	v_and_b32_e32 v22, v46, v25
	v_mbcnt_lo_u32_b32 v24, v22, 0
	v_mbcnt_hi_u32_b32 v45, v23, v24
	v_cmp_eq_u32_e64 s[18:19], 0, v45
	v_cmp_ne_u64_e64 s[20:21], 0, v[22:23]
	s_and_b64 s[20:21], s[20:21], s[18:19]
	s_and_saveexec_b64 s[18:19], s[20:21]
	s_cbranch_execz .LBB146_29
; %bb.28:
	v_bcnt_u32_b32 v22, v22, 0
	v_bcnt_u32_b32 v22, v23, v22
	s_waitcnt lgkmcnt(0)
	v_add_u32_e32 v22, v43, v22
	ds_write_b32 v47, v22 offset:64
.LBB146_29:
	s_or_b64 exec, exec, s[18:19]
	v_bfrev_b32_e32 v49, 1
	v_cmp_lt_i64_e64 s[18:19], -1, v[20:21]
	v_ashrrev_i32_e32 v23, 31, v21
	v_xor_b32_e32 v20, v23, v20
	v_cndmask_b32_e64 v22, -1, v49, s[18:19]
	v_xor_b32_e32 v21, v22, v21
	v_cmp_ne_u64_e64 s[18:19], s[22:23], v[20:21]
	s_movk_i32 s22, 0x44
	s_nop 0
	v_cndmask_b32_e64 v23, v49, v21, s[18:19]
	v_cndmask_b32_e64 v22, 0, v20, s[18:19]
	v_lshrrev_b64 v[22:23], s48, v[22:23]
	v_and_b32_e32 v48, s54, v22
	v_mul_lo_u32 v22, v48, s22
	v_lshl_add_u32 v50, v39, 2, v22
	v_and_b32_e32 v22, 1, v48
	v_mov_b32_e32 v23, 0
	v_lshl_add_u64 v[24:25], v[22:23], 0, -1
	v_cmp_ne_u32_e64 s[18:19], 0, v22
	; wave barrier
	ds_read_b32 v46, v50 offset:64
	s_nop 0
	v_xor_b32_e32 v24, s18, v24
	v_xor_b32_e32 v22, s19, v25
	v_and_b32_e32 v51, exec_lo, v24
	v_lshlrev_b32_e32 v25, 30, v48
	v_mov_b32_e32 v24, v23
	v_cmp_gt_i64_e64 s[18:19], 0, v[24:25]
	v_not_b32_e32 v24, v25
	v_ashrrev_i32_e32 v24, 31, v24
	v_and_b32_e32 v22, exec_hi, v22
	v_xor_b32_e32 v25, s19, v24
	v_xor_b32_e32 v24, s18, v24
	v_and_b32_e32 v22, v22, v25
	v_and_b32_e32 v51, v51, v24
	v_lshlrev_b32_e32 v25, 29, v48
	v_mov_b32_e32 v24, v23
	v_cmp_gt_i64_e64 s[18:19], 0, v[24:25]
	v_not_b32_e32 v24, v25
	v_ashrrev_i32_e32 v24, 31, v24
	v_xor_b32_e32 v25, s19, v24
	v_xor_b32_e32 v24, s18, v24
	v_and_b32_e32 v22, v22, v25
	v_and_b32_e32 v51, v51, v24
	v_lshlrev_b32_e32 v25, 28, v48
	v_mov_b32_e32 v24, v23
	v_cmp_gt_i64_e64 s[18:19], 0, v[24:25]
	v_not_b32_e32 v24, v25
	v_ashrrev_i32_e32 v24, 31, v24
	v_xor_b32_e32 v25, s19, v24
	v_xor_b32_e32 v24, s18, v24
	v_and_b32_e32 v22, v22, v25
	v_and_b32_e32 v51, v51, v24
	v_lshlrev_b32_e32 v25, 27, v48
	v_mov_b32_e32 v24, v23
	v_cmp_gt_i64_e64 s[18:19], 0, v[24:25]
	v_not_b32_e32 v24, v25
	v_ashrrev_i32_e32 v24, 31, v24
	v_xor_b32_e32 v25, s19, v24
	v_xor_b32_e32 v24, s18, v24
	v_and_b32_e32 v22, v22, v25
	v_and_b32_e32 v51, v51, v24
	v_lshlrev_b32_e32 v25, 26, v48
	v_mov_b32_e32 v24, v23
	v_cmp_gt_i64_e64 s[18:19], 0, v[24:25]
	v_not_b32_e32 v24, v25
	v_ashrrev_i32_e32 v24, 31, v24
	v_xor_b32_e32 v25, s19, v24
	v_xor_b32_e32 v24, s18, v24
	v_and_b32_e32 v22, v22, v25
	v_and_b32_e32 v51, v51, v24
	v_lshlrev_b32_e32 v25, 25, v48
	v_mov_b32_e32 v24, v23
	v_cmp_gt_i64_e64 s[18:19], 0, v[24:25]
	v_not_b32_e32 v24, v25
	v_ashrrev_i32_e32 v24, 31, v24
	v_xor_b32_e32 v25, s19, v24
	v_xor_b32_e32 v24, s18, v24
	v_and_b32_e32 v22, v22, v25
	v_and_b32_e32 v51, v51, v24
	v_lshlrev_b32_e32 v25, 24, v48
	v_mov_b32_e32 v24, v23
	v_cmp_gt_i64_e64 s[18:19], 0, v[24:25]
	v_not_b32_e32 v24, v25
	v_ashrrev_i32_e32 v24, 31, v24
	v_xor_b32_e32 v25, s19, v24
	v_xor_b32_e32 v24, s18, v24
	v_and_b32_e32 v24, v51, v24
	v_and_b32_e32 v25, v22, v25
	v_mbcnt_lo_u32_b32 v22, v24, 0
	v_mbcnt_hi_u32_b32 v48, v25, v22
	v_cmp_eq_u32_e64 s[18:19], 0, v48
	v_cmp_ne_u64_e64 s[20:21], 0, v[24:25]
	s_and_b64 s[20:21], s[20:21], s[18:19]
	; wave barrier
	s_and_saveexec_b64 s[18:19], s[20:21]
	s_cbranch_execz .LBB146_31
; %bb.30:
	v_bcnt_u32_b32 v22, v24, 0
	v_bcnt_u32_b32 v22, v25, v22
	s_waitcnt lgkmcnt(0)
	v_add_u32_e32 v22, v46, v22
	ds_write_b32 v50, v22 offset:64
.LBB146_31:
	s_or_b64 exec, exec, s[18:19]
	v_cmp_lt_i64_e64 s[18:19], -1, v[16:17]
	s_mov_b32 s20, -1
	v_ashrrev_i32_e32 v24, 31, v17
	v_cndmask_b32_e64 v22, -1, v49, s[18:19]
	s_brev_b32 s21, -2
	v_xor_b32_e32 v17, v22, v17
	v_xor_b32_e32 v16, v24, v16
	v_cmp_ne_u64_e64 s[18:19], s[20:21], v[16:17]
	; wave barrier
	s_nop 1
	v_cndmask_b32_e64 v25, v49, v17, s[18:19]
	v_cndmask_b32_e64 v24, 0, v16, s[18:19]
	v_lshrrev_b64 v[24:25], s48, v[24:25]
	v_and_b32_e32 v51, s54, v24
	v_mul_lo_u32 v22, v51, s22
	v_lshl_add_u32 v39, v39, 2, v22
	v_and_b32_e32 v22, 1, v51
	v_lshl_add_u64 v[24:25], v[22:23], 0, -1
	v_cmp_ne_u32_e64 s[18:19], 0, v22
	ds_read_b32 v49, v39 offset:64
	s_nop 0
	v_xor_b32_e32 v24, s18, v24
	v_xor_b32_e32 v22, s19, v25
	v_and_b32_e32 v52, exec_lo, v24
	v_lshlrev_b32_e32 v25, 30, v51
	v_mov_b32_e32 v24, v23
	v_cmp_gt_i64_e64 s[18:19], 0, v[24:25]
	v_not_b32_e32 v24, v25
	v_ashrrev_i32_e32 v24, 31, v24
	v_and_b32_e32 v22, exec_hi, v22
	v_xor_b32_e32 v25, s19, v24
	v_xor_b32_e32 v24, s18, v24
	v_and_b32_e32 v22, v22, v25
	v_and_b32_e32 v52, v52, v24
	v_lshlrev_b32_e32 v25, 29, v51
	v_mov_b32_e32 v24, v23
	v_cmp_gt_i64_e64 s[18:19], 0, v[24:25]
	v_not_b32_e32 v24, v25
	v_ashrrev_i32_e32 v24, 31, v24
	v_xor_b32_e32 v25, s19, v24
	v_xor_b32_e32 v24, s18, v24
	v_and_b32_e32 v22, v22, v25
	v_and_b32_e32 v52, v52, v24
	v_lshlrev_b32_e32 v25, 28, v51
	v_mov_b32_e32 v24, v23
	v_cmp_gt_i64_e64 s[18:19], 0, v[24:25]
	v_not_b32_e32 v24, v25
	v_ashrrev_i32_e32 v24, 31, v24
	;; [unrolled: 9-line block ×5, first 2 shown]
	v_xor_b32_e32 v25, s19, v24
	v_xor_b32_e32 v24, s18, v24
	v_and_b32_e32 v22, v22, v25
	v_lshlrev_b32_e32 v25, 24, v51
	v_and_b32_e32 v52, v52, v24
	v_mov_b32_e32 v24, v23
	v_not_b32_e32 v23, v25
	v_cmp_gt_i64_e64 s[18:19], 0, v[24:25]
	v_ashrrev_i32_e32 v23, 31, v23
	; wave barrier
	s_nop 0
	v_xor_b32_e32 v24, s19, v23
	v_xor_b32_e32 v25, s18, v23
	v_and_b32_e32 v23, v22, v24
	v_and_b32_e32 v22, v52, v25
	v_mbcnt_lo_u32_b32 v24, v22, 0
	v_mbcnt_hi_u32_b32 v51, v23, v24
	v_cmp_eq_u32_e64 s[18:19], 0, v51
	v_cmp_ne_u64_e64 s[20:21], 0, v[22:23]
	s_and_b64 s[20:21], s[20:21], s[18:19]
	s_and_saveexec_b64 s[18:19], s[20:21]
	s_cbranch_execz .LBB146_33
; %bb.32:
	v_bcnt_u32_b32 v22, v22, 0
	v_bcnt_u32_b32 v22, v23, v22
	s_waitcnt lgkmcnt(0)
	v_add_u32_e32 v22, v49, v22
	ds_write_b32 v39, v22 offset:64
.LBB146_33:
	s_or_b64 exec, exec, s[18:19]
	; wave barrier
	s_waitcnt lgkmcnt(0)
	s_barrier
	ds_read2_b32 v[24:25], v1 offset0:16 offset1:17
	ds_read2_b32 v[22:23], v1 offset0:18 offset1:19
	ds_read_b32 v52, v1 offset:80
	v_cmp_lt_u32_e64 s[28:29], 31, v26
	s_waitcnt lgkmcnt(1)
	v_add3_u32 v53, v25, v24, v22
	s_waitcnt lgkmcnt(0)
	v_add3_u32 v52, v53, v23, v52
	v_and_b32_e32 v53, 15, v26
	v_cmp_eq_u32_e64 s[18:19], 0, v53
	v_mov_b32_dpp v54, v52 row_shr:1 row_mask:0xf bank_mask:0xf
	v_cmp_lt_u32_e64 s[20:21], 1, v53
	v_cndmask_b32_e64 v54, v54, 0, s[18:19]
	v_add_u32_e32 v52, v54, v52
	v_cmp_lt_u32_e64 s[22:23], 3, v53
	v_cmp_lt_u32_e64 s[24:25], 7, v53
	v_mov_b32_dpp v54, v52 row_shr:2 row_mask:0xf bank_mask:0xf
	v_cndmask_b32_e64 v54, 0, v54, s[20:21]
	v_add_u32_e32 v52, v52, v54
	s_nop 1
	v_mov_b32_dpp v54, v52 row_shr:4 row_mask:0xf bank_mask:0xf
	v_cndmask_b32_e64 v54, 0, v54, s[22:23]
	v_add_u32_e32 v52, v52, v54
	s_nop 1
	v_mov_b32_dpp v54, v52 row_shr:8 row_mask:0xf bank_mask:0xf
	v_cndmask_b32_e64 v53, 0, v54, s[24:25]
	v_add_u32_e32 v52, v52, v53
	v_bfe_i32 v54, v26, 4, 1
	s_nop 0
	v_mov_b32_dpp v53, v52 row_bcast:15 row_mask:0xf bank_mask:0xf
	v_and_b32_e32 v53, v54, v53
	v_add_u32_e32 v52, v52, v53
	v_and_b32_e32 v54, 63, v2
	s_nop 0
	v_mov_b32_dpp v53, v52 row_bcast:31 row_mask:0xf bank_mask:0xf
	v_cndmask_b32_e64 v53, 0, v53, s[28:29]
	v_add_u32_e32 v52, v52, v53
	v_lshrrev_b32_e32 v53, 6, v2
	v_cmp_eq_u32_e64 s[28:29], 63, v54
	s_and_saveexec_b64 s[30:31], s[28:29]
; %bb.34:
	v_lshlrev_b32_e32 v54, 2, v53
	ds_write_b32 v54, v52
; %bb.35:
	s_or_b64 exec, exec, s[30:31]
	v_cmp_gt_u32_e64 s[28:29], 16, v2
	s_waitcnt lgkmcnt(0)
	s_barrier
	s_and_saveexec_b64 s[30:31], s[28:29]
	s_cbranch_execz .LBB146_37
; %bb.36:
	v_lshlrev_b32_e32 v54, 2, v2
	ds_read_b32 v55, v54
	s_waitcnt lgkmcnt(0)
	s_nop 0
	v_mov_b32_dpp v56, v55 row_shr:1 row_mask:0xf bank_mask:0xf
	v_cndmask_b32_e64 v56, v56, 0, s[18:19]
	v_add_u32_e32 v55, v56, v55
	s_nop 1
	v_mov_b32_dpp v56, v55 row_shr:2 row_mask:0xf bank_mask:0xf
	v_cndmask_b32_e64 v56, 0, v56, s[20:21]
	v_add_u32_e32 v55, v55, v56
	;; [unrolled: 4-line block ×4, first 2 shown]
	ds_write_b32 v54, v55
.LBB146_37:
	s_or_b64 exec, exec, s[30:31]
	v_cmp_lt_u32_e64 s[18:19], 63, v2
	v_mov_b32_e32 v54, 0
	s_waitcnt lgkmcnt(0)
	s_barrier
	s_and_saveexec_b64 s[20:21], s[18:19]
; %bb.38:
	v_lshl_add_u32 v53, v53, 2, -4
	ds_read_b32 v54, v53
; %bb.39:
	s_or_b64 exec, exec, s[20:21]
	v_subrev_co_u32_e64 v53, s[18:19], 1, v26
	v_and_b32_e32 v55, 64, v26
	v_cmp_lt_i32_e64 s[20:21], v53, v55
	s_waitcnt lgkmcnt(0)
	v_add_u32_e32 v52, v54, v52
	s_movk_i32 s22, 0x100
	v_cndmask_b32_e64 v26, v53, v26, s[20:21]
	v_lshlrev_b32_e32 v26, 2, v26
	ds_bpermute_b32 v26, v26, v52
	v_cmp_gt_u32_e64 s[20:21], s22, v2
	s_waitcnt lgkmcnt(0)
	v_cndmask_b32_e64 v26, v26, v54, s[18:19]
	v_cmp_ne_u32_e64 s[18:19], 0, v2
	s_nop 1
	v_cndmask_b32_e64 v26, 0, v26, s[18:19]
	v_add_u32_e32 v24, v26, v24
	v_add_u32_e32 v25, v24, v25
	;; [unrolled: 1-line block ×4, first 2 shown]
	ds_write2_b32 v1, v26, v24 offset0:16 offset1:17
	ds_write2_b32 v1, v25, v22 offset0:18 offset1:19
	ds_write_b32 v1, v23 offset:80
	s_waitcnt lgkmcnt(0)
	s_barrier
	ds_read_b32 v55, v27 offset:64
	ds_read_b32 v1, v34 offset:64
	;; [unrolled: 1-line block ×8, first 2 shown]
	s_movk_i32 s18, 0xff
	v_cmp_lt_u32_e64 s[18:19], s18, v2
                                        ; implicit-def: $vgpr34
                                        ; implicit-def: $vgpr37
	s_and_saveexec_b64 s[24:25], s[20:21]
	s_cbranch_execz .LBB146_43
; %bb.40:
	v_mul_u32_u24_e32 v22, 0x44, v2
	ds_read_b32 v34, v22 offset:64
	v_add_u32_e32 v23, 1, v2
	v_cmp_ne_u32_e64 s[22:23], s22, v23
	v_mov_b32_e32 v22, 0x2000
	s_and_saveexec_b64 s[28:29], s[22:23]
; %bb.41:
	v_mul_u32_u24_e32 v22, 0x44, v23
	ds_read_b32 v22, v22 offset:64
; %bb.42:
	s_or_b64 exec, exec, s[28:29]
	s_waitcnt lgkmcnt(0)
	v_sub_u32_e32 v37, v22, v34
.LBB146_43:
	s_or_b64 exec, exec, s[24:25]
	v_mov_b32_e32 v23, 0
	v_lshlrev_b32_e32 v39, 2, v2
	s_waitcnt lgkmcnt(0)
	s_barrier
	s_and_saveexec_b64 s[22:23], s[20:21]
	s_cbranch_execz .LBB146_53
; %bb.44:
	v_lshl_add_u32 v22, s4, 8, v2
	v_lshl_add_u64 v[24:25], v[22:23], 2, s[52:53]
	v_or_b32_e32 v22, 2.0, v37
	s_mov_b64 s[24:25], 0
	s_brev_b32 s34, -4
	s_mov_b32 s35, s4
	v_mov_b32_e32 v50, 0
	global_store_dword v[24:25], v22, off sc1
                                        ; implicit-def: $sgpr20_sgpr21
	s_branch .LBB146_47
.LBB146_45:                             ;   in Loop: Header=BB146_47 Depth=1
	s_or_b64 exec, exec, s[30:31]
.LBB146_46:                             ;   in Loop: Header=BB146_47 Depth=1
	s_or_b64 exec, exec, s[28:29]
	v_and_b32_e32 v26, 0x3fffffff, v22
	v_add_u32_e32 v50, v26, v50
	v_cmp_gt_i32_e64 s[20:21], -2.0, v22
	s_and_b64 s[28:29], exec, s[20:21]
	s_or_b64 s[24:25], s[28:29], s[24:25]
	s_andn2_b64 exec, exec, s[24:25]
	s_cbranch_execz .LBB146_52
.LBB146_47:                             ; =>This Loop Header: Depth=1
                                        ;     Child Loop BB146_50 Depth 2
	s_or_b64 s[20:21], s[20:21], exec
	s_cmp_eq_u32 s35, 0
	s_cbranch_scc1 .LBB146_51
; %bb.48:                               ;   in Loop: Header=BB146_47 Depth=1
	s_add_i32 s35, s35, -1
	v_lshl_or_b32 v22, s35, 8, v2
	v_lshl_add_u64 v[26:27], v[22:23], 2, s[52:53]
	global_load_dword v22, v[26:27], off sc1
	s_waitcnt vmcnt(0)
	v_cmp_gt_u32_e64 s[20:21], 2.0, v22
	s_and_saveexec_b64 s[28:29], s[20:21]
	s_cbranch_execz .LBB146_46
; %bb.49:                               ;   in Loop: Header=BB146_47 Depth=1
	s_mov_b64 s[30:31], 0
.LBB146_50:                             ;   Parent Loop BB146_47 Depth=1
                                        ; =>  This Inner Loop Header: Depth=2
	global_load_dword v22, v[26:27], off sc1
	s_waitcnt vmcnt(0)
	v_cmp_lt_u32_e64 s[20:21], s34, v22
	s_or_b64 s[30:31], s[20:21], s[30:31]
	s_andn2_b64 exec, exec, s[30:31]
	s_cbranch_execnz .LBB146_50
	s_branch .LBB146_45
.LBB146_51:                             ;   in Loop: Header=BB146_47 Depth=1
                                        ; implicit-def: $sgpr35
	s_and_b64 s[28:29], exec, s[20:21]
	s_or_b64 s[24:25], s[28:29], s[24:25]
	s_andn2_b64 exec, exec, s[24:25]
	s_cbranch_execnz .LBB146_47
.LBB146_52:
	s_or_b64 exec, exec, s[24:25]
	v_add_u32_e32 v22, v50, v37
	v_or_b32_e32 v22, 0x80000000, v22
	global_store_dword v[24:25], v22, off sc1
	global_load_dword v22, v39, s[44:45]
	v_sub_u32_e32 v23, v50, v34
	s_waitcnt vmcnt(0)
	v_add_u32_e32 v22, v23, v22
	ds_write_b32 v39, v22
.LBB146_53:
	s_or_b64 exec, exec, s[22:23]
	s_load_dwordx2 s[20:21], s[0:1], 0x4
	v_add_u32_e32 v24, v55, v5
	v_add3_u32 v5, v32, v31, v1
	v_add3_u32 v22, v35, v33, v52
	;; [unrolled: 1-line block ×3, first 2 shown]
	s_waitcnt lgkmcnt(0)
	s_lshr_b32 s0, s20, 16
	s_mul_i32 s0, s0, s21
	v_mul_lo_u32 v25, s0, v2
	v_mul_u32_u24_e32 v27, s21, v3
	v_add3_u32 v25, v25, v27, v28
	v_mov_b32_e32 v27, 0x5050
	v_add3_u32 v50, v42, v40, v54
	v_add3_u32 v55, v45, v43, v47
	;; [unrolled: 1-line block ×4, first 2 shown]
	v_lshl_add_u32 v25, v25, 5, v27
	v_mov_b32_e32 v57, 0x400
	s_mov_b32 s22, -1
	s_movk_i32 s28, 0x400
	v_lshl_add_u32 v26, v26, 3, v57
	v_add3_u32 v27, v51, v41, v49
	v_lshl_add_u32 v41, v56, 3, v57
	v_add3_u32 v44, v48, v44, v46
	;; [unrolled: 2-line block ×7, first 2 shown]
	v_lshl_add_u32 v32, v24, 3, v57
	s_mov_b32 s29, 0
	s_movk_i32 s30, 0x800
	v_add_u32_e32 v47, v39, v39
	s_brev_b32 s23, -2
	v_mov_b32_e32 v23, 0
	v_bfrev_b32_e32 v1, 1
	v_mov_b32_e32 v5, v2
	v_mov_b32_e32 v48, v25
	s_mov_b32 s31, 0
	s_branch .LBB146_55
.LBB146_54:                             ;   in Loop: Header=BB146_55 Depth=1
	s_or_b64 exec, exec, s[24:25]
	s_addk_i32 s31, 0xc000
	s_addk_i32 s29, 0xf800
	v_add_u32_e32 v48, 8, v48
	s_cmp_eq_u32 s31, 0xffff0000
	v_add_u32_e32 v5, 0x800, v5
	s_waitcnt lgkmcnt(0)
	s_barrier
	s_cbranch_scc1 .LBB146_75
.LBB146_55:                             ; =>This Inner Loop Header: Depth=1
	v_add_u32_e32 v22, s29, v24
	v_cmp_gt_u32_e64 s[0:1], s30, v22
	s_and_saveexec_b64 s[20:21], s[0:1]
; %bb.56:                               ;   in Loop: Header=BB146_55 Depth=1
	v_add_u32_e32 v22, s31, v32
	ds_write_b64 v22, v[6:7]
; %bb.57:                               ;   in Loop: Header=BB146_55 Depth=1
	s_or_b64 exec, exec, s[20:21]
	v_add_u32_e32 v22, s29, v31
	v_cmp_gt_u32_e64 s[0:1], s30, v22
	s_and_saveexec_b64 s[20:21], s[0:1]
; %bb.58:                               ;   in Loop: Header=BB146_55 Depth=1
	v_add_u32_e32 v22, s31, v35
	ds_write_b64 v22, v[8:9]
; %bb.59:                               ;   in Loop: Header=BB146_55 Depth=1
	s_or_b64 exec, exec, s[20:21]
	;; [unrolled: 8-line block ×8, first 2 shown]
	v_cmp_gt_u32_e64 s[0:1], s5, v5
	s_waitcnt lgkmcnt(0)
	s_barrier
	s_and_saveexec_b64 s[24:25], s[0:1]
	s_cbranch_execz .LBB146_73
; %bb.72:                               ;   in Loop: Header=BB146_55 Depth=1
	ds_read_b64 v[50:51], v47 offset:1024
	s_waitcnt lgkmcnt(0)
	v_cmp_ne_u64_e64 s[0:1], s[22:23], v[50:51]
	s_nop 1
	v_cndmask_b32_e64 v53, v1, v51, s[0:1]
	v_cndmask_b32_e64 v52, 0, v50, s[0:1]
	v_lshrrev_b64 v[52:53], s48, v[52:53]
	v_and_b32_e32 v49, s54, v52
	v_lshlrev_b32_e32 v52, 2, v49
	ds_read_b32 v52, v52
	v_cmp_lt_i64_e64 s[20:21], -1, v[50:51]
	v_ashrrev_i32_e32 v53, 31, v51
	v_not_b32_e32 v53, v53
	v_cndmask_b32_e64 v22, v1, -1, s[20:21]
	v_xor_b32_e32 v51, v22, v51
	s_waitcnt lgkmcnt(0)
	v_add_u32_e32 v22, v5, v52
	v_xor_b32_e32 v50, v53, v50
	v_lshl_add_u64 v[52:53], v[22:23], 3, s[38:39]
	global_store_dwordx2 v[52:53], v[50:51], off
	ds_write_b32 v48, v49
.LBB146_73:                             ;   in Loop: Header=BB146_55 Depth=1
	s_or_b64 exec, exec, s[24:25]
	v_add_u32_e32 v22, 0x400, v5
	v_cmp_gt_u32_e64 s[0:1], s5, v22
	s_and_saveexec_b64 s[24:25], s[0:1]
	s_cbranch_execz .LBB146_54
; %bb.74:                               ;   in Loop: Header=BB146_55 Depth=1
	ds_read_b64 v[50:51], v47 offset:9216
	s_waitcnt lgkmcnt(0)
	v_cmp_ne_u64_e64 s[0:1], s[22:23], v[50:51]
	s_nop 1
	v_cndmask_b32_e64 v53, v1, v51, s[0:1]
	v_cndmask_b32_e64 v52, 0, v50, s[0:1]
	v_lshrrev_b64 v[52:53], s48, v[52:53]
	v_and_b32_e32 v49, s54, v52
	v_lshlrev_b32_e32 v52, 2, v49
	ds_read_b32 v52, v52
	v_cmp_lt_i64_e64 s[20:21], -1, v[50:51]
	v_ashrrev_i32_e32 v53, 31, v51
	v_not_b32_e32 v53, v53
	v_cndmask_b32_e64 v22, v1, -1, s[20:21]
	v_xor_b32_e32 v51, v22, v51
	s_waitcnt lgkmcnt(0)
	v_add3_u32 v22, v5, v52, s28
	v_xor_b32_e32 v50, v53, v50
	v_lshl_add_u64 v[52:53], v[22:23], 3, s[38:39]
	global_store_dwordx2 v[52:53], v[50:51], off
	ds_write_b32 v48, v49 offset:4
	s_branch .LBB146_54
.LBB146_75:
	s_add_u32 s0, s40, s50
	s_addc_u32 s1, s41, s51
	v_mov_b32_e32 v1, 0
	v_lshl_add_u64 v[6:7], s[0:1], 0, v[0:1]
	v_mov_b32_e32 v5, v1
	v_lshl_add_u64 v[18:19], v[6:7], 0, v[4:5]
                                        ; implicit-def: $vgpr0_vgpr1
	s_and_saveexec_b64 s[0:1], vcc
	s_cbranch_execz .LBB146_83
; %bb.76:
	global_load_dwordx2 v[0:1], v[18:19], off
	s_or_b64 exec, exec, s[0:1]
                                        ; implicit-def: $vgpr4_vgpr5
	s_and_saveexec_b64 s[0:1], s[16:17]
	s_cbranch_execnz .LBB146_84
.LBB146_77:
	s_or_b64 exec, exec, s[0:1]
                                        ; implicit-def: $vgpr6_vgpr7
	s_and_saveexec_b64 s[0:1], s[26:27]
	s_cbranch_execz .LBB146_85
.LBB146_78:
	global_load_dwordx2 v[6:7], v[18:19], off offset:1024
	s_or_b64 exec, exec, s[0:1]
                                        ; implicit-def: $vgpr8_vgpr9
	s_and_saveexec_b64 s[0:1], s[6:7]
	s_cbranch_execnz .LBB146_86
.LBB146_79:
	s_or_b64 exec, exec, s[0:1]
                                        ; implicit-def: $vgpr10_vgpr11
	s_and_saveexec_b64 s[0:1], s[8:9]
	s_cbranch_execz .LBB146_87
.LBB146_80:
	global_load_dwordx2 v[10:11], v[18:19], off offset:2048
	s_or_b64 exec, exec, s[0:1]
                                        ; implicit-def: $vgpr12_vgpr13
	s_and_saveexec_b64 s[0:1], s[10:11]
	s_cbranch_execnz .LBB146_88
.LBB146_81:
	s_or_b64 exec, exec, s[0:1]
                                        ; implicit-def: $vgpr14_vgpr15
	s_and_saveexec_b64 s[0:1], s[12:13]
	s_cbranch_execz .LBB146_89
.LBB146_82:
	global_load_dwordx2 v[14:15], v[18:19], off offset:3072
	s_or_b64 exec, exec, s[0:1]
                                        ; implicit-def: $vgpr16_vgpr17
	s_and_saveexec_b64 s[0:1], s[14:15]
	s_cbranch_execnz .LBB146_90
	s_branch .LBB146_91
.LBB146_83:
	s_or_b64 exec, exec, s[0:1]
                                        ; implicit-def: $vgpr4_vgpr5
	s_and_saveexec_b64 s[0:1], s[16:17]
	s_cbranch_execz .LBB146_77
.LBB146_84:
	global_load_dwordx2 v[4:5], v[18:19], off offset:512
	s_or_b64 exec, exec, s[0:1]
                                        ; implicit-def: $vgpr6_vgpr7
	s_and_saveexec_b64 s[0:1], s[26:27]
	s_cbranch_execnz .LBB146_78
.LBB146_85:
	s_or_b64 exec, exec, s[0:1]
                                        ; implicit-def: $vgpr8_vgpr9
	s_and_saveexec_b64 s[0:1], s[6:7]
	s_cbranch_execz .LBB146_79
.LBB146_86:
	global_load_dwordx2 v[8:9], v[18:19], off offset:1536
	s_or_b64 exec, exec, s[0:1]
                                        ; implicit-def: $vgpr10_vgpr11
	s_and_saveexec_b64 s[0:1], s[8:9]
	s_cbranch_execnz .LBB146_80
.LBB146_87:
	s_or_b64 exec, exec, s[0:1]
                                        ; implicit-def: $vgpr12_vgpr13
	s_and_saveexec_b64 s[0:1], s[10:11]
	s_cbranch_execz .LBB146_81
.LBB146_88:
	global_load_dwordx2 v[12:13], v[18:19], off offset:2560
	s_or_b64 exec, exec, s[0:1]
                                        ; implicit-def: $vgpr14_vgpr15
	s_and_saveexec_b64 s[0:1], s[12:13]
	s_cbranch_execnz .LBB146_82
.LBB146_89:
	s_or_b64 exec, exec, s[0:1]
                                        ; implicit-def: $vgpr16_vgpr17
	s_and_saveexec_b64 s[0:1], s[14:15]
	s_cbranch_execz .LBB146_91
.LBB146_90:
	global_load_dwordx2 v[16:17], v[18:19], off offset:3584
.LBB146_91:
	s_or_b64 exec, exec, s[0:1]
	s_mov_b32 s6, 0
	s_movk_i32 s7, 0x800
	v_mov_b32_e32 v19, 0
	s_movk_i32 s8, 0x400
	s_mov_b32 s9, 0
	v_mov_b32_e32 v20, v2
	s_waitcnt vmcnt(0)
	s_branch .LBB146_93
.LBB146_92:                             ;   in Loop: Header=BB146_93 Depth=1
	s_or_b64 exec, exec, s[0:1]
	s_addk_i32 s9, 0xc000
	s_addk_i32 s6, 0xf800
	v_add_u32_e32 v20, 0x800, v20
	s_cmp_eq_u32 s9, 0xffff0000
	v_add_u32_e32 v25, 8, v25
	s_barrier
	s_cbranch_scc1 .LBB146_113
.LBB146_93:                             ; =>This Inner Loop Header: Depth=1
	v_add_u32_e32 v18, s6, v24
	v_cmp_gt_u32_e32 vcc, s7, v18
	s_and_saveexec_b64 s[0:1], vcc
; %bb.94:                               ;   in Loop: Header=BB146_93 Depth=1
	v_add_u32_e32 v18, s9, v32
	ds_write_b64 v18, v[0:1]
; %bb.95:                               ;   in Loop: Header=BB146_93 Depth=1
	s_or_b64 exec, exec, s[0:1]
	v_add_u32_e32 v18, s6, v31
	v_cmp_gt_u32_e32 vcc, s7, v18
	s_and_saveexec_b64 s[0:1], vcc
; %bb.96:                               ;   in Loop: Header=BB146_93 Depth=1
	v_add_u32_e32 v18, s9, v35
	ds_write_b64 v18, v[4:5]
; %bb.97:                               ;   in Loop: Header=BB146_93 Depth=1
	s_or_b64 exec, exec, s[0:1]
	;; [unrolled: 8-line block ×3, first 2 shown]
	v_add_u32_e32 v18, s6, v36
	v_cmp_gt_u32_e32 vcc, s7, v18
	s_and_saveexec_b64 s[0:1], vcc
; %bb.100:                              ;   in Loop: Header=BB146_93 Depth=1
	v_add_u32_e32 v18, s9, v42
	ds_write_b64 v18, v[8:9]
; %bb.101:                              ;   in Loop: Header=BB146_93 Depth=1
	s_or_b64 exec, exec, s[0:1]
	v_add_u32_e32 v18, s6, v40
	v_cmp_gt_u32_e32 vcc, s7, v18
	s_and_saveexec_b64 s[0:1], vcc
; %bb.102:                              ;   in Loop: Header=BB146_93 Depth=1
	v_add_u32_e32 v18, s9, v45
	ds_write_b64 v18, v[10:11]
; %bb.103:                              ;   in Loop: Header=BB146_93 Depth=1
	s_or_b64 exec, exec, s[0:1]
	;; [unrolled: 8-line block ×5, first 2 shown]
	v_cmp_gt_u32_e32 vcc, s5, v20
	s_waitcnt lgkmcnt(0)
	s_barrier
	s_and_saveexec_b64 s[0:1], vcc
	s_cbranch_execz .LBB146_111
; %bb.110:                              ;   in Loop: Header=BB146_93 Depth=1
	ds_read_b32 v18, v25
	s_waitcnt lgkmcnt(0)
	v_lshlrev_b32_e32 v18, 2, v18
	ds_read_b32 v18, v18
	ds_read_b64 v[22:23], v47 offset:1024
	s_waitcnt lgkmcnt(1)
	v_add_u32_e32 v18, v20, v18
	v_lshl_add_u64 v[48:49], v[18:19], 3, s[42:43]
	s_waitcnt lgkmcnt(0)
	global_store_dwordx2 v[48:49], v[22:23], off
.LBB146_111:                            ;   in Loop: Header=BB146_93 Depth=1
	s_or_b64 exec, exec, s[0:1]
	v_add_u32_e32 v18, 0x400, v20
	v_cmp_gt_u32_e32 vcc, s5, v18
	s_and_saveexec_b64 s[0:1], vcc
	s_cbranch_execz .LBB146_92
; %bb.112:                              ;   in Loop: Header=BB146_93 Depth=1
	ds_read_b32 v18, v25 offset:4
	s_waitcnt lgkmcnt(0)
	v_lshlrev_b32_e32 v18, 2, v18
	ds_read_b32 v18, v18
	ds_read_b64 v[22:23], v47 offset:9216
	s_waitcnt lgkmcnt(1)
	v_add3_u32 v18, v20, v18, s8
	v_lshl_add_u64 v[48:49], v[18:19], 3, s[42:43]
	s_waitcnt lgkmcnt(0)
	global_store_dwordx2 v[48:49], v[22:23], off
	s_branch .LBB146_92
.LBB146_113:
	s_add_i32 s33, s33, -1
	s_cmp_eq_u32 s4, s33
	s_cselect_b64 s[0:1], -1, 0
	s_xor_b64 s[6:7], s[18:19], -1
	s_and_b64 s[6:7], s[6:7], s[0:1]
	s_and_saveexec_b64 s[0:1], s[6:7]
	s_cbranch_execz .LBB146_115
; %bb.114:
	ds_read_b32 v0, v39
	s_waitcnt lgkmcnt(0)
	v_add3_u32 v0, v34, v37, v0
	global_store_dword v39, v0, s[46:47]
.LBB146_115:
	s_or_b64 exec, exec, s[0:1]
	s_mov_b64 s[6:7], 0
.LBB146_116:
	s_and_b64 vcc, exec, s[6:7]
	s_cbranch_vccz .LBB146_191
; %bb.117:
	s_lshl_b32 s0, s4, 13
	s_mov_b32 s1, 0
	s_lshl_b64 s[10:11], s[0:1], 3
	v_mbcnt_hi_u32_b32 v26, -1, v30
	s_add_u32 s0, s36, s10
	v_and_b32_e32 v0, 63, v26
	v_mov_b32_e32 v11, 0
	s_addc_u32 s1, s37, s11
	v_lshlrev_b32_e32 v0, 3, v0
	v_mov_b32_e32 v1, v11
	v_lshl_add_u64 v[6:7], s[0:1], 0, v[0:1]
	s_load_dword s5, s[2:3], 0x58
	s_load_dword s0, s[2:3], 0x64
	v_and_b32_e32 v4, 0x1e00, v29
	v_lshlrev_b32_e32 v4, 3, v4
	v_mov_b32_e32 v5, v11
	v_lshl_add_u64 v[6:7], v[6:7], 0, v[4:5]
	global_load_dwordx2 v[24:25], v[6:7], off
	s_add_u32 s1, s2, 0x58
	s_addc_u32 s2, s3, 0
	s_waitcnt lgkmcnt(0)
	s_lshr_b32 s3, s0, 16
	s_cmp_lt_u32 s4, s5
	s_cselect_b32 s0, 12, 18
	s_add_u32 s0, s1, s0
	s_addc_u32 s1, s2, 0
	global_load_ushort v10, v11, s[0:1]
	v_mul_u32_u24_e32 v1, 20, v2
	ds_write2_b32 v1, v11, v11 offset0:16 offset1:17
	ds_write2_b32 v1, v11, v11 offset0:18 offset1:19
	ds_write_b32 v1, v11 offset:80
	global_load_dwordx2 v[8:9], v[6:7], off offset:512
	global_load_dwordx2 v[22:23], v[6:7], off offset:1024
	;; [unrolled: 1-line block ×7, first 2 shown]
	v_bfrev_b32_e32 v5, 1
	s_mov_b32 s12, -1
	s_brev_b32 s13, -2
	v_mad_u32_u24 v3, v28, s3, v3
	s_lshl_b32 s2, -1, s49
	s_movk_i32 s15, 0x44
	v_mov_b32_e32 v30, v11
	v_mov_b32_e32 v34, v11
	s_not_b32 s14, s2
	v_mov_b32_e32 v36, v11
	v_mov_b32_e32 v38, v11
	s_waitcnt lgkmcnt(0)
	s_barrier
	s_waitcnt vmcnt(8)
	; wave barrier
	v_cmp_lt_i64_e32 vcc, -1, v[24:25]
	s_nop 1
	v_cndmask_b32_e32 v6, -1, v5, vcc
	v_ashrrev_i32_e32 v27, 31, v25
	v_xor_b32_e32 v7, v6, v25
	v_xor_b32_e32 v6, v27, v24
	v_cmp_ne_u64_e32 vcc, s[12:13], v[6:7]
	s_waitcnt vmcnt(7)
	v_mad_u64_u32 v[28:29], s[0:1], v3, v10, v[2:3]
	v_cndmask_b32_e32 v25, v5, v7, vcc
	v_cndmask_b32_e32 v24, 0, v6, vcc
	v_lshrrev_b64 v[24:25], s48, v[24:25]
	v_bitop3_b32 v3, v24, s2, v24 bitop3:0x30
	v_lshrrev_b32_e32 v33, 6, v28
	v_mul_lo_u32 v24, v3, s15
	v_and_b32_e32 v10, 1, v3
	v_lshlrev_b32_e32 v31, 30, v3
	v_lshlrev_b32_e32 v35, 29, v3
	v_lshl_add_u32 v27, v33, 2, v24
	v_lshl_add_u64 v[24:25], v[10:11], 0, -1
	v_cmp_ne_u32_e32 vcc, 0, v10
	v_not_b32_e32 v10, v31
	v_cmp_gt_i64_e64 s[0:1], 0, v[30:31]
	v_not_b32_e32 v28, v35
	v_xor_b32_e32 v25, vcc_hi, v25
	v_ashrrev_i32_e32 v10, 31, v10
	v_lshlrev_b32_e32 v37, 28, v3
	v_cmp_gt_i64_e64 s[2:3], 0, v[34:35]
	v_xor_b32_e32 v24, vcc_lo, v24
	v_ashrrev_i32_e32 v28, 31, v28
	v_and_b32_e32 v25, exec_hi, v25
	v_xor_b32_e32 v30, s1, v10
	v_lshlrev_b32_e32 v39, 27, v3
	v_not_b32_e32 v29, v37
	v_and_b32_e32 v24, exec_lo, v24
	v_xor_b32_e32 v10, s0, v10
	v_xor_b32_e32 v31, s3, v28
	v_and_b32_e32 v25, v25, v30
	v_cmp_gt_i64_e64 s[6:7], 0, v[36:37]
	v_ashrrev_i32_e32 v29, 31, v29
	v_xor_b32_e32 v28, s2, v28
	v_and_b32_e32 v10, v24, v10
	v_and_b32_e32 v24, v25, v31
	v_not_b32_e32 v25, v39
	v_cmp_gt_i64_e64 s[8:9], 0, v[38:39]
	v_xor_b32_e32 v32, s7, v29
	v_xor_b32_e32 v29, s6, v29
	v_and_b32_e32 v10, v10, v28
	v_ashrrev_i32_e32 v25, 31, v25
	v_and_b32_e32 v24, v24, v32
	v_and_b32_e32 v10, v10, v29
	v_xor_b32_e32 v28, s9, v25
	v_xor_b32_e32 v25, s8, v25
	v_and_b32_e32 v28, v24, v28
	v_and_b32_e32 v10, v10, v25
	v_lshlrev_b32_e32 v25, 26, v3
	v_mov_b32_e32 v24, v11
	v_cmp_gt_i64_e32 vcc, 0, v[24:25]
	v_not_b32_e32 v24, v25
	v_ashrrev_i32_e32 v24, 31, v24
	v_xor_b32_e32 v25, vcc_hi, v24
	v_xor_b32_e32 v24, vcc_lo, v24
	v_and_b32_e32 v28, v28, v25
	v_and_b32_e32 v10, v10, v24
	v_lshlrev_b32_e32 v25, 25, v3
	v_mov_b32_e32 v24, v11
	v_cmp_gt_i64_e32 vcc, 0, v[24:25]
	v_not_b32_e32 v24, v25
	v_ashrrev_i32_e32 v24, 31, v24
	v_xor_b32_e32 v25, vcc_hi, v24
	v_xor_b32_e32 v24, vcc_lo, v24
	v_and_b32_e32 v28, v28, v25
	v_lshlrev_b32_e32 v25, 24, v3
	v_and_b32_e32 v10, v10, v24
	v_mov_b32_e32 v24, v11
	v_not_b32_e32 v3, v25
	v_cmp_gt_i64_e32 vcc, 0, v[24:25]
	v_ashrrev_i32_e32 v3, 31, v3
	s_nop 0
	v_xor_b32_e32 v24, vcc_hi, v3
	v_xor_b32_e32 v3, vcc_lo, v3
	v_and_b32_e32 v25, v28, v24
	v_and_b32_e32 v24, v10, v3
	v_mbcnt_lo_u32_b32 v3, v24, 0
	v_mbcnt_hi_u32_b32 v3, v25, v3
	v_cmp_eq_u32_e32 vcc, 0, v3
	v_cmp_ne_u64_e64 s[0:1], 0, v[24:25]
	s_and_b64 s[2:3], s[0:1], vcc
	s_and_saveexec_b64 s[0:1], s[2:3]
; %bb.118:
	v_bcnt_u32_b32 v10, v24, 0
	v_bcnt_u32_b32 v10, v25, v10
	ds_write_b32 v27, v10 offset:64
; %bb.119:
	s_or_b64 exec, exec, s[0:1]
	s_waitcnt vmcnt(6)
	v_cmp_lt_i64_e32 vcc, -1, v[8:9]
	v_ashrrev_i32_e32 v24, 31, v9
	v_xor_b32_e32 v8, v24, v8
	v_cndmask_b32_e32 v10, -1, v5, vcc
	v_xor_b32_e32 v9, v10, v9
	v_cmp_ne_u64_e32 vcc, s[12:13], v[8:9]
	; wave barrier
	s_nop 1
	v_cndmask_b32_e32 v25, v5, v9, vcc
	v_cndmask_b32_e32 v24, 0, v8, vcc
	v_lshrrev_b64 v[24:25], s48, v[24:25]
	v_and_b32_e32 v28, s14, v24
	v_and_b32_e32 v10, 1, v28
	v_lshl_add_u64 v[24:25], v[10:11], 0, -1
	v_cmp_ne_u32_e32 vcc, 0, v10
	v_mul_lo_u32 v5, v28, s15
	v_lshl_add_u32 v30, v33, 2, v5
	v_xor_b32_e32 v24, vcc_lo, v24
	v_xor_b32_e32 v10, vcc_hi, v25
	v_and_b32_e32 v29, exec_lo, v24
	v_lshlrev_b32_e32 v25, 30, v28
	v_mov_b32_e32 v24, v11
	v_cmp_gt_i64_e32 vcc, 0, v[24:25]
	v_not_b32_e32 v24, v25
	v_ashrrev_i32_e32 v24, 31, v24
	v_and_b32_e32 v10, exec_hi, v10
	v_xor_b32_e32 v25, vcc_hi, v24
	v_xor_b32_e32 v24, vcc_lo, v24
	v_and_b32_e32 v10, v10, v25
	v_and_b32_e32 v29, v29, v24
	v_lshlrev_b32_e32 v25, 29, v28
	v_mov_b32_e32 v24, v11
	v_cmp_gt_i64_e32 vcc, 0, v[24:25]
	v_not_b32_e32 v24, v25
	v_ashrrev_i32_e32 v24, 31, v24
	v_xor_b32_e32 v25, vcc_hi, v24
	v_xor_b32_e32 v24, vcc_lo, v24
	v_and_b32_e32 v10, v10, v25
	v_and_b32_e32 v29, v29, v24
	v_lshlrev_b32_e32 v25, 28, v28
	v_mov_b32_e32 v24, v11
	v_cmp_gt_i64_e32 vcc, 0, v[24:25]
	v_not_b32_e32 v24, v25
	v_ashrrev_i32_e32 v24, 31, v24
	;; [unrolled: 9-line block ×5, first 2 shown]
	v_xor_b32_e32 v25, vcc_hi, v24
	v_xor_b32_e32 v24, vcc_lo, v24
	v_and_b32_e32 v10, v10, v25
	v_lshlrev_b32_e32 v25, 24, v28
	v_and_b32_e32 v29, v29, v24
	v_mov_b32_e32 v24, v11
	v_not_b32_e32 v11, v25
	v_cmp_gt_i64_e32 vcc, 0, v[24:25]
	v_ashrrev_i32_e32 v11, 31, v11
	ds_read_b32 v5, v30 offset:64
	v_xor_b32_e32 v24, vcc_hi, v11
	v_xor_b32_e32 v25, vcc_lo, v11
	v_and_b32_e32 v11, v10, v24
	v_and_b32_e32 v10, v29, v25
	v_mbcnt_lo_u32_b32 v24, v10, 0
	v_mbcnt_hi_u32_b32 v28, v11, v24
	v_cmp_eq_u32_e32 vcc, 0, v28
	v_cmp_ne_u64_e64 s[0:1], 0, v[10:11]
	s_and_b64 s[2:3], s[0:1], vcc
	; wave barrier
	s_and_saveexec_b64 s[0:1], s[2:3]
	s_cbranch_execz .LBB146_121
; %bb.120:
	v_bcnt_u32_b32 v10, v10, 0
	v_bcnt_u32_b32 v10, v11, v10
	s_waitcnt lgkmcnt(0)
	v_add_u32_e32 v10, v5, v10
	ds_write_b32 v30, v10 offset:64
.LBB146_121:
	s_or_b64 exec, exec, s[0:1]
	v_bfrev_b32_e32 v32, 1
	s_waitcnt vmcnt(5)
	v_cmp_lt_i64_e32 vcc, -1, v[22:23]
	s_mov_b32 s2, -1
	v_ashrrev_i32_e32 v24, 31, v23
	v_cndmask_b32_e32 v10, -1, v32, vcc
	s_brev_b32 s3, -2
	v_xor_b32_e32 v11, v10, v23
	v_xor_b32_e32 v10, v24, v22
	v_cmp_ne_u64_e32 vcc, s[2:3], v[10:11]
	s_movk_i32 s6, 0x44
	s_nop 0
	v_cndmask_b32_e32 v23, v32, v11, vcc
	v_cndmask_b32_e32 v22, 0, v10, vcc
	v_lshrrev_b64 v[22:23], s48, v[22:23]
	v_and_b32_e32 v31, s14, v22
	v_mul_lo_u32 v22, v31, s6
	v_lshl_add_u32 v34, v33, 2, v22
	v_and_b32_e32 v22, 1, v31
	v_mov_b32_e32 v23, 0
	v_lshl_add_u64 v[24:25], v[22:23], 0, -1
	v_cmp_ne_u32_e32 vcc, 0, v22
	; wave barrier
	ds_read_b32 v29, v34 offset:64
	s_nop 0
	v_xor_b32_e32 v24, vcc_lo, v24
	v_xor_b32_e32 v22, vcc_hi, v25
	v_and_b32_e32 v35, exec_lo, v24
	v_lshlrev_b32_e32 v25, 30, v31
	v_mov_b32_e32 v24, v23
	v_cmp_gt_i64_e32 vcc, 0, v[24:25]
	v_not_b32_e32 v24, v25
	v_ashrrev_i32_e32 v24, 31, v24
	v_and_b32_e32 v22, exec_hi, v22
	v_xor_b32_e32 v25, vcc_hi, v24
	v_xor_b32_e32 v24, vcc_lo, v24
	v_and_b32_e32 v22, v22, v25
	v_and_b32_e32 v35, v35, v24
	v_lshlrev_b32_e32 v25, 29, v31
	v_mov_b32_e32 v24, v23
	v_cmp_gt_i64_e32 vcc, 0, v[24:25]
	v_not_b32_e32 v24, v25
	v_ashrrev_i32_e32 v24, 31, v24
	v_xor_b32_e32 v25, vcc_hi, v24
	v_xor_b32_e32 v24, vcc_lo, v24
	v_and_b32_e32 v22, v22, v25
	v_and_b32_e32 v35, v35, v24
	v_lshlrev_b32_e32 v25, 28, v31
	v_mov_b32_e32 v24, v23
	v_cmp_gt_i64_e32 vcc, 0, v[24:25]
	v_not_b32_e32 v24, v25
	v_ashrrev_i32_e32 v24, 31, v24
	;; [unrolled: 9-line block ×6, first 2 shown]
	v_xor_b32_e32 v25, vcc_hi, v24
	v_xor_b32_e32 v24, vcc_lo, v24
	v_and_b32_e32 v24, v35, v24
	v_and_b32_e32 v25, v22, v25
	v_mbcnt_lo_u32_b32 v22, v24, 0
	v_mbcnt_hi_u32_b32 v31, v25, v22
	v_cmp_eq_u32_e32 vcc, 0, v31
	v_cmp_ne_u64_e64 s[0:1], 0, v[24:25]
	s_and_b64 s[8:9], s[0:1], vcc
	; wave barrier
	s_and_saveexec_b64 s[0:1], s[8:9]
	s_cbranch_execz .LBB146_123
; %bb.122:
	v_bcnt_u32_b32 v22, v24, 0
	v_bcnt_u32_b32 v22, v25, v22
	s_waitcnt lgkmcnt(0)
	v_add_u32_e32 v22, v29, v22
	ds_write_b32 v34, v22 offset:64
.LBB146_123:
	s_or_b64 exec, exec, s[0:1]
	s_waitcnt vmcnt(4)
	v_cmp_lt_i64_e32 vcc, -1, v[12:13]
	v_ashrrev_i32_e32 v24, 31, v13
	v_xor_b32_e32 v12, v24, v12
	v_cndmask_b32_e32 v22, -1, v32, vcc
	v_xor_b32_e32 v13, v22, v13
	v_cmp_ne_u64_e32 vcc, s[2:3], v[12:13]
	; wave barrier
	s_nop 1
	v_cndmask_b32_e32 v25, v32, v13, vcc
	v_cndmask_b32_e32 v24, 0, v12, vcc
	v_lshrrev_b64 v[24:25], s48, v[24:25]
	v_and_b32_e32 v35, s14, v24
	v_mul_lo_u32 v22, v35, s6
	v_lshl_add_u32 v37, v33, 2, v22
	v_and_b32_e32 v22, 1, v35
	v_lshl_add_u64 v[24:25], v[22:23], 0, -1
	v_cmp_ne_u32_e32 vcc, 0, v22
	ds_read_b32 v32, v37 offset:64
	s_nop 0
	v_xor_b32_e32 v24, vcc_lo, v24
	v_xor_b32_e32 v22, vcc_hi, v25
	v_and_b32_e32 v36, exec_lo, v24
	v_lshlrev_b32_e32 v25, 30, v35
	v_mov_b32_e32 v24, v23
	v_cmp_gt_i64_e32 vcc, 0, v[24:25]
	v_not_b32_e32 v24, v25
	v_ashrrev_i32_e32 v24, 31, v24
	v_and_b32_e32 v22, exec_hi, v22
	v_xor_b32_e32 v25, vcc_hi, v24
	v_xor_b32_e32 v24, vcc_lo, v24
	v_and_b32_e32 v22, v22, v25
	v_and_b32_e32 v36, v36, v24
	v_lshlrev_b32_e32 v25, 29, v35
	v_mov_b32_e32 v24, v23
	v_cmp_gt_i64_e32 vcc, 0, v[24:25]
	v_not_b32_e32 v24, v25
	v_ashrrev_i32_e32 v24, 31, v24
	v_xor_b32_e32 v25, vcc_hi, v24
	v_xor_b32_e32 v24, vcc_lo, v24
	v_and_b32_e32 v22, v22, v25
	v_and_b32_e32 v36, v36, v24
	v_lshlrev_b32_e32 v25, 28, v35
	v_mov_b32_e32 v24, v23
	v_cmp_gt_i64_e32 vcc, 0, v[24:25]
	v_not_b32_e32 v24, v25
	v_ashrrev_i32_e32 v24, 31, v24
	v_xor_b32_e32 v25, vcc_hi, v24
	v_xor_b32_e32 v24, vcc_lo, v24
	v_and_b32_e32 v22, v22, v25
	v_and_b32_e32 v36, v36, v24
	v_lshlrev_b32_e32 v25, 27, v35
	v_mov_b32_e32 v24, v23
	v_cmp_gt_i64_e32 vcc, 0, v[24:25]
	v_not_b32_e32 v24, v25
	v_ashrrev_i32_e32 v24, 31, v24
	v_xor_b32_e32 v25, vcc_hi, v24
	v_xor_b32_e32 v24, vcc_lo, v24
	v_and_b32_e32 v22, v22, v25
	v_and_b32_e32 v36, v36, v24
	v_lshlrev_b32_e32 v25, 26, v35
	v_mov_b32_e32 v24, v23
	v_cmp_gt_i64_e32 vcc, 0, v[24:25]
	v_not_b32_e32 v24, v25
	v_ashrrev_i32_e32 v24, 31, v24
	v_xor_b32_e32 v25, vcc_hi, v24
	v_xor_b32_e32 v24, vcc_lo, v24
	v_and_b32_e32 v22, v22, v25
	v_and_b32_e32 v36, v36, v24
	v_lshlrev_b32_e32 v25, 25, v35
	v_mov_b32_e32 v24, v23
	v_cmp_gt_i64_e32 vcc, 0, v[24:25]
	v_not_b32_e32 v24, v25
	v_ashrrev_i32_e32 v24, 31, v24
	v_xor_b32_e32 v25, vcc_hi, v24
	v_xor_b32_e32 v24, vcc_lo, v24
	v_and_b32_e32 v22, v22, v25
	v_lshlrev_b32_e32 v25, 24, v35
	v_and_b32_e32 v36, v36, v24
	v_mov_b32_e32 v24, v23
	v_not_b32_e32 v23, v25
	v_cmp_gt_i64_e32 vcc, 0, v[24:25]
	v_ashrrev_i32_e32 v23, 31, v23
	; wave barrier
	s_nop 0
	v_xor_b32_e32 v24, vcc_hi, v23
	v_xor_b32_e32 v25, vcc_lo, v23
	v_and_b32_e32 v23, v22, v24
	v_and_b32_e32 v22, v36, v25
	v_mbcnt_lo_u32_b32 v24, v22, 0
	v_mbcnt_hi_u32_b32 v35, v23, v24
	v_cmp_eq_u32_e32 vcc, 0, v35
	v_cmp_ne_u64_e64 s[0:1], 0, v[22:23]
	s_and_b64 s[2:3], s[0:1], vcc
	s_and_saveexec_b64 s[0:1], s[2:3]
	s_cbranch_execz .LBB146_125
; %bb.124:
	v_bcnt_u32_b32 v22, v22, 0
	v_bcnt_u32_b32 v22, v23, v22
	s_waitcnt lgkmcnt(0)
	v_add_u32_e32 v22, v32, v22
	ds_write_b32 v37, v22 offset:64
.LBB146_125:
	s_or_b64 exec, exec, s[0:1]
	v_bfrev_b32_e32 v39, 1
	s_waitcnt vmcnt(3)
	v_cmp_lt_i64_e32 vcc, -1, v[14:15]
	s_mov_b32 s2, -1
	v_ashrrev_i32_e32 v23, 31, v15
	v_cndmask_b32_e32 v22, -1, v39, vcc
	s_brev_b32 s3, -2
	v_xor_b32_e32 v15, v22, v15
	v_xor_b32_e32 v14, v23, v14
	v_cmp_ne_u64_e32 vcc, s[2:3], v[14:15]
	; wave barrier
	s_nop 1
	v_cndmask_b32_e32 v23, v39, v15, vcc
	v_cndmask_b32_e32 v22, 0, v14, vcc
	v_lshrrev_b64 v[22:23], s48, v[22:23]
	v_and_b32_e32 v38, s14, v22
	v_mul_lo_u32 v22, v38, s6
	v_lshl_add_u32 v40, v33, 2, v22
	v_and_b32_e32 v22, 1, v38
	v_mov_b32_e32 v23, 0
	v_lshl_add_u64 v[24:25], v[22:23], 0, -1
	v_cmp_ne_u32_e32 vcc, 0, v22
	ds_read_b32 v36, v40 offset:64
	s_nop 0
	v_xor_b32_e32 v24, vcc_lo, v24
	v_xor_b32_e32 v22, vcc_hi, v25
	v_and_b32_e32 v41, exec_lo, v24
	v_lshlrev_b32_e32 v25, 30, v38
	v_mov_b32_e32 v24, v23
	v_cmp_gt_i64_e32 vcc, 0, v[24:25]
	v_not_b32_e32 v24, v25
	v_ashrrev_i32_e32 v24, 31, v24
	v_and_b32_e32 v22, exec_hi, v22
	v_xor_b32_e32 v25, vcc_hi, v24
	v_xor_b32_e32 v24, vcc_lo, v24
	v_and_b32_e32 v22, v22, v25
	v_and_b32_e32 v41, v41, v24
	v_lshlrev_b32_e32 v25, 29, v38
	v_mov_b32_e32 v24, v23
	v_cmp_gt_i64_e32 vcc, 0, v[24:25]
	v_not_b32_e32 v24, v25
	v_ashrrev_i32_e32 v24, 31, v24
	v_xor_b32_e32 v25, vcc_hi, v24
	v_xor_b32_e32 v24, vcc_lo, v24
	v_and_b32_e32 v22, v22, v25
	v_and_b32_e32 v41, v41, v24
	v_lshlrev_b32_e32 v25, 28, v38
	v_mov_b32_e32 v24, v23
	v_cmp_gt_i64_e32 vcc, 0, v[24:25]
	v_not_b32_e32 v24, v25
	v_ashrrev_i32_e32 v24, 31, v24
	;; [unrolled: 9-line block ×6, first 2 shown]
	v_xor_b32_e32 v25, vcc_hi, v24
	v_xor_b32_e32 v24, vcc_lo, v24
	v_and_b32_e32 v24, v41, v24
	v_and_b32_e32 v25, v22, v25
	v_mbcnt_lo_u32_b32 v22, v24, 0
	v_mbcnt_hi_u32_b32 v38, v25, v22
	v_cmp_eq_u32_e32 vcc, 0, v38
	v_cmp_ne_u64_e64 s[0:1], 0, v[24:25]
	s_and_b64 s[8:9], s[0:1], vcc
	; wave barrier
	s_and_saveexec_b64 s[0:1], s[8:9]
	s_cbranch_execz .LBB146_127
; %bb.126:
	v_bcnt_u32_b32 v22, v24, 0
	v_bcnt_u32_b32 v22, v25, v22
	s_waitcnt lgkmcnt(0)
	v_add_u32_e32 v22, v36, v22
	ds_write_b32 v40, v22 offset:64
.LBB146_127:
	s_or_b64 exec, exec, s[0:1]
	s_waitcnt vmcnt(2)
	v_cmp_lt_i64_e32 vcc, -1, v[18:19]
	v_ashrrev_i32_e32 v24, 31, v19
	v_xor_b32_e32 v18, v24, v18
	v_cndmask_b32_e32 v22, -1, v39, vcc
	v_xor_b32_e32 v19, v22, v19
	v_cmp_ne_u64_e32 vcc, s[2:3], v[18:19]
	; wave barrier
	s_nop 1
	v_cndmask_b32_e32 v25, v39, v19, vcc
	v_cndmask_b32_e32 v24, 0, v18, vcc
	v_lshrrev_b64 v[24:25], s48, v[24:25]
	v_and_b32_e32 v41, s14, v24
	v_mul_lo_u32 v22, v41, s6
	v_lshl_add_u32 v43, v33, 2, v22
	v_and_b32_e32 v22, 1, v41
	v_lshl_add_u64 v[24:25], v[22:23], 0, -1
	v_cmp_ne_u32_e32 vcc, 0, v22
	ds_read_b32 v39, v43 offset:64
	s_nop 0
	v_xor_b32_e32 v24, vcc_lo, v24
	v_xor_b32_e32 v22, vcc_hi, v25
	v_and_b32_e32 v42, exec_lo, v24
	v_lshlrev_b32_e32 v25, 30, v41
	v_mov_b32_e32 v24, v23
	v_cmp_gt_i64_e32 vcc, 0, v[24:25]
	v_not_b32_e32 v24, v25
	v_ashrrev_i32_e32 v24, 31, v24
	v_and_b32_e32 v22, exec_hi, v22
	v_xor_b32_e32 v25, vcc_hi, v24
	v_xor_b32_e32 v24, vcc_lo, v24
	v_and_b32_e32 v22, v22, v25
	v_and_b32_e32 v42, v42, v24
	v_lshlrev_b32_e32 v25, 29, v41
	v_mov_b32_e32 v24, v23
	v_cmp_gt_i64_e32 vcc, 0, v[24:25]
	v_not_b32_e32 v24, v25
	v_ashrrev_i32_e32 v24, 31, v24
	v_xor_b32_e32 v25, vcc_hi, v24
	v_xor_b32_e32 v24, vcc_lo, v24
	v_and_b32_e32 v22, v22, v25
	v_and_b32_e32 v42, v42, v24
	v_lshlrev_b32_e32 v25, 28, v41
	v_mov_b32_e32 v24, v23
	v_cmp_gt_i64_e32 vcc, 0, v[24:25]
	v_not_b32_e32 v24, v25
	v_ashrrev_i32_e32 v24, 31, v24
	;; [unrolled: 9-line block ×5, first 2 shown]
	v_xor_b32_e32 v25, vcc_hi, v24
	v_xor_b32_e32 v24, vcc_lo, v24
	v_and_b32_e32 v22, v22, v25
	v_lshlrev_b32_e32 v25, 24, v41
	v_and_b32_e32 v42, v42, v24
	v_mov_b32_e32 v24, v23
	v_not_b32_e32 v23, v25
	v_cmp_gt_i64_e32 vcc, 0, v[24:25]
	v_ashrrev_i32_e32 v23, 31, v23
	; wave barrier
	s_nop 0
	v_xor_b32_e32 v24, vcc_hi, v23
	v_xor_b32_e32 v25, vcc_lo, v23
	v_and_b32_e32 v23, v22, v24
	v_and_b32_e32 v22, v42, v25
	v_mbcnt_lo_u32_b32 v24, v22, 0
	v_mbcnt_hi_u32_b32 v41, v23, v24
	v_cmp_eq_u32_e32 vcc, 0, v41
	v_cmp_ne_u64_e64 s[0:1], 0, v[22:23]
	s_and_b64 s[2:3], s[0:1], vcc
	s_and_saveexec_b64 s[0:1], s[2:3]
	s_cbranch_execz .LBB146_129
; %bb.128:
	v_bcnt_u32_b32 v22, v22, 0
	v_bcnt_u32_b32 v22, v23, v22
	s_waitcnt lgkmcnt(0)
	v_add_u32_e32 v22, v39, v22
	ds_write_b32 v43, v22 offset:64
.LBB146_129:
	s_or_b64 exec, exec, s[0:1]
	v_bfrev_b32_e32 v45, 1
	s_waitcnt vmcnt(1)
	v_cmp_lt_i64_e32 vcc, -1, v[20:21]
	s_mov_b32 s2, -1
	v_ashrrev_i32_e32 v23, 31, v21
	v_cndmask_b32_e32 v22, -1, v45, vcc
	s_brev_b32 s3, -2
	v_xor_b32_e32 v21, v22, v21
	v_xor_b32_e32 v20, v23, v20
	v_cmp_ne_u64_e32 vcc, s[2:3], v[20:21]
	; wave barrier
	s_nop 1
	v_cndmask_b32_e32 v23, v45, v21, vcc
	v_cndmask_b32_e32 v22, 0, v20, vcc
	v_lshrrev_b64 v[22:23], s48, v[22:23]
	v_and_b32_e32 v44, s14, v22
	v_mul_lo_u32 v22, v44, s6
	v_lshl_add_u32 v46, v33, 2, v22
	v_and_b32_e32 v22, 1, v44
	v_mov_b32_e32 v23, 0
	v_lshl_add_u64 v[24:25], v[22:23], 0, -1
	v_cmp_ne_u32_e32 vcc, 0, v22
	ds_read_b32 v42, v46 offset:64
	s_nop 0
	v_xor_b32_e32 v24, vcc_lo, v24
	v_xor_b32_e32 v22, vcc_hi, v25
	v_and_b32_e32 v47, exec_lo, v24
	v_lshlrev_b32_e32 v25, 30, v44
	v_mov_b32_e32 v24, v23
	v_cmp_gt_i64_e32 vcc, 0, v[24:25]
	v_not_b32_e32 v24, v25
	v_ashrrev_i32_e32 v24, 31, v24
	v_and_b32_e32 v22, exec_hi, v22
	v_xor_b32_e32 v25, vcc_hi, v24
	v_xor_b32_e32 v24, vcc_lo, v24
	v_and_b32_e32 v22, v22, v25
	v_and_b32_e32 v47, v47, v24
	v_lshlrev_b32_e32 v25, 29, v44
	v_mov_b32_e32 v24, v23
	v_cmp_gt_i64_e32 vcc, 0, v[24:25]
	v_not_b32_e32 v24, v25
	v_ashrrev_i32_e32 v24, 31, v24
	v_xor_b32_e32 v25, vcc_hi, v24
	v_xor_b32_e32 v24, vcc_lo, v24
	v_and_b32_e32 v22, v22, v25
	v_and_b32_e32 v47, v47, v24
	v_lshlrev_b32_e32 v25, 28, v44
	v_mov_b32_e32 v24, v23
	v_cmp_gt_i64_e32 vcc, 0, v[24:25]
	v_not_b32_e32 v24, v25
	v_ashrrev_i32_e32 v24, 31, v24
	;; [unrolled: 9-line block ×6, first 2 shown]
	v_xor_b32_e32 v25, vcc_hi, v24
	v_xor_b32_e32 v24, vcc_lo, v24
	v_and_b32_e32 v24, v47, v24
	v_and_b32_e32 v25, v22, v25
	v_mbcnt_lo_u32_b32 v22, v24, 0
	v_mbcnt_hi_u32_b32 v44, v25, v22
	v_cmp_eq_u32_e32 vcc, 0, v44
	v_cmp_ne_u64_e64 s[0:1], 0, v[24:25]
	s_and_b64 s[8:9], s[0:1], vcc
	; wave barrier
	s_and_saveexec_b64 s[0:1], s[8:9]
	s_cbranch_execz .LBB146_131
; %bb.130:
	v_bcnt_u32_b32 v22, v24, 0
	v_bcnt_u32_b32 v22, v25, v22
	s_waitcnt lgkmcnt(0)
	v_add_u32_e32 v22, v42, v22
	ds_write_b32 v46, v22 offset:64
.LBB146_131:
	s_or_b64 exec, exec, s[0:1]
	s_waitcnt vmcnt(0)
	v_cmp_lt_i64_e32 vcc, -1, v[16:17]
	v_ashrrev_i32_e32 v24, 31, v17
	v_xor_b32_e32 v16, v24, v16
	v_cndmask_b32_e32 v22, -1, v45, vcc
	v_xor_b32_e32 v17, v22, v17
	v_cmp_ne_u64_e32 vcc, s[2:3], v[16:17]
	; wave barrier
	s_nop 1
	v_cndmask_b32_e32 v25, v45, v17, vcc
	v_cndmask_b32_e32 v24, 0, v16, vcc
	v_lshrrev_b64 v[24:25], s48, v[24:25]
	v_and_b32_e32 v47, s14, v24
	v_mul_lo_u32 v22, v47, s6
	v_lshl_add_u32 v48, v33, 2, v22
	v_and_b32_e32 v22, 1, v47
	v_lshl_add_u64 v[24:25], v[22:23], 0, -1
	v_cmp_ne_u32_e32 vcc, 0, v22
	ds_read_b32 v45, v48 offset:64
	s_nop 0
	v_xor_b32_e32 v24, vcc_lo, v24
	v_xor_b32_e32 v22, vcc_hi, v25
	v_and_b32_e32 v33, exec_lo, v24
	v_lshlrev_b32_e32 v25, 30, v47
	v_mov_b32_e32 v24, v23
	v_cmp_gt_i64_e32 vcc, 0, v[24:25]
	v_not_b32_e32 v24, v25
	v_ashrrev_i32_e32 v24, 31, v24
	v_and_b32_e32 v22, exec_hi, v22
	v_xor_b32_e32 v25, vcc_hi, v24
	v_xor_b32_e32 v24, vcc_lo, v24
	v_and_b32_e32 v22, v22, v25
	v_and_b32_e32 v33, v33, v24
	v_lshlrev_b32_e32 v25, 29, v47
	v_mov_b32_e32 v24, v23
	v_cmp_gt_i64_e32 vcc, 0, v[24:25]
	v_not_b32_e32 v24, v25
	v_ashrrev_i32_e32 v24, 31, v24
	v_xor_b32_e32 v25, vcc_hi, v24
	v_xor_b32_e32 v24, vcc_lo, v24
	v_and_b32_e32 v22, v22, v25
	v_and_b32_e32 v33, v33, v24
	v_lshlrev_b32_e32 v25, 28, v47
	v_mov_b32_e32 v24, v23
	v_cmp_gt_i64_e32 vcc, 0, v[24:25]
	v_not_b32_e32 v24, v25
	v_ashrrev_i32_e32 v24, 31, v24
	;; [unrolled: 9-line block ×5, first 2 shown]
	v_xor_b32_e32 v25, vcc_hi, v24
	v_xor_b32_e32 v24, vcc_lo, v24
	v_and_b32_e32 v22, v22, v25
	v_lshlrev_b32_e32 v25, 24, v47
	v_and_b32_e32 v33, v33, v24
	v_mov_b32_e32 v24, v23
	v_not_b32_e32 v23, v25
	v_cmp_gt_i64_e32 vcc, 0, v[24:25]
	v_ashrrev_i32_e32 v23, 31, v23
	; wave barrier
	s_nop 0
	v_xor_b32_e32 v24, vcc_hi, v23
	v_xor_b32_e32 v25, vcc_lo, v23
	v_and_b32_e32 v23, v22, v24
	v_and_b32_e32 v22, v33, v25
	v_mbcnt_lo_u32_b32 v24, v22, 0
	v_mbcnt_hi_u32_b32 v47, v23, v24
	v_cmp_eq_u32_e32 vcc, 0, v47
	v_cmp_ne_u64_e64 s[0:1], 0, v[22:23]
	s_and_b64 s[2:3], s[0:1], vcc
	s_and_saveexec_b64 s[0:1], s[2:3]
	s_cbranch_execz .LBB146_133
; %bb.132:
	v_bcnt_u32_b32 v22, v22, 0
	v_bcnt_u32_b32 v22, v23, v22
	s_waitcnt lgkmcnt(0)
	v_add_u32_e32 v22, v45, v22
	ds_write_b32 v48, v22 offset:64
.LBB146_133:
	s_or_b64 exec, exec, s[0:1]
	; wave barrier
	s_waitcnt lgkmcnt(0)
	s_barrier
	ds_read2_b32 v[24:25], v1 offset0:16 offset1:17
	ds_read2_b32 v[22:23], v1 offset0:18 offset1:19
	ds_read_b32 v33, v1 offset:80
	v_cmp_lt_u32_e64 s[8:9], 31, v26
	s_waitcnt lgkmcnt(1)
	v_add3_u32 v49, v25, v24, v22
	s_waitcnt lgkmcnt(0)
	v_add3_u32 v33, v49, v23, v33
	v_and_b32_e32 v49, 15, v26
	v_cmp_eq_u32_e32 vcc, 0, v49
	v_mov_b32_dpp v50, v33 row_shr:1 row_mask:0xf bank_mask:0xf
	v_cmp_lt_u32_e64 s[0:1], 1, v49
	v_cndmask_b32_e64 v50, v50, 0, vcc
	v_add_u32_e32 v33, v50, v33
	v_cmp_lt_u32_e64 s[2:3], 3, v49
	v_cmp_lt_u32_e64 s[6:7], 7, v49
	v_mov_b32_dpp v50, v33 row_shr:2 row_mask:0xf bank_mask:0xf
	v_cndmask_b32_e64 v50, 0, v50, s[0:1]
	v_add_u32_e32 v33, v33, v50
	s_nop 1
	v_mov_b32_dpp v50, v33 row_shr:4 row_mask:0xf bank_mask:0xf
	v_cndmask_b32_e64 v50, 0, v50, s[2:3]
	v_add_u32_e32 v33, v33, v50
	s_nop 1
	v_mov_b32_dpp v50, v33 row_shr:8 row_mask:0xf bank_mask:0xf
	v_cndmask_b32_e64 v49, 0, v50, s[6:7]
	v_add_u32_e32 v33, v33, v49
	v_bfe_i32 v50, v26, 4, 1
	s_nop 0
	v_mov_b32_dpp v49, v33 row_bcast:15 row_mask:0xf bank_mask:0xf
	v_and_b32_e32 v49, v50, v49
	v_add_u32_e32 v33, v33, v49
	v_lshrrev_b32_e32 v50, 6, v2
	s_nop 0
	v_mov_b32_dpp v49, v33 row_bcast:31 row_mask:0xf bank_mask:0xf
	v_cndmask_b32_e64 v49, 0, v49, s[8:9]
	v_add_u32_e32 v49, v33, v49
	v_and_b32_e32 v33, 63, v2
	v_cmp_eq_u32_e64 s[8:9], 63, v33
	s_and_saveexec_b64 s[12:13], s[8:9]
; %bb.134:
	v_lshlrev_b32_e32 v33, 2, v50
	ds_write_b32 v33, v49
; %bb.135:
	s_or_b64 exec, exec, s[12:13]
	v_cmp_gt_u32_e64 s[8:9], 16, v2
	v_lshlrev_b32_e32 v33, 2, v2
	s_waitcnt lgkmcnt(0)
	s_barrier
	s_and_saveexec_b64 s[12:13], s[8:9]
	s_cbranch_execz .LBB146_137
; %bb.136:
	ds_read_b32 v51, v33
	s_waitcnt lgkmcnt(0)
	s_nop 0
	v_mov_b32_dpp v52, v51 row_shr:1 row_mask:0xf bank_mask:0xf
	v_cndmask_b32_e64 v52, v52, 0, vcc
	v_add_u32_e32 v51, v52, v51
	s_nop 1
	v_mov_b32_dpp v52, v51 row_shr:2 row_mask:0xf bank_mask:0xf
	v_cndmask_b32_e64 v52, 0, v52, s[0:1]
	v_add_u32_e32 v51, v51, v52
	s_nop 1
	v_mov_b32_dpp v52, v51 row_shr:4 row_mask:0xf bank_mask:0xf
	v_cndmask_b32_e64 v52, 0, v52, s[2:3]
	;; [unrolled: 4-line block ×3, first 2 shown]
	v_add_u32_e32 v51, v51, v52
	ds_write_b32 v33, v51
.LBB146_137:
	s_or_b64 exec, exec, s[12:13]
	v_cmp_lt_u32_e32 vcc, 63, v2
	v_mov_b32_e32 v51, 0
	s_waitcnt lgkmcnt(0)
	s_barrier
	s_and_saveexec_b64 s[0:1], vcc
; %bb.138:
	v_lshl_add_u32 v50, v50, 2, -4
	ds_read_b32 v51, v50
; %bb.139:
	s_or_b64 exec, exec, s[0:1]
	v_subrev_co_u32_e32 v50, vcc, 1, v26
	v_and_b32_e32 v52, 64, v26
	v_cmp_lt_i32_e64 s[0:1], v50, v52
	s_waitcnt lgkmcnt(0)
	v_add_u32_e32 v49, v51, v49
	s_movk_i32 s2, 0x100
	v_cndmask_b32_e64 v26, v50, v26, s[0:1]
	v_lshlrev_b32_e32 v26, 2, v26
	ds_bpermute_b32 v26, v26, v49
	s_movk_i32 s0, 0xff
	s_waitcnt lgkmcnt(0)
	v_cndmask_b32_e32 v26, v26, v51, vcc
	v_cmp_ne_u32_e32 vcc, 0, v2
	s_nop 1
	v_cndmask_b32_e32 v26, 0, v26, vcc
	v_add_u32_e32 v24, v26, v24
	v_add_u32_e32 v25, v24, v25
	;; [unrolled: 1-line block ×4, first 2 shown]
	ds_write2_b32 v1, v26, v24 offset0:16 offset1:17
	ds_write2_b32 v1, v25, v22 offset0:18 offset1:19
	ds_write_b32 v1, v23 offset:80
	s_waitcnt lgkmcnt(0)
	s_barrier
	ds_read_b32 v52, v27 offset:64
	ds_read_b32 v1, v30 offset:64
	;; [unrolled: 1-line block ×8, first 2 shown]
	v_cmp_lt_u32_e32 vcc, s0, v2
	v_cmp_gt_u32_e64 s[0:1], s2, v2
                                        ; implicit-def: $vgpr30
                                        ; implicit-def: $vgpr34
	s_and_saveexec_b64 s[6:7], s[0:1]
	s_cbranch_execz .LBB146_143
; %bb.140:
	v_mul_u32_u24_e32 v22, 0x44, v2
	ds_read_b32 v30, v22 offset:64
	v_add_u32_e32 v23, 1, v2
	v_cmp_ne_u32_e64 s[2:3], s2, v23
	v_mov_b32_e32 v22, 0x2000
	s_and_saveexec_b64 s[8:9], s[2:3]
; %bb.141:
	v_mul_u32_u24_e32 v22, 0x44, v23
	ds_read_b32 v22, v22 offset:64
; %bb.142:
	s_or_b64 exec, exec, s[8:9]
	s_waitcnt lgkmcnt(0)
	v_sub_u32_e32 v34, v22, v30
.LBB146_143:
	s_or_b64 exec, exec, s[6:7]
	v_mov_b32_e32 v23, 0
	s_waitcnt lgkmcnt(0)
	s_barrier
	s_and_saveexec_b64 s[2:3], s[0:1]
	s_cbranch_execz .LBB146_153
; %bb.144:
	v_lshl_add_u32 v22, s4, 8, v2
	v_lshl_add_u64 v[24:25], v[22:23], 2, s[52:53]
	v_or_b32_e32 v22, 2.0, v34
	s_mov_b64 s[6:7], 0
	s_brev_b32 s15, -4
	s_mov_b32 s16, s4
	v_mov_b32_e32 v46, 0
	global_store_dword v[24:25], v22, off sc1
                                        ; implicit-def: $sgpr0_sgpr1
	s_branch .LBB146_147
.LBB146_145:                            ;   in Loop: Header=BB146_147 Depth=1
	s_or_b64 exec, exec, s[12:13]
.LBB146_146:                            ;   in Loop: Header=BB146_147 Depth=1
	s_or_b64 exec, exec, s[8:9]
	v_and_b32_e32 v26, 0x3fffffff, v22
	v_add_u32_e32 v46, v26, v46
	v_cmp_gt_i32_e64 s[0:1], -2.0, v22
	s_and_b64 s[8:9], exec, s[0:1]
	s_or_b64 s[6:7], s[8:9], s[6:7]
	s_andn2_b64 exec, exec, s[6:7]
	s_cbranch_execz .LBB146_152
.LBB146_147:                            ; =>This Loop Header: Depth=1
                                        ;     Child Loop BB146_150 Depth 2
	s_or_b64 s[0:1], s[0:1], exec
	s_cmp_eq_u32 s16, 0
	s_cbranch_scc1 .LBB146_151
; %bb.148:                              ;   in Loop: Header=BB146_147 Depth=1
	s_add_i32 s16, s16, -1
	v_lshl_or_b32 v22, s16, 8, v2
	v_lshl_add_u64 v[26:27], v[22:23], 2, s[52:53]
	global_load_dword v22, v[26:27], off sc1
	s_waitcnt vmcnt(0)
	v_cmp_gt_u32_e64 s[0:1], 2.0, v22
	s_and_saveexec_b64 s[8:9], s[0:1]
	s_cbranch_execz .LBB146_146
; %bb.149:                              ;   in Loop: Header=BB146_147 Depth=1
	s_mov_b64 s[12:13], 0
.LBB146_150:                            ;   Parent Loop BB146_147 Depth=1
                                        ; =>  This Inner Loop Header: Depth=2
	global_load_dword v22, v[26:27], off sc1
	s_waitcnt vmcnt(0)
	v_cmp_lt_u32_e64 s[0:1], s15, v22
	s_or_b64 s[12:13], s[0:1], s[12:13]
	s_andn2_b64 exec, exec, s[12:13]
	s_cbranch_execnz .LBB146_150
	s_branch .LBB146_145
.LBB146_151:                            ;   in Loop: Header=BB146_147 Depth=1
                                        ; implicit-def: $sgpr16
	s_and_b64 s[8:9], exec, s[0:1]
	s_or_b64 s[6:7], s[8:9], s[6:7]
	s_andn2_b64 exec, exec, s[6:7]
	s_cbranch_execnz .LBB146_147
.LBB146_152:
	s_or_b64 exec, exec, s[6:7]
	v_add_u32_e32 v22, v46, v34
	v_or_b32_e32 v22, 0x80000000, v22
	global_store_dword v[24:25], v22, off sc1
	global_load_dword v22, v33, s[44:45]
	v_sub_u32_e32 v23, v46, v30
	s_waitcnt vmcnt(0)
	v_add_u32_e32 v22, v23, v22
	ds_write_b32 v33, v22
.LBB146_153:
	s_or_b64 exec, exec, s[2:3]
	v_add_u32_e32 v3, v52, v3
	v_add3_u32 v22, v28, v5, v1
	v_add3_u32 v23, v31, v29, v49
	v_add3_u32 v46, v35, v32, v50
	v_add3_u32 v48, v38, v36, v51
	v_add3_u32 v52, v41, v39, v40
	v_add3_u32 v26, v44, v42, v37
	v_add3_u32 v24, v47, v45, v43
	v_mov_b32_e32 v53, 0x400
	s_mov_b32 s2, -1
	s_mov_b32 s8, s48
	s_mov_b32 s9, s14
	s_movk_i32 s12, 0x400
	v_lshl_add_u32 v24, v24, 3, v53
	v_add3_u32 v25, v47, v43, v45
	v_lshl_add_u32 v26, v26, 3, v53
	v_add3_u32 v27, v44, v37, v42
	;; [unrolled: 2-line block ×7, first 2 shown]
	v_lshl_add_u32 v41, v3, 3, v53
	s_mov_b32 s13, 0
	s_mov_b32 s15, 0
	s_movk_i32 s16, 0x800
	v_add_u32_e32 v42, v33, v33
	s_brev_b32 s3, -2
	v_bfrev_b32_e32 v1, 1
	v_mov_b32_e32 v23, 0
	v_mov_b32_e32 v5, v2
	s_mov_b32 s17, 0
	s_branch .LBB146_155
.LBB146_154:                            ;   in Loop: Header=BB146_155 Depth=1
	s_or_b64 exec, exec, s[6:7]
	s_waitcnt lgkmcnt(0)
	s_barrier
	ds_read2st64_b64 v[44:47], v42 offset0:2 offset1:18
	s_addk_i32 s17, 0xc000
	s_addk_i32 s15, 0xf800
	s_waitcnt lgkmcnt(0)
	v_cmp_lt_i64_e64 s[0:1], -1, v[44:45]
	s_nop 1
	v_cndmask_b32_e64 v22, v1, -1, s[0:1]
	v_cmp_lt_i64_e64 s[0:1], -1, v[46:47]
	v_ashrrev_i32_e32 v43, 31, v45
	v_xor_b32_e32 v49, v22, v45
	v_cndmask_b32_e64 v22, v1, -1, s[0:1]
	v_cmp_ne_u64_e64 s[0:1], s[2:3], v[46:47]
	v_not_b32_e32 v43, v43
	v_xor_b32_e32 v48, v43, v44
	v_cndmask_b32_e64 v53, v1, v47, s[0:1]
	v_cndmask_b32_e64 v52, 0, v46, s[0:1]
	v_cmp_ne_u64_e64 s[0:1], s[2:3], v[44:45]
	v_lshrrev_b64 v[52:53], s8, v[52:53]
	v_xor_b32_e32 v51, v22, v47
	v_cndmask_b32_e64 v45, v1, v45, s[0:1]
	v_cndmask_b32_e64 v44, 0, v44, s[0:1]
	v_lshrrev_b64 v[44:45], s48, v[44:45]
	v_and_b32_e32 v44, s14, v44
	v_lshlrev_b32_e32 v22, 2, v44
	v_and_b32_e32 v45, s9, v52
	v_ashrrev_i32_e32 v43, 31, v47
	ds_read_b32 v22, v22
	v_lshlrev_b32_e32 v47, 2, v45
	ds_read_b32 v52, v47
	v_not_b32_e32 v43, v43
	v_xor_b32_e32 v50, v43, v46
	s_waitcnt lgkmcnt(1)
	v_add_u32_e32 v22, v5, v22
	v_lshl_add_u64 v[46:47], v[22:23], 3, s[38:39]
	s_waitcnt lgkmcnt(0)
	v_add3_u32 v22, v5, v52, s12
	global_store_dwordx2 v[46:47], v[48:49], off
	v_lshl_add_u64 v[46:47], v[22:23], 3, s[38:39]
	global_store_dwordx2 v[46:47], v[50:51], off
	scratch_store_dwordx2 off, v[44:45], s13
	s_add_i32 s13, s13, 8
	s_cmp_eq_u32 s17, 0xffff0000
	v_add_u32_e32 v5, 0x800, v5
	s_barrier
	s_cbranch_scc1 .LBB146_171
.LBB146_155:                            ; =>This Inner Loop Header: Depth=1
	v_add_u32_e32 v22, s15, v3
	v_cmp_gt_u32_e64 s[0:1], s16, v22
	s_and_saveexec_b64 s[6:7], s[0:1]
; %bb.156:                              ;   in Loop: Header=BB146_155 Depth=1
	v_add_u32_e32 v22, s17, v41
	ds_write_b64 v22, v[6:7]
; %bb.157:                              ;   in Loop: Header=BB146_155 Depth=1
	s_or_b64 exec, exec, s[6:7]
	v_add_u32_e32 v22, s15, v28
	v_cmp_gt_u32_e64 s[0:1], s16, v22
	s_and_saveexec_b64 s[6:7], s[0:1]
; %bb.158:                              ;   in Loop: Header=BB146_155 Depth=1
	v_add_u32_e32 v22, s17, v31
	ds_write_b64 v22, v[8:9]
; %bb.159:                              ;   in Loop: Header=BB146_155 Depth=1
	s_or_b64 exec, exec, s[6:7]
	;; [unrolled: 8-line block ×7, first 2 shown]
	v_add_u32_e32 v22, s15, v25
	v_cmp_gt_u32_e64 s[0:1], s16, v22
	s_and_saveexec_b64 s[6:7], s[0:1]
	s_cbranch_execz .LBB146_154
; %bb.170:                              ;   in Loop: Header=BB146_155 Depth=1
	v_add_u32_e32 v22, s17, v24
	ds_write_b64 v22, v[16:17]
	s_branch .LBB146_154
.LBB146_171:
	s_add_u32 s0, s40, s10
	s_addc_u32 s1, s41, s11
	v_mov_b32_e32 v1, 0
	v_lshl_add_u64 v[6:7], s[0:1], 0, v[0:1]
	v_mov_b32_e32 v5, v1
	v_lshl_add_u64 v[20:21], v[6:7], 0, v[4:5]
	global_load_dwordx2 v[4:5], v[20:21], off
	global_load_dwordx2 v[6:7], v[20:21], off offset:512
	global_load_dwordx2 v[8:9], v[20:21], off offset:1024
	;; [unrolled: 1-line block ×7, first 2 shown]
	s_mov_b32 s6, 0
	s_mov_b32 s7, 0
	s_movk_i32 s8, 0x800
	s_movk_i32 s9, 0x400
	s_mov_b32 s10, 0
	s_branch .LBB146_173
.LBB146_172:                            ;   in Loop: Header=BB146_173 Depth=1
	s_or_b64 exec, exec, s[2:3]
	s_waitcnt lgkmcnt(0)
	s_barrier
	scratch_load_dwordx2 v[44:45], off, s6
	ds_read2st64_b64 v[20:23], v42 offset0:2 offset1:18
	s_addk_i32 s10, 0xc000
	s_addk_i32 s7, 0xf800
	s_add_i32 s6, s6, 8
	s_cmp_eq_u32 s10, 0xffff0000
	s_waitcnt vmcnt(0)
	v_lshlrev_b32_e32 v0, 2, v44
	ds_read_b32 v0, v0
	v_lshlrev_b32_e32 v43, 2, v45
	ds_read_b32 v43, v43
	s_waitcnt lgkmcnt(1)
	v_add_u32_e32 v0, v2, v0
	v_lshl_add_u64 v[44:45], v[0:1], 3, s[42:43]
	s_waitcnt lgkmcnt(0)
	v_add3_u32 v0, v2, v43, s9
	global_store_dwordx2 v[44:45], v[20:21], off
	v_lshl_add_u64 v[20:21], v[0:1], 3, s[42:43]
	v_add_u32_e32 v2, 0x800, v2
	global_store_dwordx2 v[20:21], v[22:23], off
	s_barrier
	s_cbranch_scc1 .LBB146_189
.LBB146_173:                            ; =>This Inner Loop Header: Depth=1
	v_add_u32_e32 v0, s7, v3
	v_cmp_gt_u32_e64 s[0:1], s8, v0
	s_and_saveexec_b64 s[2:3], s[0:1]
	s_cbranch_execz .LBB146_175
; %bb.174:                              ;   in Loop: Header=BB146_173 Depth=1
	v_add_u32_e32 v0, s10, v41
	s_waitcnt vmcnt(7)
	ds_write_b64 v0, v[4:5]
.LBB146_175:                            ;   in Loop: Header=BB146_173 Depth=1
	s_or_b64 exec, exec, s[2:3]
	v_add_u32_e32 v0, s7, v28
	v_cmp_gt_u32_e64 s[0:1], s8, v0
	s_and_saveexec_b64 s[2:3], s[0:1]
	s_cbranch_execz .LBB146_177
; %bb.176:                              ;   in Loop: Header=BB146_173 Depth=1
	v_add_u32_e32 v0, s10, v31
	s_waitcnt vmcnt(6)
	ds_write_b64 v0, v[6:7]
.LBB146_177:                            ;   in Loop: Header=BB146_173 Depth=1
	s_or_b64 exec, exec, s[2:3]
	;; [unrolled: 10-line block ×7, first 2 shown]
	v_add_u32_e32 v0, s7, v25
	v_cmp_gt_u32_e64 s[0:1], s8, v0
	s_and_saveexec_b64 s[2:3], s[0:1]
	s_cbranch_execz .LBB146_172
; %bb.188:                              ;   in Loop: Header=BB146_173 Depth=1
	v_add_u32_e32 v0, s10, v24
	s_waitcnt vmcnt(0)
	ds_write_b64 v0, v[18:19]
	s_branch .LBB146_172
.LBB146_189:
	s_add_i32 s5, s5, -1
	s_cmp_eq_u32 s4, s5
	s_cselect_b64 s[0:1], -1, 0
	s_xor_b64 s[2:3], vcc, -1
	s_and_b64 s[0:1], s[2:3], s[0:1]
	s_and_saveexec_b64 s[2:3], s[0:1]
	s_cbranch_execz .LBB146_191
; %bb.190:
	ds_read_b32 v0, v33
	s_waitcnt lgkmcnt(0)
	v_add3_u32 v0, v30, v34, v0
	global_store_dword v33, v0, s[46:47]
.LBB146_191:
	s_endpgm
	.section	.rodata,"a",@progbits
	.p2align	6, 0x0
	.amdhsa_kernel _ZN7rocprim17ROCPRIM_400000_NS6detail17trampoline_kernelINS0_14default_configENS1_35radix_sort_onesweep_config_selectorIddEEZZNS1_29radix_sort_onesweep_iterationIS3_Lb0EN6thrust23THRUST_200600_302600_NS6detail15normal_iteratorINS8_10device_ptrIdEEEESD_SD_SD_jNS0_19identity_decomposerENS1_16block_id_wrapperIjLb0EEEEE10hipError_tT1_PNSt15iterator_traitsISI_E10value_typeET2_T3_PNSJ_ISO_E10value_typeET4_T5_PST_SU_PNS1_23onesweep_lookback_stateEbbT6_jjT7_P12ihipStream_tbENKUlT_T0_SI_SN_E_clISD_PdSD_S15_EEDaS11_S12_SI_SN_EUlS11_E_NS1_11comp_targetILNS1_3genE6ELNS1_11target_archE950ELNS1_3gpuE13ELNS1_3repE0EEENS1_47radix_sort_onesweep_sort_config_static_selectorELNS0_4arch9wavefront6targetE1EEEvSI_
		.amdhsa_group_segment_fixed_size 53328
		.amdhsa_private_segment_fixed_size 48
		.amdhsa_kernarg_size 344
		.amdhsa_user_sgpr_count 4
		.amdhsa_user_sgpr_dispatch_ptr 1
		.amdhsa_user_sgpr_queue_ptr 0
		.amdhsa_user_sgpr_kernarg_segment_ptr 1
		.amdhsa_user_sgpr_dispatch_id 0
		.amdhsa_user_sgpr_kernarg_preload_length 0
		.amdhsa_user_sgpr_kernarg_preload_offset 0
		.amdhsa_user_sgpr_private_segment_size 0
		.amdhsa_uses_dynamic_stack 0
		.amdhsa_enable_private_segment 1
		.amdhsa_system_sgpr_workgroup_id_x 1
		.amdhsa_system_sgpr_workgroup_id_y 0
		.amdhsa_system_sgpr_workgroup_id_z 0
		.amdhsa_system_sgpr_workgroup_info 0
		.amdhsa_system_vgpr_workitem_id 2
		.amdhsa_next_free_vgpr 58
		.amdhsa_next_free_sgpr 56
		.amdhsa_accum_offset 60
		.amdhsa_reserve_vcc 1
		.amdhsa_float_round_mode_32 0
		.amdhsa_float_round_mode_16_64 0
		.amdhsa_float_denorm_mode_32 3
		.amdhsa_float_denorm_mode_16_64 3
		.amdhsa_dx10_clamp 1
		.amdhsa_ieee_mode 1
		.amdhsa_fp16_overflow 0
		.amdhsa_tg_split 0
		.amdhsa_exception_fp_ieee_invalid_op 0
		.amdhsa_exception_fp_denorm_src 0
		.amdhsa_exception_fp_ieee_div_zero 0
		.amdhsa_exception_fp_ieee_overflow 0
		.amdhsa_exception_fp_ieee_underflow 0
		.amdhsa_exception_fp_ieee_inexact 0
		.amdhsa_exception_int_div_zero 0
	.end_amdhsa_kernel
	.section	.text._ZN7rocprim17ROCPRIM_400000_NS6detail17trampoline_kernelINS0_14default_configENS1_35radix_sort_onesweep_config_selectorIddEEZZNS1_29radix_sort_onesweep_iterationIS3_Lb0EN6thrust23THRUST_200600_302600_NS6detail15normal_iteratorINS8_10device_ptrIdEEEESD_SD_SD_jNS0_19identity_decomposerENS1_16block_id_wrapperIjLb0EEEEE10hipError_tT1_PNSt15iterator_traitsISI_E10value_typeET2_T3_PNSJ_ISO_E10value_typeET4_T5_PST_SU_PNS1_23onesweep_lookback_stateEbbT6_jjT7_P12ihipStream_tbENKUlT_T0_SI_SN_E_clISD_PdSD_S15_EEDaS11_S12_SI_SN_EUlS11_E_NS1_11comp_targetILNS1_3genE6ELNS1_11target_archE950ELNS1_3gpuE13ELNS1_3repE0EEENS1_47radix_sort_onesweep_sort_config_static_selectorELNS0_4arch9wavefront6targetE1EEEvSI_,"axG",@progbits,_ZN7rocprim17ROCPRIM_400000_NS6detail17trampoline_kernelINS0_14default_configENS1_35radix_sort_onesweep_config_selectorIddEEZZNS1_29radix_sort_onesweep_iterationIS3_Lb0EN6thrust23THRUST_200600_302600_NS6detail15normal_iteratorINS8_10device_ptrIdEEEESD_SD_SD_jNS0_19identity_decomposerENS1_16block_id_wrapperIjLb0EEEEE10hipError_tT1_PNSt15iterator_traitsISI_E10value_typeET2_T3_PNSJ_ISO_E10value_typeET4_T5_PST_SU_PNS1_23onesweep_lookback_stateEbbT6_jjT7_P12ihipStream_tbENKUlT_T0_SI_SN_E_clISD_PdSD_S15_EEDaS11_S12_SI_SN_EUlS11_E_NS1_11comp_targetILNS1_3genE6ELNS1_11target_archE950ELNS1_3gpuE13ELNS1_3repE0EEENS1_47radix_sort_onesweep_sort_config_static_selectorELNS0_4arch9wavefront6targetE1EEEvSI_,comdat
.Lfunc_end146:
	.size	_ZN7rocprim17ROCPRIM_400000_NS6detail17trampoline_kernelINS0_14default_configENS1_35radix_sort_onesweep_config_selectorIddEEZZNS1_29radix_sort_onesweep_iterationIS3_Lb0EN6thrust23THRUST_200600_302600_NS6detail15normal_iteratorINS8_10device_ptrIdEEEESD_SD_SD_jNS0_19identity_decomposerENS1_16block_id_wrapperIjLb0EEEEE10hipError_tT1_PNSt15iterator_traitsISI_E10value_typeET2_T3_PNSJ_ISO_E10value_typeET4_T5_PST_SU_PNS1_23onesweep_lookback_stateEbbT6_jjT7_P12ihipStream_tbENKUlT_T0_SI_SN_E_clISD_PdSD_S15_EEDaS11_S12_SI_SN_EUlS11_E_NS1_11comp_targetILNS1_3genE6ELNS1_11target_archE950ELNS1_3gpuE13ELNS1_3repE0EEENS1_47radix_sort_onesweep_sort_config_static_selectorELNS0_4arch9wavefront6targetE1EEEvSI_, .Lfunc_end146-_ZN7rocprim17ROCPRIM_400000_NS6detail17trampoline_kernelINS0_14default_configENS1_35radix_sort_onesweep_config_selectorIddEEZZNS1_29radix_sort_onesweep_iterationIS3_Lb0EN6thrust23THRUST_200600_302600_NS6detail15normal_iteratorINS8_10device_ptrIdEEEESD_SD_SD_jNS0_19identity_decomposerENS1_16block_id_wrapperIjLb0EEEEE10hipError_tT1_PNSt15iterator_traitsISI_E10value_typeET2_T3_PNSJ_ISO_E10value_typeET4_T5_PST_SU_PNS1_23onesweep_lookback_stateEbbT6_jjT7_P12ihipStream_tbENKUlT_T0_SI_SN_E_clISD_PdSD_S15_EEDaS11_S12_SI_SN_EUlS11_E_NS1_11comp_targetILNS1_3genE6ELNS1_11target_archE950ELNS1_3gpuE13ELNS1_3repE0EEENS1_47radix_sort_onesweep_sort_config_static_selectorELNS0_4arch9wavefront6targetE1EEEvSI_
                                        ; -- End function
	.set _ZN7rocprim17ROCPRIM_400000_NS6detail17trampoline_kernelINS0_14default_configENS1_35radix_sort_onesweep_config_selectorIddEEZZNS1_29radix_sort_onesweep_iterationIS3_Lb0EN6thrust23THRUST_200600_302600_NS6detail15normal_iteratorINS8_10device_ptrIdEEEESD_SD_SD_jNS0_19identity_decomposerENS1_16block_id_wrapperIjLb0EEEEE10hipError_tT1_PNSt15iterator_traitsISI_E10value_typeET2_T3_PNSJ_ISO_E10value_typeET4_T5_PST_SU_PNS1_23onesweep_lookback_stateEbbT6_jjT7_P12ihipStream_tbENKUlT_T0_SI_SN_E_clISD_PdSD_S15_EEDaS11_S12_SI_SN_EUlS11_E_NS1_11comp_targetILNS1_3genE6ELNS1_11target_archE950ELNS1_3gpuE13ELNS1_3repE0EEENS1_47radix_sort_onesweep_sort_config_static_selectorELNS0_4arch9wavefront6targetE1EEEvSI_.num_vgpr, 58
	.set _ZN7rocprim17ROCPRIM_400000_NS6detail17trampoline_kernelINS0_14default_configENS1_35radix_sort_onesweep_config_selectorIddEEZZNS1_29radix_sort_onesweep_iterationIS3_Lb0EN6thrust23THRUST_200600_302600_NS6detail15normal_iteratorINS8_10device_ptrIdEEEESD_SD_SD_jNS0_19identity_decomposerENS1_16block_id_wrapperIjLb0EEEEE10hipError_tT1_PNSt15iterator_traitsISI_E10value_typeET2_T3_PNSJ_ISO_E10value_typeET4_T5_PST_SU_PNS1_23onesweep_lookback_stateEbbT6_jjT7_P12ihipStream_tbENKUlT_T0_SI_SN_E_clISD_PdSD_S15_EEDaS11_S12_SI_SN_EUlS11_E_NS1_11comp_targetILNS1_3genE6ELNS1_11target_archE950ELNS1_3gpuE13ELNS1_3repE0EEENS1_47radix_sort_onesweep_sort_config_static_selectorELNS0_4arch9wavefront6targetE1EEEvSI_.num_agpr, 0
	.set _ZN7rocprim17ROCPRIM_400000_NS6detail17trampoline_kernelINS0_14default_configENS1_35radix_sort_onesweep_config_selectorIddEEZZNS1_29radix_sort_onesweep_iterationIS3_Lb0EN6thrust23THRUST_200600_302600_NS6detail15normal_iteratorINS8_10device_ptrIdEEEESD_SD_SD_jNS0_19identity_decomposerENS1_16block_id_wrapperIjLb0EEEEE10hipError_tT1_PNSt15iterator_traitsISI_E10value_typeET2_T3_PNSJ_ISO_E10value_typeET4_T5_PST_SU_PNS1_23onesweep_lookback_stateEbbT6_jjT7_P12ihipStream_tbENKUlT_T0_SI_SN_E_clISD_PdSD_S15_EEDaS11_S12_SI_SN_EUlS11_E_NS1_11comp_targetILNS1_3genE6ELNS1_11target_archE950ELNS1_3gpuE13ELNS1_3repE0EEENS1_47radix_sort_onesweep_sort_config_static_selectorELNS0_4arch9wavefront6targetE1EEEvSI_.numbered_sgpr, 56
	.set _ZN7rocprim17ROCPRIM_400000_NS6detail17trampoline_kernelINS0_14default_configENS1_35radix_sort_onesweep_config_selectorIddEEZZNS1_29radix_sort_onesweep_iterationIS3_Lb0EN6thrust23THRUST_200600_302600_NS6detail15normal_iteratorINS8_10device_ptrIdEEEESD_SD_SD_jNS0_19identity_decomposerENS1_16block_id_wrapperIjLb0EEEEE10hipError_tT1_PNSt15iterator_traitsISI_E10value_typeET2_T3_PNSJ_ISO_E10value_typeET4_T5_PST_SU_PNS1_23onesweep_lookback_stateEbbT6_jjT7_P12ihipStream_tbENKUlT_T0_SI_SN_E_clISD_PdSD_S15_EEDaS11_S12_SI_SN_EUlS11_E_NS1_11comp_targetILNS1_3genE6ELNS1_11target_archE950ELNS1_3gpuE13ELNS1_3repE0EEENS1_47radix_sort_onesweep_sort_config_static_selectorELNS0_4arch9wavefront6targetE1EEEvSI_.num_named_barrier, 0
	.set _ZN7rocprim17ROCPRIM_400000_NS6detail17trampoline_kernelINS0_14default_configENS1_35radix_sort_onesweep_config_selectorIddEEZZNS1_29radix_sort_onesweep_iterationIS3_Lb0EN6thrust23THRUST_200600_302600_NS6detail15normal_iteratorINS8_10device_ptrIdEEEESD_SD_SD_jNS0_19identity_decomposerENS1_16block_id_wrapperIjLb0EEEEE10hipError_tT1_PNSt15iterator_traitsISI_E10value_typeET2_T3_PNSJ_ISO_E10value_typeET4_T5_PST_SU_PNS1_23onesweep_lookback_stateEbbT6_jjT7_P12ihipStream_tbENKUlT_T0_SI_SN_E_clISD_PdSD_S15_EEDaS11_S12_SI_SN_EUlS11_E_NS1_11comp_targetILNS1_3genE6ELNS1_11target_archE950ELNS1_3gpuE13ELNS1_3repE0EEENS1_47radix_sort_onesweep_sort_config_static_selectorELNS0_4arch9wavefront6targetE1EEEvSI_.private_seg_size, 48
	.set _ZN7rocprim17ROCPRIM_400000_NS6detail17trampoline_kernelINS0_14default_configENS1_35radix_sort_onesweep_config_selectorIddEEZZNS1_29radix_sort_onesweep_iterationIS3_Lb0EN6thrust23THRUST_200600_302600_NS6detail15normal_iteratorINS8_10device_ptrIdEEEESD_SD_SD_jNS0_19identity_decomposerENS1_16block_id_wrapperIjLb0EEEEE10hipError_tT1_PNSt15iterator_traitsISI_E10value_typeET2_T3_PNSJ_ISO_E10value_typeET4_T5_PST_SU_PNS1_23onesweep_lookback_stateEbbT6_jjT7_P12ihipStream_tbENKUlT_T0_SI_SN_E_clISD_PdSD_S15_EEDaS11_S12_SI_SN_EUlS11_E_NS1_11comp_targetILNS1_3genE6ELNS1_11target_archE950ELNS1_3gpuE13ELNS1_3repE0EEENS1_47radix_sort_onesweep_sort_config_static_selectorELNS0_4arch9wavefront6targetE1EEEvSI_.uses_vcc, 1
	.set _ZN7rocprim17ROCPRIM_400000_NS6detail17trampoline_kernelINS0_14default_configENS1_35radix_sort_onesweep_config_selectorIddEEZZNS1_29radix_sort_onesweep_iterationIS3_Lb0EN6thrust23THRUST_200600_302600_NS6detail15normal_iteratorINS8_10device_ptrIdEEEESD_SD_SD_jNS0_19identity_decomposerENS1_16block_id_wrapperIjLb0EEEEE10hipError_tT1_PNSt15iterator_traitsISI_E10value_typeET2_T3_PNSJ_ISO_E10value_typeET4_T5_PST_SU_PNS1_23onesweep_lookback_stateEbbT6_jjT7_P12ihipStream_tbENKUlT_T0_SI_SN_E_clISD_PdSD_S15_EEDaS11_S12_SI_SN_EUlS11_E_NS1_11comp_targetILNS1_3genE6ELNS1_11target_archE950ELNS1_3gpuE13ELNS1_3repE0EEENS1_47radix_sort_onesweep_sort_config_static_selectorELNS0_4arch9wavefront6targetE1EEEvSI_.uses_flat_scratch, 0
	.set _ZN7rocprim17ROCPRIM_400000_NS6detail17trampoline_kernelINS0_14default_configENS1_35radix_sort_onesweep_config_selectorIddEEZZNS1_29radix_sort_onesweep_iterationIS3_Lb0EN6thrust23THRUST_200600_302600_NS6detail15normal_iteratorINS8_10device_ptrIdEEEESD_SD_SD_jNS0_19identity_decomposerENS1_16block_id_wrapperIjLb0EEEEE10hipError_tT1_PNSt15iterator_traitsISI_E10value_typeET2_T3_PNSJ_ISO_E10value_typeET4_T5_PST_SU_PNS1_23onesweep_lookback_stateEbbT6_jjT7_P12ihipStream_tbENKUlT_T0_SI_SN_E_clISD_PdSD_S15_EEDaS11_S12_SI_SN_EUlS11_E_NS1_11comp_targetILNS1_3genE6ELNS1_11target_archE950ELNS1_3gpuE13ELNS1_3repE0EEENS1_47radix_sort_onesweep_sort_config_static_selectorELNS0_4arch9wavefront6targetE1EEEvSI_.has_dyn_sized_stack, 0
	.set _ZN7rocprim17ROCPRIM_400000_NS6detail17trampoline_kernelINS0_14default_configENS1_35radix_sort_onesweep_config_selectorIddEEZZNS1_29radix_sort_onesweep_iterationIS3_Lb0EN6thrust23THRUST_200600_302600_NS6detail15normal_iteratorINS8_10device_ptrIdEEEESD_SD_SD_jNS0_19identity_decomposerENS1_16block_id_wrapperIjLb0EEEEE10hipError_tT1_PNSt15iterator_traitsISI_E10value_typeET2_T3_PNSJ_ISO_E10value_typeET4_T5_PST_SU_PNS1_23onesweep_lookback_stateEbbT6_jjT7_P12ihipStream_tbENKUlT_T0_SI_SN_E_clISD_PdSD_S15_EEDaS11_S12_SI_SN_EUlS11_E_NS1_11comp_targetILNS1_3genE6ELNS1_11target_archE950ELNS1_3gpuE13ELNS1_3repE0EEENS1_47radix_sort_onesweep_sort_config_static_selectorELNS0_4arch9wavefront6targetE1EEEvSI_.has_recursion, 0
	.set _ZN7rocprim17ROCPRIM_400000_NS6detail17trampoline_kernelINS0_14default_configENS1_35radix_sort_onesweep_config_selectorIddEEZZNS1_29radix_sort_onesweep_iterationIS3_Lb0EN6thrust23THRUST_200600_302600_NS6detail15normal_iteratorINS8_10device_ptrIdEEEESD_SD_SD_jNS0_19identity_decomposerENS1_16block_id_wrapperIjLb0EEEEE10hipError_tT1_PNSt15iterator_traitsISI_E10value_typeET2_T3_PNSJ_ISO_E10value_typeET4_T5_PST_SU_PNS1_23onesweep_lookback_stateEbbT6_jjT7_P12ihipStream_tbENKUlT_T0_SI_SN_E_clISD_PdSD_S15_EEDaS11_S12_SI_SN_EUlS11_E_NS1_11comp_targetILNS1_3genE6ELNS1_11target_archE950ELNS1_3gpuE13ELNS1_3repE0EEENS1_47radix_sort_onesweep_sort_config_static_selectorELNS0_4arch9wavefront6targetE1EEEvSI_.has_indirect_call, 0
	.section	.AMDGPU.csdata,"",@progbits
; Kernel info:
; codeLenInByte = 13724
; TotalNumSgprs: 62
; NumVgprs: 58
; NumAgprs: 0
; TotalNumVgprs: 58
; ScratchSize: 48
; MemoryBound: 0
; FloatMode: 240
; IeeeMode: 1
; LDSByteSize: 53328 bytes/workgroup (compile time only)
; SGPRBlocks: 7
; VGPRBlocks: 7
; NumSGPRsForWavesPerEU: 62
; NumVGPRsForWavesPerEU: 58
; AccumOffset: 60
; Occupancy: 8
; WaveLimiterHint : 1
; COMPUTE_PGM_RSRC2:SCRATCH_EN: 1
; COMPUTE_PGM_RSRC2:USER_SGPR: 4
; COMPUTE_PGM_RSRC2:TRAP_HANDLER: 0
; COMPUTE_PGM_RSRC2:TGID_X_EN: 1
; COMPUTE_PGM_RSRC2:TGID_Y_EN: 0
; COMPUTE_PGM_RSRC2:TGID_Z_EN: 0
; COMPUTE_PGM_RSRC2:TIDIG_COMP_CNT: 2
; COMPUTE_PGM_RSRC3_GFX90A:ACCUM_OFFSET: 14
; COMPUTE_PGM_RSRC3_GFX90A:TG_SPLIT: 0
	.section	.text._ZN7rocprim17ROCPRIM_400000_NS6detail17trampoline_kernelINS0_14default_configENS1_35radix_sort_onesweep_config_selectorIddEEZZNS1_29radix_sort_onesweep_iterationIS3_Lb0EN6thrust23THRUST_200600_302600_NS6detail15normal_iteratorINS8_10device_ptrIdEEEESD_SD_SD_jNS0_19identity_decomposerENS1_16block_id_wrapperIjLb0EEEEE10hipError_tT1_PNSt15iterator_traitsISI_E10value_typeET2_T3_PNSJ_ISO_E10value_typeET4_T5_PST_SU_PNS1_23onesweep_lookback_stateEbbT6_jjT7_P12ihipStream_tbENKUlT_T0_SI_SN_E_clISD_PdSD_S15_EEDaS11_S12_SI_SN_EUlS11_E_NS1_11comp_targetILNS1_3genE5ELNS1_11target_archE942ELNS1_3gpuE9ELNS1_3repE0EEENS1_47radix_sort_onesweep_sort_config_static_selectorELNS0_4arch9wavefront6targetE1EEEvSI_,"axG",@progbits,_ZN7rocprim17ROCPRIM_400000_NS6detail17trampoline_kernelINS0_14default_configENS1_35radix_sort_onesweep_config_selectorIddEEZZNS1_29radix_sort_onesweep_iterationIS3_Lb0EN6thrust23THRUST_200600_302600_NS6detail15normal_iteratorINS8_10device_ptrIdEEEESD_SD_SD_jNS0_19identity_decomposerENS1_16block_id_wrapperIjLb0EEEEE10hipError_tT1_PNSt15iterator_traitsISI_E10value_typeET2_T3_PNSJ_ISO_E10value_typeET4_T5_PST_SU_PNS1_23onesweep_lookback_stateEbbT6_jjT7_P12ihipStream_tbENKUlT_T0_SI_SN_E_clISD_PdSD_S15_EEDaS11_S12_SI_SN_EUlS11_E_NS1_11comp_targetILNS1_3genE5ELNS1_11target_archE942ELNS1_3gpuE9ELNS1_3repE0EEENS1_47radix_sort_onesweep_sort_config_static_selectorELNS0_4arch9wavefront6targetE1EEEvSI_,comdat
	.protected	_ZN7rocprim17ROCPRIM_400000_NS6detail17trampoline_kernelINS0_14default_configENS1_35radix_sort_onesweep_config_selectorIddEEZZNS1_29radix_sort_onesweep_iterationIS3_Lb0EN6thrust23THRUST_200600_302600_NS6detail15normal_iteratorINS8_10device_ptrIdEEEESD_SD_SD_jNS0_19identity_decomposerENS1_16block_id_wrapperIjLb0EEEEE10hipError_tT1_PNSt15iterator_traitsISI_E10value_typeET2_T3_PNSJ_ISO_E10value_typeET4_T5_PST_SU_PNS1_23onesweep_lookback_stateEbbT6_jjT7_P12ihipStream_tbENKUlT_T0_SI_SN_E_clISD_PdSD_S15_EEDaS11_S12_SI_SN_EUlS11_E_NS1_11comp_targetILNS1_3genE5ELNS1_11target_archE942ELNS1_3gpuE9ELNS1_3repE0EEENS1_47radix_sort_onesweep_sort_config_static_selectorELNS0_4arch9wavefront6targetE1EEEvSI_ ; -- Begin function _ZN7rocprim17ROCPRIM_400000_NS6detail17trampoline_kernelINS0_14default_configENS1_35radix_sort_onesweep_config_selectorIddEEZZNS1_29radix_sort_onesweep_iterationIS3_Lb0EN6thrust23THRUST_200600_302600_NS6detail15normal_iteratorINS8_10device_ptrIdEEEESD_SD_SD_jNS0_19identity_decomposerENS1_16block_id_wrapperIjLb0EEEEE10hipError_tT1_PNSt15iterator_traitsISI_E10value_typeET2_T3_PNSJ_ISO_E10value_typeET4_T5_PST_SU_PNS1_23onesweep_lookback_stateEbbT6_jjT7_P12ihipStream_tbENKUlT_T0_SI_SN_E_clISD_PdSD_S15_EEDaS11_S12_SI_SN_EUlS11_E_NS1_11comp_targetILNS1_3genE5ELNS1_11target_archE942ELNS1_3gpuE9ELNS1_3repE0EEENS1_47radix_sort_onesweep_sort_config_static_selectorELNS0_4arch9wavefront6targetE1EEEvSI_
	.globl	_ZN7rocprim17ROCPRIM_400000_NS6detail17trampoline_kernelINS0_14default_configENS1_35radix_sort_onesweep_config_selectorIddEEZZNS1_29radix_sort_onesweep_iterationIS3_Lb0EN6thrust23THRUST_200600_302600_NS6detail15normal_iteratorINS8_10device_ptrIdEEEESD_SD_SD_jNS0_19identity_decomposerENS1_16block_id_wrapperIjLb0EEEEE10hipError_tT1_PNSt15iterator_traitsISI_E10value_typeET2_T3_PNSJ_ISO_E10value_typeET4_T5_PST_SU_PNS1_23onesweep_lookback_stateEbbT6_jjT7_P12ihipStream_tbENKUlT_T0_SI_SN_E_clISD_PdSD_S15_EEDaS11_S12_SI_SN_EUlS11_E_NS1_11comp_targetILNS1_3genE5ELNS1_11target_archE942ELNS1_3gpuE9ELNS1_3repE0EEENS1_47radix_sort_onesweep_sort_config_static_selectorELNS0_4arch9wavefront6targetE1EEEvSI_
	.p2align	8
	.type	_ZN7rocprim17ROCPRIM_400000_NS6detail17trampoline_kernelINS0_14default_configENS1_35radix_sort_onesweep_config_selectorIddEEZZNS1_29radix_sort_onesweep_iterationIS3_Lb0EN6thrust23THRUST_200600_302600_NS6detail15normal_iteratorINS8_10device_ptrIdEEEESD_SD_SD_jNS0_19identity_decomposerENS1_16block_id_wrapperIjLb0EEEEE10hipError_tT1_PNSt15iterator_traitsISI_E10value_typeET2_T3_PNSJ_ISO_E10value_typeET4_T5_PST_SU_PNS1_23onesweep_lookback_stateEbbT6_jjT7_P12ihipStream_tbENKUlT_T0_SI_SN_E_clISD_PdSD_S15_EEDaS11_S12_SI_SN_EUlS11_E_NS1_11comp_targetILNS1_3genE5ELNS1_11target_archE942ELNS1_3gpuE9ELNS1_3repE0EEENS1_47radix_sort_onesweep_sort_config_static_selectorELNS0_4arch9wavefront6targetE1EEEvSI_,@function
_ZN7rocprim17ROCPRIM_400000_NS6detail17trampoline_kernelINS0_14default_configENS1_35radix_sort_onesweep_config_selectorIddEEZZNS1_29radix_sort_onesweep_iterationIS3_Lb0EN6thrust23THRUST_200600_302600_NS6detail15normal_iteratorINS8_10device_ptrIdEEEESD_SD_SD_jNS0_19identity_decomposerENS1_16block_id_wrapperIjLb0EEEEE10hipError_tT1_PNSt15iterator_traitsISI_E10value_typeET2_T3_PNSJ_ISO_E10value_typeET4_T5_PST_SU_PNS1_23onesweep_lookback_stateEbbT6_jjT7_P12ihipStream_tbENKUlT_T0_SI_SN_E_clISD_PdSD_S15_EEDaS11_S12_SI_SN_EUlS11_E_NS1_11comp_targetILNS1_3genE5ELNS1_11target_archE942ELNS1_3gpuE9ELNS1_3repE0EEENS1_47radix_sort_onesweep_sort_config_static_selectorELNS0_4arch9wavefront6targetE1EEEvSI_: ; @_ZN7rocprim17ROCPRIM_400000_NS6detail17trampoline_kernelINS0_14default_configENS1_35radix_sort_onesweep_config_selectorIddEEZZNS1_29radix_sort_onesweep_iterationIS3_Lb0EN6thrust23THRUST_200600_302600_NS6detail15normal_iteratorINS8_10device_ptrIdEEEESD_SD_SD_jNS0_19identity_decomposerENS1_16block_id_wrapperIjLb0EEEEE10hipError_tT1_PNSt15iterator_traitsISI_E10value_typeET2_T3_PNSJ_ISO_E10value_typeET4_T5_PST_SU_PNS1_23onesweep_lookback_stateEbbT6_jjT7_P12ihipStream_tbENKUlT_T0_SI_SN_E_clISD_PdSD_S15_EEDaS11_S12_SI_SN_EUlS11_E_NS1_11comp_targetILNS1_3genE5ELNS1_11target_archE942ELNS1_3gpuE9ELNS1_3repE0EEENS1_47radix_sort_onesweep_sort_config_static_selectorELNS0_4arch9wavefront6targetE1EEEvSI_
; %bb.0:
	.section	.rodata,"a",@progbits
	.p2align	6, 0x0
	.amdhsa_kernel _ZN7rocprim17ROCPRIM_400000_NS6detail17trampoline_kernelINS0_14default_configENS1_35radix_sort_onesweep_config_selectorIddEEZZNS1_29radix_sort_onesweep_iterationIS3_Lb0EN6thrust23THRUST_200600_302600_NS6detail15normal_iteratorINS8_10device_ptrIdEEEESD_SD_SD_jNS0_19identity_decomposerENS1_16block_id_wrapperIjLb0EEEEE10hipError_tT1_PNSt15iterator_traitsISI_E10value_typeET2_T3_PNSJ_ISO_E10value_typeET4_T5_PST_SU_PNS1_23onesweep_lookback_stateEbbT6_jjT7_P12ihipStream_tbENKUlT_T0_SI_SN_E_clISD_PdSD_S15_EEDaS11_S12_SI_SN_EUlS11_E_NS1_11comp_targetILNS1_3genE5ELNS1_11target_archE942ELNS1_3gpuE9ELNS1_3repE0EEENS1_47radix_sort_onesweep_sort_config_static_selectorELNS0_4arch9wavefront6targetE1EEEvSI_
		.amdhsa_group_segment_fixed_size 0
		.amdhsa_private_segment_fixed_size 0
		.amdhsa_kernarg_size 88
		.amdhsa_user_sgpr_count 2
		.amdhsa_user_sgpr_dispatch_ptr 0
		.amdhsa_user_sgpr_queue_ptr 0
		.amdhsa_user_sgpr_kernarg_segment_ptr 1
		.amdhsa_user_sgpr_dispatch_id 0
		.amdhsa_user_sgpr_kernarg_preload_length 0
		.amdhsa_user_sgpr_kernarg_preload_offset 0
		.amdhsa_user_sgpr_private_segment_size 0
		.amdhsa_uses_dynamic_stack 0
		.amdhsa_enable_private_segment 0
		.amdhsa_system_sgpr_workgroup_id_x 1
		.amdhsa_system_sgpr_workgroup_id_y 0
		.amdhsa_system_sgpr_workgroup_id_z 0
		.amdhsa_system_sgpr_workgroup_info 0
		.amdhsa_system_vgpr_workitem_id 0
		.amdhsa_next_free_vgpr 1
		.amdhsa_next_free_sgpr 0
		.amdhsa_accum_offset 4
		.amdhsa_reserve_vcc 0
		.amdhsa_float_round_mode_32 0
		.amdhsa_float_round_mode_16_64 0
		.amdhsa_float_denorm_mode_32 3
		.amdhsa_float_denorm_mode_16_64 3
		.amdhsa_dx10_clamp 1
		.amdhsa_ieee_mode 1
		.amdhsa_fp16_overflow 0
		.amdhsa_tg_split 0
		.amdhsa_exception_fp_ieee_invalid_op 0
		.amdhsa_exception_fp_denorm_src 0
		.amdhsa_exception_fp_ieee_div_zero 0
		.amdhsa_exception_fp_ieee_overflow 0
		.amdhsa_exception_fp_ieee_underflow 0
		.amdhsa_exception_fp_ieee_inexact 0
		.amdhsa_exception_int_div_zero 0
	.end_amdhsa_kernel
	.section	.text._ZN7rocprim17ROCPRIM_400000_NS6detail17trampoline_kernelINS0_14default_configENS1_35radix_sort_onesweep_config_selectorIddEEZZNS1_29radix_sort_onesweep_iterationIS3_Lb0EN6thrust23THRUST_200600_302600_NS6detail15normal_iteratorINS8_10device_ptrIdEEEESD_SD_SD_jNS0_19identity_decomposerENS1_16block_id_wrapperIjLb0EEEEE10hipError_tT1_PNSt15iterator_traitsISI_E10value_typeET2_T3_PNSJ_ISO_E10value_typeET4_T5_PST_SU_PNS1_23onesweep_lookback_stateEbbT6_jjT7_P12ihipStream_tbENKUlT_T0_SI_SN_E_clISD_PdSD_S15_EEDaS11_S12_SI_SN_EUlS11_E_NS1_11comp_targetILNS1_3genE5ELNS1_11target_archE942ELNS1_3gpuE9ELNS1_3repE0EEENS1_47radix_sort_onesweep_sort_config_static_selectorELNS0_4arch9wavefront6targetE1EEEvSI_,"axG",@progbits,_ZN7rocprim17ROCPRIM_400000_NS6detail17trampoline_kernelINS0_14default_configENS1_35radix_sort_onesweep_config_selectorIddEEZZNS1_29radix_sort_onesweep_iterationIS3_Lb0EN6thrust23THRUST_200600_302600_NS6detail15normal_iteratorINS8_10device_ptrIdEEEESD_SD_SD_jNS0_19identity_decomposerENS1_16block_id_wrapperIjLb0EEEEE10hipError_tT1_PNSt15iterator_traitsISI_E10value_typeET2_T3_PNSJ_ISO_E10value_typeET4_T5_PST_SU_PNS1_23onesweep_lookback_stateEbbT6_jjT7_P12ihipStream_tbENKUlT_T0_SI_SN_E_clISD_PdSD_S15_EEDaS11_S12_SI_SN_EUlS11_E_NS1_11comp_targetILNS1_3genE5ELNS1_11target_archE942ELNS1_3gpuE9ELNS1_3repE0EEENS1_47radix_sort_onesweep_sort_config_static_selectorELNS0_4arch9wavefront6targetE1EEEvSI_,comdat
.Lfunc_end147:
	.size	_ZN7rocprim17ROCPRIM_400000_NS6detail17trampoline_kernelINS0_14default_configENS1_35radix_sort_onesweep_config_selectorIddEEZZNS1_29radix_sort_onesweep_iterationIS3_Lb0EN6thrust23THRUST_200600_302600_NS6detail15normal_iteratorINS8_10device_ptrIdEEEESD_SD_SD_jNS0_19identity_decomposerENS1_16block_id_wrapperIjLb0EEEEE10hipError_tT1_PNSt15iterator_traitsISI_E10value_typeET2_T3_PNSJ_ISO_E10value_typeET4_T5_PST_SU_PNS1_23onesweep_lookback_stateEbbT6_jjT7_P12ihipStream_tbENKUlT_T0_SI_SN_E_clISD_PdSD_S15_EEDaS11_S12_SI_SN_EUlS11_E_NS1_11comp_targetILNS1_3genE5ELNS1_11target_archE942ELNS1_3gpuE9ELNS1_3repE0EEENS1_47radix_sort_onesweep_sort_config_static_selectorELNS0_4arch9wavefront6targetE1EEEvSI_, .Lfunc_end147-_ZN7rocprim17ROCPRIM_400000_NS6detail17trampoline_kernelINS0_14default_configENS1_35radix_sort_onesweep_config_selectorIddEEZZNS1_29radix_sort_onesweep_iterationIS3_Lb0EN6thrust23THRUST_200600_302600_NS6detail15normal_iteratorINS8_10device_ptrIdEEEESD_SD_SD_jNS0_19identity_decomposerENS1_16block_id_wrapperIjLb0EEEEE10hipError_tT1_PNSt15iterator_traitsISI_E10value_typeET2_T3_PNSJ_ISO_E10value_typeET4_T5_PST_SU_PNS1_23onesweep_lookback_stateEbbT6_jjT7_P12ihipStream_tbENKUlT_T0_SI_SN_E_clISD_PdSD_S15_EEDaS11_S12_SI_SN_EUlS11_E_NS1_11comp_targetILNS1_3genE5ELNS1_11target_archE942ELNS1_3gpuE9ELNS1_3repE0EEENS1_47radix_sort_onesweep_sort_config_static_selectorELNS0_4arch9wavefront6targetE1EEEvSI_
                                        ; -- End function
	.set _ZN7rocprim17ROCPRIM_400000_NS6detail17trampoline_kernelINS0_14default_configENS1_35radix_sort_onesweep_config_selectorIddEEZZNS1_29radix_sort_onesweep_iterationIS3_Lb0EN6thrust23THRUST_200600_302600_NS6detail15normal_iteratorINS8_10device_ptrIdEEEESD_SD_SD_jNS0_19identity_decomposerENS1_16block_id_wrapperIjLb0EEEEE10hipError_tT1_PNSt15iterator_traitsISI_E10value_typeET2_T3_PNSJ_ISO_E10value_typeET4_T5_PST_SU_PNS1_23onesweep_lookback_stateEbbT6_jjT7_P12ihipStream_tbENKUlT_T0_SI_SN_E_clISD_PdSD_S15_EEDaS11_S12_SI_SN_EUlS11_E_NS1_11comp_targetILNS1_3genE5ELNS1_11target_archE942ELNS1_3gpuE9ELNS1_3repE0EEENS1_47radix_sort_onesweep_sort_config_static_selectorELNS0_4arch9wavefront6targetE1EEEvSI_.num_vgpr, 0
	.set _ZN7rocprim17ROCPRIM_400000_NS6detail17trampoline_kernelINS0_14default_configENS1_35radix_sort_onesweep_config_selectorIddEEZZNS1_29radix_sort_onesweep_iterationIS3_Lb0EN6thrust23THRUST_200600_302600_NS6detail15normal_iteratorINS8_10device_ptrIdEEEESD_SD_SD_jNS0_19identity_decomposerENS1_16block_id_wrapperIjLb0EEEEE10hipError_tT1_PNSt15iterator_traitsISI_E10value_typeET2_T3_PNSJ_ISO_E10value_typeET4_T5_PST_SU_PNS1_23onesweep_lookback_stateEbbT6_jjT7_P12ihipStream_tbENKUlT_T0_SI_SN_E_clISD_PdSD_S15_EEDaS11_S12_SI_SN_EUlS11_E_NS1_11comp_targetILNS1_3genE5ELNS1_11target_archE942ELNS1_3gpuE9ELNS1_3repE0EEENS1_47radix_sort_onesweep_sort_config_static_selectorELNS0_4arch9wavefront6targetE1EEEvSI_.num_agpr, 0
	.set _ZN7rocprim17ROCPRIM_400000_NS6detail17trampoline_kernelINS0_14default_configENS1_35radix_sort_onesweep_config_selectorIddEEZZNS1_29radix_sort_onesweep_iterationIS3_Lb0EN6thrust23THRUST_200600_302600_NS6detail15normal_iteratorINS8_10device_ptrIdEEEESD_SD_SD_jNS0_19identity_decomposerENS1_16block_id_wrapperIjLb0EEEEE10hipError_tT1_PNSt15iterator_traitsISI_E10value_typeET2_T3_PNSJ_ISO_E10value_typeET4_T5_PST_SU_PNS1_23onesweep_lookback_stateEbbT6_jjT7_P12ihipStream_tbENKUlT_T0_SI_SN_E_clISD_PdSD_S15_EEDaS11_S12_SI_SN_EUlS11_E_NS1_11comp_targetILNS1_3genE5ELNS1_11target_archE942ELNS1_3gpuE9ELNS1_3repE0EEENS1_47radix_sort_onesweep_sort_config_static_selectorELNS0_4arch9wavefront6targetE1EEEvSI_.numbered_sgpr, 0
	.set _ZN7rocprim17ROCPRIM_400000_NS6detail17trampoline_kernelINS0_14default_configENS1_35radix_sort_onesweep_config_selectorIddEEZZNS1_29radix_sort_onesweep_iterationIS3_Lb0EN6thrust23THRUST_200600_302600_NS6detail15normal_iteratorINS8_10device_ptrIdEEEESD_SD_SD_jNS0_19identity_decomposerENS1_16block_id_wrapperIjLb0EEEEE10hipError_tT1_PNSt15iterator_traitsISI_E10value_typeET2_T3_PNSJ_ISO_E10value_typeET4_T5_PST_SU_PNS1_23onesweep_lookback_stateEbbT6_jjT7_P12ihipStream_tbENKUlT_T0_SI_SN_E_clISD_PdSD_S15_EEDaS11_S12_SI_SN_EUlS11_E_NS1_11comp_targetILNS1_3genE5ELNS1_11target_archE942ELNS1_3gpuE9ELNS1_3repE0EEENS1_47radix_sort_onesweep_sort_config_static_selectorELNS0_4arch9wavefront6targetE1EEEvSI_.num_named_barrier, 0
	.set _ZN7rocprim17ROCPRIM_400000_NS6detail17trampoline_kernelINS0_14default_configENS1_35radix_sort_onesweep_config_selectorIddEEZZNS1_29radix_sort_onesweep_iterationIS3_Lb0EN6thrust23THRUST_200600_302600_NS6detail15normal_iteratorINS8_10device_ptrIdEEEESD_SD_SD_jNS0_19identity_decomposerENS1_16block_id_wrapperIjLb0EEEEE10hipError_tT1_PNSt15iterator_traitsISI_E10value_typeET2_T3_PNSJ_ISO_E10value_typeET4_T5_PST_SU_PNS1_23onesweep_lookback_stateEbbT6_jjT7_P12ihipStream_tbENKUlT_T0_SI_SN_E_clISD_PdSD_S15_EEDaS11_S12_SI_SN_EUlS11_E_NS1_11comp_targetILNS1_3genE5ELNS1_11target_archE942ELNS1_3gpuE9ELNS1_3repE0EEENS1_47radix_sort_onesweep_sort_config_static_selectorELNS0_4arch9wavefront6targetE1EEEvSI_.private_seg_size, 0
	.set _ZN7rocprim17ROCPRIM_400000_NS6detail17trampoline_kernelINS0_14default_configENS1_35radix_sort_onesweep_config_selectorIddEEZZNS1_29radix_sort_onesweep_iterationIS3_Lb0EN6thrust23THRUST_200600_302600_NS6detail15normal_iteratorINS8_10device_ptrIdEEEESD_SD_SD_jNS0_19identity_decomposerENS1_16block_id_wrapperIjLb0EEEEE10hipError_tT1_PNSt15iterator_traitsISI_E10value_typeET2_T3_PNSJ_ISO_E10value_typeET4_T5_PST_SU_PNS1_23onesweep_lookback_stateEbbT6_jjT7_P12ihipStream_tbENKUlT_T0_SI_SN_E_clISD_PdSD_S15_EEDaS11_S12_SI_SN_EUlS11_E_NS1_11comp_targetILNS1_3genE5ELNS1_11target_archE942ELNS1_3gpuE9ELNS1_3repE0EEENS1_47radix_sort_onesweep_sort_config_static_selectorELNS0_4arch9wavefront6targetE1EEEvSI_.uses_vcc, 0
	.set _ZN7rocprim17ROCPRIM_400000_NS6detail17trampoline_kernelINS0_14default_configENS1_35radix_sort_onesweep_config_selectorIddEEZZNS1_29radix_sort_onesweep_iterationIS3_Lb0EN6thrust23THRUST_200600_302600_NS6detail15normal_iteratorINS8_10device_ptrIdEEEESD_SD_SD_jNS0_19identity_decomposerENS1_16block_id_wrapperIjLb0EEEEE10hipError_tT1_PNSt15iterator_traitsISI_E10value_typeET2_T3_PNSJ_ISO_E10value_typeET4_T5_PST_SU_PNS1_23onesweep_lookback_stateEbbT6_jjT7_P12ihipStream_tbENKUlT_T0_SI_SN_E_clISD_PdSD_S15_EEDaS11_S12_SI_SN_EUlS11_E_NS1_11comp_targetILNS1_3genE5ELNS1_11target_archE942ELNS1_3gpuE9ELNS1_3repE0EEENS1_47radix_sort_onesweep_sort_config_static_selectorELNS0_4arch9wavefront6targetE1EEEvSI_.uses_flat_scratch, 0
	.set _ZN7rocprim17ROCPRIM_400000_NS6detail17trampoline_kernelINS0_14default_configENS1_35radix_sort_onesweep_config_selectorIddEEZZNS1_29radix_sort_onesweep_iterationIS3_Lb0EN6thrust23THRUST_200600_302600_NS6detail15normal_iteratorINS8_10device_ptrIdEEEESD_SD_SD_jNS0_19identity_decomposerENS1_16block_id_wrapperIjLb0EEEEE10hipError_tT1_PNSt15iterator_traitsISI_E10value_typeET2_T3_PNSJ_ISO_E10value_typeET4_T5_PST_SU_PNS1_23onesweep_lookback_stateEbbT6_jjT7_P12ihipStream_tbENKUlT_T0_SI_SN_E_clISD_PdSD_S15_EEDaS11_S12_SI_SN_EUlS11_E_NS1_11comp_targetILNS1_3genE5ELNS1_11target_archE942ELNS1_3gpuE9ELNS1_3repE0EEENS1_47radix_sort_onesweep_sort_config_static_selectorELNS0_4arch9wavefront6targetE1EEEvSI_.has_dyn_sized_stack, 0
	.set _ZN7rocprim17ROCPRIM_400000_NS6detail17trampoline_kernelINS0_14default_configENS1_35radix_sort_onesweep_config_selectorIddEEZZNS1_29radix_sort_onesweep_iterationIS3_Lb0EN6thrust23THRUST_200600_302600_NS6detail15normal_iteratorINS8_10device_ptrIdEEEESD_SD_SD_jNS0_19identity_decomposerENS1_16block_id_wrapperIjLb0EEEEE10hipError_tT1_PNSt15iterator_traitsISI_E10value_typeET2_T3_PNSJ_ISO_E10value_typeET4_T5_PST_SU_PNS1_23onesweep_lookback_stateEbbT6_jjT7_P12ihipStream_tbENKUlT_T0_SI_SN_E_clISD_PdSD_S15_EEDaS11_S12_SI_SN_EUlS11_E_NS1_11comp_targetILNS1_3genE5ELNS1_11target_archE942ELNS1_3gpuE9ELNS1_3repE0EEENS1_47radix_sort_onesweep_sort_config_static_selectorELNS0_4arch9wavefront6targetE1EEEvSI_.has_recursion, 0
	.set _ZN7rocprim17ROCPRIM_400000_NS6detail17trampoline_kernelINS0_14default_configENS1_35radix_sort_onesweep_config_selectorIddEEZZNS1_29radix_sort_onesweep_iterationIS3_Lb0EN6thrust23THRUST_200600_302600_NS6detail15normal_iteratorINS8_10device_ptrIdEEEESD_SD_SD_jNS0_19identity_decomposerENS1_16block_id_wrapperIjLb0EEEEE10hipError_tT1_PNSt15iterator_traitsISI_E10value_typeET2_T3_PNSJ_ISO_E10value_typeET4_T5_PST_SU_PNS1_23onesweep_lookback_stateEbbT6_jjT7_P12ihipStream_tbENKUlT_T0_SI_SN_E_clISD_PdSD_S15_EEDaS11_S12_SI_SN_EUlS11_E_NS1_11comp_targetILNS1_3genE5ELNS1_11target_archE942ELNS1_3gpuE9ELNS1_3repE0EEENS1_47radix_sort_onesweep_sort_config_static_selectorELNS0_4arch9wavefront6targetE1EEEvSI_.has_indirect_call, 0
	.section	.AMDGPU.csdata,"",@progbits
; Kernel info:
; codeLenInByte = 0
; TotalNumSgprs: 6
; NumVgprs: 0
; NumAgprs: 0
; TotalNumVgprs: 0
; ScratchSize: 0
; MemoryBound: 0
; FloatMode: 240
; IeeeMode: 1
; LDSByteSize: 0 bytes/workgroup (compile time only)
; SGPRBlocks: 0
; VGPRBlocks: 0
; NumSGPRsForWavesPerEU: 6
; NumVGPRsForWavesPerEU: 1
; AccumOffset: 4
; Occupancy: 8
; WaveLimiterHint : 0
; COMPUTE_PGM_RSRC2:SCRATCH_EN: 0
; COMPUTE_PGM_RSRC2:USER_SGPR: 2
; COMPUTE_PGM_RSRC2:TRAP_HANDLER: 0
; COMPUTE_PGM_RSRC2:TGID_X_EN: 1
; COMPUTE_PGM_RSRC2:TGID_Y_EN: 0
; COMPUTE_PGM_RSRC2:TGID_Z_EN: 0
; COMPUTE_PGM_RSRC2:TIDIG_COMP_CNT: 0
; COMPUTE_PGM_RSRC3_GFX90A:ACCUM_OFFSET: 0
; COMPUTE_PGM_RSRC3_GFX90A:TG_SPLIT: 0
	.section	.text._ZN7rocprim17ROCPRIM_400000_NS6detail17trampoline_kernelINS0_14default_configENS1_35radix_sort_onesweep_config_selectorIddEEZZNS1_29radix_sort_onesweep_iterationIS3_Lb0EN6thrust23THRUST_200600_302600_NS6detail15normal_iteratorINS8_10device_ptrIdEEEESD_SD_SD_jNS0_19identity_decomposerENS1_16block_id_wrapperIjLb0EEEEE10hipError_tT1_PNSt15iterator_traitsISI_E10value_typeET2_T3_PNSJ_ISO_E10value_typeET4_T5_PST_SU_PNS1_23onesweep_lookback_stateEbbT6_jjT7_P12ihipStream_tbENKUlT_T0_SI_SN_E_clISD_PdSD_S15_EEDaS11_S12_SI_SN_EUlS11_E_NS1_11comp_targetILNS1_3genE2ELNS1_11target_archE906ELNS1_3gpuE6ELNS1_3repE0EEENS1_47radix_sort_onesweep_sort_config_static_selectorELNS0_4arch9wavefront6targetE1EEEvSI_,"axG",@progbits,_ZN7rocprim17ROCPRIM_400000_NS6detail17trampoline_kernelINS0_14default_configENS1_35radix_sort_onesweep_config_selectorIddEEZZNS1_29radix_sort_onesweep_iterationIS3_Lb0EN6thrust23THRUST_200600_302600_NS6detail15normal_iteratorINS8_10device_ptrIdEEEESD_SD_SD_jNS0_19identity_decomposerENS1_16block_id_wrapperIjLb0EEEEE10hipError_tT1_PNSt15iterator_traitsISI_E10value_typeET2_T3_PNSJ_ISO_E10value_typeET4_T5_PST_SU_PNS1_23onesweep_lookback_stateEbbT6_jjT7_P12ihipStream_tbENKUlT_T0_SI_SN_E_clISD_PdSD_S15_EEDaS11_S12_SI_SN_EUlS11_E_NS1_11comp_targetILNS1_3genE2ELNS1_11target_archE906ELNS1_3gpuE6ELNS1_3repE0EEENS1_47radix_sort_onesweep_sort_config_static_selectorELNS0_4arch9wavefront6targetE1EEEvSI_,comdat
	.protected	_ZN7rocprim17ROCPRIM_400000_NS6detail17trampoline_kernelINS0_14default_configENS1_35radix_sort_onesweep_config_selectorIddEEZZNS1_29radix_sort_onesweep_iterationIS3_Lb0EN6thrust23THRUST_200600_302600_NS6detail15normal_iteratorINS8_10device_ptrIdEEEESD_SD_SD_jNS0_19identity_decomposerENS1_16block_id_wrapperIjLb0EEEEE10hipError_tT1_PNSt15iterator_traitsISI_E10value_typeET2_T3_PNSJ_ISO_E10value_typeET4_T5_PST_SU_PNS1_23onesweep_lookback_stateEbbT6_jjT7_P12ihipStream_tbENKUlT_T0_SI_SN_E_clISD_PdSD_S15_EEDaS11_S12_SI_SN_EUlS11_E_NS1_11comp_targetILNS1_3genE2ELNS1_11target_archE906ELNS1_3gpuE6ELNS1_3repE0EEENS1_47radix_sort_onesweep_sort_config_static_selectorELNS0_4arch9wavefront6targetE1EEEvSI_ ; -- Begin function _ZN7rocprim17ROCPRIM_400000_NS6detail17trampoline_kernelINS0_14default_configENS1_35radix_sort_onesweep_config_selectorIddEEZZNS1_29radix_sort_onesweep_iterationIS3_Lb0EN6thrust23THRUST_200600_302600_NS6detail15normal_iteratorINS8_10device_ptrIdEEEESD_SD_SD_jNS0_19identity_decomposerENS1_16block_id_wrapperIjLb0EEEEE10hipError_tT1_PNSt15iterator_traitsISI_E10value_typeET2_T3_PNSJ_ISO_E10value_typeET4_T5_PST_SU_PNS1_23onesweep_lookback_stateEbbT6_jjT7_P12ihipStream_tbENKUlT_T0_SI_SN_E_clISD_PdSD_S15_EEDaS11_S12_SI_SN_EUlS11_E_NS1_11comp_targetILNS1_3genE2ELNS1_11target_archE906ELNS1_3gpuE6ELNS1_3repE0EEENS1_47radix_sort_onesweep_sort_config_static_selectorELNS0_4arch9wavefront6targetE1EEEvSI_
	.globl	_ZN7rocprim17ROCPRIM_400000_NS6detail17trampoline_kernelINS0_14default_configENS1_35radix_sort_onesweep_config_selectorIddEEZZNS1_29radix_sort_onesweep_iterationIS3_Lb0EN6thrust23THRUST_200600_302600_NS6detail15normal_iteratorINS8_10device_ptrIdEEEESD_SD_SD_jNS0_19identity_decomposerENS1_16block_id_wrapperIjLb0EEEEE10hipError_tT1_PNSt15iterator_traitsISI_E10value_typeET2_T3_PNSJ_ISO_E10value_typeET4_T5_PST_SU_PNS1_23onesweep_lookback_stateEbbT6_jjT7_P12ihipStream_tbENKUlT_T0_SI_SN_E_clISD_PdSD_S15_EEDaS11_S12_SI_SN_EUlS11_E_NS1_11comp_targetILNS1_3genE2ELNS1_11target_archE906ELNS1_3gpuE6ELNS1_3repE0EEENS1_47radix_sort_onesweep_sort_config_static_selectorELNS0_4arch9wavefront6targetE1EEEvSI_
	.p2align	8
	.type	_ZN7rocprim17ROCPRIM_400000_NS6detail17trampoline_kernelINS0_14default_configENS1_35radix_sort_onesweep_config_selectorIddEEZZNS1_29radix_sort_onesweep_iterationIS3_Lb0EN6thrust23THRUST_200600_302600_NS6detail15normal_iteratorINS8_10device_ptrIdEEEESD_SD_SD_jNS0_19identity_decomposerENS1_16block_id_wrapperIjLb0EEEEE10hipError_tT1_PNSt15iterator_traitsISI_E10value_typeET2_T3_PNSJ_ISO_E10value_typeET4_T5_PST_SU_PNS1_23onesweep_lookback_stateEbbT6_jjT7_P12ihipStream_tbENKUlT_T0_SI_SN_E_clISD_PdSD_S15_EEDaS11_S12_SI_SN_EUlS11_E_NS1_11comp_targetILNS1_3genE2ELNS1_11target_archE906ELNS1_3gpuE6ELNS1_3repE0EEENS1_47radix_sort_onesweep_sort_config_static_selectorELNS0_4arch9wavefront6targetE1EEEvSI_,@function
_ZN7rocprim17ROCPRIM_400000_NS6detail17trampoline_kernelINS0_14default_configENS1_35radix_sort_onesweep_config_selectorIddEEZZNS1_29radix_sort_onesweep_iterationIS3_Lb0EN6thrust23THRUST_200600_302600_NS6detail15normal_iteratorINS8_10device_ptrIdEEEESD_SD_SD_jNS0_19identity_decomposerENS1_16block_id_wrapperIjLb0EEEEE10hipError_tT1_PNSt15iterator_traitsISI_E10value_typeET2_T3_PNSJ_ISO_E10value_typeET4_T5_PST_SU_PNS1_23onesweep_lookback_stateEbbT6_jjT7_P12ihipStream_tbENKUlT_T0_SI_SN_E_clISD_PdSD_S15_EEDaS11_S12_SI_SN_EUlS11_E_NS1_11comp_targetILNS1_3genE2ELNS1_11target_archE906ELNS1_3gpuE6ELNS1_3repE0EEENS1_47radix_sort_onesweep_sort_config_static_selectorELNS0_4arch9wavefront6targetE1EEEvSI_: ; @_ZN7rocprim17ROCPRIM_400000_NS6detail17trampoline_kernelINS0_14default_configENS1_35radix_sort_onesweep_config_selectorIddEEZZNS1_29radix_sort_onesweep_iterationIS3_Lb0EN6thrust23THRUST_200600_302600_NS6detail15normal_iteratorINS8_10device_ptrIdEEEESD_SD_SD_jNS0_19identity_decomposerENS1_16block_id_wrapperIjLb0EEEEE10hipError_tT1_PNSt15iterator_traitsISI_E10value_typeET2_T3_PNSJ_ISO_E10value_typeET4_T5_PST_SU_PNS1_23onesweep_lookback_stateEbbT6_jjT7_P12ihipStream_tbENKUlT_T0_SI_SN_E_clISD_PdSD_S15_EEDaS11_S12_SI_SN_EUlS11_E_NS1_11comp_targetILNS1_3genE2ELNS1_11target_archE906ELNS1_3gpuE6ELNS1_3repE0EEENS1_47radix_sort_onesweep_sort_config_static_selectorELNS0_4arch9wavefront6targetE1EEEvSI_
; %bb.0:
	.section	.rodata,"a",@progbits
	.p2align	6, 0x0
	.amdhsa_kernel _ZN7rocprim17ROCPRIM_400000_NS6detail17trampoline_kernelINS0_14default_configENS1_35radix_sort_onesweep_config_selectorIddEEZZNS1_29radix_sort_onesweep_iterationIS3_Lb0EN6thrust23THRUST_200600_302600_NS6detail15normal_iteratorINS8_10device_ptrIdEEEESD_SD_SD_jNS0_19identity_decomposerENS1_16block_id_wrapperIjLb0EEEEE10hipError_tT1_PNSt15iterator_traitsISI_E10value_typeET2_T3_PNSJ_ISO_E10value_typeET4_T5_PST_SU_PNS1_23onesweep_lookback_stateEbbT6_jjT7_P12ihipStream_tbENKUlT_T0_SI_SN_E_clISD_PdSD_S15_EEDaS11_S12_SI_SN_EUlS11_E_NS1_11comp_targetILNS1_3genE2ELNS1_11target_archE906ELNS1_3gpuE6ELNS1_3repE0EEENS1_47radix_sort_onesweep_sort_config_static_selectorELNS0_4arch9wavefront6targetE1EEEvSI_
		.amdhsa_group_segment_fixed_size 0
		.amdhsa_private_segment_fixed_size 0
		.amdhsa_kernarg_size 88
		.amdhsa_user_sgpr_count 2
		.amdhsa_user_sgpr_dispatch_ptr 0
		.amdhsa_user_sgpr_queue_ptr 0
		.amdhsa_user_sgpr_kernarg_segment_ptr 1
		.amdhsa_user_sgpr_dispatch_id 0
		.amdhsa_user_sgpr_kernarg_preload_length 0
		.amdhsa_user_sgpr_kernarg_preload_offset 0
		.amdhsa_user_sgpr_private_segment_size 0
		.amdhsa_uses_dynamic_stack 0
		.amdhsa_enable_private_segment 0
		.amdhsa_system_sgpr_workgroup_id_x 1
		.amdhsa_system_sgpr_workgroup_id_y 0
		.amdhsa_system_sgpr_workgroup_id_z 0
		.amdhsa_system_sgpr_workgroup_info 0
		.amdhsa_system_vgpr_workitem_id 0
		.amdhsa_next_free_vgpr 1
		.amdhsa_next_free_sgpr 0
		.amdhsa_accum_offset 4
		.amdhsa_reserve_vcc 0
		.amdhsa_float_round_mode_32 0
		.amdhsa_float_round_mode_16_64 0
		.amdhsa_float_denorm_mode_32 3
		.amdhsa_float_denorm_mode_16_64 3
		.amdhsa_dx10_clamp 1
		.amdhsa_ieee_mode 1
		.amdhsa_fp16_overflow 0
		.amdhsa_tg_split 0
		.amdhsa_exception_fp_ieee_invalid_op 0
		.amdhsa_exception_fp_denorm_src 0
		.amdhsa_exception_fp_ieee_div_zero 0
		.amdhsa_exception_fp_ieee_overflow 0
		.amdhsa_exception_fp_ieee_underflow 0
		.amdhsa_exception_fp_ieee_inexact 0
		.amdhsa_exception_int_div_zero 0
	.end_amdhsa_kernel
	.section	.text._ZN7rocprim17ROCPRIM_400000_NS6detail17trampoline_kernelINS0_14default_configENS1_35radix_sort_onesweep_config_selectorIddEEZZNS1_29radix_sort_onesweep_iterationIS3_Lb0EN6thrust23THRUST_200600_302600_NS6detail15normal_iteratorINS8_10device_ptrIdEEEESD_SD_SD_jNS0_19identity_decomposerENS1_16block_id_wrapperIjLb0EEEEE10hipError_tT1_PNSt15iterator_traitsISI_E10value_typeET2_T3_PNSJ_ISO_E10value_typeET4_T5_PST_SU_PNS1_23onesweep_lookback_stateEbbT6_jjT7_P12ihipStream_tbENKUlT_T0_SI_SN_E_clISD_PdSD_S15_EEDaS11_S12_SI_SN_EUlS11_E_NS1_11comp_targetILNS1_3genE2ELNS1_11target_archE906ELNS1_3gpuE6ELNS1_3repE0EEENS1_47radix_sort_onesweep_sort_config_static_selectorELNS0_4arch9wavefront6targetE1EEEvSI_,"axG",@progbits,_ZN7rocprim17ROCPRIM_400000_NS6detail17trampoline_kernelINS0_14default_configENS1_35radix_sort_onesweep_config_selectorIddEEZZNS1_29radix_sort_onesweep_iterationIS3_Lb0EN6thrust23THRUST_200600_302600_NS6detail15normal_iteratorINS8_10device_ptrIdEEEESD_SD_SD_jNS0_19identity_decomposerENS1_16block_id_wrapperIjLb0EEEEE10hipError_tT1_PNSt15iterator_traitsISI_E10value_typeET2_T3_PNSJ_ISO_E10value_typeET4_T5_PST_SU_PNS1_23onesweep_lookback_stateEbbT6_jjT7_P12ihipStream_tbENKUlT_T0_SI_SN_E_clISD_PdSD_S15_EEDaS11_S12_SI_SN_EUlS11_E_NS1_11comp_targetILNS1_3genE2ELNS1_11target_archE906ELNS1_3gpuE6ELNS1_3repE0EEENS1_47radix_sort_onesweep_sort_config_static_selectorELNS0_4arch9wavefront6targetE1EEEvSI_,comdat
.Lfunc_end148:
	.size	_ZN7rocprim17ROCPRIM_400000_NS6detail17trampoline_kernelINS0_14default_configENS1_35radix_sort_onesweep_config_selectorIddEEZZNS1_29radix_sort_onesweep_iterationIS3_Lb0EN6thrust23THRUST_200600_302600_NS6detail15normal_iteratorINS8_10device_ptrIdEEEESD_SD_SD_jNS0_19identity_decomposerENS1_16block_id_wrapperIjLb0EEEEE10hipError_tT1_PNSt15iterator_traitsISI_E10value_typeET2_T3_PNSJ_ISO_E10value_typeET4_T5_PST_SU_PNS1_23onesweep_lookback_stateEbbT6_jjT7_P12ihipStream_tbENKUlT_T0_SI_SN_E_clISD_PdSD_S15_EEDaS11_S12_SI_SN_EUlS11_E_NS1_11comp_targetILNS1_3genE2ELNS1_11target_archE906ELNS1_3gpuE6ELNS1_3repE0EEENS1_47radix_sort_onesweep_sort_config_static_selectorELNS0_4arch9wavefront6targetE1EEEvSI_, .Lfunc_end148-_ZN7rocprim17ROCPRIM_400000_NS6detail17trampoline_kernelINS0_14default_configENS1_35radix_sort_onesweep_config_selectorIddEEZZNS1_29radix_sort_onesweep_iterationIS3_Lb0EN6thrust23THRUST_200600_302600_NS6detail15normal_iteratorINS8_10device_ptrIdEEEESD_SD_SD_jNS0_19identity_decomposerENS1_16block_id_wrapperIjLb0EEEEE10hipError_tT1_PNSt15iterator_traitsISI_E10value_typeET2_T3_PNSJ_ISO_E10value_typeET4_T5_PST_SU_PNS1_23onesweep_lookback_stateEbbT6_jjT7_P12ihipStream_tbENKUlT_T0_SI_SN_E_clISD_PdSD_S15_EEDaS11_S12_SI_SN_EUlS11_E_NS1_11comp_targetILNS1_3genE2ELNS1_11target_archE906ELNS1_3gpuE6ELNS1_3repE0EEENS1_47radix_sort_onesweep_sort_config_static_selectorELNS0_4arch9wavefront6targetE1EEEvSI_
                                        ; -- End function
	.set _ZN7rocprim17ROCPRIM_400000_NS6detail17trampoline_kernelINS0_14default_configENS1_35radix_sort_onesweep_config_selectorIddEEZZNS1_29radix_sort_onesweep_iterationIS3_Lb0EN6thrust23THRUST_200600_302600_NS6detail15normal_iteratorINS8_10device_ptrIdEEEESD_SD_SD_jNS0_19identity_decomposerENS1_16block_id_wrapperIjLb0EEEEE10hipError_tT1_PNSt15iterator_traitsISI_E10value_typeET2_T3_PNSJ_ISO_E10value_typeET4_T5_PST_SU_PNS1_23onesweep_lookback_stateEbbT6_jjT7_P12ihipStream_tbENKUlT_T0_SI_SN_E_clISD_PdSD_S15_EEDaS11_S12_SI_SN_EUlS11_E_NS1_11comp_targetILNS1_3genE2ELNS1_11target_archE906ELNS1_3gpuE6ELNS1_3repE0EEENS1_47radix_sort_onesweep_sort_config_static_selectorELNS0_4arch9wavefront6targetE1EEEvSI_.num_vgpr, 0
	.set _ZN7rocprim17ROCPRIM_400000_NS6detail17trampoline_kernelINS0_14default_configENS1_35radix_sort_onesweep_config_selectorIddEEZZNS1_29radix_sort_onesweep_iterationIS3_Lb0EN6thrust23THRUST_200600_302600_NS6detail15normal_iteratorINS8_10device_ptrIdEEEESD_SD_SD_jNS0_19identity_decomposerENS1_16block_id_wrapperIjLb0EEEEE10hipError_tT1_PNSt15iterator_traitsISI_E10value_typeET2_T3_PNSJ_ISO_E10value_typeET4_T5_PST_SU_PNS1_23onesweep_lookback_stateEbbT6_jjT7_P12ihipStream_tbENKUlT_T0_SI_SN_E_clISD_PdSD_S15_EEDaS11_S12_SI_SN_EUlS11_E_NS1_11comp_targetILNS1_3genE2ELNS1_11target_archE906ELNS1_3gpuE6ELNS1_3repE0EEENS1_47radix_sort_onesweep_sort_config_static_selectorELNS0_4arch9wavefront6targetE1EEEvSI_.num_agpr, 0
	.set _ZN7rocprim17ROCPRIM_400000_NS6detail17trampoline_kernelINS0_14default_configENS1_35radix_sort_onesweep_config_selectorIddEEZZNS1_29radix_sort_onesweep_iterationIS3_Lb0EN6thrust23THRUST_200600_302600_NS6detail15normal_iteratorINS8_10device_ptrIdEEEESD_SD_SD_jNS0_19identity_decomposerENS1_16block_id_wrapperIjLb0EEEEE10hipError_tT1_PNSt15iterator_traitsISI_E10value_typeET2_T3_PNSJ_ISO_E10value_typeET4_T5_PST_SU_PNS1_23onesweep_lookback_stateEbbT6_jjT7_P12ihipStream_tbENKUlT_T0_SI_SN_E_clISD_PdSD_S15_EEDaS11_S12_SI_SN_EUlS11_E_NS1_11comp_targetILNS1_3genE2ELNS1_11target_archE906ELNS1_3gpuE6ELNS1_3repE0EEENS1_47radix_sort_onesweep_sort_config_static_selectorELNS0_4arch9wavefront6targetE1EEEvSI_.numbered_sgpr, 0
	.set _ZN7rocprim17ROCPRIM_400000_NS6detail17trampoline_kernelINS0_14default_configENS1_35radix_sort_onesweep_config_selectorIddEEZZNS1_29radix_sort_onesweep_iterationIS3_Lb0EN6thrust23THRUST_200600_302600_NS6detail15normal_iteratorINS8_10device_ptrIdEEEESD_SD_SD_jNS0_19identity_decomposerENS1_16block_id_wrapperIjLb0EEEEE10hipError_tT1_PNSt15iterator_traitsISI_E10value_typeET2_T3_PNSJ_ISO_E10value_typeET4_T5_PST_SU_PNS1_23onesweep_lookback_stateEbbT6_jjT7_P12ihipStream_tbENKUlT_T0_SI_SN_E_clISD_PdSD_S15_EEDaS11_S12_SI_SN_EUlS11_E_NS1_11comp_targetILNS1_3genE2ELNS1_11target_archE906ELNS1_3gpuE6ELNS1_3repE0EEENS1_47radix_sort_onesweep_sort_config_static_selectorELNS0_4arch9wavefront6targetE1EEEvSI_.num_named_barrier, 0
	.set _ZN7rocprim17ROCPRIM_400000_NS6detail17trampoline_kernelINS0_14default_configENS1_35radix_sort_onesweep_config_selectorIddEEZZNS1_29radix_sort_onesweep_iterationIS3_Lb0EN6thrust23THRUST_200600_302600_NS6detail15normal_iteratorINS8_10device_ptrIdEEEESD_SD_SD_jNS0_19identity_decomposerENS1_16block_id_wrapperIjLb0EEEEE10hipError_tT1_PNSt15iterator_traitsISI_E10value_typeET2_T3_PNSJ_ISO_E10value_typeET4_T5_PST_SU_PNS1_23onesweep_lookback_stateEbbT6_jjT7_P12ihipStream_tbENKUlT_T0_SI_SN_E_clISD_PdSD_S15_EEDaS11_S12_SI_SN_EUlS11_E_NS1_11comp_targetILNS1_3genE2ELNS1_11target_archE906ELNS1_3gpuE6ELNS1_3repE0EEENS1_47radix_sort_onesweep_sort_config_static_selectorELNS0_4arch9wavefront6targetE1EEEvSI_.private_seg_size, 0
	.set _ZN7rocprim17ROCPRIM_400000_NS6detail17trampoline_kernelINS0_14default_configENS1_35radix_sort_onesweep_config_selectorIddEEZZNS1_29radix_sort_onesweep_iterationIS3_Lb0EN6thrust23THRUST_200600_302600_NS6detail15normal_iteratorINS8_10device_ptrIdEEEESD_SD_SD_jNS0_19identity_decomposerENS1_16block_id_wrapperIjLb0EEEEE10hipError_tT1_PNSt15iterator_traitsISI_E10value_typeET2_T3_PNSJ_ISO_E10value_typeET4_T5_PST_SU_PNS1_23onesweep_lookback_stateEbbT6_jjT7_P12ihipStream_tbENKUlT_T0_SI_SN_E_clISD_PdSD_S15_EEDaS11_S12_SI_SN_EUlS11_E_NS1_11comp_targetILNS1_3genE2ELNS1_11target_archE906ELNS1_3gpuE6ELNS1_3repE0EEENS1_47radix_sort_onesweep_sort_config_static_selectorELNS0_4arch9wavefront6targetE1EEEvSI_.uses_vcc, 0
	.set _ZN7rocprim17ROCPRIM_400000_NS6detail17trampoline_kernelINS0_14default_configENS1_35radix_sort_onesweep_config_selectorIddEEZZNS1_29radix_sort_onesweep_iterationIS3_Lb0EN6thrust23THRUST_200600_302600_NS6detail15normal_iteratorINS8_10device_ptrIdEEEESD_SD_SD_jNS0_19identity_decomposerENS1_16block_id_wrapperIjLb0EEEEE10hipError_tT1_PNSt15iterator_traitsISI_E10value_typeET2_T3_PNSJ_ISO_E10value_typeET4_T5_PST_SU_PNS1_23onesweep_lookback_stateEbbT6_jjT7_P12ihipStream_tbENKUlT_T0_SI_SN_E_clISD_PdSD_S15_EEDaS11_S12_SI_SN_EUlS11_E_NS1_11comp_targetILNS1_3genE2ELNS1_11target_archE906ELNS1_3gpuE6ELNS1_3repE0EEENS1_47radix_sort_onesweep_sort_config_static_selectorELNS0_4arch9wavefront6targetE1EEEvSI_.uses_flat_scratch, 0
	.set _ZN7rocprim17ROCPRIM_400000_NS6detail17trampoline_kernelINS0_14default_configENS1_35radix_sort_onesweep_config_selectorIddEEZZNS1_29radix_sort_onesweep_iterationIS3_Lb0EN6thrust23THRUST_200600_302600_NS6detail15normal_iteratorINS8_10device_ptrIdEEEESD_SD_SD_jNS0_19identity_decomposerENS1_16block_id_wrapperIjLb0EEEEE10hipError_tT1_PNSt15iterator_traitsISI_E10value_typeET2_T3_PNSJ_ISO_E10value_typeET4_T5_PST_SU_PNS1_23onesweep_lookback_stateEbbT6_jjT7_P12ihipStream_tbENKUlT_T0_SI_SN_E_clISD_PdSD_S15_EEDaS11_S12_SI_SN_EUlS11_E_NS1_11comp_targetILNS1_3genE2ELNS1_11target_archE906ELNS1_3gpuE6ELNS1_3repE0EEENS1_47radix_sort_onesweep_sort_config_static_selectorELNS0_4arch9wavefront6targetE1EEEvSI_.has_dyn_sized_stack, 0
	.set _ZN7rocprim17ROCPRIM_400000_NS6detail17trampoline_kernelINS0_14default_configENS1_35radix_sort_onesweep_config_selectorIddEEZZNS1_29radix_sort_onesweep_iterationIS3_Lb0EN6thrust23THRUST_200600_302600_NS6detail15normal_iteratorINS8_10device_ptrIdEEEESD_SD_SD_jNS0_19identity_decomposerENS1_16block_id_wrapperIjLb0EEEEE10hipError_tT1_PNSt15iterator_traitsISI_E10value_typeET2_T3_PNSJ_ISO_E10value_typeET4_T5_PST_SU_PNS1_23onesweep_lookback_stateEbbT6_jjT7_P12ihipStream_tbENKUlT_T0_SI_SN_E_clISD_PdSD_S15_EEDaS11_S12_SI_SN_EUlS11_E_NS1_11comp_targetILNS1_3genE2ELNS1_11target_archE906ELNS1_3gpuE6ELNS1_3repE0EEENS1_47radix_sort_onesweep_sort_config_static_selectorELNS0_4arch9wavefront6targetE1EEEvSI_.has_recursion, 0
	.set _ZN7rocprim17ROCPRIM_400000_NS6detail17trampoline_kernelINS0_14default_configENS1_35radix_sort_onesweep_config_selectorIddEEZZNS1_29radix_sort_onesweep_iterationIS3_Lb0EN6thrust23THRUST_200600_302600_NS6detail15normal_iteratorINS8_10device_ptrIdEEEESD_SD_SD_jNS0_19identity_decomposerENS1_16block_id_wrapperIjLb0EEEEE10hipError_tT1_PNSt15iterator_traitsISI_E10value_typeET2_T3_PNSJ_ISO_E10value_typeET4_T5_PST_SU_PNS1_23onesweep_lookback_stateEbbT6_jjT7_P12ihipStream_tbENKUlT_T0_SI_SN_E_clISD_PdSD_S15_EEDaS11_S12_SI_SN_EUlS11_E_NS1_11comp_targetILNS1_3genE2ELNS1_11target_archE906ELNS1_3gpuE6ELNS1_3repE0EEENS1_47radix_sort_onesweep_sort_config_static_selectorELNS0_4arch9wavefront6targetE1EEEvSI_.has_indirect_call, 0
	.section	.AMDGPU.csdata,"",@progbits
; Kernel info:
; codeLenInByte = 0
; TotalNumSgprs: 6
; NumVgprs: 0
; NumAgprs: 0
; TotalNumVgprs: 0
; ScratchSize: 0
; MemoryBound: 0
; FloatMode: 240
; IeeeMode: 1
; LDSByteSize: 0 bytes/workgroup (compile time only)
; SGPRBlocks: 0
; VGPRBlocks: 0
; NumSGPRsForWavesPerEU: 6
; NumVGPRsForWavesPerEU: 1
; AccumOffset: 4
; Occupancy: 8
; WaveLimiterHint : 0
; COMPUTE_PGM_RSRC2:SCRATCH_EN: 0
; COMPUTE_PGM_RSRC2:USER_SGPR: 2
; COMPUTE_PGM_RSRC2:TRAP_HANDLER: 0
; COMPUTE_PGM_RSRC2:TGID_X_EN: 1
; COMPUTE_PGM_RSRC2:TGID_Y_EN: 0
; COMPUTE_PGM_RSRC2:TGID_Z_EN: 0
; COMPUTE_PGM_RSRC2:TIDIG_COMP_CNT: 0
; COMPUTE_PGM_RSRC3_GFX90A:ACCUM_OFFSET: 0
; COMPUTE_PGM_RSRC3_GFX90A:TG_SPLIT: 0
	.section	.text._ZN7rocprim17ROCPRIM_400000_NS6detail17trampoline_kernelINS0_14default_configENS1_35radix_sort_onesweep_config_selectorIddEEZZNS1_29radix_sort_onesweep_iterationIS3_Lb0EN6thrust23THRUST_200600_302600_NS6detail15normal_iteratorINS8_10device_ptrIdEEEESD_SD_SD_jNS0_19identity_decomposerENS1_16block_id_wrapperIjLb0EEEEE10hipError_tT1_PNSt15iterator_traitsISI_E10value_typeET2_T3_PNSJ_ISO_E10value_typeET4_T5_PST_SU_PNS1_23onesweep_lookback_stateEbbT6_jjT7_P12ihipStream_tbENKUlT_T0_SI_SN_E_clISD_PdSD_S15_EEDaS11_S12_SI_SN_EUlS11_E_NS1_11comp_targetILNS1_3genE4ELNS1_11target_archE910ELNS1_3gpuE8ELNS1_3repE0EEENS1_47radix_sort_onesweep_sort_config_static_selectorELNS0_4arch9wavefront6targetE1EEEvSI_,"axG",@progbits,_ZN7rocprim17ROCPRIM_400000_NS6detail17trampoline_kernelINS0_14default_configENS1_35radix_sort_onesweep_config_selectorIddEEZZNS1_29radix_sort_onesweep_iterationIS3_Lb0EN6thrust23THRUST_200600_302600_NS6detail15normal_iteratorINS8_10device_ptrIdEEEESD_SD_SD_jNS0_19identity_decomposerENS1_16block_id_wrapperIjLb0EEEEE10hipError_tT1_PNSt15iterator_traitsISI_E10value_typeET2_T3_PNSJ_ISO_E10value_typeET4_T5_PST_SU_PNS1_23onesweep_lookback_stateEbbT6_jjT7_P12ihipStream_tbENKUlT_T0_SI_SN_E_clISD_PdSD_S15_EEDaS11_S12_SI_SN_EUlS11_E_NS1_11comp_targetILNS1_3genE4ELNS1_11target_archE910ELNS1_3gpuE8ELNS1_3repE0EEENS1_47radix_sort_onesweep_sort_config_static_selectorELNS0_4arch9wavefront6targetE1EEEvSI_,comdat
	.protected	_ZN7rocprim17ROCPRIM_400000_NS6detail17trampoline_kernelINS0_14default_configENS1_35radix_sort_onesweep_config_selectorIddEEZZNS1_29radix_sort_onesweep_iterationIS3_Lb0EN6thrust23THRUST_200600_302600_NS6detail15normal_iteratorINS8_10device_ptrIdEEEESD_SD_SD_jNS0_19identity_decomposerENS1_16block_id_wrapperIjLb0EEEEE10hipError_tT1_PNSt15iterator_traitsISI_E10value_typeET2_T3_PNSJ_ISO_E10value_typeET4_T5_PST_SU_PNS1_23onesweep_lookback_stateEbbT6_jjT7_P12ihipStream_tbENKUlT_T0_SI_SN_E_clISD_PdSD_S15_EEDaS11_S12_SI_SN_EUlS11_E_NS1_11comp_targetILNS1_3genE4ELNS1_11target_archE910ELNS1_3gpuE8ELNS1_3repE0EEENS1_47radix_sort_onesweep_sort_config_static_selectorELNS0_4arch9wavefront6targetE1EEEvSI_ ; -- Begin function _ZN7rocprim17ROCPRIM_400000_NS6detail17trampoline_kernelINS0_14default_configENS1_35radix_sort_onesweep_config_selectorIddEEZZNS1_29radix_sort_onesweep_iterationIS3_Lb0EN6thrust23THRUST_200600_302600_NS6detail15normal_iteratorINS8_10device_ptrIdEEEESD_SD_SD_jNS0_19identity_decomposerENS1_16block_id_wrapperIjLb0EEEEE10hipError_tT1_PNSt15iterator_traitsISI_E10value_typeET2_T3_PNSJ_ISO_E10value_typeET4_T5_PST_SU_PNS1_23onesweep_lookback_stateEbbT6_jjT7_P12ihipStream_tbENKUlT_T0_SI_SN_E_clISD_PdSD_S15_EEDaS11_S12_SI_SN_EUlS11_E_NS1_11comp_targetILNS1_3genE4ELNS1_11target_archE910ELNS1_3gpuE8ELNS1_3repE0EEENS1_47radix_sort_onesweep_sort_config_static_selectorELNS0_4arch9wavefront6targetE1EEEvSI_
	.globl	_ZN7rocprim17ROCPRIM_400000_NS6detail17trampoline_kernelINS0_14default_configENS1_35radix_sort_onesweep_config_selectorIddEEZZNS1_29radix_sort_onesweep_iterationIS3_Lb0EN6thrust23THRUST_200600_302600_NS6detail15normal_iteratorINS8_10device_ptrIdEEEESD_SD_SD_jNS0_19identity_decomposerENS1_16block_id_wrapperIjLb0EEEEE10hipError_tT1_PNSt15iterator_traitsISI_E10value_typeET2_T3_PNSJ_ISO_E10value_typeET4_T5_PST_SU_PNS1_23onesweep_lookback_stateEbbT6_jjT7_P12ihipStream_tbENKUlT_T0_SI_SN_E_clISD_PdSD_S15_EEDaS11_S12_SI_SN_EUlS11_E_NS1_11comp_targetILNS1_3genE4ELNS1_11target_archE910ELNS1_3gpuE8ELNS1_3repE0EEENS1_47radix_sort_onesweep_sort_config_static_selectorELNS0_4arch9wavefront6targetE1EEEvSI_
	.p2align	8
	.type	_ZN7rocprim17ROCPRIM_400000_NS6detail17trampoline_kernelINS0_14default_configENS1_35radix_sort_onesweep_config_selectorIddEEZZNS1_29radix_sort_onesweep_iterationIS3_Lb0EN6thrust23THRUST_200600_302600_NS6detail15normal_iteratorINS8_10device_ptrIdEEEESD_SD_SD_jNS0_19identity_decomposerENS1_16block_id_wrapperIjLb0EEEEE10hipError_tT1_PNSt15iterator_traitsISI_E10value_typeET2_T3_PNSJ_ISO_E10value_typeET4_T5_PST_SU_PNS1_23onesweep_lookback_stateEbbT6_jjT7_P12ihipStream_tbENKUlT_T0_SI_SN_E_clISD_PdSD_S15_EEDaS11_S12_SI_SN_EUlS11_E_NS1_11comp_targetILNS1_3genE4ELNS1_11target_archE910ELNS1_3gpuE8ELNS1_3repE0EEENS1_47radix_sort_onesweep_sort_config_static_selectorELNS0_4arch9wavefront6targetE1EEEvSI_,@function
_ZN7rocprim17ROCPRIM_400000_NS6detail17trampoline_kernelINS0_14default_configENS1_35radix_sort_onesweep_config_selectorIddEEZZNS1_29radix_sort_onesweep_iterationIS3_Lb0EN6thrust23THRUST_200600_302600_NS6detail15normal_iteratorINS8_10device_ptrIdEEEESD_SD_SD_jNS0_19identity_decomposerENS1_16block_id_wrapperIjLb0EEEEE10hipError_tT1_PNSt15iterator_traitsISI_E10value_typeET2_T3_PNSJ_ISO_E10value_typeET4_T5_PST_SU_PNS1_23onesweep_lookback_stateEbbT6_jjT7_P12ihipStream_tbENKUlT_T0_SI_SN_E_clISD_PdSD_S15_EEDaS11_S12_SI_SN_EUlS11_E_NS1_11comp_targetILNS1_3genE4ELNS1_11target_archE910ELNS1_3gpuE8ELNS1_3repE0EEENS1_47radix_sort_onesweep_sort_config_static_selectorELNS0_4arch9wavefront6targetE1EEEvSI_: ; @_ZN7rocprim17ROCPRIM_400000_NS6detail17trampoline_kernelINS0_14default_configENS1_35radix_sort_onesweep_config_selectorIddEEZZNS1_29radix_sort_onesweep_iterationIS3_Lb0EN6thrust23THRUST_200600_302600_NS6detail15normal_iteratorINS8_10device_ptrIdEEEESD_SD_SD_jNS0_19identity_decomposerENS1_16block_id_wrapperIjLb0EEEEE10hipError_tT1_PNSt15iterator_traitsISI_E10value_typeET2_T3_PNSJ_ISO_E10value_typeET4_T5_PST_SU_PNS1_23onesweep_lookback_stateEbbT6_jjT7_P12ihipStream_tbENKUlT_T0_SI_SN_E_clISD_PdSD_S15_EEDaS11_S12_SI_SN_EUlS11_E_NS1_11comp_targetILNS1_3genE4ELNS1_11target_archE910ELNS1_3gpuE8ELNS1_3repE0EEENS1_47radix_sort_onesweep_sort_config_static_selectorELNS0_4arch9wavefront6targetE1EEEvSI_
; %bb.0:
	.section	.rodata,"a",@progbits
	.p2align	6, 0x0
	.amdhsa_kernel _ZN7rocprim17ROCPRIM_400000_NS6detail17trampoline_kernelINS0_14default_configENS1_35radix_sort_onesweep_config_selectorIddEEZZNS1_29radix_sort_onesweep_iterationIS3_Lb0EN6thrust23THRUST_200600_302600_NS6detail15normal_iteratorINS8_10device_ptrIdEEEESD_SD_SD_jNS0_19identity_decomposerENS1_16block_id_wrapperIjLb0EEEEE10hipError_tT1_PNSt15iterator_traitsISI_E10value_typeET2_T3_PNSJ_ISO_E10value_typeET4_T5_PST_SU_PNS1_23onesweep_lookback_stateEbbT6_jjT7_P12ihipStream_tbENKUlT_T0_SI_SN_E_clISD_PdSD_S15_EEDaS11_S12_SI_SN_EUlS11_E_NS1_11comp_targetILNS1_3genE4ELNS1_11target_archE910ELNS1_3gpuE8ELNS1_3repE0EEENS1_47radix_sort_onesweep_sort_config_static_selectorELNS0_4arch9wavefront6targetE1EEEvSI_
		.amdhsa_group_segment_fixed_size 0
		.amdhsa_private_segment_fixed_size 0
		.amdhsa_kernarg_size 88
		.amdhsa_user_sgpr_count 2
		.amdhsa_user_sgpr_dispatch_ptr 0
		.amdhsa_user_sgpr_queue_ptr 0
		.amdhsa_user_sgpr_kernarg_segment_ptr 1
		.amdhsa_user_sgpr_dispatch_id 0
		.amdhsa_user_sgpr_kernarg_preload_length 0
		.amdhsa_user_sgpr_kernarg_preload_offset 0
		.amdhsa_user_sgpr_private_segment_size 0
		.amdhsa_uses_dynamic_stack 0
		.amdhsa_enable_private_segment 0
		.amdhsa_system_sgpr_workgroup_id_x 1
		.amdhsa_system_sgpr_workgroup_id_y 0
		.amdhsa_system_sgpr_workgroup_id_z 0
		.amdhsa_system_sgpr_workgroup_info 0
		.amdhsa_system_vgpr_workitem_id 0
		.amdhsa_next_free_vgpr 1
		.amdhsa_next_free_sgpr 0
		.amdhsa_accum_offset 4
		.amdhsa_reserve_vcc 0
		.amdhsa_float_round_mode_32 0
		.amdhsa_float_round_mode_16_64 0
		.amdhsa_float_denorm_mode_32 3
		.amdhsa_float_denorm_mode_16_64 3
		.amdhsa_dx10_clamp 1
		.amdhsa_ieee_mode 1
		.amdhsa_fp16_overflow 0
		.amdhsa_tg_split 0
		.amdhsa_exception_fp_ieee_invalid_op 0
		.amdhsa_exception_fp_denorm_src 0
		.amdhsa_exception_fp_ieee_div_zero 0
		.amdhsa_exception_fp_ieee_overflow 0
		.amdhsa_exception_fp_ieee_underflow 0
		.amdhsa_exception_fp_ieee_inexact 0
		.amdhsa_exception_int_div_zero 0
	.end_amdhsa_kernel
	.section	.text._ZN7rocprim17ROCPRIM_400000_NS6detail17trampoline_kernelINS0_14default_configENS1_35radix_sort_onesweep_config_selectorIddEEZZNS1_29radix_sort_onesweep_iterationIS3_Lb0EN6thrust23THRUST_200600_302600_NS6detail15normal_iteratorINS8_10device_ptrIdEEEESD_SD_SD_jNS0_19identity_decomposerENS1_16block_id_wrapperIjLb0EEEEE10hipError_tT1_PNSt15iterator_traitsISI_E10value_typeET2_T3_PNSJ_ISO_E10value_typeET4_T5_PST_SU_PNS1_23onesweep_lookback_stateEbbT6_jjT7_P12ihipStream_tbENKUlT_T0_SI_SN_E_clISD_PdSD_S15_EEDaS11_S12_SI_SN_EUlS11_E_NS1_11comp_targetILNS1_3genE4ELNS1_11target_archE910ELNS1_3gpuE8ELNS1_3repE0EEENS1_47radix_sort_onesweep_sort_config_static_selectorELNS0_4arch9wavefront6targetE1EEEvSI_,"axG",@progbits,_ZN7rocprim17ROCPRIM_400000_NS6detail17trampoline_kernelINS0_14default_configENS1_35radix_sort_onesweep_config_selectorIddEEZZNS1_29radix_sort_onesweep_iterationIS3_Lb0EN6thrust23THRUST_200600_302600_NS6detail15normal_iteratorINS8_10device_ptrIdEEEESD_SD_SD_jNS0_19identity_decomposerENS1_16block_id_wrapperIjLb0EEEEE10hipError_tT1_PNSt15iterator_traitsISI_E10value_typeET2_T3_PNSJ_ISO_E10value_typeET4_T5_PST_SU_PNS1_23onesweep_lookback_stateEbbT6_jjT7_P12ihipStream_tbENKUlT_T0_SI_SN_E_clISD_PdSD_S15_EEDaS11_S12_SI_SN_EUlS11_E_NS1_11comp_targetILNS1_3genE4ELNS1_11target_archE910ELNS1_3gpuE8ELNS1_3repE0EEENS1_47radix_sort_onesweep_sort_config_static_selectorELNS0_4arch9wavefront6targetE1EEEvSI_,comdat
.Lfunc_end149:
	.size	_ZN7rocprim17ROCPRIM_400000_NS6detail17trampoline_kernelINS0_14default_configENS1_35radix_sort_onesweep_config_selectorIddEEZZNS1_29radix_sort_onesweep_iterationIS3_Lb0EN6thrust23THRUST_200600_302600_NS6detail15normal_iteratorINS8_10device_ptrIdEEEESD_SD_SD_jNS0_19identity_decomposerENS1_16block_id_wrapperIjLb0EEEEE10hipError_tT1_PNSt15iterator_traitsISI_E10value_typeET2_T3_PNSJ_ISO_E10value_typeET4_T5_PST_SU_PNS1_23onesweep_lookback_stateEbbT6_jjT7_P12ihipStream_tbENKUlT_T0_SI_SN_E_clISD_PdSD_S15_EEDaS11_S12_SI_SN_EUlS11_E_NS1_11comp_targetILNS1_3genE4ELNS1_11target_archE910ELNS1_3gpuE8ELNS1_3repE0EEENS1_47radix_sort_onesweep_sort_config_static_selectorELNS0_4arch9wavefront6targetE1EEEvSI_, .Lfunc_end149-_ZN7rocprim17ROCPRIM_400000_NS6detail17trampoline_kernelINS0_14default_configENS1_35radix_sort_onesweep_config_selectorIddEEZZNS1_29radix_sort_onesweep_iterationIS3_Lb0EN6thrust23THRUST_200600_302600_NS6detail15normal_iteratorINS8_10device_ptrIdEEEESD_SD_SD_jNS0_19identity_decomposerENS1_16block_id_wrapperIjLb0EEEEE10hipError_tT1_PNSt15iterator_traitsISI_E10value_typeET2_T3_PNSJ_ISO_E10value_typeET4_T5_PST_SU_PNS1_23onesweep_lookback_stateEbbT6_jjT7_P12ihipStream_tbENKUlT_T0_SI_SN_E_clISD_PdSD_S15_EEDaS11_S12_SI_SN_EUlS11_E_NS1_11comp_targetILNS1_3genE4ELNS1_11target_archE910ELNS1_3gpuE8ELNS1_3repE0EEENS1_47radix_sort_onesweep_sort_config_static_selectorELNS0_4arch9wavefront6targetE1EEEvSI_
                                        ; -- End function
	.set _ZN7rocprim17ROCPRIM_400000_NS6detail17trampoline_kernelINS0_14default_configENS1_35radix_sort_onesweep_config_selectorIddEEZZNS1_29radix_sort_onesweep_iterationIS3_Lb0EN6thrust23THRUST_200600_302600_NS6detail15normal_iteratorINS8_10device_ptrIdEEEESD_SD_SD_jNS0_19identity_decomposerENS1_16block_id_wrapperIjLb0EEEEE10hipError_tT1_PNSt15iterator_traitsISI_E10value_typeET2_T3_PNSJ_ISO_E10value_typeET4_T5_PST_SU_PNS1_23onesweep_lookback_stateEbbT6_jjT7_P12ihipStream_tbENKUlT_T0_SI_SN_E_clISD_PdSD_S15_EEDaS11_S12_SI_SN_EUlS11_E_NS1_11comp_targetILNS1_3genE4ELNS1_11target_archE910ELNS1_3gpuE8ELNS1_3repE0EEENS1_47radix_sort_onesweep_sort_config_static_selectorELNS0_4arch9wavefront6targetE1EEEvSI_.num_vgpr, 0
	.set _ZN7rocprim17ROCPRIM_400000_NS6detail17trampoline_kernelINS0_14default_configENS1_35radix_sort_onesweep_config_selectorIddEEZZNS1_29radix_sort_onesweep_iterationIS3_Lb0EN6thrust23THRUST_200600_302600_NS6detail15normal_iteratorINS8_10device_ptrIdEEEESD_SD_SD_jNS0_19identity_decomposerENS1_16block_id_wrapperIjLb0EEEEE10hipError_tT1_PNSt15iterator_traitsISI_E10value_typeET2_T3_PNSJ_ISO_E10value_typeET4_T5_PST_SU_PNS1_23onesweep_lookback_stateEbbT6_jjT7_P12ihipStream_tbENKUlT_T0_SI_SN_E_clISD_PdSD_S15_EEDaS11_S12_SI_SN_EUlS11_E_NS1_11comp_targetILNS1_3genE4ELNS1_11target_archE910ELNS1_3gpuE8ELNS1_3repE0EEENS1_47radix_sort_onesweep_sort_config_static_selectorELNS0_4arch9wavefront6targetE1EEEvSI_.num_agpr, 0
	.set _ZN7rocprim17ROCPRIM_400000_NS6detail17trampoline_kernelINS0_14default_configENS1_35radix_sort_onesweep_config_selectorIddEEZZNS1_29radix_sort_onesweep_iterationIS3_Lb0EN6thrust23THRUST_200600_302600_NS6detail15normal_iteratorINS8_10device_ptrIdEEEESD_SD_SD_jNS0_19identity_decomposerENS1_16block_id_wrapperIjLb0EEEEE10hipError_tT1_PNSt15iterator_traitsISI_E10value_typeET2_T3_PNSJ_ISO_E10value_typeET4_T5_PST_SU_PNS1_23onesweep_lookback_stateEbbT6_jjT7_P12ihipStream_tbENKUlT_T0_SI_SN_E_clISD_PdSD_S15_EEDaS11_S12_SI_SN_EUlS11_E_NS1_11comp_targetILNS1_3genE4ELNS1_11target_archE910ELNS1_3gpuE8ELNS1_3repE0EEENS1_47radix_sort_onesweep_sort_config_static_selectorELNS0_4arch9wavefront6targetE1EEEvSI_.numbered_sgpr, 0
	.set _ZN7rocprim17ROCPRIM_400000_NS6detail17trampoline_kernelINS0_14default_configENS1_35radix_sort_onesweep_config_selectorIddEEZZNS1_29radix_sort_onesweep_iterationIS3_Lb0EN6thrust23THRUST_200600_302600_NS6detail15normal_iteratorINS8_10device_ptrIdEEEESD_SD_SD_jNS0_19identity_decomposerENS1_16block_id_wrapperIjLb0EEEEE10hipError_tT1_PNSt15iterator_traitsISI_E10value_typeET2_T3_PNSJ_ISO_E10value_typeET4_T5_PST_SU_PNS1_23onesweep_lookback_stateEbbT6_jjT7_P12ihipStream_tbENKUlT_T0_SI_SN_E_clISD_PdSD_S15_EEDaS11_S12_SI_SN_EUlS11_E_NS1_11comp_targetILNS1_3genE4ELNS1_11target_archE910ELNS1_3gpuE8ELNS1_3repE0EEENS1_47radix_sort_onesweep_sort_config_static_selectorELNS0_4arch9wavefront6targetE1EEEvSI_.num_named_barrier, 0
	.set _ZN7rocprim17ROCPRIM_400000_NS6detail17trampoline_kernelINS0_14default_configENS1_35radix_sort_onesweep_config_selectorIddEEZZNS1_29radix_sort_onesweep_iterationIS3_Lb0EN6thrust23THRUST_200600_302600_NS6detail15normal_iteratorINS8_10device_ptrIdEEEESD_SD_SD_jNS0_19identity_decomposerENS1_16block_id_wrapperIjLb0EEEEE10hipError_tT1_PNSt15iterator_traitsISI_E10value_typeET2_T3_PNSJ_ISO_E10value_typeET4_T5_PST_SU_PNS1_23onesweep_lookback_stateEbbT6_jjT7_P12ihipStream_tbENKUlT_T0_SI_SN_E_clISD_PdSD_S15_EEDaS11_S12_SI_SN_EUlS11_E_NS1_11comp_targetILNS1_3genE4ELNS1_11target_archE910ELNS1_3gpuE8ELNS1_3repE0EEENS1_47radix_sort_onesweep_sort_config_static_selectorELNS0_4arch9wavefront6targetE1EEEvSI_.private_seg_size, 0
	.set _ZN7rocprim17ROCPRIM_400000_NS6detail17trampoline_kernelINS0_14default_configENS1_35radix_sort_onesweep_config_selectorIddEEZZNS1_29radix_sort_onesweep_iterationIS3_Lb0EN6thrust23THRUST_200600_302600_NS6detail15normal_iteratorINS8_10device_ptrIdEEEESD_SD_SD_jNS0_19identity_decomposerENS1_16block_id_wrapperIjLb0EEEEE10hipError_tT1_PNSt15iterator_traitsISI_E10value_typeET2_T3_PNSJ_ISO_E10value_typeET4_T5_PST_SU_PNS1_23onesweep_lookback_stateEbbT6_jjT7_P12ihipStream_tbENKUlT_T0_SI_SN_E_clISD_PdSD_S15_EEDaS11_S12_SI_SN_EUlS11_E_NS1_11comp_targetILNS1_3genE4ELNS1_11target_archE910ELNS1_3gpuE8ELNS1_3repE0EEENS1_47radix_sort_onesweep_sort_config_static_selectorELNS0_4arch9wavefront6targetE1EEEvSI_.uses_vcc, 0
	.set _ZN7rocprim17ROCPRIM_400000_NS6detail17trampoline_kernelINS0_14default_configENS1_35radix_sort_onesweep_config_selectorIddEEZZNS1_29radix_sort_onesweep_iterationIS3_Lb0EN6thrust23THRUST_200600_302600_NS6detail15normal_iteratorINS8_10device_ptrIdEEEESD_SD_SD_jNS0_19identity_decomposerENS1_16block_id_wrapperIjLb0EEEEE10hipError_tT1_PNSt15iterator_traitsISI_E10value_typeET2_T3_PNSJ_ISO_E10value_typeET4_T5_PST_SU_PNS1_23onesweep_lookback_stateEbbT6_jjT7_P12ihipStream_tbENKUlT_T0_SI_SN_E_clISD_PdSD_S15_EEDaS11_S12_SI_SN_EUlS11_E_NS1_11comp_targetILNS1_3genE4ELNS1_11target_archE910ELNS1_3gpuE8ELNS1_3repE0EEENS1_47radix_sort_onesweep_sort_config_static_selectorELNS0_4arch9wavefront6targetE1EEEvSI_.uses_flat_scratch, 0
	.set _ZN7rocprim17ROCPRIM_400000_NS6detail17trampoline_kernelINS0_14default_configENS1_35radix_sort_onesweep_config_selectorIddEEZZNS1_29radix_sort_onesweep_iterationIS3_Lb0EN6thrust23THRUST_200600_302600_NS6detail15normal_iteratorINS8_10device_ptrIdEEEESD_SD_SD_jNS0_19identity_decomposerENS1_16block_id_wrapperIjLb0EEEEE10hipError_tT1_PNSt15iterator_traitsISI_E10value_typeET2_T3_PNSJ_ISO_E10value_typeET4_T5_PST_SU_PNS1_23onesweep_lookback_stateEbbT6_jjT7_P12ihipStream_tbENKUlT_T0_SI_SN_E_clISD_PdSD_S15_EEDaS11_S12_SI_SN_EUlS11_E_NS1_11comp_targetILNS1_3genE4ELNS1_11target_archE910ELNS1_3gpuE8ELNS1_3repE0EEENS1_47radix_sort_onesweep_sort_config_static_selectorELNS0_4arch9wavefront6targetE1EEEvSI_.has_dyn_sized_stack, 0
	.set _ZN7rocprim17ROCPRIM_400000_NS6detail17trampoline_kernelINS0_14default_configENS1_35radix_sort_onesweep_config_selectorIddEEZZNS1_29radix_sort_onesweep_iterationIS3_Lb0EN6thrust23THRUST_200600_302600_NS6detail15normal_iteratorINS8_10device_ptrIdEEEESD_SD_SD_jNS0_19identity_decomposerENS1_16block_id_wrapperIjLb0EEEEE10hipError_tT1_PNSt15iterator_traitsISI_E10value_typeET2_T3_PNSJ_ISO_E10value_typeET4_T5_PST_SU_PNS1_23onesweep_lookback_stateEbbT6_jjT7_P12ihipStream_tbENKUlT_T0_SI_SN_E_clISD_PdSD_S15_EEDaS11_S12_SI_SN_EUlS11_E_NS1_11comp_targetILNS1_3genE4ELNS1_11target_archE910ELNS1_3gpuE8ELNS1_3repE0EEENS1_47radix_sort_onesweep_sort_config_static_selectorELNS0_4arch9wavefront6targetE1EEEvSI_.has_recursion, 0
	.set _ZN7rocprim17ROCPRIM_400000_NS6detail17trampoline_kernelINS0_14default_configENS1_35radix_sort_onesweep_config_selectorIddEEZZNS1_29radix_sort_onesweep_iterationIS3_Lb0EN6thrust23THRUST_200600_302600_NS6detail15normal_iteratorINS8_10device_ptrIdEEEESD_SD_SD_jNS0_19identity_decomposerENS1_16block_id_wrapperIjLb0EEEEE10hipError_tT1_PNSt15iterator_traitsISI_E10value_typeET2_T3_PNSJ_ISO_E10value_typeET4_T5_PST_SU_PNS1_23onesweep_lookback_stateEbbT6_jjT7_P12ihipStream_tbENKUlT_T0_SI_SN_E_clISD_PdSD_S15_EEDaS11_S12_SI_SN_EUlS11_E_NS1_11comp_targetILNS1_3genE4ELNS1_11target_archE910ELNS1_3gpuE8ELNS1_3repE0EEENS1_47radix_sort_onesweep_sort_config_static_selectorELNS0_4arch9wavefront6targetE1EEEvSI_.has_indirect_call, 0
	.section	.AMDGPU.csdata,"",@progbits
; Kernel info:
; codeLenInByte = 0
; TotalNumSgprs: 6
; NumVgprs: 0
; NumAgprs: 0
; TotalNumVgprs: 0
; ScratchSize: 0
; MemoryBound: 0
; FloatMode: 240
; IeeeMode: 1
; LDSByteSize: 0 bytes/workgroup (compile time only)
; SGPRBlocks: 0
; VGPRBlocks: 0
; NumSGPRsForWavesPerEU: 6
; NumVGPRsForWavesPerEU: 1
; AccumOffset: 4
; Occupancy: 8
; WaveLimiterHint : 0
; COMPUTE_PGM_RSRC2:SCRATCH_EN: 0
; COMPUTE_PGM_RSRC2:USER_SGPR: 2
; COMPUTE_PGM_RSRC2:TRAP_HANDLER: 0
; COMPUTE_PGM_RSRC2:TGID_X_EN: 1
; COMPUTE_PGM_RSRC2:TGID_Y_EN: 0
; COMPUTE_PGM_RSRC2:TGID_Z_EN: 0
; COMPUTE_PGM_RSRC2:TIDIG_COMP_CNT: 0
; COMPUTE_PGM_RSRC3_GFX90A:ACCUM_OFFSET: 0
; COMPUTE_PGM_RSRC3_GFX90A:TG_SPLIT: 0
	.section	.text._ZN7rocprim17ROCPRIM_400000_NS6detail17trampoline_kernelINS0_14default_configENS1_35radix_sort_onesweep_config_selectorIddEEZZNS1_29radix_sort_onesweep_iterationIS3_Lb0EN6thrust23THRUST_200600_302600_NS6detail15normal_iteratorINS8_10device_ptrIdEEEESD_SD_SD_jNS0_19identity_decomposerENS1_16block_id_wrapperIjLb0EEEEE10hipError_tT1_PNSt15iterator_traitsISI_E10value_typeET2_T3_PNSJ_ISO_E10value_typeET4_T5_PST_SU_PNS1_23onesweep_lookback_stateEbbT6_jjT7_P12ihipStream_tbENKUlT_T0_SI_SN_E_clISD_PdSD_S15_EEDaS11_S12_SI_SN_EUlS11_E_NS1_11comp_targetILNS1_3genE3ELNS1_11target_archE908ELNS1_3gpuE7ELNS1_3repE0EEENS1_47radix_sort_onesweep_sort_config_static_selectorELNS0_4arch9wavefront6targetE1EEEvSI_,"axG",@progbits,_ZN7rocprim17ROCPRIM_400000_NS6detail17trampoline_kernelINS0_14default_configENS1_35radix_sort_onesweep_config_selectorIddEEZZNS1_29radix_sort_onesweep_iterationIS3_Lb0EN6thrust23THRUST_200600_302600_NS6detail15normal_iteratorINS8_10device_ptrIdEEEESD_SD_SD_jNS0_19identity_decomposerENS1_16block_id_wrapperIjLb0EEEEE10hipError_tT1_PNSt15iterator_traitsISI_E10value_typeET2_T3_PNSJ_ISO_E10value_typeET4_T5_PST_SU_PNS1_23onesweep_lookback_stateEbbT6_jjT7_P12ihipStream_tbENKUlT_T0_SI_SN_E_clISD_PdSD_S15_EEDaS11_S12_SI_SN_EUlS11_E_NS1_11comp_targetILNS1_3genE3ELNS1_11target_archE908ELNS1_3gpuE7ELNS1_3repE0EEENS1_47radix_sort_onesweep_sort_config_static_selectorELNS0_4arch9wavefront6targetE1EEEvSI_,comdat
	.protected	_ZN7rocprim17ROCPRIM_400000_NS6detail17trampoline_kernelINS0_14default_configENS1_35radix_sort_onesweep_config_selectorIddEEZZNS1_29radix_sort_onesweep_iterationIS3_Lb0EN6thrust23THRUST_200600_302600_NS6detail15normal_iteratorINS8_10device_ptrIdEEEESD_SD_SD_jNS0_19identity_decomposerENS1_16block_id_wrapperIjLb0EEEEE10hipError_tT1_PNSt15iterator_traitsISI_E10value_typeET2_T3_PNSJ_ISO_E10value_typeET4_T5_PST_SU_PNS1_23onesweep_lookback_stateEbbT6_jjT7_P12ihipStream_tbENKUlT_T0_SI_SN_E_clISD_PdSD_S15_EEDaS11_S12_SI_SN_EUlS11_E_NS1_11comp_targetILNS1_3genE3ELNS1_11target_archE908ELNS1_3gpuE7ELNS1_3repE0EEENS1_47radix_sort_onesweep_sort_config_static_selectorELNS0_4arch9wavefront6targetE1EEEvSI_ ; -- Begin function _ZN7rocprim17ROCPRIM_400000_NS6detail17trampoline_kernelINS0_14default_configENS1_35radix_sort_onesweep_config_selectorIddEEZZNS1_29radix_sort_onesweep_iterationIS3_Lb0EN6thrust23THRUST_200600_302600_NS6detail15normal_iteratorINS8_10device_ptrIdEEEESD_SD_SD_jNS0_19identity_decomposerENS1_16block_id_wrapperIjLb0EEEEE10hipError_tT1_PNSt15iterator_traitsISI_E10value_typeET2_T3_PNSJ_ISO_E10value_typeET4_T5_PST_SU_PNS1_23onesweep_lookback_stateEbbT6_jjT7_P12ihipStream_tbENKUlT_T0_SI_SN_E_clISD_PdSD_S15_EEDaS11_S12_SI_SN_EUlS11_E_NS1_11comp_targetILNS1_3genE3ELNS1_11target_archE908ELNS1_3gpuE7ELNS1_3repE0EEENS1_47radix_sort_onesweep_sort_config_static_selectorELNS0_4arch9wavefront6targetE1EEEvSI_
	.globl	_ZN7rocprim17ROCPRIM_400000_NS6detail17trampoline_kernelINS0_14default_configENS1_35radix_sort_onesweep_config_selectorIddEEZZNS1_29radix_sort_onesweep_iterationIS3_Lb0EN6thrust23THRUST_200600_302600_NS6detail15normal_iteratorINS8_10device_ptrIdEEEESD_SD_SD_jNS0_19identity_decomposerENS1_16block_id_wrapperIjLb0EEEEE10hipError_tT1_PNSt15iterator_traitsISI_E10value_typeET2_T3_PNSJ_ISO_E10value_typeET4_T5_PST_SU_PNS1_23onesweep_lookback_stateEbbT6_jjT7_P12ihipStream_tbENKUlT_T0_SI_SN_E_clISD_PdSD_S15_EEDaS11_S12_SI_SN_EUlS11_E_NS1_11comp_targetILNS1_3genE3ELNS1_11target_archE908ELNS1_3gpuE7ELNS1_3repE0EEENS1_47radix_sort_onesweep_sort_config_static_selectorELNS0_4arch9wavefront6targetE1EEEvSI_
	.p2align	8
	.type	_ZN7rocprim17ROCPRIM_400000_NS6detail17trampoline_kernelINS0_14default_configENS1_35radix_sort_onesweep_config_selectorIddEEZZNS1_29radix_sort_onesweep_iterationIS3_Lb0EN6thrust23THRUST_200600_302600_NS6detail15normal_iteratorINS8_10device_ptrIdEEEESD_SD_SD_jNS0_19identity_decomposerENS1_16block_id_wrapperIjLb0EEEEE10hipError_tT1_PNSt15iterator_traitsISI_E10value_typeET2_T3_PNSJ_ISO_E10value_typeET4_T5_PST_SU_PNS1_23onesweep_lookback_stateEbbT6_jjT7_P12ihipStream_tbENKUlT_T0_SI_SN_E_clISD_PdSD_S15_EEDaS11_S12_SI_SN_EUlS11_E_NS1_11comp_targetILNS1_3genE3ELNS1_11target_archE908ELNS1_3gpuE7ELNS1_3repE0EEENS1_47radix_sort_onesweep_sort_config_static_selectorELNS0_4arch9wavefront6targetE1EEEvSI_,@function
_ZN7rocprim17ROCPRIM_400000_NS6detail17trampoline_kernelINS0_14default_configENS1_35radix_sort_onesweep_config_selectorIddEEZZNS1_29radix_sort_onesweep_iterationIS3_Lb0EN6thrust23THRUST_200600_302600_NS6detail15normal_iteratorINS8_10device_ptrIdEEEESD_SD_SD_jNS0_19identity_decomposerENS1_16block_id_wrapperIjLb0EEEEE10hipError_tT1_PNSt15iterator_traitsISI_E10value_typeET2_T3_PNSJ_ISO_E10value_typeET4_T5_PST_SU_PNS1_23onesweep_lookback_stateEbbT6_jjT7_P12ihipStream_tbENKUlT_T0_SI_SN_E_clISD_PdSD_S15_EEDaS11_S12_SI_SN_EUlS11_E_NS1_11comp_targetILNS1_3genE3ELNS1_11target_archE908ELNS1_3gpuE7ELNS1_3repE0EEENS1_47radix_sort_onesweep_sort_config_static_selectorELNS0_4arch9wavefront6targetE1EEEvSI_: ; @_ZN7rocprim17ROCPRIM_400000_NS6detail17trampoline_kernelINS0_14default_configENS1_35radix_sort_onesweep_config_selectorIddEEZZNS1_29radix_sort_onesweep_iterationIS3_Lb0EN6thrust23THRUST_200600_302600_NS6detail15normal_iteratorINS8_10device_ptrIdEEEESD_SD_SD_jNS0_19identity_decomposerENS1_16block_id_wrapperIjLb0EEEEE10hipError_tT1_PNSt15iterator_traitsISI_E10value_typeET2_T3_PNSJ_ISO_E10value_typeET4_T5_PST_SU_PNS1_23onesweep_lookback_stateEbbT6_jjT7_P12ihipStream_tbENKUlT_T0_SI_SN_E_clISD_PdSD_S15_EEDaS11_S12_SI_SN_EUlS11_E_NS1_11comp_targetILNS1_3genE3ELNS1_11target_archE908ELNS1_3gpuE7ELNS1_3repE0EEENS1_47radix_sort_onesweep_sort_config_static_selectorELNS0_4arch9wavefront6targetE1EEEvSI_
; %bb.0:
	.section	.rodata,"a",@progbits
	.p2align	6, 0x0
	.amdhsa_kernel _ZN7rocprim17ROCPRIM_400000_NS6detail17trampoline_kernelINS0_14default_configENS1_35radix_sort_onesweep_config_selectorIddEEZZNS1_29radix_sort_onesweep_iterationIS3_Lb0EN6thrust23THRUST_200600_302600_NS6detail15normal_iteratorINS8_10device_ptrIdEEEESD_SD_SD_jNS0_19identity_decomposerENS1_16block_id_wrapperIjLb0EEEEE10hipError_tT1_PNSt15iterator_traitsISI_E10value_typeET2_T3_PNSJ_ISO_E10value_typeET4_T5_PST_SU_PNS1_23onesweep_lookback_stateEbbT6_jjT7_P12ihipStream_tbENKUlT_T0_SI_SN_E_clISD_PdSD_S15_EEDaS11_S12_SI_SN_EUlS11_E_NS1_11comp_targetILNS1_3genE3ELNS1_11target_archE908ELNS1_3gpuE7ELNS1_3repE0EEENS1_47radix_sort_onesweep_sort_config_static_selectorELNS0_4arch9wavefront6targetE1EEEvSI_
		.amdhsa_group_segment_fixed_size 0
		.amdhsa_private_segment_fixed_size 0
		.amdhsa_kernarg_size 88
		.amdhsa_user_sgpr_count 2
		.amdhsa_user_sgpr_dispatch_ptr 0
		.amdhsa_user_sgpr_queue_ptr 0
		.amdhsa_user_sgpr_kernarg_segment_ptr 1
		.amdhsa_user_sgpr_dispatch_id 0
		.amdhsa_user_sgpr_kernarg_preload_length 0
		.amdhsa_user_sgpr_kernarg_preload_offset 0
		.amdhsa_user_sgpr_private_segment_size 0
		.amdhsa_uses_dynamic_stack 0
		.amdhsa_enable_private_segment 0
		.amdhsa_system_sgpr_workgroup_id_x 1
		.amdhsa_system_sgpr_workgroup_id_y 0
		.amdhsa_system_sgpr_workgroup_id_z 0
		.amdhsa_system_sgpr_workgroup_info 0
		.amdhsa_system_vgpr_workitem_id 0
		.amdhsa_next_free_vgpr 1
		.amdhsa_next_free_sgpr 0
		.amdhsa_accum_offset 4
		.amdhsa_reserve_vcc 0
		.amdhsa_float_round_mode_32 0
		.amdhsa_float_round_mode_16_64 0
		.amdhsa_float_denorm_mode_32 3
		.amdhsa_float_denorm_mode_16_64 3
		.amdhsa_dx10_clamp 1
		.amdhsa_ieee_mode 1
		.amdhsa_fp16_overflow 0
		.amdhsa_tg_split 0
		.amdhsa_exception_fp_ieee_invalid_op 0
		.amdhsa_exception_fp_denorm_src 0
		.amdhsa_exception_fp_ieee_div_zero 0
		.amdhsa_exception_fp_ieee_overflow 0
		.amdhsa_exception_fp_ieee_underflow 0
		.amdhsa_exception_fp_ieee_inexact 0
		.amdhsa_exception_int_div_zero 0
	.end_amdhsa_kernel
	.section	.text._ZN7rocprim17ROCPRIM_400000_NS6detail17trampoline_kernelINS0_14default_configENS1_35radix_sort_onesweep_config_selectorIddEEZZNS1_29radix_sort_onesweep_iterationIS3_Lb0EN6thrust23THRUST_200600_302600_NS6detail15normal_iteratorINS8_10device_ptrIdEEEESD_SD_SD_jNS0_19identity_decomposerENS1_16block_id_wrapperIjLb0EEEEE10hipError_tT1_PNSt15iterator_traitsISI_E10value_typeET2_T3_PNSJ_ISO_E10value_typeET4_T5_PST_SU_PNS1_23onesweep_lookback_stateEbbT6_jjT7_P12ihipStream_tbENKUlT_T0_SI_SN_E_clISD_PdSD_S15_EEDaS11_S12_SI_SN_EUlS11_E_NS1_11comp_targetILNS1_3genE3ELNS1_11target_archE908ELNS1_3gpuE7ELNS1_3repE0EEENS1_47radix_sort_onesweep_sort_config_static_selectorELNS0_4arch9wavefront6targetE1EEEvSI_,"axG",@progbits,_ZN7rocprim17ROCPRIM_400000_NS6detail17trampoline_kernelINS0_14default_configENS1_35radix_sort_onesweep_config_selectorIddEEZZNS1_29radix_sort_onesweep_iterationIS3_Lb0EN6thrust23THRUST_200600_302600_NS6detail15normal_iteratorINS8_10device_ptrIdEEEESD_SD_SD_jNS0_19identity_decomposerENS1_16block_id_wrapperIjLb0EEEEE10hipError_tT1_PNSt15iterator_traitsISI_E10value_typeET2_T3_PNSJ_ISO_E10value_typeET4_T5_PST_SU_PNS1_23onesweep_lookback_stateEbbT6_jjT7_P12ihipStream_tbENKUlT_T0_SI_SN_E_clISD_PdSD_S15_EEDaS11_S12_SI_SN_EUlS11_E_NS1_11comp_targetILNS1_3genE3ELNS1_11target_archE908ELNS1_3gpuE7ELNS1_3repE0EEENS1_47radix_sort_onesweep_sort_config_static_selectorELNS0_4arch9wavefront6targetE1EEEvSI_,comdat
.Lfunc_end150:
	.size	_ZN7rocprim17ROCPRIM_400000_NS6detail17trampoline_kernelINS0_14default_configENS1_35radix_sort_onesweep_config_selectorIddEEZZNS1_29radix_sort_onesweep_iterationIS3_Lb0EN6thrust23THRUST_200600_302600_NS6detail15normal_iteratorINS8_10device_ptrIdEEEESD_SD_SD_jNS0_19identity_decomposerENS1_16block_id_wrapperIjLb0EEEEE10hipError_tT1_PNSt15iterator_traitsISI_E10value_typeET2_T3_PNSJ_ISO_E10value_typeET4_T5_PST_SU_PNS1_23onesweep_lookback_stateEbbT6_jjT7_P12ihipStream_tbENKUlT_T0_SI_SN_E_clISD_PdSD_S15_EEDaS11_S12_SI_SN_EUlS11_E_NS1_11comp_targetILNS1_3genE3ELNS1_11target_archE908ELNS1_3gpuE7ELNS1_3repE0EEENS1_47radix_sort_onesweep_sort_config_static_selectorELNS0_4arch9wavefront6targetE1EEEvSI_, .Lfunc_end150-_ZN7rocprim17ROCPRIM_400000_NS6detail17trampoline_kernelINS0_14default_configENS1_35radix_sort_onesweep_config_selectorIddEEZZNS1_29radix_sort_onesweep_iterationIS3_Lb0EN6thrust23THRUST_200600_302600_NS6detail15normal_iteratorINS8_10device_ptrIdEEEESD_SD_SD_jNS0_19identity_decomposerENS1_16block_id_wrapperIjLb0EEEEE10hipError_tT1_PNSt15iterator_traitsISI_E10value_typeET2_T3_PNSJ_ISO_E10value_typeET4_T5_PST_SU_PNS1_23onesweep_lookback_stateEbbT6_jjT7_P12ihipStream_tbENKUlT_T0_SI_SN_E_clISD_PdSD_S15_EEDaS11_S12_SI_SN_EUlS11_E_NS1_11comp_targetILNS1_3genE3ELNS1_11target_archE908ELNS1_3gpuE7ELNS1_3repE0EEENS1_47radix_sort_onesweep_sort_config_static_selectorELNS0_4arch9wavefront6targetE1EEEvSI_
                                        ; -- End function
	.set _ZN7rocprim17ROCPRIM_400000_NS6detail17trampoline_kernelINS0_14default_configENS1_35radix_sort_onesweep_config_selectorIddEEZZNS1_29radix_sort_onesweep_iterationIS3_Lb0EN6thrust23THRUST_200600_302600_NS6detail15normal_iteratorINS8_10device_ptrIdEEEESD_SD_SD_jNS0_19identity_decomposerENS1_16block_id_wrapperIjLb0EEEEE10hipError_tT1_PNSt15iterator_traitsISI_E10value_typeET2_T3_PNSJ_ISO_E10value_typeET4_T5_PST_SU_PNS1_23onesweep_lookback_stateEbbT6_jjT7_P12ihipStream_tbENKUlT_T0_SI_SN_E_clISD_PdSD_S15_EEDaS11_S12_SI_SN_EUlS11_E_NS1_11comp_targetILNS1_3genE3ELNS1_11target_archE908ELNS1_3gpuE7ELNS1_3repE0EEENS1_47radix_sort_onesweep_sort_config_static_selectorELNS0_4arch9wavefront6targetE1EEEvSI_.num_vgpr, 0
	.set _ZN7rocprim17ROCPRIM_400000_NS6detail17trampoline_kernelINS0_14default_configENS1_35radix_sort_onesweep_config_selectorIddEEZZNS1_29radix_sort_onesweep_iterationIS3_Lb0EN6thrust23THRUST_200600_302600_NS6detail15normal_iteratorINS8_10device_ptrIdEEEESD_SD_SD_jNS0_19identity_decomposerENS1_16block_id_wrapperIjLb0EEEEE10hipError_tT1_PNSt15iterator_traitsISI_E10value_typeET2_T3_PNSJ_ISO_E10value_typeET4_T5_PST_SU_PNS1_23onesweep_lookback_stateEbbT6_jjT7_P12ihipStream_tbENKUlT_T0_SI_SN_E_clISD_PdSD_S15_EEDaS11_S12_SI_SN_EUlS11_E_NS1_11comp_targetILNS1_3genE3ELNS1_11target_archE908ELNS1_3gpuE7ELNS1_3repE0EEENS1_47radix_sort_onesweep_sort_config_static_selectorELNS0_4arch9wavefront6targetE1EEEvSI_.num_agpr, 0
	.set _ZN7rocprim17ROCPRIM_400000_NS6detail17trampoline_kernelINS0_14default_configENS1_35radix_sort_onesweep_config_selectorIddEEZZNS1_29radix_sort_onesweep_iterationIS3_Lb0EN6thrust23THRUST_200600_302600_NS6detail15normal_iteratorINS8_10device_ptrIdEEEESD_SD_SD_jNS0_19identity_decomposerENS1_16block_id_wrapperIjLb0EEEEE10hipError_tT1_PNSt15iterator_traitsISI_E10value_typeET2_T3_PNSJ_ISO_E10value_typeET4_T5_PST_SU_PNS1_23onesweep_lookback_stateEbbT6_jjT7_P12ihipStream_tbENKUlT_T0_SI_SN_E_clISD_PdSD_S15_EEDaS11_S12_SI_SN_EUlS11_E_NS1_11comp_targetILNS1_3genE3ELNS1_11target_archE908ELNS1_3gpuE7ELNS1_3repE0EEENS1_47radix_sort_onesweep_sort_config_static_selectorELNS0_4arch9wavefront6targetE1EEEvSI_.numbered_sgpr, 0
	.set _ZN7rocprim17ROCPRIM_400000_NS6detail17trampoline_kernelINS0_14default_configENS1_35radix_sort_onesweep_config_selectorIddEEZZNS1_29radix_sort_onesweep_iterationIS3_Lb0EN6thrust23THRUST_200600_302600_NS6detail15normal_iteratorINS8_10device_ptrIdEEEESD_SD_SD_jNS0_19identity_decomposerENS1_16block_id_wrapperIjLb0EEEEE10hipError_tT1_PNSt15iterator_traitsISI_E10value_typeET2_T3_PNSJ_ISO_E10value_typeET4_T5_PST_SU_PNS1_23onesweep_lookback_stateEbbT6_jjT7_P12ihipStream_tbENKUlT_T0_SI_SN_E_clISD_PdSD_S15_EEDaS11_S12_SI_SN_EUlS11_E_NS1_11comp_targetILNS1_3genE3ELNS1_11target_archE908ELNS1_3gpuE7ELNS1_3repE0EEENS1_47radix_sort_onesweep_sort_config_static_selectorELNS0_4arch9wavefront6targetE1EEEvSI_.num_named_barrier, 0
	.set _ZN7rocprim17ROCPRIM_400000_NS6detail17trampoline_kernelINS0_14default_configENS1_35radix_sort_onesweep_config_selectorIddEEZZNS1_29radix_sort_onesweep_iterationIS3_Lb0EN6thrust23THRUST_200600_302600_NS6detail15normal_iteratorINS8_10device_ptrIdEEEESD_SD_SD_jNS0_19identity_decomposerENS1_16block_id_wrapperIjLb0EEEEE10hipError_tT1_PNSt15iterator_traitsISI_E10value_typeET2_T3_PNSJ_ISO_E10value_typeET4_T5_PST_SU_PNS1_23onesweep_lookback_stateEbbT6_jjT7_P12ihipStream_tbENKUlT_T0_SI_SN_E_clISD_PdSD_S15_EEDaS11_S12_SI_SN_EUlS11_E_NS1_11comp_targetILNS1_3genE3ELNS1_11target_archE908ELNS1_3gpuE7ELNS1_3repE0EEENS1_47radix_sort_onesweep_sort_config_static_selectorELNS0_4arch9wavefront6targetE1EEEvSI_.private_seg_size, 0
	.set _ZN7rocprim17ROCPRIM_400000_NS6detail17trampoline_kernelINS0_14default_configENS1_35radix_sort_onesweep_config_selectorIddEEZZNS1_29radix_sort_onesweep_iterationIS3_Lb0EN6thrust23THRUST_200600_302600_NS6detail15normal_iteratorINS8_10device_ptrIdEEEESD_SD_SD_jNS0_19identity_decomposerENS1_16block_id_wrapperIjLb0EEEEE10hipError_tT1_PNSt15iterator_traitsISI_E10value_typeET2_T3_PNSJ_ISO_E10value_typeET4_T5_PST_SU_PNS1_23onesweep_lookback_stateEbbT6_jjT7_P12ihipStream_tbENKUlT_T0_SI_SN_E_clISD_PdSD_S15_EEDaS11_S12_SI_SN_EUlS11_E_NS1_11comp_targetILNS1_3genE3ELNS1_11target_archE908ELNS1_3gpuE7ELNS1_3repE0EEENS1_47radix_sort_onesweep_sort_config_static_selectorELNS0_4arch9wavefront6targetE1EEEvSI_.uses_vcc, 0
	.set _ZN7rocprim17ROCPRIM_400000_NS6detail17trampoline_kernelINS0_14default_configENS1_35radix_sort_onesweep_config_selectorIddEEZZNS1_29radix_sort_onesweep_iterationIS3_Lb0EN6thrust23THRUST_200600_302600_NS6detail15normal_iteratorINS8_10device_ptrIdEEEESD_SD_SD_jNS0_19identity_decomposerENS1_16block_id_wrapperIjLb0EEEEE10hipError_tT1_PNSt15iterator_traitsISI_E10value_typeET2_T3_PNSJ_ISO_E10value_typeET4_T5_PST_SU_PNS1_23onesweep_lookback_stateEbbT6_jjT7_P12ihipStream_tbENKUlT_T0_SI_SN_E_clISD_PdSD_S15_EEDaS11_S12_SI_SN_EUlS11_E_NS1_11comp_targetILNS1_3genE3ELNS1_11target_archE908ELNS1_3gpuE7ELNS1_3repE0EEENS1_47radix_sort_onesweep_sort_config_static_selectorELNS0_4arch9wavefront6targetE1EEEvSI_.uses_flat_scratch, 0
	.set _ZN7rocprim17ROCPRIM_400000_NS6detail17trampoline_kernelINS0_14default_configENS1_35radix_sort_onesweep_config_selectorIddEEZZNS1_29radix_sort_onesweep_iterationIS3_Lb0EN6thrust23THRUST_200600_302600_NS6detail15normal_iteratorINS8_10device_ptrIdEEEESD_SD_SD_jNS0_19identity_decomposerENS1_16block_id_wrapperIjLb0EEEEE10hipError_tT1_PNSt15iterator_traitsISI_E10value_typeET2_T3_PNSJ_ISO_E10value_typeET4_T5_PST_SU_PNS1_23onesweep_lookback_stateEbbT6_jjT7_P12ihipStream_tbENKUlT_T0_SI_SN_E_clISD_PdSD_S15_EEDaS11_S12_SI_SN_EUlS11_E_NS1_11comp_targetILNS1_3genE3ELNS1_11target_archE908ELNS1_3gpuE7ELNS1_3repE0EEENS1_47radix_sort_onesweep_sort_config_static_selectorELNS0_4arch9wavefront6targetE1EEEvSI_.has_dyn_sized_stack, 0
	.set _ZN7rocprim17ROCPRIM_400000_NS6detail17trampoline_kernelINS0_14default_configENS1_35radix_sort_onesweep_config_selectorIddEEZZNS1_29radix_sort_onesweep_iterationIS3_Lb0EN6thrust23THRUST_200600_302600_NS6detail15normal_iteratorINS8_10device_ptrIdEEEESD_SD_SD_jNS0_19identity_decomposerENS1_16block_id_wrapperIjLb0EEEEE10hipError_tT1_PNSt15iterator_traitsISI_E10value_typeET2_T3_PNSJ_ISO_E10value_typeET4_T5_PST_SU_PNS1_23onesweep_lookback_stateEbbT6_jjT7_P12ihipStream_tbENKUlT_T0_SI_SN_E_clISD_PdSD_S15_EEDaS11_S12_SI_SN_EUlS11_E_NS1_11comp_targetILNS1_3genE3ELNS1_11target_archE908ELNS1_3gpuE7ELNS1_3repE0EEENS1_47radix_sort_onesweep_sort_config_static_selectorELNS0_4arch9wavefront6targetE1EEEvSI_.has_recursion, 0
	.set _ZN7rocprim17ROCPRIM_400000_NS6detail17trampoline_kernelINS0_14default_configENS1_35radix_sort_onesweep_config_selectorIddEEZZNS1_29radix_sort_onesweep_iterationIS3_Lb0EN6thrust23THRUST_200600_302600_NS6detail15normal_iteratorINS8_10device_ptrIdEEEESD_SD_SD_jNS0_19identity_decomposerENS1_16block_id_wrapperIjLb0EEEEE10hipError_tT1_PNSt15iterator_traitsISI_E10value_typeET2_T3_PNSJ_ISO_E10value_typeET4_T5_PST_SU_PNS1_23onesweep_lookback_stateEbbT6_jjT7_P12ihipStream_tbENKUlT_T0_SI_SN_E_clISD_PdSD_S15_EEDaS11_S12_SI_SN_EUlS11_E_NS1_11comp_targetILNS1_3genE3ELNS1_11target_archE908ELNS1_3gpuE7ELNS1_3repE0EEENS1_47radix_sort_onesweep_sort_config_static_selectorELNS0_4arch9wavefront6targetE1EEEvSI_.has_indirect_call, 0
	.section	.AMDGPU.csdata,"",@progbits
; Kernel info:
; codeLenInByte = 0
; TotalNumSgprs: 6
; NumVgprs: 0
; NumAgprs: 0
; TotalNumVgprs: 0
; ScratchSize: 0
; MemoryBound: 0
; FloatMode: 240
; IeeeMode: 1
; LDSByteSize: 0 bytes/workgroup (compile time only)
; SGPRBlocks: 0
; VGPRBlocks: 0
; NumSGPRsForWavesPerEU: 6
; NumVGPRsForWavesPerEU: 1
; AccumOffset: 4
; Occupancy: 8
; WaveLimiterHint : 0
; COMPUTE_PGM_RSRC2:SCRATCH_EN: 0
; COMPUTE_PGM_RSRC2:USER_SGPR: 2
; COMPUTE_PGM_RSRC2:TRAP_HANDLER: 0
; COMPUTE_PGM_RSRC2:TGID_X_EN: 1
; COMPUTE_PGM_RSRC2:TGID_Y_EN: 0
; COMPUTE_PGM_RSRC2:TGID_Z_EN: 0
; COMPUTE_PGM_RSRC2:TIDIG_COMP_CNT: 0
; COMPUTE_PGM_RSRC3_GFX90A:ACCUM_OFFSET: 0
; COMPUTE_PGM_RSRC3_GFX90A:TG_SPLIT: 0
	.section	.text._ZN7rocprim17ROCPRIM_400000_NS6detail17trampoline_kernelINS0_14default_configENS1_35radix_sort_onesweep_config_selectorIddEEZZNS1_29radix_sort_onesweep_iterationIS3_Lb0EN6thrust23THRUST_200600_302600_NS6detail15normal_iteratorINS8_10device_ptrIdEEEESD_SD_SD_jNS0_19identity_decomposerENS1_16block_id_wrapperIjLb0EEEEE10hipError_tT1_PNSt15iterator_traitsISI_E10value_typeET2_T3_PNSJ_ISO_E10value_typeET4_T5_PST_SU_PNS1_23onesweep_lookback_stateEbbT6_jjT7_P12ihipStream_tbENKUlT_T0_SI_SN_E_clISD_PdSD_S15_EEDaS11_S12_SI_SN_EUlS11_E_NS1_11comp_targetILNS1_3genE10ELNS1_11target_archE1201ELNS1_3gpuE5ELNS1_3repE0EEENS1_47radix_sort_onesweep_sort_config_static_selectorELNS0_4arch9wavefront6targetE1EEEvSI_,"axG",@progbits,_ZN7rocprim17ROCPRIM_400000_NS6detail17trampoline_kernelINS0_14default_configENS1_35radix_sort_onesweep_config_selectorIddEEZZNS1_29radix_sort_onesweep_iterationIS3_Lb0EN6thrust23THRUST_200600_302600_NS6detail15normal_iteratorINS8_10device_ptrIdEEEESD_SD_SD_jNS0_19identity_decomposerENS1_16block_id_wrapperIjLb0EEEEE10hipError_tT1_PNSt15iterator_traitsISI_E10value_typeET2_T3_PNSJ_ISO_E10value_typeET4_T5_PST_SU_PNS1_23onesweep_lookback_stateEbbT6_jjT7_P12ihipStream_tbENKUlT_T0_SI_SN_E_clISD_PdSD_S15_EEDaS11_S12_SI_SN_EUlS11_E_NS1_11comp_targetILNS1_3genE10ELNS1_11target_archE1201ELNS1_3gpuE5ELNS1_3repE0EEENS1_47radix_sort_onesweep_sort_config_static_selectorELNS0_4arch9wavefront6targetE1EEEvSI_,comdat
	.protected	_ZN7rocprim17ROCPRIM_400000_NS6detail17trampoline_kernelINS0_14default_configENS1_35radix_sort_onesweep_config_selectorIddEEZZNS1_29radix_sort_onesweep_iterationIS3_Lb0EN6thrust23THRUST_200600_302600_NS6detail15normal_iteratorINS8_10device_ptrIdEEEESD_SD_SD_jNS0_19identity_decomposerENS1_16block_id_wrapperIjLb0EEEEE10hipError_tT1_PNSt15iterator_traitsISI_E10value_typeET2_T3_PNSJ_ISO_E10value_typeET4_T5_PST_SU_PNS1_23onesweep_lookback_stateEbbT6_jjT7_P12ihipStream_tbENKUlT_T0_SI_SN_E_clISD_PdSD_S15_EEDaS11_S12_SI_SN_EUlS11_E_NS1_11comp_targetILNS1_3genE10ELNS1_11target_archE1201ELNS1_3gpuE5ELNS1_3repE0EEENS1_47radix_sort_onesweep_sort_config_static_selectorELNS0_4arch9wavefront6targetE1EEEvSI_ ; -- Begin function _ZN7rocprim17ROCPRIM_400000_NS6detail17trampoline_kernelINS0_14default_configENS1_35radix_sort_onesweep_config_selectorIddEEZZNS1_29radix_sort_onesweep_iterationIS3_Lb0EN6thrust23THRUST_200600_302600_NS6detail15normal_iteratorINS8_10device_ptrIdEEEESD_SD_SD_jNS0_19identity_decomposerENS1_16block_id_wrapperIjLb0EEEEE10hipError_tT1_PNSt15iterator_traitsISI_E10value_typeET2_T3_PNSJ_ISO_E10value_typeET4_T5_PST_SU_PNS1_23onesweep_lookback_stateEbbT6_jjT7_P12ihipStream_tbENKUlT_T0_SI_SN_E_clISD_PdSD_S15_EEDaS11_S12_SI_SN_EUlS11_E_NS1_11comp_targetILNS1_3genE10ELNS1_11target_archE1201ELNS1_3gpuE5ELNS1_3repE0EEENS1_47radix_sort_onesweep_sort_config_static_selectorELNS0_4arch9wavefront6targetE1EEEvSI_
	.globl	_ZN7rocprim17ROCPRIM_400000_NS6detail17trampoline_kernelINS0_14default_configENS1_35radix_sort_onesweep_config_selectorIddEEZZNS1_29radix_sort_onesweep_iterationIS3_Lb0EN6thrust23THRUST_200600_302600_NS6detail15normal_iteratorINS8_10device_ptrIdEEEESD_SD_SD_jNS0_19identity_decomposerENS1_16block_id_wrapperIjLb0EEEEE10hipError_tT1_PNSt15iterator_traitsISI_E10value_typeET2_T3_PNSJ_ISO_E10value_typeET4_T5_PST_SU_PNS1_23onesweep_lookback_stateEbbT6_jjT7_P12ihipStream_tbENKUlT_T0_SI_SN_E_clISD_PdSD_S15_EEDaS11_S12_SI_SN_EUlS11_E_NS1_11comp_targetILNS1_3genE10ELNS1_11target_archE1201ELNS1_3gpuE5ELNS1_3repE0EEENS1_47radix_sort_onesweep_sort_config_static_selectorELNS0_4arch9wavefront6targetE1EEEvSI_
	.p2align	8
	.type	_ZN7rocprim17ROCPRIM_400000_NS6detail17trampoline_kernelINS0_14default_configENS1_35radix_sort_onesweep_config_selectorIddEEZZNS1_29radix_sort_onesweep_iterationIS3_Lb0EN6thrust23THRUST_200600_302600_NS6detail15normal_iteratorINS8_10device_ptrIdEEEESD_SD_SD_jNS0_19identity_decomposerENS1_16block_id_wrapperIjLb0EEEEE10hipError_tT1_PNSt15iterator_traitsISI_E10value_typeET2_T3_PNSJ_ISO_E10value_typeET4_T5_PST_SU_PNS1_23onesweep_lookback_stateEbbT6_jjT7_P12ihipStream_tbENKUlT_T0_SI_SN_E_clISD_PdSD_S15_EEDaS11_S12_SI_SN_EUlS11_E_NS1_11comp_targetILNS1_3genE10ELNS1_11target_archE1201ELNS1_3gpuE5ELNS1_3repE0EEENS1_47radix_sort_onesweep_sort_config_static_selectorELNS0_4arch9wavefront6targetE1EEEvSI_,@function
_ZN7rocprim17ROCPRIM_400000_NS6detail17trampoline_kernelINS0_14default_configENS1_35radix_sort_onesweep_config_selectorIddEEZZNS1_29radix_sort_onesweep_iterationIS3_Lb0EN6thrust23THRUST_200600_302600_NS6detail15normal_iteratorINS8_10device_ptrIdEEEESD_SD_SD_jNS0_19identity_decomposerENS1_16block_id_wrapperIjLb0EEEEE10hipError_tT1_PNSt15iterator_traitsISI_E10value_typeET2_T3_PNSJ_ISO_E10value_typeET4_T5_PST_SU_PNS1_23onesweep_lookback_stateEbbT6_jjT7_P12ihipStream_tbENKUlT_T0_SI_SN_E_clISD_PdSD_S15_EEDaS11_S12_SI_SN_EUlS11_E_NS1_11comp_targetILNS1_3genE10ELNS1_11target_archE1201ELNS1_3gpuE5ELNS1_3repE0EEENS1_47radix_sort_onesweep_sort_config_static_selectorELNS0_4arch9wavefront6targetE1EEEvSI_: ; @_ZN7rocprim17ROCPRIM_400000_NS6detail17trampoline_kernelINS0_14default_configENS1_35radix_sort_onesweep_config_selectorIddEEZZNS1_29radix_sort_onesweep_iterationIS3_Lb0EN6thrust23THRUST_200600_302600_NS6detail15normal_iteratorINS8_10device_ptrIdEEEESD_SD_SD_jNS0_19identity_decomposerENS1_16block_id_wrapperIjLb0EEEEE10hipError_tT1_PNSt15iterator_traitsISI_E10value_typeET2_T3_PNSJ_ISO_E10value_typeET4_T5_PST_SU_PNS1_23onesweep_lookback_stateEbbT6_jjT7_P12ihipStream_tbENKUlT_T0_SI_SN_E_clISD_PdSD_S15_EEDaS11_S12_SI_SN_EUlS11_E_NS1_11comp_targetILNS1_3genE10ELNS1_11target_archE1201ELNS1_3gpuE5ELNS1_3repE0EEENS1_47radix_sort_onesweep_sort_config_static_selectorELNS0_4arch9wavefront6targetE1EEEvSI_
; %bb.0:
	.section	.rodata,"a",@progbits
	.p2align	6, 0x0
	.amdhsa_kernel _ZN7rocprim17ROCPRIM_400000_NS6detail17trampoline_kernelINS0_14default_configENS1_35radix_sort_onesweep_config_selectorIddEEZZNS1_29radix_sort_onesweep_iterationIS3_Lb0EN6thrust23THRUST_200600_302600_NS6detail15normal_iteratorINS8_10device_ptrIdEEEESD_SD_SD_jNS0_19identity_decomposerENS1_16block_id_wrapperIjLb0EEEEE10hipError_tT1_PNSt15iterator_traitsISI_E10value_typeET2_T3_PNSJ_ISO_E10value_typeET4_T5_PST_SU_PNS1_23onesweep_lookback_stateEbbT6_jjT7_P12ihipStream_tbENKUlT_T0_SI_SN_E_clISD_PdSD_S15_EEDaS11_S12_SI_SN_EUlS11_E_NS1_11comp_targetILNS1_3genE10ELNS1_11target_archE1201ELNS1_3gpuE5ELNS1_3repE0EEENS1_47radix_sort_onesweep_sort_config_static_selectorELNS0_4arch9wavefront6targetE1EEEvSI_
		.amdhsa_group_segment_fixed_size 0
		.amdhsa_private_segment_fixed_size 0
		.amdhsa_kernarg_size 88
		.amdhsa_user_sgpr_count 2
		.amdhsa_user_sgpr_dispatch_ptr 0
		.amdhsa_user_sgpr_queue_ptr 0
		.amdhsa_user_sgpr_kernarg_segment_ptr 1
		.amdhsa_user_sgpr_dispatch_id 0
		.amdhsa_user_sgpr_kernarg_preload_length 0
		.amdhsa_user_sgpr_kernarg_preload_offset 0
		.amdhsa_user_sgpr_private_segment_size 0
		.amdhsa_uses_dynamic_stack 0
		.amdhsa_enable_private_segment 0
		.amdhsa_system_sgpr_workgroup_id_x 1
		.amdhsa_system_sgpr_workgroup_id_y 0
		.amdhsa_system_sgpr_workgroup_id_z 0
		.amdhsa_system_sgpr_workgroup_info 0
		.amdhsa_system_vgpr_workitem_id 0
		.amdhsa_next_free_vgpr 1
		.amdhsa_next_free_sgpr 0
		.amdhsa_accum_offset 4
		.amdhsa_reserve_vcc 0
		.amdhsa_float_round_mode_32 0
		.amdhsa_float_round_mode_16_64 0
		.amdhsa_float_denorm_mode_32 3
		.amdhsa_float_denorm_mode_16_64 3
		.amdhsa_dx10_clamp 1
		.amdhsa_ieee_mode 1
		.amdhsa_fp16_overflow 0
		.amdhsa_tg_split 0
		.amdhsa_exception_fp_ieee_invalid_op 0
		.amdhsa_exception_fp_denorm_src 0
		.amdhsa_exception_fp_ieee_div_zero 0
		.amdhsa_exception_fp_ieee_overflow 0
		.amdhsa_exception_fp_ieee_underflow 0
		.amdhsa_exception_fp_ieee_inexact 0
		.amdhsa_exception_int_div_zero 0
	.end_amdhsa_kernel
	.section	.text._ZN7rocprim17ROCPRIM_400000_NS6detail17trampoline_kernelINS0_14default_configENS1_35radix_sort_onesweep_config_selectorIddEEZZNS1_29radix_sort_onesweep_iterationIS3_Lb0EN6thrust23THRUST_200600_302600_NS6detail15normal_iteratorINS8_10device_ptrIdEEEESD_SD_SD_jNS0_19identity_decomposerENS1_16block_id_wrapperIjLb0EEEEE10hipError_tT1_PNSt15iterator_traitsISI_E10value_typeET2_T3_PNSJ_ISO_E10value_typeET4_T5_PST_SU_PNS1_23onesweep_lookback_stateEbbT6_jjT7_P12ihipStream_tbENKUlT_T0_SI_SN_E_clISD_PdSD_S15_EEDaS11_S12_SI_SN_EUlS11_E_NS1_11comp_targetILNS1_3genE10ELNS1_11target_archE1201ELNS1_3gpuE5ELNS1_3repE0EEENS1_47radix_sort_onesweep_sort_config_static_selectorELNS0_4arch9wavefront6targetE1EEEvSI_,"axG",@progbits,_ZN7rocprim17ROCPRIM_400000_NS6detail17trampoline_kernelINS0_14default_configENS1_35radix_sort_onesweep_config_selectorIddEEZZNS1_29radix_sort_onesweep_iterationIS3_Lb0EN6thrust23THRUST_200600_302600_NS6detail15normal_iteratorINS8_10device_ptrIdEEEESD_SD_SD_jNS0_19identity_decomposerENS1_16block_id_wrapperIjLb0EEEEE10hipError_tT1_PNSt15iterator_traitsISI_E10value_typeET2_T3_PNSJ_ISO_E10value_typeET4_T5_PST_SU_PNS1_23onesweep_lookback_stateEbbT6_jjT7_P12ihipStream_tbENKUlT_T0_SI_SN_E_clISD_PdSD_S15_EEDaS11_S12_SI_SN_EUlS11_E_NS1_11comp_targetILNS1_3genE10ELNS1_11target_archE1201ELNS1_3gpuE5ELNS1_3repE0EEENS1_47radix_sort_onesweep_sort_config_static_selectorELNS0_4arch9wavefront6targetE1EEEvSI_,comdat
.Lfunc_end151:
	.size	_ZN7rocprim17ROCPRIM_400000_NS6detail17trampoline_kernelINS0_14default_configENS1_35radix_sort_onesweep_config_selectorIddEEZZNS1_29radix_sort_onesweep_iterationIS3_Lb0EN6thrust23THRUST_200600_302600_NS6detail15normal_iteratorINS8_10device_ptrIdEEEESD_SD_SD_jNS0_19identity_decomposerENS1_16block_id_wrapperIjLb0EEEEE10hipError_tT1_PNSt15iterator_traitsISI_E10value_typeET2_T3_PNSJ_ISO_E10value_typeET4_T5_PST_SU_PNS1_23onesweep_lookback_stateEbbT6_jjT7_P12ihipStream_tbENKUlT_T0_SI_SN_E_clISD_PdSD_S15_EEDaS11_S12_SI_SN_EUlS11_E_NS1_11comp_targetILNS1_3genE10ELNS1_11target_archE1201ELNS1_3gpuE5ELNS1_3repE0EEENS1_47radix_sort_onesweep_sort_config_static_selectorELNS0_4arch9wavefront6targetE1EEEvSI_, .Lfunc_end151-_ZN7rocprim17ROCPRIM_400000_NS6detail17trampoline_kernelINS0_14default_configENS1_35radix_sort_onesweep_config_selectorIddEEZZNS1_29radix_sort_onesweep_iterationIS3_Lb0EN6thrust23THRUST_200600_302600_NS6detail15normal_iteratorINS8_10device_ptrIdEEEESD_SD_SD_jNS0_19identity_decomposerENS1_16block_id_wrapperIjLb0EEEEE10hipError_tT1_PNSt15iterator_traitsISI_E10value_typeET2_T3_PNSJ_ISO_E10value_typeET4_T5_PST_SU_PNS1_23onesweep_lookback_stateEbbT6_jjT7_P12ihipStream_tbENKUlT_T0_SI_SN_E_clISD_PdSD_S15_EEDaS11_S12_SI_SN_EUlS11_E_NS1_11comp_targetILNS1_3genE10ELNS1_11target_archE1201ELNS1_3gpuE5ELNS1_3repE0EEENS1_47radix_sort_onesweep_sort_config_static_selectorELNS0_4arch9wavefront6targetE1EEEvSI_
                                        ; -- End function
	.set _ZN7rocprim17ROCPRIM_400000_NS6detail17trampoline_kernelINS0_14default_configENS1_35radix_sort_onesweep_config_selectorIddEEZZNS1_29radix_sort_onesweep_iterationIS3_Lb0EN6thrust23THRUST_200600_302600_NS6detail15normal_iteratorINS8_10device_ptrIdEEEESD_SD_SD_jNS0_19identity_decomposerENS1_16block_id_wrapperIjLb0EEEEE10hipError_tT1_PNSt15iterator_traitsISI_E10value_typeET2_T3_PNSJ_ISO_E10value_typeET4_T5_PST_SU_PNS1_23onesweep_lookback_stateEbbT6_jjT7_P12ihipStream_tbENKUlT_T0_SI_SN_E_clISD_PdSD_S15_EEDaS11_S12_SI_SN_EUlS11_E_NS1_11comp_targetILNS1_3genE10ELNS1_11target_archE1201ELNS1_3gpuE5ELNS1_3repE0EEENS1_47radix_sort_onesweep_sort_config_static_selectorELNS0_4arch9wavefront6targetE1EEEvSI_.num_vgpr, 0
	.set _ZN7rocprim17ROCPRIM_400000_NS6detail17trampoline_kernelINS0_14default_configENS1_35radix_sort_onesweep_config_selectorIddEEZZNS1_29radix_sort_onesweep_iterationIS3_Lb0EN6thrust23THRUST_200600_302600_NS6detail15normal_iteratorINS8_10device_ptrIdEEEESD_SD_SD_jNS0_19identity_decomposerENS1_16block_id_wrapperIjLb0EEEEE10hipError_tT1_PNSt15iterator_traitsISI_E10value_typeET2_T3_PNSJ_ISO_E10value_typeET4_T5_PST_SU_PNS1_23onesweep_lookback_stateEbbT6_jjT7_P12ihipStream_tbENKUlT_T0_SI_SN_E_clISD_PdSD_S15_EEDaS11_S12_SI_SN_EUlS11_E_NS1_11comp_targetILNS1_3genE10ELNS1_11target_archE1201ELNS1_3gpuE5ELNS1_3repE0EEENS1_47radix_sort_onesweep_sort_config_static_selectorELNS0_4arch9wavefront6targetE1EEEvSI_.num_agpr, 0
	.set _ZN7rocprim17ROCPRIM_400000_NS6detail17trampoline_kernelINS0_14default_configENS1_35radix_sort_onesweep_config_selectorIddEEZZNS1_29radix_sort_onesweep_iterationIS3_Lb0EN6thrust23THRUST_200600_302600_NS6detail15normal_iteratorINS8_10device_ptrIdEEEESD_SD_SD_jNS0_19identity_decomposerENS1_16block_id_wrapperIjLb0EEEEE10hipError_tT1_PNSt15iterator_traitsISI_E10value_typeET2_T3_PNSJ_ISO_E10value_typeET4_T5_PST_SU_PNS1_23onesweep_lookback_stateEbbT6_jjT7_P12ihipStream_tbENKUlT_T0_SI_SN_E_clISD_PdSD_S15_EEDaS11_S12_SI_SN_EUlS11_E_NS1_11comp_targetILNS1_3genE10ELNS1_11target_archE1201ELNS1_3gpuE5ELNS1_3repE0EEENS1_47radix_sort_onesweep_sort_config_static_selectorELNS0_4arch9wavefront6targetE1EEEvSI_.numbered_sgpr, 0
	.set _ZN7rocprim17ROCPRIM_400000_NS6detail17trampoline_kernelINS0_14default_configENS1_35radix_sort_onesweep_config_selectorIddEEZZNS1_29radix_sort_onesweep_iterationIS3_Lb0EN6thrust23THRUST_200600_302600_NS6detail15normal_iteratorINS8_10device_ptrIdEEEESD_SD_SD_jNS0_19identity_decomposerENS1_16block_id_wrapperIjLb0EEEEE10hipError_tT1_PNSt15iterator_traitsISI_E10value_typeET2_T3_PNSJ_ISO_E10value_typeET4_T5_PST_SU_PNS1_23onesweep_lookback_stateEbbT6_jjT7_P12ihipStream_tbENKUlT_T0_SI_SN_E_clISD_PdSD_S15_EEDaS11_S12_SI_SN_EUlS11_E_NS1_11comp_targetILNS1_3genE10ELNS1_11target_archE1201ELNS1_3gpuE5ELNS1_3repE0EEENS1_47radix_sort_onesweep_sort_config_static_selectorELNS0_4arch9wavefront6targetE1EEEvSI_.num_named_barrier, 0
	.set _ZN7rocprim17ROCPRIM_400000_NS6detail17trampoline_kernelINS0_14default_configENS1_35radix_sort_onesweep_config_selectorIddEEZZNS1_29radix_sort_onesweep_iterationIS3_Lb0EN6thrust23THRUST_200600_302600_NS6detail15normal_iteratorINS8_10device_ptrIdEEEESD_SD_SD_jNS0_19identity_decomposerENS1_16block_id_wrapperIjLb0EEEEE10hipError_tT1_PNSt15iterator_traitsISI_E10value_typeET2_T3_PNSJ_ISO_E10value_typeET4_T5_PST_SU_PNS1_23onesweep_lookback_stateEbbT6_jjT7_P12ihipStream_tbENKUlT_T0_SI_SN_E_clISD_PdSD_S15_EEDaS11_S12_SI_SN_EUlS11_E_NS1_11comp_targetILNS1_3genE10ELNS1_11target_archE1201ELNS1_3gpuE5ELNS1_3repE0EEENS1_47radix_sort_onesweep_sort_config_static_selectorELNS0_4arch9wavefront6targetE1EEEvSI_.private_seg_size, 0
	.set _ZN7rocprim17ROCPRIM_400000_NS6detail17trampoline_kernelINS0_14default_configENS1_35radix_sort_onesweep_config_selectorIddEEZZNS1_29radix_sort_onesweep_iterationIS3_Lb0EN6thrust23THRUST_200600_302600_NS6detail15normal_iteratorINS8_10device_ptrIdEEEESD_SD_SD_jNS0_19identity_decomposerENS1_16block_id_wrapperIjLb0EEEEE10hipError_tT1_PNSt15iterator_traitsISI_E10value_typeET2_T3_PNSJ_ISO_E10value_typeET4_T5_PST_SU_PNS1_23onesweep_lookback_stateEbbT6_jjT7_P12ihipStream_tbENKUlT_T0_SI_SN_E_clISD_PdSD_S15_EEDaS11_S12_SI_SN_EUlS11_E_NS1_11comp_targetILNS1_3genE10ELNS1_11target_archE1201ELNS1_3gpuE5ELNS1_3repE0EEENS1_47radix_sort_onesweep_sort_config_static_selectorELNS0_4arch9wavefront6targetE1EEEvSI_.uses_vcc, 0
	.set _ZN7rocprim17ROCPRIM_400000_NS6detail17trampoline_kernelINS0_14default_configENS1_35radix_sort_onesweep_config_selectorIddEEZZNS1_29radix_sort_onesweep_iterationIS3_Lb0EN6thrust23THRUST_200600_302600_NS6detail15normal_iteratorINS8_10device_ptrIdEEEESD_SD_SD_jNS0_19identity_decomposerENS1_16block_id_wrapperIjLb0EEEEE10hipError_tT1_PNSt15iterator_traitsISI_E10value_typeET2_T3_PNSJ_ISO_E10value_typeET4_T5_PST_SU_PNS1_23onesweep_lookback_stateEbbT6_jjT7_P12ihipStream_tbENKUlT_T0_SI_SN_E_clISD_PdSD_S15_EEDaS11_S12_SI_SN_EUlS11_E_NS1_11comp_targetILNS1_3genE10ELNS1_11target_archE1201ELNS1_3gpuE5ELNS1_3repE0EEENS1_47radix_sort_onesweep_sort_config_static_selectorELNS0_4arch9wavefront6targetE1EEEvSI_.uses_flat_scratch, 0
	.set _ZN7rocprim17ROCPRIM_400000_NS6detail17trampoline_kernelINS0_14default_configENS1_35radix_sort_onesweep_config_selectorIddEEZZNS1_29radix_sort_onesweep_iterationIS3_Lb0EN6thrust23THRUST_200600_302600_NS6detail15normal_iteratorINS8_10device_ptrIdEEEESD_SD_SD_jNS0_19identity_decomposerENS1_16block_id_wrapperIjLb0EEEEE10hipError_tT1_PNSt15iterator_traitsISI_E10value_typeET2_T3_PNSJ_ISO_E10value_typeET4_T5_PST_SU_PNS1_23onesweep_lookback_stateEbbT6_jjT7_P12ihipStream_tbENKUlT_T0_SI_SN_E_clISD_PdSD_S15_EEDaS11_S12_SI_SN_EUlS11_E_NS1_11comp_targetILNS1_3genE10ELNS1_11target_archE1201ELNS1_3gpuE5ELNS1_3repE0EEENS1_47radix_sort_onesweep_sort_config_static_selectorELNS0_4arch9wavefront6targetE1EEEvSI_.has_dyn_sized_stack, 0
	.set _ZN7rocprim17ROCPRIM_400000_NS6detail17trampoline_kernelINS0_14default_configENS1_35radix_sort_onesweep_config_selectorIddEEZZNS1_29radix_sort_onesweep_iterationIS3_Lb0EN6thrust23THRUST_200600_302600_NS6detail15normal_iteratorINS8_10device_ptrIdEEEESD_SD_SD_jNS0_19identity_decomposerENS1_16block_id_wrapperIjLb0EEEEE10hipError_tT1_PNSt15iterator_traitsISI_E10value_typeET2_T3_PNSJ_ISO_E10value_typeET4_T5_PST_SU_PNS1_23onesweep_lookback_stateEbbT6_jjT7_P12ihipStream_tbENKUlT_T0_SI_SN_E_clISD_PdSD_S15_EEDaS11_S12_SI_SN_EUlS11_E_NS1_11comp_targetILNS1_3genE10ELNS1_11target_archE1201ELNS1_3gpuE5ELNS1_3repE0EEENS1_47radix_sort_onesweep_sort_config_static_selectorELNS0_4arch9wavefront6targetE1EEEvSI_.has_recursion, 0
	.set _ZN7rocprim17ROCPRIM_400000_NS6detail17trampoline_kernelINS0_14default_configENS1_35radix_sort_onesweep_config_selectorIddEEZZNS1_29radix_sort_onesweep_iterationIS3_Lb0EN6thrust23THRUST_200600_302600_NS6detail15normal_iteratorINS8_10device_ptrIdEEEESD_SD_SD_jNS0_19identity_decomposerENS1_16block_id_wrapperIjLb0EEEEE10hipError_tT1_PNSt15iterator_traitsISI_E10value_typeET2_T3_PNSJ_ISO_E10value_typeET4_T5_PST_SU_PNS1_23onesweep_lookback_stateEbbT6_jjT7_P12ihipStream_tbENKUlT_T0_SI_SN_E_clISD_PdSD_S15_EEDaS11_S12_SI_SN_EUlS11_E_NS1_11comp_targetILNS1_3genE10ELNS1_11target_archE1201ELNS1_3gpuE5ELNS1_3repE0EEENS1_47radix_sort_onesweep_sort_config_static_selectorELNS0_4arch9wavefront6targetE1EEEvSI_.has_indirect_call, 0
	.section	.AMDGPU.csdata,"",@progbits
; Kernel info:
; codeLenInByte = 0
; TotalNumSgprs: 6
; NumVgprs: 0
; NumAgprs: 0
; TotalNumVgprs: 0
; ScratchSize: 0
; MemoryBound: 0
; FloatMode: 240
; IeeeMode: 1
; LDSByteSize: 0 bytes/workgroup (compile time only)
; SGPRBlocks: 0
; VGPRBlocks: 0
; NumSGPRsForWavesPerEU: 6
; NumVGPRsForWavesPerEU: 1
; AccumOffset: 4
; Occupancy: 8
; WaveLimiterHint : 0
; COMPUTE_PGM_RSRC2:SCRATCH_EN: 0
; COMPUTE_PGM_RSRC2:USER_SGPR: 2
; COMPUTE_PGM_RSRC2:TRAP_HANDLER: 0
; COMPUTE_PGM_RSRC2:TGID_X_EN: 1
; COMPUTE_PGM_RSRC2:TGID_Y_EN: 0
; COMPUTE_PGM_RSRC2:TGID_Z_EN: 0
; COMPUTE_PGM_RSRC2:TIDIG_COMP_CNT: 0
; COMPUTE_PGM_RSRC3_GFX90A:ACCUM_OFFSET: 0
; COMPUTE_PGM_RSRC3_GFX90A:TG_SPLIT: 0
	.section	.text._ZN7rocprim17ROCPRIM_400000_NS6detail17trampoline_kernelINS0_14default_configENS1_35radix_sort_onesweep_config_selectorIddEEZZNS1_29radix_sort_onesweep_iterationIS3_Lb0EN6thrust23THRUST_200600_302600_NS6detail15normal_iteratorINS8_10device_ptrIdEEEESD_SD_SD_jNS0_19identity_decomposerENS1_16block_id_wrapperIjLb0EEEEE10hipError_tT1_PNSt15iterator_traitsISI_E10value_typeET2_T3_PNSJ_ISO_E10value_typeET4_T5_PST_SU_PNS1_23onesweep_lookback_stateEbbT6_jjT7_P12ihipStream_tbENKUlT_T0_SI_SN_E_clISD_PdSD_S15_EEDaS11_S12_SI_SN_EUlS11_E_NS1_11comp_targetILNS1_3genE9ELNS1_11target_archE1100ELNS1_3gpuE3ELNS1_3repE0EEENS1_47radix_sort_onesweep_sort_config_static_selectorELNS0_4arch9wavefront6targetE1EEEvSI_,"axG",@progbits,_ZN7rocprim17ROCPRIM_400000_NS6detail17trampoline_kernelINS0_14default_configENS1_35radix_sort_onesweep_config_selectorIddEEZZNS1_29radix_sort_onesweep_iterationIS3_Lb0EN6thrust23THRUST_200600_302600_NS6detail15normal_iteratorINS8_10device_ptrIdEEEESD_SD_SD_jNS0_19identity_decomposerENS1_16block_id_wrapperIjLb0EEEEE10hipError_tT1_PNSt15iterator_traitsISI_E10value_typeET2_T3_PNSJ_ISO_E10value_typeET4_T5_PST_SU_PNS1_23onesweep_lookback_stateEbbT6_jjT7_P12ihipStream_tbENKUlT_T0_SI_SN_E_clISD_PdSD_S15_EEDaS11_S12_SI_SN_EUlS11_E_NS1_11comp_targetILNS1_3genE9ELNS1_11target_archE1100ELNS1_3gpuE3ELNS1_3repE0EEENS1_47radix_sort_onesweep_sort_config_static_selectorELNS0_4arch9wavefront6targetE1EEEvSI_,comdat
	.protected	_ZN7rocprim17ROCPRIM_400000_NS6detail17trampoline_kernelINS0_14default_configENS1_35radix_sort_onesweep_config_selectorIddEEZZNS1_29radix_sort_onesweep_iterationIS3_Lb0EN6thrust23THRUST_200600_302600_NS6detail15normal_iteratorINS8_10device_ptrIdEEEESD_SD_SD_jNS0_19identity_decomposerENS1_16block_id_wrapperIjLb0EEEEE10hipError_tT1_PNSt15iterator_traitsISI_E10value_typeET2_T3_PNSJ_ISO_E10value_typeET4_T5_PST_SU_PNS1_23onesweep_lookback_stateEbbT6_jjT7_P12ihipStream_tbENKUlT_T0_SI_SN_E_clISD_PdSD_S15_EEDaS11_S12_SI_SN_EUlS11_E_NS1_11comp_targetILNS1_3genE9ELNS1_11target_archE1100ELNS1_3gpuE3ELNS1_3repE0EEENS1_47radix_sort_onesweep_sort_config_static_selectorELNS0_4arch9wavefront6targetE1EEEvSI_ ; -- Begin function _ZN7rocprim17ROCPRIM_400000_NS6detail17trampoline_kernelINS0_14default_configENS1_35radix_sort_onesweep_config_selectorIddEEZZNS1_29radix_sort_onesweep_iterationIS3_Lb0EN6thrust23THRUST_200600_302600_NS6detail15normal_iteratorINS8_10device_ptrIdEEEESD_SD_SD_jNS0_19identity_decomposerENS1_16block_id_wrapperIjLb0EEEEE10hipError_tT1_PNSt15iterator_traitsISI_E10value_typeET2_T3_PNSJ_ISO_E10value_typeET4_T5_PST_SU_PNS1_23onesweep_lookback_stateEbbT6_jjT7_P12ihipStream_tbENKUlT_T0_SI_SN_E_clISD_PdSD_S15_EEDaS11_S12_SI_SN_EUlS11_E_NS1_11comp_targetILNS1_3genE9ELNS1_11target_archE1100ELNS1_3gpuE3ELNS1_3repE0EEENS1_47radix_sort_onesweep_sort_config_static_selectorELNS0_4arch9wavefront6targetE1EEEvSI_
	.globl	_ZN7rocprim17ROCPRIM_400000_NS6detail17trampoline_kernelINS0_14default_configENS1_35radix_sort_onesweep_config_selectorIddEEZZNS1_29radix_sort_onesweep_iterationIS3_Lb0EN6thrust23THRUST_200600_302600_NS6detail15normal_iteratorINS8_10device_ptrIdEEEESD_SD_SD_jNS0_19identity_decomposerENS1_16block_id_wrapperIjLb0EEEEE10hipError_tT1_PNSt15iterator_traitsISI_E10value_typeET2_T3_PNSJ_ISO_E10value_typeET4_T5_PST_SU_PNS1_23onesweep_lookback_stateEbbT6_jjT7_P12ihipStream_tbENKUlT_T0_SI_SN_E_clISD_PdSD_S15_EEDaS11_S12_SI_SN_EUlS11_E_NS1_11comp_targetILNS1_3genE9ELNS1_11target_archE1100ELNS1_3gpuE3ELNS1_3repE0EEENS1_47radix_sort_onesweep_sort_config_static_selectorELNS0_4arch9wavefront6targetE1EEEvSI_
	.p2align	8
	.type	_ZN7rocprim17ROCPRIM_400000_NS6detail17trampoline_kernelINS0_14default_configENS1_35radix_sort_onesweep_config_selectorIddEEZZNS1_29radix_sort_onesweep_iterationIS3_Lb0EN6thrust23THRUST_200600_302600_NS6detail15normal_iteratorINS8_10device_ptrIdEEEESD_SD_SD_jNS0_19identity_decomposerENS1_16block_id_wrapperIjLb0EEEEE10hipError_tT1_PNSt15iterator_traitsISI_E10value_typeET2_T3_PNSJ_ISO_E10value_typeET4_T5_PST_SU_PNS1_23onesweep_lookback_stateEbbT6_jjT7_P12ihipStream_tbENKUlT_T0_SI_SN_E_clISD_PdSD_S15_EEDaS11_S12_SI_SN_EUlS11_E_NS1_11comp_targetILNS1_3genE9ELNS1_11target_archE1100ELNS1_3gpuE3ELNS1_3repE0EEENS1_47radix_sort_onesweep_sort_config_static_selectorELNS0_4arch9wavefront6targetE1EEEvSI_,@function
_ZN7rocprim17ROCPRIM_400000_NS6detail17trampoline_kernelINS0_14default_configENS1_35radix_sort_onesweep_config_selectorIddEEZZNS1_29radix_sort_onesweep_iterationIS3_Lb0EN6thrust23THRUST_200600_302600_NS6detail15normal_iteratorINS8_10device_ptrIdEEEESD_SD_SD_jNS0_19identity_decomposerENS1_16block_id_wrapperIjLb0EEEEE10hipError_tT1_PNSt15iterator_traitsISI_E10value_typeET2_T3_PNSJ_ISO_E10value_typeET4_T5_PST_SU_PNS1_23onesweep_lookback_stateEbbT6_jjT7_P12ihipStream_tbENKUlT_T0_SI_SN_E_clISD_PdSD_S15_EEDaS11_S12_SI_SN_EUlS11_E_NS1_11comp_targetILNS1_3genE9ELNS1_11target_archE1100ELNS1_3gpuE3ELNS1_3repE0EEENS1_47radix_sort_onesweep_sort_config_static_selectorELNS0_4arch9wavefront6targetE1EEEvSI_: ; @_ZN7rocprim17ROCPRIM_400000_NS6detail17trampoline_kernelINS0_14default_configENS1_35radix_sort_onesweep_config_selectorIddEEZZNS1_29radix_sort_onesweep_iterationIS3_Lb0EN6thrust23THRUST_200600_302600_NS6detail15normal_iteratorINS8_10device_ptrIdEEEESD_SD_SD_jNS0_19identity_decomposerENS1_16block_id_wrapperIjLb0EEEEE10hipError_tT1_PNSt15iterator_traitsISI_E10value_typeET2_T3_PNSJ_ISO_E10value_typeET4_T5_PST_SU_PNS1_23onesweep_lookback_stateEbbT6_jjT7_P12ihipStream_tbENKUlT_T0_SI_SN_E_clISD_PdSD_S15_EEDaS11_S12_SI_SN_EUlS11_E_NS1_11comp_targetILNS1_3genE9ELNS1_11target_archE1100ELNS1_3gpuE3ELNS1_3repE0EEENS1_47radix_sort_onesweep_sort_config_static_selectorELNS0_4arch9wavefront6targetE1EEEvSI_
; %bb.0:
	.section	.rodata,"a",@progbits
	.p2align	6, 0x0
	.amdhsa_kernel _ZN7rocprim17ROCPRIM_400000_NS6detail17trampoline_kernelINS0_14default_configENS1_35radix_sort_onesweep_config_selectorIddEEZZNS1_29radix_sort_onesweep_iterationIS3_Lb0EN6thrust23THRUST_200600_302600_NS6detail15normal_iteratorINS8_10device_ptrIdEEEESD_SD_SD_jNS0_19identity_decomposerENS1_16block_id_wrapperIjLb0EEEEE10hipError_tT1_PNSt15iterator_traitsISI_E10value_typeET2_T3_PNSJ_ISO_E10value_typeET4_T5_PST_SU_PNS1_23onesweep_lookback_stateEbbT6_jjT7_P12ihipStream_tbENKUlT_T0_SI_SN_E_clISD_PdSD_S15_EEDaS11_S12_SI_SN_EUlS11_E_NS1_11comp_targetILNS1_3genE9ELNS1_11target_archE1100ELNS1_3gpuE3ELNS1_3repE0EEENS1_47radix_sort_onesweep_sort_config_static_selectorELNS0_4arch9wavefront6targetE1EEEvSI_
		.amdhsa_group_segment_fixed_size 0
		.amdhsa_private_segment_fixed_size 0
		.amdhsa_kernarg_size 88
		.amdhsa_user_sgpr_count 2
		.amdhsa_user_sgpr_dispatch_ptr 0
		.amdhsa_user_sgpr_queue_ptr 0
		.amdhsa_user_sgpr_kernarg_segment_ptr 1
		.amdhsa_user_sgpr_dispatch_id 0
		.amdhsa_user_sgpr_kernarg_preload_length 0
		.amdhsa_user_sgpr_kernarg_preload_offset 0
		.amdhsa_user_sgpr_private_segment_size 0
		.amdhsa_uses_dynamic_stack 0
		.amdhsa_enable_private_segment 0
		.amdhsa_system_sgpr_workgroup_id_x 1
		.amdhsa_system_sgpr_workgroup_id_y 0
		.amdhsa_system_sgpr_workgroup_id_z 0
		.amdhsa_system_sgpr_workgroup_info 0
		.amdhsa_system_vgpr_workitem_id 0
		.amdhsa_next_free_vgpr 1
		.amdhsa_next_free_sgpr 0
		.amdhsa_accum_offset 4
		.amdhsa_reserve_vcc 0
		.amdhsa_float_round_mode_32 0
		.amdhsa_float_round_mode_16_64 0
		.amdhsa_float_denorm_mode_32 3
		.amdhsa_float_denorm_mode_16_64 3
		.amdhsa_dx10_clamp 1
		.amdhsa_ieee_mode 1
		.amdhsa_fp16_overflow 0
		.amdhsa_tg_split 0
		.amdhsa_exception_fp_ieee_invalid_op 0
		.amdhsa_exception_fp_denorm_src 0
		.amdhsa_exception_fp_ieee_div_zero 0
		.amdhsa_exception_fp_ieee_overflow 0
		.amdhsa_exception_fp_ieee_underflow 0
		.amdhsa_exception_fp_ieee_inexact 0
		.amdhsa_exception_int_div_zero 0
	.end_amdhsa_kernel
	.section	.text._ZN7rocprim17ROCPRIM_400000_NS6detail17trampoline_kernelINS0_14default_configENS1_35radix_sort_onesweep_config_selectorIddEEZZNS1_29radix_sort_onesweep_iterationIS3_Lb0EN6thrust23THRUST_200600_302600_NS6detail15normal_iteratorINS8_10device_ptrIdEEEESD_SD_SD_jNS0_19identity_decomposerENS1_16block_id_wrapperIjLb0EEEEE10hipError_tT1_PNSt15iterator_traitsISI_E10value_typeET2_T3_PNSJ_ISO_E10value_typeET4_T5_PST_SU_PNS1_23onesweep_lookback_stateEbbT6_jjT7_P12ihipStream_tbENKUlT_T0_SI_SN_E_clISD_PdSD_S15_EEDaS11_S12_SI_SN_EUlS11_E_NS1_11comp_targetILNS1_3genE9ELNS1_11target_archE1100ELNS1_3gpuE3ELNS1_3repE0EEENS1_47radix_sort_onesweep_sort_config_static_selectorELNS0_4arch9wavefront6targetE1EEEvSI_,"axG",@progbits,_ZN7rocprim17ROCPRIM_400000_NS6detail17trampoline_kernelINS0_14default_configENS1_35radix_sort_onesweep_config_selectorIddEEZZNS1_29radix_sort_onesweep_iterationIS3_Lb0EN6thrust23THRUST_200600_302600_NS6detail15normal_iteratorINS8_10device_ptrIdEEEESD_SD_SD_jNS0_19identity_decomposerENS1_16block_id_wrapperIjLb0EEEEE10hipError_tT1_PNSt15iterator_traitsISI_E10value_typeET2_T3_PNSJ_ISO_E10value_typeET4_T5_PST_SU_PNS1_23onesweep_lookback_stateEbbT6_jjT7_P12ihipStream_tbENKUlT_T0_SI_SN_E_clISD_PdSD_S15_EEDaS11_S12_SI_SN_EUlS11_E_NS1_11comp_targetILNS1_3genE9ELNS1_11target_archE1100ELNS1_3gpuE3ELNS1_3repE0EEENS1_47radix_sort_onesweep_sort_config_static_selectorELNS0_4arch9wavefront6targetE1EEEvSI_,comdat
.Lfunc_end152:
	.size	_ZN7rocprim17ROCPRIM_400000_NS6detail17trampoline_kernelINS0_14default_configENS1_35radix_sort_onesweep_config_selectorIddEEZZNS1_29radix_sort_onesweep_iterationIS3_Lb0EN6thrust23THRUST_200600_302600_NS6detail15normal_iteratorINS8_10device_ptrIdEEEESD_SD_SD_jNS0_19identity_decomposerENS1_16block_id_wrapperIjLb0EEEEE10hipError_tT1_PNSt15iterator_traitsISI_E10value_typeET2_T3_PNSJ_ISO_E10value_typeET4_T5_PST_SU_PNS1_23onesweep_lookback_stateEbbT6_jjT7_P12ihipStream_tbENKUlT_T0_SI_SN_E_clISD_PdSD_S15_EEDaS11_S12_SI_SN_EUlS11_E_NS1_11comp_targetILNS1_3genE9ELNS1_11target_archE1100ELNS1_3gpuE3ELNS1_3repE0EEENS1_47radix_sort_onesweep_sort_config_static_selectorELNS0_4arch9wavefront6targetE1EEEvSI_, .Lfunc_end152-_ZN7rocprim17ROCPRIM_400000_NS6detail17trampoline_kernelINS0_14default_configENS1_35radix_sort_onesweep_config_selectorIddEEZZNS1_29radix_sort_onesweep_iterationIS3_Lb0EN6thrust23THRUST_200600_302600_NS6detail15normal_iteratorINS8_10device_ptrIdEEEESD_SD_SD_jNS0_19identity_decomposerENS1_16block_id_wrapperIjLb0EEEEE10hipError_tT1_PNSt15iterator_traitsISI_E10value_typeET2_T3_PNSJ_ISO_E10value_typeET4_T5_PST_SU_PNS1_23onesweep_lookback_stateEbbT6_jjT7_P12ihipStream_tbENKUlT_T0_SI_SN_E_clISD_PdSD_S15_EEDaS11_S12_SI_SN_EUlS11_E_NS1_11comp_targetILNS1_3genE9ELNS1_11target_archE1100ELNS1_3gpuE3ELNS1_3repE0EEENS1_47radix_sort_onesweep_sort_config_static_selectorELNS0_4arch9wavefront6targetE1EEEvSI_
                                        ; -- End function
	.set _ZN7rocprim17ROCPRIM_400000_NS6detail17trampoline_kernelINS0_14default_configENS1_35radix_sort_onesweep_config_selectorIddEEZZNS1_29radix_sort_onesweep_iterationIS3_Lb0EN6thrust23THRUST_200600_302600_NS6detail15normal_iteratorINS8_10device_ptrIdEEEESD_SD_SD_jNS0_19identity_decomposerENS1_16block_id_wrapperIjLb0EEEEE10hipError_tT1_PNSt15iterator_traitsISI_E10value_typeET2_T3_PNSJ_ISO_E10value_typeET4_T5_PST_SU_PNS1_23onesweep_lookback_stateEbbT6_jjT7_P12ihipStream_tbENKUlT_T0_SI_SN_E_clISD_PdSD_S15_EEDaS11_S12_SI_SN_EUlS11_E_NS1_11comp_targetILNS1_3genE9ELNS1_11target_archE1100ELNS1_3gpuE3ELNS1_3repE0EEENS1_47radix_sort_onesweep_sort_config_static_selectorELNS0_4arch9wavefront6targetE1EEEvSI_.num_vgpr, 0
	.set _ZN7rocprim17ROCPRIM_400000_NS6detail17trampoline_kernelINS0_14default_configENS1_35radix_sort_onesweep_config_selectorIddEEZZNS1_29radix_sort_onesweep_iterationIS3_Lb0EN6thrust23THRUST_200600_302600_NS6detail15normal_iteratorINS8_10device_ptrIdEEEESD_SD_SD_jNS0_19identity_decomposerENS1_16block_id_wrapperIjLb0EEEEE10hipError_tT1_PNSt15iterator_traitsISI_E10value_typeET2_T3_PNSJ_ISO_E10value_typeET4_T5_PST_SU_PNS1_23onesweep_lookback_stateEbbT6_jjT7_P12ihipStream_tbENKUlT_T0_SI_SN_E_clISD_PdSD_S15_EEDaS11_S12_SI_SN_EUlS11_E_NS1_11comp_targetILNS1_3genE9ELNS1_11target_archE1100ELNS1_3gpuE3ELNS1_3repE0EEENS1_47radix_sort_onesweep_sort_config_static_selectorELNS0_4arch9wavefront6targetE1EEEvSI_.num_agpr, 0
	.set _ZN7rocprim17ROCPRIM_400000_NS6detail17trampoline_kernelINS0_14default_configENS1_35radix_sort_onesweep_config_selectorIddEEZZNS1_29radix_sort_onesweep_iterationIS3_Lb0EN6thrust23THRUST_200600_302600_NS6detail15normal_iteratorINS8_10device_ptrIdEEEESD_SD_SD_jNS0_19identity_decomposerENS1_16block_id_wrapperIjLb0EEEEE10hipError_tT1_PNSt15iterator_traitsISI_E10value_typeET2_T3_PNSJ_ISO_E10value_typeET4_T5_PST_SU_PNS1_23onesweep_lookback_stateEbbT6_jjT7_P12ihipStream_tbENKUlT_T0_SI_SN_E_clISD_PdSD_S15_EEDaS11_S12_SI_SN_EUlS11_E_NS1_11comp_targetILNS1_3genE9ELNS1_11target_archE1100ELNS1_3gpuE3ELNS1_3repE0EEENS1_47radix_sort_onesweep_sort_config_static_selectorELNS0_4arch9wavefront6targetE1EEEvSI_.numbered_sgpr, 0
	.set _ZN7rocprim17ROCPRIM_400000_NS6detail17trampoline_kernelINS0_14default_configENS1_35radix_sort_onesweep_config_selectorIddEEZZNS1_29radix_sort_onesweep_iterationIS3_Lb0EN6thrust23THRUST_200600_302600_NS6detail15normal_iteratorINS8_10device_ptrIdEEEESD_SD_SD_jNS0_19identity_decomposerENS1_16block_id_wrapperIjLb0EEEEE10hipError_tT1_PNSt15iterator_traitsISI_E10value_typeET2_T3_PNSJ_ISO_E10value_typeET4_T5_PST_SU_PNS1_23onesweep_lookback_stateEbbT6_jjT7_P12ihipStream_tbENKUlT_T0_SI_SN_E_clISD_PdSD_S15_EEDaS11_S12_SI_SN_EUlS11_E_NS1_11comp_targetILNS1_3genE9ELNS1_11target_archE1100ELNS1_3gpuE3ELNS1_3repE0EEENS1_47radix_sort_onesweep_sort_config_static_selectorELNS0_4arch9wavefront6targetE1EEEvSI_.num_named_barrier, 0
	.set _ZN7rocprim17ROCPRIM_400000_NS6detail17trampoline_kernelINS0_14default_configENS1_35radix_sort_onesweep_config_selectorIddEEZZNS1_29radix_sort_onesweep_iterationIS3_Lb0EN6thrust23THRUST_200600_302600_NS6detail15normal_iteratorINS8_10device_ptrIdEEEESD_SD_SD_jNS0_19identity_decomposerENS1_16block_id_wrapperIjLb0EEEEE10hipError_tT1_PNSt15iterator_traitsISI_E10value_typeET2_T3_PNSJ_ISO_E10value_typeET4_T5_PST_SU_PNS1_23onesweep_lookback_stateEbbT6_jjT7_P12ihipStream_tbENKUlT_T0_SI_SN_E_clISD_PdSD_S15_EEDaS11_S12_SI_SN_EUlS11_E_NS1_11comp_targetILNS1_3genE9ELNS1_11target_archE1100ELNS1_3gpuE3ELNS1_3repE0EEENS1_47radix_sort_onesweep_sort_config_static_selectorELNS0_4arch9wavefront6targetE1EEEvSI_.private_seg_size, 0
	.set _ZN7rocprim17ROCPRIM_400000_NS6detail17trampoline_kernelINS0_14default_configENS1_35radix_sort_onesweep_config_selectorIddEEZZNS1_29radix_sort_onesweep_iterationIS3_Lb0EN6thrust23THRUST_200600_302600_NS6detail15normal_iteratorINS8_10device_ptrIdEEEESD_SD_SD_jNS0_19identity_decomposerENS1_16block_id_wrapperIjLb0EEEEE10hipError_tT1_PNSt15iterator_traitsISI_E10value_typeET2_T3_PNSJ_ISO_E10value_typeET4_T5_PST_SU_PNS1_23onesweep_lookback_stateEbbT6_jjT7_P12ihipStream_tbENKUlT_T0_SI_SN_E_clISD_PdSD_S15_EEDaS11_S12_SI_SN_EUlS11_E_NS1_11comp_targetILNS1_3genE9ELNS1_11target_archE1100ELNS1_3gpuE3ELNS1_3repE0EEENS1_47radix_sort_onesweep_sort_config_static_selectorELNS0_4arch9wavefront6targetE1EEEvSI_.uses_vcc, 0
	.set _ZN7rocprim17ROCPRIM_400000_NS6detail17trampoline_kernelINS0_14default_configENS1_35radix_sort_onesweep_config_selectorIddEEZZNS1_29radix_sort_onesweep_iterationIS3_Lb0EN6thrust23THRUST_200600_302600_NS6detail15normal_iteratorINS8_10device_ptrIdEEEESD_SD_SD_jNS0_19identity_decomposerENS1_16block_id_wrapperIjLb0EEEEE10hipError_tT1_PNSt15iterator_traitsISI_E10value_typeET2_T3_PNSJ_ISO_E10value_typeET4_T5_PST_SU_PNS1_23onesweep_lookback_stateEbbT6_jjT7_P12ihipStream_tbENKUlT_T0_SI_SN_E_clISD_PdSD_S15_EEDaS11_S12_SI_SN_EUlS11_E_NS1_11comp_targetILNS1_3genE9ELNS1_11target_archE1100ELNS1_3gpuE3ELNS1_3repE0EEENS1_47radix_sort_onesweep_sort_config_static_selectorELNS0_4arch9wavefront6targetE1EEEvSI_.uses_flat_scratch, 0
	.set _ZN7rocprim17ROCPRIM_400000_NS6detail17trampoline_kernelINS0_14default_configENS1_35radix_sort_onesweep_config_selectorIddEEZZNS1_29radix_sort_onesweep_iterationIS3_Lb0EN6thrust23THRUST_200600_302600_NS6detail15normal_iteratorINS8_10device_ptrIdEEEESD_SD_SD_jNS0_19identity_decomposerENS1_16block_id_wrapperIjLb0EEEEE10hipError_tT1_PNSt15iterator_traitsISI_E10value_typeET2_T3_PNSJ_ISO_E10value_typeET4_T5_PST_SU_PNS1_23onesweep_lookback_stateEbbT6_jjT7_P12ihipStream_tbENKUlT_T0_SI_SN_E_clISD_PdSD_S15_EEDaS11_S12_SI_SN_EUlS11_E_NS1_11comp_targetILNS1_3genE9ELNS1_11target_archE1100ELNS1_3gpuE3ELNS1_3repE0EEENS1_47radix_sort_onesweep_sort_config_static_selectorELNS0_4arch9wavefront6targetE1EEEvSI_.has_dyn_sized_stack, 0
	.set _ZN7rocprim17ROCPRIM_400000_NS6detail17trampoline_kernelINS0_14default_configENS1_35radix_sort_onesweep_config_selectorIddEEZZNS1_29radix_sort_onesweep_iterationIS3_Lb0EN6thrust23THRUST_200600_302600_NS6detail15normal_iteratorINS8_10device_ptrIdEEEESD_SD_SD_jNS0_19identity_decomposerENS1_16block_id_wrapperIjLb0EEEEE10hipError_tT1_PNSt15iterator_traitsISI_E10value_typeET2_T3_PNSJ_ISO_E10value_typeET4_T5_PST_SU_PNS1_23onesweep_lookback_stateEbbT6_jjT7_P12ihipStream_tbENKUlT_T0_SI_SN_E_clISD_PdSD_S15_EEDaS11_S12_SI_SN_EUlS11_E_NS1_11comp_targetILNS1_3genE9ELNS1_11target_archE1100ELNS1_3gpuE3ELNS1_3repE0EEENS1_47radix_sort_onesweep_sort_config_static_selectorELNS0_4arch9wavefront6targetE1EEEvSI_.has_recursion, 0
	.set _ZN7rocprim17ROCPRIM_400000_NS6detail17trampoline_kernelINS0_14default_configENS1_35radix_sort_onesweep_config_selectorIddEEZZNS1_29radix_sort_onesweep_iterationIS3_Lb0EN6thrust23THRUST_200600_302600_NS6detail15normal_iteratorINS8_10device_ptrIdEEEESD_SD_SD_jNS0_19identity_decomposerENS1_16block_id_wrapperIjLb0EEEEE10hipError_tT1_PNSt15iterator_traitsISI_E10value_typeET2_T3_PNSJ_ISO_E10value_typeET4_T5_PST_SU_PNS1_23onesweep_lookback_stateEbbT6_jjT7_P12ihipStream_tbENKUlT_T0_SI_SN_E_clISD_PdSD_S15_EEDaS11_S12_SI_SN_EUlS11_E_NS1_11comp_targetILNS1_3genE9ELNS1_11target_archE1100ELNS1_3gpuE3ELNS1_3repE0EEENS1_47radix_sort_onesweep_sort_config_static_selectorELNS0_4arch9wavefront6targetE1EEEvSI_.has_indirect_call, 0
	.section	.AMDGPU.csdata,"",@progbits
; Kernel info:
; codeLenInByte = 0
; TotalNumSgprs: 6
; NumVgprs: 0
; NumAgprs: 0
; TotalNumVgprs: 0
; ScratchSize: 0
; MemoryBound: 0
; FloatMode: 240
; IeeeMode: 1
; LDSByteSize: 0 bytes/workgroup (compile time only)
; SGPRBlocks: 0
; VGPRBlocks: 0
; NumSGPRsForWavesPerEU: 6
; NumVGPRsForWavesPerEU: 1
; AccumOffset: 4
; Occupancy: 8
; WaveLimiterHint : 0
; COMPUTE_PGM_RSRC2:SCRATCH_EN: 0
; COMPUTE_PGM_RSRC2:USER_SGPR: 2
; COMPUTE_PGM_RSRC2:TRAP_HANDLER: 0
; COMPUTE_PGM_RSRC2:TGID_X_EN: 1
; COMPUTE_PGM_RSRC2:TGID_Y_EN: 0
; COMPUTE_PGM_RSRC2:TGID_Z_EN: 0
; COMPUTE_PGM_RSRC2:TIDIG_COMP_CNT: 0
; COMPUTE_PGM_RSRC3_GFX90A:ACCUM_OFFSET: 0
; COMPUTE_PGM_RSRC3_GFX90A:TG_SPLIT: 0
	.section	.text._ZN7rocprim17ROCPRIM_400000_NS6detail17trampoline_kernelINS0_14default_configENS1_35radix_sort_onesweep_config_selectorIddEEZZNS1_29radix_sort_onesweep_iterationIS3_Lb0EN6thrust23THRUST_200600_302600_NS6detail15normal_iteratorINS8_10device_ptrIdEEEESD_SD_SD_jNS0_19identity_decomposerENS1_16block_id_wrapperIjLb0EEEEE10hipError_tT1_PNSt15iterator_traitsISI_E10value_typeET2_T3_PNSJ_ISO_E10value_typeET4_T5_PST_SU_PNS1_23onesweep_lookback_stateEbbT6_jjT7_P12ihipStream_tbENKUlT_T0_SI_SN_E_clISD_PdSD_S15_EEDaS11_S12_SI_SN_EUlS11_E_NS1_11comp_targetILNS1_3genE8ELNS1_11target_archE1030ELNS1_3gpuE2ELNS1_3repE0EEENS1_47radix_sort_onesweep_sort_config_static_selectorELNS0_4arch9wavefront6targetE1EEEvSI_,"axG",@progbits,_ZN7rocprim17ROCPRIM_400000_NS6detail17trampoline_kernelINS0_14default_configENS1_35radix_sort_onesweep_config_selectorIddEEZZNS1_29radix_sort_onesweep_iterationIS3_Lb0EN6thrust23THRUST_200600_302600_NS6detail15normal_iteratorINS8_10device_ptrIdEEEESD_SD_SD_jNS0_19identity_decomposerENS1_16block_id_wrapperIjLb0EEEEE10hipError_tT1_PNSt15iterator_traitsISI_E10value_typeET2_T3_PNSJ_ISO_E10value_typeET4_T5_PST_SU_PNS1_23onesweep_lookback_stateEbbT6_jjT7_P12ihipStream_tbENKUlT_T0_SI_SN_E_clISD_PdSD_S15_EEDaS11_S12_SI_SN_EUlS11_E_NS1_11comp_targetILNS1_3genE8ELNS1_11target_archE1030ELNS1_3gpuE2ELNS1_3repE0EEENS1_47radix_sort_onesweep_sort_config_static_selectorELNS0_4arch9wavefront6targetE1EEEvSI_,comdat
	.protected	_ZN7rocprim17ROCPRIM_400000_NS6detail17trampoline_kernelINS0_14default_configENS1_35radix_sort_onesweep_config_selectorIddEEZZNS1_29radix_sort_onesweep_iterationIS3_Lb0EN6thrust23THRUST_200600_302600_NS6detail15normal_iteratorINS8_10device_ptrIdEEEESD_SD_SD_jNS0_19identity_decomposerENS1_16block_id_wrapperIjLb0EEEEE10hipError_tT1_PNSt15iterator_traitsISI_E10value_typeET2_T3_PNSJ_ISO_E10value_typeET4_T5_PST_SU_PNS1_23onesweep_lookback_stateEbbT6_jjT7_P12ihipStream_tbENKUlT_T0_SI_SN_E_clISD_PdSD_S15_EEDaS11_S12_SI_SN_EUlS11_E_NS1_11comp_targetILNS1_3genE8ELNS1_11target_archE1030ELNS1_3gpuE2ELNS1_3repE0EEENS1_47radix_sort_onesweep_sort_config_static_selectorELNS0_4arch9wavefront6targetE1EEEvSI_ ; -- Begin function _ZN7rocprim17ROCPRIM_400000_NS6detail17trampoline_kernelINS0_14default_configENS1_35radix_sort_onesweep_config_selectorIddEEZZNS1_29radix_sort_onesweep_iterationIS3_Lb0EN6thrust23THRUST_200600_302600_NS6detail15normal_iteratorINS8_10device_ptrIdEEEESD_SD_SD_jNS0_19identity_decomposerENS1_16block_id_wrapperIjLb0EEEEE10hipError_tT1_PNSt15iterator_traitsISI_E10value_typeET2_T3_PNSJ_ISO_E10value_typeET4_T5_PST_SU_PNS1_23onesweep_lookback_stateEbbT6_jjT7_P12ihipStream_tbENKUlT_T0_SI_SN_E_clISD_PdSD_S15_EEDaS11_S12_SI_SN_EUlS11_E_NS1_11comp_targetILNS1_3genE8ELNS1_11target_archE1030ELNS1_3gpuE2ELNS1_3repE0EEENS1_47radix_sort_onesweep_sort_config_static_selectorELNS0_4arch9wavefront6targetE1EEEvSI_
	.globl	_ZN7rocprim17ROCPRIM_400000_NS6detail17trampoline_kernelINS0_14default_configENS1_35radix_sort_onesweep_config_selectorIddEEZZNS1_29radix_sort_onesweep_iterationIS3_Lb0EN6thrust23THRUST_200600_302600_NS6detail15normal_iteratorINS8_10device_ptrIdEEEESD_SD_SD_jNS0_19identity_decomposerENS1_16block_id_wrapperIjLb0EEEEE10hipError_tT1_PNSt15iterator_traitsISI_E10value_typeET2_T3_PNSJ_ISO_E10value_typeET4_T5_PST_SU_PNS1_23onesweep_lookback_stateEbbT6_jjT7_P12ihipStream_tbENKUlT_T0_SI_SN_E_clISD_PdSD_S15_EEDaS11_S12_SI_SN_EUlS11_E_NS1_11comp_targetILNS1_3genE8ELNS1_11target_archE1030ELNS1_3gpuE2ELNS1_3repE0EEENS1_47radix_sort_onesweep_sort_config_static_selectorELNS0_4arch9wavefront6targetE1EEEvSI_
	.p2align	8
	.type	_ZN7rocprim17ROCPRIM_400000_NS6detail17trampoline_kernelINS0_14default_configENS1_35radix_sort_onesweep_config_selectorIddEEZZNS1_29radix_sort_onesweep_iterationIS3_Lb0EN6thrust23THRUST_200600_302600_NS6detail15normal_iteratorINS8_10device_ptrIdEEEESD_SD_SD_jNS0_19identity_decomposerENS1_16block_id_wrapperIjLb0EEEEE10hipError_tT1_PNSt15iterator_traitsISI_E10value_typeET2_T3_PNSJ_ISO_E10value_typeET4_T5_PST_SU_PNS1_23onesweep_lookback_stateEbbT6_jjT7_P12ihipStream_tbENKUlT_T0_SI_SN_E_clISD_PdSD_S15_EEDaS11_S12_SI_SN_EUlS11_E_NS1_11comp_targetILNS1_3genE8ELNS1_11target_archE1030ELNS1_3gpuE2ELNS1_3repE0EEENS1_47radix_sort_onesweep_sort_config_static_selectorELNS0_4arch9wavefront6targetE1EEEvSI_,@function
_ZN7rocprim17ROCPRIM_400000_NS6detail17trampoline_kernelINS0_14default_configENS1_35radix_sort_onesweep_config_selectorIddEEZZNS1_29radix_sort_onesweep_iterationIS3_Lb0EN6thrust23THRUST_200600_302600_NS6detail15normal_iteratorINS8_10device_ptrIdEEEESD_SD_SD_jNS0_19identity_decomposerENS1_16block_id_wrapperIjLb0EEEEE10hipError_tT1_PNSt15iterator_traitsISI_E10value_typeET2_T3_PNSJ_ISO_E10value_typeET4_T5_PST_SU_PNS1_23onesweep_lookback_stateEbbT6_jjT7_P12ihipStream_tbENKUlT_T0_SI_SN_E_clISD_PdSD_S15_EEDaS11_S12_SI_SN_EUlS11_E_NS1_11comp_targetILNS1_3genE8ELNS1_11target_archE1030ELNS1_3gpuE2ELNS1_3repE0EEENS1_47radix_sort_onesweep_sort_config_static_selectorELNS0_4arch9wavefront6targetE1EEEvSI_: ; @_ZN7rocprim17ROCPRIM_400000_NS6detail17trampoline_kernelINS0_14default_configENS1_35radix_sort_onesweep_config_selectorIddEEZZNS1_29radix_sort_onesweep_iterationIS3_Lb0EN6thrust23THRUST_200600_302600_NS6detail15normal_iteratorINS8_10device_ptrIdEEEESD_SD_SD_jNS0_19identity_decomposerENS1_16block_id_wrapperIjLb0EEEEE10hipError_tT1_PNSt15iterator_traitsISI_E10value_typeET2_T3_PNSJ_ISO_E10value_typeET4_T5_PST_SU_PNS1_23onesweep_lookback_stateEbbT6_jjT7_P12ihipStream_tbENKUlT_T0_SI_SN_E_clISD_PdSD_S15_EEDaS11_S12_SI_SN_EUlS11_E_NS1_11comp_targetILNS1_3genE8ELNS1_11target_archE1030ELNS1_3gpuE2ELNS1_3repE0EEENS1_47radix_sort_onesweep_sort_config_static_selectorELNS0_4arch9wavefront6targetE1EEEvSI_
; %bb.0:
	.section	.rodata,"a",@progbits
	.p2align	6, 0x0
	.amdhsa_kernel _ZN7rocprim17ROCPRIM_400000_NS6detail17trampoline_kernelINS0_14default_configENS1_35radix_sort_onesweep_config_selectorIddEEZZNS1_29radix_sort_onesweep_iterationIS3_Lb0EN6thrust23THRUST_200600_302600_NS6detail15normal_iteratorINS8_10device_ptrIdEEEESD_SD_SD_jNS0_19identity_decomposerENS1_16block_id_wrapperIjLb0EEEEE10hipError_tT1_PNSt15iterator_traitsISI_E10value_typeET2_T3_PNSJ_ISO_E10value_typeET4_T5_PST_SU_PNS1_23onesweep_lookback_stateEbbT6_jjT7_P12ihipStream_tbENKUlT_T0_SI_SN_E_clISD_PdSD_S15_EEDaS11_S12_SI_SN_EUlS11_E_NS1_11comp_targetILNS1_3genE8ELNS1_11target_archE1030ELNS1_3gpuE2ELNS1_3repE0EEENS1_47radix_sort_onesweep_sort_config_static_selectorELNS0_4arch9wavefront6targetE1EEEvSI_
		.amdhsa_group_segment_fixed_size 0
		.amdhsa_private_segment_fixed_size 0
		.amdhsa_kernarg_size 88
		.amdhsa_user_sgpr_count 2
		.amdhsa_user_sgpr_dispatch_ptr 0
		.amdhsa_user_sgpr_queue_ptr 0
		.amdhsa_user_sgpr_kernarg_segment_ptr 1
		.amdhsa_user_sgpr_dispatch_id 0
		.amdhsa_user_sgpr_kernarg_preload_length 0
		.amdhsa_user_sgpr_kernarg_preload_offset 0
		.amdhsa_user_sgpr_private_segment_size 0
		.amdhsa_uses_dynamic_stack 0
		.amdhsa_enable_private_segment 0
		.amdhsa_system_sgpr_workgroup_id_x 1
		.amdhsa_system_sgpr_workgroup_id_y 0
		.amdhsa_system_sgpr_workgroup_id_z 0
		.amdhsa_system_sgpr_workgroup_info 0
		.amdhsa_system_vgpr_workitem_id 0
		.amdhsa_next_free_vgpr 1
		.amdhsa_next_free_sgpr 0
		.amdhsa_accum_offset 4
		.amdhsa_reserve_vcc 0
		.amdhsa_float_round_mode_32 0
		.amdhsa_float_round_mode_16_64 0
		.amdhsa_float_denorm_mode_32 3
		.amdhsa_float_denorm_mode_16_64 3
		.amdhsa_dx10_clamp 1
		.amdhsa_ieee_mode 1
		.amdhsa_fp16_overflow 0
		.amdhsa_tg_split 0
		.amdhsa_exception_fp_ieee_invalid_op 0
		.amdhsa_exception_fp_denorm_src 0
		.amdhsa_exception_fp_ieee_div_zero 0
		.amdhsa_exception_fp_ieee_overflow 0
		.amdhsa_exception_fp_ieee_underflow 0
		.amdhsa_exception_fp_ieee_inexact 0
		.amdhsa_exception_int_div_zero 0
	.end_amdhsa_kernel
	.section	.text._ZN7rocprim17ROCPRIM_400000_NS6detail17trampoline_kernelINS0_14default_configENS1_35radix_sort_onesweep_config_selectorIddEEZZNS1_29radix_sort_onesweep_iterationIS3_Lb0EN6thrust23THRUST_200600_302600_NS6detail15normal_iteratorINS8_10device_ptrIdEEEESD_SD_SD_jNS0_19identity_decomposerENS1_16block_id_wrapperIjLb0EEEEE10hipError_tT1_PNSt15iterator_traitsISI_E10value_typeET2_T3_PNSJ_ISO_E10value_typeET4_T5_PST_SU_PNS1_23onesweep_lookback_stateEbbT6_jjT7_P12ihipStream_tbENKUlT_T0_SI_SN_E_clISD_PdSD_S15_EEDaS11_S12_SI_SN_EUlS11_E_NS1_11comp_targetILNS1_3genE8ELNS1_11target_archE1030ELNS1_3gpuE2ELNS1_3repE0EEENS1_47radix_sort_onesweep_sort_config_static_selectorELNS0_4arch9wavefront6targetE1EEEvSI_,"axG",@progbits,_ZN7rocprim17ROCPRIM_400000_NS6detail17trampoline_kernelINS0_14default_configENS1_35radix_sort_onesweep_config_selectorIddEEZZNS1_29radix_sort_onesweep_iterationIS3_Lb0EN6thrust23THRUST_200600_302600_NS6detail15normal_iteratorINS8_10device_ptrIdEEEESD_SD_SD_jNS0_19identity_decomposerENS1_16block_id_wrapperIjLb0EEEEE10hipError_tT1_PNSt15iterator_traitsISI_E10value_typeET2_T3_PNSJ_ISO_E10value_typeET4_T5_PST_SU_PNS1_23onesweep_lookback_stateEbbT6_jjT7_P12ihipStream_tbENKUlT_T0_SI_SN_E_clISD_PdSD_S15_EEDaS11_S12_SI_SN_EUlS11_E_NS1_11comp_targetILNS1_3genE8ELNS1_11target_archE1030ELNS1_3gpuE2ELNS1_3repE0EEENS1_47radix_sort_onesweep_sort_config_static_selectorELNS0_4arch9wavefront6targetE1EEEvSI_,comdat
.Lfunc_end153:
	.size	_ZN7rocprim17ROCPRIM_400000_NS6detail17trampoline_kernelINS0_14default_configENS1_35radix_sort_onesweep_config_selectorIddEEZZNS1_29radix_sort_onesweep_iterationIS3_Lb0EN6thrust23THRUST_200600_302600_NS6detail15normal_iteratorINS8_10device_ptrIdEEEESD_SD_SD_jNS0_19identity_decomposerENS1_16block_id_wrapperIjLb0EEEEE10hipError_tT1_PNSt15iterator_traitsISI_E10value_typeET2_T3_PNSJ_ISO_E10value_typeET4_T5_PST_SU_PNS1_23onesweep_lookback_stateEbbT6_jjT7_P12ihipStream_tbENKUlT_T0_SI_SN_E_clISD_PdSD_S15_EEDaS11_S12_SI_SN_EUlS11_E_NS1_11comp_targetILNS1_3genE8ELNS1_11target_archE1030ELNS1_3gpuE2ELNS1_3repE0EEENS1_47radix_sort_onesweep_sort_config_static_selectorELNS0_4arch9wavefront6targetE1EEEvSI_, .Lfunc_end153-_ZN7rocprim17ROCPRIM_400000_NS6detail17trampoline_kernelINS0_14default_configENS1_35radix_sort_onesweep_config_selectorIddEEZZNS1_29radix_sort_onesweep_iterationIS3_Lb0EN6thrust23THRUST_200600_302600_NS6detail15normal_iteratorINS8_10device_ptrIdEEEESD_SD_SD_jNS0_19identity_decomposerENS1_16block_id_wrapperIjLb0EEEEE10hipError_tT1_PNSt15iterator_traitsISI_E10value_typeET2_T3_PNSJ_ISO_E10value_typeET4_T5_PST_SU_PNS1_23onesweep_lookback_stateEbbT6_jjT7_P12ihipStream_tbENKUlT_T0_SI_SN_E_clISD_PdSD_S15_EEDaS11_S12_SI_SN_EUlS11_E_NS1_11comp_targetILNS1_3genE8ELNS1_11target_archE1030ELNS1_3gpuE2ELNS1_3repE0EEENS1_47radix_sort_onesweep_sort_config_static_selectorELNS0_4arch9wavefront6targetE1EEEvSI_
                                        ; -- End function
	.set _ZN7rocprim17ROCPRIM_400000_NS6detail17trampoline_kernelINS0_14default_configENS1_35radix_sort_onesweep_config_selectorIddEEZZNS1_29radix_sort_onesweep_iterationIS3_Lb0EN6thrust23THRUST_200600_302600_NS6detail15normal_iteratorINS8_10device_ptrIdEEEESD_SD_SD_jNS0_19identity_decomposerENS1_16block_id_wrapperIjLb0EEEEE10hipError_tT1_PNSt15iterator_traitsISI_E10value_typeET2_T3_PNSJ_ISO_E10value_typeET4_T5_PST_SU_PNS1_23onesweep_lookback_stateEbbT6_jjT7_P12ihipStream_tbENKUlT_T0_SI_SN_E_clISD_PdSD_S15_EEDaS11_S12_SI_SN_EUlS11_E_NS1_11comp_targetILNS1_3genE8ELNS1_11target_archE1030ELNS1_3gpuE2ELNS1_3repE0EEENS1_47radix_sort_onesweep_sort_config_static_selectorELNS0_4arch9wavefront6targetE1EEEvSI_.num_vgpr, 0
	.set _ZN7rocprim17ROCPRIM_400000_NS6detail17trampoline_kernelINS0_14default_configENS1_35radix_sort_onesweep_config_selectorIddEEZZNS1_29radix_sort_onesweep_iterationIS3_Lb0EN6thrust23THRUST_200600_302600_NS6detail15normal_iteratorINS8_10device_ptrIdEEEESD_SD_SD_jNS0_19identity_decomposerENS1_16block_id_wrapperIjLb0EEEEE10hipError_tT1_PNSt15iterator_traitsISI_E10value_typeET2_T3_PNSJ_ISO_E10value_typeET4_T5_PST_SU_PNS1_23onesweep_lookback_stateEbbT6_jjT7_P12ihipStream_tbENKUlT_T0_SI_SN_E_clISD_PdSD_S15_EEDaS11_S12_SI_SN_EUlS11_E_NS1_11comp_targetILNS1_3genE8ELNS1_11target_archE1030ELNS1_3gpuE2ELNS1_3repE0EEENS1_47radix_sort_onesweep_sort_config_static_selectorELNS0_4arch9wavefront6targetE1EEEvSI_.num_agpr, 0
	.set _ZN7rocprim17ROCPRIM_400000_NS6detail17trampoline_kernelINS0_14default_configENS1_35radix_sort_onesweep_config_selectorIddEEZZNS1_29radix_sort_onesweep_iterationIS3_Lb0EN6thrust23THRUST_200600_302600_NS6detail15normal_iteratorINS8_10device_ptrIdEEEESD_SD_SD_jNS0_19identity_decomposerENS1_16block_id_wrapperIjLb0EEEEE10hipError_tT1_PNSt15iterator_traitsISI_E10value_typeET2_T3_PNSJ_ISO_E10value_typeET4_T5_PST_SU_PNS1_23onesweep_lookback_stateEbbT6_jjT7_P12ihipStream_tbENKUlT_T0_SI_SN_E_clISD_PdSD_S15_EEDaS11_S12_SI_SN_EUlS11_E_NS1_11comp_targetILNS1_3genE8ELNS1_11target_archE1030ELNS1_3gpuE2ELNS1_3repE0EEENS1_47radix_sort_onesweep_sort_config_static_selectorELNS0_4arch9wavefront6targetE1EEEvSI_.numbered_sgpr, 0
	.set _ZN7rocprim17ROCPRIM_400000_NS6detail17trampoline_kernelINS0_14default_configENS1_35radix_sort_onesweep_config_selectorIddEEZZNS1_29radix_sort_onesweep_iterationIS3_Lb0EN6thrust23THRUST_200600_302600_NS6detail15normal_iteratorINS8_10device_ptrIdEEEESD_SD_SD_jNS0_19identity_decomposerENS1_16block_id_wrapperIjLb0EEEEE10hipError_tT1_PNSt15iterator_traitsISI_E10value_typeET2_T3_PNSJ_ISO_E10value_typeET4_T5_PST_SU_PNS1_23onesweep_lookback_stateEbbT6_jjT7_P12ihipStream_tbENKUlT_T0_SI_SN_E_clISD_PdSD_S15_EEDaS11_S12_SI_SN_EUlS11_E_NS1_11comp_targetILNS1_3genE8ELNS1_11target_archE1030ELNS1_3gpuE2ELNS1_3repE0EEENS1_47radix_sort_onesweep_sort_config_static_selectorELNS0_4arch9wavefront6targetE1EEEvSI_.num_named_barrier, 0
	.set _ZN7rocprim17ROCPRIM_400000_NS6detail17trampoline_kernelINS0_14default_configENS1_35radix_sort_onesweep_config_selectorIddEEZZNS1_29radix_sort_onesweep_iterationIS3_Lb0EN6thrust23THRUST_200600_302600_NS6detail15normal_iteratorINS8_10device_ptrIdEEEESD_SD_SD_jNS0_19identity_decomposerENS1_16block_id_wrapperIjLb0EEEEE10hipError_tT1_PNSt15iterator_traitsISI_E10value_typeET2_T3_PNSJ_ISO_E10value_typeET4_T5_PST_SU_PNS1_23onesweep_lookback_stateEbbT6_jjT7_P12ihipStream_tbENKUlT_T0_SI_SN_E_clISD_PdSD_S15_EEDaS11_S12_SI_SN_EUlS11_E_NS1_11comp_targetILNS1_3genE8ELNS1_11target_archE1030ELNS1_3gpuE2ELNS1_3repE0EEENS1_47radix_sort_onesweep_sort_config_static_selectorELNS0_4arch9wavefront6targetE1EEEvSI_.private_seg_size, 0
	.set _ZN7rocprim17ROCPRIM_400000_NS6detail17trampoline_kernelINS0_14default_configENS1_35radix_sort_onesweep_config_selectorIddEEZZNS1_29radix_sort_onesweep_iterationIS3_Lb0EN6thrust23THRUST_200600_302600_NS6detail15normal_iteratorINS8_10device_ptrIdEEEESD_SD_SD_jNS0_19identity_decomposerENS1_16block_id_wrapperIjLb0EEEEE10hipError_tT1_PNSt15iterator_traitsISI_E10value_typeET2_T3_PNSJ_ISO_E10value_typeET4_T5_PST_SU_PNS1_23onesweep_lookback_stateEbbT6_jjT7_P12ihipStream_tbENKUlT_T0_SI_SN_E_clISD_PdSD_S15_EEDaS11_S12_SI_SN_EUlS11_E_NS1_11comp_targetILNS1_3genE8ELNS1_11target_archE1030ELNS1_3gpuE2ELNS1_3repE0EEENS1_47radix_sort_onesweep_sort_config_static_selectorELNS0_4arch9wavefront6targetE1EEEvSI_.uses_vcc, 0
	.set _ZN7rocprim17ROCPRIM_400000_NS6detail17trampoline_kernelINS0_14default_configENS1_35radix_sort_onesweep_config_selectorIddEEZZNS1_29radix_sort_onesweep_iterationIS3_Lb0EN6thrust23THRUST_200600_302600_NS6detail15normal_iteratorINS8_10device_ptrIdEEEESD_SD_SD_jNS0_19identity_decomposerENS1_16block_id_wrapperIjLb0EEEEE10hipError_tT1_PNSt15iterator_traitsISI_E10value_typeET2_T3_PNSJ_ISO_E10value_typeET4_T5_PST_SU_PNS1_23onesweep_lookback_stateEbbT6_jjT7_P12ihipStream_tbENKUlT_T0_SI_SN_E_clISD_PdSD_S15_EEDaS11_S12_SI_SN_EUlS11_E_NS1_11comp_targetILNS1_3genE8ELNS1_11target_archE1030ELNS1_3gpuE2ELNS1_3repE0EEENS1_47radix_sort_onesweep_sort_config_static_selectorELNS0_4arch9wavefront6targetE1EEEvSI_.uses_flat_scratch, 0
	.set _ZN7rocprim17ROCPRIM_400000_NS6detail17trampoline_kernelINS0_14default_configENS1_35radix_sort_onesweep_config_selectorIddEEZZNS1_29radix_sort_onesweep_iterationIS3_Lb0EN6thrust23THRUST_200600_302600_NS6detail15normal_iteratorINS8_10device_ptrIdEEEESD_SD_SD_jNS0_19identity_decomposerENS1_16block_id_wrapperIjLb0EEEEE10hipError_tT1_PNSt15iterator_traitsISI_E10value_typeET2_T3_PNSJ_ISO_E10value_typeET4_T5_PST_SU_PNS1_23onesweep_lookback_stateEbbT6_jjT7_P12ihipStream_tbENKUlT_T0_SI_SN_E_clISD_PdSD_S15_EEDaS11_S12_SI_SN_EUlS11_E_NS1_11comp_targetILNS1_3genE8ELNS1_11target_archE1030ELNS1_3gpuE2ELNS1_3repE0EEENS1_47radix_sort_onesweep_sort_config_static_selectorELNS0_4arch9wavefront6targetE1EEEvSI_.has_dyn_sized_stack, 0
	.set _ZN7rocprim17ROCPRIM_400000_NS6detail17trampoline_kernelINS0_14default_configENS1_35radix_sort_onesweep_config_selectorIddEEZZNS1_29radix_sort_onesweep_iterationIS3_Lb0EN6thrust23THRUST_200600_302600_NS6detail15normal_iteratorINS8_10device_ptrIdEEEESD_SD_SD_jNS0_19identity_decomposerENS1_16block_id_wrapperIjLb0EEEEE10hipError_tT1_PNSt15iterator_traitsISI_E10value_typeET2_T3_PNSJ_ISO_E10value_typeET4_T5_PST_SU_PNS1_23onesweep_lookback_stateEbbT6_jjT7_P12ihipStream_tbENKUlT_T0_SI_SN_E_clISD_PdSD_S15_EEDaS11_S12_SI_SN_EUlS11_E_NS1_11comp_targetILNS1_3genE8ELNS1_11target_archE1030ELNS1_3gpuE2ELNS1_3repE0EEENS1_47radix_sort_onesweep_sort_config_static_selectorELNS0_4arch9wavefront6targetE1EEEvSI_.has_recursion, 0
	.set _ZN7rocprim17ROCPRIM_400000_NS6detail17trampoline_kernelINS0_14default_configENS1_35radix_sort_onesweep_config_selectorIddEEZZNS1_29radix_sort_onesweep_iterationIS3_Lb0EN6thrust23THRUST_200600_302600_NS6detail15normal_iteratorINS8_10device_ptrIdEEEESD_SD_SD_jNS0_19identity_decomposerENS1_16block_id_wrapperIjLb0EEEEE10hipError_tT1_PNSt15iterator_traitsISI_E10value_typeET2_T3_PNSJ_ISO_E10value_typeET4_T5_PST_SU_PNS1_23onesweep_lookback_stateEbbT6_jjT7_P12ihipStream_tbENKUlT_T0_SI_SN_E_clISD_PdSD_S15_EEDaS11_S12_SI_SN_EUlS11_E_NS1_11comp_targetILNS1_3genE8ELNS1_11target_archE1030ELNS1_3gpuE2ELNS1_3repE0EEENS1_47radix_sort_onesweep_sort_config_static_selectorELNS0_4arch9wavefront6targetE1EEEvSI_.has_indirect_call, 0
	.section	.AMDGPU.csdata,"",@progbits
; Kernel info:
; codeLenInByte = 0
; TotalNumSgprs: 6
; NumVgprs: 0
; NumAgprs: 0
; TotalNumVgprs: 0
; ScratchSize: 0
; MemoryBound: 0
; FloatMode: 240
; IeeeMode: 1
; LDSByteSize: 0 bytes/workgroup (compile time only)
; SGPRBlocks: 0
; VGPRBlocks: 0
; NumSGPRsForWavesPerEU: 6
; NumVGPRsForWavesPerEU: 1
; AccumOffset: 4
; Occupancy: 8
; WaveLimiterHint : 0
; COMPUTE_PGM_RSRC2:SCRATCH_EN: 0
; COMPUTE_PGM_RSRC2:USER_SGPR: 2
; COMPUTE_PGM_RSRC2:TRAP_HANDLER: 0
; COMPUTE_PGM_RSRC2:TGID_X_EN: 1
; COMPUTE_PGM_RSRC2:TGID_Y_EN: 0
; COMPUTE_PGM_RSRC2:TGID_Z_EN: 0
; COMPUTE_PGM_RSRC2:TIDIG_COMP_CNT: 0
; COMPUTE_PGM_RSRC3_GFX90A:ACCUM_OFFSET: 0
; COMPUTE_PGM_RSRC3_GFX90A:TG_SPLIT: 0
	.section	.text._ZN7rocprim17ROCPRIM_400000_NS6detail17trampoline_kernelINS0_14default_configENS1_35radix_sort_onesweep_config_selectorIddEEZZNS1_29radix_sort_onesweep_iterationIS3_Lb0EN6thrust23THRUST_200600_302600_NS6detail15normal_iteratorINS8_10device_ptrIdEEEESD_SD_SD_jNS0_19identity_decomposerENS1_16block_id_wrapperIjLb0EEEEE10hipError_tT1_PNSt15iterator_traitsISI_E10value_typeET2_T3_PNSJ_ISO_E10value_typeET4_T5_PST_SU_PNS1_23onesweep_lookback_stateEbbT6_jjT7_P12ihipStream_tbENKUlT_T0_SI_SN_E_clIPdSD_S15_SD_EEDaS11_S12_SI_SN_EUlS11_E_NS1_11comp_targetILNS1_3genE0ELNS1_11target_archE4294967295ELNS1_3gpuE0ELNS1_3repE0EEENS1_47radix_sort_onesweep_sort_config_static_selectorELNS0_4arch9wavefront6targetE1EEEvSI_,"axG",@progbits,_ZN7rocprim17ROCPRIM_400000_NS6detail17trampoline_kernelINS0_14default_configENS1_35radix_sort_onesweep_config_selectorIddEEZZNS1_29radix_sort_onesweep_iterationIS3_Lb0EN6thrust23THRUST_200600_302600_NS6detail15normal_iteratorINS8_10device_ptrIdEEEESD_SD_SD_jNS0_19identity_decomposerENS1_16block_id_wrapperIjLb0EEEEE10hipError_tT1_PNSt15iterator_traitsISI_E10value_typeET2_T3_PNSJ_ISO_E10value_typeET4_T5_PST_SU_PNS1_23onesweep_lookback_stateEbbT6_jjT7_P12ihipStream_tbENKUlT_T0_SI_SN_E_clIPdSD_S15_SD_EEDaS11_S12_SI_SN_EUlS11_E_NS1_11comp_targetILNS1_3genE0ELNS1_11target_archE4294967295ELNS1_3gpuE0ELNS1_3repE0EEENS1_47radix_sort_onesweep_sort_config_static_selectorELNS0_4arch9wavefront6targetE1EEEvSI_,comdat
	.protected	_ZN7rocprim17ROCPRIM_400000_NS6detail17trampoline_kernelINS0_14default_configENS1_35radix_sort_onesweep_config_selectorIddEEZZNS1_29radix_sort_onesweep_iterationIS3_Lb0EN6thrust23THRUST_200600_302600_NS6detail15normal_iteratorINS8_10device_ptrIdEEEESD_SD_SD_jNS0_19identity_decomposerENS1_16block_id_wrapperIjLb0EEEEE10hipError_tT1_PNSt15iterator_traitsISI_E10value_typeET2_T3_PNSJ_ISO_E10value_typeET4_T5_PST_SU_PNS1_23onesweep_lookback_stateEbbT6_jjT7_P12ihipStream_tbENKUlT_T0_SI_SN_E_clIPdSD_S15_SD_EEDaS11_S12_SI_SN_EUlS11_E_NS1_11comp_targetILNS1_3genE0ELNS1_11target_archE4294967295ELNS1_3gpuE0ELNS1_3repE0EEENS1_47radix_sort_onesweep_sort_config_static_selectorELNS0_4arch9wavefront6targetE1EEEvSI_ ; -- Begin function _ZN7rocprim17ROCPRIM_400000_NS6detail17trampoline_kernelINS0_14default_configENS1_35radix_sort_onesweep_config_selectorIddEEZZNS1_29radix_sort_onesweep_iterationIS3_Lb0EN6thrust23THRUST_200600_302600_NS6detail15normal_iteratorINS8_10device_ptrIdEEEESD_SD_SD_jNS0_19identity_decomposerENS1_16block_id_wrapperIjLb0EEEEE10hipError_tT1_PNSt15iterator_traitsISI_E10value_typeET2_T3_PNSJ_ISO_E10value_typeET4_T5_PST_SU_PNS1_23onesweep_lookback_stateEbbT6_jjT7_P12ihipStream_tbENKUlT_T0_SI_SN_E_clIPdSD_S15_SD_EEDaS11_S12_SI_SN_EUlS11_E_NS1_11comp_targetILNS1_3genE0ELNS1_11target_archE4294967295ELNS1_3gpuE0ELNS1_3repE0EEENS1_47radix_sort_onesweep_sort_config_static_selectorELNS0_4arch9wavefront6targetE1EEEvSI_
	.globl	_ZN7rocprim17ROCPRIM_400000_NS6detail17trampoline_kernelINS0_14default_configENS1_35radix_sort_onesweep_config_selectorIddEEZZNS1_29radix_sort_onesweep_iterationIS3_Lb0EN6thrust23THRUST_200600_302600_NS6detail15normal_iteratorINS8_10device_ptrIdEEEESD_SD_SD_jNS0_19identity_decomposerENS1_16block_id_wrapperIjLb0EEEEE10hipError_tT1_PNSt15iterator_traitsISI_E10value_typeET2_T3_PNSJ_ISO_E10value_typeET4_T5_PST_SU_PNS1_23onesweep_lookback_stateEbbT6_jjT7_P12ihipStream_tbENKUlT_T0_SI_SN_E_clIPdSD_S15_SD_EEDaS11_S12_SI_SN_EUlS11_E_NS1_11comp_targetILNS1_3genE0ELNS1_11target_archE4294967295ELNS1_3gpuE0ELNS1_3repE0EEENS1_47radix_sort_onesweep_sort_config_static_selectorELNS0_4arch9wavefront6targetE1EEEvSI_
	.p2align	8
	.type	_ZN7rocprim17ROCPRIM_400000_NS6detail17trampoline_kernelINS0_14default_configENS1_35radix_sort_onesweep_config_selectorIddEEZZNS1_29radix_sort_onesweep_iterationIS3_Lb0EN6thrust23THRUST_200600_302600_NS6detail15normal_iteratorINS8_10device_ptrIdEEEESD_SD_SD_jNS0_19identity_decomposerENS1_16block_id_wrapperIjLb0EEEEE10hipError_tT1_PNSt15iterator_traitsISI_E10value_typeET2_T3_PNSJ_ISO_E10value_typeET4_T5_PST_SU_PNS1_23onesweep_lookback_stateEbbT6_jjT7_P12ihipStream_tbENKUlT_T0_SI_SN_E_clIPdSD_S15_SD_EEDaS11_S12_SI_SN_EUlS11_E_NS1_11comp_targetILNS1_3genE0ELNS1_11target_archE4294967295ELNS1_3gpuE0ELNS1_3repE0EEENS1_47radix_sort_onesweep_sort_config_static_selectorELNS0_4arch9wavefront6targetE1EEEvSI_,@function
_ZN7rocprim17ROCPRIM_400000_NS6detail17trampoline_kernelINS0_14default_configENS1_35radix_sort_onesweep_config_selectorIddEEZZNS1_29radix_sort_onesweep_iterationIS3_Lb0EN6thrust23THRUST_200600_302600_NS6detail15normal_iteratorINS8_10device_ptrIdEEEESD_SD_SD_jNS0_19identity_decomposerENS1_16block_id_wrapperIjLb0EEEEE10hipError_tT1_PNSt15iterator_traitsISI_E10value_typeET2_T3_PNSJ_ISO_E10value_typeET4_T5_PST_SU_PNS1_23onesweep_lookback_stateEbbT6_jjT7_P12ihipStream_tbENKUlT_T0_SI_SN_E_clIPdSD_S15_SD_EEDaS11_S12_SI_SN_EUlS11_E_NS1_11comp_targetILNS1_3genE0ELNS1_11target_archE4294967295ELNS1_3gpuE0ELNS1_3repE0EEENS1_47radix_sort_onesweep_sort_config_static_selectorELNS0_4arch9wavefront6targetE1EEEvSI_: ; @_ZN7rocprim17ROCPRIM_400000_NS6detail17trampoline_kernelINS0_14default_configENS1_35radix_sort_onesweep_config_selectorIddEEZZNS1_29radix_sort_onesweep_iterationIS3_Lb0EN6thrust23THRUST_200600_302600_NS6detail15normal_iteratorINS8_10device_ptrIdEEEESD_SD_SD_jNS0_19identity_decomposerENS1_16block_id_wrapperIjLb0EEEEE10hipError_tT1_PNSt15iterator_traitsISI_E10value_typeET2_T3_PNSJ_ISO_E10value_typeET4_T5_PST_SU_PNS1_23onesweep_lookback_stateEbbT6_jjT7_P12ihipStream_tbENKUlT_T0_SI_SN_E_clIPdSD_S15_SD_EEDaS11_S12_SI_SN_EUlS11_E_NS1_11comp_targetILNS1_3genE0ELNS1_11target_archE4294967295ELNS1_3gpuE0ELNS1_3repE0EEENS1_47radix_sort_onesweep_sort_config_static_selectorELNS0_4arch9wavefront6targetE1EEEvSI_
; %bb.0:
	.section	.rodata,"a",@progbits
	.p2align	6, 0x0
	.amdhsa_kernel _ZN7rocprim17ROCPRIM_400000_NS6detail17trampoline_kernelINS0_14default_configENS1_35radix_sort_onesweep_config_selectorIddEEZZNS1_29radix_sort_onesweep_iterationIS3_Lb0EN6thrust23THRUST_200600_302600_NS6detail15normal_iteratorINS8_10device_ptrIdEEEESD_SD_SD_jNS0_19identity_decomposerENS1_16block_id_wrapperIjLb0EEEEE10hipError_tT1_PNSt15iterator_traitsISI_E10value_typeET2_T3_PNSJ_ISO_E10value_typeET4_T5_PST_SU_PNS1_23onesweep_lookback_stateEbbT6_jjT7_P12ihipStream_tbENKUlT_T0_SI_SN_E_clIPdSD_S15_SD_EEDaS11_S12_SI_SN_EUlS11_E_NS1_11comp_targetILNS1_3genE0ELNS1_11target_archE4294967295ELNS1_3gpuE0ELNS1_3repE0EEENS1_47radix_sort_onesweep_sort_config_static_selectorELNS0_4arch9wavefront6targetE1EEEvSI_
		.amdhsa_group_segment_fixed_size 0
		.amdhsa_private_segment_fixed_size 0
		.amdhsa_kernarg_size 88
		.amdhsa_user_sgpr_count 2
		.amdhsa_user_sgpr_dispatch_ptr 0
		.amdhsa_user_sgpr_queue_ptr 0
		.amdhsa_user_sgpr_kernarg_segment_ptr 1
		.amdhsa_user_sgpr_dispatch_id 0
		.amdhsa_user_sgpr_kernarg_preload_length 0
		.amdhsa_user_sgpr_kernarg_preload_offset 0
		.amdhsa_user_sgpr_private_segment_size 0
		.amdhsa_uses_dynamic_stack 0
		.amdhsa_enable_private_segment 0
		.amdhsa_system_sgpr_workgroup_id_x 1
		.amdhsa_system_sgpr_workgroup_id_y 0
		.amdhsa_system_sgpr_workgroup_id_z 0
		.amdhsa_system_sgpr_workgroup_info 0
		.amdhsa_system_vgpr_workitem_id 0
		.amdhsa_next_free_vgpr 1
		.amdhsa_next_free_sgpr 0
		.amdhsa_accum_offset 4
		.amdhsa_reserve_vcc 0
		.amdhsa_float_round_mode_32 0
		.amdhsa_float_round_mode_16_64 0
		.amdhsa_float_denorm_mode_32 3
		.amdhsa_float_denorm_mode_16_64 3
		.amdhsa_dx10_clamp 1
		.amdhsa_ieee_mode 1
		.amdhsa_fp16_overflow 0
		.amdhsa_tg_split 0
		.amdhsa_exception_fp_ieee_invalid_op 0
		.amdhsa_exception_fp_denorm_src 0
		.amdhsa_exception_fp_ieee_div_zero 0
		.amdhsa_exception_fp_ieee_overflow 0
		.amdhsa_exception_fp_ieee_underflow 0
		.amdhsa_exception_fp_ieee_inexact 0
		.amdhsa_exception_int_div_zero 0
	.end_amdhsa_kernel
	.section	.text._ZN7rocprim17ROCPRIM_400000_NS6detail17trampoline_kernelINS0_14default_configENS1_35radix_sort_onesweep_config_selectorIddEEZZNS1_29radix_sort_onesweep_iterationIS3_Lb0EN6thrust23THRUST_200600_302600_NS6detail15normal_iteratorINS8_10device_ptrIdEEEESD_SD_SD_jNS0_19identity_decomposerENS1_16block_id_wrapperIjLb0EEEEE10hipError_tT1_PNSt15iterator_traitsISI_E10value_typeET2_T3_PNSJ_ISO_E10value_typeET4_T5_PST_SU_PNS1_23onesweep_lookback_stateEbbT6_jjT7_P12ihipStream_tbENKUlT_T0_SI_SN_E_clIPdSD_S15_SD_EEDaS11_S12_SI_SN_EUlS11_E_NS1_11comp_targetILNS1_3genE0ELNS1_11target_archE4294967295ELNS1_3gpuE0ELNS1_3repE0EEENS1_47radix_sort_onesweep_sort_config_static_selectorELNS0_4arch9wavefront6targetE1EEEvSI_,"axG",@progbits,_ZN7rocprim17ROCPRIM_400000_NS6detail17trampoline_kernelINS0_14default_configENS1_35radix_sort_onesweep_config_selectorIddEEZZNS1_29radix_sort_onesweep_iterationIS3_Lb0EN6thrust23THRUST_200600_302600_NS6detail15normal_iteratorINS8_10device_ptrIdEEEESD_SD_SD_jNS0_19identity_decomposerENS1_16block_id_wrapperIjLb0EEEEE10hipError_tT1_PNSt15iterator_traitsISI_E10value_typeET2_T3_PNSJ_ISO_E10value_typeET4_T5_PST_SU_PNS1_23onesweep_lookback_stateEbbT6_jjT7_P12ihipStream_tbENKUlT_T0_SI_SN_E_clIPdSD_S15_SD_EEDaS11_S12_SI_SN_EUlS11_E_NS1_11comp_targetILNS1_3genE0ELNS1_11target_archE4294967295ELNS1_3gpuE0ELNS1_3repE0EEENS1_47radix_sort_onesweep_sort_config_static_selectorELNS0_4arch9wavefront6targetE1EEEvSI_,comdat
.Lfunc_end154:
	.size	_ZN7rocprim17ROCPRIM_400000_NS6detail17trampoline_kernelINS0_14default_configENS1_35radix_sort_onesweep_config_selectorIddEEZZNS1_29radix_sort_onesweep_iterationIS3_Lb0EN6thrust23THRUST_200600_302600_NS6detail15normal_iteratorINS8_10device_ptrIdEEEESD_SD_SD_jNS0_19identity_decomposerENS1_16block_id_wrapperIjLb0EEEEE10hipError_tT1_PNSt15iterator_traitsISI_E10value_typeET2_T3_PNSJ_ISO_E10value_typeET4_T5_PST_SU_PNS1_23onesweep_lookback_stateEbbT6_jjT7_P12ihipStream_tbENKUlT_T0_SI_SN_E_clIPdSD_S15_SD_EEDaS11_S12_SI_SN_EUlS11_E_NS1_11comp_targetILNS1_3genE0ELNS1_11target_archE4294967295ELNS1_3gpuE0ELNS1_3repE0EEENS1_47radix_sort_onesweep_sort_config_static_selectorELNS0_4arch9wavefront6targetE1EEEvSI_, .Lfunc_end154-_ZN7rocprim17ROCPRIM_400000_NS6detail17trampoline_kernelINS0_14default_configENS1_35radix_sort_onesweep_config_selectorIddEEZZNS1_29radix_sort_onesweep_iterationIS3_Lb0EN6thrust23THRUST_200600_302600_NS6detail15normal_iteratorINS8_10device_ptrIdEEEESD_SD_SD_jNS0_19identity_decomposerENS1_16block_id_wrapperIjLb0EEEEE10hipError_tT1_PNSt15iterator_traitsISI_E10value_typeET2_T3_PNSJ_ISO_E10value_typeET4_T5_PST_SU_PNS1_23onesweep_lookback_stateEbbT6_jjT7_P12ihipStream_tbENKUlT_T0_SI_SN_E_clIPdSD_S15_SD_EEDaS11_S12_SI_SN_EUlS11_E_NS1_11comp_targetILNS1_3genE0ELNS1_11target_archE4294967295ELNS1_3gpuE0ELNS1_3repE0EEENS1_47radix_sort_onesweep_sort_config_static_selectorELNS0_4arch9wavefront6targetE1EEEvSI_
                                        ; -- End function
	.set _ZN7rocprim17ROCPRIM_400000_NS6detail17trampoline_kernelINS0_14default_configENS1_35radix_sort_onesweep_config_selectorIddEEZZNS1_29radix_sort_onesweep_iterationIS3_Lb0EN6thrust23THRUST_200600_302600_NS6detail15normal_iteratorINS8_10device_ptrIdEEEESD_SD_SD_jNS0_19identity_decomposerENS1_16block_id_wrapperIjLb0EEEEE10hipError_tT1_PNSt15iterator_traitsISI_E10value_typeET2_T3_PNSJ_ISO_E10value_typeET4_T5_PST_SU_PNS1_23onesweep_lookback_stateEbbT6_jjT7_P12ihipStream_tbENKUlT_T0_SI_SN_E_clIPdSD_S15_SD_EEDaS11_S12_SI_SN_EUlS11_E_NS1_11comp_targetILNS1_3genE0ELNS1_11target_archE4294967295ELNS1_3gpuE0ELNS1_3repE0EEENS1_47radix_sort_onesweep_sort_config_static_selectorELNS0_4arch9wavefront6targetE1EEEvSI_.num_vgpr, 0
	.set _ZN7rocprim17ROCPRIM_400000_NS6detail17trampoline_kernelINS0_14default_configENS1_35radix_sort_onesweep_config_selectorIddEEZZNS1_29radix_sort_onesweep_iterationIS3_Lb0EN6thrust23THRUST_200600_302600_NS6detail15normal_iteratorINS8_10device_ptrIdEEEESD_SD_SD_jNS0_19identity_decomposerENS1_16block_id_wrapperIjLb0EEEEE10hipError_tT1_PNSt15iterator_traitsISI_E10value_typeET2_T3_PNSJ_ISO_E10value_typeET4_T5_PST_SU_PNS1_23onesweep_lookback_stateEbbT6_jjT7_P12ihipStream_tbENKUlT_T0_SI_SN_E_clIPdSD_S15_SD_EEDaS11_S12_SI_SN_EUlS11_E_NS1_11comp_targetILNS1_3genE0ELNS1_11target_archE4294967295ELNS1_3gpuE0ELNS1_3repE0EEENS1_47radix_sort_onesweep_sort_config_static_selectorELNS0_4arch9wavefront6targetE1EEEvSI_.num_agpr, 0
	.set _ZN7rocprim17ROCPRIM_400000_NS6detail17trampoline_kernelINS0_14default_configENS1_35radix_sort_onesweep_config_selectorIddEEZZNS1_29radix_sort_onesweep_iterationIS3_Lb0EN6thrust23THRUST_200600_302600_NS6detail15normal_iteratorINS8_10device_ptrIdEEEESD_SD_SD_jNS0_19identity_decomposerENS1_16block_id_wrapperIjLb0EEEEE10hipError_tT1_PNSt15iterator_traitsISI_E10value_typeET2_T3_PNSJ_ISO_E10value_typeET4_T5_PST_SU_PNS1_23onesweep_lookback_stateEbbT6_jjT7_P12ihipStream_tbENKUlT_T0_SI_SN_E_clIPdSD_S15_SD_EEDaS11_S12_SI_SN_EUlS11_E_NS1_11comp_targetILNS1_3genE0ELNS1_11target_archE4294967295ELNS1_3gpuE0ELNS1_3repE0EEENS1_47radix_sort_onesweep_sort_config_static_selectorELNS0_4arch9wavefront6targetE1EEEvSI_.numbered_sgpr, 0
	.set _ZN7rocprim17ROCPRIM_400000_NS6detail17trampoline_kernelINS0_14default_configENS1_35radix_sort_onesweep_config_selectorIddEEZZNS1_29radix_sort_onesweep_iterationIS3_Lb0EN6thrust23THRUST_200600_302600_NS6detail15normal_iteratorINS8_10device_ptrIdEEEESD_SD_SD_jNS0_19identity_decomposerENS1_16block_id_wrapperIjLb0EEEEE10hipError_tT1_PNSt15iterator_traitsISI_E10value_typeET2_T3_PNSJ_ISO_E10value_typeET4_T5_PST_SU_PNS1_23onesweep_lookback_stateEbbT6_jjT7_P12ihipStream_tbENKUlT_T0_SI_SN_E_clIPdSD_S15_SD_EEDaS11_S12_SI_SN_EUlS11_E_NS1_11comp_targetILNS1_3genE0ELNS1_11target_archE4294967295ELNS1_3gpuE0ELNS1_3repE0EEENS1_47radix_sort_onesweep_sort_config_static_selectorELNS0_4arch9wavefront6targetE1EEEvSI_.num_named_barrier, 0
	.set _ZN7rocprim17ROCPRIM_400000_NS6detail17trampoline_kernelINS0_14default_configENS1_35radix_sort_onesweep_config_selectorIddEEZZNS1_29radix_sort_onesweep_iterationIS3_Lb0EN6thrust23THRUST_200600_302600_NS6detail15normal_iteratorINS8_10device_ptrIdEEEESD_SD_SD_jNS0_19identity_decomposerENS1_16block_id_wrapperIjLb0EEEEE10hipError_tT1_PNSt15iterator_traitsISI_E10value_typeET2_T3_PNSJ_ISO_E10value_typeET4_T5_PST_SU_PNS1_23onesweep_lookback_stateEbbT6_jjT7_P12ihipStream_tbENKUlT_T0_SI_SN_E_clIPdSD_S15_SD_EEDaS11_S12_SI_SN_EUlS11_E_NS1_11comp_targetILNS1_3genE0ELNS1_11target_archE4294967295ELNS1_3gpuE0ELNS1_3repE0EEENS1_47radix_sort_onesweep_sort_config_static_selectorELNS0_4arch9wavefront6targetE1EEEvSI_.private_seg_size, 0
	.set _ZN7rocprim17ROCPRIM_400000_NS6detail17trampoline_kernelINS0_14default_configENS1_35radix_sort_onesweep_config_selectorIddEEZZNS1_29radix_sort_onesweep_iterationIS3_Lb0EN6thrust23THRUST_200600_302600_NS6detail15normal_iteratorINS8_10device_ptrIdEEEESD_SD_SD_jNS0_19identity_decomposerENS1_16block_id_wrapperIjLb0EEEEE10hipError_tT1_PNSt15iterator_traitsISI_E10value_typeET2_T3_PNSJ_ISO_E10value_typeET4_T5_PST_SU_PNS1_23onesweep_lookback_stateEbbT6_jjT7_P12ihipStream_tbENKUlT_T0_SI_SN_E_clIPdSD_S15_SD_EEDaS11_S12_SI_SN_EUlS11_E_NS1_11comp_targetILNS1_3genE0ELNS1_11target_archE4294967295ELNS1_3gpuE0ELNS1_3repE0EEENS1_47radix_sort_onesweep_sort_config_static_selectorELNS0_4arch9wavefront6targetE1EEEvSI_.uses_vcc, 0
	.set _ZN7rocprim17ROCPRIM_400000_NS6detail17trampoline_kernelINS0_14default_configENS1_35radix_sort_onesweep_config_selectorIddEEZZNS1_29radix_sort_onesweep_iterationIS3_Lb0EN6thrust23THRUST_200600_302600_NS6detail15normal_iteratorINS8_10device_ptrIdEEEESD_SD_SD_jNS0_19identity_decomposerENS1_16block_id_wrapperIjLb0EEEEE10hipError_tT1_PNSt15iterator_traitsISI_E10value_typeET2_T3_PNSJ_ISO_E10value_typeET4_T5_PST_SU_PNS1_23onesweep_lookback_stateEbbT6_jjT7_P12ihipStream_tbENKUlT_T0_SI_SN_E_clIPdSD_S15_SD_EEDaS11_S12_SI_SN_EUlS11_E_NS1_11comp_targetILNS1_3genE0ELNS1_11target_archE4294967295ELNS1_3gpuE0ELNS1_3repE0EEENS1_47radix_sort_onesweep_sort_config_static_selectorELNS0_4arch9wavefront6targetE1EEEvSI_.uses_flat_scratch, 0
	.set _ZN7rocprim17ROCPRIM_400000_NS6detail17trampoline_kernelINS0_14default_configENS1_35radix_sort_onesweep_config_selectorIddEEZZNS1_29radix_sort_onesweep_iterationIS3_Lb0EN6thrust23THRUST_200600_302600_NS6detail15normal_iteratorINS8_10device_ptrIdEEEESD_SD_SD_jNS0_19identity_decomposerENS1_16block_id_wrapperIjLb0EEEEE10hipError_tT1_PNSt15iterator_traitsISI_E10value_typeET2_T3_PNSJ_ISO_E10value_typeET4_T5_PST_SU_PNS1_23onesweep_lookback_stateEbbT6_jjT7_P12ihipStream_tbENKUlT_T0_SI_SN_E_clIPdSD_S15_SD_EEDaS11_S12_SI_SN_EUlS11_E_NS1_11comp_targetILNS1_3genE0ELNS1_11target_archE4294967295ELNS1_3gpuE0ELNS1_3repE0EEENS1_47radix_sort_onesweep_sort_config_static_selectorELNS0_4arch9wavefront6targetE1EEEvSI_.has_dyn_sized_stack, 0
	.set _ZN7rocprim17ROCPRIM_400000_NS6detail17trampoline_kernelINS0_14default_configENS1_35radix_sort_onesweep_config_selectorIddEEZZNS1_29radix_sort_onesweep_iterationIS3_Lb0EN6thrust23THRUST_200600_302600_NS6detail15normal_iteratorINS8_10device_ptrIdEEEESD_SD_SD_jNS0_19identity_decomposerENS1_16block_id_wrapperIjLb0EEEEE10hipError_tT1_PNSt15iterator_traitsISI_E10value_typeET2_T3_PNSJ_ISO_E10value_typeET4_T5_PST_SU_PNS1_23onesweep_lookback_stateEbbT6_jjT7_P12ihipStream_tbENKUlT_T0_SI_SN_E_clIPdSD_S15_SD_EEDaS11_S12_SI_SN_EUlS11_E_NS1_11comp_targetILNS1_3genE0ELNS1_11target_archE4294967295ELNS1_3gpuE0ELNS1_3repE0EEENS1_47radix_sort_onesweep_sort_config_static_selectorELNS0_4arch9wavefront6targetE1EEEvSI_.has_recursion, 0
	.set _ZN7rocprim17ROCPRIM_400000_NS6detail17trampoline_kernelINS0_14default_configENS1_35radix_sort_onesweep_config_selectorIddEEZZNS1_29radix_sort_onesweep_iterationIS3_Lb0EN6thrust23THRUST_200600_302600_NS6detail15normal_iteratorINS8_10device_ptrIdEEEESD_SD_SD_jNS0_19identity_decomposerENS1_16block_id_wrapperIjLb0EEEEE10hipError_tT1_PNSt15iterator_traitsISI_E10value_typeET2_T3_PNSJ_ISO_E10value_typeET4_T5_PST_SU_PNS1_23onesweep_lookback_stateEbbT6_jjT7_P12ihipStream_tbENKUlT_T0_SI_SN_E_clIPdSD_S15_SD_EEDaS11_S12_SI_SN_EUlS11_E_NS1_11comp_targetILNS1_3genE0ELNS1_11target_archE4294967295ELNS1_3gpuE0ELNS1_3repE0EEENS1_47radix_sort_onesweep_sort_config_static_selectorELNS0_4arch9wavefront6targetE1EEEvSI_.has_indirect_call, 0
	.section	.AMDGPU.csdata,"",@progbits
; Kernel info:
; codeLenInByte = 0
; TotalNumSgprs: 6
; NumVgprs: 0
; NumAgprs: 0
; TotalNumVgprs: 0
; ScratchSize: 0
; MemoryBound: 0
; FloatMode: 240
; IeeeMode: 1
; LDSByteSize: 0 bytes/workgroup (compile time only)
; SGPRBlocks: 0
; VGPRBlocks: 0
; NumSGPRsForWavesPerEU: 6
; NumVGPRsForWavesPerEU: 1
; AccumOffset: 4
; Occupancy: 8
; WaveLimiterHint : 0
; COMPUTE_PGM_RSRC2:SCRATCH_EN: 0
; COMPUTE_PGM_RSRC2:USER_SGPR: 2
; COMPUTE_PGM_RSRC2:TRAP_HANDLER: 0
; COMPUTE_PGM_RSRC2:TGID_X_EN: 1
; COMPUTE_PGM_RSRC2:TGID_Y_EN: 0
; COMPUTE_PGM_RSRC2:TGID_Z_EN: 0
; COMPUTE_PGM_RSRC2:TIDIG_COMP_CNT: 0
; COMPUTE_PGM_RSRC3_GFX90A:ACCUM_OFFSET: 0
; COMPUTE_PGM_RSRC3_GFX90A:TG_SPLIT: 0
	.section	.text._ZN7rocprim17ROCPRIM_400000_NS6detail17trampoline_kernelINS0_14default_configENS1_35radix_sort_onesweep_config_selectorIddEEZZNS1_29radix_sort_onesweep_iterationIS3_Lb0EN6thrust23THRUST_200600_302600_NS6detail15normal_iteratorINS8_10device_ptrIdEEEESD_SD_SD_jNS0_19identity_decomposerENS1_16block_id_wrapperIjLb0EEEEE10hipError_tT1_PNSt15iterator_traitsISI_E10value_typeET2_T3_PNSJ_ISO_E10value_typeET4_T5_PST_SU_PNS1_23onesweep_lookback_stateEbbT6_jjT7_P12ihipStream_tbENKUlT_T0_SI_SN_E_clIPdSD_S15_SD_EEDaS11_S12_SI_SN_EUlS11_E_NS1_11comp_targetILNS1_3genE6ELNS1_11target_archE950ELNS1_3gpuE13ELNS1_3repE0EEENS1_47radix_sort_onesweep_sort_config_static_selectorELNS0_4arch9wavefront6targetE1EEEvSI_,"axG",@progbits,_ZN7rocprim17ROCPRIM_400000_NS6detail17trampoline_kernelINS0_14default_configENS1_35radix_sort_onesweep_config_selectorIddEEZZNS1_29radix_sort_onesweep_iterationIS3_Lb0EN6thrust23THRUST_200600_302600_NS6detail15normal_iteratorINS8_10device_ptrIdEEEESD_SD_SD_jNS0_19identity_decomposerENS1_16block_id_wrapperIjLb0EEEEE10hipError_tT1_PNSt15iterator_traitsISI_E10value_typeET2_T3_PNSJ_ISO_E10value_typeET4_T5_PST_SU_PNS1_23onesweep_lookback_stateEbbT6_jjT7_P12ihipStream_tbENKUlT_T0_SI_SN_E_clIPdSD_S15_SD_EEDaS11_S12_SI_SN_EUlS11_E_NS1_11comp_targetILNS1_3genE6ELNS1_11target_archE950ELNS1_3gpuE13ELNS1_3repE0EEENS1_47radix_sort_onesweep_sort_config_static_selectorELNS0_4arch9wavefront6targetE1EEEvSI_,comdat
	.protected	_ZN7rocprim17ROCPRIM_400000_NS6detail17trampoline_kernelINS0_14default_configENS1_35radix_sort_onesweep_config_selectorIddEEZZNS1_29radix_sort_onesweep_iterationIS3_Lb0EN6thrust23THRUST_200600_302600_NS6detail15normal_iteratorINS8_10device_ptrIdEEEESD_SD_SD_jNS0_19identity_decomposerENS1_16block_id_wrapperIjLb0EEEEE10hipError_tT1_PNSt15iterator_traitsISI_E10value_typeET2_T3_PNSJ_ISO_E10value_typeET4_T5_PST_SU_PNS1_23onesweep_lookback_stateEbbT6_jjT7_P12ihipStream_tbENKUlT_T0_SI_SN_E_clIPdSD_S15_SD_EEDaS11_S12_SI_SN_EUlS11_E_NS1_11comp_targetILNS1_3genE6ELNS1_11target_archE950ELNS1_3gpuE13ELNS1_3repE0EEENS1_47radix_sort_onesweep_sort_config_static_selectorELNS0_4arch9wavefront6targetE1EEEvSI_ ; -- Begin function _ZN7rocprim17ROCPRIM_400000_NS6detail17trampoline_kernelINS0_14default_configENS1_35radix_sort_onesweep_config_selectorIddEEZZNS1_29radix_sort_onesweep_iterationIS3_Lb0EN6thrust23THRUST_200600_302600_NS6detail15normal_iteratorINS8_10device_ptrIdEEEESD_SD_SD_jNS0_19identity_decomposerENS1_16block_id_wrapperIjLb0EEEEE10hipError_tT1_PNSt15iterator_traitsISI_E10value_typeET2_T3_PNSJ_ISO_E10value_typeET4_T5_PST_SU_PNS1_23onesweep_lookback_stateEbbT6_jjT7_P12ihipStream_tbENKUlT_T0_SI_SN_E_clIPdSD_S15_SD_EEDaS11_S12_SI_SN_EUlS11_E_NS1_11comp_targetILNS1_3genE6ELNS1_11target_archE950ELNS1_3gpuE13ELNS1_3repE0EEENS1_47radix_sort_onesweep_sort_config_static_selectorELNS0_4arch9wavefront6targetE1EEEvSI_
	.globl	_ZN7rocprim17ROCPRIM_400000_NS6detail17trampoline_kernelINS0_14default_configENS1_35radix_sort_onesweep_config_selectorIddEEZZNS1_29radix_sort_onesweep_iterationIS3_Lb0EN6thrust23THRUST_200600_302600_NS6detail15normal_iteratorINS8_10device_ptrIdEEEESD_SD_SD_jNS0_19identity_decomposerENS1_16block_id_wrapperIjLb0EEEEE10hipError_tT1_PNSt15iterator_traitsISI_E10value_typeET2_T3_PNSJ_ISO_E10value_typeET4_T5_PST_SU_PNS1_23onesweep_lookback_stateEbbT6_jjT7_P12ihipStream_tbENKUlT_T0_SI_SN_E_clIPdSD_S15_SD_EEDaS11_S12_SI_SN_EUlS11_E_NS1_11comp_targetILNS1_3genE6ELNS1_11target_archE950ELNS1_3gpuE13ELNS1_3repE0EEENS1_47radix_sort_onesweep_sort_config_static_selectorELNS0_4arch9wavefront6targetE1EEEvSI_
	.p2align	8
	.type	_ZN7rocprim17ROCPRIM_400000_NS6detail17trampoline_kernelINS0_14default_configENS1_35radix_sort_onesweep_config_selectorIddEEZZNS1_29radix_sort_onesweep_iterationIS3_Lb0EN6thrust23THRUST_200600_302600_NS6detail15normal_iteratorINS8_10device_ptrIdEEEESD_SD_SD_jNS0_19identity_decomposerENS1_16block_id_wrapperIjLb0EEEEE10hipError_tT1_PNSt15iterator_traitsISI_E10value_typeET2_T3_PNSJ_ISO_E10value_typeET4_T5_PST_SU_PNS1_23onesweep_lookback_stateEbbT6_jjT7_P12ihipStream_tbENKUlT_T0_SI_SN_E_clIPdSD_S15_SD_EEDaS11_S12_SI_SN_EUlS11_E_NS1_11comp_targetILNS1_3genE6ELNS1_11target_archE950ELNS1_3gpuE13ELNS1_3repE0EEENS1_47radix_sort_onesweep_sort_config_static_selectorELNS0_4arch9wavefront6targetE1EEEvSI_,@function
_ZN7rocprim17ROCPRIM_400000_NS6detail17trampoline_kernelINS0_14default_configENS1_35radix_sort_onesweep_config_selectorIddEEZZNS1_29radix_sort_onesweep_iterationIS3_Lb0EN6thrust23THRUST_200600_302600_NS6detail15normal_iteratorINS8_10device_ptrIdEEEESD_SD_SD_jNS0_19identity_decomposerENS1_16block_id_wrapperIjLb0EEEEE10hipError_tT1_PNSt15iterator_traitsISI_E10value_typeET2_T3_PNSJ_ISO_E10value_typeET4_T5_PST_SU_PNS1_23onesweep_lookback_stateEbbT6_jjT7_P12ihipStream_tbENKUlT_T0_SI_SN_E_clIPdSD_S15_SD_EEDaS11_S12_SI_SN_EUlS11_E_NS1_11comp_targetILNS1_3genE6ELNS1_11target_archE950ELNS1_3gpuE13ELNS1_3repE0EEENS1_47radix_sort_onesweep_sort_config_static_selectorELNS0_4arch9wavefront6targetE1EEEvSI_: ; @_ZN7rocprim17ROCPRIM_400000_NS6detail17trampoline_kernelINS0_14default_configENS1_35radix_sort_onesweep_config_selectorIddEEZZNS1_29radix_sort_onesweep_iterationIS3_Lb0EN6thrust23THRUST_200600_302600_NS6detail15normal_iteratorINS8_10device_ptrIdEEEESD_SD_SD_jNS0_19identity_decomposerENS1_16block_id_wrapperIjLb0EEEEE10hipError_tT1_PNSt15iterator_traitsISI_E10value_typeET2_T3_PNSJ_ISO_E10value_typeET4_T5_PST_SU_PNS1_23onesweep_lookback_stateEbbT6_jjT7_P12ihipStream_tbENKUlT_T0_SI_SN_E_clIPdSD_S15_SD_EEDaS11_S12_SI_SN_EUlS11_E_NS1_11comp_targetILNS1_3genE6ELNS1_11target_archE950ELNS1_3gpuE13ELNS1_3repE0EEENS1_47radix_sort_onesweep_sort_config_static_selectorELNS0_4arch9wavefront6targetE1EEEvSI_
; %bb.0:
	s_load_dwordx4 s[48:51], s[2:3], 0x44
	s_load_dwordx8 s[36:43], s[2:3], 0x0
	s_load_dwordx4 s[44:47], s[2:3], 0x28
	s_load_dwordx2 s[52:53], s[2:3], 0x38
	v_and_b32_e32 v2, 0x3ff, v0
	v_bfe_u32 v3, v0, 10, 10
	v_bfe_u32 v28, v0, 20, 10
	s_mov_b64 s[6:7], -1
	s_waitcnt lgkmcnt(0)
	s_cmp_ge_u32 s4, s50
	v_mbcnt_lo_u32_b32 v30, -1, 0
	v_lshlrev_b32_e32 v29, 3, v2
	s_cbranch_scc0 .LBB155_116
; %bb.1:
	s_load_dword s5, s[2:3], 0x20
	s_lshl_b32 s8, s50, 13
	s_lshl_b32 s6, s4, 13
	s_mov_b32 s7, 0
	s_lshl_b64 s[50:51], s[6:7], 3
	s_waitcnt lgkmcnt(0)
	s_sub_i32 s5, s5, s8
	v_mbcnt_hi_u32_b32 v26, -1, v30
	s_add_u32 s6, s36, s50
	v_and_b32_e32 v8, 63, v26
	s_addc_u32 s7, s37, s51
	v_and_b32_e32 v9, 0x1e00, v29
	v_mov_b32_e32 v1, 0
	v_lshlrev_b32_e32 v0, 3, v8
	v_lshl_add_u64 v[6:7], s[6:7], 0, v[0:1]
	v_lshlrev_b32_e32 v4, 3, v9
	v_mov_b32_e32 v5, v1
	v_or_b32_e32 v1, v8, v9
	v_mov_b32_e32 v8, -1
	v_bfrev_b32_e32 v9, -2
	v_lshl_add_u64 v[22:23], v[6:7], 0, v[4:5]
	v_cmp_gt_u32_e32 vcc, s5, v1
	v_mov_b64_e32 v[6:7], v[8:9]
	s_and_saveexec_b64 s[6:7], vcc
	s_cbranch_execz .LBB155_3
; %bb.2:
	global_load_dwordx2 v[6:7], v[22:23], off
.LBB155_3:
	s_or_b64 exec, exec, s[6:7]
	v_or_b32_e32 v5, 64, v1
	v_cmp_gt_u32_e64 s[16:17], s5, v5
	s_and_saveexec_b64 s[6:7], s[16:17]
	s_cbranch_execz .LBB155_5
; %bb.4:
	global_load_dwordx2 v[8:9], v[22:23], off offset:512
.LBB155_5:
	s_or_b64 exec, exec, s[6:7]
	v_or_b32_e32 v5, 0x80, v1
	v_mov_b32_e32 v12, -1
	v_bfrev_b32_e32 v13, -2
	v_cmp_gt_u32_e64 s[26:27], s5, v5
	v_mov_b64_e32 v[10:11], v[12:13]
	s_and_saveexec_b64 s[6:7], s[26:27]
	s_cbranch_execz .LBB155_7
; %bb.6:
	global_load_dwordx2 v[10:11], v[22:23], off offset:1024
.LBB155_7:
	s_or_b64 exec, exec, s[6:7]
	v_or_b32_e32 v5, 0xc0, v1
	v_cmp_gt_u32_e64 s[6:7], s5, v5
	s_and_saveexec_b64 s[8:9], s[6:7]
	s_cbranch_execz .LBB155_9
; %bb.8:
	global_load_dwordx2 v[12:13], v[22:23], off offset:1536
.LBB155_9:
	s_or_b64 exec, exec, s[8:9]
	v_or_b32_e32 v5, 0x100, v1
	v_mov_b32_e32 v18, -1
	v_bfrev_b32_e32 v19, -2
	v_cmp_gt_u32_e64 s[8:9], s5, v5
	v_mov_b64_e32 v[14:15], v[18:19]
	s_and_saveexec_b64 s[10:11], s[8:9]
	s_cbranch_execz .LBB155_11
; %bb.10:
	global_load_dwordx2 v[14:15], v[22:23], off offset:2048
.LBB155_11:
	;; [unrolled: 19-line block ×3, first 2 shown]
	s_or_b64 exec, exec, s[14:15]
	v_or_b32_e32 v1, 0x1c0, v1
	s_mov_b32 s20, -1
	v_cmp_gt_u32_e64 s[14:15], s5, v1
	s_brev_b32 s21, -2
	s_and_saveexec_b64 s[18:19], s[14:15]
	s_cbranch_execz .LBB155_17
; %bb.16:
	global_load_dwordx2 v[16:17], v[22:23], off offset:3584
.LBB155_17:
	s_or_b64 exec, exec, s[18:19]
	s_load_dword s18, s[2:3], 0x64
	s_load_dword s33, s[2:3], 0x58
	s_add_u32 s19, s2, 0x58
	s_addc_u32 s22, s3, 0
	v_mov_b32_e32 v23, 0
	s_waitcnt lgkmcnt(0)
	s_lshr_b32 s23, s18, 16
	s_cmp_lt_u32 s4, s33
	s_cselect_b32 s18, 12, 18
	s_add_u32 s18, s19, s18
	s_addc_u32 s19, s22, 0
	global_load_ushort v5, v23, s[18:19]
	v_bfrev_b32_e32 v31, 1
	s_waitcnt vmcnt(1)
	v_cmp_lt_i64_e64 s[18:19], -1, v[6:7]
	v_ashrrev_i32_e32 v22, 31, v7
	v_xor_b32_e32 v6, v22, v6
	v_cndmask_b32_e64 v25, -1, v31, s[18:19]
	v_xor_b32_e32 v7, v25, v7
	v_cmp_ne_u64_e64 s[18:19], s[20:21], v[6:7]
	v_mov_b32_e32 v24, v23
	v_mov_b32_e32 v34, v23
	v_cndmask_b32_e64 v43, v31, v7, s[18:19]
	v_cndmask_b32_e64 v42, 0, v6, s[18:19]
	v_lshrrev_b64 v[42:43], s48, v[42:43]
	s_lshl_b32 s18, -1, s49
	v_bitop3_b32 v44, v42, s18, v42 bitop3:0x30
	v_and_b32_e32 v22, 1, v44
	v_lshlrev_b32_e32 v25, 30, v44
	s_not_b32 s54, s18
	v_lshlrev_b32_e32 v33, 29, v44
	v_lshlrev_b32_e32 v35, 28, v44
	v_lshl_add_u64 v[42:43], v[22:23], 0, -1
	v_cmp_ne_u32_e64 s[18:19], 0, v22
	v_not_b32_e32 v22, v25
	v_mov_b32_e32 v32, v23
	v_mov_b32_e32 v36, v23
	v_lshlrev_b32_e32 v37, 27, v44
	v_cmp_gt_i64_e64 s[20:21], 0, v[24:25]
	v_not_b32_e32 v24, v33
	v_cmp_gt_i64_e64 s[24:25], 0, v[34:35]
	v_xor_b32_e32 v34, s19, v43
	v_ashrrev_i32_e32 v22, 31, v22
	v_mad_u32_u24 v27, v28, s23, v3
	v_cmp_gt_i64_e64 s[22:23], 0, v[32:33]
	v_not_b32_e32 v25, v35
	v_cmp_gt_i64_e64 s[28:29], 0, v[36:37]
	v_xor_b32_e32 v35, s18, v42
	v_ashrrev_i32_e32 v24, 31, v24
	v_and_b32_e32 v34, exec_hi, v34
	v_xor_b32_e32 v36, s21, v22
	v_mov_b32_e32 v38, v23
	v_lshlrev_b32_e32 v39, 26, v44
	v_not_b32_e32 v32, v37
	v_ashrrev_i32_e32 v25, 31, v25
	v_and_b32_e32 v35, exec_lo, v35
	v_xor_b32_e32 v22, s20, v22
	v_xor_b32_e32 v37, s23, v24
	v_and_b32_e32 v34, v34, v36
	v_cmp_gt_i64_e64 s[30:31], 0, v[38:39]
	v_not_b32_e32 v33, v39
	v_ashrrev_i32_e32 v32, 31, v32
	v_xor_b32_e32 v24, s22, v24
	v_xor_b32_e32 v38, s25, v25
	v_and_b32_e32 v22, v35, v22
	v_and_b32_e32 v34, v34, v37
	v_mov_b32_e32 v40, v23
	v_lshlrev_b32_e32 v41, 25, v44
	v_ashrrev_i32_e32 v33, 31, v33
	v_xor_b32_e32 v25, s24, v25
	v_xor_b32_e32 v39, s29, v32
	v_and_b32_e32 v22, v22, v24
	v_and_b32_e32 v24, v34, v38
	v_cmp_gt_i64_e64 s[34:35], 0, v[40:41]
	v_xor_b32_e32 v32, s28, v32
	v_xor_b32_e32 v40, s31, v33
	v_and_b32_e32 v22, v22, v25
	v_and_b32_e32 v24, v24, v39
	;; [unrolled: 1-line block ×4, first 2 shown]
	v_xor_b32_e32 v33, s30, v33
	v_and_b32_e32 v22, v22, v33
	s_movk_i32 s55, 0x44
	v_mul_lo_u32 v45, v44, s55
	v_mul_u32_u24_e32 v1, 20, v2
	ds_write2_b32 v1, v23, v23 offset0:16 offset1:17
	ds_write2_b32 v1, v23, v23 offset0:18 offset1:19
	ds_write_b32 v1, v23 offset:80
	s_waitcnt lgkmcnt(0)
	s_barrier
	s_waitcnt vmcnt(0)
	; wave barrier
	v_mad_u64_u32 v[24:25], s[18:19], v27, v5, v[2:3]
	v_not_b32_e32 v5, v41
	v_ashrrev_i32_e32 v5, 31, v5
	v_lshrrev_b32_e32 v39, 6, v24
	v_xor_b32_e32 v24, s35, v5
	v_xor_b32_e32 v5, s34, v5
	v_lshlrev_b32_e32 v25, 24, v44
	v_and_b32_e32 v32, v32, v24
	v_and_b32_e32 v5, v22, v5
	v_mov_b32_e32 v24, v23
	v_not_b32_e32 v22, v25
	v_cmp_gt_i64_e64 s[18:19], 0, v[24:25]
	v_ashrrev_i32_e32 v22, 31, v22
	v_lshl_add_u32 v27, v39, 2, v45
	v_xor_b32_e32 v24, s19, v22
	v_xor_b32_e32 v22, s18, v22
	v_and_b32_e32 v25, v32, v24
	v_and_b32_e32 v24, v5, v22
	v_mbcnt_lo_u32_b32 v5, v24, 0
	v_mbcnt_hi_u32_b32 v5, v25, v5
	v_cmp_eq_u32_e64 s[18:19], 0, v5
	v_cmp_ne_u64_e64 s[20:21], 0, v[24:25]
	s_and_b64 s[20:21], s[20:21], s[18:19]
	s_and_saveexec_b64 s[18:19], s[20:21]
; %bb.18:
	v_bcnt_u32_b32 v22, v24, 0
	v_bcnt_u32_b32 v22, v25, v22
	ds_write_b32 v27, v22 offset:64
; %bb.19:
	s_or_b64 exec, exec, s[18:19]
	v_cmp_lt_i64_e64 s[18:19], -1, v[8:9]
	s_mov_b32 s22, -1
	v_ashrrev_i32_e32 v24, 31, v9
	v_cndmask_b32_e64 v22, -1, v31, s[18:19]
	s_brev_b32 s23, -2
	v_xor_b32_e32 v9, v22, v9
	v_xor_b32_e32 v8, v24, v8
	v_cmp_ne_u64_e64 s[18:19], s[22:23], v[8:9]
	; wave barrier
	s_nop 1
	v_cndmask_b32_e64 v25, v31, v9, s[18:19]
	v_cndmask_b32_e64 v24, 0, v8, s[18:19]
	v_lshrrev_b64 v[24:25], s48, v[24:25]
	v_and_b32_e32 v32, s54, v24
	v_mul_lo_u32 v22, v32, s55
	v_lshl_add_u32 v34, v39, 2, v22
	v_and_b32_e32 v22, 1, v32
	v_lshl_add_u64 v[24:25], v[22:23], 0, -1
	v_cmp_ne_u32_e64 s[18:19], 0, v22
	ds_read_b32 v31, v34 offset:64
	s_nop 0
	v_xor_b32_e32 v24, s18, v24
	v_xor_b32_e32 v22, s19, v25
	v_and_b32_e32 v33, exec_lo, v24
	v_lshlrev_b32_e32 v25, 30, v32
	v_mov_b32_e32 v24, v23
	v_cmp_gt_i64_e64 s[18:19], 0, v[24:25]
	v_not_b32_e32 v24, v25
	v_ashrrev_i32_e32 v24, 31, v24
	v_and_b32_e32 v22, exec_hi, v22
	v_xor_b32_e32 v25, s19, v24
	v_xor_b32_e32 v24, s18, v24
	v_and_b32_e32 v22, v22, v25
	v_and_b32_e32 v33, v33, v24
	v_lshlrev_b32_e32 v25, 29, v32
	v_mov_b32_e32 v24, v23
	v_cmp_gt_i64_e64 s[18:19], 0, v[24:25]
	v_not_b32_e32 v24, v25
	v_ashrrev_i32_e32 v24, 31, v24
	v_xor_b32_e32 v25, s19, v24
	v_xor_b32_e32 v24, s18, v24
	v_and_b32_e32 v22, v22, v25
	v_and_b32_e32 v33, v33, v24
	v_lshlrev_b32_e32 v25, 28, v32
	v_mov_b32_e32 v24, v23
	v_cmp_gt_i64_e64 s[18:19], 0, v[24:25]
	v_not_b32_e32 v24, v25
	v_ashrrev_i32_e32 v24, 31, v24
	;; [unrolled: 9-line block ×5, first 2 shown]
	v_xor_b32_e32 v25, s19, v24
	v_xor_b32_e32 v24, s18, v24
	v_and_b32_e32 v22, v22, v25
	v_lshlrev_b32_e32 v25, 24, v32
	v_and_b32_e32 v33, v33, v24
	v_mov_b32_e32 v24, v23
	v_not_b32_e32 v23, v25
	v_cmp_gt_i64_e64 s[18:19], 0, v[24:25]
	v_ashrrev_i32_e32 v23, 31, v23
	; wave barrier
	s_nop 0
	v_xor_b32_e32 v24, s19, v23
	v_xor_b32_e32 v25, s18, v23
	v_and_b32_e32 v23, v22, v24
	v_and_b32_e32 v22, v33, v25
	v_mbcnt_lo_u32_b32 v24, v22, 0
	v_mbcnt_hi_u32_b32 v32, v23, v24
	v_cmp_eq_u32_e64 s[18:19], 0, v32
	v_cmp_ne_u64_e64 s[20:21], 0, v[22:23]
	s_and_b64 s[20:21], s[20:21], s[18:19]
	s_and_saveexec_b64 s[18:19], s[20:21]
	s_cbranch_execz .LBB155_21
; %bb.20:
	v_bcnt_u32_b32 v22, v22, 0
	v_bcnt_u32_b32 v22, v23, v22
	s_waitcnt lgkmcnt(0)
	v_add_u32_e32 v22, v31, v22
	ds_write_b32 v34, v22 offset:64
.LBB155_21:
	s_or_b64 exec, exec, s[18:19]
	v_bfrev_b32_e32 v36, 1
	v_cmp_lt_i64_e64 s[18:19], -1, v[10:11]
	v_ashrrev_i32_e32 v23, 31, v11
	v_xor_b32_e32 v10, v23, v10
	v_cndmask_b32_e64 v22, -1, v36, s[18:19]
	v_xor_b32_e32 v11, v22, v11
	v_cmp_ne_u64_e64 s[18:19], s[22:23], v[10:11]
	s_movk_i32 s24, 0x44
	s_nop 0
	v_cndmask_b32_e64 v23, v36, v11, s[18:19]
	v_cndmask_b32_e64 v22, 0, v10, s[18:19]
	v_lshrrev_b64 v[22:23], s48, v[22:23]
	v_and_b32_e32 v35, s54, v22
	v_mul_lo_u32 v22, v35, s24
	v_lshl_add_u32 v37, v39, 2, v22
	v_and_b32_e32 v22, 1, v35
	v_mov_b32_e32 v23, 0
	v_lshl_add_u64 v[24:25], v[22:23], 0, -1
	v_cmp_ne_u32_e64 s[18:19], 0, v22
	; wave barrier
	ds_read_b32 v33, v37 offset:64
	s_nop 0
	v_xor_b32_e32 v24, s18, v24
	v_xor_b32_e32 v22, s19, v25
	v_and_b32_e32 v38, exec_lo, v24
	v_lshlrev_b32_e32 v25, 30, v35
	v_mov_b32_e32 v24, v23
	v_cmp_gt_i64_e64 s[18:19], 0, v[24:25]
	v_not_b32_e32 v24, v25
	v_ashrrev_i32_e32 v24, 31, v24
	v_and_b32_e32 v22, exec_hi, v22
	v_xor_b32_e32 v25, s19, v24
	v_xor_b32_e32 v24, s18, v24
	v_and_b32_e32 v22, v22, v25
	v_and_b32_e32 v38, v38, v24
	v_lshlrev_b32_e32 v25, 29, v35
	v_mov_b32_e32 v24, v23
	v_cmp_gt_i64_e64 s[18:19], 0, v[24:25]
	v_not_b32_e32 v24, v25
	v_ashrrev_i32_e32 v24, 31, v24
	v_xor_b32_e32 v25, s19, v24
	v_xor_b32_e32 v24, s18, v24
	v_and_b32_e32 v22, v22, v25
	v_and_b32_e32 v38, v38, v24
	v_lshlrev_b32_e32 v25, 28, v35
	v_mov_b32_e32 v24, v23
	v_cmp_gt_i64_e64 s[18:19], 0, v[24:25]
	v_not_b32_e32 v24, v25
	v_ashrrev_i32_e32 v24, 31, v24
	;; [unrolled: 9-line block ×6, first 2 shown]
	v_xor_b32_e32 v25, s19, v24
	v_xor_b32_e32 v24, s18, v24
	v_and_b32_e32 v24, v38, v24
	v_and_b32_e32 v25, v22, v25
	v_mbcnt_lo_u32_b32 v22, v24, 0
	v_mbcnt_hi_u32_b32 v35, v25, v22
	v_cmp_eq_u32_e64 s[18:19], 0, v35
	v_cmp_ne_u64_e64 s[20:21], 0, v[24:25]
	s_and_b64 s[20:21], s[20:21], s[18:19]
	; wave barrier
	s_and_saveexec_b64 s[18:19], s[20:21]
	s_cbranch_execz .LBB155_23
; %bb.22:
	v_bcnt_u32_b32 v22, v24, 0
	v_bcnt_u32_b32 v22, v25, v22
	s_waitcnt lgkmcnt(0)
	v_add_u32_e32 v22, v33, v22
	ds_write_b32 v37, v22 offset:64
.LBB155_23:
	s_or_b64 exec, exec, s[18:19]
	v_cmp_lt_i64_e64 s[18:19], -1, v[12:13]
	v_ashrrev_i32_e32 v24, 31, v13
	v_xor_b32_e32 v12, v24, v12
	v_cndmask_b32_e64 v22, -1, v36, s[18:19]
	v_xor_b32_e32 v13, v22, v13
	v_cmp_ne_u64_e64 s[18:19], s[22:23], v[12:13]
	; wave barrier
	s_nop 1
	v_cndmask_b32_e64 v25, v36, v13, s[18:19]
	v_cndmask_b32_e64 v24, 0, v12, s[18:19]
	v_lshrrev_b64 v[24:25], s48, v[24:25]
	v_and_b32_e32 v38, s54, v24
	v_mul_lo_u32 v22, v38, s24
	v_lshl_add_u32 v41, v39, 2, v22
	v_and_b32_e32 v22, 1, v38
	v_lshl_add_u64 v[24:25], v[22:23], 0, -1
	v_cmp_ne_u32_e64 s[18:19], 0, v22
	ds_read_b32 v36, v41 offset:64
	s_nop 0
	v_xor_b32_e32 v24, s18, v24
	v_xor_b32_e32 v22, s19, v25
	v_and_b32_e32 v40, exec_lo, v24
	v_lshlrev_b32_e32 v25, 30, v38
	v_mov_b32_e32 v24, v23
	v_cmp_gt_i64_e64 s[18:19], 0, v[24:25]
	v_not_b32_e32 v24, v25
	v_ashrrev_i32_e32 v24, 31, v24
	v_and_b32_e32 v22, exec_hi, v22
	v_xor_b32_e32 v25, s19, v24
	v_xor_b32_e32 v24, s18, v24
	v_and_b32_e32 v22, v22, v25
	v_and_b32_e32 v40, v40, v24
	v_lshlrev_b32_e32 v25, 29, v38
	v_mov_b32_e32 v24, v23
	v_cmp_gt_i64_e64 s[18:19], 0, v[24:25]
	v_not_b32_e32 v24, v25
	v_ashrrev_i32_e32 v24, 31, v24
	v_xor_b32_e32 v25, s19, v24
	v_xor_b32_e32 v24, s18, v24
	v_and_b32_e32 v22, v22, v25
	v_and_b32_e32 v40, v40, v24
	v_lshlrev_b32_e32 v25, 28, v38
	v_mov_b32_e32 v24, v23
	v_cmp_gt_i64_e64 s[18:19], 0, v[24:25]
	v_not_b32_e32 v24, v25
	v_ashrrev_i32_e32 v24, 31, v24
	;; [unrolled: 9-line block ×5, first 2 shown]
	v_xor_b32_e32 v25, s19, v24
	v_xor_b32_e32 v24, s18, v24
	v_and_b32_e32 v22, v22, v25
	v_lshlrev_b32_e32 v25, 24, v38
	v_and_b32_e32 v40, v40, v24
	v_mov_b32_e32 v24, v23
	v_not_b32_e32 v23, v25
	v_cmp_gt_i64_e64 s[18:19], 0, v[24:25]
	v_ashrrev_i32_e32 v23, 31, v23
	; wave barrier
	s_nop 0
	v_xor_b32_e32 v24, s19, v23
	v_xor_b32_e32 v25, s18, v23
	v_and_b32_e32 v23, v22, v24
	v_and_b32_e32 v22, v40, v25
	v_mbcnt_lo_u32_b32 v24, v22, 0
	v_mbcnt_hi_u32_b32 v38, v23, v24
	v_cmp_eq_u32_e64 s[18:19], 0, v38
	v_cmp_ne_u64_e64 s[20:21], 0, v[22:23]
	s_and_b64 s[20:21], s[20:21], s[18:19]
	s_and_saveexec_b64 s[18:19], s[20:21]
	s_cbranch_execz .LBB155_25
; %bb.24:
	v_bcnt_u32_b32 v22, v22, 0
	v_bcnt_u32_b32 v22, v23, v22
	s_waitcnt lgkmcnt(0)
	v_add_u32_e32 v22, v36, v22
	ds_write_b32 v41, v22 offset:64
.LBB155_25:
	s_or_b64 exec, exec, s[18:19]
	v_bfrev_b32_e32 v43, 1
	v_cmp_lt_i64_e64 s[18:19], -1, v[14:15]
	v_ashrrev_i32_e32 v23, 31, v15
	v_xor_b32_e32 v14, v23, v14
	v_cndmask_b32_e64 v22, -1, v43, s[18:19]
	v_xor_b32_e32 v15, v22, v15
	v_cmp_ne_u64_e64 s[18:19], s[22:23], v[14:15]
	; wave barrier
	s_nop 1
	v_cndmask_b32_e64 v23, v43, v15, s[18:19]
	v_cndmask_b32_e64 v22, 0, v14, s[18:19]
	v_lshrrev_b64 v[22:23], s48, v[22:23]
	v_and_b32_e32 v42, s54, v22
	v_mul_lo_u32 v22, v42, s24
	v_lshl_add_u32 v44, v39, 2, v22
	v_and_b32_e32 v22, 1, v42
	v_mov_b32_e32 v23, 0
	v_lshl_add_u64 v[24:25], v[22:23], 0, -1
	v_cmp_ne_u32_e64 s[18:19], 0, v22
	ds_read_b32 v40, v44 offset:64
	s_nop 0
	v_xor_b32_e32 v24, s18, v24
	v_xor_b32_e32 v22, s19, v25
	v_and_b32_e32 v45, exec_lo, v24
	v_lshlrev_b32_e32 v25, 30, v42
	v_mov_b32_e32 v24, v23
	v_cmp_gt_i64_e64 s[18:19], 0, v[24:25]
	v_not_b32_e32 v24, v25
	v_ashrrev_i32_e32 v24, 31, v24
	v_and_b32_e32 v22, exec_hi, v22
	v_xor_b32_e32 v25, s19, v24
	v_xor_b32_e32 v24, s18, v24
	v_and_b32_e32 v22, v22, v25
	v_and_b32_e32 v45, v45, v24
	v_lshlrev_b32_e32 v25, 29, v42
	v_mov_b32_e32 v24, v23
	v_cmp_gt_i64_e64 s[18:19], 0, v[24:25]
	v_not_b32_e32 v24, v25
	v_ashrrev_i32_e32 v24, 31, v24
	v_xor_b32_e32 v25, s19, v24
	v_xor_b32_e32 v24, s18, v24
	v_and_b32_e32 v22, v22, v25
	v_and_b32_e32 v45, v45, v24
	v_lshlrev_b32_e32 v25, 28, v42
	v_mov_b32_e32 v24, v23
	v_cmp_gt_i64_e64 s[18:19], 0, v[24:25]
	v_not_b32_e32 v24, v25
	v_ashrrev_i32_e32 v24, 31, v24
	;; [unrolled: 9-line block ×6, first 2 shown]
	v_xor_b32_e32 v25, s19, v24
	v_xor_b32_e32 v24, s18, v24
	v_and_b32_e32 v24, v45, v24
	v_and_b32_e32 v25, v22, v25
	v_mbcnt_lo_u32_b32 v22, v24, 0
	v_mbcnt_hi_u32_b32 v42, v25, v22
	v_cmp_eq_u32_e64 s[18:19], 0, v42
	v_cmp_ne_u64_e64 s[20:21], 0, v[24:25]
	s_and_b64 s[20:21], s[20:21], s[18:19]
	; wave barrier
	s_and_saveexec_b64 s[18:19], s[20:21]
	s_cbranch_execz .LBB155_27
; %bb.26:
	v_bcnt_u32_b32 v22, v24, 0
	v_bcnt_u32_b32 v22, v25, v22
	s_waitcnt lgkmcnt(0)
	v_add_u32_e32 v22, v40, v22
	ds_write_b32 v44, v22 offset:64
.LBB155_27:
	s_or_b64 exec, exec, s[18:19]
	v_cmp_lt_i64_e64 s[18:19], -1, v[18:19]
	v_ashrrev_i32_e32 v24, 31, v19
	v_xor_b32_e32 v18, v24, v18
	v_cndmask_b32_e64 v22, -1, v43, s[18:19]
	v_xor_b32_e32 v19, v22, v19
	v_cmp_ne_u64_e64 s[18:19], s[22:23], v[18:19]
	; wave barrier
	s_nop 1
	v_cndmask_b32_e64 v25, v43, v19, s[18:19]
	v_cndmask_b32_e64 v24, 0, v18, s[18:19]
	v_lshrrev_b64 v[24:25], s48, v[24:25]
	v_and_b32_e32 v45, s54, v24
	v_mul_lo_u32 v22, v45, s24
	v_lshl_add_u32 v47, v39, 2, v22
	v_and_b32_e32 v22, 1, v45
	v_lshl_add_u64 v[24:25], v[22:23], 0, -1
	v_cmp_ne_u32_e64 s[18:19], 0, v22
	ds_read_b32 v43, v47 offset:64
	s_nop 0
	v_xor_b32_e32 v24, s18, v24
	v_xor_b32_e32 v22, s19, v25
	v_and_b32_e32 v46, exec_lo, v24
	v_lshlrev_b32_e32 v25, 30, v45
	v_mov_b32_e32 v24, v23
	v_cmp_gt_i64_e64 s[18:19], 0, v[24:25]
	v_not_b32_e32 v24, v25
	v_ashrrev_i32_e32 v24, 31, v24
	v_and_b32_e32 v22, exec_hi, v22
	v_xor_b32_e32 v25, s19, v24
	v_xor_b32_e32 v24, s18, v24
	v_and_b32_e32 v22, v22, v25
	v_and_b32_e32 v46, v46, v24
	v_lshlrev_b32_e32 v25, 29, v45
	v_mov_b32_e32 v24, v23
	v_cmp_gt_i64_e64 s[18:19], 0, v[24:25]
	v_not_b32_e32 v24, v25
	v_ashrrev_i32_e32 v24, 31, v24
	v_xor_b32_e32 v25, s19, v24
	v_xor_b32_e32 v24, s18, v24
	v_and_b32_e32 v22, v22, v25
	v_and_b32_e32 v46, v46, v24
	v_lshlrev_b32_e32 v25, 28, v45
	v_mov_b32_e32 v24, v23
	v_cmp_gt_i64_e64 s[18:19], 0, v[24:25]
	v_not_b32_e32 v24, v25
	v_ashrrev_i32_e32 v24, 31, v24
	;; [unrolled: 9-line block ×5, first 2 shown]
	v_xor_b32_e32 v25, s19, v24
	v_xor_b32_e32 v24, s18, v24
	v_and_b32_e32 v22, v22, v25
	v_lshlrev_b32_e32 v25, 24, v45
	v_and_b32_e32 v46, v46, v24
	v_mov_b32_e32 v24, v23
	v_not_b32_e32 v23, v25
	v_cmp_gt_i64_e64 s[18:19], 0, v[24:25]
	v_ashrrev_i32_e32 v23, 31, v23
	; wave barrier
	s_nop 0
	v_xor_b32_e32 v24, s19, v23
	v_xor_b32_e32 v25, s18, v23
	v_and_b32_e32 v23, v22, v24
	v_and_b32_e32 v22, v46, v25
	v_mbcnt_lo_u32_b32 v24, v22, 0
	v_mbcnt_hi_u32_b32 v45, v23, v24
	v_cmp_eq_u32_e64 s[18:19], 0, v45
	v_cmp_ne_u64_e64 s[20:21], 0, v[22:23]
	s_and_b64 s[20:21], s[20:21], s[18:19]
	s_and_saveexec_b64 s[18:19], s[20:21]
	s_cbranch_execz .LBB155_29
; %bb.28:
	v_bcnt_u32_b32 v22, v22, 0
	v_bcnt_u32_b32 v22, v23, v22
	s_waitcnt lgkmcnt(0)
	v_add_u32_e32 v22, v43, v22
	ds_write_b32 v47, v22 offset:64
.LBB155_29:
	s_or_b64 exec, exec, s[18:19]
	v_bfrev_b32_e32 v49, 1
	v_cmp_lt_i64_e64 s[18:19], -1, v[20:21]
	v_ashrrev_i32_e32 v23, 31, v21
	v_xor_b32_e32 v20, v23, v20
	v_cndmask_b32_e64 v22, -1, v49, s[18:19]
	v_xor_b32_e32 v21, v22, v21
	v_cmp_ne_u64_e64 s[18:19], s[22:23], v[20:21]
	s_movk_i32 s22, 0x44
	s_nop 0
	v_cndmask_b32_e64 v23, v49, v21, s[18:19]
	v_cndmask_b32_e64 v22, 0, v20, s[18:19]
	v_lshrrev_b64 v[22:23], s48, v[22:23]
	v_and_b32_e32 v48, s54, v22
	v_mul_lo_u32 v22, v48, s22
	v_lshl_add_u32 v50, v39, 2, v22
	v_and_b32_e32 v22, 1, v48
	v_mov_b32_e32 v23, 0
	v_lshl_add_u64 v[24:25], v[22:23], 0, -1
	v_cmp_ne_u32_e64 s[18:19], 0, v22
	; wave barrier
	ds_read_b32 v46, v50 offset:64
	s_nop 0
	v_xor_b32_e32 v24, s18, v24
	v_xor_b32_e32 v22, s19, v25
	v_and_b32_e32 v51, exec_lo, v24
	v_lshlrev_b32_e32 v25, 30, v48
	v_mov_b32_e32 v24, v23
	v_cmp_gt_i64_e64 s[18:19], 0, v[24:25]
	v_not_b32_e32 v24, v25
	v_ashrrev_i32_e32 v24, 31, v24
	v_and_b32_e32 v22, exec_hi, v22
	v_xor_b32_e32 v25, s19, v24
	v_xor_b32_e32 v24, s18, v24
	v_and_b32_e32 v22, v22, v25
	v_and_b32_e32 v51, v51, v24
	v_lshlrev_b32_e32 v25, 29, v48
	v_mov_b32_e32 v24, v23
	v_cmp_gt_i64_e64 s[18:19], 0, v[24:25]
	v_not_b32_e32 v24, v25
	v_ashrrev_i32_e32 v24, 31, v24
	v_xor_b32_e32 v25, s19, v24
	v_xor_b32_e32 v24, s18, v24
	v_and_b32_e32 v22, v22, v25
	v_and_b32_e32 v51, v51, v24
	v_lshlrev_b32_e32 v25, 28, v48
	v_mov_b32_e32 v24, v23
	v_cmp_gt_i64_e64 s[18:19], 0, v[24:25]
	v_not_b32_e32 v24, v25
	v_ashrrev_i32_e32 v24, 31, v24
	;; [unrolled: 9-line block ×6, first 2 shown]
	v_xor_b32_e32 v25, s19, v24
	v_xor_b32_e32 v24, s18, v24
	v_and_b32_e32 v24, v51, v24
	v_and_b32_e32 v25, v22, v25
	v_mbcnt_lo_u32_b32 v22, v24, 0
	v_mbcnt_hi_u32_b32 v48, v25, v22
	v_cmp_eq_u32_e64 s[18:19], 0, v48
	v_cmp_ne_u64_e64 s[20:21], 0, v[24:25]
	s_and_b64 s[20:21], s[20:21], s[18:19]
	; wave barrier
	s_and_saveexec_b64 s[18:19], s[20:21]
	s_cbranch_execz .LBB155_31
; %bb.30:
	v_bcnt_u32_b32 v22, v24, 0
	v_bcnt_u32_b32 v22, v25, v22
	s_waitcnt lgkmcnt(0)
	v_add_u32_e32 v22, v46, v22
	ds_write_b32 v50, v22 offset:64
.LBB155_31:
	s_or_b64 exec, exec, s[18:19]
	v_cmp_lt_i64_e64 s[18:19], -1, v[16:17]
	s_mov_b32 s20, -1
	v_ashrrev_i32_e32 v24, 31, v17
	v_cndmask_b32_e64 v22, -1, v49, s[18:19]
	s_brev_b32 s21, -2
	v_xor_b32_e32 v17, v22, v17
	v_xor_b32_e32 v16, v24, v16
	v_cmp_ne_u64_e64 s[18:19], s[20:21], v[16:17]
	; wave barrier
	s_nop 1
	v_cndmask_b32_e64 v25, v49, v17, s[18:19]
	v_cndmask_b32_e64 v24, 0, v16, s[18:19]
	v_lshrrev_b64 v[24:25], s48, v[24:25]
	v_and_b32_e32 v51, s54, v24
	v_mul_lo_u32 v22, v51, s22
	v_lshl_add_u32 v39, v39, 2, v22
	v_and_b32_e32 v22, 1, v51
	v_lshl_add_u64 v[24:25], v[22:23], 0, -1
	v_cmp_ne_u32_e64 s[18:19], 0, v22
	ds_read_b32 v49, v39 offset:64
	s_nop 0
	v_xor_b32_e32 v24, s18, v24
	v_xor_b32_e32 v22, s19, v25
	v_and_b32_e32 v52, exec_lo, v24
	v_lshlrev_b32_e32 v25, 30, v51
	v_mov_b32_e32 v24, v23
	v_cmp_gt_i64_e64 s[18:19], 0, v[24:25]
	v_not_b32_e32 v24, v25
	v_ashrrev_i32_e32 v24, 31, v24
	v_and_b32_e32 v22, exec_hi, v22
	v_xor_b32_e32 v25, s19, v24
	v_xor_b32_e32 v24, s18, v24
	v_and_b32_e32 v22, v22, v25
	v_and_b32_e32 v52, v52, v24
	v_lshlrev_b32_e32 v25, 29, v51
	v_mov_b32_e32 v24, v23
	v_cmp_gt_i64_e64 s[18:19], 0, v[24:25]
	v_not_b32_e32 v24, v25
	v_ashrrev_i32_e32 v24, 31, v24
	v_xor_b32_e32 v25, s19, v24
	v_xor_b32_e32 v24, s18, v24
	v_and_b32_e32 v22, v22, v25
	v_and_b32_e32 v52, v52, v24
	v_lshlrev_b32_e32 v25, 28, v51
	v_mov_b32_e32 v24, v23
	v_cmp_gt_i64_e64 s[18:19], 0, v[24:25]
	v_not_b32_e32 v24, v25
	v_ashrrev_i32_e32 v24, 31, v24
	;; [unrolled: 9-line block ×5, first 2 shown]
	v_xor_b32_e32 v25, s19, v24
	v_xor_b32_e32 v24, s18, v24
	v_and_b32_e32 v22, v22, v25
	v_lshlrev_b32_e32 v25, 24, v51
	v_and_b32_e32 v52, v52, v24
	v_mov_b32_e32 v24, v23
	v_not_b32_e32 v23, v25
	v_cmp_gt_i64_e64 s[18:19], 0, v[24:25]
	v_ashrrev_i32_e32 v23, 31, v23
	; wave barrier
	s_nop 0
	v_xor_b32_e32 v24, s19, v23
	v_xor_b32_e32 v25, s18, v23
	v_and_b32_e32 v23, v22, v24
	v_and_b32_e32 v22, v52, v25
	v_mbcnt_lo_u32_b32 v24, v22, 0
	v_mbcnt_hi_u32_b32 v51, v23, v24
	v_cmp_eq_u32_e64 s[18:19], 0, v51
	v_cmp_ne_u64_e64 s[20:21], 0, v[22:23]
	s_and_b64 s[20:21], s[20:21], s[18:19]
	s_and_saveexec_b64 s[18:19], s[20:21]
	s_cbranch_execz .LBB155_33
; %bb.32:
	v_bcnt_u32_b32 v22, v22, 0
	v_bcnt_u32_b32 v22, v23, v22
	s_waitcnt lgkmcnt(0)
	v_add_u32_e32 v22, v49, v22
	ds_write_b32 v39, v22 offset:64
.LBB155_33:
	s_or_b64 exec, exec, s[18:19]
	; wave barrier
	s_waitcnt lgkmcnt(0)
	s_barrier
	ds_read2_b32 v[24:25], v1 offset0:16 offset1:17
	ds_read2_b32 v[22:23], v1 offset0:18 offset1:19
	ds_read_b32 v52, v1 offset:80
	v_cmp_lt_u32_e64 s[28:29], 31, v26
	s_waitcnt lgkmcnt(1)
	v_add3_u32 v53, v25, v24, v22
	s_waitcnt lgkmcnt(0)
	v_add3_u32 v52, v53, v23, v52
	v_and_b32_e32 v53, 15, v26
	v_cmp_eq_u32_e64 s[18:19], 0, v53
	v_mov_b32_dpp v54, v52 row_shr:1 row_mask:0xf bank_mask:0xf
	v_cmp_lt_u32_e64 s[20:21], 1, v53
	v_cndmask_b32_e64 v54, v54, 0, s[18:19]
	v_add_u32_e32 v52, v54, v52
	v_cmp_lt_u32_e64 s[22:23], 3, v53
	v_cmp_lt_u32_e64 s[24:25], 7, v53
	v_mov_b32_dpp v54, v52 row_shr:2 row_mask:0xf bank_mask:0xf
	v_cndmask_b32_e64 v54, 0, v54, s[20:21]
	v_add_u32_e32 v52, v52, v54
	s_nop 1
	v_mov_b32_dpp v54, v52 row_shr:4 row_mask:0xf bank_mask:0xf
	v_cndmask_b32_e64 v54, 0, v54, s[22:23]
	v_add_u32_e32 v52, v52, v54
	s_nop 1
	v_mov_b32_dpp v54, v52 row_shr:8 row_mask:0xf bank_mask:0xf
	v_cndmask_b32_e64 v53, 0, v54, s[24:25]
	v_add_u32_e32 v52, v52, v53
	v_bfe_i32 v54, v26, 4, 1
	s_nop 0
	v_mov_b32_dpp v53, v52 row_bcast:15 row_mask:0xf bank_mask:0xf
	v_and_b32_e32 v53, v54, v53
	v_add_u32_e32 v52, v52, v53
	v_and_b32_e32 v54, 63, v2
	s_nop 0
	v_mov_b32_dpp v53, v52 row_bcast:31 row_mask:0xf bank_mask:0xf
	v_cndmask_b32_e64 v53, 0, v53, s[28:29]
	v_add_u32_e32 v52, v52, v53
	v_lshrrev_b32_e32 v53, 6, v2
	v_cmp_eq_u32_e64 s[28:29], 63, v54
	s_and_saveexec_b64 s[30:31], s[28:29]
; %bb.34:
	v_lshlrev_b32_e32 v54, 2, v53
	ds_write_b32 v54, v52
; %bb.35:
	s_or_b64 exec, exec, s[30:31]
	v_cmp_gt_u32_e64 s[28:29], 16, v2
	s_waitcnt lgkmcnt(0)
	s_barrier
	s_and_saveexec_b64 s[30:31], s[28:29]
	s_cbranch_execz .LBB155_37
; %bb.36:
	v_lshlrev_b32_e32 v54, 2, v2
	ds_read_b32 v55, v54
	s_waitcnt lgkmcnt(0)
	s_nop 0
	v_mov_b32_dpp v56, v55 row_shr:1 row_mask:0xf bank_mask:0xf
	v_cndmask_b32_e64 v56, v56, 0, s[18:19]
	v_add_u32_e32 v55, v56, v55
	s_nop 1
	v_mov_b32_dpp v56, v55 row_shr:2 row_mask:0xf bank_mask:0xf
	v_cndmask_b32_e64 v56, 0, v56, s[20:21]
	v_add_u32_e32 v55, v55, v56
	s_nop 1
	v_mov_b32_dpp v56, v55 row_shr:4 row_mask:0xf bank_mask:0xf
	v_cndmask_b32_e64 v56, 0, v56, s[22:23]
	v_add_u32_e32 v55, v55, v56
	s_nop 1
	v_mov_b32_dpp v56, v55 row_shr:8 row_mask:0xf bank_mask:0xf
	v_cndmask_b32_e64 v56, 0, v56, s[24:25]
	v_add_u32_e32 v55, v55, v56
	ds_write_b32 v54, v55
.LBB155_37:
	s_or_b64 exec, exec, s[30:31]
	v_cmp_lt_u32_e64 s[18:19], 63, v2
	v_mov_b32_e32 v54, 0
	s_waitcnt lgkmcnt(0)
	s_barrier
	s_and_saveexec_b64 s[20:21], s[18:19]
; %bb.38:
	v_lshl_add_u32 v53, v53, 2, -4
	ds_read_b32 v54, v53
; %bb.39:
	s_or_b64 exec, exec, s[20:21]
	v_subrev_co_u32_e64 v53, s[18:19], 1, v26
	v_and_b32_e32 v55, 64, v26
	v_cmp_lt_i32_e64 s[20:21], v53, v55
	s_waitcnt lgkmcnt(0)
	v_add_u32_e32 v52, v54, v52
	s_movk_i32 s22, 0x100
	v_cndmask_b32_e64 v26, v53, v26, s[20:21]
	v_lshlrev_b32_e32 v26, 2, v26
	ds_bpermute_b32 v26, v26, v52
	v_cmp_gt_u32_e64 s[20:21], s22, v2
	s_waitcnt lgkmcnt(0)
	v_cndmask_b32_e64 v26, v26, v54, s[18:19]
	v_cmp_ne_u32_e64 s[18:19], 0, v2
	s_nop 1
	v_cndmask_b32_e64 v26, 0, v26, s[18:19]
	v_add_u32_e32 v24, v26, v24
	v_add_u32_e32 v25, v24, v25
	;; [unrolled: 1-line block ×4, first 2 shown]
	ds_write2_b32 v1, v26, v24 offset0:16 offset1:17
	ds_write2_b32 v1, v25, v22 offset0:18 offset1:19
	ds_write_b32 v1, v23 offset:80
	s_waitcnt lgkmcnt(0)
	s_barrier
	ds_read_b32 v55, v27 offset:64
	ds_read_b32 v1, v34 offset:64
	;; [unrolled: 1-line block ×8, first 2 shown]
	s_movk_i32 s18, 0xff
	v_cmp_lt_u32_e64 s[18:19], s18, v2
                                        ; implicit-def: $vgpr34
                                        ; implicit-def: $vgpr37
	s_and_saveexec_b64 s[24:25], s[20:21]
	s_cbranch_execz .LBB155_43
; %bb.40:
	v_mul_u32_u24_e32 v22, 0x44, v2
	ds_read_b32 v34, v22 offset:64
	v_add_u32_e32 v23, 1, v2
	v_cmp_ne_u32_e64 s[22:23], s22, v23
	v_mov_b32_e32 v22, 0x2000
	s_and_saveexec_b64 s[28:29], s[22:23]
; %bb.41:
	v_mul_u32_u24_e32 v22, 0x44, v23
	ds_read_b32 v22, v22 offset:64
; %bb.42:
	s_or_b64 exec, exec, s[28:29]
	s_waitcnt lgkmcnt(0)
	v_sub_u32_e32 v37, v22, v34
.LBB155_43:
	s_or_b64 exec, exec, s[24:25]
	v_mov_b32_e32 v23, 0
	v_lshlrev_b32_e32 v39, 2, v2
	s_waitcnt lgkmcnt(0)
	s_barrier
	s_and_saveexec_b64 s[22:23], s[20:21]
	s_cbranch_execz .LBB155_53
; %bb.44:
	v_lshl_add_u32 v22, s4, 8, v2
	v_lshl_add_u64 v[24:25], v[22:23], 2, s[52:53]
	v_or_b32_e32 v22, 2.0, v37
	s_mov_b64 s[24:25], 0
	s_brev_b32 s34, -4
	s_mov_b32 s35, s4
	v_mov_b32_e32 v50, 0
	global_store_dword v[24:25], v22, off sc1
                                        ; implicit-def: $sgpr20_sgpr21
	s_branch .LBB155_47
.LBB155_45:                             ;   in Loop: Header=BB155_47 Depth=1
	s_or_b64 exec, exec, s[30:31]
.LBB155_46:                             ;   in Loop: Header=BB155_47 Depth=1
	s_or_b64 exec, exec, s[28:29]
	v_and_b32_e32 v26, 0x3fffffff, v22
	v_add_u32_e32 v50, v26, v50
	v_cmp_gt_i32_e64 s[20:21], -2.0, v22
	s_and_b64 s[28:29], exec, s[20:21]
	s_or_b64 s[24:25], s[28:29], s[24:25]
	s_andn2_b64 exec, exec, s[24:25]
	s_cbranch_execz .LBB155_52
.LBB155_47:                             ; =>This Loop Header: Depth=1
                                        ;     Child Loop BB155_50 Depth 2
	s_or_b64 s[20:21], s[20:21], exec
	s_cmp_eq_u32 s35, 0
	s_cbranch_scc1 .LBB155_51
; %bb.48:                               ;   in Loop: Header=BB155_47 Depth=1
	s_add_i32 s35, s35, -1
	v_lshl_or_b32 v22, s35, 8, v2
	v_lshl_add_u64 v[26:27], v[22:23], 2, s[52:53]
	global_load_dword v22, v[26:27], off sc1
	s_waitcnt vmcnt(0)
	v_cmp_gt_u32_e64 s[20:21], 2.0, v22
	s_and_saveexec_b64 s[28:29], s[20:21]
	s_cbranch_execz .LBB155_46
; %bb.49:                               ;   in Loop: Header=BB155_47 Depth=1
	s_mov_b64 s[30:31], 0
.LBB155_50:                             ;   Parent Loop BB155_47 Depth=1
                                        ; =>  This Inner Loop Header: Depth=2
	global_load_dword v22, v[26:27], off sc1
	s_waitcnt vmcnt(0)
	v_cmp_lt_u32_e64 s[20:21], s34, v22
	s_or_b64 s[30:31], s[20:21], s[30:31]
	s_andn2_b64 exec, exec, s[30:31]
	s_cbranch_execnz .LBB155_50
	s_branch .LBB155_45
.LBB155_51:                             ;   in Loop: Header=BB155_47 Depth=1
                                        ; implicit-def: $sgpr35
	s_and_b64 s[28:29], exec, s[20:21]
	s_or_b64 s[24:25], s[28:29], s[24:25]
	s_andn2_b64 exec, exec, s[24:25]
	s_cbranch_execnz .LBB155_47
.LBB155_52:
	s_or_b64 exec, exec, s[24:25]
	v_add_u32_e32 v22, v50, v37
	v_or_b32_e32 v22, 0x80000000, v22
	global_store_dword v[24:25], v22, off sc1
	global_load_dword v22, v39, s[44:45]
	v_sub_u32_e32 v23, v50, v34
	s_waitcnt vmcnt(0)
	v_add_u32_e32 v22, v23, v22
	ds_write_b32 v39, v22
.LBB155_53:
	s_or_b64 exec, exec, s[22:23]
	s_load_dwordx2 s[20:21], s[0:1], 0x4
	v_add_u32_e32 v24, v55, v5
	v_add3_u32 v5, v32, v31, v1
	v_add3_u32 v22, v35, v33, v52
	;; [unrolled: 1-line block ×3, first 2 shown]
	s_waitcnt lgkmcnt(0)
	s_lshr_b32 s0, s20, 16
	s_mul_i32 s0, s0, s21
	v_mul_lo_u32 v25, s0, v2
	v_mul_u32_u24_e32 v27, s21, v3
	v_add3_u32 v25, v25, v27, v28
	v_mov_b32_e32 v27, 0x5050
	v_add3_u32 v50, v42, v40, v54
	v_add3_u32 v55, v45, v43, v47
	;; [unrolled: 1-line block ×4, first 2 shown]
	v_lshl_add_u32 v25, v25, 5, v27
	v_mov_b32_e32 v57, 0x400
	s_mov_b32 s22, -1
	s_movk_i32 s28, 0x400
	v_lshl_add_u32 v26, v26, 3, v57
	v_add3_u32 v27, v51, v41, v49
	v_lshl_add_u32 v41, v56, 3, v57
	v_add3_u32 v44, v48, v44, v46
	;; [unrolled: 2-line block ×7, first 2 shown]
	v_lshl_add_u32 v32, v24, 3, v57
	s_mov_b32 s29, 0
	s_movk_i32 s30, 0x800
	v_add_u32_e32 v47, v39, v39
	s_brev_b32 s23, -2
	v_mov_b32_e32 v23, 0
	v_bfrev_b32_e32 v1, 1
	v_mov_b32_e32 v5, v2
	v_mov_b32_e32 v48, v25
	s_mov_b32 s31, 0
	s_branch .LBB155_55
.LBB155_54:                             ;   in Loop: Header=BB155_55 Depth=1
	s_or_b64 exec, exec, s[24:25]
	s_addk_i32 s31, 0xc000
	s_addk_i32 s29, 0xf800
	v_add_u32_e32 v48, 8, v48
	s_cmp_eq_u32 s31, 0xffff0000
	v_add_u32_e32 v5, 0x800, v5
	s_waitcnt lgkmcnt(0)
	s_barrier
	s_cbranch_scc1 .LBB155_75
.LBB155_55:                             ; =>This Inner Loop Header: Depth=1
	v_add_u32_e32 v22, s29, v24
	v_cmp_gt_u32_e64 s[0:1], s30, v22
	s_and_saveexec_b64 s[20:21], s[0:1]
; %bb.56:                               ;   in Loop: Header=BB155_55 Depth=1
	v_add_u32_e32 v22, s31, v32
	ds_write_b64 v22, v[6:7]
; %bb.57:                               ;   in Loop: Header=BB155_55 Depth=1
	s_or_b64 exec, exec, s[20:21]
	v_add_u32_e32 v22, s29, v31
	v_cmp_gt_u32_e64 s[0:1], s30, v22
	s_and_saveexec_b64 s[20:21], s[0:1]
; %bb.58:                               ;   in Loop: Header=BB155_55 Depth=1
	v_add_u32_e32 v22, s31, v35
	ds_write_b64 v22, v[8:9]
; %bb.59:                               ;   in Loop: Header=BB155_55 Depth=1
	s_or_b64 exec, exec, s[20:21]
	;; [unrolled: 8-line block ×8, first 2 shown]
	v_cmp_gt_u32_e64 s[0:1], s5, v5
	s_waitcnt lgkmcnt(0)
	s_barrier
	s_and_saveexec_b64 s[24:25], s[0:1]
	s_cbranch_execz .LBB155_73
; %bb.72:                               ;   in Loop: Header=BB155_55 Depth=1
	ds_read_b64 v[50:51], v47 offset:1024
	s_waitcnt lgkmcnt(0)
	v_cmp_ne_u64_e64 s[0:1], s[22:23], v[50:51]
	s_nop 1
	v_cndmask_b32_e64 v53, v1, v51, s[0:1]
	v_cndmask_b32_e64 v52, 0, v50, s[0:1]
	v_lshrrev_b64 v[52:53], s48, v[52:53]
	v_and_b32_e32 v49, s54, v52
	v_lshlrev_b32_e32 v52, 2, v49
	ds_read_b32 v52, v52
	v_cmp_lt_i64_e64 s[20:21], -1, v[50:51]
	v_ashrrev_i32_e32 v53, 31, v51
	v_not_b32_e32 v53, v53
	v_cndmask_b32_e64 v22, v1, -1, s[20:21]
	v_xor_b32_e32 v51, v22, v51
	s_waitcnt lgkmcnt(0)
	v_add_u32_e32 v22, v5, v52
	v_xor_b32_e32 v50, v53, v50
	v_lshl_add_u64 v[52:53], v[22:23], 3, s[38:39]
	global_store_dwordx2 v[52:53], v[50:51], off
	ds_write_b32 v48, v49
.LBB155_73:                             ;   in Loop: Header=BB155_55 Depth=1
	s_or_b64 exec, exec, s[24:25]
	v_add_u32_e32 v22, 0x400, v5
	v_cmp_gt_u32_e64 s[0:1], s5, v22
	s_and_saveexec_b64 s[24:25], s[0:1]
	s_cbranch_execz .LBB155_54
; %bb.74:                               ;   in Loop: Header=BB155_55 Depth=1
	ds_read_b64 v[50:51], v47 offset:9216
	s_waitcnt lgkmcnt(0)
	v_cmp_ne_u64_e64 s[0:1], s[22:23], v[50:51]
	s_nop 1
	v_cndmask_b32_e64 v53, v1, v51, s[0:1]
	v_cndmask_b32_e64 v52, 0, v50, s[0:1]
	v_lshrrev_b64 v[52:53], s48, v[52:53]
	v_and_b32_e32 v49, s54, v52
	v_lshlrev_b32_e32 v52, 2, v49
	ds_read_b32 v52, v52
	v_cmp_lt_i64_e64 s[20:21], -1, v[50:51]
	v_ashrrev_i32_e32 v53, 31, v51
	v_not_b32_e32 v53, v53
	v_cndmask_b32_e64 v22, v1, -1, s[20:21]
	v_xor_b32_e32 v51, v22, v51
	s_waitcnt lgkmcnt(0)
	v_add3_u32 v22, v5, v52, s28
	v_xor_b32_e32 v50, v53, v50
	v_lshl_add_u64 v[52:53], v[22:23], 3, s[38:39]
	global_store_dwordx2 v[52:53], v[50:51], off
	ds_write_b32 v48, v49 offset:4
	s_branch .LBB155_54
.LBB155_75:
	s_add_u32 s0, s40, s50
	s_addc_u32 s1, s41, s51
	v_mov_b32_e32 v1, 0
	v_lshl_add_u64 v[6:7], s[0:1], 0, v[0:1]
	v_mov_b32_e32 v5, v1
	v_lshl_add_u64 v[18:19], v[6:7], 0, v[4:5]
                                        ; implicit-def: $vgpr0_vgpr1
	s_and_saveexec_b64 s[0:1], vcc
	s_cbranch_execz .LBB155_83
; %bb.76:
	global_load_dwordx2 v[0:1], v[18:19], off
	s_or_b64 exec, exec, s[0:1]
                                        ; implicit-def: $vgpr4_vgpr5
	s_and_saveexec_b64 s[0:1], s[16:17]
	s_cbranch_execnz .LBB155_84
.LBB155_77:
	s_or_b64 exec, exec, s[0:1]
                                        ; implicit-def: $vgpr6_vgpr7
	s_and_saveexec_b64 s[0:1], s[26:27]
	s_cbranch_execz .LBB155_85
.LBB155_78:
	global_load_dwordx2 v[6:7], v[18:19], off offset:1024
	s_or_b64 exec, exec, s[0:1]
                                        ; implicit-def: $vgpr8_vgpr9
	s_and_saveexec_b64 s[0:1], s[6:7]
	s_cbranch_execnz .LBB155_86
.LBB155_79:
	s_or_b64 exec, exec, s[0:1]
                                        ; implicit-def: $vgpr10_vgpr11
	s_and_saveexec_b64 s[0:1], s[8:9]
	s_cbranch_execz .LBB155_87
.LBB155_80:
	global_load_dwordx2 v[10:11], v[18:19], off offset:2048
	s_or_b64 exec, exec, s[0:1]
                                        ; implicit-def: $vgpr12_vgpr13
	s_and_saveexec_b64 s[0:1], s[10:11]
	s_cbranch_execnz .LBB155_88
.LBB155_81:
	s_or_b64 exec, exec, s[0:1]
                                        ; implicit-def: $vgpr14_vgpr15
	s_and_saveexec_b64 s[0:1], s[12:13]
	s_cbranch_execz .LBB155_89
.LBB155_82:
	global_load_dwordx2 v[14:15], v[18:19], off offset:3072
	s_or_b64 exec, exec, s[0:1]
                                        ; implicit-def: $vgpr16_vgpr17
	s_and_saveexec_b64 s[0:1], s[14:15]
	s_cbranch_execnz .LBB155_90
	s_branch .LBB155_91
.LBB155_83:
	s_or_b64 exec, exec, s[0:1]
                                        ; implicit-def: $vgpr4_vgpr5
	s_and_saveexec_b64 s[0:1], s[16:17]
	s_cbranch_execz .LBB155_77
.LBB155_84:
	global_load_dwordx2 v[4:5], v[18:19], off offset:512
	s_or_b64 exec, exec, s[0:1]
                                        ; implicit-def: $vgpr6_vgpr7
	s_and_saveexec_b64 s[0:1], s[26:27]
	s_cbranch_execnz .LBB155_78
.LBB155_85:
	s_or_b64 exec, exec, s[0:1]
                                        ; implicit-def: $vgpr8_vgpr9
	s_and_saveexec_b64 s[0:1], s[6:7]
	s_cbranch_execz .LBB155_79
.LBB155_86:
	global_load_dwordx2 v[8:9], v[18:19], off offset:1536
	s_or_b64 exec, exec, s[0:1]
                                        ; implicit-def: $vgpr10_vgpr11
	s_and_saveexec_b64 s[0:1], s[8:9]
	s_cbranch_execnz .LBB155_80
.LBB155_87:
	s_or_b64 exec, exec, s[0:1]
                                        ; implicit-def: $vgpr12_vgpr13
	s_and_saveexec_b64 s[0:1], s[10:11]
	s_cbranch_execz .LBB155_81
.LBB155_88:
	global_load_dwordx2 v[12:13], v[18:19], off offset:2560
	s_or_b64 exec, exec, s[0:1]
                                        ; implicit-def: $vgpr14_vgpr15
	s_and_saveexec_b64 s[0:1], s[12:13]
	s_cbranch_execnz .LBB155_82
.LBB155_89:
	s_or_b64 exec, exec, s[0:1]
                                        ; implicit-def: $vgpr16_vgpr17
	s_and_saveexec_b64 s[0:1], s[14:15]
	s_cbranch_execz .LBB155_91
.LBB155_90:
	global_load_dwordx2 v[16:17], v[18:19], off offset:3584
.LBB155_91:
	s_or_b64 exec, exec, s[0:1]
	s_mov_b32 s6, 0
	s_movk_i32 s7, 0x800
	v_mov_b32_e32 v19, 0
	s_movk_i32 s8, 0x400
	s_mov_b32 s9, 0
	v_mov_b32_e32 v20, v2
	s_waitcnt vmcnt(0)
	s_branch .LBB155_93
.LBB155_92:                             ;   in Loop: Header=BB155_93 Depth=1
	s_or_b64 exec, exec, s[0:1]
	s_addk_i32 s9, 0xc000
	s_addk_i32 s6, 0xf800
	v_add_u32_e32 v20, 0x800, v20
	s_cmp_eq_u32 s9, 0xffff0000
	v_add_u32_e32 v25, 8, v25
	s_barrier
	s_cbranch_scc1 .LBB155_113
.LBB155_93:                             ; =>This Inner Loop Header: Depth=1
	v_add_u32_e32 v18, s6, v24
	v_cmp_gt_u32_e32 vcc, s7, v18
	s_and_saveexec_b64 s[0:1], vcc
; %bb.94:                               ;   in Loop: Header=BB155_93 Depth=1
	v_add_u32_e32 v18, s9, v32
	ds_write_b64 v18, v[0:1]
; %bb.95:                               ;   in Loop: Header=BB155_93 Depth=1
	s_or_b64 exec, exec, s[0:1]
	v_add_u32_e32 v18, s6, v31
	v_cmp_gt_u32_e32 vcc, s7, v18
	s_and_saveexec_b64 s[0:1], vcc
; %bb.96:                               ;   in Loop: Header=BB155_93 Depth=1
	v_add_u32_e32 v18, s9, v35
	ds_write_b64 v18, v[4:5]
; %bb.97:                               ;   in Loop: Header=BB155_93 Depth=1
	s_or_b64 exec, exec, s[0:1]
	;; [unrolled: 8-line block ×3, first 2 shown]
	v_add_u32_e32 v18, s6, v36
	v_cmp_gt_u32_e32 vcc, s7, v18
	s_and_saveexec_b64 s[0:1], vcc
; %bb.100:                              ;   in Loop: Header=BB155_93 Depth=1
	v_add_u32_e32 v18, s9, v42
	ds_write_b64 v18, v[8:9]
; %bb.101:                              ;   in Loop: Header=BB155_93 Depth=1
	s_or_b64 exec, exec, s[0:1]
	v_add_u32_e32 v18, s6, v40
	v_cmp_gt_u32_e32 vcc, s7, v18
	s_and_saveexec_b64 s[0:1], vcc
; %bb.102:                              ;   in Loop: Header=BB155_93 Depth=1
	v_add_u32_e32 v18, s9, v45
	ds_write_b64 v18, v[10:11]
; %bb.103:                              ;   in Loop: Header=BB155_93 Depth=1
	s_or_b64 exec, exec, s[0:1]
	;; [unrolled: 8-line block ×5, first 2 shown]
	v_cmp_gt_u32_e32 vcc, s5, v20
	s_waitcnt lgkmcnt(0)
	s_barrier
	s_and_saveexec_b64 s[0:1], vcc
	s_cbranch_execz .LBB155_111
; %bb.110:                              ;   in Loop: Header=BB155_93 Depth=1
	ds_read_b32 v18, v25
	s_waitcnt lgkmcnt(0)
	v_lshlrev_b32_e32 v18, 2, v18
	ds_read_b32 v18, v18
	ds_read_b64 v[22:23], v47 offset:1024
	s_waitcnt lgkmcnt(1)
	v_add_u32_e32 v18, v20, v18
	v_lshl_add_u64 v[48:49], v[18:19], 3, s[42:43]
	s_waitcnt lgkmcnt(0)
	global_store_dwordx2 v[48:49], v[22:23], off
.LBB155_111:                            ;   in Loop: Header=BB155_93 Depth=1
	s_or_b64 exec, exec, s[0:1]
	v_add_u32_e32 v18, 0x400, v20
	v_cmp_gt_u32_e32 vcc, s5, v18
	s_and_saveexec_b64 s[0:1], vcc
	s_cbranch_execz .LBB155_92
; %bb.112:                              ;   in Loop: Header=BB155_93 Depth=1
	ds_read_b32 v18, v25 offset:4
	s_waitcnt lgkmcnt(0)
	v_lshlrev_b32_e32 v18, 2, v18
	ds_read_b32 v18, v18
	ds_read_b64 v[22:23], v47 offset:9216
	s_waitcnt lgkmcnt(1)
	v_add3_u32 v18, v20, v18, s8
	v_lshl_add_u64 v[48:49], v[18:19], 3, s[42:43]
	s_waitcnt lgkmcnt(0)
	global_store_dwordx2 v[48:49], v[22:23], off
	s_branch .LBB155_92
.LBB155_113:
	s_add_i32 s33, s33, -1
	s_cmp_eq_u32 s4, s33
	s_cselect_b64 s[0:1], -1, 0
	s_xor_b64 s[6:7], s[18:19], -1
	s_and_b64 s[6:7], s[6:7], s[0:1]
	s_and_saveexec_b64 s[0:1], s[6:7]
	s_cbranch_execz .LBB155_115
; %bb.114:
	ds_read_b32 v0, v39
	s_waitcnt lgkmcnt(0)
	v_add3_u32 v0, v34, v37, v0
	global_store_dword v39, v0, s[46:47]
.LBB155_115:
	s_or_b64 exec, exec, s[0:1]
	s_mov_b64 s[6:7], 0
.LBB155_116:
	s_and_b64 vcc, exec, s[6:7]
	s_cbranch_vccz .LBB155_191
; %bb.117:
	s_lshl_b32 s0, s4, 13
	s_mov_b32 s1, 0
	s_lshl_b64 s[10:11], s[0:1], 3
	v_mbcnt_hi_u32_b32 v26, -1, v30
	s_add_u32 s0, s36, s10
	v_and_b32_e32 v0, 63, v26
	v_mov_b32_e32 v11, 0
	s_addc_u32 s1, s37, s11
	v_lshlrev_b32_e32 v0, 3, v0
	v_mov_b32_e32 v1, v11
	v_lshl_add_u64 v[6:7], s[0:1], 0, v[0:1]
	s_load_dword s5, s[2:3], 0x58
	s_load_dword s0, s[2:3], 0x64
	v_and_b32_e32 v4, 0x1e00, v29
	v_lshlrev_b32_e32 v4, 3, v4
	v_mov_b32_e32 v5, v11
	v_lshl_add_u64 v[6:7], v[6:7], 0, v[4:5]
	global_load_dwordx2 v[24:25], v[6:7], off
	s_add_u32 s1, s2, 0x58
	s_addc_u32 s2, s3, 0
	s_waitcnt lgkmcnt(0)
	s_lshr_b32 s3, s0, 16
	s_cmp_lt_u32 s4, s5
	s_cselect_b32 s0, 12, 18
	s_add_u32 s0, s1, s0
	s_addc_u32 s1, s2, 0
	global_load_ushort v10, v11, s[0:1]
	v_mul_u32_u24_e32 v1, 20, v2
	ds_write2_b32 v1, v11, v11 offset0:16 offset1:17
	ds_write2_b32 v1, v11, v11 offset0:18 offset1:19
	ds_write_b32 v1, v11 offset:80
	global_load_dwordx2 v[8:9], v[6:7], off offset:512
	global_load_dwordx2 v[22:23], v[6:7], off offset:1024
	;; [unrolled: 1-line block ×7, first 2 shown]
	v_bfrev_b32_e32 v5, 1
	s_mov_b32 s12, -1
	s_brev_b32 s13, -2
	v_mad_u32_u24 v3, v28, s3, v3
	s_lshl_b32 s2, -1, s49
	s_movk_i32 s15, 0x44
	v_mov_b32_e32 v30, v11
	v_mov_b32_e32 v34, v11
	s_not_b32 s14, s2
	v_mov_b32_e32 v36, v11
	v_mov_b32_e32 v38, v11
	s_waitcnt lgkmcnt(0)
	s_barrier
	s_waitcnt vmcnt(8)
	; wave barrier
	v_cmp_lt_i64_e32 vcc, -1, v[24:25]
	s_nop 1
	v_cndmask_b32_e32 v6, -1, v5, vcc
	v_ashrrev_i32_e32 v27, 31, v25
	v_xor_b32_e32 v7, v6, v25
	v_xor_b32_e32 v6, v27, v24
	v_cmp_ne_u64_e32 vcc, s[12:13], v[6:7]
	s_waitcnt vmcnt(7)
	v_mad_u64_u32 v[28:29], s[0:1], v3, v10, v[2:3]
	v_cndmask_b32_e32 v25, v5, v7, vcc
	v_cndmask_b32_e32 v24, 0, v6, vcc
	v_lshrrev_b64 v[24:25], s48, v[24:25]
	v_bitop3_b32 v3, v24, s2, v24 bitop3:0x30
	v_lshrrev_b32_e32 v33, 6, v28
	v_mul_lo_u32 v24, v3, s15
	v_and_b32_e32 v10, 1, v3
	v_lshlrev_b32_e32 v31, 30, v3
	v_lshlrev_b32_e32 v35, 29, v3
	v_lshl_add_u32 v27, v33, 2, v24
	v_lshl_add_u64 v[24:25], v[10:11], 0, -1
	v_cmp_ne_u32_e32 vcc, 0, v10
	v_not_b32_e32 v10, v31
	v_cmp_gt_i64_e64 s[0:1], 0, v[30:31]
	v_not_b32_e32 v28, v35
	v_xor_b32_e32 v25, vcc_hi, v25
	v_ashrrev_i32_e32 v10, 31, v10
	v_lshlrev_b32_e32 v37, 28, v3
	v_cmp_gt_i64_e64 s[2:3], 0, v[34:35]
	v_xor_b32_e32 v24, vcc_lo, v24
	v_ashrrev_i32_e32 v28, 31, v28
	v_and_b32_e32 v25, exec_hi, v25
	v_xor_b32_e32 v30, s1, v10
	v_lshlrev_b32_e32 v39, 27, v3
	v_not_b32_e32 v29, v37
	v_and_b32_e32 v24, exec_lo, v24
	v_xor_b32_e32 v10, s0, v10
	v_xor_b32_e32 v31, s3, v28
	v_and_b32_e32 v25, v25, v30
	v_cmp_gt_i64_e64 s[6:7], 0, v[36:37]
	v_ashrrev_i32_e32 v29, 31, v29
	v_xor_b32_e32 v28, s2, v28
	v_and_b32_e32 v10, v24, v10
	v_and_b32_e32 v24, v25, v31
	v_not_b32_e32 v25, v39
	v_cmp_gt_i64_e64 s[8:9], 0, v[38:39]
	v_xor_b32_e32 v32, s7, v29
	v_xor_b32_e32 v29, s6, v29
	v_and_b32_e32 v10, v10, v28
	v_ashrrev_i32_e32 v25, 31, v25
	v_and_b32_e32 v24, v24, v32
	v_and_b32_e32 v10, v10, v29
	v_xor_b32_e32 v28, s9, v25
	v_xor_b32_e32 v25, s8, v25
	v_and_b32_e32 v28, v24, v28
	v_and_b32_e32 v10, v10, v25
	v_lshlrev_b32_e32 v25, 26, v3
	v_mov_b32_e32 v24, v11
	v_cmp_gt_i64_e32 vcc, 0, v[24:25]
	v_not_b32_e32 v24, v25
	v_ashrrev_i32_e32 v24, 31, v24
	v_xor_b32_e32 v25, vcc_hi, v24
	v_xor_b32_e32 v24, vcc_lo, v24
	v_and_b32_e32 v28, v28, v25
	v_and_b32_e32 v10, v10, v24
	v_lshlrev_b32_e32 v25, 25, v3
	v_mov_b32_e32 v24, v11
	v_cmp_gt_i64_e32 vcc, 0, v[24:25]
	v_not_b32_e32 v24, v25
	v_ashrrev_i32_e32 v24, 31, v24
	v_xor_b32_e32 v25, vcc_hi, v24
	v_xor_b32_e32 v24, vcc_lo, v24
	v_and_b32_e32 v28, v28, v25
	v_lshlrev_b32_e32 v25, 24, v3
	v_and_b32_e32 v10, v10, v24
	v_mov_b32_e32 v24, v11
	v_not_b32_e32 v3, v25
	v_cmp_gt_i64_e32 vcc, 0, v[24:25]
	v_ashrrev_i32_e32 v3, 31, v3
	s_nop 0
	v_xor_b32_e32 v24, vcc_hi, v3
	v_xor_b32_e32 v3, vcc_lo, v3
	v_and_b32_e32 v25, v28, v24
	v_and_b32_e32 v24, v10, v3
	v_mbcnt_lo_u32_b32 v3, v24, 0
	v_mbcnt_hi_u32_b32 v3, v25, v3
	v_cmp_eq_u32_e32 vcc, 0, v3
	v_cmp_ne_u64_e64 s[0:1], 0, v[24:25]
	s_and_b64 s[2:3], s[0:1], vcc
	s_and_saveexec_b64 s[0:1], s[2:3]
; %bb.118:
	v_bcnt_u32_b32 v10, v24, 0
	v_bcnt_u32_b32 v10, v25, v10
	ds_write_b32 v27, v10 offset:64
; %bb.119:
	s_or_b64 exec, exec, s[0:1]
	s_waitcnt vmcnt(6)
	v_cmp_lt_i64_e32 vcc, -1, v[8:9]
	v_ashrrev_i32_e32 v24, 31, v9
	v_xor_b32_e32 v8, v24, v8
	v_cndmask_b32_e32 v10, -1, v5, vcc
	v_xor_b32_e32 v9, v10, v9
	v_cmp_ne_u64_e32 vcc, s[12:13], v[8:9]
	; wave barrier
	s_nop 1
	v_cndmask_b32_e32 v25, v5, v9, vcc
	v_cndmask_b32_e32 v24, 0, v8, vcc
	v_lshrrev_b64 v[24:25], s48, v[24:25]
	v_and_b32_e32 v28, s14, v24
	v_and_b32_e32 v10, 1, v28
	v_lshl_add_u64 v[24:25], v[10:11], 0, -1
	v_cmp_ne_u32_e32 vcc, 0, v10
	v_mul_lo_u32 v5, v28, s15
	v_lshl_add_u32 v30, v33, 2, v5
	v_xor_b32_e32 v24, vcc_lo, v24
	v_xor_b32_e32 v10, vcc_hi, v25
	v_and_b32_e32 v29, exec_lo, v24
	v_lshlrev_b32_e32 v25, 30, v28
	v_mov_b32_e32 v24, v11
	v_cmp_gt_i64_e32 vcc, 0, v[24:25]
	v_not_b32_e32 v24, v25
	v_ashrrev_i32_e32 v24, 31, v24
	v_and_b32_e32 v10, exec_hi, v10
	v_xor_b32_e32 v25, vcc_hi, v24
	v_xor_b32_e32 v24, vcc_lo, v24
	v_and_b32_e32 v10, v10, v25
	v_and_b32_e32 v29, v29, v24
	v_lshlrev_b32_e32 v25, 29, v28
	v_mov_b32_e32 v24, v11
	v_cmp_gt_i64_e32 vcc, 0, v[24:25]
	v_not_b32_e32 v24, v25
	v_ashrrev_i32_e32 v24, 31, v24
	v_xor_b32_e32 v25, vcc_hi, v24
	v_xor_b32_e32 v24, vcc_lo, v24
	v_and_b32_e32 v10, v10, v25
	v_and_b32_e32 v29, v29, v24
	v_lshlrev_b32_e32 v25, 28, v28
	v_mov_b32_e32 v24, v11
	v_cmp_gt_i64_e32 vcc, 0, v[24:25]
	v_not_b32_e32 v24, v25
	v_ashrrev_i32_e32 v24, 31, v24
	v_xor_b32_e32 v25, vcc_hi, v24
	v_xor_b32_e32 v24, vcc_lo, v24
	v_and_b32_e32 v10, v10, v25
	v_and_b32_e32 v29, v29, v24
	v_lshlrev_b32_e32 v25, 27, v28
	v_mov_b32_e32 v24, v11
	v_cmp_gt_i64_e32 vcc, 0, v[24:25]
	v_not_b32_e32 v24, v25
	v_ashrrev_i32_e32 v24, 31, v24
	v_xor_b32_e32 v25, vcc_hi, v24
	v_xor_b32_e32 v24, vcc_lo, v24
	v_and_b32_e32 v10, v10, v25
	v_and_b32_e32 v29, v29, v24
	v_lshlrev_b32_e32 v25, 26, v28
	v_mov_b32_e32 v24, v11
	v_cmp_gt_i64_e32 vcc, 0, v[24:25]
	v_not_b32_e32 v24, v25
	v_ashrrev_i32_e32 v24, 31, v24
	v_xor_b32_e32 v25, vcc_hi, v24
	v_xor_b32_e32 v24, vcc_lo, v24
	v_and_b32_e32 v10, v10, v25
	v_and_b32_e32 v29, v29, v24
	v_lshlrev_b32_e32 v25, 25, v28
	v_mov_b32_e32 v24, v11
	v_cmp_gt_i64_e32 vcc, 0, v[24:25]
	v_not_b32_e32 v24, v25
	v_ashrrev_i32_e32 v24, 31, v24
	v_xor_b32_e32 v25, vcc_hi, v24
	v_xor_b32_e32 v24, vcc_lo, v24
	v_and_b32_e32 v10, v10, v25
	v_lshlrev_b32_e32 v25, 24, v28
	v_and_b32_e32 v29, v29, v24
	v_mov_b32_e32 v24, v11
	v_not_b32_e32 v11, v25
	v_cmp_gt_i64_e32 vcc, 0, v[24:25]
	v_ashrrev_i32_e32 v11, 31, v11
	ds_read_b32 v5, v30 offset:64
	v_xor_b32_e32 v24, vcc_hi, v11
	v_xor_b32_e32 v25, vcc_lo, v11
	v_and_b32_e32 v11, v10, v24
	v_and_b32_e32 v10, v29, v25
	v_mbcnt_lo_u32_b32 v24, v10, 0
	v_mbcnt_hi_u32_b32 v28, v11, v24
	v_cmp_eq_u32_e32 vcc, 0, v28
	v_cmp_ne_u64_e64 s[0:1], 0, v[10:11]
	s_and_b64 s[2:3], s[0:1], vcc
	; wave barrier
	s_and_saveexec_b64 s[0:1], s[2:3]
	s_cbranch_execz .LBB155_121
; %bb.120:
	v_bcnt_u32_b32 v10, v10, 0
	v_bcnt_u32_b32 v10, v11, v10
	s_waitcnt lgkmcnt(0)
	v_add_u32_e32 v10, v5, v10
	ds_write_b32 v30, v10 offset:64
.LBB155_121:
	s_or_b64 exec, exec, s[0:1]
	v_bfrev_b32_e32 v32, 1
	s_waitcnt vmcnt(5)
	v_cmp_lt_i64_e32 vcc, -1, v[22:23]
	s_mov_b32 s2, -1
	v_ashrrev_i32_e32 v24, 31, v23
	v_cndmask_b32_e32 v10, -1, v32, vcc
	s_brev_b32 s3, -2
	v_xor_b32_e32 v11, v10, v23
	v_xor_b32_e32 v10, v24, v22
	v_cmp_ne_u64_e32 vcc, s[2:3], v[10:11]
	s_movk_i32 s6, 0x44
	s_nop 0
	v_cndmask_b32_e32 v23, v32, v11, vcc
	v_cndmask_b32_e32 v22, 0, v10, vcc
	v_lshrrev_b64 v[22:23], s48, v[22:23]
	v_and_b32_e32 v31, s14, v22
	v_mul_lo_u32 v22, v31, s6
	v_lshl_add_u32 v34, v33, 2, v22
	v_and_b32_e32 v22, 1, v31
	v_mov_b32_e32 v23, 0
	v_lshl_add_u64 v[24:25], v[22:23], 0, -1
	v_cmp_ne_u32_e32 vcc, 0, v22
	; wave barrier
	ds_read_b32 v29, v34 offset:64
	s_nop 0
	v_xor_b32_e32 v24, vcc_lo, v24
	v_xor_b32_e32 v22, vcc_hi, v25
	v_and_b32_e32 v35, exec_lo, v24
	v_lshlrev_b32_e32 v25, 30, v31
	v_mov_b32_e32 v24, v23
	v_cmp_gt_i64_e32 vcc, 0, v[24:25]
	v_not_b32_e32 v24, v25
	v_ashrrev_i32_e32 v24, 31, v24
	v_and_b32_e32 v22, exec_hi, v22
	v_xor_b32_e32 v25, vcc_hi, v24
	v_xor_b32_e32 v24, vcc_lo, v24
	v_and_b32_e32 v22, v22, v25
	v_and_b32_e32 v35, v35, v24
	v_lshlrev_b32_e32 v25, 29, v31
	v_mov_b32_e32 v24, v23
	v_cmp_gt_i64_e32 vcc, 0, v[24:25]
	v_not_b32_e32 v24, v25
	v_ashrrev_i32_e32 v24, 31, v24
	v_xor_b32_e32 v25, vcc_hi, v24
	v_xor_b32_e32 v24, vcc_lo, v24
	v_and_b32_e32 v22, v22, v25
	v_and_b32_e32 v35, v35, v24
	v_lshlrev_b32_e32 v25, 28, v31
	v_mov_b32_e32 v24, v23
	v_cmp_gt_i64_e32 vcc, 0, v[24:25]
	v_not_b32_e32 v24, v25
	v_ashrrev_i32_e32 v24, 31, v24
	v_xor_b32_e32 v25, vcc_hi, v24
	v_xor_b32_e32 v24, vcc_lo, v24
	v_and_b32_e32 v22, v22, v25
	v_and_b32_e32 v35, v35, v24
	v_lshlrev_b32_e32 v25, 27, v31
	v_mov_b32_e32 v24, v23
	v_cmp_gt_i64_e32 vcc, 0, v[24:25]
	v_not_b32_e32 v24, v25
	v_ashrrev_i32_e32 v24, 31, v24
	v_xor_b32_e32 v25, vcc_hi, v24
	v_xor_b32_e32 v24, vcc_lo, v24
	v_and_b32_e32 v22, v22, v25
	v_and_b32_e32 v35, v35, v24
	v_lshlrev_b32_e32 v25, 26, v31
	v_mov_b32_e32 v24, v23
	v_cmp_gt_i64_e32 vcc, 0, v[24:25]
	v_not_b32_e32 v24, v25
	v_ashrrev_i32_e32 v24, 31, v24
	v_xor_b32_e32 v25, vcc_hi, v24
	v_xor_b32_e32 v24, vcc_lo, v24
	v_and_b32_e32 v22, v22, v25
	v_and_b32_e32 v35, v35, v24
	v_lshlrev_b32_e32 v25, 25, v31
	v_mov_b32_e32 v24, v23
	v_cmp_gt_i64_e32 vcc, 0, v[24:25]
	v_not_b32_e32 v24, v25
	v_ashrrev_i32_e32 v24, 31, v24
	v_xor_b32_e32 v25, vcc_hi, v24
	v_xor_b32_e32 v24, vcc_lo, v24
	v_and_b32_e32 v22, v22, v25
	v_and_b32_e32 v35, v35, v24
	v_lshlrev_b32_e32 v25, 24, v31
	v_mov_b32_e32 v24, v23
	v_cmp_gt_i64_e32 vcc, 0, v[24:25]
	v_not_b32_e32 v24, v25
	v_ashrrev_i32_e32 v24, 31, v24
	v_xor_b32_e32 v25, vcc_hi, v24
	v_xor_b32_e32 v24, vcc_lo, v24
	v_and_b32_e32 v24, v35, v24
	v_and_b32_e32 v25, v22, v25
	v_mbcnt_lo_u32_b32 v22, v24, 0
	v_mbcnt_hi_u32_b32 v31, v25, v22
	v_cmp_eq_u32_e32 vcc, 0, v31
	v_cmp_ne_u64_e64 s[0:1], 0, v[24:25]
	s_and_b64 s[8:9], s[0:1], vcc
	; wave barrier
	s_and_saveexec_b64 s[0:1], s[8:9]
	s_cbranch_execz .LBB155_123
; %bb.122:
	v_bcnt_u32_b32 v22, v24, 0
	v_bcnt_u32_b32 v22, v25, v22
	s_waitcnt lgkmcnt(0)
	v_add_u32_e32 v22, v29, v22
	ds_write_b32 v34, v22 offset:64
.LBB155_123:
	s_or_b64 exec, exec, s[0:1]
	s_waitcnt vmcnt(4)
	v_cmp_lt_i64_e32 vcc, -1, v[12:13]
	v_ashrrev_i32_e32 v24, 31, v13
	v_xor_b32_e32 v12, v24, v12
	v_cndmask_b32_e32 v22, -1, v32, vcc
	v_xor_b32_e32 v13, v22, v13
	v_cmp_ne_u64_e32 vcc, s[2:3], v[12:13]
	; wave barrier
	s_nop 1
	v_cndmask_b32_e32 v25, v32, v13, vcc
	v_cndmask_b32_e32 v24, 0, v12, vcc
	v_lshrrev_b64 v[24:25], s48, v[24:25]
	v_and_b32_e32 v35, s14, v24
	v_mul_lo_u32 v22, v35, s6
	v_lshl_add_u32 v37, v33, 2, v22
	v_and_b32_e32 v22, 1, v35
	v_lshl_add_u64 v[24:25], v[22:23], 0, -1
	v_cmp_ne_u32_e32 vcc, 0, v22
	ds_read_b32 v32, v37 offset:64
	s_nop 0
	v_xor_b32_e32 v24, vcc_lo, v24
	v_xor_b32_e32 v22, vcc_hi, v25
	v_and_b32_e32 v36, exec_lo, v24
	v_lshlrev_b32_e32 v25, 30, v35
	v_mov_b32_e32 v24, v23
	v_cmp_gt_i64_e32 vcc, 0, v[24:25]
	v_not_b32_e32 v24, v25
	v_ashrrev_i32_e32 v24, 31, v24
	v_and_b32_e32 v22, exec_hi, v22
	v_xor_b32_e32 v25, vcc_hi, v24
	v_xor_b32_e32 v24, vcc_lo, v24
	v_and_b32_e32 v22, v22, v25
	v_and_b32_e32 v36, v36, v24
	v_lshlrev_b32_e32 v25, 29, v35
	v_mov_b32_e32 v24, v23
	v_cmp_gt_i64_e32 vcc, 0, v[24:25]
	v_not_b32_e32 v24, v25
	v_ashrrev_i32_e32 v24, 31, v24
	v_xor_b32_e32 v25, vcc_hi, v24
	v_xor_b32_e32 v24, vcc_lo, v24
	v_and_b32_e32 v22, v22, v25
	v_and_b32_e32 v36, v36, v24
	v_lshlrev_b32_e32 v25, 28, v35
	v_mov_b32_e32 v24, v23
	v_cmp_gt_i64_e32 vcc, 0, v[24:25]
	v_not_b32_e32 v24, v25
	v_ashrrev_i32_e32 v24, 31, v24
	v_xor_b32_e32 v25, vcc_hi, v24
	v_xor_b32_e32 v24, vcc_lo, v24
	v_and_b32_e32 v22, v22, v25
	v_and_b32_e32 v36, v36, v24
	v_lshlrev_b32_e32 v25, 27, v35
	v_mov_b32_e32 v24, v23
	v_cmp_gt_i64_e32 vcc, 0, v[24:25]
	v_not_b32_e32 v24, v25
	v_ashrrev_i32_e32 v24, 31, v24
	v_xor_b32_e32 v25, vcc_hi, v24
	v_xor_b32_e32 v24, vcc_lo, v24
	v_and_b32_e32 v22, v22, v25
	v_and_b32_e32 v36, v36, v24
	v_lshlrev_b32_e32 v25, 26, v35
	v_mov_b32_e32 v24, v23
	v_cmp_gt_i64_e32 vcc, 0, v[24:25]
	v_not_b32_e32 v24, v25
	v_ashrrev_i32_e32 v24, 31, v24
	v_xor_b32_e32 v25, vcc_hi, v24
	v_xor_b32_e32 v24, vcc_lo, v24
	v_and_b32_e32 v22, v22, v25
	v_and_b32_e32 v36, v36, v24
	v_lshlrev_b32_e32 v25, 25, v35
	v_mov_b32_e32 v24, v23
	v_cmp_gt_i64_e32 vcc, 0, v[24:25]
	v_not_b32_e32 v24, v25
	v_ashrrev_i32_e32 v24, 31, v24
	v_xor_b32_e32 v25, vcc_hi, v24
	v_xor_b32_e32 v24, vcc_lo, v24
	v_and_b32_e32 v22, v22, v25
	v_lshlrev_b32_e32 v25, 24, v35
	v_and_b32_e32 v36, v36, v24
	v_mov_b32_e32 v24, v23
	v_not_b32_e32 v23, v25
	v_cmp_gt_i64_e32 vcc, 0, v[24:25]
	v_ashrrev_i32_e32 v23, 31, v23
	; wave barrier
	s_nop 0
	v_xor_b32_e32 v24, vcc_hi, v23
	v_xor_b32_e32 v25, vcc_lo, v23
	v_and_b32_e32 v23, v22, v24
	v_and_b32_e32 v22, v36, v25
	v_mbcnt_lo_u32_b32 v24, v22, 0
	v_mbcnt_hi_u32_b32 v35, v23, v24
	v_cmp_eq_u32_e32 vcc, 0, v35
	v_cmp_ne_u64_e64 s[0:1], 0, v[22:23]
	s_and_b64 s[2:3], s[0:1], vcc
	s_and_saveexec_b64 s[0:1], s[2:3]
	s_cbranch_execz .LBB155_125
; %bb.124:
	v_bcnt_u32_b32 v22, v22, 0
	v_bcnt_u32_b32 v22, v23, v22
	s_waitcnt lgkmcnt(0)
	v_add_u32_e32 v22, v32, v22
	ds_write_b32 v37, v22 offset:64
.LBB155_125:
	s_or_b64 exec, exec, s[0:1]
	v_bfrev_b32_e32 v39, 1
	s_waitcnt vmcnt(3)
	v_cmp_lt_i64_e32 vcc, -1, v[14:15]
	s_mov_b32 s2, -1
	v_ashrrev_i32_e32 v23, 31, v15
	v_cndmask_b32_e32 v22, -1, v39, vcc
	s_brev_b32 s3, -2
	v_xor_b32_e32 v15, v22, v15
	v_xor_b32_e32 v14, v23, v14
	v_cmp_ne_u64_e32 vcc, s[2:3], v[14:15]
	; wave barrier
	s_nop 1
	v_cndmask_b32_e32 v23, v39, v15, vcc
	v_cndmask_b32_e32 v22, 0, v14, vcc
	v_lshrrev_b64 v[22:23], s48, v[22:23]
	v_and_b32_e32 v38, s14, v22
	v_mul_lo_u32 v22, v38, s6
	v_lshl_add_u32 v40, v33, 2, v22
	v_and_b32_e32 v22, 1, v38
	v_mov_b32_e32 v23, 0
	v_lshl_add_u64 v[24:25], v[22:23], 0, -1
	v_cmp_ne_u32_e32 vcc, 0, v22
	ds_read_b32 v36, v40 offset:64
	s_nop 0
	v_xor_b32_e32 v24, vcc_lo, v24
	v_xor_b32_e32 v22, vcc_hi, v25
	v_and_b32_e32 v41, exec_lo, v24
	v_lshlrev_b32_e32 v25, 30, v38
	v_mov_b32_e32 v24, v23
	v_cmp_gt_i64_e32 vcc, 0, v[24:25]
	v_not_b32_e32 v24, v25
	v_ashrrev_i32_e32 v24, 31, v24
	v_and_b32_e32 v22, exec_hi, v22
	v_xor_b32_e32 v25, vcc_hi, v24
	v_xor_b32_e32 v24, vcc_lo, v24
	v_and_b32_e32 v22, v22, v25
	v_and_b32_e32 v41, v41, v24
	v_lshlrev_b32_e32 v25, 29, v38
	v_mov_b32_e32 v24, v23
	v_cmp_gt_i64_e32 vcc, 0, v[24:25]
	v_not_b32_e32 v24, v25
	v_ashrrev_i32_e32 v24, 31, v24
	v_xor_b32_e32 v25, vcc_hi, v24
	v_xor_b32_e32 v24, vcc_lo, v24
	v_and_b32_e32 v22, v22, v25
	v_and_b32_e32 v41, v41, v24
	v_lshlrev_b32_e32 v25, 28, v38
	v_mov_b32_e32 v24, v23
	v_cmp_gt_i64_e32 vcc, 0, v[24:25]
	v_not_b32_e32 v24, v25
	v_ashrrev_i32_e32 v24, 31, v24
	;; [unrolled: 9-line block ×6, first 2 shown]
	v_xor_b32_e32 v25, vcc_hi, v24
	v_xor_b32_e32 v24, vcc_lo, v24
	v_and_b32_e32 v24, v41, v24
	v_and_b32_e32 v25, v22, v25
	v_mbcnt_lo_u32_b32 v22, v24, 0
	v_mbcnt_hi_u32_b32 v38, v25, v22
	v_cmp_eq_u32_e32 vcc, 0, v38
	v_cmp_ne_u64_e64 s[0:1], 0, v[24:25]
	s_and_b64 s[8:9], s[0:1], vcc
	; wave barrier
	s_and_saveexec_b64 s[0:1], s[8:9]
	s_cbranch_execz .LBB155_127
; %bb.126:
	v_bcnt_u32_b32 v22, v24, 0
	v_bcnt_u32_b32 v22, v25, v22
	s_waitcnt lgkmcnt(0)
	v_add_u32_e32 v22, v36, v22
	ds_write_b32 v40, v22 offset:64
.LBB155_127:
	s_or_b64 exec, exec, s[0:1]
	s_waitcnt vmcnt(2)
	v_cmp_lt_i64_e32 vcc, -1, v[18:19]
	v_ashrrev_i32_e32 v24, 31, v19
	v_xor_b32_e32 v18, v24, v18
	v_cndmask_b32_e32 v22, -1, v39, vcc
	v_xor_b32_e32 v19, v22, v19
	v_cmp_ne_u64_e32 vcc, s[2:3], v[18:19]
	; wave barrier
	s_nop 1
	v_cndmask_b32_e32 v25, v39, v19, vcc
	v_cndmask_b32_e32 v24, 0, v18, vcc
	v_lshrrev_b64 v[24:25], s48, v[24:25]
	v_and_b32_e32 v41, s14, v24
	v_mul_lo_u32 v22, v41, s6
	v_lshl_add_u32 v43, v33, 2, v22
	v_and_b32_e32 v22, 1, v41
	v_lshl_add_u64 v[24:25], v[22:23], 0, -1
	v_cmp_ne_u32_e32 vcc, 0, v22
	ds_read_b32 v39, v43 offset:64
	s_nop 0
	v_xor_b32_e32 v24, vcc_lo, v24
	v_xor_b32_e32 v22, vcc_hi, v25
	v_and_b32_e32 v42, exec_lo, v24
	v_lshlrev_b32_e32 v25, 30, v41
	v_mov_b32_e32 v24, v23
	v_cmp_gt_i64_e32 vcc, 0, v[24:25]
	v_not_b32_e32 v24, v25
	v_ashrrev_i32_e32 v24, 31, v24
	v_and_b32_e32 v22, exec_hi, v22
	v_xor_b32_e32 v25, vcc_hi, v24
	v_xor_b32_e32 v24, vcc_lo, v24
	v_and_b32_e32 v22, v22, v25
	v_and_b32_e32 v42, v42, v24
	v_lshlrev_b32_e32 v25, 29, v41
	v_mov_b32_e32 v24, v23
	v_cmp_gt_i64_e32 vcc, 0, v[24:25]
	v_not_b32_e32 v24, v25
	v_ashrrev_i32_e32 v24, 31, v24
	v_xor_b32_e32 v25, vcc_hi, v24
	v_xor_b32_e32 v24, vcc_lo, v24
	v_and_b32_e32 v22, v22, v25
	v_and_b32_e32 v42, v42, v24
	v_lshlrev_b32_e32 v25, 28, v41
	v_mov_b32_e32 v24, v23
	v_cmp_gt_i64_e32 vcc, 0, v[24:25]
	v_not_b32_e32 v24, v25
	v_ashrrev_i32_e32 v24, 31, v24
	;; [unrolled: 9-line block ×5, first 2 shown]
	v_xor_b32_e32 v25, vcc_hi, v24
	v_xor_b32_e32 v24, vcc_lo, v24
	v_and_b32_e32 v22, v22, v25
	v_lshlrev_b32_e32 v25, 24, v41
	v_and_b32_e32 v42, v42, v24
	v_mov_b32_e32 v24, v23
	v_not_b32_e32 v23, v25
	v_cmp_gt_i64_e32 vcc, 0, v[24:25]
	v_ashrrev_i32_e32 v23, 31, v23
	; wave barrier
	s_nop 0
	v_xor_b32_e32 v24, vcc_hi, v23
	v_xor_b32_e32 v25, vcc_lo, v23
	v_and_b32_e32 v23, v22, v24
	v_and_b32_e32 v22, v42, v25
	v_mbcnt_lo_u32_b32 v24, v22, 0
	v_mbcnt_hi_u32_b32 v41, v23, v24
	v_cmp_eq_u32_e32 vcc, 0, v41
	v_cmp_ne_u64_e64 s[0:1], 0, v[22:23]
	s_and_b64 s[2:3], s[0:1], vcc
	s_and_saveexec_b64 s[0:1], s[2:3]
	s_cbranch_execz .LBB155_129
; %bb.128:
	v_bcnt_u32_b32 v22, v22, 0
	v_bcnt_u32_b32 v22, v23, v22
	s_waitcnt lgkmcnt(0)
	v_add_u32_e32 v22, v39, v22
	ds_write_b32 v43, v22 offset:64
.LBB155_129:
	s_or_b64 exec, exec, s[0:1]
	v_bfrev_b32_e32 v45, 1
	s_waitcnt vmcnt(1)
	v_cmp_lt_i64_e32 vcc, -1, v[20:21]
	s_mov_b32 s2, -1
	v_ashrrev_i32_e32 v23, 31, v21
	v_cndmask_b32_e32 v22, -1, v45, vcc
	s_brev_b32 s3, -2
	v_xor_b32_e32 v21, v22, v21
	v_xor_b32_e32 v20, v23, v20
	v_cmp_ne_u64_e32 vcc, s[2:3], v[20:21]
	; wave barrier
	s_nop 1
	v_cndmask_b32_e32 v23, v45, v21, vcc
	v_cndmask_b32_e32 v22, 0, v20, vcc
	v_lshrrev_b64 v[22:23], s48, v[22:23]
	v_and_b32_e32 v44, s14, v22
	v_mul_lo_u32 v22, v44, s6
	v_lshl_add_u32 v46, v33, 2, v22
	v_and_b32_e32 v22, 1, v44
	v_mov_b32_e32 v23, 0
	v_lshl_add_u64 v[24:25], v[22:23], 0, -1
	v_cmp_ne_u32_e32 vcc, 0, v22
	ds_read_b32 v42, v46 offset:64
	s_nop 0
	v_xor_b32_e32 v24, vcc_lo, v24
	v_xor_b32_e32 v22, vcc_hi, v25
	v_and_b32_e32 v47, exec_lo, v24
	v_lshlrev_b32_e32 v25, 30, v44
	v_mov_b32_e32 v24, v23
	v_cmp_gt_i64_e32 vcc, 0, v[24:25]
	v_not_b32_e32 v24, v25
	v_ashrrev_i32_e32 v24, 31, v24
	v_and_b32_e32 v22, exec_hi, v22
	v_xor_b32_e32 v25, vcc_hi, v24
	v_xor_b32_e32 v24, vcc_lo, v24
	v_and_b32_e32 v22, v22, v25
	v_and_b32_e32 v47, v47, v24
	v_lshlrev_b32_e32 v25, 29, v44
	v_mov_b32_e32 v24, v23
	v_cmp_gt_i64_e32 vcc, 0, v[24:25]
	v_not_b32_e32 v24, v25
	v_ashrrev_i32_e32 v24, 31, v24
	v_xor_b32_e32 v25, vcc_hi, v24
	v_xor_b32_e32 v24, vcc_lo, v24
	v_and_b32_e32 v22, v22, v25
	v_and_b32_e32 v47, v47, v24
	v_lshlrev_b32_e32 v25, 28, v44
	v_mov_b32_e32 v24, v23
	v_cmp_gt_i64_e32 vcc, 0, v[24:25]
	v_not_b32_e32 v24, v25
	v_ashrrev_i32_e32 v24, 31, v24
	;; [unrolled: 9-line block ×6, first 2 shown]
	v_xor_b32_e32 v25, vcc_hi, v24
	v_xor_b32_e32 v24, vcc_lo, v24
	v_and_b32_e32 v24, v47, v24
	v_and_b32_e32 v25, v22, v25
	v_mbcnt_lo_u32_b32 v22, v24, 0
	v_mbcnt_hi_u32_b32 v44, v25, v22
	v_cmp_eq_u32_e32 vcc, 0, v44
	v_cmp_ne_u64_e64 s[0:1], 0, v[24:25]
	s_and_b64 s[8:9], s[0:1], vcc
	; wave barrier
	s_and_saveexec_b64 s[0:1], s[8:9]
	s_cbranch_execz .LBB155_131
; %bb.130:
	v_bcnt_u32_b32 v22, v24, 0
	v_bcnt_u32_b32 v22, v25, v22
	s_waitcnt lgkmcnt(0)
	v_add_u32_e32 v22, v42, v22
	ds_write_b32 v46, v22 offset:64
.LBB155_131:
	s_or_b64 exec, exec, s[0:1]
	s_waitcnt vmcnt(0)
	v_cmp_lt_i64_e32 vcc, -1, v[16:17]
	v_ashrrev_i32_e32 v24, 31, v17
	v_xor_b32_e32 v16, v24, v16
	v_cndmask_b32_e32 v22, -1, v45, vcc
	v_xor_b32_e32 v17, v22, v17
	v_cmp_ne_u64_e32 vcc, s[2:3], v[16:17]
	; wave barrier
	s_nop 1
	v_cndmask_b32_e32 v25, v45, v17, vcc
	v_cndmask_b32_e32 v24, 0, v16, vcc
	v_lshrrev_b64 v[24:25], s48, v[24:25]
	v_and_b32_e32 v47, s14, v24
	v_mul_lo_u32 v22, v47, s6
	v_lshl_add_u32 v48, v33, 2, v22
	v_and_b32_e32 v22, 1, v47
	v_lshl_add_u64 v[24:25], v[22:23], 0, -1
	v_cmp_ne_u32_e32 vcc, 0, v22
	ds_read_b32 v45, v48 offset:64
	s_nop 0
	v_xor_b32_e32 v24, vcc_lo, v24
	v_xor_b32_e32 v22, vcc_hi, v25
	v_and_b32_e32 v33, exec_lo, v24
	v_lshlrev_b32_e32 v25, 30, v47
	v_mov_b32_e32 v24, v23
	v_cmp_gt_i64_e32 vcc, 0, v[24:25]
	v_not_b32_e32 v24, v25
	v_ashrrev_i32_e32 v24, 31, v24
	v_and_b32_e32 v22, exec_hi, v22
	v_xor_b32_e32 v25, vcc_hi, v24
	v_xor_b32_e32 v24, vcc_lo, v24
	v_and_b32_e32 v22, v22, v25
	v_and_b32_e32 v33, v33, v24
	v_lshlrev_b32_e32 v25, 29, v47
	v_mov_b32_e32 v24, v23
	v_cmp_gt_i64_e32 vcc, 0, v[24:25]
	v_not_b32_e32 v24, v25
	v_ashrrev_i32_e32 v24, 31, v24
	v_xor_b32_e32 v25, vcc_hi, v24
	v_xor_b32_e32 v24, vcc_lo, v24
	v_and_b32_e32 v22, v22, v25
	v_and_b32_e32 v33, v33, v24
	v_lshlrev_b32_e32 v25, 28, v47
	v_mov_b32_e32 v24, v23
	v_cmp_gt_i64_e32 vcc, 0, v[24:25]
	v_not_b32_e32 v24, v25
	v_ashrrev_i32_e32 v24, 31, v24
	;; [unrolled: 9-line block ×5, first 2 shown]
	v_xor_b32_e32 v25, vcc_hi, v24
	v_xor_b32_e32 v24, vcc_lo, v24
	v_and_b32_e32 v22, v22, v25
	v_lshlrev_b32_e32 v25, 24, v47
	v_and_b32_e32 v33, v33, v24
	v_mov_b32_e32 v24, v23
	v_not_b32_e32 v23, v25
	v_cmp_gt_i64_e32 vcc, 0, v[24:25]
	v_ashrrev_i32_e32 v23, 31, v23
	; wave barrier
	s_nop 0
	v_xor_b32_e32 v24, vcc_hi, v23
	v_xor_b32_e32 v25, vcc_lo, v23
	v_and_b32_e32 v23, v22, v24
	v_and_b32_e32 v22, v33, v25
	v_mbcnt_lo_u32_b32 v24, v22, 0
	v_mbcnt_hi_u32_b32 v47, v23, v24
	v_cmp_eq_u32_e32 vcc, 0, v47
	v_cmp_ne_u64_e64 s[0:1], 0, v[22:23]
	s_and_b64 s[2:3], s[0:1], vcc
	s_and_saveexec_b64 s[0:1], s[2:3]
	s_cbranch_execz .LBB155_133
; %bb.132:
	v_bcnt_u32_b32 v22, v22, 0
	v_bcnt_u32_b32 v22, v23, v22
	s_waitcnt lgkmcnt(0)
	v_add_u32_e32 v22, v45, v22
	ds_write_b32 v48, v22 offset:64
.LBB155_133:
	s_or_b64 exec, exec, s[0:1]
	; wave barrier
	s_waitcnt lgkmcnt(0)
	s_barrier
	ds_read2_b32 v[24:25], v1 offset0:16 offset1:17
	ds_read2_b32 v[22:23], v1 offset0:18 offset1:19
	ds_read_b32 v33, v1 offset:80
	v_cmp_lt_u32_e64 s[8:9], 31, v26
	s_waitcnt lgkmcnt(1)
	v_add3_u32 v49, v25, v24, v22
	s_waitcnt lgkmcnt(0)
	v_add3_u32 v33, v49, v23, v33
	v_and_b32_e32 v49, 15, v26
	v_cmp_eq_u32_e32 vcc, 0, v49
	v_mov_b32_dpp v50, v33 row_shr:1 row_mask:0xf bank_mask:0xf
	v_cmp_lt_u32_e64 s[0:1], 1, v49
	v_cndmask_b32_e64 v50, v50, 0, vcc
	v_add_u32_e32 v33, v50, v33
	v_cmp_lt_u32_e64 s[2:3], 3, v49
	v_cmp_lt_u32_e64 s[6:7], 7, v49
	v_mov_b32_dpp v50, v33 row_shr:2 row_mask:0xf bank_mask:0xf
	v_cndmask_b32_e64 v50, 0, v50, s[0:1]
	v_add_u32_e32 v33, v33, v50
	s_nop 1
	v_mov_b32_dpp v50, v33 row_shr:4 row_mask:0xf bank_mask:0xf
	v_cndmask_b32_e64 v50, 0, v50, s[2:3]
	v_add_u32_e32 v33, v33, v50
	s_nop 1
	v_mov_b32_dpp v50, v33 row_shr:8 row_mask:0xf bank_mask:0xf
	v_cndmask_b32_e64 v49, 0, v50, s[6:7]
	v_add_u32_e32 v33, v33, v49
	v_bfe_i32 v50, v26, 4, 1
	s_nop 0
	v_mov_b32_dpp v49, v33 row_bcast:15 row_mask:0xf bank_mask:0xf
	v_and_b32_e32 v49, v50, v49
	v_add_u32_e32 v33, v33, v49
	v_lshrrev_b32_e32 v50, 6, v2
	s_nop 0
	v_mov_b32_dpp v49, v33 row_bcast:31 row_mask:0xf bank_mask:0xf
	v_cndmask_b32_e64 v49, 0, v49, s[8:9]
	v_add_u32_e32 v49, v33, v49
	v_and_b32_e32 v33, 63, v2
	v_cmp_eq_u32_e64 s[8:9], 63, v33
	s_and_saveexec_b64 s[12:13], s[8:9]
; %bb.134:
	v_lshlrev_b32_e32 v33, 2, v50
	ds_write_b32 v33, v49
; %bb.135:
	s_or_b64 exec, exec, s[12:13]
	v_cmp_gt_u32_e64 s[8:9], 16, v2
	v_lshlrev_b32_e32 v33, 2, v2
	s_waitcnt lgkmcnt(0)
	s_barrier
	s_and_saveexec_b64 s[12:13], s[8:9]
	s_cbranch_execz .LBB155_137
; %bb.136:
	ds_read_b32 v51, v33
	s_waitcnt lgkmcnt(0)
	s_nop 0
	v_mov_b32_dpp v52, v51 row_shr:1 row_mask:0xf bank_mask:0xf
	v_cndmask_b32_e64 v52, v52, 0, vcc
	v_add_u32_e32 v51, v52, v51
	s_nop 1
	v_mov_b32_dpp v52, v51 row_shr:2 row_mask:0xf bank_mask:0xf
	v_cndmask_b32_e64 v52, 0, v52, s[0:1]
	v_add_u32_e32 v51, v51, v52
	s_nop 1
	v_mov_b32_dpp v52, v51 row_shr:4 row_mask:0xf bank_mask:0xf
	v_cndmask_b32_e64 v52, 0, v52, s[2:3]
	;; [unrolled: 4-line block ×3, first 2 shown]
	v_add_u32_e32 v51, v51, v52
	ds_write_b32 v33, v51
.LBB155_137:
	s_or_b64 exec, exec, s[12:13]
	v_cmp_lt_u32_e32 vcc, 63, v2
	v_mov_b32_e32 v51, 0
	s_waitcnt lgkmcnt(0)
	s_barrier
	s_and_saveexec_b64 s[0:1], vcc
; %bb.138:
	v_lshl_add_u32 v50, v50, 2, -4
	ds_read_b32 v51, v50
; %bb.139:
	s_or_b64 exec, exec, s[0:1]
	v_subrev_co_u32_e32 v50, vcc, 1, v26
	v_and_b32_e32 v52, 64, v26
	v_cmp_lt_i32_e64 s[0:1], v50, v52
	s_waitcnt lgkmcnt(0)
	v_add_u32_e32 v49, v51, v49
	s_movk_i32 s2, 0x100
	v_cndmask_b32_e64 v26, v50, v26, s[0:1]
	v_lshlrev_b32_e32 v26, 2, v26
	ds_bpermute_b32 v26, v26, v49
	s_movk_i32 s0, 0xff
	s_waitcnt lgkmcnt(0)
	v_cndmask_b32_e32 v26, v26, v51, vcc
	v_cmp_ne_u32_e32 vcc, 0, v2
	s_nop 1
	v_cndmask_b32_e32 v26, 0, v26, vcc
	v_add_u32_e32 v24, v26, v24
	v_add_u32_e32 v25, v24, v25
	;; [unrolled: 1-line block ×4, first 2 shown]
	ds_write2_b32 v1, v26, v24 offset0:16 offset1:17
	ds_write2_b32 v1, v25, v22 offset0:18 offset1:19
	ds_write_b32 v1, v23 offset:80
	s_waitcnt lgkmcnt(0)
	s_barrier
	ds_read_b32 v52, v27 offset:64
	ds_read_b32 v1, v30 offset:64
	;; [unrolled: 1-line block ×8, first 2 shown]
	v_cmp_lt_u32_e32 vcc, s0, v2
	v_cmp_gt_u32_e64 s[0:1], s2, v2
                                        ; implicit-def: $vgpr30
                                        ; implicit-def: $vgpr34
	s_and_saveexec_b64 s[6:7], s[0:1]
	s_cbranch_execz .LBB155_143
; %bb.140:
	v_mul_u32_u24_e32 v22, 0x44, v2
	ds_read_b32 v30, v22 offset:64
	v_add_u32_e32 v23, 1, v2
	v_cmp_ne_u32_e64 s[2:3], s2, v23
	v_mov_b32_e32 v22, 0x2000
	s_and_saveexec_b64 s[8:9], s[2:3]
; %bb.141:
	v_mul_u32_u24_e32 v22, 0x44, v23
	ds_read_b32 v22, v22 offset:64
; %bb.142:
	s_or_b64 exec, exec, s[8:9]
	s_waitcnt lgkmcnt(0)
	v_sub_u32_e32 v34, v22, v30
.LBB155_143:
	s_or_b64 exec, exec, s[6:7]
	v_mov_b32_e32 v23, 0
	s_waitcnt lgkmcnt(0)
	s_barrier
	s_and_saveexec_b64 s[2:3], s[0:1]
	s_cbranch_execz .LBB155_153
; %bb.144:
	v_lshl_add_u32 v22, s4, 8, v2
	v_lshl_add_u64 v[24:25], v[22:23], 2, s[52:53]
	v_or_b32_e32 v22, 2.0, v34
	s_mov_b64 s[6:7], 0
	s_brev_b32 s15, -4
	s_mov_b32 s16, s4
	v_mov_b32_e32 v46, 0
	global_store_dword v[24:25], v22, off sc1
                                        ; implicit-def: $sgpr0_sgpr1
	s_branch .LBB155_147
.LBB155_145:                            ;   in Loop: Header=BB155_147 Depth=1
	s_or_b64 exec, exec, s[12:13]
.LBB155_146:                            ;   in Loop: Header=BB155_147 Depth=1
	s_or_b64 exec, exec, s[8:9]
	v_and_b32_e32 v26, 0x3fffffff, v22
	v_add_u32_e32 v46, v26, v46
	v_cmp_gt_i32_e64 s[0:1], -2.0, v22
	s_and_b64 s[8:9], exec, s[0:1]
	s_or_b64 s[6:7], s[8:9], s[6:7]
	s_andn2_b64 exec, exec, s[6:7]
	s_cbranch_execz .LBB155_152
.LBB155_147:                            ; =>This Loop Header: Depth=1
                                        ;     Child Loop BB155_150 Depth 2
	s_or_b64 s[0:1], s[0:1], exec
	s_cmp_eq_u32 s16, 0
	s_cbranch_scc1 .LBB155_151
; %bb.148:                              ;   in Loop: Header=BB155_147 Depth=1
	s_add_i32 s16, s16, -1
	v_lshl_or_b32 v22, s16, 8, v2
	v_lshl_add_u64 v[26:27], v[22:23], 2, s[52:53]
	global_load_dword v22, v[26:27], off sc1
	s_waitcnt vmcnt(0)
	v_cmp_gt_u32_e64 s[0:1], 2.0, v22
	s_and_saveexec_b64 s[8:9], s[0:1]
	s_cbranch_execz .LBB155_146
; %bb.149:                              ;   in Loop: Header=BB155_147 Depth=1
	s_mov_b64 s[12:13], 0
.LBB155_150:                            ;   Parent Loop BB155_147 Depth=1
                                        ; =>  This Inner Loop Header: Depth=2
	global_load_dword v22, v[26:27], off sc1
	s_waitcnt vmcnt(0)
	v_cmp_lt_u32_e64 s[0:1], s15, v22
	s_or_b64 s[12:13], s[0:1], s[12:13]
	s_andn2_b64 exec, exec, s[12:13]
	s_cbranch_execnz .LBB155_150
	s_branch .LBB155_145
.LBB155_151:                            ;   in Loop: Header=BB155_147 Depth=1
                                        ; implicit-def: $sgpr16
	s_and_b64 s[8:9], exec, s[0:1]
	s_or_b64 s[6:7], s[8:9], s[6:7]
	s_andn2_b64 exec, exec, s[6:7]
	s_cbranch_execnz .LBB155_147
.LBB155_152:
	s_or_b64 exec, exec, s[6:7]
	v_add_u32_e32 v22, v46, v34
	v_or_b32_e32 v22, 0x80000000, v22
	global_store_dword v[24:25], v22, off sc1
	global_load_dword v22, v33, s[44:45]
	v_sub_u32_e32 v23, v46, v30
	s_waitcnt vmcnt(0)
	v_add_u32_e32 v22, v23, v22
	ds_write_b32 v33, v22
.LBB155_153:
	s_or_b64 exec, exec, s[2:3]
	v_add_u32_e32 v3, v52, v3
	v_add3_u32 v22, v28, v5, v1
	v_add3_u32 v23, v31, v29, v49
	;; [unrolled: 1-line block ×7, first 2 shown]
	v_mov_b32_e32 v53, 0x400
	s_mov_b32 s2, -1
	s_mov_b32 s8, s48
	s_mov_b32 s9, s14
	s_movk_i32 s12, 0x400
	v_lshl_add_u32 v24, v24, 3, v53
	v_add3_u32 v25, v47, v43, v45
	v_lshl_add_u32 v26, v26, 3, v53
	v_add3_u32 v27, v44, v37, v42
	;; [unrolled: 2-line block ×7, first 2 shown]
	v_lshl_add_u32 v41, v3, 3, v53
	s_mov_b32 s13, 0
	s_mov_b32 s15, 0
	s_movk_i32 s16, 0x800
	v_add_u32_e32 v42, v33, v33
	s_brev_b32 s3, -2
	v_bfrev_b32_e32 v1, 1
	v_mov_b32_e32 v23, 0
	v_mov_b32_e32 v5, v2
	s_mov_b32 s17, 0
	s_branch .LBB155_155
.LBB155_154:                            ;   in Loop: Header=BB155_155 Depth=1
	s_or_b64 exec, exec, s[6:7]
	s_waitcnt lgkmcnt(0)
	s_barrier
	ds_read2st64_b64 v[44:47], v42 offset0:2 offset1:18
	s_addk_i32 s17, 0xc000
	s_addk_i32 s15, 0xf800
	s_waitcnt lgkmcnt(0)
	v_cmp_lt_i64_e64 s[0:1], -1, v[44:45]
	s_nop 1
	v_cndmask_b32_e64 v22, v1, -1, s[0:1]
	v_cmp_lt_i64_e64 s[0:1], -1, v[46:47]
	v_ashrrev_i32_e32 v43, 31, v45
	v_xor_b32_e32 v49, v22, v45
	v_cndmask_b32_e64 v22, v1, -1, s[0:1]
	v_cmp_ne_u64_e64 s[0:1], s[2:3], v[46:47]
	v_not_b32_e32 v43, v43
	v_xor_b32_e32 v48, v43, v44
	v_cndmask_b32_e64 v53, v1, v47, s[0:1]
	v_cndmask_b32_e64 v52, 0, v46, s[0:1]
	v_cmp_ne_u64_e64 s[0:1], s[2:3], v[44:45]
	v_lshrrev_b64 v[52:53], s8, v[52:53]
	v_xor_b32_e32 v51, v22, v47
	v_cndmask_b32_e64 v45, v1, v45, s[0:1]
	v_cndmask_b32_e64 v44, 0, v44, s[0:1]
	v_lshrrev_b64 v[44:45], s48, v[44:45]
	v_and_b32_e32 v44, s14, v44
	v_lshlrev_b32_e32 v22, 2, v44
	v_and_b32_e32 v45, s9, v52
	v_ashrrev_i32_e32 v43, 31, v47
	ds_read_b32 v22, v22
	v_lshlrev_b32_e32 v47, 2, v45
	ds_read_b32 v52, v47
	v_not_b32_e32 v43, v43
	v_xor_b32_e32 v50, v43, v46
	s_waitcnt lgkmcnt(1)
	v_add_u32_e32 v22, v5, v22
	v_lshl_add_u64 v[46:47], v[22:23], 3, s[38:39]
	s_waitcnt lgkmcnt(0)
	v_add3_u32 v22, v5, v52, s12
	global_store_dwordx2 v[46:47], v[48:49], off
	v_lshl_add_u64 v[46:47], v[22:23], 3, s[38:39]
	global_store_dwordx2 v[46:47], v[50:51], off
	scratch_store_dwordx2 off, v[44:45], s13
	s_add_i32 s13, s13, 8
	s_cmp_eq_u32 s17, 0xffff0000
	v_add_u32_e32 v5, 0x800, v5
	s_barrier
	s_cbranch_scc1 .LBB155_171
.LBB155_155:                            ; =>This Inner Loop Header: Depth=1
	v_add_u32_e32 v22, s15, v3
	v_cmp_gt_u32_e64 s[0:1], s16, v22
	s_and_saveexec_b64 s[6:7], s[0:1]
; %bb.156:                              ;   in Loop: Header=BB155_155 Depth=1
	v_add_u32_e32 v22, s17, v41
	ds_write_b64 v22, v[6:7]
; %bb.157:                              ;   in Loop: Header=BB155_155 Depth=1
	s_or_b64 exec, exec, s[6:7]
	v_add_u32_e32 v22, s15, v28
	v_cmp_gt_u32_e64 s[0:1], s16, v22
	s_and_saveexec_b64 s[6:7], s[0:1]
; %bb.158:                              ;   in Loop: Header=BB155_155 Depth=1
	v_add_u32_e32 v22, s17, v31
	ds_write_b64 v22, v[8:9]
; %bb.159:                              ;   in Loop: Header=BB155_155 Depth=1
	s_or_b64 exec, exec, s[6:7]
	;; [unrolled: 8-line block ×7, first 2 shown]
	v_add_u32_e32 v22, s15, v25
	v_cmp_gt_u32_e64 s[0:1], s16, v22
	s_and_saveexec_b64 s[6:7], s[0:1]
	s_cbranch_execz .LBB155_154
; %bb.170:                              ;   in Loop: Header=BB155_155 Depth=1
	v_add_u32_e32 v22, s17, v24
	ds_write_b64 v22, v[16:17]
	s_branch .LBB155_154
.LBB155_171:
	s_add_u32 s0, s40, s10
	s_addc_u32 s1, s41, s11
	v_mov_b32_e32 v1, 0
	v_lshl_add_u64 v[6:7], s[0:1], 0, v[0:1]
	v_mov_b32_e32 v5, v1
	v_lshl_add_u64 v[20:21], v[6:7], 0, v[4:5]
	global_load_dwordx2 v[4:5], v[20:21], off
	global_load_dwordx2 v[6:7], v[20:21], off offset:512
	global_load_dwordx2 v[8:9], v[20:21], off offset:1024
	;; [unrolled: 1-line block ×7, first 2 shown]
	s_mov_b32 s6, 0
	s_mov_b32 s7, 0
	s_movk_i32 s8, 0x800
	s_movk_i32 s9, 0x400
	s_mov_b32 s10, 0
	s_branch .LBB155_173
.LBB155_172:                            ;   in Loop: Header=BB155_173 Depth=1
	s_or_b64 exec, exec, s[2:3]
	s_waitcnt lgkmcnt(0)
	s_barrier
	scratch_load_dwordx2 v[44:45], off, s6
	ds_read2st64_b64 v[20:23], v42 offset0:2 offset1:18
	s_addk_i32 s10, 0xc000
	s_addk_i32 s7, 0xf800
	s_add_i32 s6, s6, 8
	s_cmp_eq_u32 s10, 0xffff0000
	s_waitcnt vmcnt(0)
	v_lshlrev_b32_e32 v0, 2, v44
	ds_read_b32 v0, v0
	v_lshlrev_b32_e32 v43, 2, v45
	ds_read_b32 v43, v43
	s_waitcnt lgkmcnt(1)
	v_add_u32_e32 v0, v2, v0
	v_lshl_add_u64 v[44:45], v[0:1], 3, s[42:43]
	s_waitcnt lgkmcnt(0)
	v_add3_u32 v0, v2, v43, s9
	global_store_dwordx2 v[44:45], v[20:21], off
	v_lshl_add_u64 v[20:21], v[0:1], 3, s[42:43]
	v_add_u32_e32 v2, 0x800, v2
	global_store_dwordx2 v[20:21], v[22:23], off
	s_barrier
	s_cbranch_scc1 .LBB155_189
.LBB155_173:                            ; =>This Inner Loop Header: Depth=1
	v_add_u32_e32 v0, s7, v3
	v_cmp_gt_u32_e64 s[0:1], s8, v0
	s_and_saveexec_b64 s[2:3], s[0:1]
	s_cbranch_execz .LBB155_175
; %bb.174:                              ;   in Loop: Header=BB155_173 Depth=1
	v_add_u32_e32 v0, s10, v41
	s_waitcnt vmcnt(7)
	ds_write_b64 v0, v[4:5]
.LBB155_175:                            ;   in Loop: Header=BB155_173 Depth=1
	s_or_b64 exec, exec, s[2:3]
	v_add_u32_e32 v0, s7, v28
	v_cmp_gt_u32_e64 s[0:1], s8, v0
	s_and_saveexec_b64 s[2:3], s[0:1]
	s_cbranch_execz .LBB155_177
; %bb.176:                              ;   in Loop: Header=BB155_173 Depth=1
	v_add_u32_e32 v0, s10, v31
	s_waitcnt vmcnt(6)
	ds_write_b64 v0, v[6:7]
.LBB155_177:                            ;   in Loop: Header=BB155_173 Depth=1
	s_or_b64 exec, exec, s[2:3]
	;; [unrolled: 10-line block ×7, first 2 shown]
	v_add_u32_e32 v0, s7, v25
	v_cmp_gt_u32_e64 s[0:1], s8, v0
	s_and_saveexec_b64 s[2:3], s[0:1]
	s_cbranch_execz .LBB155_172
; %bb.188:                              ;   in Loop: Header=BB155_173 Depth=1
	v_add_u32_e32 v0, s10, v24
	s_waitcnt vmcnt(0)
	ds_write_b64 v0, v[18:19]
	s_branch .LBB155_172
.LBB155_189:
	s_add_i32 s5, s5, -1
	s_cmp_eq_u32 s4, s5
	s_cselect_b64 s[0:1], -1, 0
	s_xor_b64 s[2:3], vcc, -1
	s_and_b64 s[0:1], s[2:3], s[0:1]
	s_and_saveexec_b64 s[2:3], s[0:1]
	s_cbranch_execz .LBB155_191
; %bb.190:
	ds_read_b32 v0, v33
	s_waitcnt lgkmcnt(0)
	v_add3_u32 v0, v30, v34, v0
	global_store_dword v33, v0, s[46:47]
.LBB155_191:
	s_endpgm
	.section	.rodata,"a",@progbits
	.p2align	6, 0x0
	.amdhsa_kernel _ZN7rocprim17ROCPRIM_400000_NS6detail17trampoline_kernelINS0_14default_configENS1_35radix_sort_onesweep_config_selectorIddEEZZNS1_29radix_sort_onesweep_iterationIS3_Lb0EN6thrust23THRUST_200600_302600_NS6detail15normal_iteratorINS8_10device_ptrIdEEEESD_SD_SD_jNS0_19identity_decomposerENS1_16block_id_wrapperIjLb0EEEEE10hipError_tT1_PNSt15iterator_traitsISI_E10value_typeET2_T3_PNSJ_ISO_E10value_typeET4_T5_PST_SU_PNS1_23onesweep_lookback_stateEbbT6_jjT7_P12ihipStream_tbENKUlT_T0_SI_SN_E_clIPdSD_S15_SD_EEDaS11_S12_SI_SN_EUlS11_E_NS1_11comp_targetILNS1_3genE6ELNS1_11target_archE950ELNS1_3gpuE13ELNS1_3repE0EEENS1_47radix_sort_onesweep_sort_config_static_selectorELNS0_4arch9wavefront6targetE1EEEvSI_
		.amdhsa_group_segment_fixed_size 53328
		.amdhsa_private_segment_fixed_size 48
		.amdhsa_kernarg_size 344
		.amdhsa_user_sgpr_count 4
		.amdhsa_user_sgpr_dispatch_ptr 1
		.amdhsa_user_sgpr_queue_ptr 0
		.amdhsa_user_sgpr_kernarg_segment_ptr 1
		.amdhsa_user_sgpr_dispatch_id 0
		.amdhsa_user_sgpr_kernarg_preload_length 0
		.amdhsa_user_sgpr_kernarg_preload_offset 0
		.amdhsa_user_sgpr_private_segment_size 0
		.amdhsa_uses_dynamic_stack 0
		.amdhsa_enable_private_segment 1
		.amdhsa_system_sgpr_workgroup_id_x 1
		.amdhsa_system_sgpr_workgroup_id_y 0
		.amdhsa_system_sgpr_workgroup_id_z 0
		.amdhsa_system_sgpr_workgroup_info 0
		.amdhsa_system_vgpr_workitem_id 2
		.amdhsa_next_free_vgpr 58
		.amdhsa_next_free_sgpr 56
		.amdhsa_accum_offset 60
		.amdhsa_reserve_vcc 1
		.amdhsa_float_round_mode_32 0
		.amdhsa_float_round_mode_16_64 0
		.amdhsa_float_denorm_mode_32 3
		.amdhsa_float_denorm_mode_16_64 3
		.amdhsa_dx10_clamp 1
		.amdhsa_ieee_mode 1
		.amdhsa_fp16_overflow 0
		.amdhsa_tg_split 0
		.amdhsa_exception_fp_ieee_invalid_op 0
		.amdhsa_exception_fp_denorm_src 0
		.amdhsa_exception_fp_ieee_div_zero 0
		.amdhsa_exception_fp_ieee_overflow 0
		.amdhsa_exception_fp_ieee_underflow 0
		.amdhsa_exception_fp_ieee_inexact 0
		.amdhsa_exception_int_div_zero 0
	.end_amdhsa_kernel
	.section	.text._ZN7rocprim17ROCPRIM_400000_NS6detail17trampoline_kernelINS0_14default_configENS1_35radix_sort_onesweep_config_selectorIddEEZZNS1_29radix_sort_onesweep_iterationIS3_Lb0EN6thrust23THRUST_200600_302600_NS6detail15normal_iteratorINS8_10device_ptrIdEEEESD_SD_SD_jNS0_19identity_decomposerENS1_16block_id_wrapperIjLb0EEEEE10hipError_tT1_PNSt15iterator_traitsISI_E10value_typeET2_T3_PNSJ_ISO_E10value_typeET4_T5_PST_SU_PNS1_23onesweep_lookback_stateEbbT6_jjT7_P12ihipStream_tbENKUlT_T0_SI_SN_E_clIPdSD_S15_SD_EEDaS11_S12_SI_SN_EUlS11_E_NS1_11comp_targetILNS1_3genE6ELNS1_11target_archE950ELNS1_3gpuE13ELNS1_3repE0EEENS1_47radix_sort_onesweep_sort_config_static_selectorELNS0_4arch9wavefront6targetE1EEEvSI_,"axG",@progbits,_ZN7rocprim17ROCPRIM_400000_NS6detail17trampoline_kernelINS0_14default_configENS1_35radix_sort_onesweep_config_selectorIddEEZZNS1_29radix_sort_onesweep_iterationIS3_Lb0EN6thrust23THRUST_200600_302600_NS6detail15normal_iteratorINS8_10device_ptrIdEEEESD_SD_SD_jNS0_19identity_decomposerENS1_16block_id_wrapperIjLb0EEEEE10hipError_tT1_PNSt15iterator_traitsISI_E10value_typeET2_T3_PNSJ_ISO_E10value_typeET4_T5_PST_SU_PNS1_23onesweep_lookback_stateEbbT6_jjT7_P12ihipStream_tbENKUlT_T0_SI_SN_E_clIPdSD_S15_SD_EEDaS11_S12_SI_SN_EUlS11_E_NS1_11comp_targetILNS1_3genE6ELNS1_11target_archE950ELNS1_3gpuE13ELNS1_3repE0EEENS1_47radix_sort_onesweep_sort_config_static_selectorELNS0_4arch9wavefront6targetE1EEEvSI_,comdat
.Lfunc_end155:
	.size	_ZN7rocprim17ROCPRIM_400000_NS6detail17trampoline_kernelINS0_14default_configENS1_35radix_sort_onesweep_config_selectorIddEEZZNS1_29radix_sort_onesweep_iterationIS3_Lb0EN6thrust23THRUST_200600_302600_NS6detail15normal_iteratorINS8_10device_ptrIdEEEESD_SD_SD_jNS0_19identity_decomposerENS1_16block_id_wrapperIjLb0EEEEE10hipError_tT1_PNSt15iterator_traitsISI_E10value_typeET2_T3_PNSJ_ISO_E10value_typeET4_T5_PST_SU_PNS1_23onesweep_lookback_stateEbbT6_jjT7_P12ihipStream_tbENKUlT_T0_SI_SN_E_clIPdSD_S15_SD_EEDaS11_S12_SI_SN_EUlS11_E_NS1_11comp_targetILNS1_3genE6ELNS1_11target_archE950ELNS1_3gpuE13ELNS1_3repE0EEENS1_47radix_sort_onesweep_sort_config_static_selectorELNS0_4arch9wavefront6targetE1EEEvSI_, .Lfunc_end155-_ZN7rocprim17ROCPRIM_400000_NS6detail17trampoline_kernelINS0_14default_configENS1_35radix_sort_onesweep_config_selectorIddEEZZNS1_29radix_sort_onesweep_iterationIS3_Lb0EN6thrust23THRUST_200600_302600_NS6detail15normal_iteratorINS8_10device_ptrIdEEEESD_SD_SD_jNS0_19identity_decomposerENS1_16block_id_wrapperIjLb0EEEEE10hipError_tT1_PNSt15iterator_traitsISI_E10value_typeET2_T3_PNSJ_ISO_E10value_typeET4_T5_PST_SU_PNS1_23onesweep_lookback_stateEbbT6_jjT7_P12ihipStream_tbENKUlT_T0_SI_SN_E_clIPdSD_S15_SD_EEDaS11_S12_SI_SN_EUlS11_E_NS1_11comp_targetILNS1_3genE6ELNS1_11target_archE950ELNS1_3gpuE13ELNS1_3repE0EEENS1_47radix_sort_onesweep_sort_config_static_selectorELNS0_4arch9wavefront6targetE1EEEvSI_
                                        ; -- End function
	.set _ZN7rocprim17ROCPRIM_400000_NS6detail17trampoline_kernelINS0_14default_configENS1_35radix_sort_onesweep_config_selectorIddEEZZNS1_29radix_sort_onesweep_iterationIS3_Lb0EN6thrust23THRUST_200600_302600_NS6detail15normal_iteratorINS8_10device_ptrIdEEEESD_SD_SD_jNS0_19identity_decomposerENS1_16block_id_wrapperIjLb0EEEEE10hipError_tT1_PNSt15iterator_traitsISI_E10value_typeET2_T3_PNSJ_ISO_E10value_typeET4_T5_PST_SU_PNS1_23onesweep_lookback_stateEbbT6_jjT7_P12ihipStream_tbENKUlT_T0_SI_SN_E_clIPdSD_S15_SD_EEDaS11_S12_SI_SN_EUlS11_E_NS1_11comp_targetILNS1_3genE6ELNS1_11target_archE950ELNS1_3gpuE13ELNS1_3repE0EEENS1_47radix_sort_onesweep_sort_config_static_selectorELNS0_4arch9wavefront6targetE1EEEvSI_.num_vgpr, 58
	.set _ZN7rocprim17ROCPRIM_400000_NS6detail17trampoline_kernelINS0_14default_configENS1_35radix_sort_onesweep_config_selectorIddEEZZNS1_29radix_sort_onesweep_iterationIS3_Lb0EN6thrust23THRUST_200600_302600_NS6detail15normal_iteratorINS8_10device_ptrIdEEEESD_SD_SD_jNS0_19identity_decomposerENS1_16block_id_wrapperIjLb0EEEEE10hipError_tT1_PNSt15iterator_traitsISI_E10value_typeET2_T3_PNSJ_ISO_E10value_typeET4_T5_PST_SU_PNS1_23onesweep_lookback_stateEbbT6_jjT7_P12ihipStream_tbENKUlT_T0_SI_SN_E_clIPdSD_S15_SD_EEDaS11_S12_SI_SN_EUlS11_E_NS1_11comp_targetILNS1_3genE6ELNS1_11target_archE950ELNS1_3gpuE13ELNS1_3repE0EEENS1_47radix_sort_onesweep_sort_config_static_selectorELNS0_4arch9wavefront6targetE1EEEvSI_.num_agpr, 0
	.set _ZN7rocprim17ROCPRIM_400000_NS6detail17trampoline_kernelINS0_14default_configENS1_35radix_sort_onesweep_config_selectorIddEEZZNS1_29radix_sort_onesweep_iterationIS3_Lb0EN6thrust23THRUST_200600_302600_NS6detail15normal_iteratorINS8_10device_ptrIdEEEESD_SD_SD_jNS0_19identity_decomposerENS1_16block_id_wrapperIjLb0EEEEE10hipError_tT1_PNSt15iterator_traitsISI_E10value_typeET2_T3_PNSJ_ISO_E10value_typeET4_T5_PST_SU_PNS1_23onesweep_lookback_stateEbbT6_jjT7_P12ihipStream_tbENKUlT_T0_SI_SN_E_clIPdSD_S15_SD_EEDaS11_S12_SI_SN_EUlS11_E_NS1_11comp_targetILNS1_3genE6ELNS1_11target_archE950ELNS1_3gpuE13ELNS1_3repE0EEENS1_47radix_sort_onesweep_sort_config_static_selectorELNS0_4arch9wavefront6targetE1EEEvSI_.numbered_sgpr, 56
	.set _ZN7rocprim17ROCPRIM_400000_NS6detail17trampoline_kernelINS0_14default_configENS1_35radix_sort_onesweep_config_selectorIddEEZZNS1_29radix_sort_onesweep_iterationIS3_Lb0EN6thrust23THRUST_200600_302600_NS6detail15normal_iteratorINS8_10device_ptrIdEEEESD_SD_SD_jNS0_19identity_decomposerENS1_16block_id_wrapperIjLb0EEEEE10hipError_tT1_PNSt15iterator_traitsISI_E10value_typeET2_T3_PNSJ_ISO_E10value_typeET4_T5_PST_SU_PNS1_23onesweep_lookback_stateEbbT6_jjT7_P12ihipStream_tbENKUlT_T0_SI_SN_E_clIPdSD_S15_SD_EEDaS11_S12_SI_SN_EUlS11_E_NS1_11comp_targetILNS1_3genE6ELNS1_11target_archE950ELNS1_3gpuE13ELNS1_3repE0EEENS1_47radix_sort_onesweep_sort_config_static_selectorELNS0_4arch9wavefront6targetE1EEEvSI_.num_named_barrier, 0
	.set _ZN7rocprim17ROCPRIM_400000_NS6detail17trampoline_kernelINS0_14default_configENS1_35radix_sort_onesweep_config_selectorIddEEZZNS1_29radix_sort_onesweep_iterationIS3_Lb0EN6thrust23THRUST_200600_302600_NS6detail15normal_iteratorINS8_10device_ptrIdEEEESD_SD_SD_jNS0_19identity_decomposerENS1_16block_id_wrapperIjLb0EEEEE10hipError_tT1_PNSt15iterator_traitsISI_E10value_typeET2_T3_PNSJ_ISO_E10value_typeET4_T5_PST_SU_PNS1_23onesweep_lookback_stateEbbT6_jjT7_P12ihipStream_tbENKUlT_T0_SI_SN_E_clIPdSD_S15_SD_EEDaS11_S12_SI_SN_EUlS11_E_NS1_11comp_targetILNS1_3genE6ELNS1_11target_archE950ELNS1_3gpuE13ELNS1_3repE0EEENS1_47radix_sort_onesweep_sort_config_static_selectorELNS0_4arch9wavefront6targetE1EEEvSI_.private_seg_size, 48
	.set _ZN7rocprim17ROCPRIM_400000_NS6detail17trampoline_kernelINS0_14default_configENS1_35radix_sort_onesweep_config_selectorIddEEZZNS1_29radix_sort_onesweep_iterationIS3_Lb0EN6thrust23THRUST_200600_302600_NS6detail15normal_iteratorINS8_10device_ptrIdEEEESD_SD_SD_jNS0_19identity_decomposerENS1_16block_id_wrapperIjLb0EEEEE10hipError_tT1_PNSt15iterator_traitsISI_E10value_typeET2_T3_PNSJ_ISO_E10value_typeET4_T5_PST_SU_PNS1_23onesweep_lookback_stateEbbT6_jjT7_P12ihipStream_tbENKUlT_T0_SI_SN_E_clIPdSD_S15_SD_EEDaS11_S12_SI_SN_EUlS11_E_NS1_11comp_targetILNS1_3genE6ELNS1_11target_archE950ELNS1_3gpuE13ELNS1_3repE0EEENS1_47radix_sort_onesweep_sort_config_static_selectorELNS0_4arch9wavefront6targetE1EEEvSI_.uses_vcc, 1
	.set _ZN7rocprim17ROCPRIM_400000_NS6detail17trampoline_kernelINS0_14default_configENS1_35radix_sort_onesweep_config_selectorIddEEZZNS1_29radix_sort_onesweep_iterationIS3_Lb0EN6thrust23THRUST_200600_302600_NS6detail15normal_iteratorINS8_10device_ptrIdEEEESD_SD_SD_jNS0_19identity_decomposerENS1_16block_id_wrapperIjLb0EEEEE10hipError_tT1_PNSt15iterator_traitsISI_E10value_typeET2_T3_PNSJ_ISO_E10value_typeET4_T5_PST_SU_PNS1_23onesweep_lookback_stateEbbT6_jjT7_P12ihipStream_tbENKUlT_T0_SI_SN_E_clIPdSD_S15_SD_EEDaS11_S12_SI_SN_EUlS11_E_NS1_11comp_targetILNS1_3genE6ELNS1_11target_archE950ELNS1_3gpuE13ELNS1_3repE0EEENS1_47radix_sort_onesweep_sort_config_static_selectorELNS0_4arch9wavefront6targetE1EEEvSI_.uses_flat_scratch, 0
	.set _ZN7rocprim17ROCPRIM_400000_NS6detail17trampoline_kernelINS0_14default_configENS1_35radix_sort_onesweep_config_selectorIddEEZZNS1_29radix_sort_onesweep_iterationIS3_Lb0EN6thrust23THRUST_200600_302600_NS6detail15normal_iteratorINS8_10device_ptrIdEEEESD_SD_SD_jNS0_19identity_decomposerENS1_16block_id_wrapperIjLb0EEEEE10hipError_tT1_PNSt15iterator_traitsISI_E10value_typeET2_T3_PNSJ_ISO_E10value_typeET4_T5_PST_SU_PNS1_23onesweep_lookback_stateEbbT6_jjT7_P12ihipStream_tbENKUlT_T0_SI_SN_E_clIPdSD_S15_SD_EEDaS11_S12_SI_SN_EUlS11_E_NS1_11comp_targetILNS1_3genE6ELNS1_11target_archE950ELNS1_3gpuE13ELNS1_3repE0EEENS1_47radix_sort_onesweep_sort_config_static_selectorELNS0_4arch9wavefront6targetE1EEEvSI_.has_dyn_sized_stack, 0
	.set _ZN7rocprim17ROCPRIM_400000_NS6detail17trampoline_kernelINS0_14default_configENS1_35radix_sort_onesweep_config_selectorIddEEZZNS1_29radix_sort_onesweep_iterationIS3_Lb0EN6thrust23THRUST_200600_302600_NS6detail15normal_iteratorINS8_10device_ptrIdEEEESD_SD_SD_jNS0_19identity_decomposerENS1_16block_id_wrapperIjLb0EEEEE10hipError_tT1_PNSt15iterator_traitsISI_E10value_typeET2_T3_PNSJ_ISO_E10value_typeET4_T5_PST_SU_PNS1_23onesweep_lookback_stateEbbT6_jjT7_P12ihipStream_tbENKUlT_T0_SI_SN_E_clIPdSD_S15_SD_EEDaS11_S12_SI_SN_EUlS11_E_NS1_11comp_targetILNS1_3genE6ELNS1_11target_archE950ELNS1_3gpuE13ELNS1_3repE0EEENS1_47radix_sort_onesweep_sort_config_static_selectorELNS0_4arch9wavefront6targetE1EEEvSI_.has_recursion, 0
	.set _ZN7rocprim17ROCPRIM_400000_NS6detail17trampoline_kernelINS0_14default_configENS1_35radix_sort_onesweep_config_selectorIddEEZZNS1_29radix_sort_onesweep_iterationIS3_Lb0EN6thrust23THRUST_200600_302600_NS6detail15normal_iteratorINS8_10device_ptrIdEEEESD_SD_SD_jNS0_19identity_decomposerENS1_16block_id_wrapperIjLb0EEEEE10hipError_tT1_PNSt15iterator_traitsISI_E10value_typeET2_T3_PNSJ_ISO_E10value_typeET4_T5_PST_SU_PNS1_23onesweep_lookback_stateEbbT6_jjT7_P12ihipStream_tbENKUlT_T0_SI_SN_E_clIPdSD_S15_SD_EEDaS11_S12_SI_SN_EUlS11_E_NS1_11comp_targetILNS1_3genE6ELNS1_11target_archE950ELNS1_3gpuE13ELNS1_3repE0EEENS1_47radix_sort_onesweep_sort_config_static_selectorELNS0_4arch9wavefront6targetE1EEEvSI_.has_indirect_call, 0
	.section	.AMDGPU.csdata,"",@progbits
; Kernel info:
; codeLenInByte = 13724
; TotalNumSgprs: 62
; NumVgprs: 58
; NumAgprs: 0
; TotalNumVgprs: 58
; ScratchSize: 48
; MemoryBound: 0
; FloatMode: 240
; IeeeMode: 1
; LDSByteSize: 53328 bytes/workgroup (compile time only)
; SGPRBlocks: 7
; VGPRBlocks: 7
; NumSGPRsForWavesPerEU: 62
; NumVGPRsForWavesPerEU: 58
; AccumOffset: 60
; Occupancy: 8
; WaveLimiterHint : 1
; COMPUTE_PGM_RSRC2:SCRATCH_EN: 1
; COMPUTE_PGM_RSRC2:USER_SGPR: 4
; COMPUTE_PGM_RSRC2:TRAP_HANDLER: 0
; COMPUTE_PGM_RSRC2:TGID_X_EN: 1
; COMPUTE_PGM_RSRC2:TGID_Y_EN: 0
; COMPUTE_PGM_RSRC2:TGID_Z_EN: 0
; COMPUTE_PGM_RSRC2:TIDIG_COMP_CNT: 2
; COMPUTE_PGM_RSRC3_GFX90A:ACCUM_OFFSET: 14
; COMPUTE_PGM_RSRC3_GFX90A:TG_SPLIT: 0
	.section	.text._ZN7rocprim17ROCPRIM_400000_NS6detail17trampoline_kernelINS0_14default_configENS1_35radix_sort_onesweep_config_selectorIddEEZZNS1_29radix_sort_onesweep_iterationIS3_Lb0EN6thrust23THRUST_200600_302600_NS6detail15normal_iteratorINS8_10device_ptrIdEEEESD_SD_SD_jNS0_19identity_decomposerENS1_16block_id_wrapperIjLb0EEEEE10hipError_tT1_PNSt15iterator_traitsISI_E10value_typeET2_T3_PNSJ_ISO_E10value_typeET4_T5_PST_SU_PNS1_23onesweep_lookback_stateEbbT6_jjT7_P12ihipStream_tbENKUlT_T0_SI_SN_E_clIPdSD_S15_SD_EEDaS11_S12_SI_SN_EUlS11_E_NS1_11comp_targetILNS1_3genE5ELNS1_11target_archE942ELNS1_3gpuE9ELNS1_3repE0EEENS1_47radix_sort_onesweep_sort_config_static_selectorELNS0_4arch9wavefront6targetE1EEEvSI_,"axG",@progbits,_ZN7rocprim17ROCPRIM_400000_NS6detail17trampoline_kernelINS0_14default_configENS1_35radix_sort_onesweep_config_selectorIddEEZZNS1_29radix_sort_onesweep_iterationIS3_Lb0EN6thrust23THRUST_200600_302600_NS6detail15normal_iteratorINS8_10device_ptrIdEEEESD_SD_SD_jNS0_19identity_decomposerENS1_16block_id_wrapperIjLb0EEEEE10hipError_tT1_PNSt15iterator_traitsISI_E10value_typeET2_T3_PNSJ_ISO_E10value_typeET4_T5_PST_SU_PNS1_23onesweep_lookback_stateEbbT6_jjT7_P12ihipStream_tbENKUlT_T0_SI_SN_E_clIPdSD_S15_SD_EEDaS11_S12_SI_SN_EUlS11_E_NS1_11comp_targetILNS1_3genE5ELNS1_11target_archE942ELNS1_3gpuE9ELNS1_3repE0EEENS1_47radix_sort_onesweep_sort_config_static_selectorELNS0_4arch9wavefront6targetE1EEEvSI_,comdat
	.protected	_ZN7rocprim17ROCPRIM_400000_NS6detail17trampoline_kernelINS0_14default_configENS1_35radix_sort_onesweep_config_selectorIddEEZZNS1_29radix_sort_onesweep_iterationIS3_Lb0EN6thrust23THRUST_200600_302600_NS6detail15normal_iteratorINS8_10device_ptrIdEEEESD_SD_SD_jNS0_19identity_decomposerENS1_16block_id_wrapperIjLb0EEEEE10hipError_tT1_PNSt15iterator_traitsISI_E10value_typeET2_T3_PNSJ_ISO_E10value_typeET4_T5_PST_SU_PNS1_23onesweep_lookback_stateEbbT6_jjT7_P12ihipStream_tbENKUlT_T0_SI_SN_E_clIPdSD_S15_SD_EEDaS11_S12_SI_SN_EUlS11_E_NS1_11comp_targetILNS1_3genE5ELNS1_11target_archE942ELNS1_3gpuE9ELNS1_3repE0EEENS1_47radix_sort_onesweep_sort_config_static_selectorELNS0_4arch9wavefront6targetE1EEEvSI_ ; -- Begin function _ZN7rocprim17ROCPRIM_400000_NS6detail17trampoline_kernelINS0_14default_configENS1_35radix_sort_onesweep_config_selectorIddEEZZNS1_29radix_sort_onesweep_iterationIS3_Lb0EN6thrust23THRUST_200600_302600_NS6detail15normal_iteratorINS8_10device_ptrIdEEEESD_SD_SD_jNS0_19identity_decomposerENS1_16block_id_wrapperIjLb0EEEEE10hipError_tT1_PNSt15iterator_traitsISI_E10value_typeET2_T3_PNSJ_ISO_E10value_typeET4_T5_PST_SU_PNS1_23onesweep_lookback_stateEbbT6_jjT7_P12ihipStream_tbENKUlT_T0_SI_SN_E_clIPdSD_S15_SD_EEDaS11_S12_SI_SN_EUlS11_E_NS1_11comp_targetILNS1_3genE5ELNS1_11target_archE942ELNS1_3gpuE9ELNS1_3repE0EEENS1_47radix_sort_onesweep_sort_config_static_selectorELNS0_4arch9wavefront6targetE1EEEvSI_
	.globl	_ZN7rocprim17ROCPRIM_400000_NS6detail17trampoline_kernelINS0_14default_configENS1_35radix_sort_onesweep_config_selectorIddEEZZNS1_29radix_sort_onesweep_iterationIS3_Lb0EN6thrust23THRUST_200600_302600_NS6detail15normal_iteratorINS8_10device_ptrIdEEEESD_SD_SD_jNS0_19identity_decomposerENS1_16block_id_wrapperIjLb0EEEEE10hipError_tT1_PNSt15iterator_traitsISI_E10value_typeET2_T3_PNSJ_ISO_E10value_typeET4_T5_PST_SU_PNS1_23onesweep_lookback_stateEbbT6_jjT7_P12ihipStream_tbENKUlT_T0_SI_SN_E_clIPdSD_S15_SD_EEDaS11_S12_SI_SN_EUlS11_E_NS1_11comp_targetILNS1_3genE5ELNS1_11target_archE942ELNS1_3gpuE9ELNS1_3repE0EEENS1_47radix_sort_onesweep_sort_config_static_selectorELNS0_4arch9wavefront6targetE1EEEvSI_
	.p2align	8
	.type	_ZN7rocprim17ROCPRIM_400000_NS6detail17trampoline_kernelINS0_14default_configENS1_35radix_sort_onesweep_config_selectorIddEEZZNS1_29radix_sort_onesweep_iterationIS3_Lb0EN6thrust23THRUST_200600_302600_NS6detail15normal_iteratorINS8_10device_ptrIdEEEESD_SD_SD_jNS0_19identity_decomposerENS1_16block_id_wrapperIjLb0EEEEE10hipError_tT1_PNSt15iterator_traitsISI_E10value_typeET2_T3_PNSJ_ISO_E10value_typeET4_T5_PST_SU_PNS1_23onesweep_lookback_stateEbbT6_jjT7_P12ihipStream_tbENKUlT_T0_SI_SN_E_clIPdSD_S15_SD_EEDaS11_S12_SI_SN_EUlS11_E_NS1_11comp_targetILNS1_3genE5ELNS1_11target_archE942ELNS1_3gpuE9ELNS1_3repE0EEENS1_47radix_sort_onesweep_sort_config_static_selectorELNS0_4arch9wavefront6targetE1EEEvSI_,@function
_ZN7rocprim17ROCPRIM_400000_NS6detail17trampoline_kernelINS0_14default_configENS1_35radix_sort_onesweep_config_selectorIddEEZZNS1_29radix_sort_onesweep_iterationIS3_Lb0EN6thrust23THRUST_200600_302600_NS6detail15normal_iteratorINS8_10device_ptrIdEEEESD_SD_SD_jNS0_19identity_decomposerENS1_16block_id_wrapperIjLb0EEEEE10hipError_tT1_PNSt15iterator_traitsISI_E10value_typeET2_T3_PNSJ_ISO_E10value_typeET4_T5_PST_SU_PNS1_23onesweep_lookback_stateEbbT6_jjT7_P12ihipStream_tbENKUlT_T0_SI_SN_E_clIPdSD_S15_SD_EEDaS11_S12_SI_SN_EUlS11_E_NS1_11comp_targetILNS1_3genE5ELNS1_11target_archE942ELNS1_3gpuE9ELNS1_3repE0EEENS1_47radix_sort_onesweep_sort_config_static_selectorELNS0_4arch9wavefront6targetE1EEEvSI_: ; @_ZN7rocprim17ROCPRIM_400000_NS6detail17trampoline_kernelINS0_14default_configENS1_35radix_sort_onesweep_config_selectorIddEEZZNS1_29radix_sort_onesweep_iterationIS3_Lb0EN6thrust23THRUST_200600_302600_NS6detail15normal_iteratorINS8_10device_ptrIdEEEESD_SD_SD_jNS0_19identity_decomposerENS1_16block_id_wrapperIjLb0EEEEE10hipError_tT1_PNSt15iterator_traitsISI_E10value_typeET2_T3_PNSJ_ISO_E10value_typeET4_T5_PST_SU_PNS1_23onesweep_lookback_stateEbbT6_jjT7_P12ihipStream_tbENKUlT_T0_SI_SN_E_clIPdSD_S15_SD_EEDaS11_S12_SI_SN_EUlS11_E_NS1_11comp_targetILNS1_3genE5ELNS1_11target_archE942ELNS1_3gpuE9ELNS1_3repE0EEENS1_47radix_sort_onesweep_sort_config_static_selectorELNS0_4arch9wavefront6targetE1EEEvSI_
; %bb.0:
	.section	.rodata,"a",@progbits
	.p2align	6, 0x0
	.amdhsa_kernel _ZN7rocprim17ROCPRIM_400000_NS6detail17trampoline_kernelINS0_14default_configENS1_35radix_sort_onesweep_config_selectorIddEEZZNS1_29radix_sort_onesweep_iterationIS3_Lb0EN6thrust23THRUST_200600_302600_NS6detail15normal_iteratorINS8_10device_ptrIdEEEESD_SD_SD_jNS0_19identity_decomposerENS1_16block_id_wrapperIjLb0EEEEE10hipError_tT1_PNSt15iterator_traitsISI_E10value_typeET2_T3_PNSJ_ISO_E10value_typeET4_T5_PST_SU_PNS1_23onesweep_lookback_stateEbbT6_jjT7_P12ihipStream_tbENKUlT_T0_SI_SN_E_clIPdSD_S15_SD_EEDaS11_S12_SI_SN_EUlS11_E_NS1_11comp_targetILNS1_3genE5ELNS1_11target_archE942ELNS1_3gpuE9ELNS1_3repE0EEENS1_47radix_sort_onesweep_sort_config_static_selectorELNS0_4arch9wavefront6targetE1EEEvSI_
		.amdhsa_group_segment_fixed_size 0
		.amdhsa_private_segment_fixed_size 0
		.amdhsa_kernarg_size 88
		.amdhsa_user_sgpr_count 2
		.amdhsa_user_sgpr_dispatch_ptr 0
		.amdhsa_user_sgpr_queue_ptr 0
		.amdhsa_user_sgpr_kernarg_segment_ptr 1
		.amdhsa_user_sgpr_dispatch_id 0
		.amdhsa_user_sgpr_kernarg_preload_length 0
		.amdhsa_user_sgpr_kernarg_preload_offset 0
		.amdhsa_user_sgpr_private_segment_size 0
		.amdhsa_uses_dynamic_stack 0
		.amdhsa_enable_private_segment 0
		.amdhsa_system_sgpr_workgroup_id_x 1
		.amdhsa_system_sgpr_workgroup_id_y 0
		.amdhsa_system_sgpr_workgroup_id_z 0
		.amdhsa_system_sgpr_workgroup_info 0
		.amdhsa_system_vgpr_workitem_id 0
		.amdhsa_next_free_vgpr 1
		.amdhsa_next_free_sgpr 0
		.amdhsa_accum_offset 4
		.amdhsa_reserve_vcc 0
		.amdhsa_float_round_mode_32 0
		.amdhsa_float_round_mode_16_64 0
		.amdhsa_float_denorm_mode_32 3
		.amdhsa_float_denorm_mode_16_64 3
		.amdhsa_dx10_clamp 1
		.amdhsa_ieee_mode 1
		.amdhsa_fp16_overflow 0
		.amdhsa_tg_split 0
		.amdhsa_exception_fp_ieee_invalid_op 0
		.amdhsa_exception_fp_denorm_src 0
		.amdhsa_exception_fp_ieee_div_zero 0
		.amdhsa_exception_fp_ieee_overflow 0
		.amdhsa_exception_fp_ieee_underflow 0
		.amdhsa_exception_fp_ieee_inexact 0
		.amdhsa_exception_int_div_zero 0
	.end_amdhsa_kernel
	.section	.text._ZN7rocprim17ROCPRIM_400000_NS6detail17trampoline_kernelINS0_14default_configENS1_35radix_sort_onesweep_config_selectorIddEEZZNS1_29radix_sort_onesweep_iterationIS3_Lb0EN6thrust23THRUST_200600_302600_NS6detail15normal_iteratorINS8_10device_ptrIdEEEESD_SD_SD_jNS0_19identity_decomposerENS1_16block_id_wrapperIjLb0EEEEE10hipError_tT1_PNSt15iterator_traitsISI_E10value_typeET2_T3_PNSJ_ISO_E10value_typeET4_T5_PST_SU_PNS1_23onesweep_lookback_stateEbbT6_jjT7_P12ihipStream_tbENKUlT_T0_SI_SN_E_clIPdSD_S15_SD_EEDaS11_S12_SI_SN_EUlS11_E_NS1_11comp_targetILNS1_3genE5ELNS1_11target_archE942ELNS1_3gpuE9ELNS1_3repE0EEENS1_47radix_sort_onesweep_sort_config_static_selectorELNS0_4arch9wavefront6targetE1EEEvSI_,"axG",@progbits,_ZN7rocprim17ROCPRIM_400000_NS6detail17trampoline_kernelINS0_14default_configENS1_35radix_sort_onesweep_config_selectorIddEEZZNS1_29radix_sort_onesweep_iterationIS3_Lb0EN6thrust23THRUST_200600_302600_NS6detail15normal_iteratorINS8_10device_ptrIdEEEESD_SD_SD_jNS0_19identity_decomposerENS1_16block_id_wrapperIjLb0EEEEE10hipError_tT1_PNSt15iterator_traitsISI_E10value_typeET2_T3_PNSJ_ISO_E10value_typeET4_T5_PST_SU_PNS1_23onesweep_lookback_stateEbbT6_jjT7_P12ihipStream_tbENKUlT_T0_SI_SN_E_clIPdSD_S15_SD_EEDaS11_S12_SI_SN_EUlS11_E_NS1_11comp_targetILNS1_3genE5ELNS1_11target_archE942ELNS1_3gpuE9ELNS1_3repE0EEENS1_47radix_sort_onesweep_sort_config_static_selectorELNS0_4arch9wavefront6targetE1EEEvSI_,comdat
.Lfunc_end156:
	.size	_ZN7rocprim17ROCPRIM_400000_NS6detail17trampoline_kernelINS0_14default_configENS1_35radix_sort_onesweep_config_selectorIddEEZZNS1_29radix_sort_onesweep_iterationIS3_Lb0EN6thrust23THRUST_200600_302600_NS6detail15normal_iteratorINS8_10device_ptrIdEEEESD_SD_SD_jNS0_19identity_decomposerENS1_16block_id_wrapperIjLb0EEEEE10hipError_tT1_PNSt15iterator_traitsISI_E10value_typeET2_T3_PNSJ_ISO_E10value_typeET4_T5_PST_SU_PNS1_23onesweep_lookback_stateEbbT6_jjT7_P12ihipStream_tbENKUlT_T0_SI_SN_E_clIPdSD_S15_SD_EEDaS11_S12_SI_SN_EUlS11_E_NS1_11comp_targetILNS1_3genE5ELNS1_11target_archE942ELNS1_3gpuE9ELNS1_3repE0EEENS1_47radix_sort_onesweep_sort_config_static_selectorELNS0_4arch9wavefront6targetE1EEEvSI_, .Lfunc_end156-_ZN7rocprim17ROCPRIM_400000_NS6detail17trampoline_kernelINS0_14default_configENS1_35radix_sort_onesweep_config_selectorIddEEZZNS1_29radix_sort_onesweep_iterationIS3_Lb0EN6thrust23THRUST_200600_302600_NS6detail15normal_iteratorINS8_10device_ptrIdEEEESD_SD_SD_jNS0_19identity_decomposerENS1_16block_id_wrapperIjLb0EEEEE10hipError_tT1_PNSt15iterator_traitsISI_E10value_typeET2_T3_PNSJ_ISO_E10value_typeET4_T5_PST_SU_PNS1_23onesweep_lookback_stateEbbT6_jjT7_P12ihipStream_tbENKUlT_T0_SI_SN_E_clIPdSD_S15_SD_EEDaS11_S12_SI_SN_EUlS11_E_NS1_11comp_targetILNS1_3genE5ELNS1_11target_archE942ELNS1_3gpuE9ELNS1_3repE0EEENS1_47radix_sort_onesweep_sort_config_static_selectorELNS0_4arch9wavefront6targetE1EEEvSI_
                                        ; -- End function
	.set _ZN7rocprim17ROCPRIM_400000_NS6detail17trampoline_kernelINS0_14default_configENS1_35radix_sort_onesweep_config_selectorIddEEZZNS1_29radix_sort_onesweep_iterationIS3_Lb0EN6thrust23THRUST_200600_302600_NS6detail15normal_iteratorINS8_10device_ptrIdEEEESD_SD_SD_jNS0_19identity_decomposerENS1_16block_id_wrapperIjLb0EEEEE10hipError_tT1_PNSt15iterator_traitsISI_E10value_typeET2_T3_PNSJ_ISO_E10value_typeET4_T5_PST_SU_PNS1_23onesweep_lookback_stateEbbT6_jjT7_P12ihipStream_tbENKUlT_T0_SI_SN_E_clIPdSD_S15_SD_EEDaS11_S12_SI_SN_EUlS11_E_NS1_11comp_targetILNS1_3genE5ELNS1_11target_archE942ELNS1_3gpuE9ELNS1_3repE0EEENS1_47radix_sort_onesweep_sort_config_static_selectorELNS0_4arch9wavefront6targetE1EEEvSI_.num_vgpr, 0
	.set _ZN7rocprim17ROCPRIM_400000_NS6detail17trampoline_kernelINS0_14default_configENS1_35radix_sort_onesweep_config_selectorIddEEZZNS1_29radix_sort_onesweep_iterationIS3_Lb0EN6thrust23THRUST_200600_302600_NS6detail15normal_iteratorINS8_10device_ptrIdEEEESD_SD_SD_jNS0_19identity_decomposerENS1_16block_id_wrapperIjLb0EEEEE10hipError_tT1_PNSt15iterator_traitsISI_E10value_typeET2_T3_PNSJ_ISO_E10value_typeET4_T5_PST_SU_PNS1_23onesweep_lookback_stateEbbT6_jjT7_P12ihipStream_tbENKUlT_T0_SI_SN_E_clIPdSD_S15_SD_EEDaS11_S12_SI_SN_EUlS11_E_NS1_11comp_targetILNS1_3genE5ELNS1_11target_archE942ELNS1_3gpuE9ELNS1_3repE0EEENS1_47radix_sort_onesweep_sort_config_static_selectorELNS0_4arch9wavefront6targetE1EEEvSI_.num_agpr, 0
	.set _ZN7rocprim17ROCPRIM_400000_NS6detail17trampoline_kernelINS0_14default_configENS1_35radix_sort_onesweep_config_selectorIddEEZZNS1_29radix_sort_onesweep_iterationIS3_Lb0EN6thrust23THRUST_200600_302600_NS6detail15normal_iteratorINS8_10device_ptrIdEEEESD_SD_SD_jNS0_19identity_decomposerENS1_16block_id_wrapperIjLb0EEEEE10hipError_tT1_PNSt15iterator_traitsISI_E10value_typeET2_T3_PNSJ_ISO_E10value_typeET4_T5_PST_SU_PNS1_23onesweep_lookback_stateEbbT6_jjT7_P12ihipStream_tbENKUlT_T0_SI_SN_E_clIPdSD_S15_SD_EEDaS11_S12_SI_SN_EUlS11_E_NS1_11comp_targetILNS1_3genE5ELNS1_11target_archE942ELNS1_3gpuE9ELNS1_3repE0EEENS1_47radix_sort_onesweep_sort_config_static_selectorELNS0_4arch9wavefront6targetE1EEEvSI_.numbered_sgpr, 0
	.set _ZN7rocprim17ROCPRIM_400000_NS6detail17trampoline_kernelINS0_14default_configENS1_35radix_sort_onesweep_config_selectorIddEEZZNS1_29radix_sort_onesweep_iterationIS3_Lb0EN6thrust23THRUST_200600_302600_NS6detail15normal_iteratorINS8_10device_ptrIdEEEESD_SD_SD_jNS0_19identity_decomposerENS1_16block_id_wrapperIjLb0EEEEE10hipError_tT1_PNSt15iterator_traitsISI_E10value_typeET2_T3_PNSJ_ISO_E10value_typeET4_T5_PST_SU_PNS1_23onesweep_lookback_stateEbbT6_jjT7_P12ihipStream_tbENKUlT_T0_SI_SN_E_clIPdSD_S15_SD_EEDaS11_S12_SI_SN_EUlS11_E_NS1_11comp_targetILNS1_3genE5ELNS1_11target_archE942ELNS1_3gpuE9ELNS1_3repE0EEENS1_47radix_sort_onesweep_sort_config_static_selectorELNS0_4arch9wavefront6targetE1EEEvSI_.num_named_barrier, 0
	.set _ZN7rocprim17ROCPRIM_400000_NS6detail17trampoline_kernelINS0_14default_configENS1_35radix_sort_onesweep_config_selectorIddEEZZNS1_29radix_sort_onesweep_iterationIS3_Lb0EN6thrust23THRUST_200600_302600_NS6detail15normal_iteratorINS8_10device_ptrIdEEEESD_SD_SD_jNS0_19identity_decomposerENS1_16block_id_wrapperIjLb0EEEEE10hipError_tT1_PNSt15iterator_traitsISI_E10value_typeET2_T3_PNSJ_ISO_E10value_typeET4_T5_PST_SU_PNS1_23onesweep_lookback_stateEbbT6_jjT7_P12ihipStream_tbENKUlT_T0_SI_SN_E_clIPdSD_S15_SD_EEDaS11_S12_SI_SN_EUlS11_E_NS1_11comp_targetILNS1_3genE5ELNS1_11target_archE942ELNS1_3gpuE9ELNS1_3repE0EEENS1_47radix_sort_onesweep_sort_config_static_selectorELNS0_4arch9wavefront6targetE1EEEvSI_.private_seg_size, 0
	.set _ZN7rocprim17ROCPRIM_400000_NS6detail17trampoline_kernelINS0_14default_configENS1_35radix_sort_onesweep_config_selectorIddEEZZNS1_29radix_sort_onesweep_iterationIS3_Lb0EN6thrust23THRUST_200600_302600_NS6detail15normal_iteratorINS8_10device_ptrIdEEEESD_SD_SD_jNS0_19identity_decomposerENS1_16block_id_wrapperIjLb0EEEEE10hipError_tT1_PNSt15iterator_traitsISI_E10value_typeET2_T3_PNSJ_ISO_E10value_typeET4_T5_PST_SU_PNS1_23onesweep_lookback_stateEbbT6_jjT7_P12ihipStream_tbENKUlT_T0_SI_SN_E_clIPdSD_S15_SD_EEDaS11_S12_SI_SN_EUlS11_E_NS1_11comp_targetILNS1_3genE5ELNS1_11target_archE942ELNS1_3gpuE9ELNS1_3repE0EEENS1_47radix_sort_onesweep_sort_config_static_selectorELNS0_4arch9wavefront6targetE1EEEvSI_.uses_vcc, 0
	.set _ZN7rocprim17ROCPRIM_400000_NS6detail17trampoline_kernelINS0_14default_configENS1_35radix_sort_onesweep_config_selectorIddEEZZNS1_29radix_sort_onesweep_iterationIS3_Lb0EN6thrust23THRUST_200600_302600_NS6detail15normal_iteratorINS8_10device_ptrIdEEEESD_SD_SD_jNS0_19identity_decomposerENS1_16block_id_wrapperIjLb0EEEEE10hipError_tT1_PNSt15iterator_traitsISI_E10value_typeET2_T3_PNSJ_ISO_E10value_typeET4_T5_PST_SU_PNS1_23onesweep_lookback_stateEbbT6_jjT7_P12ihipStream_tbENKUlT_T0_SI_SN_E_clIPdSD_S15_SD_EEDaS11_S12_SI_SN_EUlS11_E_NS1_11comp_targetILNS1_3genE5ELNS1_11target_archE942ELNS1_3gpuE9ELNS1_3repE0EEENS1_47radix_sort_onesweep_sort_config_static_selectorELNS0_4arch9wavefront6targetE1EEEvSI_.uses_flat_scratch, 0
	.set _ZN7rocprim17ROCPRIM_400000_NS6detail17trampoline_kernelINS0_14default_configENS1_35radix_sort_onesweep_config_selectorIddEEZZNS1_29radix_sort_onesweep_iterationIS3_Lb0EN6thrust23THRUST_200600_302600_NS6detail15normal_iteratorINS8_10device_ptrIdEEEESD_SD_SD_jNS0_19identity_decomposerENS1_16block_id_wrapperIjLb0EEEEE10hipError_tT1_PNSt15iterator_traitsISI_E10value_typeET2_T3_PNSJ_ISO_E10value_typeET4_T5_PST_SU_PNS1_23onesweep_lookback_stateEbbT6_jjT7_P12ihipStream_tbENKUlT_T0_SI_SN_E_clIPdSD_S15_SD_EEDaS11_S12_SI_SN_EUlS11_E_NS1_11comp_targetILNS1_3genE5ELNS1_11target_archE942ELNS1_3gpuE9ELNS1_3repE0EEENS1_47radix_sort_onesweep_sort_config_static_selectorELNS0_4arch9wavefront6targetE1EEEvSI_.has_dyn_sized_stack, 0
	.set _ZN7rocprim17ROCPRIM_400000_NS6detail17trampoline_kernelINS0_14default_configENS1_35radix_sort_onesweep_config_selectorIddEEZZNS1_29radix_sort_onesweep_iterationIS3_Lb0EN6thrust23THRUST_200600_302600_NS6detail15normal_iteratorINS8_10device_ptrIdEEEESD_SD_SD_jNS0_19identity_decomposerENS1_16block_id_wrapperIjLb0EEEEE10hipError_tT1_PNSt15iterator_traitsISI_E10value_typeET2_T3_PNSJ_ISO_E10value_typeET4_T5_PST_SU_PNS1_23onesweep_lookback_stateEbbT6_jjT7_P12ihipStream_tbENKUlT_T0_SI_SN_E_clIPdSD_S15_SD_EEDaS11_S12_SI_SN_EUlS11_E_NS1_11comp_targetILNS1_3genE5ELNS1_11target_archE942ELNS1_3gpuE9ELNS1_3repE0EEENS1_47radix_sort_onesweep_sort_config_static_selectorELNS0_4arch9wavefront6targetE1EEEvSI_.has_recursion, 0
	.set _ZN7rocprim17ROCPRIM_400000_NS6detail17trampoline_kernelINS0_14default_configENS1_35radix_sort_onesweep_config_selectorIddEEZZNS1_29radix_sort_onesweep_iterationIS3_Lb0EN6thrust23THRUST_200600_302600_NS6detail15normal_iteratorINS8_10device_ptrIdEEEESD_SD_SD_jNS0_19identity_decomposerENS1_16block_id_wrapperIjLb0EEEEE10hipError_tT1_PNSt15iterator_traitsISI_E10value_typeET2_T3_PNSJ_ISO_E10value_typeET4_T5_PST_SU_PNS1_23onesweep_lookback_stateEbbT6_jjT7_P12ihipStream_tbENKUlT_T0_SI_SN_E_clIPdSD_S15_SD_EEDaS11_S12_SI_SN_EUlS11_E_NS1_11comp_targetILNS1_3genE5ELNS1_11target_archE942ELNS1_3gpuE9ELNS1_3repE0EEENS1_47radix_sort_onesweep_sort_config_static_selectorELNS0_4arch9wavefront6targetE1EEEvSI_.has_indirect_call, 0
	.section	.AMDGPU.csdata,"",@progbits
; Kernel info:
; codeLenInByte = 0
; TotalNumSgprs: 6
; NumVgprs: 0
; NumAgprs: 0
; TotalNumVgprs: 0
; ScratchSize: 0
; MemoryBound: 0
; FloatMode: 240
; IeeeMode: 1
; LDSByteSize: 0 bytes/workgroup (compile time only)
; SGPRBlocks: 0
; VGPRBlocks: 0
; NumSGPRsForWavesPerEU: 6
; NumVGPRsForWavesPerEU: 1
; AccumOffset: 4
; Occupancy: 8
; WaveLimiterHint : 0
; COMPUTE_PGM_RSRC2:SCRATCH_EN: 0
; COMPUTE_PGM_RSRC2:USER_SGPR: 2
; COMPUTE_PGM_RSRC2:TRAP_HANDLER: 0
; COMPUTE_PGM_RSRC2:TGID_X_EN: 1
; COMPUTE_PGM_RSRC2:TGID_Y_EN: 0
; COMPUTE_PGM_RSRC2:TGID_Z_EN: 0
; COMPUTE_PGM_RSRC2:TIDIG_COMP_CNT: 0
; COMPUTE_PGM_RSRC3_GFX90A:ACCUM_OFFSET: 0
; COMPUTE_PGM_RSRC3_GFX90A:TG_SPLIT: 0
	.section	.text._ZN7rocprim17ROCPRIM_400000_NS6detail17trampoline_kernelINS0_14default_configENS1_35radix_sort_onesweep_config_selectorIddEEZZNS1_29radix_sort_onesweep_iterationIS3_Lb0EN6thrust23THRUST_200600_302600_NS6detail15normal_iteratorINS8_10device_ptrIdEEEESD_SD_SD_jNS0_19identity_decomposerENS1_16block_id_wrapperIjLb0EEEEE10hipError_tT1_PNSt15iterator_traitsISI_E10value_typeET2_T3_PNSJ_ISO_E10value_typeET4_T5_PST_SU_PNS1_23onesweep_lookback_stateEbbT6_jjT7_P12ihipStream_tbENKUlT_T0_SI_SN_E_clIPdSD_S15_SD_EEDaS11_S12_SI_SN_EUlS11_E_NS1_11comp_targetILNS1_3genE2ELNS1_11target_archE906ELNS1_3gpuE6ELNS1_3repE0EEENS1_47radix_sort_onesweep_sort_config_static_selectorELNS0_4arch9wavefront6targetE1EEEvSI_,"axG",@progbits,_ZN7rocprim17ROCPRIM_400000_NS6detail17trampoline_kernelINS0_14default_configENS1_35radix_sort_onesweep_config_selectorIddEEZZNS1_29radix_sort_onesweep_iterationIS3_Lb0EN6thrust23THRUST_200600_302600_NS6detail15normal_iteratorINS8_10device_ptrIdEEEESD_SD_SD_jNS0_19identity_decomposerENS1_16block_id_wrapperIjLb0EEEEE10hipError_tT1_PNSt15iterator_traitsISI_E10value_typeET2_T3_PNSJ_ISO_E10value_typeET4_T5_PST_SU_PNS1_23onesweep_lookback_stateEbbT6_jjT7_P12ihipStream_tbENKUlT_T0_SI_SN_E_clIPdSD_S15_SD_EEDaS11_S12_SI_SN_EUlS11_E_NS1_11comp_targetILNS1_3genE2ELNS1_11target_archE906ELNS1_3gpuE6ELNS1_3repE0EEENS1_47radix_sort_onesweep_sort_config_static_selectorELNS0_4arch9wavefront6targetE1EEEvSI_,comdat
	.protected	_ZN7rocprim17ROCPRIM_400000_NS6detail17trampoline_kernelINS0_14default_configENS1_35radix_sort_onesweep_config_selectorIddEEZZNS1_29radix_sort_onesweep_iterationIS3_Lb0EN6thrust23THRUST_200600_302600_NS6detail15normal_iteratorINS8_10device_ptrIdEEEESD_SD_SD_jNS0_19identity_decomposerENS1_16block_id_wrapperIjLb0EEEEE10hipError_tT1_PNSt15iterator_traitsISI_E10value_typeET2_T3_PNSJ_ISO_E10value_typeET4_T5_PST_SU_PNS1_23onesweep_lookback_stateEbbT6_jjT7_P12ihipStream_tbENKUlT_T0_SI_SN_E_clIPdSD_S15_SD_EEDaS11_S12_SI_SN_EUlS11_E_NS1_11comp_targetILNS1_3genE2ELNS1_11target_archE906ELNS1_3gpuE6ELNS1_3repE0EEENS1_47radix_sort_onesweep_sort_config_static_selectorELNS0_4arch9wavefront6targetE1EEEvSI_ ; -- Begin function _ZN7rocprim17ROCPRIM_400000_NS6detail17trampoline_kernelINS0_14default_configENS1_35radix_sort_onesweep_config_selectorIddEEZZNS1_29radix_sort_onesweep_iterationIS3_Lb0EN6thrust23THRUST_200600_302600_NS6detail15normal_iteratorINS8_10device_ptrIdEEEESD_SD_SD_jNS0_19identity_decomposerENS1_16block_id_wrapperIjLb0EEEEE10hipError_tT1_PNSt15iterator_traitsISI_E10value_typeET2_T3_PNSJ_ISO_E10value_typeET4_T5_PST_SU_PNS1_23onesweep_lookback_stateEbbT6_jjT7_P12ihipStream_tbENKUlT_T0_SI_SN_E_clIPdSD_S15_SD_EEDaS11_S12_SI_SN_EUlS11_E_NS1_11comp_targetILNS1_3genE2ELNS1_11target_archE906ELNS1_3gpuE6ELNS1_3repE0EEENS1_47radix_sort_onesweep_sort_config_static_selectorELNS0_4arch9wavefront6targetE1EEEvSI_
	.globl	_ZN7rocprim17ROCPRIM_400000_NS6detail17trampoline_kernelINS0_14default_configENS1_35radix_sort_onesweep_config_selectorIddEEZZNS1_29radix_sort_onesweep_iterationIS3_Lb0EN6thrust23THRUST_200600_302600_NS6detail15normal_iteratorINS8_10device_ptrIdEEEESD_SD_SD_jNS0_19identity_decomposerENS1_16block_id_wrapperIjLb0EEEEE10hipError_tT1_PNSt15iterator_traitsISI_E10value_typeET2_T3_PNSJ_ISO_E10value_typeET4_T5_PST_SU_PNS1_23onesweep_lookback_stateEbbT6_jjT7_P12ihipStream_tbENKUlT_T0_SI_SN_E_clIPdSD_S15_SD_EEDaS11_S12_SI_SN_EUlS11_E_NS1_11comp_targetILNS1_3genE2ELNS1_11target_archE906ELNS1_3gpuE6ELNS1_3repE0EEENS1_47radix_sort_onesweep_sort_config_static_selectorELNS0_4arch9wavefront6targetE1EEEvSI_
	.p2align	8
	.type	_ZN7rocprim17ROCPRIM_400000_NS6detail17trampoline_kernelINS0_14default_configENS1_35radix_sort_onesweep_config_selectorIddEEZZNS1_29radix_sort_onesweep_iterationIS3_Lb0EN6thrust23THRUST_200600_302600_NS6detail15normal_iteratorINS8_10device_ptrIdEEEESD_SD_SD_jNS0_19identity_decomposerENS1_16block_id_wrapperIjLb0EEEEE10hipError_tT1_PNSt15iterator_traitsISI_E10value_typeET2_T3_PNSJ_ISO_E10value_typeET4_T5_PST_SU_PNS1_23onesweep_lookback_stateEbbT6_jjT7_P12ihipStream_tbENKUlT_T0_SI_SN_E_clIPdSD_S15_SD_EEDaS11_S12_SI_SN_EUlS11_E_NS1_11comp_targetILNS1_3genE2ELNS1_11target_archE906ELNS1_3gpuE6ELNS1_3repE0EEENS1_47radix_sort_onesweep_sort_config_static_selectorELNS0_4arch9wavefront6targetE1EEEvSI_,@function
_ZN7rocprim17ROCPRIM_400000_NS6detail17trampoline_kernelINS0_14default_configENS1_35radix_sort_onesweep_config_selectorIddEEZZNS1_29radix_sort_onesweep_iterationIS3_Lb0EN6thrust23THRUST_200600_302600_NS6detail15normal_iteratorINS8_10device_ptrIdEEEESD_SD_SD_jNS0_19identity_decomposerENS1_16block_id_wrapperIjLb0EEEEE10hipError_tT1_PNSt15iterator_traitsISI_E10value_typeET2_T3_PNSJ_ISO_E10value_typeET4_T5_PST_SU_PNS1_23onesweep_lookback_stateEbbT6_jjT7_P12ihipStream_tbENKUlT_T0_SI_SN_E_clIPdSD_S15_SD_EEDaS11_S12_SI_SN_EUlS11_E_NS1_11comp_targetILNS1_3genE2ELNS1_11target_archE906ELNS1_3gpuE6ELNS1_3repE0EEENS1_47radix_sort_onesweep_sort_config_static_selectorELNS0_4arch9wavefront6targetE1EEEvSI_: ; @_ZN7rocprim17ROCPRIM_400000_NS6detail17trampoline_kernelINS0_14default_configENS1_35radix_sort_onesweep_config_selectorIddEEZZNS1_29radix_sort_onesweep_iterationIS3_Lb0EN6thrust23THRUST_200600_302600_NS6detail15normal_iteratorINS8_10device_ptrIdEEEESD_SD_SD_jNS0_19identity_decomposerENS1_16block_id_wrapperIjLb0EEEEE10hipError_tT1_PNSt15iterator_traitsISI_E10value_typeET2_T3_PNSJ_ISO_E10value_typeET4_T5_PST_SU_PNS1_23onesweep_lookback_stateEbbT6_jjT7_P12ihipStream_tbENKUlT_T0_SI_SN_E_clIPdSD_S15_SD_EEDaS11_S12_SI_SN_EUlS11_E_NS1_11comp_targetILNS1_3genE2ELNS1_11target_archE906ELNS1_3gpuE6ELNS1_3repE0EEENS1_47radix_sort_onesweep_sort_config_static_selectorELNS0_4arch9wavefront6targetE1EEEvSI_
; %bb.0:
	.section	.rodata,"a",@progbits
	.p2align	6, 0x0
	.amdhsa_kernel _ZN7rocprim17ROCPRIM_400000_NS6detail17trampoline_kernelINS0_14default_configENS1_35radix_sort_onesweep_config_selectorIddEEZZNS1_29radix_sort_onesweep_iterationIS3_Lb0EN6thrust23THRUST_200600_302600_NS6detail15normal_iteratorINS8_10device_ptrIdEEEESD_SD_SD_jNS0_19identity_decomposerENS1_16block_id_wrapperIjLb0EEEEE10hipError_tT1_PNSt15iterator_traitsISI_E10value_typeET2_T3_PNSJ_ISO_E10value_typeET4_T5_PST_SU_PNS1_23onesweep_lookback_stateEbbT6_jjT7_P12ihipStream_tbENKUlT_T0_SI_SN_E_clIPdSD_S15_SD_EEDaS11_S12_SI_SN_EUlS11_E_NS1_11comp_targetILNS1_3genE2ELNS1_11target_archE906ELNS1_3gpuE6ELNS1_3repE0EEENS1_47radix_sort_onesweep_sort_config_static_selectorELNS0_4arch9wavefront6targetE1EEEvSI_
		.amdhsa_group_segment_fixed_size 0
		.amdhsa_private_segment_fixed_size 0
		.amdhsa_kernarg_size 88
		.amdhsa_user_sgpr_count 2
		.amdhsa_user_sgpr_dispatch_ptr 0
		.amdhsa_user_sgpr_queue_ptr 0
		.amdhsa_user_sgpr_kernarg_segment_ptr 1
		.amdhsa_user_sgpr_dispatch_id 0
		.amdhsa_user_sgpr_kernarg_preload_length 0
		.amdhsa_user_sgpr_kernarg_preload_offset 0
		.amdhsa_user_sgpr_private_segment_size 0
		.amdhsa_uses_dynamic_stack 0
		.amdhsa_enable_private_segment 0
		.amdhsa_system_sgpr_workgroup_id_x 1
		.amdhsa_system_sgpr_workgroup_id_y 0
		.amdhsa_system_sgpr_workgroup_id_z 0
		.amdhsa_system_sgpr_workgroup_info 0
		.amdhsa_system_vgpr_workitem_id 0
		.amdhsa_next_free_vgpr 1
		.amdhsa_next_free_sgpr 0
		.amdhsa_accum_offset 4
		.amdhsa_reserve_vcc 0
		.amdhsa_float_round_mode_32 0
		.amdhsa_float_round_mode_16_64 0
		.amdhsa_float_denorm_mode_32 3
		.amdhsa_float_denorm_mode_16_64 3
		.amdhsa_dx10_clamp 1
		.amdhsa_ieee_mode 1
		.amdhsa_fp16_overflow 0
		.amdhsa_tg_split 0
		.amdhsa_exception_fp_ieee_invalid_op 0
		.amdhsa_exception_fp_denorm_src 0
		.amdhsa_exception_fp_ieee_div_zero 0
		.amdhsa_exception_fp_ieee_overflow 0
		.amdhsa_exception_fp_ieee_underflow 0
		.amdhsa_exception_fp_ieee_inexact 0
		.amdhsa_exception_int_div_zero 0
	.end_amdhsa_kernel
	.section	.text._ZN7rocprim17ROCPRIM_400000_NS6detail17trampoline_kernelINS0_14default_configENS1_35radix_sort_onesweep_config_selectorIddEEZZNS1_29radix_sort_onesweep_iterationIS3_Lb0EN6thrust23THRUST_200600_302600_NS6detail15normal_iteratorINS8_10device_ptrIdEEEESD_SD_SD_jNS0_19identity_decomposerENS1_16block_id_wrapperIjLb0EEEEE10hipError_tT1_PNSt15iterator_traitsISI_E10value_typeET2_T3_PNSJ_ISO_E10value_typeET4_T5_PST_SU_PNS1_23onesweep_lookback_stateEbbT6_jjT7_P12ihipStream_tbENKUlT_T0_SI_SN_E_clIPdSD_S15_SD_EEDaS11_S12_SI_SN_EUlS11_E_NS1_11comp_targetILNS1_3genE2ELNS1_11target_archE906ELNS1_3gpuE6ELNS1_3repE0EEENS1_47radix_sort_onesweep_sort_config_static_selectorELNS0_4arch9wavefront6targetE1EEEvSI_,"axG",@progbits,_ZN7rocprim17ROCPRIM_400000_NS6detail17trampoline_kernelINS0_14default_configENS1_35radix_sort_onesweep_config_selectorIddEEZZNS1_29radix_sort_onesweep_iterationIS3_Lb0EN6thrust23THRUST_200600_302600_NS6detail15normal_iteratorINS8_10device_ptrIdEEEESD_SD_SD_jNS0_19identity_decomposerENS1_16block_id_wrapperIjLb0EEEEE10hipError_tT1_PNSt15iterator_traitsISI_E10value_typeET2_T3_PNSJ_ISO_E10value_typeET4_T5_PST_SU_PNS1_23onesweep_lookback_stateEbbT6_jjT7_P12ihipStream_tbENKUlT_T0_SI_SN_E_clIPdSD_S15_SD_EEDaS11_S12_SI_SN_EUlS11_E_NS1_11comp_targetILNS1_3genE2ELNS1_11target_archE906ELNS1_3gpuE6ELNS1_3repE0EEENS1_47radix_sort_onesweep_sort_config_static_selectorELNS0_4arch9wavefront6targetE1EEEvSI_,comdat
.Lfunc_end157:
	.size	_ZN7rocprim17ROCPRIM_400000_NS6detail17trampoline_kernelINS0_14default_configENS1_35radix_sort_onesweep_config_selectorIddEEZZNS1_29radix_sort_onesweep_iterationIS3_Lb0EN6thrust23THRUST_200600_302600_NS6detail15normal_iteratorINS8_10device_ptrIdEEEESD_SD_SD_jNS0_19identity_decomposerENS1_16block_id_wrapperIjLb0EEEEE10hipError_tT1_PNSt15iterator_traitsISI_E10value_typeET2_T3_PNSJ_ISO_E10value_typeET4_T5_PST_SU_PNS1_23onesweep_lookback_stateEbbT6_jjT7_P12ihipStream_tbENKUlT_T0_SI_SN_E_clIPdSD_S15_SD_EEDaS11_S12_SI_SN_EUlS11_E_NS1_11comp_targetILNS1_3genE2ELNS1_11target_archE906ELNS1_3gpuE6ELNS1_3repE0EEENS1_47radix_sort_onesweep_sort_config_static_selectorELNS0_4arch9wavefront6targetE1EEEvSI_, .Lfunc_end157-_ZN7rocprim17ROCPRIM_400000_NS6detail17trampoline_kernelINS0_14default_configENS1_35radix_sort_onesweep_config_selectorIddEEZZNS1_29radix_sort_onesweep_iterationIS3_Lb0EN6thrust23THRUST_200600_302600_NS6detail15normal_iteratorINS8_10device_ptrIdEEEESD_SD_SD_jNS0_19identity_decomposerENS1_16block_id_wrapperIjLb0EEEEE10hipError_tT1_PNSt15iterator_traitsISI_E10value_typeET2_T3_PNSJ_ISO_E10value_typeET4_T5_PST_SU_PNS1_23onesweep_lookback_stateEbbT6_jjT7_P12ihipStream_tbENKUlT_T0_SI_SN_E_clIPdSD_S15_SD_EEDaS11_S12_SI_SN_EUlS11_E_NS1_11comp_targetILNS1_3genE2ELNS1_11target_archE906ELNS1_3gpuE6ELNS1_3repE0EEENS1_47radix_sort_onesweep_sort_config_static_selectorELNS0_4arch9wavefront6targetE1EEEvSI_
                                        ; -- End function
	.set _ZN7rocprim17ROCPRIM_400000_NS6detail17trampoline_kernelINS0_14default_configENS1_35radix_sort_onesweep_config_selectorIddEEZZNS1_29radix_sort_onesweep_iterationIS3_Lb0EN6thrust23THRUST_200600_302600_NS6detail15normal_iteratorINS8_10device_ptrIdEEEESD_SD_SD_jNS0_19identity_decomposerENS1_16block_id_wrapperIjLb0EEEEE10hipError_tT1_PNSt15iterator_traitsISI_E10value_typeET2_T3_PNSJ_ISO_E10value_typeET4_T5_PST_SU_PNS1_23onesweep_lookback_stateEbbT6_jjT7_P12ihipStream_tbENKUlT_T0_SI_SN_E_clIPdSD_S15_SD_EEDaS11_S12_SI_SN_EUlS11_E_NS1_11comp_targetILNS1_3genE2ELNS1_11target_archE906ELNS1_3gpuE6ELNS1_3repE0EEENS1_47radix_sort_onesweep_sort_config_static_selectorELNS0_4arch9wavefront6targetE1EEEvSI_.num_vgpr, 0
	.set _ZN7rocprim17ROCPRIM_400000_NS6detail17trampoline_kernelINS0_14default_configENS1_35radix_sort_onesweep_config_selectorIddEEZZNS1_29radix_sort_onesweep_iterationIS3_Lb0EN6thrust23THRUST_200600_302600_NS6detail15normal_iteratorINS8_10device_ptrIdEEEESD_SD_SD_jNS0_19identity_decomposerENS1_16block_id_wrapperIjLb0EEEEE10hipError_tT1_PNSt15iterator_traitsISI_E10value_typeET2_T3_PNSJ_ISO_E10value_typeET4_T5_PST_SU_PNS1_23onesweep_lookback_stateEbbT6_jjT7_P12ihipStream_tbENKUlT_T0_SI_SN_E_clIPdSD_S15_SD_EEDaS11_S12_SI_SN_EUlS11_E_NS1_11comp_targetILNS1_3genE2ELNS1_11target_archE906ELNS1_3gpuE6ELNS1_3repE0EEENS1_47radix_sort_onesweep_sort_config_static_selectorELNS0_4arch9wavefront6targetE1EEEvSI_.num_agpr, 0
	.set _ZN7rocprim17ROCPRIM_400000_NS6detail17trampoline_kernelINS0_14default_configENS1_35radix_sort_onesweep_config_selectorIddEEZZNS1_29radix_sort_onesweep_iterationIS3_Lb0EN6thrust23THRUST_200600_302600_NS6detail15normal_iteratorINS8_10device_ptrIdEEEESD_SD_SD_jNS0_19identity_decomposerENS1_16block_id_wrapperIjLb0EEEEE10hipError_tT1_PNSt15iterator_traitsISI_E10value_typeET2_T3_PNSJ_ISO_E10value_typeET4_T5_PST_SU_PNS1_23onesweep_lookback_stateEbbT6_jjT7_P12ihipStream_tbENKUlT_T0_SI_SN_E_clIPdSD_S15_SD_EEDaS11_S12_SI_SN_EUlS11_E_NS1_11comp_targetILNS1_3genE2ELNS1_11target_archE906ELNS1_3gpuE6ELNS1_3repE0EEENS1_47radix_sort_onesweep_sort_config_static_selectorELNS0_4arch9wavefront6targetE1EEEvSI_.numbered_sgpr, 0
	.set _ZN7rocprim17ROCPRIM_400000_NS6detail17trampoline_kernelINS0_14default_configENS1_35radix_sort_onesweep_config_selectorIddEEZZNS1_29radix_sort_onesweep_iterationIS3_Lb0EN6thrust23THRUST_200600_302600_NS6detail15normal_iteratorINS8_10device_ptrIdEEEESD_SD_SD_jNS0_19identity_decomposerENS1_16block_id_wrapperIjLb0EEEEE10hipError_tT1_PNSt15iterator_traitsISI_E10value_typeET2_T3_PNSJ_ISO_E10value_typeET4_T5_PST_SU_PNS1_23onesweep_lookback_stateEbbT6_jjT7_P12ihipStream_tbENKUlT_T0_SI_SN_E_clIPdSD_S15_SD_EEDaS11_S12_SI_SN_EUlS11_E_NS1_11comp_targetILNS1_3genE2ELNS1_11target_archE906ELNS1_3gpuE6ELNS1_3repE0EEENS1_47radix_sort_onesweep_sort_config_static_selectorELNS0_4arch9wavefront6targetE1EEEvSI_.num_named_barrier, 0
	.set _ZN7rocprim17ROCPRIM_400000_NS6detail17trampoline_kernelINS0_14default_configENS1_35radix_sort_onesweep_config_selectorIddEEZZNS1_29radix_sort_onesweep_iterationIS3_Lb0EN6thrust23THRUST_200600_302600_NS6detail15normal_iteratorINS8_10device_ptrIdEEEESD_SD_SD_jNS0_19identity_decomposerENS1_16block_id_wrapperIjLb0EEEEE10hipError_tT1_PNSt15iterator_traitsISI_E10value_typeET2_T3_PNSJ_ISO_E10value_typeET4_T5_PST_SU_PNS1_23onesweep_lookback_stateEbbT6_jjT7_P12ihipStream_tbENKUlT_T0_SI_SN_E_clIPdSD_S15_SD_EEDaS11_S12_SI_SN_EUlS11_E_NS1_11comp_targetILNS1_3genE2ELNS1_11target_archE906ELNS1_3gpuE6ELNS1_3repE0EEENS1_47radix_sort_onesweep_sort_config_static_selectorELNS0_4arch9wavefront6targetE1EEEvSI_.private_seg_size, 0
	.set _ZN7rocprim17ROCPRIM_400000_NS6detail17trampoline_kernelINS0_14default_configENS1_35radix_sort_onesweep_config_selectorIddEEZZNS1_29radix_sort_onesweep_iterationIS3_Lb0EN6thrust23THRUST_200600_302600_NS6detail15normal_iteratorINS8_10device_ptrIdEEEESD_SD_SD_jNS0_19identity_decomposerENS1_16block_id_wrapperIjLb0EEEEE10hipError_tT1_PNSt15iterator_traitsISI_E10value_typeET2_T3_PNSJ_ISO_E10value_typeET4_T5_PST_SU_PNS1_23onesweep_lookback_stateEbbT6_jjT7_P12ihipStream_tbENKUlT_T0_SI_SN_E_clIPdSD_S15_SD_EEDaS11_S12_SI_SN_EUlS11_E_NS1_11comp_targetILNS1_3genE2ELNS1_11target_archE906ELNS1_3gpuE6ELNS1_3repE0EEENS1_47radix_sort_onesweep_sort_config_static_selectorELNS0_4arch9wavefront6targetE1EEEvSI_.uses_vcc, 0
	.set _ZN7rocprim17ROCPRIM_400000_NS6detail17trampoline_kernelINS0_14default_configENS1_35radix_sort_onesweep_config_selectorIddEEZZNS1_29radix_sort_onesweep_iterationIS3_Lb0EN6thrust23THRUST_200600_302600_NS6detail15normal_iteratorINS8_10device_ptrIdEEEESD_SD_SD_jNS0_19identity_decomposerENS1_16block_id_wrapperIjLb0EEEEE10hipError_tT1_PNSt15iterator_traitsISI_E10value_typeET2_T3_PNSJ_ISO_E10value_typeET4_T5_PST_SU_PNS1_23onesweep_lookback_stateEbbT6_jjT7_P12ihipStream_tbENKUlT_T0_SI_SN_E_clIPdSD_S15_SD_EEDaS11_S12_SI_SN_EUlS11_E_NS1_11comp_targetILNS1_3genE2ELNS1_11target_archE906ELNS1_3gpuE6ELNS1_3repE0EEENS1_47radix_sort_onesweep_sort_config_static_selectorELNS0_4arch9wavefront6targetE1EEEvSI_.uses_flat_scratch, 0
	.set _ZN7rocprim17ROCPRIM_400000_NS6detail17trampoline_kernelINS0_14default_configENS1_35radix_sort_onesweep_config_selectorIddEEZZNS1_29radix_sort_onesweep_iterationIS3_Lb0EN6thrust23THRUST_200600_302600_NS6detail15normal_iteratorINS8_10device_ptrIdEEEESD_SD_SD_jNS0_19identity_decomposerENS1_16block_id_wrapperIjLb0EEEEE10hipError_tT1_PNSt15iterator_traitsISI_E10value_typeET2_T3_PNSJ_ISO_E10value_typeET4_T5_PST_SU_PNS1_23onesweep_lookback_stateEbbT6_jjT7_P12ihipStream_tbENKUlT_T0_SI_SN_E_clIPdSD_S15_SD_EEDaS11_S12_SI_SN_EUlS11_E_NS1_11comp_targetILNS1_3genE2ELNS1_11target_archE906ELNS1_3gpuE6ELNS1_3repE0EEENS1_47radix_sort_onesweep_sort_config_static_selectorELNS0_4arch9wavefront6targetE1EEEvSI_.has_dyn_sized_stack, 0
	.set _ZN7rocprim17ROCPRIM_400000_NS6detail17trampoline_kernelINS0_14default_configENS1_35radix_sort_onesweep_config_selectorIddEEZZNS1_29radix_sort_onesweep_iterationIS3_Lb0EN6thrust23THRUST_200600_302600_NS6detail15normal_iteratorINS8_10device_ptrIdEEEESD_SD_SD_jNS0_19identity_decomposerENS1_16block_id_wrapperIjLb0EEEEE10hipError_tT1_PNSt15iterator_traitsISI_E10value_typeET2_T3_PNSJ_ISO_E10value_typeET4_T5_PST_SU_PNS1_23onesweep_lookback_stateEbbT6_jjT7_P12ihipStream_tbENKUlT_T0_SI_SN_E_clIPdSD_S15_SD_EEDaS11_S12_SI_SN_EUlS11_E_NS1_11comp_targetILNS1_3genE2ELNS1_11target_archE906ELNS1_3gpuE6ELNS1_3repE0EEENS1_47radix_sort_onesweep_sort_config_static_selectorELNS0_4arch9wavefront6targetE1EEEvSI_.has_recursion, 0
	.set _ZN7rocprim17ROCPRIM_400000_NS6detail17trampoline_kernelINS0_14default_configENS1_35radix_sort_onesweep_config_selectorIddEEZZNS1_29radix_sort_onesweep_iterationIS3_Lb0EN6thrust23THRUST_200600_302600_NS6detail15normal_iteratorINS8_10device_ptrIdEEEESD_SD_SD_jNS0_19identity_decomposerENS1_16block_id_wrapperIjLb0EEEEE10hipError_tT1_PNSt15iterator_traitsISI_E10value_typeET2_T3_PNSJ_ISO_E10value_typeET4_T5_PST_SU_PNS1_23onesweep_lookback_stateEbbT6_jjT7_P12ihipStream_tbENKUlT_T0_SI_SN_E_clIPdSD_S15_SD_EEDaS11_S12_SI_SN_EUlS11_E_NS1_11comp_targetILNS1_3genE2ELNS1_11target_archE906ELNS1_3gpuE6ELNS1_3repE0EEENS1_47radix_sort_onesweep_sort_config_static_selectorELNS0_4arch9wavefront6targetE1EEEvSI_.has_indirect_call, 0
	.section	.AMDGPU.csdata,"",@progbits
; Kernel info:
; codeLenInByte = 0
; TotalNumSgprs: 6
; NumVgprs: 0
; NumAgprs: 0
; TotalNumVgprs: 0
; ScratchSize: 0
; MemoryBound: 0
; FloatMode: 240
; IeeeMode: 1
; LDSByteSize: 0 bytes/workgroup (compile time only)
; SGPRBlocks: 0
; VGPRBlocks: 0
; NumSGPRsForWavesPerEU: 6
; NumVGPRsForWavesPerEU: 1
; AccumOffset: 4
; Occupancy: 8
; WaveLimiterHint : 0
; COMPUTE_PGM_RSRC2:SCRATCH_EN: 0
; COMPUTE_PGM_RSRC2:USER_SGPR: 2
; COMPUTE_PGM_RSRC2:TRAP_HANDLER: 0
; COMPUTE_PGM_RSRC2:TGID_X_EN: 1
; COMPUTE_PGM_RSRC2:TGID_Y_EN: 0
; COMPUTE_PGM_RSRC2:TGID_Z_EN: 0
; COMPUTE_PGM_RSRC2:TIDIG_COMP_CNT: 0
; COMPUTE_PGM_RSRC3_GFX90A:ACCUM_OFFSET: 0
; COMPUTE_PGM_RSRC3_GFX90A:TG_SPLIT: 0
	.section	.text._ZN7rocprim17ROCPRIM_400000_NS6detail17trampoline_kernelINS0_14default_configENS1_35radix_sort_onesweep_config_selectorIddEEZZNS1_29radix_sort_onesweep_iterationIS3_Lb0EN6thrust23THRUST_200600_302600_NS6detail15normal_iteratorINS8_10device_ptrIdEEEESD_SD_SD_jNS0_19identity_decomposerENS1_16block_id_wrapperIjLb0EEEEE10hipError_tT1_PNSt15iterator_traitsISI_E10value_typeET2_T3_PNSJ_ISO_E10value_typeET4_T5_PST_SU_PNS1_23onesweep_lookback_stateEbbT6_jjT7_P12ihipStream_tbENKUlT_T0_SI_SN_E_clIPdSD_S15_SD_EEDaS11_S12_SI_SN_EUlS11_E_NS1_11comp_targetILNS1_3genE4ELNS1_11target_archE910ELNS1_3gpuE8ELNS1_3repE0EEENS1_47radix_sort_onesweep_sort_config_static_selectorELNS0_4arch9wavefront6targetE1EEEvSI_,"axG",@progbits,_ZN7rocprim17ROCPRIM_400000_NS6detail17trampoline_kernelINS0_14default_configENS1_35radix_sort_onesweep_config_selectorIddEEZZNS1_29radix_sort_onesweep_iterationIS3_Lb0EN6thrust23THRUST_200600_302600_NS6detail15normal_iteratorINS8_10device_ptrIdEEEESD_SD_SD_jNS0_19identity_decomposerENS1_16block_id_wrapperIjLb0EEEEE10hipError_tT1_PNSt15iterator_traitsISI_E10value_typeET2_T3_PNSJ_ISO_E10value_typeET4_T5_PST_SU_PNS1_23onesweep_lookback_stateEbbT6_jjT7_P12ihipStream_tbENKUlT_T0_SI_SN_E_clIPdSD_S15_SD_EEDaS11_S12_SI_SN_EUlS11_E_NS1_11comp_targetILNS1_3genE4ELNS1_11target_archE910ELNS1_3gpuE8ELNS1_3repE0EEENS1_47radix_sort_onesweep_sort_config_static_selectorELNS0_4arch9wavefront6targetE1EEEvSI_,comdat
	.protected	_ZN7rocprim17ROCPRIM_400000_NS6detail17trampoline_kernelINS0_14default_configENS1_35radix_sort_onesweep_config_selectorIddEEZZNS1_29radix_sort_onesweep_iterationIS3_Lb0EN6thrust23THRUST_200600_302600_NS6detail15normal_iteratorINS8_10device_ptrIdEEEESD_SD_SD_jNS0_19identity_decomposerENS1_16block_id_wrapperIjLb0EEEEE10hipError_tT1_PNSt15iterator_traitsISI_E10value_typeET2_T3_PNSJ_ISO_E10value_typeET4_T5_PST_SU_PNS1_23onesweep_lookback_stateEbbT6_jjT7_P12ihipStream_tbENKUlT_T0_SI_SN_E_clIPdSD_S15_SD_EEDaS11_S12_SI_SN_EUlS11_E_NS1_11comp_targetILNS1_3genE4ELNS1_11target_archE910ELNS1_3gpuE8ELNS1_3repE0EEENS1_47radix_sort_onesweep_sort_config_static_selectorELNS0_4arch9wavefront6targetE1EEEvSI_ ; -- Begin function _ZN7rocprim17ROCPRIM_400000_NS6detail17trampoline_kernelINS0_14default_configENS1_35radix_sort_onesweep_config_selectorIddEEZZNS1_29radix_sort_onesweep_iterationIS3_Lb0EN6thrust23THRUST_200600_302600_NS6detail15normal_iteratorINS8_10device_ptrIdEEEESD_SD_SD_jNS0_19identity_decomposerENS1_16block_id_wrapperIjLb0EEEEE10hipError_tT1_PNSt15iterator_traitsISI_E10value_typeET2_T3_PNSJ_ISO_E10value_typeET4_T5_PST_SU_PNS1_23onesweep_lookback_stateEbbT6_jjT7_P12ihipStream_tbENKUlT_T0_SI_SN_E_clIPdSD_S15_SD_EEDaS11_S12_SI_SN_EUlS11_E_NS1_11comp_targetILNS1_3genE4ELNS1_11target_archE910ELNS1_3gpuE8ELNS1_3repE0EEENS1_47radix_sort_onesweep_sort_config_static_selectorELNS0_4arch9wavefront6targetE1EEEvSI_
	.globl	_ZN7rocprim17ROCPRIM_400000_NS6detail17trampoline_kernelINS0_14default_configENS1_35radix_sort_onesweep_config_selectorIddEEZZNS1_29radix_sort_onesweep_iterationIS3_Lb0EN6thrust23THRUST_200600_302600_NS6detail15normal_iteratorINS8_10device_ptrIdEEEESD_SD_SD_jNS0_19identity_decomposerENS1_16block_id_wrapperIjLb0EEEEE10hipError_tT1_PNSt15iterator_traitsISI_E10value_typeET2_T3_PNSJ_ISO_E10value_typeET4_T5_PST_SU_PNS1_23onesweep_lookback_stateEbbT6_jjT7_P12ihipStream_tbENKUlT_T0_SI_SN_E_clIPdSD_S15_SD_EEDaS11_S12_SI_SN_EUlS11_E_NS1_11comp_targetILNS1_3genE4ELNS1_11target_archE910ELNS1_3gpuE8ELNS1_3repE0EEENS1_47radix_sort_onesweep_sort_config_static_selectorELNS0_4arch9wavefront6targetE1EEEvSI_
	.p2align	8
	.type	_ZN7rocprim17ROCPRIM_400000_NS6detail17trampoline_kernelINS0_14default_configENS1_35radix_sort_onesweep_config_selectorIddEEZZNS1_29radix_sort_onesweep_iterationIS3_Lb0EN6thrust23THRUST_200600_302600_NS6detail15normal_iteratorINS8_10device_ptrIdEEEESD_SD_SD_jNS0_19identity_decomposerENS1_16block_id_wrapperIjLb0EEEEE10hipError_tT1_PNSt15iterator_traitsISI_E10value_typeET2_T3_PNSJ_ISO_E10value_typeET4_T5_PST_SU_PNS1_23onesweep_lookback_stateEbbT6_jjT7_P12ihipStream_tbENKUlT_T0_SI_SN_E_clIPdSD_S15_SD_EEDaS11_S12_SI_SN_EUlS11_E_NS1_11comp_targetILNS1_3genE4ELNS1_11target_archE910ELNS1_3gpuE8ELNS1_3repE0EEENS1_47radix_sort_onesweep_sort_config_static_selectorELNS0_4arch9wavefront6targetE1EEEvSI_,@function
_ZN7rocprim17ROCPRIM_400000_NS6detail17trampoline_kernelINS0_14default_configENS1_35radix_sort_onesweep_config_selectorIddEEZZNS1_29radix_sort_onesweep_iterationIS3_Lb0EN6thrust23THRUST_200600_302600_NS6detail15normal_iteratorINS8_10device_ptrIdEEEESD_SD_SD_jNS0_19identity_decomposerENS1_16block_id_wrapperIjLb0EEEEE10hipError_tT1_PNSt15iterator_traitsISI_E10value_typeET2_T3_PNSJ_ISO_E10value_typeET4_T5_PST_SU_PNS1_23onesweep_lookback_stateEbbT6_jjT7_P12ihipStream_tbENKUlT_T0_SI_SN_E_clIPdSD_S15_SD_EEDaS11_S12_SI_SN_EUlS11_E_NS1_11comp_targetILNS1_3genE4ELNS1_11target_archE910ELNS1_3gpuE8ELNS1_3repE0EEENS1_47radix_sort_onesweep_sort_config_static_selectorELNS0_4arch9wavefront6targetE1EEEvSI_: ; @_ZN7rocprim17ROCPRIM_400000_NS6detail17trampoline_kernelINS0_14default_configENS1_35radix_sort_onesweep_config_selectorIddEEZZNS1_29radix_sort_onesweep_iterationIS3_Lb0EN6thrust23THRUST_200600_302600_NS6detail15normal_iteratorINS8_10device_ptrIdEEEESD_SD_SD_jNS0_19identity_decomposerENS1_16block_id_wrapperIjLb0EEEEE10hipError_tT1_PNSt15iterator_traitsISI_E10value_typeET2_T3_PNSJ_ISO_E10value_typeET4_T5_PST_SU_PNS1_23onesweep_lookback_stateEbbT6_jjT7_P12ihipStream_tbENKUlT_T0_SI_SN_E_clIPdSD_S15_SD_EEDaS11_S12_SI_SN_EUlS11_E_NS1_11comp_targetILNS1_3genE4ELNS1_11target_archE910ELNS1_3gpuE8ELNS1_3repE0EEENS1_47radix_sort_onesweep_sort_config_static_selectorELNS0_4arch9wavefront6targetE1EEEvSI_
; %bb.0:
	.section	.rodata,"a",@progbits
	.p2align	6, 0x0
	.amdhsa_kernel _ZN7rocprim17ROCPRIM_400000_NS6detail17trampoline_kernelINS0_14default_configENS1_35radix_sort_onesweep_config_selectorIddEEZZNS1_29radix_sort_onesweep_iterationIS3_Lb0EN6thrust23THRUST_200600_302600_NS6detail15normal_iteratorINS8_10device_ptrIdEEEESD_SD_SD_jNS0_19identity_decomposerENS1_16block_id_wrapperIjLb0EEEEE10hipError_tT1_PNSt15iterator_traitsISI_E10value_typeET2_T3_PNSJ_ISO_E10value_typeET4_T5_PST_SU_PNS1_23onesweep_lookback_stateEbbT6_jjT7_P12ihipStream_tbENKUlT_T0_SI_SN_E_clIPdSD_S15_SD_EEDaS11_S12_SI_SN_EUlS11_E_NS1_11comp_targetILNS1_3genE4ELNS1_11target_archE910ELNS1_3gpuE8ELNS1_3repE0EEENS1_47radix_sort_onesweep_sort_config_static_selectorELNS0_4arch9wavefront6targetE1EEEvSI_
		.amdhsa_group_segment_fixed_size 0
		.amdhsa_private_segment_fixed_size 0
		.amdhsa_kernarg_size 88
		.amdhsa_user_sgpr_count 2
		.amdhsa_user_sgpr_dispatch_ptr 0
		.amdhsa_user_sgpr_queue_ptr 0
		.amdhsa_user_sgpr_kernarg_segment_ptr 1
		.amdhsa_user_sgpr_dispatch_id 0
		.amdhsa_user_sgpr_kernarg_preload_length 0
		.amdhsa_user_sgpr_kernarg_preload_offset 0
		.amdhsa_user_sgpr_private_segment_size 0
		.amdhsa_uses_dynamic_stack 0
		.amdhsa_enable_private_segment 0
		.amdhsa_system_sgpr_workgroup_id_x 1
		.amdhsa_system_sgpr_workgroup_id_y 0
		.amdhsa_system_sgpr_workgroup_id_z 0
		.amdhsa_system_sgpr_workgroup_info 0
		.amdhsa_system_vgpr_workitem_id 0
		.amdhsa_next_free_vgpr 1
		.amdhsa_next_free_sgpr 0
		.amdhsa_accum_offset 4
		.amdhsa_reserve_vcc 0
		.amdhsa_float_round_mode_32 0
		.amdhsa_float_round_mode_16_64 0
		.amdhsa_float_denorm_mode_32 3
		.amdhsa_float_denorm_mode_16_64 3
		.amdhsa_dx10_clamp 1
		.amdhsa_ieee_mode 1
		.amdhsa_fp16_overflow 0
		.amdhsa_tg_split 0
		.amdhsa_exception_fp_ieee_invalid_op 0
		.amdhsa_exception_fp_denorm_src 0
		.amdhsa_exception_fp_ieee_div_zero 0
		.amdhsa_exception_fp_ieee_overflow 0
		.amdhsa_exception_fp_ieee_underflow 0
		.amdhsa_exception_fp_ieee_inexact 0
		.amdhsa_exception_int_div_zero 0
	.end_amdhsa_kernel
	.section	.text._ZN7rocprim17ROCPRIM_400000_NS6detail17trampoline_kernelINS0_14default_configENS1_35radix_sort_onesweep_config_selectorIddEEZZNS1_29radix_sort_onesweep_iterationIS3_Lb0EN6thrust23THRUST_200600_302600_NS6detail15normal_iteratorINS8_10device_ptrIdEEEESD_SD_SD_jNS0_19identity_decomposerENS1_16block_id_wrapperIjLb0EEEEE10hipError_tT1_PNSt15iterator_traitsISI_E10value_typeET2_T3_PNSJ_ISO_E10value_typeET4_T5_PST_SU_PNS1_23onesweep_lookback_stateEbbT6_jjT7_P12ihipStream_tbENKUlT_T0_SI_SN_E_clIPdSD_S15_SD_EEDaS11_S12_SI_SN_EUlS11_E_NS1_11comp_targetILNS1_3genE4ELNS1_11target_archE910ELNS1_3gpuE8ELNS1_3repE0EEENS1_47radix_sort_onesweep_sort_config_static_selectorELNS0_4arch9wavefront6targetE1EEEvSI_,"axG",@progbits,_ZN7rocprim17ROCPRIM_400000_NS6detail17trampoline_kernelINS0_14default_configENS1_35radix_sort_onesweep_config_selectorIddEEZZNS1_29radix_sort_onesweep_iterationIS3_Lb0EN6thrust23THRUST_200600_302600_NS6detail15normal_iteratorINS8_10device_ptrIdEEEESD_SD_SD_jNS0_19identity_decomposerENS1_16block_id_wrapperIjLb0EEEEE10hipError_tT1_PNSt15iterator_traitsISI_E10value_typeET2_T3_PNSJ_ISO_E10value_typeET4_T5_PST_SU_PNS1_23onesweep_lookback_stateEbbT6_jjT7_P12ihipStream_tbENKUlT_T0_SI_SN_E_clIPdSD_S15_SD_EEDaS11_S12_SI_SN_EUlS11_E_NS1_11comp_targetILNS1_3genE4ELNS1_11target_archE910ELNS1_3gpuE8ELNS1_3repE0EEENS1_47radix_sort_onesweep_sort_config_static_selectorELNS0_4arch9wavefront6targetE1EEEvSI_,comdat
.Lfunc_end158:
	.size	_ZN7rocprim17ROCPRIM_400000_NS6detail17trampoline_kernelINS0_14default_configENS1_35radix_sort_onesweep_config_selectorIddEEZZNS1_29radix_sort_onesweep_iterationIS3_Lb0EN6thrust23THRUST_200600_302600_NS6detail15normal_iteratorINS8_10device_ptrIdEEEESD_SD_SD_jNS0_19identity_decomposerENS1_16block_id_wrapperIjLb0EEEEE10hipError_tT1_PNSt15iterator_traitsISI_E10value_typeET2_T3_PNSJ_ISO_E10value_typeET4_T5_PST_SU_PNS1_23onesweep_lookback_stateEbbT6_jjT7_P12ihipStream_tbENKUlT_T0_SI_SN_E_clIPdSD_S15_SD_EEDaS11_S12_SI_SN_EUlS11_E_NS1_11comp_targetILNS1_3genE4ELNS1_11target_archE910ELNS1_3gpuE8ELNS1_3repE0EEENS1_47radix_sort_onesweep_sort_config_static_selectorELNS0_4arch9wavefront6targetE1EEEvSI_, .Lfunc_end158-_ZN7rocprim17ROCPRIM_400000_NS6detail17trampoline_kernelINS0_14default_configENS1_35radix_sort_onesweep_config_selectorIddEEZZNS1_29radix_sort_onesweep_iterationIS3_Lb0EN6thrust23THRUST_200600_302600_NS6detail15normal_iteratorINS8_10device_ptrIdEEEESD_SD_SD_jNS0_19identity_decomposerENS1_16block_id_wrapperIjLb0EEEEE10hipError_tT1_PNSt15iterator_traitsISI_E10value_typeET2_T3_PNSJ_ISO_E10value_typeET4_T5_PST_SU_PNS1_23onesweep_lookback_stateEbbT6_jjT7_P12ihipStream_tbENKUlT_T0_SI_SN_E_clIPdSD_S15_SD_EEDaS11_S12_SI_SN_EUlS11_E_NS1_11comp_targetILNS1_3genE4ELNS1_11target_archE910ELNS1_3gpuE8ELNS1_3repE0EEENS1_47radix_sort_onesweep_sort_config_static_selectorELNS0_4arch9wavefront6targetE1EEEvSI_
                                        ; -- End function
	.set _ZN7rocprim17ROCPRIM_400000_NS6detail17trampoline_kernelINS0_14default_configENS1_35radix_sort_onesweep_config_selectorIddEEZZNS1_29radix_sort_onesweep_iterationIS3_Lb0EN6thrust23THRUST_200600_302600_NS6detail15normal_iteratorINS8_10device_ptrIdEEEESD_SD_SD_jNS0_19identity_decomposerENS1_16block_id_wrapperIjLb0EEEEE10hipError_tT1_PNSt15iterator_traitsISI_E10value_typeET2_T3_PNSJ_ISO_E10value_typeET4_T5_PST_SU_PNS1_23onesweep_lookback_stateEbbT6_jjT7_P12ihipStream_tbENKUlT_T0_SI_SN_E_clIPdSD_S15_SD_EEDaS11_S12_SI_SN_EUlS11_E_NS1_11comp_targetILNS1_3genE4ELNS1_11target_archE910ELNS1_3gpuE8ELNS1_3repE0EEENS1_47radix_sort_onesweep_sort_config_static_selectorELNS0_4arch9wavefront6targetE1EEEvSI_.num_vgpr, 0
	.set _ZN7rocprim17ROCPRIM_400000_NS6detail17trampoline_kernelINS0_14default_configENS1_35radix_sort_onesweep_config_selectorIddEEZZNS1_29radix_sort_onesweep_iterationIS3_Lb0EN6thrust23THRUST_200600_302600_NS6detail15normal_iteratorINS8_10device_ptrIdEEEESD_SD_SD_jNS0_19identity_decomposerENS1_16block_id_wrapperIjLb0EEEEE10hipError_tT1_PNSt15iterator_traitsISI_E10value_typeET2_T3_PNSJ_ISO_E10value_typeET4_T5_PST_SU_PNS1_23onesweep_lookback_stateEbbT6_jjT7_P12ihipStream_tbENKUlT_T0_SI_SN_E_clIPdSD_S15_SD_EEDaS11_S12_SI_SN_EUlS11_E_NS1_11comp_targetILNS1_3genE4ELNS1_11target_archE910ELNS1_3gpuE8ELNS1_3repE0EEENS1_47radix_sort_onesweep_sort_config_static_selectorELNS0_4arch9wavefront6targetE1EEEvSI_.num_agpr, 0
	.set _ZN7rocprim17ROCPRIM_400000_NS6detail17trampoline_kernelINS0_14default_configENS1_35radix_sort_onesweep_config_selectorIddEEZZNS1_29radix_sort_onesweep_iterationIS3_Lb0EN6thrust23THRUST_200600_302600_NS6detail15normal_iteratorINS8_10device_ptrIdEEEESD_SD_SD_jNS0_19identity_decomposerENS1_16block_id_wrapperIjLb0EEEEE10hipError_tT1_PNSt15iterator_traitsISI_E10value_typeET2_T3_PNSJ_ISO_E10value_typeET4_T5_PST_SU_PNS1_23onesweep_lookback_stateEbbT6_jjT7_P12ihipStream_tbENKUlT_T0_SI_SN_E_clIPdSD_S15_SD_EEDaS11_S12_SI_SN_EUlS11_E_NS1_11comp_targetILNS1_3genE4ELNS1_11target_archE910ELNS1_3gpuE8ELNS1_3repE0EEENS1_47radix_sort_onesweep_sort_config_static_selectorELNS0_4arch9wavefront6targetE1EEEvSI_.numbered_sgpr, 0
	.set _ZN7rocprim17ROCPRIM_400000_NS6detail17trampoline_kernelINS0_14default_configENS1_35radix_sort_onesweep_config_selectorIddEEZZNS1_29radix_sort_onesweep_iterationIS3_Lb0EN6thrust23THRUST_200600_302600_NS6detail15normal_iteratorINS8_10device_ptrIdEEEESD_SD_SD_jNS0_19identity_decomposerENS1_16block_id_wrapperIjLb0EEEEE10hipError_tT1_PNSt15iterator_traitsISI_E10value_typeET2_T3_PNSJ_ISO_E10value_typeET4_T5_PST_SU_PNS1_23onesweep_lookback_stateEbbT6_jjT7_P12ihipStream_tbENKUlT_T0_SI_SN_E_clIPdSD_S15_SD_EEDaS11_S12_SI_SN_EUlS11_E_NS1_11comp_targetILNS1_3genE4ELNS1_11target_archE910ELNS1_3gpuE8ELNS1_3repE0EEENS1_47radix_sort_onesweep_sort_config_static_selectorELNS0_4arch9wavefront6targetE1EEEvSI_.num_named_barrier, 0
	.set _ZN7rocprim17ROCPRIM_400000_NS6detail17trampoline_kernelINS0_14default_configENS1_35radix_sort_onesweep_config_selectorIddEEZZNS1_29radix_sort_onesweep_iterationIS3_Lb0EN6thrust23THRUST_200600_302600_NS6detail15normal_iteratorINS8_10device_ptrIdEEEESD_SD_SD_jNS0_19identity_decomposerENS1_16block_id_wrapperIjLb0EEEEE10hipError_tT1_PNSt15iterator_traitsISI_E10value_typeET2_T3_PNSJ_ISO_E10value_typeET4_T5_PST_SU_PNS1_23onesweep_lookback_stateEbbT6_jjT7_P12ihipStream_tbENKUlT_T0_SI_SN_E_clIPdSD_S15_SD_EEDaS11_S12_SI_SN_EUlS11_E_NS1_11comp_targetILNS1_3genE4ELNS1_11target_archE910ELNS1_3gpuE8ELNS1_3repE0EEENS1_47radix_sort_onesweep_sort_config_static_selectorELNS0_4arch9wavefront6targetE1EEEvSI_.private_seg_size, 0
	.set _ZN7rocprim17ROCPRIM_400000_NS6detail17trampoline_kernelINS0_14default_configENS1_35radix_sort_onesweep_config_selectorIddEEZZNS1_29radix_sort_onesweep_iterationIS3_Lb0EN6thrust23THRUST_200600_302600_NS6detail15normal_iteratorINS8_10device_ptrIdEEEESD_SD_SD_jNS0_19identity_decomposerENS1_16block_id_wrapperIjLb0EEEEE10hipError_tT1_PNSt15iterator_traitsISI_E10value_typeET2_T3_PNSJ_ISO_E10value_typeET4_T5_PST_SU_PNS1_23onesweep_lookback_stateEbbT6_jjT7_P12ihipStream_tbENKUlT_T0_SI_SN_E_clIPdSD_S15_SD_EEDaS11_S12_SI_SN_EUlS11_E_NS1_11comp_targetILNS1_3genE4ELNS1_11target_archE910ELNS1_3gpuE8ELNS1_3repE0EEENS1_47radix_sort_onesweep_sort_config_static_selectorELNS0_4arch9wavefront6targetE1EEEvSI_.uses_vcc, 0
	.set _ZN7rocprim17ROCPRIM_400000_NS6detail17trampoline_kernelINS0_14default_configENS1_35radix_sort_onesweep_config_selectorIddEEZZNS1_29radix_sort_onesweep_iterationIS3_Lb0EN6thrust23THRUST_200600_302600_NS6detail15normal_iteratorINS8_10device_ptrIdEEEESD_SD_SD_jNS0_19identity_decomposerENS1_16block_id_wrapperIjLb0EEEEE10hipError_tT1_PNSt15iterator_traitsISI_E10value_typeET2_T3_PNSJ_ISO_E10value_typeET4_T5_PST_SU_PNS1_23onesweep_lookback_stateEbbT6_jjT7_P12ihipStream_tbENKUlT_T0_SI_SN_E_clIPdSD_S15_SD_EEDaS11_S12_SI_SN_EUlS11_E_NS1_11comp_targetILNS1_3genE4ELNS1_11target_archE910ELNS1_3gpuE8ELNS1_3repE0EEENS1_47radix_sort_onesweep_sort_config_static_selectorELNS0_4arch9wavefront6targetE1EEEvSI_.uses_flat_scratch, 0
	.set _ZN7rocprim17ROCPRIM_400000_NS6detail17trampoline_kernelINS0_14default_configENS1_35radix_sort_onesweep_config_selectorIddEEZZNS1_29radix_sort_onesweep_iterationIS3_Lb0EN6thrust23THRUST_200600_302600_NS6detail15normal_iteratorINS8_10device_ptrIdEEEESD_SD_SD_jNS0_19identity_decomposerENS1_16block_id_wrapperIjLb0EEEEE10hipError_tT1_PNSt15iterator_traitsISI_E10value_typeET2_T3_PNSJ_ISO_E10value_typeET4_T5_PST_SU_PNS1_23onesweep_lookback_stateEbbT6_jjT7_P12ihipStream_tbENKUlT_T0_SI_SN_E_clIPdSD_S15_SD_EEDaS11_S12_SI_SN_EUlS11_E_NS1_11comp_targetILNS1_3genE4ELNS1_11target_archE910ELNS1_3gpuE8ELNS1_3repE0EEENS1_47radix_sort_onesweep_sort_config_static_selectorELNS0_4arch9wavefront6targetE1EEEvSI_.has_dyn_sized_stack, 0
	.set _ZN7rocprim17ROCPRIM_400000_NS6detail17trampoline_kernelINS0_14default_configENS1_35radix_sort_onesweep_config_selectorIddEEZZNS1_29radix_sort_onesweep_iterationIS3_Lb0EN6thrust23THRUST_200600_302600_NS6detail15normal_iteratorINS8_10device_ptrIdEEEESD_SD_SD_jNS0_19identity_decomposerENS1_16block_id_wrapperIjLb0EEEEE10hipError_tT1_PNSt15iterator_traitsISI_E10value_typeET2_T3_PNSJ_ISO_E10value_typeET4_T5_PST_SU_PNS1_23onesweep_lookback_stateEbbT6_jjT7_P12ihipStream_tbENKUlT_T0_SI_SN_E_clIPdSD_S15_SD_EEDaS11_S12_SI_SN_EUlS11_E_NS1_11comp_targetILNS1_3genE4ELNS1_11target_archE910ELNS1_3gpuE8ELNS1_3repE0EEENS1_47radix_sort_onesweep_sort_config_static_selectorELNS0_4arch9wavefront6targetE1EEEvSI_.has_recursion, 0
	.set _ZN7rocprim17ROCPRIM_400000_NS6detail17trampoline_kernelINS0_14default_configENS1_35radix_sort_onesweep_config_selectorIddEEZZNS1_29radix_sort_onesweep_iterationIS3_Lb0EN6thrust23THRUST_200600_302600_NS6detail15normal_iteratorINS8_10device_ptrIdEEEESD_SD_SD_jNS0_19identity_decomposerENS1_16block_id_wrapperIjLb0EEEEE10hipError_tT1_PNSt15iterator_traitsISI_E10value_typeET2_T3_PNSJ_ISO_E10value_typeET4_T5_PST_SU_PNS1_23onesweep_lookback_stateEbbT6_jjT7_P12ihipStream_tbENKUlT_T0_SI_SN_E_clIPdSD_S15_SD_EEDaS11_S12_SI_SN_EUlS11_E_NS1_11comp_targetILNS1_3genE4ELNS1_11target_archE910ELNS1_3gpuE8ELNS1_3repE0EEENS1_47radix_sort_onesweep_sort_config_static_selectorELNS0_4arch9wavefront6targetE1EEEvSI_.has_indirect_call, 0
	.section	.AMDGPU.csdata,"",@progbits
; Kernel info:
; codeLenInByte = 0
; TotalNumSgprs: 6
; NumVgprs: 0
; NumAgprs: 0
; TotalNumVgprs: 0
; ScratchSize: 0
; MemoryBound: 0
; FloatMode: 240
; IeeeMode: 1
; LDSByteSize: 0 bytes/workgroup (compile time only)
; SGPRBlocks: 0
; VGPRBlocks: 0
; NumSGPRsForWavesPerEU: 6
; NumVGPRsForWavesPerEU: 1
; AccumOffset: 4
; Occupancy: 8
; WaveLimiterHint : 0
; COMPUTE_PGM_RSRC2:SCRATCH_EN: 0
; COMPUTE_PGM_RSRC2:USER_SGPR: 2
; COMPUTE_PGM_RSRC2:TRAP_HANDLER: 0
; COMPUTE_PGM_RSRC2:TGID_X_EN: 1
; COMPUTE_PGM_RSRC2:TGID_Y_EN: 0
; COMPUTE_PGM_RSRC2:TGID_Z_EN: 0
; COMPUTE_PGM_RSRC2:TIDIG_COMP_CNT: 0
; COMPUTE_PGM_RSRC3_GFX90A:ACCUM_OFFSET: 0
; COMPUTE_PGM_RSRC3_GFX90A:TG_SPLIT: 0
	.section	.text._ZN7rocprim17ROCPRIM_400000_NS6detail17trampoline_kernelINS0_14default_configENS1_35radix_sort_onesweep_config_selectorIddEEZZNS1_29radix_sort_onesweep_iterationIS3_Lb0EN6thrust23THRUST_200600_302600_NS6detail15normal_iteratorINS8_10device_ptrIdEEEESD_SD_SD_jNS0_19identity_decomposerENS1_16block_id_wrapperIjLb0EEEEE10hipError_tT1_PNSt15iterator_traitsISI_E10value_typeET2_T3_PNSJ_ISO_E10value_typeET4_T5_PST_SU_PNS1_23onesweep_lookback_stateEbbT6_jjT7_P12ihipStream_tbENKUlT_T0_SI_SN_E_clIPdSD_S15_SD_EEDaS11_S12_SI_SN_EUlS11_E_NS1_11comp_targetILNS1_3genE3ELNS1_11target_archE908ELNS1_3gpuE7ELNS1_3repE0EEENS1_47radix_sort_onesweep_sort_config_static_selectorELNS0_4arch9wavefront6targetE1EEEvSI_,"axG",@progbits,_ZN7rocprim17ROCPRIM_400000_NS6detail17trampoline_kernelINS0_14default_configENS1_35radix_sort_onesweep_config_selectorIddEEZZNS1_29radix_sort_onesweep_iterationIS3_Lb0EN6thrust23THRUST_200600_302600_NS6detail15normal_iteratorINS8_10device_ptrIdEEEESD_SD_SD_jNS0_19identity_decomposerENS1_16block_id_wrapperIjLb0EEEEE10hipError_tT1_PNSt15iterator_traitsISI_E10value_typeET2_T3_PNSJ_ISO_E10value_typeET4_T5_PST_SU_PNS1_23onesweep_lookback_stateEbbT6_jjT7_P12ihipStream_tbENKUlT_T0_SI_SN_E_clIPdSD_S15_SD_EEDaS11_S12_SI_SN_EUlS11_E_NS1_11comp_targetILNS1_3genE3ELNS1_11target_archE908ELNS1_3gpuE7ELNS1_3repE0EEENS1_47radix_sort_onesweep_sort_config_static_selectorELNS0_4arch9wavefront6targetE1EEEvSI_,comdat
	.protected	_ZN7rocprim17ROCPRIM_400000_NS6detail17trampoline_kernelINS0_14default_configENS1_35radix_sort_onesweep_config_selectorIddEEZZNS1_29radix_sort_onesweep_iterationIS3_Lb0EN6thrust23THRUST_200600_302600_NS6detail15normal_iteratorINS8_10device_ptrIdEEEESD_SD_SD_jNS0_19identity_decomposerENS1_16block_id_wrapperIjLb0EEEEE10hipError_tT1_PNSt15iterator_traitsISI_E10value_typeET2_T3_PNSJ_ISO_E10value_typeET4_T5_PST_SU_PNS1_23onesweep_lookback_stateEbbT6_jjT7_P12ihipStream_tbENKUlT_T0_SI_SN_E_clIPdSD_S15_SD_EEDaS11_S12_SI_SN_EUlS11_E_NS1_11comp_targetILNS1_3genE3ELNS1_11target_archE908ELNS1_3gpuE7ELNS1_3repE0EEENS1_47radix_sort_onesweep_sort_config_static_selectorELNS0_4arch9wavefront6targetE1EEEvSI_ ; -- Begin function _ZN7rocprim17ROCPRIM_400000_NS6detail17trampoline_kernelINS0_14default_configENS1_35radix_sort_onesweep_config_selectorIddEEZZNS1_29radix_sort_onesweep_iterationIS3_Lb0EN6thrust23THRUST_200600_302600_NS6detail15normal_iteratorINS8_10device_ptrIdEEEESD_SD_SD_jNS0_19identity_decomposerENS1_16block_id_wrapperIjLb0EEEEE10hipError_tT1_PNSt15iterator_traitsISI_E10value_typeET2_T3_PNSJ_ISO_E10value_typeET4_T5_PST_SU_PNS1_23onesweep_lookback_stateEbbT6_jjT7_P12ihipStream_tbENKUlT_T0_SI_SN_E_clIPdSD_S15_SD_EEDaS11_S12_SI_SN_EUlS11_E_NS1_11comp_targetILNS1_3genE3ELNS1_11target_archE908ELNS1_3gpuE7ELNS1_3repE0EEENS1_47radix_sort_onesweep_sort_config_static_selectorELNS0_4arch9wavefront6targetE1EEEvSI_
	.globl	_ZN7rocprim17ROCPRIM_400000_NS6detail17trampoline_kernelINS0_14default_configENS1_35radix_sort_onesweep_config_selectorIddEEZZNS1_29radix_sort_onesweep_iterationIS3_Lb0EN6thrust23THRUST_200600_302600_NS6detail15normal_iteratorINS8_10device_ptrIdEEEESD_SD_SD_jNS0_19identity_decomposerENS1_16block_id_wrapperIjLb0EEEEE10hipError_tT1_PNSt15iterator_traitsISI_E10value_typeET2_T3_PNSJ_ISO_E10value_typeET4_T5_PST_SU_PNS1_23onesweep_lookback_stateEbbT6_jjT7_P12ihipStream_tbENKUlT_T0_SI_SN_E_clIPdSD_S15_SD_EEDaS11_S12_SI_SN_EUlS11_E_NS1_11comp_targetILNS1_3genE3ELNS1_11target_archE908ELNS1_3gpuE7ELNS1_3repE0EEENS1_47radix_sort_onesweep_sort_config_static_selectorELNS0_4arch9wavefront6targetE1EEEvSI_
	.p2align	8
	.type	_ZN7rocprim17ROCPRIM_400000_NS6detail17trampoline_kernelINS0_14default_configENS1_35radix_sort_onesweep_config_selectorIddEEZZNS1_29radix_sort_onesweep_iterationIS3_Lb0EN6thrust23THRUST_200600_302600_NS6detail15normal_iteratorINS8_10device_ptrIdEEEESD_SD_SD_jNS0_19identity_decomposerENS1_16block_id_wrapperIjLb0EEEEE10hipError_tT1_PNSt15iterator_traitsISI_E10value_typeET2_T3_PNSJ_ISO_E10value_typeET4_T5_PST_SU_PNS1_23onesweep_lookback_stateEbbT6_jjT7_P12ihipStream_tbENKUlT_T0_SI_SN_E_clIPdSD_S15_SD_EEDaS11_S12_SI_SN_EUlS11_E_NS1_11comp_targetILNS1_3genE3ELNS1_11target_archE908ELNS1_3gpuE7ELNS1_3repE0EEENS1_47radix_sort_onesweep_sort_config_static_selectorELNS0_4arch9wavefront6targetE1EEEvSI_,@function
_ZN7rocprim17ROCPRIM_400000_NS6detail17trampoline_kernelINS0_14default_configENS1_35radix_sort_onesweep_config_selectorIddEEZZNS1_29radix_sort_onesweep_iterationIS3_Lb0EN6thrust23THRUST_200600_302600_NS6detail15normal_iteratorINS8_10device_ptrIdEEEESD_SD_SD_jNS0_19identity_decomposerENS1_16block_id_wrapperIjLb0EEEEE10hipError_tT1_PNSt15iterator_traitsISI_E10value_typeET2_T3_PNSJ_ISO_E10value_typeET4_T5_PST_SU_PNS1_23onesweep_lookback_stateEbbT6_jjT7_P12ihipStream_tbENKUlT_T0_SI_SN_E_clIPdSD_S15_SD_EEDaS11_S12_SI_SN_EUlS11_E_NS1_11comp_targetILNS1_3genE3ELNS1_11target_archE908ELNS1_3gpuE7ELNS1_3repE0EEENS1_47radix_sort_onesweep_sort_config_static_selectorELNS0_4arch9wavefront6targetE1EEEvSI_: ; @_ZN7rocprim17ROCPRIM_400000_NS6detail17trampoline_kernelINS0_14default_configENS1_35radix_sort_onesweep_config_selectorIddEEZZNS1_29radix_sort_onesweep_iterationIS3_Lb0EN6thrust23THRUST_200600_302600_NS6detail15normal_iteratorINS8_10device_ptrIdEEEESD_SD_SD_jNS0_19identity_decomposerENS1_16block_id_wrapperIjLb0EEEEE10hipError_tT1_PNSt15iterator_traitsISI_E10value_typeET2_T3_PNSJ_ISO_E10value_typeET4_T5_PST_SU_PNS1_23onesweep_lookback_stateEbbT6_jjT7_P12ihipStream_tbENKUlT_T0_SI_SN_E_clIPdSD_S15_SD_EEDaS11_S12_SI_SN_EUlS11_E_NS1_11comp_targetILNS1_3genE3ELNS1_11target_archE908ELNS1_3gpuE7ELNS1_3repE0EEENS1_47radix_sort_onesweep_sort_config_static_selectorELNS0_4arch9wavefront6targetE1EEEvSI_
; %bb.0:
	.section	.rodata,"a",@progbits
	.p2align	6, 0x0
	.amdhsa_kernel _ZN7rocprim17ROCPRIM_400000_NS6detail17trampoline_kernelINS0_14default_configENS1_35radix_sort_onesweep_config_selectorIddEEZZNS1_29radix_sort_onesweep_iterationIS3_Lb0EN6thrust23THRUST_200600_302600_NS6detail15normal_iteratorINS8_10device_ptrIdEEEESD_SD_SD_jNS0_19identity_decomposerENS1_16block_id_wrapperIjLb0EEEEE10hipError_tT1_PNSt15iterator_traitsISI_E10value_typeET2_T3_PNSJ_ISO_E10value_typeET4_T5_PST_SU_PNS1_23onesweep_lookback_stateEbbT6_jjT7_P12ihipStream_tbENKUlT_T0_SI_SN_E_clIPdSD_S15_SD_EEDaS11_S12_SI_SN_EUlS11_E_NS1_11comp_targetILNS1_3genE3ELNS1_11target_archE908ELNS1_3gpuE7ELNS1_3repE0EEENS1_47radix_sort_onesweep_sort_config_static_selectorELNS0_4arch9wavefront6targetE1EEEvSI_
		.amdhsa_group_segment_fixed_size 0
		.amdhsa_private_segment_fixed_size 0
		.amdhsa_kernarg_size 88
		.amdhsa_user_sgpr_count 2
		.amdhsa_user_sgpr_dispatch_ptr 0
		.amdhsa_user_sgpr_queue_ptr 0
		.amdhsa_user_sgpr_kernarg_segment_ptr 1
		.amdhsa_user_sgpr_dispatch_id 0
		.amdhsa_user_sgpr_kernarg_preload_length 0
		.amdhsa_user_sgpr_kernarg_preload_offset 0
		.amdhsa_user_sgpr_private_segment_size 0
		.amdhsa_uses_dynamic_stack 0
		.amdhsa_enable_private_segment 0
		.amdhsa_system_sgpr_workgroup_id_x 1
		.amdhsa_system_sgpr_workgroup_id_y 0
		.amdhsa_system_sgpr_workgroup_id_z 0
		.amdhsa_system_sgpr_workgroup_info 0
		.amdhsa_system_vgpr_workitem_id 0
		.amdhsa_next_free_vgpr 1
		.amdhsa_next_free_sgpr 0
		.amdhsa_accum_offset 4
		.amdhsa_reserve_vcc 0
		.amdhsa_float_round_mode_32 0
		.amdhsa_float_round_mode_16_64 0
		.amdhsa_float_denorm_mode_32 3
		.amdhsa_float_denorm_mode_16_64 3
		.amdhsa_dx10_clamp 1
		.amdhsa_ieee_mode 1
		.amdhsa_fp16_overflow 0
		.amdhsa_tg_split 0
		.amdhsa_exception_fp_ieee_invalid_op 0
		.amdhsa_exception_fp_denorm_src 0
		.amdhsa_exception_fp_ieee_div_zero 0
		.amdhsa_exception_fp_ieee_overflow 0
		.amdhsa_exception_fp_ieee_underflow 0
		.amdhsa_exception_fp_ieee_inexact 0
		.amdhsa_exception_int_div_zero 0
	.end_amdhsa_kernel
	.section	.text._ZN7rocprim17ROCPRIM_400000_NS6detail17trampoline_kernelINS0_14default_configENS1_35radix_sort_onesweep_config_selectorIddEEZZNS1_29radix_sort_onesweep_iterationIS3_Lb0EN6thrust23THRUST_200600_302600_NS6detail15normal_iteratorINS8_10device_ptrIdEEEESD_SD_SD_jNS0_19identity_decomposerENS1_16block_id_wrapperIjLb0EEEEE10hipError_tT1_PNSt15iterator_traitsISI_E10value_typeET2_T3_PNSJ_ISO_E10value_typeET4_T5_PST_SU_PNS1_23onesweep_lookback_stateEbbT6_jjT7_P12ihipStream_tbENKUlT_T0_SI_SN_E_clIPdSD_S15_SD_EEDaS11_S12_SI_SN_EUlS11_E_NS1_11comp_targetILNS1_3genE3ELNS1_11target_archE908ELNS1_3gpuE7ELNS1_3repE0EEENS1_47radix_sort_onesweep_sort_config_static_selectorELNS0_4arch9wavefront6targetE1EEEvSI_,"axG",@progbits,_ZN7rocprim17ROCPRIM_400000_NS6detail17trampoline_kernelINS0_14default_configENS1_35radix_sort_onesweep_config_selectorIddEEZZNS1_29radix_sort_onesweep_iterationIS3_Lb0EN6thrust23THRUST_200600_302600_NS6detail15normal_iteratorINS8_10device_ptrIdEEEESD_SD_SD_jNS0_19identity_decomposerENS1_16block_id_wrapperIjLb0EEEEE10hipError_tT1_PNSt15iterator_traitsISI_E10value_typeET2_T3_PNSJ_ISO_E10value_typeET4_T5_PST_SU_PNS1_23onesweep_lookback_stateEbbT6_jjT7_P12ihipStream_tbENKUlT_T0_SI_SN_E_clIPdSD_S15_SD_EEDaS11_S12_SI_SN_EUlS11_E_NS1_11comp_targetILNS1_3genE3ELNS1_11target_archE908ELNS1_3gpuE7ELNS1_3repE0EEENS1_47radix_sort_onesweep_sort_config_static_selectorELNS0_4arch9wavefront6targetE1EEEvSI_,comdat
.Lfunc_end159:
	.size	_ZN7rocprim17ROCPRIM_400000_NS6detail17trampoline_kernelINS0_14default_configENS1_35radix_sort_onesweep_config_selectorIddEEZZNS1_29radix_sort_onesweep_iterationIS3_Lb0EN6thrust23THRUST_200600_302600_NS6detail15normal_iteratorINS8_10device_ptrIdEEEESD_SD_SD_jNS0_19identity_decomposerENS1_16block_id_wrapperIjLb0EEEEE10hipError_tT1_PNSt15iterator_traitsISI_E10value_typeET2_T3_PNSJ_ISO_E10value_typeET4_T5_PST_SU_PNS1_23onesweep_lookback_stateEbbT6_jjT7_P12ihipStream_tbENKUlT_T0_SI_SN_E_clIPdSD_S15_SD_EEDaS11_S12_SI_SN_EUlS11_E_NS1_11comp_targetILNS1_3genE3ELNS1_11target_archE908ELNS1_3gpuE7ELNS1_3repE0EEENS1_47radix_sort_onesweep_sort_config_static_selectorELNS0_4arch9wavefront6targetE1EEEvSI_, .Lfunc_end159-_ZN7rocprim17ROCPRIM_400000_NS6detail17trampoline_kernelINS0_14default_configENS1_35radix_sort_onesweep_config_selectorIddEEZZNS1_29radix_sort_onesweep_iterationIS3_Lb0EN6thrust23THRUST_200600_302600_NS6detail15normal_iteratorINS8_10device_ptrIdEEEESD_SD_SD_jNS0_19identity_decomposerENS1_16block_id_wrapperIjLb0EEEEE10hipError_tT1_PNSt15iterator_traitsISI_E10value_typeET2_T3_PNSJ_ISO_E10value_typeET4_T5_PST_SU_PNS1_23onesweep_lookback_stateEbbT6_jjT7_P12ihipStream_tbENKUlT_T0_SI_SN_E_clIPdSD_S15_SD_EEDaS11_S12_SI_SN_EUlS11_E_NS1_11comp_targetILNS1_3genE3ELNS1_11target_archE908ELNS1_3gpuE7ELNS1_3repE0EEENS1_47radix_sort_onesweep_sort_config_static_selectorELNS0_4arch9wavefront6targetE1EEEvSI_
                                        ; -- End function
	.set _ZN7rocprim17ROCPRIM_400000_NS6detail17trampoline_kernelINS0_14default_configENS1_35radix_sort_onesweep_config_selectorIddEEZZNS1_29radix_sort_onesweep_iterationIS3_Lb0EN6thrust23THRUST_200600_302600_NS6detail15normal_iteratorINS8_10device_ptrIdEEEESD_SD_SD_jNS0_19identity_decomposerENS1_16block_id_wrapperIjLb0EEEEE10hipError_tT1_PNSt15iterator_traitsISI_E10value_typeET2_T3_PNSJ_ISO_E10value_typeET4_T5_PST_SU_PNS1_23onesweep_lookback_stateEbbT6_jjT7_P12ihipStream_tbENKUlT_T0_SI_SN_E_clIPdSD_S15_SD_EEDaS11_S12_SI_SN_EUlS11_E_NS1_11comp_targetILNS1_3genE3ELNS1_11target_archE908ELNS1_3gpuE7ELNS1_3repE0EEENS1_47radix_sort_onesweep_sort_config_static_selectorELNS0_4arch9wavefront6targetE1EEEvSI_.num_vgpr, 0
	.set _ZN7rocprim17ROCPRIM_400000_NS6detail17trampoline_kernelINS0_14default_configENS1_35radix_sort_onesweep_config_selectorIddEEZZNS1_29radix_sort_onesweep_iterationIS3_Lb0EN6thrust23THRUST_200600_302600_NS6detail15normal_iteratorINS8_10device_ptrIdEEEESD_SD_SD_jNS0_19identity_decomposerENS1_16block_id_wrapperIjLb0EEEEE10hipError_tT1_PNSt15iterator_traitsISI_E10value_typeET2_T3_PNSJ_ISO_E10value_typeET4_T5_PST_SU_PNS1_23onesweep_lookback_stateEbbT6_jjT7_P12ihipStream_tbENKUlT_T0_SI_SN_E_clIPdSD_S15_SD_EEDaS11_S12_SI_SN_EUlS11_E_NS1_11comp_targetILNS1_3genE3ELNS1_11target_archE908ELNS1_3gpuE7ELNS1_3repE0EEENS1_47radix_sort_onesweep_sort_config_static_selectorELNS0_4arch9wavefront6targetE1EEEvSI_.num_agpr, 0
	.set _ZN7rocprim17ROCPRIM_400000_NS6detail17trampoline_kernelINS0_14default_configENS1_35radix_sort_onesweep_config_selectorIddEEZZNS1_29radix_sort_onesweep_iterationIS3_Lb0EN6thrust23THRUST_200600_302600_NS6detail15normal_iteratorINS8_10device_ptrIdEEEESD_SD_SD_jNS0_19identity_decomposerENS1_16block_id_wrapperIjLb0EEEEE10hipError_tT1_PNSt15iterator_traitsISI_E10value_typeET2_T3_PNSJ_ISO_E10value_typeET4_T5_PST_SU_PNS1_23onesweep_lookback_stateEbbT6_jjT7_P12ihipStream_tbENKUlT_T0_SI_SN_E_clIPdSD_S15_SD_EEDaS11_S12_SI_SN_EUlS11_E_NS1_11comp_targetILNS1_3genE3ELNS1_11target_archE908ELNS1_3gpuE7ELNS1_3repE0EEENS1_47radix_sort_onesweep_sort_config_static_selectorELNS0_4arch9wavefront6targetE1EEEvSI_.numbered_sgpr, 0
	.set _ZN7rocprim17ROCPRIM_400000_NS6detail17trampoline_kernelINS0_14default_configENS1_35radix_sort_onesweep_config_selectorIddEEZZNS1_29radix_sort_onesweep_iterationIS3_Lb0EN6thrust23THRUST_200600_302600_NS6detail15normal_iteratorINS8_10device_ptrIdEEEESD_SD_SD_jNS0_19identity_decomposerENS1_16block_id_wrapperIjLb0EEEEE10hipError_tT1_PNSt15iterator_traitsISI_E10value_typeET2_T3_PNSJ_ISO_E10value_typeET4_T5_PST_SU_PNS1_23onesweep_lookback_stateEbbT6_jjT7_P12ihipStream_tbENKUlT_T0_SI_SN_E_clIPdSD_S15_SD_EEDaS11_S12_SI_SN_EUlS11_E_NS1_11comp_targetILNS1_3genE3ELNS1_11target_archE908ELNS1_3gpuE7ELNS1_3repE0EEENS1_47radix_sort_onesweep_sort_config_static_selectorELNS0_4arch9wavefront6targetE1EEEvSI_.num_named_barrier, 0
	.set _ZN7rocprim17ROCPRIM_400000_NS6detail17trampoline_kernelINS0_14default_configENS1_35radix_sort_onesweep_config_selectorIddEEZZNS1_29radix_sort_onesweep_iterationIS3_Lb0EN6thrust23THRUST_200600_302600_NS6detail15normal_iteratorINS8_10device_ptrIdEEEESD_SD_SD_jNS0_19identity_decomposerENS1_16block_id_wrapperIjLb0EEEEE10hipError_tT1_PNSt15iterator_traitsISI_E10value_typeET2_T3_PNSJ_ISO_E10value_typeET4_T5_PST_SU_PNS1_23onesweep_lookback_stateEbbT6_jjT7_P12ihipStream_tbENKUlT_T0_SI_SN_E_clIPdSD_S15_SD_EEDaS11_S12_SI_SN_EUlS11_E_NS1_11comp_targetILNS1_3genE3ELNS1_11target_archE908ELNS1_3gpuE7ELNS1_3repE0EEENS1_47radix_sort_onesweep_sort_config_static_selectorELNS0_4arch9wavefront6targetE1EEEvSI_.private_seg_size, 0
	.set _ZN7rocprim17ROCPRIM_400000_NS6detail17trampoline_kernelINS0_14default_configENS1_35radix_sort_onesweep_config_selectorIddEEZZNS1_29radix_sort_onesweep_iterationIS3_Lb0EN6thrust23THRUST_200600_302600_NS6detail15normal_iteratorINS8_10device_ptrIdEEEESD_SD_SD_jNS0_19identity_decomposerENS1_16block_id_wrapperIjLb0EEEEE10hipError_tT1_PNSt15iterator_traitsISI_E10value_typeET2_T3_PNSJ_ISO_E10value_typeET4_T5_PST_SU_PNS1_23onesweep_lookback_stateEbbT6_jjT7_P12ihipStream_tbENKUlT_T0_SI_SN_E_clIPdSD_S15_SD_EEDaS11_S12_SI_SN_EUlS11_E_NS1_11comp_targetILNS1_3genE3ELNS1_11target_archE908ELNS1_3gpuE7ELNS1_3repE0EEENS1_47radix_sort_onesweep_sort_config_static_selectorELNS0_4arch9wavefront6targetE1EEEvSI_.uses_vcc, 0
	.set _ZN7rocprim17ROCPRIM_400000_NS6detail17trampoline_kernelINS0_14default_configENS1_35radix_sort_onesweep_config_selectorIddEEZZNS1_29radix_sort_onesweep_iterationIS3_Lb0EN6thrust23THRUST_200600_302600_NS6detail15normal_iteratorINS8_10device_ptrIdEEEESD_SD_SD_jNS0_19identity_decomposerENS1_16block_id_wrapperIjLb0EEEEE10hipError_tT1_PNSt15iterator_traitsISI_E10value_typeET2_T3_PNSJ_ISO_E10value_typeET4_T5_PST_SU_PNS1_23onesweep_lookback_stateEbbT6_jjT7_P12ihipStream_tbENKUlT_T0_SI_SN_E_clIPdSD_S15_SD_EEDaS11_S12_SI_SN_EUlS11_E_NS1_11comp_targetILNS1_3genE3ELNS1_11target_archE908ELNS1_3gpuE7ELNS1_3repE0EEENS1_47radix_sort_onesweep_sort_config_static_selectorELNS0_4arch9wavefront6targetE1EEEvSI_.uses_flat_scratch, 0
	.set _ZN7rocprim17ROCPRIM_400000_NS6detail17trampoline_kernelINS0_14default_configENS1_35radix_sort_onesweep_config_selectorIddEEZZNS1_29radix_sort_onesweep_iterationIS3_Lb0EN6thrust23THRUST_200600_302600_NS6detail15normal_iteratorINS8_10device_ptrIdEEEESD_SD_SD_jNS0_19identity_decomposerENS1_16block_id_wrapperIjLb0EEEEE10hipError_tT1_PNSt15iterator_traitsISI_E10value_typeET2_T3_PNSJ_ISO_E10value_typeET4_T5_PST_SU_PNS1_23onesweep_lookback_stateEbbT6_jjT7_P12ihipStream_tbENKUlT_T0_SI_SN_E_clIPdSD_S15_SD_EEDaS11_S12_SI_SN_EUlS11_E_NS1_11comp_targetILNS1_3genE3ELNS1_11target_archE908ELNS1_3gpuE7ELNS1_3repE0EEENS1_47radix_sort_onesweep_sort_config_static_selectorELNS0_4arch9wavefront6targetE1EEEvSI_.has_dyn_sized_stack, 0
	.set _ZN7rocprim17ROCPRIM_400000_NS6detail17trampoline_kernelINS0_14default_configENS1_35radix_sort_onesweep_config_selectorIddEEZZNS1_29radix_sort_onesweep_iterationIS3_Lb0EN6thrust23THRUST_200600_302600_NS6detail15normal_iteratorINS8_10device_ptrIdEEEESD_SD_SD_jNS0_19identity_decomposerENS1_16block_id_wrapperIjLb0EEEEE10hipError_tT1_PNSt15iterator_traitsISI_E10value_typeET2_T3_PNSJ_ISO_E10value_typeET4_T5_PST_SU_PNS1_23onesweep_lookback_stateEbbT6_jjT7_P12ihipStream_tbENKUlT_T0_SI_SN_E_clIPdSD_S15_SD_EEDaS11_S12_SI_SN_EUlS11_E_NS1_11comp_targetILNS1_3genE3ELNS1_11target_archE908ELNS1_3gpuE7ELNS1_3repE0EEENS1_47radix_sort_onesweep_sort_config_static_selectorELNS0_4arch9wavefront6targetE1EEEvSI_.has_recursion, 0
	.set _ZN7rocprim17ROCPRIM_400000_NS6detail17trampoline_kernelINS0_14default_configENS1_35radix_sort_onesweep_config_selectorIddEEZZNS1_29radix_sort_onesweep_iterationIS3_Lb0EN6thrust23THRUST_200600_302600_NS6detail15normal_iteratorINS8_10device_ptrIdEEEESD_SD_SD_jNS0_19identity_decomposerENS1_16block_id_wrapperIjLb0EEEEE10hipError_tT1_PNSt15iterator_traitsISI_E10value_typeET2_T3_PNSJ_ISO_E10value_typeET4_T5_PST_SU_PNS1_23onesweep_lookback_stateEbbT6_jjT7_P12ihipStream_tbENKUlT_T0_SI_SN_E_clIPdSD_S15_SD_EEDaS11_S12_SI_SN_EUlS11_E_NS1_11comp_targetILNS1_3genE3ELNS1_11target_archE908ELNS1_3gpuE7ELNS1_3repE0EEENS1_47radix_sort_onesweep_sort_config_static_selectorELNS0_4arch9wavefront6targetE1EEEvSI_.has_indirect_call, 0
	.section	.AMDGPU.csdata,"",@progbits
; Kernel info:
; codeLenInByte = 0
; TotalNumSgprs: 6
; NumVgprs: 0
; NumAgprs: 0
; TotalNumVgprs: 0
; ScratchSize: 0
; MemoryBound: 0
; FloatMode: 240
; IeeeMode: 1
; LDSByteSize: 0 bytes/workgroup (compile time only)
; SGPRBlocks: 0
; VGPRBlocks: 0
; NumSGPRsForWavesPerEU: 6
; NumVGPRsForWavesPerEU: 1
; AccumOffset: 4
; Occupancy: 8
; WaveLimiterHint : 0
; COMPUTE_PGM_RSRC2:SCRATCH_EN: 0
; COMPUTE_PGM_RSRC2:USER_SGPR: 2
; COMPUTE_PGM_RSRC2:TRAP_HANDLER: 0
; COMPUTE_PGM_RSRC2:TGID_X_EN: 1
; COMPUTE_PGM_RSRC2:TGID_Y_EN: 0
; COMPUTE_PGM_RSRC2:TGID_Z_EN: 0
; COMPUTE_PGM_RSRC2:TIDIG_COMP_CNT: 0
; COMPUTE_PGM_RSRC3_GFX90A:ACCUM_OFFSET: 0
; COMPUTE_PGM_RSRC3_GFX90A:TG_SPLIT: 0
	.section	.text._ZN7rocprim17ROCPRIM_400000_NS6detail17trampoline_kernelINS0_14default_configENS1_35radix_sort_onesweep_config_selectorIddEEZZNS1_29radix_sort_onesweep_iterationIS3_Lb0EN6thrust23THRUST_200600_302600_NS6detail15normal_iteratorINS8_10device_ptrIdEEEESD_SD_SD_jNS0_19identity_decomposerENS1_16block_id_wrapperIjLb0EEEEE10hipError_tT1_PNSt15iterator_traitsISI_E10value_typeET2_T3_PNSJ_ISO_E10value_typeET4_T5_PST_SU_PNS1_23onesweep_lookback_stateEbbT6_jjT7_P12ihipStream_tbENKUlT_T0_SI_SN_E_clIPdSD_S15_SD_EEDaS11_S12_SI_SN_EUlS11_E_NS1_11comp_targetILNS1_3genE10ELNS1_11target_archE1201ELNS1_3gpuE5ELNS1_3repE0EEENS1_47radix_sort_onesweep_sort_config_static_selectorELNS0_4arch9wavefront6targetE1EEEvSI_,"axG",@progbits,_ZN7rocprim17ROCPRIM_400000_NS6detail17trampoline_kernelINS0_14default_configENS1_35radix_sort_onesweep_config_selectorIddEEZZNS1_29radix_sort_onesweep_iterationIS3_Lb0EN6thrust23THRUST_200600_302600_NS6detail15normal_iteratorINS8_10device_ptrIdEEEESD_SD_SD_jNS0_19identity_decomposerENS1_16block_id_wrapperIjLb0EEEEE10hipError_tT1_PNSt15iterator_traitsISI_E10value_typeET2_T3_PNSJ_ISO_E10value_typeET4_T5_PST_SU_PNS1_23onesweep_lookback_stateEbbT6_jjT7_P12ihipStream_tbENKUlT_T0_SI_SN_E_clIPdSD_S15_SD_EEDaS11_S12_SI_SN_EUlS11_E_NS1_11comp_targetILNS1_3genE10ELNS1_11target_archE1201ELNS1_3gpuE5ELNS1_3repE0EEENS1_47radix_sort_onesweep_sort_config_static_selectorELNS0_4arch9wavefront6targetE1EEEvSI_,comdat
	.protected	_ZN7rocprim17ROCPRIM_400000_NS6detail17trampoline_kernelINS0_14default_configENS1_35radix_sort_onesweep_config_selectorIddEEZZNS1_29radix_sort_onesweep_iterationIS3_Lb0EN6thrust23THRUST_200600_302600_NS6detail15normal_iteratorINS8_10device_ptrIdEEEESD_SD_SD_jNS0_19identity_decomposerENS1_16block_id_wrapperIjLb0EEEEE10hipError_tT1_PNSt15iterator_traitsISI_E10value_typeET2_T3_PNSJ_ISO_E10value_typeET4_T5_PST_SU_PNS1_23onesweep_lookback_stateEbbT6_jjT7_P12ihipStream_tbENKUlT_T0_SI_SN_E_clIPdSD_S15_SD_EEDaS11_S12_SI_SN_EUlS11_E_NS1_11comp_targetILNS1_3genE10ELNS1_11target_archE1201ELNS1_3gpuE5ELNS1_3repE0EEENS1_47radix_sort_onesweep_sort_config_static_selectorELNS0_4arch9wavefront6targetE1EEEvSI_ ; -- Begin function _ZN7rocprim17ROCPRIM_400000_NS6detail17trampoline_kernelINS0_14default_configENS1_35radix_sort_onesweep_config_selectorIddEEZZNS1_29radix_sort_onesweep_iterationIS3_Lb0EN6thrust23THRUST_200600_302600_NS6detail15normal_iteratorINS8_10device_ptrIdEEEESD_SD_SD_jNS0_19identity_decomposerENS1_16block_id_wrapperIjLb0EEEEE10hipError_tT1_PNSt15iterator_traitsISI_E10value_typeET2_T3_PNSJ_ISO_E10value_typeET4_T5_PST_SU_PNS1_23onesweep_lookback_stateEbbT6_jjT7_P12ihipStream_tbENKUlT_T0_SI_SN_E_clIPdSD_S15_SD_EEDaS11_S12_SI_SN_EUlS11_E_NS1_11comp_targetILNS1_3genE10ELNS1_11target_archE1201ELNS1_3gpuE5ELNS1_3repE0EEENS1_47radix_sort_onesweep_sort_config_static_selectorELNS0_4arch9wavefront6targetE1EEEvSI_
	.globl	_ZN7rocprim17ROCPRIM_400000_NS6detail17trampoline_kernelINS0_14default_configENS1_35radix_sort_onesweep_config_selectorIddEEZZNS1_29radix_sort_onesweep_iterationIS3_Lb0EN6thrust23THRUST_200600_302600_NS6detail15normal_iteratorINS8_10device_ptrIdEEEESD_SD_SD_jNS0_19identity_decomposerENS1_16block_id_wrapperIjLb0EEEEE10hipError_tT1_PNSt15iterator_traitsISI_E10value_typeET2_T3_PNSJ_ISO_E10value_typeET4_T5_PST_SU_PNS1_23onesweep_lookback_stateEbbT6_jjT7_P12ihipStream_tbENKUlT_T0_SI_SN_E_clIPdSD_S15_SD_EEDaS11_S12_SI_SN_EUlS11_E_NS1_11comp_targetILNS1_3genE10ELNS1_11target_archE1201ELNS1_3gpuE5ELNS1_3repE0EEENS1_47radix_sort_onesweep_sort_config_static_selectorELNS0_4arch9wavefront6targetE1EEEvSI_
	.p2align	8
	.type	_ZN7rocprim17ROCPRIM_400000_NS6detail17trampoline_kernelINS0_14default_configENS1_35radix_sort_onesweep_config_selectorIddEEZZNS1_29radix_sort_onesweep_iterationIS3_Lb0EN6thrust23THRUST_200600_302600_NS6detail15normal_iteratorINS8_10device_ptrIdEEEESD_SD_SD_jNS0_19identity_decomposerENS1_16block_id_wrapperIjLb0EEEEE10hipError_tT1_PNSt15iterator_traitsISI_E10value_typeET2_T3_PNSJ_ISO_E10value_typeET4_T5_PST_SU_PNS1_23onesweep_lookback_stateEbbT6_jjT7_P12ihipStream_tbENKUlT_T0_SI_SN_E_clIPdSD_S15_SD_EEDaS11_S12_SI_SN_EUlS11_E_NS1_11comp_targetILNS1_3genE10ELNS1_11target_archE1201ELNS1_3gpuE5ELNS1_3repE0EEENS1_47radix_sort_onesweep_sort_config_static_selectorELNS0_4arch9wavefront6targetE1EEEvSI_,@function
_ZN7rocprim17ROCPRIM_400000_NS6detail17trampoline_kernelINS0_14default_configENS1_35radix_sort_onesweep_config_selectorIddEEZZNS1_29radix_sort_onesweep_iterationIS3_Lb0EN6thrust23THRUST_200600_302600_NS6detail15normal_iteratorINS8_10device_ptrIdEEEESD_SD_SD_jNS0_19identity_decomposerENS1_16block_id_wrapperIjLb0EEEEE10hipError_tT1_PNSt15iterator_traitsISI_E10value_typeET2_T3_PNSJ_ISO_E10value_typeET4_T5_PST_SU_PNS1_23onesweep_lookback_stateEbbT6_jjT7_P12ihipStream_tbENKUlT_T0_SI_SN_E_clIPdSD_S15_SD_EEDaS11_S12_SI_SN_EUlS11_E_NS1_11comp_targetILNS1_3genE10ELNS1_11target_archE1201ELNS1_3gpuE5ELNS1_3repE0EEENS1_47radix_sort_onesweep_sort_config_static_selectorELNS0_4arch9wavefront6targetE1EEEvSI_: ; @_ZN7rocprim17ROCPRIM_400000_NS6detail17trampoline_kernelINS0_14default_configENS1_35radix_sort_onesweep_config_selectorIddEEZZNS1_29radix_sort_onesweep_iterationIS3_Lb0EN6thrust23THRUST_200600_302600_NS6detail15normal_iteratorINS8_10device_ptrIdEEEESD_SD_SD_jNS0_19identity_decomposerENS1_16block_id_wrapperIjLb0EEEEE10hipError_tT1_PNSt15iterator_traitsISI_E10value_typeET2_T3_PNSJ_ISO_E10value_typeET4_T5_PST_SU_PNS1_23onesweep_lookback_stateEbbT6_jjT7_P12ihipStream_tbENKUlT_T0_SI_SN_E_clIPdSD_S15_SD_EEDaS11_S12_SI_SN_EUlS11_E_NS1_11comp_targetILNS1_3genE10ELNS1_11target_archE1201ELNS1_3gpuE5ELNS1_3repE0EEENS1_47radix_sort_onesweep_sort_config_static_selectorELNS0_4arch9wavefront6targetE1EEEvSI_
; %bb.0:
	.section	.rodata,"a",@progbits
	.p2align	6, 0x0
	.amdhsa_kernel _ZN7rocprim17ROCPRIM_400000_NS6detail17trampoline_kernelINS0_14default_configENS1_35radix_sort_onesweep_config_selectorIddEEZZNS1_29radix_sort_onesweep_iterationIS3_Lb0EN6thrust23THRUST_200600_302600_NS6detail15normal_iteratorINS8_10device_ptrIdEEEESD_SD_SD_jNS0_19identity_decomposerENS1_16block_id_wrapperIjLb0EEEEE10hipError_tT1_PNSt15iterator_traitsISI_E10value_typeET2_T3_PNSJ_ISO_E10value_typeET4_T5_PST_SU_PNS1_23onesweep_lookback_stateEbbT6_jjT7_P12ihipStream_tbENKUlT_T0_SI_SN_E_clIPdSD_S15_SD_EEDaS11_S12_SI_SN_EUlS11_E_NS1_11comp_targetILNS1_3genE10ELNS1_11target_archE1201ELNS1_3gpuE5ELNS1_3repE0EEENS1_47radix_sort_onesweep_sort_config_static_selectorELNS0_4arch9wavefront6targetE1EEEvSI_
		.amdhsa_group_segment_fixed_size 0
		.amdhsa_private_segment_fixed_size 0
		.amdhsa_kernarg_size 88
		.amdhsa_user_sgpr_count 2
		.amdhsa_user_sgpr_dispatch_ptr 0
		.amdhsa_user_sgpr_queue_ptr 0
		.amdhsa_user_sgpr_kernarg_segment_ptr 1
		.amdhsa_user_sgpr_dispatch_id 0
		.amdhsa_user_sgpr_kernarg_preload_length 0
		.amdhsa_user_sgpr_kernarg_preload_offset 0
		.amdhsa_user_sgpr_private_segment_size 0
		.amdhsa_uses_dynamic_stack 0
		.amdhsa_enable_private_segment 0
		.amdhsa_system_sgpr_workgroup_id_x 1
		.amdhsa_system_sgpr_workgroup_id_y 0
		.amdhsa_system_sgpr_workgroup_id_z 0
		.amdhsa_system_sgpr_workgroup_info 0
		.amdhsa_system_vgpr_workitem_id 0
		.amdhsa_next_free_vgpr 1
		.amdhsa_next_free_sgpr 0
		.amdhsa_accum_offset 4
		.amdhsa_reserve_vcc 0
		.amdhsa_float_round_mode_32 0
		.amdhsa_float_round_mode_16_64 0
		.amdhsa_float_denorm_mode_32 3
		.amdhsa_float_denorm_mode_16_64 3
		.amdhsa_dx10_clamp 1
		.amdhsa_ieee_mode 1
		.amdhsa_fp16_overflow 0
		.amdhsa_tg_split 0
		.amdhsa_exception_fp_ieee_invalid_op 0
		.amdhsa_exception_fp_denorm_src 0
		.amdhsa_exception_fp_ieee_div_zero 0
		.amdhsa_exception_fp_ieee_overflow 0
		.amdhsa_exception_fp_ieee_underflow 0
		.amdhsa_exception_fp_ieee_inexact 0
		.amdhsa_exception_int_div_zero 0
	.end_amdhsa_kernel
	.section	.text._ZN7rocprim17ROCPRIM_400000_NS6detail17trampoline_kernelINS0_14default_configENS1_35radix_sort_onesweep_config_selectorIddEEZZNS1_29radix_sort_onesweep_iterationIS3_Lb0EN6thrust23THRUST_200600_302600_NS6detail15normal_iteratorINS8_10device_ptrIdEEEESD_SD_SD_jNS0_19identity_decomposerENS1_16block_id_wrapperIjLb0EEEEE10hipError_tT1_PNSt15iterator_traitsISI_E10value_typeET2_T3_PNSJ_ISO_E10value_typeET4_T5_PST_SU_PNS1_23onesweep_lookback_stateEbbT6_jjT7_P12ihipStream_tbENKUlT_T0_SI_SN_E_clIPdSD_S15_SD_EEDaS11_S12_SI_SN_EUlS11_E_NS1_11comp_targetILNS1_3genE10ELNS1_11target_archE1201ELNS1_3gpuE5ELNS1_3repE0EEENS1_47radix_sort_onesweep_sort_config_static_selectorELNS0_4arch9wavefront6targetE1EEEvSI_,"axG",@progbits,_ZN7rocprim17ROCPRIM_400000_NS6detail17trampoline_kernelINS0_14default_configENS1_35radix_sort_onesweep_config_selectorIddEEZZNS1_29radix_sort_onesweep_iterationIS3_Lb0EN6thrust23THRUST_200600_302600_NS6detail15normal_iteratorINS8_10device_ptrIdEEEESD_SD_SD_jNS0_19identity_decomposerENS1_16block_id_wrapperIjLb0EEEEE10hipError_tT1_PNSt15iterator_traitsISI_E10value_typeET2_T3_PNSJ_ISO_E10value_typeET4_T5_PST_SU_PNS1_23onesweep_lookback_stateEbbT6_jjT7_P12ihipStream_tbENKUlT_T0_SI_SN_E_clIPdSD_S15_SD_EEDaS11_S12_SI_SN_EUlS11_E_NS1_11comp_targetILNS1_3genE10ELNS1_11target_archE1201ELNS1_3gpuE5ELNS1_3repE0EEENS1_47radix_sort_onesweep_sort_config_static_selectorELNS0_4arch9wavefront6targetE1EEEvSI_,comdat
.Lfunc_end160:
	.size	_ZN7rocprim17ROCPRIM_400000_NS6detail17trampoline_kernelINS0_14default_configENS1_35radix_sort_onesweep_config_selectorIddEEZZNS1_29radix_sort_onesweep_iterationIS3_Lb0EN6thrust23THRUST_200600_302600_NS6detail15normal_iteratorINS8_10device_ptrIdEEEESD_SD_SD_jNS0_19identity_decomposerENS1_16block_id_wrapperIjLb0EEEEE10hipError_tT1_PNSt15iterator_traitsISI_E10value_typeET2_T3_PNSJ_ISO_E10value_typeET4_T5_PST_SU_PNS1_23onesweep_lookback_stateEbbT6_jjT7_P12ihipStream_tbENKUlT_T0_SI_SN_E_clIPdSD_S15_SD_EEDaS11_S12_SI_SN_EUlS11_E_NS1_11comp_targetILNS1_3genE10ELNS1_11target_archE1201ELNS1_3gpuE5ELNS1_3repE0EEENS1_47radix_sort_onesweep_sort_config_static_selectorELNS0_4arch9wavefront6targetE1EEEvSI_, .Lfunc_end160-_ZN7rocprim17ROCPRIM_400000_NS6detail17trampoline_kernelINS0_14default_configENS1_35radix_sort_onesweep_config_selectorIddEEZZNS1_29radix_sort_onesweep_iterationIS3_Lb0EN6thrust23THRUST_200600_302600_NS6detail15normal_iteratorINS8_10device_ptrIdEEEESD_SD_SD_jNS0_19identity_decomposerENS1_16block_id_wrapperIjLb0EEEEE10hipError_tT1_PNSt15iterator_traitsISI_E10value_typeET2_T3_PNSJ_ISO_E10value_typeET4_T5_PST_SU_PNS1_23onesweep_lookback_stateEbbT6_jjT7_P12ihipStream_tbENKUlT_T0_SI_SN_E_clIPdSD_S15_SD_EEDaS11_S12_SI_SN_EUlS11_E_NS1_11comp_targetILNS1_3genE10ELNS1_11target_archE1201ELNS1_3gpuE5ELNS1_3repE0EEENS1_47radix_sort_onesweep_sort_config_static_selectorELNS0_4arch9wavefront6targetE1EEEvSI_
                                        ; -- End function
	.set _ZN7rocprim17ROCPRIM_400000_NS6detail17trampoline_kernelINS0_14default_configENS1_35radix_sort_onesweep_config_selectorIddEEZZNS1_29radix_sort_onesweep_iterationIS3_Lb0EN6thrust23THRUST_200600_302600_NS6detail15normal_iteratorINS8_10device_ptrIdEEEESD_SD_SD_jNS0_19identity_decomposerENS1_16block_id_wrapperIjLb0EEEEE10hipError_tT1_PNSt15iterator_traitsISI_E10value_typeET2_T3_PNSJ_ISO_E10value_typeET4_T5_PST_SU_PNS1_23onesweep_lookback_stateEbbT6_jjT7_P12ihipStream_tbENKUlT_T0_SI_SN_E_clIPdSD_S15_SD_EEDaS11_S12_SI_SN_EUlS11_E_NS1_11comp_targetILNS1_3genE10ELNS1_11target_archE1201ELNS1_3gpuE5ELNS1_3repE0EEENS1_47radix_sort_onesweep_sort_config_static_selectorELNS0_4arch9wavefront6targetE1EEEvSI_.num_vgpr, 0
	.set _ZN7rocprim17ROCPRIM_400000_NS6detail17trampoline_kernelINS0_14default_configENS1_35radix_sort_onesweep_config_selectorIddEEZZNS1_29radix_sort_onesweep_iterationIS3_Lb0EN6thrust23THRUST_200600_302600_NS6detail15normal_iteratorINS8_10device_ptrIdEEEESD_SD_SD_jNS0_19identity_decomposerENS1_16block_id_wrapperIjLb0EEEEE10hipError_tT1_PNSt15iterator_traitsISI_E10value_typeET2_T3_PNSJ_ISO_E10value_typeET4_T5_PST_SU_PNS1_23onesweep_lookback_stateEbbT6_jjT7_P12ihipStream_tbENKUlT_T0_SI_SN_E_clIPdSD_S15_SD_EEDaS11_S12_SI_SN_EUlS11_E_NS1_11comp_targetILNS1_3genE10ELNS1_11target_archE1201ELNS1_3gpuE5ELNS1_3repE0EEENS1_47radix_sort_onesweep_sort_config_static_selectorELNS0_4arch9wavefront6targetE1EEEvSI_.num_agpr, 0
	.set _ZN7rocprim17ROCPRIM_400000_NS6detail17trampoline_kernelINS0_14default_configENS1_35radix_sort_onesweep_config_selectorIddEEZZNS1_29radix_sort_onesweep_iterationIS3_Lb0EN6thrust23THRUST_200600_302600_NS6detail15normal_iteratorINS8_10device_ptrIdEEEESD_SD_SD_jNS0_19identity_decomposerENS1_16block_id_wrapperIjLb0EEEEE10hipError_tT1_PNSt15iterator_traitsISI_E10value_typeET2_T3_PNSJ_ISO_E10value_typeET4_T5_PST_SU_PNS1_23onesweep_lookback_stateEbbT6_jjT7_P12ihipStream_tbENKUlT_T0_SI_SN_E_clIPdSD_S15_SD_EEDaS11_S12_SI_SN_EUlS11_E_NS1_11comp_targetILNS1_3genE10ELNS1_11target_archE1201ELNS1_3gpuE5ELNS1_3repE0EEENS1_47radix_sort_onesweep_sort_config_static_selectorELNS0_4arch9wavefront6targetE1EEEvSI_.numbered_sgpr, 0
	.set _ZN7rocprim17ROCPRIM_400000_NS6detail17trampoline_kernelINS0_14default_configENS1_35radix_sort_onesweep_config_selectorIddEEZZNS1_29radix_sort_onesweep_iterationIS3_Lb0EN6thrust23THRUST_200600_302600_NS6detail15normal_iteratorINS8_10device_ptrIdEEEESD_SD_SD_jNS0_19identity_decomposerENS1_16block_id_wrapperIjLb0EEEEE10hipError_tT1_PNSt15iterator_traitsISI_E10value_typeET2_T3_PNSJ_ISO_E10value_typeET4_T5_PST_SU_PNS1_23onesweep_lookback_stateEbbT6_jjT7_P12ihipStream_tbENKUlT_T0_SI_SN_E_clIPdSD_S15_SD_EEDaS11_S12_SI_SN_EUlS11_E_NS1_11comp_targetILNS1_3genE10ELNS1_11target_archE1201ELNS1_3gpuE5ELNS1_3repE0EEENS1_47radix_sort_onesweep_sort_config_static_selectorELNS0_4arch9wavefront6targetE1EEEvSI_.num_named_barrier, 0
	.set _ZN7rocprim17ROCPRIM_400000_NS6detail17trampoline_kernelINS0_14default_configENS1_35radix_sort_onesweep_config_selectorIddEEZZNS1_29radix_sort_onesweep_iterationIS3_Lb0EN6thrust23THRUST_200600_302600_NS6detail15normal_iteratorINS8_10device_ptrIdEEEESD_SD_SD_jNS0_19identity_decomposerENS1_16block_id_wrapperIjLb0EEEEE10hipError_tT1_PNSt15iterator_traitsISI_E10value_typeET2_T3_PNSJ_ISO_E10value_typeET4_T5_PST_SU_PNS1_23onesweep_lookback_stateEbbT6_jjT7_P12ihipStream_tbENKUlT_T0_SI_SN_E_clIPdSD_S15_SD_EEDaS11_S12_SI_SN_EUlS11_E_NS1_11comp_targetILNS1_3genE10ELNS1_11target_archE1201ELNS1_3gpuE5ELNS1_3repE0EEENS1_47radix_sort_onesweep_sort_config_static_selectorELNS0_4arch9wavefront6targetE1EEEvSI_.private_seg_size, 0
	.set _ZN7rocprim17ROCPRIM_400000_NS6detail17trampoline_kernelINS0_14default_configENS1_35radix_sort_onesweep_config_selectorIddEEZZNS1_29radix_sort_onesweep_iterationIS3_Lb0EN6thrust23THRUST_200600_302600_NS6detail15normal_iteratorINS8_10device_ptrIdEEEESD_SD_SD_jNS0_19identity_decomposerENS1_16block_id_wrapperIjLb0EEEEE10hipError_tT1_PNSt15iterator_traitsISI_E10value_typeET2_T3_PNSJ_ISO_E10value_typeET4_T5_PST_SU_PNS1_23onesweep_lookback_stateEbbT6_jjT7_P12ihipStream_tbENKUlT_T0_SI_SN_E_clIPdSD_S15_SD_EEDaS11_S12_SI_SN_EUlS11_E_NS1_11comp_targetILNS1_3genE10ELNS1_11target_archE1201ELNS1_3gpuE5ELNS1_3repE0EEENS1_47radix_sort_onesweep_sort_config_static_selectorELNS0_4arch9wavefront6targetE1EEEvSI_.uses_vcc, 0
	.set _ZN7rocprim17ROCPRIM_400000_NS6detail17trampoline_kernelINS0_14default_configENS1_35radix_sort_onesweep_config_selectorIddEEZZNS1_29radix_sort_onesweep_iterationIS3_Lb0EN6thrust23THRUST_200600_302600_NS6detail15normal_iteratorINS8_10device_ptrIdEEEESD_SD_SD_jNS0_19identity_decomposerENS1_16block_id_wrapperIjLb0EEEEE10hipError_tT1_PNSt15iterator_traitsISI_E10value_typeET2_T3_PNSJ_ISO_E10value_typeET4_T5_PST_SU_PNS1_23onesweep_lookback_stateEbbT6_jjT7_P12ihipStream_tbENKUlT_T0_SI_SN_E_clIPdSD_S15_SD_EEDaS11_S12_SI_SN_EUlS11_E_NS1_11comp_targetILNS1_3genE10ELNS1_11target_archE1201ELNS1_3gpuE5ELNS1_3repE0EEENS1_47radix_sort_onesweep_sort_config_static_selectorELNS0_4arch9wavefront6targetE1EEEvSI_.uses_flat_scratch, 0
	.set _ZN7rocprim17ROCPRIM_400000_NS6detail17trampoline_kernelINS0_14default_configENS1_35radix_sort_onesweep_config_selectorIddEEZZNS1_29radix_sort_onesweep_iterationIS3_Lb0EN6thrust23THRUST_200600_302600_NS6detail15normal_iteratorINS8_10device_ptrIdEEEESD_SD_SD_jNS0_19identity_decomposerENS1_16block_id_wrapperIjLb0EEEEE10hipError_tT1_PNSt15iterator_traitsISI_E10value_typeET2_T3_PNSJ_ISO_E10value_typeET4_T5_PST_SU_PNS1_23onesweep_lookback_stateEbbT6_jjT7_P12ihipStream_tbENKUlT_T0_SI_SN_E_clIPdSD_S15_SD_EEDaS11_S12_SI_SN_EUlS11_E_NS1_11comp_targetILNS1_3genE10ELNS1_11target_archE1201ELNS1_3gpuE5ELNS1_3repE0EEENS1_47radix_sort_onesweep_sort_config_static_selectorELNS0_4arch9wavefront6targetE1EEEvSI_.has_dyn_sized_stack, 0
	.set _ZN7rocprim17ROCPRIM_400000_NS6detail17trampoline_kernelINS0_14default_configENS1_35radix_sort_onesweep_config_selectorIddEEZZNS1_29radix_sort_onesweep_iterationIS3_Lb0EN6thrust23THRUST_200600_302600_NS6detail15normal_iteratorINS8_10device_ptrIdEEEESD_SD_SD_jNS0_19identity_decomposerENS1_16block_id_wrapperIjLb0EEEEE10hipError_tT1_PNSt15iterator_traitsISI_E10value_typeET2_T3_PNSJ_ISO_E10value_typeET4_T5_PST_SU_PNS1_23onesweep_lookback_stateEbbT6_jjT7_P12ihipStream_tbENKUlT_T0_SI_SN_E_clIPdSD_S15_SD_EEDaS11_S12_SI_SN_EUlS11_E_NS1_11comp_targetILNS1_3genE10ELNS1_11target_archE1201ELNS1_3gpuE5ELNS1_3repE0EEENS1_47radix_sort_onesweep_sort_config_static_selectorELNS0_4arch9wavefront6targetE1EEEvSI_.has_recursion, 0
	.set _ZN7rocprim17ROCPRIM_400000_NS6detail17trampoline_kernelINS0_14default_configENS1_35radix_sort_onesweep_config_selectorIddEEZZNS1_29radix_sort_onesweep_iterationIS3_Lb0EN6thrust23THRUST_200600_302600_NS6detail15normal_iteratorINS8_10device_ptrIdEEEESD_SD_SD_jNS0_19identity_decomposerENS1_16block_id_wrapperIjLb0EEEEE10hipError_tT1_PNSt15iterator_traitsISI_E10value_typeET2_T3_PNSJ_ISO_E10value_typeET4_T5_PST_SU_PNS1_23onesweep_lookback_stateEbbT6_jjT7_P12ihipStream_tbENKUlT_T0_SI_SN_E_clIPdSD_S15_SD_EEDaS11_S12_SI_SN_EUlS11_E_NS1_11comp_targetILNS1_3genE10ELNS1_11target_archE1201ELNS1_3gpuE5ELNS1_3repE0EEENS1_47radix_sort_onesweep_sort_config_static_selectorELNS0_4arch9wavefront6targetE1EEEvSI_.has_indirect_call, 0
	.section	.AMDGPU.csdata,"",@progbits
; Kernel info:
; codeLenInByte = 0
; TotalNumSgprs: 6
; NumVgprs: 0
; NumAgprs: 0
; TotalNumVgprs: 0
; ScratchSize: 0
; MemoryBound: 0
; FloatMode: 240
; IeeeMode: 1
; LDSByteSize: 0 bytes/workgroup (compile time only)
; SGPRBlocks: 0
; VGPRBlocks: 0
; NumSGPRsForWavesPerEU: 6
; NumVGPRsForWavesPerEU: 1
; AccumOffset: 4
; Occupancy: 8
; WaveLimiterHint : 0
; COMPUTE_PGM_RSRC2:SCRATCH_EN: 0
; COMPUTE_PGM_RSRC2:USER_SGPR: 2
; COMPUTE_PGM_RSRC2:TRAP_HANDLER: 0
; COMPUTE_PGM_RSRC2:TGID_X_EN: 1
; COMPUTE_PGM_RSRC2:TGID_Y_EN: 0
; COMPUTE_PGM_RSRC2:TGID_Z_EN: 0
; COMPUTE_PGM_RSRC2:TIDIG_COMP_CNT: 0
; COMPUTE_PGM_RSRC3_GFX90A:ACCUM_OFFSET: 0
; COMPUTE_PGM_RSRC3_GFX90A:TG_SPLIT: 0
	.section	.text._ZN7rocprim17ROCPRIM_400000_NS6detail17trampoline_kernelINS0_14default_configENS1_35radix_sort_onesweep_config_selectorIddEEZZNS1_29radix_sort_onesweep_iterationIS3_Lb0EN6thrust23THRUST_200600_302600_NS6detail15normal_iteratorINS8_10device_ptrIdEEEESD_SD_SD_jNS0_19identity_decomposerENS1_16block_id_wrapperIjLb0EEEEE10hipError_tT1_PNSt15iterator_traitsISI_E10value_typeET2_T3_PNSJ_ISO_E10value_typeET4_T5_PST_SU_PNS1_23onesweep_lookback_stateEbbT6_jjT7_P12ihipStream_tbENKUlT_T0_SI_SN_E_clIPdSD_S15_SD_EEDaS11_S12_SI_SN_EUlS11_E_NS1_11comp_targetILNS1_3genE9ELNS1_11target_archE1100ELNS1_3gpuE3ELNS1_3repE0EEENS1_47radix_sort_onesweep_sort_config_static_selectorELNS0_4arch9wavefront6targetE1EEEvSI_,"axG",@progbits,_ZN7rocprim17ROCPRIM_400000_NS6detail17trampoline_kernelINS0_14default_configENS1_35radix_sort_onesweep_config_selectorIddEEZZNS1_29radix_sort_onesweep_iterationIS3_Lb0EN6thrust23THRUST_200600_302600_NS6detail15normal_iteratorINS8_10device_ptrIdEEEESD_SD_SD_jNS0_19identity_decomposerENS1_16block_id_wrapperIjLb0EEEEE10hipError_tT1_PNSt15iterator_traitsISI_E10value_typeET2_T3_PNSJ_ISO_E10value_typeET4_T5_PST_SU_PNS1_23onesweep_lookback_stateEbbT6_jjT7_P12ihipStream_tbENKUlT_T0_SI_SN_E_clIPdSD_S15_SD_EEDaS11_S12_SI_SN_EUlS11_E_NS1_11comp_targetILNS1_3genE9ELNS1_11target_archE1100ELNS1_3gpuE3ELNS1_3repE0EEENS1_47radix_sort_onesweep_sort_config_static_selectorELNS0_4arch9wavefront6targetE1EEEvSI_,comdat
	.protected	_ZN7rocprim17ROCPRIM_400000_NS6detail17trampoline_kernelINS0_14default_configENS1_35radix_sort_onesweep_config_selectorIddEEZZNS1_29radix_sort_onesweep_iterationIS3_Lb0EN6thrust23THRUST_200600_302600_NS6detail15normal_iteratorINS8_10device_ptrIdEEEESD_SD_SD_jNS0_19identity_decomposerENS1_16block_id_wrapperIjLb0EEEEE10hipError_tT1_PNSt15iterator_traitsISI_E10value_typeET2_T3_PNSJ_ISO_E10value_typeET4_T5_PST_SU_PNS1_23onesweep_lookback_stateEbbT6_jjT7_P12ihipStream_tbENKUlT_T0_SI_SN_E_clIPdSD_S15_SD_EEDaS11_S12_SI_SN_EUlS11_E_NS1_11comp_targetILNS1_3genE9ELNS1_11target_archE1100ELNS1_3gpuE3ELNS1_3repE0EEENS1_47radix_sort_onesweep_sort_config_static_selectorELNS0_4arch9wavefront6targetE1EEEvSI_ ; -- Begin function _ZN7rocprim17ROCPRIM_400000_NS6detail17trampoline_kernelINS0_14default_configENS1_35radix_sort_onesweep_config_selectorIddEEZZNS1_29radix_sort_onesweep_iterationIS3_Lb0EN6thrust23THRUST_200600_302600_NS6detail15normal_iteratorINS8_10device_ptrIdEEEESD_SD_SD_jNS0_19identity_decomposerENS1_16block_id_wrapperIjLb0EEEEE10hipError_tT1_PNSt15iterator_traitsISI_E10value_typeET2_T3_PNSJ_ISO_E10value_typeET4_T5_PST_SU_PNS1_23onesweep_lookback_stateEbbT6_jjT7_P12ihipStream_tbENKUlT_T0_SI_SN_E_clIPdSD_S15_SD_EEDaS11_S12_SI_SN_EUlS11_E_NS1_11comp_targetILNS1_3genE9ELNS1_11target_archE1100ELNS1_3gpuE3ELNS1_3repE0EEENS1_47radix_sort_onesweep_sort_config_static_selectorELNS0_4arch9wavefront6targetE1EEEvSI_
	.globl	_ZN7rocprim17ROCPRIM_400000_NS6detail17trampoline_kernelINS0_14default_configENS1_35radix_sort_onesweep_config_selectorIddEEZZNS1_29radix_sort_onesweep_iterationIS3_Lb0EN6thrust23THRUST_200600_302600_NS6detail15normal_iteratorINS8_10device_ptrIdEEEESD_SD_SD_jNS0_19identity_decomposerENS1_16block_id_wrapperIjLb0EEEEE10hipError_tT1_PNSt15iterator_traitsISI_E10value_typeET2_T3_PNSJ_ISO_E10value_typeET4_T5_PST_SU_PNS1_23onesweep_lookback_stateEbbT6_jjT7_P12ihipStream_tbENKUlT_T0_SI_SN_E_clIPdSD_S15_SD_EEDaS11_S12_SI_SN_EUlS11_E_NS1_11comp_targetILNS1_3genE9ELNS1_11target_archE1100ELNS1_3gpuE3ELNS1_3repE0EEENS1_47radix_sort_onesweep_sort_config_static_selectorELNS0_4arch9wavefront6targetE1EEEvSI_
	.p2align	8
	.type	_ZN7rocprim17ROCPRIM_400000_NS6detail17trampoline_kernelINS0_14default_configENS1_35radix_sort_onesweep_config_selectorIddEEZZNS1_29radix_sort_onesweep_iterationIS3_Lb0EN6thrust23THRUST_200600_302600_NS6detail15normal_iteratorINS8_10device_ptrIdEEEESD_SD_SD_jNS0_19identity_decomposerENS1_16block_id_wrapperIjLb0EEEEE10hipError_tT1_PNSt15iterator_traitsISI_E10value_typeET2_T3_PNSJ_ISO_E10value_typeET4_T5_PST_SU_PNS1_23onesweep_lookback_stateEbbT6_jjT7_P12ihipStream_tbENKUlT_T0_SI_SN_E_clIPdSD_S15_SD_EEDaS11_S12_SI_SN_EUlS11_E_NS1_11comp_targetILNS1_3genE9ELNS1_11target_archE1100ELNS1_3gpuE3ELNS1_3repE0EEENS1_47radix_sort_onesweep_sort_config_static_selectorELNS0_4arch9wavefront6targetE1EEEvSI_,@function
_ZN7rocprim17ROCPRIM_400000_NS6detail17trampoline_kernelINS0_14default_configENS1_35radix_sort_onesweep_config_selectorIddEEZZNS1_29radix_sort_onesweep_iterationIS3_Lb0EN6thrust23THRUST_200600_302600_NS6detail15normal_iteratorINS8_10device_ptrIdEEEESD_SD_SD_jNS0_19identity_decomposerENS1_16block_id_wrapperIjLb0EEEEE10hipError_tT1_PNSt15iterator_traitsISI_E10value_typeET2_T3_PNSJ_ISO_E10value_typeET4_T5_PST_SU_PNS1_23onesweep_lookback_stateEbbT6_jjT7_P12ihipStream_tbENKUlT_T0_SI_SN_E_clIPdSD_S15_SD_EEDaS11_S12_SI_SN_EUlS11_E_NS1_11comp_targetILNS1_3genE9ELNS1_11target_archE1100ELNS1_3gpuE3ELNS1_3repE0EEENS1_47radix_sort_onesweep_sort_config_static_selectorELNS0_4arch9wavefront6targetE1EEEvSI_: ; @_ZN7rocprim17ROCPRIM_400000_NS6detail17trampoline_kernelINS0_14default_configENS1_35radix_sort_onesweep_config_selectorIddEEZZNS1_29radix_sort_onesweep_iterationIS3_Lb0EN6thrust23THRUST_200600_302600_NS6detail15normal_iteratorINS8_10device_ptrIdEEEESD_SD_SD_jNS0_19identity_decomposerENS1_16block_id_wrapperIjLb0EEEEE10hipError_tT1_PNSt15iterator_traitsISI_E10value_typeET2_T3_PNSJ_ISO_E10value_typeET4_T5_PST_SU_PNS1_23onesweep_lookback_stateEbbT6_jjT7_P12ihipStream_tbENKUlT_T0_SI_SN_E_clIPdSD_S15_SD_EEDaS11_S12_SI_SN_EUlS11_E_NS1_11comp_targetILNS1_3genE9ELNS1_11target_archE1100ELNS1_3gpuE3ELNS1_3repE0EEENS1_47radix_sort_onesweep_sort_config_static_selectorELNS0_4arch9wavefront6targetE1EEEvSI_
; %bb.0:
	.section	.rodata,"a",@progbits
	.p2align	6, 0x0
	.amdhsa_kernel _ZN7rocprim17ROCPRIM_400000_NS6detail17trampoline_kernelINS0_14default_configENS1_35radix_sort_onesweep_config_selectorIddEEZZNS1_29radix_sort_onesweep_iterationIS3_Lb0EN6thrust23THRUST_200600_302600_NS6detail15normal_iteratorINS8_10device_ptrIdEEEESD_SD_SD_jNS0_19identity_decomposerENS1_16block_id_wrapperIjLb0EEEEE10hipError_tT1_PNSt15iterator_traitsISI_E10value_typeET2_T3_PNSJ_ISO_E10value_typeET4_T5_PST_SU_PNS1_23onesweep_lookback_stateEbbT6_jjT7_P12ihipStream_tbENKUlT_T0_SI_SN_E_clIPdSD_S15_SD_EEDaS11_S12_SI_SN_EUlS11_E_NS1_11comp_targetILNS1_3genE9ELNS1_11target_archE1100ELNS1_3gpuE3ELNS1_3repE0EEENS1_47radix_sort_onesweep_sort_config_static_selectorELNS0_4arch9wavefront6targetE1EEEvSI_
		.amdhsa_group_segment_fixed_size 0
		.amdhsa_private_segment_fixed_size 0
		.amdhsa_kernarg_size 88
		.amdhsa_user_sgpr_count 2
		.amdhsa_user_sgpr_dispatch_ptr 0
		.amdhsa_user_sgpr_queue_ptr 0
		.amdhsa_user_sgpr_kernarg_segment_ptr 1
		.amdhsa_user_sgpr_dispatch_id 0
		.amdhsa_user_sgpr_kernarg_preload_length 0
		.amdhsa_user_sgpr_kernarg_preload_offset 0
		.amdhsa_user_sgpr_private_segment_size 0
		.amdhsa_uses_dynamic_stack 0
		.amdhsa_enable_private_segment 0
		.amdhsa_system_sgpr_workgroup_id_x 1
		.amdhsa_system_sgpr_workgroup_id_y 0
		.amdhsa_system_sgpr_workgroup_id_z 0
		.amdhsa_system_sgpr_workgroup_info 0
		.amdhsa_system_vgpr_workitem_id 0
		.amdhsa_next_free_vgpr 1
		.amdhsa_next_free_sgpr 0
		.amdhsa_accum_offset 4
		.amdhsa_reserve_vcc 0
		.amdhsa_float_round_mode_32 0
		.amdhsa_float_round_mode_16_64 0
		.amdhsa_float_denorm_mode_32 3
		.amdhsa_float_denorm_mode_16_64 3
		.amdhsa_dx10_clamp 1
		.amdhsa_ieee_mode 1
		.amdhsa_fp16_overflow 0
		.amdhsa_tg_split 0
		.amdhsa_exception_fp_ieee_invalid_op 0
		.amdhsa_exception_fp_denorm_src 0
		.amdhsa_exception_fp_ieee_div_zero 0
		.amdhsa_exception_fp_ieee_overflow 0
		.amdhsa_exception_fp_ieee_underflow 0
		.amdhsa_exception_fp_ieee_inexact 0
		.amdhsa_exception_int_div_zero 0
	.end_amdhsa_kernel
	.section	.text._ZN7rocprim17ROCPRIM_400000_NS6detail17trampoline_kernelINS0_14default_configENS1_35radix_sort_onesweep_config_selectorIddEEZZNS1_29radix_sort_onesweep_iterationIS3_Lb0EN6thrust23THRUST_200600_302600_NS6detail15normal_iteratorINS8_10device_ptrIdEEEESD_SD_SD_jNS0_19identity_decomposerENS1_16block_id_wrapperIjLb0EEEEE10hipError_tT1_PNSt15iterator_traitsISI_E10value_typeET2_T3_PNSJ_ISO_E10value_typeET4_T5_PST_SU_PNS1_23onesweep_lookback_stateEbbT6_jjT7_P12ihipStream_tbENKUlT_T0_SI_SN_E_clIPdSD_S15_SD_EEDaS11_S12_SI_SN_EUlS11_E_NS1_11comp_targetILNS1_3genE9ELNS1_11target_archE1100ELNS1_3gpuE3ELNS1_3repE0EEENS1_47radix_sort_onesweep_sort_config_static_selectorELNS0_4arch9wavefront6targetE1EEEvSI_,"axG",@progbits,_ZN7rocprim17ROCPRIM_400000_NS6detail17trampoline_kernelINS0_14default_configENS1_35radix_sort_onesweep_config_selectorIddEEZZNS1_29radix_sort_onesweep_iterationIS3_Lb0EN6thrust23THRUST_200600_302600_NS6detail15normal_iteratorINS8_10device_ptrIdEEEESD_SD_SD_jNS0_19identity_decomposerENS1_16block_id_wrapperIjLb0EEEEE10hipError_tT1_PNSt15iterator_traitsISI_E10value_typeET2_T3_PNSJ_ISO_E10value_typeET4_T5_PST_SU_PNS1_23onesweep_lookback_stateEbbT6_jjT7_P12ihipStream_tbENKUlT_T0_SI_SN_E_clIPdSD_S15_SD_EEDaS11_S12_SI_SN_EUlS11_E_NS1_11comp_targetILNS1_3genE9ELNS1_11target_archE1100ELNS1_3gpuE3ELNS1_3repE0EEENS1_47radix_sort_onesweep_sort_config_static_selectorELNS0_4arch9wavefront6targetE1EEEvSI_,comdat
.Lfunc_end161:
	.size	_ZN7rocprim17ROCPRIM_400000_NS6detail17trampoline_kernelINS0_14default_configENS1_35radix_sort_onesweep_config_selectorIddEEZZNS1_29radix_sort_onesweep_iterationIS3_Lb0EN6thrust23THRUST_200600_302600_NS6detail15normal_iteratorINS8_10device_ptrIdEEEESD_SD_SD_jNS0_19identity_decomposerENS1_16block_id_wrapperIjLb0EEEEE10hipError_tT1_PNSt15iterator_traitsISI_E10value_typeET2_T3_PNSJ_ISO_E10value_typeET4_T5_PST_SU_PNS1_23onesweep_lookback_stateEbbT6_jjT7_P12ihipStream_tbENKUlT_T0_SI_SN_E_clIPdSD_S15_SD_EEDaS11_S12_SI_SN_EUlS11_E_NS1_11comp_targetILNS1_3genE9ELNS1_11target_archE1100ELNS1_3gpuE3ELNS1_3repE0EEENS1_47radix_sort_onesweep_sort_config_static_selectorELNS0_4arch9wavefront6targetE1EEEvSI_, .Lfunc_end161-_ZN7rocprim17ROCPRIM_400000_NS6detail17trampoline_kernelINS0_14default_configENS1_35radix_sort_onesweep_config_selectorIddEEZZNS1_29radix_sort_onesweep_iterationIS3_Lb0EN6thrust23THRUST_200600_302600_NS6detail15normal_iteratorINS8_10device_ptrIdEEEESD_SD_SD_jNS0_19identity_decomposerENS1_16block_id_wrapperIjLb0EEEEE10hipError_tT1_PNSt15iterator_traitsISI_E10value_typeET2_T3_PNSJ_ISO_E10value_typeET4_T5_PST_SU_PNS1_23onesweep_lookback_stateEbbT6_jjT7_P12ihipStream_tbENKUlT_T0_SI_SN_E_clIPdSD_S15_SD_EEDaS11_S12_SI_SN_EUlS11_E_NS1_11comp_targetILNS1_3genE9ELNS1_11target_archE1100ELNS1_3gpuE3ELNS1_3repE0EEENS1_47radix_sort_onesweep_sort_config_static_selectorELNS0_4arch9wavefront6targetE1EEEvSI_
                                        ; -- End function
	.set _ZN7rocprim17ROCPRIM_400000_NS6detail17trampoline_kernelINS0_14default_configENS1_35radix_sort_onesweep_config_selectorIddEEZZNS1_29radix_sort_onesweep_iterationIS3_Lb0EN6thrust23THRUST_200600_302600_NS6detail15normal_iteratorINS8_10device_ptrIdEEEESD_SD_SD_jNS0_19identity_decomposerENS1_16block_id_wrapperIjLb0EEEEE10hipError_tT1_PNSt15iterator_traitsISI_E10value_typeET2_T3_PNSJ_ISO_E10value_typeET4_T5_PST_SU_PNS1_23onesweep_lookback_stateEbbT6_jjT7_P12ihipStream_tbENKUlT_T0_SI_SN_E_clIPdSD_S15_SD_EEDaS11_S12_SI_SN_EUlS11_E_NS1_11comp_targetILNS1_3genE9ELNS1_11target_archE1100ELNS1_3gpuE3ELNS1_3repE0EEENS1_47radix_sort_onesweep_sort_config_static_selectorELNS0_4arch9wavefront6targetE1EEEvSI_.num_vgpr, 0
	.set _ZN7rocprim17ROCPRIM_400000_NS6detail17trampoline_kernelINS0_14default_configENS1_35radix_sort_onesweep_config_selectorIddEEZZNS1_29radix_sort_onesweep_iterationIS3_Lb0EN6thrust23THRUST_200600_302600_NS6detail15normal_iteratorINS8_10device_ptrIdEEEESD_SD_SD_jNS0_19identity_decomposerENS1_16block_id_wrapperIjLb0EEEEE10hipError_tT1_PNSt15iterator_traitsISI_E10value_typeET2_T3_PNSJ_ISO_E10value_typeET4_T5_PST_SU_PNS1_23onesweep_lookback_stateEbbT6_jjT7_P12ihipStream_tbENKUlT_T0_SI_SN_E_clIPdSD_S15_SD_EEDaS11_S12_SI_SN_EUlS11_E_NS1_11comp_targetILNS1_3genE9ELNS1_11target_archE1100ELNS1_3gpuE3ELNS1_3repE0EEENS1_47radix_sort_onesweep_sort_config_static_selectorELNS0_4arch9wavefront6targetE1EEEvSI_.num_agpr, 0
	.set _ZN7rocprim17ROCPRIM_400000_NS6detail17trampoline_kernelINS0_14default_configENS1_35radix_sort_onesweep_config_selectorIddEEZZNS1_29radix_sort_onesweep_iterationIS3_Lb0EN6thrust23THRUST_200600_302600_NS6detail15normal_iteratorINS8_10device_ptrIdEEEESD_SD_SD_jNS0_19identity_decomposerENS1_16block_id_wrapperIjLb0EEEEE10hipError_tT1_PNSt15iterator_traitsISI_E10value_typeET2_T3_PNSJ_ISO_E10value_typeET4_T5_PST_SU_PNS1_23onesweep_lookback_stateEbbT6_jjT7_P12ihipStream_tbENKUlT_T0_SI_SN_E_clIPdSD_S15_SD_EEDaS11_S12_SI_SN_EUlS11_E_NS1_11comp_targetILNS1_3genE9ELNS1_11target_archE1100ELNS1_3gpuE3ELNS1_3repE0EEENS1_47radix_sort_onesweep_sort_config_static_selectorELNS0_4arch9wavefront6targetE1EEEvSI_.numbered_sgpr, 0
	.set _ZN7rocprim17ROCPRIM_400000_NS6detail17trampoline_kernelINS0_14default_configENS1_35radix_sort_onesweep_config_selectorIddEEZZNS1_29radix_sort_onesweep_iterationIS3_Lb0EN6thrust23THRUST_200600_302600_NS6detail15normal_iteratorINS8_10device_ptrIdEEEESD_SD_SD_jNS0_19identity_decomposerENS1_16block_id_wrapperIjLb0EEEEE10hipError_tT1_PNSt15iterator_traitsISI_E10value_typeET2_T3_PNSJ_ISO_E10value_typeET4_T5_PST_SU_PNS1_23onesweep_lookback_stateEbbT6_jjT7_P12ihipStream_tbENKUlT_T0_SI_SN_E_clIPdSD_S15_SD_EEDaS11_S12_SI_SN_EUlS11_E_NS1_11comp_targetILNS1_3genE9ELNS1_11target_archE1100ELNS1_3gpuE3ELNS1_3repE0EEENS1_47radix_sort_onesweep_sort_config_static_selectorELNS0_4arch9wavefront6targetE1EEEvSI_.num_named_barrier, 0
	.set _ZN7rocprim17ROCPRIM_400000_NS6detail17trampoline_kernelINS0_14default_configENS1_35radix_sort_onesweep_config_selectorIddEEZZNS1_29radix_sort_onesweep_iterationIS3_Lb0EN6thrust23THRUST_200600_302600_NS6detail15normal_iteratorINS8_10device_ptrIdEEEESD_SD_SD_jNS0_19identity_decomposerENS1_16block_id_wrapperIjLb0EEEEE10hipError_tT1_PNSt15iterator_traitsISI_E10value_typeET2_T3_PNSJ_ISO_E10value_typeET4_T5_PST_SU_PNS1_23onesweep_lookback_stateEbbT6_jjT7_P12ihipStream_tbENKUlT_T0_SI_SN_E_clIPdSD_S15_SD_EEDaS11_S12_SI_SN_EUlS11_E_NS1_11comp_targetILNS1_3genE9ELNS1_11target_archE1100ELNS1_3gpuE3ELNS1_3repE0EEENS1_47radix_sort_onesweep_sort_config_static_selectorELNS0_4arch9wavefront6targetE1EEEvSI_.private_seg_size, 0
	.set _ZN7rocprim17ROCPRIM_400000_NS6detail17trampoline_kernelINS0_14default_configENS1_35radix_sort_onesweep_config_selectorIddEEZZNS1_29radix_sort_onesweep_iterationIS3_Lb0EN6thrust23THRUST_200600_302600_NS6detail15normal_iteratorINS8_10device_ptrIdEEEESD_SD_SD_jNS0_19identity_decomposerENS1_16block_id_wrapperIjLb0EEEEE10hipError_tT1_PNSt15iterator_traitsISI_E10value_typeET2_T3_PNSJ_ISO_E10value_typeET4_T5_PST_SU_PNS1_23onesweep_lookback_stateEbbT6_jjT7_P12ihipStream_tbENKUlT_T0_SI_SN_E_clIPdSD_S15_SD_EEDaS11_S12_SI_SN_EUlS11_E_NS1_11comp_targetILNS1_3genE9ELNS1_11target_archE1100ELNS1_3gpuE3ELNS1_3repE0EEENS1_47radix_sort_onesweep_sort_config_static_selectorELNS0_4arch9wavefront6targetE1EEEvSI_.uses_vcc, 0
	.set _ZN7rocprim17ROCPRIM_400000_NS6detail17trampoline_kernelINS0_14default_configENS1_35radix_sort_onesweep_config_selectorIddEEZZNS1_29radix_sort_onesweep_iterationIS3_Lb0EN6thrust23THRUST_200600_302600_NS6detail15normal_iteratorINS8_10device_ptrIdEEEESD_SD_SD_jNS0_19identity_decomposerENS1_16block_id_wrapperIjLb0EEEEE10hipError_tT1_PNSt15iterator_traitsISI_E10value_typeET2_T3_PNSJ_ISO_E10value_typeET4_T5_PST_SU_PNS1_23onesweep_lookback_stateEbbT6_jjT7_P12ihipStream_tbENKUlT_T0_SI_SN_E_clIPdSD_S15_SD_EEDaS11_S12_SI_SN_EUlS11_E_NS1_11comp_targetILNS1_3genE9ELNS1_11target_archE1100ELNS1_3gpuE3ELNS1_3repE0EEENS1_47radix_sort_onesweep_sort_config_static_selectorELNS0_4arch9wavefront6targetE1EEEvSI_.uses_flat_scratch, 0
	.set _ZN7rocprim17ROCPRIM_400000_NS6detail17trampoline_kernelINS0_14default_configENS1_35radix_sort_onesweep_config_selectorIddEEZZNS1_29radix_sort_onesweep_iterationIS3_Lb0EN6thrust23THRUST_200600_302600_NS6detail15normal_iteratorINS8_10device_ptrIdEEEESD_SD_SD_jNS0_19identity_decomposerENS1_16block_id_wrapperIjLb0EEEEE10hipError_tT1_PNSt15iterator_traitsISI_E10value_typeET2_T3_PNSJ_ISO_E10value_typeET4_T5_PST_SU_PNS1_23onesweep_lookback_stateEbbT6_jjT7_P12ihipStream_tbENKUlT_T0_SI_SN_E_clIPdSD_S15_SD_EEDaS11_S12_SI_SN_EUlS11_E_NS1_11comp_targetILNS1_3genE9ELNS1_11target_archE1100ELNS1_3gpuE3ELNS1_3repE0EEENS1_47radix_sort_onesweep_sort_config_static_selectorELNS0_4arch9wavefront6targetE1EEEvSI_.has_dyn_sized_stack, 0
	.set _ZN7rocprim17ROCPRIM_400000_NS6detail17trampoline_kernelINS0_14default_configENS1_35radix_sort_onesweep_config_selectorIddEEZZNS1_29radix_sort_onesweep_iterationIS3_Lb0EN6thrust23THRUST_200600_302600_NS6detail15normal_iteratorINS8_10device_ptrIdEEEESD_SD_SD_jNS0_19identity_decomposerENS1_16block_id_wrapperIjLb0EEEEE10hipError_tT1_PNSt15iterator_traitsISI_E10value_typeET2_T3_PNSJ_ISO_E10value_typeET4_T5_PST_SU_PNS1_23onesweep_lookback_stateEbbT6_jjT7_P12ihipStream_tbENKUlT_T0_SI_SN_E_clIPdSD_S15_SD_EEDaS11_S12_SI_SN_EUlS11_E_NS1_11comp_targetILNS1_3genE9ELNS1_11target_archE1100ELNS1_3gpuE3ELNS1_3repE0EEENS1_47radix_sort_onesweep_sort_config_static_selectorELNS0_4arch9wavefront6targetE1EEEvSI_.has_recursion, 0
	.set _ZN7rocprim17ROCPRIM_400000_NS6detail17trampoline_kernelINS0_14default_configENS1_35radix_sort_onesweep_config_selectorIddEEZZNS1_29radix_sort_onesweep_iterationIS3_Lb0EN6thrust23THRUST_200600_302600_NS6detail15normal_iteratorINS8_10device_ptrIdEEEESD_SD_SD_jNS0_19identity_decomposerENS1_16block_id_wrapperIjLb0EEEEE10hipError_tT1_PNSt15iterator_traitsISI_E10value_typeET2_T3_PNSJ_ISO_E10value_typeET4_T5_PST_SU_PNS1_23onesweep_lookback_stateEbbT6_jjT7_P12ihipStream_tbENKUlT_T0_SI_SN_E_clIPdSD_S15_SD_EEDaS11_S12_SI_SN_EUlS11_E_NS1_11comp_targetILNS1_3genE9ELNS1_11target_archE1100ELNS1_3gpuE3ELNS1_3repE0EEENS1_47radix_sort_onesweep_sort_config_static_selectorELNS0_4arch9wavefront6targetE1EEEvSI_.has_indirect_call, 0
	.section	.AMDGPU.csdata,"",@progbits
; Kernel info:
; codeLenInByte = 0
; TotalNumSgprs: 6
; NumVgprs: 0
; NumAgprs: 0
; TotalNumVgprs: 0
; ScratchSize: 0
; MemoryBound: 0
; FloatMode: 240
; IeeeMode: 1
; LDSByteSize: 0 bytes/workgroup (compile time only)
; SGPRBlocks: 0
; VGPRBlocks: 0
; NumSGPRsForWavesPerEU: 6
; NumVGPRsForWavesPerEU: 1
; AccumOffset: 4
; Occupancy: 8
; WaveLimiterHint : 0
; COMPUTE_PGM_RSRC2:SCRATCH_EN: 0
; COMPUTE_PGM_RSRC2:USER_SGPR: 2
; COMPUTE_PGM_RSRC2:TRAP_HANDLER: 0
; COMPUTE_PGM_RSRC2:TGID_X_EN: 1
; COMPUTE_PGM_RSRC2:TGID_Y_EN: 0
; COMPUTE_PGM_RSRC2:TGID_Z_EN: 0
; COMPUTE_PGM_RSRC2:TIDIG_COMP_CNT: 0
; COMPUTE_PGM_RSRC3_GFX90A:ACCUM_OFFSET: 0
; COMPUTE_PGM_RSRC3_GFX90A:TG_SPLIT: 0
	.section	.text._ZN7rocprim17ROCPRIM_400000_NS6detail17trampoline_kernelINS0_14default_configENS1_35radix_sort_onesweep_config_selectorIddEEZZNS1_29radix_sort_onesweep_iterationIS3_Lb0EN6thrust23THRUST_200600_302600_NS6detail15normal_iteratorINS8_10device_ptrIdEEEESD_SD_SD_jNS0_19identity_decomposerENS1_16block_id_wrapperIjLb0EEEEE10hipError_tT1_PNSt15iterator_traitsISI_E10value_typeET2_T3_PNSJ_ISO_E10value_typeET4_T5_PST_SU_PNS1_23onesweep_lookback_stateEbbT6_jjT7_P12ihipStream_tbENKUlT_T0_SI_SN_E_clIPdSD_S15_SD_EEDaS11_S12_SI_SN_EUlS11_E_NS1_11comp_targetILNS1_3genE8ELNS1_11target_archE1030ELNS1_3gpuE2ELNS1_3repE0EEENS1_47radix_sort_onesweep_sort_config_static_selectorELNS0_4arch9wavefront6targetE1EEEvSI_,"axG",@progbits,_ZN7rocprim17ROCPRIM_400000_NS6detail17trampoline_kernelINS0_14default_configENS1_35radix_sort_onesweep_config_selectorIddEEZZNS1_29radix_sort_onesweep_iterationIS3_Lb0EN6thrust23THRUST_200600_302600_NS6detail15normal_iteratorINS8_10device_ptrIdEEEESD_SD_SD_jNS0_19identity_decomposerENS1_16block_id_wrapperIjLb0EEEEE10hipError_tT1_PNSt15iterator_traitsISI_E10value_typeET2_T3_PNSJ_ISO_E10value_typeET4_T5_PST_SU_PNS1_23onesweep_lookback_stateEbbT6_jjT7_P12ihipStream_tbENKUlT_T0_SI_SN_E_clIPdSD_S15_SD_EEDaS11_S12_SI_SN_EUlS11_E_NS1_11comp_targetILNS1_3genE8ELNS1_11target_archE1030ELNS1_3gpuE2ELNS1_3repE0EEENS1_47radix_sort_onesweep_sort_config_static_selectorELNS0_4arch9wavefront6targetE1EEEvSI_,comdat
	.protected	_ZN7rocprim17ROCPRIM_400000_NS6detail17trampoline_kernelINS0_14default_configENS1_35radix_sort_onesweep_config_selectorIddEEZZNS1_29radix_sort_onesweep_iterationIS3_Lb0EN6thrust23THRUST_200600_302600_NS6detail15normal_iteratorINS8_10device_ptrIdEEEESD_SD_SD_jNS0_19identity_decomposerENS1_16block_id_wrapperIjLb0EEEEE10hipError_tT1_PNSt15iterator_traitsISI_E10value_typeET2_T3_PNSJ_ISO_E10value_typeET4_T5_PST_SU_PNS1_23onesweep_lookback_stateEbbT6_jjT7_P12ihipStream_tbENKUlT_T0_SI_SN_E_clIPdSD_S15_SD_EEDaS11_S12_SI_SN_EUlS11_E_NS1_11comp_targetILNS1_3genE8ELNS1_11target_archE1030ELNS1_3gpuE2ELNS1_3repE0EEENS1_47radix_sort_onesweep_sort_config_static_selectorELNS0_4arch9wavefront6targetE1EEEvSI_ ; -- Begin function _ZN7rocprim17ROCPRIM_400000_NS6detail17trampoline_kernelINS0_14default_configENS1_35radix_sort_onesweep_config_selectorIddEEZZNS1_29radix_sort_onesweep_iterationIS3_Lb0EN6thrust23THRUST_200600_302600_NS6detail15normal_iteratorINS8_10device_ptrIdEEEESD_SD_SD_jNS0_19identity_decomposerENS1_16block_id_wrapperIjLb0EEEEE10hipError_tT1_PNSt15iterator_traitsISI_E10value_typeET2_T3_PNSJ_ISO_E10value_typeET4_T5_PST_SU_PNS1_23onesweep_lookback_stateEbbT6_jjT7_P12ihipStream_tbENKUlT_T0_SI_SN_E_clIPdSD_S15_SD_EEDaS11_S12_SI_SN_EUlS11_E_NS1_11comp_targetILNS1_3genE8ELNS1_11target_archE1030ELNS1_3gpuE2ELNS1_3repE0EEENS1_47radix_sort_onesweep_sort_config_static_selectorELNS0_4arch9wavefront6targetE1EEEvSI_
	.globl	_ZN7rocprim17ROCPRIM_400000_NS6detail17trampoline_kernelINS0_14default_configENS1_35radix_sort_onesweep_config_selectorIddEEZZNS1_29radix_sort_onesweep_iterationIS3_Lb0EN6thrust23THRUST_200600_302600_NS6detail15normal_iteratorINS8_10device_ptrIdEEEESD_SD_SD_jNS0_19identity_decomposerENS1_16block_id_wrapperIjLb0EEEEE10hipError_tT1_PNSt15iterator_traitsISI_E10value_typeET2_T3_PNSJ_ISO_E10value_typeET4_T5_PST_SU_PNS1_23onesweep_lookback_stateEbbT6_jjT7_P12ihipStream_tbENKUlT_T0_SI_SN_E_clIPdSD_S15_SD_EEDaS11_S12_SI_SN_EUlS11_E_NS1_11comp_targetILNS1_3genE8ELNS1_11target_archE1030ELNS1_3gpuE2ELNS1_3repE0EEENS1_47radix_sort_onesweep_sort_config_static_selectorELNS0_4arch9wavefront6targetE1EEEvSI_
	.p2align	8
	.type	_ZN7rocprim17ROCPRIM_400000_NS6detail17trampoline_kernelINS0_14default_configENS1_35radix_sort_onesweep_config_selectorIddEEZZNS1_29radix_sort_onesweep_iterationIS3_Lb0EN6thrust23THRUST_200600_302600_NS6detail15normal_iteratorINS8_10device_ptrIdEEEESD_SD_SD_jNS0_19identity_decomposerENS1_16block_id_wrapperIjLb0EEEEE10hipError_tT1_PNSt15iterator_traitsISI_E10value_typeET2_T3_PNSJ_ISO_E10value_typeET4_T5_PST_SU_PNS1_23onesweep_lookback_stateEbbT6_jjT7_P12ihipStream_tbENKUlT_T0_SI_SN_E_clIPdSD_S15_SD_EEDaS11_S12_SI_SN_EUlS11_E_NS1_11comp_targetILNS1_3genE8ELNS1_11target_archE1030ELNS1_3gpuE2ELNS1_3repE0EEENS1_47radix_sort_onesweep_sort_config_static_selectorELNS0_4arch9wavefront6targetE1EEEvSI_,@function
_ZN7rocprim17ROCPRIM_400000_NS6detail17trampoline_kernelINS0_14default_configENS1_35radix_sort_onesweep_config_selectorIddEEZZNS1_29radix_sort_onesweep_iterationIS3_Lb0EN6thrust23THRUST_200600_302600_NS6detail15normal_iteratorINS8_10device_ptrIdEEEESD_SD_SD_jNS0_19identity_decomposerENS1_16block_id_wrapperIjLb0EEEEE10hipError_tT1_PNSt15iterator_traitsISI_E10value_typeET2_T3_PNSJ_ISO_E10value_typeET4_T5_PST_SU_PNS1_23onesweep_lookback_stateEbbT6_jjT7_P12ihipStream_tbENKUlT_T0_SI_SN_E_clIPdSD_S15_SD_EEDaS11_S12_SI_SN_EUlS11_E_NS1_11comp_targetILNS1_3genE8ELNS1_11target_archE1030ELNS1_3gpuE2ELNS1_3repE0EEENS1_47radix_sort_onesweep_sort_config_static_selectorELNS0_4arch9wavefront6targetE1EEEvSI_: ; @_ZN7rocprim17ROCPRIM_400000_NS6detail17trampoline_kernelINS0_14default_configENS1_35radix_sort_onesweep_config_selectorIddEEZZNS1_29radix_sort_onesweep_iterationIS3_Lb0EN6thrust23THRUST_200600_302600_NS6detail15normal_iteratorINS8_10device_ptrIdEEEESD_SD_SD_jNS0_19identity_decomposerENS1_16block_id_wrapperIjLb0EEEEE10hipError_tT1_PNSt15iterator_traitsISI_E10value_typeET2_T3_PNSJ_ISO_E10value_typeET4_T5_PST_SU_PNS1_23onesweep_lookback_stateEbbT6_jjT7_P12ihipStream_tbENKUlT_T0_SI_SN_E_clIPdSD_S15_SD_EEDaS11_S12_SI_SN_EUlS11_E_NS1_11comp_targetILNS1_3genE8ELNS1_11target_archE1030ELNS1_3gpuE2ELNS1_3repE0EEENS1_47radix_sort_onesweep_sort_config_static_selectorELNS0_4arch9wavefront6targetE1EEEvSI_
; %bb.0:
	.section	.rodata,"a",@progbits
	.p2align	6, 0x0
	.amdhsa_kernel _ZN7rocprim17ROCPRIM_400000_NS6detail17trampoline_kernelINS0_14default_configENS1_35radix_sort_onesweep_config_selectorIddEEZZNS1_29radix_sort_onesweep_iterationIS3_Lb0EN6thrust23THRUST_200600_302600_NS6detail15normal_iteratorINS8_10device_ptrIdEEEESD_SD_SD_jNS0_19identity_decomposerENS1_16block_id_wrapperIjLb0EEEEE10hipError_tT1_PNSt15iterator_traitsISI_E10value_typeET2_T3_PNSJ_ISO_E10value_typeET4_T5_PST_SU_PNS1_23onesweep_lookback_stateEbbT6_jjT7_P12ihipStream_tbENKUlT_T0_SI_SN_E_clIPdSD_S15_SD_EEDaS11_S12_SI_SN_EUlS11_E_NS1_11comp_targetILNS1_3genE8ELNS1_11target_archE1030ELNS1_3gpuE2ELNS1_3repE0EEENS1_47radix_sort_onesweep_sort_config_static_selectorELNS0_4arch9wavefront6targetE1EEEvSI_
		.amdhsa_group_segment_fixed_size 0
		.amdhsa_private_segment_fixed_size 0
		.amdhsa_kernarg_size 88
		.amdhsa_user_sgpr_count 2
		.amdhsa_user_sgpr_dispatch_ptr 0
		.amdhsa_user_sgpr_queue_ptr 0
		.amdhsa_user_sgpr_kernarg_segment_ptr 1
		.amdhsa_user_sgpr_dispatch_id 0
		.amdhsa_user_sgpr_kernarg_preload_length 0
		.amdhsa_user_sgpr_kernarg_preload_offset 0
		.amdhsa_user_sgpr_private_segment_size 0
		.amdhsa_uses_dynamic_stack 0
		.amdhsa_enable_private_segment 0
		.amdhsa_system_sgpr_workgroup_id_x 1
		.amdhsa_system_sgpr_workgroup_id_y 0
		.amdhsa_system_sgpr_workgroup_id_z 0
		.amdhsa_system_sgpr_workgroup_info 0
		.amdhsa_system_vgpr_workitem_id 0
		.amdhsa_next_free_vgpr 1
		.amdhsa_next_free_sgpr 0
		.amdhsa_accum_offset 4
		.amdhsa_reserve_vcc 0
		.amdhsa_float_round_mode_32 0
		.amdhsa_float_round_mode_16_64 0
		.amdhsa_float_denorm_mode_32 3
		.amdhsa_float_denorm_mode_16_64 3
		.amdhsa_dx10_clamp 1
		.amdhsa_ieee_mode 1
		.amdhsa_fp16_overflow 0
		.amdhsa_tg_split 0
		.amdhsa_exception_fp_ieee_invalid_op 0
		.amdhsa_exception_fp_denorm_src 0
		.amdhsa_exception_fp_ieee_div_zero 0
		.amdhsa_exception_fp_ieee_overflow 0
		.amdhsa_exception_fp_ieee_underflow 0
		.amdhsa_exception_fp_ieee_inexact 0
		.amdhsa_exception_int_div_zero 0
	.end_amdhsa_kernel
	.section	.text._ZN7rocprim17ROCPRIM_400000_NS6detail17trampoline_kernelINS0_14default_configENS1_35radix_sort_onesweep_config_selectorIddEEZZNS1_29radix_sort_onesweep_iterationIS3_Lb0EN6thrust23THRUST_200600_302600_NS6detail15normal_iteratorINS8_10device_ptrIdEEEESD_SD_SD_jNS0_19identity_decomposerENS1_16block_id_wrapperIjLb0EEEEE10hipError_tT1_PNSt15iterator_traitsISI_E10value_typeET2_T3_PNSJ_ISO_E10value_typeET4_T5_PST_SU_PNS1_23onesweep_lookback_stateEbbT6_jjT7_P12ihipStream_tbENKUlT_T0_SI_SN_E_clIPdSD_S15_SD_EEDaS11_S12_SI_SN_EUlS11_E_NS1_11comp_targetILNS1_3genE8ELNS1_11target_archE1030ELNS1_3gpuE2ELNS1_3repE0EEENS1_47radix_sort_onesweep_sort_config_static_selectorELNS0_4arch9wavefront6targetE1EEEvSI_,"axG",@progbits,_ZN7rocprim17ROCPRIM_400000_NS6detail17trampoline_kernelINS0_14default_configENS1_35radix_sort_onesweep_config_selectorIddEEZZNS1_29radix_sort_onesweep_iterationIS3_Lb0EN6thrust23THRUST_200600_302600_NS6detail15normal_iteratorINS8_10device_ptrIdEEEESD_SD_SD_jNS0_19identity_decomposerENS1_16block_id_wrapperIjLb0EEEEE10hipError_tT1_PNSt15iterator_traitsISI_E10value_typeET2_T3_PNSJ_ISO_E10value_typeET4_T5_PST_SU_PNS1_23onesweep_lookback_stateEbbT6_jjT7_P12ihipStream_tbENKUlT_T0_SI_SN_E_clIPdSD_S15_SD_EEDaS11_S12_SI_SN_EUlS11_E_NS1_11comp_targetILNS1_3genE8ELNS1_11target_archE1030ELNS1_3gpuE2ELNS1_3repE0EEENS1_47radix_sort_onesweep_sort_config_static_selectorELNS0_4arch9wavefront6targetE1EEEvSI_,comdat
.Lfunc_end162:
	.size	_ZN7rocprim17ROCPRIM_400000_NS6detail17trampoline_kernelINS0_14default_configENS1_35radix_sort_onesweep_config_selectorIddEEZZNS1_29radix_sort_onesweep_iterationIS3_Lb0EN6thrust23THRUST_200600_302600_NS6detail15normal_iteratorINS8_10device_ptrIdEEEESD_SD_SD_jNS0_19identity_decomposerENS1_16block_id_wrapperIjLb0EEEEE10hipError_tT1_PNSt15iterator_traitsISI_E10value_typeET2_T3_PNSJ_ISO_E10value_typeET4_T5_PST_SU_PNS1_23onesweep_lookback_stateEbbT6_jjT7_P12ihipStream_tbENKUlT_T0_SI_SN_E_clIPdSD_S15_SD_EEDaS11_S12_SI_SN_EUlS11_E_NS1_11comp_targetILNS1_3genE8ELNS1_11target_archE1030ELNS1_3gpuE2ELNS1_3repE0EEENS1_47radix_sort_onesweep_sort_config_static_selectorELNS0_4arch9wavefront6targetE1EEEvSI_, .Lfunc_end162-_ZN7rocprim17ROCPRIM_400000_NS6detail17trampoline_kernelINS0_14default_configENS1_35radix_sort_onesweep_config_selectorIddEEZZNS1_29radix_sort_onesweep_iterationIS3_Lb0EN6thrust23THRUST_200600_302600_NS6detail15normal_iteratorINS8_10device_ptrIdEEEESD_SD_SD_jNS0_19identity_decomposerENS1_16block_id_wrapperIjLb0EEEEE10hipError_tT1_PNSt15iterator_traitsISI_E10value_typeET2_T3_PNSJ_ISO_E10value_typeET4_T5_PST_SU_PNS1_23onesweep_lookback_stateEbbT6_jjT7_P12ihipStream_tbENKUlT_T0_SI_SN_E_clIPdSD_S15_SD_EEDaS11_S12_SI_SN_EUlS11_E_NS1_11comp_targetILNS1_3genE8ELNS1_11target_archE1030ELNS1_3gpuE2ELNS1_3repE0EEENS1_47radix_sort_onesweep_sort_config_static_selectorELNS0_4arch9wavefront6targetE1EEEvSI_
                                        ; -- End function
	.set _ZN7rocprim17ROCPRIM_400000_NS6detail17trampoline_kernelINS0_14default_configENS1_35radix_sort_onesweep_config_selectorIddEEZZNS1_29radix_sort_onesweep_iterationIS3_Lb0EN6thrust23THRUST_200600_302600_NS6detail15normal_iteratorINS8_10device_ptrIdEEEESD_SD_SD_jNS0_19identity_decomposerENS1_16block_id_wrapperIjLb0EEEEE10hipError_tT1_PNSt15iterator_traitsISI_E10value_typeET2_T3_PNSJ_ISO_E10value_typeET4_T5_PST_SU_PNS1_23onesweep_lookback_stateEbbT6_jjT7_P12ihipStream_tbENKUlT_T0_SI_SN_E_clIPdSD_S15_SD_EEDaS11_S12_SI_SN_EUlS11_E_NS1_11comp_targetILNS1_3genE8ELNS1_11target_archE1030ELNS1_3gpuE2ELNS1_3repE0EEENS1_47radix_sort_onesweep_sort_config_static_selectorELNS0_4arch9wavefront6targetE1EEEvSI_.num_vgpr, 0
	.set _ZN7rocprim17ROCPRIM_400000_NS6detail17trampoline_kernelINS0_14default_configENS1_35radix_sort_onesweep_config_selectorIddEEZZNS1_29radix_sort_onesweep_iterationIS3_Lb0EN6thrust23THRUST_200600_302600_NS6detail15normal_iteratorINS8_10device_ptrIdEEEESD_SD_SD_jNS0_19identity_decomposerENS1_16block_id_wrapperIjLb0EEEEE10hipError_tT1_PNSt15iterator_traitsISI_E10value_typeET2_T3_PNSJ_ISO_E10value_typeET4_T5_PST_SU_PNS1_23onesweep_lookback_stateEbbT6_jjT7_P12ihipStream_tbENKUlT_T0_SI_SN_E_clIPdSD_S15_SD_EEDaS11_S12_SI_SN_EUlS11_E_NS1_11comp_targetILNS1_3genE8ELNS1_11target_archE1030ELNS1_3gpuE2ELNS1_3repE0EEENS1_47radix_sort_onesweep_sort_config_static_selectorELNS0_4arch9wavefront6targetE1EEEvSI_.num_agpr, 0
	.set _ZN7rocprim17ROCPRIM_400000_NS6detail17trampoline_kernelINS0_14default_configENS1_35radix_sort_onesweep_config_selectorIddEEZZNS1_29radix_sort_onesweep_iterationIS3_Lb0EN6thrust23THRUST_200600_302600_NS6detail15normal_iteratorINS8_10device_ptrIdEEEESD_SD_SD_jNS0_19identity_decomposerENS1_16block_id_wrapperIjLb0EEEEE10hipError_tT1_PNSt15iterator_traitsISI_E10value_typeET2_T3_PNSJ_ISO_E10value_typeET4_T5_PST_SU_PNS1_23onesweep_lookback_stateEbbT6_jjT7_P12ihipStream_tbENKUlT_T0_SI_SN_E_clIPdSD_S15_SD_EEDaS11_S12_SI_SN_EUlS11_E_NS1_11comp_targetILNS1_3genE8ELNS1_11target_archE1030ELNS1_3gpuE2ELNS1_3repE0EEENS1_47radix_sort_onesweep_sort_config_static_selectorELNS0_4arch9wavefront6targetE1EEEvSI_.numbered_sgpr, 0
	.set _ZN7rocprim17ROCPRIM_400000_NS6detail17trampoline_kernelINS0_14default_configENS1_35radix_sort_onesweep_config_selectorIddEEZZNS1_29radix_sort_onesweep_iterationIS3_Lb0EN6thrust23THRUST_200600_302600_NS6detail15normal_iteratorINS8_10device_ptrIdEEEESD_SD_SD_jNS0_19identity_decomposerENS1_16block_id_wrapperIjLb0EEEEE10hipError_tT1_PNSt15iterator_traitsISI_E10value_typeET2_T3_PNSJ_ISO_E10value_typeET4_T5_PST_SU_PNS1_23onesweep_lookback_stateEbbT6_jjT7_P12ihipStream_tbENKUlT_T0_SI_SN_E_clIPdSD_S15_SD_EEDaS11_S12_SI_SN_EUlS11_E_NS1_11comp_targetILNS1_3genE8ELNS1_11target_archE1030ELNS1_3gpuE2ELNS1_3repE0EEENS1_47radix_sort_onesweep_sort_config_static_selectorELNS0_4arch9wavefront6targetE1EEEvSI_.num_named_barrier, 0
	.set _ZN7rocprim17ROCPRIM_400000_NS6detail17trampoline_kernelINS0_14default_configENS1_35radix_sort_onesweep_config_selectorIddEEZZNS1_29radix_sort_onesweep_iterationIS3_Lb0EN6thrust23THRUST_200600_302600_NS6detail15normal_iteratorINS8_10device_ptrIdEEEESD_SD_SD_jNS0_19identity_decomposerENS1_16block_id_wrapperIjLb0EEEEE10hipError_tT1_PNSt15iterator_traitsISI_E10value_typeET2_T3_PNSJ_ISO_E10value_typeET4_T5_PST_SU_PNS1_23onesweep_lookback_stateEbbT6_jjT7_P12ihipStream_tbENKUlT_T0_SI_SN_E_clIPdSD_S15_SD_EEDaS11_S12_SI_SN_EUlS11_E_NS1_11comp_targetILNS1_3genE8ELNS1_11target_archE1030ELNS1_3gpuE2ELNS1_3repE0EEENS1_47radix_sort_onesweep_sort_config_static_selectorELNS0_4arch9wavefront6targetE1EEEvSI_.private_seg_size, 0
	.set _ZN7rocprim17ROCPRIM_400000_NS6detail17trampoline_kernelINS0_14default_configENS1_35radix_sort_onesweep_config_selectorIddEEZZNS1_29radix_sort_onesweep_iterationIS3_Lb0EN6thrust23THRUST_200600_302600_NS6detail15normal_iteratorINS8_10device_ptrIdEEEESD_SD_SD_jNS0_19identity_decomposerENS1_16block_id_wrapperIjLb0EEEEE10hipError_tT1_PNSt15iterator_traitsISI_E10value_typeET2_T3_PNSJ_ISO_E10value_typeET4_T5_PST_SU_PNS1_23onesweep_lookback_stateEbbT6_jjT7_P12ihipStream_tbENKUlT_T0_SI_SN_E_clIPdSD_S15_SD_EEDaS11_S12_SI_SN_EUlS11_E_NS1_11comp_targetILNS1_3genE8ELNS1_11target_archE1030ELNS1_3gpuE2ELNS1_3repE0EEENS1_47radix_sort_onesweep_sort_config_static_selectorELNS0_4arch9wavefront6targetE1EEEvSI_.uses_vcc, 0
	.set _ZN7rocprim17ROCPRIM_400000_NS6detail17trampoline_kernelINS0_14default_configENS1_35radix_sort_onesweep_config_selectorIddEEZZNS1_29radix_sort_onesweep_iterationIS3_Lb0EN6thrust23THRUST_200600_302600_NS6detail15normal_iteratorINS8_10device_ptrIdEEEESD_SD_SD_jNS0_19identity_decomposerENS1_16block_id_wrapperIjLb0EEEEE10hipError_tT1_PNSt15iterator_traitsISI_E10value_typeET2_T3_PNSJ_ISO_E10value_typeET4_T5_PST_SU_PNS1_23onesweep_lookback_stateEbbT6_jjT7_P12ihipStream_tbENKUlT_T0_SI_SN_E_clIPdSD_S15_SD_EEDaS11_S12_SI_SN_EUlS11_E_NS1_11comp_targetILNS1_3genE8ELNS1_11target_archE1030ELNS1_3gpuE2ELNS1_3repE0EEENS1_47radix_sort_onesweep_sort_config_static_selectorELNS0_4arch9wavefront6targetE1EEEvSI_.uses_flat_scratch, 0
	.set _ZN7rocprim17ROCPRIM_400000_NS6detail17trampoline_kernelINS0_14default_configENS1_35radix_sort_onesweep_config_selectorIddEEZZNS1_29radix_sort_onesweep_iterationIS3_Lb0EN6thrust23THRUST_200600_302600_NS6detail15normal_iteratorINS8_10device_ptrIdEEEESD_SD_SD_jNS0_19identity_decomposerENS1_16block_id_wrapperIjLb0EEEEE10hipError_tT1_PNSt15iterator_traitsISI_E10value_typeET2_T3_PNSJ_ISO_E10value_typeET4_T5_PST_SU_PNS1_23onesweep_lookback_stateEbbT6_jjT7_P12ihipStream_tbENKUlT_T0_SI_SN_E_clIPdSD_S15_SD_EEDaS11_S12_SI_SN_EUlS11_E_NS1_11comp_targetILNS1_3genE8ELNS1_11target_archE1030ELNS1_3gpuE2ELNS1_3repE0EEENS1_47radix_sort_onesweep_sort_config_static_selectorELNS0_4arch9wavefront6targetE1EEEvSI_.has_dyn_sized_stack, 0
	.set _ZN7rocprim17ROCPRIM_400000_NS6detail17trampoline_kernelINS0_14default_configENS1_35radix_sort_onesweep_config_selectorIddEEZZNS1_29radix_sort_onesweep_iterationIS3_Lb0EN6thrust23THRUST_200600_302600_NS6detail15normal_iteratorINS8_10device_ptrIdEEEESD_SD_SD_jNS0_19identity_decomposerENS1_16block_id_wrapperIjLb0EEEEE10hipError_tT1_PNSt15iterator_traitsISI_E10value_typeET2_T3_PNSJ_ISO_E10value_typeET4_T5_PST_SU_PNS1_23onesweep_lookback_stateEbbT6_jjT7_P12ihipStream_tbENKUlT_T0_SI_SN_E_clIPdSD_S15_SD_EEDaS11_S12_SI_SN_EUlS11_E_NS1_11comp_targetILNS1_3genE8ELNS1_11target_archE1030ELNS1_3gpuE2ELNS1_3repE0EEENS1_47radix_sort_onesweep_sort_config_static_selectorELNS0_4arch9wavefront6targetE1EEEvSI_.has_recursion, 0
	.set _ZN7rocprim17ROCPRIM_400000_NS6detail17trampoline_kernelINS0_14default_configENS1_35radix_sort_onesweep_config_selectorIddEEZZNS1_29radix_sort_onesweep_iterationIS3_Lb0EN6thrust23THRUST_200600_302600_NS6detail15normal_iteratorINS8_10device_ptrIdEEEESD_SD_SD_jNS0_19identity_decomposerENS1_16block_id_wrapperIjLb0EEEEE10hipError_tT1_PNSt15iterator_traitsISI_E10value_typeET2_T3_PNSJ_ISO_E10value_typeET4_T5_PST_SU_PNS1_23onesweep_lookback_stateEbbT6_jjT7_P12ihipStream_tbENKUlT_T0_SI_SN_E_clIPdSD_S15_SD_EEDaS11_S12_SI_SN_EUlS11_E_NS1_11comp_targetILNS1_3genE8ELNS1_11target_archE1030ELNS1_3gpuE2ELNS1_3repE0EEENS1_47radix_sort_onesweep_sort_config_static_selectorELNS0_4arch9wavefront6targetE1EEEvSI_.has_indirect_call, 0
	.section	.AMDGPU.csdata,"",@progbits
; Kernel info:
; codeLenInByte = 0
; TotalNumSgprs: 6
; NumVgprs: 0
; NumAgprs: 0
; TotalNumVgprs: 0
; ScratchSize: 0
; MemoryBound: 0
; FloatMode: 240
; IeeeMode: 1
; LDSByteSize: 0 bytes/workgroup (compile time only)
; SGPRBlocks: 0
; VGPRBlocks: 0
; NumSGPRsForWavesPerEU: 6
; NumVGPRsForWavesPerEU: 1
; AccumOffset: 4
; Occupancy: 8
; WaveLimiterHint : 0
; COMPUTE_PGM_RSRC2:SCRATCH_EN: 0
; COMPUTE_PGM_RSRC2:USER_SGPR: 2
; COMPUTE_PGM_RSRC2:TRAP_HANDLER: 0
; COMPUTE_PGM_RSRC2:TGID_X_EN: 1
; COMPUTE_PGM_RSRC2:TGID_Y_EN: 0
; COMPUTE_PGM_RSRC2:TGID_Z_EN: 0
; COMPUTE_PGM_RSRC2:TIDIG_COMP_CNT: 0
; COMPUTE_PGM_RSRC3_GFX90A:ACCUM_OFFSET: 0
; COMPUTE_PGM_RSRC3_GFX90A:TG_SPLIT: 0
	.section	.text._ZN7rocprim17ROCPRIM_400000_NS6detail17trampoline_kernelINS0_14default_configENS1_22reduce_config_selectorIN6thrust23THRUST_200600_302600_NS5tupleIblNS6_9null_typeES8_S8_S8_S8_S8_S8_S8_EEEEZNS1_11reduce_implILb1ES3_PS9_SC_S9_NS6_11hip_rocprim9__find_if7functorIS9_EEEE10hipError_tPvRmT1_T2_T3_mT4_P12ihipStream_tbEUlT_E0_NS1_11comp_targetILNS1_3genE0ELNS1_11target_archE4294967295ELNS1_3gpuE0ELNS1_3repE0EEENS1_30default_config_static_selectorELNS0_4arch9wavefront6targetE1EEEvSK_,"axG",@progbits,_ZN7rocprim17ROCPRIM_400000_NS6detail17trampoline_kernelINS0_14default_configENS1_22reduce_config_selectorIN6thrust23THRUST_200600_302600_NS5tupleIblNS6_9null_typeES8_S8_S8_S8_S8_S8_S8_EEEEZNS1_11reduce_implILb1ES3_PS9_SC_S9_NS6_11hip_rocprim9__find_if7functorIS9_EEEE10hipError_tPvRmT1_T2_T3_mT4_P12ihipStream_tbEUlT_E0_NS1_11comp_targetILNS1_3genE0ELNS1_11target_archE4294967295ELNS1_3gpuE0ELNS1_3repE0EEENS1_30default_config_static_selectorELNS0_4arch9wavefront6targetE1EEEvSK_,comdat
	.protected	_ZN7rocprim17ROCPRIM_400000_NS6detail17trampoline_kernelINS0_14default_configENS1_22reduce_config_selectorIN6thrust23THRUST_200600_302600_NS5tupleIblNS6_9null_typeES8_S8_S8_S8_S8_S8_S8_EEEEZNS1_11reduce_implILb1ES3_PS9_SC_S9_NS6_11hip_rocprim9__find_if7functorIS9_EEEE10hipError_tPvRmT1_T2_T3_mT4_P12ihipStream_tbEUlT_E0_NS1_11comp_targetILNS1_3genE0ELNS1_11target_archE4294967295ELNS1_3gpuE0ELNS1_3repE0EEENS1_30default_config_static_selectorELNS0_4arch9wavefront6targetE1EEEvSK_ ; -- Begin function _ZN7rocprim17ROCPRIM_400000_NS6detail17trampoline_kernelINS0_14default_configENS1_22reduce_config_selectorIN6thrust23THRUST_200600_302600_NS5tupleIblNS6_9null_typeES8_S8_S8_S8_S8_S8_S8_EEEEZNS1_11reduce_implILb1ES3_PS9_SC_S9_NS6_11hip_rocprim9__find_if7functorIS9_EEEE10hipError_tPvRmT1_T2_T3_mT4_P12ihipStream_tbEUlT_E0_NS1_11comp_targetILNS1_3genE0ELNS1_11target_archE4294967295ELNS1_3gpuE0ELNS1_3repE0EEENS1_30default_config_static_selectorELNS0_4arch9wavefront6targetE1EEEvSK_
	.globl	_ZN7rocprim17ROCPRIM_400000_NS6detail17trampoline_kernelINS0_14default_configENS1_22reduce_config_selectorIN6thrust23THRUST_200600_302600_NS5tupleIblNS6_9null_typeES8_S8_S8_S8_S8_S8_S8_EEEEZNS1_11reduce_implILb1ES3_PS9_SC_S9_NS6_11hip_rocprim9__find_if7functorIS9_EEEE10hipError_tPvRmT1_T2_T3_mT4_P12ihipStream_tbEUlT_E0_NS1_11comp_targetILNS1_3genE0ELNS1_11target_archE4294967295ELNS1_3gpuE0ELNS1_3repE0EEENS1_30default_config_static_selectorELNS0_4arch9wavefront6targetE1EEEvSK_
	.p2align	8
	.type	_ZN7rocprim17ROCPRIM_400000_NS6detail17trampoline_kernelINS0_14default_configENS1_22reduce_config_selectorIN6thrust23THRUST_200600_302600_NS5tupleIblNS6_9null_typeES8_S8_S8_S8_S8_S8_S8_EEEEZNS1_11reduce_implILb1ES3_PS9_SC_S9_NS6_11hip_rocprim9__find_if7functorIS9_EEEE10hipError_tPvRmT1_T2_T3_mT4_P12ihipStream_tbEUlT_E0_NS1_11comp_targetILNS1_3genE0ELNS1_11target_archE4294967295ELNS1_3gpuE0ELNS1_3repE0EEENS1_30default_config_static_selectorELNS0_4arch9wavefront6targetE1EEEvSK_,@function
_ZN7rocprim17ROCPRIM_400000_NS6detail17trampoline_kernelINS0_14default_configENS1_22reduce_config_selectorIN6thrust23THRUST_200600_302600_NS5tupleIblNS6_9null_typeES8_S8_S8_S8_S8_S8_S8_EEEEZNS1_11reduce_implILb1ES3_PS9_SC_S9_NS6_11hip_rocprim9__find_if7functorIS9_EEEE10hipError_tPvRmT1_T2_T3_mT4_P12ihipStream_tbEUlT_E0_NS1_11comp_targetILNS1_3genE0ELNS1_11target_archE4294967295ELNS1_3gpuE0ELNS1_3repE0EEENS1_30default_config_static_selectorELNS0_4arch9wavefront6targetE1EEEvSK_: ; @_ZN7rocprim17ROCPRIM_400000_NS6detail17trampoline_kernelINS0_14default_configENS1_22reduce_config_selectorIN6thrust23THRUST_200600_302600_NS5tupleIblNS6_9null_typeES8_S8_S8_S8_S8_S8_S8_EEEEZNS1_11reduce_implILb1ES3_PS9_SC_S9_NS6_11hip_rocprim9__find_if7functorIS9_EEEE10hipError_tPvRmT1_T2_T3_mT4_P12ihipStream_tbEUlT_E0_NS1_11comp_targetILNS1_3genE0ELNS1_11target_archE4294967295ELNS1_3gpuE0ELNS1_3repE0EEENS1_30default_config_static_selectorELNS0_4arch9wavefront6targetE1EEEvSK_
; %bb.0:
	s_load_dwordx8 s[8:15], s[0:1], 0x0
	s_load_dwordx4 s[16:19], s[0:1], 0x20
	s_mov_b32 s23, 0
	s_mov_b32 s3, s23
	v_lshlrev_b32_e32 v9, 4, v0
	s_waitcnt lgkmcnt(0)
	s_lshl_b64 s[4:5], s[10:11], 4
	s_add_u32 s8, s8, s4
	s_addc_u32 s9, s9, s5
	s_lshl_b32 s22, s2, 8
	s_lshr_b64 s[4:5], s[12:13], 8
	s_lshl_b64 s[6:7], s[22:23], 4
	s_add_u32 s20, s8, s6
	s_addc_u32 s21, s9, s7
	s_cmp_lg_u64 s[4:5], s[2:3]
	v_mbcnt_lo_u32_b32 v1, -1, 0
	s_cbranch_scc0 .LBB163_10
; %bb.1:
	global_load_ubyte v5, v9, s[20:21]
	global_load_ubyte v7, v9, s[20:21] offset:2048
	global_load_dwordx2 v[2:3], v9, s[20:21] offset:8
	global_load_dwordx2 v[10:11], v9, s[20:21] offset:2056
	v_mbcnt_hi_u32_b32 v4, -1, v1
	v_lshlrev_b32_e32 v6, 2, v4
	v_or_b32_e32 v12, 0xfc, v6
	s_waitcnt vmcnt(3)
	v_and_b32_e32 v5, 1, v5
	s_waitcnt vmcnt(2)
	v_and_b32_e32 v8, 1, v7
	v_cmp_eq_u32_e64 s[4:5], 1, v8
	s_waitcnt vmcnt(0)
	v_cmp_lt_i64_e32 vcc, v[10:11], v[2:3]
	s_and_b64 vcc, s[4:5], vcc
	v_cmp_eq_u32_e64 s[6:7], 1, v5
	v_cndmask_b32_e32 v2, v2, v10, vcc
	v_cndmask_b32_e32 v3, v3, v11, vcc
	v_cndmask_b32_e64 v5, v7, 1, s[6:7]
	v_cndmask_b32_e64 v2, v10, v2, s[6:7]
	;; [unrolled: 1-line block ×3, first 2 shown]
	v_and_b32_e32 v5, 1, v5
	v_mov_b32_dpp v10, v2 quad_perm:[1,0,3,2] row_mask:0xf bank_mask:0xf bound_ctrl:1
	v_mov_b32_dpp v11, v3 quad_perm:[1,0,3,2] row_mask:0xf bank_mask:0xf bound_ctrl:1
	;; [unrolled: 1-line block ×3, first 2 shown]
	v_cmp_eq_u32_e32 vcc, 1, v5
	v_cmp_lt_i64_e64 s[4:5], v[2:3], v[10:11]
	v_and_b32_e32 v7, 1, v7
	s_and_b64 vcc, vcc, s[4:5]
	v_cndmask_b32_e32 v8, v10, v2, vcc
	v_cndmask_b32_e32 v10, v11, v3, vcc
	v_cmp_eq_u32_e32 vcc, 1, v7
	s_nop 1
	v_cndmask_b32_e32 v3, v3, v10, vcc
	v_cndmask_b32_e32 v2, v2, v8, vcc
	v_cndmask_b32_e64 v5, v5, 1, vcc
	v_mov_b32_dpp v11, v3 quad_perm:[2,3,0,1] row_mask:0xf bank_mask:0xf bound_ctrl:1
	v_mov_b32_dpp v10, v2 quad_perm:[2,3,0,1] row_mask:0xf bank_mask:0xf bound_ctrl:1
	;; [unrolled: 1-line block ×3, first 2 shown]
	v_and_b32_e32 v8, 1, v5
	v_and_b32_e32 v7, 1, v7
	v_cmp_eq_u32_e32 vcc, 1, v8
	v_cmp_lt_i64_e64 s[4:5], v[2:3], v[10:11]
	v_cmp_eq_u32_e64 s[6:7], 1, v7
	s_and_b64 vcc, vcc, s[4:5]
	v_cndmask_b32_e32 v7, v10, v2, vcc
	v_cndmask_b32_e64 v5, v5, 1, s[6:7]
	v_cndmask_b32_e64 v2, v2, v7, s[6:7]
	v_cndmask_b32_e32 v8, v11, v3, vcc
	v_mov_b32_dpp v7, v5 row_ror:4 row_mask:0xf bank_mask:0xf bound_ctrl:1
	v_and_b32_e32 v7, 1, v7
	v_and_b32_e32 v11, 1, v5
	v_cndmask_b32_e64 v3, v3, v8, s[6:7]
	v_cmp_eq_u32_e64 s[4:5], 1, v7
	v_mov_b32_dpp v10, v2 row_ror:4 row_mask:0xf bank_mask:0xf bound_ctrl:1
	v_cmp_eq_u32_e32 vcc, 1, v11
	v_mov_b32_dpp v11, v3 row_ror:4 row_mask:0xf bank_mask:0xf bound_ctrl:1
	v_cndmask_b32_e64 v5, v5, 1, s[4:5]
	v_cmp_lt_i64_e64 s[6:7], v[2:3], v[10:11]
	v_and_b32_e32 v8, 1, v5
	v_mov_b32_dpp v7, v5 row_ror:8 row_mask:0xf bank_mask:0xf bound_ctrl:1
	s_and_b64 vcc, vcc, s[6:7]
	v_and_b32_e32 v7, 1, v7
	v_cndmask_b32_e32 v10, v10, v2, vcc
	v_cmp_eq_u32_e64 s[6:7], 1, v8
	v_cndmask_b32_e32 v8, v11, v3, vcc
	v_cmp_eq_u32_e32 vcc, 1, v7
	v_cndmask_b32_e64 v2, v2, v10, s[4:5]
	v_cndmask_b32_e64 v3, v3, v8, s[4:5]
	v_cndmask_b32_e64 v5, v5, 1, vcc
	v_mov_b32_dpp v10, v2 row_ror:8 row_mask:0xf bank_mask:0xf bound_ctrl:1
	v_mov_b32_dpp v11, v3 row_ror:8 row_mask:0xf bank_mask:0xf bound_ctrl:1
	v_mov_b32_dpp v7, v5 row_bcast:15 row_mask:0xf bank_mask:0xf bound_ctrl:1
	v_and_b32_e32 v7, 1, v7
	v_cmp_lt_i64_e64 s[8:9], v[2:3], v[10:11]
	v_cmp_eq_u32_e64 s[10:11], 1, v7
	s_and_b64 s[6:7], s[6:7], s[8:9]
	v_and_b32_e32 v8, 1, v5
	v_cndmask_b32_e64 v5, v5, 1, s[10:11]
	v_cndmask_b32_e64 v7, v10, v2, s[6:7]
	;; [unrolled: 1-line block ×3, first 2 shown]
	v_cmp_eq_u32_e64 s[4:5], 1, v8
	v_mov_b32_dpp v8, v5 row_bcast:31 row_mask:0xf bank_mask:0xf bound_ctrl:1
	v_and_b32_e32 v10, 1, v5
	v_cndmask_b32_e32 v2, v2, v7, vcc
	v_cndmask_b32_e32 v3, v3, v11, vcc
	v_and_b32_e32 v7, 1, v8
	v_cmp_eq_u32_e64 s[6:7], 1, v10
	v_mov_b32_dpp v10, v2 row_bcast:15 row_mask:0xf bank_mask:0xf bound_ctrl:1
	v_mov_b32_dpp v11, v3 row_bcast:15 row_mask:0xf bank_mask:0xf bound_ctrl:1
	v_cmp_eq_u32_e32 vcc, 1, v7
	v_cmp_lt_i64_e64 s[8:9], v[2:3], v[10:11]
	s_and_b64 s[4:5], s[4:5], s[8:9]
	v_cndmask_b32_e64 v5, v5, 1, vcc
	ds_bpermute_b32 v8, v12, v5
	v_cndmask_b32_e64 v5, v10, v2, s[4:5]
	v_cndmask_b32_e64 v7, v11, v3, s[4:5]
	;; [unrolled: 1-line block ×4, first 2 shown]
	s_nop 0
	v_mov_b32_dpp v10, v2 row_bcast:31 row_mask:0xf bank_mask:0xf bound_ctrl:1
	v_mov_b32_dpp v11, v3 row_bcast:31 row_mask:0xf bank_mask:0xf bound_ctrl:1
	v_cmp_lt_i64_e64 s[4:5], v[2:3], v[10:11]
	s_and_b64 s[4:5], s[6:7], s[4:5]
	s_nop 0
	v_cndmask_b32_e64 v5, v10, v2, s[4:5]
	v_cndmask_b32_e64 v7, v11, v3, s[4:5]
	v_cndmask_b32_e32 v2, v2, v5, vcc
	v_cndmask_b32_e32 v3, v3, v7, vcc
	ds_bpermute_b32 v2, v12, v2
	ds_bpermute_b32 v3, v12, v3
	v_cmp_eq_u32_e32 vcc, 0, v4
	s_and_saveexec_b64 s[4:5], vcc
	s_cbranch_execz .LBB163_3
; %bb.2:
	v_lshrrev_b32_e32 v5, 2, v0
	v_and_b32_e32 v5, 16, v5
	s_waitcnt lgkmcnt(2)
	ds_write_b8 v5, v8
	s_waitcnt lgkmcnt(1)
	ds_write_b64 v5, v[2:3] offset:8
.LBB163_3:
	s_or_b64 exec, exec, s[4:5]
	v_cmp_gt_u32_e32 vcc, 64, v0
	s_waitcnt lgkmcnt(0)
	s_barrier
	s_and_saveexec_b64 s[4:5], vcc
	s_cbranch_execz .LBB163_9
; %bb.4:
	v_and_b32_e32 v2, 1, v4
	v_lshlrev_b32_e32 v2, 4, v2
	ds_read_u8 v10, v2
	ds_read_b64 v[4:5], v2 offset:8
	v_or_b32_e32 v3, 4, v6
	s_waitcnt lgkmcnt(1)
	v_and_b32_e32 v2, 0xff, v10
	ds_bpermute_b32 v11, v3, v2
	s_waitcnt lgkmcnt(1)
	ds_bpermute_b32 v6, v3, v4
	ds_bpermute_b32 v7, v3, v5
	s_waitcnt lgkmcnt(2)
	v_and_b32_e32 v2, v10, v11
	v_and_b32_e32 v2, 1, v2
	v_cmp_eq_u32_e32 vcc, 1, v2
                                        ; implicit-def: $vgpr2_vgpr3
	s_and_saveexec_b64 s[6:7], vcc
	s_xor_b64 s[6:7], exec, s[6:7]
	s_cbranch_execz .LBB163_6
; %bb.5:
	s_waitcnt lgkmcnt(0)
	v_cmp_lt_i64_e32 vcc, v[6:7], v[4:5]
                                        ; implicit-def: $vgpr10
                                        ; implicit-def: $vgpr11
	s_nop 1
	v_cndmask_b32_e32 v3, v5, v7, vcc
	v_cndmask_b32_e32 v2, v4, v6, vcc
                                        ; implicit-def: $vgpr6_vgpr7
                                        ; implicit-def: $vgpr4_vgpr5
.LBB163_6:
	s_or_saveexec_b64 s[6:7], s[6:7]
	v_mov_b32_e32 v8, 1
	s_xor_b64 exec, exec, s[6:7]
	s_cbranch_execz .LBB163_8
; %bb.7:
	v_and_b32_e32 v2, 1, v10
	v_cmp_eq_u32_e32 vcc, 1, v2
	s_waitcnt lgkmcnt(0)
	s_nop 0
	v_cndmask_b32_e32 v3, v7, v5, vcc
	v_cndmask_b32_e32 v2, v6, v4, vcc
	v_cndmask_b32_e64 v8, v11, 1, vcc
.LBB163_8:
	s_or_b64 exec, exec, s[6:7]
.LBB163_9:
	s_or_b64 exec, exec, s[4:5]
	s_load_dword s10, s[0:1], 0x30
	s_load_dwordx2 s[8:9], s[0:1], 0x38
	s_branch .LBB163_62
.LBB163_10:
                                        ; implicit-def: $vgpr2_vgpr3
                                        ; implicit-def: $vgpr8
	s_load_dword s10, s[0:1], 0x30
	s_load_dwordx2 s[8:9], s[0:1], 0x38
	s_cbranch_execz .LBB163_62
; %bb.11:
	s_sub_i32 s11, s12, s22
	v_cmp_gt_u32_e32 vcc, s11, v0
	s_waitcnt lgkmcnt(0)
	v_mov_b32_e32 v6, 0
	v_mov_b64_e32 v[4:5], 0
	v_mov_b64_e32 v[2:3], 0
	v_mov_b32_e32 v7, 0
	s_and_saveexec_b64 s[0:1], vcc
	s_cbranch_execz .LBB163_13
; %bb.12:
	global_load_ubyte v7, v9, s[20:21]
	global_load_dwordx2 v[2:3], v9, s[20:21] offset:8
.LBB163_13:
	s_or_b64 exec, exec, s[0:1]
	v_or_b32_e32 v8, 0x80, v0
	v_cmp_gt_u32_e32 vcc, s11, v8
	s_and_saveexec_b64 s[0:1], vcc
	s_cbranch_execz .LBB163_15
; %bb.14:
	global_load_ubyte v6, v9, s[20:21] offset:2048
	global_load_dwordx2 v[4:5], v9, s[20:21] offset:2056
.LBB163_15:
	s_or_b64 exec, exec, s[0:1]
	s_waitcnt vmcnt(1)
	v_and_b32_e32 v9, 0xff, v6
	v_and_b32_e32 v6, 1, v6
	v_cmp_eq_u32_e64 s[0:1], 1, v6
	v_and_b32_e32 v6, 1, v7
	s_waitcnt vmcnt(0)
	v_cmp_lt_i64_e64 s[4:5], v[4:5], v[2:3]
	v_cmp_eq_u32_e64 s[6:7], 1, v6
	s_and_b64 s[0:1], s[0:1], s[4:5]
	v_and_b32_e32 v8, 0xff, v7
	v_cndmask_b32_e64 v6, v9, 1, s[6:7]
	v_cndmask_b32_e64 v7, v3, v5, s[0:1]
	;; [unrolled: 1-line block ×3, first 2 shown]
	v_mbcnt_hi_u32_b32 v1, -1, v1
	v_cndmask_b32_e64 v4, v4, v9, s[6:7]
	v_cndmask_b32_e64 v5, v5, v7, s[6:7]
	v_cndmask_b32_e32 v8, v8, v6, vcc
	v_and_b32_e32 v6, 63, v1
	v_cndmask_b32_e32 v3, v3, v5, vcc
	v_cndmask_b32_e32 v2, v2, v4, vcc
	v_cmp_ne_u32_e32 vcc, 63, v6
	s_min_u32 s6, s11, 0x80
	v_and_b32_e32 v7, 64, v0
	v_addc_co_u32_e32 v4, vcc, 0, v1, vcc
	v_lshlrev_b32_e32 v5, 2, v4
	ds_bpermute_b32 v9, v5, v8
	ds_bpermute_b32 v4, v5, v2
	;; [unrolled: 1-line block ×3, first 2 shown]
	v_sub_u32_e64 v7, s6, v7 clamp
	v_add_u32_e32 v10, 1, v6
	v_cmp_lt_u32_e32 vcc, v10, v7
	s_and_saveexec_b64 s[0:1], vcc
	s_cbranch_execz .LBB163_21
; %bb.16:
	s_waitcnt lgkmcnt(2)
	v_and_b32_e32 v10, v9, v8
	v_cmp_ne_u32_e32 vcc, 0, v10
	s_and_saveexec_b64 s[4:5], vcc
	s_xor_b64 s[4:5], exec, s[4:5]
	s_cbranch_execz .LBB163_18
; %bb.17:
	s_waitcnt lgkmcnt(0)
	v_cmp_lt_i64_e32 vcc, v[4:5], v[2:3]
                                        ; implicit-def: $vgpr8
                                        ; implicit-def: $vgpr9
	s_nop 1
	v_cndmask_b32_e32 v3, v3, v5, vcc
	v_cndmask_b32_e32 v2, v2, v4, vcc
                                        ; implicit-def: $vgpr4_vgpr5
.LBB163_18:
	s_or_saveexec_b64 s[4:5], s[4:5]
	v_mov_b32_e32 v10, 1
	s_xor_b64 exec, exec, s[4:5]
	s_cbranch_execz .LBB163_20
; %bb.19:
	v_and_b32_e32 v8, 1, v8
	v_cmp_eq_u32_e32 vcc, 1, v8
	s_waitcnt lgkmcnt(1)
	s_nop 0
	v_cndmask_b32_e32 v2, v4, v2, vcc
	v_and_b32_e32 v4, 0xff, v9
	s_waitcnt lgkmcnt(0)
	v_cndmask_b32_e32 v3, v5, v3, vcc
	v_cndmask_b32_e64 v10, v4, 1, vcc
.LBB163_20:
	s_or_b64 exec, exec, s[4:5]
	v_mov_b32_e32 v8, v10
.LBB163_21:
	s_or_b64 exec, exec, s[0:1]
	v_cmp_gt_u32_e32 vcc, 62, v6
	v_add_u32_e32 v10, 2, v6
	s_waitcnt lgkmcnt(1)
	v_cndmask_b32_e64 v4, 0, 2, vcc
	s_waitcnt lgkmcnt(0)
	v_add_lshl_u32 v5, v4, v1, 2
	ds_bpermute_b32 v9, v5, v8
	ds_bpermute_b32 v4, v5, v2
	ds_bpermute_b32 v5, v5, v3
	v_cmp_lt_u32_e32 vcc, v10, v7
	s_and_saveexec_b64 s[0:1], vcc
	s_cbranch_execz .LBB163_27
; %bb.22:
	s_waitcnt lgkmcnt(2)
	v_and_b32_e32 v10, v8, v9
	v_and_b32_e32 v10, 1, v10
	v_cmp_eq_u32_e32 vcc, 1, v10
	s_and_saveexec_b64 s[4:5], vcc
	s_xor_b64 s[4:5], exec, s[4:5]
	s_cbranch_execz .LBB163_24
; %bb.23:
	s_waitcnt lgkmcnt(0)
	v_cmp_lt_i64_e32 vcc, v[4:5], v[2:3]
                                        ; implicit-def: $vgpr8
                                        ; implicit-def: $vgpr9
	s_nop 1
	v_cndmask_b32_e32 v3, v3, v5, vcc
	v_cndmask_b32_e32 v2, v2, v4, vcc
                                        ; implicit-def: $vgpr4_vgpr5
.LBB163_24:
	s_or_saveexec_b64 s[4:5], s[4:5]
	v_mov_b32_e32 v10, 1
	s_xor_b64 exec, exec, s[4:5]
	s_cbranch_execz .LBB163_26
; %bb.25:
	v_and_b32_e32 v8, 1, v8
	v_cmp_eq_u32_e32 vcc, 1, v8
	s_waitcnt lgkmcnt(1)
	s_nop 0
	v_cndmask_b32_e32 v2, v4, v2, vcc
	v_and_b32_e32 v4, 0xff, v9
	s_waitcnt lgkmcnt(0)
	v_cndmask_b32_e32 v3, v5, v3, vcc
	v_cndmask_b32_e64 v10, v4, 1, vcc
.LBB163_26:
	s_or_b64 exec, exec, s[4:5]
	v_mov_b32_e32 v8, v10
.LBB163_27:
	s_or_b64 exec, exec, s[0:1]
	v_cmp_gt_u32_e32 vcc, 60, v6
	v_add_u32_e32 v10, 4, v6
	s_waitcnt lgkmcnt(1)
	v_cndmask_b32_e64 v4, 0, 4, vcc
	s_waitcnt lgkmcnt(0)
	v_add_lshl_u32 v5, v4, v1, 2
	ds_bpermute_b32 v9, v5, v8
	ds_bpermute_b32 v4, v5, v2
	ds_bpermute_b32 v5, v5, v3
	v_cmp_lt_u32_e32 vcc, v10, v7
	s_and_saveexec_b64 s[0:1], vcc
	s_cbranch_execz .LBB163_33
; %bb.28:
	s_waitcnt lgkmcnt(2)
	v_and_b32_e32 v10, v8, v9
	v_and_b32_e32 v10, 1, v10
	v_cmp_eq_u32_e32 vcc, 1, v10
	s_and_saveexec_b64 s[4:5], vcc
	s_xor_b64 s[4:5], exec, s[4:5]
	s_cbranch_execz .LBB163_30
; %bb.29:
	s_waitcnt lgkmcnt(0)
	v_cmp_lt_i64_e32 vcc, v[4:5], v[2:3]
                                        ; implicit-def: $vgpr8
                                        ; implicit-def: $vgpr9
	s_nop 1
	v_cndmask_b32_e32 v3, v3, v5, vcc
	v_cndmask_b32_e32 v2, v2, v4, vcc
                                        ; implicit-def: $vgpr4_vgpr5
.LBB163_30:
	s_or_saveexec_b64 s[4:5], s[4:5]
	v_mov_b32_e32 v10, 1
	s_xor_b64 exec, exec, s[4:5]
	s_cbranch_execz .LBB163_32
; %bb.31:
	v_and_b32_e32 v8, 1, v8
	v_cmp_eq_u32_e32 vcc, 1, v8
	s_waitcnt lgkmcnt(1)
	s_nop 0
	v_cndmask_b32_e32 v2, v4, v2, vcc
	v_and_b32_e32 v4, 0xff, v9
	s_waitcnt lgkmcnt(0)
	v_cndmask_b32_e32 v3, v5, v3, vcc
	v_cndmask_b32_e64 v10, v4, 1, vcc
.LBB163_32:
	s_or_b64 exec, exec, s[4:5]
	v_mov_b32_e32 v8, v10
.LBB163_33:
	;; [unrolled: 49-line block ×4, first 2 shown]
	s_or_b64 exec, exec, s[0:1]
	s_waitcnt lgkmcnt(2)
	v_lshlrev_b32_e32 v9, 2, v1
	s_waitcnt lgkmcnt(0)
	v_or_b32_e32 v5, 0x80, v9
	ds_bpermute_b32 v10, v5, v8
	ds_bpermute_b32 v4, v5, v2
	;; [unrolled: 1-line block ×3, first 2 shown]
	v_add_u32_e32 v6, 32, v6
	v_cmp_lt_u32_e32 vcc, v6, v7
	v_mov_b32_e32 v6, v8
	s_and_saveexec_b64 s[0:1], vcc
	s_cbranch_execz .LBB163_51
; %bb.46:
	s_waitcnt lgkmcnt(2)
	v_and_b32_e32 v6, v8, v10
	v_and_b32_e32 v6, 1, v6
	v_cmp_eq_u32_e32 vcc, 1, v6
	s_and_saveexec_b64 s[4:5], vcc
	s_xor_b64 s[4:5], exec, s[4:5]
	s_cbranch_execz .LBB163_48
; %bb.47:
	s_waitcnt lgkmcnt(0)
	v_cmp_lt_i64_e32 vcc, v[4:5], v[2:3]
                                        ; implicit-def: $vgpr8
                                        ; implicit-def: $vgpr10
	s_nop 1
	v_cndmask_b32_e32 v3, v3, v5, vcc
	v_cndmask_b32_e32 v2, v2, v4, vcc
                                        ; implicit-def: $vgpr4_vgpr5
.LBB163_48:
	s_or_saveexec_b64 s[4:5], s[4:5]
	v_mov_b32_e32 v6, 1
	s_xor_b64 exec, exec, s[4:5]
	s_cbranch_execz .LBB163_50
; %bb.49:
	v_and_b32_e32 v6, 1, v8
	v_cmp_eq_u32_e32 vcc, 1, v6
	s_nop 1
	v_cndmask_b32_e64 v6, v10, 1, vcc
	s_waitcnt lgkmcnt(0)
	v_cndmask_b32_e32 v3, v5, v3, vcc
	v_cndmask_b32_e32 v2, v4, v2, vcc
.LBB163_50:
	s_or_b64 exec, exec, s[4:5]
	v_and_b32_e32 v8, 0xff, v6
.LBB163_51:
	s_or_b64 exec, exec, s[0:1]
	v_cmp_eq_u32_e32 vcc, 0, v1
	s_and_saveexec_b64 s[0:1], vcc
	s_cbranch_execz .LBB163_53
; %bb.52:
	s_waitcnt lgkmcnt(1)
	v_lshrrev_b32_e32 v4, 2, v0
	v_and_b32_e32 v4, 16, v4
	ds_write_b8 v4, v6 offset:32
	ds_write_b64 v4, v[2:3] offset:40
.LBB163_53:
	s_or_b64 exec, exec, s[0:1]
	v_cmp_gt_u32_e32 vcc, 2, v0
	s_waitcnt lgkmcnt(0)
	s_barrier
	s_and_saveexec_b64 s[0:1], vcc
	s_cbranch_execz .LBB163_61
; %bb.54:
	v_lshlrev_b32_e32 v2, 4, v1
	ds_read_u8 v6, v2 offset:32
	ds_read_b64 v[2:3], v2 offset:40
	v_or_b32_e32 v5, 4, v9
	s_add_i32 s6, s6, 63
	v_and_b32_e32 v1, 1, v1
	s_waitcnt lgkmcnt(1)
	v_and_b32_e32 v8, 0xff, v6
	s_waitcnt lgkmcnt(0)
	ds_bpermute_b32 v4, v5, v2
	ds_bpermute_b32 v7, v5, v8
	;; [unrolled: 1-line block ×3, first 2 shown]
	s_lshr_b32 s4, s6, 6
	v_add_u32_e32 v1, 1, v1
	v_cmp_gt_u32_e32 vcc, s4, v1
	s_and_saveexec_b64 s[4:5], vcc
	s_cbranch_execz .LBB163_60
; %bb.55:
	s_waitcnt lgkmcnt(1)
	v_and_b32_e32 v1, v8, v7
	v_and_b32_e32 v1, 1, v1
	v_cmp_eq_u32_e32 vcc, 1, v1
	s_and_saveexec_b64 s[6:7], vcc
	s_xor_b64 s[6:7], exec, s[6:7]
	s_cbranch_execz .LBB163_57
; %bb.56:
	s_waitcnt lgkmcnt(0)
	v_cmp_lt_i64_e32 vcc, v[4:5], v[2:3]
                                        ; implicit-def: $vgpr6
                                        ; implicit-def: $vgpr7
	s_nop 1
	v_cndmask_b32_e32 v3, v3, v5, vcc
	v_cndmask_b32_e32 v2, v2, v4, vcc
                                        ; implicit-def: $vgpr4_vgpr5
.LBB163_57:
	s_or_saveexec_b64 s[6:7], s[6:7]
	v_mov_b32_e32 v8, 1
	s_xor_b64 exec, exec, s[6:7]
	s_cbranch_execz .LBB163_59
; %bb.58:
	v_and_b32_e32 v1, 1, v6
	v_cmp_eq_u32_e32 vcc, 1, v1
	s_waitcnt lgkmcnt(0)
	s_nop 0
	v_cndmask_b32_e32 v3, v5, v3, vcc
	v_cndmask_b32_e32 v2, v4, v2, vcc
	v_cndmask_b32_e64 v8, v7, 1, vcc
.LBB163_59:
	s_or_b64 exec, exec, s[6:7]
.LBB163_60:
	s_or_b64 exec, exec, s[4:5]
.LBB163_61:
	s_or_b64 exec, exec, s[0:1]
.LBB163_62:
	v_cmp_eq_u32_e32 vcc, 0, v0
	s_and_saveexec_b64 s[0:1], vcc
	s_cbranch_execnz .LBB163_64
; %bb.63:
	s_endpgm
.LBB163_64:
	s_mul_i32 s0, s18, s17
	s_mul_hi_u32 s1, s18, s16
	s_add_i32 s0, s1, s0
	s_mul_i32 s1, s19, s16
	s_add_i32 s1, s0, s1
	s_mul_i32 s0, s18, s16
	s_lshl_b64 s[0:1], s[0:1], 4
	s_add_u32 s4, s14, s0
	s_addc_u32 s5, s15, s1
	s_cmp_eq_u64 s[12:13], 0
	s_waitcnt lgkmcnt(0)
	v_mov_b32_e32 v0, s9
	s_cselect_b64 vcc, -1, 0
	v_cndmask_b32_e32 v1, v3, v0, vcc
	v_mov_b32_e32 v0, s8
	s_lshl_b64 s[0:1], s[2:3], 4
	v_cndmask_b32_e32 v0, v2, v0, vcc
	v_mov_b32_e32 v2, s10
	s_add_u32 s0, s4, s0
	v_cndmask_b32_e32 v2, v8, v2, vcc
	s_addc_u32 s1, s5, s1
	v_mov_b32_e32 v3, 0
	global_store_byte v3, v2, s[0:1]
	global_store_dwordx2 v3, v[0:1], s[0:1] offset:8
	s_endpgm
	.section	.rodata,"a",@progbits
	.p2align	6, 0x0
	.amdhsa_kernel _ZN7rocprim17ROCPRIM_400000_NS6detail17trampoline_kernelINS0_14default_configENS1_22reduce_config_selectorIN6thrust23THRUST_200600_302600_NS5tupleIblNS6_9null_typeES8_S8_S8_S8_S8_S8_S8_EEEEZNS1_11reduce_implILb1ES3_PS9_SC_S9_NS6_11hip_rocprim9__find_if7functorIS9_EEEE10hipError_tPvRmT1_T2_T3_mT4_P12ihipStream_tbEUlT_E0_NS1_11comp_targetILNS1_3genE0ELNS1_11target_archE4294967295ELNS1_3gpuE0ELNS1_3repE0EEENS1_30default_config_static_selectorELNS0_4arch9wavefront6targetE1EEEvSK_
		.amdhsa_group_segment_fixed_size 64
		.amdhsa_private_segment_fixed_size 0
		.amdhsa_kernarg_size 72
		.amdhsa_user_sgpr_count 2
		.amdhsa_user_sgpr_dispatch_ptr 0
		.amdhsa_user_sgpr_queue_ptr 0
		.amdhsa_user_sgpr_kernarg_segment_ptr 1
		.amdhsa_user_sgpr_dispatch_id 0
		.amdhsa_user_sgpr_kernarg_preload_length 0
		.amdhsa_user_sgpr_kernarg_preload_offset 0
		.amdhsa_user_sgpr_private_segment_size 0
		.amdhsa_uses_dynamic_stack 0
		.amdhsa_enable_private_segment 0
		.amdhsa_system_sgpr_workgroup_id_x 1
		.amdhsa_system_sgpr_workgroup_id_y 0
		.amdhsa_system_sgpr_workgroup_id_z 0
		.amdhsa_system_sgpr_workgroup_info 0
		.amdhsa_system_vgpr_workitem_id 0
		.amdhsa_next_free_vgpr 13
		.amdhsa_next_free_sgpr 24
		.amdhsa_accum_offset 16
		.amdhsa_reserve_vcc 1
		.amdhsa_float_round_mode_32 0
		.amdhsa_float_round_mode_16_64 0
		.amdhsa_float_denorm_mode_32 3
		.amdhsa_float_denorm_mode_16_64 3
		.amdhsa_dx10_clamp 1
		.amdhsa_ieee_mode 1
		.amdhsa_fp16_overflow 0
		.amdhsa_tg_split 0
		.amdhsa_exception_fp_ieee_invalid_op 0
		.amdhsa_exception_fp_denorm_src 0
		.amdhsa_exception_fp_ieee_div_zero 0
		.amdhsa_exception_fp_ieee_overflow 0
		.amdhsa_exception_fp_ieee_underflow 0
		.amdhsa_exception_fp_ieee_inexact 0
		.amdhsa_exception_int_div_zero 0
	.end_amdhsa_kernel
	.section	.text._ZN7rocprim17ROCPRIM_400000_NS6detail17trampoline_kernelINS0_14default_configENS1_22reduce_config_selectorIN6thrust23THRUST_200600_302600_NS5tupleIblNS6_9null_typeES8_S8_S8_S8_S8_S8_S8_EEEEZNS1_11reduce_implILb1ES3_PS9_SC_S9_NS6_11hip_rocprim9__find_if7functorIS9_EEEE10hipError_tPvRmT1_T2_T3_mT4_P12ihipStream_tbEUlT_E0_NS1_11comp_targetILNS1_3genE0ELNS1_11target_archE4294967295ELNS1_3gpuE0ELNS1_3repE0EEENS1_30default_config_static_selectorELNS0_4arch9wavefront6targetE1EEEvSK_,"axG",@progbits,_ZN7rocprim17ROCPRIM_400000_NS6detail17trampoline_kernelINS0_14default_configENS1_22reduce_config_selectorIN6thrust23THRUST_200600_302600_NS5tupleIblNS6_9null_typeES8_S8_S8_S8_S8_S8_S8_EEEEZNS1_11reduce_implILb1ES3_PS9_SC_S9_NS6_11hip_rocprim9__find_if7functorIS9_EEEE10hipError_tPvRmT1_T2_T3_mT4_P12ihipStream_tbEUlT_E0_NS1_11comp_targetILNS1_3genE0ELNS1_11target_archE4294967295ELNS1_3gpuE0ELNS1_3repE0EEENS1_30default_config_static_selectorELNS0_4arch9wavefront6targetE1EEEvSK_,comdat
.Lfunc_end163:
	.size	_ZN7rocprim17ROCPRIM_400000_NS6detail17trampoline_kernelINS0_14default_configENS1_22reduce_config_selectorIN6thrust23THRUST_200600_302600_NS5tupleIblNS6_9null_typeES8_S8_S8_S8_S8_S8_S8_EEEEZNS1_11reduce_implILb1ES3_PS9_SC_S9_NS6_11hip_rocprim9__find_if7functorIS9_EEEE10hipError_tPvRmT1_T2_T3_mT4_P12ihipStream_tbEUlT_E0_NS1_11comp_targetILNS1_3genE0ELNS1_11target_archE4294967295ELNS1_3gpuE0ELNS1_3repE0EEENS1_30default_config_static_selectorELNS0_4arch9wavefront6targetE1EEEvSK_, .Lfunc_end163-_ZN7rocprim17ROCPRIM_400000_NS6detail17trampoline_kernelINS0_14default_configENS1_22reduce_config_selectorIN6thrust23THRUST_200600_302600_NS5tupleIblNS6_9null_typeES8_S8_S8_S8_S8_S8_S8_EEEEZNS1_11reduce_implILb1ES3_PS9_SC_S9_NS6_11hip_rocprim9__find_if7functorIS9_EEEE10hipError_tPvRmT1_T2_T3_mT4_P12ihipStream_tbEUlT_E0_NS1_11comp_targetILNS1_3genE0ELNS1_11target_archE4294967295ELNS1_3gpuE0ELNS1_3repE0EEENS1_30default_config_static_selectorELNS0_4arch9wavefront6targetE1EEEvSK_
                                        ; -- End function
	.set _ZN7rocprim17ROCPRIM_400000_NS6detail17trampoline_kernelINS0_14default_configENS1_22reduce_config_selectorIN6thrust23THRUST_200600_302600_NS5tupleIblNS6_9null_typeES8_S8_S8_S8_S8_S8_S8_EEEEZNS1_11reduce_implILb1ES3_PS9_SC_S9_NS6_11hip_rocprim9__find_if7functorIS9_EEEE10hipError_tPvRmT1_T2_T3_mT4_P12ihipStream_tbEUlT_E0_NS1_11comp_targetILNS1_3genE0ELNS1_11target_archE4294967295ELNS1_3gpuE0ELNS1_3repE0EEENS1_30default_config_static_selectorELNS0_4arch9wavefront6targetE1EEEvSK_.num_vgpr, 13
	.set _ZN7rocprim17ROCPRIM_400000_NS6detail17trampoline_kernelINS0_14default_configENS1_22reduce_config_selectorIN6thrust23THRUST_200600_302600_NS5tupleIblNS6_9null_typeES8_S8_S8_S8_S8_S8_S8_EEEEZNS1_11reduce_implILb1ES3_PS9_SC_S9_NS6_11hip_rocprim9__find_if7functorIS9_EEEE10hipError_tPvRmT1_T2_T3_mT4_P12ihipStream_tbEUlT_E0_NS1_11comp_targetILNS1_3genE0ELNS1_11target_archE4294967295ELNS1_3gpuE0ELNS1_3repE0EEENS1_30default_config_static_selectorELNS0_4arch9wavefront6targetE1EEEvSK_.num_agpr, 0
	.set _ZN7rocprim17ROCPRIM_400000_NS6detail17trampoline_kernelINS0_14default_configENS1_22reduce_config_selectorIN6thrust23THRUST_200600_302600_NS5tupleIblNS6_9null_typeES8_S8_S8_S8_S8_S8_S8_EEEEZNS1_11reduce_implILb1ES3_PS9_SC_S9_NS6_11hip_rocprim9__find_if7functorIS9_EEEE10hipError_tPvRmT1_T2_T3_mT4_P12ihipStream_tbEUlT_E0_NS1_11comp_targetILNS1_3genE0ELNS1_11target_archE4294967295ELNS1_3gpuE0ELNS1_3repE0EEENS1_30default_config_static_selectorELNS0_4arch9wavefront6targetE1EEEvSK_.numbered_sgpr, 24
	.set _ZN7rocprim17ROCPRIM_400000_NS6detail17trampoline_kernelINS0_14default_configENS1_22reduce_config_selectorIN6thrust23THRUST_200600_302600_NS5tupleIblNS6_9null_typeES8_S8_S8_S8_S8_S8_S8_EEEEZNS1_11reduce_implILb1ES3_PS9_SC_S9_NS6_11hip_rocprim9__find_if7functorIS9_EEEE10hipError_tPvRmT1_T2_T3_mT4_P12ihipStream_tbEUlT_E0_NS1_11comp_targetILNS1_3genE0ELNS1_11target_archE4294967295ELNS1_3gpuE0ELNS1_3repE0EEENS1_30default_config_static_selectorELNS0_4arch9wavefront6targetE1EEEvSK_.num_named_barrier, 0
	.set _ZN7rocprim17ROCPRIM_400000_NS6detail17trampoline_kernelINS0_14default_configENS1_22reduce_config_selectorIN6thrust23THRUST_200600_302600_NS5tupleIblNS6_9null_typeES8_S8_S8_S8_S8_S8_S8_EEEEZNS1_11reduce_implILb1ES3_PS9_SC_S9_NS6_11hip_rocprim9__find_if7functorIS9_EEEE10hipError_tPvRmT1_T2_T3_mT4_P12ihipStream_tbEUlT_E0_NS1_11comp_targetILNS1_3genE0ELNS1_11target_archE4294967295ELNS1_3gpuE0ELNS1_3repE0EEENS1_30default_config_static_selectorELNS0_4arch9wavefront6targetE1EEEvSK_.private_seg_size, 0
	.set _ZN7rocprim17ROCPRIM_400000_NS6detail17trampoline_kernelINS0_14default_configENS1_22reduce_config_selectorIN6thrust23THRUST_200600_302600_NS5tupleIblNS6_9null_typeES8_S8_S8_S8_S8_S8_S8_EEEEZNS1_11reduce_implILb1ES3_PS9_SC_S9_NS6_11hip_rocprim9__find_if7functorIS9_EEEE10hipError_tPvRmT1_T2_T3_mT4_P12ihipStream_tbEUlT_E0_NS1_11comp_targetILNS1_3genE0ELNS1_11target_archE4294967295ELNS1_3gpuE0ELNS1_3repE0EEENS1_30default_config_static_selectorELNS0_4arch9wavefront6targetE1EEEvSK_.uses_vcc, 1
	.set _ZN7rocprim17ROCPRIM_400000_NS6detail17trampoline_kernelINS0_14default_configENS1_22reduce_config_selectorIN6thrust23THRUST_200600_302600_NS5tupleIblNS6_9null_typeES8_S8_S8_S8_S8_S8_S8_EEEEZNS1_11reduce_implILb1ES3_PS9_SC_S9_NS6_11hip_rocprim9__find_if7functorIS9_EEEE10hipError_tPvRmT1_T2_T3_mT4_P12ihipStream_tbEUlT_E0_NS1_11comp_targetILNS1_3genE0ELNS1_11target_archE4294967295ELNS1_3gpuE0ELNS1_3repE0EEENS1_30default_config_static_selectorELNS0_4arch9wavefront6targetE1EEEvSK_.uses_flat_scratch, 0
	.set _ZN7rocprim17ROCPRIM_400000_NS6detail17trampoline_kernelINS0_14default_configENS1_22reduce_config_selectorIN6thrust23THRUST_200600_302600_NS5tupleIblNS6_9null_typeES8_S8_S8_S8_S8_S8_S8_EEEEZNS1_11reduce_implILb1ES3_PS9_SC_S9_NS6_11hip_rocprim9__find_if7functorIS9_EEEE10hipError_tPvRmT1_T2_T3_mT4_P12ihipStream_tbEUlT_E0_NS1_11comp_targetILNS1_3genE0ELNS1_11target_archE4294967295ELNS1_3gpuE0ELNS1_3repE0EEENS1_30default_config_static_selectorELNS0_4arch9wavefront6targetE1EEEvSK_.has_dyn_sized_stack, 0
	.set _ZN7rocprim17ROCPRIM_400000_NS6detail17trampoline_kernelINS0_14default_configENS1_22reduce_config_selectorIN6thrust23THRUST_200600_302600_NS5tupleIblNS6_9null_typeES8_S8_S8_S8_S8_S8_S8_EEEEZNS1_11reduce_implILb1ES3_PS9_SC_S9_NS6_11hip_rocprim9__find_if7functorIS9_EEEE10hipError_tPvRmT1_T2_T3_mT4_P12ihipStream_tbEUlT_E0_NS1_11comp_targetILNS1_3genE0ELNS1_11target_archE4294967295ELNS1_3gpuE0ELNS1_3repE0EEENS1_30default_config_static_selectorELNS0_4arch9wavefront6targetE1EEEvSK_.has_recursion, 0
	.set _ZN7rocprim17ROCPRIM_400000_NS6detail17trampoline_kernelINS0_14default_configENS1_22reduce_config_selectorIN6thrust23THRUST_200600_302600_NS5tupleIblNS6_9null_typeES8_S8_S8_S8_S8_S8_S8_EEEEZNS1_11reduce_implILb1ES3_PS9_SC_S9_NS6_11hip_rocprim9__find_if7functorIS9_EEEE10hipError_tPvRmT1_T2_T3_mT4_P12ihipStream_tbEUlT_E0_NS1_11comp_targetILNS1_3genE0ELNS1_11target_archE4294967295ELNS1_3gpuE0ELNS1_3repE0EEENS1_30default_config_static_selectorELNS0_4arch9wavefront6targetE1EEEvSK_.has_indirect_call, 0
	.section	.AMDGPU.csdata,"",@progbits
; Kernel info:
; codeLenInByte = 2776
; TotalNumSgprs: 30
; NumVgprs: 13
; NumAgprs: 0
; TotalNumVgprs: 13
; ScratchSize: 0
; MemoryBound: 0
; FloatMode: 240
; IeeeMode: 1
; LDSByteSize: 64 bytes/workgroup (compile time only)
; SGPRBlocks: 3
; VGPRBlocks: 1
; NumSGPRsForWavesPerEU: 30
; NumVGPRsForWavesPerEU: 13
; AccumOffset: 16
; Occupancy: 8
; WaveLimiterHint : 1
; COMPUTE_PGM_RSRC2:SCRATCH_EN: 0
; COMPUTE_PGM_RSRC2:USER_SGPR: 2
; COMPUTE_PGM_RSRC2:TRAP_HANDLER: 0
; COMPUTE_PGM_RSRC2:TGID_X_EN: 1
; COMPUTE_PGM_RSRC2:TGID_Y_EN: 0
; COMPUTE_PGM_RSRC2:TGID_Z_EN: 0
; COMPUTE_PGM_RSRC2:TIDIG_COMP_CNT: 0
; COMPUTE_PGM_RSRC3_GFX90A:ACCUM_OFFSET: 3
; COMPUTE_PGM_RSRC3_GFX90A:TG_SPLIT: 0
	.section	.text._ZN7rocprim17ROCPRIM_400000_NS6detail17trampoline_kernelINS0_14default_configENS1_22reduce_config_selectorIN6thrust23THRUST_200600_302600_NS5tupleIblNS6_9null_typeES8_S8_S8_S8_S8_S8_S8_EEEEZNS1_11reduce_implILb1ES3_PS9_SC_S9_NS6_11hip_rocprim9__find_if7functorIS9_EEEE10hipError_tPvRmT1_T2_T3_mT4_P12ihipStream_tbEUlT_E0_NS1_11comp_targetILNS1_3genE5ELNS1_11target_archE942ELNS1_3gpuE9ELNS1_3repE0EEENS1_30default_config_static_selectorELNS0_4arch9wavefront6targetE1EEEvSK_,"axG",@progbits,_ZN7rocprim17ROCPRIM_400000_NS6detail17trampoline_kernelINS0_14default_configENS1_22reduce_config_selectorIN6thrust23THRUST_200600_302600_NS5tupleIblNS6_9null_typeES8_S8_S8_S8_S8_S8_S8_EEEEZNS1_11reduce_implILb1ES3_PS9_SC_S9_NS6_11hip_rocprim9__find_if7functorIS9_EEEE10hipError_tPvRmT1_T2_T3_mT4_P12ihipStream_tbEUlT_E0_NS1_11comp_targetILNS1_3genE5ELNS1_11target_archE942ELNS1_3gpuE9ELNS1_3repE0EEENS1_30default_config_static_selectorELNS0_4arch9wavefront6targetE1EEEvSK_,comdat
	.protected	_ZN7rocprim17ROCPRIM_400000_NS6detail17trampoline_kernelINS0_14default_configENS1_22reduce_config_selectorIN6thrust23THRUST_200600_302600_NS5tupleIblNS6_9null_typeES8_S8_S8_S8_S8_S8_S8_EEEEZNS1_11reduce_implILb1ES3_PS9_SC_S9_NS6_11hip_rocprim9__find_if7functorIS9_EEEE10hipError_tPvRmT1_T2_T3_mT4_P12ihipStream_tbEUlT_E0_NS1_11comp_targetILNS1_3genE5ELNS1_11target_archE942ELNS1_3gpuE9ELNS1_3repE0EEENS1_30default_config_static_selectorELNS0_4arch9wavefront6targetE1EEEvSK_ ; -- Begin function _ZN7rocprim17ROCPRIM_400000_NS6detail17trampoline_kernelINS0_14default_configENS1_22reduce_config_selectorIN6thrust23THRUST_200600_302600_NS5tupleIblNS6_9null_typeES8_S8_S8_S8_S8_S8_S8_EEEEZNS1_11reduce_implILb1ES3_PS9_SC_S9_NS6_11hip_rocprim9__find_if7functorIS9_EEEE10hipError_tPvRmT1_T2_T3_mT4_P12ihipStream_tbEUlT_E0_NS1_11comp_targetILNS1_3genE5ELNS1_11target_archE942ELNS1_3gpuE9ELNS1_3repE0EEENS1_30default_config_static_selectorELNS0_4arch9wavefront6targetE1EEEvSK_
	.globl	_ZN7rocprim17ROCPRIM_400000_NS6detail17trampoline_kernelINS0_14default_configENS1_22reduce_config_selectorIN6thrust23THRUST_200600_302600_NS5tupleIblNS6_9null_typeES8_S8_S8_S8_S8_S8_S8_EEEEZNS1_11reduce_implILb1ES3_PS9_SC_S9_NS6_11hip_rocprim9__find_if7functorIS9_EEEE10hipError_tPvRmT1_T2_T3_mT4_P12ihipStream_tbEUlT_E0_NS1_11comp_targetILNS1_3genE5ELNS1_11target_archE942ELNS1_3gpuE9ELNS1_3repE0EEENS1_30default_config_static_selectorELNS0_4arch9wavefront6targetE1EEEvSK_
	.p2align	8
	.type	_ZN7rocprim17ROCPRIM_400000_NS6detail17trampoline_kernelINS0_14default_configENS1_22reduce_config_selectorIN6thrust23THRUST_200600_302600_NS5tupleIblNS6_9null_typeES8_S8_S8_S8_S8_S8_S8_EEEEZNS1_11reduce_implILb1ES3_PS9_SC_S9_NS6_11hip_rocprim9__find_if7functorIS9_EEEE10hipError_tPvRmT1_T2_T3_mT4_P12ihipStream_tbEUlT_E0_NS1_11comp_targetILNS1_3genE5ELNS1_11target_archE942ELNS1_3gpuE9ELNS1_3repE0EEENS1_30default_config_static_selectorELNS0_4arch9wavefront6targetE1EEEvSK_,@function
_ZN7rocprim17ROCPRIM_400000_NS6detail17trampoline_kernelINS0_14default_configENS1_22reduce_config_selectorIN6thrust23THRUST_200600_302600_NS5tupleIblNS6_9null_typeES8_S8_S8_S8_S8_S8_S8_EEEEZNS1_11reduce_implILb1ES3_PS9_SC_S9_NS6_11hip_rocprim9__find_if7functorIS9_EEEE10hipError_tPvRmT1_T2_T3_mT4_P12ihipStream_tbEUlT_E0_NS1_11comp_targetILNS1_3genE5ELNS1_11target_archE942ELNS1_3gpuE9ELNS1_3repE0EEENS1_30default_config_static_selectorELNS0_4arch9wavefront6targetE1EEEvSK_: ; @_ZN7rocprim17ROCPRIM_400000_NS6detail17trampoline_kernelINS0_14default_configENS1_22reduce_config_selectorIN6thrust23THRUST_200600_302600_NS5tupleIblNS6_9null_typeES8_S8_S8_S8_S8_S8_S8_EEEEZNS1_11reduce_implILb1ES3_PS9_SC_S9_NS6_11hip_rocprim9__find_if7functorIS9_EEEE10hipError_tPvRmT1_T2_T3_mT4_P12ihipStream_tbEUlT_E0_NS1_11comp_targetILNS1_3genE5ELNS1_11target_archE942ELNS1_3gpuE9ELNS1_3repE0EEENS1_30default_config_static_selectorELNS0_4arch9wavefront6targetE1EEEvSK_
; %bb.0:
	.section	.rodata,"a",@progbits
	.p2align	6, 0x0
	.amdhsa_kernel _ZN7rocprim17ROCPRIM_400000_NS6detail17trampoline_kernelINS0_14default_configENS1_22reduce_config_selectorIN6thrust23THRUST_200600_302600_NS5tupleIblNS6_9null_typeES8_S8_S8_S8_S8_S8_S8_EEEEZNS1_11reduce_implILb1ES3_PS9_SC_S9_NS6_11hip_rocprim9__find_if7functorIS9_EEEE10hipError_tPvRmT1_T2_T3_mT4_P12ihipStream_tbEUlT_E0_NS1_11comp_targetILNS1_3genE5ELNS1_11target_archE942ELNS1_3gpuE9ELNS1_3repE0EEENS1_30default_config_static_selectorELNS0_4arch9wavefront6targetE1EEEvSK_
		.amdhsa_group_segment_fixed_size 0
		.amdhsa_private_segment_fixed_size 0
		.amdhsa_kernarg_size 72
		.amdhsa_user_sgpr_count 2
		.amdhsa_user_sgpr_dispatch_ptr 0
		.amdhsa_user_sgpr_queue_ptr 0
		.amdhsa_user_sgpr_kernarg_segment_ptr 1
		.amdhsa_user_sgpr_dispatch_id 0
		.amdhsa_user_sgpr_kernarg_preload_length 0
		.amdhsa_user_sgpr_kernarg_preload_offset 0
		.amdhsa_user_sgpr_private_segment_size 0
		.amdhsa_uses_dynamic_stack 0
		.amdhsa_enable_private_segment 0
		.amdhsa_system_sgpr_workgroup_id_x 1
		.amdhsa_system_sgpr_workgroup_id_y 0
		.amdhsa_system_sgpr_workgroup_id_z 0
		.amdhsa_system_sgpr_workgroup_info 0
		.amdhsa_system_vgpr_workitem_id 0
		.amdhsa_next_free_vgpr 1
		.amdhsa_next_free_sgpr 0
		.amdhsa_accum_offset 4
		.amdhsa_reserve_vcc 0
		.amdhsa_float_round_mode_32 0
		.amdhsa_float_round_mode_16_64 0
		.amdhsa_float_denorm_mode_32 3
		.amdhsa_float_denorm_mode_16_64 3
		.amdhsa_dx10_clamp 1
		.amdhsa_ieee_mode 1
		.amdhsa_fp16_overflow 0
		.amdhsa_tg_split 0
		.amdhsa_exception_fp_ieee_invalid_op 0
		.amdhsa_exception_fp_denorm_src 0
		.amdhsa_exception_fp_ieee_div_zero 0
		.amdhsa_exception_fp_ieee_overflow 0
		.amdhsa_exception_fp_ieee_underflow 0
		.amdhsa_exception_fp_ieee_inexact 0
		.amdhsa_exception_int_div_zero 0
	.end_amdhsa_kernel
	.section	.text._ZN7rocprim17ROCPRIM_400000_NS6detail17trampoline_kernelINS0_14default_configENS1_22reduce_config_selectorIN6thrust23THRUST_200600_302600_NS5tupleIblNS6_9null_typeES8_S8_S8_S8_S8_S8_S8_EEEEZNS1_11reduce_implILb1ES3_PS9_SC_S9_NS6_11hip_rocprim9__find_if7functorIS9_EEEE10hipError_tPvRmT1_T2_T3_mT4_P12ihipStream_tbEUlT_E0_NS1_11comp_targetILNS1_3genE5ELNS1_11target_archE942ELNS1_3gpuE9ELNS1_3repE0EEENS1_30default_config_static_selectorELNS0_4arch9wavefront6targetE1EEEvSK_,"axG",@progbits,_ZN7rocprim17ROCPRIM_400000_NS6detail17trampoline_kernelINS0_14default_configENS1_22reduce_config_selectorIN6thrust23THRUST_200600_302600_NS5tupleIblNS6_9null_typeES8_S8_S8_S8_S8_S8_S8_EEEEZNS1_11reduce_implILb1ES3_PS9_SC_S9_NS6_11hip_rocprim9__find_if7functorIS9_EEEE10hipError_tPvRmT1_T2_T3_mT4_P12ihipStream_tbEUlT_E0_NS1_11comp_targetILNS1_3genE5ELNS1_11target_archE942ELNS1_3gpuE9ELNS1_3repE0EEENS1_30default_config_static_selectorELNS0_4arch9wavefront6targetE1EEEvSK_,comdat
.Lfunc_end164:
	.size	_ZN7rocprim17ROCPRIM_400000_NS6detail17trampoline_kernelINS0_14default_configENS1_22reduce_config_selectorIN6thrust23THRUST_200600_302600_NS5tupleIblNS6_9null_typeES8_S8_S8_S8_S8_S8_S8_EEEEZNS1_11reduce_implILb1ES3_PS9_SC_S9_NS6_11hip_rocprim9__find_if7functorIS9_EEEE10hipError_tPvRmT1_T2_T3_mT4_P12ihipStream_tbEUlT_E0_NS1_11comp_targetILNS1_3genE5ELNS1_11target_archE942ELNS1_3gpuE9ELNS1_3repE0EEENS1_30default_config_static_selectorELNS0_4arch9wavefront6targetE1EEEvSK_, .Lfunc_end164-_ZN7rocprim17ROCPRIM_400000_NS6detail17trampoline_kernelINS0_14default_configENS1_22reduce_config_selectorIN6thrust23THRUST_200600_302600_NS5tupleIblNS6_9null_typeES8_S8_S8_S8_S8_S8_S8_EEEEZNS1_11reduce_implILb1ES3_PS9_SC_S9_NS6_11hip_rocprim9__find_if7functorIS9_EEEE10hipError_tPvRmT1_T2_T3_mT4_P12ihipStream_tbEUlT_E0_NS1_11comp_targetILNS1_3genE5ELNS1_11target_archE942ELNS1_3gpuE9ELNS1_3repE0EEENS1_30default_config_static_selectorELNS0_4arch9wavefront6targetE1EEEvSK_
                                        ; -- End function
	.set _ZN7rocprim17ROCPRIM_400000_NS6detail17trampoline_kernelINS0_14default_configENS1_22reduce_config_selectorIN6thrust23THRUST_200600_302600_NS5tupleIblNS6_9null_typeES8_S8_S8_S8_S8_S8_S8_EEEEZNS1_11reduce_implILb1ES3_PS9_SC_S9_NS6_11hip_rocprim9__find_if7functorIS9_EEEE10hipError_tPvRmT1_T2_T3_mT4_P12ihipStream_tbEUlT_E0_NS1_11comp_targetILNS1_3genE5ELNS1_11target_archE942ELNS1_3gpuE9ELNS1_3repE0EEENS1_30default_config_static_selectorELNS0_4arch9wavefront6targetE1EEEvSK_.num_vgpr, 0
	.set _ZN7rocprim17ROCPRIM_400000_NS6detail17trampoline_kernelINS0_14default_configENS1_22reduce_config_selectorIN6thrust23THRUST_200600_302600_NS5tupleIblNS6_9null_typeES8_S8_S8_S8_S8_S8_S8_EEEEZNS1_11reduce_implILb1ES3_PS9_SC_S9_NS6_11hip_rocprim9__find_if7functorIS9_EEEE10hipError_tPvRmT1_T2_T3_mT4_P12ihipStream_tbEUlT_E0_NS1_11comp_targetILNS1_3genE5ELNS1_11target_archE942ELNS1_3gpuE9ELNS1_3repE0EEENS1_30default_config_static_selectorELNS0_4arch9wavefront6targetE1EEEvSK_.num_agpr, 0
	.set _ZN7rocprim17ROCPRIM_400000_NS6detail17trampoline_kernelINS0_14default_configENS1_22reduce_config_selectorIN6thrust23THRUST_200600_302600_NS5tupleIblNS6_9null_typeES8_S8_S8_S8_S8_S8_S8_EEEEZNS1_11reduce_implILb1ES3_PS9_SC_S9_NS6_11hip_rocprim9__find_if7functorIS9_EEEE10hipError_tPvRmT1_T2_T3_mT4_P12ihipStream_tbEUlT_E0_NS1_11comp_targetILNS1_3genE5ELNS1_11target_archE942ELNS1_3gpuE9ELNS1_3repE0EEENS1_30default_config_static_selectorELNS0_4arch9wavefront6targetE1EEEvSK_.numbered_sgpr, 0
	.set _ZN7rocprim17ROCPRIM_400000_NS6detail17trampoline_kernelINS0_14default_configENS1_22reduce_config_selectorIN6thrust23THRUST_200600_302600_NS5tupleIblNS6_9null_typeES8_S8_S8_S8_S8_S8_S8_EEEEZNS1_11reduce_implILb1ES3_PS9_SC_S9_NS6_11hip_rocprim9__find_if7functorIS9_EEEE10hipError_tPvRmT1_T2_T3_mT4_P12ihipStream_tbEUlT_E0_NS1_11comp_targetILNS1_3genE5ELNS1_11target_archE942ELNS1_3gpuE9ELNS1_3repE0EEENS1_30default_config_static_selectorELNS0_4arch9wavefront6targetE1EEEvSK_.num_named_barrier, 0
	.set _ZN7rocprim17ROCPRIM_400000_NS6detail17trampoline_kernelINS0_14default_configENS1_22reduce_config_selectorIN6thrust23THRUST_200600_302600_NS5tupleIblNS6_9null_typeES8_S8_S8_S8_S8_S8_S8_EEEEZNS1_11reduce_implILb1ES3_PS9_SC_S9_NS6_11hip_rocprim9__find_if7functorIS9_EEEE10hipError_tPvRmT1_T2_T3_mT4_P12ihipStream_tbEUlT_E0_NS1_11comp_targetILNS1_3genE5ELNS1_11target_archE942ELNS1_3gpuE9ELNS1_3repE0EEENS1_30default_config_static_selectorELNS0_4arch9wavefront6targetE1EEEvSK_.private_seg_size, 0
	.set _ZN7rocprim17ROCPRIM_400000_NS6detail17trampoline_kernelINS0_14default_configENS1_22reduce_config_selectorIN6thrust23THRUST_200600_302600_NS5tupleIblNS6_9null_typeES8_S8_S8_S8_S8_S8_S8_EEEEZNS1_11reduce_implILb1ES3_PS9_SC_S9_NS6_11hip_rocprim9__find_if7functorIS9_EEEE10hipError_tPvRmT1_T2_T3_mT4_P12ihipStream_tbEUlT_E0_NS1_11comp_targetILNS1_3genE5ELNS1_11target_archE942ELNS1_3gpuE9ELNS1_3repE0EEENS1_30default_config_static_selectorELNS0_4arch9wavefront6targetE1EEEvSK_.uses_vcc, 0
	.set _ZN7rocprim17ROCPRIM_400000_NS6detail17trampoline_kernelINS0_14default_configENS1_22reduce_config_selectorIN6thrust23THRUST_200600_302600_NS5tupleIblNS6_9null_typeES8_S8_S8_S8_S8_S8_S8_EEEEZNS1_11reduce_implILb1ES3_PS9_SC_S9_NS6_11hip_rocprim9__find_if7functorIS9_EEEE10hipError_tPvRmT1_T2_T3_mT4_P12ihipStream_tbEUlT_E0_NS1_11comp_targetILNS1_3genE5ELNS1_11target_archE942ELNS1_3gpuE9ELNS1_3repE0EEENS1_30default_config_static_selectorELNS0_4arch9wavefront6targetE1EEEvSK_.uses_flat_scratch, 0
	.set _ZN7rocprim17ROCPRIM_400000_NS6detail17trampoline_kernelINS0_14default_configENS1_22reduce_config_selectorIN6thrust23THRUST_200600_302600_NS5tupleIblNS6_9null_typeES8_S8_S8_S8_S8_S8_S8_EEEEZNS1_11reduce_implILb1ES3_PS9_SC_S9_NS6_11hip_rocprim9__find_if7functorIS9_EEEE10hipError_tPvRmT1_T2_T3_mT4_P12ihipStream_tbEUlT_E0_NS1_11comp_targetILNS1_3genE5ELNS1_11target_archE942ELNS1_3gpuE9ELNS1_3repE0EEENS1_30default_config_static_selectorELNS0_4arch9wavefront6targetE1EEEvSK_.has_dyn_sized_stack, 0
	.set _ZN7rocprim17ROCPRIM_400000_NS6detail17trampoline_kernelINS0_14default_configENS1_22reduce_config_selectorIN6thrust23THRUST_200600_302600_NS5tupleIblNS6_9null_typeES8_S8_S8_S8_S8_S8_S8_EEEEZNS1_11reduce_implILb1ES3_PS9_SC_S9_NS6_11hip_rocprim9__find_if7functorIS9_EEEE10hipError_tPvRmT1_T2_T3_mT4_P12ihipStream_tbEUlT_E0_NS1_11comp_targetILNS1_3genE5ELNS1_11target_archE942ELNS1_3gpuE9ELNS1_3repE0EEENS1_30default_config_static_selectorELNS0_4arch9wavefront6targetE1EEEvSK_.has_recursion, 0
	.set _ZN7rocprim17ROCPRIM_400000_NS6detail17trampoline_kernelINS0_14default_configENS1_22reduce_config_selectorIN6thrust23THRUST_200600_302600_NS5tupleIblNS6_9null_typeES8_S8_S8_S8_S8_S8_S8_EEEEZNS1_11reduce_implILb1ES3_PS9_SC_S9_NS6_11hip_rocprim9__find_if7functorIS9_EEEE10hipError_tPvRmT1_T2_T3_mT4_P12ihipStream_tbEUlT_E0_NS1_11comp_targetILNS1_3genE5ELNS1_11target_archE942ELNS1_3gpuE9ELNS1_3repE0EEENS1_30default_config_static_selectorELNS0_4arch9wavefront6targetE1EEEvSK_.has_indirect_call, 0
	.section	.AMDGPU.csdata,"",@progbits
; Kernel info:
; codeLenInByte = 0
; TotalNumSgprs: 6
; NumVgprs: 0
; NumAgprs: 0
; TotalNumVgprs: 0
; ScratchSize: 0
; MemoryBound: 0
; FloatMode: 240
; IeeeMode: 1
; LDSByteSize: 0 bytes/workgroup (compile time only)
; SGPRBlocks: 0
; VGPRBlocks: 0
; NumSGPRsForWavesPerEU: 6
; NumVGPRsForWavesPerEU: 1
; AccumOffset: 4
; Occupancy: 8
; WaveLimiterHint : 0
; COMPUTE_PGM_RSRC2:SCRATCH_EN: 0
; COMPUTE_PGM_RSRC2:USER_SGPR: 2
; COMPUTE_PGM_RSRC2:TRAP_HANDLER: 0
; COMPUTE_PGM_RSRC2:TGID_X_EN: 1
; COMPUTE_PGM_RSRC2:TGID_Y_EN: 0
; COMPUTE_PGM_RSRC2:TGID_Z_EN: 0
; COMPUTE_PGM_RSRC2:TIDIG_COMP_CNT: 0
; COMPUTE_PGM_RSRC3_GFX90A:ACCUM_OFFSET: 0
; COMPUTE_PGM_RSRC3_GFX90A:TG_SPLIT: 0
	.section	.text._ZN7rocprim17ROCPRIM_400000_NS6detail17trampoline_kernelINS0_14default_configENS1_22reduce_config_selectorIN6thrust23THRUST_200600_302600_NS5tupleIblNS6_9null_typeES8_S8_S8_S8_S8_S8_S8_EEEEZNS1_11reduce_implILb1ES3_PS9_SC_S9_NS6_11hip_rocprim9__find_if7functorIS9_EEEE10hipError_tPvRmT1_T2_T3_mT4_P12ihipStream_tbEUlT_E0_NS1_11comp_targetILNS1_3genE4ELNS1_11target_archE910ELNS1_3gpuE8ELNS1_3repE0EEENS1_30default_config_static_selectorELNS0_4arch9wavefront6targetE1EEEvSK_,"axG",@progbits,_ZN7rocprim17ROCPRIM_400000_NS6detail17trampoline_kernelINS0_14default_configENS1_22reduce_config_selectorIN6thrust23THRUST_200600_302600_NS5tupleIblNS6_9null_typeES8_S8_S8_S8_S8_S8_S8_EEEEZNS1_11reduce_implILb1ES3_PS9_SC_S9_NS6_11hip_rocprim9__find_if7functorIS9_EEEE10hipError_tPvRmT1_T2_T3_mT4_P12ihipStream_tbEUlT_E0_NS1_11comp_targetILNS1_3genE4ELNS1_11target_archE910ELNS1_3gpuE8ELNS1_3repE0EEENS1_30default_config_static_selectorELNS0_4arch9wavefront6targetE1EEEvSK_,comdat
	.protected	_ZN7rocprim17ROCPRIM_400000_NS6detail17trampoline_kernelINS0_14default_configENS1_22reduce_config_selectorIN6thrust23THRUST_200600_302600_NS5tupleIblNS6_9null_typeES8_S8_S8_S8_S8_S8_S8_EEEEZNS1_11reduce_implILb1ES3_PS9_SC_S9_NS6_11hip_rocprim9__find_if7functorIS9_EEEE10hipError_tPvRmT1_T2_T3_mT4_P12ihipStream_tbEUlT_E0_NS1_11comp_targetILNS1_3genE4ELNS1_11target_archE910ELNS1_3gpuE8ELNS1_3repE0EEENS1_30default_config_static_selectorELNS0_4arch9wavefront6targetE1EEEvSK_ ; -- Begin function _ZN7rocprim17ROCPRIM_400000_NS6detail17trampoline_kernelINS0_14default_configENS1_22reduce_config_selectorIN6thrust23THRUST_200600_302600_NS5tupleIblNS6_9null_typeES8_S8_S8_S8_S8_S8_S8_EEEEZNS1_11reduce_implILb1ES3_PS9_SC_S9_NS6_11hip_rocprim9__find_if7functorIS9_EEEE10hipError_tPvRmT1_T2_T3_mT4_P12ihipStream_tbEUlT_E0_NS1_11comp_targetILNS1_3genE4ELNS1_11target_archE910ELNS1_3gpuE8ELNS1_3repE0EEENS1_30default_config_static_selectorELNS0_4arch9wavefront6targetE1EEEvSK_
	.globl	_ZN7rocprim17ROCPRIM_400000_NS6detail17trampoline_kernelINS0_14default_configENS1_22reduce_config_selectorIN6thrust23THRUST_200600_302600_NS5tupleIblNS6_9null_typeES8_S8_S8_S8_S8_S8_S8_EEEEZNS1_11reduce_implILb1ES3_PS9_SC_S9_NS6_11hip_rocprim9__find_if7functorIS9_EEEE10hipError_tPvRmT1_T2_T3_mT4_P12ihipStream_tbEUlT_E0_NS1_11comp_targetILNS1_3genE4ELNS1_11target_archE910ELNS1_3gpuE8ELNS1_3repE0EEENS1_30default_config_static_selectorELNS0_4arch9wavefront6targetE1EEEvSK_
	.p2align	8
	.type	_ZN7rocprim17ROCPRIM_400000_NS6detail17trampoline_kernelINS0_14default_configENS1_22reduce_config_selectorIN6thrust23THRUST_200600_302600_NS5tupleIblNS6_9null_typeES8_S8_S8_S8_S8_S8_S8_EEEEZNS1_11reduce_implILb1ES3_PS9_SC_S9_NS6_11hip_rocprim9__find_if7functorIS9_EEEE10hipError_tPvRmT1_T2_T3_mT4_P12ihipStream_tbEUlT_E0_NS1_11comp_targetILNS1_3genE4ELNS1_11target_archE910ELNS1_3gpuE8ELNS1_3repE0EEENS1_30default_config_static_selectorELNS0_4arch9wavefront6targetE1EEEvSK_,@function
_ZN7rocprim17ROCPRIM_400000_NS6detail17trampoline_kernelINS0_14default_configENS1_22reduce_config_selectorIN6thrust23THRUST_200600_302600_NS5tupleIblNS6_9null_typeES8_S8_S8_S8_S8_S8_S8_EEEEZNS1_11reduce_implILb1ES3_PS9_SC_S9_NS6_11hip_rocprim9__find_if7functorIS9_EEEE10hipError_tPvRmT1_T2_T3_mT4_P12ihipStream_tbEUlT_E0_NS1_11comp_targetILNS1_3genE4ELNS1_11target_archE910ELNS1_3gpuE8ELNS1_3repE0EEENS1_30default_config_static_selectorELNS0_4arch9wavefront6targetE1EEEvSK_: ; @_ZN7rocprim17ROCPRIM_400000_NS6detail17trampoline_kernelINS0_14default_configENS1_22reduce_config_selectorIN6thrust23THRUST_200600_302600_NS5tupleIblNS6_9null_typeES8_S8_S8_S8_S8_S8_S8_EEEEZNS1_11reduce_implILb1ES3_PS9_SC_S9_NS6_11hip_rocprim9__find_if7functorIS9_EEEE10hipError_tPvRmT1_T2_T3_mT4_P12ihipStream_tbEUlT_E0_NS1_11comp_targetILNS1_3genE4ELNS1_11target_archE910ELNS1_3gpuE8ELNS1_3repE0EEENS1_30default_config_static_selectorELNS0_4arch9wavefront6targetE1EEEvSK_
; %bb.0:
	.section	.rodata,"a",@progbits
	.p2align	6, 0x0
	.amdhsa_kernel _ZN7rocprim17ROCPRIM_400000_NS6detail17trampoline_kernelINS0_14default_configENS1_22reduce_config_selectorIN6thrust23THRUST_200600_302600_NS5tupleIblNS6_9null_typeES8_S8_S8_S8_S8_S8_S8_EEEEZNS1_11reduce_implILb1ES3_PS9_SC_S9_NS6_11hip_rocprim9__find_if7functorIS9_EEEE10hipError_tPvRmT1_T2_T3_mT4_P12ihipStream_tbEUlT_E0_NS1_11comp_targetILNS1_3genE4ELNS1_11target_archE910ELNS1_3gpuE8ELNS1_3repE0EEENS1_30default_config_static_selectorELNS0_4arch9wavefront6targetE1EEEvSK_
		.amdhsa_group_segment_fixed_size 0
		.amdhsa_private_segment_fixed_size 0
		.amdhsa_kernarg_size 72
		.amdhsa_user_sgpr_count 2
		.amdhsa_user_sgpr_dispatch_ptr 0
		.amdhsa_user_sgpr_queue_ptr 0
		.amdhsa_user_sgpr_kernarg_segment_ptr 1
		.amdhsa_user_sgpr_dispatch_id 0
		.amdhsa_user_sgpr_kernarg_preload_length 0
		.amdhsa_user_sgpr_kernarg_preload_offset 0
		.amdhsa_user_sgpr_private_segment_size 0
		.amdhsa_uses_dynamic_stack 0
		.amdhsa_enable_private_segment 0
		.amdhsa_system_sgpr_workgroup_id_x 1
		.amdhsa_system_sgpr_workgroup_id_y 0
		.amdhsa_system_sgpr_workgroup_id_z 0
		.amdhsa_system_sgpr_workgroup_info 0
		.amdhsa_system_vgpr_workitem_id 0
		.amdhsa_next_free_vgpr 1
		.amdhsa_next_free_sgpr 0
		.amdhsa_accum_offset 4
		.amdhsa_reserve_vcc 0
		.amdhsa_float_round_mode_32 0
		.amdhsa_float_round_mode_16_64 0
		.amdhsa_float_denorm_mode_32 3
		.amdhsa_float_denorm_mode_16_64 3
		.amdhsa_dx10_clamp 1
		.amdhsa_ieee_mode 1
		.amdhsa_fp16_overflow 0
		.amdhsa_tg_split 0
		.amdhsa_exception_fp_ieee_invalid_op 0
		.amdhsa_exception_fp_denorm_src 0
		.amdhsa_exception_fp_ieee_div_zero 0
		.amdhsa_exception_fp_ieee_overflow 0
		.amdhsa_exception_fp_ieee_underflow 0
		.amdhsa_exception_fp_ieee_inexact 0
		.amdhsa_exception_int_div_zero 0
	.end_amdhsa_kernel
	.section	.text._ZN7rocprim17ROCPRIM_400000_NS6detail17trampoline_kernelINS0_14default_configENS1_22reduce_config_selectorIN6thrust23THRUST_200600_302600_NS5tupleIblNS6_9null_typeES8_S8_S8_S8_S8_S8_S8_EEEEZNS1_11reduce_implILb1ES3_PS9_SC_S9_NS6_11hip_rocprim9__find_if7functorIS9_EEEE10hipError_tPvRmT1_T2_T3_mT4_P12ihipStream_tbEUlT_E0_NS1_11comp_targetILNS1_3genE4ELNS1_11target_archE910ELNS1_3gpuE8ELNS1_3repE0EEENS1_30default_config_static_selectorELNS0_4arch9wavefront6targetE1EEEvSK_,"axG",@progbits,_ZN7rocprim17ROCPRIM_400000_NS6detail17trampoline_kernelINS0_14default_configENS1_22reduce_config_selectorIN6thrust23THRUST_200600_302600_NS5tupleIblNS6_9null_typeES8_S8_S8_S8_S8_S8_S8_EEEEZNS1_11reduce_implILb1ES3_PS9_SC_S9_NS6_11hip_rocprim9__find_if7functorIS9_EEEE10hipError_tPvRmT1_T2_T3_mT4_P12ihipStream_tbEUlT_E0_NS1_11comp_targetILNS1_3genE4ELNS1_11target_archE910ELNS1_3gpuE8ELNS1_3repE0EEENS1_30default_config_static_selectorELNS0_4arch9wavefront6targetE1EEEvSK_,comdat
.Lfunc_end165:
	.size	_ZN7rocprim17ROCPRIM_400000_NS6detail17trampoline_kernelINS0_14default_configENS1_22reduce_config_selectorIN6thrust23THRUST_200600_302600_NS5tupleIblNS6_9null_typeES8_S8_S8_S8_S8_S8_S8_EEEEZNS1_11reduce_implILb1ES3_PS9_SC_S9_NS6_11hip_rocprim9__find_if7functorIS9_EEEE10hipError_tPvRmT1_T2_T3_mT4_P12ihipStream_tbEUlT_E0_NS1_11comp_targetILNS1_3genE4ELNS1_11target_archE910ELNS1_3gpuE8ELNS1_3repE0EEENS1_30default_config_static_selectorELNS0_4arch9wavefront6targetE1EEEvSK_, .Lfunc_end165-_ZN7rocprim17ROCPRIM_400000_NS6detail17trampoline_kernelINS0_14default_configENS1_22reduce_config_selectorIN6thrust23THRUST_200600_302600_NS5tupleIblNS6_9null_typeES8_S8_S8_S8_S8_S8_S8_EEEEZNS1_11reduce_implILb1ES3_PS9_SC_S9_NS6_11hip_rocprim9__find_if7functorIS9_EEEE10hipError_tPvRmT1_T2_T3_mT4_P12ihipStream_tbEUlT_E0_NS1_11comp_targetILNS1_3genE4ELNS1_11target_archE910ELNS1_3gpuE8ELNS1_3repE0EEENS1_30default_config_static_selectorELNS0_4arch9wavefront6targetE1EEEvSK_
                                        ; -- End function
	.set _ZN7rocprim17ROCPRIM_400000_NS6detail17trampoline_kernelINS0_14default_configENS1_22reduce_config_selectorIN6thrust23THRUST_200600_302600_NS5tupleIblNS6_9null_typeES8_S8_S8_S8_S8_S8_S8_EEEEZNS1_11reduce_implILb1ES3_PS9_SC_S9_NS6_11hip_rocprim9__find_if7functorIS9_EEEE10hipError_tPvRmT1_T2_T3_mT4_P12ihipStream_tbEUlT_E0_NS1_11comp_targetILNS1_3genE4ELNS1_11target_archE910ELNS1_3gpuE8ELNS1_3repE0EEENS1_30default_config_static_selectorELNS0_4arch9wavefront6targetE1EEEvSK_.num_vgpr, 0
	.set _ZN7rocprim17ROCPRIM_400000_NS6detail17trampoline_kernelINS0_14default_configENS1_22reduce_config_selectorIN6thrust23THRUST_200600_302600_NS5tupleIblNS6_9null_typeES8_S8_S8_S8_S8_S8_S8_EEEEZNS1_11reduce_implILb1ES3_PS9_SC_S9_NS6_11hip_rocprim9__find_if7functorIS9_EEEE10hipError_tPvRmT1_T2_T3_mT4_P12ihipStream_tbEUlT_E0_NS1_11comp_targetILNS1_3genE4ELNS1_11target_archE910ELNS1_3gpuE8ELNS1_3repE0EEENS1_30default_config_static_selectorELNS0_4arch9wavefront6targetE1EEEvSK_.num_agpr, 0
	.set _ZN7rocprim17ROCPRIM_400000_NS6detail17trampoline_kernelINS0_14default_configENS1_22reduce_config_selectorIN6thrust23THRUST_200600_302600_NS5tupleIblNS6_9null_typeES8_S8_S8_S8_S8_S8_S8_EEEEZNS1_11reduce_implILb1ES3_PS9_SC_S9_NS6_11hip_rocprim9__find_if7functorIS9_EEEE10hipError_tPvRmT1_T2_T3_mT4_P12ihipStream_tbEUlT_E0_NS1_11comp_targetILNS1_3genE4ELNS1_11target_archE910ELNS1_3gpuE8ELNS1_3repE0EEENS1_30default_config_static_selectorELNS0_4arch9wavefront6targetE1EEEvSK_.numbered_sgpr, 0
	.set _ZN7rocprim17ROCPRIM_400000_NS6detail17trampoline_kernelINS0_14default_configENS1_22reduce_config_selectorIN6thrust23THRUST_200600_302600_NS5tupleIblNS6_9null_typeES8_S8_S8_S8_S8_S8_S8_EEEEZNS1_11reduce_implILb1ES3_PS9_SC_S9_NS6_11hip_rocprim9__find_if7functorIS9_EEEE10hipError_tPvRmT1_T2_T3_mT4_P12ihipStream_tbEUlT_E0_NS1_11comp_targetILNS1_3genE4ELNS1_11target_archE910ELNS1_3gpuE8ELNS1_3repE0EEENS1_30default_config_static_selectorELNS0_4arch9wavefront6targetE1EEEvSK_.num_named_barrier, 0
	.set _ZN7rocprim17ROCPRIM_400000_NS6detail17trampoline_kernelINS0_14default_configENS1_22reduce_config_selectorIN6thrust23THRUST_200600_302600_NS5tupleIblNS6_9null_typeES8_S8_S8_S8_S8_S8_S8_EEEEZNS1_11reduce_implILb1ES3_PS9_SC_S9_NS6_11hip_rocprim9__find_if7functorIS9_EEEE10hipError_tPvRmT1_T2_T3_mT4_P12ihipStream_tbEUlT_E0_NS1_11comp_targetILNS1_3genE4ELNS1_11target_archE910ELNS1_3gpuE8ELNS1_3repE0EEENS1_30default_config_static_selectorELNS0_4arch9wavefront6targetE1EEEvSK_.private_seg_size, 0
	.set _ZN7rocprim17ROCPRIM_400000_NS6detail17trampoline_kernelINS0_14default_configENS1_22reduce_config_selectorIN6thrust23THRUST_200600_302600_NS5tupleIblNS6_9null_typeES8_S8_S8_S8_S8_S8_S8_EEEEZNS1_11reduce_implILb1ES3_PS9_SC_S9_NS6_11hip_rocprim9__find_if7functorIS9_EEEE10hipError_tPvRmT1_T2_T3_mT4_P12ihipStream_tbEUlT_E0_NS1_11comp_targetILNS1_3genE4ELNS1_11target_archE910ELNS1_3gpuE8ELNS1_3repE0EEENS1_30default_config_static_selectorELNS0_4arch9wavefront6targetE1EEEvSK_.uses_vcc, 0
	.set _ZN7rocprim17ROCPRIM_400000_NS6detail17trampoline_kernelINS0_14default_configENS1_22reduce_config_selectorIN6thrust23THRUST_200600_302600_NS5tupleIblNS6_9null_typeES8_S8_S8_S8_S8_S8_S8_EEEEZNS1_11reduce_implILb1ES3_PS9_SC_S9_NS6_11hip_rocprim9__find_if7functorIS9_EEEE10hipError_tPvRmT1_T2_T3_mT4_P12ihipStream_tbEUlT_E0_NS1_11comp_targetILNS1_3genE4ELNS1_11target_archE910ELNS1_3gpuE8ELNS1_3repE0EEENS1_30default_config_static_selectorELNS0_4arch9wavefront6targetE1EEEvSK_.uses_flat_scratch, 0
	.set _ZN7rocprim17ROCPRIM_400000_NS6detail17trampoline_kernelINS0_14default_configENS1_22reduce_config_selectorIN6thrust23THRUST_200600_302600_NS5tupleIblNS6_9null_typeES8_S8_S8_S8_S8_S8_S8_EEEEZNS1_11reduce_implILb1ES3_PS9_SC_S9_NS6_11hip_rocprim9__find_if7functorIS9_EEEE10hipError_tPvRmT1_T2_T3_mT4_P12ihipStream_tbEUlT_E0_NS1_11comp_targetILNS1_3genE4ELNS1_11target_archE910ELNS1_3gpuE8ELNS1_3repE0EEENS1_30default_config_static_selectorELNS0_4arch9wavefront6targetE1EEEvSK_.has_dyn_sized_stack, 0
	.set _ZN7rocprim17ROCPRIM_400000_NS6detail17trampoline_kernelINS0_14default_configENS1_22reduce_config_selectorIN6thrust23THRUST_200600_302600_NS5tupleIblNS6_9null_typeES8_S8_S8_S8_S8_S8_S8_EEEEZNS1_11reduce_implILb1ES3_PS9_SC_S9_NS6_11hip_rocprim9__find_if7functorIS9_EEEE10hipError_tPvRmT1_T2_T3_mT4_P12ihipStream_tbEUlT_E0_NS1_11comp_targetILNS1_3genE4ELNS1_11target_archE910ELNS1_3gpuE8ELNS1_3repE0EEENS1_30default_config_static_selectorELNS0_4arch9wavefront6targetE1EEEvSK_.has_recursion, 0
	.set _ZN7rocprim17ROCPRIM_400000_NS6detail17trampoline_kernelINS0_14default_configENS1_22reduce_config_selectorIN6thrust23THRUST_200600_302600_NS5tupleIblNS6_9null_typeES8_S8_S8_S8_S8_S8_S8_EEEEZNS1_11reduce_implILb1ES3_PS9_SC_S9_NS6_11hip_rocprim9__find_if7functorIS9_EEEE10hipError_tPvRmT1_T2_T3_mT4_P12ihipStream_tbEUlT_E0_NS1_11comp_targetILNS1_3genE4ELNS1_11target_archE910ELNS1_3gpuE8ELNS1_3repE0EEENS1_30default_config_static_selectorELNS0_4arch9wavefront6targetE1EEEvSK_.has_indirect_call, 0
	.section	.AMDGPU.csdata,"",@progbits
; Kernel info:
; codeLenInByte = 0
; TotalNumSgprs: 6
; NumVgprs: 0
; NumAgprs: 0
; TotalNumVgprs: 0
; ScratchSize: 0
; MemoryBound: 0
; FloatMode: 240
; IeeeMode: 1
; LDSByteSize: 0 bytes/workgroup (compile time only)
; SGPRBlocks: 0
; VGPRBlocks: 0
; NumSGPRsForWavesPerEU: 6
; NumVGPRsForWavesPerEU: 1
; AccumOffset: 4
; Occupancy: 8
; WaveLimiterHint : 0
; COMPUTE_PGM_RSRC2:SCRATCH_EN: 0
; COMPUTE_PGM_RSRC2:USER_SGPR: 2
; COMPUTE_PGM_RSRC2:TRAP_HANDLER: 0
; COMPUTE_PGM_RSRC2:TGID_X_EN: 1
; COMPUTE_PGM_RSRC2:TGID_Y_EN: 0
; COMPUTE_PGM_RSRC2:TGID_Z_EN: 0
; COMPUTE_PGM_RSRC2:TIDIG_COMP_CNT: 0
; COMPUTE_PGM_RSRC3_GFX90A:ACCUM_OFFSET: 0
; COMPUTE_PGM_RSRC3_GFX90A:TG_SPLIT: 0
	.section	.text._ZN7rocprim17ROCPRIM_400000_NS6detail17trampoline_kernelINS0_14default_configENS1_22reduce_config_selectorIN6thrust23THRUST_200600_302600_NS5tupleIblNS6_9null_typeES8_S8_S8_S8_S8_S8_S8_EEEEZNS1_11reduce_implILb1ES3_PS9_SC_S9_NS6_11hip_rocprim9__find_if7functorIS9_EEEE10hipError_tPvRmT1_T2_T3_mT4_P12ihipStream_tbEUlT_E0_NS1_11comp_targetILNS1_3genE3ELNS1_11target_archE908ELNS1_3gpuE7ELNS1_3repE0EEENS1_30default_config_static_selectorELNS0_4arch9wavefront6targetE1EEEvSK_,"axG",@progbits,_ZN7rocprim17ROCPRIM_400000_NS6detail17trampoline_kernelINS0_14default_configENS1_22reduce_config_selectorIN6thrust23THRUST_200600_302600_NS5tupleIblNS6_9null_typeES8_S8_S8_S8_S8_S8_S8_EEEEZNS1_11reduce_implILb1ES3_PS9_SC_S9_NS6_11hip_rocprim9__find_if7functorIS9_EEEE10hipError_tPvRmT1_T2_T3_mT4_P12ihipStream_tbEUlT_E0_NS1_11comp_targetILNS1_3genE3ELNS1_11target_archE908ELNS1_3gpuE7ELNS1_3repE0EEENS1_30default_config_static_selectorELNS0_4arch9wavefront6targetE1EEEvSK_,comdat
	.protected	_ZN7rocprim17ROCPRIM_400000_NS6detail17trampoline_kernelINS0_14default_configENS1_22reduce_config_selectorIN6thrust23THRUST_200600_302600_NS5tupleIblNS6_9null_typeES8_S8_S8_S8_S8_S8_S8_EEEEZNS1_11reduce_implILb1ES3_PS9_SC_S9_NS6_11hip_rocprim9__find_if7functorIS9_EEEE10hipError_tPvRmT1_T2_T3_mT4_P12ihipStream_tbEUlT_E0_NS1_11comp_targetILNS1_3genE3ELNS1_11target_archE908ELNS1_3gpuE7ELNS1_3repE0EEENS1_30default_config_static_selectorELNS0_4arch9wavefront6targetE1EEEvSK_ ; -- Begin function _ZN7rocprim17ROCPRIM_400000_NS6detail17trampoline_kernelINS0_14default_configENS1_22reduce_config_selectorIN6thrust23THRUST_200600_302600_NS5tupleIblNS6_9null_typeES8_S8_S8_S8_S8_S8_S8_EEEEZNS1_11reduce_implILb1ES3_PS9_SC_S9_NS6_11hip_rocprim9__find_if7functorIS9_EEEE10hipError_tPvRmT1_T2_T3_mT4_P12ihipStream_tbEUlT_E0_NS1_11comp_targetILNS1_3genE3ELNS1_11target_archE908ELNS1_3gpuE7ELNS1_3repE0EEENS1_30default_config_static_selectorELNS0_4arch9wavefront6targetE1EEEvSK_
	.globl	_ZN7rocprim17ROCPRIM_400000_NS6detail17trampoline_kernelINS0_14default_configENS1_22reduce_config_selectorIN6thrust23THRUST_200600_302600_NS5tupleIblNS6_9null_typeES8_S8_S8_S8_S8_S8_S8_EEEEZNS1_11reduce_implILb1ES3_PS9_SC_S9_NS6_11hip_rocprim9__find_if7functorIS9_EEEE10hipError_tPvRmT1_T2_T3_mT4_P12ihipStream_tbEUlT_E0_NS1_11comp_targetILNS1_3genE3ELNS1_11target_archE908ELNS1_3gpuE7ELNS1_3repE0EEENS1_30default_config_static_selectorELNS0_4arch9wavefront6targetE1EEEvSK_
	.p2align	8
	.type	_ZN7rocprim17ROCPRIM_400000_NS6detail17trampoline_kernelINS0_14default_configENS1_22reduce_config_selectorIN6thrust23THRUST_200600_302600_NS5tupleIblNS6_9null_typeES8_S8_S8_S8_S8_S8_S8_EEEEZNS1_11reduce_implILb1ES3_PS9_SC_S9_NS6_11hip_rocprim9__find_if7functorIS9_EEEE10hipError_tPvRmT1_T2_T3_mT4_P12ihipStream_tbEUlT_E0_NS1_11comp_targetILNS1_3genE3ELNS1_11target_archE908ELNS1_3gpuE7ELNS1_3repE0EEENS1_30default_config_static_selectorELNS0_4arch9wavefront6targetE1EEEvSK_,@function
_ZN7rocprim17ROCPRIM_400000_NS6detail17trampoline_kernelINS0_14default_configENS1_22reduce_config_selectorIN6thrust23THRUST_200600_302600_NS5tupleIblNS6_9null_typeES8_S8_S8_S8_S8_S8_S8_EEEEZNS1_11reduce_implILb1ES3_PS9_SC_S9_NS6_11hip_rocprim9__find_if7functorIS9_EEEE10hipError_tPvRmT1_T2_T3_mT4_P12ihipStream_tbEUlT_E0_NS1_11comp_targetILNS1_3genE3ELNS1_11target_archE908ELNS1_3gpuE7ELNS1_3repE0EEENS1_30default_config_static_selectorELNS0_4arch9wavefront6targetE1EEEvSK_: ; @_ZN7rocprim17ROCPRIM_400000_NS6detail17trampoline_kernelINS0_14default_configENS1_22reduce_config_selectorIN6thrust23THRUST_200600_302600_NS5tupleIblNS6_9null_typeES8_S8_S8_S8_S8_S8_S8_EEEEZNS1_11reduce_implILb1ES3_PS9_SC_S9_NS6_11hip_rocprim9__find_if7functorIS9_EEEE10hipError_tPvRmT1_T2_T3_mT4_P12ihipStream_tbEUlT_E0_NS1_11comp_targetILNS1_3genE3ELNS1_11target_archE908ELNS1_3gpuE7ELNS1_3repE0EEENS1_30default_config_static_selectorELNS0_4arch9wavefront6targetE1EEEvSK_
; %bb.0:
	.section	.rodata,"a",@progbits
	.p2align	6, 0x0
	.amdhsa_kernel _ZN7rocprim17ROCPRIM_400000_NS6detail17trampoline_kernelINS0_14default_configENS1_22reduce_config_selectorIN6thrust23THRUST_200600_302600_NS5tupleIblNS6_9null_typeES8_S8_S8_S8_S8_S8_S8_EEEEZNS1_11reduce_implILb1ES3_PS9_SC_S9_NS6_11hip_rocprim9__find_if7functorIS9_EEEE10hipError_tPvRmT1_T2_T3_mT4_P12ihipStream_tbEUlT_E0_NS1_11comp_targetILNS1_3genE3ELNS1_11target_archE908ELNS1_3gpuE7ELNS1_3repE0EEENS1_30default_config_static_selectorELNS0_4arch9wavefront6targetE1EEEvSK_
		.amdhsa_group_segment_fixed_size 0
		.amdhsa_private_segment_fixed_size 0
		.amdhsa_kernarg_size 72
		.amdhsa_user_sgpr_count 2
		.amdhsa_user_sgpr_dispatch_ptr 0
		.amdhsa_user_sgpr_queue_ptr 0
		.amdhsa_user_sgpr_kernarg_segment_ptr 1
		.amdhsa_user_sgpr_dispatch_id 0
		.amdhsa_user_sgpr_kernarg_preload_length 0
		.amdhsa_user_sgpr_kernarg_preload_offset 0
		.amdhsa_user_sgpr_private_segment_size 0
		.amdhsa_uses_dynamic_stack 0
		.amdhsa_enable_private_segment 0
		.amdhsa_system_sgpr_workgroup_id_x 1
		.amdhsa_system_sgpr_workgroup_id_y 0
		.amdhsa_system_sgpr_workgroup_id_z 0
		.amdhsa_system_sgpr_workgroup_info 0
		.amdhsa_system_vgpr_workitem_id 0
		.amdhsa_next_free_vgpr 1
		.amdhsa_next_free_sgpr 0
		.amdhsa_accum_offset 4
		.amdhsa_reserve_vcc 0
		.amdhsa_float_round_mode_32 0
		.amdhsa_float_round_mode_16_64 0
		.amdhsa_float_denorm_mode_32 3
		.amdhsa_float_denorm_mode_16_64 3
		.amdhsa_dx10_clamp 1
		.amdhsa_ieee_mode 1
		.amdhsa_fp16_overflow 0
		.amdhsa_tg_split 0
		.amdhsa_exception_fp_ieee_invalid_op 0
		.amdhsa_exception_fp_denorm_src 0
		.amdhsa_exception_fp_ieee_div_zero 0
		.amdhsa_exception_fp_ieee_overflow 0
		.amdhsa_exception_fp_ieee_underflow 0
		.amdhsa_exception_fp_ieee_inexact 0
		.amdhsa_exception_int_div_zero 0
	.end_amdhsa_kernel
	.section	.text._ZN7rocprim17ROCPRIM_400000_NS6detail17trampoline_kernelINS0_14default_configENS1_22reduce_config_selectorIN6thrust23THRUST_200600_302600_NS5tupleIblNS6_9null_typeES8_S8_S8_S8_S8_S8_S8_EEEEZNS1_11reduce_implILb1ES3_PS9_SC_S9_NS6_11hip_rocprim9__find_if7functorIS9_EEEE10hipError_tPvRmT1_T2_T3_mT4_P12ihipStream_tbEUlT_E0_NS1_11comp_targetILNS1_3genE3ELNS1_11target_archE908ELNS1_3gpuE7ELNS1_3repE0EEENS1_30default_config_static_selectorELNS0_4arch9wavefront6targetE1EEEvSK_,"axG",@progbits,_ZN7rocprim17ROCPRIM_400000_NS6detail17trampoline_kernelINS0_14default_configENS1_22reduce_config_selectorIN6thrust23THRUST_200600_302600_NS5tupleIblNS6_9null_typeES8_S8_S8_S8_S8_S8_S8_EEEEZNS1_11reduce_implILb1ES3_PS9_SC_S9_NS6_11hip_rocprim9__find_if7functorIS9_EEEE10hipError_tPvRmT1_T2_T3_mT4_P12ihipStream_tbEUlT_E0_NS1_11comp_targetILNS1_3genE3ELNS1_11target_archE908ELNS1_3gpuE7ELNS1_3repE0EEENS1_30default_config_static_selectorELNS0_4arch9wavefront6targetE1EEEvSK_,comdat
.Lfunc_end166:
	.size	_ZN7rocprim17ROCPRIM_400000_NS6detail17trampoline_kernelINS0_14default_configENS1_22reduce_config_selectorIN6thrust23THRUST_200600_302600_NS5tupleIblNS6_9null_typeES8_S8_S8_S8_S8_S8_S8_EEEEZNS1_11reduce_implILb1ES3_PS9_SC_S9_NS6_11hip_rocprim9__find_if7functorIS9_EEEE10hipError_tPvRmT1_T2_T3_mT4_P12ihipStream_tbEUlT_E0_NS1_11comp_targetILNS1_3genE3ELNS1_11target_archE908ELNS1_3gpuE7ELNS1_3repE0EEENS1_30default_config_static_selectorELNS0_4arch9wavefront6targetE1EEEvSK_, .Lfunc_end166-_ZN7rocprim17ROCPRIM_400000_NS6detail17trampoline_kernelINS0_14default_configENS1_22reduce_config_selectorIN6thrust23THRUST_200600_302600_NS5tupleIblNS6_9null_typeES8_S8_S8_S8_S8_S8_S8_EEEEZNS1_11reduce_implILb1ES3_PS9_SC_S9_NS6_11hip_rocprim9__find_if7functorIS9_EEEE10hipError_tPvRmT1_T2_T3_mT4_P12ihipStream_tbEUlT_E0_NS1_11comp_targetILNS1_3genE3ELNS1_11target_archE908ELNS1_3gpuE7ELNS1_3repE0EEENS1_30default_config_static_selectorELNS0_4arch9wavefront6targetE1EEEvSK_
                                        ; -- End function
	.set _ZN7rocprim17ROCPRIM_400000_NS6detail17trampoline_kernelINS0_14default_configENS1_22reduce_config_selectorIN6thrust23THRUST_200600_302600_NS5tupleIblNS6_9null_typeES8_S8_S8_S8_S8_S8_S8_EEEEZNS1_11reduce_implILb1ES3_PS9_SC_S9_NS6_11hip_rocprim9__find_if7functorIS9_EEEE10hipError_tPvRmT1_T2_T3_mT4_P12ihipStream_tbEUlT_E0_NS1_11comp_targetILNS1_3genE3ELNS1_11target_archE908ELNS1_3gpuE7ELNS1_3repE0EEENS1_30default_config_static_selectorELNS0_4arch9wavefront6targetE1EEEvSK_.num_vgpr, 0
	.set _ZN7rocprim17ROCPRIM_400000_NS6detail17trampoline_kernelINS0_14default_configENS1_22reduce_config_selectorIN6thrust23THRUST_200600_302600_NS5tupleIblNS6_9null_typeES8_S8_S8_S8_S8_S8_S8_EEEEZNS1_11reduce_implILb1ES3_PS9_SC_S9_NS6_11hip_rocprim9__find_if7functorIS9_EEEE10hipError_tPvRmT1_T2_T3_mT4_P12ihipStream_tbEUlT_E0_NS1_11comp_targetILNS1_3genE3ELNS1_11target_archE908ELNS1_3gpuE7ELNS1_3repE0EEENS1_30default_config_static_selectorELNS0_4arch9wavefront6targetE1EEEvSK_.num_agpr, 0
	.set _ZN7rocprim17ROCPRIM_400000_NS6detail17trampoline_kernelINS0_14default_configENS1_22reduce_config_selectorIN6thrust23THRUST_200600_302600_NS5tupleIblNS6_9null_typeES8_S8_S8_S8_S8_S8_S8_EEEEZNS1_11reduce_implILb1ES3_PS9_SC_S9_NS6_11hip_rocprim9__find_if7functorIS9_EEEE10hipError_tPvRmT1_T2_T3_mT4_P12ihipStream_tbEUlT_E0_NS1_11comp_targetILNS1_3genE3ELNS1_11target_archE908ELNS1_3gpuE7ELNS1_3repE0EEENS1_30default_config_static_selectorELNS0_4arch9wavefront6targetE1EEEvSK_.numbered_sgpr, 0
	.set _ZN7rocprim17ROCPRIM_400000_NS6detail17trampoline_kernelINS0_14default_configENS1_22reduce_config_selectorIN6thrust23THRUST_200600_302600_NS5tupleIblNS6_9null_typeES8_S8_S8_S8_S8_S8_S8_EEEEZNS1_11reduce_implILb1ES3_PS9_SC_S9_NS6_11hip_rocprim9__find_if7functorIS9_EEEE10hipError_tPvRmT1_T2_T3_mT4_P12ihipStream_tbEUlT_E0_NS1_11comp_targetILNS1_3genE3ELNS1_11target_archE908ELNS1_3gpuE7ELNS1_3repE0EEENS1_30default_config_static_selectorELNS0_4arch9wavefront6targetE1EEEvSK_.num_named_barrier, 0
	.set _ZN7rocprim17ROCPRIM_400000_NS6detail17trampoline_kernelINS0_14default_configENS1_22reduce_config_selectorIN6thrust23THRUST_200600_302600_NS5tupleIblNS6_9null_typeES8_S8_S8_S8_S8_S8_S8_EEEEZNS1_11reduce_implILb1ES3_PS9_SC_S9_NS6_11hip_rocprim9__find_if7functorIS9_EEEE10hipError_tPvRmT1_T2_T3_mT4_P12ihipStream_tbEUlT_E0_NS1_11comp_targetILNS1_3genE3ELNS1_11target_archE908ELNS1_3gpuE7ELNS1_3repE0EEENS1_30default_config_static_selectorELNS0_4arch9wavefront6targetE1EEEvSK_.private_seg_size, 0
	.set _ZN7rocprim17ROCPRIM_400000_NS6detail17trampoline_kernelINS0_14default_configENS1_22reduce_config_selectorIN6thrust23THRUST_200600_302600_NS5tupleIblNS6_9null_typeES8_S8_S8_S8_S8_S8_S8_EEEEZNS1_11reduce_implILb1ES3_PS9_SC_S9_NS6_11hip_rocprim9__find_if7functorIS9_EEEE10hipError_tPvRmT1_T2_T3_mT4_P12ihipStream_tbEUlT_E0_NS1_11comp_targetILNS1_3genE3ELNS1_11target_archE908ELNS1_3gpuE7ELNS1_3repE0EEENS1_30default_config_static_selectorELNS0_4arch9wavefront6targetE1EEEvSK_.uses_vcc, 0
	.set _ZN7rocprim17ROCPRIM_400000_NS6detail17trampoline_kernelINS0_14default_configENS1_22reduce_config_selectorIN6thrust23THRUST_200600_302600_NS5tupleIblNS6_9null_typeES8_S8_S8_S8_S8_S8_S8_EEEEZNS1_11reduce_implILb1ES3_PS9_SC_S9_NS6_11hip_rocprim9__find_if7functorIS9_EEEE10hipError_tPvRmT1_T2_T3_mT4_P12ihipStream_tbEUlT_E0_NS1_11comp_targetILNS1_3genE3ELNS1_11target_archE908ELNS1_3gpuE7ELNS1_3repE0EEENS1_30default_config_static_selectorELNS0_4arch9wavefront6targetE1EEEvSK_.uses_flat_scratch, 0
	.set _ZN7rocprim17ROCPRIM_400000_NS6detail17trampoline_kernelINS0_14default_configENS1_22reduce_config_selectorIN6thrust23THRUST_200600_302600_NS5tupleIblNS6_9null_typeES8_S8_S8_S8_S8_S8_S8_EEEEZNS1_11reduce_implILb1ES3_PS9_SC_S9_NS6_11hip_rocprim9__find_if7functorIS9_EEEE10hipError_tPvRmT1_T2_T3_mT4_P12ihipStream_tbEUlT_E0_NS1_11comp_targetILNS1_3genE3ELNS1_11target_archE908ELNS1_3gpuE7ELNS1_3repE0EEENS1_30default_config_static_selectorELNS0_4arch9wavefront6targetE1EEEvSK_.has_dyn_sized_stack, 0
	.set _ZN7rocprim17ROCPRIM_400000_NS6detail17trampoline_kernelINS0_14default_configENS1_22reduce_config_selectorIN6thrust23THRUST_200600_302600_NS5tupleIblNS6_9null_typeES8_S8_S8_S8_S8_S8_S8_EEEEZNS1_11reduce_implILb1ES3_PS9_SC_S9_NS6_11hip_rocprim9__find_if7functorIS9_EEEE10hipError_tPvRmT1_T2_T3_mT4_P12ihipStream_tbEUlT_E0_NS1_11comp_targetILNS1_3genE3ELNS1_11target_archE908ELNS1_3gpuE7ELNS1_3repE0EEENS1_30default_config_static_selectorELNS0_4arch9wavefront6targetE1EEEvSK_.has_recursion, 0
	.set _ZN7rocprim17ROCPRIM_400000_NS6detail17trampoline_kernelINS0_14default_configENS1_22reduce_config_selectorIN6thrust23THRUST_200600_302600_NS5tupleIblNS6_9null_typeES8_S8_S8_S8_S8_S8_S8_EEEEZNS1_11reduce_implILb1ES3_PS9_SC_S9_NS6_11hip_rocprim9__find_if7functorIS9_EEEE10hipError_tPvRmT1_T2_T3_mT4_P12ihipStream_tbEUlT_E0_NS1_11comp_targetILNS1_3genE3ELNS1_11target_archE908ELNS1_3gpuE7ELNS1_3repE0EEENS1_30default_config_static_selectorELNS0_4arch9wavefront6targetE1EEEvSK_.has_indirect_call, 0
	.section	.AMDGPU.csdata,"",@progbits
; Kernel info:
; codeLenInByte = 0
; TotalNumSgprs: 6
; NumVgprs: 0
; NumAgprs: 0
; TotalNumVgprs: 0
; ScratchSize: 0
; MemoryBound: 0
; FloatMode: 240
; IeeeMode: 1
; LDSByteSize: 0 bytes/workgroup (compile time only)
; SGPRBlocks: 0
; VGPRBlocks: 0
; NumSGPRsForWavesPerEU: 6
; NumVGPRsForWavesPerEU: 1
; AccumOffset: 4
; Occupancy: 8
; WaveLimiterHint : 0
; COMPUTE_PGM_RSRC2:SCRATCH_EN: 0
; COMPUTE_PGM_RSRC2:USER_SGPR: 2
; COMPUTE_PGM_RSRC2:TRAP_HANDLER: 0
; COMPUTE_PGM_RSRC2:TGID_X_EN: 1
; COMPUTE_PGM_RSRC2:TGID_Y_EN: 0
; COMPUTE_PGM_RSRC2:TGID_Z_EN: 0
; COMPUTE_PGM_RSRC2:TIDIG_COMP_CNT: 0
; COMPUTE_PGM_RSRC3_GFX90A:ACCUM_OFFSET: 0
; COMPUTE_PGM_RSRC3_GFX90A:TG_SPLIT: 0
	.section	.text._ZN7rocprim17ROCPRIM_400000_NS6detail17trampoline_kernelINS0_14default_configENS1_22reduce_config_selectorIN6thrust23THRUST_200600_302600_NS5tupleIblNS6_9null_typeES8_S8_S8_S8_S8_S8_S8_EEEEZNS1_11reduce_implILb1ES3_PS9_SC_S9_NS6_11hip_rocprim9__find_if7functorIS9_EEEE10hipError_tPvRmT1_T2_T3_mT4_P12ihipStream_tbEUlT_E0_NS1_11comp_targetILNS1_3genE2ELNS1_11target_archE906ELNS1_3gpuE6ELNS1_3repE0EEENS1_30default_config_static_selectorELNS0_4arch9wavefront6targetE1EEEvSK_,"axG",@progbits,_ZN7rocprim17ROCPRIM_400000_NS6detail17trampoline_kernelINS0_14default_configENS1_22reduce_config_selectorIN6thrust23THRUST_200600_302600_NS5tupleIblNS6_9null_typeES8_S8_S8_S8_S8_S8_S8_EEEEZNS1_11reduce_implILb1ES3_PS9_SC_S9_NS6_11hip_rocprim9__find_if7functorIS9_EEEE10hipError_tPvRmT1_T2_T3_mT4_P12ihipStream_tbEUlT_E0_NS1_11comp_targetILNS1_3genE2ELNS1_11target_archE906ELNS1_3gpuE6ELNS1_3repE0EEENS1_30default_config_static_selectorELNS0_4arch9wavefront6targetE1EEEvSK_,comdat
	.protected	_ZN7rocprim17ROCPRIM_400000_NS6detail17trampoline_kernelINS0_14default_configENS1_22reduce_config_selectorIN6thrust23THRUST_200600_302600_NS5tupleIblNS6_9null_typeES8_S8_S8_S8_S8_S8_S8_EEEEZNS1_11reduce_implILb1ES3_PS9_SC_S9_NS6_11hip_rocprim9__find_if7functorIS9_EEEE10hipError_tPvRmT1_T2_T3_mT4_P12ihipStream_tbEUlT_E0_NS1_11comp_targetILNS1_3genE2ELNS1_11target_archE906ELNS1_3gpuE6ELNS1_3repE0EEENS1_30default_config_static_selectorELNS0_4arch9wavefront6targetE1EEEvSK_ ; -- Begin function _ZN7rocprim17ROCPRIM_400000_NS6detail17trampoline_kernelINS0_14default_configENS1_22reduce_config_selectorIN6thrust23THRUST_200600_302600_NS5tupleIblNS6_9null_typeES8_S8_S8_S8_S8_S8_S8_EEEEZNS1_11reduce_implILb1ES3_PS9_SC_S9_NS6_11hip_rocprim9__find_if7functorIS9_EEEE10hipError_tPvRmT1_T2_T3_mT4_P12ihipStream_tbEUlT_E0_NS1_11comp_targetILNS1_3genE2ELNS1_11target_archE906ELNS1_3gpuE6ELNS1_3repE0EEENS1_30default_config_static_selectorELNS0_4arch9wavefront6targetE1EEEvSK_
	.globl	_ZN7rocprim17ROCPRIM_400000_NS6detail17trampoline_kernelINS0_14default_configENS1_22reduce_config_selectorIN6thrust23THRUST_200600_302600_NS5tupleIblNS6_9null_typeES8_S8_S8_S8_S8_S8_S8_EEEEZNS1_11reduce_implILb1ES3_PS9_SC_S9_NS6_11hip_rocprim9__find_if7functorIS9_EEEE10hipError_tPvRmT1_T2_T3_mT4_P12ihipStream_tbEUlT_E0_NS1_11comp_targetILNS1_3genE2ELNS1_11target_archE906ELNS1_3gpuE6ELNS1_3repE0EEENS1_30default_config_static_selectorELNS0_4arch9wavefront6targetE1EEEvSK_
	.p2align	8
	.type	_ZN7rocprim17ROCPRIM_400000_NS6detail17trampoline_kernelINS0_14default_configENS1_22reduce_config_selectorIN6thrust23THRUST_200600_302600_NS5tupleIblNS6_9null_typeES8_S8_S8_S8_S8_S8_S8_EEEEZNS1_11reduce_implILb1ES3_PS9_SC_S9_NS6_11hip_rocprim9__find_if7functorIS9_EEEE10hipError_tPvRmT1_T2_T3_mT4_P12ihipStream_tbEUlT_E0_NS1_11comp_targetILNS1_3genE2ELNS1_11target_archE906ELNS1_3gpuE6ELNS1_3repE0EEENS1_30default_config_static_selectorELNS0_4arch9wavefront6targetE1EEEvSK_,@function
_ZN7rocprim17ROCPRIM_400000_NS6detail17trampoline_kernelINS0_14default_configENS1_22reduce_config_selectorIN6thrust23THRUST_200600_302600_NS5tupleIblNS6_9null_typeES8_S8_S8_S8_S8_S8_S8_EEEEZNS1_11reduce_implILb1ES3_PS9_SC_S9_NS6_11hip_rocprim9__find_if7functorIS9_EEEE10hipError_tPvRmT1_T2_T3_mT4_P12ihipStream_tbEUlT_E0_NS1_11comp_targetILNS1_3genE2ELNS1_11target_archE906ELNS1_3gpuE6ELNS1_3repE0EEENS1_30default_config_static_selectorELNS0_4arch9wavefront6targetE1EEEvSK_: ; @_ZN7rocprim17ROCPRIM_400000_NS6detail17trampoline_kernelINS0_14default_configENS1_22reduce_config_selectorIN6thrust23THRUST_200600_302600_NS5tupleIblNS6_9null_typeES8_S8_S8_S8_S8_S8_S8_EEEEZNS1_11reduce_implILb1ES3_PS9_SC_S9_NS6_11hip_rocprim9__find_if7functorIS9_EEEE10hipError_tPvRmT1_T2_T3_mT4_P12ihipStream_tbEUlT_E0_NS1_11comp_targetILNS1_3genE2ELNS1_11target_archE906ELNS1_3gpuE6ELNS1_3repE0EEENS1_30default_config_static_selectorELNS0_4arch9wavefront6targetE1EEEvSK_
; %bb.0:
	.section	.rodata,"a",@progbits
	.p2align	6, 0x0
	.amdhsa_kernel _ZN7rocprim17ROCPRIM_400000_NS6detail17trampoline_kernelINS0_14default_configENS1_22reduce_config_selectorIN6thrust23THRUST_200600_302600_NS5tupleIblNS6_9null_typeES8_S8_S8_S8_S8_S8_S8_EEEEZNS1_11reduce_implILb1ES3_PS9_SC_S9_NS6_11hip_rocprim9__find_if7functorIS9_EEEE10hipError_tPvRmT1_T2_T3_mT4_P12ihipStream_tbEUlT_E0_NS1_11comp_targetILNS1_3genE2ELNS1_11target_archE906ELNS1_3gpuE6ELNS1_3repE0EEENS1_30default_config_static_selectorELNS0_4arch9wavefront6targetE1EEEvSK_
		.amdhsa_group_segment_fixed_size 0
		.amdhsa_private_segment_fixed_size 0
		.amdhsa_kernarg_size 72
		.amdhsa_user_sgpr_count 2
		.amdhsa_user_sgpr_dispatch_ptr 0
		.amdhsa_user_sgpr_queue_ptr 0
		.amdhsa_user_sgpr_kernarg_segment_ptr 1
		.amdhsa_user_sgpr_dispatch_id 0
		.amdhsa_user_sgpr_kernarg_preload_length 0
		.amdhsa_user_sgpr_kernarg_preload_offset 0
		.amdhsa_user_sgpr_private_segment_size 0
		.amdhsa_uses_dynamic_stack 0
		.amdhsa_enable_private_segment 0
		.amdhsa_system_sgpr_workgroup_id_x 1
		.amdhsa_system_sgpr_workgroup_id_y 0
		.amdhsa_system_sgpr_workgroup_id_z 0
		.amdhsa_system_sgpr_workgroup_info 0
		.amdhsa_system_vgpr_workitem_id 0
		.amdhsa_next_free_vgpr 1
		.amdhsa_next_free_sgpr 0
		.amdhsa_accum_offset 4
		.amdhsa_reserve_vcc 0
		.amdhsa_float_round_mode_32 0
		.amdhsa_float_round_mode_16_64 0
		.amdhsa_float_denorm_mode_32 3
		.amdhsa_float_denorm_mode_16_64 3
		.amdhsa_dx10_clamp 1
		.amdhsa_ieee_mode 1
		.amdhsa_fp16_overflow 0
		.amdhsa_tg_split 0
		.amdhsa_exception_fp_ieee_invalid_op 0
		.amdhsa_exception_fp_denorm_src 0
		.amdhsa_exception_fp_ieee_div_zero 0
		.amdhsa_exception_fp_ieee_overflow 0
		.amdhsa_exception_fp_ieee_underflow 0
		.amdhsa_exception_fp_ieee_inexact 0
		.amdhsa_exception_int_div_zero 0
	.end_amdhsa_kernel
	.section	.text._ZN7rocprim17ROCPRIM_400000_NS6detail17trampoline_kernelINS0_14default_configENS1_22reduce_config_selectorIN6thrust23THRUST_200600_302600_NS5tupleIblNS6_9null_typeES8_S8_S8_S8_S8_S8_S8_EEEEZNS1_11reduce_implILb1ES3_PS9_SC_S9_NS6_11hip_rocprim9__find_if7functorIS9_EEEE10hipError_tPvRmT1_T2_T3_mT4_P12ihipStream_tbEUlT_E0_NS1_11comp_targetILNS1_3genE2ELNS1_11target_archE906ELNS1_3gpuE6ELNS1_3repE0EEENS1_30default_config_static_selectorELNS0_4arch9wavefront6targetE1EEEvSK_,"axG",@progbits,_ZN7rocprim17ROCPRIM_400000_NS6detail17trampoline_kernelINS0_14default_configENS1_22reduce_config_selectorIN6thrust23THRUST_200600_302600_NS5tupleIblNS6_9null_typeES8_S8_S8_S8_S8_S8_S8_EEEEZNS1_11reduce_implILb1ES3_PS9_SC_S9_NS6_11hip_rocprim9__find_if7functorIS9_EEEE10hipError_tPvRmT1_T2_T3_mT4_P12ihipStream_tbEUlT_E0_NS1_11comp_targetILNS1_3genE2ELNS1_11target_archE906ELNS1_3gpuE6ELNS1_3repE0EEENS1_30default_config_static_selectorELNS0_4arch9wavefront6targetE1EEEvSK_,comdat
.Lfunc_end167:
	.size	_ZN7rocprim17ROCPRIM_400000_NS6detail17trampoline_kernelINS0_14default_configENS1_22reduce_config_selectorIN6thrust23THRUST_200600_302600_NS5tupleIblNS6_9null_typeES8_S8_S8_S8_S8_S8_S8_EEEEZNS1_11reduce_implILb1ES3_PS9_SC_S9_NS6_11hip_rocprim9__find_if7functorIS9_EEEE10hipError_tPvRmT1_T2_T3_mT4_P12ihipStream_tbEUlT_E0_NS1_11comp_targetILNS1_3genE2ELNS1_11target_archE906ELNS1_3gpuE6ELNS1_3repE0EEENS1_30default_config_static_selectorELNS0_4arch9wavefront6targetE1EEEvSK_, .Lfunc_end167-_ZN7rocprim17ROCPRIM_400000_NS6detail17trampoline_kernelINS0_14default_configENS1_22reduce_config_selectorIN6thrust23THRUST_200600_302600_NS5tupleIblNS6_9null_typeES8_S8_S8_S8_S8_S8_S8_EEEEZNS1_11reduce_implILb1ES3_PS9_SC_S9_NS6_11hip_rocprim9__find_if7functorIS9_EEEE10hipError_tPvRmT1_T2_T3_mT4_P12ihipStream_tbEUlT_E0_NS1_11comp_targetILNS1_3genE2ELNS1_11target_archE906ELNS1_3gpuE6ELNS1_3repE0EEENS1_30default_config_static_selectorELNS0_4arch9wavefront6targetE1EEEvSK_
                                        ; -- End function
	.set _ZN7rocprim17ROCPRIM_400000_NS6detail17trampoline_kernelINS0_14default_configENS1_22reduce_config_selectorIN6thrust23THRUST_200600_302600_NS5tupleIblNS6_9null_typeES8_S8_S8_S8_S8_S8_S8_EEEEZNS1_11reduce_implILb1ES3_PS9_SC_S9_NS6_11hip_rocprim9__find_if7functorIS9_EEEE10hipError_tPvRmT1_T2_T3_mT4_P12ihipStream_tbEUlT_E0_NS1_11comp_targetILNS1_3genE2ELNS1_11target_archE906ELNS1_3gpuE6ELNS1_3repE0EEENS1_30default_config_static_selectorELNS0_4arch9wavefront6targetE1EEEvSK_.num_vgpr, 0
	.set _ZN7rocprim17ROCPRIM_400000_NS6detail17trampoline_kernelINS0_14default_configENS1_22reduce_config_selectorIN6thrust23THRUST_200600_302600_NS5tupleIblNS6_9null_typeES8_S8_S8_S8_S8_S8_S8_EEEEZNS1_11reduce_implILb1ES3_PS9_SC_S9_NS6_11hip_rocprim9__find_if7functorIS9_EEEE10hipError_tPvRmT1_T2_T3_mT4_P12ihipStream_tbEUlT_E0_NS1_11comp_targetILNS1_3genE2ELNS1_11target_archE906ELNS1_3gpuE6ELNS1_3repE0EEENS1_30default_config_static_selectorELNS0_4arch9wavefront6targetE1EEEvSK_.num_agpr, 0
	.set _ZN7rocprim17ROCPRIM_400000_NS6detail17trampoline_kernelINS0_14default_configENS1_22reduce_config_selectorIN6thrust23THRUST_200600_302600_NS5tupleIblNS6_9null_typeES8_S8_S8_S8_S8_S8_S8_EEEEZNS1_11reduce_implILb1ES3_PS9_SC_S9_NS6_11hip_rocprim9__find_if7functorIS9_EEEE10hipError_tPvRmT1_T2_T3_mT4_P12ihipStream_tbEUlT_E0_NS1_11comp_targetILNS1_3genE2ELNS1_11target_archE906ELNS1_3gpuE6ELNS1_3repE0EEENS1_30default_config_static_selectorELNS0_4arch9wavefront6targetE1EEEvSK_.numbered_sgpr, 0
	.set _ZN7rocprim17ROCPRIM_400000_NS6detail17trampoline_kernelINS0_14default_configENS1_22reduce_config_selectorIN6thrust23THRUST_200600_302600_NS5tupleIblNS6_9null_typeES8_S8_S8_S8_S8_S8_S8_EEEEZNS1_11reduce_implILb1ES3_PS9_SC_S9_NS6_11hip_rocprim9__find_if7functorIS9_EEEE10hipError_tPvRmT1_T2_T3_mT4_P12ihipStream_tbEUlT_E0_NS1_11comp_targetILNS1_3genE2ELNS1_11target_archE906ELNS1_3gpuE6ELNS1_3repE0EEENS1_30default_config_static_selectorELNS0_4arch9wavefront6targetE1EEEvSK_.num_named_barrier, 0
	.set _ZN7rocprim17ROCPRIM_400000_NS6detail17trampoline_kernelINS0_14default_configENS1_22reduce_config_selectorIN6thrust23THRUST_200600_302600_NS5tupleIblNS6_9null_typeES8_S8_S8_S8_S8_S8_S8_EEEEZNS1_11reduce_implILb1ES3_PS9_SC_S9_NS6_11hip_rocprim9__find_if7functorIS9_EEEE10hipError_tPvRmT1_T2_T3_mT4_P12ihipStream_tbEUlT_E0_NS1_11comp_targetILNS1_3genE2ELNS1_11target_archE906ELNS1_3gpuE6ELNS1_3repE0EEENS1_30default_config_static_selectorELNS0_4arch9wavefront6targetE1EEEvSK_.private_seg_size, 0
	.set _ZN7rocprim17ROCPRIM_400000_NS6detail17trampoline_kernelINS0_14default_configENS1_22reduce_config_selectorIN6thrust23THRUST_200600_302600_NS5tupleIblNS6_9null_typeES8_S8_S8_S8_S8_S8_S8_EEEEZNS1_11reduce_implILb1ES3_PS9_SC_S9_NS6_11hip_rocprim9__find_if7functorIS9_EEEE10hipError_tPvRmT1_T2_T3_mT4_P12ihipStream_tbEUlT_E0_NS1_11comp_targetILNS1_3genE2ELNS1_11target_archE906ELNS1_3gpuE6ELNS1_3repE0EEENS1_30default_config_static_selectorELNS0_4arch9wavefront6targetE1EEEvSK_.uses_vcc, 0
	.set _ZN7rocprim17ROCPRIM_400000_NS6detail17trampoline_kernelINS0_14default_configENS1_22reduce_config_selectorIN6thrust23THRUST_200600_302600_NS5tupleIblNS6_9null_typeES8_S8_S8_S8_S8_S8_S8_EEEEZNS1_11reduce_implILb1ES3_PS9_SC_S9_NS6_11hip_rocprim9__find_if7functorIS9_EEEE10hipError_tPvRmT1_T2_T3_mT4_P12ihipStream_tbEUlT_E0_NS1_11comp_targetILNS1_3genE2ELNS1_11target_archE906ELNS1_3gpuE6ELNS1_3repE0EEENS1_30default_config_static_selectorELNS0_4arch9wavefront6targetE1EEEvSK_.uses_flat_scratch, 0
	.set _ZN7rocprim17ROCPRIM_400000_NS6detail17trampoline_kernelINS0_14default_configENS1_22reduce_config_selectorIN6thrust23THRUST_200600_302600_NS5tupleIblNS6_9null_typeES8_S8_S8_S8_S8_S8_S8_EEEEZNS1_11reduce_implILb1ES3_PS9_SC_S9_NS6_11hip_rocprim9__find_if7functorIS9_EEEE10hipError_tPvRmT1_T2_T3_mT4_P12ihipStream_tbEUlT_E0_NS1_11comp_targetILNS1_3genE2ELNS1_11target_archE906ELNS1_3gpuE6ELNS1_3repE0EEENS1_30default_config_static_selectorELNS0_4arch9wavefront6targetE1EEEvSK_.has_dyn_sized_stack, 0
	.set _ZN7rocprim17ROCPRIM_400000_NS6detail17trampoline_kernelINS0_14default_configENS1_22reduce_config_selectorIN6thrust23THRUST_200600_302600_NS5tupleIblNS6_9null_typeES8_S8_S8_S8_S8_S8_S8_EEEEZNS1_11reduce_implILb1ES3_PS9_SC_S9_NS6_11hip_rocprim9__find_if7functorIS9_EEEE10hipError_tPvRmT1_T2_T3_mT4_P12ihipStream_tbEUlT_E0_NS1_11comp_targetILNS1_3genE2ELNS1_11target_archE906ELNS1_3gpuE6ELNS1_3repE0EEENS1_30default_config_static_selectorELNS0_4arch9wavefront6targetE1EEEvSK_.has_recursion, 0
	.set _ZN7rocprim17ROCPRIM_400000_NS6detail17trampoline_kernelINS0_14default_configENS1_22reduce_config_selectorIN6thrust23THRUST_200600_302600_NS5tupleIblNS6_9null_typeES8_S8_S8_S8_S8_S8_S8_EEEEZNS1_11reduce_implILb1ES3_PS9_SC_S9_NS6_11hip_rocprim9__find_if7functorIS9_EEEE10hipError_tPvRmT1_T2_T3_mT4_P12ihipStream_tbEUlT_E0_NS1_11comp_targetILNS1_3genE2ELNS1_11target_archE906ELNS1_3gpuE6ELNS1_3repE0EEENS1_30default_config_static_selectorELNS0_4arch9wavefront6targetE1EEEvSK_.has_indirect_call, 0
	.section	.AMDGPU.csdata,"",@progbits
; Kernel info:
; codeLenInByte = 0
; TotalNumSgprs: 6
; NumVgprs: 0
; NumAgprs: 0
; TotalNumVgprs: 0
; ScratchSize: 0
; MemoryBound: 0
; FloatMode: 240
; IeeeMode: 1
; LDSByteSize: 0 bytes/workgroup (compile time only)
; SGPRBlocks: 0
; VGPRBlocks: 0
; NumSGPRsForWavesPerEU: 6
; NumVGPRsForWavesPerEU: 1
; AccumOffset: 4
; Occupancy: 8
; WaveLimiterHint : 0
; COMPUTE_PGM_RSRC2:SCRATCH_EN: 0
; COMPUTE_PGM_RSRC2:USER_SGPR: 2
; COMPUTE_PGM_RSRC2:TRAP_HANDLER: 0
; COMPUTE_PGM_RSRC2:TGID_X_EN: 1
; COMPUTE_PGM_RSRC2:TGID_Y_EN: 0
; COMPUTE_PGM_RSRC2:TGID_Z_EN: 0
; COMPUTE_PGM_RSRC2:TIDIG_COMP_CNT: 0
; COMPUTE_PGM_RSRC3_GFX90A:ACCUM_OFFSET: 0
; COMPUTE_PGM_RSRC3_GFX90A:TG_SPLIT: 0
	.section	.text._ZN7rocprim17ROCPRIM_400000_NS6detail17trampoline_kernelINS0_14default_configENS1_22reduce_config_selectorIN6thrust23THRUST_200600_302600_NS5tupleIblNS6_9null_typeES8_S8_S8_S8_S8_S8_S8_EEEEZNS1_11reduce_implILb1ES3_PS9_SC_S9_NS6_11hip_rocprim9__find_if7functorIS9_EEEE10hipError_tPvRmT1_T2_T3_mT4_P12ihipStream_tbEUlT_E0_NS1_11comp_targetILNS1_3genE10ELNS1_11target_archE1201ELNS1_3gpuE5ELNS1_3repE0EEENS1_30default_config_static_selectorELNS0_4arch9wavefront6targetE1EEEvSK_,"axG",@progbits,_ZN7rocprim17ROCPRIM_400000_NS6detail17trampoline_kernelINS0_14default_configENS1_22reduce_config_selectorIN6thrust23THRUST_200600_302600_NS5tupleIblNS6_9null_typeES8_S8_S8_S8_S8_S8_S8_EEEEZNS1_11reduce_implILb1ES3_PS9_SC_S9_NS6_11hip_rocprim9__find_if7functorIS9_EEEE10hipError_tPvRmT1_T2_T3_mT4_P12ihipStream_tbEUlT_E0_NS1_11comp_targetILNS1_3genE10ELNS1_11target_archE1201ELNS1_3gpuE5ELNS1_3repE0EEENS1_30default_config_static_selectorELNS0_4arch9wavefront6targetE1EEEvSK_,comdat
	.protected	_ZN7rocprim17ROCPRIM_400000_NS6detail17trampoline_kernelINS0_14default_configENS1_22reduce_config_selectorIN6thrust23THRUST_200600_302600_NS5tupleIblNS6_9null_typeES8_S8_S8_S8_S8_S8_S8_EEEEZNS1_11reduce_implILb1ES3_PS9_SC_S9_NS6_11hip_rocprim9__find_if7functorIS9_EEEE10hipError_tPvRmT1_T2_T3_mT4_P12ihipStream_tbEUlT_E0_NS1_11comp_targetILNS1_3genE10ELNS1_11target_archE1201ELNS1_3gpuE5ELNS1_3repE0EEENS1_30default_config_static_selectorELNS0_4arch9wavefront6targetE1EEEvSK_ ; -- Begin function _ZN7rocprim17ROCPRIM_400000_NS6detail17trampoline_kernelINS0_14default_configENS1_22reduce_config_selectorIN6thrust23THRUST_200600_302600_NS5tupleIblNS6_9null_typeES8_S8_S8_S8_S8_S8_S8_EEEEZNS1_11reduce_implILb1ES3_PS9_SC_S9_NS6_11hip_rocprim9__find_if7functorIS9_EEEE10hipError_tPvRmT1_T2_T3_mT4_P12ihipStream_tbEUlT_E0_NS1_11comp_targetILNS1_3genE10ELNS1_11target_archE1201ELNS1_3gpuE5ELNS1_3repE0EEENS1_30default_config_static_selectorELNS0_4arch9wavefront6targetE1EEEvSK_
	.globl	_ZN7rocprim17ROCPRIM_400000_NS6detail17trampoline_kernelINS0_14default_configENS1_22reduce_config_selectorIN6thrust23THRUST_200600_302600_NS5tupleIblNS6_9null_typeES8_S8_S8_S8_S8_S8_S8_EEEEZNS1_11reduce_implILb1ES3_PS9_SC_S9_NS6_11hip_rocprim9__find_if7functorIS9_EEEE10hipError_tPvRmT1_T2_T3_mT4_P12ihipStream_tbEUlT_E0_NS1_11comp_targetILNS1_3genE10ELNS1_11target_archE1201ELNS1_3gpuE5ELNS1_3repE0EEENS1_30default_config_static_selectorELNS0_4arch9wavefront6targetE1EEEvSK_
	.p2align	8
	.type	_ZN7rocprim17ROCPRIM_400000_NS6detail17trampoline_kernelINS0_14default_configENS1_22reduce_config_selectorIN6thrust23THRUST_200600_302600_NS5tupleIblNS6_9null_typeES8_S8_S8_S8_S8_S8_S8_EEEEZNS1_11reduce_implILb1ES3_PS9_SC_S9_NS6_11hip_rocprim9__find_if7functorIS9_EEEE10hipError_tPvRmT1_T2_T3_mT4_P12ihipStream_tbEUlT_E0_NS1_11comp_targetILNS1_3genE10ELNS1_11target_archE1201ELNS1_3gpuE5ELNS1_3repE0EEENS1_30default_config_static_selectorELNS0_4arch9wavefront6targetE1EEEvSK_,@function
_ZN7rocprim17ROCPRIM_400000_NS6detail17trampoline_kernelINS0_14default_configENS1_22reduce_config_selectorIN6thrust23THRUST_200600_302600_NS5tupleIblNS6_9null_typeES8_S8_S8_S8_S8_S8_S8_EEEEZNS1_11reduce_implILb1ES3_PS9_SC_S9_NS6_11hip_rocprim9__find_if7functorIS9_EEEE10hipError_tPvRmT1_T2_T3_mT4_P12ihipStream_tbEUlT_E0_NS1_11comp_targetILNS1_3genE10ELNS1_11target_archE1201ELNS1_3gpuE5ELNS1_3repE0EEENS1_30default_config_static_selectorELNS0_4arch9wavefront6targetE1EEEvSK_: ; @_ZN7rocprim17ROCPRIM_400000_NS6detail17trampoline_kernelINS0_14default_configENS1_22reduce_config_selectorIN6thrust23THRUST_200600_302600_NS5tupleIblNS6_9null_typeES8_S8_S8_S8_S8_S8_S8_EEEEZNS1_11reduce_implILb1ES3_PS9_SC_S9_NS6_11hip_rocprim9__find_if7functorIS9_EEEE10hipError_tPvRmT1_T2_T3_mT4_P12ihipStream_tbEUlT_E0_NS1_11comp_targetILNS1_3genE10ELNS1_11target_archE1201ELNS1_3gpuE5ELNS1_3repE0EEENS1_30default_config_static_selectorELNS0_4arch9wavefront6targetE1EEEvSK_
; %bb.0:
	.section	.rodata,"a",@progbits
	.p2align	6, 0x0
	.amdhsa_kernel _ZN7rocprim17ROCPRIM_400000_NS6detail17trampoline_kernelINS0_14default_configENS1_22reduce_config_selectorIN6thrust23THRUST_200600_302600_NS5tupleIblNS6_9null_typeES8_S8_S8_S8_S8_S8_S8_EEEEZNS1_11reduce_implILb1ES3_PS9_SC_S9_NS6_11hip_rocprim9__find_if7functorIS9_EEEE10hipError_tPvRmT1_T2_T3_mT4_P12ihipStream_tbEUlT_E0_NS1_11comp_targetILNS1_3genE10ELNS1_11target_archE1201ELNS1_3gpuE5ELNS1_3repE0EEENS1_30default_config_static_selectorELNS0_4arch9wavefront6targetE1EEEvSK_
		.amdhsa_group_segment_fixed_size 0
		.amdhsa_private_segment_fixed_size 0
		.amdhsa_kernarg_size 72
		.amdhsa_user_sgpr_count 2
		.amdhsa_user_sgpr_dispatch_ptr 0
		.amdhsa_user_sgpr_queue_ptr 0
		.amdhsa_user_sgpr_kernarg_segment_ptr 1
		.amdhsa_user_sgpr_dispatch_id 0
		.amdhsa_user_sgpr_kernarg_preload_length 0
		.amdhsa_user_sgpr_kernarg_preload_offset 0
		.amdhsa_user_sgpr_private_segment_size 0
		.amdhsa_uses_dynamic_stack 0
		.amdhsa_enable_private_segment 0
		.amdhsa_system_sgpr_workgroup_id_x 1
		.amdhsa_system_sgpr_workgroup_id_y 0
		.amdhsa_system_sgpr_workgroup_id_z 0
		.amdhsa_system_sgpr_workgroup_info 0
		.amdhsa_system_vgpr_workitem_id 0
		.amdhsa_next_free_vgpr 1
		.amdhsa_next_free_sgpr 0
		.amdhsa_accum_offset 4
		.amdhsa_reserve_vcc 0
		.amdhsa_float_round_mode_32 0
		.amdhsa_float_round_mode_16_64 0
		.amdhsa_float_denorm_mode_32 3
		.amdhsa_float_denorm_mode_16_64 3
		.amdhsa_dx10_clamp 1
		.amdhsa_ieee_mode 1
		.amdhsa_fp16_overflow 0
		.amdhsa_tg_split 0
		.amdhsa_exception_fp_ieee_invalid_op 0
		.amdhsa_exception_fp_denorm_src 0
		.amdhsa_exception_fp_ieee_div_zero 0
		.amdhsa_exception_fp_ieee_overflow 0
		.amdhsa_exception_fp_ieee_underflow 0
		.amdhsa_exception_fp_ieee_inexact 0
		.amdhsa_exception_int_div_zero 0
	.end_amdhsa_kernel
	.section	.text._ZN7rocprim17ROCPRIM_400000_NS6detail17trampoline_kernelINS0_14default_configENS1_22reduce_config_selectorIN6thrust23THRUST_200600_302600_NS5tupleIblNS6_9null_typeES8_S8_S8_S8_S8_S8_S8_EEEEZNS1_11reduce_implILb1ES3_PS9_SC_S9_NS6_11hip_rocprim9__find_if7functorIS9_EEEE10hipError_tPvRmT1_T2_T3_mT4_P12ihipStream_tbEUlT_E0_NS1_11comp_targetILNS1_3genE10ELNS1_11target_archE1201ELNS1_3gpuE5ELNS1_3repE0EEENS1_30default_config_static_selectorELNS0_4arch9wavefront6targetE1EEEvSK_,"axG",@progbits,_ZN7rocprim17ROCPRIM_400000_NS6detail17trampoline_kernelINS0_14default_configENS1_22reduce_config_selectorIN6thrust23THRUST_200600_302600_NS5tupleIblNS6_9null_typeES8_S8_S8_S8_S8_S8_S8_EEEEZNS1_11reduce_implILb1ES3_PS9_SC_S9_NS6_11hip_rocprim9__find_if7functorIS9_EEEE10hipError_tPvRmT1_T2_T3_mT4_P12ihipStream_tbEUlT_E0_NS1_11comp_targetILNS1_3genE10ELNS1_11target_archE1201ELNS1_3gpuE5ELNS1_3repE0EEENS1_30default_config_static_selectorELNS0_4arch9wavefront6targetE1EEEvSK_,comdat
.Lfunc_end168:
	.size	_ZN7rocprim17ROCPRIM_400000_NS6detail17trampoline_kernelINS0_14default_configENS1_22reduce_config_selectorIN6thrust23THRUST_200600_302600_NS5tupleIblNS6_9null_typeES8_S8_S8_S8_S8_S8_S8_EEEEZNS1_11reduce_implILb1ES3_PS9_SC_S9_NS6_11hip_rocprim9__find_if7functorIS9_EEEE10hipError_tPvRmT1_T2_T3_mT4_P12ihipStream_tbEUlT_E0_NS1_11comp_targetILNS1_3genE10ELNS1_11target_archE1201ELNS1_3gpuE5ELNS1_3repE0EEENS1_30default_config_static_selectorELNS0_4arch9wavefront6targetE1EEEvSK_, .Lfunc_end168-_ZN7rocprim17ROCPRIM_400000_NS6detail17trampoline_kernelINS0_14default_configENS1_22reduce_config_selectorIN6thrust23THRUST_200600_302600_NS5tupleIblNS6_9null_typeES8_S8_S8_S8_S8_S8_S8_EEEEZNS1_11reduce_implILb1ES3_PS9_SC_S9_NS6_11hip_rocprim9__find_if7functorIS9_EEEE10hipError_tPvRmT1_T2_T3_mT4_P12ihipStream_tbEUlT_E0_NS1_11comp_targetILNS1_3genE10ELNS1_11target_archE1201ELNS1_3gpuE5ELNS1_3repE0EEENS1_30default_config_static_selectorELNS0_4arch9wavefront6targetE1EEEvSK_
                                        ; -- End function
	.set _ZN7rocprim17ROCPRIM_400000_NS6detail17trampoline_kernelINS0_14default_configENS1_22reduce_config_selectorIN6thrust23THRUST_200600_302600_NS5tupleIblNS6_9null_typeES8_S8_S8_S8_S8_S8_S8_EEEEZNS1_11reduce_implILb1ES3_PS9_SC_S9_NS6_11hip_rocprim9__find_if7functorIS9_EEEE10hipError_tPvRmT1_T2_T3_mT4_P12ihipStream_tbEUlT_E0_NS1_11comp_targetILNS1_3genE10ELNS1_11target_archE1201ELNS1_3gpuE5ELNS1_3repE0EEENS1_30default_config_static_selectorELNS0_4arch9wavefront6targetE1EEEvSK_.num_vgpr, 0
	.set _ZN7rocprim17ROCPRIM_400000_NS6detail17trampoline_kernelINS0_14default_configENS1_22reduce_config_selectorIN6thrust23THRUST_200600_302600_NS5tupleIblNS6_9null_typeES8_S8_S8_S8_S8_S8_S8_EEEEZNS1_11reduce_implILb1ES3_PS9_SC_S9_NS6_11hip_rocprim9__find_if7functorIS9_EEEE10hipError_tPvRmT1_T2_T3_mT4_P12ihipStream_tbEUlT_E0_NS1_11comp_targetILNS1_3genE10ELNS1_11target_archE1201ELNS1_3gpuE5ELNS1_3repE0EEENS1_30default_config_static_selectorELNS0_4arch9wavefront6targetE1EEEvSK_.num_agpr, 0
	.set _ZN7rocprim17ROCPRIM_400000_NS6detail17trampoline_kernelINS0_14default_configENS1_22reduce_config_selectorIN6thrust23THRUST_200600_302600_NS5tupleIblNS6_9null_typeES8_S8_S8_S8_S8_S8_S8_EEEEZNS1_11reduce_implILb1ES3_PS9_SC_S9_NS6_11hip_rocprim9__find_if7functorIS9_EEEE10hipError_tPvRmT1_T2_T3_mT4_P12ihipStream_tbEUlT_E0_NS1_11comp_targetILNS1_3genE10ELNS1_11target_archE1201ELNS1_3gpuE5ELNS1_3repE0EEENS1_30default_config_static_selectorELNS0_4arch9wavefront6targetE1EEEvSK_.numbered_sgpr, 0
	.set _ZN7rocprim17ROCPRIM_400000_NS6detail17trampoline_kernelINS0_14default_configENS1_22reduce_config_selectorIN6thrust23THRUST_200600_302600_NS5tupleIblNS6_9null_typeES8_S8_S8_S8_S8_S8_S8_EEEEZNS1_11reduce_implILb1ES3_PS9_SC_S9_NS6_11hip_rocprim9__find_if7functorIS9_EEEE10hipError_tPvRmT1_T2_T3_mT4_P12ihipStream_tbEUlT_E0_NS1_11comp_targetILNS1_3genE10ELNS1_11target_archE1201ELNS1_3gpuE5ELNS1_3repE0EEENS1_30default_config_static_selectorELNS0_4arch9wavefront6targetE1EEEvSK_.num_named_barrier, 0
	.set _ZN7rocprim17ROCPRIM_400000_NS6detail17trampoline_kernelINS0_14default_configENS1_22reduce_config_selectorIN6thrust23THRUST_200600_302600_NS5tupleIblNS6_9null_typeES8_S8_S8_S8_S8_S8_S8_EEEEZNS1_11reduce_implILb1ES3_PS9_SC_S9_NS6_11hip_rocprim9__find_if7functorIS9_EEEE10hipError_tPvRmT1_T2_T3_mT4_P12ihipStream_tbEUlT_E0_NS1_11comp_targetILNS1_3genE10ELNS1_11target_archE1201ELNS1_3gpuE5ELNS1_3repE0EEENS1_30default_config_static_selectorELNS0_4arch9wavefront6targetE1EEEvSK_.private_seg_size, 0
	.set _ZN7rocprim17ROCPRIM_400000_NS6detail17trampoline_kernelINS0_14default_configENS1_22reduce_config_selectorIN6thrust23THRUST_200600_302600_NS5tupleIblNS6_9null_typeES8_S8_S8_S8_S8_S8_S8_EEEEZNS1_11reduce_implILb1ES3_PS9_SC_S9_NS6_11hip_rocprim9__find_if7functorIS9_EEEE10hipError_tPvRmT1_T2_T3_mT4_P12ihipStream_tbEUlT_E0_NS1_11comp_targetILNS1_3genE10ELNS1_11target_archE1201ELNS1_3gpuE5ELNS1_3repE0EEENS1_30default_config_static_selectorELNS0_4arch9wavefront6targetE1EEEvSK_.uses_vcc, 0
	.set _ZN7rocprim17ROCPRIM_400000_NS6detail17trampoline_kernelINS0_14default_configENS1_22reduce_config_selectorIN6thrust23THRUST_200600_302600_NS5tupleIblNS6_9null_typeES8_S8_S8_S8_S8_S8_S8_EEEEZNS1_11reduce_implILb1ES3_PS9_SC_S9_NS6_11hip_rocprim9__find_if7functorIS9_EEEE10hipError_tPvRmT1_T2_T3_mT4_P12ihipStream_tbEUlT_E0_NS1_11comp_targetILNS1_3genE10ELNS1_11target_archE1201ELNS1_3gpuE5ELNS1_3repE0EEENS1_30default_config_static_selectorELNS0_4arch9wavefront6targetE1EEEvSK_.uses_flat_scratch, 0
	.set _ZN7rocprim17ROCPRIM_400000_NS6detail17trampoline_kernelINS0_14default_configENS1_22reduce_config_selectorIN6thrust23THRUST_200600_302600_NS5tupleIblNS6_9null_typeES8_S8_S8_S8_S8_S8_S8_EEEEZNS1_11reduce_implILb1ES3_PS9_SC_S9_NS6_11hip_rocprim9__find_if7functorIS9_EEEE10hipError_tPvRmT1_T2_T3_mT4_P12ihipStream_tbEUlT_E0_NS1_11comp_targetILNS1_3genE10ELNS1_11target_archE1201ELNS1_3gpuE5ELNS1_3repE0EEENS1_30default_config_static_selectorELNS0_4arch9wavefront6targetE1EEEvSK_.has_dyn_sized_stack, 0
	.set _ZN7rocprim17ROCPRIM_400000_NS6detail17trampoline_kernelINS0_14default_configENS1_22reduce_config_selectorIN6thrust23THRUST_200600_302600_NS5tupleIblNS6_9null_typeES8_S8_S8_S8_S8_S8_S8_EEEEZNS1_11reduce_implILb1ES3_PS9_SC_S9_NS6_11hip_rocprim9__find_if7functorIS9_EEEE10hipError_tPvRmT1_T2_T3_mT4_P12ihipStream_tbEUlT_E0_NS1_11comp_targetILNS1_3genE10ELNS1_11target_archE1201ELNS1_3gpuE5ELNS1_3repE0EEENS1_30default_config_static_selectorELNS0_4arch9wavefront6targetE1EEEvSK_.has_recursion, 0
	.set _ZN7rocprim17ROCPRIM_400000_NS6detail17trampoline_kernelINS0_14default_configENS1_22reduce_config_selectorIN6thrust23THRUST_200600_302600_NS5tupleIblNS6_9null_typeES8_S8_S8_S8_S8_S8_S8_EEEEZNS1_11reduce_implILb1ES3_PS9_SC_S9_NS6_11hip_rocprim9__find_if7functorIS9_EEEE10hipError_tPvRmT1_T2_T3_mT4_P12ihipStream_tbEUlT_E0_NS1_11comp_targetILNS1_3genE10ELNS1_11target_archE1201ELNS1_3gpuE5ELNS1_3repE0EEENS1_30default_config_static_selectorELNS0_4arch9wavefront6targetE1EEEvSK_.has_indirect_call, 0
	.section	.AMDGPU.csdata,"",@progbits
; Kernel info:
; codeLenInByte = 0
; TotalNumSgprs: 6
; NumVgprs: 0
; NumAgprs: 0
; TotalNumVgprs: 0
; ScratchSize: 0
; MemoryBound: 0
; FloatMode: 240
; IeeeMode: 1
; LDSByteSize: 0 bytes/workgroup (compile time only)
; SGPRBlocks: 0
; VGPRBlocks: 0
; NumSGPRsForWavesPerEU: 6
; NumVGPRsForWavesPerEU: 1
; AccumOffset: 4
; Occupancy: 8
; WaveLimiterHint : 0
; COMPUTE_PGM_RSRC2:SCRATCH_EN: 0
; COMPUTE_PGM_RSRC2:USER_SGPR: 2
; COMPUTE_PGM_RSRC2:TRAP_HANDLER: 0
; COMPUTE_PGM_RSRC2:TGID_X_EN: 1
; COMPUTE_PGM_RSRC2:TGID_Y_EN: 0
; COMPUTE_PGM_RSRC2:TGID_Z_EN: 0
; COMPUTE_PGM_RSRC2:TIDIG_COMP_CNT: 0
; COMPUTE_PGM_RSRC3_GFX90A:ACCUM_OFFSET: 0
; COMPUTE_PGM_RSRC3_GFX90A:TG_SPLIT: 0
	.section	.text._ZN7rocprim17ROCPRIM_400000_NS6detail17trampoline_kernelINS0_14default_configENS1_22reduce_config_selectorIN6thrust23THRUST_200600_302600_NS5tupleIblNS6_9null_typeES8_S8_S8_S8_S8_S8_S8_EEEEZNS1_11reduce_implILb1ES3_PS9_SC_S9_NS6_11hip_rocprim9__find_if7functorIS9_EEEE10hipError_tPvRmT1_T2_T3_mT4_P12ihipStream_tbEUlT_E0_NS1_11comp_targetILNS1_3genE10ELNS1_11target_archE1200ELNS1_3gpuE4ELNS1_3repE0EEENS1_30default_config_static_selectorELNS0_4arch9wavefront6targetE1EEEvSK_,"axG",@progbits,_ZN7rocprim17ROCPRIM_400000_NS6detail17trampoline_kernelINS0_14default_configENS1_22reduce_config_selectorIN6thrust23THRUST_200600_302600_NS5tupleIblNS6_9null_typeES8_S8_S8_S8_S8_S8_S8_EEEEZNS1_11reduce_implILb1ES3_PS9_SC_S9_NS6_11hip_rocprim9__find_if7functorIS9_EEEE10hipError_tPvRmT1_T2_T3_mT4_P12ihipStream_tbEUlT_E0_NS1_11comp_targetILNS1_3genE10ELNS1_11target_archE1200ELNS1_3gpuE4ELNS1_3repE0EEENS1_30default_config_static_selectorELNS0_4arch9wavefront6targetE1EEEvSK_,comdat
	.protected	_ZN7rocprim17ROCPRIM_400000_NS6detail17trampoline_kernelINS0_14default_configENS1_22reduce_config_selectorIN6thrust23THRUST_200600_302600_NS5tupleIblNS6_9null_typeES8_S8_S8_S8_S8_S8_S8_EEEEZNS1_11reduce_implILb1ES3_PS9_SC_S9_NS6_11hip_rocprim9__find_if7functorIS9_EEEE10hipError_tPvRmT1_T2_T3_mT4_P12ihipStream_tbEUlT_E0_NS1_11comp_targetILNS1_3genE10ELNS1_11target_archE1200ELNS1_3gpuE4ELNS1_3repE0EEENS1_30default_config_static_selectorELNS0_4arch9wavefront6targetE1EEEvSK_ ; -- Begin function _ZN7rocprim17ROCPRIM_400000_NS6detail17trampoline_kernelINS0_14default_configENS1_22reduce_config_selectorIN6thrust23THRUST_200600_302600_NS5tupleIblNS6_9null_typeES8_S8_S8_S8_S8_S8_S8_EEEEZNS1_11reduce_implILb1ES3_PS9_SC_S9_NS6_11hip_rocprim9__find_if7functorIS9_EEEE10hipError_tPvRmT1_T2_T3_mT4_P12ihipStream_tbEUlT_E0_NS1_11comp_targetILNS1_3genE10ELNS1_11target_archE1200ELNS1_3gpuE4ELNS1_3repE0EEENS1_30default_config_static_selectorELNS0_4arch9wavefront6targetE1EEEvSK_
	.globl	_ZN7rocprim17ROCPRIM_400000_NS6detail17trampoline_kernelINS0_14default_configENS1_22reduce_config_selectorIN6thrust23THRUST_200600_302600_NS5tupleIblNS6_9null_typeES8_S8_S8_S8_S8_S8_S8_EEEEZNS1_11reduce_implILb1ES3_PS9_SC_S9_NS6_11hip_rocprim9__find_if7functorIS9_EEEE10hipError_tPvRmT1_T2_T3_mT4_P12ihipStream_tbEUlT_E0_NS1_11comp_targetILNS1_3genE10ELNS1_11target_archE1200ELNS1_3gpuE4ELNS1_3repE0EEENS1_30default_config_static_selectorELNS0_4arch9wavefront6targetE1EEEvSK_
	.p2align	8
	.type	_ZN7rocprim17ROCPRIM_400000_NS6detail17trampoline_kernelINS0_14default_configENS1_22reduce_config_selectorIN6thrust23THRUST_200600_302600_NS5tupleIblNS6_9null_typeES8_S8_S8_S8_S8_S8_S8_EEEEZNS1_11reduce_implILb1ES3_PS9_SC_S9_NS6_11hip_rocprim9__find_if7functorIS9_EEEE10hipError_tPvRmT1_T2_T3_mT4_P12ihipStream_tbEUlT_E0_NS1_11comp_targetILNS1_3genE10ELNS1_11target_archE1200ELNS1_3gpuE4ELNS1_3repE0EEENS1_30default_config_static_selectorELNS0_4arch9wavefront6targetE1EEEvSK_,@function
_ZN7rocprim17ROCPRIM_400000_NS6detail17trampoline_kernelINS0_14default_configENS1_22reduce_config_selectorIN6thrust23THRUST_200600_302600_NS5tupleIblNS6_9null_typeES8_S8_S8_S8_S8_S8_S8_EEEEZNS1_11reduce_implILb1ES3_PS9_SC_S9_NS6_11hip_rocprim9__find_if7functorIS9_EEEE10hipError_tPvRmT1_T2_T3_mT4_P12ihipStream_tbEUlT_E0_NS1_11comp_targetILNS1_3genE10ELNS1_11target_archE1200ELNS1_3gpuE4ELNS1_3repE0EEENS1_30default_config_static_selectorELNS0_4arch9wavefront6targetE1EEEvSK_: ; @_ZN7rocprim17ROCPRIM_400000_NS6detail17trampoline_kernelINS0_14default_configENS1_22reduce_config_selectorIN6thrust23THRUST_200600_302600_NS5tupleIblNS6_9null_typeES8_S8_S8_S8_S8_S8_S8_EEEEZNS1_11reduce_implILb1ES3_PS9_SC_S9_NS6_11hip_rocprim9__find_if7functorIS9_EEEE10hipError_tPvRmT1_T2_T3_mT4_P12ihipStream_tbEUlT_E0_NS1_11comp_targetILNS1_3genE10ELNS1_11target_archE1200ELNS1_3gpuE4ELNS1_3repE0EEENS1_30default_config_static_selectorELNS0_4arch9wavefront6targetE1EEEvSK_
; %bb.0:
	.section	.rodata,"a",@progbits
	.p2align	6, 0x0
	.amdhsa_kernel _ZN7rocprim17ROCPRIM_400000_NS6detail17trampoline_kernelINS0_14default_configENS1_22reduce_config_selectorIN6thrust23THRUST_200600_302600_NS5tupleIblNS6_9null_typeES8_S8_S8_S8_S8_S8_S8_EEEEZNS1_11reduce_implILb1ES3_PS9_SC_S9_NS6_11hip_rocprim9__find_if7functorIS9_EEEE10hipError_tPvRmT1_T2_T3_mT4_P12ihipStream_tbEUlT_E0_NS1_11comp_targetILNS1_3genE10ELNS1_11target_archE1200ELNS1_3gpuE4ELNS1_3repE0EEENS1_30default_config_static_selectorELNS0_4arch9wavefront6targetE1EEEvSK_
		.amdhsa_group_segment_fixed_size 0
		.amdhsa_private_segment_fixed_size 0
		.amdhsa_kernarg_size 72
		.amdhsa_user_sgpr_count 2
		.amdhsa_user_sgpr_dispatch_ptr 0
		.amdhsa_user_sgpr_queue_ptr 0
		.amdhsa_user_sgpr_kernarg_segment_ptr 1
		.amdhsa_user_sgpr_dispatch_id 0
		.amdhsa_user_sgpr_kernarg_preload_length 0
		.amdhsa_user_sgpr_kernarg_preload_offset 0
		.amdhsa_user_sgpr_private_segment_size 0
		.amdhsa_uses_dynamic_stack 0
		.amdhsa_enable_private_segment 0
		.amdhsa_system_sgpr_workgroup_id_x 1
		.amdhsa_system_sgpr_workgroup_id_y 0
		.amdhsa_system_sgpr_workgroup_id_z 0
		.amdhsa_system_sgpr_workgroup_info 0
		.amdhsa_system_vgpr_workitem_id 0
		.amdhsa_next_free_vgpr 1
		.amdhsa_next_free_sgpr 0
		.amdhsa_accum_offset 4
		.amdhsa_reserve_vcc 0
		.amdhsa_float_round_mode_32 0
		.amdhsa_float_round_mode_16_64 0
		.amdhsa_float_denorm_mode_32 3
		.amdhsa_float_denorm_mode_16_64 3
		.amdhsa_dx10_clamp 1
		.amdhsa_ieee_mode 1
		.amdhsa_fp16_overflow 0
		.amdhsa_tg_split 0
		.amdhsa_exception_fp_ieee_invalid_op 0
		.amdhsa_exception_fp_denorm_src 0
		.amdhsa_exception_fp_ieee_div_zero 0
		.amdhsa_exception_fp_ieee_overflow 0
		.amdhsa_exception_fp_ieee_underflow 0
		.amdhsa_exception_fp_ieee_inexact 0
		.amdhsa_exception_int_div_zero 0
	.end_amdhsa_kernel
	.section	.text._ZN7rocprim17ROCPRIM_400000_NS6detail17trampoline_kernelINS0_14default_configENS1_22reduce_config_selectorIN6thrust23THRUST_200600_302600_NS5tupleIblNS6_9null_typeES8_S8_S8_S8_S8_S8_S8_EEEEZNS1_11reduce_implILb1ES3_PS9_SC_S9_NS6_11hip_rocprim9__find_if7functorIS9_EEEE10hipError_tPvRmT1_T2_T3_mT4_P12ihipStream_tbEUlT_E0_NS1_11comp_targetILNS1_3genE10ELNS1_11target_archE1200ELNS1_3gpuE4ELNS1_3repE0EEENS1_30default_config_static_selectorELNS0_4arch9wavefront6targetE1EEEvSK_,"axG",@progbits,_ZN7rocprim17ROCPRIM_400000_NS6detail17trampoline_kernelINS0_14default_configENS1_22reduce_config_selectorIN6thrust23THRUST_200600_302600_NS5tupleIblNS6_9null_typeES8_S8_S8_S8_S8_S8_S8_EEEEZNS1_11reduce_implILb1ES3_PS9_SC_S9_NS6_11hip_rocprim9__find_if7functorIS9_EEEE10hipError_tPvRmT1_T2_T3_mT4_P12ihipStream_tbEUlT_E0_NS1_11comp_targetILNS1_3genE10ELNS1_11target_archE1200ELNS1_3gpuE4ELNS1_3repE0EEENS1_30default_config_static_selectorELNS0_4arch9wavefront6targetE1EEEvSK_,comdat
.Lfunc_end169:
	.size	_ZN7rocprim17ROCPRIM_400000_NS6detail17trampoline_kernelINS0_14default_configENS1_22reduce_config_selectorIN6thrust23THRUST_200600_302600_NS5tupleIblNS6_9null_typeES8_S8_S8_S8_S8_S8_S8_EEEEZNS1_11reduce_implILb1ES3_PS9_SC_S9_NS6_11hip_rocprim9__find_if7functorIS9_EEEE10hipError_tPvRmT1_T2_T3_mT4_P12ihipStream_tbEUlT_E0_NS1_11comp_targetILNS1_3genE10ELNS1_11target_archE1200ELNS1_3gpuE4ELNS1_3repE0EEENS1_30default_config_static_selectorELNS0_4arch9wavefront6targetE1EEEvSK_, .Lfunc_end169-_ZN7rocprim17ROCPRIM_400000_NS6detail17trampoline_kernelINS0_14default_configENS1_22reduce_config_selectorIN6thrust23THRUST_200600_302600_NS5tupleIblNS6_9null_typeES8_S8_S8_S8_S8_S8_S8_EEEEZNS1_11reduce_implILb1ES3_PS9_SC_S9_NS6_11hip_rocprim9__find_if7functorIS9_EEEE10hipError_tPvRmT1_T2_T3_mT4_P12ihipStream_tbEUlT_E0_NS1_11comp_targetILNS1_3genE10ELNS1_11target_archE1200ELNS1_3gpuE4ELNS1_3repE0EEENS1_30default_config_static_selectorELNS0_4arch9wavefront6targetE1EEEvSK_
                                        ; -- End function
	.set _ZN7rocprim17ROCPRIM_400000_NS6detail17trampoline_kernelINS0_14default_configENS1_22reduce_config_selectorIN6thrust23THRUST_200600_302600_NS5tupleIblNS6_9null_typeES8_S8_S8_S8_S8_S8_S8_EEEEZNS1_11reduce_implILb1ES3_PS9_SC_S9_NS6_11hip_rocprim9__find_if7functorIS9_EEEE10hipError_tPvRmT1_T2_T3_mT4_P12ihipStream_tbEUlT_E0_NS1_11comp_targetILNS1_3genE10ELNS1_11target_archE1200ELNS1_3gpuE4ELNS1_3repE0EEENS1_30default_config_static_selectorELNS0_4arch9wavefront6targetE1EEEvSK_.num_vgpr, 0
	.set _ZN7rocprim17ROCPRIM_400000_NS6detail17trampoline_kernelINS0_14default_configENS1_22reduce_config_selectorIN6thrust23THRUST_200600_302600_NS5tupleIblNS6_9null_typeES8_S8_S8_S8_S8_S8_S8_EEEEZNS1_11reduce_implILb1ES3_PS9_SC_S9_NS6_11hip_rocprim9__find_if7functorIS9_EEEE10hipError_tPvRmT1_T2_T3_mT4_P12ihipStream_tbEUlT_E0_NS1_11comp_targetILNS1_3genE10ELNS1_11target_archE1200ELNS1_3gpuE4ELNS1_3repE0EEENS1_30default_config_static_selectorELNS0_4arch9wavefront6targetE1EEEvSK_.num_agpr, 0
	.set _ZN7rocprim17ROCPRIM_400000_NS6detail17trampoline_kernelINS0_14default_configENS1_22reduce_config_selectorIN6thrust23THRUST_200600_302600_NS5tupleIblNS6_9null_typeES8_S8_S8_S8_S8_S8_S8_EEEEZNS1_11reduce_implILb1ES3_PS9_SC_S9_NS6_11hip_rocprim9__find_if7functorIS9_EEEE10hipError_tPvRmT1_T2_T3_mT4_P12ihipStream_tbEUlT_E0_NS1_11comp_targetILNS1_3genE10ELNS1_11target_archE1200ELNS1_3gpuE4ELNS1_3repE0EEENS1_30default_config_static_selectorELNS0_4arch9wavefront6targetE1EEEvSK_.numbered_sgpr, 0
	.set _ZN7rocprim17ROCPRIM_400000_NS6detail17trampoline_kernelINS0_14default_configENS1_22reduce_config_selectorIN6thrust23THRUST_200600_302600_NS5tupleIblNS6_9null_typeES8_S8_S8_S8_S8_S8_S8_EEEEZNS1_11reduce_implILb1ES3_PS9_SC_S9_NS6_11hip_rocprim9__find_if7functorIS9_EEEE10hipError_tPvRmT1_T2_T3_mT4_P12ihipStream_tbEUlT_E0_NS1_11comp_targetILNS1_3genE10ELNS1_11target_archE1200ELNS1_3gpuE4ELNS1_3repE0EEENS1_30default_config_static_selectorELNS0_4arch9wavefront6targetE1EEEvSK_.num_named_barrier, 0
	.set _ZN7rocprim17ROCPRIM_400000_NS6detail17trampoline_kernelINS0_14default_configENS1_22reduce_config_selectorIN6thrust23THRUST_200600_302600_NS5tupleIblNS6_9null_typeES8_S8_S8_S8_S8_S8_S8_EEEEZNS1_11reduce_implILb1ES3_PS9_SC_S9_NS6_11hip_rocprim9__find_if7functorIS9_EEEE10hipError_tPvRmT1_T2_T3_mT4_P12ihipStream_tbEUlT_E0_NS1_11comp_targetILNS1_3genE10ELNS1_11target_archE1200ELNS1_3gpuE4ELNS1_3repE0EEENS1_30default_config_static_selectorELNS0_4arch9wavefront6targetE1EEEvSK_.private_seg_size, 0
	.set _ZN7rocprim17ROCPRIM_400000_NS6detail17trampoline_kernelINS0_14default_configENS1_22reduce_config_selectorIN6thrust23THRUST_200600_302600_NS5tupleIblNS6_9null_typeES8_S8_S8_S8_S8_S8_S8_EEEEZNS1_11reduce_implILb1ES3_PS9_SC_S9_NS6_11hip_rocprim9__find_if7functorIS9_EEEE10hipError_tPvRmT1_T2_T3_mT4_P12ihipStream_tbEUlT_E0_NS1_11comp_targetILNS1_3genE10ELNS1_11target_archE1200ELNS1_3gpuE4ELNS1_3repE0EEENS1_30default_config_static_selectorELNS0_4arch9wavefront6targetE1EEEvSK_.uses_vcc, 0
	.set _ZN7rocprim17ROCPRIM_400000_NS6detail17trampoline_kernelINS0_14default_configENS1_22reduce_config_selectorIN6thrust23THRUST_200600_302600_NS5tupleIblNS6_9null_typeES8_S8_S8_S8_S8_S8_S8_EEEEZNS1_11reduce_implILb1ES3_PS9_SC_S9_NS6_11hip_rocprim9__find_if7functorIS9_EEEE10hipError_tPvRmT1_T2_T3_mT4_P12ihipStream_tbEUlT_E0_NS1_11comp_targetILNS1_3genE10ELNS1_11target_archE1200ELNS1_3gpuE4ELNS1_3repE0EEENS1_30default_config_static_selectorELNS0_4arch9wavefront6targetE1EEEvSK_.uses_flat_scratch, 0
	.set _ZN7rocprim17ROCPRIM_400000_NS6detail17trampoline_kernelINS0_14default_configENS1_22reduce_config_selectorIN6thrust23THRUST_200600_302600_NS5tupleIblNS6_9null_typeES8_S8_S8_S8_S8_S8_S8_EEEEZNS1_11reduce_implILb1ES3_PS9_SC_S9_NS6_11hip_rocprim9__find_if7functorIS9_EEEE10hipError_tPvRmT1_T2_T3_mT4_P12ihipStream_tbEUlT_E0_NS1_11comp_targetILNS1_3genE10ELNS1_11target_archE1200ELNS1_3gpuE4ELNS1_3repE0EEENS1_30default_config_static_selectorELNS0_4arch9wavefront6targetE1EEEvSK_.has_dyn_sized_stack, 0
	.set _ZN7rocprim17ROCPRIM_400000_NS6detail17trampoline_kernelINS0_14default_configENS1_22reduce_config_selectorIN6thrust23THRUST_200600_302600_NS5tupleIblNS6_9null_typeES8_S8_S8_S8_S8_S8_S8_EEEEZNS1_11reduce_implILb1ES3_PS9_SC_S9_NS6_11hip_rocprim9__find_if7functorIS9_EEEE10hipError_tPvRmT1_T2_T3_mT4_P12ihipStream_tbEUlT_E0_NS1_11comp_targetILNS1_3genE10ELNS1_11target_archE1200ELNS1_3gpuE4ELNS1_3repE0EEENS1_30default_config_static_selectorELNS0_4arch9wavefront6targetE1EEEvSK_.has_recursion, 0
	.set _ZN7rocprim17ROCPRIM_400000_NS6detail17trampoline_kernelINS0_14default_configENS1_22reduce_config_selectorIN6thrust23THRUST_200600_302600_NS5tupleIblNS6_9null_typeES8_S8_S8_S8_S8_S8_S8_EEEEZNS1_11reduce_implILb1ES3_PS9_SC_S9_NS6_11hip_rocprim9__find_if7functorIS9_EEEE10hipError_tPvRmT1_T2_T3_mT4_P12ihipStream_tbEUlT_E0_NS1_11comp_targetILNS1_3genE10ELNS1_11target_archE1200ELNS1_3gpuE4ELNS1_3repE0EEENS1_30default_config_static_selectorELNS0_4arch9wavefront6targetE1EEEvSK_.has_indirect_call, 0
	.section	.AMDGPU.csdata,"",@progbits
; Kernel info:
; codeLenInByte = 0
; TotalNumSgprs: 6
; NumVgprs: 0
; NumAgprs: 0
; TotalNumVgprs: 0
; ScratchSize: 0
; MemoryBound: 0
; FloatMode: 240
; IeeeMode: 1
; LDSByteSize: 0 bytes/workgroup (compile time only)
; SGPRBlocks: 0
; VGPRBlocks: 0
; NumSGPRsForWavesPerEU: 6
; NumVGPRsForWavesPerEU: 1
; AccumOffset: 4
; Occupancy: 8
; WaveLimiterHint : 0
; COMPUTE_PGM_RSRC2:SCRATCH_EN: 0
; COMPUTE_PGM_RSRC2:USER_SGPR: 2
; COMPUTE_PGM_RSRC2:TRAP_HANDLER: 0
; COMPUTE_PGM_RSRC2:TGID_X_EN: 1
; COMPUTE_PGM_RSRC2:TGID_Y_EN: 0
; COMPUTE_PGM_RSRC2:TGID_Z_EN: 0
; COMPUTE_PGM_RSRC2:TIDIG_COMP_CNT: 0
; COMPUTE_PGM_RSRC3_GFX90A:ACCUM_OFFSET: 0
; COMPUTE_PGM_RSRC3_GFX90A:TG_SPLIT: 0
	.section	.text._ZN7rocprim17ROCPRIM_400000_NS6detail17trampoline_kernelINS0_14default_configENS1_22reduce_config_selectorIN6thrust23THRUST_200600_302600_NS5tupleIblNS6_9null_typeES8_S8_S8_S8_S8_S8_S8_EEEEZNS1_11reduce_implILb1ES3_PS9_SC_S9_NS6_11hip_rocprim9__find_if7functorIS9_EEEE10hipError_tPvRmT1_T2_T3_mT4_P12ihipStream_tbEUlT_E0_NS1_11comp_targetILNS1_3genE9ELNS1_11target_archE1100ELNS1_3gpuE3ELNS1_3repE0EEENS1_30default_config_static_selectorELNS0_4arch9wavefront6targetE1EEEvSK_,"axG",@progbits,_ZN7rocprim17ROCPRIM_400000_NS6detail17trampoline_kernelINS0_14default_configENS1_22reduce_config_selectorIN6thrust23THRUST_200600_302600_NS5tupleIblNS6_9null_typeES8_S8_S8_S8_S8_S8_S8_EEEEZNS1_11reduce_implILb1ES3_PS9_SC_S9_NS6_11hip_rocprim9__find_if7functorIS9_EEEE10hipError_tPvRmT1_T2_T3_mT4_P12ihipStream_tbEUlT_E0_NS1_11comp_targetILNS1_3genE9ELNS1_11target_archE1100ELNS1_3gpuE3ELNS1_3repE0EEENS1_30default_config_static_selectorELNS0_4arch9wavefront6targetE1EEEvSK_,comdat
	.protected	_ZN7rocprim17ROCPRIM_400000_NS6detail17trampoline_kernelINS0_14default_configENS1_22reduce_config_selectorIN6thrust23THRUST_200600_302600_NS5tupleIblNS6_9null_typeES8_S8_S8_S8_S8_S8_S8_EEEEZNS1_11reduce_implILb1ES3_PS9_SC_S9_NS6_11hip_rocprim9__find_if7functorIS9_EEEE10hipError_tPvRmT1_T2_T3_mT4_P12ihipStream_tbEUlT_E0_NS1_11comp_targetILNS1_3genE9ELNS1_11target_archE1100ELNS1_3gpuE3ELNS1_3repE0EEENS1_30default_config_static_selectorELNS0_4arch9wavefront6targetE1EEEvSK_ ; -- Begin function _ZN7rocprim17ROCPRIM_400000_NS6detail17trampoline_kernelINS0_14default_configENS1_22reduce_config_selectorIN6thrust23THRUST_200600_302600_NS5tupleIblNS6_9null_typeES8_S8_S8_S8_S8_S8_S8_EEEEZNS1_11reduce_implILb1ES3_PS9_SC_S9_NS6_11hip_rocprim9__find_if7functorIS9_EEEE10hipError_tPvRmT1_T2_T3_mT4_P12ihipStream_tbEUlT_E0_NS1_11comp_targetILNS1_3genE9ELNS1_11target_archE1100ELNS1_3gpuE3ELNS1_3repE0EEENS1_30default_config_static_selectorELNS0_4arch9wavefront6targetE1EEEvSK_
	.globl	_ZN7rocprim17ROCPRIM_400000_NS6detail17trampoline_kernelINS0_14default_configENS1_22reduce_config_selectorIN6thrust23THRUST_200600_302600_NS5tupleIblNS6_9null_typeES8_S8_S8_S8_S8_S8_S8_EEEEZNS1_11reduce_implILb1ES3_PS9_SC_S9_NS6_11hip_rocprim9__find_if7functorIS9_EEEE10hipError_tPvRmT1_T2_T3_mT4_P12ihipStream_tbEUlT_E0_NS1_11comp_targetILNS1_3genE9ELNS1_11target_archE1100ELNS1_3gpuE3ELNS1_3repE0EEENS1_30default_config_static_selectorELNS0_4arch9wavefront6targetE1EEEvSK_
	.p2align	8
	.type	_ZN7rocprim17ROCPRIM_400000_NS6detail17trampoline_kernelINS0_14default_configENS1_22reduce_config_selectorIN6thrust23THRUST_200600_302600_NS5tupleIblNS6_9null_typeES8_S8_S8_S8_S8_S8_S8_EEEEZNS1_11reduce_implILb1ES3_PS9_SC_S9_NS6_11hip_rocprim9__find_if7functorIS9_EEEE10hipError_tPvRmT1_T2_T3_mT4_P12ihipStream_tbEUlT_E0_NS1_11comp_targetILNS1_3genE9ELNS1_11target_archE1100ELNS1_3gpuE3ELNS1_3repE0EEENS1_30default_config_static_selectorELNS0_4arch9wavefront6targetE1EEEvSK_,@function
_ZN7rocprim17ROCPRIM_400000_NS6detail17trampoline_kernelINS0_14default_configENS1_22reduce_config_selectorIN6thrust23THRUST_200600_302600_NS5tupleIblNS6_9null_typeES8_S8_S8_S8_S8_S8_S8_EEEEZNS1_11reduce_implILb1ES3_PS9_SC_S9_NS6_11hip_rocprim9__find_if7functorIS9_EEEE10hipError_tPvRmT1_T2_T3_mT4_P12ihipStream_tbEUlT_E0_NS1_11comp_targetILNS1_3genE9ELNS1_11target_archE1100ELNS1_3gpuE3ELNS1_3repE0EEENS1_30default_config_static_selectorELNS0_4arch9wavefront6targetE1EEEvSK_: ; @_ZN7rocprim17ROCPRIM_400000_NS6detail17trampoline_kernelINS0_14default_configENS1_22reduce_config_selectorIN6thrust23THRUST_200600_302600_NS5tupleIblNS6_9null_typeES8_S8_S8_S8_S8_S8_S8_EEEEZNS1_11reduce_implILb1ES3_PS9_SC_S9_NS6_11hip_rocprim9__find_if7functorIS9_EEEE10hipError_tPvRmT1_T2_T3_mT4_P12ihipStream_tbEUlT_E0_NS1_11comp_targetILNS1_3genE9ELNS1_11target_archE1100ELNS1_3gpuE3ELNS1_3repE0EEENS1_30default_config_static_selectorELNS0_4arch9wavefront6targetE1EEEvSK_
; %bb.0:
	.section	.rodata,"a",@progbits
	.p2align	6, 0x0
	.amdhsa_kernel _ZN7rocprim17ROCPRIM_400000_NS6detail17trampoline_kernelINS0_14default_configENS1_22reduce_config_selectorIN6thrust23THRUST_200600_302600_NS5tupleIblNS6_9null_typeES8_S8_S8_S8_S8_S8_S8_EEEEZNS1_11reduce_implILb1ES3_PS9_SC_S9_NS6_11hip_rocprim9__find_if7functorIS9_EEEE10hipError_tPvRmT1_T2_T3_mT4_P12ihipStream_tbEUlT_E0_NS1_11comp_targetILNS1_3genE9ELNS1_11target_archE1100ELNS1_3gpuE3ELNS1_3repE0EEENS1_30default_config_static_selectorELNS0_4arch9wavefront6targetE1EEEvSK_
		.amdhsa_group_segment_fixed_size 0
		.amdhsa_private_segment_fixed_size 0
		.amdhsa_kernarg_size 72
		.amdhsa_user_sgpr_count 2
		.amdhsa_user_sgpr_dispatch_ptr 0
		.amdhsa_user_sgpr_queue_ptr 0
		.amdhsa_user_sgpr_kernarg_segment_ptr 1
		.amdhsa_user_sgpr_dispatch_id 0
		.amdhsa_user_sgpr_kernarg_preload_length 0
		.amdhsa_user_sgpr_kernarg_preload_offset 0
		.amdhsa_user_sgpr_private_segment_size 0
		.amdhsa_uses_dynamic_stack 0
		.amdhsa_enable_private_segment 0
		.amdhsa_system_sgpr_workgroup_id_x 1
		.amdhsa_system_sgpr_workgroup_id_y 0
		.amdhsa_system_sgpr_workgroup_id_z 0
		.amdhsa_system_sgpr_workgroup_info 0
		.amdhsa_system_vgpr_workitem_id 0
		.amdhsa_next_free_vgpr 1
		.amdhsa_next_free_sgpr 0
		.amdhsa_accum_offset 4
		.amdhsa_reserve_vcc 0
		.amdhsa_float_round_mode_32 0
		.amdhsa_float_round_mode_16_64 0
		.amdhsa_float_denorm_mode_32 3
		.amdhsa_float_denorm_mode_16_64 3
		.amdhsa_dx10_clamp 1
		.amdhsa_ieee_mode 1
		.amdhsa_fp16_overflow 0
		.amdhsa_tg_split 0
		.amdhsa_exception_fp_ieee_invalid_op 0
		.amdhsa_exception_fp_denorm_src 0
		.amdhsa_exception_fp_ieee_div_zero 0
		.amdhsa_exception_fp_ieee_overflow 0
		.amdhsa_exception_fp_ieee_underflow 0
		.amdhsa_exception_fp_ieee_inexact 0
		.amdhsa_exception_int_div_zero 0
	.end_amdhsa_kernel
	.section	.text._ZN7rocprim17ROCPRIM_400000_NS6detail17trampoline_kernelINS0_14default_configENS1_22reduce_config_selectorIN6thrust23THRUST_200600_302600_NS5tupleIblNS6_9null_typeES8_S8_S8_S8_S8_S8_S8_EEEEZNS1_11reduce_implILb1ES3_PS9_SC_S9_NS6_11hip_rocprim9__find_if7functorIS9_EEEE10hipError_tPvRmT1_T2_T3_mT4_P12ihipStream_tbEUlT_E0_NS1_11comp_targetILNS1_3genE9ELNS1_11target_archE1100ELNS1_3gpuE3ELNS1_3repE0EEENS1_30default_config_static_selectorELNS0_4arch9wavefront6targetE1EEEvSK_,"axG",@progbits,_ZN7rocprim17ROCPRIM_400000_NS6detail17trampoline_kernelINS0_14default_configENS1_22reduce_config_selectorIN6thrust23THRUST_200600_302600_NS5tupleIblNS6_9null_typeES8_S8_S8_S8_S8_S8_S8_EEEEZNS1_11reduce_implILb1ES3_PS9_SC_S9_NS6_11hip_rocprim9__find_if7functorIS9_EEEE10hipError_tPvRmT1_T2_T3_mT4_P12ihipStream_tbEUlT_E0_NS1_11comp_targetILNS1_3genE9ELNS1_11target_archE1100ELNS1_3gpuE3ELNS1_3repE0EEENS1_30default_config_static_selectorELNS0_4arch9wavefront6targetE1EEEvSK_,comdat
.Lfunc_end170:
	.size	_ZN7rocprim17ROCPRIM_400000_NS6detail17trampoline_kernelINS0_14default_configENS1_22reduce_config_selectorIN6thrust23THRUST_200600_302600_NS5tupleIblNS6_9null_typeES8_S8_S8_S8_S8_S8_S8_EEEEZNS1_11reduce_implILb1ES3_PS9_SC_S9_NS6_11hip_rocprim9__find_if7functorIS9_EEEE10hipError_tPvRmT1_T2_T3_mT4_P12ihipStream_tbEUlT_E0_NS1_11comp_targetILNS1_3genE9ELNS1_11target_archE1100ELNS1_3gpuE3ELNS1_3repE0EEENS1_30default_config_static_selectorELNS0_4arch9wavefront6targetE1EEEvSK_, .Lfunc_end170-_ZN7rocprim17ROCPRIM_400000_NS6detail17trampoline_kernelINS0_14default_configENS1_22reduce_config_selectorIN6thrust23THRUST_200600_302600_NS5tupleIblNS6_9null_typeES8_S8_S8_S8_S8_S8_S8_EEEEZNS1_11reduce_implILb1ES3_PS9_SC_S9_NS6_11hip_rocprim9__find_if7functorIS9_EEEE10hipError_tPvRmT1_T2_T3_mT4_P12ihipStream_tbEUlT_E0_NS1_11comp_targetILNS1_3genE9ELNS1_11target_archE1100ELNS1_3gpuE3ELNS1_3repE0EEENS1_30default_config_static_selectorELNS0_4arch9wavefront6targetE1EEEvSK_
                                        ; -- End function
	.set _ZN7rocprim17ROCPRIM_400000_NS6detail17trampoline_kernelINS0_14default_configENS1_22reduce_config_selectorIN6thrust23THRUST_200600_302600_NS5tupleIblNS6_9null_typeES8_S8_S8_S8_S8_S8_S8_EEEEZNS1_11reduce_implILb1ES3_PS9_SC_S9_NS6_11hip_rocprim9__find_if7functorIS9_EEEE10hipError_tPvRmT1_T2_T3_mT4_P12ihipStream_tbEUlT_E0_NS1_11comp_targetILNS1_3genE9ELNS1_11target_archE1100ELNS1_3gpuE3ELNS1_3repE0EEENS1_30default_config_static_selectorELNS0_4arch9wavefront6targetE1EEEvSK_.num_vgpr, 0
	.set _ZN7rocprim17ROCPRIM_400000_NS6detail17trampoline_kernelINS0_14default_configENS1_22reduce_config_selectorIN6thrust23THRUST_200600_302600_NS5tupleIblNS6_9null_typeES8_S8_S8_S8_S8_S8_S8_EEEEZNS1_11reduce_implILb1ES3_PS9_SC_S9_NS6_11hip_rocprim9__find_if7functorIS9_EEEE10hipError_tPvRmT1_T2_T3_mT4_P12ihipStream_tbEUlT_E0_NS1_11comp_targetILNS1_3genE9ELNS1_11target_archE1100ELNS1_3gpuE3ELNS1_3repE0EEENS1_30default_config_static_selectorELNS0_4arch9wavefront6targetE1EEEvSK_.num_agpr, 0
	.set _ZN7rocprim17ROCPRIM_400000_NS6detail17trampoline_kernelINS0_14default_configENS1_22reduce_config_selectorIN6thrust23THRUST_200600_302600_NS5tupleIblNS6_9null_typeES8_S8_S8_S8_S8_S8_S8_EEEEZNS1_11reduce_implILb1ES3_PS9_SC_S9_NS6_11hip_rocprim9__find_if7functorIS9_EEEE10hipError_tPvRmT1_T2_T3_mT4_P12ihipStream_tbEUlT_E0_NS1_11comp_targetILNS1_3genE9ELNS1_11target_archE1100ELNS1_3gpuE3ELNS1_3repE0EEENS1_30default_config_static_selectorELNS0_4arch9wavefront6targetE1EEEvSK_.numbered_sgpr, 0
	.set _ZN7rocprim17ROCPRIM_400000_NS6detail17trampoline_kernelINS0_14default_configENS1_22reduce_config_selectorIN6thrust23THRUST_200600_302600_NS5tupleIblNS6_9null_typeES8_S8_S8_S8_S8_S8_S8_EEEEZNS1_11reduce_implILb1ES3_PS9_SC_S9_NS6_11hip_rocprim9__find_if7functorIS9_EEEE10hipError_tPvRmT1_T2_T3_mT4_P12ihipStream_tbEUlT_E0_NS1_11comp_targetILNS1_3genE9ELNS1_11target_archE1100ELNS1_3gpuE3ELNS1_3repE0EEENS1_30default_config_static_selectorELNS0_4arch9wavefront6targetE1EEEvSK_.num_named_barrier, 0
	.set _ZN7rocprim17ROCPRIM_400000_NS6detail17trampoline_kernelINS0_14default_configENS1_22reduce_config_selectorIN6thrust23THRUST_200600_302600_NS5tupleIblNS6_9null_typeES8_S8_S8_S8_S8_S8_S8_EEEEZNS1_11reduce_implILb1ES3_PS9_SC_S9_NS6_11hip_rocprim9__find_if7functorIS9_EEEE10hipError_tPvRmT1_T2_T3_mT4_P12ihipStream_tbEUlT_E0_NS1_11comp_targetILNS1_3genE9ELNS1_11target_archE1100ELNS1_3gpuE3ELNS1_3repE0EEENS1_30default_config_static_selectorELNS0_4arch9wavefront6targetE1EEEvSK_.private_seg_size, 0
	.set _ZN7rocprim17ROCPRIM_400000_NS6detail17trampoline_kernelINS0_14default_configENS1_22reduce_config_selectorIN6thrust23THRUST_200600_302600_NS5tupleIblNS6_9null_typeES8_S8_S8_S8_S8_S8_S8_EEEEZNS1_11reduce_implILb1ES3_PS9_SC_S9_NS6_11hip_rocprim9__find_if7functorIS9_EEEE10hipError_tPvRmT1_T2_T3_mT4_P12ihipStream_tbEUlT_E0_NS1_11comp_targetILNS1_3genE9ELNS1_11target_archE1100ELNS1_3gpuE3ELNS1_3repE0EEENS1_30default_config_static_selectorELNS0_4arch9wavefront6targetE1EEEvSK_.uses_vcc, 0
	.set _ZN7rocprim17ROCPRIM_400000_NS6detail17trampoline_kernelINS0_14default_configENS1_22reduce_config_selectorIN6thrust23THRUST_200600_302600_NS5tupleIblNS6_9null_typeES8_S8_S8_S8_S8_S8_S8_EEEEZNS1_11reduce_implILb1ES3_PS9_SC_S9_NS6_11hip_rocprim9__find_if7functorIS9_EEEE10hipError_tPvRmT1_T2_T3_mT4_P12ihipStream_tbEUlT_E0_NS1_11comp_targetILNS1_3genE9ELNS1_11target_archE1100ELNS1_3gpuE3ELNS1_3repE0EEENS1_30default_config_static_selectorELNS0_4arch9wavefront6targetE1EEEvSK_.uses_flat_scratch, 0
	.set _ZN7rocprim17ROCPRIM_400000_NS6detail17trampoline_kernelINS0_14default_configENS1_22reduce_config_selectorIN6thrust23THRUST_200600_302600_NS5tupleIblNS6_9null_typeES8_S8_S8_S8_S8_S8_S8_EEEEZNS1_11reduce_implILb1ES3_PS9_SC_S9_NS6_11hip_rocprim9__find_if7functorIS9_EEEE10hipError_tPvRmT1_T2_T3_mT4_P12ihipStream_tbEUlT_E0_NS1_11comp_targetILNS1_3genE9ELNS1_11target_archE1100ELNS1_3gpuE3ELNS1_3repE0EEENS1_30default_config_static_selectorELNS0_4arch9wavefront6targetE1EEEvSK_.has_dyn_sized_stack, 0
	.set _ZN7rocprim17ROCPRIM_400000_NS6detail17trampoline_kernelINS0_14default_configENS1_22reduce_config_selectorIN6thrust23THRUST_200600_302600_NS5tupleIblNS6_9null_typeES8_S8_S8_S8_S8_S8_S8_EEEEZNS1_11reduce_implILb1ES3_PS9_SC_S9_NS6_11hip_rocprim9__find_if7functorIS9_EEEE10hipError_tPvRmT1_T2_T3_mT4_P12ihipStream_tbEUlT_E0_NS1_11comp_targetILNS1_3genE9ELNS1_11target_archE1100ELNS1_3gpuE3ELNS1_3repE0EEENS1_30default_config_static_selectorELNS0_4arch9wavefront6targetE1EEEvSK_.has_recursion, 0
	.set _ZN7rocprim17ROCPRIM_400000_NS6detail17trampoline_kernelINS0_14default_configENS1_22reduce_config_selectorIN6thrust23THRUST_200600_302600_NS5tupleIblNS6_9null_typeES8_S8_S8_S8_S8_S8_S8_EEEEZNS1_11reduce_implILb1ES3_PS9_SC_S9_NS6_11hip_rocprim9__find_if7functorIS9_EEEE10hipError_tPvRmT1_T2_T3_mT4_P12ihipStream_tbEUlT_E0_NS1_11comp_targetILNS1_3genE9ELNS1_11target_archE1100ELNS1_3gpuE3ELNS1_3repE0EEENS1_30default_config_static_selectorELNS0_4arch9wavefront6targetE1EEEvSK_.has_indirect_call, 0
	.section	.AMDGPU.csdata,"",@progbits
; Kernel info:
; codeLenInByte = 0
; TotalNumSgprs: 6
; NumVgprs: 0
; NumAgprs: 0
; TotalNumVgprs: 0
; ScratchSize: 0
; MemoryBound: 0
; FloatMode: 240
; IeeeMode: 1
; LDSByteSize: 0 bytes/workgroup (compile time only)
; SGPRBlocks: 0
; VGPRBlocks: 0
; NumSGPRsForWavesPerEU: 6
; NumVGPRsForWavesPerEU: 1
; AccumOffset: 4
; Occupancy: 8
; WaveLimiterHint : 0
; COMPUTE_PGM_RSRC2:SCRATCH_EN: 0
; COMPUTE_PGM_RSRC2:USER_SGPR: 2
; COMPUTE_PGM_RSRC2:TRAP_HANDLER: 0
; COMPUTE_PGM_RSRC2:TGID_X_EN: 1
; COMPUTE_PGM_RSRC2:TGID_Y_EN: 0
; COMPUTE_PGM_RSRC2:TGID_Z_EN: 0
; COMPUTE_PGM_RSRC2:TIDIG_COMP_CNT: 0
; COMPUTE_PGM_RSRC3_GFX90A:ACCUM_OFFSET: 0
; COMPUTE_PGM_RSRC3_GFX90A:TG_SPLIT: 0
	.section	.text._ZN7rocprim17ROCPRIM_400000_NS6detail17trampoline_kernelINS0_14default_configENS1_22reduce_config_selectorIN6thrust23THRUST_200600_302600_NS5tupleIblNS6_9null_typeES8_S8_S8_S8_S8_S8_S8_EEEEZNS1_11reduce_implILb1ES3_PS9_SC_S9_NS6_11hip_rocprim9__find_if7functorIS9_EEEE10hipError_tPvRmT1_T2_T3_mT4_P12ihipStream_tbEUlT_E0_NS1_11comp_targetILNS1_3genE8ELNS1_11target_archE1030ELNS1_3gpuE2ELNS1_3repE0EEENS1_30default_config_static_selectorELNS0_4arch9wavefront6targetE1EEEvSK_,"axG",@progbits,_ZN7rocprim17ROCPRIM_400000_NS6detail17trampoline_kernelINS0_14default_configENS1_22reduce_config_selectorIN6thrust23THRUST_200600_302600_NS5tupleIblNS6_9null_typeES8_S8_S8_S8_S8_S8_S8_EEEEZNS1_11reduce_implILb1ES3_PS9_SC_S9_NS6_11hip_rocprim9__find_if7functorIS9_EEEE10hipError_tPvRmT1_T2_T3_mT4_P12ihipStream_tbEUlT_E0_NS1_11comp_targetILNS1_3genE8ELNS1_11target_archE1030ELNS1_3gpuE2ELNS1_3repE0EEENS1_30default_config_static_selectorELNS0_4arch9wavefront6targetE1EEEvSK_,comdat
	.protected	_ZN7rocprim17ROCPRIM_400000_NS6detail17trampoline_kernelINS0_14default_configENS1_22reduce_config_selectorIN6thrust23THRUST_200600_302600_NS5tupleIblNS6_9null_typeES8_S8_S8_S8_S8_S8_S8_EEEEZNS1_11reduce_implILb1ES3_PS9_SC_S9_NS6_11hip_rocprim9__find_if7functorIS9_EEEE10hipError_tPvRmT1_T2_T3_mT4_P12ihipStream_tbEUlT_E0_NS1_11comp_targetILNS1_3genE8ELNS1_11target_archE1030ELNS1_3gpuE2ELNS1_3repE0EEENS1_30default_config_static_selectorELNS0_4arch9wavefront6targetE1EEEvSK_ ; -- Begin function _ZN7rocprim17ROCPRIM_400000_NS6detail17trampoline_kernelINS0_14default_configENS1_22reduce_config_selectorIN6thrust23THRUST_200600_302600_NS5tupleIblNS6_9null_typeES8_S8_S8_S8_S8_S8_S8_EEEEZNS1_11reduce_implILb1ES3_PS9_SC_S9_NS6_11hip_rocprim9__find_if7functorIS9_EEEE10hipError_tPvRmT1_T2_T3_mT4_P12ihipStream_tbEUlT_E0_NS1_11comp_targetILNS1_3genE8ELNS1_11target_archE1030ELNS1_3gpuE2ELNS1_3repE0EEENS1_30default_config_static_selectorELNS0_4arch9wavefront6targetE1EEEvSK_
	.globl	_ZN7rocprim17ROCPRIM_400000_NS6detail17trampoline_kernelINS0_14default_configENS1_22reduce_config_selectorIN6thrust23THRUST_200600_302600_NS5tupleIblNS6_9null_typeES8_S8_S8_S8_S8_S8_S8_EEEEZNS1_11reduce_implILb1ES3_PS9_SC_S9_NS6_11hip_rocprim9__find_if7functorIS9_EEEE10hipError_tPvRmT1_T2_T3_mT4_P12ihipStream_tbEUlT_E0_NS1_11comp_targetILNS1_3genE8ELNS1_11target_archE1030ELNS1_3gpuE2ELNS1_3repE0EEENS1_30default_config_static_selectorELNS0_4arch9wavefront6targetE1EEEvSK_
	.p2align	8
	.type	_ZN7rocprim17ROCPRIM_400000_NS6detail17trampoline_kernelINS0_14default_configENS1_22reduce_config_selectorIN6thrust23THRUST_200600_302600_NS5tupleIblNS6_9null_typeES8_S8_S8_S8_S8_S8_S8_EEEEZNS1_11reduce_implILb1ES3_PS9_SC_S9_NS6_11hip_rocprim9__find_if7functorIS9_EEEE10hipError_tPvRmT1_T2_T3_mT4_P12ihipStream_tbEUlT_E0_NS1_11comp_targetILNS1_3genE8ELNS1_11target_archE1030ELNS1_3gpuE2ELNS1_3repE0EEENS1_30default_config_static_selectorELNS0_4arch9wavefront6targetE1EEEvSK_,@function
_ZN7rocprim17ROCPRIM_400000_NS6detail17trampoline_kernelINS0_14default_configENS1_22reduce_config_selectorIN6thrust23THRUST_200600_302600_NS5tupleIblNS6_9null_typeES8_S8_S8_S8_S8_S8_S8_EEEEZNS1_11reduce_implILb1ES3_PS9_SC_S9_NS6_11hip_rocprim9__find_if7functorIS9_EEEE10hipError_tPvRmT1_T2_T3_mT4_P12ihipStream_tbEUlT_E0_NS1_11comp_targetILNS1_3genE8ELNS1_11target_archE1030ELNS1_3gpuE2ELNS1_3repE0EEENS1_30default_config_static_selectorELNS0_4arch9wavefront6targetE1EEEvSK_: ; @_ZN7rocprim17ROCPRIM_400000_NS6detail17trampoline_kernelINS0_14default_configENS1_22reduce_config_selectorIN6thrust23THRUST_200600_302600_NS5tupleIblNS6_9null_typeES8_S8_S8_S8_S8_S8_S8_EEEEZNS1_11reduce_implILb1ES3_PS9_SC_S9_NS6_11hip_rocprim9__find_if7functorIS9_EEEE10hipError_tPvRmT1_T2_T3_mT4_P12ihipStream_tbEUlT_E0_NS1_11comp_targetILNS1_3genE8ELNS1_11target_archE1030ELNS1_3gpuE2ELNS1_3repE0EEENS1_30default_config_static_selectorELNS0_4arch9wavefront6targetE1EEEvSK_
; %bb.0:
	.section	.rodata,"a",@progbits
	.p2align	6, 0x0
	.amdhsa_kernel _ZN7rocprim17ROCPRIM_400000_NS6detail17trampoline_kernelINS0_14default_configENS1_22reduce_config_selectorIN6thrust23THRUST_200600_302600_NS5tupleIblNS6_9null_typeES8_S8_S8_S8_S8_S8_S8_EEEEZNS1_11reduce_implILb1ES3_PS9_SC_S9_NS6_11hip_rocprim9__find_if7functorIS9_EEEE10hipError_tPvRmT1_T2_T3_mT4_P12ihipStream_tbEUlT_E0_NS1_11comp_targetILNS1_3genE8ELNS1_11target_archE1030ELNS1_3gpuE2ELNS1_3repE0EEENS1_30default_config_static_selectorELNS0_4arch9wavefront6targetE1EEEvSK_
		.amdhsa_group_segment_fixed_size 0
		.amdhsa_private_segment_fixed_size 0
		.amdhsa_kernarg_size 72
		.amdhsa_user_sgpr_count 2
		.amdhsa_user_sgpr_dispatch_ptr 0
		.amdhsa_user_sgpr_queue_ptr 0
		.amdhsa_user_sgpr_kernarg_segment_ptr 1
		.amdhsa_user_sgpr_dispatch_id 0
		.amdhsa_user_sgpr_kernarg_preload_length 0
		.amdhsa_user_sgpr_kernarg_preload_offset 0
		.amdhsa_user_sgpr_private_segment_size 0
		.amdhsa_uses_dynamic_stack 0
		.amdhsa_enable_private_segment 0
		.amdhsa_system_sgpr_workgroup_id_x 1
		.amdhsa_system_sgpr_workgroup_id_y 0
		.amdhsa_system_sgpr_workgroup_id_z 0
		.amdhsa_system_sgpr_workgroup_info 0
		.amdhsa_system_vgpr_workitem_id 0
		.amdhsa_next_free_vgpr 1
		.amdhsa_next_free_sgpr 0
		.amdhsa_accum_offset 4
		.amdhsa_reserve_vcc 0
		.amdhsa_float_round_mode_32 0
		.amdhsa_float_round_mode_16_64 0
		.amdhsa_float_denorm_mode_32 3
		.amdhsa_float_denorm_mode_16_64 3
		.amdhsa_dx10_clamp 1
		.amdhsa_ieee_mode 1
		.amdhsa_fp16_overflow 0
		.amdhsa_tg_split 0
		.amdhsa_exception_fp_ieee_invalid_op 0
		.amdhsa_exception_fp_denorm_src 0
		.amdhsa_exception_fp_ieee_div_zero 0
		.amdhsa_exception_fp_ieee_overflow 0
		.amdhsa_exception_fp_ieee_underflow 0
		.amdhsa_exception_fp_ieee_inexact 0
		.amdhsa_exception_int_div_zero 0
	.end_amdhsa_kernel
	.section	.text._ZN7rocprim17ROCPRIM_400000_NS6detail17trampoline_kernelINS0_14default_configENS1_22reduce_config_selectorIN6thrust23THRUST_200600_302600_NS5tupleIblNS6_9null_typeES8_S8_S8_S8_S8_S8_S8_EEEEZNS1_11reduce_implILb1ES3_PS9_SC_S9_NS6_11hip_rocprim9__find_if7functorIS9_EEEE10hipError_tPvRmT1_T2_T3_mT4_P12ihipStream_tbEUlT_E0_NS1_11comp_targetILNS1_3genE8ELNS1_11target_archE1030ELNS1_3gpuE2ELNS1_3repE0EEENS1_30default_config_static_selectorELNS0_4arch9wavefront6targetE1EEEvSK_,"axG",@progbits,_ZN7rocprim17ROCPRIM_400000_NS6detail17trampoline_kernelINS0_14default_configENS1_22reduce_config_selectorIN6thrust23THRUST_200600_302600_NS5tupleIblNS6_9null_typeES8_S8_S8_S8_S8_S8_S8_EEEEZNS1_11reduce_implILb1ES3_PS9_SC_S9_NS6_11hip_rocprim9__find_if7functorIS9_EEEE10hipError_tPvRmT1_T2_T3_mT4_P12ihipStream_tbEUlT_E0_NS1_11comp_targetILNS1_3genE8ELNS1_11target_archE1030ELNS1_3gpuE2ELNS1_3repE0EEENS1_30default_config_static_selectorELNS0_4arch9wavefront6targetE1EEEvSK_,comdat
.Lfunc_end171:
	.size	_ZN7rocprim17ROCPRIM_400000_NS6detail17trampoline_kernelINS0_14default_configENS1_22reduce_config_selectorIN6thrust23THRUST_200600_302600_NS5tupleIblNS6_9null_typeES8_S8_S8_S8_S8_S8_S8_EEEEZNS1_11reduce_implILb1ES3_PS9_SC_S9_NS6_11hip_rocprim9__find_if7functorIS9_EEEE10hipError_tPvRmT1_T2_T3_mT4_P12ihipStream_tbEUlT_E0_NS1_11comp_targetILNS1_3genE8ELNS1_11target_archE1030ELNS1_3gpuE2ELNS1_3repE0EEENS1_30default_config_static_selectorELNS0_4arch9wavefront6targetE1EEEvSK_, .Lfunc_end171-_ZN7rocprim17ROCPRIM_400000_NS6detail17trampoline_kernelINS0_14default_configENS1_22reduce_config_selectorIN6thrust23THRUST_200600_302600_NS5tupleIblNS6_9null_typeES8_S8_S8_S8_S8_S8_S8_EEEEZNS1_11reduce_implILb1ES3_PS9_SC_S9_NS6_11hip_rocprim9__find_if7functorIS9_EEEE10hipError_tPvRmT1_T2_T3_mT4_P12ihipStream_tbEUlT_E0_NS1_11comp_targetILNS1_3genE8ELNS1_11target_archE1030ELNS1_3gpuE2ELNS1_3repE0EEENS1_30default_config_static_selectorELNS0_4arch9wavefront6targetE1EEEvSK_
                                        ; -- End function
	.set _ZN7rocprim17ROCPRIM_400000_NS6detail17trampoline_kernelINS0_14default_configENS1_22reduce_config_selectorIN6thrust23THRUST_200600_302600_NS5tupleIblNS6_9null_typeES8_S8_S8_S8_S8_S8_S8_EEEEZNS1_11reduce_implILb1ES3_PS9_SC_S9_NS6_11hip_rocprim9__find_if7functorIS9_EEEE10hipError_tPvRmT1_T2_T3_mT4_P12ihipStream_tbEUlT_E0_NS1_11comp_targetILNS1_3genE8ELNS1_11target_archE1030ELNS1_3gpuE2ELNS1_3repE0EEENS1_30default_config_static_selectorELNS0_4arch9wavefront6targetE1EEEvSK_.num_vgpr, 0
	.set _ZN7rocprim17ROCPRIM_400000_NS6detail17trampoline_kernelINS0_14default_configENS1_22reduce_config_selectorIN6thrust23THRUST_200600_302600_NS5tupleIblNS6_9null_typeES8_S8_S8_S8_S8_S8_S8_EEEEZNS1_11reduce_implILb1ES3_PS9_SC_S9_NS6_11hip_rocprim9__find_if7functorIS9_EEEE10hipError_tPvRmT1_T2_T3_mT4_P12ihipStream_tbEUlT_E0_NS1_11comp_targetILNS1_3genE8ELNS1_11target_archE1030ELNS1_3gpuE2ELNS1_3repE0EEENS1_30default_config_static_selectorELNS0_4arch9wavefront6targetE1EEEvSK_.num_agpr, 0
	.set _ZN7rocprim17ROCPRIM_400000_NS6detail17trampoline_kernelINS0_14default_configENS1_22reduce_config_selectorIN6thrust23THRUST_200600_302600_NS5tupleIblNS6_9null_typeES8_S8_S8_S8_S8_S8_S8_EEEEZNS1_11reduce_implILb1ES3_PS9_SC_S9_NS6_11hip_rocprim9__find_if7functorIS9_EEEE10hipError_tPvRmT1_T2_T3_mT4_P12ihipStream_tbEUlT_E0_NS1_11comp_targetILNS1_3genE8ELNS1_11target_archE1030ELNS1_3gpuE2ELNS1_3repE0EEENS1_30default_config_static_selectorELNS0_4arch9wavefront6targetE1EEEvSK_.numbered_sgpr, 0
	.set _ZN7rocprim17ROCPRIM_400000_NS6detail17trampoline_kernelINS0_14default_configENS1_22reduce_config_selectorIN6thrust23THRUST_200600_302600_NS5tupleIblNS6_9null_typeES8_S8_S8_S8_S8_S8_S8_EEEEZNS1_11reduce_implILb1ES3_PS9_SC_S9_NS6_11hip_rocprim9__find_if7functorIS9_EEEE10hipError_tPvRmT1_T2_T3_mT4_P12ihipStream_tbEUlT_E0_NS1_11comp_targetILNS1_3genE8ELNS1_11target_archE1030ELNS1_3gpuE2ELNS1_3repE0EEENS1_30default_config_static_selectorELNS0_4arch9wavefront6targetE1EEEvSK_.num_named_barrier, 0
	.set _ZN7rocprim17ROCPRIM_400000_NS6detail17trampoline_kernelINS0_14default_configENS1_22reduce_config_selectorIN6thrust23THRUST_200600_302600_NS5tupleIblNS6_9null_typeES8_S8_S8_S8_S8_S8_S8_EEEEZNS1_11reduce_implILb1ES3_PS9_SC_S9_NS6_11hip_rocprim9__find_if7functorIS9_EEEE10hipError_tPvRmT1_T2_T3_mT4_P12ihipStream_tbEUlT_E0_NS1_11comp_targetILNS1_3genE8ELNS1_11target_archE1030ELNS1_3gpuE2ELNS1_3repE0EEENS1_30default_config_static_selectorELNS0_4arch9wavefront6targetE1EEEvSK_.private_seg_size, 0
	.set _ZN7rocprim17ROCPRIM_400000_NS6detail17trampoline_kernelINS0_14default_configENS1_22reduce_config_selectorIN6thrust23THRUST_200600_302600_NS5tupleIblNS6_9null_typeES8_S8_S8_S8_S8_S8_S8_EEEEZNS1_11reduce_implILb1ES3_PS9_SC_S9_NS6_11hip_rocprim9__find_if7functorIS9_EEEE10hipError_tPvRmT1_T2_T3_mT4_P12ihipStream_tbEUlT_E0_NS1_11comp_targetILNS1_3genE8ELNS1_11target_archE1030ELNS1_3gpuE2ELNS1_3repE0EEENS1_30default_config_static_selectorELNS0_4arch9wavefront6targetE1EEEvSK_.uses_vcc, 0
	.set _ZN7rocprim17ROCPRIM_400000_NS6detail17trampoline_kernelINS0_14default_configENS1_22reduce_config_selectorIN6thrust23THRUST_200600_302600_NS5tupleIblNS6_9null_typeES8_S8_S8_S8_S8_S8_S8_EEEEZNS1_11reduce_implILb1ES3_PS9_SC_S9_NS6_11hip_rocprim9__find_if7functorIS9_EEEE10hipError_tPvRmT1_T2_T3_mT4_P12ihipStream_tbEUlT_E0_NS1_11comp_targetILNS1_3genE8ELNS1_11target_archE1030ELNS1_3gpuE2ELNS1_3repE0EEENS1_30default_config_static_selectorELNS0_4arch9wavefront6targetE1EEEvSK_.uses_flat_scratch, 0
	.set _ZN7rocprim17ROCPRIM_400000_NS6detail17trampoline_kernelINS0_14default_configENS1_22reduce_config_selectorIN6thrust23THRUST_200600_302600_NS5tupleIblNS6_9null_typeES8_S8_S8_S8_S8_S8_S8_EEEEZNS1_11reduce_implILb1ES3_PS9_SC_S9_NS6_11hip_rocprim9__find_if7functorIS9_EEEE10hipError_tPvRmT1_T2_T3_mT4_P12ihipStream_tbEUlT_E0_NS1_11comp_targetILNS1_3genE8ELNS1_11target_archE1030ELNS1_3gpuE2ELNS1_3repE0EEENS1_30default_config_static_selectorELNS0_4arch9wavefront6targetE1EEEvSK_.has_dyn_sized_stack, 0
	.set _ZN7rocprim17ROCPRIM_400000_NS6detail17trampoline_kernelINS0_14default_configENS1_22reduce_config_selectorIN6thrust23THRUST_200600_302600_NS5tupleIblNS6_9null_typeES8_S8_S8_S8_S8_S8_S8_EEEEZNS1_11reduce_implILb1ES3_PS9_SC_S9_NS6_11hip_rocprim9__find_if7functorIS9_EEEE10hipError_tPvRmT1_T2_T3_mT4_P12ihipStream_tbEUlT_E0_NS1_11comp_targetILNS1_3genE8ELNS1_11target_archE1030ELNS1_3gpuE2ELNS1_3repE0EEENS1_30default_config_static_selectorELNS0_4arch9wavefront6targetE1EEEvSK_.has_recursion, 0
	.set _ZN7rocprim17ROCPRIM_400000_NS6detail17trampoline_kernelINS0_14default_configENS1_22reduce_config_selectorIN6thrust23THRUST_200600_302600_NS5tupleIblNS6_9null_typeES8_S8_S8_S8_S8_S8_S8_EEEEZNS1_11reduce_implILb1ES3_PS9_SC_S9_NS6_11hip_rocprim9__find_if7functorIS9_EEEE10hipError_tPvRmT1_T2_T3_mT4_P12ihipStream_tbEUlT_E0_NS1_11comp_targetILNS1_3genE8ELNS1_11target_archE1030ELNS1_3gpuE2ELNS1_3repE0EEENS1_30default_config_static_selectorELNS0_4arch9wavefront6targetE1EEEvSK_.has_indirect_call, 0
	.section	.AMDGPU.csdata,"",@progbits
; Kernel info:
; codeLenInByte = 0
; TotalNumSgprs: 6
; NumVgprs: 0
; NumAgprs: 0
; TotalNumVgprs: 0
; ScratchSize: 0
; MemoryBound: 0
; FloatMode: 240
; IeeeMode: 1
; LDSByteSize: 0 bytes/workgroup (compile time only)
; SGPRBlocks: 0
; VGPRBlocks: 0
; NumSGPRsForWavesPerEU: 6
; NumVGPRsForWavesPerEU: 1
; AccumOffset: 4
; Occupancy: 8
; WaveLimiterHint : 0
; COMPUTE_PGM_RSRC2:SCRATCH_EN: 0
; COMPUTE_PGM_RSRC2:USER_SGPR: 2
; COMPUTE_PGM_RSRC2:TRAP_HANDLER: 0
; COMPUTE_PGM_RSRC2:TGID_X_EN: 1
; COMPUTE_PGM_RSRC2:TGID_Y_EN: 0
; COMPUTE_PGM_RSRC2:TGID_Z_EN: 0
; COMPUTE_PGM_RSRC2:TIDIG_COMP_CNT: 0
; COMPUTE_PGM_RSRC3_GFX90A:ACCUM_OFFSET: 0
; COMPUTE_PGM_RSRC3_GFX90A:TG_SPLIT: 0
	.section	.text._ZN7rocprim17ROCPRIM_400000_NS6detail17trampoline_kernelINS0_14default_configENS1_22reduce_config_selectorIN6thrust23THRUST_200600_302600_NS5tupleIblNS6_9null_typeES8_S8_S8_S8_S8_S8_S8_EEEEZNS1_11reduce_implILb1ES3_PS9_SC_S9_NS6_11hip_rocprim9__find_if7functorIS9_EEEE10hipError_tPvRmT1_T2_T3_mT4_P12ihipStream_tbEUlT_E1_NS1_11comp_targetILNS1_3genE0ELNS1_11target_archE4294967295ELNS1_3gpuE0ELNS1_3repE0EEENS1_30default_config_static_selectorELNS0_4arch9wavefront6targetE1EEEvSK_,"axG",@progbits,_ZN7rocprim17ROCPRIM_400000_NS6detail17trampoline_kernelINS0_14default_configENS1_22reduce_config_selectorIN6thrust23THRUST_200600_302600_NS5tupleIblNS6_9null_typeES8_S8_S8_S8_S8_S8_S8_EEEEZNS1_11reduce_implILb1ES3_PS9_SC_S9_NS6_11hip_rocprim9__find_if7functorIS9_EEEE10hipError_tPvRmT1_T2_T3_mT4_P12ihipStream_tbEUlT_E1_NS1_11comp_targetILNS1_3genE0ELNS1_11target_archE4294967295ELNS1_3gpuE0ELNS1_3repE0EEENS1_30default_config_static_selectorELNS0_4arch9wavefront6targetE1EEEvSK_,comdat
	.protected	_ZN7rocprim17ROCPRIM_400000_NS6detail17trampoline_kernelINS0_14default_configENS1_22reduce_config_selectorIN6thrust23THRUST_200600_302600_NS5tupleIblNS6_9null_typeES8_S8_S8_S8_S8_S8_S8_EEEEZNS1_11reduce_implILb1ES3_PS9_SC_S9_NS6_11hip_rocprim9__find_if7functorIS9_EEEE10hipError_tPvRmT1_T2_T3_mT4_P12ihipStream_tbEUlT_E1_NS1_11comp_targetILNS1_3genE0ELNS1_11target_archE4294967295ELNS1_3gpuE0ELNS1_3repE0EEENS1_30default_config_static_selectorELNS0_4arch9wavefront6targetE1EEEvSK_ ; -- Begin function _ZN7rocprim17ROCPRIM_400000_NS6detail17trampoline_kernelINS0_14default_configENS1_22reduce_config_selectorIN6thrust23THRUST_200600_302600_NS5tupleIblNS6_9null_typeES8_S8_S8_S8_S8_S8_S8_EEEEZNS1_11reduce_implILb1ES3_PS9_SC_S9_NS6_11hip_rocprim9__find_if7functorIS9_EEEE10hipError_tPvRmT1_T2_T3_mT4_P12ihipStream_tbEUlT_E1_NS1_11comp_targetILNS1_3genE0ELNS1_11target_archE4294967295ELNS1_3gpuE0ELNS1_3repE0EEENS1_30default_config_static_selectorELNS0_4arch9wavefront6targetE1EEEvSK_
	.globl	_ZN7rocprim17ROCPRIM_400000_NS6detail17trampoline_kernelINS0_14default_configENS1_22reduce_config_selectorIN6thrust23THRUST_200600_302600_NS5tupleIblNS6_9null_typeES8_S8_S8_S8_S8_S8_S8_EEEEZNS1_11reduce_implILb1ES3_PS9_SC_S9_NS6_11hip_rocprim9__find_if7functorIS9_EEEE10hipError_tPvRmT1_T2_T3_mT4_P12ihipStream_tbEUlT_E1_NS1_11comp_targetILNS1_3genE0ELNS1_11target_archE4294967295ELNS1_3gpuE0ELNS1_3repE0EEENS1_30default_config_static_selectorELNS0_4arch9wavefront6targetE1EEEvSK_
	.p2align	8
	.type	_ZN7rocprim17ROCPRIM_400000_NS6detail17trampoline_kernelINS0_14default_configENS1_22reduce_config_selectorIN6thrust23THRUST_200600_302600_NS5tupleIblNS6_9null_typeES8_S8_S8_S8_S8_S8_S8_EEEEZNS1_11reduce_implILb1ES3_PS9_SC_S9_NS6_11hip_rocprim9__find_if7functorIS9_EEEE10hipError_tPvRmT1_T2_T3_mT4_P12ihipStream_tbEUlT_E1_NS1_11comp_targetILNS1_3genE0ELNS1_11target_archE4294967295ELNS1_3gpuE0ELNS1_3repE0EEENS1_30default_config_static_selectorELNS0_4arch9wavefront6targetE1EEEvSK_,@function
_ZN7rocprim17ROCPRIM_400000_NS6detail17trampoline_kernelINS0_14default_configENS1_22reduce_config_selectorIN6thrust23THRUST_200600_302600_NS5tupleIblNS6_9null_typeES8_S8_S8_S8_S8_S8_S8_EEEEZNS1_11reduce_implILb1ES3_PS9_SC_S9_NS6_11hip_rocprim9__find_if7functorIS9_EEEE10hipError_tPvRmT1_T2_T3_mT4_P12ihipStream_tbEUlT_E1_NS1_11comp_targetILNS1_3genE0ELNS1_11target_archE4294967295ELNS1_3gpuE0ELNS1_3repE0EEENS1_30default_config_static_selectorELNS0_4arch9wavefront6targetE1EEEvSK_: ; @_ZN7rocprim17ROCPRIM_400000_NS6detail17trampoline_kernelINS0_14default_configENS1_22reduce_config_selectorIN6thrust23THRUST_200600_302600_NS5tupleIblNS6_9null_typeES8_S8_S8_S8_S8_S8_S8_EEEEZNS1_11reduce_implILb1ES3_PS9_SC_S9_NS6_11hip_rocprim9__find_if7functorIS9_EEEE10hipError_tPvRmT1_T2_T3_mT4_P12ihipStream_tbEUlT_E1_NS1_11comp_targetILNS1_3genE0ELNS1_11target_archE4294967295ELNS1_3gpuE0ELNS1_3repE0EEENS1_30default_config_static_selectorELNS0_4arch9wavefront6targetE1EEEvSK_
; %bb.0:
	s_load_dword s29, s[0:1], 0x4
	s_load_dwordx4 s[20:23], s[0:1], 0x8
	s_load_dword s28, s[0:1], 0x20
	s_load_dwordx2 s[18:19], s[0:1], 0x28
	s_waitcnt lgkmcnt(0)
	s_cmp_lt_i32 s29, 4
	s_cbranch_scc1 .LBB172_37
; %bb.1:
	s_cmp_gt_i32 s29, 7
	s_cbranch_scc0 .LBB172_38
; %bb.2:
	s_cmp_eq_u32 s29, 8
	s_mov_b64 s[24:25], 0
	s_cbranch_scc0 .LBB172_39
; %bb.3:
	s_mov_b32 s3, 0
	s_lshl_b32 s8, s2, 10
	s_mov_b32 s9, s3
	s_lshr_b64 s[4:5], s[22:23], 10
	s_lshl_b64 s[6:7], s[8:9], 4
	s_add_u32 s16, s20, s6
	s_addc_u32 s17, s21, s7
	s_cmp_lg_u64 s[4:5], s[2:3]
	s_cbranch_scc0 .LBB172_60
; %bb.4:
	v_lshlrev_b32_e32 v2, 4, v0
	v_mov_b32_e32 v3, 0
	v_lshl_add_u64 v[4:5], s[16:17], 0, v[2:3]
	global_load_ubyte v25, v2, s[16:17]
	global_load_dwordx2 v[16:17], v2, s[16:17] offset:8
	global_load_ubyte v26, v2, s[16:17] offset:2048
	global_load_dwordx2 v[18:19], v2, s[16:17] offset:2056
	v_add_co_u32_e32 v2, vcc, 0x1000, v4
	s_nop 1
	v_addc_co_u32_e32 v3, vcc, 0, v5, vcc
	global_load_ubyte v24, v[2:3], off
	global_load_dwordx2 v[12:13], v[2:3], off offset:8
	global_load_ubyte v23, v[2:3], off offset:2048
	global_load_dwordx2 v[10:11], v[2:3], off offset:2056
	v_add_co_u32_e32 v2, vcc, 0x2000, v4
	s_nop 1
	v_addc_co_u32_e32 v3, vcc, 0, v5, vcc
	v_add_co_u32_e32 v14, vcc, 0x3000, v4
	global_load_ubyte v22, v[2:3], off
	global_load_dwordx2 v[8:9], v[2:3], off offset:8
	global_load_ubyte v21, v[2:3], off offset:2048
	global_load_dwordx2 v[6:7], v[2:3], off offset:2056
	v_addc_co_u32_e32 v15, vcc, 0, v5, vcc
	global_load_ubyte v20, v[14:15], off
	global_load_dwordx2 v[4:5], v[14:15], off offset:8
	global_load_ubyte v1, v[14:15], off offset:2048
	global_load_dwordx2 v[2:3], v[14:15], off offset:2056
	s_waitcnt vmcnt(13)
	v_and_b32_e32 v14, v26, v25
	v_and_b32_e32 v14, 1, v14
	v_cmp_eq_u32_e32 vcc, 1, v14
                                        ; implicit-def: $vgpr14_vgpr15
	s_and_saveexec_b64 s[4:5], vcc
	s_xor_b64 s[4:5], exec, s[4:5]
	s_cbranch_execz .LBB172_6
; %bb.5:
	s_waitcnt vmcnt(12)
	v_cmp_lt_i64_e32 vcc, v[18:19], v[16:17]
                                        ; implicit-def: $vgpr25
                                        ; implicit-def: $vgpr26
	s_nop 1
	v_cndmask_b32_e32 v15, v17, v19, vcc
	v_cndmask_b32_e32 v14, v16, v18, vcc
                                        ; implicit-def: $vgpr18_vgpr19
                                        ; implicit-def: $vgpr16_vgpr17
.LBB172_6:
	s_or_saveexec_b64 s[6:7], s[4:5]
	s_mov_b64 s[10:11], -1
	s_xor_b64 exec, exec, s[6:7]
	s_cbranch_execz .LBB172_8
; %bb.7:
	s_movk_i32 s4, 0xff
	v_and_b32_e32 v14, 1, v25
	v_bitop3_b16 v15, v26, s4, v25 bitop3:0xc8
	v_cmp_ne_u16_e32 vcc, 0, v15
	v_cmp_eq_u32_e64 s[4:5], 1, v14
	s_orn2_b64 s[10:11], vcc, exec
	s_waitcnt vmcnt(12)
	v_cndmask_b32_e64 v15, v19, v17, s[4:5]
	v_cndmask_b32_e64 v14, v18, v16, s[4:5]
.LBB172_8:
	s_or_b64 exec, exec, s[6:7]
	s_waitcnt vmcnt(11)
	v_and_b32_e32 v16, 1, v24
	v_cmp_eq_u32_e32 vcc, 1, v16
	s_and_b64 s[4:5], s[10:11], vcc
	s_xor_b64 s[6:7], s[4:5], -1
                                        ; implicit-def: $sgpr4_sgpr5
                                        ; implicit-def: $vgpr16_vgpr17
	s_and_saveexec_b64 s[12:13], s[6:7]
	s_xor_b64 s[6:7], exec, s[12:13]
	s_cbranch_execz .LBB172_10
; %bb.9:
	s_or_b64 s[4:5], s[10:11], vcc
	s_waitcnt vmcnt(10)
	v_cndmask_b32_e64 v17, v13, v15, s[10:11]
	v_cndmask_b32_e64 v16, v12, v14, s[10:11]
                                        ; implicit-def: $vgpr12_vgpr13
                                        ; implicit-def: $vgpr14_vgpr15
.LBB172_10:
	s_andn2_saveexec_b64 s[6:7], s[6:7]
	s_cbranch_execz .LBB172_12
; %bb.11:
	s_waitcnt vmcnt(10)
	v_cmp_lt_i64_e32 vcc, v[12:13], v[14:15]
	s_or_b64 s[4:5], s[4:5], exec
	s_nop 0
	v_cndmask_b32_e32 v17, v15, v13, vcc
	v_cndmask_b32_e32 v16, v14, v12, vcc
.LBB172_12:
	s_or_b64 exec, exec, s[6:7]
	s_waitcnt vmcnt(9)
	v_and_b32_e32 v12, 1, v23
	v_cmp_eq_u32_e32 vcc, 1, v12
	s_and_b64 s[6:7], s[4:5], vcc
	s_xor_b64 s[10:11], s[6:7], -1
                                        ; implicit-def: $sgpr6_sgpr7
                                        ; implicit-def: $vgpr12_vgpr13
	s_and_saveexec_b64 s[12:13], s[10:11]
	s_xor_b64 s[10:11], exec, s[12:13]
	s_cbranch_execz .LBB172_14
; %bb.13:
	s_or_b64 s[6:7], s[4:5], vcc
	s_waitcnt vmcnt(8)
	v_cndmask_b32_e64 v13, v11, v17, s[4:5]
	v_cndmask_b32_e64 v12, v10, v16, s[4:5]
                                        ; implicit-def: $vgpr10_vgpr11
                                        ; implicit-def: $vgpr16_vgpr17
.LBB172_14:
	s_andn2_saveexec_b64 s[4:5], s[10:11]
	s_cbranch_execz .LBB172_16
; %bb.15:
	s_waitcnt vmcnt(8)
	v_cmp_lt_i64_e32 vcc, v[10:11], v[16:17]
	s_or_b64 s[6:7], s[6:7], exec
	s_nop 0
	v_cndmask_b32_e32 v13, v17, v11, vcc
	v_cndmask_b32_e32 v12, v16, v10, vcc
.LBB172_16:
	s_or_b64 exec, exec, s[4:5]
	s_waitcnt vmcnt(7)
	v_and_b32_e32 v10, 1, v22
	v_cmp_eq_u32_e32 vcc, 1, v10
	s_and_b64 s[4:5], s[6:7], vcc
	s_xor_b64 s[10:11], s[4:5], -1
                                        ; implicit-def: $sgpr4_sgpr5
                                        ; implicit-def: $vgpr10_vgpr11
	s_and_saveexec_b64 s[12:13], s[10:11]
	s_xor_b64 s[10:11], exec, s[12:13]
	s_cbranch_execz .LBB172_18
; %bb.17:
	s_or_b64 s[4:5], s[6:7], vcc
	s_waitcnt vmcnt(6)
	v_cndmask_b32_e64 v11, v9, v13, s[6:7]
	v_cndmask_b32_e64 v10, v8, v12, s[6:7]
                                        ; implicit-def: $vgpr8_vgpr9
                                        ; implicit-def: $vgpr12_vgpr13
.LBB172_18:
	s_andn2_saveexec_b64 s[6:7], s[10:11]
	s_cbranch_execz .LBB172_20
; %bb.19:
	s_waitcnt vmcnt(6)
	v_cmp_lt_i64_e32 vcc, v[8:9], v[12:13]
	s_or_b64 s[4:5], s[4:5], exec
	s_nop 0
	v_cndmask_b32_e32 v11, v13, v9, vcc
	v_cndmask_b32_e32 v10, v12, v8, vcc
.LBB172_20:
	s_or_b64 exec, exec, s[6:7]
	s_waitcnt vmcnt(5)
	v_and_b32_e32 v8, 1, v21
	v_cmp_eq_u32_e32 vcc, 1, v8
	s_and_b64 s[6:7], s[4:5], vcc
	s_xor_b64 s[10:11], s[6:7], -1
                                        ; implicit-def: $sgpr6_sgpr7
                                        ; implicit-def: $vgpr8_vgpr9
	s_and_saveexec_b64 s[12:13], s[10:11]
	s_xor_b64 s[10:11], exec, s[12:13]
	s_cbranch_execz .LBB172_22
; %bb.21:
	s_or_b64 s[6:7], s[4:5], vcc
	s_waitcnt vmcnt(4)
	v_cndmask_b32_e64 v9, v7, v11, s[4:5]
	v_cndmask_b32_e64 v8, v6, v10, s[4:5]
                                        ; implicit-def: $vgpr6_vgpr7
                                        ; implicit-def: $vgpr10_vgpr11
.LBB172_22:
	s_andn2_saveexec_b64 s[4:5], s[10:11]
	s_cbranch_execz .LBB172_24
; %bb.23:
	s_waitcnt vmcnt(4)
	v_cmp_lt_i64_e32 vcc, v[6:7], v[10:11]
	s_or_b64 s[6:7], s[6:7], exec
	s_nop 0
	v_cndmask_b32_e32 v9, v11, v7, vcc
	v_cndmask_b32_e32 v8, v10, v6, vcc
.LBB172_24:
	s_or_b64 exec, exec, s[4:5]
	s_waitcnt vmcnt(3)
	v_and_b32_e32 v6, 1, v20
	v_cmp_eq_u32_e32 vcc, 1, v6
	s_and_b64 s[4:5], s[6:7], vcc
	s_xor_b64 s[4:5], s[4:5], -1
                                        ; implicit-def: $sgpr10_sgpr11
                                        ; implicit-def: $vgpr6_vgpr7
	s_and_saveexec_b64 s[12:13], s[4:5]
	s_xor_b64 s[4:5], exec, s[12:13]
	s_cbranch_execz .LBB172_26
; %bb.25:
	s_or_b64 s[10:11], s[6:7], vcc
	s_waitcnt vmcnt(2)
	v_cndmask_b32_e64 v7, v5, v9, s[6:7]
	v_cndmask_b32_e64 v6, v4, v8, s[6:7]
                                        ; implicit-def: $vgpr4_vgpr5
                                        ; implicit-def: $vgpr8_vgpr9
.LBB172_26:
	s_andn2_saveexec_b64 s[4:5], s[4:5]
	s_cbranch_execz .LBB172_28
; %bb.27:
	s_waitcnt vmcnt(2)
	v_cmp_lt_i64_e32 vcc, v[4:5], v[8:9]
	s_or_b64 s[10:11], s[10:11], exec
	s_nop 0
	v_cndmask_b32_e32 v7, v9, v5, vcc
	v_cndmask_b32_e32 v6, v8, v4, vcc
.LBB172_28:
	s_or_b64 exec, exec, s[4:5]
	s_waitcnt vmcnt(1)
	v_and_b32_e32 v4, 1, v1
	v_cmp_eq_u32_e32 vcc, 1, v4
	s_waitcnt vmcnt(0)
	v_cmp_lt_i64_e64 s[4:5], v[2:3], v[6:7]
	s_and_b64 vcc, vcc, s[4:5]
	v_cndmask_b32_e32 v4, v6, v2, vcc
	v_cndmask_b32_e32 v5, v7, v3, vcc
	v_cndmask_b32_e64 v1, v1, 1, s[10:11]
	v_cndmask_b32_e64 v3, v3, v5, s[10:11]
	v_cndmask_b32_e64 v2, v2, v4, s[10:11]
	v_and_b32_e32 v5, 0xff, v1
	v_mov_b32_dpp v7, v3 quad_perm:[1,0,3,2] row_mask:0xf bank_mask:0xf bound_ctrl:1
	v_mov_b32_dpp v6, v2 quad_perm:[1,0,3,2] row_mask:0xf bank_mask:0xf bound_ctrl:1
	v_and_b32_e32 v1, 1, v1
	v_mov_b32_dpp v8, v5 quad_perm:[1,0,3,2] row_mask:0xf bank_mask:0xf bound_ctrl:1
	v_cmp_eq_u32_e32 vcc, 1, v1
	v_cmp_lt_i64_e64 s[4:5], v[2:3], v[6:7]
	v_and_b32_e32 v8, 1, v8
	s_and_b64 vcc, vcc, s[4:5]
	v_cndmask_b32_e32 v1, v6, v2, vcc
	v_cndmask_b32_e32 v6, v7, v3, vcc
	v_cmp_eq_u32_e32 vcc, 1, v8
	v_mbcnt_lo_u32_b32 v4, -1, 0
	v_mbcnt_hi_u32_b32 v4, -1, v4
	v_cndmask_b32_e32 v3, v3, v6, vcc
	v_cndmask_b32_e32 v2, v2, v1, vcc
	v_cndmask_b32_e64 v1, v5, 1, vcc
	v_mov_b32_dpp v7, v3 quad_perm:[2,3,0,1] row_mask:0xf bank_mask:0xf bound_ctrl:1
	v_mov_b32_dpp v6, v2 quad_perm:[2,3,0,1] row_mask:0xf bank_mask:0xf bound_ctrl:1
	v_and_b32_e32 v8, 1, v1
	v_mov_b32_dpp v5, v1 quad_perm:[2,3,0,1] row_mask:0xf bank_mask:0xf bound_ctrl:1
	v_cmp_eq_u32_e32 vcc, 1, v8
	v_cmp_lt_i64_e64 s[4:5], v[2:3], v[6:7]
	v_and_b32_e32 v5, 1, v5
	s_and_b64 vcc, vcc, s[4:5]
	v_cmp_eq_u32_e64 s[6:7], 1, v5
	v_cndmask_b32_e32 v5, v6, v2, vcc
	v_cndmask_b32_e32 v6, v7, v3, vcc
	v_cndmask_b32_e64 v1, v1, 1, s[6:7]
	v_cndmask_b32_e64 v3, v3, v6, s[6:7]
	;; [unrolled: 1-line block ×3, first 2 shown]
	v_and_b32_e32 v8, 1, v1
	v_mov_b32_dpp v7, v3 row_ror:4 row_mask:0xf bank_mask:0xf bound_ctrl:1
	v_mov_b32_dpp v6, v2 row_ror:4 row_mask:0xf bank_mask:0xf bound_ctrl:1
	;; [unrolled: 1-line block ×3, first 2 shown]
	v_cmp_eq_u32_e32 vcc, 1, v8
	v_cmp_lt_i64_e64 s[4:5], v[2:3], v[6:7]
	v_and_b32_e32 v5, 1, v5
	s_and_b64 vcc, vcc, s[4:5]
	v_cmp_eq_u32_e64 s[6:7], 1, v5
	v_cndmask_b32_e32 v5, v6, v2, vcc
	v_cndmask_b32_e32 v6, v7, v3, vcc
	v_cndmask_b32_e64 v1, v1, 1, s[6:7]
	v_cndmask_b32_e64 v3, v3, v6, s[6:7]
	;; [unrolled: 1-line block ×3, first 2 shown]
	v_and_b32_e32 v8, 1, v1
	v_mov_b32_dpp v7, v3 row_ror:8 row_mask:0xf bank_mask:0xf bound_ctrl:1
	v_mov_b32_dpp v6, v2 row_ror:8 row_mask:0xf bank_mask:0xf bound_ctrl:1
	;; [unrolled: 1-line block ×3, first 2 shown]
	v_cmp_eq_u32_e32 vcc, 1, v8
	v_cmp_lt_i64_e64 s[4:5], v[2:3], v[6:7]
	v_and_b32_e32 v5, 1, v5
	s_and_b64 vcc, vcc, s[4:5]
	v_cmp_eq_u32_e64 s[6:7], 1, v5
	v_cndmask_b32_e32 v5, v6, v2, vcc
	v_cndmask_b32_e32 v6, v7, v3, vcc
	v_cndmask_b32_e64 v1, v1, 1, s[6:7]
	v_cndmask_b32_e64 v3, v3, v6, s[6:7]
	;; [unrolled: 1-line block ×3, first 2 shown]
	v_and_b32_e32 v8, 1, v1
	v_mov_b32_dpp v7, v3 row_bcast:15 row_mask:0xf bank_mask:0xf bound_ctrl:1
	v_mov_b32_dpp v6, v2 row_bcast:15 row_mask:0xf bank_mask:0xf bound_ctrl:1
	;; [unrolled: 1-line block ×3, first 2 shown]
	v_cmp_eq_u32_e32 vcc, 1, v8
	v_cmp_lt_i64_e64 s[4:5], v[2:3], v[6:7]
	v_and_b32_e32 v5, 1, v5
	s_and_b64 vcc, vcc, s[4:5]
	v_cmp_eq_u32_e64 s[6:7], 1, v5
	v_cndmask_b32_e32 v5, v6, v2, vcc
	v_cndmask_b32_e32 v6, v7, v3, vcc
	v_cndmask_b32_e64 v1, v1, 1, s[6:7]
	v_cndmask_b32_e64 v3, v3, v6, s[6:7]
	;; [unrolled: 1-line block ×3, first 2 shown]
	v_and_b32_e32 v8, 1, v1
	v_mov_b32_dpp v7, v3 row_bcast:31 row_mask:0xf bank_mask:0xf bound_ctrl:1
	v_mov_b32_dpp v6, v2 row_bcast:31 row_mask:0xf bank_mask:0xf bound_ctrl:1
	;; [unrolled: 1-line block ×3, first 2 shown]
	v_cmp_eq_u32_e32 vcc, 1, v8
	v_cmp_lt_i64_e64 s[4:5], v[2:3], v[6:7]
	v_and_b32_e32 v5, 1, v5
	s_and_b64 vcc, vcc, s[4:5]
	v_cmp_eq_u32_e64 s[6:7], 1, v5
	v_cndmask_b32_e32 v5, v6, v2, vcc
	v_cndmask_b32_e32 v6, v7, v3, vcc
	v_cndmask_b32_e64 v3, v3, v6, s[6:7]
	v_lshlrev_b32_e32 v6, 2, v4
	v_cndmask_b32_e64 v1, v1, 1, s[6:7]
	v_cndmask_b32_e64 v2, v2, v5, s[6:7]
	v_or_b32_e32 v5, 0xfc, v6
	ds_bpermute_b32 v1, v5, v1
	ds_bpermute_b32 v2, v5, v2
	;; [unrolled: 1-line block ×3, first 2 shown]
	v_cmp_eq_u32_e32 vcc, 0, v4
	s_and_saveexec_b64 s[4:5], vcc
	s_xor_b64 s[4:5], exec, s[4:5]
	s_cbranch_execz .LBB172_30
; %bb.29:
	v_lshrrev_b32_e32 v5, 2, v0
	v_and_b32_e32 v5, 16, v5
	s_waitcnt lgkmcnt(2)
	ds_write_b8 v5, v1 offset:96
	s_waitcnt lgkmcnt(1)
	ds_write_b64 v5, v[2:3] offset:104
.LBB172_30:
	s_or_b64 exec, exec, s[4:5]
	v_cmp_gt_u32_e32 vcc, 64, v0
	s_waitcnt lgkmcnt(0)
	s_barrier
	s_and_saveexec_b64 s[4:5], vcc
	s_cbranch_execz .LBB172_36
; %bb.31:
	v_and_b32_e32 v1, 1, v4
	v_lshlrev_b32_e32 v1, 4, v1
	ds_read_u8 v8, v1 offset:96
	ds_read_b64 v[4:5], v1 offset:104
	v_or_b32_e32 v2, 4, v6
	s_waitcnt lgkmcnt(1)
	v_and_b32_e32 v1, 0xff, v8
	ds_bpermute_b32 v9, v2, v1
	s_waitcnt lgkmcnt(1)
	ds_bpermute_b32 v6, v2, v4
	ds_bpermute_b32 v7, v2, v5
                                        ; implicit-def: $vgpr2_vgpr3
	s_waitcnt lgkmcnt(2)
	v_and_b32_e32 v1, v8, v9
	v_and_b32_e32 v1, 1, v1
	v_cmp_eq_u32_e32 vcc, 1, v1
	s_and_saveexec_b64 s[6:7], vcc
	s_xor_b64 s[6:7], exec, s[6:7]
	s_cbranch_execz .LBB172_33
; %bb.32:
	s_waitcnt lgkmcnt(0)
	v_cmp_lt_i64_e32 vcc, v[6:7], v[4:5]
                                        ; implicit-def: $vgpr8
                                        ; implicit-def: $vgpr9
	s_nop 1
	v_cndmask_b32_e32 v3, v5, v7, vcc
	v_cndmask_b32_e32 v2, v4, v6, vcc
                                        ; implicit-def: $vgpr6_vgpr7
                                        ; implicit-def: $vgpr4_vgpr5
.LBB172_33:
	s_or_saveexec_b64 s[6:7], s[6:7]
	v_mov_b32_e32 v1, 1
	s_xor_b64 exec, exec, s[6:7]
	s_cbranch_execz .LBB172_35
; %bb.34:
	v_and_b32_e32 v1, 1, v8
	v_cmp_eq_u32_e32 vcc, 1, v1
	s_waitcnt lgkmcnt(0)
	s_nop 0
	v_cndmask_b32_e32 v3, v7, v5, vcc
	v_cndmask_b32_e32 v2, v6, v4, vcc
	v_cndmask_b32_e64 v1, v9, 1, vcc
.LBB172_35:
	s_or_b64 exec, exec, s[6:7]
.LBB172_36:
	s_or_b64 exec, exec, s[4:5]
	s_branch .LBB172_177
.LBB172_37:
	s_mov_b64 s[12:13], 0
                                        ; implicit-def: $vgpr4_vgpr5
                                        ; implicit-def: $vgpr6
                                        ; implicit-def: $vgpr2_vgpr3
	s_cbranch_execnz .LBB172_251
	s_branch .LBB172_334
.LBB172_38:
	s_mov_b64 s[24:25], -1
.LBB172_39:
	s_mov_b64 s[12:13], 0
                                        ; implicit-def: $vgpr4_vgpr5
                                        ; implicit-def: $vgpr6
                                        ; implicit-def: $vgpr2_vgpr3
	s_and_b64 vcc, exec, s[24:25]
	s_cbranch_vccz .LBB172_182
.LBB172_40:
	s_cmp_eq_u32 s29, 4
	s_cbranch_scc0 .LBB172_59
; %bb.41:
	s_mov_b32 s3, 0
	s_lshl_b32 s10, s2, 9
	s_mov_b32 s11, s3
	s_lshr_b64 s[4:5], s[22:23], 9
	s_lshl_b64 s[6:7], s[10:11], 4
	s_add_u32 s8, s20, s6
	s_addc_u32 s9, s21, s7
	s_cmp_lg_u64 s[4:5], s[2:3]
	s_cbranch_scc0 .LBB172_83
; %bb.42:
	v_lshlrev_b32_e32 v2, 4, v0
	v_mov_b32_e32 v3, 0
	s_waitcnt lgkmcnt(0)
	v_lshl_add_u64 v[4:5], s[8:9], 0, v[2:3]
	v_add_co_u32_e32 v6, vcc, 0x1000, v4
	global_load_ubyte v13, v2, s[8:9]
	global_load_dwordx2 v[8:9], v2, s[8:9] offset:8
	global_load_ubyte v14, v2, s[8:9] offset:2048
	global_load_dwordx2 v[10:11], v2, s[8:9] offset:2056
	v_addc_co_u32_e32 v7, vcc, 0, v5, vcc
	global_load_ubyte v12, v[6:7], off
	global_load_dwordx2 v[4:5], v[6:7], off offset:8
	global_load_ubyte v1, v[6:7], off offset:2048
	global_load_dwordx2 v[2:3], v[6:7], off offset:2056
	s_waitcnt vmcnt(5)
	v_and_b32_e32 v6, v14, v13
	v_and_b32_e32 v6, 1, v6
	v_cmp_eq_u32_e32 vcc, 1, v6
                                        ; implicit-def: $vgpr6_vgpr7
	s_and_saveexec_b64 s[4:5], vcc
	s_xor_b64 s[4:5], exec, s[4:5]
	s_cbranch_execz .LBB172_44
; %bb.43:
	s_waitcnt vmcnt(4)
	v_cmp_lt_i64_e32 vcc, v[10:11], v[8:9]
                                        ; implicit-def: $vgpr13
                                        ; implicit-def: $vgpr14
	s_nop 1
	v_cndmask_b32_e32 v7, v9, v11, vcc
	v_cndmask_b32_e32 v6, v8, v10, vcc
                                        ; implicit-def: $vgpr10_vgpr11
                                        ; implicit-def: $vgpr8_vgpr9
.LBB172_44:
	s_or_saveexec_b64 s[6:7], s[4:5]
	s_mov_b64 s[4:5], -1
	s_xor_b64 exec, exec, s[6:7]
	s_cbranch_execz .LBB172_46
; %bb.45:
	s_movk_i32 s4, 0xff
	v_and_b32_e32 v6, 1, v13
	v_bitop3_b16 v7, v14, s4, v13 bitop3:0xc8
	v_cmp_ne_u16_e32 vcc, 0, v7
	v_cmp_eq_u32_e64 s[4:5], 1, v6
	s_waitcnt vmcnt(4)
	s_nop 0
	v_cndmask_b32_e64 v7, v11, v9, s[4:5]
	v_cndmask_b32_e64 v6, v10, v8, s[4:5]
	s_orn2_b64 s[4:5], vcc, exec
.LBB172_46:
	s_or_b64 exec, exec, s[6:7]
	s_waitcnt vmcnt(3)
	v_and_b32_e32 v8, 1, v12
	v_cmp_eq_u32_e32 vcc, 1, v8
	s_and_b64 s[6:7], s[4:5], vcc
	s_xor_b64 s[14:15], s[6:7], -1
                                        ; implicit-def: $sgpr6_sgpr7
                                        ; implicit-def: $vgpr8_vgpr9
	s_and_saveexec_b64 s[16:17], s[14:15]
	s_xor_b64 s[14:15], exec, s[16:17]
	s_cbranch_execz .LBB172_48
; %bb.47:
	s_or_b64 s[6:7], s[4:5], vcc
	s_waitcnt vmcnt(2)
	v_cndmask_b32_e64 v9, v5, v7, s[4:5]
	v_cndmask_b32_e64 v8, v4, v6, s[4:5]
                                        ; implicit-def: $vgpr4_vgpr5
                                        ; implicit-def: $vgpr6_vgpr7
.LBB172_48:
	s_andn2_saveexec_b64 s[4:5], s[14:15]
	s_cbranch_execz .LBB172_50
; %bb.49:
	s_waitcnt vmcnt(2)
	v_cmp_lt_i64_e32 vcc, v[4:5], v[6:7]
	s_or_b64 s[6:7], s[6:7], exec
	s_nop 0
	v_cndmask_b32_e32 v9, v7, v5, vcc
	v_cndmask_b32_e32 v8, v6, v4, vcc
.LBB172_50:
	s_or_b64 exec, exec, s[4:5]
	s_waitcnt vmcnt(1)
	v_and_b32_e32 v4, 1, v1
	v_cmp_eq_u32_e32 vcc, 1, v4
	s_waitcnt vmcnt(0)
	v_cmp_lt_i64_e64 s[4:5], v[2:3], v[8:9]
	s_and_b64 vcc, vcc, s[4:5]
	v_cndmask_b32_e32 v4, v8, v2, vcc
	v_cndmask_b32_e32 v5, v9, v3, vcc
	v_cndmask_b32_e64 v1, v1, 1, s[6:7]
	v_cndmask_b32_e64 v3, v3, v5, s[6:7]
	;; [unrolled: 1-line block ×3, first 2 shown]
	v_and_b32_e32 v5, 0xff, v1
	v_mov_b32_dpp v7, v3 quad_perm:[1,0,3,2] row_mask:0xf bank_mask:0xf bound_ctrl:1
	v_mov_b32_dpp v6, v2 quad_perm:[1,0,3,2] row_mask:0xf bank_mask:0xf bound_ctrl:1
	v_and_b32_e32 v1, 1, v1
	v_mov_b32_dpp v8, v5 quad_perm:[1,0,3,2] row_mask:0xf bank_mask:0xf bound_ctrl:1
	v_cmp_eq_u32_e32 vcc, 1, v1
	v_cmp_lt_i64_e64 s[4:5], v[2:3], v[6:7]
	v_and_b32_e32 v8, 1, v8
	s_and_b64 vcc, vcc, s[4:5]
	v_cndmask_b32_e32 v1, v6, v2, vcc
	v_cndmask_b32_e32 v6, v7, v3, vcc
	v_cmp_eq_u32_e32 vcc, 1, v8
	v_mbcnt_lo_u32_b32 v4, -1, 0
	v_mbcnt_hi_u32_b32 v4, -1, v4
	v_cndmask_b32_e32 v3, v3, v6, vcc
	v_cndmask_b32_e32 v2, v2, v1, vcc
	v_cndmask_b32_e64 v1, v5, 1, vcc
	v_mov_b32_dpp v7, v3 quad_perm:[2,3,0,1] row_mask:0xf bank_mask:0xf bound_ctrl:1
	v_mov_b32_dpp v6, v2 quad_perm:[2,3,0,1] row_mask:0xf bank_mask:0xf bound_ctrl:1
	v_and_b32_e32 v8, 1, v1
	v_mov_b32_dpp v5, v1 quad_perm:[2,3,0,1] row_mask:0xf bank_mask:0xf bound_ctrl:1
	v_cmp_eq_u32_e32 vcc, 1, v8
	v_cmp_lt_i64_e64 s[4:5], v[2:3], v[6:7]
	v_and_b32_e32 v5, 1, v5
	s_and_b64 vcc, vcc, s[4:5]
	v_cmp_eq_u32_e64 s[6:7], 1, v5
	v_cndmask_b32_e32 v5, v6, v2, vcc
	v_cndmask_b32_e32 v6, v7, v3, vcc
	v_cndmask_b32_e64 v1, v1, 1, s[6:7]
	v_cndmask_b32_e64 v3, v3, v6, s[6:7]
	;; [unrolled: 1-line block ×3, first 2 shown]
	v_and_b32_e32 v8, 1, v1
	v_mov_b32_dpp v7, v3 row_ror:4 row_mask:0xf bank_mask:0xf bound_ctrl:1
	v_mov_b32_dpp v6, v2 row_ror:4 row_mask:0xf bank_mask:0xf bound_ctrl:1
	;; [unrolled: 1-line block ×3, first 2 shown]
	v_cmp_eq_u32_e32 vcc, 1, v8
	v_cmp_lt_i64_e64 s[4:5], v[2:3], v[6:7]
	v_and_b32_e32 v5, 1, v5
	s_and_b64 vcc, vcc, s[4:5]
	v_cmp_eq_u32_e64 s[6:7], 1, v5
	v_cndmask_b32_e32 v5, v6, v2, vcc
	v_cndmask_b32_e32 v6, v7, v3, vcc
	v_cndmask_b32_e64 v1, v1, 1, s[6:7]
	v_cndmask_b32_e64 v3, v3, v6, s[6:7]
	;; [unrolled: 1-line block ×3, first 2 shown]
	v_and_b32_e32 v8, 1, v1
	v_mov_b32_dpp v7, v3 row_ror:8 row_mask:0xf bank_mask:0xf bound_ctrl:1
	v_mov_b32_dpp v6, v2 row_ror:8 row_mask:0xf bank_mask:0xf bound_ctrl:1
	;; [unrolled: 1-line block ×3, first 2 shown]
	v_cmp_eq_u32_e32 vcc, 1, v8
	v_cmp_lt_i64_e64 s[4:5], v[2:3], v[6:7]
	v_and_b32_e32 v5, 1, v5
	s_and_b64 vcc, vcc, s[4:5]
	v_cmp_eq_u32_e64 s[6:7], 1, v5
	v_cndmask_b32_e32 v5, v6, v2, vcc
	v_cndmask_b32_e32 v6, v7, v3, vcc
	v_cndmask_b32_e64 v1, v1, 1, s[6:7]
	v_cndmask_b32_e64 v3, v3, v6, s[6:7]
	;; [unrolled: 1-line block ×3, first 2 shown]
	v_and_b32_e32 v8, 1, v1
	v_mov_b32_dpp v7, v3 row_bcast:15 row_mask:0xf bank_mask:0xf bound_ctrl:1
	v_mov_b32_dpp v6, v2 row_bcast:15 row_mask:0xf bank_mask:0xf bound_ctrl:1
	;; [unrolled: 1-line block ×3, first 2 shown]
	v_cmp_eq_u32_e32 vcc, 1, v8
	v_cmp_lt_i64_e64 s[4:5], v[2:3], v[6:7]
	v_and_b32_e32 v5, 1, v5
	s_and_b64 vcc, vcc, s[4:5]
	v_cmp_eq_u32_e64 s[6:7], 1, v5
	v_cndmask_b32_e32 v5, v6, v2, vcc
	v_cndmask_b32_e32 v6, v7, v3, vcc
	v_cndmask_b32_e64 v1, v1, 1, s[6:7]
	v_cndmask_b32_e64 v3, v3, v6, s[6:7]
	;; [unrolled: 1-line block ×3, first 2 shown]
	v_and_b32_e32 v8, 1, v1
	v_mov_b32_dpp v7, v3 row_bcast:31 row_mask:0xf bank_mask:0xf bound_ctrl:1
	v_mov_b32_dpp v6, v2 row_bcast:31 row_mask:0xf bank_mask:0xf bound_ctrl:1
	;; [unrolled: 1-line block ×3, first 2 shown]
	v_cmp_eq_u32_e32 vcc, 1, v8
	v_cmp_lt_i64_e64 s[4:5], v[2:3], v[6:7]
	v_and_b32_e32 v5, 1, v5
	s_and_b64 vcc, vcc, s[4:5]
	v_cmp_eq_u32_e64 s[6:7], 1, v5
	v_cndmask_b32_e32 v5, v6, v2, vcc
	v_cndmask_b32_e32 v6, v7, v3, vcc
	v_cndmask_b32_e64 v3, v3, v6, s[6:7]
	v_lshlrev_b32_e32 v6, 2, v4
	v_cndmask_b32_e64 v1, v1, 1, s[6:7]
	v_cndmask_b32_e64 v2, v2, v5, s[6:7]
	v_or_b32_e32 v5, 0xfc, v6
	ds_bpermute_b32 v1, v5, v1
	ds_bpermute_b32 v2, v5, v2
	;; [unrolled: 1-line block ×3, first 2 shown]
	v_cmp_eq_u32_e32 vcc, 0, v4
	s_and_saveexec_b64 s[4:5], vcc
	s_xor_b64 s[4:5], exec, s[4:5]
	s_cbranch_execz .LBB172_52
; %bb.51:
	v_lshrrev_b32_e32 v5, 2, v0
	v_and_b32_e32 v5, 16, v5
	s_waitcnt lgkmcnt(2)
	ds_write_b8 v5, v1 offset:64
	s_waitcnt lgkmcnt(1)
	ds_write_b64 v5, v[2:3] offset:72
.LBB172_52:
	s_or_b64 exec, exec, s[4:5]
	v_cmp_gt_u32_e32 vcc, 64, v0
	s_waitcnt lgkmcnt(0)
	s_barrier
	s_and_saveexec_b64 s[4:5], vcc
	s_cbranch_execz .LBB172_58
; %bb.53:
	v_and_b32_e32 v1, 1, v4
	v_lshlrev_b32_e32 v1, 4, v1
	ds_read_u8 v8, v1 offset:64
	ds_read_b64 v[4:5], v1 offset:72
	v_or_b32_e32 v2, 4, v6
	s_waitcnt lgkmcnt(1)
	v_and_b32_e32 v1, 0xff, v8
	ds_bpermute_b32 v9, v2, v1
	s_waitcnt lgkmcnt(1)
	ds_bpermute_b32 v6, v2, v4
	ds_bpermute_b32 v7, v2, v5
                                        ; implicit-def: $vgpr2_vgpr3
	s_waitcnt lgkmcnt(2)
	v_and_b32_e32 v1, v8, v9
	v_and_b32_e32 v1, 1, v1
	v_cmp_eq_u32_e32 vcc, 1, v1
	s_and_saveexec_b64 s[6:7], vcc
	s_xor_b64 s[6:7], exec, s[6:7]
	s_cbranch_execz .LBB172_55
; %bb.54:
	s_waitcnt lgkmcnt(0)
	v_cmp_lt_i64_e32 vcc, v[6:7], v[4:5]
                                        ; implicit-def: $vgpr8
                                        ; implicit-def: $vgpr9
	s_nop 1
	v_cndmask_b32_e32 v3, v5, v7, vcc
	v_cndmask_b32_e32 v2, v4, v6, vcc
                                        ; implicit-def: $vgpr6_vgpr7
                                        ; implicit-def: $vgpr4_vgpr5
.LBB172_55:
	s_or_saveexec_b64 s[6:7], s[6:7]
	v_mov_b32_e32 v1, 1
	s_xor_b64 exec, exec, s[6:7]
	s_cbranch_execz .LBB172_57
; %bb.56:
	v_and_b32_e32 v1, 1, v8
	v_cmp_eq_u32_e32 vcc, 1, v1
	s_waitcnt lgkmcnt(0)
	s_nop 0
	v_cndmask_b32_e32 v3, v7, v5, vcc
	v_cndmask_b32_e32 v2, v6, v4, vcc
	v_cndmask_b32_e64 v1, v9, 1, vcc
.LBB172_57:
	s_or_b64 exec, exec, s[6:7]
.LBB172_58:
	s_or_b64 exec, exec, s[4:5]
	s_branch .LBB172_246
.LBB172_59:
                                        ; implicit-def: $vgpr4_vgpr5
                                        ; implicit-def: $vgpr6
                                        ; implicit-def: $vgpr2_vgpr3
	s_branch .LBB172_334
.LBB172_60:
                                        ; implicit-def: $vgpr2_vgpr3
                                        ; implicit-def: $vgpr1
	s_cbranch_execz .LBB172_177
; %bb.61:
	s_sub_i32 s30, s22, s8
	v_cmp_gt_u32_e32 vcc, s30, v0
	v_mov_b32_e32 v24, 0
	v_mov_b64_e32 v[16:17], 0
	v_mov_b64_e32 v[2:3], 0
	v_mov_b32_e32 v1, 0
	s_and_saveexec_b64 s[4:5], vcc
	s_cbranch_execz .LBB172_63
; %bb.62:
	v_lshlrev_b32_e32 v4, 4, v0
	global_load_ubyte v1, v4, s[16:17]
	global_load_dwordx2 v[2:3], v4, s[16:17] offset:8
.LBB172_63:
	s_or_b64 exec, exec, s[4:5]
	v_or_b32_e32 v4, 0x80, v0
	v_cmp_gt_u32_e64 s[14:15], s30, v4
	s_and_saveexec_b64 s[4:5], s[14:15]
	s_cbranch_execz .LBB172_65
; %bb.64:
	v_lshlrev_b32_e32 v4, 4, v0
	global_load_ubyte v24, v4, s[16:17] offset:2048
	global_load_dwordx2 v[16:17], v4, s[16:17] offset:2056
.LBB172_65:
	s_or_b64 exec, exec, s[4:5]
	v_or_b32_e32 v4, 0x100, v0
	v_cmp_gt_u32_e64 s[12:13], s30, v4
	v_mov_b32_e32 v22, 0
	v_mov_b64_e32 v[12:13], 0
	v_mov_b64_e32 v[14:15], 0
	v_mov_b32_e32 v23, 0
	s_and_saveexec_b64 s[4:5], s[12:13]
	s_cbranch_execz .LBB172_67
; %bb.66:
	v_lshlrev_b32_e32 v4, 4, v4
	global_load_ubyte v23, v4, s[16:17]
	global_load_dwordx2 v[14:15], v4, s[16:17] offset:8
.LBB172_67:
	s_or_b64 exec, exec, s[4:5]
	v_or_b32_e32 v4, 0x180, v0
	v_cmp_gt_u32_e64 s[10:11], s30, v4
	s_and_saveexec_b64 s[4:5], s[10:11]
	s_cbranch_execz .LBB172_69
; %bb.68:
	v_lshlrev_b32_e32 v4, 4, v4
	global_load_ubyte v22, v4, s[16:17]
	global_load_dwordx2 v[12:13], v4, s[16:17] offset:8
.LBB172_69:
	s_or_b64 exec, exec, s[4:5]
	v_or_b32_e32 v4, 0x200, v0
	v_cmp_gt_u32_e64 s[8:9], s30, v4
	v_mov_b32_e32 v20, 0
	v_mov_b64_e32 v[8:9], 0
	v_mov_b64_e32 v[10:11], 0
	v_mov_b32_e32 v21, 0
	s_and_saveexec_b64 s[4:5], s[8:9]
	s_cbranch_execz .LBB172_71
; %bb.70:
	v_lshlrev_b32_e32 v4, 4, v4
	global_load_ubyte v21, v4, s[16:17]
	global_load_dwordx2 v[10:11], v4, s[16:17] offset:8
.LBB172_71:
	s_or_b64 exec, exec, s[4:5]
	v_or_b32_e32 v4, 0x280, v0
	v_cmp_gt_u32_e64 s[6:7], s30, v4
	s_and_saveexec_b64 s[4:5], s[6:7]
	s_cbranch_execz .LBB172_73
; %bb.72:
	v_lshlrev_b32_e32 v4, 4, v4
	global_load_ubyte v20, v4, s[16:17]
	global_load_dwordx2 v[8:9], v4, s[16:17] offset:8
.LBB172_73:
	s_or_b64 exec, exec, s[4:5]
	v_or_b32_e32 v25, 0x300, v0
	v_cmp_gt_u32_e64 s[4:5], s30, v25
	v_mov_b64_e32 v[4:5], 0
	v_mov_b32_e32 v18, 0
	v_mov_b32_e32 v19, 0
	s_waitcnt lgkmcnt(0)
	v_mov_b64_e32 v[6:7], 0
	s_and_saveexec_b64 s[26:27], s[4:5]
	s_cbranch_execz .LBB172_75
; %bb.74:
	v_lshlrev_b32_e32 v25, 4, v25
	global_load_ubyte v19, v25, s[16:17]
	global_load_dwordx2 v[6:7], v25, s[16:17] offset:8
.LBB172_75:
	s_or_b64 exec, exec, s[26:27]
	v_or_b32_e32 v25, 0x380, v0
	v_cmp_gt_u32_e32 vcc, s30, v25
	s_and_saveexec_b64 s[26:27], vcc
	s_cbranch_execnz .LBB172_94
; %bb.76:
	s_or_b64 exec, exec, s[26:27]
	s_and_saveexec_b64 s[26:27], s[14:15]
	s_cbranch_execnz .LBB172_95
.LBB172_77:
	s_or_b64 exec, exec, s[26:27]
	s_and_saveexec_b64 s[16:17], s[12:13]
	s_cbranch_execnz .LBB172_100
.LBB172_78:
	s_or_b64 exec, exec, s[16:17]
	s_and_saveexec_b64 s[14:15], s[10:11]
	s_cbranch_execnz .LBB172_105
.LBB172_79:
	s_or_b64 exec, exec, s[14:15]
	s_and_saveexec_b64 s[12:13], s[8:9]
	s_cbranch_execnz .LBB172_110
.LBB172_80:
	s_or_b64 exec, exec, s[12:13]
	s_and_saveexec_b64 s[10:11], s[6:7]
	s_cbranch_execnz .LBB172_115
.LBB172_81:
	s_or_b64 exec, exec, s[10:11]
	s_and_saveexec_b64 s[8:9], s[4:5]
	s_cbranch_execnz .LBB172_120
.LBB172_82:
	s_or_b64 exec, exec, s[8:9]
	s_and_saveexec_b64 s[6:7], vcc
	s_cbranch_execnz .LBB172_125
	s_branch .LBB172_130
.LBB172_83:
                                        ; implicit-def: $vgpr2_vgpr3
                                        ; implicit-def: $vgpr1
	s_cbranch_execz .LBB172_246
; %bb.84:
	s_sub_i32 s14, s22, s10
	v_cmp_gt_u32_e32 vcc, s14, v0
	v_mov_b32_e32 v12, 0
	s_waitcnt lgkmcnt(1)
	v_mov_b64_e32 v[8:9], 0
	v_mov_b64_e32 v[2:3], 0
	v_mov_b32_e32 v1, 0
	s_and_saveexec_b64 s[4:5], vcc
	s_cbranch_execz .LBB172_86
; %bb.85:
	v_lshlrev_b32_e32 v4, 4, v0
	global_load_ubyte v1, v4, s[8:9]
	global_load_dwordx2 v[2:3], v4, s[8:9] offset:8
.LBB172_86:
	s_or_b64 exec, exec, s[4:5]
	v_or_b32_e32 v4, 0x80, v0
	v_cmp_gt_u32_e64 s[6:7], s14, v4
	s_and_saveexec_b64 s[4:5], s[6:7]
	s_cbranch_execz .LBB172_88
; %bb.87:
	v_lshlrev_b32_e32 v4, 4, v0
	global_load_ubyte v12, v4, s[8:9] offset:2048
	global_load_dwordx2 v[8:9], v4, s[8:9] offset:2056
.LBB172_88:
	s_or_b64 exec, exec, s[4:5]
	v_or_b32_e32 v13, 0x100, v0
	v_cmp_gt_u32_e64 s[4:5], s14, v13
	v_mov_b32_e32 v10, 0
	s_waitcnt lgkmcnt(0)
	v_mov_b64_e32 v[4:5], 0
	v_mov_b64_e32 v[6:7], 0
	v_mov_b32_e32 v11, 0
	s_and_saveexec_b64 s[10:11], s[4:5]
	s_cbranch_execz .LBB172_90
; %bb.89:
	v_lshlrev_b32_e32 v13, 4, v13
	global_load_ubyte v11, v13, s[8:9]
	global_load_dwordx2 v[6:7], v13, s[8:9] offset:8
.LBB172_90:
	s_or_b64 exec, exec, s[10:11]
	v_or_b32_e32 v13, 0x180, v0
	v_cmp_gt_u32_e32 vcc, s14, v13
	s_and_saveexec_b64 s[10:11], vcc
	s_cbranch_execnz .LBB172_183
; %bb.91:
	s_or_b64 exec, exec, s[10:11]
	s_and_saveexec_b64 s[10:11], s[6:7]
	s_cbranch_execnz .LBB172_184
.LBB172_92:
	s_or_b64 exec, exec, s[10:11]
	s_and_saveexec_b64 s[8:9], s[4:5]
	s_cbranch_execnz .LBB172_189
.LBB172_93:
	s_or_b64 exec, exec, s[8:9]
	s_and_saveexec_b64 s[6:7], vcc
	s_cbranch_execnz .LBB172_194
	s_branch .LBB172_199
.LBB172_94:
	v_lshlrev_b32_e32 v25, 4, v25
	global_load_ubyte v18, v25, s[16:17]
	global_load_dwordx2 v[4:5], v25, s[16:17] offset:8
	s_or_b64 exec, exec, s[26:27]
	s_and_saveexec_b64 s[26:27], s[14:15]
	s_cbranch_execz .LBB172_77
.LBB172_95:
	s_waitcnt vmcnt(1)
	v_and_b32_e32 v1, 1, v1
	v_cmp_eq_u32_e64 s[14:15], 1, v1
	v_and_b32_e32 v1, 1, v24
	v_cmp_eq_u32_e64 s[16:17], 1, v1
	s_and_b64 s[16:17], s[14:15], s[16:17]
	s_xor_b64 s[16:17], s[16:17], -1
                                        ; implicit-def: $vgpr1
	s_and_saveexec_b64 s[34:35], s[16:17]
	s_xor_b64 s[16:17], exec, s[34:35]
	s_cbranch_execz .LBB172_97
; %bb.96:
	v_and_b32_e32 v1, 0xff, v24
	v_cndmask_b32_e64 v1, v1, 1, s[14:15]
	s_waitcnt vmcnt(0)
	v_cndmask_b32_e64 v3, v17, v3, s[14:15]
	v_cndmask_b32_e64 v2, v16, v2, s[14:15]
                                        ; implicit-def: $vgpr16_vgpr17
.LBB172_97:
	s_andn2_saveexec_b64 s[16:17], s[16:17]
	s_cbranch_execz .LBB172_99
; %bb.98:
	s_waitcnt vmcnt(0)
	v_cmp_lt_i64_e64 s[14:15], v[16:17], v[2:3]
	v_mov_b32_e32 v1, 1
	s_nop 0
	v_cndmask_b32_e64 v3, v3, v17, s[14:15]
	v_cndmask_b32_e64 v2, v2, v16, s[14:15]
.LBB172_99:
	s_or_b64 exec, exec, s[16:17]
	s_or_b64 exec, exec, s[26:27]
	s_and_saveexec_b64 s[16:17], s[12:13]
	s_cbranch_execz .LBB172_78
.LBB172_100:
	s_waitcnt vmcnt(1)
	v_and_b32_e32 v1, 1, v1
	v_cmp_eq_u32_e64 s[12:13], 1, v1
	v_and_b32_e32 v1, 1, v23
	v_cmp_eq_u32_e64 s[14:15], 1, v1
	s_and_b64 s[14:15], s[12:13], s[14:15]
	s_xor_b64 s[14:15], s[14:15], -1
                                        ; implicit-def: $vgpr1
	s_and_saveexec_b64 s[26:27], s[14:15]
	s_xor_b64 s[14:15], exec, s[26:27]
	s_cbranch_execz .LBB172_102
; %bb.101:
	v_and_b32_e32 v1, 0xff, v23
	v_cndmask_b32_e64 v1, v1, 1, s[12:13]
	s_waitcnt vmcnt(0)
	v_cndmask_b32_e64 v3, v15, v3, s[12:13]
	v_cndmask_b32_e64 v2, v14, v2, s[12:13]
                                        ; implicit-def: $vgpr14_vgpr15
.LBB172_102:
	s_andn2_saveexec_b64 s[14:15], s[14:15]
	s_cbranch_execz .LBB172_104
; %bb.103:
	s_waitcnt vmcnt(0)
	v_cmp_lt_i64_e64 s[12:13], v[14:15], v[2:3]
	v_mov_b32_e32 v1, 1
	s_nop 0
	v_cndmask_b32_e64 v3, v3, v15, s[12:13]
	v_cndmask_b32_e64 v2, v2, v14, s[12:13]
.LBB172_104:
	s_or_b64 exec, exec, s[14:15]
	s_or_b64 exec, exec, s[16:17]
	s_and_saveexec_b64 s[14:15], s[10:11]
	s_cbranch_execz .LBB172_79
.LBB172_105:
	s_waitcnt vmcnt(1)
	v_and_b32_e32 v1, 1, v1
	v_cmp_eq_u32_e64 s[10:11], 1, v1
	v_and_b32_e32 v1, 1, v22
	v_cmp_eq_u32_e64 s[12:13], 1, v1
	s_and_b64 s[12:13], s[10:11], s[12:13]
	s_xor_b64 s[12:13], s[12:13], -1
                                        ; implicit-def: $vgpr1
	s_and_saveexec_b64 s[16:17], s[12:13]
	s_xor_b64 s[12:13], exec, s[16:17]
	s_cbranch_execz .LBB172_107
; %bb.106:
	v_and_b32_e32 v1, 0xff, v22
	v_cndmask_b32_e64 v1, v1, 1, s[10:11]
	s_waitcnt vmcnt(0)
	v_cndmask_b32_e64 v3, v13, v3, s[10:11]
	v_cndmask_b32_e64 v2, v12, v2, s[10:11]
                                        ; implicit-def: $vgpr12_vgpr13
.LBB172_107:
	s_andn2_saveexec_b64 s[12:13], s[12:13]
	s_cbranch_execz .LBB172_109
; %bb.108:
	s_waitcnt vmcnt(0)
	v_cmp_lt_i64_e64 s[10:11], v[12:13], v[2:3]
	v_mov_b32_e32 v1, 1
	s_nop 0
	v_cndmask_b32_e64 v3, v3, v13, s[10:11]
	v_cndmask_b32_e64 v2, v2, v12, s[10:11]
.LBB172_109:
	s_or_b64 exec, exec, s[12:13]
	s_or_b64 exec, exec, s[14:15]
	s_and_saveexec_b64 s[12:13], s[8:9]
	s_cbranch_execz .LBB172_80
.LBB172_110:
	s_waitcnt vmcnt(1)
	v_and_b32_e32 v1, 1, v1
	v_cmp_eq_u32_e64 s[8:9], 1, v1
	v_and_b32_e32 v1, 1, v21
	v_cmp_eq_u32_e64 s[10:11], 1, v1
	s_and_b64 s[10:11], s[8:9], s[10:11]
	s_xor_b64 s[10:11], s[10:11], -1
                                        ; implicit-def: $vgpr1
	s_and_saveexec_b64 s[14:15], s[10:11]
	s_xor_b64 s[10:11], exec, s[14:15]
	s_cbranch_execz .LBB172_112
; %bb.111:
	v_and_b32_e32 v1, 0xff, v21
	v_cndmask_b32_e64 v1, v1, 1, s[8:9]
	s_waitcnt vmcnt(0)
	v_cndmask_b32_e64 v3, v11, v3, s[8:9]
	v_cndmask_b32_e64 v2, v10, v2, s[8:9]
                                        ; implicit-def: $vgpr10_vgpr11
.LBB172_112:
	s_andn2_saveexec_b64 s[10:11], s[10:11]
	s_cbranch_execz .LBB172_114
; %bb.113:
	s_waitcnt vmcnt(0)
	v_cmp_lt_i64_e64 s[8:9], v[10:11], v[2:3]
	v_mov_b32_e32 v1, 1
	s_nop 0
	v_cndmask_b32_e64 v3, v3, v11, s[8:9]
	v_cndmask_b32_e64 v2, v2, v10, s[8:9]
.LBB172_114:
	s_or_b64 exec, exec, s[10:11]
	s_or_b64 exec, exec, s[12:13]
	s_and_saveexec_b64 s[10:11], s[6:7]
	s_cbranch_execz .LBB172_81
.LBB172_115:
	s_waitcnt vmcnt(1)
	v_and_b32_e32 v1, 1, v1
	v_cmp_eq_u32_e64 s[6:7], 1, v1
	v_and_b32_e32 v1, 1, v20
	v_cmp_eq_u32_e64 s[8:9], 1, v1
	s_and_b64 s[8:9], s[6:7], s[8:9]
	s_xor_b64 s[8:9], s[8:9], -1
                                        ; implicit-def: $vgpr1
	s_and_saveexec_b64 s[12:13], s[8:9]
	s_xor_b64 s[8:9], exec, s[12:13]
	s_cbranch_execz .LBB172_117
; %bb.116:
	v_and_b32_e32 v1, 0xff, v20
	v_cndmask_b32_e64 v1, v1, 1, s[6:7]
	s_waitcnt vmcnt(0)
	v_cndmask_b32_e64 v3, v9, v3, s[6:7]
	v_cndmask_b32_e64 v2, v8, v2, s[6:7]
                                        ; implicit-def: $vgpr8_vgpr9
.LBB172_117:
	s_andn2_saveexec_b64 s[8:9], s[8:9]
	s_cbranch_execz .LBB172_119
; %bb.118:
	s_waitcnt vmcnt(0)
	v_cmp_lt_i64_e64 s[6:7], v[8:9], v[2:3]
	v_mov_b32_e32 v1, 1
	s_nop 0
	v_cndmask_b32_e64 v3, v3, v9, s[6:7]
	v_cndmask_b32_e64 v2, v2, v8, s[6:7]
.LBB172_119:
	s_or_b64 exec, exec, s[8:9]
	s_or_b64 exec, exec, s[10:11]
	s_and_saveexec_b64 s[8:9], s[4:5]
	s_cbranch_execz .LBB172_82
.LBB172_120:
	s_waitcnt vmcnt(1)
	v_and_b32_e32 v1, 1, v1
	v_cmp_eq_u32_e64 s[4:5], 1, v1
	v_and_b32_e32 v1, 1, v19
	v_cmp_eq_u32_e64 s[6:7], 1, v1
	s_and_b64 s[6:7], s[4:5], s[6:7]
	s_xor_b64 s[6:7], s[6:7], -1
                                        ; implicit-def: $vgpr1
	s_and_saveexec_b64 s[10:11], s[6:7]
	s_xor_b64 s[6:7], exec, s[10:11]
	s_cbranch_execz .LBB172_122
; %bb.121:
	v_and_b32_e32 v1, 0xff, v19
	v_cndmask_b32_e64 v1, v1, 1, s[4:5]
	s_waitcnt vmcnt(0)
	v_cndmask_b32_e64 v3, v7, v3, s[4:5]
	v_cndmask_b32_e64 v2, v6, v2, s[4:5]
                                        ; implicit-def: $vgpr6_vgpr7
.LBB172_122:
	s_andn2_saveexec_b64 s[6:7], s[6:7]
	s_cbranch_execz .LBB172_124
; %bb.123:
	s_waitcnt vmcnt(0)
	v_cmp_lt_i64_e64 s[4:5], v[6:7], v[2:3]
	v_mov_b32_e32 v1, 1
	s_nop 0
	v_cndmask_b32_e64 v3, v3, v7, s[4:5]
	v_cndmask_b32_e64 v2, v2, v6, s[4:5]
.LBB172_124:
	s_or_b64 exec, exec, s[6:7]
	s_or_b64 exec, exec, s[8:9]
	s_and_saveexec_b64 s[6:7], vcc
	s_cbranch_execz .LBB172_130
.LBB172_125:
	s_waitcnt vmcnt(1)
	v_and_b32_e32 v1, 1, v1
	v_cmp_eq_u32_e32 vcc, 1, v1
	v_and_b32_e32 v1, 1, v18
	v_cmp_eq_u32_e64 s[4:5], 1, v1
	s_and_b64 s[4:5], vcc, s[4:5]
	s_xor_b64 s[4:5], s[4:5], -1
                                        ; implicit-def: $vgpr1
	s_and_saveexec_b64 s[8:9], s[4:5]
	s_xor_b64 s[4:5], exec, s[8:9]
	s_cbranch_execz .LBB172_127
; %bb.126:
	v_and_b32_e32 v1, 0xff, v18
	v_cndmask_b32_e64 v1, v1, 1, vcc
	s_waitcnt vmcnt(0)
	v_cndmask_b32_e32 v3, v5, v3, vcc
	v_cndmask_b32_e32 v2, v4, v2, vcc
                                        ; implicit-def: $vgpr4_vgpr5
.LBB172_127:
	s_andn2_saveexec_b64 s[4:5], s[4:5]
	s_cbranch_execz .LBB172_129
; %bb.128:
	s_waitcnt vmcnt(0)
	v_cmp_lt_i64_e32 vcc, v[4:5], v[2:3]
	v_mov_b32_e32 v1, 1
	s_nop 0
	v_cndmask_b32_e32 v3, v3, v5, vcc
	v_cndmask_b32_e32 v2, v2, v4, vcc
.LBB172_129:
	s_or_b64 exec, exec, s[4:5]
.LBB172_130:
	s_or_b64 exec, exec, s[6:7]
	s_waitcnt vmcnt(0)
	v_mbcnt_lo_u32_b32 v4, -1, 0
	v_mbcnt_hi_u32_b32 v6, -1, v4
	v_and_b32_e32 v7, 63, v6
	v_cmp_ne_u32_e32 vcc, 63, v7
	s_min_u32 s8, s30, 0x80
	v_and_b32_e32 v8, 64, v0
	v_addc_co_u32_e32 v4, vcc, 0, v6, vcc
	v_lshlrev_b32_e32 v5, 2, v4
	ds_bpermute_b32 v9, v5, v1
	ds_bpermute_b32 v4, v5, v2
	;; [unrolled: 1-line block ×3, first 2 shown]
	v_sub_u32_e64 v8, s8, v8 clamp
	v_add_u32_e32 v10, 1, v7
	v_cmp_lt_u32_e32 vcc, v10, v8
	s_and_saveexec_b64 s[4:5], vcc
	s_xor_b64 s[4:5], exec, s[4:5]
	s_cbranch_execz .LBB172_136
; %bb.131:
	s_waitcnt lgkmcnt(2)
	v_and_b32_e32 v10, v9, v1
	v_cmp_ne_u32_e32 vcc, 0, v10
	s_and_saveexec_b64 s[6:7], vcc
	s_xor_b64 s[6:7], exec, s[6:7]
	s_cbranch_execz .LBB172_133
; %bb.132:
	s_waitcnt lgkmcnt(0)
	v_cmp_lt_i64_e32 vcc, v[4:5], v[2:3]
                                        ; implicit-def: $vgpr1
                                        ; implicit-def: $vgpr9
	s_nop 1
	v_cndmask_b32_e32 v3, v3, v5, vcc
	v_cndmask_b32_e32 v2, v2, v4, vcc
                                        ; implicit-def: $vgpr4_vgpr5
.LBB172_133:
	s_or_saveexec_b64 s[6:7], s[6:7]
	v_mov_b32_e32 v10, 1
	s_xor_b64 exec, exec, s[6:7]
	s_cbranch_execz .LBB172_135
; %bb.134:
	v_and_b32_e32 v1, 1, v1
	v_cmp_eq_u32_e32 vcc, 1, v1
	v_and_b32_e32 v1, 0xff, v9
	s_waitcnt lgkmcnt(0)
	v_cndmask_b32_e32 v3, v5, v3, vcc
	v_cndmask_b32_e32 v2, v4, v2, vcc
	v_cndmask_b32_e64 v10, v1, 1, vcc
.LBB172_135:
	s_or_b64 exec, exec, s[6:7]
	v_mov_b32_e32 v1, v10
.LBB172_136:
	s_or_b64 exec, exec, s[4:5]
	v_cmp_gt_u32_e32 vcc, 62, v7
	v_add_u32_e32 v10, 2, v7
	s_waitcnt lgkmcnt(1)
	v_cndmask_b32_e64 v4, 0, 2, vcc
	s_waitcnt lgkmcnt(0)
	v_add_lshl_u32 v5, v4, v6, 2
	ds_bpermute_b32 v9, v5, v1
	ds_bpermute_b32 v4, v5, v2
	ds_bpermute_b32 v5, v5, v3
	v_cmp_lt_u32_e32 vcc, v10, v8
	s_and_saveexec_b64 s[4:5], vcc
	s_cbranch_execz .LBB172_142
; %bb.137:
	s_waitcnt lgkmcnt(2)
	v_and_b32_e32 v10, v1, v9
	v_and_b32_e32 v10, 1, v10
	v_cmp_eq_u32_e32 vcc, 1, v10
	s_and_saveexec_b64 s[6:7], vcc
	s_xor_b64 s[6:7], exec, s[6:7]
	s_cbranch_execz .LBB172_139
; %bb.138:
	s_waitcnt lgkmcnt(0)
	v_cmp_lt_i64_e32 vcc, v[4:5], v[2:3]
                                        ; implicit-def: $vgpr1
                                        ; implicit-def: $vgpr9
	s_nop 1
	v_cndmask_b32_e32 v3, v3, v5, vcc
	v_cndmask_b32_e32 v2, v2, v4, vcc
                                        ; implicit-def: $vgpr4_vgpr5
.LBB172_139:
	s_or_saveexec_b64 s[6:7], s[6:7]
	v_mov_b32_e32 v10, 1
	s_xor_b64 exec, exec, s[6:7]
	s_cbranch_execz .LBB172_141
; %bb.140:
	v_and_b32_e32 v1, 1, v1
	v_cmp_eq_u32_e32 vcc, 1, v1
	v_and_b32_e32 v1, 0xff, v9
	s_waitcnt lgkmcnt(0)
	v_cndmask_b32_e32 v3, v5, v3, vcc
	v_cndmask_b32_e32 v2, v4, v2, vcc
	v_cndmask_b32_e64 v10, v1, 1, vcc
.LBB172_141:
	s_or_b64 exec, exec, s[6:7]
	v_mov_b32_e32 v1, v10
.LBB172_142:
	s_or_b64 exec, exec, s[4:5]
	v_cmp_gt_u32_e32 vcc, 60, v7
	v_add_u32_e32 v10, 4, v7
	s_waitcnt lgkmcnt(1)
	v_cndmask_b32_e64 v4, 0, 4, vcc
	s_waitcnt lgkmcnt(0)
	v_add_lshl_u32 v5, v4, v6, 2
	ds_bpermute_b32 v9, v5, v1
	ds_bpermute_b32 v4, v5, v2
	ds_bpermute_b32 v5, v5, v3
	v_cmp_lt_u32_e32 vcc, v10, v8
	s_and_saveexec_b64 s[4:5], vcc
	s_cbranch_execz .LBB172_148
; %bb.143:
	s_waitcnt lgkmcnt(2)
	v_and_b32_e32 v10, v1, v9
	v_and_b32_e32 v10, 1, v10
	v_cmp_eq_u32_e32 vcc, 1, v10
	s_and_saveexec_b64 s[6:7], vcc
	s_xor_b64 s[6:7], exec, s[6:7]
	s_cbranch_execz .LBB172_145
; %bb.144:
	s_waitcnt lgkmcnt(0)
	v_cmp_lt_i64_e32 vcc, v[4:5], v[2:3]
                                        ; implicit-def: $vgpr1
                                        ; implicit-def: $vgpr9
	s_nop 1
	v_cndmask_b32_e32 v3, v3, v5, vcc
	v_cndmask_b32_e32 v2, v2, v4, vcc
                                        ; implicit-def: $vgpr4_vgpr5
.LBB172_145:
	s_or_saveexec_b64 s[6:7], s[6:7]
	v_mov_b32_e32 v10, 1
	s_xor_b64 exec, exec, s[6:7]
	s_cbranch_execz .LBB172_147
; %bb.146:
	v_and_b32_e32 v1, 1, v1
	v_cmp_eq_u32_e32 vcc, 1, v1
	v_and_b32_e32 v1, 0xff, v9
	s_waitcnt lgkmcnt(0)
	v_cndmask_b32_e32 v3, v5, v3, vcc
	v_cndmask_b32_e32 v2, v4, v2, vcc
	v_cndmask_b32_e64 v10, v1, 1, vcc
.LBB172_147:
	s_or_b64 exec, exec, s[6:7]
	v_mov_b32_e32 v1, v10
.LBB172_148:
	;; [unrolled: 47-line block ×4, first 2 shown]
	s_or_b64 exec, exec, s[4:5]
	s_waitcnt lgkmcnt(2)
	v_lshlrev_b32_e32 v9, 2, v6
	s_waitcnt lgkmcnt(0)
	v_or_b32_e32 v5, 0x80, v9
	ds_bpermute_b32 v10, v5, v1
	ds_bpermute_b32 v4, v5, v2
	;; [unrolled: 1-line block ×3, first 2 shown]
	v_add_u32_e32 v7, 32, v7
	v_cmp_lt_u32_e32 vcc, v7, v8
	v_mov_b32_e32 v7, v1
	s_and_saveexec_b64 s[4:5], vcc
	s_cbranch_execz .LBB172_166
; %bb.161:
	s_waitcnt lgkmcnt(2)
	v_and_b32_e32 v7, v1, v10
	v_and_b32_e32 v7, 1, v7
	v_cmp_eq_u32_e32 vcc, 1, v7
	s_and_saveexec_b64 s[6:7], vcc
	s_xor_b64 s[6:7], exec, s[6:7]
	s_cbranch_execz .LBB172_163
; %bb.162:
	s_waitcnt lgkmcnt(0)
	v_cmp_lt_i64_e32 vcc, v[4:5], v[2:3]
                                        ; implicit-def: $vgpr1
                                        ; implicit-def: $vgpr10
	s_nop 1
	v_cndmask_b32_e32 v3, v3, v5, vcc
	v_cndmask_b32_e32 v2, v2, v4, vcc
                                        ; implicit-def: $vgpr4_vgpr5
.LBB172_163:
	s_or_saveexec_b64 s[6:7], s[6:7]
	v_mov_b32_e32 v7, 1
	s_xor_b64 exec, exec, s[6:7]
	s_cbranch_execz .LBB172_165
; %bb.164:
	v_and_b32_e32 v1, 1, v1
	v_cmp_eq_u32_e32 vcc, 1, v1
	s_nop 1
	v_cndmask_b32_e64 v7, v10, 1, vcc
	s_waitcnt lgkmcnt(0)
	v_cndmask_b32_e32 v3, v5, v3, vcc
	v_cndmask_b32_e32 v2, v4, v2, vcc
.LBB172_165:
	s_or_b64 exec, exec, s[6:7]
	v_and_b32_e32 v1, 0xff, v7
.LBB172_166:
	s_or_b64 exec, exec, s[4:5]
	v_cmp_eq_u32_e32 vcc, 0, v6
	s_and_saveexec_b64 s[4:5], vcc
	s_cbranch_execz .LBB172_168
; %bb.167:
	s_waitcnt lgkmcnt(1)
	v_lshrrev_b32_e32 v4, 2, v0
	v_and_b32_e32 v4, 16, v4
	ds_write_b8 v4, v7 offset:128
	ds_write_b64 v4, v[2:3] offset:136
.LBB172_168:
	s_or_b64 exec, exec, s[4:5]
	v_cmp_gt_u32_e32 vcc, 2, v0
	s_waitcnt lgkmcnt(0)
	s_barrier
	s_and_saveexec_b64 s[4:5], vcc
	s_cbranch_execz .LBB172_176
; %bb.169:
	v_lshlrev_b32_e32 v1, 4, v6
	ds_read_u8 v7, v1 offset:128
	ds_read_b64 v[2:3], v1 offset:136
	v_or_b32_e32 v5, 4, v9
	s_add_i32 s8, s8, 63
	v_and_b32_e32 v6, 1, v6
	s_waitcnt lgkmcnt(1)
	v_and_b32_e32 v1, 0xff, v7
	s_waitcnt lgkmcnt(0)
	ds_bpermute_b32 v4, v5, v2
	ds_bpermute_b32 v8, v5, v1
	;; [unrolled: 1-line block ×3, first 2 shown]
	s_lshr_b32 s6, s8, 6
	v_add_u32_e32 v6, 1, v6
	v_cmp_gt_u32_e32 vcc, s6, v6
	s_and_saveexec_b64 s[6:7], vcc
	s_cbranch_execz .LBB172_175
; %bb.170:
	s_waitcnt lgkmcnt(1)
	v_and_b32_e32 v1, v1, v8
	v_and_b32_e32 v1, 1, v1
	v_cmp_eq_u32_e32 vcc, 1, v1
	s_and_saveexec_b64 s[8:9], vcc
	s_xor_b64 s[8:9], exec, s[8:9]
	s_cbranch_execz .LBB172_172
; %bb.171:
	s_waitcnt lgkmcnt(0)
	v_cmp_lt_i64_e32 vcc, v[4:5], v[2:3]
                                        ; implicit-def: $vgpr7
                                        ; implicit-def: $vgpr8
	s_nop 1
	v_cndmask_b32_e32 v3, v3, v5, vcc
	v_cndmask_b32_e32 v2, v2, v4, vcc
                                        ; implicit-def: $vgpr4_vgpr5
.LBB172_172:
	s_or_saveexec_b64 s[8:9], s[8:9]
	v_mov_b32_e32 v1, 1
	s_xor_b64 exec, exec, s[8:9]
	s_cbranch_execz .LBB172_174
; %bb.173:
	v_and_b32_e32 v1, 1, v7
	v_cmp_eq_u32_e32 vcc, 1, v1
	s_waitcnt lgkmcnt(0)
	s_nop 0
	v_cndmask_b32_e32 v3, v5, v3, vcc
	v_cndmask_b32_e32 v2, v4, v2, vcc
	v_cndmask_b32_e64 v1, v8, 1, vcc
.LBB172_174:
	s_or_b64 exec, exec, s[8:9]
.LBB172_175:
	s_or_b64 exec, exec, s[6:7]
.LBB172_176:
	s_or_b64 exec, exec, s[4:5]
.LBB172_177:
	v_cmp_eq_u32_e32 vcc, 0, v0
	s_mov_b64 s[12:13], 0
                                        ; implicit-def: $vgpr4_vgpr5
                                        ; implicit-def: $vgpr6
	s_and_saveexec_b64 s[4:5], vcc
	s_xor_b64 s[8:9], exec, s[4:5]
	s_cbranch_execz .LBB172_181
; %bb.178:
	s_cmp_eq_u64 s[22:23], 0
	s_waitcnt lgkmcnt(0)
	v_mov_b64_e32 v[4:5], s[18:19]
	v_mov_b32_e32 v6, s28
	s_cbranch_scc1 .LBB172_180
; %bb.179:
	s_bitcmp1_b32 s28, 0
	v_and_b32_e32 v4, 1, v1
	v_cmp_eq_u32_e32 vcc, 1, v4
	v_cmp_gt_i64_e64 s[4:5], s[18:19], v[2:3]
	s_cselect_b64 s[6:7], -1, 0
	v_cndmask_b32_e64 v6, v1, 1, s[6:7]
	v_mov_b32_e32 v1, s18
	s_and_b64 vcc, vcc, s[4:5]
	v_mov_b32_e32 v4, s19
	v_cndmask_b32_e32 v1, v1, v2, vcc
	v_cndmask_b32_e32 v4, v4, v3, vcc
	v_cndmask_b32_e64 v5, v3, v4, s[6:7]
	v_cndmask_b32_e64 v4, v2, v1, s[6:7]
.LBB172_180:
	s_mov_b64 s[12:13], exec
.LBB172_181:
	s_or_b64 exec, exec, s[8:9]
	v_mov_b64_e32 v[2:3], s[2:3]
	s_and_b64 vcc, exec, s[24:25]
	s_cbranch_vccnz .LBB172_40
.LBB172_182:
	s_branch .LBB172_334
.LBB172_183:
	v_lshlrev_b32_e32 v13, 4, v13
	global_load_ubyte v10, v13, s[8:9]
	global_load_dwordx2 v[4:5], v13, s[8:9] offset:8
	s_or_b64 exec, exec, s[10:11]
	s_and_saveexec_b64 s[10:11], s[6:7]
	s_cbranch_execz .LBB172_92
.LBB172_184:
	s_waitcnt vmcnt(1)
	v_and_b32_e32 v1, 1, v1
	v_cmp_eq_u32_e64 s[6:7], 1, v1
	v_and_b32_e32 v1, 1, v12
	v_cmp_eq_u32_e64 s[8:9], 1, v1
	s_and_b64 s[8:9], s[6:7], s[8:9]
	s_xor_b64 s[8:9], s[8:9], -1
                                        ; implicit-def: $vgpr1
	s_and_saveexec_b64 s[16:17], s[8:9]
	s_xor_b64 s[8:9], exec, s[16:17]
	s_cbranch_execz .LBB172_186
; %bb.185:
	v_and_b32_e32 v1, 0xff, v12
	v_cndmask_b32_e64 v1, v1, 1, s[6:7]
	s_waitcnt vmcnt(0)
	v_cndmask_b32_e64 v3, v9, v3, s[6:7]
	v_cndmask_b32_e64 v2, v8, v2, s[6:7]
                                        ; implicit-def: $vgpr8_vgpr9
.LBB172_186:
	s_andn2_saveexec_b64 s[8:9], s[8:9]
	s_cbranch_execz .LBB172_188
; %bb.187:
	s_waitcnt vmcnt(0)
	v_cmp_lt_i64_e64 s[6:7], v[8:9], v[2:3]
	v_mov_b32_e32 v1, 1
	s_nop 0
	v_cndmask_b32_e64 v3, v3, v9, s[6:7]
	v_cndmask_b32_e64 v2, v2, v8, s[6:7]
.LBB172_188:
	s_or_b64 exec, exec, s[8:9]
	s_or_b64 exec, exec, s[10:11]
	s_and_saveexec_b64 s[8:9], s[4:5]
	s_cbranch_execz .LBB172_93
.LBB172_189:
	s_waitcnt vmcnt(1)
	v_and_b32_e32 v1, 1, v1
	v_cmp_eq_u32_e64 s[4:5], 1, v1
	v_and_b32_e32 v1, 1, v11
	v_cmp_eq_u32_e64 s[6:7], 1, v1
	s_and_b64 s[6:7], s[4:5], s[6:7]
	s_xor_b64 s[6:7], s[6:7], -1
                                        ; implicit-def: $vgpr1
	s_and_saveexec_b64 s[10:11], s[6:7]
	s_xor_b64 s[6:7], exec, s[10:11]
	s_cbranch_execz .LBB172_191
; %bb.190:
	v_and_b32_e32 v1, 0xff, v11
	v_cndmask_b32_e64 v1, v1, 1, s[4:5]
	s_waitcnt vmcnt(0)
	v_cndmask_b32_e64 v3, v7, v3, s[4:5]
	v_cndmask_b32_e64 v2, v6, v2, s[4:5]
                                        ; implicit-def: $vgpr6_vgpr7
.LBB172_191:
	s_andn2_saveexec_b64 s[6:7], s[6:7]
	s_cbranch_execz .LBB172_193
; %bb.192:
	s_waitcnt vmcnt(0)
	v_cmp_lt_i64_e64 s[4:5], v[6:7], v[2:3]
	v_mov_b32_e32 v1, 1
	s_nop 0
	v_cndmask_b32_e64 v3, v3, v7, s[4:5]
	v_cndmask_b32_e64 v2, v2, v6, s[4:5]
.LBB172_193:
	s_or_b64 exec, exec, s[6:7]
	s_or_b64 exec, exec, s[8:9]
	s_and_saveexec_b64 s[6:7], vcc
	s_cbranch_execz .LBB172_199
.LBB172_194:
	s_waitcnt vmcnt(1)
	v_and_b32_e32 v1, 1, v1
	v_cmp_eq_u32_e32 vcc, 1, v1
	v_and_b32_e32 v1, 1, v10
	v_cmp_eq_u32_e64 s[4:5], 1, v1
	s_and_b64 s[4:5], vcc, s[4:5]
	s_xor_b64 s[4:5], s[4:5], -1
                                        ; implicit-def: $vgpr1
	s_and_saveexec_b64 s[8:9], s[4:5]
	s_xor_b64 s[4:5], exec, s[8:9]
	s_cbranch_execz .LBB172_196
; %bb.195:
	v_and_b32_e32 v1, 0xff, v10
	v_cndmask_b32_e64 v1, v1, 1, vcc
	s_waitcnt vmcnt(0)
	v_cndmask_b32_e32 v3, v5, v3, vcc
	v_cndmask_b32_e32 v2, v4, v2, vcc
                                        ; implicit-def: $vgpr4_vgpr5
.LBB172_196:
	s_andn2_saveexec_b64 s[4:5], s[4:5]
	s_cbranch_execz .LBB172_198
; %bb.197:
	s_waitcnt vmcnt(0)
	v_cmp_lt_i64_e32 vcc, v[4:5], v[2:3]
	v_mov_b32_e32 v1, 1
	s_nop 0
	v_cndmask_b32_e32 v3, v3, v5, vcc
	v_cndmask_b32_e32 v2, v2, v4, vcc
.LBB172_198:
	s_or_b64 exec, exec, s[4:5]
.LBB172_199:
	s_or_b64 exec, exec, s[6:7]
	s_waitcnt vmcnt(0)
	v_mbcnt_lo_u32_b32 v4, -1, 0
	v_mbcnt_hi_u32_b32 v6, -1, v4
	v_and_b32_e32 v7, 63, v6
	v_cmp_ne_u32_e32 vcc, 63, v7
	s_min_u32 s8, s14, 0x80
	v_and_b32_e32 v8, 64, v0
	v_addc_co_u32_e32 v4, vcc, 0, v6, vcc
	v_lshlrev_b32_e32 v5, 2, v4
	ds_bpermute_b32 v9, v5, v1
	ds_bpermute_b32 v4, v5, v2
	;; [unrolled: 1-line block ×3, first 2 shown]
	v_sub_u32_e64 v8, s8, v8 clamp
	v_add_u32_e32 v10, 1, v7
	v_cmp_lt_u32_e32 vcc, v10, v8
	s_and_saveexec_b64 s[4:5], vcc
	s_xor_b64 s[4:5], exec, s[4:5]
	s_cbranch_execz .LBB172_205
; %bb.200:
	s_waitcnt lgkmcnt(2)
	v_and_b32_e32 v10, v9, v1
	v_cmp_ne_u32_e32 vcc, 0, v10
	s_and_saveexec_b64 s[6:7], vcc
	s_xor_b64 s[6:7], exec, s[6:7]
	s_cbranch_execz .LBB172_202
; %bb.201:
	s_waitcnt lgkmcnt(0)
	v_cmp_lt_i64_e32 vcc, v[4:5], v[2:3]
                                        ; implicit-def: $vgpr1
                                        ; implicit-def: $vgpr9
	s_nop 1
	v_cndmask_b32_e32 v3, v3, v5, vcc
	v_cndmask_b32_e32 v2, v2, v4, vcc
                                        ; implicit-def: $vgpr4_vgpr5
.LBB172_202:
	s_or_saveexec_b64 s[6:7], s[6:7]
	v_mov_b32_e32 v10, 1
	s_xor_b64 exec, exec, s[6:7]
	s_cbranch_execz .LBB172_204
; %bb.203:
	v_and_b32_e32 v1, 1, v1
	v_cmp_eq_u32_e32 vcc, 1, v1
	v_and_b32_e32 v1, 0xff, v9
	s_waitcnt lgkmcnt(0)
	v_cndmask_b32_e32 v3, v5, v3, vcc
	v_cndmask_b32_e32 v2, v4, v2, vcc
	v_cndmask_b32_e64 v10, v1, 1, vcc
.LBB172_204:
	s_or_b64 exec, exec, s[6:7]
	v_mov_b32_e32 v1, v10
.LBB172_205:
	s_or_b64 exec, exec, s[4:5]
	v_cmp_gt_u32_e32 vcc, 62, v7
	v_add_u32_e32 v10, 2, v7
	s_waitcnt lgkmcnt(1)
	v_cndmask_b32_e64 v4, 0, 2, vcc
	s_waitcnt lgkmcnt(0)
	v_add_lshl_u32 v5, v4, v6, 2
	ds_bpermute_b32 v9, v5, v1
	ds_bpermute_b32 v4, v5, v2
	ds_bpermute_b32 v5, v5, v3
	v_cmp_lt_u32_e32 vcc, v10, v8
	s_and_saveexec_b64 s[4:5], vcc
	s_cbranch_execz .LBB172_211
; %bb.206:
	s_waitcnt lgkmcnt(2)
	v_and_b32_e32 v10, v1, v9
	v_and_b32_e32 v10, 1, v10
	v_cmp_eq_u32_e32 vcc, 1, v10
	s_and_saveexec_b64 s[6:7], vcc
	s_xor_b64 s[6:7], exec, s[6:7]
	s_cbranch_execz .LBB172_208
; %bb.207:
	s_waitcnt lgkmcnt(0)
	v_cmp_lt_i64_e32 vcc, v[4:5], v[2:3]
                                        ; implicit-def: $vgpr1
                                        ; implicit-def: $vgpr9
	s_nop 1
	v_cndmask_b32_e32 v3, v3, v5, vcc
	v_cndmask_b32_e32 v2, v2, v4, vcc
                                        ; implicit-def: $vgpr4_vgpr5
.LBB172_208:
	s_or_saveexec_b64 s[6:7], s[6:7]
	v_mov_b32_e32 v10, 1
	s_xor_b64 exec, exec, s[6:7]
	s_cbranch_execz .LBB172_210
; %bb.209:
	v_and_b32_e32 v1, 1, v1
	v_cmp_eq_u32_e32 vcc, 1, v1
	v_and_b32_e32 v1, 0xff, v9
	s_waitcnt lgkmcnt(0)
	v_cndmask_b32_e32 v3, v5, v3, vcc
	v_cndmask_b32_e32 v2, v4, v2, vcc
	v_cndmask_b32_e64 v10, v1, 1, vcc
.LBB172_210:
	s_or_b64 exec, exec, s[6:7]
	v_mov_b32_e32 v1, v10
.LBB172_211:
	s_or_b64 exec, exec, s[4:5]
	v_cmp_gt_u32_e32 vcc, 60, v7
	v_add_u32_e32 v10, 4, v7
	s_waitcnt lgkmcnt(1)
	v_cndmask_b32_e64 v4, 0, 4, vcc
	s_waitcnt lgkmcnt(0)
	v_add_lshl_u32 v5, v4, v6, 2
	ds_bpermute_b32 v9, v5, v1
	ds_bpermute_b32 v4, v5, v2
	ds_bpermute_b32 v5, v5, v3
	v_cmp_lt_u32_e32 vcc, v10, v8
	s_and_saveexec_b64 s[4:5], vcc
	s_cbranch_execz .LBB172_217
; %bb.212:
	s_waitcnt lgkmcnt(2)
	v_and_b32_e32 v10, v1, v9
	v_and_b32_e32 v10, 1, v10
	v_cmp_eq_u32_e32 vcc, 1, v10
	s_and_saveexec_b64 s[6:7], vcc
	s_xor_b64 s[6:7], exec, s[6:7]
	s_cbranch_execz .LBB172_214
; %bb.213:
	s_waitcnt lgkmcnt(0)
	v_cmp_lt_i64_e32 vcc, v[4:5], v[2:3]
                                        ; implicit-def: $vgpr1
                                        ; implicit-def: $vgpr9
	s_nop 1
	v_cndmask_b32_e32 v3, v3, v5, vcc
	v_cndmask_b32_e32 v2, v2, v4, vcc
                                        ; implicit-def: $vgpr4_vgpr5
.LBB172_214:
	s_or_saveexec_b64 s[6:7], s[6:7]
	v_mov_b32_e32 v10, 1
	s_xor_b64 exec, exec, s[6:7]
	s_cbranch_execz .LBB172_216
; %bb.215:
	v_and_b32_e32 v1, 1, v1
	v_cmp_eq_u32_e32 vcc, 1, v1
	v_and_b32_e32 v1, 0xff, v9
	s_waitcnt lgkmcnt(0)
	v_cndmask_b32_e32 v3, v5, v3, vcc
	v_cndmask_b32_e32 v2, v4, v2, vcc
	v_cndmask_b32_e64 v10, v1, 1, vcc
.LBB172_216:
	s_or_b64 exec, exec, s[6:7]
	v_mov_b32_e32 v1, v10
.LBB172_217:
	;; [unrolled: 47-line block ×4, first 2 shown]
	s_or_b64 exec, exec, s[4:5]
	s_waitcnt lgkmcnt(2)
	v_lshlrev_b32_e32 v9, 2, v6
	s_waitcnt lgkmcnt(0)
	v_or_b32_e32 v5, 0x80, v9
	ds_bpermute_b32 v10, v5, v1
	ds_bpermute_b32 v4, v5, v2
	;; [unrolled: 1-line block ×3, first 2 shown]
	v_add_u32_e32 v7, 32, v7
	v_cmp_lt_u32_e32 vcc, v7, v8
	v_mov_b32_e32 v7, v1
	s_and_saveexec_b64 s[4:5], vcc
	s_cbranch_execz .LBB172_235
; %bb.230:
	s_waitcnt lgkmcnt(2)
	v_and_b32_e32 v7, v1, v10
	v_and_b32_e32 v7, 1, v7
	v_cmp_eq_u32_e32 vcc, 1, v7
	s_and_saveexec_b64 s[6:7], vcc
	s_xor_b64 s[6:7], exec, s[6:7]
	s_cbranch_execz .LBB172_232
; %bb.231:
	s_waitcnt lgkmcnt(0)
	v_cmp_lt_i64_e32 vcc, v[4:5], v[2:3]
                                        ; implicit-def: $vgpr1
                                        ; implicit-def: $vgpr10
	s_nop 1
	v_cndmask_b32_e32 v3, v3, v5, vcc
	v_cndmask_b32_e32 v2, v2, v4, vcc
                                        ; implicit-def: $vgpr4_vgpr5
.LBB172_232:
	s_or_saveexec_b64 s[6:7], s[6:7]
	v_mov_b32_e32 v7, 1
	s_xor_b64 exec, exec, s[6:7]
	s_cbranch_execz .LBB172_234
; %bb.233:
	v_and_b32_e32 v1, 1, v1
	v_cmp_eq_u32_e32 vcc, 1, v1
	s_nop 1
	v_cndmask_b32_e64 v7, v10, 1, vcc
	s_waitcnt lgkmcnt(0)
	v_cndmask_b32_e32 v3, v5, v3, vcc
	v_cndmask_b32_e32 v2, v4, v2, vcc
.LBB172_234:
	s_or_b64 exec, exec, s[6:7]
	v_and_b32_e32 v1, 0xff, v7
.LBB172_235:
	s_or_b64 exec, exec, s[4:5]
	v_cmp_eq_u32_e32 vcc, 0, v6
	s_and_saveexec_b64 s[4:5], vcc
	s_cbranch_execz .LBB172_237
; %bb.236:
	s_waitcnt lgkmcnt(1)
	v_lshrrev_b32_e32 v4, 2, v0
	v_and_b32_e32 v4, 16, v4
	ds_write_b8 v4, v7 offset:128
	ds_write_b64 v4, v[2:3] offset:136
.LBB172_237:
	s_or_b64 exec, exec, s[4:5]
	v_cmp_gt_u32_e32 vcc, 2, v0
	s_waitcnt lgkmcnt(0)
	s_barrier
	s_and_saveexec_b64 s[4:5], vcc
	s_cbranch_execz .LBB172_245
; %bb.238:
	v_lshlrev_b32_e32 v1, 4, v6
	ds_read_u8 v7, v1 offset:128
	ds_read_b64 v[2:3], v1 offset:136
	v_or_b32_e32 v5, 4, v9
	s_add_i32 s8, s8, 63
	v_and_b32_e32 v6, 1, v6
	s_waitcnt lgkmcnt(1)
	v_and_b32_e32 v1, 0xff, v7
	s_waitcnt lgkmcnt(0)
	ds_bpermute_b32 v4, v5, v2
	ds_bpermute_b32 v8, v5, v1
	;; [unrolled: 1-line block ×3, first 2 shown]
	s_lshr_b32 s6, s8, 6
	v_add_u32_e32 v6, 1, v6
	v_cmp_gt_u32_e32 vcc, s6, v6
	s_and_saveexec_b64 s[6:7], vcc
	s_cbranch_execz .LBB172_244
; %bb.239:
	s_waitcnt lgkmcnt(1)
	v_and_b32_e32 v1, v1, v8
	v_and_b32_e32 v1, 1, v1
	v_cmp_eq_u32_e32 vcc, 1, v1
	s_and_saveexec_b64 s[8:9], vcc
	s_xor_b64 s[8:9], exec, s[8:9]
	s_cbranch_execz .LBB172_241
; %bb.240:
	s_waitcnt lgkmcnt(0)
	v_cmp_lt_i64_e32 vcc, v[4:5], v[2:3]
                                        ; implicit-def: $vgpr7
                                        ; implicit-def: $vgpr8
	s_nop 1
	v_cndmask_b32_e32 v3, v3, v5, vcc
	v_cndmask_b32_e32 v2, v2, v4, vcc
                                        ; implicit-def: $vgpr4_vgpr5
.LBB172_241:
	s_or_saveexec_b64 s[8:9], s[8:9]
	v_mov_b32_e32 v1, 1
	s_xor_b64 exec, exec, s[8:9]
	s_cbranch_execz .LBB172_243
; %bb.242:
	v_and_b32_e32 v1, 1, v7
	v_cmp_eq_u32_e32 vcc, 1, v1
	s_waitcnt lgkmcnt(0)
	s_nop 0
	v_cndmask_b32_e32 v3, v5, v3, vcc
	v_cndmask_b32_e32 v2, v4, v2, vcc
	v_cndmask_b32_e64 v1, v8, 1, vcc
.LBB172_243:
	s_or_b64 exec, exec, s[8:9]
.LBB172_244:
	s_or_b64 exec, exec, s[6:7]
.LBB172_245:
	s_or_b64 exec, exec, s[4:5]
.LBB172_246:
	v_cmp_eq_u32_e32 vcc, 0, v0
                                        ; implicit-def: $vgpr4_vgpr5
                                        ; implicit-def: $vgpr6
	s_and_saveexec_b64 s[4:5], vcc
	s_xor_b64 s[8:9], exec, s[4:5]
	s_cbranch_execz .LBB172_250
; %bb.247:
	s_cmp_eq_u64 s[22:23], 0
	s_waitcnt lgkmcnt(0)
	v_mov_b64_e32 v[4:5], s[18:19]
	v_mov_b32_e32 v6, s28
	s_cbranch_scc1 .LBB172_249
; %bb.248:
	s_bitcmp1_b32 s28, 0
	v_and_b32_e32 v4, 1, v1
	v_cmp_eq_u32_e32 vcc, 1, v4
	v_cmp_gt_i64_e64 s[4:5], s[18:19], v[2:3]
	s_cselect_b64 s[6:7], -1, 0
	v_cndmask_b32_e64 v6, v1, 1, s[6:7]
	v_mov_b32_e32 v1, s18
	s_and_b64 vcc, vcc, s[4:5]
	v_mov_b32_e32 v4, s19
	v_cndmask_b32_e32 v1, v1, v2, vcc
	v_cndmask_b32_e32 v4, v4, v3, vcc
	v_cndmask_b32_e64 v5, v3, v4, s[6:7]
	v_cndmask_b32_e64 v4, v2, v1, s[6:7]
.LBB172_249:
	s_or_b64 s[12:13], s[12:13], exec
.LBB172_250:
	s_or_b64 exec, exec, s[8:9]
	v_mov_b64_e32 v[2:3], s[2:3]
	s_branch .LBB172_334
.LBB172_251:
	s_cmp_gt_i32 s29, 1
	s_cbranch_scc0 .LBB172_263
; %bb.252:
	s_cmp_eq_u32 s29, 2
	s_cbranch_scc0 .LBB172_264
; %bb.253:
	s_mov_b32 s3, 0
	s_lshl_b32 s16, s2, 8
	s_mov_b32 s17, s3
	s_lshr_b64 s[4:5], s[22:23], 8
	s_lshl_b64 s[6:7], s[16:17], 4
	s_add_u32 s14, s20, s6
	s_addc_u32 s15, s21, s7
	s_cmp_lg_u64 s[4:5], s[2:3]
	s_cbranch_scc0 .LBB172_265
; %bb.254:
	v_lshlrev_b32_e32 v1, 4, v0
	s_waitcnt lgkmcnt(0)
	global_load_ubyte v7, v1, s[14:15]
	global_load_ubyte v8, v1, s[14:15] offset:2048
	global_load_dwordx2 v[2:3], v1, s[14:15] offset:8
	global_load_dwordx2 v[4:5], v1, s[14:15] offset:2056
	v_mbcnt_lo_u32_b32 v1, -1, 0
	v_mbcnt_hi_u32_b32 v1, -1, v1
	v_lshlrev_b32_e32 v6, 2, v1
	v_or_b32_e32 v9, 0xfc, v6
	s_waitcnt vmcnt(3)
	v_and_b32_e32 v7, 1, v7
	s_waitcnt vmcnt(2)
	v_and_b32_e32 v10, 1, v8
	v_cmp_eq_u32_e64 s[4:5], 1, v10
	s_waitcnt vmcnt(0)
	v_cmp_lt_i64_e32 vcc, v[4:5], v[2:3]
	s_and_b64 vcc, s[4:5], vcc
	v_cmp_eq_u32_e64 s[6:7], 1, v7
	v_cndmask_b32_e32 v2, v2, v4, vcc
	v_cndmask_b32_e32 v3, v3, v5, vcc
	v_cndmask_b32_e64 v7, v8, 1, s[6:7]
	v_cndmask_b32_e64 v2, v4, v2, s[6:7]
	v_cndmask_b32_e64 v3, v5, v3, s[6:7]
	v_and_b32_e32 v7, 1, v7
	v_mov_b32_dpp v4, v2 quad_perm:[1,0,3,2] row_mask:0xf bank_mask:0xf bound_ctrl:1
	v_mov_b32_dpp v5, v3 quad_perm:[1,0,3,2] row_mask:0xf bank_mask:0xf bound_ctrl:1
	;; [unrolled: 1-line block ×3, first 2 shown]
	v_cmp_eq_u32_e32 vcc, 1, v7
	v_cmp_lt_i64_e64 s[4:5], v[2:3], v[4:5]
	v_and_b32_e32 v8, 1, v8
	s_and_b64 vcc, vcc, s[4:5]
	v_cndmask_b32_e32 v4, v4, v2, vcc
	v_cndmask_b32_e32 v5, v5, v3, vcc
	v_cmp_eq_u32_e32 vcc, 1, v8
	s_nop 1
	v_cndmask_b32_e32 v3, v3, v5, vcc
	v_cndmask_b32_e32 v2, v2, v4, vcc
	v_cndmask_b32_e64 v7, v7, 1, vcc
	v_mov_b32_dpp v5, v3 quad_perm:[2,3,0,1] row_mask:0xf bank_mask:0xf bound_ctrl:1
	v_mov_b32_dpp v4, v2 quad_perm:[2,3,0,1] row_mask:0xf bank_mask:0xf bound_ctrl:1
	v_and_b32_e32 v10, 1, v7
	v_mov_b32_dpp v8, v7 quad_perm:[2,3,0,1] row_mask:0xf bank_mask:0xf bound_ctrl:1
	v_cmp_eq_u32_e32 vcc, 1, v10
	v_cmp_lt_i64_e64 s[4:5], v[2:3], v[4:5]
	v_and_b32_e32 v8, 1, v8
	s_and_b64 vcc, vcc, s[4:5]
	v_cmp_eq_u32_e64 s[6:7], 1, v8
	v_cndmask_b32_e32 v4, v4, v2, vcc
	v_cndmask_b32_e32 v5, v5, v3, vcc
	v_cndmask_b32_e64 v7, v7, 1, s[6:7]
	v_cndmask_b32_e64 v2, v2, v4, s[6:7]
	;; [unrolled: 1-line block ×3, first 2 shown]
	v_and_b32_e32 v10, 1, v7
	v_mov_b32_dpp v4, v2 row_ror:4 row_mask:0xf bank_mask:0xf bound_ctrl:1
	v_mov_b32_dpp v5, v3 row_ror:4 row_mask:0xf bank_mask:0xf bound_ctrl:1
	;; [unrolled: 1-line block ×3, first 2 shown]
	v_cmp_eq_u32_e32 vcc, 1, v10
	v_cmp_lt_i64_e64 s[6:7], v[2:3], v[4:5]
	v_and_b32_e32 v8, 1, v8
	s_and_b64 vcc, vcc, s[6:7]
	v_cmp_eq_u32_e64 s[4:5], 1, v8
	v_cndmask_b32_e32 v4, v4, v2, vcc
	v_cndmask_b32_e32 v5, v5, v3, vcc
	v_cndmask_b32_e64 v7, v7, 1, s[4:5]
	v_cndmask_b32_e64 v2, v2, v4, s[4:5]
	v_cndmask_b32_e64 v3, v3, v5, s[4:5]
	v_and_b32_e32 v10, 1, v7
	v_mov_b32_dpp v4, v2 row_ror:8 row_mask:0xf bank_mask:0xf bound_ctrl:1
	v_mov_b32_dpp v5, v3 row_ror:8 row_mask:0xf bank_mask:0xf bound_ctrl:1
	;; [unrolled: 1-line block ×3, first 2 shown]
	v_cmp_eq_u32_e64 s[6:7], 1, v10
	v_cmp_lt_i64_e64 s[8:9], v[2:3], v[4:5]
	v_and_b32_e32 v8, 1, v8
	s_and_b64 s[6:7], s[6:7], s[8:9]
	v_cmp_eq_u32_e32 vcc, 1, v8
	v_cndmask_b32_e64 v4, v4, v2, s[6:7]
	v_cndmask_b32_e64 v5, v5, v3, s[6:7]
	v_cndmask_b32_e64 v7, v7, 1, vcc
	v_cndmask_b32_e32 v2, v2, v4, vcc
	v_cndmask_b32_e32 v3, v3, v5, vcc
	v_and_b32_e32 v10, 1, v7
	v_mov_b32_dpp v4, v2 row_bcast:15 row_mask:0xf bank_mask:0xf bound_ctrl:1
	v_mov_b32_dpp v5, v3 row_bcast:15 row_mask:0xf bank_mask:0xf bound_ctrl:1
	;; [unrolled: 1-line block ×3, first 2 shown]
	v_cmp_eq_u32_e64 s[4:5], 1, v10
	v_cmp_lt_i64_e64 s[8:9], v[2:3], v[4:5]
	v_and_b32_e32 v8, 1, v8
	s_and_b64 s[4:5], s[4:5], s[8:9]
	v_cmp_eq_u32_e64 s[10:11], 1, v8
	v_cndmask_b32_e64 v4, v4, v2, s[4:5]
	v_cndmask_b32_e64 v5, v5, v3, s[4:5]
	;; [unrolled: 1-line block ×5, first 2 shown]
	v_and_b32_e32 v10, 1, v7
	v_mov_b32_dpp v4, v2 row_bcast:31 row_mask:0xf bank_mask:0xf bound_ctrl:1
	v_mov_b32_dpp v5, v3 row_bcast:31 row_mask:0xf bank_mask:0xf bound_ctrl:1
	;; [unrolled: 1-line block ×3, first 2 shown]
	v_cmp_eq_u32_e64 s[6:7], 1, v10
	v_cmp_lt_i64_e64 s[4:5], v[2:3], v[4:5]
	v_and_b32_e32 v8, 1, v8
	s_and_b64 s[4:5], s[6:7], s[4:5]
	v_cmp_eq_u32_e32 vcc, 1, v8
	v_cndmask_b32_e64 v4, v4, v2, s[4:5]
	v_cndmask_b32_e64 v5, v5, v3, s[4:5]
	v_cndmask_b32_e64 v7, v7, 1, vcc
	v_cndmask_b32_e32 v2, v2, v4, vcc
	v_cndmask_b32_e32 v3, v3, v5, vcc
	ds_bpermute_b32 v8, v9, v7
	ds_bpermute_b32 v2, v9, v2
	;; [unrolled: 1-line block ×3, first 2 shown]
	v_cmp_eq_u32_e32 vcc, 0, v1
	s_and_saveexec_b64 s[4:5], vcc
	s_cbranch_execz .LBB172_256
; %bb.255:
	v_lshrrev_b32_e32 v4, 2, v0
	v_and_b32_e32 v4, 16, v4
	s_waitcnt lgkmcnt(2)
	ds_write_b8 v4, v8 offset:32
	s_waitcnt lgkmcnt(1)
	ds_write_b64 v4, v[2:3] offset:40
.LBB172_256:
	s_or_b64 exec, exec, s[4:5]
	v_cmp_gt_u32_e32 vcc, 64, v0
	s_waitcnt lgkmcnt(0)
	s_barrier
	s_and_saveexec_b64 s[4:5], vcc
	s_cbranch_execz .LBB172_262
; %bb.257:
	v_and_b32_e32 v1, 1, v1
	v_lshlrev_b32_e32 v2, 4, v1
	ds_read_u8 v1, v2 offset:32
	ds_read_b64 v[4:5], v2 offset:40
	v_or_b32_e32 v3, 4, v6
	s_waitcnt lgkmcnt(1)
	v_and_b32_e32 v2, 0xff, v1
	ds_bpermute_b32 v9, v3, v2
	s_waitcnt lgkmcnt(1)
	ds_bpermute_b32 v6, v3, v4
	ds_bpermute_b32 v7, v3, v5
	s_waitcnt lgkmcnt(2)
	v_and_b32_e32 v2, v1, v9
	v_and_b32_e32 v2, 1, v2
	v_cmp_eq_u32_e32 vcc, 1, v2
                                        ; implicit-def: $vgpr2_vgpr3
	s_and_saveexec_b64 s[6:7], vcc
	s_xor_b64 s[6:7], exec, s[6:7]
	s_cbranch_execz .LBB172_259
; %bb.258:
	s_waitcnt lgkmcnt(0)
	v_cmp_lt_i64_e32 vcc, v[6:7], v[4:5]
                                        ; implicit-def: $vgpr1
                                        ; implicit-def: $vgpr9
	s_nop 1
	v_cndmask_b32_e32 v3, v5, v7, vcc
	v_cndmask_b32_e32 v2, v4, v6, vcc
                                        ; implicit-def: $vgpr6_vgpr7
                                        ; implicit-def: $vgpr4_vgpr5
.LBB172_259:
	s_or_saveexec_b64 s[6:7], s[6:7]
	v_mov_b32_e32 v8, 1
	s_xor_b64 exec, exec, s[6:7]
	s_cbranch_execz .LBB172_261
; %bb.260:
	v_and_b32_e32 v1, 1, v1
	v_cmp_eq_u32_e32 vcc, 1, v1
	s_waitcnt lgkmcnt(0)
	s_nop 0
	v_cndmask_b32_e32 v3, v7, v5, vcc
	v_cndmask_b32_e32 v2, v6, v4, vcc
	v_cndmask_b32_e64 v8, v9, 1, vcc
.LBB172_261:
	s_or_b64 exec, exec, s[6:7]
.LBB172_262:
	s_or_b64 exec, exec, s[4:5]
	s_branch .LBB172_317
.LBB172_263:
                                        ; implicit-def: $vgpr4_vgpr5
                                        ; implicit-def: $vgpr6
                                        ; implicit-def: $vgpr2_vgpr3
	s_cbranch_execnz .LBB172_322
	s_branch .LBB172_334
.LBB172_264:
                                        ; implicit-def: $vgpr4_vgpr5
                                        ; implicit-def: $vgpr6
                                        ; implicit-def: $vgpr2_vgpr3
	s_branch .LBB172_334
.LBB172_265:
                                        ; implicit-def: $vgpr2_vgpr3
                                        ; implicit-def: $vgpr8
	s_cbranch_execz .LBB172_317
; %bb.266:
	s_sub_i32 s10, s22, s16
	v_cmp_gt_u32_e32 vcc, s10, v0
	v_mov_b32_e32 v1, 0
	s_waitcnt lgkmcnt(0)
	v_mov_b64_e32 v[4:5], 0
	v_mov_b64_e32 v[2:3], 0
	v_mov_b32_e32 v6, 0
	s_and_saveexec_b64 s[4:5], vcc
	s_cbranch_execz .LBB172_268
; %bb.267:
	v_lshlrev_b32_e32 v7, 4, v0
	global_load_ubyte v6, v7, s[14:15]
	global_load_dwordx2 v[2:3], v7, s[14:15] offset:8
.LBB172_268:
	s_or_b64 exec, exec, s[4:5]
	v_or_b32_e32 v7, 0x80, v0
	v_cmp_gt_u32_e32 vcc, s10, v7
	s_and_saveexec_b64 s[4:5], vcc
	s_cbranch_execz .LBB172_270
; %bb.269:
	v_lshlrev_b32_e32 v7, 4, v0
	global_load_ubyte v1, v7, s[14:15] offset:2048
	global_load_dwordx2 v[4:5], v7, s[14:15] offset:2056
.LBB172_270:
	s_or_b64 exec, exec, s[4:5]
	s_waitcnt vmcnt(1)
	v_and_b32_e32 v8, 0xff, v1
	v_and_b32_e32 v1, 1, v1
	v_cmp_eq_u32_e64 s[4:5], 1, v1
	v_and_b32_e32 v1, 1, v6
	s_waitcnt vmcnt(0)
	v_cmp_lt_i64_e64 s[6:7], v[4:5], v[2:3]
	v_cmp_eq_u32_e64 s[8:9], 1, v1
	s_and_b64 s[4:5], s[4:5], s[6:7]
	v_and_b32_e32 v7, 0xff, v6
	v_cndmask_b32_e64 v1, v8, 1, s[8:9]
	v_cndmask_b32_e64 v8, v2, v4, s[4:5]
	;; [unrolled: 1-line block ×3, first 2 shown]
	v_cndmask_b32_e32 v8, v7, v1, vcc
	v_mbcnt_lo_u32_b32 v1, -1, 0
	v_cndmask_b32_e64 v6, v3, v5, s[4:5]
	v_mbcnt_hi_u32_b32 v1, -1, v1
	v_cndmask_b32_e64 v5, v5, v6, s[8:9]
	v_and_b32_e32 v6, 63, v1
	v_cndmask_b32_e32 v3, v3, v5, vcc
	v_cndmask_b32_e32 v2, v2, v4, vcc
	v_cmp_ne_u32_e32 vcc, 63, v6
	s_min_u32 s8, s10, 0x80
	v_and_b32_e32 v7, 64, v0
	v_addc_co_u32_e32 v4, vcc, 0, v1, vcc
	v_lshlrev_b32_e32 v5, 2, v4
	ds_bpermute_b32 v9, v5, v8
	ds_bpermute_b32 v4, v5, v2
	;; [unrolled: 1-line block ×3, first 2 shown]
	v_sub_u32_e64 v7, s8, v7 clamp
	v_add_u32_e32 v10, 1, v6
	v_cmp_lt_u32_e32 vcc, v10, v7
	s_and_saveexec_b64 s[4:5], vcc
	s_cbranch_execz .LBB172_276
; %bb.271:
	s_waitcnt lgkmcnt(2)
	v_and_b32_e32 v10, v9, v8
	v_cmp_ne_u32_e32 vcc, 0, v10
	s_and_saveexec_b64 s[6:7], vcc
	s_xor_b64 s[6:7], exec, s[6:7]
	s_cbranch_execz .LBB172_273
; %bb.272:
	s_waitcnt lgkmcnt(0)
	v_cmp_lt_i64_e32 vcc, v[4:5], v[2:3]
                                        ; implicit-def: $vgpr8
                                        ; implicit-def: $vgpr9
	s_nop 1
	v_cndmask_b32_e32 v3, v3, v5, vcc
	v_cndmask_b32_e32 v2, v2, v4, vcc
                                        ; implicit-def: $vgpr4_vgpr5
.LBB172_273:
	s_or_saveexec_b64 s[6:7], s[6:7]
	v_mov_b32_e32 v10, 1
	s_xor_b64 exec, exec, s[6:7]
	s_cbranch_execz .LBB172_275
; %bb.274:
	v_and_b32_e32 v8, 1, v8
	v_cmp_eq_u32_e32 vcc, 1, v8
	s_waitcnt lgkmcnt(1)
	s_nop 0
	v_cndmask_b32_e32 v2, v4, v2, vcc
	v_and_b32_e32 v4, 0xff, v9
	s_waitcnt lgkmcnt(0)
	v_cndmask_b32_e32 v3, v5, v3, vcc
	v_cndmask_b32_e64 v10, v4, 1, vcc
.LBB172_275:
	s_or_b64 exec, exec, s[6:7]
	v_mov_b32_e32 v8, v10
.LBB172_276:
	s_or_b64 exec, exec, s[4:5]
	v_cmp_gt_u32_e32 vcc, 62, v6
	v_add_u32_e32 v10, 2, v6
	s_waitcnt lgkmcnt(1)
	v_cndmask_b32_e64 v4, 0, 2, vcc
	s_waitcnt lgkmcnt(0)
	v_add_lshl_u32 v5, v4, v1, 2
	ds_bpermute_b32 v9, v5, v8
	ds_bpermute_b32 v4, v5, v2
	ds_bpermute_b32 v5, v5, v3
	v_cmp_lt_u32_e32 vcc, v10, v7
	s_and_saveexec_b64 s[4:5], vcc
	s_cbranch_execz .LBB172_282
; %bb.277:
	s_waitcnt lgkmcnt(2)
	v_and_b32_e32 v10, v8, v9
	v_and_b32_e32 v10, 1, v10
	v_cmp_eq_u32_e32 vcc, 1, v10
	s_and_saveexec_b64 s[6:7], vcc
	s_xor_b64 s[6:7], exec, s[6:7]
	s_cbranch_execz .LBB172_279
; %bb.278:
	s_waitcnt lgkmcnt(0)
	v_cmp_lt_i64_e32 vcc, v[4:5], v[2:3]
                                        ; implicit-def: $vgpr8
                                        ; implicit-def: $vgpr9
	s_nop 1
	v_cndmask_b32_e32 v3, v3, v5, vcc
	v_cndmask_b32_e32 v2, v2, v4, vcc
                                        ; implicit-def: $vgpr4_vgpr5
.LBB172_279:
	s_or_saveexec_b64 s[6:7], s[6:7]
	v_mov_b32_e32 v10, 1
	s_xor_b64 exec, exec, s[6:7]
	s_cbranch_execz .LBB172_281
; %bb.280:
	v_and_b32_e32 v8, 1, v8
	v_cmp_eq_u32_e32 vcc, 1, v8
	s_waitcnt lgkmcnt(1)
	s_nop 0
	v_cndmask_b32_e32 v2, v4, v2, vcc
	v_and_b32_e32 v4, 0xff, v9
	s_waitcnt lgkmcnt(0)
	v_cndmask_b32_e32 v3, v5, v3, vcc
	v_cndmask_b32_e64 v10, v4, 1, vcc
.LBB172_281:
	s_or_b64 exec, exec, s[6:7]
	v_mov_b32_e32 v8, v10
.LBB172_282:
	s_or_b64 exec, exec, s[4:5]
	v_cmp_gt_u32_e32 vcc, 60, v6
	v_add_u32_e32 v10, 4, v6
	s_waitcnt lgkmcnt(1)
	v_cndmask_b32_e64 v4, 0, 4, vcc
	s_waitcnt lgkmcnt(0)
	v_add_lshl_u32 v5, v4, v1, 2
	ds_bpermute_b32 v9, v5, v8
	ds_bpermute_b32 v4, v5, v2
	ds_bpermute_b32 v5, v5, v3
	v_cmp_lt_u32_e32 vcc, v10, v7
	s_and_saveexec_b64 s[4:5], vcc
	s_cbranch_execz .LBB172_288
; %bb.283:
	s_waitcnt lgkmcnt(2)
	v_and_b32_e32 v10, v8, v9
	v_and_b32_e32 v10, 1, v10
	v_cmp_eq_u32_e32 vcc, 1, v10
	s_and_saveexec_b64 s[6:7], vcc
	s_xor_b64 s[6:7], exec, s[6:7]
	s_cbranch_execz .LBB172_285
; %bb.284:
	s_waitcnt lgkmcnt(0)
	v_cmp_lt_i64_e32 vcc, v[4:5], v[2:3]
                                        ; implicit-def: $vgpr8
                                        ; implicit-def: $vgpr9
	s_nop 1
	v_cndmask_b32_e32 v3, v3, v5, vcc
	v_cndmask_b32_e32 v2, v2, v4, vcc
                                        ; implicit-def: $vgpr4_vgpr5
.LBB172_285:
	s_or_saveexec_b64 s[6:7], s[6:7]
	v_mov_b32_e32 v10, 1
	s_xor_b64 exec, exec, s[6:7]
	s_cbranch_execz .LBB172_287
; %bb.286:
	v_and_b32_e32 v8, 1, v8
	v_cmp_eq_u32_e32 vcc, 1, v8
	s_waitcnt lgkmcnt(1)
	s_nop 0
	v_cndmask_b32_e32 v2, v4, v2, vcc
	v_and_b32_e32 v4, 0xff, v9
	s_waitcnt lgkmcnt(0)
	v_cndmask_b32_e32 v3, v5, v3, vcc
	v_cndmask_b32_e64 v10, v4, 1, vcc
.LBB172_287:
	s_or_b64 exec, exec, s[6:7]
	v_mov_b32_e32 v8, v10
.LBB172_288:
	;; [unrolled: 49-line block ×4, first 2 shown]
	s_or_b64 exec, exec, s[4:5]
	s_waitcnt lgkmcnt(2)
	v_lshlrev_b32_e32 v9, 2, v1
	s_waitcnt lgkmcnt(0)
	v_or_b32_e32 v5, 0x80, v9
	ds_bpermute_b32 v10, v5, v8
	ds_bpermute_b32 v4, v5, v2
	;; [unrolled: 1-line block ×3, first 2 shown]
	v_add_u32_e32 v6, 32, v6
	v_cmp_lt_u32_e32 vcc, v6, v7
	v_mov_b32_e32 v6, v8
	s_and_saveexec_b64 s[4:5], vcc
	s_cbranch_execz .LBB172_306
; %bb.301:
	s_waitcnt lgkmcnt(2)
	v_and_b32_e32 v6, v8, v10
	v_and_b32_e32 v6, 1, v6
	v_cmp_eq_u32_e32 vcc, 1, v6
	s_and_saveexec_b64 s[6:7], vcc
	s_xor_b64 s[6:7], exec, s[6:7]
	s_cbranch_execz .LBB172_303
; %bb.302:
	s_waitcnt lgkmcnt(0)
	v_cmp_lt_i64_e32 vcc, v[4:5], v[2:3]
                                        ; implicit-def: $vgpr8
                                        ; implicit-def: $vgpr10
	s_nop 1
	v_cndmask_b32_e32 v3, v3, v5, vcc
	v_cndmask_b32_e32 v2, v2, v4, vcc
                                        ; implicit-def: $vgpr4_vgpr5
.LBB172_303:
	s_or_saveexec_b64 s[6:7], s[6:7]
	v_mov_b32_e32 v6, 1
	s_xor_b64 exec, exec, s[6:7]
	s_cbranch_execz .LBB172_305
; %bb.304:
	v_and_b32_e32 v6, 1, v8
	v_cmp_eq_u32_e32 vcc, 1, v6
	s_nop 1
	v_cndmask_b32_e64 v6, v10, 1, vcc
	s_waitcnt lgkmcnt(0)
	v_cndmask_b32_e32 v3, v5, v3, vcc
	v_cndmask_b32_e32 v2, v4, v2, vcc
.LBB172_305:
	s_or_b64 exec, exec, s[6:7]
	v_and_b32_e32 v8, 0xff, v6
.LBB172_306:
	s_or_b64 exec, exec, s[4:5]
	v_cmp_eq_u32_e32 vcc, 0, v1
	s_and_saveexec_b64 s[4:5], vcc
	s_cbranch_execz .LBB172_308
; %bb.307:
	s_waitcnt lgkmcnt(1)
	v_lshrrev_b32_e32 v4, 2, v0
	v_and_b32_e32 v4, 16, v4
	ds_write_b8 v4, v6 offset:128
	ds_write_b64 v4, v[2:3] offset:136
.LBB172_308:
	s_or_b64 exec, exec, s[4:5]
	v_cmp_gt_u32_e32 vcc, 2, v0
	s_waitcnt lgkmcnt(0)
	s_barrier
	s_and_saveexec_b64 s[4:5], vcc
	s_cbranch_execz .LBB172_316
; %bb.309:
	v_lshlrev_b32_e32 v2, 4, v1
	ds_read_u8 v6, v2 offset:128
	ds_read_b64 v[2:3], v2 offset:136
	v_or_b32_e32 v5, 4, v9
	s_add_i32 s8, s8, 63
	v_and_b32_e32 v1, 1, v1
	s_waitcnt lgkmcnt(1)
	v_and_b32_e32 v8, 0xff, v6
	s_waitcnt lgkmcnt(0)
	ds_bpermute_b32 v4, v5, v2
	ds_bpermute_b32 v7, v5, v8
	;; [unrolled: 1-line block ×3, first 2 shown]
	s_lshr_b32 s6, s8, 6
	v_add_u32_e32 v1, 1, v1
	v_cmp_gt_u32_e32 vcc, s6, v1
	s_and_saveexec_b64 s[6:7], vcc
	s_cbranch_execz .LBB172_315
; %bb.310:
	s_waitcnt lgkmcnt(1)
	v_and_b32_e32 v1, v8, v7
	v_and_b32_e32 v1, 1, v1
	v_cmp_eq_u32_e32 vcc, 1, v1
	s_and_saveexec_b64 s[8:9], vcc
	s_xor_b64 s[8:9], exec, s[8:9]
	s_cbranch_execz .LBB172_312
; %bb.311:
	s_waitcnt lgkmcnt(0)
	v_cmp_lt_i64_e32 vcc, v[4:5], v[2:3]
                                        ; implicit-def: $vgpr6
                                        ; implicit-def: $vgpr7
	s_nop 1
	v_cndmask_b32_e32 v3, v3, v5, vcc
	v_cndmask_b32_e32 v2, v2, v4, vcc
                                        ; implicit-def: $vgpr4_vgpr5
.LBB172_312:
	s_or_saveexec_b64 s[8:9], s[8:9]
	v_mov_b32_e32 v8, 1
	s_xor_b64 exec, exec, s[8:9]
	s_cbranch_execz .LBB172_314
; %bb.313:
	v_and_b32_e32 v1, 1, v6
	v_cmp_eq_u32_e32 vcc, 1, v1
	s_waitcnt lgkmcnt(0)
	s_nop 0
	v_cndmask_b32_e32 v3, v5, v3, vcc
	v_cndmask_b32_e32 v2, v4, v2, vcc
	v_cndmask_b32_e64 v8, v7, 1, vcc
.LBB172_314:
	s_or_b64 exec, exec, s[8:9]
.LBB172_315:
	s_or_b64 exec, exec, s[6:7]
.LBB172_316:
	s_or_b64 exec, exec, s[4:5]
.LBB172_317:
	v_cmp_eq_u32_e32 vcc, 0, v0
                                        ; implicit-def: $vgpr4_vgpr5
                                        ; implicit-def: $vgpr6
	s_and_saveexec_b64 s[4:5], vcc
	s_xor_b64 s[8:9], exec, s[4:5]
	s_cbranch_execz .LBB172_321
; %bb.318:
	s_cmp_eq_u64 s[22:23], 0
	s_waitcnt lgkmcnt(0)
	v_mov_b64_e32 v[4:5], s[18:19]
	v_mov_b32_e32 v6, s28
	s_cbranch_scc1 .LBB172_320
; %bb.319:
	v_and_b32_e32 v1, 1, v8
	s_bitcmp1_b32 s28, 0
	v_cmp_eq_u32_e32 vcc, 1, v1
	v_cmp_gt_i64_e64 s[4:5], s[18:19], v[2:3]
	s_cselect_b64 s[6:7], -1, 0
	v_mov_b32_e32 v1, s18
	s_and_b64 vcc, vcc, s[4:5]
	v_mov_b32_e32 v4, s19
	v_cndmask_b32_e32 v1, v1, v2, vcc
	v_cndmask_b32_e32 v4, v4, v3, vcc
	v_cndmask_b32_e64 v6, v8, 1, s[6:7]
	v_cndmask_b32_e64 v5, v3, v4, s[6:7]
	;; [unrolled: 1-line block ×3, first 2 shown]
.LBB172_320:
	s_or_b64 s[12:13], s[12:13], exec
.LBB172_321:
	s_or_b64 exec, exec, s[8:9]
	v_mov_b64_e32 v[2:3], s[2:3]
	s_branch .LBB172_334
.LBB172_322:
	s_cmp_eq_u32 s29, 1
	s_cbranch_scc0 .LBB172_333
; %bb.323:
	s_mov_b32 s15, 0
	s_lshl_b32 s14, s2, 7
	s_mov_b32 s3, s15
	s_lshr_b64 s[4:5], s[22:23], 7
	s_cmp_lg_u64 s[4:5], s[2:3]
	v_mbcnt_lo_u32_b32 v1, -1, 0
	s_cbranch_scc0 .LBB172_337
; %bb.324:
	s_lshl_b64 s[4:5], s[14:15], 4
	s_add_u32 s4, s20, s4
	s_addc_u32 s5, s21, s5
	s_waitcnt lgkmcnt(2)
	v_lshlrev_b32_e32 v4, 4, v0
	s_waitcnt lgkmcnt(0)
	global_load_ubyte v5, v4, s[4:5]
	global_load_dwordx2 v[2:3], v4, s[4:5] offset:8
	v_mbcnt_hi_u32_b32 v4, -1, v1
	v_lshlrev_b32_e32 v6, 2, v4
	v_or_b32_e32 v7, 0xfc, v6
	s_waitcnt vmcnt(1)
	v_and_b32_e32 v5, 1, v5
	s_waitcnt vmcnt(0)
	v_mov_b32_dpp v8, v2 quad_perm:[1,0,3,2] row_mask:0xf bank_mask:0xf bound_ctrl:1
	v_mov_b32_dpp v9, v3 quad_perm:[1,0,3,2] row_mask:0xf bank_mask:0xf bound_ctrl:1
	v_mov_b32_dpp v10, v5 quad_perm:[1,0,3,2] row_mask:0xf bank_mask:0xf bound_ctrl:1
	v_cmp_eq_u32_e32 vcc, 1, v5
	v_cmp_lt_i64_e64 s[4:5], v[2:3], v[8:9]
	v_and_b32_e32 v10, 1, v10
	s_and_b64 vcc, vcc, s[4:5]
	v_cndmask_b32_e32 v8, v8, v2, vcc
	v_cndmask_b32_e32 v9, v9, v3, vcc
	v_cmp_eq_u32_e32 vcc, 1, v10
	s_nop 1
	v_cndmask_b32_e64 v5, v5, 1, vcc
	v_cndmask_b32_e32 v3, v3, v9, vcc
	v_cndmask_b32_e32 v2, v2, v8, vcc
	v_mov_b32_dpp v10, v5 quad_perm:[2,3,0,1] row_mask:0xf bank_mask:0xf bound_ctrl:1
	v_and_b32_e32 v10, 1, v10
	v_mov_b32_dpp v8, v2 quad_perm:[2,3,0,1] row_mask:0xf bank_mask:0xf bound_ctrl:1
	v_mov_b32_dpp v9, v3 quad_perm:[2,3,0,1] row_mask:0xf bank_mask:0xf bound_ctrl:1
	v_and_b32_e32 v11, 1, v5
	v_cmp_eq_u32_e64 s[6:7], 1, v10
	v_cmp_eq_u32_e32 vcc, 1, v11
	v_cmp_lt_i64_e64 s[4:5], v[2:3], v[8:9]
	v_cndmask_b32_e64 v5, v5, 1, s[6:7]
	s_and_b64 vcc, vcc, s[4:5]
	v_cndmask_b32_e32 v8, v8, v2, vcc
	v_mov_b32_dpp v10, v5 row_ror:4 row_mask:0xf bank_mask:0xf bound_ctrl:1
	v_cndmask_b32_e32 v9, v9, v3, vcc
	v_and_b32_e32 v10, 1, v10
	v_cndmask_b32_e64 v2, v2, v8, s[6:7]
	v_cndmask_b32_e64 v3, v3, v9, s[6:7]
	v_cmp_eq_u32_e64 s[4:5], 1, v10
	v_and_b32_e32 v11, 1, v5
	v_mov_b32_dpp v8, v2 row_ror:4 row_mask:0xf bank_mask:0xf bound_ctrl:1
	v_mov_b32_dpp v9, v3 row_ror:4 row_mask:0xf bank_mask:0xf bound_ctrl:1
	v_cndmask_b32_e64 v5, v5, 1, s[4:5]
	v_cmp_eq_u32_e32 vcc, 1, v11
	v_cmp_lt_i64_e64 s[6:7], v[2:3], v[8:9]
	v_mov_b32_dpp v10, v5 row_ror:8 row_mask:0xf bank_mask:0xf bound_ctrl:1
	s_and_b64 vcc, vcc, s[6:7]
	v_and_b32_e32 v10, 1, v10
	v_cndmask_b32_e32 v8, v8, v2, vcc
	v_cndmask_b32_e32 v9, v9, v3, vcc
	v_cmp_eq_u32_e32 vcc, 1, v10
	v_and_b32_e32 v11, 1, v5
	v_cndmask_b32_e64 v2, v2, v8, s[4:5]
	v_cndmask_b32_e64 v5, v5, 1, vcc
	v_cndmask_b32_e64 v3, v3, v9, s[4:5]
	v_mov_b32_dpp v8, v2 row_ror:8 row_mask:0xf bank_mask:0xf bound_ctrl:1
	v_mov_b32_dpp v10, v5 row_bcast:15 row_mask:0xf bank_mask:0xf bound_ctrl:1
	v_mov_b32_dpp v9, v3 row_ror:8 row_mask:0xf bank_mask:0xf bound_ctrl:1
	v_cmp_eq_u32_e64 s[6:7], 1, v11
	v_and_b32_e32 v10, 1, v10
	v_cmp_lt_i64_e64 s[8:9], v[2:3], v[8:9]
	v_cmp_eq_u32_e64 s[10:11], 1, v10
	s_and_b64 s[6:7], s[6:7], s[8:9]
	v_and_b32_e32 v11, 1, v5
	v_cndmask_b32_e64 v5, v5, 1, s[10:11]
	v_cndmask_b32_e64 v8, v8, v2, s[6:7]
	;; [unrolled: 1-line block ×3, first 2 shown]
	v_cmp_eq_u32_e64 s[4:5], 1, v11
	v_mov_b32_dpp v10, v5 row_bcast:31 row_mask:0xf bank_mask:0xf bound_ctrl:1
	v_and_b32_e32 v11, 1, v5
	v_cndmask_b32_e32 v2, v2, v8, vcc
	v_cndmask_b32_e32 v3, v3, v9, vcc
	v_and_b32_e32 v8, 1, v10
	v_cmp_eq_u32_e64 s[6:7], 1, v11
	v_mov_b32_dpp v10, v2 row_bcast:15 row_mask:0xf bank_mask:0xf bound_ctrl:1
	v_mov_b32_dpp v11, v3 row_bcast:15 row_mask:0xf bank_mask:0xf bound_ctrl:1
	v_cmp_eq_u32_e32 vcc, 1, v8
	v_cmp_lt_i64_e64 s[8:9], v[2:3], v[10:11]
	s_and_b64 s[4:5], s[4:5], s[8:9]
	v_cndmask_b32_e64 v5, v5, 1, vcc
	ds_bpermute_b32 v8, v7, v5
	v_cndmask_b32_e64 v5, v10, v2, s[4:5]
	v_cndmask_b32_e64 v9, v11, v3, s[4:5]
	;; [unrolled: 1-line block ×4, first 2 shown]
	s_nop 0
	v_mov_b32_dpp v10, v2 row_bcast:31 row_mask:0xf bank_mask:0xf bound_ctrl:1
	v_mov_b32_dpp v11, v3 row_bcast:31 row_mask:0xf bank_mask:0xf bound_ctrl:1
	v_cmp_lt_i64_e64 s[4:5], v[2:3], v[10:11]
	s_and_b64 s[4:5], s[6:7], s[4:5]
	s_nop 0
	v_cndmask_b32_e64 v5, v10, v2, s[4:5]
	v_cndmask_b32_e64 v9, v11, v3, s[4:5]
	v_cndmask_b32_e32 v2, v2, v5, vcc
	v_cndmask_b32_e32 v3, v3, v9, vcc
	ds_bpermute_b32 v2, v7, v2
	ds_bpermute_b32 v3, v7, v3
	v_cmp_eq_u32_e32 vcc, 0, v4
	s_and_saveexec_b64 s[4:5], vcc
	s_cbranch_execz .LBB172_326
; %bb.325:
	v_lshrrev_b32_e32 v5, 2, v0
	v_and_b32_e32 v5, 16, v5
	s_waitcnt lgkmcnt(2)
	ds_write_b8 v5, v8
	s_waitcnt lgkmcnt(1)
	ds_write_b64 v5, v[2:3] offset:8
.LBB172_326:
	s_or_b64 exec, exec, s[4:5]
	v_cmp_gt_u32_e32 vcc, 64, v0
	s_waitcnt lgkmcnt(0)
	s_barrier
	s_and_saveexec_b64 s[4:5], vcc
	s_cbranch_execz .LBB172_332
; %bb.327:
	v_and_b32_e32 v2, 1, v4
	v_lshlrev_b32_e32 v2, 4, v2
	ds_read_u8 v9, v2
	ds_read_b64 v[4:5], v2 offset:8
	v_or_b32_e32 v3, 4, v6
	s_waitcnt lgkmcnt(1)
	v_and_b32_e32 v2, 0xff, v9
	ds_bpermute_b32 v10, v3, v2
	s_waitcnt lgkmcnt(1)
	ds_bpermute_b32 v6, v3, v4
	ds_bpermute_b32 v7, v3, v5
	s_waitcnt lgkmcnt(2)
	v_and_b32_e32 v2, v9, v10
	v_and_b32_e32 v2, 1, v2
	v_cmp_eq_u32_e32 vcc, 1, v2
                                        ; implicit-def: $vgpr2_vgpr3
	s_and_saveexec_b64 s[6:7], vcc
	s_xor_b64 s[6:7], exec, s[6:7]
	s_cbranch_execz .LBB172_329
; %bb.328:
	s_waitcnt lgkmcnt(0)
	v_cmp_lt_i64_e32 vcc, v[6:7], v[4:5]
                                        ; implicit-def: $vgpr9
                                        ; implicit-def: $vgpr10
	s_nop 1
	v_cndmask_b32_e32 v3, v5, v7, vcc
	v_cndmask_b32_e32 v2, v4, v6, vcc
                                        ; implicit-def: $vgpr6_vgpr7
                                        ; implicit-def: $vgpr4_vgpr5
.LBB172_329:
	s_or_saveexec_b64 s[6:7], s[6:7]
	v_mov_b32_e32 v8, 1
	s_xor_b64 exec, exec, s[6:7]
	s_cbranch_execz .LBB172_331
; %bb.330:
	v_and_b32_e32 v2, 1, v9
	v_cmp_eq_u32_e32 vcc, 1, v2
	s_waitcnt lgkmcnt(0)
	s_nop 0
	v_cndmask_b32_e32 v3, v7, v5, vcc
	v_cndmask_b32_e32 v2, v6, v4, vcc
	v_cndmask_b32_e64 v8, v10, 1, vcc
.LBB172_331:
	s_or_b64 exec, exec, s[6:7]
.LBB172_332:
	s_or_b64 exec, exec, s[4:5]
	s_branch .LBB172_387
.LBB172_333:
                                        ; implicit-def: $vgpr4_vgpr5
                                        ; implicit-def: $vgpr6
                                        ; implicit-def: $vgpr2_vgpr3
.LBB172_334:
	s_and_saveexec_b64 s[2:3], s[12:13]
	s_cbranch_execz .LBB172_336
.LBB172_335:
	s_load_dwordx2 s[0:1], s[0:1], 0x18
	v_lshlrev_b64 v[0:1], 4, v[2:3]
	s_waitcnt lgkmcnt(0)
	v_lshl_add_u64 v[0:1], s[0:1], 0, v[0:1]
	global_store_byte v[0:1], v6, off
	global_store_dwordx2 v[0:1], v[4:5], off offset:8
.LBB172_336:
	s_endpgm
.LBB172_337:
                                        ; implicit-def: $vgpr2_vgpr3
                                        ; implicit-def: $vgpr8
	s_cbranch_execz .LBB172_387
; %bb.338:
	s_sub_i32 s6, s22, s14
	v_cmp_gt_u32_e32 vcc, s6, v0
	v_mov_b32_e32 v9, 0
	v_mov_b64_e32 v[2:3], 0
	s_and_saveexec_b64 s[4:5], vcc
	s_cbranch_execz .LBB172_340
; %bb.339:
	s_lshl_b64 s[8:9], s[14:15], 4
	s_add_u32 s8, s20, s8
	s_addc_u32 s9, s21, s9
	s_waitcnt lgkmcnt(2)
	v_lshlrev_b32_e32 v4, 4, v0
	global_load_ubyte v9, v4, s[8:9]
	global_load_dwordx2 v[2:3], v4, s[8:9] offset:8
.LBB172_340:
	s_or_b64 exec, exec, s[4:5]
	v_mbcnt_hi_u32_b32 v1, -1, v1
	s_waitcnt lgkmcnt(1)
	v_and_b32_e32 v6, 63, v1
	v_cmp_ne_u32_e32 vcc, 63, v6
	s_waitcnt vmcnt(1)
	v_and_b32_e32 v8, 0xff, v9
	s_min_u32 s8, s6, 0x80
	v_addc_co_u32_e32 v4, vcc, 0, v1, vcc
	s_waitcnt lgkmcnt(0)
	v_lshlrev_b32_e32 v5, 2, v4
	ds_bpermute_b32 v10, v5, v8
	s_waitcnt vmcnt(0)
	ds_bpermute_b32 v4, v5, v2
	ds_bpermute_b32 v5, v5, v3
	v_and_b32_e32 v7, 64, v0
	v_sub_u32_e64 v7, s8, v7 clamp
	v_add_u32_e32 v11, 1, v6
	v_cmp_lt_u32_e32 vcc, v11, v7
	s_and_saveexec_b64 s[4:5], vcc
	s_cbranch_execz .LBB172_346
; %bb.341:
	s_waitcnt lgkmcnt(2)
	v_and_b32_e32 v8, v10, v8
	v_cmp_ne_u32_e32 vcc, 0, v8
	s_and_saveexec_b64 s[6:7], vcc
	s_xor_b64 s[6:7], exec, s[6:7]
	s_cbranch_execz .LBB172_343
; %bb.342:
	s_waitcnt lgkmcnt(0)
	v_cmp_lt_i64_e32 vcc, v[4:5], v[2:3]
                                        ; implicit-def: $vgpr9
                                        ; implicit-def: $vgpr10
	s_nop 1
	v_cndmask_b32_e32 v3, v3, v5, vcc
	v_cndmask_b32_e32 v2, v2, v4, vcc
                                        ; implicit-def: $vgpr4_vgpr5
.LBB172_343:
	s_or_saveexec_b64 s[6:7], s[6:7]
	v_mov_b32_e32 v8, 1
	s_xor_b64 exec, exec, s[6:7]
	s_cbranch_execz .LBB172_345
; %bb.344:
	v_and_b32_e32 v8, 1, v9
	v_cmp_eq_u32_e32 vcc, 1, v8
	s_waitcnt lgkmcnt(1)
	s_nop 0
	v_cndmask_b32_e32 v2, v4, v2, vcc
	v_and_b32_e32 v4, 0xff, v10
	s_waitcnt lgkmcnt(0)
	v_cndmask_b32_e32 v3, v5, v3, vcc
	v_cndmask_b32_e64 v8, v4, 1, vcc
.LBB172_345:
	s_or_b64 exec, exec, s[6:7]
.LBB172_346:
	s_or_b64 exec, exec, s[4:5]
	v_cmp_gt_u32_e32 vcc, 62, v6
	s_waitcnt lgkmcnt(2)
	v_add_u32_e32 v10, 2, v6
	s_waitcnt lgkmcnt(1)
	v_cndmask_b32_e64 v4, 0, 2, vcc
	s_waitcnt lgkmcnt(0)
	v_add_lshl_u32 v5, v4, v1, 2
	ds_bpermute_b32 v9, v5, v8
	ds_bpermute_b32 v4, v5, v2
	ds_bpermute_b32 v5, v5, v3
	v_cmp_lt_u32_e32 vcc, v10, v7
	s_and_saveexec_b64 s[4:5], vcc
	s_cbranch_execz .LBB172_352
; %bb.347:
	s_waitcnt lgkmcnt(2)
	v_and_b32_e32 v10, v8, v9
	v_and_b32_e32 v10, 1, v10
	v_cmp_eq_u32_e32 vcc, 1, v10
	s_and_saveexec_b64 s[6:7], vcc
	s_xor_b64 s[6:7], exec, s[6:7]
	s_cbranch_execz .LBB172_349
; %bb.348:
	s_waitcnt lgkmcnt(0)
	v_cmp_lt_i64_e32 vcc, v[4:5], v[2:3]
                                        ; implicit-def: $vgpr8
                                        ; implicit-def: $vgpr9
	s_nop 1
	v_cndmask_b32_e32 v3, v3, v5, vcc
	v_cndmask_b32_e32 v2, v2, v4, vcc
                                        ; implicit-def: $vgpr4_vgpr5
.LBB172_349:
	s_or_saveexec_b64 s[6:7], s[6:7]
	v_mov_b32_e32 v10, 1
	s_xor_b64 exec, exec, s[6:7]
	s_cbranch_execz .LBB172_351
; %bb.350:
	v_and_b32_e32 v8, 1, v8
	v_cmp_eq_u32_e32 vcc, 1, v8
	s_waitcnt lgkmcnt(1)
	s_nop 0
	v_cndmask_b32_e32 v2, v4, v2, vcc
	v_and_b32_e32 v4, 0xff, v9
	s_waitcnt lgkmcnt(0)
	v_cndmask_b32_e32 v3, v5, v3, vcc
	v_cndmask_b32_e64 v10, v4, 1, vcc
.LBB172_351:
	s_or_b64 exec, exec, s[6:7]
	v_mov_b32_e32 v8, v10
.LBB172_352:
	s_or_b64 exec, exec, s[4:5]
	v_cmp_gt_u32_e32 vcc, 60, v6
	v_add_u32_e32 v10, 4, v6
	s_waitcnt lgkmcnt(1)
	v_cndmask_b32_e64 v4, 0, 4, vcc
	s_waitcnt lgkmcnt(0)
	v_add_lshl_u32 v5, v4, v1, 2
	ds_bpermute_b32 v9, v5, v8
	ds_bpermute_b32 v4, v5, v2
	ds_bpermute_b32 v5, v5, v3
	v_cmp_lt_u32_e32 vcc, v10, v7
	s_and_saveexec_b64 s[4:5], vcc
	s_cbranch_execz .LBB172_358
; %bb.353:
	s_waitcnt lgkmcnt(2)
	v_and_b32_e32 v10, v8, v9
	v_and_b32_e32 v10, 1, v10
	v_cmp_eq_u32_e32 vcc, 1, v10
	s_and_saveexec_b64 s[6:7], vcc
	s_xor_b64 s[6:7], exec, s[6:7]
	s_cbranch_execz .LBB172_355
; %bb.354:
	s_waitcnt lgkmcnt(0)
	v_cmp_lt_i64_e32 vcc, v[4:5], v[2:3]
                                        ; implicit-def: $vgpr8
                                        ; implicit-def: $vgpr9
	s_nop 1
	v_cndmask_b32_e32 v3, v3, v5, vcc
	v_cndmask_b32_e32 v2, v2, v4, vcc
                                        ; implicit-def: $vgpr4_vgpr5
.LBB172_355:
	s_or_saveexec_b64 s[6:7], s[6:7]
	v_mov_b32_e32 v10, 1
	s_xor_b64 exec, exec, s[6:7]
	s_cbranch_execz .LBB172_357
; %bb.356:
	v_and_b32_e32 v8, 1, v8
	v_cmp_eq_u32_e32 vcc, 1, v8
	s_waitcnt lgkmcnt(1)
	s_nop 0
	v_cndmask_b32_e32 v2, v4, v2, vcc
	v_and_b32_e32 v4, 0xff, v9
	s_waitcnt lgkmcnt(0)
	v_cndmask_b32_e32 v3, v5, v3, vcc
	v_cndmask_b32_e64 v10, v4, 1, vcc
.LBB172_357:
	s_or_b64 exec, exec, s[6:7]
	v_mov_b32_e32 v8, v10
.LBB172_358:
	s_or_b64 exec, exec, s[4:5]
	v_cmp_gt_u32_e32 vcc, 56, v6
	;; [unrolled: 49-line block ×3, first 2 shown]
	v_add_u32_e32 v10, 16, v6
	s_waitcnt lgkmcnt(1)
	v_cndmask_b32_e64 v4, 0, 16, vcc
	s_waitcnt lgkmcnt(0)
	v_add_lshl_u32 v5, v4, v1, 2
	ds_bpermute_b32 v9, v5, v8
	ds_bpermute_b32 v4, v5, v2
	;; [unrolled: 1-line block ×3, first 2 shown]
	v_cmp_lt_u32_e32 vcc, v10, v7
	s_and_saveexec_b64 s[4:5], vcc
	s_cbranch_execz .LBB172_370
; %bb.365:
	s_waitcnt lgkmcnt(2)
	v_and_b32_e32 v10, v8, v9
	v_and_b32_e32 v10, 1, v10
	v_cmp_eq_u32_e32 vcc, 1, v10
	s_and_saveexec_b64 s[6:7], vcc
	s_xor_b64 s[6:7], exec, s[6:7]
	s_cbranch_execz .LBB172_367
; %bb.366:
	s_waitcnt lgkmcnt(0)
	v_cmp_lt_i64_e32 vcc, v[4:5], v[2:3]
                                        ; implicit-def: $vgpr8
                                        ; implicit-def: $vgpr9
	s_nop 1
	v_cndmask_b32_e32 v3, v3, v5, vcc
	v_cndmask_b32_e32 v2, v2, v4, vcc
                                        ; implicit-def: $vgpr4_vgpr5
.LBB172_367:
	s_or_saveexec_b64 s[6:7], s[6:7]
	v_mov_b32_e32 v10, 1
	s_xor_b64 exec, exec, s[6:7]
	s_cbranch_execz .LBB172_369
; %bb.368:
	v_and_b32_e32 v8, 1, v8
	v_cmp_eq_u32_e32 vcc, 1, v8
	s_waitcnt lgkmcnt(1)
	s_nop 0
	v_cndmask_b32_e32 v2, v4, v2, vcc
	v_and_b32_e32 v4, 0xff, v9
	s_waitcnt lgkmcnt(0)
	v_cndmask_b32_e32 v3, v5, v3, vcc
	v_cndmask_b32_e64 v10, v4, 1, vcc
.LBB172_369:
	s_or_b64 exec, exec, s[6:7]
	v_mov_b32_e32 v8, v10
.LBB172_370:
	s_or_b64 exec, exec, s[4:5]
	s_waitcnt lgkmcnt(2)
	v_lshlrev_b32_e32 v9, 2, v1
	s_waitcnt lgkmcnt(0)
	v_or_b32_e32 v5, 0x80, v9
	ds_bpermute_b32 v10, v5, v8
	ds_bpermute_b32 v4, v5, v2
	;; [unrolled: 1-line block ×3, first 2 shown]
	v_add_u32_e32 v6, 32, v6
	v_cmp_lt_u32_e32 vcc, v6, v7
	v_mov_b32_e32 v6, v8
	s_and_saveexec_b64 s[4:5], vcc
	s_cbranch_execz .LBB172_376
; %bb.371:
	s_waitcnt lgkmcnt(2)
	v_and_b32_e32 v6, v8, v10
	v_and_b32_e32 v6, 1, v6
	v_cmp_eq_u32_e32 vcc, 1, v6
	s_and_saveexec_b64 s[6:7], vcc
	s_xor_b64 s[6:7], exec, s[6:7]
	s_cbranch_execz .LBB172_373
; %bb.372:
	s_waitcnt lgkmcnt(0)
	v_cmp_lt_i64_e32 vcc, v[4:5], v[2:3]
                                        ; implicit-def: $vgpr8
                                        ; implicit-def: $vgpr10
	s_nop 1
	v_cndmask_b32_e32 v3, v3, v5, vcc
	v_cndmask_b32_e32 v2, v2, v4, vcc
                                        ; implicit-def: $vgpr4_vgpr5
.LBB172_373:
	s_or_saveexec_b64 s[6:7], s[6:7]
	v_mov_b32_e32 v6, 1
	s_xor_b64 exec, exec, s[6:7]
	s_cbranch_execz .LBB172_375
; %bb.374:
	v_and_b32_e32 v6, 1, v8
	v_cmp_eq_u32_e32 vcc, 1, v6
	s_nop 1
	v_cndmask_b32_e64 v6, v10, 1, vcc
	s_waitcnt lgkmcnt(0)
	v_cndmask_b32_e32 v3, v5, v3, vcc
	v_cndmask_b32_e32 v2, v4, v2, vcc
.LBB172_375:
	s_or_b64 exec, exec, s[6:7]
	v_and_b32_e32 v8, 0xff, v6
.LBB172_376:
	s_or_b64 exec, exec, s[4:5]
	v_cmp_eq_u32_e32 vcc, 0, v1
	s_and_saveexec_b64 s[4:5], vcc
	s_cbranch_execz .LBB172_378
; %bb.377:
	s_waitcnt lgkmcnt(1)
	v_lshrrev_b32_e32 v4, 2, v0
	v_and_b32_e32 v4, 16, v4
	ds_write_b8 v4, v6 offset:128
	ds_write_b64 v4, v[2:3] offset:136
.LBB172_378:
	s_or_b64 exec, exec, s[4:5]
	v_cmp_gt_u32_e32 vcc, 2, v0
	s_waitcnt lgkmcnt(0)
	s_barrier
	s_and_saveexec_b64 s[4:5], vcc
	s_cbranch_execz .LBB172_386
; %bb.379:
	v_lshlrev_b32_e32 v2, 4, v1
	ds_read_u8 v6, v2 offset:128
	ds_read_b64 v[2:3], v2 offset:136
	v_or_b32_e32 v5, 4, v9
	s_add_i32 s8, s8, 63
	v_and_b32_e32 v1, 1, v1
	s_waitcnt lgkmcnt(1)
	v_and_b32_e32 v8, 0xff, v6
	s_waitcnt lgkmcnt(0)
	ds_bpermute_b32 v4, v5, v2
	ds_bpermute_b32 v7, v5, v8
	;; [unrolled: 1-line block ×3, first 2 shown]
	s_lshr_b32 s6, s8, 6
	v_add_u32_e32 v1, 1, v1
	v_cmp_gt_u32_e32 vcc, s6, v1
	s_and_saveexec_b64 s[6:7], vcc
	s_cbranch_execz .LBB172_385
; %bb.380:
	s_waitcnt lgkmcnt(1)
	v_and_b32_e32 v1, v8, v7
	v_and_b32_e32 v1, 1, v1
	v_cmp_eq_u32_e32 vcc, 1, v1
	s_and_saveexec_b64 s[8:9], vcc
	s_xor_b64 s[8:9], exec, s[8:9]
	s_cbranch_execz .LBB172_382
; %bb.381:
	s_waitcnt lgkmcnt(0)
	v_cmp_lt_i64_e32 vcc, v[4:5], v[2:3]
                                        ; implicit-def: $vgpr6
                                        ; implicit-def: $vgpr7
	s_nop 1
	v_cndmask_b32_e32 v3, v3, v5, vcc
	v_cndmask_b32_e32 v2, v2, v4, vcc
                                        ; implicit-def: $vgpr4_vgpr5
.LBB172_382:
	s_or_saveexec_b64 s[8:9], s[8:9]
	v_mov_b32_e32 v8, 1
	s_xor_b64 exec, exec, s[8:9]
	s_cbranch_execz .LBB172_384
; %bb.383:
	v_and_b32_e32 v1, 1, v6
	v_cmp_eq_u32_e32 vcc, 1, v1
	s_waitcnt lgkmcnt(0)
	s_nop 0
	v_cndmask_b32_e32 v3, v5, v3, vcc
	v_cndmask_b32_e32 v2, v4, v2, vcc
	v_cndmask_b32_e64 v8, v7, 1, vcc
.LBB172_384:
	s_or_b64 exec, exec, s[8:9]
.LBB172_385:
	s_or_b64 exec, exec, s[6:7]
.LBB172_386:
	s_or_b64 exec, exec, s[4:5]
.LBB172_387:
	v_cmp_eq_u32_e32 vcc, 0, v0
                                        ; implicit-def: $vgpr4_vgpr5
                                        ; implicit-def: $vgpr6
	s_and_saveexec_b64 s[8:9], vcc
	s_cbranch_execz .LBB172_391
; %bb.388:
	s_cmp_eq_u64 s[22:23], 0
	s_waitcnt lgkmcnt(0)
	v_mov_b64_e32 v[4:5], s[18:19]
	v_mov_b32_e32 v6, s28
	s_cbranch_scc1 .LBB172_390
; %bb.389:
	v_and_b32_e32 v0, 1, v8
	s_bitcmp1_b32 s28, 0
	v_cmp_eq_u32_e32 vcc, 1, v0
	v_cmp_gt_i64_e64 s[4:5], s[18:19], v[2:3]
	s_cselect_b64 s[6:7], -1, 0
	v_mov_b32_e32 v0, s18
	s_and_b64 vcc, vcc, s[4:5]
	v_mov_b32_e32 v1, s19
	v_cndmask_b32_e32 v0, v0, v2, vcc
	v_cndmask_b32_e32 v1, v1, v3, vcc
	v_cndmask_b32_e64 v6, v8, 1, s[6:7]
	v_cndmask_b32_e64 v5, v3, v1, s[6:7]
	;; [unrolled: 1-line block ×3, first 2 shown]
.LBB172_390:
	s_or_b64 s[12:13], s[12:13], exec
.LBB172_391:
	s_or_b64 exec, exec, s[8:9]
	v_mov_b64_e32 v[2:3], s[2:3]
	s_and_saveexec_b64 s[2:3], s[12:13]
	s_cbranch_execnz .LBB172_335
	s_branch .LBB172_336
	.section	.rodata,"a",@progbits
	.p2align	6, 0x0
	.amdhsa_kernel _ZN7rocprim17ROCPRIM_400000_NS6detail17trampoline_kernelINS0_14default_configENS1_22reduce_config_selectorIN6thrust23THRUST_200600_302600_NS5tupleIblNS6_9null_typeES8_S8_S8_S8_S8_S8_S8_EEEEZNS1_11reduce_implILb1ES3_PS9_SC_S9_NS6_11hip_rocprim9__find_if7functorIS9_EEEE10hipError_tPvRmT1_T2_T3_mT4_P12ihipStream_tbEUlT_E1_NS1_11comp_targetILNS1_3genE0ELNS1_11target_archE4294967295ELNS1_3gpuE0ELNS1_3repE0EEENS1_30default_config_static_selectorELNS0_4arch9wavefront6targetE1EEEvSK_
		.amdhsa_group_segment_fixed_size 160
		.amdhsa_private_segment_fixed_size 0
		.amdhsa_kernarg_size 56
		.amdhsa_user_sgpr_count 2
		.amdhsa_user_sgpr_dispatch_ptr 0
		.amdhsa_user_sgpr_queue_ptr 0
		.amdhsa_user_sgpr_kernarg_segment_ptr 1
		.amdhsa_user_sgpr_dispatch_id 0
		.amdhsa_user_sgpr_kernarg_preload_length 0
		.amdhsa_user_sgpr_kernarg_preload_offset 0
		.amdhsa_user_sgpr_private_segment_size 0
		.amdhsa_uses_dynamic_stack 0
		.amdhsa_enable_private_segment 0
		.amdhsa_system_sgpr_workgroup_id_x 1
		.amdhsa_system_sgpr_workgroup_id_y 0
		.amdhsa_system_sgpr_workgroup_id_z 0
		.amdhsa_system_sgpr_workgroup_info 0
		.amdhsa_system_vgpr_workitem_id 0
		.amdhsa_next_free_vgpr 27
		.amdhsa_next_free_sgpr 36
		.amdhsa_accum_offset 28
		.amdhsa_reserve_vcc 1
		.amdhsa_float_round_mode_32 0
		.amdhsa_float_round_mode_16_64 0
		.amdhsa_float_denorm_mode_32 3
		.amdhsa_float_denorm_mode_16_64 3
		.amdhsa_dx10_clamp 1
		.amdhsa_ieee_mode 1
		.amdhsa_fp16_overflow 0
		.amdhsa_tg_split 0
		.amdhsa_exception_fp_ieee_invalid_op 0
		.amdhsa_exception_fp_denorm_src 0
		.amdhsa_exception_fp_ieee_div_zero 0
		.amdhsa_exception_fp_ieee_overflow 0
		.amdhsa_exception_fp_ieee_underflow 0
		.amdhsa_exception_fp_ieee_inexact 0
		.amdhsa_exception_int_div_zero 0
	.end_amdhsa_kernel
	.section	.text._ZN7rocprim17ROCPRIM_400000_NS6detail17trampoline_kernelINS0_14default_configENS1_22reduce_config_selectorIN6thrust23THRUST_200600_302600_NS5tupleIblNS6_9null_typeES8_S8_S8_S8_S8_S8_S8_EEEEZNS1_11reduce_implILb1ES3_PS9_SC_S9_NS6_11hip_rocprim9__find_if7functorIS9_EEEE10hipError_tPvRmT1_T2_T3_mT4_P12ihipStream_tbEUlT_E1_NS1_11comp_targetILNS1_3genE0ELNS1_11target_archE4294967295ELNS1_3gpuE0ELNS1_3repE0EEENS1_30default_config_static_selectorELNS0_4arch9wavefront6targetE1EEEvSK_,"axG",@progbits,_ZN7rocprim17ROCPRIM_400000_NS6detail17trampoline_kernelINS0_14default_configENS1_22reduce_config_selectorIN6thrust23THRUST_200600_302600_NS5tupleIblNS6_9null_typeES8_S8_S8_S8_S8_S8_S8_EEEEZNS1_11reduce_implILb1ES3_PS9_SC_S9_NS6_11hip_rocprim9__find_if7functorIS9_EEEE10hipError_tPvRmT1_T2_T3_mT4_P12ihipStream_tbEUlT_E1_NS1_11comp_targetILNS1_3genE0ELNS1_11target_archE4294967295ELNS1_3gpuE0ELNS1_3repE0EEENS1_30default_config_static_selectorELNS0_4arch9wavefront6targetE1EEEvSK_,comdat
.Lfunc_end172:
	.size	_ZN7rocprim17ROCPRIM_400000_NS6detail17trampoline_kernelINS0_14default_configENS1_22reduce_config_selectorIN6thrust23THRUST_200600_302600_NS5tupleIblNS6_9null_typeES8_S8_S8_S8_S8_S8_S8_EEEEZNS1_11reduce_implILb1ES3_PS9_SC_S9_NS6_11hip_rocprim9__find_if7functorIS9_EEEE10hipError_tPvRmT1_T2_T3_mT4_P12ihipStream_tbEUlT_E1_NS1_11comp_targetILNS1_3genE0ELNS1_11target_archE4294967295ELNS1_3gpuE0ELNS1_3repE0EEENS1_30default_config_static_selectorELNS0_4arch9wavefront6targetE1EEEvSK_, .Lfunc_end172-_ZN7rocprim17ROCPRIM_400000_NS6detail17trampoline_kernelINS0_14default_configENS1_22reduce_config_selectorIN6thrust23THRUST_200600_302600_NS5tupleIblNS6_9null_typeES8_S8_S8_S8_S8_S8_S8_EEEEZNS1_11reduce_implILb1ES3_PS9_SC_S9_NS6_11hip_rocprim9__find_if7functorIS9_EEEE10hipError_tPvRmT1_T2_T3_mT4_P12ihipStream_tbEUlT_E1_NS1_11comp_targetILNS1_3genE0ELNS1_11target_archE4294967295ELNS1_3gpuE0ELNS1_3repE0EEENS1_30default_config_static_selectorELNS0_4arch9wavefront6targetE1EEEvSK_
                                        ; -- End function
	.set _ZN7rocprim17ROCPRIM_400000_NS6detail17trampoline_kernelINS0_14default_configENS1_22reduce_config_selectorIN6thrust23THRUST_200600_302600_NS5tupleIblNS6_9null_typeES8_S8_S8_S8_S8_S8_S8_EEEEZNS1_11reduce_implILb1ES3_PS9_SC_S9_NS6_11hip_rocprim9__find_if7functorIS9_EEEE10hipError_tPvRmT1_T2_T3_mT4_P12ihipStream_tbEUlT_E1_NS1_11comp_targetILNS1_3genE0ELNS1_11target_archE4294967295ELNS1_3gpuE0ELNS1_3repE0EEENS1_30default_config_static_selectorELNS0_4arch9wavefront6targetE1EEEvSK_.num_vgpr, 27
	.set _ZN7rocprim17ROCPRIM_400000_NS6detail17trampoline_kernelINS0_14default_configENS1_22reduce_config_selectorIN6thrust23THRUST_200600_302600_NS5tupleIblNS6_9null_typeES8_S8_S8_S8_S8_S8_S8_EEEEZNS1_11reduce_implILb1ES3_PS9_SC_S9_NS6_11hip_rocprim9__find_if7functorIS9_EEEE10hipError_tPvRmT1_T2_T3_mT4_P12ihipStream_tbEUlT_E1_NS1_11comp_targetILNS1_3genE0ELNS1_11target_archE4294967295ELNS1_3gpuE0ELNS1_3repE0EEENS1_30default_config_static_selectorELNS0_4arch9wavefront6targetE1EEEvSK_.num_agpr, 0
	.set _ZN7rocprim17ROCPRIM_400000_NS6detail17trampoline_kernelINS0_14default_configENS1_22reduce_config_selectorIN6thrust23THRUST_200600_302600_NS5tupleIblNS6_9null_typeES8_S8_S8_S8_S8_S8_S8_EEEEZNS1_11reduce_implILb1ES3_PS9_SC_S9_NS6_11hip_rocprim9__find_if7functorIS9_EEEE10hipError_tPvRmT1_T2_T3_mT4_P12ihipStream_tbEUlT_E1_NS1_11comp_targetILNS1_3genE0ELNS1_11target_archE4294967295ELNS1_3gpuE0ELNS1_3repE0EEENS1_30default_config_static_selectorELNS0_4arch9wavefront6targetE1EEEvSK_.numbered_sgpr, 36
	.set _ZN7rocprim17ROCPRIM_400000_NS6detail17trampoline_kernelINS0_14default_configENS1_22reduce_config_selectorIN6thrust23THRUST_200600_302600_NS5tupleIblNS6_9null_typeES8_S8_S8_S8_S8_S8_S8_EEEEZNS1_11reduce_implILb1ES3_PS9_SC_S9_NS6_11hip_rocprim9__find_if7functorIS9_EEEE10hipError_tPvRmT1_T2_T3_mT4_P12ihipStream_tbEUlT_E1_NS1_11comp_targetILNS1_3genE0ELNS1_11target_archE4294967295ELNS1_3gpuE0ELNS1_3repE0EEENS1_30default_config_static_selectorELNS0_4arch9wavefront6targetE1EEEvSK_.num_named_barrier, 0
	.set _ZN7rocprim17ROCPRIM_400000_NS6detail17trampoline_kernelINS0_14default_configENS1_22reduce_config_selectorIN6thrust23THRUST_200600_302600_NS5tupleIblNS6_9null_typeES8_S8_S8_S8_S8_S8_S8_EEEEZNS1_11reduce_implILb1ES3_PS9_SC_S9_NS6_11hip_rocprim9__find_if7functorIS9_EEEE10hipError_tPvRmT1_T2_T3_mT4_P12ihipStream_tbEUlT_E1_NS1_11comp_targetILNS1_3genE0ELNS1_11target_archE4294967295ELNS1_3gpuE0ELNS1_3repE0EEENS1_30default_config_static_selectorELNS0_4arch9wavefront6targetE1EEEvSK_.private_seg_size, 0
	.set _ZN7rocprim17ROCPRIM_400000_NS6detail17trampoline_kernelINS0_14default_configENS1_22reduce_config_selectorIN6thrust23THRUST_200600_302600_NS5tupleIblNS6_9null_typeES8_S8_S8_S8_S8_S8_S8_EEEEZNS1_11reduce_implILb1ES3_PS9_SC_S9_NS6_11hip_rocprim9__find_if7functorIS9_EEEE10hipError_tPvRmT1_T2_T3_mT4_P12ihipStream_tbEUlT_E1_NS1_11comp_targetILNS1_3genE0ELNS1_11target_archE4294967295ELNS1_3gpuE0ELNS1_3repE0EEENS1_30default_config_static_selectorELNS0_4arch9wavefront6targetE1EEEvSK_.uses_vcc, 1
	.set _ZN7rocprim17ROCPRIM_400000_NS6detail17trampoline_kernelINS0_14default_configENS1_22reduce_config_selectorIN6thrust23THRUST_200600_302600_NS5tupleIblNS6_9null_typeES8_S8_S8_S8_S8_S8_S8_EEEEZNS1_11reduce_implILb1ES3_PS9_SC_S9_NS6_11hip_rocprim9__find_if7functorIS9_EEEE10hipError_tPvRmT1_T2_T3_mT4_P12ihipStream_tbEUlT_E1_NS1_11comp_targetILNS1_3genE0ELNS1_11target_archE4294967295ELNS1_3gpuE0ELNS1_3repE0EEENS1_30default_config_static_selectorELNS0_4arch9wavefront6targetE1EEEvSK_.uses_flat_scratch, 0
	.set _ZN7rocprim17ROCPRIM_400000_NS6detail17trampoline_kernelINS0_14default_configENS1_22reduce_config_selectorIN6thrust23THRUST_200600_302600_NS5tupleIblNS6_9null_typeES8_S8_S8_S8_S8_S8_S8_EEEEZNS1_11reduce_implILb1ES3_PS9_SC_S9_NS6_11hip_rocprim9__find_if7functorIS9_EEEE10hipError_tPvRmT1_T2_T3_mT4_P12ihipStream_tbEUlT_E1_NS1_11comp_targetILNS1_3genE0ELNS1_11target_archE4294967295ELNS1_3gpuE0ELNS1_3repE0EEENS1_30default_config_static_selectorELNS0_4arch9wavefront6targetE1EEEvSK_.has_dyn_sized_stack, 0
	.set _ZN7rocprim17ROCPRIM_400000_NS6detail17trampoline_kernelINS0_14default_configENS1_22reduce_config_selectorIN6thrust23THRUST_200600_302600_NS5tupleIblNS6_9null_typeES8_S8_S8_S8_S8_S8_S8_EEEEZNS1_11reduce_implILb1ES3_PS9_SC_S9_NS6_11hip_rocprim9__find_if7functorIS9_EEEE10hipError_tPvRmT1_T2_T3_mT4_P12ihipStream_tbEUlT_E1_NS1_11comp_targetILNS1_3genE0ELNS1_11target_archE4294967295ELNS1_3gpuE0ELNS1_3repE0EEENS1_30default_config_static_selectorELNS0_4arch9wavefront6targetE1EEEvSK_.has_recursion, 0
	.set _ZN7rocprim17ROCPRIM_400000_NS6detail17trampoline_kernelINS0_14default_configENS1_22reduce_config_selectorIN6thrust23THRUST_200600_302600_NS5tupleIblNS6_9null_typeES8_S8_S8_S8_S8_S8_S8_EEEEZNS1_11reduce_implILb1ES3_PS9_SC_S9_NS6_11hip_rocprim9__find_if7functorIS9_EEEE10hipError_tPvRmT1_T2_T3_mT4_P12ihipStream_tbEUlT_E1_NS1_11comp_targetILNS1_3genE0ELNS1_11target_archE4294967295ELNS1_3gpuE0ELNS1_3repE0EEENS1_30default_config_static_selectorELNS0_4arch9wavefront6targetE1EEEvSK_.has_indirect_call, 0
	.section	.AMDGPU.csdata,"",@progbits
; Kernel info:
; codeLenInByte = 13528
; TotalNumSgprs: 42
; NumVgprs: 27
; NumAgprs: 0
; TotalNumVgprs: 27
; ScratchSize: 0
; MemoryBound: 0
; FloatMode: 240
; IeeeMode: 1
; LDSByteSize: 160 bytes/workgroup (compile time only)
; SGPRBlocks: 5
; VGPRBlocks: 3
; NumSGPRsForWavesPerEU: 42
; NumVGPRsForWavesPerEU: 27
; AccumOffset: 28
; Occupancy: 8
; WaveLimiterHint : 1
; COMPUTE_PGM_RSRC2:SCRATCH_EN: 0
; COMPUTE_PGM_RSRC2:USER_SGPR: 2
; COMPUTE_PGM_RSRC2:TRAP_HANDLER: 0
; COMPUTE_PGM_RSRC2:TGID_X_EN: 1
; COMPUTE_PGM_RSRC2:TGID_Y_EN: 0
; COMPUTE_PGM_RSRC2:TGID_Z_EN: 0
; COMPUTE_PGM_RSRC2:TIDIG_COMP_CNT: 0
; COMPUTE_PGM_RSRC3_GFX90A:ACCUM_OFFSET: 6
; COMPUTE_PGM_RSRC3_GFX90A:TG_SPLIT: 0
	.section	.text._ZN7rocprim17ROCPRIM_400000_NS6detail17trampoline_kernelINS0_14default_configENS1_22reduce_config_selectorIN6thrust23THRUST_200600_302600_NS5tupleIblNS6_9null_typeES8_S8_S8_S8_S8_S8_S8_EEEEZNS1_11reduce_implILb1ES3_PS9_SC_S9_NS6_11hip_rocprim9__find_if7functorIS9_EEEE10hipError_tPvRmT1_T2_T3_mT4_P12ihipStream_tbEUlT_E1_NS1_11comp_targetILNS1_3genE5ELNS1_11target_archE942ELNS1_3gpuE9ELNS1_3repE0EEENS1_30default_config_static_selectorELNS0_4arch9wavefront6targetE1EEEvSK_,"axG",@progbits,_ZN7rocprim17ROCPRIM_400000_NS6detail17trampoline_kernelINS0_14default_configENS1_22reduce_config_selectorIN6thrust23THRUST_200600_302600_NS5tupleIblNS6_9null_typeES8_S8_S8_S8_S8_S8_S8_EEEEZNS1_11reduce_implILb1ES3_PS9_SC_S9_NS6_11hip_rocprim9__find_if7functorIS9_EEEE10hipError_tPvRmT1_T2_T3_mT4_P12ihipStream_tbEUlT_E1_NS1_11comp_targetILNS1_3genE5ELNS1_11target_archE942ELNS1_3gpuE9ELNS1_3repE0EEENS1_30default_config_static_selectorELNS0_4arch9wavefront6targetE1EEEvSK_,comdat
	.protected	_ZN7rocprim17ROCPRIM_400000_NS6detail17trampoline_kernelINS0_14default_configENS1_22reduce_config_selectorIN6thrust23THRUST_200600_302600_NS5tupleIblNS6_9null_typeES8_S8_S8_S8_S8_S8_S8_EEEEZNS1_11reduce_implILb1ES3_PS9_SC_S9_NS6_11hip_rocprim9__find_if7functorIS9_EEEE10hipError_tPvRmT1_T2_T3_mT4_P12ihipStream_tbEUlT_E1_NS1_11comp_targetILNS1_3genE5ELNS1_11target_archE942ELNS1_3gpuE9ELNS1_3repE0EEENS1_30default_config_static_selectorELNS0_4arch9wavefront6targetE1EEEvSK_ ; -- Begin function _ZN7rocprim17ROCPRIM_400000_NS6detail17trampoline_kernelINS0_14default_configENS1_22reduce_config_selectorIN6thrust23THRUST_200600_302600_NS5tupleIblNS6_9null_typeES8_S8_S8_S8_S8_S8_S8_EEEEZNS1_11reduce_implILb1ES3_PS9_SC_S9_NS6_11hip_rocprim9__find_if7functorIS9_EEEE10hipError_tPvRmT1_T2_T3_mT4_P12ihipStream_tbEUlT_E1_NS1_11comp_targetILNS1_3genE5ELNS1_11target_archE942ELNS1_3gpuE9ELNS1_3repE0EEENS1_30default_config_static_selectorELNS0_4arch9wavefront6targetE1EEEvSK_
	.globl	_ZN7rocprim17ROCPRIM_400000_NS6detail17trampoline_kernelINS0_14default_configENS1_22reduce_config_selectorIN6thrust23THRUST_200600_302600_NS5tupleIblNS6_9null_typeES8_S8_S8_S8_S8_S8_S8_EEEEZNS1_11reduce_implILb1ES3_PS9_SC_S9_NS6_11hip_rocprim9__find_if7functorIS9_EEEE10hipError_tPvRmT1_T2_T3_mT4_P12ihipStream_tbEUlT_E1_NS1_11comp_targetILNS1_3genE5ELNS1_11target_archE942ELNS1_3gpuE9ELNS1_3repE0EEENS1_30default_config_static_selectorELNS0_4arch9wavefront6targetE1EEEvSK_
	.p2align	8
	.type	_ZN7rocprim17ROCPRIM_400000_NS6detail17trampoline_kernelINS0_14default_configENS1_22reduce_config_selectorIN6thrust23THRUST_200600_302600_NS5tupleIblNS6_9null_typeES8_S8_S8_S8_S8_S8_S8_EEEEZNS1_11reduce_implILb1ES3_PS9_SC_S9_NS6_11hip_rocprim9__find_if7functorIS9_EEEE10hipError_tPvRmT1_T2_T3_mT4_P12ihipStream_tbEUlT_E1_NS1_11comp_targetILNS1_3genE5ELNS1_11target_archE942ELNS1_3gpuE9ELNS1_3repE0EEENS1_30default_config_static_selectorELNS0_4arch9wavefront6targetE1EEEvSK_,@function
_ZN7rocprim17ROCPRIM_400000_NS6detail17trampoline_kernelINS0_14default_configENS1_22reduce_config_selectorIN6thrust23THRUST_200600_302600_NS5tupleIblNS6_9null_typeES8_S8_S8_S8_S8_S8_S8_EEEEZNS1_11reduce_implILb1ES3_PS9_SC_S9_NS6_11hip_rocprim9__find_if7functorIS9_EEEE10hipError_tPvRmT1_T2_T3_mT4_P12ihipStream_tbEUlT_E1_NS1_11comp_targetILNS1_3genE5ELNS1_11target_archE942ELNS1_3gpuE9ELNS1_3repE0EEENS1_30default_config_static_selectorELNS0_4arch9wavefront6targetE1EEEvSK_: ; @_ZN7rocprim17ROCPRIM_400000_NS6detail17trampoline_kernelINS0_14default_configENS1_22reduce_config_selectorIN6thrust23THRUST_200600_302600_NS5tupleIblNS6_9null_typeES8_S8_S8_S8_S8_S8_S8_EEEEZNS1_11reduce_implILb1ES3_PS9_SC_S9_NS6_11hip_rocprim9__find_if7functorIS9_EEEE10hipError_tPvRmT1_T2_T3_mT4_P12ihipStream_tbEUlT_E1_NS1_11comp_targetILNS1_3genE5ELNS1_11target_archE942ELNS1_3gpuE9ELNS1_3repE0EEENS1_30default_config_static_selectorELNS0_4arch9wavefront6targetE1EEEvSK_
; %bb.0:
	.section	.rodata,"a",@progbits
	.p2align	6, 0x0
	.amdhsa_kernel _ZN7rocprim17ROCPRIM_400000_NS6detail17trampoline_kernelINS0_14default_configENS1_22reduce_config_selectorIN6thrust23THRUST_200600_302600_NS5tupleIblNS6_9null_typeES8_S8_S8_S8_S8_S8_S8_EEEEZNS1_11reduce_implILb1ES3_PS9_SC_S9_NS6_11hip_rocprim9__find_if7functorIS9_EEEE10hipError_tPvRmT1_T2_T3_mT4_P12ihipStream_tbEUlT_E1_NS1_11comp_targetILNS1_3genE5ELNS1_11target_archE942ELNS1_3gpuE9ELNS1_3repE0EEENS1_30default_config_static_selectorELNS0_4arch9wavefront6targetE1EEEvSK_
		.amdhsa_group_segment_fixed_size 0
		.amdhsa_private_segment_fixed_size 0
		.amdhsa_kernarg_size 56
		.amdhsa_user_sgpr_count 2
		.amdhsa_user_sgpr_dispatch_ptr 0
		.amdhsa_user_sgpr_queue_ptr 0
		.amdhsa_user_sgpr_kernarg_segment_ptr 1
		.amdhsa_user_sgpr_dispatch_id 0
		.amdhsa_user_sgpr_kernarg_preload_length 0
		.amdhsa_user_sgpr_kernarg_preload_offset 0
		.amdhsa_user_sgpr_private_segment_size 0
		.amdhsa_uses_dynamic_stack 0
		.amdhsa_enable_private_segment 0
		.amdhsa_system_sgpr_workgroup_id_x 1
		.amdhsa_system_sgpr_workgroup_id_y 0
		.amdhsa_system_sgpr_workgroup_id_z 0
		.amdhsa_system_sgpr_workgroup_info 0
		.amdhsa_system_vgpr_workitem_id 0
		.amdhsa_next_free_vgpr 1
		.amdhsa_next_free_sgpr 0
		.amdhsa_accum_offset 4
		.amdhsa_reserve_vcc 0
		.amdhsa_float_round_mode_32 0
		.amdhsa_float_round_mode_16_64 0
		.amdhsa_float_denorm_mode_32 3
		.amdhsa_float_denorm_mode_16_64 3
		.amdhsa_dx10_clamp 1
		.amdhsa_ieee_mode 1
		.amdhsa_fp16_overflow 0
		.amdhsa_tg_split 0
		.amdhsa_exception_fp_ieee_invalid_op 0
		.amdhsa_exception_fp_denorm_src 0
		.amdhsa_exception_fp_ieee_div_zero 0
		.amdhsa_exception_fp_ieee_overflow 0
		.amdhsa_exception_fp_ieee_underflow 0
		.amdhsa_exception_fp_ieee_inexact 0
		.amdhsa_exception_int_div_zero 0
	.end_amdhsa_kernel
	.section	.text._ZN7rocprim17ROCPRIM_400000_NS6detail17trampoline_kernelINS0_14default_configENS1_22reduce_config_selectorIN6thrust23THRUST_200600_302600_NS5tupleIblNS6_9null_typeES8_S8_S8_S8_S8_S8_S8_EEEEZNS1_11reduce_implILb1ES3_PS9_SC_S9_NS6_11hip_rocprim9__find_if7functorIS9_EEEE10hipError_tPvRmT1_T2_T3_mT4_P12ihipStream_tbEUlT_E1_NS1_11comp_targetILNS1_3genE5ELNS1_11target_archE942ELNS1_3gpuE9ELNS1_3repE0EEENS1_30default_config_static_selectorELNS0_4arch9wavefront6targetE1EEEvSK_,"axG",@progbits,_ZN7rocprim17ROCPRIM_400000_NS6detail17trampoline_kernelINS0_14default_configENS1_22reduce_config_selectorIN6thrust23THRUST_200600_302600_NS5tupleIblNS6_9null_typeES8_S8_S8_S8_S8_S8_S8_EEEEZNS1_11reduce_implILb1ES3_PS9_SC_S9_NS6_11hip_rocprim9__find_if7functorIS9_EEEE10hipError_tPvRmT1_T2_T3_mT4_P12ihipStream_tbEUlT_E1_NS1_11comp_targetILNS1_3genE5ELNS1_11target_archE942ELNS1_3gpuE9ELNS1_3repE0EEENS1_30default_config_static_selectorELNS0_4arch9wavefront6targetE1EEEvSK_,comdat
.Lfunc_end173:
	.size	_ZN7rocprim17ROCPRIM_400000_NS6detail17trampoline_kernelINS0_14default_configENS1_22reduce_config_selectorIN6thrust23THRUST_200600_302600_NS5tupleIblNS6_9null_typeES8_S8_S8_S8_S8_S8_S8_EEEEZNS1_11reduce_implILb1ES3_PS9_SC_S9_NS6_11hip_rocprim9__find_if7functorIS9_EEEE10hipError_tPvRmT1_T2_T3_mT4_P12ihipStream_tbEUlT_E1_NS1_11comp_targetILNS1_3genE5ELNS1_11target_archE942ELNS1_3gpuE9ELNS1_3repE0EEENS1_30default_config_static_selectorELNS0_4arch9wavefront6targetE1EEEvSK_, .Lfunc_end173-_ZN7rocprim17ROCPRIM_400000_NS6detail17trampoline_kernelINS0_14default_configENS1_22reduce_config_selectorIN6thrust23THRUST_200600_302600_NS5tupleIblNS6_9null_typeES8_S8_S8_S8_S8_S8_S8_EEEEZNS1_11reduce_implILb1ES3_PS9_SC_S9_NS6_11hip_rocprim9__find_if7functorIS9_EEEE10hipError_tPvRmT1_T2_T3_mT4_P12ihipStream_tbEUlT_E1_NS1_11comp_targetILNS1_3genE5ELNS1_11target_archE942ELNS1_3gpuE9ELNS1_3repE0EEENS1_30default_config_static_selectorELNS0_4arch9wavefront6targetE1EEEvSK_
                                        ; -- End function
	.set _ZN7rocprim17ROCPRIM_400000_NS6detail17trampoline_kernelINS0_14default_configENS1_22reduce_config_selectorIN6thrust23THRUST_200600_302600_NS5tupleIblNS6_9null_typeES8_S8_S8_S8_S8_S8_S8_EEEEZNS1_11reduce_implILb1ES3_PS9_SC_S9_NS6_11hip_rocprim9__find_if7functorIS9_EEEE10hipError_tPvRmT1_T2_T3_mT4_P12ihipStream_tbEUlT_E1_NS1_11comp_targetILNS1_3genE5ELNS1_11target_archE942ELNS1_3gpuE9ELNS1_3repE0EEENS1_30default_config_static_selectorELNS0_4arch9wavefront6targetE1EEEvSK_.num_vgpr, 0
	.set _ZN7rocprim17ROCPRIM_400000_NS6detail17trampoline_kernelINS0_14default_configENS1_22reduce_config_selectorIN6thrust23THRUST_200600_302600_NS5tupleIblNS6_9null_typeES8_S8_S8_S8_S8_S8_S8_EEEEZNS1_11reduce_implILb1ES3_PS9_SC_S9_NS6_11hip_rocprim9__find_if7functorIS9_EEEE10hipError_tPvRmT1_T2_T3_mT4_P12ihipStream_tbEUlT_E1_NS1_11comp_targetILNS1_3genE5ELNS1_11target_archE942ELNS1_3gpuE9ELNS1_3repE0EEENS1_30default_config_static_selectorELNS0_4arch9wavefront6targetE1EEEvSK_.num_agpr, 0
	.set _ZN7rocprim17ROCPRIM_400000_NS6detail17trampoline_kernelINS0_14default_configENS1_22reduce_config_selectorIN6thrust23THRUST_200600_302600_NS5tupleIblNS6_9null_typeES8_S8_S8_S8_S8_S8_S8_EEEEZNS1_11reduce_implILb1ES3_PS9_SC_S9_NS6_11hip_rocprim9__find_if7functorIS9_EEEE10hipError_tPvRmT1_T2_T3_mT4_P12ihipStream_tbEUlT_E1_NS1_11comp_targetILNS1_3genE5ELNS1_11target_archE942ELNS1_3gpuE9ELNS1_3repE0EEENS1_30default_config_static_selectorELNS0_4arch9wavefront6targetE1EEEvSK_.numbered_sgpr, 0
	.set _ZN7rocprim17ROCPRIM_400000_NS6detail17trampoline_kernelINS0_14default_configENS1_22reduce_config_selectorIN6thrust23THRUST_200600_302600_NS5tupleIblNS6_9null_typeES8_S8_S8_S8_S8_S8_S8_EEEEZNS1_11reduce_implILb1ES3_PS9_SC_S9_NS6_11hip_rocprim9__find_if7functorIS9_EEEE10hipError_tPvRmT1_T2_T3_mT4_P12ihipStream_tbEUlT_E1_NS1_11comp_targetILNS1_3genE5ELNS1_11target_archE942ELNS1_3gpuE9ELNS1_3repE0EEENS1_30default_config_static_selectorELNS0_4arch9wavefront6targetE1EEEvSK_.num_named_barrier, 0
	.set _ZN7rocprim17ROCPRIM_400000_NS6detail17trampoline_kernelINS0_14default_configENS1_22reduce_config_selectorIN6thrust23THRUST_200600_302600_NS5tupleIblNS6_9null_typeES8_S8_S8_S8_S8_S8_S8_EEEEZNS1_11reduce_implILb1ES3_PS9_SC_S9_NS6_11hip_rocprim9__find_if7functorIS9_EEEE10hipError_tPvRmT1_T2_T3_mT4_P12ihipStream_tbEUlT_E1_NS1_11comp_targetILNS1_3genE5ELNS1_11target_archE942ELNS1_3gpuE9ELNS1_3repE0EEENS1_30default_config_static_selectorELNS0_4arch9wavefront6targetE1EEEvSK_.private_seg_size, 0
	.set _ZN7rocprim17ROCPRIM_400000_NS6detail17trampoline_kernelINS0_14default_configENS1_22reduce_config_selectorIN6thrust23THRUST_200600_302600_NS5tupleIblNS6_9null_typeES8_S8_S8_S8_S8_S8_S8_EEEEZNS1_11reduce_implILb1ES3_PS9_SC_S9_NS6_11hip_rocprim9__find_if7functorIS9_EEEE10hipError_tPvRmT1_T2_T3_mT4_P12ihipStream_tbEUlT_E1_NS1_11comp_targetILNS1_3genE5ELNS1_11target_archE942ELNS1_3gpuE9ELNS1_3repE0EEENS1_30default_config_static_selectorELNS0_4arch9wavefront6targetE1EEEvSK_.uses_vcc, 0
	.set _ZN7rocprim17ROCPRIM_400000_NS6detail17trampoline_kernelINS0_14default_configENS1_22reduce_config_selectorIN6thrust23THRUST_200600_302600_NS5tupleIblNS6_9null_typeES8_S8_S8_S8_S8_S8_S8_EEEEZNS1_11reduce_implILb1ES3_PS9_SC_S9_NS6_11hip_rocprim9__find_if7functorIS9_EEEE10hipError_tPvRmT1_T2_T3_mT4_P12ihipStream_tbEUlT_E1_NS1_11comp_targetILNS1_3genE5ELNS1_11target_archE942ELNS1_3gpuE9ELNS1_3repE0EEENS1_30default_config_static_selectorELNS0_4arch9wavefront6targetE1EEEvSK_.uses_flat_scratch, 0
	.set _ZN7rocprim17ROCPRIM_400000_NS6detail17trampoline_kernelINS0_14default_configENS1_22reduce_config_selectorIN6thrust23THRUST_200600_302600_NS5tupleIblNS6_9null_typeES8_S8_S8_S8_S8_S8_S8_EEEEZNS1_11reduce_implILb1ES3_PS9_SC_S9_NS6_11hip_rocprim9__find_if7functorIS9_EEEE10hipError_tPvRmT1_T2_T3_mT4_P12ihipStream_tbEUlT_E1_NS1_11comp_targetILNS1_3genE5ELNS1_11target_archE942ELNS1_3gpuE9ELNS1_3repE0EEENS1_30default_config_static_selectorELNS0_4arch9wavefront6targetE1EEEvSK_.has_dyn_sized_stack, 0
	.set _ZN7rocprim17ROCPRIM_400000_NS6detail17trampoline_kernelINS0_14default_configENS1_22reduce_config_selectorIN6thrust23THRUST_200600_302600_NS5tupleIblNS6_9null_typeES8_S8_S8_S8_S8_S8_S8_EEEEZNS1_11reduce_implILb1ES3_PS9_SC_S9_NS6_11hip_rocprim9__find_if7functorIS9_EEEE10hipError_tPvRmT1_T2_T3_mT4_P12ihipStream_tbEUlT_E1_NS1_11comp_targetILNS1_3genE5ELNS1_11target_archE942ELNS1_3gpuE9ELNS1_3repE0EEENS1_30default_config_static_selectorELNS0_4arch9wavefront6targetE1EEEvSK_.has_recursion, 0
	.set _ZN7rocprim17ROCPRIM_400000_NS6detail17trampoline_kernelINS0_14default_configENS1_22reduce_config_selectorIN6thrust23THRUST_200600_302600_NS5tupleIblNS6_9null_typeES8_S8_S8_S8_S8_S8_S8_EEEEZNS1_11reduce_implILb1ES3_PS9_SC_S9_NS6_11hip_rocprim9__find_if7functorIS9_EEEE10hipError_tPvRmT1_T2_T3_mT4_P12ihipStream_tbEUlT_E1_NS1_11comp_targetILNS1_3genE5ELNS1_11target_archE942ELNS1_3gpuE9ELNS1_3repE0EEENS1_30default_config_static_selectorELNS0_4arch9wavefront6targetE1EEEvSK_.has_indirect_call, 0
	.section	.AMDGPU.csdata,"",@progbits
; Kernel info:
; codeLenInByte = 0
; TotalNumSgprs: 6
; NumVgprs: 0
; NumAgprs: 0
; TotalNumVgprs: 0
; ScratchSize: 0
; MemoryBound: 0
; FloatMode: 240
; IeeeMode: 1
; LDSByteSize: 0 bytes/workgroup (compile time only)
; SGPRBlocks: 0
; VGPRBlocks: 0
; NumSGPRsForWavesPerEU: 6
; NumVGPRsForWavesPerEU: 1
; AccumOffset: 4
; Occupancy: 8
; WaveLimiterHint : 0
; COMPUTE_PGM_RSRC2:SCRATCH_EN: 0
; COMPUTE_PGM_RSRC2:USER_SGPR: 2
; COMPUTE_PGM_RSRC2:TRAP_HANDLER: 0
; COMPUTE_PGM_RSRC2:TGID_X_EN: 1
; COMPUTE_PGM_RSRC2:TGID_Y_EN: 0
; COMPUTE_PGM_RSRC2:TGID_Z_EN: 0
; COMPUTE_PGM_RSRC2:TIDIG_COMP_CNT: 0
; COMPUTE_PGM_RSRC3_GFX90A:ACCUM_OFFSET: 0
; COMPUTE_PGM_RSRC3_GFX90A:TG_SPLIT: 0
	.section	.text._ZN7rocprim17ROCPRIM_400000_NS6detail17trampoline_kernelINS0_14default_configENS1_22reduce_config_selectorIN6thrust23THRUST_200600_302600_NS5tupleIblNS6_9null_typeES8_S8_S8_S8_S8_S8_S8_EEEEZNS1_11reduce_implILb1ES3_PS9_SC_S9_NS6_11hip_rocprim9__find_if7functorIS9_EEEE10hipError_tPvRmT1_T2_T3_mT4_P12ihipStream_tbEUlT_E1_NS1_11comp_targetILNS1_3genE4ELNS1_11target_archE910ELNS1_3gpuE8ELNS1_3repE0EEENS1_30default_config_static_selectorELNS0_4arch9wavefront6targetE1EEEvSK_,"axG",@progbits,_ZN7rocprim17ROCPRIM_400000_NS6detail17trampoline_kernelINS0_14default_configENS1_22reduce_config_selectorIN6thrust23THRUST_200600_302600_NS5tupleIblNS6_9null_typeES8_S8_S8_S8_S8_S8_S8_EEEEZNS1_11reduce_implILb1ES3_PS9_SC_S9_NS6_11hip_rocprim9__find_if7functorIS9_EEEE10hipError_tPvRmT1_T2_T3_mT4_P12ihipStream_tbEUlT_E1_NS1_11comp_targetILNS1_3genE4ELNS1_11target_archE910ELNS1_3gpuE8ELNS1_3repE0EEENS1_30default_config_static_selectorELNS0_4arch9wavefront6targetE1EEEvSK_,comdat
	.protected	_ZN7rocprim17ROCPRIM_400000_NS6detail17trampoline_kernelINS0_14default_configENS1_22reduce_config_selectorIN6thrust23THRUST_200600_302600_NS5tupleIblNS6_9null_typeES8_S8_S8_S8_S8_S8_S8_EEEEZNS1_11reduce_implILb1ES3_PS9_SC_S9_NS6_11hip_rocprim9__find_if7functorIS9_EEEE10hipError_tPvRmT1_T2_T3_mT4_P12ihipStream_tbEUlT_E1_NS1_11comp_targetILNS1_3genE4ELNS1_11target_archE910ELNS1_3gpuE8ELNS1_3repE0EEENS1_30default_config_static_selectorELNS0_4arch9wavefront6targetE1EEEvSK_ ; -- Begin function _ZN7rocprim17ROCPRIM_400000_NS6detail17trampoline_kernelINS0_14default_configENS1_22reduce_config_selectorIN6thrust23THRUST_200600_302600_NS5tupleIblNS6_9null_typeES8_S8_S8_S8_S8_S8_S8_EEEEZNS1_11reduce_implILb1ES3_PS9_SC_S9_NS6_11hip_rocprim9__find_if7functorIS9_EEEE10hipError_tPvRmT1_T2_T3_mT4_P12ihipStream_tbEUlT_E1_NS1_11comp_targetILNS1_3genE4ELNS1_11target_archE910ELNS1_3gpuE8ELNS1_3repE0EEENS1_30default_config_static_selectorELNS0_4arch9wavefront6targetE1EEEvSK_
	.globl	_ZN7rocprim17ROCPRIM_400000_NS6detail17trampoline_kernelINS0_14default_configENS1_22reduce_config_selectorIN6thrust23THRUST_200600_302600_NS5tupleIblNS6_9null_typeES8_S8_S8_S8_S8_S8_S8_EEEEZNS1_11reduce_implILb1ES3_PS9_SC_S9_NS6_11hip_rocprim9__find_if7functorIS9_EEEE10hipError_tPvRmT1_T2_T3_mT4_P12ihipStream_tbEUlT_E1_NS1_11comp_targetILNS1_3genE4ELNS1_11target_archE910ELNS1_3gpuE8ELNS1_3repE0EEENS1_30default_config_static_selectorELNS0_4arch9wavefront6targetE1EEEvSK_
	.p2align	8
	.type	_ZN7rocprim17ROCPRIM_400000_NS6detail17trampoline_kernelINS0_14default_configENS1_22reduce_config_selectorIN6thrust23THRUST_200600_302600_NS5tupleIblNS6_9null_typeES8_S8_S8_S8_S8_S8_S8_EEEEZNS1_11reduce_implILb1ES3_PS9_SC_S9_NS6_11hip_rocprim9__find_if7functorIS9_EEEE10hipError_tPvRmT1_T2_T3_mT4_P12ihipStream_tbEUlT_E1_NS1_11comp_targetILNS1_3genE4ELNS1_11target_archE910ELNS1_3gpuE8ELNS1_3repE0EEENS1_30default_config_static_selectorELNS0_4arch9wavefront6targetE1EEEvSK_,@function
_ZN7rocprim17ROCPRIM_400000_NS6detail17trampoline_kernelINS0_14default_configENS1_22reduce_config_selectorIN6thrust23THRUST_200600_302600_NS5tupleIblNS6_9null_typeES8_S8_S8_S8_S8_S8_S8_EEEEZNS1_11reduce_implILb1ES3_PS9_SC_S9_NS6_11hip_rocprim9__find_if7functorIS9_EEEE10hipError_tPvRmT1_T2_T3_mT4_P12ihipStream_tbEUlT_E1_NS1_11comp_targetILNS1_3genE4ELNS1_11target_archE910ELNS1_3gpuE8ELNS1_3repE0EEENS1_30default_config_static_selectorELNS0_4arch9wavefront6targetE1EEEvSK_: ; @_ZN7rocprim17ROCPRIM_400000_NS6detail17trampoline_kernelINS0_14default_configENS1_22reduce_config_selectorIN6thrust23THRUST_200600_302600_NS5tupleIblNS6_9null_typeES8_S8_S8_S8_S8_S8_S8_EEEEZNS1_11reduce_implILb1ES3_PS9_SC_S9_NS6_11hip_rocprim9__find_if7functorIS9_EEEE10hipError_tPvRmT1_T2_T3_mT4_P12ihipStream_tbEUlT_E1_NS1_11comp_targetILNS1_3genE4ELNS1_11target_archE910ELNS1_3gpuE8ELNS1_3repE0EEENS1_30default_config_static_selectorELNS0_4arch9wavefront6targetE1EEEvSK_
; %bb.0:
	.section	.rodata,"a",@progbits
	.p2align	6, 0x0
	.amdhsa_kernel _ZN7rocprim17ROCPRIM_400000_NS6detail17trampoline_kernelINS0_14default_configENS1_22reduce_config_selectorIN6thrust23THRUST_200600_302600_NS5tupleIblNS6_9null_typeES8_S8_S8_S8_S8_S8_S8_EEEEZNS1_11reduce_implILb1ES3_PS9_SC_S9_NS6_11hip_rocprim9__find_if7functorIS9_EEEE10hipError_tPvRmT1_T2_T3_mT4_P12ihipStream_tbEUlT_E1_NS1_11comp_targetILNS1_3genE4ELNS1_11target_archE910ELNS1_3gpuE8ELNS1_3repE0EEENS1_30default_config_static_selectorELNS0_4arch9wavefront6targetE1EEEvSK_
		.amdhsa_group_segment_fixed_size 0
		.amdhsa_private_segment_fixed_size 0
		.amdhsa_kernarg_size 56
		.amdhsa_user_sgpr_count 2
		.amdhsa_user_sgpr_dispatch_ptr 0
		.amdhsa_user_sgpr_queue_ptr 0
		.amdhsa_user_sgpr_kernarg_segment_ptr 1
		.amdhsa_user_sgpr_dispatch_id 0
		.amdhsa_user_sgpr_kernarg_preload_length 0
		.amdhsa_user_sgpr_kernarg_preload_offset 0
		.amdhsa_user_sgpr_private_segment_size 0
		.amdhsa_uses_dynamic_stack 0
		.amdhsa_enable_private_segment 0
		.amdhsa_system_sgpr_workgroup_id_x 1
		.amdhsa_system_sgpr_workgroup_id_y 0
		.amdhsa_system_sgpr_workgroup_id_z 0
		.amdhsa_system_sgpr_workgroup_info 0
		.amdhsa_system_vgpr_workitem_id 0
		.amdhsa_next_free_vgpr 1
		.amdhsa_next_free_sgpr 0
		.amdhsa_accum_offset 4
		.amdhsa_reserve_vcc 0
		.amdhsa_float_round_mode_32 0
		.amdhsa_float_round_mode_16_64 0
		.amdhsa_float_denorm_mode_32 3
		.amdhsa_float_denorm_mode_16_64 3
		.amdhsa_dx10_clamp 1
		.amdhsa_ieee_mode 1
		.amdhsa_fp16_overflow 0
		.amdhsa_tg_split 0
		.amdhsa_exception_fp_ieee_invalid_op 0
		.amdhsa_exception_fp_denorm_src 0
		.amdhsa_exception_fp_ieee_div_zero 0
		.amdhsa_exception_fp_ieee_overflow 0
		.amdhsa_exception_fp_ieee_underflow 0
		.amdhsa_exception_fp_ieee_inexact 0
		.amdhsa_exception_int_div_zero 0
	.end_amdhsa_kernel
	.section	.text._ZN7rocprim17ROCPRIM_400000_NS6detail17trampoline_kernelINS0_14default_configENS1_22reduce_config_selectorIN6thrust23THRUST_200600_302600_NS5tupleIblNS6_9null_typeES8_S8_S8_S8_S8_S8_S8_EEEEZNS1_11reduce_implILb1ES3_PS9_SC_S9_NS6_11hip_rocprim9__find_if7functorIS9_EEEE10hipError_tPvRmT1_T2_T3_mT4_P12ihipStream_tbEUlT_E1_NS1_11comp_targetILNS1_3genE4ELNS1_11target_archE910ELNS1_3gpuE8ELNS1_3repE0EEENS1_30default_config_static_selectorELNS0_4arch9wavefront6targetE1EEEvSK_,"axG",@progbits,_ZN7rocprim17ROCPRIM_400000_NS6detail17trampoline_kernelINS0_14default_configENS1_22reduce_config_selectorIN6thrust23THRUST_200600_302600_NS5tupleIblNS6_9null_typeES8_S8_S8_S8_S8_S8_S8_EEEEZNS1_11reduce_implILb1ES3_PS9_SC_S9_NS6_11hip_rocprim9__find_if7functorIS9_EEEE10hipError_tPvRmT1_T2_T3_mT4_P12ihipStream_tbEUlT_E1_NS1_11comp_targetILNS1_3genE4ELNS1_11target_archE910ELNS1_3gpuE8ELNS1_3repE0EEENS1_30default_config_static_selectorELNS0_4arch9wavefront6targetE1EEEvSK_,comdat
.Lfunc_end174:
	.size	_ZN7rocprim17ROCPRIM_400000_NS6detail17trampoline_kernelINS0_14default_configENS1_22reduce_config_selectorIN6thrust23THRUST_200600_302600_NS5tupleIblNS6_9null_typeES8_S8_S8_S8_S8_S8_S8_EEEEZNS1_11reduce_implILb1ES3_PS9_SC_S9_NS6_11hip_rocprim9__find_if7functorIS9_EEEE10hipError_tPvRmT1_T2_T3_mT4_P12ihipStream_tbEUlT_E1_NS1_11comp_targetILNS1_3genE4ELNS1_11target_archE910ELNS1_3gpuE8ELNS1_3repE0EEENS1_30default_config_static_selectorELNS0_4arch9wavefront6targetE1EEEvSK_, .Lfunc_end174-_ZN7rocprim17ROCPRIM_400000_NS6detail17trampoline_kernelINS0_14default_configENS1_22reduce_config_selectorIN6thrust23THRUST_200600_302600_NS5tupleIblNS6_9null_typeES8_S8_S8_S8_S8_S8_S8_EEEEZNS1_11reduce_implILb1ES3_PS9_SC_S9_NS6_11hip_rocprim9__find_if7functorIS9_EEEE10hipError_tPvRmT1_T2_T3_mT4_P12ihipStream_tbEUlT_E1_NS1_11comp_targetILNS1_3genE4ELNS1_11target_archE910ELNS1_3gpuE8ELNS1_3repE0EEENS1_30default_config_static_selectorELNS0_4arch9wavefront6targetE1EEEvSK_
                                        ; -- End function
	.set _ZN7rocprim17ROCPRIM_400000_NS6detail17trampoline_kernelINS0_14default_configENS1_22reduce_config_selectorIN6thrust23THRUST_200600_302600_NS5tupleIblNS6_9null_typeES8_S8_S8_S8_S8_S8_S8_EEEEZNS1_11reduce_implILb1ES3_PS9_SC_S9_NS6_11hip_rocprim9__find_if7functorIS9_EEEE10hipError_tPvRmT1_T2_T3_mT4_P12ihipStream_tbEUlT_E1_NS1_11comp_targetILNS1_3genE4ELNS1_11target_archE910ELNS1_3gpuE8ELNS1_3repE0EEENS1_30default_config_static_selectorELNS0_4arch9wavefront6targetE1EEEvSK_.num_vgpr, 0
	.set _ZN7rocprim17ROCPRIM_400000_NS6detail17trampoline_kernelINS0_14default_configENS1_22reduce_config_selectorIN6thrust23THRUST_200600_302600_NS5tupleIblNS6_9null_typeES8_S8_S8_S8_S8_S8_S8_EEEEZNS1_11reduce_implILb1ES3_PS9_SC_S9_NS6_11hip_rocprim9__find_if7functorIS9_EEEE10hipError_tPvRmT1_T2_T3_mT4_P12ihipStream_tbEUlT_E1_NS1_11comp_targetILNS1_3genE4ELNS1_11target_archE910ELNS1_3gpuE8ELNS1_3repE0EEENS1_30default_config_static_selectorELNS0_4arch9wavefront6targetE1EEEvSK_.num_agpr, 0
	.set _ZN7rocprim17ROCPRIM_400000_NS6detail17trampoline_kernelINS0_14default_configENS1_22reduce_config_selectorIN6thrust23THRUST_200600_302600_NS5tupleIblNS6_9null_typeES8_S8_S8_S8_S8_S8_S8_EEEEZNS1_11reduce_implILb1ES3_PS9_SC_S9_NS6_11hip_rocprim9__find_if7functorIS9_EEEE10hipError_tPvRmT1_T2_T3_mT4_P12ihipStream_tbEUlT_E1_NS1_11comp_targetILNS1_3genE4ELNS1_11target_archE910ELNS1_3gpuE8ELNS1_3repE0EEENS1_30default_config_static_selectorELNS0_4arch9wavefront6targetE1EEEvSK_.numbered_sgpr, 0
	.set _ZN7rocprim17ROCPRIM_400000_NS6detail17trampoline_kernelINS0_14default_configENS1_22reduce_config_selectorIN6thrust23THRUST_200600_302600_NS5tupleIblNS6_9null_typeES8_S8_S8_S8_S8_S8_S8_EEEEZNS1_11reduce_implILb1ES3_PS9_SC_S9_NS6_11hip_rocprim9__find_if7functorIS9_EEEE10hipError_tPvRmT1_T2_T3_mT4_P12ihipStream_tbEUlT_E1_NS1_11comp_targetILNS1_3genE4ELNS1_11target_archE910ELNS1_3gpuE8ELNS1_3repE0EEENS1_30default_config_static_selectorELNS0_4arch9wavefront6targetE1EEEvSK_.num_named_barrier, 0
	.set _ZN7rocprim17ROCPRIM_400000_NS6detail17trampoline_kernelINS0_14default_configENS1_22reduce_config_selectorIN6thrust23THRUST_200600_302600_NS5tupleIblNS6_9null_typeES8_S8_S8_S8_S8_S8_S8_EEEEZNS1_11reduce_implILb1ES3_PS9_SC_S9_NS6_11hip_rocprim9__find_if7functorIS9_EEEE10hipError_tPvRmT1_T2_T3_mT4_P12ihipStream_tbEUlT_E1_NS1_11comp_targetILNS1_3genE4ELNS1_11target_archE910ELNS1_3gpuE8ELNS1_3repE0EEENS1_30default_config_static_selectorELNS0_4arch9wavefront6targetE1EEEvSK_.private_seg_size, 0
	.set _ZN7rocprim17ROCPRIM_400000_NS6detail17trampoline_kernelINS0_14default_configENS1_22reduce_config_selectorIN6thrust23THRUST_200600_302600_NS5tupleIblNS6_9null_typeES8_S8_S8_S8_S8_S8_S8_EEEEZNS1_11reduce_implILb1ES3_PS9_SC_S9_NS6_11hip_rocprim9__find_if7functorIS9_EEEE10hipError_tPvRmT1_T2_T3_mT4_P12ihipStream_tbEUlT_E1_NS1_11comp_targetILNS1_3genE4ELNS1_11target_archE910ELNS1_3gpuE8ELNS1_3repE0EEENS1_30default_config_static_selectorELNS0_4arch9wavefront6targetE1EEEvSK_.uses_vcc, 0
	.set _ZN7rocprim17ROCPRIM_400000_NS6detail17trampoline_kernelINS0_14default_configENS1_22reduce_config_selectorIN6thrust23THRUST_200600_302600_NS5tupleIblNS6_9null_typeES8_S8_S8_S8_S8_S8_S8_EEEEZNS1_11reduce_implILb1ES3_PS9_SC_S9_NS6_11hip_rocprim9__find_if7functorIS9_EEEE10hipError_tPvRmT1_T2_T3_mT4_P12ihipStream_tbEUlT_E1_NS1_11comp_targetILNS1_3genE4ELNS1_11target_archE910ELNS1_3gpuE8ELNS1_3repE0EEENS1_30default_config_static_selectorELNS0_4arch9wavefront6targetE1EEEvSK_.uses_flat_scratch, 0
	.set _ZN7rocprim17ROCPRIM_400000_NS6detail17trampoline_kernelINS0_14default_configENS1_22reduce_config_selectorIN6thrust23THRUST_200600_302600_NS5tupleIblNS6_9null_typeES8_S8_S8_S8_S8_S8_S8_EEEEZNS1_11reduce_implILb1ES3_PS9_SC_S9_NS6_11hip_rocprim9__find_if7functorIS9_EEEE10hipError_tPvRmT1_T2_T3_mT4_P12ihipStream_tbEUlT_E1_NS1_11comp_targetILNS1_3genE4ELNS1_11target_archE910ELNS1_3gpuE8ELNS1_3repE0EEENS1_30default_config_static_selectorELNS0_4arch9wavefront6targetE1EEEvSK_.has_dyn_sized_stack, 0
	.set _ZN7rocprim17ROCPRIM_400000_NS6detail17trampoline_kernelINS0_14default_configENS1_22reduce_config_selectorIN6thrust23THRUST_200600_302600_NS5tupleIblNS6_9null_typeES8_S8_S8_S8_S8_S8_S8_EEEEZNS1_11reduce_implILb1ES3_PS9_SC_S9_NS6_11hip_rocprim9__find_if7functorIS9_EEEE10hipError_tPvRmT1_T2_T3_mT4_P12ihipStream_tbEUlT_E1_NS1_11comp_targetILNS1_3genE4ELNS1_11target_archE910ELNS1_3gpuE8ELNS1_3repE0EEENS1_30default_config_static_selectorELNS0_4arch9wavefront6targetE1EEEvSK_.has_recursion, 0
	.set _ZN7rocprim17ROCPRIM_400000_NS6detail17trampoline_kernelINS0_14default_configENS1_22reduce_config_selectorIN6thrust23THRUST_200600_302600_NS5tupleIblNS6_9null_typeES8_S8_S8_S8_S8_S8_S8_EEEEZNS1_11reduce_implILb1ES3_PS9_SC_S9_NS6_11hip_rocprim9__find_if7functorIS9_EEEE10hipError_tPvRmT1_T2_T3_mT4_P12ihipStream_tbEUlT_E1_NS1_11comp_targetILNS1_3genE4ELNS1_11target_archE910ELNS1_3gpuE8ELNS1_3repE0EEENS1_30default_config_static_selectorELNS0_4arch9wavefront6targetE1EEEvSK_.has_indirect_call, 0
	.section	.AMDGPU.csdata,"",@progbits
; Kernel info:
; codeLenInByte = 0
; TotalNumSgprs: 6
; NumVgprs: 0
; NumAgprs: 0
; TotalNumVgprs: 0
; ScratchSize: 0
; MemoryBound: 0
; FloatMode: 240
; IeeeMode: 1
; LDSByteSize: 0 bytes/workgroup (compile time only)
; SGPRBlocks: 0
; VGPRBlocks: 0
; NumSGPRsForWavesPerEU: 6
; NumVGPRsForWavesPerEU: 1
; AccumOffset: 4
; Occupancy: 8
; WaveLimiterHint : 0
; COMPUTE_PGM_RSRC2:SCRATCH_EN: 0
; COMPUTE_PGM_RSRC2:USER_SGPR: 2
; COMPUTE_PGM_RSRC2:TRAP_HANDLER: 0
; COMPUTE_PGM_RSRC2:TGID_X_EN: 1
; COMPUTE_PGM_RSRC2:TGID_Y_EN: 0
; COMPUTE_PGM_RSRC2:TGID_Z_EN: 0
; COMPUTE_PGM_RSRC2:TIDIG_COMP_CNT: 0
; COMPUTE_PGM_RSRC3_GFX90A:ACCUM_OFFSET: 0
; COMPUTE_PGM_RSRC3_GFX90A:TG_SPLIT: 0
	.section	.text._ZN7rocprim17ROCPRIM_400000_NS6detail17trampoline_kernelINS0_14default_configENS1_22reduce_config_selectorIN6thrust23THRUST_200600_302600_NS5tupleIblNS6_9null_typeES8_S8_S8_S8_S8_S8_S8_EEEEZNS1_11reduce_implILb1ES3_PS9_SC_S9_NS6_11hip_rocprim9__find_if7functorIS9_EEEE10hipError_tPvRmT1_T2_T3_mT4_P12ihipStream_tbEUlT_E1_NS1_11comp_targetILNS1_3genE3ELNS1_11target_archE908ELNS1_3gpuE7ELNS1_3repE0EEENS1_30default_config_static_selectorELNS0_4arch9wavefront6targetE1EEEvSK_,"axG",@progbits,_ZN7rocprim17ROCPRIM_400000_NS6detail17trampoline_kernelINS0_14default_configENS1_22reduce_config_selectorIN6thrust23THRUST_200600_302600_NS5tupleIblNS6_9null_typeES8_S8_S8_S8_S8_S8_S8_EEEEZNS1_11reduce_implILb1ES3_PS9_SC_S9_NS6_11hip_rocprim9__find_if7functorIS9_EEEE10hipError_tPvRmT1_T2_T3_mT4_P12ihipStream_tbEUlT_E1_NS1_11comp_targetILNS1_3genE3ELNS1_11target_archE908ELNS1_3gpuE7ELNS1_3repE0EEENS1_30default_config_static_selectorELNS0_4arch9wavefront6targetE1EEEvSK_,comdat
	.protected	_ZN7rocprim17ROCPRIM_400000_NS6detail17trampoline_kernelINS0_14default_configENS1_22reduce_config_selectorIN6thrust23THRUST_200600_302600_NS5tupleIblNS6_9null_typeES8_S8_S8_S8_S8_S8_S8_EEEEZNS1_11reduce_implILb1ES3_PS9_SC_S9_NS6_11hip_rocprim9__find_if7functorIS9_EEEE10hipError_tPvRmT1_T2_T3_mT4_P12ihipStream_tbEUlT_E1_NS1_11comp_targetILNS1_3genE3ELNS1_11target_archE908ELNS1_3gpuE7ELNS1_3repE0EEENS1_30default_config_static_selectorELNS0_4arch9wavefront6targetE1EEEvSK_ ; -- Begin function _ZN7rocprim17ROCPRIM_400000_NS6detail17trampoline_kernelINS0_14default_configENS1_22reduce_config_selectorIN6thrust23THRUST_200600_302600_NS5tupleIblNS6_9null_typeES8_S8_S8_S8_S8_S8_S8_EEEEZNS1_11reduce_implILb1ES3_PS9_SC_S9_NS6_11hip_rocprim9__find_if7functorIS9_EEEE10hipError_tPvRmT1_T2_T3_mT4_P12ihipStream_tbEUlT_E1_NS1_11comp_targetILNS1_3genE3ELNS1_11target_archE908ELNS1_3gpuE7ELNS1_3repE0EEENS1_30default_config_static_selectorELNS0_4arch9wavefront6targetE1EEEvSK_
	.globl	_ZN7rocprim17ROCPRIM_400000_NS6detail17trampoline_kernelINS0_14default_configENS1_22reduce_config_selectorIN6thrust23THRUST_200600_302600_NS5tupleIblNS6_9null_typeES8_S8_S8_S8_S8_S8_S8_EEEEZNS1_11reduce_implILb1ES3_PS9_SC_S9_NS6_11hip_rocprim9__find_if7functorIS9_EEEE10hipError_tPvRmT1_T2_T3_mT4_P12ihipStream_tbEUlT_E1_NS1_11comp_targetILNS1_3genE3ELNS1_11target_archE908ELNS1_3gpuE7ELNS1_3repE0EEENS1_30default_config_static_selectorELNS0_4arch9wavefront6targetE1EEEvSK_
	.p2align	8
	.type	_ZN7rocprim17ROCPRIM_400000_NS6detail17trampoline_kernelINS0_14default_configENS1_22reduce_config_selectorIN6thrust23THRUST_200600_302600_NS5tupleIblNS6_9null_typeES8_S8_S8_S8_S8_S8_S8_EEEEZNS1_11reduce_implILb1ES3_PS9_SC_S9_NS6_11hip_rocprim9__find_if7functorIS9_EEEE10hipError_tPvRmT1_T2_T3_mT4_P12ihipStream_tbEUlT_E1_NS1_11comp_targetILNS1_3genE3ELNS1_11target_archE908ELNS1_3gpuE7ELNS1_3repE0EEENS1_30default_config_static_selectorELNS0_4arch9wavefront6targetE1EEEvSK_,@function
_ZN7rocprim17ROCPRIM_400000_NS6detail17trampoline_kernelINS0_14default_configENS1_22reduce_config_selectorIN6thrust23THRUST_200600_302600_NS5tupleIblNS6_9null_typeES8_S8_S8_S8_S8_S8_S8_EEEEZNS1_11reduce_implILb1ES3_PS9_SC_S9_NS6_11hip_rocprim9__find_if7functorIS9_EEEE10hipError_tPvRmT1_T2_T3_mT4_P12ihipStream_tbEUlT_E1_NS1_11comp_targetILNS1_3genE3ELNS1_11target_archE908ELNS1_3gpuE7ELNS1_3repE0EEENS1_30default_config_static_selectorELNS0_4arch9wavefront6targetE1EEEvSK_: ; @_ZN7rocprim17ROCPRIM_400000_NS6detail17trampoline_kernelINS0_14default_configENS1_22reduce_config_selectorIN6thrust23THRUST_200600_302600_NS5tupleIblNS6_9null_typeES8_S8_S8_S8_S8_S8_S8_EEEEZNS1_11reduce_implILb1ES3_PS9_SC_S9_NS6_11hip_rocprim9__find_if7functorIS9_EEEE10hipError_tPvRmT1_T2_T3_mT4_P12ihipStream_tbEUlT_E1_NS1_11comp_targetILNS1_3genE3ELNS1_11target_archE908ELNS1_3gpuE7ELNS1_3repE0EEENS1_30default_config_static_selectorELNS0_4arch9wavefront6targetE1EEEvSK_
; %bb.0:
	.section	.rodata,"a",@progbits
	.p2align	6, 0x0
	.amdhsa_kernel _ZN7rocprim17ROCPRIM_400000_NS6detail17trampoline_kernelINS0_14default_configENS1_22reduce_config_selectorIN6thrust23THRUST_200600_302600_NS5tupleIblNS6_9null_typeES8_S8_S8_S8_S8_S8_S8_EEEEZNS1_11reduce_implILb1ES3_PS9_SC_S9_NS6_11hip_rocprim9__find_if7functorIS9_EEEE10hipError_tPvRmT1_T2_T3_mT4_P12ihipStream_tbEUlT_E1_NS1_11comp_targetILNS1_3genE3ELNS1_11target_archE908ELNS1_3gpuE7ELNS1_3repE0EEENS1_30default_config_static_selectorELNS0_4arch9wavefront6targetE1EEEvSK_
		.amdhsa_group_segment_fixed_size 0
		.amdhsa_private_segment_fixed_size 0
		.amdhsa_kernarg_size 56
		.amdhsa_user_sgpr_count 2
		.amdhsa_user_sgpr_dispatch_ptr 0
		.amdhsa_user_sgpr_queue_ptr 0
		.amdhsa_user_sgpr_kernarg_segment_ptr 1
		.amdhsa_user_sgpr_dispatch_id 0
		.amdhsa_user_sgpr_kernarg_preload_length 0
		.amdhsa_user_sgpr_kernarg_preload_offset 0
		.amdhsa_user_sgpr_private_segment_size 0
		.amdhsa_uses_dynamic_stack 0
		.amdhsa_enable_private_segment 0
		.amdhsa_system_sgpr_workgroup_id_x 1
		.amdhsa_system_sgpr_workgroup_id_y 0
		.amdhsa_system_sgpr_workgroup_id_z 0
		.amdhsa_system_sgpr_workgroup_info 0
		.amdhsa_system_vgpr_workitem_id 0
		.amdhsa_next_free_vgpr 1
		.amdhsa_next_free_sgpr 0
		.amdhsa_accum_offset 4
		.amdhsa_reserve_vcc 0
		.amdhsa_float_round_mode_32 0
		.amdhsa_float_round_mode_16_64 0
		.amdhsa_float_denorm_mode_32 3
		.amdhsa_float_denorm_mode_16_64 3
		.amdhsa_dx10_clamp 1
		.amdhsa_ieee_mode 1
		.amdhsa_fp16_overflow 0
		.amdhsa_tg_split 0
		.amdhsa_exception_fp_ieee_invalid_op 0
		.amdhsa_exception_fp_denorm_src 0
		.amdhsa_exception_fp_ieee_div_zero 0
		.amdhsa_exception_fp_ieee_overflow 0
		.amdhsa_exception_fp_ieee_underflow 0
		.amdhsa_exception_fp_ieee_inexact 0
		.amdhsa_exception_int_div_zero 0
	.end_amdhsa_kernel
	.section	.text._ZN7rocprim17ROCPRIM_400000_NS6detail17trampoline_kernelINS0_14default_configENS1_22reduce_config_selectorIN6thrust23THRUST_200600_302600_NS5tupleIblNS6_9null_typeES8_S8_S8_S8_S8_S8_S8_EEEEZNS1_11reduce_implILb1ES3_PS9_SC_S9_NS6_11hip_rocprim9__find_if7functorIS9_EEEE10hipError_tPvRmT1_T2_T3_mT4_P12ihipStream_tbEUlT_E1_NS1_11comp_targetILNS1_3genE3ELNS1_11target_archE908ELNS1_3gpuE7ELNS1_3repE0EEENS1_30default_config_static_selectorELNS0_4arch9wavefront6targetE1EEEvSK_,"axG",@progbits,_ZN7rocprim17ROCPRIM_400000_NS6detail17trampoline_kernelINS0_14default_configENS1_22reduce_config_selectorIN6thrust23THRUST_200600_302600_NS5tupleIblNS6_9null_typeES8_S8_S8_S8_S8_S8_S8_EEEEZNS1_11reduce_implILb1ES3_PS9_SC_S9_NS6_11hip_rocprim9__find_if7functorIS9_EEEE10hipError_tPvRmT1_T2_T3_mT4_P12ihipStream_tbEUlT_E1_NS1_11comp_targetILNS1_3genE3ELNS1_11target_archE908ELNS1_3gpuE7ELNS1_3repE0EEENS1_30default_config_static_selectorELNS0_4arch9wavefront6targetE1EEEvSK_,comdat
.Lfunc_end175:
	.size	_ZN7rocprim17ROCPRIM_400000_NS6detail17trampoline_kernelINS0_14default_configENS1_22reduce_config_selectorIN6thrust23THRUST_200600_302600_NS5tupleIblNS6_9null_typeES8_S8_S8_S8_S8_S8_S8_EEEEZNS1_11reduce_implILb1ES3_PS9_SC_S9_NS6_11hip_rocprim9__find_if7functorIS9_EEEE10hipError_tPvRmT1_T2_T3_mT4_P12ihipStream_tbEUlT_E1_NS1_11comp_targetILNS1_3genE3ELNS1_11target_archE908ELNS1_3gpuE7ELNS1_3repE0EEENS1_30default_config_static_selectorELNS0_4arch9wavefront6targetE1EEEvSK_, .Lfunc_end175-_ZN7rocprim17ROCPRIM_400000_NS6detail17trampoline_kernelINS0_14default_configENS1_22reduce_config_selectorIN6thrust23THRUST_200600_302600_NS5tupleIblNS6_9null_typeES8_S8_S8_S8_S8_S8_S8_EEEEZNS1_11reduce_implILb1ES3_PS9_SC_S9_NS6_11hip_rocprim9__find_if7functorIS9_EEEE10hipError_tPvRmT1_T2_T3_mT4_P12ihipStream_tbEUlT_E1_NS1_11comp_targetILNS1_3genE3ELNS1_11target_archE908ELNS1_3gpuE7ELNS1_3repE0EEENS1_30default_config_static_selectorELNS0_4arch9wavefront6targetE1EEEvSK_
                                        ; -- End function
	.set _ZN7rocprim17ROCPRIM_400000_NS6detail17trampoline_kernelINS0_14default_configENS1_22reduce_config_selectorIN6thrust23THRUST_200600_302600_NS5tupleIblNS6_9null_typeES8_S8_S8_S8_S8_S8_S8_EEEEZNS1_11reduce_implILb1ES3_PS9_SC_S9_NS6_11hip_rocprim9__find_if7functorIS9_EEEE10hipError_tPvRmT1_T2_T3_mT4_P12ihipStream_tbEUlT_E1_NS1_11comp_targetILNS1_3genE3ELNS1_11target_archE908ELNS1_3gpuE7ELNS1_3repE0EEENS1_30default_config_static_selectorELNS0_4arch9wavefront6targetE1EEEvSK_.num_vgpr, 0
	.set _ZN7rocprim17ROCPRIM_400000_NS6detail17trampoline_kernelINS0_14default_configENS1_22reduce_config_selectorIN6thrust23THRUST_200600_302600_NS5tupleIblNS6_9null_typeES8_S8_S8_S8_S8_S8_S8_EEEEZNS1_11reduce_implILb1ES3_PS9_SC_S9_NS6_11hip_rocprim9__find_if7functorIS9_EEEE10hipError_tPvRmT1_T2_T3_mT4_P12ihipStream_tbEUlT_E1_NS1_11comp_targetILNS1_3genE3ELNS1_11target_archE908ELNS1_3gpuE7ELNS1_3repE0EEENS1_30default_config_static_selectorELNS0_4arch9wavefront6targetE1EEEvSK_.num_agpr, 0
	.set _ZN7rocprim17ROCPRIM_400000_NS6detail17trampoline_kernelINS0_14default_configENS1_22reduce_config_selectorIN6thrust23THRUST_200600_302600_NS5tupleIblNS6_9null_typeES8_S8_S8_S8_S8_S8_S8_EEEEZNS1_11reduce_implILb1ES3_PS9_SC_S9_NS6_11hip_rocprim9__find_if7functorIS9_EEEE10hipError_tPvRmT1_T2_T3_mT4_P12ihipStream_tbEUlT_E1_NS1_11comp_targetILNS1_3genE3ELNS1_11target_archE908ELNS1_3gpuE7ELNS1_3repE0EEENS1_30default_config_static_selectorELNS0_4arch9wavefront6targetE1EEEvSK_.numbered_sgpr, 0
	.set _ZN7rocprim17ROCPRIM_400000_NS6detail17trampoline_kernelINS0_14default_configENS1_22reduce_config_selectorIN6thrust23THRUST_200600_302600_NS5tupleIblNS6_9null_typeES8_S8_S8_S8_S8_S8_S8_EEEEZNS1_11reduce_implILb1ES3_PS9_SC_S9_NS6_11hip_rocprim9__find_if7functorIS9_EEEE10hipError_tPvRmT1_T2_T3_mT4_P12ihipStream_tbEUlT_E1_NS1_11comp_targetILNS1_3genE3ELNS1_11target_archE908ELNS1_3gpuE7ELNS1_3repE0EEENS1_30default_config_static_selectorELNS0_4arch9wavefront6targetE1EEEvSK_.num_named_barrier, 0
	.set _ZN7rocprim17ROCPRIM_400000_NS6detail17trampoline_kernelINS0_14default_configENS1_22reduce_config_selectorIN6thrust23THRUST_200600_302600_NS5tupleIblNS6_9null_typeES8_S8_S8_S8_S8_S8_S8_EEEEZNS1_11reduce_implILb1ES3_PS9_SC_S9_NS6_11hip_rocprim9__find_if7functorIS9_EEEE10hipError_tPvRmT1_T2_T3_mT4_P12ihipStream_tbEUlT_E1_NS1_11comp_targetILNS1_3genE3ELNS1_11target_archE908ELNS1_3gpuE7ELNS1_3repE0EEENS1_30default_config_static_selectorELNS0_4arch9wavefront6targetE1EEEvSK_.private_seg_size, 0
	.set _ZN7rocprim17ROCPRIM_400000_NS6detail17trampoline_kernelINS0_14default_configENS1_22reduce_config_selectorIN6thrust23THRUST_200600_302600_NS5tupleIblNS6_9null_typeES8_S8_S8_S8_S8_S8_S8_EEEEZNS1_11reduce_implILb1ES3_PS9_SC_S9_NS6_11hip_rocprim9__find_if7functorIS9_EEEE10hipError_tPvRmT1_T2_T3_mT4_P12ihipStream_tbEUlT_E1_NS1_11comp_targetILNS1_3genE3ELNS1_11target_archE908ELNS1_3gpuE7ELNS1_3repE0EEENS1_30default_config_static_selectorELNS0_4arch9wavefront6targetE1EEEvSK_.uses_vcc, 0
	.set _ZN7rocprim17ROCPRIM_400000_NS6detail17trampoline_kernelINS0_14default_configENS1_22reduce_config_selectorIN6thrust23THRUST_200600_302600_NS5tupleIblNS6_9null_typeES8_S8_S8_S8_S8_S8_S8_EEEEZNS1_11reduce_implILb1ES3_PS9_SC_S9_NS6_11hip_rocprim9__find_if7functorIS9_EEEE10hipError_tPvRmT1_T2_T3_mT4_P12ihipStream_tbEUlT_E1_NS1_11comp_targetILNS1_3genE3ELNS1_11target_archE908ELNS1_3gpuE7ELNS1_3repE0EEENS1_30default_config_static_selectorELNS0_4arch9wavefront6targetE1EEEvSK_.uses_flat_scratch, 0
	.set _ZN7rocprim17ROCPRIM_400000_NS6detail17trampoline_kernelINS0_14default_configENS1_22reduce_config_selectorIN6thrust23THRUST_200600_302600_NS5tupleIblNS6_9null_typeES8_S8_S8_S8_S8_S8_S8_EEEEZNS1_11reduce_implILb1ES3_PS9_SC_S9_NS6_11hip_rocprim9__find_if7functorIS9_EEEE10hipError_tPvRmT1_T2_T3_mT4_P12ihipStream_tbEUlT_E1_NS1_11comp_targetILNS1_3genE3ELNS1_11target_archE908ELNS1_3gpuE7ELNS1_3repE0EEENS1_30default_config_static_selectorELNS0_4arch9wavefront6targetE1EEEvSK_.has_dyn_sized_stack, 0
	.set _ZN7rocprim17ROCPRIM_400000_NS6detail17trampoline_kernelINS0_14default_configENS1_22reduce_config_selectorIN6thrust23THRUST_200600_302600_NS5tupleIblNS6_9null_typeES8_S8_S8_S8_S8_S8_S8_EEEEZNS1_11reduce_implILb1ES3_PS9_SC_S9_NS6_11hip_rocprim9__find_if7functorIS9_EEEE10hipError_tPvRmT1_T2_T3_mT4_P12ihipStream_tbEUlT_E1_NS1_11comp_targetILNS1_3genE3ELNS1_11target_archE908ELNS1_3gpuE7ELNS1_3repE0EEENS1_30default_config_static_selectorELNS0_4arch9wavefront6targetE1EEEvSK_.has_recursion, 0
	.set _ZN7rocprim17ROCPRIM_400000_NS6detail17trampoline_kernelINS0_14default_configENS1_22reduce_config_selectorIN6thrust23THRUST_200600_302600_NS5tupleIblNS6_9null_typeES8_S8_S8_S8_S8_S8_S8_EEEEZNS1_11reduce_implILb1ES3_PS9_SC_S9_NS6_11hip_rocprim9__find_if7functorIS9_EEEE10hipError_tPvRmT1_T2_T3_mT4_P12ihipStream_tbEUlT_E1_NS1_11comp_targetILNS1_3genE3ELNS1_11target_archE908ELNS1_3gpuE7ELNS1_3repE0EEENS1_30default_config_static_selectorELNS0_4arch9wavefront6targetE1EEEvSK_.has_indirect_call, 0
	.section	.AMDGPU.csdata,"",@progbits
; Kernel info:
; codeLenInByte = 0
; TotalNumSgprs: 6
; NumVgprs: 0
; NumAgprs: 0
; TotalNumVgprs: 0
; ScratchSize: 0
; MemoryBound: 0
; FloatMode: 240
; IeeeMode: 1
; LDSByteSize: 0 bytes/workgroup (compile time only)
; SGPRBlocks: 0
; VGPRBlocks: 0
; NumSGPRsForWavesPerEU: 6
; NumVGPRsForWavesPerEU: 1
; AccumOffset: 4
; Occupancy: 8
; WaveLimiterHint : 0
; COMPUTE_PGM_RSRC2:SCRATCH_EN: 0
; COMPUTE_PGM_RSRC2:USER_SGPR: 2
; COMPUTE_PGM_RSRC2:TRAP_HANDLER: 0
; COMPUTE_PGM_RSRC2:TGID_X_EN: 1
; COMPUTE_PGM_RSRC2:TGID_Y_EN: 0
; COMPUTE_PGM_RSRC2:TGID_Z_EN: 0
; COMPUTE_PGM_RSRC2:TIDIG_COMP_CNT: 0
; COMPUTE_PGM_RSRC3_GFX90A:ACCUM_OFFSET: 0
; COMPUTE_PGM_RSRC3_GFX90A:TG_SPLIT: 0
	.section	.text._ZN7rocprim17ROCPRIM_400000_NS6detail17trampoline_kernelINS0_14default_configENS1_22reduce_config_selectorIN6thrust23THRUST_200600_302600_NS5tupleIblNS6_9null_typeES8_S8_S8_S8_S8_S8_S8_EEEEZNS1_11reduce_implILb1ES3_PS9_SC_S9_NS6_11hip_rocprim9__find_if7functorIS9_EEEE10hipError_tPvRmT1_T2_T3_mT4_P12ihipStream_tbEUlT_E1_NS1_11comp_targetILNS1_3genE2ELNS1_11target_archE906ELNS1_3gpuE6ELNS1_3repE0EEENS1_30default_config_static_selectorELNS0_4arch9wavefront6targetE1EEEvSK_,"axG",@progbits,_ZN7rocprim17ROCPRIM_400000_NS6detail17trampoline_kernelINS0_14default_configENS1_22reduce_config_selectorIN6thrust23THRUST_200600_302600_NS5tupleIblNS6_9null_typeES8_S8_S8_S8_S8_S8_S8_EEEEZNS1_11reduce_implILb1ES3_PS9_SC_S9_NS6_11hip_rocprim9__find_if7functorIS9_EEEE10hipError_tPvRmT1_T2_T3_mT4_P12ihipStream_tbEUlT_E1_NS1_11comp_targetILNS1_3genE2ELNS1_11target_archE906ELNS1_3gpuE6ELNS1_3repE0EEENS1_30default_config_static_selectorELNS0_4arch9wavefront6targetE1EEEvSK_,comdat
	.protected	_ZN7rocprim17ROCPRIM_400000_NS6detail17trampoline_kernelINS0_14default_configENS1_22reduce_config_selectorIN6thrust23THRUST_200600_302600_NS5tupleIblNS6_9null_typeES8_S8_S8_S8_S8_S8_S8_EEEEZNS1_11reduce_implILb1ES3_PS9_SC_S9_NS6_11hip_rocprim9__find_if7functorIS9_EEEE10hipError_tPvRmT1_T2_T3_mT4_P12ihipStream_tbEUlT_E1_NS1_11comp_targetILNS1_3genE2ELNS1_11target_archE906ELNS1_3gpuE6ELNS1_3repE0EEENS1_30default_config_static_selectorELNS0_4arch9wavefront6targetE1EEEvSK_ ; -- Begin function _ZN7rocprim17ROCPRIM_400000_NS6detail17trampoline_kernelINS0_14default_configENS1_22reduce_config_selectorIN6thrust23THRUST_200600_302600_NS5tupleIblNS6_9null_typeES8_S8_S8_S8_S8_S8_S8_EEEEZNS1_11reduce_implILb1ES3_PS9_SC_S9_NS6_11hip_rocprim9__find_if7functorIS9_EEEE10hipError_tPvRmT1_T2_T3_mT4_P12ihipStream_tbEUlT_E1_NS1_11comp_targetILNS1_3genE2ELNS1_11target_archE906ELNS1_3gpuE6ELNS1_3repE0EEENS1_30default_config_static_selectorELNS0_4arch9wavefront6targetE1EEEvSK_
	.globl	_ZN7rocprim17ROCPRIM_400000_NS6detail17trampoline_kernelINS0_14default_configENS1_22reduce_config_selectorIN6thrust23THRUST_200600_302600_NS5tupleIblNS6_9null_typeES8_S8_S8_S8_S8_S8_S8_EEEEZNS1_11reduce_implILb1ES3_PS9_SC_S9_NS6_11hip_rocprim9__find_if7functorIS9_EEEE10hipError_tPvRmT1_T2_T3_mT4_P12ihipStream_tbEUlT_E1_NS1_11comp_targetILNS1_3genE2ELNS1_11target_archE906ELNS1_3gpuE6ELNS1_3repE0EEENS1_30default_config_static_selectorELNS0_4arch9wavefront6targetE1EEEvSK_
	.p2align	8
	.type	_ZN7rocprim17ROCPRIM_400000_NS6detail17trampoline_kernelINS0_14default_configENS1_22reduce_config_selectorIN6thrust23THRUST_200600_302600_NS5tupleIblNS6_9null_typeES8_S8_S8_S8_S8_S8_S8_EEEEZNS1_11reduce_implILb1ES3_PS9_SC_S9_NS6_11hip_rocprim9__find_if7functorIS9_EEEE10hipError_tPvRmT1_T2_T3_mT4_P12ihipStream_tbEUlT_E1_NS1_11comp_targetILNS1_3genE2ELNS1_11target_archE906ELNS1_3gpuE6ELNS1_3repE0EEENS1_30default_config_static_selectorELNS0_4arch9wavefront6targetE1EEEvSK_,@function
_ZN7rocprim17ROCPRIM_400000_NS6detail17trampoline_kernelINS0_14default_configENS1_22reduce_config_selectorIN6thrust23THRUST_200600_302600_NS5tupleIblNS6_9null_typeES8_S8_S8_S8_S8_S8_S8_EEEEZNS1_11reduce_implILb1ES3_PS9_SC_S9_NS6_11hip_rocprim9__find_if7functorIS9_EEEE10hipError_tPvRmT1_T2_T3_mT4_P12ihipStream_tbEUlT_E1_NS1_11comp_targetILNS1_3genE2ELNS1_11target_archE906ELNS1_3gpuE6ELNS1_3repE0EEENS1_30default_config_static_selectorELNS0_4arch9wavefront6targetE1EEEvSK_: ; @_ZN7rocprim17ROCPRIM_400000_NS6detail17trampoline_kernelINS0_14default_configENS1_22reduce_config_selectorIN6thrust23THRUST_200600_302600_NS5tupleIblNS6_9null_typeES8_S8_S8_S8_S8_S8_S8_EEEEZNS1_11reduce_implILb1ES3_PS9_SC_S9_NS6_11hip_rocprim9__find_if7functorIS9_EEEE10hipError_tPvRmT1_T2_T3_mT4_P12ihipStream_tbEUlT_E1_NS1_11comp_targetILNS1_3genE2ELNS1_11target_archE906ELNS1_3gpuE6ELNS1_3repE0EEENS1_30default_config_static_selectorELNS0_4arch9wavefront6targetE1EEEvSK_
; %bb.0:
	.section	.rodata,"a",@progbits
	.p2align	6, 0x0
	.amdhsa_kernel _ZN7rocprim17ROCPRIM_400000_NS6detail17trampoline_kernelINS0_14default_configENS1_22reduce_config_selectorIN6thrust23THRUST_200600_302600_NS5tupleIblNS6_9null_typeES8_S8_S8_S8_S8_S8_S8_EEEEZNS1_11reduce_implILb1ES3_PS9_SC_S9_NS6_11hip_rocprim9__find_if7functorIS9_EEEE10hipError_tPvRmT1_T2_T3_mT4_P12ihipStream_tbEUlT_E1_NS1_11comp_targetILNS1_3genE2ELNS1_11target_archE906ELNS1_3gpuE6ELNS1_3repE0EEENS1_30default_config_static_selectorELNS0_4arch9wavefront6targetE1EEEvSK_
		.amdhsa_group_segment_fixed_size 0
		.amdhsa_private_segment_fixed_size 0
		.amdhsa_kernarg_size 56
		.amdhsa_user_sgpr_count 2
		.amdhsa_user_sgpr_dispatch_ptr 0
		.amdhsa_user_sgpr_queue_ptr 0
		.amdhsa_user_sgpr_kernarg_segment_ptr 1
		.amdhsa_user_sgpr_dispatch_id 0
		.amdhsa_user_sgpr_kernarg_preload_length 0
		.amdhsa_user_sgpr_kernarg_preload_offset 0
		.amdhsa_user_sgpr_private_segment_size 0
		.amdhsa_uses_dynamic_stack 0
		.amdhsa_enable_private_segment 0
		.amdhsa_system_sgpr_workgroup_id_x 1
		.amdhsa_system_sgpr_workgroup_id_y 0
		.amdhsa_system_sgpr_workgroup_id_z 0
		.amdhsa_system_sgpr_workgroup_info 0
		.amdhsa_system_vgpr_workitem_id 0
		.amdhsa_next_free_vgpr 1
		.amdhsa_next_free_sgpr 0
		.amdhsa_accum_offset 4
		.amdhsa_reserve_vcc 0
		.amdhsa_float_round_mode_32 0
		.amdhsa_float_round_mode_16_64 0
		.amdhsa_float_denorm_mode_32 3
		.amdhsa_float_denorm_mode_16_64 3
		.amdhsa_dx10_clamp 1
		.amdhsa_ieee_mode 1
		.amdhsa_fp16_overflow 0
		.amdhsa_tg_split 0
		.amdhsa_exception_fp_ieee_invalid_op 0
		.amdhsa_exception_fp_denorm_src 0
		.amdhsa_exception_fp_ieee_div_zero 0
		.amdhsa_exception_fp_ieee_overflow 0
		.amdhsa_exception_fp_ieee_underflow 0
		.amdhsa_exception_fp_ieee_inexact 0
		.amdhsa_exception_int_div_zero 0
	.end_amdhsa_kernel
	.section	.text._ZN7rocprim17ROCPRIM_400000_NS6detail17trampoline_kernelINS0_14default_configENS1_22reduce_config_selectorIN6thrust23THRUST_200600_302600_NS5tupleIblNS6_9null_typeES8_S8_S8_S8_S8_S8_S8_EEEEZNS1_11reduce_implILb1ES3_PS9_SC_S9_NS6_11hip_rocprim9__find_if7functorIS9_EEEE10hipError_tPvRmT1_T2_T3_mT4_P12ihipStream_tbEUlT_E1_NS1_11comp_targetILNS1_3genE2ELNS1_11target_archE906ELNS1_3gpuE6ELNS1_3repE0EEENS1_30default_config_static_selectorELNS0_4arch9wavefront6targetE1EEEvSK_,"axG",@progbits,_ZN7rocprim17ROCPRIM_400000_NS6detail17trampoline_kernelINS0_14default_configENS1_22reduce_config_selectorIN6thrust23THRUST_200600_302600_NS5tupleIblNS6_9null_typeES8_S8_S8_S8_S8_S8_S8_EEEEZNS1_11reduce_implILb1ES3_PS9_SC_S9_NS6_11hip_rocprim9__find_if7functorIS9_EEEE10hipError_tPvRmT1_T2_T3_mT4_P12ihipStream_tbEUlT_E1_NS1_11comp_targetILNS1_3genE2ELNS1_11target_archE906ELNS1_3gpuE6ELNS1_3repE0EEENS1_30default_config_static_selectorELNS0_4arch9wavefront6targetE1EEEvSK_,comdat
.Lfunc_end176:
	.size	_ZN7rocprim17ROCPRIM_400000_NS6detail17trampoline_kernelINS0_14default_configENS1_22reduce_config_selectorIN6thrust23THRUST_200600_302600_NS5tupleIblNS6_9null_typeES8_S8_S8_S8_S8_S8_S8_EEEEZNS1_11reduce_implILb1ES3_PS9_SC_S9_NS6_11hip_rocprim9__find_if7functorIS9_EEEE10hipError_tPvRmT1_T2_T3_mT4_P12ihipStream_tbEUlT_E1_NS1_11comp_targetILNS1_3genE2ELNS1_11target_archE906ELNS1_3gpuE6ELNS1_3repE0EEENS1_30default_config_static_selectorELNS0_4arch9wavefront6targetE1EEEvSK_, .Lfunc_end176-_ZN7rocprim17ROCPRIM_400000_NS6detail17trampoline_kernelINS0_14default_configENS1_22reduce_config_selectorIN6thrust23THRUST_200600_302600_NS5tupleIblNS6_9null_typeES8_S8_S8_S8_S8_S8_S8_EEEEZNS1_11reduce_implILb1ES3_PS9_SC_S9_NS6_11hip_rocprim9__find_if7functorIS9_EEEE10hipError_tPvRmT1_T2_T3_mT4_P12ihipStream_tbEUlT_E1_NS1_11comp_targetILNS1_3genE2ELNS1_11target_archE906ELNS1_3gpuE6ELNS1_3repE0EEENS1_30default_config_static_selectorELNS0_4arch9wavefront6targetE1EEEvSK_
                                        ; -- End function
	.set _ZN7rocprim17ROCPRIM_400000_NS6detail17trampoline_kernelINS0_14default_configENS1_22reduce_config_selectorIN6thrust23THRUST_200600_302600_NS5tupleIblNS6_9null_typeES8_S8_S8_S8_S8_S8_S8_EEEEZNS1_11reduce_implILb1ES3_PS9_SC_S9_NS6_11hip_rocprim9__find_if7functorIS9_EEEE10hipError_tPvRmT1_T2_T3_mT4_P12ihipStream_tbEUlT_E1_NS1_11comp_targetILNS1_3genE2ELNS1_11target_archE906ELNS1_3gpuE6ELNS1_3repE0EEENS1_30default_config_static_selectorELNS0_4arch9wavefront6targetE1EEEvSK_.num_vgpr, 0
	.set _ZN7rocprim17ROCPRIM_400000_NS6detail17trampoline_kernelINS0_14default_configENS1_22reduce_config_selectorIN6thrust23THRUST_200600_302600_NS5tupleIblNS6_9null_typeES8_S8_S8_S8_S8_S8_S8_EEEEZNS1_11reduce_implILb1ES3_PS9_SC_S9_NS6_11hip_rocprim9__find_if7functorIS9_EEEE10hipError_tPvRmT1_T2_T3_mT4_P12ihipStream_tbEUlT_E1_NS1_11comp_targetILNS1_3genE2ELNS1_11target_archE906ELNS1_3gpuE6ELNS1_3repE0EEENS1_30default_config_static_selectorELNS0_4arch9wavefront6targetE1EEEvSK_.num_agpr, 0
	.set _ZN7rocprim17ROCPRIM_400000_NS6detail17trampoline_kernelINS0_14default_configENS1_22reduce_config_selectorIN6thrust23THRUST_200600_302600_NS5tupleIblNS6_9null_typeES8_S8_S8_S8_S8_S8_S8_EEEEZNS1_11reduce_implILb1ES3_PS9_SC_S9_NS6_11hip_rocprim9__find_if7functorIS9_EEEE10hipError_tPvRmT1_T2_T3_mT4_P12ihipStream_tbEUlT_E1_NS1_11comp_targetILNS1_3genE2ELNS1_11target_archE906ELNS1_3gpuE6ELNS1_3repE0EEENS1_30default_config_static_selectorELNS0_4arch9wavefront6targetE1EEEvSK_.numbered_sgpr, 0
	.set _ZN7rocprim17ROCPRIM_400000_NS6detail17trampoline_kernelINS0_14default_configENS1_22reduce_config_selectorIN6thrust23THRUST_200600_302600_NS5tupleIblNS6_9null_typeES8_S8_S8_S8_S8_S8_S8_EEEEZNS1_11reduce_implILb1ES3_PS9_SC_S9_NS6_11hip_rocprim9__find_if7functorIS9_EEEE10hipError_tPvRmT1_T2_T3_mT4_P12ihipStream_tbEUlT_E1_NS1_11comp_targetILNS1_3genE2ELNS1_11target_archE906ELNS1_3gpuE6ELNS1_3repE0EEENS1_30default_config_static_selectorELNS0_4arch9wavefront6targetE1EEEvSK_.num_named_barrier, 0
	.set _ZN7rocprim17ROCPRIM_400000_NS6detail17trampoline_kernelINS0_14default_configENS1_22reduce_config_selectorIN6thrust23THRUST_200600_302600_NS5tupleIblNS6_9null_typeES8_S8_S8_S8_S8_S8_S8_EEEEZNS1_11reduce_implILb1ES3_PS9_SC_S9_NS6_11hip_rocprim9__find_if7functorIS9_EEEE10hipError_tPvRmT1_T2_T3_mT4_P12ihipStream_tbEUlT_E1_NS1_11comp_targetILNS1_3genE2ELNS1_11target_archE906ELNS1_3gpuE6ELNS1_3repE0EEENS1_30default_config_static_selectorELNS0_4arch9wavefront6targetE1EEEvSK_.private_seg_size, 0
	.set _ZN7rocprim17ROCPRIM_400000_NS6detail17trampoline_kernelINS0_14default_configENS1_22reduce_config_selectorIN6thrust23THRUST_200600_302600_NS5tupleIblNS6_9null_typeES8_S8_S8_S8_S8_S8_S8_EEEEZNS1_11reduce_implILb1ES3_PS9_SC_S9_NS6_11hip_rocprim9__find_if7functorIS9_EEEE10hipError_tPvRmT1_T2_T3_mT4_P12ihipStream_tbEUlT_E1_NS1_11comp_targetILNS1_3genE2ELNS1_11target_archE906ELNS1_3gpuE6ELNS1_3repE0EEENS1_30default_config_static_selectorELNS0_4arch9wavefront6targetE1EEEvSK_.uses_vcc, 0
	.set _ZN7rocprim17ROCPRIM_400000_NS6detail17trampoline_kernelINS0_14default_configENS1_22reduce_config_selectorIN6thrust23THRUST_200600_302600_NS5tupleIblNS6_9null_typeES8_S8_S8_S8_S8_S8_S8_EEEEZNS1_11reduce_implILb1ES3_PS9_SC_S9_NS6_11hip_rocprim9__find_if7functorIS9_EEEE10hipError_tPvRmT1_T2_T3_mT4_P12ihipStream_tbEUlT_E1_NS1_11comp_targetILNS1_3genE2ELNS1_11target_archE906ELNS1_3gpuE6ELNS1_3repE0EEENS1_30default_config_static_selectorELNS0_4arch9wavefront6targetE1EEEvSK_.uses_flat_scratch, 0
	.set _ZN7rocprim17ROCPRIM_400000_NS6detail17trampoline_kernelINS0_14default_configENS1_22reduce_config_selectorIN6thrust23THRUST_200600_302600_NS5tupleIblNS6_9null_typeES8_S8_S8_S8_S8_S8_S8_EEEEZNS1_11reduce_implILb1ES3_PS9_SC_S9_NS6_11hip_rocprim9__find_if7functorIS9_EEEE10hipError_tPvRmT1_T2_T3_mT4_P12ihipStream_tbEUlT_E1_NS1_11comp_targetILNS1_3genE2ELNS1_11target_archE906ELNS1_3gpuE6ELNS1_3repE0EEENS1_30default_config_static_selectorELNS0_4arch9wavefront6targetE1EEEvSK_.has_dyn_sized_stack, 0
	.set _ZN7rocprim17ROCPRIM_400000_NS6detail17trampoline_kernelINS0_14default_configENS1_22reduce_config_selectorIN6thrust23THRUST_200600_302600_NS5tupleIblNS6_9null_typeES8_S8_S8_S8_S8_S8_S8_EEEEZNS1_11reduce_implILb1ES3_PS9_SC_S9_NS6_11hip_rocprim9__find_if7functorIS9_EEEE10hipError_tPvRmT1_T2_T3_mT4_P12ihipStream_tbEUlT_E1_NS1_11comp_targetILNS1_3genE2ELNS1_11target_archE906ELNS1_3gpuE6ELNS1_3repE0EEENS1_30default_config_static_selectorELNS0_4arch9wavefront6targetE1EEEvSK_.has_recursion, 0
	.set _ZN7rocprim17ROCPRIM_400000_NS6detail17trampoline_kernelINS0_14default_configENS1_22reduce_config_selectorIN6thrust23THRUST_200600_302600_NS5tupleIblNS6_9null_typeES8_S8_S8_S8_S8_S8_S8_EEEEZNS1_11reduce_implILb1ES3_PS9_SC_S9_NS6_11hip_rocprim9__find_if7functorIS9_EEEE10hipError_tPvRmT1_T2_T3_mT4_P12ihipStream_tbEUlT_E1_NS1_11comp_targetILNS1_3genE2ELNS1_11target_archE906ELNS1_3gpuE6ELNS1_3repE0EEENS1_30default_config_static_selectorELNS0_4arch9wavefront6targetE1EEEvSK_.has_indirect_call, 0
	.section	.AMDGPU.csdata,"",@progbits
; Kernel info:
; codeLenInByte = 0
; TotalNumSgprs: 6
; NumVgprs: 0
; NumAgprs: 0
; TotalNumVgprs: 0
; ScratchSize: 0
; MemoryBound: 0
; FloatMode: 240
; IeeeMode: 1
; LDSByteSize: 0 bytes/workgroup (compile time only)
; SGPRBlocks: 0
; VGPRBlocks: 0
; NumSGPRsForWavesPerEU: 6
; NumVGPRsForWavesPerEU: 1
; AccumOffset: 4
; Occupancy: 8
; WaveLimiterHint : 0
; COMPUTE_PGM_RSRC2:SCRATCH_EN: 0
; COMPUTE_PGM_RSRC2:USER_SGPR: 2
; COMPUTE_PGM_RSRC2:TRAP_HANDLER: 0
; COMPUTE_PGM_RSRC2:TGID_X_EN: 1
; COMPUTE_PGM_RSRC2:TGID_Y_EN: 0
; COMPUTE_PGM_RSRC2:TGID_Z_EN: 0
; COMPUTE_PGM_RSRC2:TIDIG_COMP_CNT: 0
; COMPUTE_PGM_RSRC3_GFX90A:ACCUM_OFFSET: 0
; COMPUTE_PGM_RSRC3_GFX90A:TG_SPLIT: 0
	.section	.text._ZN7rocprim17ROCPRIM_400000_NS6detail17trampoline_kernelINS0_14default_configENS1_22reduce_config_selectorIN6thrust23THRUST_200600_302600_NS5tupleIblNS6_9null_typeES8_S8_S8_S8_S8_S8_S8_EEEEZNS1_11reduce_implILb1ES3_PS9_SC_S9_NS6_11hip_rocprim9__find_if7functorIS9_EEEE10hipError_tPvRmT1_T2_T3_mT4_P12ihipStream_tbEUlT_E1_NS1_11comp_targetILNS1_3genE10ELNS1_11target_archE1201ELNS1_3gpuE5ELNS1_3repE0EEENS1_30default_config_static_selectorELNS0_4arch9wavefront6targetE1EEEvSK_,"axG",@progbits,_ZN7rocprim17ROCPRIM_400000_NS6detail17trampoline_kernelINS0_14default_configENS1_22reduce_config_selectorIN6thrust23THRUST_200600_302600_NS5tupleIblNS6_9null_typeES8_S8_S8_S8_S8_S8_S8_EEEEZNS1_11reduce_implILb1ES3_PS9_SC_S9_NS6_11hip_rocprim9__find_if7functorIS9_EEEE10hipError_tPvRmT1_T2_T3_mT4_P12ihipStream_tbEUlT_E1_NS1_11comp_targetILNS1_3genE10ELNS1_11target_archE1201ELNS1_3gpuE5ELNS1_3repE0EEENS1_30default_config_static_selectorELNS0_4arch9wavefront6targetE1EEEvSK_,comdat
	.protected	_ZN7rocprim17ROCPRIM_400000_NS6detail17trampoline_kernelINS0_14default_configENS1_22reduce_config_selectorIN6thrust23THRUST_200600_302600_NS5tupleIblNS6_9null_typeES8_S8_S8_S8_S8_S8_S8_EEEEZNS1_11reduce_implILb1ES3_PS9_SC_S9_NS6_11hip_rocprim9__find_if7functorIS9_EEEE10hipError_tPvRmT1_T2_T3_mT4_P12ihipStream_tbEUlT_E1_NS1_11comp_targetILNS1_3genE10ELNS1_11target_archE1201ELNS1_3gpuE5ELNS1_3repE0EEENS1_30default_config_static_selectorELNS0_4arch9wavefront6targetE1EEEvSK_ ; -- Begin function _ZN7rocprim17ROCPRIM_400000_NS6detail17trampoline_kernelINS0_14default_configENS1_22reduce_config_selectorIN6thrust23THRUST_200600_302600_NS5tupleIblNS6_9null_typeES8_S8_S8_S8_S8_S8_S8_EEEEZNS1_11reduce_implILb1ES3_PS9_SC_S9_NS6_11hip_rocprim9__find_if7functorIS9_EEEE10hipError_tPvRmT1_T2_T3_mT4_P12ihipStream_tbEUlT_E1_NS1_11comp_targetILNS1_3genE10ELNS1_11target_archE1201ELNS1_3gpuE5ELNS1_3repE0EEENS1_30default_config_static_selectorELNS0_4arch9wavefront6targetE1EEEvSK_
	.globl	_ZN7rocprim17ROCPRIM_400000_NS6detail17trampoline_kernelINS0_14default_configENS1_22reduce_config_selectorIN6thrust23THRUST_200600_302600_NS5tupleIblNS6_9null_typeES8_S8_S8_S8_S8_S8_S8_EEEEZNS1_11reduce_implILb1ES3_PS9_SC_S9_NS6_11hip_rocprim9__find_if7functorIS9_EEEE10hipError_tPvRmT1_T2_T3_mT4_P12ihipStream_tbEUlT_E1_NS1_11comp_targetILNS1_3genE10ELNS1_11target_archE1201ELNS1_3gpuE5ELNS1_3repE0EEENS1_30default_config_static_selectorELNS0_4arch9wavefront6targetE1EEEvSK_
	.p2align	8
	.type	_ZN7rocprim17ROCPRIM_400000_NS6detail17trampoline_kernelINS0_14default_configENS1_22reduce_config_selectorIN6thrust23THRUST_200600_302600_NS5tupleIblNS6_9null_typeES8_S8_S8_S8_S8_S8_S8_EEEEZNS1_11reduce_implILb1ES3_PS9_SC_S9_NS6_11hip_rocprim9__find_if7functorIS9_EEEE10hipError_tPvRmT1_T2_T3_mT4_P12ihipStream_tbEUlT_E1_NS1_11comp_targetILNS1_3genE10ELNS1_11target_archE1201ELNS1_3gpuE5ELNS1_3repE0EEENS1_30default_config_static_selectorELNS0_4arch9wavefront6targetE1EEEvSK_,@function
_ZN7rocprim17ROCPRIM_400000_NS6detail17trampoline_kernelINS0_14default_configENS1_22reduce_config_selectorIN6thrust23THRUST_200600_302600_NS5tupleIblNS6_9null_typeES8_S8_S8_S8_S8_S8_S8_EEEEZNS1_11reduce_implILb1ES3_PS9_SC_S9_NS6_11hip_rocprim9__find_if7functorIS9_EEEE10hipError_tPvRmT1_T2_T3_mT4_P12ihipStream_tbEUlT_E1_NS1_11comp_targetILNS1_3genE10ELNS1_11target_archE1201ELNS1_3gpuE5ELNS1_3repE0EEENS1_30default_config_static_selectorELNS0_4arch9wavefront6targetE1EEEvSK_: ; @_ZN7rocprim17ROCPRIM_400000_NS6detail17trampoline_kernelINS0_14default_configENS1_22reduce_config_selectorIN6thrust23THRUST_200600_302600_NS5tupleIblNS6_9null_typeES8_S8_S8_S8_S8_S8_S8_EEEEZNS1_11reduce_implILb1ES3_PS9_SC_S9_NS6_11hip_rocprim9__find_if7functorIS9_EEEE10hipError_tPvRmT1_T2_T3_mT4_P12ihipStream_tbEUlT_E1_NS1_11comp_targetILNS1_3genE10ELNS1_11target_archE1201ELNS1_3gpuE5ELNS1_3repE0EEENS1_30default_config_static_selectorELNS0_4arch9wavefront6targetE1EEEvSK_
; %bb.0:
	.section	.rodata,"a",@progbits
	.p2align	6, 0x0
	.amdhsa_kernel _ZN7rocprim17ROCPRIM_400000_NS6detail17trampoline_kernelINS0_14default_configENS1_22reduce_config_selectorIN6thrust23THRUST_200600_302600_NS5tupleIblNS6_9null_typeES8_S8_S8_S8_S8_S8_S8_EEEEZNS1_11reduce_implILb1ES3_PS9_SC_S9_NS6_11hip_rocprim9__find_if7functorIS9_EEEE10hipError_tPvRmT1_T2_T3_mT4_P12ihipStream_tbEUlT_E1_NS1_11comp_targetILNS1_3genE10ELNS1_11target_archE1201ELNS1_3gpuE5ELNS1_3repE0EEENS1_30default_config_static_selectorELNS0_4arch9wavefront6targetE1EEEvSK_
		.amdhsa_group_segment_fixed_size 0
		.amdhsa_private_segment_fixed_size 0
		.amdhsa_kernarg_size 56
		.amdhsa_user_sgpr_count 2
		.amdhsa_user_sgpr_dispatch_ptr 0
		.amdhsa_user_sgpr_queue_ptr 0
		.amdhsa_user_sgpr_kernarg_segment_ptr 1
		.amdhsa_user_sgpr_dispatch_id 0
		.amdhsa_user_sgpr_kernarg_preload_length 0
		.amdhsa_user_sgpr_kernarg_preload_offset 0
		.amdhsa_user_sgpr_private_segment_size 0
		.amdhsa_uses_dynamic_stack 0
		.amdhsa_enable_private_segment 0
		.amdhsa_system_sgpr_workgroup_id_x 1
		.amdhsa_system_sgpr_workgroup_id_y 0
		.amdhsa_system_sgpr_workgroup_id_z 0
		.amdhsa_system_sgpr_workgroup_info 0
		.amdhsa_system_vgpr_workitem_id 0
		.amdhsa_next_free_vgpr 1
		.amdhsa_next_free_sgpr 0
		.amdhsa_accum_offset 4
		.amdhsa_reserve_vcc 0
		.amdhsa_float_round_mode_32 0
		.amdhsa_float_round_mode_16_64 0
		.amdhsa_float_denorm_mode_32 3
		.amdhsa_float_denorm_mode_16_64 3
		.amdhsa_dx10_clamp 1
		.amdhsa_ieee_mode 1
		.amdhsa_fp16_overflow 0
		.amdhsa_tg_split 0
		.amdhsa_exception_fp_ieee_invalid_op 0
		.amdhsa_exception_fp_denorm_src 0
		.amdhsa_exception_fp_ieee_div_zero 0
		.amdhsa_exception_fp_ieee_overflow 0
		.amdhsa_exception_fp_ieee_underflow 0
		.amdhsa_exception_fp_ieee_inexact 0
		.amdhsa_exception_int_div_zero 0
	.end_amdhsa_kernel
	.section	.text._ZN7rocprim17ROCPRIM_400000_NS6detail17trampoline_kernelINS0_14default_configENS1_22reduce_config_selectorIN6thrust23THRUST_200600_302600_NS5tupleIblNS6_9null_typeES8_S8_S8_S8_S8_S8_S8_EEEEZNS1_11reduce_implILb1ES3_PS9_SC_S9_NS6_11hip_rocprim9__find_if7functorIS9_EEEE10hipError_tPvRmT1_T2_T3_mT4_P12ihipStream_tbEUlT_E1_NS1_11comp_targetILNS1_3genE10ELNS1_11target_archE1201ELNS1_3gpuE5ELNS1_3repE0EEENS1_30default_config_static_selectorELNS0_4arch9wavefront6targetE1EEEvSK_,"axG",@progbits,_ZN7rocprim17ROCPRIM_400000_NS6detail17trampoline_kernelINS0_14default_configENS1_22reduce_config_selectorIN6thrust23THRUST_200600_302600_NS5tupleIblNS6_9null_typeES8_S8_S8_S8_S8_S8_S8_EEEEZNS1_11reduce_implILb1ES3_PS9_SC_S9_NS6_11hip_rocprim9__find_if7functorIS9_EEEE10hipError_tPvRmT1_T2_T3_mT4_P12ihipStream_tbEUlT_E1_NS1_11comp_targetILNS1_3genE10ELNS1_11target_archE1201ELNS1_3gpuE5ELNS1_3repE0EEENS1_30default_config_static_selectorELNS0_4arch9wavefront6targetE1EEEvSK_,comdat
.Lfunc_end177:
	.size	_ZN7rocprim17ROCPRIM_400000_NS6detail17trampoline_kernelINS0_14default_configENS1_22reduce_config_selectorIN6thrust23THRUST_200600_302600_NS5tupleIblNS6_9null_typeES8_S8_S8_S8_S8_S8_S8_EEEEZNS1_11reduce_implILb1ES3_PS9_SC_S9_NS6_11hip_rocprim9__find_if7functorIS9_EEEE10hipError_tPvRmT1_T2_T3_mT4_P12ihipStream_tbEUlT_E1_NS1_11comp_targetILNS1_3genE10ELNS1_11target_archE1201ELNS1_3gpuE5ELNS1_3repE0EEENS1_30default_config_static_selectorELNS0_4arch9wavefront6targetE1EEEvSK_, .Lfunc_end177-_ZN7rocprim17ROCPRIM_400000_NS6detail17trampoline_kernelINS0_14default_configENS1_22reduce_config_selectorIN6thrust23THRUST_200600_302600_NS5tupleIblNS6_9null_typeES8_S8_S8_S8_S8_S8_S8_EEEEZNS1_11reduce_implILb1ES3_PS9_SC_S9_NS6_11hip_rocprim9__find_if7functorIS9_EEEE10hipError_tPvRmT1_T2_T3_mT4_P12ihipStream_tbEUlT_E1_NS1_11comp_targetILNS1_3genE10ELNS1_11target_archE1201ELNS1_3gpuE5ELNS1_3repE0EEENS1_30default_config_static_selectorELNS0_4arch9wavefront6targetE1EEEvSK_
                                        ; -- End function
	.set _ZN7rocprim17ROCPRIM_400000_NS6detail17trampoline_kernelINS0_14default_configENS1_22reduce_config_selectorIN6thrust23THRUST_200600_302600_NS5tupleIblNS6_9null_typeES8_S8_S8_S8_S8_S8_S8_EEEEZNS1_11reduce_implILb1ES3_PS9_SC_S9_NS6_11hip_rocprim9__find_if7functorIS9_EEEE10hipError_tPvRmT1_T2_T3_mT4_P12ihipStream_tbEUlT_E1_NS1_11comp_targetILNS1_3genE10ELNS1_11target_archE1201ELNS1_3gpuE5ELNS1_3repE0EEENS1_30default_config_static_selectorELNS0_4arch9wavefront6targetE1EEEvSK_.num_vgpr, 0
	.set _ZN7rocprim17ROCPRIM_400000_NS6detail17trampoline_kernelINS0_14default_configENS1_22reduce_config_selectorIN6thrust23THRUST_200600_302600_NS5tupleIblNS6_9null_typeES8_S8_S8_S8_S8_S8_S8_EEEEZNS1_11reduce_implILb1ES3_PS9_SC_S9_NS6_11hip_rocprim9__find_if7functorIS9_EEEE10hipError_tPvRmT1_T2_T3_mT4_P12ihipStream_tbEUlT_E1_NS1_11comp_targetILNS1_3genE10ELNS1_11target_archE1201ELNS1_3gpuE5ELNS1_3repE0EEENS1_30default_config_static_selectorELNS0_4arch9wavefront6targetE1EEEvSK_.num_agpr, 0
	.set _ZN7rocprim17ROCPRIM_400000_NS6detail17trampoline_kernelINS0_14default_configENS1_22reduce_config_selectorIN6thrust23THRUST_200600_302600_NS5tupleIblNS6_9null_typeES8_S8_S8_S8_S8_S8_S8_EEEEZNS1_11reduce_implILb1ES3_PS9_SC_S9_NS6_11hip_rocprim9__find_if7functorIS9_EEEE10hipError_tPvRmT1_T2_T3_mT4_P12ihipStream_tbEUlT_E1_NS1_11comp_targetILNS1_3genE10ELNS1_11target_archE1201ELNS1_3gpuE5ELNS1_3repE0EEENS1_30default_config_static_selectorELNS0_4arch9wavefront6targetE1EEEvSK_.numbered_sgpr, 0
	.set _ZN7rocprim17ROCPRIM_400000_NS6detail17trampoline_kernelINS0_14default_configENS1_22reduce_config_selectorIN6thrust23THRUST_200600_302600_NS5tupleIblNS6_9null_typeES8_S8_S8_S8_S8_S8_S8_EEEEZNS1_11reduce_implILb1ES3_PS9_SC_S9_NS6_11hip_rocprim9__find_if7functorIS9_EEEE10hipError_tPvRmT1_T2_T3_mT4_P12ihipStream_tbEUlT_E1_NS1_11comp_targetILNS1_3genE10ELNS1_11target_archE1201ELNS1_3gpuE5ELNS1_3repE0EEENS1_30default_config_static_selectorELNS0_4arch9wavefront6targetE1EEEvSK_.num_named_barrier, 0
	.set _ZN7rocprim17ROCPRIM_400000_NS6detail17trampoline_kernelINS0_14default_configENS1_22reduce_config_selectorIN6thrust23THRUST_200600_302600_NS5tupleIblNS6_9null_typeES8_S8_S8_S8_S8_S8_S8_EEEEZNS1_11reduce_implILb1ES3_PS9_SC_S9_NS6_11hip_rocprim9__find_if7functorIS9_EEEE10hipError_tPvRmT1_T2_T3_mT4_P12ihipStream_tbEUlT_E1_NS1_11comp_targetILNS1_3genE10ELNS1_11target_archE1201ELNS1_3gpuE5ELNS1_3repE0EEENS1_30default_config_static_selectorELNS0_4arch9wavefront6targetE1EEEvSK_.private_seg_size, 0
	.set _ZN7rocprim17ROCPRIM_400000_NS6detail17trampoline_kernelINS0_14default_configENS1_22reduce_config_selectorIN6thrust23THRUST_200600_302600_NS5tupleIblNS6_9null_typeES8_S8_S8_S8_S8_S8_S8_EEEEZNS1_11reduce_implILb1ES3_PS9_SC_S9_NS6_11hip_rocprim9__find_if7functorIS9_EEEE10hipError_tPvRmT1_T2_T3_mT4_P12ihipStream_tbEUlT_E1_NS1_11comp_targetILNS1_3genE10ELNS1_11target_archE1201ELNS1_3gpuE5ELNS1_3repE0EEENS1_30default_config_static_selectorELNS0_4arch9wavefront6targetE1EEEvSK_.uses_vcc, 0
	.set _ZN7rocprim17ROCPRIM_400000_NS6detail17trampoline_kernelINS0_14default_configENS1_22reduce_config_selectorIN6thrust23THRUST_200600_302600_NS5tupleIblNS6_9null_typeES8_S8_S8_S8_S8_S8_S8_EEEEZNS1_11reduce_implILb1ES3_PS9_SC_S9_NS6_11hip_rocprim9__find_if7functorIS9_EEEE10hipError_tPvRmT1_T2_T3_mT4_P12ihipStream_tbEUlT_E1_NS1_11comp_targetILNS1_3genE10ELNS1_11target_archE1201ELNS1_3gpuE5ELNS1_3repE0EEENS1_30default_config_static_selectorELNS0_4arch9wavefront6targetE1EEEvSK_.uses_flat_scratch, 0
	.set _ZN7rocprim17ROCPRIM_400000_NS6detail17trampoline_kernelINS0_14default_configENS1_22reduce_config_selectorIN6thrust23THRUST_200600_302600_NS5tupleIblNS6_9null_typeES8_S8_S8_S8_S8_S8_S8_EEEEZNS1_11reduce_implILb1ES3_PS9_SC_S9_NS6_11hip_rocprim9__find_if7functorIS9_EEEE10hipError_tPvRmT1_T2_T3_mT4_P12ihipStream_tbEUlT_E1_NS1_11comp_targetILNS1_3genE10ELNS1_11target_archE1201ELNS1_3gpuE5ELNS1_3repE0EEENS1_30default_config_static_selectorELNS0_4arch9wavefront6targetE1EEEvSK_.has_dyn_sized_stack, 0
	.set _ZN7rocprim17ROCPRIM_400000_NS6detail17trampoline_kernelINS0_14default_configENS1_22reduce_config_selectorIN6thrust23THRUST_200600_302600_NS5tupleIblNS6_9null_typeES8_S8_S8_S8_S8_S8_S8_EEEEZNS1_11reduce_implILb1ES3_PS9_SC_S9_NS6_11hip_rocprim9__find_if7functorIS9_EEEE10hipError_tPvRmT1_T2_T3_mT4_P12ihipStream_tbEUlT_E1_NS1_11comp_targetILNS1_3genE10ELNS1_11target_archE1201ELNS1_3gpuE5ELNS1_3repE0EEENS1_30default_config_static_selectorELNS0_4arch9wavefront6targetE1EEEvSK_.has_recursion, 0
	.set _ZN7rocprim17ROCPRIM_400000_NS6detail17trampoline_kernelINS0_14default_configENS1_22reduce_config_selectorIN6thrust23THRUST_200600_302600_NS5tupleIblNS6_9null_typeES8_S8_S8_S8_S8_S8_S8_EEEEZNS1_11reduce_implILb1ES3_PS9_SC_S9_NS6_11hip_rocprim9__find_if7functorIS9_EEEE10hipError_tPvRmT1_T2_T3_mT4_P12ihipStream_tbEUlT_E1_NS1_11comp_targetILNS1_3genE10ELNS1_11target_archE1201ELNS1_3gpuE5ELNS1_3repE0EEENS1_30default_config_static_selectorELNS0_4arch9wavefront6targetE1EEEvSK_.has_indirect_call, 0
	.section	.AMDGPU.csdata,"",@progbits
; Kernel info:
; codeLenInByte = 0
; TotalNumSgprs: 6
; NumVgprs: 0
; NumAgprs: 0
; TotalNumVgprs: 0
; ScratchSize: 0
; MemoryBound: 0
; FloatMode: 240
; IeeeMode: 1
; LDSByteSize: 0 bytes/workgroup (compile time only)
; SGPRBlocks: 0
; VGPRBlocks: 0
; NumSGPRsForWavesPerEU: 6
; NumVGPRsForWavesPerEU: 1
; AccumOffset: 4
; Occupancy: 8
; WaveLimiterHint : 0
; COMPUTE_PGM_RSRC2:SCRATCH_EN: 0
; COMPUTE_PGM_RSRC2:USER_SGPR: 2
; COMPUTE_PGM_RSRC2:TRAP_HANDLER: 0
; COMPUTE_PGM_RSRC2:TGID_X_EN: 1
; COMPUTE_PGM_RSRC2:TGID_Y_EN: 0
; COMPUTE_PGM_RSRC2:TGID_Z_EN: 0
; COMPUTE_PGM_RSRC2:TIDIG_COMP_CNT: 0
; COMPUTE_PGM_RSRC3_GFX90A:ACCUM_OFFSET: 0
; COMPUTE_PGM_RSRC3_GFX90A:TG_SPLIT: 0
	.section	.text._ZN7rocprim17ROCPRIM_400000_NS6detail17trampoline_kernelINS0_14default_configENS1_22reduce_config_selectorIN6thrust23THRUST_200600_302600_NS5tupleIblNS6_9null_typeES8_S8_S8_S8_S8_S8_S8_EEEEZNS1_11reduce_implILb1ES3_PS9_SC_S9_NS6_11hip_rocprim9__find_if7functorIS9_EEEE10hipError_tPvRmT1_T2_T3_mT4_P12ihipStream_tbEUlT_E1_NS1_11comp_targetILNS1_3genE10ELNS1_11target_archE1200ELNS1_3gpuE4ELNS1_3repE0EEENS1_30default_config_static_selectorELNS0_4arch9wavefront6targetE1EEEvSK_,"axG",@progbits,_ZN7rocprim17ROCPRIM_400000_NS6detail17trampoline_kernelINS0_14default_configENS1_22reduce_config_selectorIN6thrust23THRUST_200600_302600_NS5tupleIblNS6_9null_typeES8_S8_S8_S8_S8_S8_S8_EEEEZNS1_11reduce_implILb1ES3_PS9_SC_S9_NS6_11hip_rocprim9__find_if7functorIS9_EEEE10hipError_tPvRmT1_T2_T3_mT4_P12ihipStream_tbEUlT_E1_NS1_11comp_targetILNS1_3genE10ELNS1_11target_archE1200ELNS1_3gpuE4ELNS1_3repE0EEENS1_30default_config_static_selectorELNS0_4arch9wavefront6targetE1EEEvSK_,comdat
	.protected	_ZN7rocprim17ROCPRIM_400000_NS6detail17trampoline_kernelINS0_14default_configENS1_22reduce_config_selectorIN6thrust23THRUST_200600_302600_NS5tupleIblNS6_9null_typeES8_S8_S8_S8_S8_S8_S8_EEEEZNS1_11reduce_implILb1ES3_PS9_SC_S9_NS6_11hip_rocprim9__find_if7functorIS9_EEEE10hipError_tPvRmT1_T2_T3_mT4_P12ihipStream_tbEUlT_E1_NS1_11comp_targetILNS1_3genE10ELNS1_11target_archE1200ELNS1_3gpuE4ELNS1_3repE0EEENS1_30default_config_static_selectorELNS0_4arch9wavefront6targetE1EEEvSK_ ; -- Begin function _ZN7rocprim17ROCPRIM_400000_NS6detail17trampoline_kernelINS0_14default_configENS1_22reduce_config_selectorIN6thrust23THRUST_200600_302600_NS5tupleIblNS6_9null_typeES8_S8_S8_S8_S8_S8_S8_EEEEZNS1_11reduce_implILb1ES3_PS9_SC_S9_NS6_11hip_rocprim9__find_if7functorIS9_EEEE10hipError_tPvRmT1_T2_T3_mT4_P12ihipStream_tbEUlT_E1_NS1_11comp_targetILNS1_3genE10ELNS1_11target_archE1200ELNS1_3gpuE4ELNS1_3repE0EEENS1_30default_config_static_selectorELNS0_4arch9wavefront6targetE1EEEvSK_
	.globl	_ZN7rocprim17ROCPRIM_400000_NS6detail17trampoline_kernelINS0_14default_configENS1_22reduce_config_selectorIN6thrust23THRUST_200600_302600_NS5tupleIblNS6_9null_typeES8_S8_S8_S8_S8_S8_S8_EEEEZNS1_11reduce_implILb1ES3_PS9_SC_S9_NS6_11hip_rocprim9__find_if7functorIS9_EEEE10hipError_tPvRmT1_T2_T3_mT4_P12ihipStream_tbEUlT_E1_NS1_11comp_targetILNS1_3genE10ELNS1_11target_archE1200ELNS1_3gpuE4ELNS1_3repE0EEENS1_30default_config_static_selectorELNS0_4arch9wavefront6targetE1EEEvSK_
	.p2align	8
	.type	_ZN7rocprim17ROCPRIM_400000_NS6detail17trampoline_kernelINS0_14default_configENS1_22reduce_config_selectorIN6thrust23THRUST_200600_302600_NS5tupleIblNS6_9null_typeES8_S8_S8_S8_S8_S8_S8_EEEEZNS1_11reduce_implILb1ES3_PS9_SC_S9_NS6_11hip_rocprim9__find_if7functorIS9_EEEE10hipError_tPvRmT1_T2_T3_mT4_P12ihipStream_tbEUlT_E1_NS1_11comp_targetILNS1_3genE10ELNS1_11target_archE1200ELNS1_3gpuE4ELNS1_3repE0EEENS1_30default_config_static_selectorELNS0_4arch9wavefront6targetE1EEEvSK_,@function
_ZN7rocprim17ROCPRIM_400000_NS6detail17trampoline_kernelINS0_14default_configENS1_22reduce_config_selectorIN6thrust23THRUST_200600_302600_NS5tupleIblNS6_9null_typeES8_S8_S8_S8_S8_S8_S8_EEEEZNS1_11reduce_implILb1ES3_PS9_SC_S9_NS6_11hip_rocprim9__find_if7functorIS9_EEEE10hipError_tPvRmT1_T2_T3_mT4_P12ihipStream_tbEUlT_E1_NS1_11comp_targetILNS1_3genE10ELNS1_11target_archE1200ELNS1_3gpuE4ELNS1_3repE0EEENS1_30default_config_static_selectorELNS0_4arch9wavefront6targetE1EEEvSK_: ; @_ZN7rocprim17ROCPRIM_400000_NS6detail17trampoline_kernelINS0_14default_configENS1_22reduce_config_selectorIN6thrust23THRUST_200600_302600_NS5tupleIblNS6_9null_typeES8_S8_S8_S8_S8_S8_S8_EEEEZNS1_11reduce_implILb1ES3_PS9_SC_S9_NS6_11hip_rocprim9__find_if7functorIS9_EEEE10hipError_tPvRmT1_T2_T3_mT4_P12ihipStream_tbEUlT_E1_NS1_11comp_targetILNS1_3genE10ELNS1_11target_archE1200ELNS1_3gpuE4ELNS1_3repE0EEENS1_30default_config_static_selectorELNS0_4arch9wavefront6targetE1EEEvSK_
; %bb.0:
	.section	.rodata,"a",@progbits
	.p2align	6, 0x0
	.amdhsa_kernel _ZN7rocprim17ROCPRIM_400000_NS6detail17trampoline_kernelINS0_14default_configENS1_22reduce_config_selectorIN6thrust23THRUST_200600_302600_NS5tupleIblNS6_9null_typeES8_S8_S8_S8_S8_S8_S8_EEEEZNS1_11reduce_implILb1ES3_PS9_SC_S9_NS6_11hip_rocprim9__find_if7functorIS9_EEEE10hipError_tPvRmT1_T2_T3_mT4_P12ihipStream_tbEUlT_E1_NS1_11comp_targetILNS1_3genE10ELNS1_11target_archE1200ELNS1_3gpuE4ELNS1_3repE0EEENS1_30default_config_static_selectorELNS0_4arch9wavefront6targetE1EEEvSK_
		.amdhsa_group_segment_fixed_size 0
		.amdhsa_private_segment_fixed_size 0
		.amdhsa_kernarg_size 56
		.amdhsa_user_sgpr_count 2
		.amdhsa_user_sgpr_dispatch_ptr 0
		.amdhsa_user_sgpr_queue_ptr 0
		.amdhsa_user_sgpr_kernarg_segment_ptr 1
		.amdhsa_user_sgpr_dispatch_id 0
		.amdhsa_user_sgpr_kernarg_preload_length 0
		.amdhsa_user_sgpr_kernarg_preload_offset 0
		.amdhsa_user_sgpr_private_segment_size 0
		.amdhsa_uses_dynamic_stack 0
		.amdhsa_enable_private_segment 0
		.amdhsa_system_sgpr_workgroup_id_x 1
		.amdhsa_system_sgpr_workgroup_id_y 0
		.amdhsa_system_sgpr_workgroup_id_z 0
		.amdhsa_system_sgpr_workgroup_info 0
		.amdhsa_system_vgpr_workitem_id 0
		.amdhsa_next_free_vgpr 1
		.amdhsa_next_free_sgpr 0
		.amdhsa_accum_offset 4
		.amdhsa_reserve_vcc 0
		.amdhsa_float_round_mode_32 0
		.amdhsa_float_round_mode_16_64 0
		.amdhsa_float_denorm_mode_32 3
		.amdhsa_float_denorm_mode_16_64 3
		.amdhsa_dx10_clamp 1
		.amdhsa_ieee_mode 1
		.amdhsa_fp16_overflow 0
		.amdhsa_tg_split 0
		.amdhsa_exception_fp_ieee_invalid_op 0
		.amdhsa_exception_fp_denorm_src 0
		.amdhsa_exception_fp_ieee_div_zero 0
		.amdhsa_exception_fp_ieee_overflow 0
		.amdhsa_exception_fp_ieee_underflow 0
		.amdhsa_exception_fp_ieee_inexact 0
		.amdhsa_exception_int_div_zero 0
	.end_amdhsa_kernel
	.section	.text._ZN7rocprim17ROCPRIM_400000_NS6detail17trampoline_kernelINS0_14default_configENS1_22reduce_config_selectorIN6thrust23THRUST_200600_302600_NS5tupleIblNS6_9null_typeES8_S8_S8_S8_S8_S8_S8_EEEEZNS1_11reduce_implILb1ES3_PS9_SC_S9_NS6_11hip_rocprim9__find_if7functorIS9_EEEE10hipError_tPvRmT1_T2_T3_mT4_P12ihipStream_tbEUlT_E1_NS1_11comp_targetILNS1_3genE10ELNS1_11target_archE1200ELNS1_3gpuE4ELNS1_3repE0EEENS1_30default_config_static_selectorELNS0_4arch9wavefront6targetE1EEEvSK_,"axG",@progbits,_ZN7rocprim17ROCPRIM_400000_NS6detail17trampoline_kernelINS0_14default_configENS1_22reduce_config_selectorIN6thrust23THRUST_200600_302600_NS5tupleIblNS6_9null_typeES8_S8_S8_S8_S8_S8_S8_EEEEZNS1_11reduce_implILb1ES3_PS9_SC_S9_NS6_11hip_rocprim9__find_if7functorIS9_EEEE10hipError_tPvRmT1_T2_T3_mT4_P12ihipStream_tbEUlT_E1_NS1_11comp_targetILNS1_3genE10ELNS1_11target_archE1200ELNS1_3gpuE4ELNS1_3repE0EEENS1_30default_config_static_selectorELNS0_4arch9wavefront6targetE1EEEvSK_,comdat
.Lfunc_end178:
	.size	_ZN7rocprim17ROCPRIM_400000_NS6detail17trampoline_kernelINS0_14default_configENS1_22reduce_config_selectorIN6thrust23THRUST_200600_302600_NS5tupleIblNS6_9null_typeES8_S8_S8_S8_S8_S8_S8_EEEEZNS1_11reduce_implILb1ES3_PS9_SC_S9_NS6_11hip_rocprim9__find_if7functorIS9_EEEE10hipError_tPvRmT1_T2_T3_mT4_P12ihipStream_tbEUlT_E1_NS1_11comp_targetILNS1_3genE10ELNS1_11target_archE1200ELNS1_3gpuE4ELNS1_3repE0EEENS1_30default_config_static_selectorELNS0_4arch9wavefront6targetE1EEEvSK_, .Lfunc_end178-_ZN7rocprim17ROCPRIM_400000_NS6detail17trampoline_kernelINS0_14default_configENS1_22reduce_config_selectorIN6thrust23THRUST_200600_302600_NS5tupleIblNS6_9null_typeES8_S8_S8_S8_S8_S8_S8_EEEEZNS1_11reduce_implILb1ES3_PS9_SC_S9_NS6_11hip_rocprim9__find_if7functorIS9_EEEE10hipError_tPvRmT1_T2_T3_mT4_P12ihipStream_tbEUlT_E1_NS1_11comp_targetILNS1_3genE10ELNS1_11target_archE1200ELNS1_3gpuE4ELNS1_3repE0EEENS1_30default_config_static_selectorELNS0_4arch9wavefront6targetE1EEEvSK_
                                        ; -- End function
	.set _ZN7rocprim17ROCPRIM_400000_NS6detail17trampoline_kernelINS0_14default_configENS1_22reduce_config_selectorIN6thrust23THRUST_200600_302600_NS5tupleIblNS6_9null_typeES8_S8_S8_S8_S8_S8_S8_EEEEZNS1_11reduce_implILb1ES3_PS9_SC_S9_NS6_11hip_rocprim9__find_if7functorIS9_EEEE10hipError_tPvRmT1_T2_T3_mT4_P12ihipStream_tbEUlT_E1_NS1_11comp_targetILNS1_3genE10ELNS1_11target_archE1200ELNS1_3gpuE4ELNS1_3repE0EEENS1_30default_config_static_selectorELNS0_4arch9wavefront6targetE1EEEvSK_.num_vgpr, 0
	.set _ZN7rocprim17ROCPRIM_400000_NS6detail17trampoline_kernelINS0_14default_configENS1_22reduce_config_selectorIN6thrust23THRUST_200600_302600_NS5tupleIblNS6_9null_typeES8_S8_S8_S8_S8_S8_S8_EEEEZNS1_11reduce_implILb1ES3_PS9_SC_S9_NS6_11hip_rocprim9__find_if7functorIS9_EEEE10hipError_tPvRmT1_T2_T3_mT4_P12ihipStream_tbEUlT_E1_NS1_11comp_targetILNS1_3genE10ELNS1_11target_archE1200ELNS1_3gpuE4ELNS1_3repE0EEENS1_30default_config_static_selectorELNS0_4arch9wavefront6targetE1EEEvSK_.num_agpr, 0
	.set _ZN7rocprim17ROCPRIM_400000_NS6detail17trampoline_kernelINS0_14default_configENS1_22reduce_config_selectorIN6thrust23THRUST_200600_302600_NS5tupleIblNS6_9null_typeES8_S8_S8_S8_S8_S8_S8_EEEEZNS1_11reduce_implILb1ES3_PS9_SC_S9_NS6_11hip_rocprim9__find_if7functorIS9_EEEE10hipError_tPvRmT1_T2_T3_mT4_P12ihipStream_tbEUlT_E1_NS1_11comp_targetILNS1_3genE10ELNS1_11target_archE1200ELNS1_3gpuE4ELNS1_3repE0EEENS1_30default_config_static_selectorELNS0_4arch9wavefront6targetE1EEEvSK_.numbered_sgpr, 0
	.set _ZN7rocprim17ROCPRIM_400000_NS6detail17trampoline_kernelINS0_14default_configENS1_22reduce_config_selectorIN6thrust23THRUST_200600_302600_NS5tupleIblNS6_9null_typeES8_S8_S8_S8_S8_S8_S8_EEEEZNS1_11reduce_implILb1ES3_PS9_SC_S9_NS6_11hip_rocprim9__find_if7functorIS9_EEEE10hipError_tPvRmT1_T2_T3_mT4_P12ihipStream_tbEUlT_E1_NS1_11comp_targetILNS1_3genE10ELNS1_11target_archE1200ELNS1_3gpuE4ELNS1_3repE0EEENS1_30default_config_static_selectorELNS0_4arch9wavefront6targetE1EEEvSK_.num_named_barrier, 0
	.set _ZN7rocprim17ROCPRIM_400000_NS6detail17trampoline_kernelINS0_14default_configENS1_22reduce_config_selectorIN6thrust23THRUST_200600_302600_NS5tupleIblNS6_9null_typeES8_S8_S8_S8_S8_S8_S8_EEEEZNS1_11reduce_implILb1ES3_PS9_SC_S9_NS6_11hip_rocprim9__find_if7functorIS9_EEEE10hipError_tPvRmT1_T2_T3_mT4_P12ihipStream_tbEUlT_E1_NS1_11comp_targetILNS1_3genE10ELNS1_11target_archE1200ELNS1_3gpuE4ELNS1_3repE0EEENS1_30default_config_static_selectorELNS0_4arch9wavefront6targetE1EEEvSK_.private_seg_size, 0
	.set _ZN7rocprim17ROCPRIM_400000_NS6detail17trampoline_kernelINS0_14default_configENS1_22reduce_config_selectorIN6thrust23THRUST_200600_302600_NS5tupleIblNS6_9null_typeES8_S8_S8_S8_S8_S8_S8_EEEEZNS1_11reduce_implILb1ES3_PS9_SC_S9_NS6_11hip_rocprim9__find_if7functorIS9_EEEE10hipError_tPvRmT1_T2_T3_mT4_P12ihipStream_tbEUlT_E1_NS1_11comp_targetILNS1_3genE10ELNS1_11target_archE1200ELNS1_3gpuE4ELNS1_3repE0EEENS1_30default_config_static_selectorELNS0_4arch9wavefront6targetE1EEEvSK_.uses_vcc, 0
	.set _ZN7rocprim17ROCPRIM_400000_NS6detail17trampoline_kernelINS0_14default_configENS1_22reduce_config_selectorIN6thrust23THRUST_200600_302600_NS5tupleIblNS6_9null_typeES8_S8_S8_S8_S8_S8_S8_EEEEZNS1_11reduce_implILb1ES3_PS9_SC_S9_NS6_11hip_rocprim9__find_if7functorIS9_EEEE10hipError_tPvRmT1_T2_T3_mT4_P12ihipStream_tbEUlT_E1_NS1_11comp_targetILNS1_3genE10ELNS1_11target_archE1200ELNS1_3gpuE4ELNS1_3repE0EEENS1_30default_config_static_selectorELNS0_4arch9wavefront6targetE1EEEvSK_.uses_flat_scratch, 0
	.set _ZN7rocprim17ROCPRIM_400000_NS6detail17trampoline_kernelINS0_14default_configENS1_22reduce_config_selectorIN6thrust23THRUST_200600_302600_NS5tupleIblNS6_9null_typeES8_S8_S8_S8_S8_S8_S8_EEEEZNS1_11reduce_implILb1ES3_PS9_SC_S9_NS6_11hip_rocprim9__find_if7functorIS9_EEEE10hipError_tPvRmT1_T2_T3_mT4_P12ihipStream_tbEUlT_E1_NS1_11comp_targetILNS1_3genE10ELNS1_11target_archE1200ELNS1_3gpuE4ELNS1_3repE0EEENS1_30default_config_static_selectorELNS0_4arch9wavefront6targetE1EEEvSK_.has_dyn_sized_stack, 0
	.set _ZN7rocprim17ROCPRIM_400000_NS6detail17trampoline_kernelINS0_14default_configENS1_22reduce_config_selectorIN6thrust23THRUST_200600_302600_NS5tupleIblNS6_9null_typeES8_S8_S8_S8_S8_S8_S8_EEEEZNS1_11reduce_implILb1ES3_PS9_SC_S9_NS6_11hip_rocprim9__find_if7functorIS9_EEEE10hipError_tPvRmT1_T2_T3_mT4_P12ihipStream_tbEUlT_E1_NS1_11comp_targetILNS1_3genE10ELNS1_11target_archE1200ELNS1_3gpuE4ELNS1_3repE0EEENS1_30default_config_static_selectorELNS0_4arch9wavefront6targetE1EEEvSK_.has_recursion, 0
	.set _ZN7rocprim17ROCPRIM_400000_NS6detail17trampoline_kernelINS0_14default_configENS1_22reduce_config_selectorIN6thrust23THRUST_200600_302600_NS5tupleIblNS6_9null_typeES8_S8_S8_S8_S8_S8_S8_EEEEZNS1_11reduce_implILb1ES3_PS9_SC_S9_NS6_11hip_rocprim9__find_if7functorIS9_EEEE10hipError_tPvRmT1_T2_T3_mT4_P12ihipStream_tbEUlT_E1_NS1_11comp_targetILNS1_3genE10ELNS1_11target_archE1200ELNS1_3gpuE4ELNS1_3repE0EEENS1_30default_config_static_selectorELNS0_4arch9wavefront6targetE1EEEvSK_.has_indirect_call, 0
	.section	.AMDGPU.csdata,"",@progbits
; Kernel info:
; codeLenInByte = 0
; TotalNumSgprs: 6
; NumVgprs: 0
; NumAgprs: 0
; TotalNumVgprs: 0
; ScratchSize: 0
; MemoryBound: 0
; FloatMode: 240
; IeeeMode: 1
; LDSByteSize: 0 bytes/workgroup (compile time only)
; SGPRBlocks: 0
; VGPRBlocks: 0
; NumSGPRsForWavesPerEU: 6
; NumVGPRsForWavesPerEU: 1
; AccumOffset: 4
; Occupancy: 8
; WaveLimiterHint : 0
; COMPUTE_PGM_RSRC2:SCRATCH_EN: 0
; COMPUTE_PGM_RSRC2:USER_SGPR: 2
; COMPUTE_PGM_RSRC2:TRAP_HANDLER: 0
; COMPUTE_PGM_RSRC2:TGID_X_EN: 1
; COMPUTE_PGM_RSRC2:TGID_Y_EN: 0
; COMPUTE_PGM_RSRC2:TGID_Z_EN: 0
; COMPUTE_PGM_RSRC2:TIDIG_COMP_CNT: 0
; COMPUTE_PGM_RSRC3_GFX90A:ACCUM_OFFSET: 0
; COMPUTE_PGM_RSRC3_GFX90A:TG_SPLIT: 0
	.section	.text._ZN7rocprim17ROCPRIM_400000_NS6detail17trampoline_kernelINS0_14default_configENS1_22reduce_config_selectorIN6thrust23THRUST_200600_302600_NS5tupleIblNS6_9null_typeES8_S8_S8_S8_S8_S8_S8_EEEEZNS1_11reduce_implILb1ES3_PS9_SC_S9_NS6_11hip_rocprim9__find_if7functorIS9_EEEE10hipError_tPvRmT1_T2_T3_mT4_P12ihipStream_tbEUlT_E1_NS1_11comp_targetILNS1_3genE9ELNS1_11target_archE1100ELNS1_3gpuE3ELNS1_3repE0EEENS1_30default_config_static_selectorELNS0_4arch9wavefront6targetE1EEEvSK_,"axG",@progbits,_ZN7rocprim17ROCPRIM_400000_NS6detail17trampoline_kernelINS0_14default_configENS1_22reduce_config_selectorIN6thrust23THRUST_200600_302600_NS5tupleIblNS6_9null_typeES8_S8_S8_S8_S8_S8_S8_EEEEZNS1_11reduce_implILb1ES3_PS9_SC_S9_NS6_11hip_rocprim9__find_if7functorIS9_EEEE10hipError_tPvRmT1_T2_T3_mT4_P12ihipStream_tbEUlT_E1_NS1_11comp_targetILNS1_3genE9ELNS1_11target_archE1100ELNS1_3gpuE3ELNS1_3repE0EEENS1_30default_config_static_selectorELNS0_4arch9wavefront6targetE1EEEvSK_,comdat
	.protected	_ZN7rocprim17ROCPRIM_400000_NS6detail17trampoline_kernelINS0_14default_configENS1_22reduce_config_selectorIN6thrust23THRUST_200600_302600_NS5tupleIblNS6_9null_typeES8_S8_S8_S8_S8_S8_S8_EEEEZNS1_11reduce_implILb1ES3_PS9_SC_S9_NS6_11hip_rocprim9__find_if7functorIS9_EEEE10hipError_tPvRmT1_T2_T3_mT4_P12ihipStream_tbEUlT_E1_NS1_11comp_targetILNS1_3genE9ELNS1_11target_archE1100ELNS1_3gpuE3ELNS1_3repE0EEENS1_30default_config_static_selectorELNS0_4arch9wavefront6targetE1EEEvSK_ ; -- Begin function _ZN7rocprim17ROCPRIM_400000_NS6detail17trampoline_kernelINS0_14default_configENS1_22reduce_config_selectorIN6thrust23THRUST_200600_302600_NS5tupleIblNS6_9null_typeES8_S8_S8_S8_S8_S8_S8_EEEEZNS1_11reduce_implILb1ES3_PS9_SC_S9_NS6_11hip_rocprim9__find_if7functorIS9_EEEE10hipError_tPvRmT1_T2_T3_mT4_P12ihipStream_tbEUlT_E1_NS1_11comp_targetILNS1_3genE9ELNS1_11target_archE1100ELNS1_3gpuE3ELNS1_3repE0EEENS1_30default_config_static_selectorELNS0_4arch9wavefront6targetE1EEEvSK_
	.globl	_ZN7rocprim17ROCPRIM_400000_NS6detail17trampoline_kernelINS0_14default_configENS1_22reduce_config_selectorIN6thrust23THRUST_200600_302600_NS5tupleIblNS6_9null_typeES8_S8_S8_S8_S8_S8_S8_EEEEZNS1_11reduce_implILb1ES3_PS9_SC_S9_NS6_11hip_rocprim9__find_if7functorIS9_EEEE10hipError_tPvRmT1_T2_T3_mT4_P12ihipStream_tbEUlT_E1_NS1_11comp_targetILNS1_3genE9ELNS1_11target_archE1100ELNS1_3gpuE3ELNS1_3repE0EEENS1_30default_config_static_selectorELNS0_4arch9wavefront6targetE1EEEvSK_
	.p2align	8
	.type	_ZN7rocprim17ROCPRIM_400000_NS6detail17trampoline_kernelINS0_14default_configENS1_22reduce_config_selectorIN6thrust23THRUST_200600_302600_NS5tupleIblNS6_9null_typeES8_S8_S8_S8_S8_S8_S8_EEEEZNS1_11reduce_implILb1ES3_PS9_SC_S9_NS6_11hip_rocprim9__find_if7functorIS9_EEEE10hipError_tPvRmT1_T2_T3_mT4_P12ihipStream_tbEUlT_E1_NS1_11comp_targetILNS1_3genE9ELNS1_11target_archE1100ELNS1_3gpuE3ELNS1_3repE0EEENS1_30default_config_static_selectorELNS0_4arch9wavefront6targetE1EEEvSK_,@function
_ZN7rocprim17ROCPRIM_400000_NS6detail17trampoline_kernelINS0_14default_configENS1_22reduce_config_selectorIN6thrust23THRUST_200600_302600_NS5tupleIblNS6_9null_typeES8_S8_S8_S8_S8_S8_S8_EEEEZNS1_11reduce_implILb1ES3_PS9_SC_S9_NS6_11hip_rocprim9__find_if7functorIS9_EEEE10hipError_tPvRmT1_T2_T3_mT4_P12ihipStream_tbEUlT_E1_NS1_11comp_targetILNS1_3genE9ELNS1_11target_archE1100ELNS1_3gpuE3ELNS1_3repE0EEENS1_30default_config_static_selectorELNS0_4arch9wavefront6targetE1EEEvSK_: ; @_ZN7rocprim17ROCPRIM_400000_NS6detail17trampoline_kernelINS0_14default_configENS1_22reduce_config_selectorIN6thrust23THRUST_200600_302600_NS5tupleIblNS6_9null_typeES8_S8_S8_S8_S8_S8_S8_EEEEZNS1_11reduce_implILb1ES3_PS9_SC_S9_NS6_11hip_rocprim9__find_if7functorIS9_EEEE10hipError_tPvRmT1_T2_T3_mT4_P12ihipStream_tbEUlT_E1_NS1_11comp_targetILNS1_3genE9ELNS1_11target_archE1100ELNS1_3gpuE3ELNS1_3repE0EEENS1_30default_config_static_selectorELNS0_4arch9wavefront6targetE1EEEvSK_
; %bb.0:
	.section	.rodata,"a",@progbits
	.p2align	6, 0x0
	.amdhsa_kernel _ZN7rocprim17ROCPRIM_400000_NS6detail17trampoline_kernelINS0_14default_configENS1_22reduce_config_selectorIN6thrust23THRUST_200600_302600_NS5tupleIblNS6_9null_typeES8_S8_S8_S8_S8_S8_S8_EEEEZNS1_11reduce_implILb1ES3_PS9_SC_S9_NS6_11hip_rocprim9__find_if7functorIS9_EEEE10hipError_tPvRmT1_T2_T3_mT4_P12ihipStream_tbEUlT_E1_NS1_11comp_targetILNS1_3genE9ELNS1_11target_archE1100ELNS1_3gpuE3ELNS1_3repE0EEENS1_30default_config_static_selectorELNS0_4arch9wavefront6targetE1EEEvSK_
		.amdhsa_group_segment_fixed_size 0
		.amdhsa_private_segment_fixed_size 0
		.amdhsa_kernarg_size 56
		.amdhsa_user_sgpr_count 2
		.amdhsa_user_sgpr_dispatch_ptr 0
		.amdhsa_user_sgpr_queue_ptr 0
		.amdhsa_user_sgpr_kernarg_segment_ptr 1
		.amdhsa_user_sgpr_dispatch_id 0
		.amdhsa_user_sgpr_kernarg_preload_length 0
		.amdhsa_user_sgpr_kernarg_preload_offset 0
		.amdhsa_user_sgpr_private_segment_size 0
		.amdhsa_uses_dynamic_stack 0
		.amdhsa_enable_private_segment 0
		.amdhsa_system_sgpr_workgroup_id_x 1
		.amdhsa_system_sgpr_workgroup_id_y 0
		.amdhsa_system_sgpr_workgroup_id_z 0
		.amdhsa_system_sgpr_workgroup_info 0
		.amdhsa_system_vgpr_workitem_id 0
		.amdhsa_next_free_vgpr 1
		.amdhsa_next_free_sgpr 0
		.amdhsa_accum_offset 4
		.amdhsa_reserve_vcc 0
		.amdhsa_float_round_mode_32 0
		.amdhsa_float_round_mode_16_64 0
		.amdhsa_float_denorm_mode_32 3
		.amdhsa_float_denorm_mode_16_64 3
		.amdhsa_dx10_clamp 1
		.amdhsa_ieee_mode 1
		.amdhsa_fp16_overflow 0
		.amdhsa_tg_split 0
		.amdhsa_exception_fp_ieee_invalid_op 0
		.amdhsa_exception_fp_denorm_src 0
		.amdhsa_exception_fp_ieee_div_zero 0
		.amdhsa_exception_fp_ieee_overflow 0
		.amdhsa_exception_fp_ieee_underflow 0
		.amdhsa_exception_fp_ieee_inexact 0
		.amdhsa_exception_int_div_zero 0
	.end_amdhsa_kernel
	.section	.text._ZN7rocprim17ROCPRIM_400000_NS6detail17trampoline_kernelINS0_14default_configENS1_22reduce_config_selectorIN6thrust23THRUST_200600_302600_NS5tupleIblNS6_9null_typeES8_S8_S8_S8_S8_S8_S8_EEEEZNS1_11reduce_implILb1ES3_PS9_SC_S9_NS6_11hip_rocprim9__find_if7functorIS9_EEEE10hipError_tPvRmT1_T2_T3_mT4_P12ihipStream_tbEUlT_E1_NS1_11comp_targetILNS1_3genE9ELNS1_11target_archE1100ELNS1_3gpuE3ELNS1_3repE0EEENS1_30default_config_static_selectorELNS0_4arch9wavefront6targetE1EEEvSK_,"axG",@progbits,_ZN7rocprim17ROCPRIM_400000_NS6detail17trampoline_kernelINS0_14default_configENS1_22reduce_config_selectorIN6thrust23THRUST_200600_302600_NS5tupleIblNS6_9null_typeES8_S8_S8_S8_S8_S8_S8_EEEEZNS1_11reduce_implILb1ES3_PS9_SC_S9_NS6_11hip_rocprim9__find_if7functorIS9_EEEE10hipError_tPvRmT1_T2_T3_mT4_P12ihipStream_tbEUlT_E1_NS1_11comp_targetILNS1_3genE9ELNS1_11target_archE1100ELNS1_3gpuE3ELNS1_3repE0EEENS1_30default_config_static_selectorELNS0_4arch9wavefront6targetE1EEEvSK_,comdat
.Lfunc_end179:
	.size	_ZN7rocprim17ROCPRIM_400000_NS6detail17trampoline_kernelINS0_14default_configENS1_22reduce_config_selectorIN6thrust23THRUST_200600_302600_NS5tupleIblNS6_9null_typeES8_S8_S8_S8_S8_S8_S8_EEEEZNS1_11reduce_implILb1ES3_PS9_SC_S9_NS6_11hip_rocprim9__find_if7functorIS9_EEEE10hipError_tPvRmT1_T2_T3_mT4_P12ihipStream_tbEUlT_E1_NS1_11comp_targetILNS1_3genE9ELNS1_11target_archE1100ELNS1_3gpuE3ELNS1_3repE0EEENS1_30default_config_static_selectorELNS0_4arch9wavefront6targetE1EEEvSK_, .Lfunc_end179-_ZN7rocprim17ROCPRIM_400000_NS6detail17trampoline_kernelINS0_14default_configENS1_22reduce_config_selectorIN6thrust23THRUST_200600_302600_NS5tupleIblNS6_9null_typeES8_S8_S8_S8_S8_S8_S8_EEEEZNS1_11reduce_implILb1ES3_PS9_SC_S9_NS6_11hip_rocprim9__find_if7functorIS9_EEEE10hipError_tPvRmT1_T2_T3_mT4_P12ihipStream_tbEUlT_E1_NS1_11comp_targetILNS1_3genE9ELNS1_11target_archE1100ELNS1_3gpuE3ELNS1_3repE0EEENS1_30default_config_static_selectorELNS0_4arch9wavefront6targetE1EEEvSK_
                                        ; -- End function
	.set _ZN7rocprim17ROCPRIM_400000_NS6detail17trampoline_kernelINS0_14default_configENS1_22reduce_config_selectorIN6thrust23THRUST_200600_302600_NS5tupleIblNS6_9null_typeES8_S8_S8_S8_S8_S8_S8_EEEEZNS1_11reduce_implILb1ES3_PS9_SC_S9_NS6_11hip_rocprim9__find_if7functorIS9_EEEE10hipError_tPvRmT1_T2_T3_mT4_P12ihipStream_tbEUlT_E1_NS1_11comp_targetILNS1_3genE9ELNS1_11target_archE1100ELNS1_3gpuE3ELNS1_3repE0EEENS1_30default_config_static_selectorELNS0_4arch9wavefront6targetE1EEEvSK_.num_vgpr, 0
	.set _ZN7rocprim17ROCPRIM_400000_NS6detail17trampoline_kernelINS0_14default_configENS1_22reduce_config_selectorIN6thrust23THRUST_200600_302600_NS5tupleIblNS6_9null_typeES8_S8_S8_S8_S8_S8_S8_EEEEZNS1_11reduce_implILb1ES3_PS9_SC_S9_NS6_11hip_rocprim9__find_if7functorIS9_EEEE10hipError_tPvRmT1_T2_T3_mT4_P12ihipStream_tbEUlT_E1_NS1_11comp_targetILNS1_3genE9ELNS1_11target_archE1100ELNS1_3gpuE3ELNS1_3repE0EEENS1_30default_config_static_selectorELNS0_4arch9wavefront6targetE1EEEvSK_.num_agpr, 0
	.set _ZN7rocprim17ROCPRIM_400000_NS6detail17trampoline_kernelINS0_14default_configENS1_22reduce_config_selectorIN6thrust23THRUST_200600_302600_NS5tupleIblNS6_9null_typeES8_S8_S8_S8_S8_S8_S8_EEEEZNS1_11reduce_implILb1ES3_PS9_SC_S9_NS6_11hip_rocprim9__find_if7functorIS9_EEEE10hipError_tPvRmT1_T2_T3_mT4_P12ihipStream_tbEUlT_E1_NS1_11comp_targetILNS1_3genE9ELNS1_11target_archE1100ELNS1_3gpuE3ELNS1_3repE0EEENS1_30default_config_static_selectorELNS0_4arch9wavefront6targetE1EEEvSK_.numbered_sgpr, 0
	.set _ZN7rocprim17ROCPRIM_400000_NS6detail17trampoline_kernelINS0_14default_configENS1_22reduce_config_selectorIN6thrust23THRUST_200600_302600_NS5tupleIblNS6_9null_typeES8_S8_S8_S8_S8_S8_S8_EEEEZNS1_11reduce_implILb1ES3_PS9_SC_S9_NS6_11hip_rocprim9__find_if7functorIS9_EEEE10hipError_tPvRmT1_T2_T3_mT4_P12ihipStream_tbEUlT_E1_NS1_11comp_targetILNS1_3genE9ELNS1_11target_archE1100ELNS1_3gpuE3ELNS1_3repE0EEENS1_30default_config_static_selectorELNS0_4arch9wavefront6targetE1EEEvSK_.num_named_barrier, 0
	.set _ZN7rocprim17ROCPRIM_400000_NS6detail17trampoline_kernelINS0_14default_configENS1_22reduce_config_selectorIN6thrust23THRUST_200600_302600_NS5tupleIblNS6_9null_typeES8_S8_S8_S8_S8_S8_S8_EEEEZNS1_11reduce_implILb1ES3_PS9_SC_S9_NS6_11hip_rocprim9__find_if7functorIS9_EEEE10hipError_tPvRmT1_T2_T3_mT4_P12ihipStream_tbEUlT_E1_NS1_11comp_targetILNS1_3genE9ELNS1_11target_archE1100ELNS1_3gpuE3ELNS1_3repE0EEENS1_30default_config_static_selectorELNS0_4arch9wavefront6targetE1EEEvSK_.private_seg_size, 0
	.set _ZN7rocprim17ROCPRIM_400000_NS6detail17trampoline_kernelINS0_14default_configENS1_22reduce_config_selectorIN6thrust23THRUST_200600_302600_NS5tupleIblNS6_9null_typeES8_S8_S8_S8_S8_S8_S8_EEEEZNS1_11reduce_implILb1ES3_PS9_SC_S9_NS6_11hip_rocprim9__find_if7functorIS9_EEEE10hipError_tPvRmT1_T2_T3_mT4_P12ihipStream_tbEUlT_E1_NS1_11comp_targetILNS1_3genE9ELNS1_11target_archE1100ELNS1_3gpuE3ELNS1_3repE0EEENS1_30default_config_static_selectorELNS0_4arch9wavefront6targetE1EEEvSK_.uses_vcc, 0
	.set _ZN7rocprim17ROCPRIM_400000_NS6detail17trampoline_kernelINS0_14default_configENS1_22reduce_config_selectorIN6thrust23THRUST_200600_302600_NS5tupleIblNS6_9null_typeES8_S8_S8_S8_S8_S8_S8_EEEEZNS1_11reduce_implILb1ES3_PS9_SC_S9_NS6_11hip_rocprim9__find_if7functorIS9_EEEE10hipError_tPvRmT1_T2_T3_mT4_P12ihipStream_tbEUlT_E1_NS1_11comp_targetILNS1_3genE9ELNS1_11target_archE1100ELNS1_3gpuE3ELNS1_3repE0EEENS1_30default_config_static_selectorELNS0_4arch9wavefront6targetE1EEEvSK_.uses_flat_scratch, 0
	.set _ZN7rocprim17ROCPRIM_400000_NS6detail17trampoline_kernelINS0_14default_configENS1_22reduce_config_selectorIN6thrust23THRUST_200600_302600_NS5tupleIblNS6_9null_typeES8_S8_S8_S8_S8_S8_S8_EEEEZNS1_11reduce_implILb1ES3_PS9_SC_S9_NS6_11hip_rocprim9__find_if7functorIS9_EEEE10hipError_tPvRmT1_T2_T3_mT4_P12ihipStream_tbEUlT_E1_NS1_11comp_targetILNS1_3genE9ELNS1_11target_archE1100ELNS1_3gpuE3ELNS1_3repE0EEENS1_30default_config_static_selectorELNS0_4arch9wavefront6targetE1EEEvSK_.has_dyn_sized_stack, 0
	.set _ZN7rocprim17ROCPRIM_400000_NS6detail17trampoline_kernelINS0_14default_configENS1_22reduce_config_selectorIN6thrust23THRUST_200600_302600_NS5tupleIblNS6_9null_typeES8_S8_S8_S8_S8_S8_S8_EEEEZNS1_11reduce_implILb1ES3_PS9_SC_S9_NS6_11hip_rocprim9__find_if7functorIS9_EEEE10hipError_tPvRmT1_T2_T3_mT4_P12ihipStream_tbEUlT_E1_NS1_11comp_targetILNS1_3genE9ELNS1_11target_archE1100ELNS1_3gpuE3ELNS1_3repE0EEENS1_30default_config_static_selectorELNS0_4arch9wavefront6targetE1EEEvSK_.has_recursion, 0
	.set _ZN7rocprim17ROCPRIM_400000_NS6detail17trampoline_kernelINS0_14default_configENS1_22reduce_config_selectorIN6thrust23THRUST_200600_302600_NS5tupleIblNS6_9null_typeES8_S8_S8_S8_S8_S8_S8_EEEEZNS1_11reduce_implILb1ES3_PS9_SC_S9_NS6_11hip_rocprim9__find_if7functorIS9_EEEE10hipError_tPvRmT1_T2_T3_mT4_P12ihipStream_tbEUlT_E1_NS1_11comp_targetILNS1_3genE9ELNS1_11target_archE1100ELNS1_3gpuE3ELNS1_3repE0EEENS1_30default_config_static_selectorELNS0_4arch9wavefront6targetE1EEEvSK_.has_indirect_call, 0
	.section	.AMDGPU.csdata,"",@progbits
; Kernel info:
; codeLenInByte = 0
; TotalNumSgprs: 6
; NumVgprs: 0
; NumAgprs: 0
; TotalNumVgprs: 0
; ScratchSize: 0
; MemoryBound: 0
; FloatMode: 240
; IeeeMode: 1
; LDSByteSize: 0 bytes/workgroup (compile time only)
; SGPRBlocks: 0
; VGPRBlocks: 0
; NumSGPRsForWavesPerEU: 6
; NumVGPRsForWavesPerEU: 1
; AccumOffset: 4
; Occupancy: 8
; WaveLimiterHint : 0
; COMPUTE_PGM_RSRC2:SCRATCH_EN: 0
; COMPUTE_PGM_RSRC2:USER_SGPR: 2
; COMPUTE_PGM_RSRC2:TRAP_HANDLER: 0
; COMPUTE_PGM_RSRC2:TGID_X_EN: 1
; COMPUTE_PGM_RSRC2:TGID_Y_EN: 0
; COMPUTE_PGM_RSRC2:TGID_Z_EN: 0
; COMPUTE_PGM_RSRC2:TIDIG_COMP_CNT: 0
; COMPUTE_PGM_RSRC3_GFX90A:ACCUM_OFFSET: 0
; COMPUTE_PGM_RSRC3_GFX90A:TG_SPLIT: 0
	.section	.text._ZN7rocprim17ROCPRIM_400000_NS6detail17trampoline_kernelINS0_14default_configENS1_22reduce_config_selectorIN6thrust23THRUST_200600_302600_NS5tupleIblNS6_9null_typeES8_S8_S8_S8_S8_S8_S8_EEEEZNS1_11reduce_implILb1ES3_PS9_SC_S9_NS6_11hip_rocprim9__find_if7functorIS9_EEEE10hipError_tPvRmT1_T2_T3_mT4_P12ihipStream_tbEUlT_E1_NS1_11comp_targetILNS1_3genE8ELNS1_11target_archE1030ELNS1_3gpuE2ELNS1_3repE0EEENS1_30default_config_static_selectorELNS0_4arch9wavefront6targetE1EEEvSK_,"axG",@progbits,_ZN7rocprim17ROCPRIM_400000_NS6detail17trampoline_kernelINS0_14default_configENS1_22reduce_config_selectorIN6thrust23THRUST_200600_302600_NS5tupleIblNS6_9null_typeES8_S8_S8_S8_S8_S8_S8_EEEEZNS1_11reduce_implILb1ES3_PS9_SC_S9_NS6_11hip_rocprim9__find_if7functorIS9_EEEE10hipError_tPvRmT1_T2_T3_mT4_P12ihipStream_tbEUlT_E1_NS1_11comp_targetILNS1_3genE8ELNS1_11target_archE1030ELNS1_3gpuE2ELNS1_3repE0EEENS1_30default_config_static_selectorELNS0_4arch9wavefront6targetE1EEEvSK_,comdat
	.protected	_ZN7rocprim17ROCPRIM_400000_NS6detail17trampoline_kernelINS0_14default_configENS1_22reduce_config_selectorIN6thrust23THRUST_200600_302600_NS5tupleIblNS6_9null_typeES8_S8_S8_S8_S8_S8_S8_EEEEZNS1_11reduce_implILb1ES3_PS9_SC_S9_NS6_11hip_rocprim9__find_if7functorIS9_EEEE10hipError_tPvRmT1_T2_T3_mT4_P12ihipStream_tbEUlT_E1_NS1_11comp_targetILNS1_3genE8ELNS1_11target_archE1030ELNS1_3gpuE2ELNS1_3repE0EEENS1_30default_config_static_selectorELNS0_4arch9wavefront6targetE1EEEvSK_ ; -- Begin function _ZN7rocprim17ROCPRIM_400000_NS6detail17trampoline_kernelINS0_14default_configENS1_22reduce_config_selectorIN6thrust23THRUST_200600_302600_NS5tupleIblNS6_9null_typeES8_S8_S8_S8_S8_S8_S8_EEEEZNS1_11reduce_implILb1ES3_PS9_SC_S9_NS6_11hip_rocprim9__find_if7functorIS9_EEEE10hipError_tPvRmT1_T2_T3_mT4_P12ihipStream_tbEUlT_E1_NS1_11comp_targetILNS1_3genE8ELNS1_11target_archE1030ELNS1_3gpuE2ELNS1_3repE0EEENS1_30default_config_static_selectorELNS0_4arch9wavefront6targetE1EEEvSK_
	.globl	_ZN7rocprim17ROCPRIM_400000_NS6detail17trampoline_kernelINS0_14default_configENS1_22reduce_config_selectorIN6thrust23THRUST_200600_302600_NS5tupleIblNS6_9null_typeES8_S8_S8_S8_S8_S8_S8_EEEEZNS1_11reduce_implILb1ES3_PS9_SC_S9_NS6_11hip_rocprim9__find_if7functorIS9_EEEE10hipError_tPvRmT1_T2_T3_mT4_P12ihipStream_tbEUlT_E1_NS1_11comp_targetILNS1_3genE8ELNS1_11target_archE1030ELNS1_3gpuE2ELNS1_3repE0EEENS1_30default_config_static_selectorELNS0_4arch9wavefront6targetE1EEEvSK_
	.p2align	8
	.type	_ZN7rocprim17ROCPRIM_400000_NS6detail17trampoline_kernelINS0_14default_configENS1_22reduce_config_selectorIN6thrust23THRUST_200600_302600_NS5tupleIblNS6_9null_typeES8_S8_S8_S8_S8_S8_S8_EEEEZNS1_11reduce_implILb1ES3_PS9_SC_S9_NS6_11hip_rocprim9__find_if7functorIS9_EEEE10hipError_tPvRmT1_T2_T3_mT4_P12ihipStream_tbEUlT_E1_NS1_11comp_targetILNS1_3genE8ELNS1_11target_archE1030ELNS1_3gpuE2ELNS1_3repE0EEENS1_30default_config_static_selectorELNS0_4arch9wavefront6targetE1EEEvSK_,@function
_ZN7rocprim17ROCPRIM_400000_NS6detail17trampoline_kernelINS0_14default_configENS1_22reduce_config_selectorIN6thrust23THRUST_200600_302600_NS5tupleIblNS6_9null_typeES8_S8_S8_S8_S8_S8_S8_EEEEZNS1_11reduce_implILb1ES3_PS9_SC_S9_NS6_11hip_rocprim9__find_if7functorIS9_EEEE10hipError_tPvRmT1_T2_T3_mT4_P12ihipStream_tbEUlT_E1_NS1_11comp_targetILNS1_3genE8ELNS1_11target_archE1030ELNS1_3gpuE2ELNS1_3repE0EEENS1_30default_config_static_selectorELNS0_4arch9wavefront6targetE1EEEvSK_: ; @_ZN7rocprim17ROCPRIM_400000_NS6detail17trampoline_kernelINS0_14default_configENS1_22reduce_config_selectorIN6thrust23THRUST_200600_302600_NS5tupleIblNS6_9null_typeES8_S8_S8_S8_S8_S8_S8_EEEEZNS1_11reduce_implILb1ES3_PS9_SC_S9_NS6_11hip_rocprim9__find_if7functorIS9_EEEE10hipError_tPvRmT1_T2_T3_mT4_P12ihipStream_tbEUlT_E1_NS1_11comp_targetILNS1_3genE8ELNS1_11target_archE1030ELNS1_3gpuE2ELNS1_3repE0EEENS1_30default_config_static_selectorELNS0_4arch9wavefront6targetE1EEEvSK_
; %bb.0:
	.section	.rodata,"a",@progbits
	.p2align	6, 0x0
	.amdhsa_kernel _ZN7rocprim17ROCPRIM_400000_NS6detail17trampoline_kernelINS0_14default_configENS1_22reduce_config_selectorIN6thrust23THRUST_200600_302600_NS5tupleIblNS6_9null_typeES8_S8_S8_S8_S8_S8_S8_EEEEZNS1_11reduce_implILb1ES3_PS9_SC_S9_NS6_11hip_rocprim9__find_if7functorIS9_EEEE10hipError_tPvRmT1_T2_T3_mT4_P12ihipStream_tbEUlT_E1_NS1_11comp_targetILNS1_3genE8ELNS1_11target_archE1030ELNS1_3gpuE2ELNS1_3repE0EEENS1_30default_config_static_selectorELNS0_4arch9wavefront6targetE1EEEvSK_
		.amdhsa_group_segment_fixed_size 0
		.amdhsa_private_segment_fixed_size 0
		.amdhsa_kernarg_size 56
		.amdhsa_user_sgpr_count 2
		.amdhsa_user_sgpr_dispatch_ptr 0
		.amdhsa_user_sgpr_queue_ptr 0
		.amdhsa_user_sgpr_kernarg_segment_ptr 1
		.amdhsa_user_sgpr_dispatch_id 0
		.amdhsa_user_sgpr_kernarg_preload_length 0
		.amdhsa_user_sgpr_kernarg_preload_offset 0
		.amdhsa_user_sgpr_private_segment_size 0
		.amdhsa_uses_dynamic_stack 0
		.amdhsa_enable_private_segment 0
		.amdhsa_system_sgpr_workgroup_id_x 1
		.amdhsa_system_sgpr_workgroup_id_y 0
		.amdhsa_system_sgpr_workgroup_id_z 0
		.amdhsa_system_sgpr_workgroup_info 0
		.amdhsa_system_vgpr_workitem_id 0
		.amdhsa_next_free_vgpr 1
		.amdhsa_next_free_sgpr 0
		.amdhsa_accum_offset 4
		.amdhsa_reserve_vcc 0
		.amdhsa_float_round_mode_32 0
		.amdhsa_float_round_mode_16_64 0
		.amdhsa_float_denorm_mode_32 3
		.amdhsa_float_denorm_mode_16_64 3
		.amdhsa_dx10_clamp 1
		.amdhsa_ieee_mode 1
		.amdhsa_fp16_overflow 0
		.amdhsa_tg_split 0
		.amdhsa_exception_fp_ieee_invalid_op 0
		.amdhsa_exception_fp_denorm_src 0
		.amdhsa_exception_fp_ieee_div_zero 0
		.amdhsa_exception_fp_ieee_overflow 0
		.amdhsa_exception_fp_ieee_underflow 0
		.amdhsa_exception_fp_ieee_inexact 0
		.amdhsa_exception_int_div_zero 0
	.end_amdhsa_kernel
	.section	.text._ZN7rocprim17ROCPRIM_400000_NS6detail17trampoline_kernelINS0_14default_configENS1_22reduce_config_selectorIN6thrust23THRUST_200600_302600_NS5tupleIblNS6_9null_typeES8_S8_S8_S8_S8_S8_S8_EEEEZNS1_11reduce_implILb1ES3_PS9_SC_S9_NS6_11hip_rocprim9__find_if7functorIS9_EEEE10hipError_tPvRmT1_T2_T3_mT4_P12ihipStream_tbEUlT_E1_NS1_11comp_targetILNS1_3genE8ELNS1_11target_archE1030ELNS1_3gpuE2ELNS1_3repE0EEENS1_30default_config_static_selectorELNS0_4arch9wavefront6targetE1EEEvSK_,"axG",@progbits,_ZN7rocprim17ROCPRIM_400000_NS6detail17trampoline_kernelINS0_14default_configENS1_22reduce_config_selectorIN6thrust23THRUST_200600_302600_NS5tupleIblNS6_9null_typeES8_S8_S8_S8_S8_S8_S8_EEEEZNS1_11reduce_implILb1ES3_PS9_SC_S9_NS6_11hip_rocprim9__find_if7functorIS9_EEEE10hipError_tPvRmT1_T2_T3_mT4_P12ihipStream_tbEUlT_E1_NS1_11comp_targetILNS1_3genE8ELNS1_11target_archE1030ELNS1_3gpuE2ELNS1_3repE0EEENS1_30default_config_static_selectorELNS0_4arch9wavefront6targetE1EEEvSK_,comdat
.Lfunc_end180:
	.size	_ZN7rocprim17ROCPRIM_400000_NS6detail17trampoline_kernelINS0_14default_configENS1_22reduce_config_selectorIN6thrust23THRUST_200600_302600_NS5tupleIblNS6_9null_typeES8_S8_S8_S8_S8_S8_S8_EEEEZNS1_11reduce_implILb1ES3_PS9_SC_S9_NS6_11hip_rocprim9__find_if7functorIS9_EEEE10hipError_tPvRmT1_T2_T3_mT4_P12ihipStream_tbEUlT_E1_NS1_11comp_targetILNS1_3genE8ELNS1_11target_archE1030ELNS1_3gpuE2ELNS1_3repE0EEENS1_30default_config_static_selectorELNS0_4arch9wavefront6targetE1EEEvSK_, .Lfunc_end180-_ZN7rocprim17ROCPRIM_400000_NS6detail17trampoline_kernelINS0_14default_configENS1_22reduce_config_selectorIN6thrust23THRUST_200600_302600_NS5tupleIblNS6_9null_typeES8_S8_S8_S8_S8_S8_S8_EEEEZNS1_11reduce_implILb1ES3_PS9_SC_S9_NS6_11hip_rocprim9__find_if7functorIS9_EEEE10hipError_tPvRmT1_T2_T3_mT4_P12ihipStream_tbEUlT_E1_NS1_11comp_targetILNS1_3genE8ELNS1_11target_archE1030ELNS1_3gpuE2ELNS1_3repE0EEENS1_30default_config_static_selectorELNS0_4arch9wavefront6targetE1EEEvSK_
                                        ; -- End function
	.set _ZN7rocprim17ROCPRIM_400000_NS6detail17trampoline_kernelINS0_14default_configENS1_22reduce_config_selectorIN6thrust23THRUST_200600_302600_NS5tupleIblNS6_9null_typeES8_S8_S8_S8_S8_S8_S8_EEEEZNS1_11reduce_implILb1ES3_PS9_SC_S9_NS6_11hip_rocprim9__find_if7functorIS9_EEEE10hipError_tPvRmT1_T2_T3_mT4_P12ihipStream_tbEUlT_E1_NS1_11comp_targetILNS1_3genE8ELNS1_11target_archE1030ELNS1_3gpuE2ELNS1_3repE0EEENS1_30default_config_static_selectorELNS0_4arch9wavefront6targetE1EEEvSK_.num_vgpr, 0
	.set _ZN7rocprim17ROCPRIM_400000_NS6detail17trampoline_kernelINS0_14default_configENS1_22reduce_config_selectorIN6thrust23THRUST_200600_302600_NS5tupleIblNS6_9null_typeES8_S8_S8_S8_S8_S8_S8_EEEEZNS1_11reduce_implILb1ES3_PS9_SC_S9_NS6_11hip_rocprim9__find_if7functorIS9_EEEE10hipError_tPvRmT1_T2_T3_mT4_P12ihipStream_tbEUlT_E1_NS1_11comp_targetILNS1_3genE8ELNS1_11target_archE1030ELNS1_3gpuE2ELNS1_3repE0EEENS1_30default_config_static_selectorELNS0_4arch9wavefront6targetE1EEEvSK_.num_agpr, 0
	.set _ZN7rocprim17ROCPRIM_400000_NS6detail17trampoline_kernelINS0_14default_configENS1_22reduce_config_selectorIN6thrust23THRUST_200600_302600_NS5tupleIblNS6_9null_typeES8_S8_S8_S8_S8_S8_S8_EEEEZNS1_11reduce_implILb1ES3_PS9_SC_S9_NS6_11hip_rocprim9__find_if7functorIS9_EEEE10hipError_tPvRmT1_T2_T3_mT4_P12ihipStream_tbEUlT_E1_NS1_11comp_targetILNS1_3genE8ELNS1_11target_archE1030ELNS1_3gpuE2ELNS1_3repE0EEENS1_30default_config_static_selectorELNS0_4arch9wavefront6targetE1EEEvSK_.numbered_sgpr, 0
	.set _ZN7rocprim17ROCPRIM_400000_NS6detail17trampoline_kernelINS0_14default_configENS1_22reduce_config_selectorIN6thrust23THRUST_200600_302600_NS5tupleIblNS6_9null_typeES8_S8_S8_S8_S8_S8_S8_EEEEZNS1_11reduce_implILb1ES3_PS9_SC_S9_NS6_11hip_rocprim9__find_if7functorIS9_EEEE10hipError_tPvRmT1_T2_T3_mT4_P12ihipStream_tbEUlT_E1_NS1_11comp_targetILNS1_3genE8ELNS1_11target_archE1030ELNS1_3gpuE2ELNS1_3repE0EEENS1_30default_config_static_selectorELNS0_4arch9wavefront6targetE1EEEvSK_.num_named_barrier, 0
	.set _ZN7rocprim17ROCPRIM_400000_NS6detail17trampoline_kernelINS0_14default_configENS1_22reduce_config_selectorIN6thrust23THRUST_200600_302600_NS5tupleIblNS6_9null_typeES8_S8_S8_S8_S8_S8_S8_EEEEZNS1_11reduce_implILb1ES3_PS9_SC_S9_NS6_11hip_rocprim9__find_if7functorIS9_EEEE10hipError_tPvRmT1_T2_T3_mT4_P12ihipStream_tbEUlT_E1_NS1_11comp_targetILNS1_3genE8ELNS1_11target_archE1030ELNS1_3gpuE2ELNS1_3repE0EEENS1_30default_config_static_selectorELNS0_4arch9wavefront6targetE1EEEvSK_.private_seg_size, 0
	.set _ZN7rocprim17ROCPRIM_400000_NS6detail17trampoline_kernelINS0_14default_configENS1_22reduce_config_selectorIN6thrust23THRUST_200600_302600_NS5tupleIblNS6_9null_typeES8_S8_S8_S8_S8_S8_S8_EEEEZNS1_11reduce_implILb1ES3_PS9_SC_S9_NS6_11hip_rocprim9__find_if7functorIS9_EEEE10hipError_tPvRmT1_T2_T3_mT4_P12ihipStream_tbEUlT_E1_NS1_11comp_targetILNS1_3genE8ELNS1_11target_archE1030ELNS1_3gpuE2ELNS1_3repE0EEENS1_30default_config_static_selectorELNS0_4arch9wavefront6targetE1EEEvSK_.uses_vcc, 0
	.set _ZN7rocprim17ROCPRIM_400000_NS6detail17trampoline_kernelINS0_14default_configENS1_22reduce_config_selectorIN6thrust23THRUST_200600_302600_NS5tupleIblNS6_9null_typeES8_S8_S8_S8_S8_S8_S8_EEEEZNS1_11reduce_implILb1ES3_PS9_SC_S9_NS6_11hip_rocprim9__find_if7functorIS9_EEEE10hipError_tPvRmT1_T2_T3_mT4_P12ihipStream_tbEUlT_E1_NS1_11comp_targetILNS1_3genE8ELNS1_11target_archE1030ELNS1_3gpuE2ELNS1_3repE0EEENS1_30default_config_static_selectorELNS0_4arch9wavefront6targetE1EEEvSK_.uses_flat_scratch, 0
	.set _ZN7rocprim17ROCPRIM_400000_NS6detail17trampoline_kernelINS0_14default_configENS1_22reduce_config_selectorIN6thrust23THRUST_200600_302600_NS5tupleIblNS6_9null_typeES8_S8_S8_S8_S8_S8_S8_EEEEZNS1_11reduce_implILb1ES3_PS9_SC_S9_NS6_11hip_rocprim9__find_if7functorIS9_EEEE10hipError_tPvRmT1_T2_T3_mT4_P12ihipStream_tbEUlT_E1_NS1_11comp_targetILNS1_3genE8ELNS1_11target_archE1030ELNS1_3gpuE2ELNS1_3repE0EEENS1_30default_config_static_selectorELNS0_4arch9wavefront6targetE1EEEvSK_.has_dyn_sized_stack, 0
	.set _ZN7rocprim17ROCPRIM_400000_NS6detail17trampoline_kernelINS0_14default_configENS1_22reduce_config_selectorIN6thrust23THRUST_200600_302600_NS5tupleIblNS6_9null_typeES8_S8_S8_S8_S8_S8_S8_EEEEZNS1_11reduce_implILb1ES3_PS9_SC_S9_NS6_11hip_rocprim9__find_if7functorIS9_EEEE10hipError_tPvRmT1_T2_T3_mT4_P12ihipStream_tbEUlT_E1_NS1_11comp_targetILNS1_3genE8ELNS1_11target_archE1030ELNS1_3gpuE2ELNS1_3repE0EEENS1_30default_config_static_selectorELNS0_4arch9wavefront6targetE1EEEvSK_.has_recursion, 0
	.set _ZN7rocprim17ROCPRIM_400000_NS6detail17trampoline_kernelINS0_14default_configENS1_22reduce_config_selectorIN6thrust23THRUST_200600_302600_NS5tupleIblNS6_9null_typeES8_S8_S8_S8_S8_S8_S8_EEEEZNS1_11reduce_implILb1ES3_PS9_SC_S9_NS6_11hip_rocprim9__find_if7functorIS9_EEEE10hipError_tPvRmT1_T2_T3_mT4_P12ihipStream_tbEUlT_E1_NS1_11comp_targetILNS1_3genE8ELNS1_11target_archE1030ELNS1_3gpuE2ELNS1_3repE0EEENS1_30default_config_static_selectorELNS0_4arch9wavefront6targetE1EEEvSK_.has_indirect_call, 0
	.section	.AMDGPU.csdata,"",@progbits
; Kernel info:
; codeLenInByte = 0
; TotalNumSgprs: 6
; NumVgprs: 0
; NumAgprs: 0
; TotalNumVgprs: 0
; ScratchSize: 0
; MemoryBound: 0
; FloatMode: 240
; IeeeMode: 1
; LDSByteSize: 0 bytes/workgroup (compile time only)
; SGPRBlocks: 0
; VGPRBlocks: 0
; NumSGPRsForWavesPerEU: 6
; NumVGPRsForWavesPerEU: 1
; AccumOffset: 4
; Occupancy: 8
; WaveLimiterHint : 0
; COMPUTE_PGM_RSRC2:SCRATCH_EN: 0
; COMPUTE_PGM_RSRC2:USER_SGPR: 2
; COMPUTE_PGM_RSRC2:TRAP_HANDLER: 0
; COMPUTE_PGM_RSRC2:TGID_X_EN: 1
; COMPUTE_PGM_RSRC2:TGID_Y_EN: 0
; COMPUTE_PGM_RSRC2:TGID_Z_EN: 0
; COMPUTE_PGM_RSRC2:TIDIG_COMP_CNT: 0
; COMPUTE_PGM_RSRC3_GFX90A:ACCUM_OFFSET: 0
; COMPUTE_PGM_RSRC3_GFX90A:TG_SPLIT: 0
	.section	.text._ZN7rocprim17ROCPRIM_400000_NS6detail17trampoline_kernelINS0_14default_configENS1_22reduce_config_selectorIN6thrust23THRUST_200600_302600_NS5tupleIblNS6_9null_typeES8_S8_S8_S8_S8_S8_S8_EEEEZNS1_11reduce_implILb1ES3_NS6_12zip_iteratorINS7_INS6_11hip_rocprim26transform_input_iterator_tIbNSD_35transform_pair_of_input_iterators_tIbNS6_6detail15normal_iteratorINS6_10device_ptrIKdEEEESL_NS6_8equal_toIdEEEENSG_9not_fun_tINSD_8identityEEEEENSD_19counting_iterator_tIlEES8_S8_S8_S8_S8_S8_S8_S8_EEEEPS9_S9_NSD_9__find_if7functorIS9_EEEE10hipError_tPvRmT1_T2_T3_mT4_P12ihipStream_tbEUlT_E0_NS1_11comp_targetILNS1_3genE0ELNS1_11target_archE4294967295ELNS1_3gpuE0ELNS1_3repE0EEENS1_30default_config_static_selectorELNS0_4arch9wavefront6targetE1EEEvS14_,"axG",@progbits,_ZN7rocprim17ROCPRIM_400000_NS6detail17trampoline_kernelINS0_14default_configENS1_22reduce_config_selectorIN6thrust23THRUST_200600_302600_NS5tupleIblNS6_9null_typeES8_S8_S8_S8_S8_S8_S8_EEEEZNS1_11reduce_implILb1ES3_NS6_12zip_iteratorINS7_INS6_11hip_rocprim26transform_input_iterator_tIbNSD_35transform_pair_of_input_iterators_tIbNS6_6detail15normal_iteratorINS6_10device_ptrIKdEEEESL_NS6_8equal_toIdEEEENSG_9not_fun_tINSD_8identityEEEEENSD_19counting_iterator_tIlEES8_S8_S8_S8_S8_S8_S8_S8_EEEEPS9_S9_NSD_9__find_if7functorIS9_EEEE10hipError_tPvRmT1_T2_T3_mT4_P12ihipStream_tbEUlT_E0_NS1_11comp_targetILNS1_3genE0ELNS1_11target_archE4294967295ELNS1_3gpuE0ELNS1_3repE0EEENS1_30default_config_static_selectorELNS0_4arch9wavefront6targetE1EEEvS14_,comdat
	.protected	_ZN7rocprim17ROCPRIM_400000_NS6detail17trampoline_kernelINS0_14default_configENS1_22reduce_config_selectorIN6thrust23THRUST_200600_302600_NS5tupleIblNS6_9null_typeES8_S8_S8_S8_S8_S8_S8_EEEEZNS1_11reduce_implILb1ES3_NS6_12zip_iteratorINS7_INS6_11hip_rocprim26transform_input_iterator_tIbNSD_35transform_pair_of_input_iterators_tIbNS6_6detail15normal_iteratorINS6_10device_ptrIKdEEEESL_NS6_8equal_toIdEEEENSG_9not_fun_tINSD_8identityEEEEENSD_19counting_iterator_tIlEES8_S8_S8_S8_S8_S8_S8_S8_EEEEPS9_S9_NSD_9__find_if7functorIS9_EEEE10hipError_tPvRmT1_T2_T3_mT4_P12ihipStream_tbEUlT_E0_NS1_11comp_targetILNS1_3genE0ELNS1_11target_archE4294967295ELNS1_3gpuE0ELNS1_3repE0EEENS1_30default_config_static_selectorELNS0_4arch9wavefront6targetE1EEEvS14_ ; -- Begin function _ZN7rocprim17ROCPRIM_400000_NS6detail17trampoline_kernelINS0_14default_configENS1_22reduce_config_selectorIN6thrust23THRUST_200600_302600_NS5tupleIblNS6_9null_typeES8_S8_S8_S8_S8_S8_S8_EEEEZNS1_11reduce_implILb1ES3_NS6_12zip_iteratorINS7_INS6_11hip_rocprim26transform_input_iterator_tIbNSD_35transform_pair_of_input_iterators_tIbNS6_6detail15normal_iteratorINS6_10device_ptrIKdEEEESL_NS6_8equal_toIdEEEENSG_9not_fun_tINSD_8identityEEEEENSD_19counting_iterator_tIlEES8_S8_S8_S8_S8_S8_S8_S8_EEEEPS9_S9_NSD_9__find_if7functorIS9_EEEE10hipError_tPvRmT1_T2_T3_mT4_P12ihipStream_tbEUlT_E0_NS1_11comp_targetILNS1_3genE0ELNS1_11target_archE4294967295ELNS1_3gpuE0ELNS1_3repE0EEENS1_30default_config_static_selectorELNS0_4arch9wavefront6targetE1EEEvS14_
	.globl	_ZN7rocprim17ROCPRIM_400000_NS6detail17trampoline_kernelINS0_14default_configENS1_22reduce_config_selectorIN6thrust23THRUST_200600_302600_NS5tupleIblNS6_9null_typeES8_S8_S8_S8_S8_S8_S8_EEEEZNS1_11reduce_implILb1ES3_NS6_12zip_iteratorINS7_INS6_11hip_rocprim26transform_input_iterator_tIbNSD_35transform_pair_of_input_iterators_tIbNS6_6detail15normal_iteratorINS6_10device_ptrIKdEEEESL_NS6_8equal_toIdEEEENSG_9not_fun_tINSD_8identityEEEEENSD_19counting_iterator_tIlEES8_S8_S8_S8_S8_S8_S8_S8_EEEEPS9_S9_NSD_9__find_if7functorIS9_EEEE10hipError_tPvRmT1_T2_T3_mT4_P12ihipStream_tbEUlT_E0_NS1_11comp_targetILNS1_3genE0ELNS1_11target_archE4294967295ELNS1_3gpuE0ELNS1_3repE0EEENS1_30default_config_static_selectorELNS0_4arch9wavefront6targetE1EEEvS14_
	.p2align	8
	.type	_ZN7rocprim17ROCPRIM_400000_NS6detail17trampoline_kernelINS0_14default_configENS1_22reduce_config_selectorIN6thrust23THRUST_200600_302600_NS5tupleIblNS6_9null_typeES8_S8_S8_S8_S8_S8_S8_EEEEZNS1_11reduce_implILb1ES3_NS6_12zip_iteratorINS7_INS6_11hip_rocprim26transform_input_iterator_tIbNSD_35transform_pair_of_input_iterators_tIbNS6_6detail15normal_iteratorINS6_10device_ptrIKdEEEESL_NS6_8equal_toIdEEEENSG_9not_fun_tINSD_8identityEEEEENSD_19counting_iterator_tIlEES8_S8_S8_S8_S8_S8_S8_S8_EEEEPS9_S9_NSD_9__find_if7functorIS9_EEEE10hipError_tPvRmT1_T2_T3_mT4_P12ihipStream_tbEUlT_E0_NS1_11comp_targetILNS1_3genE0ELNS1_11target_archE4294967295ELNS1_3gpuE0ELNS1_3repE0EEENS1_30default_config_static_selectorELNS0_4arch9wavefront6targetE1EEEvS14_,@function
_ZN7rocprim17ROCPRIM_400000_NS6detail17trampoline_kernelINS0_14default_configENS1_22reduce_config_selectorIN6thrust23THRUST_200600_302600_NS5tupleIblNS6_9null_typeES8_S8_S8_S8_S8_S8_S8_EEEEZNS1_11reduce_implILb1ES3_NS6_12zip_iteratorINS7_INS6_11hip_rocprim26transform_input_iterator_tIbNSD_35transform_pair_of_input_iterators_tIbNS6_6detail15normal_iteratorINS6_10device_ptrIKdEEEESL_NS6_8equal_toIdEEEENSG_9not_fun_tINSD_8identityEEEEENSD_19counting_iterator_tIlEES8_S8_S8_S8_S8_S8_S8_S8_EEEEPS9_S9_NSD_9__find_if7functorIS9_EEEE10hipError_tPvRmT1_T2_T3_mT4_P12ihipStream_tbEUlT_E0_NS1_11comp_targetILNS1_3genE0ELNS1_11target_archE4294967295ELNS1_3gpuE0ELNS1_3repE0EEENS1_30default_config_static_selectorELNS0_4arch9wavefront6targetE1EEEvS14_: ; @_ZN7rocprim17ROCPRIM_400000_NS6detail17trampoline_kernelINS0_14default_configENS1_22reduce_config_selectorIN6thrust23THRUST_200600_302600_NS5tupleIblNS6_9null_typeES8_S8_S8_S8_S8_S8_S8_EEEEZNS1_11reduce_implILb1ES3_NS6_12zip_iteratorINS7_INS6_11hip_rocprim26transform_input_iterator_tIbNSD_35transform_pair_of_input_iterators_tIbNS6_6detail15normal_iteratorINS6_10device_ptrIKdEEEESL_NS6_8equal_toIdEEEENSG_9not_fun_tINSD_8identityEEEEENSD_19counting_iterator_tIlEES8_S8_S8_S8_S8_S8_S8_S8_EEEEPS9_S9_NSD_9__find_if7functorIS9_EEEE10hipError_tPvRmT1_T2_T3_mT4_P12ihipStream_tbEUlT_E0_NS1_11comp_targetILNS1_3genE0ELNS1_11target_archE4294967295ELNS1_3gpuE0ELNS1_3repE0EEENS1_30default_config_static_selectorELNS0_4arch9wavefront6targetE1EEEvS14_
; %bb.0:
	s_load_dwordx8 s[8:15], s[0:1], 0x20
	s_load_dwordx4 s[4:7], s[0:1], 0x0
	s_load_dwordx4 s[16:19], s[0:1], 0x40
	s_mov_b32 s27, 0
	s_mov_b32 s3, s27
	s_waitcnt lgkmcnt(0)
	s_lshl_b64 s[20:21], s[10:11], 3
	s_add_u32 s22, s4, s20
	s_addc_u32 s23, s5, s21
	s_add_u32 s24, s6, s20
	s_addc_u32 s25, s7, s21
	s_lshl_b32 s26, s2, 8
	s_lshr_b64 s[4:5], s[12:13], 8
	s_lshl_b64 s[6:7], s[26:27], 3
	s_add_u32 s20, s22, s6
	s_addc_u32 s21, s23, s7
	s_add_u32 s22, s24, s6
	s_addc_u32 s23, s25, s7
	s_add_u32 s6, s8, s26
	s_addc_u32 s7, s9, 0
	s_add_u32 s24, s6, s10
	s_addc_u32 s25, s7, s11
	s_cmp_lg_u64 s[4:5], s[2:3]
	v_lshlrev_b32_e32 v10, 3, v0
	v_mbcnt_lo_u32_b32 v9, -1, 0
	s_cbranch_scc0 .LBB181_10
; %bb.1:
	global_load_dwordx2 v[2:3], v10, s[22:23]
	global_load_dwordx2 v[6:7], v10, s[22:23] offset:1024
	global_load_dwordx2 v[12:13], v10, s[20:21] offset:1024
	global_load_dwordx2 v[14:15], v10, s[20:21]
	v_mov_b32_e32 v1, 0
	s_mov_b64 s[4:5], 0x80
	v_lshl_add_u64 v[16:17], s[24:25], 0, v[0:1]
	v_lshl_add_u64 v[18:19], v[16:17], 0, s[4:5]
	v_mbcnt_hi_u32_b32 v4, -1, v9
	v_lshlrev_b32_e32 v1, 2, v4
	v_or_b32_e32 v5, 0xfc, v1
	s_waitcnt vmcnt(1)
	v_cmp_neq_f64_e32 vcc, v[12:13], v[6:7]
	s_waitcnt vmcnt(0)
	v_cmp_neq_f64_e64 s[4:5], v[14:15], v[2:3]
	s_nop 1
	v_cndmask_b32_e64 v3, v19, v17, s[4:5]
	v_cndmask_b32_e64 v2, v18, v16, s[4:5]
	s_or_b64 s[4:5], s[4:5], vcc
	v_cndmask_b32_e64 v8, 0, 1, s[4:5]
	v_mov_b32_dpp v7, v3 quad_perm:[1,0,3,2] row_mask:0xf bank_mask:0xf bound_ctrl:1
	v_mov_b32_dpp v6, v2 quad_perm:[1,0,3,2] row_mask:0xf bank_mask:0xf bound_ctrl:1
	;; [unrolled: 1-line block ×3, first 2 shown]
	v_cmp_lt_i64_e32 vcc, v[2:3], v[6:7]
	v_and_b32_e32 v11, 1, v11
	s_and_b64 vcc, s[4:5], vcc
	v_cndmask_b32_e32 v6, v6, v2, vcc
	v_cndmask_b32_e32 v7, v7, v3, vcc
	v_cmp_eq_u32_e32 vcc, 1, v11
	s_nop 1
	v_cndmask_b32_e32 v3, v3, v7, vcc
	v_cndmask_b32_e32 v2, v2, v6, vcc
	v_cndmask_b32_e64 v8, v8, 1, vcc
	v_mov_b32_dpp v7, v3 quad_perm:[2,3,0,1] row_mask:0xf bank_mask:0xf bound_ctrl:1
	v_mov_b32_dpp v6, v2 quad_perm:[2,3,0,1] row_mask:0xf bank_mask:0xf bound_ctrl:1
	v_and_b32_e32 v12, 1, v8
	v_mov_b32_dpp v11, v8 quad_perm:[2,3,0,1] row_mask:0xf bank_mask:0xf bound_ctrl:1
	v_cmp_eq_u32_e32 vcc, 1, v12
	v_cmp_lt_i64_e64 s[4:5], v[2:3], v[6:7]
	v_and_b32_e32 v11, 1, v11
	s_and_b64 vcc, vcc, s[4:5]
	v_cmp_eq_u32_e64 s[6:7], 1, v11
	v_cndmask_b32_e32 v6, v6, v2, vcc
	v_cndmask_b32_e32 v7, v7, v3, vcc
	v_cndmask_b32_e64 v8, v8, 1, s[6:7]
	v_cndmask_b32_e64 v2, v2, v6, s[6:7]
	;; [unrolled: 1-line block ×3, first 2 shown]
	v_and_b32_e32 v12, 1, v8
	v_mov_b32_dpp v6, v2 row_ror:4 row_mask:0xf bank_mask:0xf bound_ctrl:1
	v_mov_b32_dpp v7, v3 row_ror:4 row_mask:0xf bank_mask:0xf bound_ctrl:1
	;; [unrolled: 1-line block ×3, first 2 shown]
	v_cmp_eq_u32_e32 vcc, 1, v12
	v_cmp_lt_i64_e64 s[6:7], v[2:3], v[6:7]
	v_and_b32_e32 v11, 1, v11
	s_and_b64 vcc, vcc, s[6:7]
	v_cmp_eq_u32_e64 s[4:5], 1, v11
	v_cndmask_b32_e32 v6, v6, v2, vcc
	v_cndmask_b32_e32 v7, v7, v3, vcc
	v_cndmask_b32_e64 v8, v8, 1, s[4:5]
	v_cndmask_b32_e64 v2, v2, v6, s[4:5]
	;; [unrolled: 1-line block ×3, first 2 shown]
	v_and_b32_e32 v12, 1, v8
	v_mov_b32_dpp v6, v2 row_ror:8 row_mask:0xf bank_mask:0xf bound_ctrl:1
	v_mov_b32_dpp v7, v3 row_ror:8 row_mask:0xf bank_mask:0xf bound_ctrl:1
	;; [unrolled: 1-line block ×3, first 2 shown]
	v_cmp_eq_u32_e64 s[6:7], 1, v12
	v_cmp_lt_i64_e64 s[8:9], v[2:3], v[6:7]
	v_and_b32_e32 v11, 1, v11
	s_and_b64 s[6:7], s[6:7], s[8:9]
	v_cmp_eq_u32_e32 vcc, 1, v11
	v_cndmask_b32_e64 v6, v6, v2, s[6:7]
	v_cndmask_b32_e64 v7, v7, v3, s[6:7]
	v_cndmask_b32_e64 v8, v8, 1, vcc
	v_cndmask_b32_e32 v2, v2, v6, vcc
	v_cndmask_b32_e32 v3, v3, v7, vcc
	v_and_b32_e32 v12, 1, v8
	v_mov_b32_dpp v6, v2 row_bcast:15 row_mask:0xf bank_mask:0xf bound_ctrl:1
	v_mov_b32_dpp v7, v3 row_bcast:15 row_mask:0xf bank_mask:0xf bound_ctrl:1
	;; [unrolled: 1-line block ×3, first 2 shown]
	v_cmp_eq_u32_e64 s[4:5], 1, v12
	v_cmp_lt_i64_e64 s[8:9], v[2:3], v[6:7]
	v_and_b32_e32 v11, 1, v11
	s_and_b64 s[4:5], s[4:5], s[8:9]
	v_cmp_eq_u32_e64 s[10:11], 1, v11
	v_cndmask_b32_e64 v6, v6, v2, s[4:5]
	v_cndmask_b32_e64 v7, v7, v3, s[4:5]
	;; [unrolled: 1-line block ×5, first 2 shown]
	v_and_b32_e32 v12, 1, v8
	v_mov_b32_dpp v6, v2 row_bcast:31 row_mask:0xf bank_mask:0xf bound_ctrl:1
	v_mov_b32_dpp v7, v3 row_bcast:31 row_mask:0xf bank_mask:0xf bound_ctrl:1
	;; [unrolled: 1-line block ×3, first 2 shown]
	v_cmp_eq_u32_e64 s[6:7], 1, v12
	v_cmp_lt_i64_e64 s[4:5], v[2:3], v[6:7]
	v_and_b32_e32 v11, 1, v11
	s_and_b64 s[4:5], s[6:7], s[4:5]
	v_cmp_eq_u32_e32 vcc, 1, v11
	v_cndmask_b32_e64 v6, v6, v2, s[4:5]
	v_cndmask_b32_e64 v7, v7, v3, s[4:5]
	v_cndmask_b32_e64 v8, v8, 1, vcc
	v_cndmask_b32_e32 v2, v2, v6, vcc
	v_cndmask_b32_e32 v3, v3, v7, vcc
	ds_bpermute_b32 v8, v5, v8
	ds_bpermute_b32 v2, v5, v2
	;; [unrolled: 1-line block ×3, first 2 shown]
	v_cmp_eq_u32_e32 vcc, 0, v4
	s_and_saveexec_b64 s[4:5], vcc
	s_cbranch_execz .LBB181_3
; %bb.2:
	v_lshrrev_b32_e32 v5, 2, v0
	v_and_b32_e32 v5, 16, v5
	s_waitcnt lgkmcnt(2)
	ds_write_b8 v5, v8
	s_waitcnt lgkmcnt(1)
	ds_write_b64 v5, v[2:3] offset:8
.LBB181_3:
	s_or_b64 exec, exec, s[4:5]
	v_cmp_gt_u32_e32 vcc, 64, v0
	s_waitcnt lgkmcnt(0)
	s_barrier
	s_and_saveexec_b64 s[4:5], vcc
	s_cbranch_execz .LBB181_9
; %bb.4:
	v_and_b32_e32 v2, 1, v4
	v_lshlrev_b32_e32 v2, 4, v2
	ds_read_u8 v11, v2
	ds_read_b64 v[4:5], v2 offset:8
	v_or_b32_e32 v3, 4, v1
	s_waitcnt lgkmcnt(1)
	v_and_b32_e32 v2, 0xff, v11
	ds_bpermute_b32 v1, v3, v2
	s_waitcnt lgkmcnt(1)
	ds_bpermute_b32 v6, v3, v4
	ds_bpermute_b32 v7, v3, v5
	s_waitcnt lgkmcnt(2)
	v_and_b32_e32 v2, v11, v1
	v_and_b32_e32 v2, 1, v2
	v_cmp_eq_u32_e32 vcc, 1, v2
                                        ; implicit-def: $vgpr2_vgpr3
	s_and_saveexec_b64 s[6:7], vcc
	s_xor_b64 s[6:7], exec, s[6:7]
	s_cbranch_execz .LBB181_6
; %bb.5:
	s_waitcnt lgkmcnt(0)
	v_cmp_lt_i64_e32 vcc, v[6:7], v[4:5]
                                        ; implicit-def: $vgpr11
                                        ; implicit-def: $vgpr1
	s_nop 1
	v_cndmask_b32_e32 v3, v5, v7, vcc
	v_cndmask_b32_e32 v2, v4, v6, vcc
                                        ; implicit-def: $vgpr6_vgpr7
                                        ; implicit-def: $vgpr4_vgpr5
.LBB181_6:
	s_or_saveexec_b64 s[6:7], s[6:7]
	v_mov_b32_e32 v8, 1
	s_xor_b64 exec, exec, s[6:7]
	s_cbranch_execz .LBB181_8
; %bb.7:
	v_and_b32_e32 v2, 1, v11
	v_cmp_eq_u32_e32 vcc, 1, v2
	s_waitcnt lgkmcnt(0)
	s_nop 0
	v_cndmask_b32_e32 v3, v7, v5, vcc
	v_cndmask_b32_e32 v2, v6, v4, vcc
	v_cndmask_b32_e64 v8, v1, 1, vcc
.LBB181_8:
	s_or_b64 exec, exec, s[6:7]
.LBB181_9:
	s_or_b64 exec, exec, s[4:5]
	s_load_dword s10, s[0:1], 0x50
	s_load_dwordx2 s[8:9], s[0:1], 0x58
	s_branch .LBB181_62
.LBB181_10:
                                        ; implicit-def: $vgpr2_vgpr3
                                        ; implicit-def: $vgpr8
	s_load_dword s10, s[0:1], 0x50
	s_load_dwordx2 s[8:9], s[0:1], 0x58
	s_cbranch_execz .LBB181_62
; %bb.11:
	s_sub_i32 s11, s12, s26
	v_cmp_gt_u32_e32 vcc, s11, v0
	s_waitcnt lgkmcnt(0)
	v_mov_b32_e32 v7, 0
	v_mov_b64_e32 v[4:5], 0
	v_mov_b64_e32 v[2:3], 0
	v_mov_b32_e32 v1, 0
	s_and_saveexec_b64 s[0:1], vcc
	s_cbranch_execz .LBB181_13
; %bb.12:
	global_load_dwordx2 v[12:13], v10, s[20:21]
	global_load_dwordx2 v[14:15], v10, s[22:23]
	v_mov_b32_e32 v1, 0
	v_lshl_add_u64 v[2:3], s[24:25], 0, v[0:1]
	s_waitcnt vmcnt(0)
	v_cmp_neq_f64_e32 vcc, v[12:13], v[14:15]
	s_nop 1
	v_cndmask_b32_e64 v1, 0, 1, vcc
.LBB181_13:
	s_or_b64 exec, exec, s[0:1]
	v_or_b32_e32 v6, 0x80, v0
	v_cmp_gt_u32_e32 vcc, s11, v6
	s_and_saveexec_b64 s[4:5], vcc
	s_cbranch_execz .LBB181_15
; %bb.14:
	global_load_dwordx2 v[12:13], v10, s[20:21] offset:1024
	global_load_dwordx2 v[14:15], v10, s[22:23] offset:1024
	v_mov_b32_e32 v7, 0
	v_lshl_add_u64 v[4:5], s[24:25], 0, v[6:7]
	s_waitcnt vmcnt(0)
	v_cmp_neq_f64_e64 s[0:1], v[12:13], v[14:15]
	s_nop 1
	v_cndmask_b32_e64 v7, 0, 1, s[0:1]
.LBB181_15:
	s_or_b64 exec, exec, s[4:5]
	v_and_b32_e32 v8, 0xffff, v7
	v_and_b32_e32 v7, 1, v7
	;; [unrolled: 1-line block ×3, first 2 shown]
	v_cmp_eq_u32_e64 s[0:1], 1, v7
	v_and_b32_e32 v1, 1, v1
	v_cmp_lt_i64_e64 s[4:5], v[4:5], v[2:3]
	v_cmp_eq_u32_e64 s[6:7], 1, v1
	s_and_b64 s[0:1], s[0:1], s[4:5]
	v_cndmask_b32_e64 v7, v3, v5, s[0:1]
	v_cndmask_b32_e64 v1, v8, 1, s[6:7]
	v_cndmask_b32_e64 v8, v2, v4, s[0:1]
	v_cndmask_b32_e64 v4, v4, v8, s[6:7]
	v_cndmask_b32_e32 v8, v6, v1, vcc
	v_mbcnt_hi_u32_b32 v1, -1, v9
	v_cndmask_b32_e64 v5, v5, v7, s[6:7]
	v_and_b32_e32 v6, 63, v1
	v_cndmask_b32_e32 v3, v3, v5, vcc
	v_cndmask_b32_e32 v2, v2, v4, vcc
	v_cmp_ne_u32_e32 vcc, 63, v6
	s_min_u32 s6, s11, 0x80
	v_and_b32_e32 v7, 64, v0
	v_addc_co_u32_e32 v4, vcc, 0, v1, vcc
	v_lshlrev_b32_e32 v5, 2, v4
	ds_bpermute_b32 v9, v5, v8
	ds_bpermute_b32 v4, v5, v2
	ds_bpermute_b32 v5, v5, v3
	v_sub_u32_e64 v7, s6, v7 clamp
	v_add_u32_e32 v10, 1, v6
	v_cmp_lt_u32_e32 vcc, v10, v7
	s_and_saveexec_b64 s[0:1], vcc
	s_cbranch_execz .LBB181_21
; %bb.16:
	s_waitcnt lgkmcnt(2)
	v_and_b32_e32 v10, v9, v8
	v_cmp_ne_u32_e32 vcc, 0, v10
	s_and_saveexec_b64 s[4:5], vcc
	s_xor_b64 s[4:5], exec, s[4:5]
	s_cbranch_execz .LBB181_18
; %bb.17:
	s_waitcnt lgkmcnt(0)
	v_cmp_lt_i64_e32 vcc, v[4:5], v[2:3]
                                        ; implicit-def: $vgpr8
                                        ; implicit-def: $vgpr9
	s_nop 1
	v_cndmask_b32_e32 v3, v3, v5, vcc
	v_cndmask_b32_e32 v2, v2, v4, vcc
                                        ; implicit-def: $vgpr4_vgpr5
.LBB181_18:
	s_or_saveexec_b64 s[4:5], s[4:5]
	v_mov_b32_e32 v10, 1
	s_xor_b64 exec, exec, s[4:5]
	s_cbranch_execz .LBB181_20
; %bb.19:
	v_and_b32_e32 v8, 1, v8
	v_cmp_eq_u32_e32 vcc, 1, v8
	s_waitcnt lgkmcnt(1)
	s_nop 0
	v_cndmask_b32_e32 v2, v4, v2, vcc
	v_and_b32_e32 v4, 0xff, v9
	s_waitcnt lgkmcnt(0)
	v_cndmask_b32_e32 v3, v5, v3, vcc
	v_cndmask_b32_e64 v10, v4, 1, vcc
.LBB181_20:
	s_or_b64 exec, exec, s[4:5]
	v_mov_b32_e32 v8, v10
.LBB181_21:
	s_or_b64 exec, exec, s[0:1]
	v_cmp_gt_u32_e32 vcc, 62, v6
	v_add_u32_e32 v10, 2, v6
	s_waitcnt lgkmcnt(1)
	v_cndmask_b32_e64 v4, 0, 2, vcc
	s_waitcnt lgkmcnt(0)
	v_add_lshl_u32 v5, v4, v1, 2
	ds_bpermute_b32 v9, v5, v8
	ds_bpermute_b32 v4, v5, v2
	ds_bpermute_b32 v5, v5, v3
	v_cmp_lt_u32_e32 vcc, v10, v7
	s_and_saveexec_b64 s[0:1], vcc
	s_cbranch_execz .LBB181_27
; %bb.22:
	s_waitcnt lgkmcnt(2)
	v_and_b32_e32 v10, v8, v9
	v_and_b32_e32 v10, 1, v10
	v_cmp_eq_u32_e32 vcc, 1, v10
	s_and_saveexec_b64 s[4:5], vcc
	s_xor_b64 s[4:5], exec, s[4:5]
	s_cbranch_execz .LBB181_24
; %bb.23:
	s_waitcnt lgkmcnt(0)
	v_cmp_lt_i64_e32 vcc, v[4:5], v[2:3]
                                        ; implicit-def: $vgpr8
                                        ; implicit-def: $vgpr9
	s_nop 1
	v_cndmask_b32_e32 v3, v3, v5, vcc
	v_cndmask_b32_e32 v2, v2, v4, vcc
                                        ; implicit-def: $vgpr4_vgpr5
.LBB181_24:
	s_or_saveexec_b64 s[4:5], s[4:5]
	v_mov_b32_e32 v10, 1
	s_xor_b64 exec, exec, s[4:5]
	s_cbranch_execz .LBB181_26
; %bb.25:
	v_and_b32_e32 v8, 1, v8
	v_cmp_eq_u32_e32 vcc, 1, v8
	s_waitcnt lgkmcnt(1)
	s_nop 0
	v_cndmask_b32_e32 v2, v4, v2, vcc
	v_and_b32_e32 v4, 0xff, v9
	s_waitcnt lgkmcnt(0)
	v_cndmask_b32_e32 v3, v5, v3, vcc
	v_cndmask_b32_e64 v10, v4, 1, vcc
.LBB181_26:
	s_or_b64 exec, exec, s[4:5]
	v_mov_b32_e32 v8, v10
.LBB181_27:
	s_or_b64 exec, exec, s[0:1]
	v_cmp_gt_u32_e32 vcc, 60, v6
	v_add_u32_e32 v10, 4, v6
	s_waitcnt lgkmcnt(1)
	v_cndmask_b32_e64 v4, 0, 4, vcc
	s_waitcnt lgkmcnt(0)
	v_add_lshl_u32 v5, v4, v1, 2
	ds_bpermute_b32 v9, v5, v8
	ds_bpermute_b32 v4, v5, v2
	ds_bpermute_b32 v5, v5, v3
	v_cmp_lt_u32_e32 vcc, v10, v7
	s_and_saveexec_b64 s[0:1], vcc
	s_cbranch_execz .LBB181_33
; %bb.28:
	s_waitcnt lgkmcnt(2)
	v_and_b32_e32 v10, v8, v9
	v_and_b32_e32 v10, 1, v10
	v_cmp_eq_u32_e32 vcc, 1, v10
	s_and_saveexec_b64 s[4:5], vcc
	s_xor_b64 s[4:5], exec, s[4:5]
	s_cbranch_execz .LBB181_30
; %bb.29:
	s_waitcnt lgkmcnt(0)
	v_cmp_lt_i64_e32 vcc, v[4:5], v[2:3]
                                        ; implicit-def: $vgpr8
                                        ; implicit-def: $vgpr9
	s_nop 1
	v_cndmask_b32_e32 v3, v3, v5, vcc
	v_cndmask_b32_e32 v2, v2, v4, vcc
                                        ; implicit-def: $vgpr4_vgpr5
.LBB181_30:
	s_or_saveexec_b64 s[4:5], s[4:5]
	v_mov_b32_e32 v10, 1
	s_xor_b64 exec, exec, s[4:5]
	s_cbranch_execz .LBB181_32
; %bb.31:
	v_and_b32_e32 v8, 1, v8
	v_cmp_eq_u32_e32 vcc, 1, v8
	s_waitcnt lgkmcnt(1)
	s_nop 0
	v_cndmask_b32_e32 v2, v4, v2, vcc
	v_and_b32_e32 v4, 0xff, v9
	s_waitcnt lgkmcnt(0)
	v_cndmask_b32_e32 v3, v5, v3, vcc
	v_cndmask_b32_e64 v10, v4, 1, vcc
.LBB181_32:
	s_or_b64 exec, exec, s[4:5]
	v_mov_b32_e32 v8, v10
.LBB181_33:
	;; [unrolled: 49-line block ×4, first 2 shown]
	s_or_b64 exec, exec, s[0:1]
	s_waitcnt lgkmcnt(2)
	v_lshlrev_b32_e32 v9, 2, v1
	s_waitcnt lgkmcnt(0)
	v_or_b32_e32 v5, 0x80, v9
	ds_bpermute_b32 v10, v5, v8
	ds_bpermute_b32 v4, v5, v2
	;; [unrolled: 1-line block ×3, first 2 shown]
	v_add_u32_e32 v6, 32, v6
	v_cmp_lt_u32_e32 vcc, v6, v7
	v_mov_b32_e32 v6, v8
	s_and_saveexec_b64 s[0:1], vcc
	s_cbranch_execz .LBB181_51
; %bb.46:
	s_waitcnt lgkmcnt(2)
	v_and_b32_e32 v6, v8, v10
	v_and_b32_e32 v6, 1, v6
	v_cmp_eq_u32_e32 vcc, 1, v6
	s_and_saveexec_b64 s[4:5], vcc
	s_xor_b64 s[4:5], exec, s[4:5]
	s_cbranch_execz .LBB181_48
; %bb.47:
	s_waitcnt lgkmcnt(0)
	v_cmp_lt_i64_e32 vcc, v[4:5], v[2:3]
                                        ; implicit-def: $vgpr8
                                        ; implicit-def: $vgpr10
	s_nop 1
	v_cndmask_b32_e32 v3, v3, v5, vcc
	v_cndmask_b32_e32 v2, v2, v4, vcc
                                        ; implicit-def: $vgpr4_vgpr5
.LBB181_48:
	s_or_saveexec_b64 s[4:5], s[4:5]
	v_mov_b32_e32 v6, 1
	s_xor_b64 exec, exec, s[4:5]
	s_cbranch_execz .LBB181_50
; %bb.49:
	v_and_b32_e32 v6, 1, v8
	v_cmp_eq_u32_e32 vcc, 1, v6
	s_nop 1
	v_cndmask_b32_e64 v6, v10, 1, vcc
	s_waitcnt lgkmcnt(0)
	v_cndmask_b32_e32 v3, v5, v3, vcc
	v_cndmask_b32_e32 v2, v4, v2, vcc
.LBB181_50:
	s_or_b64 exec, exec, s[4:5]
	v_and_b32_e32 v8, 0xff, v6
.LBB181_51:
	s_or_b64 exec, exec, s[0:1]
	v_cmp_eq_u32_e32 vcc, 0, v1
	s_and_saveexec_b64 s[0:1], vcc
	s_cbranch_execz .LBB181_53
; %bb.52:
	s_waitcnt lgkmcnt(1)
	v_lshrrev_b32_e32 v4, 2, v0
	v_and_b32_e32 v4, 16, v4
	ds_write_b8 v4, v6 offset:32
	ds_write_b64 v4, v[2:3] offset:40
.LBB181_53:
	s_or_b64 exec, exec, s[0:1]
	v_cmp_gt_u32_e32 vcc, 2, v0
	s_waitcnt lgkmcnt(0)
	s_barrier
	s_and_saveexec_b64 s[0:1], vcc
	s_cbranch_execz .LBB181_61
; %bb.54:
	v_lshlrev_b32_e32 v2, 4, v1
	ds_read_u8 v6, v2 offset:32
	ds_read_b64 v[2:3], v2 offset:40
	v_or_b32_e32 v5, 4, v9
	s_add_i32 s6, s6, 63
	v_and_b32_e32 v1, 1, v1
	s_waitcnt lgkmcnt(1)
	v_and_b32_e32 v8, 0xff, v6
	s_waitcnt lgkmcnt(0)
	ds_bpermute_b32 v4, v5, v2
	ds_bpermute_b32 v7, v5, v8
	;; [unrolled: 1-line block ×3, first 2 shown]
	s_lshr_b32 s4, s6, 6
	v_add_u32_e32 v1, 1, v1
	v_cmp_gt_u32_e32 vcc, s4, v1
	s_and_saveexec_b64 s[4:5], vcc
	s_cbranch_execz .LBB181_60
; %bb.55:
	s_waitcnt lgkmcnt(1)
	v_and_b32_e32 v1, v8, v7
	v_and_b32_e32 v1, 1, v1
	v_cmp_eq_u32_e32 vcc, 1, v1
	s_and_saveexec_b64 s[6:7], vcc
	s_xor_b64 s[6:7], exec, s[6:7]
	s_cbranch_execz .LBB181_57
; %bb.56:
	s_waitcnt lgkmcnt(0)
	v_cmp_lt_i64_e32 vcc, v[4:5], v[2:3]
                                        ; implicit-def: $vgpr6
                                        ; implicit-def: $vgpr7
	s_nop 1
	v_cndmask_b32_e32 v3, v3, v5, vcc
	v_cndmask_b32_e32 v2, v2, v4, vcc
                                        ; implicit-def: $vgpr4_vgpr5
.LBB181_57:
	s_or_saveexec_b64 s[6:7], s[6:7]
	v_mov_b32_e32 v8, 1
	s_xor_b64 exec, exec, s[6:7]
	s_cbranch_execz .LBB181_59
; %bb.58:
	v_and_b32_e32 v1, 1, v6
	v_cmp_eq_u32_e32 vcc, 1, v1
	s_waitcnt lgkmcnt(0)
	s_nop 0
	v_cndmask_b32_e32 v3, v5, v3, vcc
	v_cndmask_b32_e32 v2, v4, v2, vcc
	v_cndmask_b32_e64 v8, v7, 1, vcc
.LBB181_59:
	s_or_b64 exec, exec, s[6:7]
.LBB181_60:
	s_or_b64 exec, exec, s[4:5]
.LBB181_61:
	s_or_b64 exec, exec, s[0:1]
.LBB181_62:
	v_cmp_eq_u32_e32 vcc, 0, v0
	s_and_saveexec_b64 s[0:1], vcc
	s_cbranch_execnz .LBB181_64
; %bb.63:
	s_endpgm
.LBB181_64:
	s_mul_i32 s0, s18, s17
	s_mul_hi_u32 s1, s18, s16
	s_add_i32 s0, s1, s0
	s_mul_i32 s1, s19, s16
	s_add_i32 s1, s0, s1
	s_mul_i32 s0, s18, s16
	s_lshl_b64 s[0:1], s[0:1], 4
	s_add_u32 s4, s14, s0
	s_addc_u32 s5, s15, s1
	s_cmp_eq_u64 s[12:13], 0
	s_waitcnt lgkmcnt(0)
	v_mov_b32_e32 v0, s9
	s_cselect_b64 vcc, -1, 0
	v_cndmask_b32_e32 v1, v3, v0, vcc
	v_mov_b32_e32 v0, s8
	s_lshl_b64 s[0:1], s[2:3], 4
	v_cndmask_b32_e32 v0, v2, v0, vcc
	v_mov_b32_e32 v2, s10
	s_add_u32 s0, s4, s0
	v_cndmask_b32_e32 v2, v8, v2, vcc
	s_addc_u32 s1, s5, s1
	v_mov_b32_e32 v3, 0
	global_store_byte v3, v2, s[0:1]
	global_store_dwordx2 v3, v[0:1], s[0:1] offset:8
	s_endpgm
	.section	.rodata,"a",@progbits
	.p2align	6, 0x0
	.amdhsa_kernel _ZN7rocprim17ROCPRIM_400000_NS6detail17trampoline_kernelINS0_14default_configENS1_22reduce_config_selectorIN6thrust23THRUST_200600_302600_NS5tupleIblNS6_9null_typeES8_S8_S8_S8_S8_S8_S8_EEEEZNS1_11reduce_implILb1ES3_NS6_12zip_iteratorINS7_INS6_11hip_rocprim26transform_input_iterator_tIbNSD_35transform_pair_of_input_iterators_tIbNS6_6detail15normal_iteratorINS6_10device_ptrIKdEEEESL_NS6_8equal_toIdEEEENSG_9not_fun_tINSD_8identityEEEEENSD_19counting_iterator_tIlEES8_S8_S8_S8_S8_S8_S8_S8_EEEEPS9_S9_NSD_9__find_if7functorIS9_EEEE10hipError_tPvRmT1_T2_T3_mT4_P12ihipStream_tbEUlT_E0_NS1_11comp_targetILNS1_3genE0ELNS1_11target_archE4294967295ELNS1_3gpuE0ELNS1_3repE0EEENS1_30default_config_static_selectorELNS0_4arch9wavefront6targetE1EEEvS14_
		.amdhsa_group_segment_fixed_size 64
		.amdhsa_private_segment_fixed_size 0
		.amdhsa_kernarg_size 104
		.amdhsa_user_sgpr_count 2
		.amdhsa_user_sgpr_dispatch_ptr 0
		.amdhsa_user_sgpr_queue_ptr 0
		.amdhsa_user_sgpr_kernarg_segment_ptr 1
		.amdhsa_user_sgpr_dispatch_id 0
		.amdhsa_user_sgpr_kernarg_preload_length 0
		.amdhsa_user_sgpr_kernarg_preload_offset 0
		.amdhsa_user_sgpr_private_segment_size 0
		.amdhsa_uses_dynamic_stack 0
		.amdhsa_enable_private_segment 0
		.amdhsa_system_sgpr_workgroup_id_x 1
		.amdhsa_system_sgpr_workgroup_id_y 0
		.amdhsa_system_sgpr_workgroup_id_z 0
		.amdhsa_system_sgpr_workgroup_info 0
		.amdhsa_system_vgpr_workitem_id 0
		.amdhsa_next_free_vgpr 20
		.amdhsa_next_free_sgpr 28
		.amdhsa_accum_offset 20
		.amdhsa_reserve_vcc 1
		.amdhsa_float_round_mode_32 0
		.amdhsa_float_round_mode_16_64 0
		.amdhsa_float_denorm_mode_32 3
		.amdhsa_float_denorm_mode_16_64 3
		.amdhsa_dx10_clamp 1
		.amdhsa_ieee_mode 1
		.amdhsa_fp16_overflow 0
		.amdhsa_tg_split 0
		.amdhsa_exception_fp_ieee_invalid_op 0
		.amdhsa_exception_fp_denorm_src 0
		.amdhsa_exception_fp_ieee_div_zero 0
		.amdhsa_exception_fp_ieee_overflow 0
		.amdhsa_exception_fp_ieee_underflow 0
		.amdhsa_exception_fp_ieee_inexact 0
		.amdhsa_exception_int_div_zero 0
	.end_amdhsa_kernel
	.section	.text._ZN7rocprim17ROCPRIM_400000_NS6detail17trampoline_kernelINS0_14default_configENS1_22reduce_config_selectorIN6thrust23THRUST_200600_302600_NS5tupleIblNS6_9null_typeES8_S8_S8_S8_S8_S8_S8_EEEEZNS1_11reduce_implILb1ES3_NS6_12zip_iteratorINS7_INS6_11hip_rocprim26transform_input_iterator_tIbNSD_35transform_pair_of_input_iterators_tIbNS6_6detail15normal_iteratorINS6_10device_ptrIKdEEEESL_NS6_8equal_toIdEEEENSG_9not_fun_tINSD_8identityEEEEENSD_19counting_iterator_tIlEES8_S8_S8_S8_S8_S8_S8_S8_EEEEPS9_S9_NSD_9__find_if7functorIS9_EEEE10hipError_tPvRmT1_T2_T3_mT4_P12ihipStream_tbEUlT_E0_NS1_11comp_targetILNS1_3genE0ELNS1_11target_archE4294967295ELNS1_3gpuE0ELNS1_3repE0EEENS1_30default_config_static_selectorELNS0_4arch9wavefront6targetE1EEEvS14_,"axG",@progbits,_ZN7rocprim17ROCPRIM_400000_NS6detail17trampoline_kernelINS0_14default_configENS1_22reduce_config_selectorIN6thrust23THRUST_200600_302600_NS5tupleIblNS6_9null_typeES8_S8_S8_S8_S8_S8_S8_EEEEZNS1_11reduce_implILb1ES3_NS6_12zip_iteratorINS7_INS6_11hip_rocprim26transform_input_iterator_tIbNSD_35transform_pair_of_input_iterators_tIbNS6_6detail15normal_iteratorINS6_10device_ptrIKdEEEESL_NS6_8equal_toIdEEEENSG_9not_fun_tINSD_8identityEEEEENSD_19counting_iterator_tIlEES8_S8_S8_S8_S8_S8_S8_S8_EEEEPS9_S9_NSD_9__find_if7functorIS9_EEEE10hipError_tPvRmT1_T2_T3_mT4_P12ihipStream_tbEUlT_E0_NS1_11comp_targetILNS1_3genE0ELNS1_11target_archE4294967295ELNS1_3gpuE0ELNS1_3repE0EEENS1_30default_config_static_selectorELNS0_4arch9wavefront6targetE1EEEvS14_,comdat
.Lfunc_end181:
	.size	_ZN7rocprim17ROCPRIM_400000_NS6detail17trampoline_kernelINS0_14default_configENS1_22reduce_config_selectorIN6thrust23THRUST_200600_302600_NS5tupleIblNS6_9null_typeES8_S8_S8_S8_S8_S8_S8_EEEEZNS1_11reduce_implILb1ES3_NS6_12zip_iteratorINS7_INS6_11hip_rocprim26transform_input_iterator_tIbNSD_35transform_pair_of_input_iterators_tIbNS6_6detail15normal_iteratorINS6_10device_ptrIKdEEEESL_NS6_8equal_toIdEEEENSG_9not_fun_tINSD_8identityEEEEENSD_19counting_iterator_tIlEES8_S8_S8_S8_S8_S8_S8_S8_EEEEPS9_S9_NSD_9__find_if7functorIS9_EEEE10hipError_tPvRmT1_T2_T3_mT4_P12ihipStream_tbEUlT_E0_NS1_11comp_targetILNS1_3genE0ELNS1_11target_archE4294967295ELNS1_3gpuE0ELNS1_3repE0EEENS1_30default_config_static_selectorELNS0_4arch9wavefront6targetE1EEEvS14_, .Lfunc_end181-_ZN7rocprim17ROCPRIM_400000_NS6detail17trampoline_kernelINS0_14default_configENS1_22reduce_config_selectorIN6thrust23THRUST_200600_302600_NS5tupleIblNS6_9null_typeES8_S8_S8_S8_S8_S8_S8_EEEEZNS1_11reduce_implILb1ES3_NS6_12zip_iteratorINS7_INS6_11hip_rocprim26transform_input_iterator_tIbNSD_35transform_pair_of_input_iterators_tIbNS6_6detail15normal_iteratorINS6_10device_ptrIKdEEEESL_NS6_8equal_toIdEEEENSG_9not_fun_tINSD_8identityEEEEENSD_19counting_iterator_tIlEES8_S8_S8_S8_S8_S8_S8_S8_EEEEPS9_S9_NSD_9__find_if7functorIS9_EEEE10hipError_tPvRmT1_T2_T3_mT4_P12ihipStream_tbEUlT_E0_NS1_11comp_targetILNS1_3genE0ELNS1_11target_archE4294967295ELNS1_3gpuE0ELNS1_3repE0EEENS1_30default_config_static_selectorELNS0_4arch9wavefront6targetE1EEEvS14_
                                        ; -- End function
	.set _ZN7rocprim17ROCPRIM_400000_NS6detail17trampoline_kernelINS0_14default_configENS1_22reduce_config_selectorIN6thrust23THRUST_200600_302600_NS5tupleIblNS6_9null_typeES8_S8_S8_S8_S8_S8_S8_EEEEZNS1_11reduce_implILb1ES3_NS6_12zip_iteratorINS7_INS6_11hip_rocprim26transform_input_iterator_tIbNSD_35transform_pair_of_input_iterators_tIbNS6_6detail15normal_iteratorINS6_10device_ptrIKdEEEESL_NS6_8equal_toIdEEEENSG_9not_fun_tINSD_8identityEEEEENSD_19counting_iterator_tIlEES8_S8_S8_S8_S8_S8_S8_S8_EEEEPS9_S9_NSD_9__find_if7functorIS9_EEEE10hipError_tPvRmT1_T2_T3_mT4_P12ihipStream_tbEUlT_E0_NS1_11comp_targetILNS1_3genE0ELNS1_11target_archE4294967295ELNS1_3gpuE0ELNS1_3repE0EEENS1_30default_config_static_selectorELNS0_4arch9wavefront6targetE1EEEvS14_.num_vgpr, 20
	.set _ZN7rocprim17ROCPRIM_400000_NS6detail17trampoline_kernelINS0_14default_configENS1_22reduce_config_selectorIN6thrust23THRUST_200600_302600_NS5tupleIblNS6_9null_typeES8_S8_S8_S8_S8_S8_S8_EEEEZNS1_11reduce_implILb1ES3_NS6_12zip_iteratorINS7_INS6_11hip_rocprim26transform_input_iterator_tIbNSD_35transform_pair_of_input_iterators_tIbNS6_6detail15normal_iteratorINS6_10device_ptrIKdEEEESL_NS6_8equal_toIdEEEENSG_9not_fun_tINSD_8identityEEEEENSD_19counting_iterator_tIlEES8_S8_S8_S8_S8_S8_S8_S8_EEEEPS9_S9_NSD_9__find_if7functorIS9_EEEE10hipError_tPvRmT1_T2_T3_mT4_P12ihipStream_tbEUlT_E0_NS1_11comp_targetILNS1_3genE0ELNS1_11target_archE4294967295ELNS1_3gpuE0ELNS1_3repE0EEENS1_30default_config_static_selectorELNS0_4arch9wavefront6targetE1EEEvS14_.num_agpr, 0
	.set _ZN7rocprim17ROCPRIM_400000_NS6detail17trampoline_kernelINS0_14default_configENS1_22reduce_config_selectorIN6thrust23THRUST_200600_302600_NS5tupleIblNS6_9null_typeES8_S8_S8_S8_S8_S8_S8_EEEEZNS1_11reduce_implILb1ES3_NS6_12zip_iteratorINS7_INS6_11hip_rocprim26transform_input_iterator_tIbNSD_35transform_pair_of_input_iterators_tIbNS6_6detail15normal_iteratorINS6_10device_ptrIKdEEEESL_NS6_8equal_toIdEEEENSG_9not_fun_tINSD_8identityEEEEENSD_19counting_iterator_tIlEES8_S8_S8_S8_S8_S8_S8_S8_EEEEPS9_S9_NSD_9__find_if7functorIS9_EEEE10hipError_tPvRmT1_T2_T3_mT4_P12ihipStream_tbEUlT_E0_NS1_11comp_targetILNS1_3genE0ELNS1_11target_archE4294967295ELNS1_3gpuE0ELNS1_3repE0EEENS1_30default_config_static_selectorELNS0_4arch9wavefront6targetE1EEEvS14_.numbered_sgpr, 28
	.set _ZN7rocprim17ROCPRIM_400000_NS6detail17trampoline_kernelINS0_14default_configENS1_22reduce_config_selectorIN6thrust23THRUST_200600_302600_NS5tupleIblNS6_9null_typeES8_S8_S8_S8_S8_S8_S8_EEEEZNS1_11reduce_implILb1ES3_NS6_12zip_iteratorINS7_INS6_11hip_rocprim26transform_input_iterator_tIbNSD_35transform_pair_of_input_iterators_tIbNS6_6detail15normal_iteratorINS6_10device_ptrIKdEEEESL_NS6_8equal_toIdEEEENSG_9not_fun_tINSD_8identityEEEEENSD_19counting_iterator_tIlEES8_S8_S8_S8_S8_S8_S8_S8_EEEEPS9_S9_NSD_9__find_if7functorIS9_EEEE10hipError_tPvRmT1_T2_T3_mT4_P12ihipStream_tbEUlT_E0_NS1_11comp_targetILNS1_3genE0ELNS1_11target_archE4294967295ELNS1_3gpuE0ELNS1_3repE0EEENS1_30default_config_static_selectorELNS0_4arch9wavefront6targetE1EEEvS14_.num_named_barrier, 0
	.set _ZN7rocprim17ROCPRIM_400000_NS6detail17trampoline_kernelINS0_14default_configENS1_22reduce_config_selectorIN6thrust23THRUST_200600_302600_NS5tupleIblNS6_9null_typeES8_S8_S8_S8_S8_S8_S8_EEEEZNS1_11reduce_implILb1ES3_NS6_12zip_iteratorINS7_INS6_11hip_rocprim26transform_input_iterator_tIbNSD_35transform_pair_of_input_iterators_tIbNS6_6detail15normal_iteratorINS6_10device_ptrIKdEEEESL_NS6_8equal_toIdEEEENSG_9not_fun_tINSD_8identityEEEEENSD_19counting_iterator_tIlEES8_S8_S8_S8_S8_S8_S8_S8_EEEEPS9_S9_NSD_9__find_if7functorIS9_EEEE10hipError_tPvRmT1_T2_T3_mT4_P12ihipStream_tbEUlT_E0_NS1_11comp_targetILNS1_3genE0ELNS1_11target_archE4294967295ELNS1_3gpuE0ELNS1_3repE0EEENS1_30default_config_static_selectorELNS0_4arch9wavefront6targetE1EEEvS14_.private_seg_size, 0
	.set _ZN7rocprim17ROCPRIM_400000_NS6detail17trampoline_kernelINS0_14default_configENS1_22reduce_config_selectorIN6thrust23THRUST_200600_302600_NS5tupleIblNS6_9null_typeES8_S8_S8_S8_S8_S8_S8_EEEEZNS1_11reduce_implILb1ES3_NS6_12zip_iteratorINS7_INS6_11hip_rocprim26transform_input_iterator_tIbNSD_35transform_pair_of_input_iterators_tIbNS6_6detail15normal_iteratorINS6_10device_ptrIKdEEEESL_NS6_8equal_toIdEEEENSG_9not_fun_tINSD_8identityEEEEENSD_19counting_iterator_tIlEES8_S8_S8_S8_S8_S8_S8_S8_EEEEPS9_S9_NSD_9__find_if7functorIS9_EEEE10hipError_tPvRmT1_T2_T3_mT4_P12ihipStream_tbEUlT_E0_NS1_11comp_targetILNS1_3genE0ELNS1_11target_archE4294967295ELNS1_3gpuE0ELNS1_3repE0EEENS1_30default_config_static_selectorELNS0_4arch9wavefront6targetE1EEEvS14_.uses_vcc, 1
	.set _ZN7rocprim17ROCPRIM_400000_NS6detail17trampoline_kernelINS0_14default_configENS1_22reduce_config_selectorIN6thrust23THRUST_200600_302600_NS5tupleIblNS6_9null_typeES8_S8_S8_S8_S8_S8_S8_EEEEZNS1_11reduce_implILb1ES3_NS6_12zip_iteratorINS7_INS6_11hip_rocprim26transform_input_iterator_tIbNSD_35transform_pair_of_input_iterators_tIbNS6_6detail15normal_iteratorINS6_10device_ptrIKdEEEESL_NS6_8equal_toIdEEEENSG_9not_fun_tINSD_8identityEEEEENSD_19counting_iterator_tIlEES8_S8_S8_S8_S8_S8_S8_S8_EEEEPS9_S9_NSD_9__find_if7functorIS9_EEEE10hipError_tPvRmT1_T2_T3_mT4_P12ihipStream_tbEUlT_E0_NS1_11comp_targetILNS1_3genE0ELNS1_11target_archE4294967295ELNS1_3gpuE0ELNS1_3repE0EEENS1_30default_config_static_selectorELNS0_4arch9wavefront6targetE1EEEvS14_.uses_flat_scratch, 0
	.set _ZN7rocprim17ROCPRIM_400000_NS6detail17trampoline_kernelINS0_14default_configENS1_22reduce_config_selectorIN6thrust23THRUST_200600_302600_NS5tupleIblNS6_9null_typeES8_S8_S8_S8_S8_S8_S8_EEEEZNS1_11reduce_implILb1ES3_NS6_12zip_iteratorINS7_INS6_11hip_rocprim26transform_input_iterator_tIbNSD_35transform_pair_of_input_iterators_tIbNS6_6detail15normal_iteratorINS6_10device_ptrIKdEEEESL_NS6_8equal_toIdEEEENSG_9not_fun_tINSD_8identityEEEEENSD_19counting_iterator_tIlEES8_S8_S8_S8_S8_S8_S8_S8_EEEEPS9_S9_NSD_9__find_if7functorIS9_EEEE10hipError_tPvRmT1_T2_T3_mT4_P12ihipStream_tbEUlT_E0_NS1_11comp_targetILNS1_3genE0ELNS1_11target_archE4294967295ELNS1_3gpuE0ELNS1_3repE0EEENS1_30default_config_static_selectorELNS0_4arch9wavefront6targetE1EEEvS14_.has_dyn_sized_stack, 0
	.set _ZN7rocprim17ROCPRIM_400000_NS6detail17trampoline_kernelINS0_14default_configENS1_22reduce_config_selectorIN6thrust23THRUST_200600_302600_NS5tupleIblNS6_9null_typeES8_S8_S8_S8_S8_S8_S8_EEEEZNS1_11reduce_implILb1ES3_NS6_12zip_iteratorINS7_INS6_11hip_rocprim26transform_input_iterator_tIbNSD_35transform_pair_of_input_iterators_tIbNS6_6detail15normal_iteratorINS6_10device_ptrIKdEEEESL_NS6_8equal_toIdEEEENSG_9not_fun_tINSD_8identityEEEEENSD_19counting_iterator_tIlEES8_S8_S8_S8_S8_S8_S8_S8_EEEEPS9_S9_NSD_9__find_if7functorIS9_EEEE10hipError_tPvRmT1_T2_T3_mT4_P12ihipStream_tbEUlT_E0_NS1_11comp_targetILNS1_3genE0ELNS1_11target_archE4294967295ELNS1_3gpuE0ELNS1_3repE0EEENS1_30default_config_static_selectorELNS0_4arch9wavefront6targetE1EEEvS14_.has_recursion, 0
	.set _ZN7rocprim17ROCPRIM_400000_NS6detail17trampoline_kernelINS0_14default_configENS1_22reduce_config_selectorIN6thrust23THRUST_200600_302600_NS5tupleIblNS6_9null_typeES8_S8_S8_S8_S8_S8_S8_EEEEZNS1_11reduce_implILb1ES3_NS6_12zip_iteratorINS7_INS6_11hip_rocprim26transform_input_iterator_tIbNSD_35transform_pair_of_input_iterators_tIbNS6_6detail15normal_iteratorINS6_10device_ptrIKdEEEESL_NS6_8equal_toIdEEEENSG_9not_fun_tINSD_8identityEEEEENSD_19counting_iterator_tIlEES8_S8_S8_S8_S8_S8_S8_S8_EEEEPS9_S9_NSD_9__find_if7functorIS9_EEEE10hipError_tPvRmT1_T2_T3_mT4_P12ihipStream_tbEUlT_E0_NS1_11comp_targetILNS1_3genE0ELNS1_11target_archE4294967295ELNS1_3gpuE0ELNS1_3repE0EEENS1_30default_config_static_selectorELNS0_4arch9wavefront6targetE1EEEvS14_.has_indirect_call, 0
	.section	.AMDGPU.csdata,"",@progbits
; Kernel info:
; codeLenInByte = 2860
; TotalNumSgprs: 34
; NumVgprs: 20
; NumAgprs: 0
; TotalNumVgprs: 20
; ScratchSize: 0
; MemoryBound: 0
; FloatMode: 240
; IeeeMode: 1
; LDSByteSize: 64 bytes/workgroup (compile time only)
; SGPRBlocks: 4
; VGPRBlocks: 2
; NumSGPRsForWavesPerEU: 34
; NumVGPRsForWavesPerEU: 20
; AccumOffset: 20
; Occupancy: 8
; WaveLimiterHint : 0
; COMPUTE_PGM_RSRC2:SCRATCH_EN: 0
; COMPUTE_PGM_RSRC2:USER_SGPR: 2
; COMPUTE_PGM_RSRC2:TRAP_HANDLER: 0
; COMPUTE_PGM_RSRC2:TGID_X_EN: 1
; COMPUTE_PGM_RSRC2:TGID_Y_EN: 0
; COMPUTE_PGM_RSRC2:TGID_Z_EN: 0
; COMPUTE_PGM_RSRC2:TIDIG_COMP_CNT: 0
; COMPUTE_PGM_RSRC3_GFX90A:ACCUM_OFFSET: 4
; COMPUTE_PGM_RSRC3_GFX90A:TG_SPLIT: 0
	.section	.text._ZN7rocprim17ROCPRIM_400000_NS6detail17trampoline_kernelINS0_14default_configENS1_22reduce_config_selectorIN6thrust23THRUST_200600_302600_NS5tupleIblNS6_9null_typeES8_S8_S8_S8_S8_S8_S8_EEEEZNS1_11reduce_implILb1ES3_NS6_12zip_iteratorINS7_INS6_11hip_rocprim26transform_input_iterator_tIbNSD_35transform_pair_of_input_iterators_tIbNS6_6detail15normal_iteratorINS6_10device_ptrIKdEEEESL_NS6_8equal_toIdEEEENSG_9not_fun_tINSD_8identityEEEEENSD_19counting_iterator_tIlEES8_S8_S8_S8_S8_S8_S8_S8_EEEEPS9_S9_NSD_9__find_if7functorIS9_EEEE10hipError_tPvRmT1_T2_T3_mT4_P12ihipStream_tbEUlT_E0_NS1_11comp_targetILNS1_3genE5ELNS1_11target_archE942ELNS1_3gpuE9ELNS1_3repE0EEENS1_30default_config_static_selectorELNS0_4arch9wavefront6targetE1EEEvS14_,"axG",@progbits,_ZN7rocprim17ROCPRIM_400000_NS6detail17trampoline_kernelINS0_14default_configENS1_22reduce_config_selectorIN6thrust23THRUST_200600_302600_NS5tupleIblNS6_9null_typeES8_S8_S8_S8_S8_S8_S8_EEEEZNS1_11reduce_implILb1ES3_NS6_12zip_iteratorINS7_INS6_11hip_rocprim26transform_input_iterator_tIbNSD_35transform_pair_of_input_iterators_tIbNS6_6detail15normal_iteratorINS6_10device_ptrIKdEEEESL_NS6_8equal_toIdEEEENSG_9not_fun_tINSD_8identityEEEEENSD_19counting_iterator_tIlEES8_S8_S8_S8_S8_S8_S8_S8_EEEEPS9_S9_NSD_9__find_if7functorIS9_EEEE10hipError_tPvRmT1_T2_T3_mT4_P12ihipStream_tbEUlT_E0_NS1_11comp_targetILNS1_3genE5ELNS1_11target_archE942ELNS1_3gpuE9ELNS1_3repE0EEENS1_30default_config_static_selectorELNS0_4arch9wavefront6targetE1EEEvS14_,comdat
	.protected	_ZN7rocprim17ROCPRIM_400000_NS6detail17trampoline_kernelINS0_14default_configENS1_22reduce_config_selectorIN6thrust23THRUST_200600_302600_NS5tupleIblNS6_9null_typeES8_S8_S8_S8_S8_S8_S8_EEEEZNS1_11reduce_implILb1ES3_NS6_12zip_iteratorINS7_INS6_11hip_rocprim26transform_input_iterator_tIbNSD_35transform_pair_of_input_iterators_tIbNS6_6detail15normal_iteratorINS6_10device_ptrIKdEEEESL_NS6_8equal_toIdEEEENSG_9not_fun_tINSD_8identityEEEEENSD_19counting_iterator_tIlEES8_S8_S8_S8_S8_S8_S8_S8_EEEEPS9_S9_NSD_9__find_if7functorIS9_EEEE10hipError_tPvRmT1_T2_T3_mT4_P12ihipStream_tbEUlT_E0_NS1_11comp_targetILNS1_3genE5ELNS1_11target_archE942ELNS1_3gpuE9ELNS1_3repE0EEENS1_30default_config_static_selectorELNS0_4arch9wavefront6targetE1EEEvS14_ ; -- Begin function _ZN7rocprim17ROCPRIM_400000_NS6detail17trampoline_kernelINS0_14default_configENS1_22reduce_config_selectorIN6thrust23THRUST_200600_302600_NS5tupleIblNS6_9null_typeES8_S8_S8_S8_S8_S8_S8_EEEEZNS1_11reduce_implILb1ES3_NS6_12zip_iteratorINS7_INS6_11hip_rocprim26transform_input_iterator_tIbNSD_35transform_pair_of_input_iterators_tIbNS6_6detail15normal_iteratorINS6_10device_ptrIKdEEEESL_NS6_8equal_toIdEEEENSG_9not_fun_tINSD_8identityEEEEENSD_19counting_iterator_tIlEES8_S8_S8_S8_S8_S8_S8_S8_EEEEPS9_S9_NSD_9__find_if7functorIS9_EEEE10hipError_tPvRmT1_T2_T3_mT4_P12ihipStream_tbEUlT_E0_NS1_11comp_targetILNS1_3genE5ELNS1_11target_archE942ELNS1_3gpuE9ELNS1_3repE0EEENS1_30default_config_static_selectorELNS0_4arch9wavefront6targetE1EEEvS14_
	.globl	_ZN7rocprim17ROCPRIM_400000_NS6detail17trampoline_kernelINS0_14default_configENS1_22reduce_config_selectorIN6thrust23THRUST_200600_302600_NS5tupleIblNS6_9null_typeES8_S8_S8_S8_S8_S8_S8_EEEEZNS1_11reduce_implILb1ES3_NS6_12zip_iteratorINS7_INS6_11hip_rocprim26transform_input_iterator_tIbNSD_35transform_pair_of_input_iterators_tIbNS6_6detail15normal_iteratorINS6_10device_ptrIKdEEEESL_NS6_8equal_toIdEEEENSG_9not_fun_tINSD_8identityEEEEENSD_19counting_iterator_tIlEES8_S8_S8_S8_S8_S8_S8_S8_EEEEPS9_S9_NSD_9__find_if7functorIS9_EEEE10hipError_tPvRmT1_T2_T3_mT4_P12ihipStream_tbEUlT_E0_NS1_11comp_targetILNS1_3genE5ELNS1_11target_archE942ELNS1_3gpuE9ELNS1_3repE0EEENS1_30default_config_static_selectorELNS0_4arch9wavefront6targetE1EEEvS14_
	.p2align	8
	.type	_ZN7rocprim17ROCPRIM_400000_NS6detail17trampoline_kernelINS0_14default_configENS1_22reduce_config_selectorIN6thrust23THRUST_200600_302600_NS5tupleIblNS6_9null_typeES8_S8_S8_S8_S8_S8_S8_EEEEZNS1_11reduce_implILb1ES3_NS6_12zip_iteratorINS7_INS6_11hip_rocprim26transform_input_iterator_tIbNSD_35transform_pair_of_input_iterators_tIbNS6_6detail15normal_iteratorINS6_10device_ptrIKdEEEESL_NS6_8equal_toIdEEEENSG_9not_fun_tINSD_8identityEEEEENSD_19counting_iterator_tIlEES8_S8_S8_S8_S8_S8_S8_S8_EEEEPS9_S9_NSD_9__find_if7functorIS9_EEEE10hipError_tPvRmT1_T2_T3_mT4_P12ihipStream_tbEUlT_E0_NS1_11comp_targetILNS1_3genE5ELNS1_11target_archE942ELNS1_3gpuE9ELNS1_3repE0EEENS1_30default_config_static_selectorELNS0_4arch9wavefront6targetE1EEEvS14_,@function
_ZN7rocprim17ROCPRIM_400000_NS6detail17trampoline_kernelINS0_14default_configENS1_22reduce_config_selectorIN6thrust23THRUST_200600_302600_NS5tupleIblNS6_9null_typeES8_S8_S8_S8_S8_S8_S8_EEEEZNS1_11reduce_implILb1ES3_NS6_12zip_iteratorINS7_INS6_11hip_rocprim26transform_input_iterator_tIbNSD_35transform_pair_of_input_iterators_tIbNS6_6detail15normal_iteratorINS6_10device_ptrIKdEEEESL_NS6_8equal_toIdEEEENSG_9not_fun_tINSD_8identityEEEEENSD_19counting_iterator_tIlEES8_S8_S8_S8_S8_S8_S8_S8_EEEEPS9_S9_NSD_9__find_if7functorIS9_EEEE10hipError_tPvRmT1_T2_T3_mT4_P12ihipStream_tbEUlT_E0_NS1_11comp_targetILNS1_3genE5ELNS1_11target_archE942ELNS1_3gpuE9ELNS1_3repE0EEENS1_30default_config_static_selectorELNS0_4arch9wavefront6targetE1EEEvS14_: ; @_ZN7rocprim17ROCPRIM_400000_NS6detail17trampoline_kernelINS0_14default_configENS1_22reduce_config_selectorIN6thrust23THRUST_200600_302600_NS5tupleIblNS6_9null_typeES8_S8_S8_S8_S8_S8_S8_EEEEZNS1_11reduce_implILb1ES3_NS6_12zip_iteratorINS7_INS6_11hip_rocprim26transform_input_iterator_tIbNSD_35transform_pair_of_input_iterators_tIbNS6_6detail15normal_iteratorINS6_10device_ptrIKdEEEESL_NS6_8equal_toIdEEEENSG_9not_fun_tINSD_8identityEEEEENSD_19counting_iterator_tIlEES8_S8_S8_S8_S8_S8_S8_S8_EEEEPS9_S9_NSD_9__find_if7functorIS9_EEEE10hipError_tPvRmT1_T2_T3_mT4_P12ihipStream_tbEUlT_E0_NS1_11comp_targetILNS1_3genE5ELNS1_11target_archE942ELNS1_3gpuE9ELNS1_3repE0EEENS1_30default_config_static_selectorELNS0_4arch9wavefront6targetE1EEEvS14_
; %bb.0:
	.section	.rodata,"a",@progbits
	.p2align	6, 0x0
	.amdhsa_kernel _ZN7rocprim17ROCPRIM_400000_NS6detail17trampoline_kernelINS0_14default_configENS1_22reduce_config_selectorIN6thrust23THRUST_200600_302600_NS5tupleIblNS6_9null_typeES8_S8_S8_S8_S8_S8_S8_EEEEZNS1_11reduce_implILb1ES3_NS6_12zip_iteratorINS7_INS6_11hip_rocprim26transform_input_iterator_tIbNSD_35transform_pair_of_input_iterators_tIbNS6_6detail15normal_iteratorINS6_10device_ptrIKdEEEESL_NS6_8equal_toIdEEEENSG_9not_fun_tINSD_8identityEEEEENSD_19counting_iterator_tIlEES8_S8_S8_S8_S8_S8_S8_S8_EEEEPS9_S9_NSD_9__find_if7functorIS9_EEEE10hipError_tPvRmT1_T2_T3_mT4_P12ihipStream_tbEUlT_E0_NS1_11comp_targetILNS1_3genE5ELNS1_11target_archE942ELNS1_3gpuE9ELNS1_3repE0EEENS1_30default_config_static_selectorELNS0_4arch9wavefront6targetE1EEEvS14_
		.amdhsa_group_segment_fixed_size 0
		.amdhsa_private_segment_fixed_size 0
		.amdhsa_kernarg_size 104
		.amdhsa_user_sgpr_count 2
		.amdhsa_user_sgpr_dispatch_ptr 0
		.amdhsa_user_sgpr_queue_ptr 0
		.amdhsa_user_sgpr_kernarg_segment_ptr 1
		.amdhsa_user_sgpr_dispatch_id 0
		.amdhsa_user_sgpr_kernarg_preload_length 0
		.amdhsa_user_sgpr_kernarg_preload_offset 0
		.amdhsa_user_sgpr_private_segment_size 0
		.amdhsa_uses_dynamic_stack 0
		.amdhsa_enable_private_segment 0
		.amdhsa_system_sgpr_workgroup_id_x 1
		.amdhsa_system_sgpr_workgroup_id_y 0
		.amdhsa_system_sgpr_workgroup_id_z 0
		.amdhsa_system_sgpr_workgroup_info 0
		.amdhsa_system_vgpr_workitem_id 0
		.amdhsa_next_free_vgpr 1
		.amdhsa_next_free_sgpr 0
		.amdhsa_accum_offset 4
		.amdhsa_reserve_vcc 0
		.amdhsa_float_round_mode_32 0
		.amdhsa_float_round_mode_16_64 0
		.amdhsa_float_denorm_mode_32 3
		.amdhsa_float_denorm_mode_16_64 3
		.amdhsa_dx10_clamp 1
		.amdhsa_ieee_mode 1
		.amdhsa_fp16_overflow 0
		.amdhsa_tg_split 0
		.amdhsa_exception_fp_ieee_invalid_op 0
		.amdhsa_exception_fp_denorm_src 0
		.amdhsa_exception_fp_ieee_div_zero 0
		.amdhsa_exception_fp_ieee_overflow 0
		.amdhsa_exception_fp_ieee_underflow 0
		.amdhsa_exception_fp_ieee_inexact 0
		.amdhsa_exception_int_div_zero 0
	.end_amdhsa_kernel
	.section	.text._ZN7rocprim17ROCPRIM_400000_NS6detail17trampoline_kernelINS0_14default_configENS1_22reduce_config_selectorIN6thrust23THRUST_200600_302600_NS5tupleIblNS6_9null_typeES8_S8_S8_S8_S8_S8_S8_EEEEZNS1_11reduce_implILb1ES3_NS6_12zip_iteratorINS7_INS6_11hip_rocprim26transform_input_iterator_tIbNSD_35transform_pair_of_input_iterators_tIbNS6_6detail15normal_iteratorINS6_10device_ptrIKdEEEESL_NS6_8equal_toIdEEEENSG_9not_fun_tINSD_8identityEEEEENSD_19counting_iterator_tIlEES8_S8_S8_S8_S8_S8_S8_S8_EEEEPS9_S9_NSD_9__find_if7functorIS9_EEEE10hipError_tPvRmT1_T2_T3_mT4_P12ihipStream_tbEUlT_E0_NS1_11comp_targetILNS1_3genE5ELNS1_11target_archE942ELNS1_3gpuE9ELNS1_3repE0EEENS1_30default_config_static_selectorELNS0_4arch9wavefront6targetE1EEEvS14_,"axG",@progbits,_ZN7rocprim17ROCPRIM_400000_NS6detail17trampoline_kernelINS0_14default_configENS1_22reduce_config_selectorIN6thrust23THRUST_200600_302600_NS5tupleIblNS6_9null_typeES8_S8_S8_S8_S8_S8_S8_EEEEZNS1_11reduce_implILb1ES3_NS6_12zip_iteratorINS7_INS6_11hip_rocprim26transform_input_iterator_tIbNSD_35transform_pair_of_input_iterators_tIbNS6_6detail15normal_iteratorINS6_10device_ptrIKdEEEESL_NS6_8equal_toIdEEEENSG_9not_fun_tINSD_8identityEEEEENSD_19counting_iterator_tIlEES8_S8_S8_S8_S8_S8_S8_S8_EEEEPS9_S9_NSD_9__find_if7functorIS9_EEEE10hipError_tPvRmT1_T2_T3_mT4_P12ihipStream_tbEUlT_E0_NS1_11comp_targetILNS1_3genE5ELNS1_11target_archE942ELNS1_3gpuE9ELNS1_3repE0EEENS1_30default_config_static_selectorELNS0_4arch9wavefront6targetE1EEEvS14_,comdat
.Lfunc_end182:
	.size	_ZN7rocprim17ROCPRIM_400000_NS6detail17trampoline_kernelINS0_14default_configENS1_22reduce_config_selectorIN6thrust23THRUST_200600_302600_NS5tupleIblNS6_9null_typeES8_S8_S8_S8_S8_S8_S8_EEEEZNS1_11reduce_implILb1ES3_NS6_12zip_iteratorINS7_INS6_11hip_rocprim26transform_input_iterator_tIbNSD_35transform_pair_of_input_iterators_tIbNS6_6detail15normal_iteratorINS6_10device_ptrIKdEEEESL_NS6_8equal_toIdEEEENSG_9not_fun_tINSD_8identityEEEEENSD_19counting_iterator_tIlEES8_S8_S8_S8_S8_S8_S8_S8_EEEEPS9_S9_NSD_9__find_if7functorIS9_EEEE10hipError_tPvRmT1_T2_T3_mT4_P12ihipStream_tbEUlT_E0_NS1_11comp_targetILNS1_3genE5ELNS1_11target_archE942ELNS1_3gpuE9ELNS1_3repE0EEENS1_30default_config_static_selectorELNS0_4arch9wavefront6targetE1EEEvS14_, .Lfunc_end182-_ZN7rocprim17ROCPRIM_400000_NS6detail17trampoline_kernelINS0_14default_configENS1_22reduce_config_selectorIN6thrust23THRUST_200600_302600_NS5tupleIblNS6_9null_typeES8_S8_S8_S8_S8_S8_S8_EEEEZNS1_11reduce_implILb1ES3_NS6_12zip_iteratorINS7_INS6_11hip_rocprim26transform_input_iterator_tIbNSD_35transform_pair_of_input_iterators_tIbNS6_6detail15normal_iteratorINS6_10device_ptrIKdEEEESL_NS6_8equal_toIdEEEENSG_9not_fun_tINSD_8identityEEEEENSD_19counting_iterator_tIlEES8_S8_S8_S8_S8_S8_S8_S8_EEEEPS9_S9_NSD_9__find_if7functorIS9_EEEE10hipError_tPvRmT1_T2_T3_mT4_P12ihipStream_tbEUlT_E0_NS1_11comp_targetILNS1_3genE5ELNS1_11target_archE942ELNS1_3gpuE9ELNS1_3repE0EEENS1_30default_config_static_selectorELNS0_4arch9wavefront6targetE1EEEvS14_
                                        ; -- End function
	.set _ZN7rocprim17ROCPRIM_400000_NS6detail17trampoline_kernelINS0_14default_configENS1_22reduce_config_selectorIN6thrust23THRUST_200600_302600_NS5tupleIblNS6_9null_typeES8_S8_S8_S8_S8_S8_S8_EEEEZNS1_11reduce_implILb1ES3_NS6_12zip_iteratorINS7_INS6_11hip_rocprim26transform_input_iterator_tIbNSD_35transform_pair_of_input_iterators_tIbNS6_6detail15normal_iteratorINS6_10device_ptrIKdEEEESL_NS6_8equal_toIdEEEENSG_9not_fun_tINSD_8identityEEEEENSD_19counting_iterator_tIlEES8_S8_S8_S8_S8_S8_S8_S8_EEEEPS9_S9_NSD_9__find_if7functorIS9_EEEE10hipError_tPvRmT1_T2_T3_mT4_P12ihipStream_tbEUlT_E0_NS1_11comp_targetILNS1_3genE5ELNS1_11target_archE942ELNS1_3gpuE9ELNS1_3repE0EEENS1_30default_config_static_selectorELNS0_4arch9wavefront6targetE1EEEvS14_.num_vgpr, 0
	.set _ZN7rocprim17ROCPRIM_400000_NS6detail17trampoline_kernelINS0_14default_configENS1_22reduce_config_selectorIN6thrust23THRUST_200600_302600_NS5tupleIblNS6_9null_typeES8_S8_S8_S8_S8_S8_S8_EEEEZNS1_11reduce_implILb1ES3_NS6_12zip_iteratorINS7_INS6_11hip_rocprim26transform_input_iterator_tIbNSD_35transform_pair_of_input_iterators_tIbNS6_6detail15normal_iteratorINS6_10device_ptrIKdEEEESL_NS6_8equal_toIdEEEENSG_9not_fun_tINSD_8identityEEEEENSD_19counting_iterator_tIlEES8_S8_S8_S8_S8_S8_S8_S8_EEEEPS9_S9_NSD_9__find_if7functorIS9_EEEE10hipError_tPvRmT1_T2_T3_mT4_P12ihipStream_tbEUlT_E0_NS1_11comp_targetILNS1_3genE5ELNS1_11target_archE942ELNS1_3gpuE9ELNS1_3repE0EEENS1_30default_config_static_selectorELNS0_4arch9wavefront6targetE1EEEvS14_.num_agpr, 0
	.set _ZN7rocprim17ROCPRIM_400000_NS6detail17trampoline_kernelINS0_14default_configENS1_22reduce_config_selectorIN6thrust23THRUST_200600_302600_NS5tupleIblNS6_9null_typeES8_S8_S8_S8_S8_S8_S8_EEEEZNS1_11reduce_implILb1ES3_NS6_12zip_iteratorINS7_INS6_11hip_rocprim26transform_input_iterator_tIbNSD_35transform_pair_of_input_iterators_tIbNS6_6detail15normal_iteratorINS6_10device_ptrIKdEEEESL_NS6_8equal_toIdEEEENSG_9not_fun_tINSD_8identityEEEEENSD_19counting_iterator_tIlEES8_S8_S8_S8_S8_S8_S8_S8_EEEEPS9_S9_NSD_9__find_if7functorIS9_EEEE10hipError_tPvRmT1_T2_T3_mT4_P12ihipStream_tbEUlT_E0_NS1_11comp_targetILNS1_3genE5ELNS1_11target_archE942ELNS1_3gpuE9ELNS1_3repE0EEENS1_30default_config_static_selectorELNS0_4arch9wavefront6targetE1EEEvS14_.numbered_sgpr, 0
	.set _ZN7rocprim17ROCPRIM_400000_NS6detail17trampoline_kernelINS0_14default_configENS1_22reduce_config_selectorIN6thrust23THRUST_200600_302600_NS5tupleIblNS6_9null_typeES8_S8_S8_S8_S8_S8_S8_EEEEZNS1_11reduce_implILb1ES3_NS6_12zip_iteratorINS7_INS6_11hip_rocprim26transform_input_iterator_tIbNSD_35transform_pair_of_input_iterators_tIbNS6_6detail15normal_iteratorINS6_10device_ptrIKdEEEESL_NS6_8equal_toIdEEEENSG_9not_fun_tINSD_8identityEEEEENSD_19counting_iterator_tIlEES8_S8_S8_S8_S8_S8_S8_S8_EEEEPS9_S9_NSD_9__find_if7functorIS9_EEEE10hipError_tPvRmT1_T2_T3_mT4_P12ihipStream_tbEUlT_E0_NS1_11comp_targetILNS1_3genE5ELNS1_11target_archE942ELNS1_3gpuE9ELNS1_3repE0EEENS1_30default_config_static_selectorELNS0_4arch9wavefront6targetE1EEEvS14_.num_named_barrier, 0
	.set _ZN7rocprim17ROCPRIM_400000_NS6detail17trampoline_kernelINS0_14default_configENS1_22reduce_config_selectorIN6thrust23THRUST_200600_302600_NS5tupleIblNS6_9null_typeES8_S8_S8_S8_S8_S8_S8_EEEEZNS1_11reduce_implILb1ES3_NS6_12zip_iteratorINS7_INS6_11hip_rocprim26transform_input_iterator_tIbNSD_35transform_pair_of_input_iterators_tIbNS6_6detail15normal_iteratorINS6_10device_ptrIKdEEEESL_NS6_8equal_toIdEEEENSG_9not_fun_tINSD_8identityEEEEENSD_19counting_iterator_tIlEES8_S8_S8_S8_S8_S8_S8_S8_EEEEPS9_S9_NSD_9__find_if7functorIS9_EEEE10hipError_tPvRmT1_T2_T3_mT4_P12ihipStream_tbEUlT_E0_NS1_11comp_targetILNS1_3genE5ELNS1_11target_archE942ELNS1_3gpuE9ELNS1_3repE0EEENS1_30default_config_static_selectorELNS0_4arch9wavefront6targetE1EEEvS14_.private_seg_size, 0
	.set _ZN7rocprim17ROCPRIM_400000_NS6detail17trampoline_kernelINS0_14default_configENS1_22reduce_config_selectorIN6thrust23THRUST_200600_302600_NS5tupleIblNS6_9null_typeES8_S8_S8_S8_S8_S8_S8_EEEEZNS1_11reduce_implILb1ES3_NS6_12zip_iteratorINS7_INS6_11hip_rocprim26transform_input_iterator_tIbNSD_35transform_pair_of_input_iterators_tIbNS6_6detail15normal_iteratorINS6_10device_ptrIKdEEEESL_NS6_8equal_toIdEEEENSG_9not_fun_tINSD_8identityEEEEENSD_19counting_iterator_tIlEES8_S8_S8_S8_S8_S8_S8_S8_EEEEPS9_S9_NSD_9__find_if7functorIS9_EEEE10hipError_tPvRmT1_T2_T3_mT4_P12ihipStream_tbEUlT_E0_NS1_11comp_targetILNS1_3genE5ELNS1_11target_archE942ELNS1_3gpuE9ELNS1_3repE0EEENS1_30default_config_static_selectorELNS0_4arch9wavefront6targetE1EEEvS14_.uses_vcc, 0
	.set _ZN7rocprim17ROCPRIM_400000_NS6detail17trampoline_kernelINS0_14default_configENS1_22reduce_config_selectorIN6thrust23THRUST_200600_302600_NS5tupleIblNS6_9null_typeES8_S8_S8_S8_S8_S8_S8_EEEEZNS1_11reduce_implILb1ES3_NS6_12zip_iteratorINS7_INS6_11hip_rocprim26transform_input_iterator_tIbNSD_35transform_pair_of_input_iterators_tIbNS6_6detail15normal_iteratorINS6_10device_ptrIKdEEEESL_NS6_8equal_toIdEEEENSG_9not_fun_tINSD_8identityEEEEENSD_19counting_iterator_tIlEES8_S8_S8_S8_S8_S8_S8_S8_EEEEPS9_S9_NSD_9__find_if7functorIS9_EEEE10hipError_tPvRmT1_T2_T3_mT4_P12ihipStream_tbEUlT_E0_NS1_11comp_targetILNS1_3genE5ELNS1_11target_archE942ELNS1_3gpuE9ELNS1_3repE0EEENS1_30default_config_static_selectorELNS0_4arch9wavefront6targetE1EEEvS14_.uses_flat_scratch, 0
	.set _ZN7rocprim17ROCPRIM_400000_NS6detail17trampoline_kernelINS0_14default_configENS1_22reduce_config_selectorIN6thrust23THRUST_200600_302600_NS5tupleIblNS6_9null_typeES8_S8_S8_S8_S8_S8_S8_EEEEZNS1_11reduce_implILb1ES3_NS6_12zip_iteratorINS7_INS6_11hip_rocprim26transform_input_iterator_tIbNSD_35transform_pair_of_input_iterators_tIbNS6_6detail15normal_iteratorINS6_10device_ptrIKdEEEESL_NS6_8equal_toIdEEEENSG_9not_fun_tINSD_8identityEEEEENSD_19counting_iterator_tIlEES8_S8_S8_S8_S8_S8_S8_S8_EEEEPS9_S9_NSD_9__find_if7functorIS9_EEEE10hipError_tPvRmT1_T2_T3_mT4_P12ihipStream_tbEUlT_E0_NS1_11comp_targetILNS1_3genE5ELNS1_11target_archE942ELNS1_3gpuE9ELNS1_3repE0EEENS1_30default_config_static_selectorELNS0_4arch9wavefront6targetE1EEEvS14_.has_dyn_sized_stack, 0
	.set _ZN7rocprim17ROCPRIM_400000_NS6detail17trampoline_kernelINS0_14default_configENS1_22reduce_config_selectorIN6thrust23THRUST_200600_302600_NS5tupleIblNS6_9null_typeES8_S8_S8_S8_S8_S8_S8_EEEEZNS1_11reduce_implILb1ES3_NS6_12zip_iteratorINS7_INS6_11hip_rocprim26transform_input_iterator_tIbNSD_35transform_pair_of_input_iterators_tIbNS6_6detail15normal_iteratorINS6_10device_ptrIKdEEEESL_NS6_8equal_toIdEEEENSG_9not_fun_tINSD_8identityEEEEENSD_19counting_iterator_tIlEES8_S8_S8_S8_S8_S8_S8_S8_EEEEPS9_S9_NSD_9__find_if7functorIS9_EEEE10hipError_tPvRmT1_T2_T3_mT4_P12ihipStream_tbEUlT_E0_NS1_11comp_targetILNS1_3genE5ELNS1_11target_archE942ELNS1_3gpuE9ELNS1_3repE0EEENS1_30default_config_static_selectorELNS0_4arch9wavefront6targetE1EEEvS14_.has_recursion, 0
	.set _ZN7rocprim17ROCPRIM_400000_NS6detail17trampoline_kernelINS0_14default_configENS1_22reduce_config_selectorIN6thrust23THRUST_200600_302600_NS5tupleIblNS6_9null_typeES8_S8_S8_S8_S8_S8_S8_EEEEZNS1_11reduce_implILb1ES3_NS6_12zip_iteratorINS7_INS6_11hip_rocprim26transform_input_iterator_tIbNSD_35transform_pair_of_input_iterators_tIbNS6_6detail15normal_iteratorINS6_10device_ptrIKdEEEESL_NS6_8equal_toIdEEEENSG_9not_fun_tINSD_8identityEEEEENSD_19counting_iterator_tIlEES8_S8_S8_S8_S8_S8_S8_S8_EEEEPS9_S9_NSD_9__find_if7functorIS9_EEEE10hipError_tPvRmT1_T2_T3_mT4_P12ihipStream_tbEUlT_E0_NS1_11comp_targetILNS1_3genE5ELNS1_11target_archE942ELNS1_3gpuE9ELNS1_3repE0EEENS1_30default_config_static_selectorELNS0_4arch9wavefront6targetE1EEEvS14_.has_indirect_call, 0
	.section	.AMDGPU.csdata,"",@progbits
; Kernel info:
; codeLenInByte = 0
; TotalNumSgprs: 6
; NumVgprs: 0
; NumAgprs: 0
; TotalNumVgprs: 0
; ScratchSize: 0
; MemoryBound: 0
; FloatMode: 240
; IeeeMode: 1
; LDSByteSize: 0 bytes/workgroup (compile time only)
; SGPRBlocks: 0
; VGPRBlocks: 0
; NumSGPRsForWavesPerEU: 6
; NumVGPRsForWavesPerEU: 1
; AccumOffset: 4
; Occupancy: 8
; WaveLimiterHint : 0
; COMPUTE_PGM_RSRC2:SCRATCH_EN: 0
; COMPUTE_PGM_RSRC2:USER_SGPR: 2
; COMPUTE_PGM_RSRC2:TRAP_HANDLER: 0
; COMPUTE_PGM_RSRC2:TGID_X_EN: 1
; COMPUTE_PGM_RSRC2:TGID_Y_EN: 0
; COMPUTE_PGM_RSRC2:TGID_Z_EN: 0
; COMPUTE_PGM_RSRC2:TIDIG_COMP_CNT: 0
; COMPUTE_PGM_RSRC3_GFX90A:ACCUM_OFFSET: 0
; COMPUTE_PGM_RSRC3_GFX90A:TG_SPLIT: 0
	.section	.text._ZN7rocprim17ROCPRIM_400000_NS6detail17trampoline_kernelINS0_14default_configENS1_22reduce_config_selectorIN6thrust23THRUST_200600_302600_NS5tupleIblNS6_9null_typeES8_S8_S8_S8_S8_S8_S8_EEEEZNS1_11reduce_implILb1ES3_NS6_12zip_iteratorINS7_INS6_11hip_rocprim26transform_input_iterator_tIbNSD_35transform_pair_of_input_iterators_tIbNS6_6detail15normal_iteratorINS6_10device_ptrIKdEEEESL_NS6_8equal_toIdEEEENSG_9not_fun_tINSD_8identityEEEEENSD_19counting_iterator_tIlEES8_S8_S8_S8_S8_S8_S8_S8_EEEEPS9_S9_NSD_9__find_if7functorIS9_EEEE10hipError_tPvRmT1_T2_T3_mT4_P12ihipStream_tbEUlT_E0_NS1_11comp_targetILNS1_3genE4ELNS1_11target_archE910ELNS1_3gpuE8ELNS1_3repE0EEENS1_30default_config_static_selectorELNS0_4arch9wavefront6targetE1EEEvS14_,"axG",@progbits,_ZN7rocprim17ROCPRIM_400000_NS6detail17trampoline_kernelINS0_14default_configENS1_22reduce_config_selectorIN6thrust23THRUST_200600_302600_NS5tupleIblNS6_9null_typeES8_S8_S8_S8_S8_S8_S8_EEEEZNS1_11reduce_implILb1ES3_NS6_12zip_iteratorINS7_INS6_11hip_rocprim26transform_input_iterator_tIbNSD_35transform_pair_of_input_iterators_tIbNS6_6detail15normal_iteratorINS6_10device_ptrIKdEEEESL_NS6_8equal_toIdEEEENSG_9not_fun_tINSD_8identityEEEEENSD_19counting_iterator_tIlEES8_S8_S8_S8_S8_S8_S8_S8_EEEEPS9_S9_NSD_9__find_if7functorIS9_EEEE10hipError_tPvRmT1_T2_T3_mT4_P12ihipStream_tbEUlT_E0_NS1_11comp_targetILNS1_3genE4ELNS1_11target_archE910ELNS1_3gpuE8ELNS1_3repE0EEENS1_30default_config_static_selectorELNS0_4arch9wavefront6targetE1EEEvS14_,comdat
	.protected	_ZN7rocprim17ROCPRIM_400000_NS6detail17trampoline_kernelINS0_14default_configENS1_22reduce_config_selectorIN6thrust23THRUST_200600_302600_NS5tupleIblNS6_9null_typeES8_S8_S8_S8_S8_S8_S8_EEEEZNS1_11reduce_implILb1ES3_NS6_12zip_iteratorINS7_INS6_11hip_rocprim26transform_input_iterator_tIbNSD_35transform_pair_of_input_iterators_tIbNS6_6detail15normal_iteratorINS6_10device_ptrIKdEEEESL_NS6_8equal_toIdEEEENSG_9not_fun_tINSD_8identityEEEEENSD_19counting_iterator_tIlEES8_S8_S8_S8_S8_S8_S8_S8_EEEEPS9_S9_NSD_9__find_if7functorIS9_EEEE10hipError_tPvRmT1_T2_T3_mT4_P12ihipStream_tbEUlT_E0_NS1_11comp_targetILNS1_3genE4ELNS1_11target_archE910ELNS1_3gpuE8ELNS1_3repE0EEENS1_30default_config_static_selectorELNS0_4arch9wavefront6targetE1EEEvS14_ ; -- Begin function _ZN7rocprim17ROCPRIM_400000_NS6detail17trampoline_kernelINS0_14default_configENS1_22reduce_config_selectorIN6thrust23THRUST_200600_302600_NS5tupleIblNS6_9null_typeES8_S8_S8_S8_S8_S8_S8_EEEEZNS1_11reduce_implILb1ES3_NS6_12zip_iteratorINS7_INS6_11hip_rocprim26transform_input_iterator_tIbNSD_35transform_pair_of_input_iterators_tIbNS6_6detail15normal_iteratorINS6_10device_ptrIKdEEEESL_NS6_8equal_toIdEEEENSG_9not_fun_tINSD_8identityEEEEENSD_19counting_iterator_tIlEES8_S8_S8_S8_S8_S8_S8_S8_EEEEPS9_S9_NSD_9__find_if7functorIS9_EEEE10hipError_tPvRmT1_T2_T3_mT4_P12ihipStream_tbEUlT_E0_NS1_11comp_targetILNS1_3genE4ELNS1_11target_archE910ELNS1_3gpuE8ELNS1_3repE0EEENS1_30default_config_static_selectorELNS0_4arch9wavefront6targetE1EEEvS14_
	.globl	_ZN7rocprim17ROCPRIM_400000_NS6detail17trampoline_kernelINS0_14default_configENS1_22reduce_config_selectorIN6thrust23THRUST_200600_302600_NS5tupleIblNS6_9null_typeES8_S8_S8_S8_S8_S8_S8_EEEEZNS1_11reduce_implILb1ES3_NS6_12zip_iteratorINS7_INS6_11hip_rocprim26transform_input_iterator_tIbNSD_35transform_pair_of_input_iterators_tIbNS6_6detail15normal_iteratorINS6_10device_ptrIKdEEEESL_NS6_8equal_toIdEEEENSG_9not_fun_tINSD_8identityEEEEENSD_19counting_iterator_tIlEES8_S8_S8_S8_S8_S8_S8_S8_EEEEPS9_S9_NSD_9__find_if7functorIS9_EEEE10hipError_tPvRmT1_T2_T3_mT4_P12ihipStream_tbEUlT_E0_NS1_11comp_targetILNS1_3genE4ELNS1_11target_archE910ELNS1_3gpuE8ELNS1_3repE0EEENS1_30default_config_static_selectorELNS0_4arch9wavefront6targetE1EEEvS14_
	.p2align	8
	.type	_ZN7rocprim17ROCPRIM_400000_NS6detail17trampoline_kernelINS0_14default_configENS1_22reduce_config_selectorIN6thrust23THRUST_200600_302600_NS5tupleIblNS6_9null_typeES8_S8_S8_S8_S8_S8_S8_EEEEZNS1_11reduce_implILb1ES3_NS6_12zip_iteratorINS7_INS6_11hip_rocprim26transform_input_iterator_tIbNSD_35transform_pair_of_input_iterators_tIbNS6_6detail15normal_iteratorINS6_10device_ptrIKdEEEESL_NS6_8equal_toIdEEEENSG_9not_fun_tINSD_8identityEEEEENSD_19counting_iterator_tIlEES8_S8_S8_S8_S8_S8_S8_S8_EEEEPS9_S9_NSD_9__find_if7functorIS9_EEEE10hipError_tPvRmT1_T2_T3_mT4_P12ihipStream_tbEUlT_E0_NS1_11comp_targetILNS1_3genE4ELNS1_11target_archE910ELNS1_3gpuE8ELNS1_3repE0EEENS1_30default_config_static_selectorELNS0_4arch9wavefront6targetE1EEEvS14_,@function
_ZN7rocprim17ROCPRIM_400000_NS6detail17trampoline_kernelINS0_14default_configENS1_22reduce_config_selectorIN6thrust23THRUST_200600_302600_NS5tupleIblNS6_9null_typeES8_S8_S8_S8_S8_S8_S8_EEEEZNS1_11reduce_implILb1ES3_NS6_12zip_iteratorINS7_INS6_11hip_rocprim26transform_input_iterator_tIbNSD_35transform_pair_of_input_iterators_tIbNS6_6detail15normal_iteratorINS6_10device_ptrIKdEEEESL_NS6_8equal_toIdEEEENSG_9not_fun_tINSD_8identityEEEEENSD_19counting_iterator_tIlEES8_S8_S8_S8_S8_S8_S8_S8_EEEEPS9_S9_NSD_9__find_if7functorIS9_EEEE10hipError_tPvRmT1_T2_T3_mT4_P12ihipStream_tbEUlT_E0_NS1_11comp_targetILNS1_3genE4ELNS1_11target_archE910ELNS1_3gpuE8ELNS1_3repE0EEENS1_30default_config_static_selectorELNS0_4arch9wavefront6targetE1EEEvS14_: ; @_ZN7rocprim17ROCPRIM_400000_NS6detail17trampoline_kernelINS0_14default_configENS1_22reduce_config_selectorIN6thrust23THRUST_200600_302600_NS5tupleIblNS6_9null_typeES8_S8_S8_S8_S8_S8_S8_EEEEZNS1_11reduce_implILb1ES3_NS6_12zip_iteratorINS7_INS6_11hip_rocprim26transform_input_iterator_tIbNSD_35transform_pair_of_input_iterators_tIbNS6_6detail15normal_iteratorINS6_10device_ptrIKdEEEESL_NS6_8equal_toIdEEEENSG_9not_fun_tINSD_8identityEEEEENSD_19counting_iterator_tIlEES8_S8_S8_S8_S8_S8_S8_S8_EEEEPS9_S9_NSD_9__find_if7functorIS9_EEEE10hipError_tPvRmT1_T2_T3_mT4_P12ihipStream_tbEUlT_E0_NS1_11comp_targetILNS1_3genE4ELNS1_11target_archE910ELNS1_3gpuE8ELNS1_3repE0EEENS1_30default_config_static_selectorELNS0_4arch9wavefront6targetE1EEEvS14_
; %bb.0:
	.section	.rodata,"a",@progbits
	.p2align	6, 0x0
	.amdhsa_kernel _ZN7rocprim17ROCPRIM_400000_NS6detail17trampoline_kernelINS0_14default_configENS1_22reduce_config_selectorIN6thrust23THRUST_200600_302600_NS5tupleIblNS6_9null_typeES8_S8_S8_S8_S8_S8_S8_EEEEZNS1_11reduce_implILb1ES3_NS6_12zip_iteratorINS7_INS6_11hip_rocprim26transform_input_iterator_tIbNSD_35transform_pair_of_input_iterators_tIbNS6_6detail15normal_iteratorINS6_10device_ptrIKdEEEESL_NS6_8equal_toIdEEEENSG_9not_fun_tINSD_8identityEEEEENSD_19counting_iterator_tIlEES8_S8_S8_S8_S8_S8_S8_S8_EEEEPS9_S9_NSD_9__find_if7functorIS9_EEEE10hipError_tPvRmT1_T2_T3_mT4_P12ihipStream_tbEUlT_E0_NS1_11comp_targetILNS1_3genE4ELNS1_11target_archE910ELNS1_3gpuE8ELNS1_3repE0EEENS1_30default_config_static_selectorELNS0_4arch9wavefront6targetE1EEEvS14_
		.amdhsa_group_segment_fixed_size 0
		.amdhsa_private_segment_fixed_size 0
		.amdhsa_kernarg_size 104
		.amdhsa_user_sgpr_count 2
		.amdhsa_user_sgpr_dispatch_ptr 0
		.amdhsa_user_sgpr_queue_ptr 0
		.amdhsa_user_sgpr_kernarg_segment_ptr 1
		.amdhsa_user_sgpr_dispatch_id 0
		.amdhsa_user_sgpr_kernarg_preload_length 0
		.amdhsa_user_sgpr_kernarg_preload_offset 0
		.amdhsa_user_sgpr_private_segment_size 0
		.amdhsa_uses_dynamic_stack 0
		.amdhsa_enable_private_segment 0
		.amdhsa_system_sgpr_workgroup_id_x 1
		.amdhsa_system_sgpr_workgroup_id_y 0
		.amdhsa_system_sgpr_workgroup_id_z 0
		.amdhsa_system_sgpr_workgroup_info 0
		.amdhsa_system_vgpr_workitem_id 0
		.amdhsa_next_free_vgpr 1
		.amdhsa_next_free_sgpr 0
		.amdhsa_accum_offset 4
		.amdhsa_reserve_vcc 0
		.amdhsa_float_round_mode_32 0
		.amdhsa_float_round_mode_16_64 0
		.amdhsa_float_denorm_mode_32 3
		.amdhsa_float_denorm_mode_16_64 3
		.amdhsa_dx10_clamp 1
		.amdhsa_ieee_mode 1
		.amdhsa_fp16_overflow 0
		.amdhsa_tg_split 0
		.amdhsa_exception_fp_ieee_invalid_op 0
		.amdhsa_exception_fp_denorm_src 0
		.amdhsa_exception_fp_ieee_div_zero 0
		.amdhsa_exception_fp_ieee_overflow 0
		.amdhsa_exception_fp_ieee_underflow 0
		.amdhsa_exception_fp_ieee_inexact 0
		.amdhsa_exception_int_div_zero 0
	.end_amdhsa_kernel
	.section	.text._ZN7rocprim17ROCPRIM_400000_NS6detail17trampoline_kernelINS0_14default_configENS1_22reduce_config_selectorIN6thrust23THRUST_200600_302600_NS5tupleIblNS6_9null_typeES8_S8_S8_S8_S8_S8_S8_EEEEZNS1_11reduce_implILb1ES3_NS6_12zip_iteratorINS7_INS6_11hip_rocprim26transform_input_iterator_tIbNSD_35transform_pair_of_input_iterators_tIbNS6_6detail15normal_iteratorINS6_10device_ptrIKdEEEESL_NS6_8equal_toIdEEEENSG_9not_fun_tINSD_8identityEEEEENSD_19counting_iterator_tIlEES8_S8_S8_S8_S8_S8_S8_S8_EEEEPS9_S9_NSD_9__find_if7functorIS9_EEEE10hipError_tPvRmT1_T2_T3_mT4_P12ihipStream_tbEUlT_E0_NS1_11comp_targetILNS1_3genE4ELNS1_11target_archE910ELNS1_3gpuE8ELNS1_3repE0EEENS1_30default_config_static_selectorELNS0_4arch9wavefront6targetE1EEEvS14_,"axG",@progbits,_ZN7rocprim17ROCPRIM_400000_NS6detail17trampoline_kernelINS0_14default_configENS1_22reduce_config_selectorIN6thrust23THRUST_200600_302600_NS5tupleIblNS6_9null_typeES8_S8_S8_S8_S8_S8_S8_EEEEZNS1_11reduce_implILb1ES3_NS6_12zip_iteratorINS7_INS6_11hip_rocprim26transform_input_iterator_tIbNSD_35transform_pair_of_input_iterators_tIbNS6_6detail15normal_iteratorINS6_10device_ptrIKdEEEESL_NS6_8equal_toIdEEEENSG_9not_fun_tINSD_8identityEEEEENSD_19counting_iterator_tIlEES8_S8_S8_S8_S8_S8_S8_S8_EEEEPS9_S9_NSD_9__find_if7functorIS9_EEEE10hipError_tPvRmT1_T2_T3_mT4_P12ihipStream_tbEUlT_E0_NS1_11comp_targetILNS1_3genE4ELNS1_11target_archE910ELNS1_3gpuE8ELNS1_3repE0EEENS1_30default_config_static_selectorELNS0_4arch9wavefront6targetE1EEEvS14_,comdat
.Lfunc_end183:
	.size	_ZN7rocprim17ROCPRIM_400000_NS6detail17trampoline_kernelINS0_14default_configENS1_22reduce_config_selectorIN6thrust23THRUST_200600_302600_NS5tupleIblNS6_9null_typeES8_S8_S8_S8_S8_S8_S8_EEEEZNS1_11reduce_implILb1ES3_NS6_12zip_iteratorINS7_INS6_11hip_rocprim26transform_input_iterator_tIbNSD_35transform_pair_of_input_iterators_tIbNS6_6detail15normal_iteratorINS6_10device_ptrIKdEEEESL_NS6_8equal_toIdEEEENSG_9not_fun_tINSD_8identityEEEEENSD_19counting_iterator_tIlEES8_S8_S8_S8_S8_S8_S8_S8_EEEEPS9_S9_NSD_9__find_if7functorIS9_EEEE10hipError_tPvRmT1_T2_T3_mT4_P12ihipStream_tbEUlT_E0_NS1_11comp_targetILNS1_3genE4ELNS1_11target_archE910ELNS1_3gpuE8ELNS1_3repE0EEENS1_30default_config_static_selectorELNS0_4arch9wavefront6targetE1EEEvS14_, .Lfunc_end183-_ZN7rocprim17ROCPRIM_400000_NS6detail17trampoline_kernelINS0_14default_configENS1_22reduce_config_selectorIN6thrust23THRUST_200600_302600_NS5tupleIblNS6_9null_typeES8_S8_S8_S8_S8_S8_S8_EEEEZNS1_11reduce_implILb1ES3_NS6_12zip_iteratorINS7_INS6_11hip_rocprim26transform_input_iterator_tIbNSD_35transform_pair_of_input_iterators_tIbNS6_6detail15normal_iteratorINS6_10device_ptrIKdEEEESL_NS6_8equal_toIdEEEENSG_9not_fun_tINSD_8identityEEEEENSD_19counting_iterator_tIlEES8_S8_S8_S8_S8_S8_S8_S8_EEEEPS9_S9_NSD_9__find_if7functorIS9_EEEE10hipError_tPvRmT1_T2_T3_mT4_P12ihipStream_tbEUlT_E0_NS1_11comp_targetILNS1_3genE4ELNS1_11target_archE910ELNS1_3gpuE8ELNS1_3repE0EEENS1_30default_config_static_selectorELNS0_4arch9wavefront6targetE1EEEvS14_
                                        ; -- End function
	.set _ZN7rocprim17ROCPRIM_400000_NS6detail17trampoline_kernelINS0_14default_configENS1_22reduce_config_selectorIN6thrust23THRUST_200600_302600_NS5tupleIblNS6_9null_typeES8_S8_S8_S8_S8_S8_S8_EEEEZNS1_11reduce_implILb1ES3_NS6_12zip_iteratorINS7_INS6_11hip_rocprim26transform_input_iterator_tIbNSD_35transform_pair_of_input_iterators_tIbNS6_6detail15normal_iteratorINS6_10device_ptrIKdEEEESL_NS6_8equal_toIdEEEENSG_9not_fun_tINSD_8identityEEEEENSD_19counting_iterator_tIlEES8_S8_S8_S8_S8_S8_S8_S8_EEEEPS9_S9_NSD_9__find_if7functorIS9_EEEE10hipError_tPvRmT1_T2_T3_mT4_P12ihipStream_tbEUlT_E0_NS1_11comp_targetILNS1_3genE4ELNS1_11target_archE910ELNS1_3gpuE8ELNS1_3repE0EEENS1_30default_config_static_selectorELNS0_4arch9wavefront6targetE1EEEvS14_.num_vgpr, 0
	.set _ZN7rocprim17ROCPRIM_400000_NS6detail17trampoline_kernelINS0_14default_configENS1_22reduce_config_selectorIN6thrust23THRUST_200600_302600_NS5tupleIblNS6_9null_typeES8_S8_S8_S8_S8_S8_S8_EEEEZNS1_11reduce_implILb1ES3_NS6_12zip_iteratorINS7_INS6_11hip_rocprim26transform_input_iterator_tIbNSD_35transform_pair_of_input_iterators_tIbNS6_6detail15normal_iteratorINS6_10device_ptrIKdEEEESL_NS6_8equal_toIdEEEENSG_9not_fun_tINSD_8identityEEEEENSD_19counting_iterator_tIlEES8_S8_S8_S8_S8_S8_S8_S8_EEEEPS9_S9_NSD_9__find_if7functorIS9_EEEE10hipError_tPvRmT1_T2_T3_mT4_P12ihipStream_tbEUlT_E0_NS1_11comp_targetILNS1_3genE4ELNS1_11target_archE910ELNS1_3gpuE8ELNS1_3repE0EEENS1_30default_config_static_selectorELNS0_4arch9wavefront6targetE1EEEvS14_.num_agpr, 0
	.set _ZN7rocprim17ROCPRIM_400000_NS6detail17trampoline_kernelINS0_14default_configENS1_22reduce_config_selectorIN6thrust23THRUST_200600_302600_NS5tupleIblNS6_9null_typeES8_S8_S8_S8_S8_S8_S8_EEEEZNS1_11reduce_implILb1ES3_NS6_12zip_iteratorINS7_INS6_11hip_rocprim26transform_input_iterator_tIbNSD_35transform_pair_of_input_iterators_tIbNS6_6detail15normal_iteratorINS6_10device_ptrIKdEEEESL_NS6_8equal_toIdEEEENSG_9not_fun_tINSD_8identityEEEEENSD_19counting_iterator_tIlEES8_S8_S8_S8_S8_S8_S8_S8_EEEEPS9_S9_NSD_9__find_if7functorIS9_EEEE10hipError_tPvRmT1_T2_T3_mT4_P12ihipStream_tbEUlT_E0_NS1_11comp_targetILNS1_3genE4ELNS1_11target_archE910ELNS1_3gpuE8ELNS1_3repE0EEENS1_30default_config_static_selectorELNS0_4arch9wavefront6targetE1EEEvS14_.numbered_sgpr, 0
	.set _ZN7rocprim17ROCPRIM_400000_NS6detail17trampoline_kernelINS0_14default_configENS1_22reduce_config_selectorIN6thrust23THRUST_200600_302600_NS5tupleIblNS6_9null_typeES8_S8_S8_S8_S8_S8_S8_EEEEZNS1_11reduce_implILb1ES3_NS6_12zip_iteratorINS7_INS6_11hip_rocprim26transform_input_iterator_tIbNSD_35transform_pair_of_input_iterators_tIbNS6_6detail15normal_iteratorINS6_10device_ptrIKdEEEESL_NS6_8equal_toIdEEEENSG_9not_fun_tINSD_8identityEEEEENSD_19counting_iterator_tIlEES8_S8_S8_S8_S8_S8_S8_S8_EEEEPS9_S9_NSD_9__find_if7functorIS9_EEEE10hipError_tPvRmT1_T2_T3_mT4_P12ihipStream_tbEUlT_E0_NS1_11comp_targetILNS1_3genE4ELNS1_11target_archE910ELNS1_3gpuE8ELNS1_3repE0EEENS1_30default_config_static_selectorELNS0_4arch9wavefront6targetE1EEEvS14_.num_named_barrier, 0
	.set _ZN7rocprim17ROCPRIM_400000_NS6detail17trampoline_kernelINS0_14default_configENS1_22reduce_config_selectorIN6thrust23THRUST_200600_302600_NS5tupleIblNS6_9null_typeES8_S8_S8_S8_S8_S8_S8_EEEEZNS1_11reduce_implILb1ES3_NS6_12zip_iteratorINS7_INS6_11hip_rocprim26transform_input_iterator_tIbNSD_35transform_pair_of_input_iterators_tIbNS6_6detail15normal_iteratorINS6_10device_ptrIKdEEEESL_NS6_8equal_toIdEEEENSG_9not_fun_tINSD_8identityEEEEENSD_19counting_iterator_tIlEES8_S8_S8_S8_S8_S8_S8_S8_EEEEPS9_S9_NSD_9__find_if7functorIS9_EEEE10hipError_tPvRmT1_T2_T3_mT4_P12ihipStream_tbEUlT_E0_NS1_11comp_targetILNS1_3genE4ELNS1_11target_archE910ELNS1_3gpuE8ELNS1_3repE0EEENS1_30default_config_static_selectorELNS0_4arch9wavefront6targetE1EEEvS14_.private_seg_size, 0
	.set _ZN7rocprim17ROCPRIM_400000_NS6detail17trampoline_kernelINS0_14default_configENS1_22reduce_config_selectorIN6thrust23THRUST_200600_302600_NS5tupleIblNS6_9null_typeES8_S8_S8_S8_S8_S8_S8_EEEEZNS1_11reduce_implILb1ES3_NS6_12zip_iteratorINS7_INS6_11hip_rocprim26transform_input_iterator_tIbNSD_35transform_pair_of_input_iterators_tIbNS6_6detail15normal_iteratorINS6_10device_ptrIKdEEEESL_NS6_8equal_toIdEEEENSG_9not_fun_tINSD_8identityEEEEENSD_19counting_iterator_tIlEES8_S8_S8_S8_S8_S8_S8_S8_EEEEPS9_S9_NSD_9__find_if7functorIS9_EEEE10hipError_tPvRmT1_T2_T3_mT4_P12ihipStream_tbEUlT_E0_NS1_11comp_targetILNS1_3genE4ELNS1_11target_archE910ELNS1_3gpuE8ELNS1_3repE0EEENS1_30default_config_static_selectorELNS0_4arch9wavefront6targetE1EEEvS14_.uses_vcc, 0
	.set _ZN7rocprim17ROCPRIM_400000_NS6detail17trampoline_kernelINS0_14default_configENS1_22reduce_config_selectorIN6thrust23THRUST_200600_302600_NS5tupleIblNS6_9null_typeES8_S8_S8_S8_S8_S8_S8_EEEEZNS1_11reduce_implILb1ES3_NS6_12zip_iteratorINS7_INS6_11hip_rocprim26transform_input_iterator_tIbNSD_35transform_pair_of_input_iterators_tIbNS6_6detail15normal_iteratorINS6_10device_ptrIKdEEEESL_NS6_8equal_toIdEEEENSG_9not_fun_tINSD_8identityEEEEENSD_19counting_iterator_tIlEES8_S8_S8_S8_S8_S8_S8_S8_EEEEPS9_S9_NSD_9__find_if7functorIS9_EEEE10hipError_tPvRmT1_T2_T3_mT4_P12ihipStream_tbEUlT_E0_NS1_11comp_targetILNS1_3genE4ELNS1_11target_archE910ELNS1_3gpuE8ELNS1_3repE0EEENS1_30default_config_static_selectorELNS0_4arch9wavefront6targetE1EEEvS14_.uses_flat_scratch, 0
	.set _ZN7rocprim17ROCPRIM_400000_NS6detail17trampoline_kernelINS0_14default_configENS1_22reduce_config_selectorIN6thrust23THRUST_200600_302600_NS5tupleIblNS6_9null_typeES8_S8_S8_S8_S8_S8_S8_EEEEZNS1_11reduce_implILb1ES3_NS6_12zip_iteratorINS7_INS6_11hip_rocprim26transform_input_iterator_tIbNSD_35transform_pair_of_input_iterators_tIbNS6_6detail15normal_iteratorINS6_10device_ptrIKdEEEESL_NS6_8equal_toIdEEEENSG_9not_fun_tINSD_8identityEEEEENSD_19counting_iterator_tIlEES8_S8_S8_S8_S8_S8_S8_S8_EEEEPS9_S9_NSD_9__find_if7functorIS9_EEEE10hipError_tPvRmT1_T2_T3_mT4_P12ihipStream_tbEUlT_E0_NS1_11comp_targetILNS1_3genE4ELNS1_11target_archE910ELNS1_3gpuE8ELNS1_3repE0EEENS1_30default_config_static_selectorELNS0_4arch9wavefront6targetE1EEEvS14_.has_dyn_sized_stack, 0
	.set _ZN7rocprim17ROCPRIM_400000_NS6detail17trampoline_kernelINS0_14default_configENS1_22reduce_config_selectorIN6thrust23THRUST_200600_302600_NS5tupleIblNS6_9null_typeES8_S8_S8_S8_S8_S8_S8_EEEEZNS1_11reduce_implILb1ES3_NS6_12zip_iteratorINS7_INS6_11hip_rocprim26transform_input_iterator_tIbNSD_35transform_pair_of_input_iterators_tIbNS6_6detail15normal_iteratorINS6_10device_ptrIKdEEEESL_NS6_8equal_toIdEEEENSG_9not_fun_tINSD_8identityEEEEENSD_19counting_iterator_tIlEES8_S8_S8_S8_S8_S8_S8_S8_EEEEPS9_S9_NSD_9__find_if7functorIS9_EEEE10hipError_tPvRmT1_T2_T3_mT4_P12ihipStream_tbEUlT_E0_NS1_11comp_targetILNS1_3genE4ELNS1_11target_archE910ELNS1_3gpuE8ELNS1_3repE0EEENS1_30default_config_static_selectorELNS0_4arch9wavefront6targetE1EEEvS14_.has_recursion, 0
	.set _ZN7rocprim17ROCPRIM_400000_NS6detail17trampoline_kernelINS0_14default_configENS1_22reduce_config_selectorIN6thrust23THRUST_200600_302600_NS5tupleIblNS6_9null_typeES8_S8_S8_S8_S8_S8_S8_EEEEZNS1_11reduce_implILb1ES3_NS6_12zip_iteratorINS7_INS6_11hip_rocprim26transform_input_iterator_tIbNSD_35transform_pair_of_input_iterators_tIbNS6_6detail15normal_iteratorINS6_10device_ptrIKdEEEESL_NS6_8equal_toIdEEEENSG_9not_fun_tINSD_8identityEEEEENSD_19counting_iterator_tIlEES8_S8_S8_S8_S8_S8_S8_S8_EEEEPS9_S9_NSD_9__find_if7functorIS9_EEEE10hipError_tPvRmT1_T2_T3_mT4_P12ihipStream_tbEUlT_E0_NS1_11comp_targetILNS1_3genE4ELNS1_11target_archE910ELNS1_3gpuE8ELNS1_3repE0EEENS1_30default_config_static_selectorELNS0_4arch9wavefront6targetE1EEEvS14_.has_indirect_call, 0
	.section	.AMDGPU.csdata,"",@progbits
; Kernel info:
; codeLenInByte = 0
; TotalNumSgprs: 6
; NumVgprs: 0
; NumAgprs: 0
; TotalNumVgprs: 0
; ScratchSize: 0
; MemoryBound: 0
; FloatMode: 240
; IeeeMode: 1
; LDSByteSize: 0 bytes/workgroup (compile time only)
; SGPRBlocks: 0
; VGPRBlocks: 0
; NumSGPRsForWavesPerEU: 6
; NumVGPRsForWavesPerEU: 1
; AccumOffset: 4
; Occupancy: 8
; WaveLimiterHint : 0
; COMPUTE_PGM_RSRC2:SCRATCH_EN: 0
; COMPUTE_PGM_RSRC2:USER_SGPR: 2
; COMPUTE_PGM_RSRC2:TRAP_HANDLER: 0
; COMPUTE_PGM_RSRC2:TGID_X_EN: 1
; COMPUTE_PGM_RSRC2:TGID_Y_EN: 0
; COMPUTE_PGM_RSRC2:TGID_Z_EN: 0
; COMPUTE_PGM_RSRC2:TIDIG_COMP_CNT: 0
; COMPUTE_PGM_RSRC3_GFX90A:ACCUM_OFFSET: 0
; COMPUTE_PGM_RSRC3_GFX90A:TG_SPLIT: 0
	.section	.text._ZN7rocprim17ROCPRIM_400000_NS6detail17trampoline_kernelINS0_14default_configENS1_22reduce_config_selectorIN6thrust23THRUST_200600_302600_NS5tupleIblNS6_9null_typeES8_S8_S8_S8_S8_S8_S8_EEEEZNS1_11reduce_implILb1ES3_NS6_12zip_iteratorINS7_INS6_11hip_rocprim26transform_input_iterator_tIbNSD_35transform_pair_of_input_iterators_tIbNS6_6detail15normal_iteratorINS6_10device_ptrIKdEEEESL_NS6_8equal_toIdEEEENSG_9not_fun_tINSD_8identityEEEEENSD_19counting_iterator_tIlEES8_S8_S8_S8_S8_S8_S8_S8_EEEEPS9_S9_NSD_9__find_if7functorIS9_EEEE10hipError_tPvRmT1_T2_T3_mT4_P12ihipStream_tbEUlT_E0_NS1_11comp_targetILNS1_3genE3ELNS1_11target_archE908ELNS1_3gpuE7ELNS1_3repE0EEENS1_30default_config_static_selectorELNS0_4arch9wavefront6targetE1EEEvS14_,"axG",@progbits,_ZN7rocprim17ROCPRIM_400000_NS6detail17trampoline_kernelINS0_14default_configENS1_22reduce_config_selectorIN6thrust23THRUST_200600_302600_NS5tupleIblNS6_9null_typeES8_S8_S8_S8_S8_S8_S8_EEEEZNS1_11reduce_implILb1ES3_NS6_12zip_iteratorINS7_INS6_11hip_rocprim26transform_input_iterator_tIbNSD_35transform_pair_of_input_iterators_tIbNS6_6detail15normal_iteratorINS6_10device_ptrIKdEEEESL_NS6_8equal_toIdEEEENSG_9not_fun_tINSD_8identityEEEEENSD_19counting_iterator_tIlEES8_S8_S8_S8_S8_S8_S8_S8_EEEEPS9_S9_NSD_9__find_if7functorIS9_EEEE10hipError_tPvRmT1_T2_T3_mT4_P12ihipStream_tbEUlT_E0_NS1_11comp_targetILNS1_3genE3ELNS1_11target_archE908ELNS1_3gpuE7ELNS1_3repE0EEENS1_30default_config_static_selectorELNS0_4arch9wavefront6targetE1EEEvS14_,comdat
	.protected	_ZN7rocprim17ROCPRIM_400000_NS6detail17trampoline_kernelINS0_14default_configENS1_22reduce_config_selectorIN6thrust23THRUST_200600_302600_NS5tupleIblNS6_9null_typeES8_S8_S8_S8_S8_S8_S8_EEEEZNS1_11reduce_implILb1ES3_NS6_12zip_iteratorINS7_INS6_11hip_rocprim26transform_input_iterator_tIbNSD_35transform_pair_of_input_iterators_tIbNS6_6detail15normal_iteratorINS6_10device_ptrIKdEEEESL_NS6_8equal_toIdEEEENSG_9not_fun_tINSD_8identityEEEEENSD_19counting_iterator_tIlEES8_S8_S8_S8_S8_S8_S8_S8_EEEEPS9_S9_NSD_9__find_if7functorIS9_EEEE10hipError_tPvRmT1_T2_T3_mT4_P12ihipStream_tbEUlT_E0_NS1_11comp_targetILNS1_3genE3ELNS1_11target_archE908ELNS1_3gpuE7ELNS1_3repE0EEENS1_30default_config_static_selectorELNS0_4arch9wavefront6targetE1EEEvS14_ ; -- Begin function _ZN7rocprim17ROCPRIM_400000_NS6detail17trampoline_kernelINS0_14default_configENS1_22reduce_config_selectorIN6thrust23THRUST_200600_302600_NS5tupleIblNS6_9null_typeES8_S8_S8_S8_S8_S8_S8_EEEEZNS1_11reduce_implILb1ES3_NS6_12zip_iteratorINS7_INS6_11hip_rocprim26transform_input_iterator_tIbNSD_35transform_pair_of_input_iterators_tIbNS6_6detail15normal_iteratorINS6_10device_ptrIKdEEEESL_NS6_8equal_toIdEEEENSG_9not_fun_tINSD_8identityEEEEENSD_19counting_iterator_tIlEES8_S8_S8_S8_S8_S8_S8_S8_EEEEPS9_S9_NSD_9__find_if7functorIS9_EEEE10hipError_tPvRmT1_T2_T3_mT4_P12ihipStream_tbEUlT_E0_NS1_11comp_targetILNS1_3genE3ELNS1_11target_archE908ELNS1_3gpuE7ELNS1_3repE0EEENS1_30default_config_static_selectorELNS0_4arch9wavefront6targetE1EEEvS14_
	.globl	_ZN7rocprim17ROCPRIM_400000_NS6detail17trampoline_kernelINS0_14default_configENS1_22reduce_config_selectorIN6thrust23THRUST_200600_302600_NS5tupleIblNS6_9null_typeES8_S8_S8_S8_S8_S8_S8_EEEEZNS1_11reduce_implILb1ES3_NS6_12zip_iteratorINS7_INS6_11hip_rocprim26transform_input_iterator_tIbNSD_35transform_pair_of_input_iterators_tIbNS6_6detail15normal_iteratorINS6_10device_ptrIKdEEEESL_NS6_8equal_toIdEEEENSG_9not_fun_tINSD_8identityEEEEENSD_19counting_iterator_tIlEES8_S8_S8_S8_S8_S8_S8_S8_EEEEPS9_S9_NSD_9__find_if7functorIS9_EEEE10hipError_tPvRmT1_T2_T3_mT4_P12ihipStream_tbEUlT_E0_NS1_11comp_targetILNS1_3genE3ELNS1_11target_archE908ELNS1_3gpuE7ELNS1_3repE0EEENS1_30default_config_static_selectorELNS0_4arch9wavefront6targetE1EEEvS14_
	.p2align	8
	.type	_ZN7rocprim17ROCPRIM_400000_NS6detail17trampoline_kernelINS0_14default_configENS1_22reduce_config_selectorIN6thrust23THRUST_200600_302600_NS5tupleIblNS6_9null_typeES8_S8_S8_S8_S8_S8_S8_EEEEZNS1_11reduce_implILb1ES3_NS6_12zip_iteratorINS7_INS6_11hip_rocprim26transform_input_iterator_tIbNSD_35transform_pair_of_input_iterators_tIbNS6_6detail15normal_iteratorINS6_10device_ptrIKdEEEESL_NS6_8equal_toIdEEEENSG_9not_fun_tINSD_8identityEEEEENSD_19counting_iterator_tIlEES8_S8_S8_S8_S8_S8_S8_S8_EEEEPS9_S9_NSD_9__find_if7functorIS9_EEEE10hipError_tPvRmT1_T2_T3_mT4_P12ihipStream_tbEUlT_E0_NS1_11comp_targetILNS1_3genE3ELNS1_11target_archE908ELNS1_3gpuE7ELNS1_3repE0EEENS1_30default_config_static_selectorELNS0_4arch9wavefront6targetE1EEEvS14_,@function
_ZN7rocprim17ROCPRIM_400000_NS6detail17trampoline_kernelINS0_14default_configENS1_22reduce_config_selectorIN6thrust23THRUST_200600_302600_NS5tupleIblNS6_9null_typeES8_S8_S8_S8_S8_S8_S8_EEEEZNS1_11reduce_implILb1ES3_NS6_12zip_iteratorINS7_INS6_11hip_rocprim26transform_input_iterator_tIbNSD_35transform_pair_of_input_iterators_tIbNS6_6detail15normal_iteratorINS6_10device_ptrIKdEEEESL_NS6_8equal_toIdEEEENSG_9not_fun_tINSD_8identityEEEEENSD_19counting_iterator_tIlEES8_S8_S8_S8_S8_S8_S8_S8_EEEEPS9_S9_NSD_9__find_if7functorIS9_EEEE10hipError_tPvRmT1_T2_T3_mT4_P12ihipStream_tbEUlT_E0_NS1_11comp_targetILNS1_3genE3ELNS1_11target_archE908ELNS1_3gpuE7ELNS1_3repE0EEENS1_30default_config_static_selectorELNS0_4arch9wavefront6targetE1EEEvS14_: ; @_ZN7rocprim17ROCPRIM_400000_NS6detail17trampoline_kernelINS0_14default_configENS1_22reduce_config_selectorIN6thrust23THRUST_200600_302600_NS5tupleIblNS6_9null_typeES8_S8_S8_S8_S8_S8_S8_EEEEZNS1_11reduce_implILb1ES3_NS6_12zip_iteratorINS7_INS6_11hip_rocprim26transform_input_iterator_tIbNSD_35transform_pair_of_input_iterators_tIbNS6_6detail15normal_iteratorINS6_10device_ptrIKdEEEESL_NS6_8equal_toIdEEEENSG_9not_fun_tINSD_8identityEEEEENSD_19counting_iterator_tIlEES8_S8_S8_S8_S8_S8_S8_S8_EEEEPS9_S9_NSD_9__find_if7functorIS9_EEEE10hipError_tPvRmT1_T2_T3_mT4_P12ihipStream_tbEUlT_E0_NS1_11comp_targetILNS1_3genE3ELNS1_11target_archE908ELNS1_3gpuE7ELNS1_3repE0EEENS1_30default_config_static_selectorELNS0_4arch9wavefront6targetE1EEEvS14_
; %bb.0:
	.section	.rodata,"a",@progbits
	.p2align	6, 0x0
	.amdhsa_kernel _ZN7rocprim17ROCPRIM_400000_NS6detail17trampoline_kernelINS0_14default_configENS1_22reduce_config_selectorIN6thrust23THRUST_200600_302600_NS5tupleIblNS6_9null_typeES8_S8_S8_S8_S8_S8_S8_EEEEZNS1_11reduce_implILb1ES3_NS6_12zip_iteratorINS7_INS6_11hip_rocprim26transform_input_iterator_tIbNSD_35transform_pair_of_input_iterators_tIbNS6_6detail15normal_iteratorINS6_10device_ptrIKdEEEESL_NS6_8equal_toIdEEEENSG_9not_fun_tINSD_8identityEEEEENSD_19counting_iterator_tIlEES8_S8_S8_S8_S8_S8_S8_S8_EEEEPS9_S9_NSD_9__find_if7functorIS9_EEEE10hipError_tPvRmT1_T2_T3_mT4_P12ihipStream_tbEUlT_E0_NS1_11comp_targetILNS1_3genE3ELNS1_11target_archE908ELNS1_3gpuE7ELNS1_3repE0EEENS1_30default_config_static_selectorELNS0_4arch9wavefront6targetE1EEEvS14_
		.amdhsa_group_segment_fixed_size 0
		.amdhsa_private_segment_fixed_size 0
		.amdhsa_kernarg_size 104
		.amdhsa_user_sgpr_count 2
		.amdhsa_user_sgpr_dispatch_ptr 0
		.amdhsa_user_sgpr_queue_ptr 0
		.amdhsa_user_sgpr_kernarg_segment_ptr 1
		.amdhsa_user_sgpr_dispatch_id 0
		.amdhsa_user_sgpr_kernarg_preload_length 0
		.amdhsa_user_sgpr_kernarg_preload_offset 0
		.amdhsa_user_sgpr_private_segment_size 0
		.amdhsa_uses_dynamic_stack 0
		.amdhsa_enable_private_segment 0
		.amdhsa_system_sgpr_workgroup_id_x 1
		.amdhsa_system_sgpr_workgroup_id_y 0
		.amdhsa_system_sgpr_workgroup_id_z 0
		.amdhsa_system_sgpr_workgroup_info 0
		.amdhsa_system_vgpr_workitem_id 0
		.amdhsa_next_free_vgpr 1
		.amdhsa_next_free_sgpr 0
		.amdhsa_accum_offset 4
		.amdhsa_reserve_vcc 0
		.amdhsa_float_round_mode_32 0
		.amdhsa_float_round_mode_16_64 0
		.amdhsa_float_denorm_mode_32 3
		.amdhsa_float_denorm_mode_16_64 3
		.amdhsa_dx10_clamp 1
		.amdhsa_ieee_mode 1
		.amdhsa_fp16_overflow 0
		.amdhsa_tg_split 0
		.amdhsa_exception_fp_ieee_invalid_op 0
		.amdhsa_exception_fp_denorm_src 0
		.amdhsa_exception_fp_ieee_div_zero 0
		.amdhsa_exception_fp_ieee_overflow 0
		.amdhsa_exception_fp_ieee_underflow 0
		.amdhsa_exception_fp_ieee_inexact 0
		.amdhsa_exception_int_div_zero 0
	.end_amdhsa_kernel
	.section	.text._ZN7rocprim17ROCPRIM_400000_NS6detail17trampoline_kernelINS0_14default_configENS1_22reduce_config_selectorIN6thrust23THRUST_200600_302600_NS5tupleIblNS6_9null_typeES8_S8_S8_S8_S8_S8_S8_EEEEZNS1_11reduce_implILb1ES3_NS6_12zip_iteratorINS7_INS6_11hip_rocprim26transform_input_iterator_tIbNSD_35transform_pair_of_input_iterators_tIbNS6_6detail15normal_iteratorINS6_10device_ptrIKdEEEESL_NS6_8equal_toIdEEEENSG_9not_fun_tINSD_8identityEEEEENSD_19counting_iterator_tIlEES8_S8_S8_S8_S8_S8_S8_S8_EEEEPS9_S9_NSD_9__find_if7functorIS9_EEEE10hipError_tPvRmT1_T2_T3_mT4_P12ihipStream_tbEUlT_E0_NS1_11comp_targetILNS1_3genE3ELNS1_11target_archE908ELNS1_3gpuE7ELNS1_3repE0EEENS1_30default_config_static_selectorELNS0_4arch9wavefront6targetE1EEEvS14_,"axG",@progbits,_ZN7rocprim17ROCPRIM_400000_NS6detail17trampoline_kernelINS0_14default_configENS1_22reduce_config_selectorIN6thrust23THRUST_200600_302600_NS5tupleIblNS6_9null_typeES8_S8_S8_S8_S8_S8_S8_EEEEZNS1_11reduce_implILb1ES3_NS6_12zip_iteratorINS7_INS6_11hip_rocprim26transform_input_iterator_tIbNSD_35transform_pair_of_input_iterators_tIbNS6_6detail15normal_iteratorINS6_10device_ptrIKdEEEESL_NS6_8equal_toIdEEEENSG_9not_fun_tINSD_8identityEEEEENSD_19counting_iterator_tIlEES8_S8_S8_S8_S8_S8_S8_S8_EEEEPS9_S9_NSD_9__find_if7functorIS9_EEEE10hipError_tPvRmT1_T2_T3_mT4_P12ihipStream_tbEUlT_E0_NS1_11comp_targetILNS1_3genE3ELNS1_11target_archE908ELNS1_3gpuE7ELNS1_3repE0EEENS1_30default_config_static_selectorELNS0_4arch9wavefront6targetE1EEEvS14_,comdat
.Lfunc_end184:
	.size	_ZN7rocprim17ROCPRIM_400000_NS6detail17trampoline_kernelINS0_14default_configENS1_22reduce_config_selectorIN6thrust23THRUST_200600_302600_NS5tupleIblNS6_9null_typeES8_S8_S8_S8_S8_S8_S8_EEEEZNS1_11reduce_implILb1ES3_NS6_12zip_iteratorINS7_INS6_11hip_rocprim26transform_input_iterator_tIbNSD_35transform_pair_of_input_iterators_tIbNS6_6detail15normal_iteratorINS6_10device_ptrIKdEEEESL_NS6_8equal_toIdEEEENSG_9not_fun_tINSD_8identityEEEEENSD_19counting_iterator_tIlEES8_S8_S8_S8_S8_S8_S8_S8_EEEEPS9_S9_NSD_9__find_if7functorIS9_EEEE10hipError_tPvRmT1_T2_T3_mT4_P12ihipStream_tbEUlT_E0_NS1_11comp_targetILNS1_3genE3ELNS1_11target_archE908ELNS1_3gpuE7ELNS1_3repE0EEENS1_30default_config_static_selectorELNS0_4arch9wavefront6targetE1EEEvS14_, .Lfunc_end184-_ZN7rocprim17ROCPRIM_400000_NS6detail17trampoline_kernelINS0_14default_configENS1_22reduce_config_selectorIN6thrust23THRUST_200600_302600_NS5tupleIblNS6_9null_typeES8_S8_S8_S8_S8_S8_S8_EEEEZNS1_11reduce_implILb1ES3_NS6_12zip_iteratorINS7_INS6_11hip_rocprim26transform_input_iterator_tIbNSD_35transform_pair_of_input_iterators_tIbNS6_6detail15normal_iteratorINS6_10device_ptrIKdEEEESL_NS6_8equal_toIdEEEENSG_9not_fun_tINSD_8identityEEEEENSD_19counting_iterator_tIlEES8_S8_S8_S8_S8_S8_S8_S8_EEEEPS9_S9_NSD_9__find_if7functorIS9_EEEE10hipError_tPvRmT1_T2_T3_mT4_P12ihipStream_tbEUlT_E0_NS1_11comp_targetILNS1_3genE3ELNS1_11target_archE908ELNS1_3gpuE7ELNS1_3repE0EEENS1_30default_config_static_selectorELNS0_4arch9wavefront6targetE1EEEvS14_
                                        ; -- End function
	.set _ZN7rocprim17ROCPRIM_400000_NS6detail17trampoline_kernelINS0_14default_configENS1_22reduce_config_selectorIN6thrust23THRUST_200600_302600_NS5tupleIblNS6_9null_typeES8_S8_S8_S8_S8_S8_S8_EEEEZNS1_11reduce_implILb1ES3_NS6_12zip_iteratorINS7_INS6_11hip_rocprim26transform_input_iterator_tIbNSD_35transform_pair_of_input_iterators_tIbNS6_6detail15normal_iteratorINS6_10device_ptrIKdEEEESL_NS6_8equal_toIdEEEENSG_9not_fun_tINSD_8identityEEEEENSD_19counting_iterator_tIlEES8_S8_S8_S8_S8_S8_S8_S8_EEEEPS9_S9_NSD_9__find_if7functorIS9_EEEE10hipError_tPvRmT1_T2_T3_mT4_P12ihipStream_tbEUlT_E0_NS1_11comp_targetILNS1_3genE3ELNS1_11target_archE908ELNS1_3gpuE7ELNS1_3repE0EEENS1_30default_config_static_selectorELNS0_4arch9wavefront6targetE1EEEvS14_.num_vgpr, 0
	.set _ZN7rocprim17ROCPRIM_400000_NS6detail17trampoline_kernelINS0_14default_configENS1_22reduce_config_selectorIN6thrust23THRUST_200600_302600_NS5tupleIblNS6_9null_typeES8_S8_S8_S8_S8_S8_S8_EEEEZNS1_11reduce_implILb1ES3_NS6_12zip_iteratorINS7_INS6_11hip_rocprim26transform_input_iterator_tIbNSD_35transform_pair_of_input_iterators_tIbNS6_6detail15normal_iteratorINS6_10device_ptrIKdEEEESL_NS6_8equal_toIdEEEENSG_9not_fun_tINSD_8identityEEEEENSD_19counting_iterator_tIlEES8_S8_S8_S8_S8_S8_S8_S8_EEEEPS9_S9_NSD_9__find_if7functorIS9_EEEE10hipError_tPvRmT1_T2_T3_mT4_P12ihipStream_tbEUlT_E0_NS1_11comp_targetILNS1_3genE3ELNS1_11target_archE908ELNS1_3gpuE7ELNS1_3repE0EEENS1_30default_config_static_selectorELNS0_4arch9wavefront6targetE1EEEvS14_.num_agpr, 0
	.set _ZN7rocprim17ROCPRIM_400000_NS6detail17trampoline_kernelINS0_14default_configENS1_22reduce_config_selectorIN6thrust23THRUST_200600_302600_NS5tupleIblNS6_9null_typeES8_S8_S8_S8_S8_S8_S8_EEEEZNS1_11reduce_implILb1ES3_NS6_12zip_iteratorINS7_INS6_11hip_rocprim26transform_input_iterator_tIbNSD_35transform_pair_of_input_iterators_tIbNS6_6detail15normal_iteratorINS6_10device_ptrIKdEEEESL_NS6_8equal_toIdEEEENSG_9not_fun_tINSD_8identityEEEEENSD_19counting_iterator_tIlEES8_S8_S8_S8_S8_S8_S8_S8_EEEEPS9_S9_NSD_9__find_if7functorIS9_EEEE10hipError_tPvRmT1_T2_T3_mT4_P12ihipStream_tbEUlT_E0_NS1_11comp_targetILNS1_3genE3ELNS1_11target_archE908ELNS1_3gpuE7ELNS1_3repE0EEENS1_30default_config_static_selectorELNS0_4arch9wavefront6targetE1EEEvS14_.numbered_sgpr, 0
	.set _ZN7rocprim17ROCPRIM_400000_NS6detail17trampoline_kernelINS0_14default_configENS1_22reduce_config_selectorIN6thrust23THRUST_200600_302600_NS5tupleIblNS6_9null_typeES8_S8_S8_S8_S8_S8_S8_EEEEZNS1_11reduce_implILb1ES3_NS6_12zip_iteratorINS7_INS6_11hip_rocprim26transform_input_iterator_tIbNSD_35transform_pair_of_input_iterators_tIbNS6_6detail15normal_iteratorINS6_10device_ptrIKdEEEESL_NS6_8equal_toIdEEEENSG_9not_fun_tINSD_8identityEEEEENSD_19counting_iterator_tIlEES8_S8_S8_S8_S8_S8_S8_S8_EEEEPS9_S9_NSD_9__find_if7functorIS9_EEEE10hipError_tPvRmT1_T2_T3_mT4_P12ihipStream_tbEUlT_E0_NS1_11comp_targetILNS1_3genE3ELNS1_11target_archE908ELNS1_3gpuE7ELNS1_3repE0EEENS1_30default_config_static_selectorELNS0_4arch9wavefront6targetE1EEEvS14_.num_named_barrier, 0
	.set _ZN7rocprim17ROCPRIM_400000_NS6detail17trampoline_kernelINS0_14default_configENS1_22reduce_config_selectorIN6thrust23THRUST_200600_302600_NS5tupleIblNS6_9null_typeES8_S8_S8_S8_S8_S8_S8_EEEEZNS1_11reduce_implILb1ES3_NS6_12zip_iteratorINS7_INS6_11hip_rocprim26transform_input_iterator_tIbNSD_35transform_pair_of_input_iterators_tIbNS6_6detail15normal_iteratorINS6_10device_ptrIKdEEEESL_NS6_8equal_toIdEEEENSG_9not_fun_tINSD_8identityEEEEENSD_19counting_iterator_tIlEES8_S8_S8_S8_S8_S8_S8_S8_EEEEPS9_S9_NSD_9__find_if7functorIS9_EEEE10hipError_tPvRmT1_T2_T3_mT4_P12ihipStream_tbEUlT_E0_NS1_11comp_targetILNS1_3genE3ELNS1_11target_archE908ELNS1_3gpuE7ELNS1_3repE0EEENS1_30default_config_static_selectorELNS0_4arch9wavefront6targetE1EEEvS14_.private_seg_size, 0
	.set _ZN7rocprim17ROCPRIM_400000_NS6detail17trampoline_kernelINS0_14default_configENS1_22reduce_config_selectorIN6thrust23THRUST_200600_302600_NS5tupleIblNS6_9null_typeES8_S8_S8_S8_S8_S8_S8_EEEEZNS1_11reduce_implILb1ES3_NS6_12zip_iteratorINS7_INS6_11hip_rocprim26transform_input_iterator_tIbNSD_35transform_pair_of_input_iterators_tIbNS6_6detail15normal_iteratorINS6_10device_ptrIKdEEEESL_NS6_8equal_toIdEEEENSG_9not_fun_tINSD_8identityEEEEENSD_19counting_iterator_tIlEES8_S8_S8_S8_S8_S8_S8_S8_EEEEPS9_S9_NSD_9__find_if7functorIS9_EEEE10hipError_tPvRmT1_T2_T3_mT4_P12ihipStream_tbEUlT_E0_NS1_11comp_targetILNS1_3genE3ELNS1_11target_archE908ELNS1_3gpuE7ELNS1_3repE0EEENS1_30default_config_static_selectorELNS0_4arch9wavefront6targetE1EEEvS14_.uses_vcc, 0
	.set _ZN7rocprim17ROCPRIM_400000_NS6detail17trampoline_kernelINS0_14default_configENS1_22reduce_config_selectorIN6thrust23THRUST_200600_302600_NS5tupleIblNS6_9null_typeES8_S8_S8_S8_S8_S8_S8_EEEEZNS1_11reduce_implILb1ES3_NS6_12zip_iteratorINS7_INS6_11hip_rocprim26transform_input_iterator_tIbNSD_35transform_pair_of_input_iterators_tIbNS6_6detail15normal_iteratorINS6_10device_ptrIKdEEEESL_NS6_8equal_toIdEEEENSG_9not_fun_tINSD_8identityEEEEENSD_19counting_iterator_tIlEES8_S8_S8_S8_S8_S8_S8_S8_EEEEPS9_S9_NSD_9__find_if7functorIS9_EEEE10hipError_tPvRmT1_T2_T3_mT4_P12ihipStream_tbEUlT_E0_NS1_11comp_targetILNS1_3genE3ELNS1_11target_archE908ELNS1_3gpuE7ELNS1_3repE0EEENS1_30default_config_static_selectorELNS0_4arch9wavefront6targetE1EEEvS14_.uses_flat_scratch, 0
	.set _ZN7rocprim17ROCPRIM_400000_NS6detail17trampoline_kernelINS0_14default_configENS1_22reduce_config_selectorIN6thrust23THRUST_200600_302600_NS5tupleIblNS6_9null_typeES8_S8_S8_S8_S8_S8_S8_EEEEZNS1_11reduce_implILb1ES3_NS6_12zip_iteratorINS7_INS6_11hip_rocprim26transform_input_iterator_tIbNSD_35transform_pair_of_input_iterators_tIbNS6_6detail15normal_iteratorINS6_10device_ptrIKdEEEESL_NS6_8equal_toIdEEEENSG_9not_fun_tINSD_8identityEEEEENSD_19counting_iterator_tIlEES8_S8_S8_S8_S8_S8_S8_S8_EEEEPS9_S9_NSD_9__find_if7functorIS9_EEEE10hipError_tPvRmT1_T2_T3_mT4_P12ihipStream_tbEUlT_E0_NS1_11comp_targetILNS1_3genE3ELNS1_11target_archE908ELNS1_3gpuE7ELNS1_3repE0EEENS1_30default_config_static_selectorELNS0_4arch9wavefront6targetE1EEEvS14_.has_dyn_sized_stack, 0
	.set _ZN7rocprim17ROCPRIM_400000_NS6detail17trampoline_kernelINS0_14default_configENS1_22reduce_config_selectorIN6thrust23THRUST_200600_302600_NS5tupleIblNS6_9null_typeES8_S8_S8_S8_S8_S8_S8_EEEEZNS1_11reduce_implILb1ES3_NS6_12zip_iteratorINS7_INS6_11hip_rocprim26transform_input_iterator_tIbNSD_35transform_pair_of_input_iterators_tIbNS6_6detail15normal_iteratorINS6_10device_ptrIKdEEEESL_NS6_8equal_toIdEEEENSG_9not_fun_tINSD_8identityEEEEENSD_19counting_iterator_tIlEES8_S8_S8_S8_S8_S8_S8_S8_EEEEPS9_S9_NSD_9__find_if7functorIS9_EEEE10hipError_tPvRmT1_T2_T3_mT4_P12ihipStream_tbEUlT_E0_NS1_11comp_targetILNS1_3genE3ELNS1_11target_archE908ELNS1_3gpuE7ELNS1_3repE0EEENS1_30default_config_static_selectorELNS0_4arch9wavefront6targetE1EEEvS14_.has_recursion, 0
	.set _ZN7rocprim17ROCPRIM_400000_NS6detail17trampoline_kernelINS0_14default_configENS1_22reduce_config_selectorIN6thrust23THRUST_200600_302600_NS5tupleIblNS6_9null_typeES8_S8_S8_S8_S8_S8_S8_EEEEZNS1_11reduce_implILb1ES3_NS6_12zip_iteratorINS7_INS6_11hip_rocprim26transform_input_iterator_tIbNSD_35transform_pair_of_input_iterators_tIbNS6_6detail15normal_iteratorINS6_10device_ptrIKdEEEESL_NS6_8equal_toIdEEEENSG_9not_fun_tINSD_8identityEEEEENSD_19counting_iterator_tIlEES8_S8_S8_S8_S8_S8_S8_S8_EEEEPS9_S9_NSD_9__find_if7functorIS9_EEEE10hipError_tPvRmT1_T2_T3_mT4_P12ihipStream_tbEUlT_E0_NS1_11comp_targetILNS1_3genE3ELNS1_11target_archE908ELNS1_3gpuE7ELNS1_3repE0EEENS1_30default_config_static_selectorELNS0_4arch9wavefront6targetE1EEEvS14_.has_indirect_call, 0
	.section	.AMDGPU.csdata,"",@progbits
; Kernel info:
; codeLenInByte = 0
; TotalNumSgprs: 6
; NumVgprs: 0
; NumAgprs: 0
; TotalNumVgprs: 0
; ScratchSize: 0
; MemoryBound: 0
; FloatMode: 240
; IeeeMode: 1
; LDSByteSize: 0 bytes/workgroup (compile time only)
; SGPRBlocks: 0
; VGPRBlocks: 0
; NumSGPRsForWavesPerEU: 6
; NumVGPRsForWavesPerEU: 1
; AccumOffset: 4
; Occupancy: 8
; WaveLimiterHint : 0
; COMPUTE_PGM_RSRC2:SCRATCH_EN: 0
; COMPUTE_PGM_RSRC2:USER_SGPR: 2
; COMPUTE_PGM_RSRC2:TRAP_HANDLER: 0
; COMPUTE_PGM_RSRC2:TGID_X_EN: 1
; COMPUTE_PGM_RSRC2:TGID_Y_EN: 0
; COMPUTE_PGM_RSRC2:TGID_Z_EN: 0
; COMPUTE_PGM_RSRC2:TIDIG_COMP_CNT: 0
; COMPUTE_PGM_RSRC3_GFX90A:ACCUM_OFFSET: 0
; COMPUTE_PGM_RSRC3_GFX90A:TG_SPLIT: 0
	.section	.text._ZN7rocprim17ROCPRIM_400000_NS6detail17trampoline_kernelINS0_14default_configENS1_22reduce_config_selectorIN6thrust23THRUST_200600_302600_NS5tupleIblNS6_9null_typeES8_S8_S8_S8_S8_S8_S8_EEEEZNS1_11reduce_implILb1ES3_NS6_12zip_iteratorINS7_INS6_11hip_rocprim26transform_input_iterator_tIbNSD_35transform_pair_of_input_iterators_tIbNS6_6detail15normal_iteratorINS6_10device_ptrIKdEEEESL_NS6_8equal_toIdEEEENSG_9not_fun_tINSD_8identityEEEEENSD_19counting_iterator_tIlEES8_S8_S8_S8_S8_S8_S8_S8_EEEEPS9_S9_NSD_9__find_if7functorIS9_EEEE10hipError_tPvRmT1_T2_T3_mT4_P12ihipStream_tbEUlT_E0_NS1_11comp_targetILNS1_3genE2ELNS1_11target_archE906ELNS1_3gpuE6ELNS1_3repE0EEENS1_30default_config_static_selectorELNS0_4arch9wavefront6targetE1EEEvS14_,"axG",@progbits,_ZN7rocprim17ROCPRIM_400000_NS6detail17trampoline_kernelINS0_14default_configENS1_22reduce_config_selectorIN6thrust23THRUST_200600_302600_NS5tupleIblNS6_9null_typeES8_S8_S8_S8_S8_S8_S8_EEEEZNS1_11reduce_implILb1ES3_NS6_12zip_iteratorINS7_INS6_11hip_rocprim26transform_input_iterator_tIbNSD_35transform_pair_of_input_iterators_tIbNS6_6detail15normal_iteratorINS6_10device_ptrIKdEEEESL_NS6_8equal_toIdEEEENSG_9not_fun_tINSD_8identityEEEEENSD_19counting_iterator_tIlEES8_S8_S8_S8_S8_S8_S8_S8_EEEEPS9_S9_NSD_9__find_if7functorIS9_EEEE10hipError_tPvRmT1_T2_T3_mT4_P12ihipStream_tbEUlT_E0_NS1_11comp_targetILNS1_3genE2ELNS1_11target_archE906ELNS1_3gpuE6ELNS1_3repE0EEENS1_30default_config_static_selectorELNS0_4arch9wavefront6targetE1EEEvS14_,comdat
	.protected	_ZN7rocprim17ROCPRIM_400000_NS6detail17trampoline_kernelINS0_14default_configENS1_22reduce_config_selectorIN6thrust23THRUST_200600_302600_NS5tupleIblNS6_9null_typeES8_S8_S8_S8_S8_S8_S8_EEEEZNS1_11reduce_implILb1ES3_NS6_12zip_iteratorINS7_INS6_11hip_rocprim26transform_input_iterator_tIbNSD_35transform_pair_of_input_iterators_tIbNS6_6detail15normal_iteratorINS6_10device_ptrIKdEEEESL_NS6_8equal_toIdEEEENSG_9not_fun_tINSD_8identityEEEEENSD_19counting_iterator_tIlEES8_S8_S8_S8_S8_S8_S8_S8_EEEEPS9_S9_NSD_9__find_if7functorIS9_EEEE10hipError_tPvRmT1_T2_T3_mT4_P12ihipStream_tbEUlT_E0_NS1_11comp_targetILNS1_3genE2ELNS1_11target_archE906ELNS1_3gpuE6ELNS1_3repE0EEENS1_30default_config_static_selectorELNS0_4arch9wavefront6targetE1EEEvS14_ ; -- Begin function _ZN7rocprim17ROCPRIM_400000_NS6detail17trampoline_kernelINS0_14default_configENS1_22reduce_config_selectorIN6thrust23THRUST_200600_302600_NS5tupleIblNS6_9null_typeES8_S8_S8_S8_S8_S8_S8_EEEEZNS1_11reduce_implILb1ES3_NS6_12zip_iteratorINS7_INS6_11hip_rocprim26transform_input_iterator_tIbNSD_35transform_pair_of_input_iterators_tIbNS6_6detail15normal_iteratorINS6_10device_ptrIKdEEEESL_NS6_8equal_toIdEEEENSG_9not_fun_tINSD_8identityEEEEENSD_19counting_iterator_tIlEES8_S8_S8_S8_S8_S8_S8_S8_EEEEPS9_S9_NSD_9__find_if7functorIS9_EEEE10hipError_tPvRmT1_T2_T3_mT4_P12ihipStream_tbEUlT_E0_NS1_11comp_targetILNS1_3genE2ELNS1_11target_archE906ELNS1_3gpuE6ELNS1_3repE0EEENS1_30default_config_static_selectorELNS0_4arch9wavefront6targetE1EEEvS14_
	.globl	_ZN7rocprim17ROCPRIM_400000_NS6detail17trampoline_kernelINS0_14default_configENS1_22reduce_config_selectorIN6thrust23THRUST_200600_302600_NS5tupleIblNS6_9null_typeES8_S8_S8_S8_S8_S8_S8_EEEEZNS1_11reduce_implILb1ES3_NS6_12zip_iteratorINS7_INS6_11hip_rocprim26transform_input_iterator_tIbNSD_35transform_pair_of_input_iterators_tIbNS6_6detail15normal_iteratorINS6_10device_ptrIKdEEEESL_NS6_8equal_toIdEEEENSG_9not_fun_tINSD_8identityEEEEENSD_19counting_iterator_tIlEES8_S8_S8_S8_S8_S8_S8_S8_EEEEPS9_S9_NSD_9__find_if7functorIS9_EEEE10hipError_tPvRmT1_T2_T3_mT4_P12ihipStream_tbEUlT_E0_NS1_11comp_targetILNS1_3genE2ELNS1_11target_archE906ELNS1_3gpuE6ELNS1_3repE0EEENS1_30default_config_static_selectorELNS0_4arch9wavefront6targetE1EEEvS14_
	.p2align	8
	.type	_ZN7rocprim17ROCPRIM_400000_NS6detail17trampoline_kernelINS0_14default_configENS1_22reduce_config_selectorIN6thrust23THRUST_200600_302600_NS5tupleIblNS6_9null_typeES8_S8_S8_S8_S8_S8_S8_EEEEZNS1_11reduce_implILb1ES3_NS6_12zip_iteratorINS7_INS6_11hip_rocprim26transform_input_iterator_tIbNSD_35transform_pair_of_input_iterators_tIbNS6_6detail15normal_iteratorINS6_10device_ptrIKdEEEESL_NS6_8equal_toIdEEEENSG_9not_fun_tINSD_8identityEEEEENSD_19counting_iterator_tIlEES8_S8_S8_S8_S8_S8_S8_S8_EEEEPS9_S9_NSD_9__find_if7functorIS9_EEEE10hipError_tPvRmT1_T2_T3_mT4_P12ihipStream_tbEUlT_E0_NS1_11comp_targetILNS1_3genE2ELNS1_11target_archE906ELNS1_3gpuE6ELNS1_3repE0EEENS1_30default_config_static_selectorELNS0_4arch9wavefront6targetE1EEEvS14_,@function
_ZN7rocprim17ROCPRIM_400000_NS6detail17trampoline_kernelINS0_14default_configENS1_22reduce_config_selectorIN6thrust23THRUST_200600_302600_NS5tupleIblNS6_9null_typeES8_S8_S8_S8_S8_S8_S8_EEEEZNS1_11reduce_implILb1ES3_NS6_12zip_iteratorINS7_INS6_11hip_rocprim26transform_input_iterator_tIbNSD_35transform_pair_of_input_iterators_tIbNS6_6detail15normal_iteratorINS6_10device_ptrIKdEEEESL_NS6_8equal_toIdEEEENSG_9not_fun_tINSD_8identityEEEEENSD_19counting_iterator_tIlEES8_S8_S8_S8_S8_S8_S8_S8_EEEEPS9_S9_NSD_9__find_if7functorIS9_EEEE10hipError_tPvRmT1_T2_T3_mT4_P12ihipStream_tbEUlT_E0_NS1_11comp_targetILNS1_3genE2ELNS1_11target_archE906ELNS1_3gpuE6ELNS1_3repE0EEENS1_30default_config_static_selectorELNS0_4arch9wavefront6targetE1EEEvS14_: ; @_ZN7rocprim17ROCPRIM_400000_NS6detail17trampoline_kernelINS0_14default_configENS1_22reduce_config_selectorIN6thrust23THRUST_200600_302600_NS5tupleIblNS6_9null_typeES8_S8_S8_S8_S8_S8_S8_EEEEZNS1_11reduce_implILb1ES3_NS6_12zip_iteratorINS7_INS6_11hip_rocprim26transform_input_iterator_tIbNSD_35transform_pair_of_input_iterators_tIbNS6_6detail15normal_iteratorINS6_10device_ptrIKdEEEESL_NS6_8equal_toIdEEEENSG_9not_fun_tINSD_8identityEEEEENSD_19counting_iterator_tIlEES8_S8_S8_S8_S8_S8_S8_S8_EEEEPS9_S9_NSD_9__find_if7functorIS9_EEEE10hipError_tPvRmT1_T2_T3_mT4_P12ihipStream_tbEUlT_E0_NS1_11comp_targetILNS1_3genE2ELNS1_11target_archE906ELNS1_3gpuE6ELNS1_3repE0EEENS1_30default_config_static_selectorELNS0_4arch9wavefront6targetE1EEEvS14_
; %bb.0:
	.section	.rodata,"a",@progbits
	.p2align	6, 0x0
	.amdhsa_kernel _ZN7rocprim17ROCPRIM_400000_NS6detail17trampoline_kernelINS0_14default_configENS1_22reduce_config_selectorIN6thrust23THRUST_200600_302600_NS5tupleIblNS6_9null_typeES8_S8_S8_S8_S8_S8_S8_EEEEZNS1_11reduce_implILb1ES3_NS6_12zip_iteratorINS7_INS6_11hip_rocprim26transform_input_iterator_tIbNSD_35transform_pair_of_input_iterators_tIbNS6_6detail15normal_iteratorINS6_10device_ptrIKdEEEESL_NS6_8equal_toIdEEEENSG_9not_fun_tINSD_8identityEEEEENSD_19counting_iterator_tIlEES8_S8_S8_S8_S8_S8_S8_S8_EEEEPS9_S9_NSD_9__find_if7functorIS9_EEEE10hipError_tPvRmT1_T2_T3_mT4_P12ihipStream_tbEUlT_E0_NS1_11comp_targetILNS1_3genE2ELNS1_11target_archE906ELNS1_3gpuE6ELNS1_3repE0EEENS1_30default_config_static_selectorELNS0_4arch9wavefront6targetE1EEEvS14_
		.amdhsa_group_segment_fixed_size 0
		.amdhsa_private_segment_fixed_size 0
		.amdhsa_kernarg_size 104
		.amdhsa_user_sgpr_count 2
		.amdhsa_user_sgpr_dispatch_ptr 0
		.amdhsa_user_sgpr_queue_ptr 0
		.amdhsa_user_sgpr_kernarg_segment_ptr 1
		.amdhsa_user_sgpr_dispatch_id 0
		.amdhsa_user_sgpr_kernarg_preload_length 0
		.amdhsa_user_sgpr_kernarg_preload_offset 0
		.amdhsa_user_sgpr_private_segment_size 0
		.amdhsa_uses_dynamic_stack 0
		.amdhsa_enable_private_segment 0
		.amdhsa_system_sgpr_workgroup_id_x 1
		.amdhsa_system_sgpr_workgroup_id_y 0
		.amdhsa_system_sgpr_workgroup_id_z 0
		.amdhsa_system_sgpr_workgroup_info 0
		.amdhsa_system_vgpr_workitem_id 0
		.amdhsa_next_free_vgpr 1
		.amdhsa_next_free_sgpr 0
		.amdhsa_accum_offset 4
		.amdhsa_reserve_vcc 0
		.amdhsa_float_round_mode_32 0
		.amdhsa_float_round_mode_16_64 0
		.amdhsa_float_denorm_mode_32 3
		.amdhsa_float_denorm_mode_16_64 3
		.amdhsa_dx10_clamp 1
		.amdhsa_ieee_mode 1
		.amdhsa_fp16_overflow 0
		.amdhsa_tg_split 0
		.amdhsa_exception_fp_ieee_invalid_op 0
		.amdhsa_exception_fp_denorm_src 0
		.amdhsa_exception_fp_ieee_div_zero 0
		.amdhsa_exception_fp_ieee_overflow 0
		.amdhsa_exception_fp_ieee_underflow 0
		.amdhsa_exception_fp_ieee_inexact 0
		.amdhsa_exception_int_div_zero 0
	.end_amdhsa_kernel
	.section	.text._ZN7rocprim17ROCPRIM_400000_NS6detail17trampoline_kernelINS0_14default_configENS1_22reduce_config_selectorIN6thrust23THRUST_200600_302600_NS5tupleIblNS6_9null_typeES8_S8_S8_S8_S8_S8_S8_EEEEZNS1_11reduce_implILb1ES3_NS6_12zip_iteratorINS7_INS6_11hip_rocprim26transform_input_iterator_tIbNSD_35transform_pair_of_input_iterators_tIbNS6_6detail15normal_iteratorINS6_10device_ptrIKdEEEESL_NS6_8equal_toIdEEEENSG_9not_fun_tINSD_8identityEEEEENSD_19counting_iterator_tIlEES8_S8_S8_S8_S8_S8_S8_S8_EEEEPS9_S9_NSD_9__find_if7functorIS9_EEEE10hipError_tPvRmT1_T2_T3_mT4_P12ihipStream_tbEUlT_E0_NS1_11comp_targetILNS1_3genE2ELNS1_11target_archE906ELNS1_3gpuE6ELNS1_3repE0EEENS1_30default_config_static_selectorELNS0_4arch9wavefront6targetE1EEEvS14_,"axG",@progbits,_ZN7rocprim17ROCPRIM_400000_NS6detail17trampoline_kernelINS0_14default_configENS1_22reduce_config_selectorIN6thrust23THRUST_200600_302600_NS5tupleIblNS6_9null_typeES8_S8_S8_S8_S8_S8_S8_EEEEZNS1_11reduce_implILb1ES3_NS6_12zip_iteratorINS7_INS6_11hip_rocprim26transform_input_iterator_tIbNSD_35transform_pair_of_input_iterators_tIbNS6_6detail15normal_iteratorINS6_10device_ptrIKdEEEESL_NS6_8equal_toIdEEEENSG_9not_fun_tINSD_8identityEEEEENSD_19counting_iterator_tIlEES8_S8_S8_S8_S8_S8_S8_S8_EEEEPS9_S9_NSD_9__find_if7functorIS9_EEEE10hipError_tPvRmT1_T2_T3_mT4_P12ihipStream_tbEUlT_E0_NS1_11comp_targetILNS1_3genE2ELNS1_11target_archE906ELNS1_3gpuE6ELNS1_3repE0EEENS1_30default_config_static_selectorELNS0_4arch9wavefront6targetE1EEEvS14_,comdat
.Lfunc_end185:
	.size	_ZN7rocprim17ROCPRIM_400000_NS6detail17trampoline_kernelINS0_14default_configENS1_22reduce_config_selectorIN6thrust23THRUST_200600_302600_NS5tupleIblNS6_9null_typeES8_S8_S8_S8_S8_S8_S8_EEEEZNS1_11reduce_implILb1ES3_NS6_12zip_iteratorINS7_INS6_11hip_rocprim26transform_input_iterator_tIbNSD_35transform_pair_of_input_iterators_tIbNS6_6detail15normal_iteratorINS6_10device_ptrIKdEEEESL_NS6_8equal_toIdEEEENSG_9not_fun_tINSD_8identityEEEEENSD_19counting_iterator_tIlEES8_S8_S8_S8_S8_S8_S8_S8_EEEEPS9_S9_NSD_9__find_if7functorIS9_EEEE10hipError_tPvRmT1_T2_T3_mT4_P12ihipStream_tbEUlT_E0_NS1_11comp_targetILNS1_3genE2ELNS1_11target_archE906ELNS1_3gpuE6ELNS1_3repE0EEENS1_30default_config_static_selectorELNS0_4arch9wavefront6targetE1EEEvS14_, .Lfunc_end185-_ZN7rocprim17ROCPRIM_400000_NS6detail17trampoline_kernelINS0_14default_configENS1_22reduce_config_selectorIN6thrust23THRUST_200600_302600_NS5tupleIblNS6_9null_typeES8_S8_S8_S8_S8_S8_S8_EEEEZNS1_11reduce_implILb1ES3_NS6_12zip_iteratorINS7_INS6_11hip_rocprim26transform_input_iterator_tIbNSD_35transform_pair_of_input_iterators_tIbNS6_6detail15normal_iteratorINS6_10device_ptrIKdEEEESL_NS6_8equal_toIdEEEENSG_9not_fun_tINSD_8identityEEEEENSD_19counting_iterator_tIlEES8_S8_S8_S8_S8_S8_S8_S8_EEEEPS9_S9_NSD_9__find_if7functorIS9_EEEE10hipError_tPvRmT1_T2_T3_mT4_P12ihipStream_tbEUlT_E0_NS1_11comp_targetILNS1_3genE2ELNS1_11target_archE906ELNS1_3gpuE6ELNS1_3repE0EEENS1_30default_config_static_selectorELNS0_4arch9wavefront6targetE1EEEvS14_
                                        ; -- End function
	.set _ZN7rocprim17ROCPRIM_400000_NS6detail17trampoline_kernelINS0_14default_configENS1_22reduce_config_selectorIN6thrust23THRUST_200600_302600_NS5tupleIblNS6_9null_typeES8_S8_S8_S8_S8_S8_S8_EEEEZNS1_11reduce_implILb1ES3_NS6_12zip_iteratorINS7_INS6_11hip_rocprim26transform_input_iterator_tIbNSD_35transform_pair_of_input_iterators_tIbNS6_6detail15normal_iteratorINS6_10device_ptrIKdEEEESL_NS6_8equal_toIdEEEENSG_9not_fun_tINSD_8identityEEEEENSD_19counting_iterator_tIlEES8_S8_S8_S8_S8_S8_S8_S8_EEEEPS9_S9_NSD_9__find_if7functorIS9_EEEE10hipError_tPvRmT1_T2_T3_mT4_P12ihipStream_tbEUlT_E0_NS1_11comp_targetILNS1_3genE2ELNS1_11target_archE906ELNS1_3gpuE6ELNS1_3repE0EEENS1_30default_config_static_selectorELNS0_4arch9wavefront6targetE1EEEvS14_.num_vgpr, 0
	.set _ZN7rocprim17ROCPRIM_400000_NS6detail17trampoline_kernelINS0_14default_configENS1_22reduce_config_selectorIN6thrust23THRUST_200600_302600_NS5tupleIblNS6_9null_typeES8_S8_S8_S8_S8_S8_S8_EEEEZNS1_11reduce_implILb1ES3_NS6_12zip_iteratorINS7_INS6_11hip_rocprim26transform_input_iterator_tIbNSD_35transform_pair_of_input_iterators_tIbNS6_6detail15normal_iteratorINS6_10device_ptrIKdEEEESL_NS6_8equal_toIdEEEENSG_9not_fun_tINSD_8identityEEEEENSD_19counting_iterator_tIlEES8_S8_S8_S8_S8_S8_S8_S8_EEEEPS9_S9_NSD_9__find_if7functorIS9_EEEE10hipError_tPvRmT1_T2_T3_mT4_P12ihipStream_tbEUlT_E0_NS1_11comp_targetILNS1_3genE2ELNS1_11target_archE906ELNS1_3gpuE6ELNS1_3repE0EEENS1_30default_config_static_selectorELNS0_4arch9wavefront6targetE1EEEvS14_.num_agpr, 0
	.set _ZN7rocprim17ROCPRIM_400000_NS6detail17trampoline_kernelINS0_14default_configENS1_22reduce_config_selectorIN6thrust23THRUST_200600_302600_NS5tupleIblNS6_9null_typeES8_S8_S8_S8_S8_S8_S8_EEEEZNS1_11reduce_implILb1ES3_NS6_12zip_iteratorINS7_INS6_11hip_rocprim26transform_input_iterator_tIbNSD_35transform_pair_of_input_iterators_tIbNS6_6detail15normal_iteratorINS6_10device_ptrIKdEEEESL_NS6_8equal_toIdEEEENSG_9not_fun_tINSD_8identityEEEEENSD_19counting_iterator_tIlEES8_S8_S8_S8_S8_S8_S8_S8_EEEEPS9_S9_NSD_9__find_if7functorIS9_EEEE10hipError_tPvRmT1_T2_T3_mT4_P12ihipStream_tbEUlT_E0_NS1_11comp_targetILNS1_3genE2ELNS1_11target_archE906ELNS1_3gpuE6ELNS1_3repE0EEENS1_30default_config_static_selectorELNS0_4arch9wavefront6targetE1EEEvS14_.numbered_sgpr, 0
	.set _ZN7rocprim17ROCPRIM_400000_NS6detail17trampoline_kernelINS0_14default_configENS1_22reduce_config_selectorIN6thrust23THRUST_200600_302600_NS5tupleIblNS6_9null_typeES8_S8_S8_S8_S8_S8_S8_EEEEZNS1_11reduce_implILb1ES3_NS6_12zip_iteratorINS7_INS6_11hip_rocprim26transform_input_iterator_tIbNSD_35transform_pair_of_input_iterators_tIbNS6_6detail15normal_iteratorINS6_10device_ptrIKdEEEESL_NS6_8equal_toIdEEEENSG_9not_fun_tINSD_8identityEEEEENSD_19counting_iterator_tIlEES8_S8_S8_S8_S8_S8_S8_S8_EEEEPS9_S9_NSD_9__find_if7functorIS9_EEEE10hipError_tPvRmT1_T2_T3_mT4_P12ihipStream_tbEUlT_E0_NS1_11comp_targetILNS1_3genE2ELNS1_11target_archE906ELNS1_3gpuE6ELNS1_3repE0EEENS1_30default_config_static_selectorELNS0_4arch9wavefront6targetE1EEEvS14_.num_named_barrier, 0
	.set _ZN7rocprim17ROCPRIM_400000_NS6detail17trampoline_kernelINS0_14default_configENS1_22reduce_config_selectorIN6thrust23THRUST_200600_302600_NS5tupleIblNS6_9null_typeES8_S8_S8_S8_S8_S8_S8_EEEEZNS1_11reduce_implILb1ES3_NS6_12zip_iteratorINS7_INS6_11hip_rocprim26transform_input_iterator_tIbNSD_35transform_pair_of_input_iterators_tIbNS6_6detail15normal_iteratorINS6_10device_ptrIKdEEEESL_NS6_8equal_toIdEEEENSG_9not_fun_tINSD_8identityEEEEENSD_19counting_iterator_tIlEES8_S8_S8_S8_S8_S8_S8_S8_EEEEPS9_S9_NSD_9__find_if7functorIS9_EEEE10hipError_tPvRmT1_T2_T3_mT4_P12ihipStream_tbEUlT_E0_NS1_11comp_targetILNS1_3genE2ELNS1_11target_archE906ELNS1_3gpuE6ELNS1_3repE0EEENS1_30default_config_static_selectorELNS0_4arch9wavefront6targetE1EEEvS14_.private_seg_size, 0
	.set _ZN7rocprim17ROCPRIM_400000_NS6detail17trampoline_kernelINS0_14default_configENS1_22reduce_config_selectorIN6thrust23THRUST_200600_302600_NS5tupleIblNS6_9null_typeES8_S8_S8_S8_S8_S8_S8_EEEEZNS1_11reduce_implILb1ES3_NS6_12zip_iteratorINS7_INS6_11hip_rocprim26transform_input_iterator_tIbNSD_35transform_pair_of_input_iterators_tIbNS6_6detail15normal_iteratorINS6_10device_ptrIKdEEEESL_NS6_8equal_toIdEEEENSG_9not_fun_tINSD_8identityEEEEENSD_19counting_iterator_tIlEES8_S8_S8_S8_S8_S8_S8_S8_EEEEPS9_S9_NSD_9__find_if7functorIS9_EEEE10hipError_tPvRmT1_T2_T3_mT4_P12ihipStream_tbEUlT_E0_NS1_11comp_targetILNS1_3genE2ELNS1_11target_archE906ELNS1_3gpuE6ELNS1_3repE0EEENS1_30default_config_static_selectorELNS0_4arch9wavefront6targetE1EEEvS14_.uses_vcc, 0
	.set _ZN7rocprim17ROCPRIM_400000_NS6detail17trampoline_kernelINS0_14default_configENS1_22reduce_config_selectorIN6thrust23THRUST_200600_302600_NS5tupleIblNS6_9null_typeES8_S8_S8_S8_S8_S8_S8_EEEEZNS1_11reduce_implILb1ES3_NS6_12zip_iteratorINS7_INS6_11hip_rocprim26transform_input_iterator_tIbNSD_35transform_pair_of_input_iterators_tIbNS6_6detail15normal_iteratorINS6_10device_ptrIKdEEEESL_NS6_8equal_toIdEEEENSG_9not_fun_tINSD_8identityEEEEENSD_19counting_iterator_tIlEES8_S8_S8_S8_S8_S8_S8_S8_EEEEPS9_S9_NSD_9__find_if7functorIS9_EEEE10hipError_tPvRmT1_T2_T3_mT4_P12ihipStream_tbEUlT_E0_NS1_11comp_targetILNS1_3genE2ELNS1_11target_archE906ELNS1_3gpuE6ELNS1_3repE0EEENS1_30default_config_static_selectorELNS0_4arch9wavefront6targetE1EEEvS14_.uses_flat_scratch, 0
	.set _ZN7rocprim17ROCPRIM_400000_NS6detail17trampoline_kernelINS0_14default_configENS1_22reduce_config_selectorIN6thrust23THRUST_200600_302600_NS5tupleIblNS6_9null_typeES8_S8_S8_S8_S8_S8_S8_EEEEZNS1_11reduce_implILb1ES3_NS6_12zip_iteratorINS7_INS6_11hip_rocprim26transform_input_iterator_tIbNSD_35transform_pair_of_input_iterators_tIbNS6_6detail15normal_iteratorINS6_10device_ptrIKdEEEESL_NS6_8equal_toIdEEEENSG_9not_fun_tINSD_8identityEEEEENSD_19counting_iterator_tIlEES8_S8_S8_S8_S8_S8_S8_S8_EEEEPS9_S9_NSD_9__find_if7functorIS9_EEEE10hipError_tPvRmT1_T2_T3_mT4_P12ihipStream_tbEUlT_E0_NS1_11comp_targetILNS1_3genE2ELNS1_11target_archE906ELNS1_3gpuE6ELNS1_3repE0EEENS1_30default_config_static_selectorELNS0_4arch9wavefront6targetE1EEEvS14_.has_dyn_sized_stack, 0
	.set _ZN7rocprim17ROCPRIM_400000_NS6detail17trampoline_kernelINS0_14default_configENS1_22reduce_config_selectorIN6thrust23THRUST_200600_302600_NS5tupleIblNS6_9null_typeES8_S8_S8_S8_S8_S8_S8_EEEEZNS1_11reduce_implILb1ES3_NS6_12zip_iteratorINS7_INS6_11hip_rocprim26transform_input_iterator_tIbNSD_35transform_pair_of_input_iterators_tIbNS6_6detail15normal_iteratorINS6_10device_ptrIKdEEEESL_NS6_8equal_toIdEEEENSG_9not_fun_tINSD_8identityEEEEENSD_19counting_iterator_tIlEES8_S8_S8_S8_S8_S8_S8_S8_EEEEPS9_S9_NSD_9__find_if7functorIS9_EEEE10hipError_tPvRmT1_T2_T3_mT4_P12ihipStream_tbEUlT_E0_NS1_11comp_targetILNS1_3genE2ELNS1_11target_archE906ELNS1_3gpuE6ELNS1_3repE0EEENS1_30default_config_static_selectorELNS0_4arch9wavefront6targetE1EEEvS14_.has_recursion, 0
	.set _ZN7rocprim17ROCPRIM_400000_NS6detail17trampoline_kernelINS0_14default_configENS1_22reduce_config_selectorIN6thrust23THRUST_200600_302600_NS5tupleIblNS6_9null_typeES8_S8_S8_S8_S8_S8_S8_EEEEZNS1_11reduce_implILb1ES3_NS6_12zip_iteratorINS7_INS6_11hip_rocprim26transform_input_iterator_tIbNSD_35transform_pair_of_input_iterators_tIbNS6_6detail15normal_iteratorINS6_10device_ptrIKdEEEESL_NS6_8equal_toIdEEEENSG_9not_fun_tINSD_8identityEEEEENSD_19counting_iterator_tIlEES8_S8_S8_S8_S8_S8_S8_S8_EEEEPS9_S9_NSD_9__find_if7functorIS9_EEEE10hipError_tPvRmT1_T2_T3_mT4_P12ihipStream_tbEUlT_E0_NS1_11comp_targetILNS1_3genE2ELNS1_11target_archE906ELNS1_3gpuE6ELNS1_3repE0EEENS1_30default_config_static_selectorELNS0_4arch9wavefront6targetE1EEEvS14_.has_indirect_call, 0
	.section	.AMDGPU.csdata,"",@progbits
; Kernel info:
; codeLenInByte = 0
; TotalNumSgprs: 6
; NumVgprs: 0
; NumAgprs: 0
; TotalNumVgprs: 0
; ScratchSize: 0
; MemoryBound: 0
; FloatMode: 240
; IeeeMode: 1
; LDSByteSize: 0 bytes/workgroup (compile time only)
; SGPRBlocks: 0
; VGPRBlocks: 0
; NumSGPRsForWavesPerEU: 6
; NumVGPRsForWavesPerEU: 1
; AccumOffset: 4
; Occupancy: 8
; WaveLimiterHint : 0
; COMPUTE_PGM_RSRC2:SCRATCH_EN: 0
; COMPUTE_PGM_RSRC2:USER_SGPR: 2
; COMPUTE_PGM_RSRC2:TRAP_HANDLER: 0
; COMPUTE_PGM_RSRC2:TGID_X_EN: 1
; COMPUTE_PGM_RSRC2:TGID_Y_EN: 0
; COMPUTE_PGM_RSRC2:TGID_Z_EN: 0
; COMPUTE_PGM_RSRC2:TIDIG_COMP_CNT: 0
; COMPUTE_PGM_RSRC3_GFX90A:ACCUM_OFFSET: 0
; COMPUTE_PGM_RSRC3_GFX90A:TG_SPLIT: 0
	.section	.text._ZN7rocprim17ROCPRIM_400000_NS6detail17trampoline_kernelINS0_14default_configENS1_22reduce_config_selectorIN6thrust23THRUST_200600_302600_NS5tupleIblNS6_9null_typeES8_S8_S8_S8_S8_S8_S8_EEEEZNS1_11reduce_implILb1ES3_NS6_12zip_iteratorINS7_INS6_11hip_rocprim26transform_input_iterator_tIbNSD_35transform_pair_of_input_iterators_tIbNS6_6detail15normal_iteratorINS6_10device_ptrIKdEEEESL_NS6_8equal_toIdEEEENSG_9not_fun_tINSD_8identityEEEEENSD_19counting_iterator_tIlEES8_S8_S8_S8_S8_S8_S8_S8_EEEEPS9_S9_NSD_9__find_if7functorIS9_EEEE10hipError_tPvRmT1_T2_T3_mT4_P12ihipStream_tbEUlT_E0_NS1_11comp_targetILNS1_3genE10ELNS1_11target_archE1201ELNS1_3gpuE5ELNS1_3repE0EEENS1_30default_config_static_selectorELNS0_4arch9wavefront6targetE1EEEvS14_,"axG",@progbits,_ZN7rocprim17ROCPRIM_400000_NS6detail17trampoline_kernelINS0_14default_configENS1_22reduce_config_selectorIN6thrust23THRUST_200600_302600_NS5tupleIblNS6_9null_typeES8_S8_S8_S8_S8_S8_S8_EEEEZNS1_11reduce_implILb1ES3_NS6_12zip_iteratorINS7_INS6_11hip_rocprim26transform_input_iterator_tIbNSD_35transform_pair_of_input_iterators_tIbNS6_6detail15normal_iteratorINS6_10device_ptrIKdEEEESL_NS6_8equal_toIdEEEENSG_9not_fun_tINSD_8identityEEEEENSD_19counting_iterator_tIlEES8_S8_S8_S8_S8_S8_S8_S8_EEEEPS9_S9_NSD_9__find_if7functorIS9_EEEE10hipError_tPvRmT1_T2_T3_mT4_P12ihipStream_tbEUlT_E0_NS1_11comp_targetILNS1_3genE10ELNS1_11target_archE1201ELNS1_3gpuE5ELNS1_3repE0EEENS1_30default_config_static_selectorELNS0_4arch9wavefront6targetE1EEEvS14_,comdat
	.protected	_ZN7rocprim17ROCPRIM_400000_NS6detail17trampoline_kernelINS0_14default_configENS1_22reduce_config_selectorIN6thrust23THRUST_200600_302600_NS5tupleIblNS6_9null_typeES8_S8_S8_S8_S8_S8_S8_EEEEZNS1_11reduce_implILb1ES3_NS6_12zip_iteratorINS7_INS6_11hip_rocprim26transform_input_iterator_tIbNSD_35transform_pair_of_input_iterators_tIbNS6_6detail15normal_iteratorINS6_10device_ptrIKdEEEESL_NS6_8equal_toIdEEEENSG_9not_fun_tINSD_8identityEEEEENSD_19counting_iterator_tIlEES8_S8_S8_S8_S8_S8_S8_S8_EEEEPS9_S9_NSD_9__find_if7functorIS9_EEEE10hipError_tPvRmT1_T2_T3_mT4_P12ihipStream_tbEUlT_E0_NS1_11comp_targetILNS1_3genE10ELNS1_11target_archE1201ELNS1_3gpuE5ELNS1_3repE0EEENS1_30default_config_static_selectorELNS0_4arch9wavefront6targetE1EEEvS14_ ; -- Begin function _ZN7rocprim17ROCPRIM_400000_NS6detail17trampoline_kernelINS0_14default_configENS1_22reduce_config_selectorIN6thrust23THRUST_200600_302600_NS5tupleIblNS6_9null_typeES8_S8_S8_S8_S8_S8_S8_EEEEZNS1_11reduce_implILb1ES3_NS6_12zip_iteratorINS7_INS6_11hip_rocprim26transform_input_iterator_tIbNSD_35transform_pair_of_input_iterators_tIbNS6_6detail15normal_iteratorINS6_10device_ptrIKdEEEESL_NS6_8equal_toIdEEEENSG_9not_fun_tINSD_8identityEEEEENSD_19counting_iterator_tIlEES8_S8_S8_S8_S8_S8_S8_S8_EEEEPS9_S9_NSD_9__find_if7functorIS9_EEEE10hipError_tPvRmT1_T2_T3_mT4_P12ihipStream_tbEUlT_E0_NS1_11comp_targetILNS1_3genE10ELNS1_11target_archE1201ELNS1_3gpuE5ELNS1_3repE0EEENS1_30default_config_static_selectorELNS0_4arch9wavefront6targetE1EEEvS14_
	.globl	_ZN7rocprim17ROCPRIM_400000_NS6detail17trampoline_kernelINS0_14default_configENS1_22reduce_config_selectorIN6thrust23THRUST_200600_302600_NS5tupleIblNS6_9null_typeES8_S8_S8_S8_S8_S8_S8_EEEEZNS1_11reduce_implILb1ES3_NS6_12zip_iteratorINS7_INS6_11hip_rocprim26transform_input_iterator_tIbNSD_35transform_pair_of_input_iterators_tIbNS6_6detail15normal_iteratorINS6_10device_ptrIKdEEEESL_NS6_8equal_toIdEEEENSG_9not_fun_tINSD_8identityEEEEENSD_19counting_iterator_tIlEES8_S8_S8_S8_S8_S8_S8_S8_EEEEPS9_S9_NSD_9__find_if7functorIS9_EEEE10hipError_tPvRmT1_T2_T3_mT4_P12ihipStream_tbEUlT_E0_NS1_11comp_targetILNS1_3genE10ELNS1_11target_archE1201ELNS1_3gpuE5ELNS1_3repE0EEENS1_30default_config_static_selectorELNS0_4arch9wavefront6targetE1EEEvS14_
	.p2align	8
	.type	_ZN7rocprim17ROCPRIM_400000_NS6detail17trampoline_kernelINS0_14default_configENS1_22reduce_config_selectorIN6thrust23THRUST_200600_302600_NS5tupleIblNS6_9null_typeES8_S8_S8_S8_S8_S8_S8_EEEEZNS1_11reduce_implILb1ES3_NS6_12zip_iteratorINS7_INS6_11hip_rocprim26transform_input_iterator_tIbNSD_35transform_pair_of_input_iterators_tIbNS6_6detail15normal_iteratorINS6_10device_ptrIKdEEEESL_NS6_8equal_toIdEEEENSG_9not_fun_tINSD_8identityEEEEENSD_19counting_iterator_tIlEES8_S8_S8_S8_S8_S8_S8_S8_EEEEPS9_S9_NSD_9__find_if7functorIS9_EEEE10hipError_tPvRmT1_T2_T3_mT4_P12ihipStream_tbEUlT_E0_NS1_11comp_targetILNS1_3genE10ELNS1_11target_archE1201ELNS1_3gpuE5ELNS1_3repE0EEENS1_30default_config_static_selectorELNS0_4arch9wavefront6targetE1EEEvS14_,@function
_ZN7rocprim17ROCPRIM_400000_NS6detail17trampoline_kernelINS0_14default_configENS1_22reduce_config_selectorIN6thrust23THRUST_200600_302600_NS5tupleIblNS6_9null_typeES8_S8_S8_S8_S8_S8_S8_EEEEZNS1_11reduce_implILb1ES3_NS6_12zip_iteratorINS7_INS6_11hip_rocprim26transform_input_iterator_tIbNSD_35transform_pair_of_input_iterators_tIbNS6_6detail15normal_iteratorINS6_10device_ptrIKdEEEESL_NS6_8equal_toIdEEEENSG_9not_fun_tINSD_8identityEEEEENSD_19counting_iterator_tIlEES8_S8_S8_S8_S8_S8_S8_S8_EEEEPS9_S9_NSD_9__find_if7functorIS9_EEEE10hipError_tPvRmT1_T2_T3_mT4_P12ihipStream_tbEUlT_E0_NS1_11comp_targetILNS1_3genE10ELNS1_11target_archE1201ELNS1_3gpuE5ELNS1_3repE0EEENS1_30default_config_static_selectorELNS0_4arch9wavefront6targetE1EEEvS14_: ; @_ZN7rocprim17ROCPRIM_400000_NS6detail17trampoline_kernelINS0_14default_configENS1_22reduce_config_selectorIN6thrust23THRUST_200600_302600_NS5tupleIblNS6_9null_typeES8_S8_S8_S8_S8_S8_S8_EEEEZNS1_11reduce_implILb1ES3_NS6_12zip_iteratorINS7_INS6_11hip_rocprim26transform_input_iterator_tIbNSD_35transform_pair_of_input_iterators_tIbNS6_6detail15normal_iteratorINS6_10device_ptrIKdEEEESL_NS6_8equal_toIdEEEENSG_9not_fun_tINSD_8identityEEEEENSD_19counting_iterator_tIlEES8_S8_S8_S8_S8_S8_S8_S8_EEEEPS9_S9_NSD_9__find_if7functorIS9_EEEE10hipError_tPvRmT1_T2_T3_mT4_P12ihipStream_tbEUlT_E0_NS1_11comp_targetILNS1_3genE10ELNS1_11target_archE1201ELNS1_3gpuE5ELNS1_3repE0EEENS1_30default_config_static_selectorELNS0_4arch9wavefront6targetE1EEEvS14_
; %bb.0:
	.section	.rodata,"a",@progbits
	.p2align	6, 0x0
	.amdhsa_kernel _ZN7rocprim17ROCPRIM_400000_NS6detail17trampoline_kernelINS0_14default_configENS1_22reduce_config_selectorIN6thrust23THRUST_200600_302600_NS5tupleIblNS6_9null_typeES8_S8_S8_S8_S8_S8_S8_EEEEZNS1_11reduce_implILb1ES3_NS6_12zip_iteratorINS7_INS6_11hip_rocprim26transform_input_iterator_tIbNSD_35transform_pair_of_input_iterators_tIbNS6_6detail15normal_iteratorINS6_10device_ptrIKdEEEESL_NS6_8equal_toIdEEEENSG_9not_fun_tINSD_8identityEEEEENSD_19counting_iterator_tIlEES8_S8_S8_S8_S8_S8_S8_S8_EEEEPS9_S9_NSD_9__find_if7functorIS9_EEEE10hipError_tPvRmT1_T2_T3_mT4_P12ihipStream_tbEUlT_E0_NS1_11comp_targetILNS1_3genE10ELNS1_11target_archE1201ELNS1_3gpuE5ELNS1_3repE0EEENS1_30default_config_static_selectorELNS0_4arch9wavefront6targetE1EEEvS14_
		.amdhsa_group_segment_fixed_size 0
		.amdhsa_private_segment_fixed_size 0
		.amdhsa_kernarg_size 104
		.amdhsa_user_sgpr_count 2
		.amdhsa_user_sgpr_dispatch_ptr 0
		.amdhsa_user_sgpr_queue_ptr 0
		.amdhsa_user_sgpr_kernarg_segment_ptr 1
		.amdhsa_user_sgpr_dispatch_id 0
		.amdhsa_user_sgpr_kernarg_preload_length 0
		.amdhsa_user_sgpr_kernarg_preload_offset 0
		.amdhsa_user_sgpr_private_segment_size 0
		.amdhsa_uses_dynamic_stack 0
		.amdhsa_enable_private_segment 0
		.amdhsa_system_sgpr_workgroup_id_x 1
		.amdhsa_system_sgpr_workgroup_id_y 0
		.amdhsa_system_sgpr_workgroup_id_z 0
		.amdhsa_system_sgpr_workgroup_info 0
		.amdhsa_system_vgpr_workitem_id 0
		.amdhsa_next_free_vgpr 1
		.amdhsa_next_free_sgpr 0
		.amdhsa_accum_offset 4
		.amdhsa_reserve_vcc 0
		.amdhsa_float_round_mode_32 0
		.amdhsa_float_round_mode_16_64 0
		.amdhsa_float_denorm_mode_32 3
		.amdhsa_float_denorm_mode_16_64 3
		.amdhsa_dx10_clamp 1
		.amdhsa_ieee_mode 1
		.amdhsa_fp16_overflow 0
		.amdhsa_tg_split 0
		.amdhsa_exception_fp_ieee_invalid_op 0
		.amdhsa_exception_fp_denorm_src 0
		.amdhsa_exception_fp_ieee_div_zero 0
		.amdhsa_exception_fp_ieee_overflow 0
		.amdhsa_exception_fp_ieee_underflow 0
		.amdhsa_exception_fp_ieee_inexact 0
		.amdhsa_exception_int_div_zero 0
	.end_amdhsa_kernel
	.section	.text._ZN7rocprim17ROCPRIM_400000_NS6detail17trampoline_kernelINS0_14default_configENS1_22reduce_config_selectorIN6thrust23THRUST_200600_302600_NS5tupleIblNS6_9null_typeES8_S8_S8_S8_S8_S8_S8_EEEEZNS1_11reduce_implILb1ES3_NS6_12zip_iteratorINS7_INS6_11hip_rocprim26transform_input_iterator_tIbNSD_35transform_pair_of_input_iterators_tIbNS6_6detail15normal_iteratorINS6_10device_ptrIKdEEEESL_NS6_8equal_toIdEEEENSG_9not_fun_tINSD_8identityEEEEENSD_19counting_iterator_tIlEES8_S8_S8_S8_S8_S8_S8_S8_EEEEPS9_S9_NSD_9__find_if7functorIS9_EEEE10hipError_tPvRmT1_T2_T3_mT4_P12ihipStream_tbEUlT_E0_NS1_11comp_targetILNS1_3genE10ELNS1_11target_archE1201ELNS1_3gpuE5ELNS1_3repE0EEENS1_30default_config_static_selectorELNS0_4arch9wavefront6targetE1EEEvS14_,"axG",@progbits,_ZN7rocprim17ROCPRIM_400000_NS6detail17trampoline_kernelINS0_14default_configENS1_22reduce_config_selectorIN6thrust23THRUST_200600_302600_NS5tupleIblNS6_9null_typeES8_S8_S8_S8_S8_S8_S8_EEEEZNS1_11reduce_implILb1ES3_NS6_12zip_iteratorINS7_INS6_11hip_rocprim26transform_input_iterator_tIbNSD_35transform_pair_of_input_iterators_tIbNS6_6detail15normal_iteratorINS6_10device_ptrIKdEEEESL_NS6_8equal_toIdEEEENSG_9not_fun_tINSD_8identityEEEEENSD_19counting_iterator_tIlEES8_S8_S8_S8_S8_S8_S8_S8_EEEEPS9_S9_NSD_9__find_if7functorIS9_EEEE10hipError_tPvRmT1_T2_T3_mT4_P12ihipStream_tbEUlT_E0_NS1_11comp_targetILNS1_3genE10ELNS1_11target_archE1201ELNS1_3gpuE5ELNS1_3repE0EEENS1_30default_config_static_selectorELNS0_4arch9wavefront6targetE1EEEvS14_,comdat
.Lfunc_end186:
	.size	_ZN7rocprim17ROCPRIM_400000_NS6detail17trampoline_kernelINS0_14default_configENS1_22reduce_config_selectorIN6thrust23THRUST_200600_302600_NS5tupleIblNS6_9null_typeES8_S8_S8_S8_S8_S8_S8_EEEEZNS1_11reduce_implILb1ES3_NS6_12zip_iteratorINS7_INS6_11hip_rocprim26transform_input_iterator_tIbNSD_35transform_pair_of_input_iterators_tIbNS6_6detail15normal_iteratorINS6_10device_ptrIKdEEEESL_NS6_8equal_toIdEEEENSG_9not_fun_tINSD_8identityEEEEENSD_19counting_iterator_tIlEES8_S8_S8_S8_S8_S8_S8_S8_EEEEPS9_S9_NSD_9__find_if7functorIS9_EEEE10hipError_tPvRmT1_T2_T3_mT4_P12ihipStream_tbEUlT_E0_NS1_11comp_targetILNS1_3genE10ELNS1_11target_archE1201ELNS1_3gpuE5ELNS1_3repE0EEENS1_30default_config_static_selectorELNS0_4arch9wavefront6targetE1EEEvS14_, .Lfunc_end186-_ZN7rocprim17ROCPRIM_400000_NS6detail17trampoline_kernelINS0_14default_configENS1_22reduce_config_selectorIN6thrust23THRUST_200600_302600_NS5tupleIblNS6_9null_typeES8_S8_S8_S8_S8_S8_S8_EEEEZNS1_11reduce_implILb1ES3_NS6_12zip_iteratorINS7_INS6_11hip_rocprim26transform_input_iterator_tIbNSD_35transform_pair_of_input_iterators_tIbNS6_6detail15normal_iteratorINS6_10device_ptrIKdEEEESL_NS6_8equal_toIdEEEENSG_9not_fun_tINSD_8identityEEEEENSD_19counting_iterator_tIlEES8_S8_S8_S8_S8_S8_S8_S8_EEEEPS9_S9_NSD_9__find_if7functorIS9_EEEE10hipError_tPvRmT1_T2_T3_mT4_P12ihipStream_tbEUlT_E0_NS1_11comp_targetILNS1_3genE10ELNS1_11target_archE1201ELNS1_3gpuE5ELNS1_3repE0EEENS1_30default_config_static_selectorELNS0_4arch9wavefront6targetE1EEEvS14_
                                        ; -- End function
	.set _ZN7rocprim17ROCPRIM_400000_NS6detail17trampoline_kernelINS0_14default_configENS1_22reduce_config_selectorIN6thrust23THRUST_200600_302600_NS5tupleIblNS6_9null_typeES8_S8_S8_S8_S8_S8_S8_EEEEZNS1_11reduce_implILb1ES3_NS6_12zip_iteratorINS7_INS6_11hip_rocprim26transform_input_iterator_tIbNSD_35transform_pair_of_input_iterators_tIbNS6_6detail15normal_iteratorINS6_10device_ptrIKdEEEESL_NS6_8equal_toIdEEEENSG_9not_fun_tINSD_8identityEEEEENSD_19counting_iterator_tIlEES8_S8_S8_S8_S8_S8_S8_S8_EEEEPS9_S9_NSD_9__find_if7functorIS9_EEEE10hipError_tPvRmT1_T2_T3_mT4_P12ihipStream_tbEUlT_E0_NS1_11comp_targetILNS1_3genE10ELNS1_11target_archE1201ELNS1_3gpuE5ELNS1_3repE0EEENS1_30default_config_static_selectorELNS0_4arch9wavefront6targetE1EEEvS14_.num_vgpr, 0
	.set _ZN7rocprim17ROCPRIM_400000_NS6detail17trampoline_kernelINS0_14default_configENS1_22reduce_config_selectorIN6thrust23THRUST_200600_302600_NS5tupleIblNS6_9null_typeES8_S8_S8_S8_S8_S8_S8_EEEEZNS1_11reduce_implILb1ES3_NS6_12zip_iteratorINS7_INS6_11hip_rocprim26transform_input_iterator_tIbNSD_35transform_pair_of_input_iterators_tIbNS6_6detail15normal_iteratorINS6_10device_ptrIKdEEEESL_NS6_8equal_toIdEEEENSG_9not_fun_tINSD_8identityEEEEENSD_19counting_iterator_tIlEES8_S8_S8_S8_S8_S8_S8_S8_EEEEPS9_S9_NSD_9__find_if7functorIS9_EEEE10hipError_tPvRmT1_T2_T3_mT4_P12ihipStream_tbEUlT_E0_NS1_11comp_targetILNS1_3genE10ELNS1_11target_archE1201ELNS1_3gpuE5ELNS1_3repE0EEENS1_30default_config_static_selectorELNS0_4arch9wavefront6targetE1EEEvS14_.num_agpr, 0
	.set _ZN7rocprim17ROCPRIM_400000_NS6detail17trampoline_kernelINS0_14default_configENS1_22reduce_config_selectorIN6thrust23THRUST_200600_302600_NS5tupleIblNS6_9null_typeES8_S8_S8_S8_S8_S8_S8_EEEEZNS1_11reduce_implILb1ES3_NS6_12zip_iteratorINS7_INS6_11hip_rocprim26transform_input_iterator_tIbNSD_35transform_pair_of_input_iterators_tIbNS6_6detail15normal_iteratorINS6_10device_ptrIKdEEEESL_NS6_8equal_toIdEEEENSG_9not_fun_tINSD_8identityEEEEENSD_19counting_iterator_tIlEES8_S8_S8_S8_S8_S8_S8_S8_EEEEPS9_S9_NSD_9__find_if7functorIS9_EEEE10hipError_tPvRmT1_T2_T3_mT4_P12ihipStream_tbEUlT_E0_NS1_11comp_targetILNS1_3genE10ELNS1_11target_archE1201ELNS1_3gpuE5ELNS1_3repE0EEENS1_30default_config_static_selectorELNS0_4arch9wavefront6targetE1EEEvS14_.numbered_sgpr, 0
	.set _ZN7rocprim17ROCPRIM_400000_NS6detail17trampoline_kernelINS0_14default_configENS1_22reduce_config_selectorIN6thrust23THRUST_200600_302600_NS5tupleIblNS6_9null_typeES8_S8_S8_S8_S8_S8_S8_EEEEZNS1_11reduce_implILb1ES3_NS6_12zip_iteratorINS7_INS6_11hip_rocprim26transform_input_iterator_tIbNSD_35transform_pair_of_input_iterators_tIbNS6_6detail15normal_iteratorINS6_10device_ptrIKdEEEESL_NS6_8equal_toIdEEEENSG_9not_fun_tINSD_8identityEEEEENSD_19counting_iterator_tIlEES8_S8_S8_S8_S8_S8_S8_S8_EEEEPS9_S9_NSD_9__find_if7functorIS9_EEEE10hipError_tPvRmT1_T2_T3_mT4_P12ihipStream_tbEUlT_E0_NS1_11comp_targetILNS1_3genE10ELNS1_11target_archE1201ELNS1_3gpuE5ELNS1_3repE0EEENS1_30default_config_static_selectorELNS0_4arch9wavefront6targetE1EEEvS14_.num_named_barrier, 0
	.set _ZN7rocprim17ROCPRIM_400000_NS6detail17trampoline_kernelINS0_14default_configENS1_22reduce_config_selectorIN6thrust23THRUST_200600_302600_NS5tupleIblNS6_9null_typeES8_S8_S8_S8_S8_S8_S8_EEEEZNS1_11reduce_implILb1ES3_NS6_12zip_iteratorINS7_INS6_11hip_rocprim26transform_input_iterator_tIbNSD_35transform_pair_of_input_iterators_tIbNS6_6detail15normal_iteratorINS6_10device_ptrIKdEEEESL_NS6_8equal_toIdEEEENSG_9not_fun_tINSD_8identityEEEEENSD_19counting_iterator_tIlEES8_S8_S8_S8_S8_S8_S8_S8_EEEEPS9_S9_NSD_9__find_if7functorIS9_EEEE10hipError_tPvRmT1_T2_T3_mT4_P12ihipStream_tbEUlT_E0_NS1_11comp_targetILNS1_3genE10ELNS1_11target_archE1201ELNS1_3gpuE5ELNS1_3repE0EEENS1_30default_config_static_selectorELNS0_4arch9wavefront6targetE1EEEvS14_.private_seg_size, 0
	.set _ZN7rocprim17ROCPRIM_400000_NS6detail17trampoline_kernelINS0_14default_configENS1_22reduce_config_selectorIN6thrust23THRUST_200600_302600_NS5tupleIblNS6_9null_typeES8_S8_S8_S8_S8_S8_S8_EEEEZNS1_11reduce_implILb1ES3_NS6_12zip_iteratorINS7_INS6_11hip_rocprim26transform_input_iterator_tIbNSD_35transform_pair_of_input_iterators_tIbNS6_6detail15normal_iteratorINS6_10device_ptrIKdEEEESL_NS6_8equal_toIdEEEENSG_9not_fun_tINSD_8identityEEEEENSD_19counting_iterator_tIlEES8_S8_S8_S8_S8_S8_S8_S8_EEEEPS9_S9_NSD_9__find_if7functorIS9_EEEE10hipError_tPvRmT1_T2_T3_mT4_P12ihipStream_tbEUlT_E0_NS1_11comp_targetILNS1_3genE10ELNS1_11target_archE1201ELNS1_3gpuE5ELNS1_3repE0EEENS1_30default_config_static_selectorELNS0_4arch9wavefront6targetE1EEEvS14_.uses_vcc, 0
	.set _ZN7rocprim17ROCPRIM_400000_NS6detail17trampoline_kernelINS0_14default_configENS1_22reduce_config_selectorIN6thrust23THRUST_200600_302600_NS5tupleIblNS6_9null_typeES8_S8_S8_S8_S8_S8_S8_EEEEZNS1_11reduce_implILb1ES3_NS6_12zip_iteratorINS7_INS6_11hip_rocprim26transform_input_iterator_tIbNSD_35transform_pair_of_input_iterators_tIbNS6_6detail15normal_iteratorINS6_10device_ptrIKdEEEESL_NS6_8equal_toIdEEEENSG_9not_fun_tINSD_8identityEEEEENSD_19counting_iterator_tIlEES8_S8_S8_S8_S8_S8_S8_S8_EEEEPS9_S9_NSD_9__find_if7functorIS9_EEEE10hipError_tPvRmT1_T2_T3_mT4_P12ihipStream_tbEUlT_E0_NS1_11comp_targetILNS1_3genE10ELNS1_11target_archE1201ELNS1_3gpuE5ELNS1_3repE0EEENS1_30default_config_static_selectorELNS0_4arch9wavefront6targetE1EEEvS14_.uses_flat_scratch, 0
	.set _ZN7rocprim17ROCPRIM_400000_NS6detail17trampoline_kernelINS0_14default_configENS1_22reduce_config_selectorIN6thrust23THRUST_200600_302600_NS5tupleIblNS6_9null_typeES8_S8_S8_S8_S8_S8_S8_EEEEZNS1_11reduce_implILb1ES3_NS6_12zip_iteratorINS7_INS6_11hip_rocprim26transform_input_iterator_tIbNSD_35transform_pair_of_input_iterators_tIbNS6_6detail15normal_iteratorINS6_10device_ptrIKdEEEESL_NS6_8equal_toIdEEEENSG_9not_fun_tINSD_8identityEEEEENSD_19counting_iterator_tIlEES8_S8_S8_S8_S8_S8_S8_S8_EEEEPS9_S9_NSD_9__find_if7functorIS9_EEEE10hipError_tPvRmT1_T2_T3_mT4_P12ihipStream_tbEUlT_E0_NS1_11comp_targetILNS1_3genE10ELNS1_11target_archE1201ELNS1_3gpuE5ELNS1_3repE0EEENS1_30default_config_static_selectorELNS0_4arch9wavefront6targetE1EEEvS14_.has_dyn_sized_stack, 0
	.set _ZN7rocprim17ROCPRIM_400000_NS6detail17trampoline_kernelINS0_14default_configENS1_22reduce_config_selectorIN6thrust23THRUST_200600_302600_NS5tupleIblNS6_9null_typeES8_S8_S8_S8_S8_S8_S8_EEEEZNS1_11reduce_implILb1ES3_NS6_12zip_iteratorINS7_INS6_11hip_rocprim26transform_input_iterator_tIbNSD_35transform_pair_of_input_iterators_tIbNS6_6detail15normal_iteratorINS6_10device_ptrIKdEEEESL_NS6_8equal_toIdEEEENSG_9not_fun_tINSD_8identityEEEEENSD_19counting_iterator_tIlEES8_S8_S8_S8_S8_S8_S8_S8_EEEEPS9_S9_NSD_9__find_if7functorIS9_EEEE10hipError_tPvRmT1_T2_T3_mT4_P12ihipStream_tbEUlT_E0_NS1_11comp_targetILNS1_3genE10ELNS1_11target_archE1201ELNS1_3gpuE5ELNS1_3repE0EEENS1_30default_config_static_selectorELNS0_4arch9wavefront6targetE1EEEvS14_.has_recursion, 0
	.set _ZN7rocprim17ROCPRIM_400000_NS6detail17trampoline_kernelINS0_14default_configENS1_22reduce_config_selectorIN6thrust23THRUST_200600_302600_NS5tupleIblNS6_9null_typeES8_S8_S8_S8_S8_S8_S8_EEEEZNS1_11reduce_implILb1ES3_NS6_12zip_iteratorINS7_INS6_11hip_rocprim26transform_input_iterator_tIbNSD_35transform_pair_of_input_iterators_tIbNS6_6detail15normal_iteratorINS6_10device_ptrIKdEEEESL_NS6_8equal_toIdEEEENSG_9not_fun_tINSD_8identityEEEEENSD_19counting_iterator_tIlEES8_S8_S8_S8_S8_S8_S8_S8_EEEEPS9_S9_NSD_9__find_if7functorIS9_EEEE10hipError_tPvRmT1_T2_T3_mT4_P12ihipStream_tbEUlT_E0_NS1_11comp_targetILNS1_3genE10ELNS1_11target_archE1201ELNS1_3gpuE5ELNS1_3repE0EEENS1_30default_config_static_selectorELNS0_4arch9wavefront6targetE1EEEvS14_.has_indirect_call, 0
	.section	.AMDGPU.csdata,"",@progbits
; Kernel info:
; codeLenInByte = 0
; TotalNumSgprs: 6
; NumVgprs: 0
; NumAgprs: 0
; TotalNumVgprs: 0
; ScratchSize: 0
; MemoryBound: 0
; FloatMode: 240
; IeeeMode: 1
; LDSByteSize: 0 bytes/workgroup (compile time only)
; SGPRBlocks: 0
; VGPRBlocks: 0
; NumSGPRsForWavesPerEU: 6
; NumVGPRsForWavesPerEU: 1
; AccumOffset: 4
; Occupancy: 8
; WaveLimiterHint : 0
; COMPUTE_PGM_RSRC2:SCRATCH_EN: 0
; COMPUTE_PGM_RSRC2:USER_SGPR: 2
; COMPUTE_PGM_RSRC2:TRAP_HANDLER: 0
; COMPUTE_PGM_RSRC2:TGID_X_EN: 1
; COMPUTE_PGM_RSRC2:TGID_Y_EN: 0
; COMPUTE_PGM_RSRC2:TGID_Z_EN: 0
; COMPUTE_PGM_RSRC2:TIDIG_COMP_CNT: 0
; COMPUTE_PGM_RSRC3_GFX90A:ACCUM_OFFSET: 0
; COMPUTE_PGM_RSRC3_GFX90A:TG_SPLIT: 0
	.section	.text._ZN7rocprim17ROCPRIM_400000_NS6detail17trampoline_kernelINS0_14default_configENS1_22reduce_config_selectorIN6thrust23THRUST_200600_302600_NS5tupleIblNS6_9null_typeES8_S8_S8_S8_S8_S8_S8_EEEEZNS1_11reduce_implILb1ES3_NS6_12zip_iteratorINS7_INS6_11hip_rocprim26transform_input_iterator_tIbNSD_35transform_pair_of_input_iterators_tIbNS6_6detail15normal_iteratorINS6_10device_ptrIKdEEEESL_NS6_8equal_toIdEEEENSG_9not_fun_tINSD_8identityEEEEENSD_19counting_iterator_tIlEES8_S8_S8_S8_S8_S8_S8_S8_EEEEPS9_S9_NSD_9__find_if7functorIS9_EEEE10hipError_tPvRmT1_T2_T3_mT4_P12ihipStream_tbEUlT_E0_NS1_11comp_targetILNS1_3genE10ELNS1_11target_archE1200ELNS1_3gpuE4ELNS1_3repE0EEENS1_30default_config_static_selectorELNS0_4arch9wavefront6targetE1EEEvS14_,"axG",@progbits,_ZN7rocprim17ROCPRIM_400000_NS6detail17trampoline_kernelINS0_14default_configENS1_22reduce_config_selectorIN6thrust23THRUST_200600_302600_NS5tupleIblNS6_9null_typeES8_S8_S8_S8_S8_S8_S8_EEEEZNS1_11reduce_implILb1ES3_NS6_12zip_iteratorINS7_INS6_11hip_rocprim26transform_input_iterator_tIbNSD_35transform_pair_of_input_iterators_tIbNS6_6detail15normal_iteratorINS6_10device_ptrIKdEEEESL_NS6_8equal_toIdEEEENSG_9not_fun_tINSD_8identityEEEEENSD_19counting_iterator_tIlEES8_S8_S8_S8_S8_S8_S8_S8_EEEEPS9_S9_NSD_9__find_if7functorIS9_EEEE10hipError_tPvRmT1_T2_T3_mT4_P12ihipStream_tbEUlT_E0_NS1_11comp_targetILNS1_3genE10ELNS1_11target_archE1200ELNS1_3gpuE4ELNS1_3repE0EEENS1_30default_config_static_selectorELNS0_4arch9wavefront6targetE1EEEvS14_,comdat
	.protected	_ZN7rocprim17ROCPRIM_400000_NS6detail17trampoline_kernelINS0_14default_configENS1_22reduce_config_selectorIN6thrust23THRUST_200600_302600_NS5tupleIblNS6_9null_typeES8_S8_S8_S8_S8_S8_S8_EEEEZNS1_11reduce_implILb1ES3_NS6_12zip_iteratorINS7_INS6_11hip_rocprim26transform_input_iterator_tIbNSD_35transform_pair_of_input_iterators_tIbNS6_6detail15normal_iteratorINS6_10device_ptrIKdEEEESL_NS6_8equal_toIdEEEENSG_9not_fun_tINSD_8identityEEEEENSD_19counting_iterator_tIlEES8_S8_S8_S8_S8_S8_S8_S8_EEEEPS9_S9_NSD_9__find_if7functorIS9_EEEE10hipError_tPvRmT1_T2_T3_mT4_P12ihipStream_tbEUlT_E0_NS1_11comp_targetILNS1_3genE10ELNS1_11target_archE1200ELNS1_3gpuE4ELNS1_3repE0EEENS1_30default_config_static_selectorELNS0_4arch9wavefront6targetE1EEEvS14_ ; -- Begin function _ZN7rocprim17ROCPRIM_400000_NS6detail17trampoline_kernelINS0_14default_configENS1_22reduce_config_selectorIN6thrust23THRUST_200600_302600_NS5tupleIblNS6_9null_typeES8_S8_S8_S8_S8_S8_S8_EEEEZNS1_11reduce_implILb1ES3_NS6_12zip_iteratorINS7_INS6_11hip_rocprim26transform_input_iterator_tIbNSD_35transform_pair_of_input_iterators_tIbNS6_6detail15normal_iteratorINS6_10device_ptrIKdEEEESL_NS6_8equal_toIdEEEENSG_9not_fun_tINSD_8identityEEEEENSD_19counting_iterator_tIlEES8_S8_S8_S8_S8_S8_S8_S8_EEEEPS9_S9_NSD_9__find_if7functorIS9_EEEE10hipError_tPvRmT1_T2_T3_mT4_P12ihipStream_tbEUlT_E0_NS1_11comp_targetILNS1_3genE10ELNS1_11target_archE1200ELNS1_3gpuE4ELNS1_3repE0EEENS1_30default_config_static_selectorELNS0_4arch9wavefront6targetE1EEEvS14_
	.globl	_ZN7rocprim17ROCPRIM_400000_NS6detail17trampoline_kernelINS0_14default_configENS1_22reduce_config_selectorIN6thrust23THRUST_200600_302600_NS5tupleIblNS6_9null_typeES8_S8_S8_S8_S8_S8_S8_EEEEZNS1_11reduce_implILb1ES3_NS6_12zip_iteratorINS7_INS6_11hip_rocprim26transform_input_iterator_tIbNSD_35transform_pair_of_input_iterators_tIbNS6_6detail15normal_iteratorINS6_10device_ptrIKdEEEESL_NS6_8equal_toIdEEEENSG_9not_fun_tINSD_8identityEEEEENSD_19counting_iterator_tIlEES8_S8_S8_S8_S8_S8_S8_S8_EEEEPS9_S9_NSD_9__find_if7functorIS9_EEEE10hipError_tPvRmT1_T2_T3_mT4_P12ihipStream_tbEUlT_E0_NS1_11comp_targetILNS1_3genE10ELNS1_11target_archE1200ELNS1_3gpuE4ELNS1_3repE0EEENS1_30default_config_static_selectorELNS0_4arch9wavefront6targetE1EEEvS14_
	.p2align	8
	.type	_ZN7rocprim17ROCPRIM_400000_NS6detail17trampoline_kernelINS0_14default_configENS1_22reduce_config_selectorIN6thrust23THRUST_200600_302600_NS5tupleIblNS6_9null_typeES8_S8_S8_S8_S8_S8_S8_EEEEZNS1_11reduce_implILb1ES3_NS6_12zip_iteratorINS7_INS6_11hip_rocprim26transform_input_iterator_tIbNSD_35transform_pair_of_input_iterators_tIbNS6_6detail15normal_iteratorINS6_10device_ptrIKdEEEESL_NS6_8equal_toIdEEEENSG_9not_fun_tINSD_8identityEEEEENSD_19counting_iterator_tIlEES8_S8_S8_S8_S8_S8_S8_S8_EEEEPS9_S9_NSD_9__find_if7functorIS9_EEEE10hipError_tPvRmT1_T2_T3_mT4_P12ihipStream_tbEUlT_E0_NS1_11comp_targetILNS1_3genE10ELNS1_11target_archE1200ELNS1_3gpuE4ELNS1_3repE0EEENS1_30default_config_static_selectorELNS0_4arch9wavefront6targetE1EEEvS14_,@function
_ZN7rocprim17ROCPRIM_400000_NS6detail17trampoline_kernelINS0_14default_configENS1_22reduce_config_selectorIN6thrust23THRUST_200600_302600_NS5tupleIblNS6_9null_typeES8_S8_S8_S8_S8_S8_S8_EEEEZNS1_11reduce_implILb1ES3_NS6_12zip_iteratorINS7_INS6_11hip_rocprim26transform_input_iterator_tIbNSD_35transform_pair_of_input_iterators_tIbNS6_6detail15normal_iteratorINS6_10device_ptrIKdEEEESL_NS6_8equal_toIdEEEENSG_9not_fun_tINSD_8identityEEEEENSD_19counting_iterator_tIlEES8_S8_S8_S8_S8_S8_S8_S8_EEEEPS9_S9_NSD_9__find_if7functorIS9_EEEE10hipError_tPvRmT1_T2_T3_mT4_P12ihipStream_tbEUlT_E0_NS1_11comp_targetILNS1_3genE10ELNS1_11target_archE1200ELNS1_3gpuE4ELNS1_3repE0EEENS1_30default_config_static_selectorELNS0_4arch9wavefront6targetE1EEEvS14_: ; @_ZN7rocprim17ROCPRIM_400000_NS6detail17trampoline_kernelINS0_14default_configENS1_22reduce_config_selectorIN6thrust23THRUST_200600_302600_NS5tupleIblNS6_9null_typeES8_S8_S8_S8_S8_S8_S8_EEEEZNS1_11reduce_implILb1ES3_NS6_12zip_iteratorINS7_INS6_11hip_rocprim26transform_input_iterator_tIbNSD_35transform_pair_of_input_iterators_tIbNS6_6detail15normal_iteratorINS6_10device_ptrIKdEEEESL_NS6_8equal_toIdEEEENSG_9not_fun_tINSD_8identityEEEEENSD_19counting_iterator_tIlEES8_S8_S8_S8_S8_S8_S8_S8_EEEEPS9_S9_NSD_9__find_if7functorIS9_EEEE10hipError_tPvRmT1_T2_T3_mT4_P12ihipStream_tbEUlT_E0_NS1_11comp_targetILNS1_3genE10ELNS1_11target_archE1200ELNS1_3gpuE4ELNS1_3repE0EEENS1_30default_config_static_selectorELNS0_4arch9wavefront6targetE1EEEvS14_
; %bb.0:
	.section	.rodata,"a",@progbits
	.p2align	6, 0x0
	.amdhsa_kernel _ZN7rocprim17ROCPRIM_400000_NS6detail17trampoline_kernelINS0_14default_configENS1_22reduce_config_selectorIN6thrust23THRUST_200600_302600_NS5tupleIblNS6_9null_typeES8_S8_S8_S8_S8_S8_S8_EEEEZNS1_11reduce_implILb1ES3_NS6_12zip_iteratorINS7_INS6_11hip_rocprim26transform_input_iterator_tIbNSD_35transform_pair_of_input_iterators_tIbNS6_6detail15normal_iteratorINS6_10device_ptrIKdEEEESL_NS6_8equal_toIdEEEENSG_9not_fun_tINSD_8identityEEEEENSD_19counting_iterator_tIlEES8_S8_S8_S8_S8_S8_S8_S8_EEEEPS9_S9_NSD_9__find_if7functorIS9_EEEE10hipError_tPvRmT1_T2_T3_mT4_P12ihipStream_tbEUlT_E0_NS1_11comp_targetILNS1_3genE10ELNS1_11target_archE1200ELNS1_3gpuE4ELNS1_3repE0EEENS1_30default_config_static_selectorELNS0_4arch9wavefront6targetE1EEEvS14_
		.amdhsa_group_segment_fixed_size 0
		.amdhsa_private_segment_fixed_size 0
		.amdhsa_kernarg_size 104
		.amdhsa_user_sgpr_count 2
		.amdhsa_user_sgpr_dispatch_ptr 0
		.amdhsa_user_sgpr_queue_ptr 0
		.amdhsa_user_sgpr_kernarg_segment_ptr 1
		.amdhsa_user_sgpr_dispatch_id 0
		.amdhsa_user_sgpr_kernarg_preload_length 0
		.amdhsa_user_sgpr_kernarg_preload_offset 0
		.amdhsa_user_sgpr_private_segment_size 0
		.amdhsa_uses_dynamic_stack 0
		.amdhsa_enable_private_segment 0
		.amdhsa_system_sgpr_workgroup_id_x 1
		.amdhsa_system_sgpr_workgroup_id_y 0
		.amdhsa_system_sgpr_workgroup_id_z 0
		.amdhsa_system_sgpr_workgroup_info 0
		.amdhsa_system_vgpr_workitem_id 0
		.amdhsa_next_free_vgpr 1
		.amdhsa_next_free_sgpr 0
		.amdhsa_accum_offset 4
		.amdhsa_reserve_vcc 0
		.amdhsa_float_round_mode_32 0
		.amdhsa_float_round_mode_16_64 0
		.amdhsa_float_denorm_mode_32 3
		.amdhsa_float_denorm_mode_16_64 3
		.amdhsa_dx10_clamp 1
		.amdhsa_ieee_mode 1
		.amdhsa_fp16_overflow 0
		.amdhsa_tg_split 0
		.amdhsa_exception_fp_ieee_invalid_op 0
		.amdhsa_exception_fp_denorm_src 0
		.amdhsa_exception_fp_ieee_div_zero 0
		.amdhsa_exception_fp_ieee_overflow 0
		.amdhsa_exception_fp_ieee_underflow 0
		.amdhsa_exception_fp_ieee_inexact 0
		.amdhsa_exception_int_div_zero 0
	.end_amdhsa_kernel
	.section	.text._ZN7rocprim17ROCPRIM_400000_NS6detail17trampoline_kernelINS0_14default_configENS1_22reduce_config_selectorIN6thrust23THRUST_200600_302600_NS5tupleIblNS6_9null_typeES8_S8_S8_S8_S8_S8_S8_EEEEZNS1_11reduce_implILb1ES3_NS6_12zip_iteratorINS7_INS6_11hip_rocprim26transform_input_iterator_tIbNSD_35transform_pair_of_input_iterators_tIbNS6_6detail15normal_iteratorINS6_10device_ptrIKdEEEESL_NS6_8equal_toIdEEEENSG_9not_fun_tINSD_8identityEEEEENSD_19counting_iterator_tIlEES8_S8_S8_S8_S8_S8_S8_S8_EEEEPS9_S9_NSD_9__find_if7functorIS9_EEEE10hipError_tPvRmT1_T2_T3_mT4_P12ihipStream_tbEUlT_E0_NS1_11comp_targetILNS1_3genE10ELNS1_11target_archE1200ELNS1_3gpuE4ELNS1_3repE0EEENS1_30default_config_static_selectorELNS0_4arch9wavefront6targetE1EEEvS14_,"axG",@progbits,_ZN7rocprim17ROCPRIM_400000_NS6detail17trampoline_kernelINS0_14default_configENS1_22reduce_config_selectorIN6thrust23THRUST_200600_302600_NS5tupleIblNS6_9null_typeES8_S8_S8_S8_S8_S8_S8_EEEEZNS1_11reduce_implILb1ES3_NS6_12zip_iteratorINS7_INS6_11hip_rocprim26transform_input_iterator_tIbNSD_35transform_pair_of_input_iterators_tIbNS6_6detail15normal_iteratorINS6_10device_ptrIKdEEEESL_NS6_8equal_toIdEEEENSG_9not_fun_tINSD_8identityEEEEENSD_19counting_iterator_tIlEES8_S8_S8_S8_S8_S8_S8_S8_EEEEPS9_S9_NSD_9__find_if7functorIS9_EEEE10hipError_tPvRmT1_T2_T3_mT4_P12ihipStream_tbEUlT_E0_NS1_11comp_targetILNS1_3genE10ELNS1_11target_archE1200ELNS1_3gpuE4ELNS1_3repE0EEENS1_30default_config_static_selectorELNS0_4arch9wavefront6targetE1EEEvS14_,comdat
.Lfunc_end187:
	.size	_ZN7rocprim17ROCPRIM_400000_NS6detail17trampoline_kernelINS0_14default_configENS1_22reduce_config_selectorIN6thrust23THRUST_200600_302600_NS5tupleIblNS6_9null_typeES8_S8_S8_S8_S8_S8_S8_EEEEZNS1_11reduce_implILb1ES3_NS6_12zip_iteratorINS7_INS6_11hip_rocprim26transform_input_iterator_tIbNSD_35transform_pair_of_input_iterators_tIbNS6_6detail15normal_iteratorINS6_10device_ptrIKdEEEESL_NS6_8equal_toIdEEEENSG_9not_fun_tINSD_8identityEEEEENSD_19counting_iterator_tIlEES8_S8_S8_S8_S8_S8_S8_S8_EEEEPS9_S9_NSD_9__find_if7functorIS9_EEEE10hipError_tPvRmT1_T2_T3_mT4_P12ihipStream_tbEUlT_E0_NS1_11comp_targetILNS1_3genE10ELNS1_11target_archE1200ELNS1_3gpuE4ELNS1_3repE0EEENS1_30default_config_static_selectorELNS0_4arch9wavefront6targetE1EEEvS14_, .Lfunc_end187-_ZN7rocprim17ROCPRIM_400000_NS6detail17trampoline_kernelINS0_14default_configENS1_22reduce_config_selectorIN6thrust23THRUST_200600_302600_NS5tupleIblNS6_9null_typeES8_S8_S8_S8_S8_S8_S8_EEEEZNS1_11reduce_implILb1ES3_NS6_12zip_iteratorINS7_INS6_11hip_rocprim26transform_input_iterator_tIbNSD_35transform_pair_of_input_iterators_tIbNS6_6detail15normal_iteratorINS6_10device_ptrIKdEEEESL_NS6_8equal_toIdEEEENSG_9not_fun_tINSD_8identityEEEEENSD_19counting_iterator_tIlEES8_S8_S8_S8_S8_S8_S8_S8_EEEEPS9_S9_NSD_9__find_if7functorIS9_EEEE10hipError_tPvRmT1_T2_T3_mT4_P12ihipStream_tbEUlT_E0_NS1_11comp_targetILNS1_3genE10ELNS1_11target_archE1200ELNS1_3gpuE4ELNS1_3repE0EEENS1_30default_config_static_selectorELNS0_4arch9wavefront6targetE1EEEvS14_
                                        ; -- End function
	.set _ZN7rocprim17ROCPRIM_400000_NS6detail17trampoline_kernelINS0_14default_configENS1_22reduce_config_selectorIN6thrust23THRUST_200600_302600_NS5tupleIblNS6_9null_typeES8_S8_S8_S8_S8_S8_S8_EEEEZNS1_11reduce_implILb1ES3_NS6_12zip_iteratorINS7_INS6_11hip_rocprim26transform_input_iterator_tIbNSD_35transform_pair_of_input_iterators_tIbNS6_6detail15normal_iteratorINS6_10device_ptrIKdEEEESL_NS6_8equal_toIdEEEENSG_9not_fun_tINSD_8identityEEEEENSD_19counting_iterator_tIlEES8_S8_S8_S8_S8_S8_S8_S8_EEEEPS9_S9_NSD_9__find_if7functorIS9_EEEE10hipError_tPvRmT1_T2_T3_mT4_P12ihipStream_tbEUlT_E0_NS1_11comp_targetILNS1_3genE10ELNS1_11target_archE1200ELNS1_3gpuE4ELNS1_3repE0EEENS1_30default_config_static_selectorELNS0_4arch9wavefront6targetE1EEEvS14_.num_vgpr, 0
	.set _ZN7rocprim17ROCPRIM_400000_NS6detail17trampoline_kernelINS0_14default_configENS1_22reduce_config_selectorIN6thrust23THRUST_200600_302600_NS5tupleIblNS6_9null_typeES8_S8_S8_S8_S8_S8_S8_EEEEZNS1_11reduce_implILb1ES3_NS6_12zip_iteratorINS7_INS6_11hip_rocprim26transform_input_iterator_tIbNSD_35transform_pair_of_input_iterators_tIbNS6_6detail15normal_iteratorINS6_10device_ptrIKdEEEESL_NS6_8equal_toIdEEEENSG_9not_fun_tINSD_8identityEEEEENSD_19counting_iterator_tIlEES8_S8_S8_S8_S8_S8_S8_S8_EEEEPS9_S9_NSD_9__find_if7functorIS9_EEEE10hipError_tPvRmT1_T2_T3_mT4_P12ihipStream_tbEUlT_E0_NS1_11comp_targetILNS1_3genE10ELNS1_11target_archE1200ELNS1_3gpuE4ELNS1_3repE0EEENS1_30default_config_static_selectorELNS0_4arch9wavefront6targetE1EEEvS14_.num_agpr, 0
	.set _ZN7rocprim17ROCPRIM_400000_NS6detail17trampoline_kernelINS0_14default_configENS1_22reduce_config_selectorIN6thrust23THRUST_200600_302600_NS5tupleIblNS6_9null_typeES8_S8_S8_S8_S8_S8_S8_EEEEZNS1_11reduce_implILb1ES3_NS6_12zip_iteratorINS7_INS6_11hip_rocprim26transform_input_iterator_tIbNSD_35transform_pair_of_input_iterators_tIbNS6_6detail15normal_iteratorINS6_10device_ptrIKdEEEESL_NS6_8equal_toIdEEEENSG_9not_fun_tINSD_8identityEEEEENSD_19counting_iterator_tIlEES8_S8_S8_S8_S8_S8_S8_S8_EEEEPS9_S9_NSD_9__find_if7functorIS9_EEEE10hipError_tPvRmT1_T2_T3_mT4_P12ihipStream_tbEUlT_E0_NS1_11comp_targetILNS1_3genE10ELNS1_11target_archE1200ELNS1_3gpuE4ELNS1_3repE0EEENS1_30default_config_static_selectorELNS0_4arch9wavefront6targetE1EEEvS14_.numbered_sgpr, 0
	.set _ZN7rocprim17ROCPRIM_400000_NS6detail17trampoline_kernelINS0_14default_configENS1_22reduce_config_selectorIN6thrust23THRUST_200600_302600_NS5tupleIblNS6_9null_typeES8_S8_S8_S8_S8_S8_S8_EEEEZNS1_11reduce_implILb1ES3_NS6_12zip_iteratorINS7_INS6_11hip_rocprim26transform_input_iterator_tIbNSD_35transform_pair_of_input_iterators_tIbNS6_6detail15normal_iteratorINS6_10device_ptrIKdEEEESL_NS6_8equal_toIdEEEENSG_9not_fun_tINSD_8identityEEEEENSD_19counting_iterator_tIlEES8_S8_S8_S8_S8_S8_S8_S8_EEEEPS9_S9_NSD_9__find_if7functorIS9_EEEE10hipError_tPvRmT1_T2_T3_mT4_P12ihipStream_tbEUlT_E0_NS1_11comp_targetILNS1_3genE10ELNS1_11target_archE1200ELNS1_3gpuE4ELNS1_3repE0EEENS1_30default_config_static_selectorELNS0_4arch9wavefront6targetE1EEEvS14_.num_named_barrier, 0
	.set _ZN7rocprim17ROCPRIM_400000_NS6detail17trampoline_kernelINS0_14default_configENS1_22reduce_config_selectorIN6thrust23THRUST_200600_302600_NS5tupleIblNS6_9null_typeES8_S8_S8_S8_S8_S8_S8_EEEEZNS1_11reduce_implILb1ES3_NS6_12zip_iteratorINS7_INS6_11hip_rocprim26transform_input_iterator_tIbNSD_35transform_pair_of_input_iterators_tIbNS6_6detail15normal_iteratorINS6_10device_ptrIKdEEEESL_NS6_8equal_toIdEEEENSG_9not_fun_tINSD_8identityEEEEENSD_19counting_iterator_tIlEES8_S8_S8_S8_S8_S8_S8_S8_EEEEPS9_S9_NSD_9__find_if7functorIS9_EEEE10hipError_tPvRmT1_T2_T3_mT4_P12ihipStream_tbEUlT_E0_NS1_11comp_targetILNS1_3genE10ELNS1_11target_archE1200ELNS1_3gpuE4ELNS1_3repE0EEENS1_30default_config_static_selectorELNS0_4arch9wavefront6targetE1EEEvS14_.private_seg_size, 0
	.set _ZN7rocprim17ROCPRIM_400000_NS6detail17trampoline_kernelINS0_14default_configENS1_22reduce_config_selectorIN6thrust23THRUST_200600_302600_NS5tupleIblNS6_9null_typeES8_S8_S8_S8_S8_S8_S8_EEEEZNS1_11reduce_implILb1ES3_NS6_12zip_iteratorINS7_INS6_11hip_rocprim26transform_input_iterator_tIbNSD_35transform_pair_of_input_iterators_tIbNS6_6detail15normal_iteratorINS6_10device_ptrIKdEEEESL_NS6_8equal_toIdEEEENSG_9not_fun_tINSD_8identityEEEEENSD_19counting_iterator_tIlEES8_S8_S8_S8_S8_S8_S8_S8_EEEEPS9_S9_NSD_9__find_if7functorIS9_EEEE10hipError_tPvRmT1_T2_T3_mT4_P12ihipStream_tbEUlT_E0_NS1_11comp_targetILNS1_3genE10ELNS1_11target_archE1200ELNS1_3gpuE4ELNS1_3repE0EEENS1_30default_config_static_selectorELNS0_4arch9wavefront6targetE1EEEvS14_.uses_vcc, 0
	.set _ZN7rocprim17ROCPRIM_400000_NS6detail17trampoline_kernelINS0_14default_configENS1_22reduce_config_selectorIN6thrust23THRUST_200600_302600_NS5tupleIblNS6_9null_typeES8_S8_S8_S8_S8_S8_S8_EEEEZNS1_11reduce_implILb1ES3_NS6_12zip_iteratorINS7_INS6_11hip_rocprim26transform_input_iterator_tIbNSD_35transform_pair_of_input_iterators_tIbNS6_6detail15normal_iteratorINS6_10device_ptrIKdEEEESL_NS6_8equal_toIdEEEENSG_9not_fun_tINSD_8identityEEEEENSD_19counting_iterator_tIlEES8_S8_S8_S8_S8_S8_S8_S8_EEEEPS9_S9_NSD_9__find_if7functorIS9_EEEE10hipError_tPvRmT1_T2_T3_mT4_P12ihipStream_tbEUlT_E0_NS1_11comp_targetILNS1_3genE10ELNS1_11target_archE1200ELNS1_3gpuE4ELNS1_3repE0EEENS1_30default_config_static_selectorELNS0_4arch9wavefront6targetE1EEEvS14_.uses_flat_scratch, 0
	.set _ZN7rocprim17ROCPRIM_400000_NS6detail17trampoline_kernelINS0_14default_configENS1_22reduce_config_selectorIN6thrust23THRUST_200600_302600_NS5tupleIblNS6_9null_typeES8_S8_S8_S8_S8_S8_S8_EEEEZNS1_11reduce_implILb1ES3_NS6_12zip_iteratorINS7_INS6_11hip_rocprim26transform_input_iterator_tIbNSD_35transform_pair_of_input_iterators_tIbNS6_6detail15normal_iteratorINS6_10device_ptrIKdEEEESL_NS6_8equal_toIdEEEENSG_9not_fun_tINSD_8identityEEEEENSD_19counting_iterator_tIlEES8_S8_S8_S8_S8_S8_S8_S8_EEEEPS9_S9_NSD_9__find_if7functorIS9_EEEE10hipError_tPvRmT1_T2_T3_mT4_P12ihipStream_tbEUlT_E0_NS1_11comp_targetILNS1_3genE10ELNS1_11target_archE1200ELNS1_3gpuE4ELNS1_3repE0EEENS1_30default_config_static_selectorELNS0_4arch9wavefront6targetE1EEEvS14_.has_dyn_sized_stack, 0
	.set _ZN7rocprim17ROCPRIM_400000_NS6detail17trampoline_kernelINS0_14default_configENS1_22reduce_config_selectorIN6thrust23THRUST_200600_302600_NS5tupleIblNS6_9null_typeES8_S8_S8_S8_S8_S8_S8_EEEEZNS1_11reduce_implILb1ES3_NS6_12zip_iteratorINS7_INS6_11hip_rocprim26transform_input_iterator_tIbNSD_35transform_pair_of_input_iterators_tIbNS6_6detail15normal_iteratorINS6_10device_ptrIKdEEEESL_NS6_8equal_toIdEEEENSG_9not_fun_tINSD_8identityEEEEENSD_19counting_iterator_tIlEES8_S8_S8_S8_S8_S8_S8_S8_EEEEPS9_S9_NSD_9__find_if7functorIS9_EEEE10hipError_tPvRmT1_T2_T3_mT4_P12ihipStream_tbEUlT_E0_NS1_11comp_targetILNS1_3genE10ELNS1_11target_archE1200ELNS1_3gpuE4ELNS1_3repE0EEENS1_30default_config_static_selectorELNS0_4arch9wavefront6targetE1EEEvS14_.has_recursion, 0
	.set _ZN7rocprim17ROCPRIM_400000_NS6detail17trampoline_kernelINS0_14default_configENS1_22reduce_config_selectorIN6thrust23THRUST_200600_302600_NS5tupleIblNS6_9null_typeES8_S8_S8_S8_S8_S8_S8_EEEEZNS1_11reduce_implILb1ES3_NS6_12zip_iteratorINS7_INS6_11hip_rocprim26transform_input_iterator_tIbNSD_35transform_pair_of_input_iterators_tIbNS6_6detail15normal_iteratorINS6_10device_ptrIKdEEEESL_NS6_8equal_toIdEEEENSG_9not_fun_tINSD_8identityEEEEENSD_19counting_iterator_tIlEES8_S8_S8_S8_S8_S8_S8_S8_EEEEPS9_S9_NSD_9__find_if7functorIS9_EEEE10hipError_tPvRmT1_T2_T3_mT4_P12ihipStream_tbEUlT_E0_NS1_11comp_targetILNS1_3genE10ELNS1_11target_archE1200ELNS1_3gpuE4ELNS1_3repE0EEENS1_30default_config_static_selectorELNS0_4arch9wavefront6targetE1EEEvS14_.has_indirect_call, 0
	.section	.AMDGPU.csdata,"",@progbits
; Kernel info:
; codeLenInByte = 0
; TotalNumSgprs: 6
; NumVgprs: 0
; NumAgprs: 0
; TotalNumVgprs: 0
; ScratchSize: 0
; MemoryBound: 0
; FloatMode: 240
; IeeeMode: 1
; LDSByteSize: 0 bytes/workgroup (compile time only)
; SGPRBlocks: 0
; VGPRBlocks: 0
; NumSGPRsForWavesPerEU: 6
; NumVGPRsForWavesPerEU: 1
; AccumOffset: 4
; Occupancy: 8
; WaveLimiterHint : 0
; COMPUTE_PGM_RSRC2:SCRATCH_EN: 0
; COMPUTE_PGM_RSRC2:USER_SGPR: 2
; COMPUTE_PGM_RSRC2:TRAP_HANDLER: 0
; COMPUTE_PGM_RSRC2:TGID_X_EN: 1
; COMPUTE_PGM_RSRC2:TGID_Y_EN: 0
; COMPUTE_PGM_RSRC2:TGID_Z_EN: 0
; COMPUTE_PGM_RSRC2:TIDIG_COMP_CNT: 0
; COMPUTE_PGM_RSRC3_GFX90A:ACCUM_OFFSET: 0
; COMPUTE_PGM_RSRC3_GFX90A:TG_SPLIT: 0
	.section	.text._ZN7rocprim17ROCPRIM_400000_NS6detail17trampoline_kernelINS0_14default_configENS1_22reduce_config_selectorIN6thrust23THRUST_200600_302600_NS5tupleIblNS6_9null_typeES8_S8_S8_S8_S8_S8_S8_EEEEZNS1_11reduce_implILb1ES3_NS6_12zip_iteratorINS7_INS6_11hip_rocprim26transform_input_iterator_tIbNSD_35transform_pair_of_input_iterators_tIbNS6_6detail15normal_iteratorINS6_10device_ptrIKdEEEESL_NS6_8equal_toIdEEEENSG_9not_fun_tINSD_8identityEEEEENSD_19counting_iterator_tIlEES8_S8_S8_S8_S8_S8_S8_S8_EEEEPS9_S9_NSD_9__find_if7functorIS9_EEEE10hipError_tPvRmT1_T2_T3_mT4_P12ihipStream_tbEUlT_E0_NS1_11comp_targetILNS1_3genE9ELNS1_11target_archE1100ELNS1_3gpuE3ELNS1_3repE0EEENS1_30default_config_static_selectorELNS0_4arch9wavefront6targetE1EEEvS14_,"axG",@progbits,_ZN7rocprim17ROCPRIM_400000_NS6detail17trampoline_kernelINS0_14default_configENS1_22reduce_config_selectorIN6thrust23THRUST_200600_302600_NS5tupleIblNS6_9null_typeES8_S8_S8_S8_S8_S8_S8_EEEEZNS1_11reduce_implILb1ES3_NS6_12zip_iteratorINS7_INS6_11hip_rocprim26transform_input_iterator_tIbNSD_35transform_pair_of_input_iterators_tIbNS6_6detail15normal_iteratorINS6_10device_ptrIKdEEEESL_NS6_8equal_toIdEEEENSG_9not_fun_tINSD_8identityEEEEENSD_19counting_iterator_tIlEES8_S8_S8_S8_S8_S8_S8_S8_EEEEPS9_S9_NSD_9__find_if7functorIS9_EEEE10hipError_tPvRmT1_T2_T3_mT4_P12ihipStream_tbEUlT_E0_NS1_11comp_targetILNS1_3genE9ELNS1_11target_archE1100ELNS1_3gpuE3ELNS1_3repE0EEENS1_30default_config_static_selectorELNS0_4arch9wavefront6targetE1EEEvS14_,comdat
	.protected	_ZN7rocprim17ROCPRIM_400000_NS6detail17trampoline_kernelINS0_14default_configENS1_22reduce_config_selectorIN6thrust23THRUST_200600_302600_NS5tupleIblNS6_9null_typeES8_S8_S8_S8_S8_S8_S8_EEEEZNS1_11reduce_implILb1ES3_NS6_12zip_iteratorINS7_INS6_11hip_rocprim26transform_input_iterator_tIbNSD_35transform_pair_of_input_iterators_tIbNS6_6detail15normal_iteratorINS6_10device_ptrIKdEEEESL_NS6_8equal_toIdEEEENSG_9not_fun_tINSD_8identityEEEEENSD_19counting_iterator_tIlEES8_S8_S8_S8_S8_S8_S8_S8_EEEEPS9_S9_NSD_9__find_if7functorIS9_EEEE10hipError_tPvRmT1_T2_T3_mT4_P12ihipStream_tbEUlT_E0_NS1_11comp_targetILNS1_3genE9ELNS1_11target_archE1100ELNS1_3gpuE3ELNS1_3repE0EEENS1_30default_config_static_selectorELNS0_4arch9wavefront6targetE1EEEvS14_ ; -- Begin function _ZN7rocprim17ROCPRIM_400000_NS6detail17trampoline_kernelINS0_14default_configENS1_22reduce_config_selectorIN6thrust23THRUST_200600_302600_NS5tupleIblNS6_9null_typeES8_S8_S8_S8_S8_S8_S8_EEEEZNS1_11reduce_implILb1ES3_NS6_12zip_iteratorINS7_INS6_11hip_rocprim26transform_input_iterator_tIbNSD_35transform_pair_of_input_iterators_tIbNS6_6detail15normal_iteratorINS6_10device_ptrIKdEEEESL_NS6_8equal_toIdEEEENSG_9not_fun_tINSD_8identityEEEEENSD_19counting_iterator_tIlEES8_S8_S8_S8_S8_S8_S8_S8_EEEEPS9_S9_NSD_9__find_if7functorIS9_EEEE10hipError_tPvRmT1_T2_T3_mT4_P12ihipStream_tbEUlT_E0_NS1_11comp_targetILNS1_3genE9ELNS1_11target_archE1100ELNS1_3gpuE3ELNS1_3repE0EEENS1_30default_config_static_selectorELNS0_4arch9wavefront6targetE1EEEvS14_
	.globl	_ZN7rocprim17ROCPRIM_400000_NS6detail17trampoline_kernelINS0_14default_configENS1_22reduce_config_selectorIN6thrust23THRUST_200600_302600_NS5tupleIblNS6_9null_typeES8_S8_S8_S8_S8_S8_S8_EEEEZNS1_11reduce_implILb1ES3_NS6_12zip_iteratorINS7_INS6_11hip_rocprim26transform_input_iterator_tIbNSD_35transform_pair_of_input_iterators_tIbNS6_6detail15normal_iteratorINS6_10device_ptrIKdEEEESL_NS6_8equal_toIdEEEENSG_9not_fun_tINSD_8identityEEEEENSD_19counting_iterator_tIlEES8_S8_S8_S8_S8_S8_S8_S8_EEEEPS9_S9_NSD_9__find_if7functorIS9_EEEE10hipError_tPvRmT1_T2_T3_mT4_P12ihipStream_tbEUlT_E0_NS1_11comp_targetILNS1_3genE9ELNS1_11target_archE1100ELNS1_3gpuE3ELNS1_3repE0EEENS1_30default_config_static_selectorELNS0_4arch9wavefront6targetE1EEEvS14_
	.p2align	8
	.type	_ZN7rocprim17ROCPRIM_400000_NS6detail17trampoline_kernelINS0_14default_configENS1_22reduce_config_selectorIN6thrust23THRUST_200600_302600_NS5tupleIblNS6_9null_typeES8_S8_S8_S8_S8_S8_S8_EEEEZNS1_11reduce_implILb1ES3_NS6_12zip_iteratorINS7_INS6_11hip_rocprim26transform_input_iterator_tIbNSD_35transform_pair_of_input_iterators_tIbNS6_6detail15normal_iteratorINS6_10device_ptrIKdEEEESL_NS6_8equal_toIdEEEENSG_9not_fun_tINSD_8identityEEEEENSD_19counting_iterator_tIlEES8_S8_S8_S8_S8_S8_S8_S8_EEEEPS9_S9_NSD_9__find_if7functorIS9_EEEE10hipError_tPvRmT1_T2_T3_mT4_P12ihipStream_tbEUlT_E0_NS1_11comp_targetILNS1_3genE9ELNS1_11target_archE1100ELNS1_3gpuE3ELNS1_3repE0EEENS1_30default_config_static_selectorELNS0_4arch9wavefront6targetE1EEEvS14_,@function
_ZN7rocprim17ROCPRIM_400000_NS6detail17trampoline_kernelINS0_14default_configENS1_22reduce_config_selectorIN6thrust23THRUST_200600_302600_NS5tupleIblNS6_9null_typeES8_S8_S8_S8_S8_S8_S8_EEEEZNS1_11reduce_implILb1ES3_NS6_12zip_iteratorINS7_INS6_11hip_rocprim26transform_input_iterator_tIbNSD_35transform_pair_of_input_iterators_tIbNS6_6detail15normal_iteratorINS6_10device_ptrIKdEEEESL_NS6_8equal_toIdEEEENSG_9not_fun_tINSD_8identityEEEEENSD_19counting_iterator_tIlEES8_S8_S8_S8_S8_S8_S8_S8_EEEEPS9_S9_NSD_9__find_if7functorIS9_EEEE10hipError_tPvRmT1_T2_T3_mT4_P12ihipStream_tbEUlT_E0_NS1_11comp_targetILNS1_3genE9ELNS1_11target_archE1100ELNS1_3gpuE3ELNS1_3repE0EEENS1_30default_config_static_selectorELNS0_4arch9wavefront6targetE1EEEvS14_: ; @_ZN7rocprim17ROCPRIM_400000_NS6detail17trampoline_kernelINS0_14default_configENS1_22reduce_config_selectorIN6thrust23THRUST_200600_302600_NS5tupleIblNS6_9null_typeES8_S8_S8_S8_S8_S8_S8_EEEEZNS1_11reduce_implILb1ES3_NS6_12zip_iteratorINS7_INS6_11hip_rocprim26transform_input_iterator_tIbNSD_35transform_pair_of_input_iterators_tIbNS6_6detail15normal_iteratorINS6_10device_ptrIKdEEEESL_NS6_8equal_toIdEEEENSG_9not_fun_tINSD_8identityEEEEENSD_19counting_iterator_tIlEES8_S8_S8_S8_S8_S8_S8_S8_EEEEPS9_S9_NSD_9__find_if7functorIS9_EEEE10hipError_tPvRmT1_T2_T3_mT4_P12ihipStream_tbEUlT_E0_NS1_11comp_targetILNS1_3genE9ELNS1_11target_archE1100ELNS1_3gpuE3ELNS1_3repE0EEENS1_30default_config_static_selectorELNS0_4arch9wavefront6targetE1EEEvS14_
; %bb.0:
	.section	.rodata,"a",@progbits
	.p2align	6, 0x0
	.amdhsa_kernel _ZN7rocprim17ROCPRIM_400000_NS6detail17trampoline_kernelINS0_14default_configENS1_22reduce_config_selectorIN6thrust23THRUST_200600_302600_NS5tupleIblNS6_9null_typeES8_S8_S8_S8_S8_S8_S8_EEEEZNS1_11reduce_implILb1ES3_NS6_12zip_iteratorINS7_INS6_11hip_rocprim26transform_input_iterator_tIbNSD_35transform_pair_of_input_iterators_tIbNS6_6detail15normal_iteratorINS6_10device_ptrIKdEEEESL_NS6_8equal_toIdEEEENSG_9not_fun_tINSD_8identityEEEEENSD_19counting_iterator_tIlEES8_S8_S8_S8_S8_S8_S8_S8_EEEEPS9_S9_NSD_9__find_if7functorIS9_EEEE10hipError_tPvRmT1_T2_T3_mT4_P12ihipStream_tbEUlT_E0_NS1_11comp_targetILNS1_3genE9ELNS1_11target_archE1100ELNS1_3gpuE3ELNS1_3repE0EEENS1_30default_config_static_selectorELNS0_4arch9wavefront6targetE1EEEvS14_
		.amdhsa_group_segment_fixed_size 0
		.amdhsa_private_segment_fixed_size 0
		.amdhsa_kernarg_size 104
		.amdhsa_user_sgpr_count 2
		.amdhsa_user_sgpr_dispatch_ptr 0
		.amdhsa_user_sgpr_queue_ptr 0
		.amdhsa_user_sgpr_kernarg_segment_ptr 1
		.amdhsa_user_sgpr_dispatch_id 0
		.amdhsa_user_sgpr_kernarg_preload_length 0
		.amdhsa_user_sgpr_kernarg_preload_offset 0
		.amdhsa_user_sgpr_private_segment_size 0
		.amdhsa_uses_dynamic_stack 0
		.amdhsa_enable_private_segment 0
		.amdhsa_system_sgpr_workgroup_id_x 1
		.amdhsa_system_sgpr_workgroup_id_y 0
		.amdhsa_system_sgpr_workgroup_id_z 0
		.amdhsa_system_sgpr_workgroup_info 0
		.amdhsa_system_vgpr_workitem_id 0
		.amdhsa_next_free_vgpr 1
		.amdhsa_next_free_sgpr 0
		.amdhsa_accum_offset 4
		.amdhsa_reserve_vcc 0
		.amdhsa_float_round_mode_32 0
		.amdhsa_float_round_mode_16_64 0
		.amdhsa_float_denorm_mode_32 3
		.amdhsa_float_denorm_mode_16_64 3
		.amdhsa_dx10_clamp 1
		.amdhsa_ieee_mode 1
		.amdhsa_fp16_overflow 0
		.amdhsa_tg_split 0
		.amdhsa_exception_fp_ieee_invalid_op 0
		.amdhsa_exception_fp_denorm_src 0
		.amdhsa_exception_fp_ieee_div_zero 0
		.amdhsa_exception_fp_ieee_overflow 0
		.amdhsa_exception_fp_ieee_underflow 0
		.amdhsa_exception_fp_ieee_inexact 0
		.amdhsa_exception_int_div_zero 0
	.end_amdhsa_kernel
	.section	.text._ZN7rocprim17ROCPRIM_400000_NS6detail17trampoline_kernelINS0_14default_configENS1_22reduce_config_selectorIN6thrust23THRUST_200600_302600_NS5tupleIblNS6_9null_typeES8_S8_S8_S8_S8_S8_S8_EEEEZNS1_11reduce_implILb1ES3_NS6_12zip_iteratorINS7_INS6_11hip_rocprim26transform_input_iterator_tIbNSD_35transform_pair_of_input_iterators_tIbNS6_6detail15normal_iteratorINS6_10device_ptrIKdEEEESL_NS6_8equal_toIdEEEENSG_9not_fun_tINSD_8identityEEEEENSD_19counting_iterator_tIlEES8_S8_S8_S8_S8_S8_S8_S8_EEEEPS9_S9_NSD_9__find_if7functorIS9_EEEE10hipError_tPvRmT1_T2_T3_mT4_P12ihipStream_tbEUlT_E0_NS1_11comp_targetILNS1_3genE9ELNS1_11target_archE1100ELNS1_3gpuE3ELNS1_3repE0EEENS1_30default_config_static_selectorELNS0_4arch9wavefront6targetE1EEEvS14_,"axG",@progbits,_ZN7rocprim17ROCPRIM_400000_NS6detail17trampoline_kernelINS0_14default_configENS1_22reduce_config_selectorIN6thrust23THRUST_200600_302600_NS5tupleIblNS6_9null_typeES8_S8_S8_S8_S8_S8_S8_EEEEZNS1_11reduce_implILb1ES3_NS6_12zip_iteratorINS7_INS6_11hip_rocprim26transform_input_iterator_tIbNSD_35transform_pair_of_input_iterators_tIbNS6_6detail15normal_iteratorINS6_10device_ptrIKdEEEESL_NS6_8equal_toIdEEEENSG_9not_fun_tINSD_8identityEEEEENSD_19counting_iterator_tIlEES8_S8_S8_S8_S8_S8_S8_S8_EEEEPS9_S9_NSD_9__find_if7functorIS9_EEEE10hipError_tPvRmT1_T2_T3_mT4_P12ihipStream_tbEUlT_E0_NS1_11comp_targetILNS1_3genE9ELNS1_11target_archE1100ELNS1_3gpuE3ELNS1_3repE0EEENS1_30default_config_static_selectorELNS0_4arch9wavefront6targetE1EEEvS14_,comdat
.Lfunc_end188:
	.size	_ZN7rocprim17ROCPRIM_400000_NS6detail17trampoline_kernelINS0_14default_configENS1_22reduce_config_selectorIN6thrust23THRUST_200600_302600_NS5tupleIblNS6_9null_typeES8_S8_S8_S8_S8_S8_S8_EEEEZNS1_11reduce_implILb1ES3_NS6_12zip_iteratorINS7_INS6_11hip_rocprim26transform_input_iterator_tIbNSD_35transform_pair_of_input_iterators_tIbNS6_6detail15normal_iteratorINS6_10device_ptrIKdEEEESL_NS6_8equal_toIdEEEENSG_9not_fun_tINSD_8identityEEEEENSD_19counting_iterator_tIlEES8_S8_S8_S8_S8_S8_S8_S8_EEEEPS9_S9_NSD_9__find_if7functorIS9_EEEE10hipError_tPvRmT1_T2_T3_mT4_P12ihipStream_tbEUlT_E0_NS1_11comp_targetILNS1_3genE9ELNS1_11target_archE1100ELNS1_3gpuE3ELNS1_3repE0EEENS1_30default_config_static_selectorELNS0_4arch9wavefront6targetE1EEEvS14_, .Lfunc_end188-_ZN7rocprim17ROCPRIM_400000_NS6detail17trampoline_kernelINS0_14default_configENS1_22reduce_config_selectorIN6thrust23THRUST_200600_302600_NS5tupleIblNS6_9null_typeES8_S8_S8_S8_S8_S8_S8_EEEEZNS1_11reduce_implILb1ES3_NS6_12zip_iteratorINS7_INS6_11hip_rocprim26transform_input_iterator_tIbNSD_35transform_pair_of_input_iterators_tIbNS6_6detail15normal_iteratorINS6_10device_ptrIKdEEEESL_NS6_8equal_toIdEEEENSG_9not_fun_tINSD_8identityEEEEENSD_19counting_iterator_tIlEES8_S8_S8_S8_S8_S8_S8_S8_EEEEPS9_S9_NSD_9__find_if7functorIS9_EEEE10hipError_tPvRmT1_T2_T3_mT4_P12ihipStream_tbEUlT_E0_NS1_11comp_targetILNS1_3genE9ELNS1_11target_archE1100ELNS1_3gpuE3ELNS1_3repE0EEENS1_30default_config_static_selectorELNS0_4arch9wavefront6targetE1EEEvS14_
                                        ; -- End function
	.set _ZN7rocprim17ROCPRIM_400000_NS6detail17trampoline_kernelINS0_14default_configENS1_22reduce_config_selectorIN6thrust23THRUST_200600_302600_NS5tupleIblNS6_9null_typeES8_S8_S8_S8_S8_S8_S8_EEEEZNS1_11reduce_implILb1ES3_NS6_12zip_iteratorINS7_INS6_11hip_rocprim26transform_input_iterator_tIbNSD_35transform_pair_of_input_iterators_tIbNS6_6detail15normal_iteratorINS6_10device_ptrIKdEEEESL_NS6_8equal_toIdEEEENSG_9not_fun_tINSD_8identityEEEEENSD_19counting_iterator_tIlEES8_S8_S8_S8_S8_S8_S8_S8_EEEEPS9_S9_NSD_9__find_if7functorIS9_EEEE10hipError_tPvRmT1_T2_T3_mT4_P12ihipStream_tbEUlT_E0_NS1_11comp_targetILNS1_3genE9ELNS1_11target_archE1100ELNS1_3gpuE3ELNS1_3repE0EEENS1_30default_config_static_selectorELNS0_4arch9wavefront6targetE1EEEvS14_.num_vgpr, 0
	.set _ZN7rocprim17ROCPRIM_400000_NS6detail17trampoline_kernelINS0_14default_configENS1_22reduce_config_selectorIN6thrust23THRUST_200600_302600_NS5tupleIblNS6_9null_typeES8_S8_S8_S8_S8_S8_S8_EEEEZNS1_11reduce_implILb1ES3_NS6_12zip_iteratorINS7_INS6_11hip_rocprim26transform_input_iterator_tIbNSD_35transform_pair_of_input_iterators_tIbNS6_6detail15normal_iteratorINS6_10device_ptrIKdEEEESL_NS6_8equal_toIdEEEENSG_9not_fun_tINSD_8identityEEEEENSD_19counting_iterator_tIlEES8_S8_S8_S8_S8_S8_S8_S8_EEEEPS9_S9_NSD_9__find_if7functorIS9_EEEE10hipError_tPvRmT1_T2_T3_mT4_P12ihipStream_tbEUlT_E0_NS1_11comp_targetILNS1_3genE9ELNS1_11target_archE1100ELNS1_3gpuE3ELNS1_3repE0EEENS1_30default_config_static_selectorELNS0_4arch9wavefront6targetE1EEEvS14_.num_agpr, 0
	.set _ZN7rocprim17ROCPRIM_400000_NS6detail17trampoline_kernelINS0_14default_configENS1_22reduce_config_selectorIN6thrust23THRUST_200600_302600_NS5tupleIblNS6_9null_typeES8_S8_S8_S8_S8_S8_S8_EEEEZNS1_11reduce_implILb1ES3_NS6_12zip_iteratorINS7_INS6_11hip_rocprim26transform_input_iterator_tIbNSD_35transform_pair_of_input_iterators_tIbNS6_6detail15normal_iteratorINS6_10device_ptrIKdEEEESL_NS6_8equal_toIdEEEENSG_9not_fun_tINSD_8identityEEEEENSD_19counting_iterator_tIlEES8_S8_S8_S8_S8_S8_S8_S8_EEEEPS9_S9_NSD_9__find_if7functorIS9_EEEE10hipError_tPvRmT1_T2_T3_mT4_P12ihipStream_tbEUlT_E0_NS1_11comp_targetILNS1_3genE9ELNS1_11target_archE1100ELNS1_3gpuE3ELNS1_3repE0EEENS1_30default_config_static_selectorELNS0_4arch9wavefront6targetE1EEEvS14_.numbered_sgpr, 0
	.set _ZN7rocprim17ROCPRIM_400000_NS6detail17trampoline_kernelINS0_14default_configENS1_22reduce_config_selectorIN6thrust23THRUST_200600_302600_NS5tupleIblNS6_9null_typeES8_S8_S8_S8_S8_S8_S8_EEEEZNS1_11reduce_implILb1ES3_NS6_12zip_iteratorINS7_INS6_11hip_rocprim26transform_input_iterator_tIbNSD_35transform_pair_of_input_iterators_tIbNS6_6detail15normal_iteratorINS6_10device_ptrIKdEEEESL_NS6_8equal_toIdEEEENSG_9not_fun_tINSD_8identityEEEEENSD_19counting_iterator_tIlEES8_S8_S8_S8_S8_S8_S8_S8_EEEEPS9_S9_NSD_9__find_if7functorIS9_EEEE10hipError_tPvRmT1_T2_T3_mT4_P12ihipStream_tbEUlT_E0_NS1_11comp_targetILNS1_3genE9ELNS1_11target_archE1100ELNS1_3gpuE3ELNS1_3repE0EEENS1_30default_config_static_selectorELNS0_4arch9wavefront6targetE1EEEvS14_.num_named_barrier, 0
	.set _ZN7rocprim17ROCPRIM_400000_NS6detail17trampoline_kernelINS0_14default_configENS1_22reduce_config_selectorIN6thrust23THRUST_200600_302600_NS5tupleIblNS6_9null_typeES8_S8_S8_S8_S8_S8_S8_EEEEZNS1_11reduce_implILb1ES3_NS6_12zip_iteratorINS7_INS6_11hip_rocprim26transform_input_iterator_tIbNSD_35transform_pair_of_input_iterators_tIbNS6_6detail15normal_iteratorINS6_10device_ptrIKdEEEESL_NS6_8equal_toIdEEEENSG_9not_fun_tINSD_8identityEEEEENSD_19counting_iterator_tIlEES8_S8_S8_S8_S8_S8_S8_S8_EEEEPS9_S9_NSD_9__find_if7functorIS9_EEEE10hipError_tPvRmT1_T2_T3_mT4_P12ihipStream_tbEUlT_E0_NS1_11comp_targetILNS1_3genE9ELNS1_11target_archE1100ELNS1_3gpuE3ELNS1_3repE0EEENS1_30default_config_static_selectorELNS0_4arch9wavefront6targetE1EEEvS14_.private_seg_size, 0
	.set _ZN7rocprim17ROCPRIM_400000_NS6detail17trampoline_kernelINS0_14default_configENS1_22reduce_config_selectorIN6thrust23THRUST_200600_302600_NS5tupleIblNS6_9null_typeES8_S8_S8_S8_S8_S8_S8_EEEEZNS1_11reduce_implILb1ES3_NS6_12zip_iteratorINS7_INS6_11hip_rocprim26transform_input_iterator_tIbNSD_35transform_pair_of_input_iterators_tIbNS6_6detail15normal_iteratorINS6_10device_ptrIKdEEEESL_NS6_8equal_toIdEEEENSG_9not_fun_tINSD_8identityEEEEENSD_19counting_iterator_tIlEES8_S8_S8_S8_S8_S8_S8_S8_EEEEPS9_S9_NSD_9__find_if7functorIS9_EEEE10hipError_tPvRmT1_T2_T3_mT4_P12ihipStream_tbEUlT_E0_NS1_11comp_targetILNS1_3genE9ELNS1_11target_archE1100ELNS1_3gpuE3ELNS1_3repE0EEENS1_30default_config_static_selectorELNS0_4arch9wavefront6targetE1EEEvS14_.uses_vcc, 0
	.set _ZN7rocprim17ROCPRIM_400000_NS6detail17trampoline_kernelINS0_14default_configENS1_22reduce_config_selectorIN6thrust23THRUST_200600_302600_NS5tupleIblNS6_9null_typeES8_S8_S8_S8_S8_S8_S8_EEEEZNS1_11reduce_implILb1ES3_NS6_12zip_iteratorINS7_INS6_11hip_rocprim26transform_input_iterator_tIbNSD_35transform_pair_of_input_iterators_tIbNS6_6detail15normal_iteratorINS6_10device_ptrIKdEEEESL_NS6_8equal_toIdEEEENSG_9not_fun_tINSD_8identityEEEEENSD_19counting_iterator_tIlEES8_S8_S8_S8_S8_S8_S8_S8_EEEEPS9_S9_NSD_9__find_if7functorIS9_EEEE10hipError_tPvRmT1_T2_T3_mT4_P12ihipStream_tbEUlT_E0_NS1_11comp_targetILNS1_3genE9ELNS1_11target_archE1100ELNS1_3gpuE3ELNS1_3repE0EEENS1_30default_config_static_selectorELNS0_4arch9wavefront6targetE1EEEvS14_.uses_flat_scratch, 0
	.set _ZN7rocprim17ROCPRIM_400000_NS6detail17trampoline_kernelINS0_14default_configENS1_22reduce_config_selectorIN6thrust23THRUST_200600_302600_NS5tupleIblNS6_9null_typeES8_S8_S8_S8_S8_S8_S8_EEEEZNS1_11reduce_implILb1ES3_NS6_12zip_iteratorINS7_INS6_11hip_rocprim26transform_input_iterator_tIbNSD_35transform_pair_of_input_iterators_tIbNS6_6detail15normal_iteratorINS6_10device_ptrIKdEEEESL_NS6_8equal_toIdEEEENSG_9not_fun_tINSD_8identityEEEEENSD_19counting_iterator_tIlEES8_S8_S8_S8_S8_S8_S8_S8_EEEEPS9_S9_NSD_9__find_if7functorIS9_EEEE10hipError_tPvRmT1_T2_T3_mT4_P12ihipStream_tbEUlT_E0_NS1_11comp_targetILNS1_3genE9ELNS1_11target_archE1100ELNS1_3gpuE3ELNS1_3repE0EEENS1_30default_config_static_selectorELNS0_4arch9wavefront6targetE1EEEvS14_.has_dyn_sized_stack, 0
	.set _ZN7rocprim17ROCPRIM_400000_NS6detail17trampoline_kernelINS0_14default_configENS1_22reduce_config_selectorIN6thrust23THRUST_200600_302600_NS5tupleIblNS6_9null_typeES8_S8_S8_S8_S8_S8_S8_EEEEZNS1_11reduce_implILb1ES3_NS6_12zip_iteratorINS7_INS6_11hip_rocprim26transform_input_iterator_tIbNSD_35transform_pair_of_input_iterators_tIbNS6_6detail15normal_iteratorINS6_10device_ptrIKdEEEESL_NS6_8equal_toIdEEEENSG_9not_fun_tINSD_8identityEEEEENSD_19counting_iterator_tIlEES8_S8_S8_S8_S8_S8_S8_S8_EEEEPS9_S9_NSD_9__find_if7functorIS9_EEEE10hipError_tPvRmT1_T2_T3_mT4_P12ihipStream_tbEUlT_E0_NS1_11comp_targetILNS1_3genE9ELNS1_11target_archE1100ELNS1_3gpuE3ELNS1_3repE0EEENS1_30default_config_static_selectorELNS0_4arch9wavefront6targetE1EEEvS14_.has_recursion, 0
	.set _ZN7rocprim17ROCPRIM_400000_NS6detail17trampoline_kernelINS0_14default_configENS1_22reduce_config_selectorIN6thrust23THRUST_200600_302600_NS5tupleIblNS6_9null_typeES8_S8_S8_S8_S8_S8_S8_EEEEZNS1_11reduce_implILb1ES3_NS6_12zip_iteratorINS7_INS6_11hip_rocprim26transform_input_iterator_tIbNSD_35transform_pair_of_input_iterators_tIbNS6_6detail15normal_iteratorINS6_10device_ptrIKdEEEESL_NS6_8equal_toIdEEEENSG_9not_fun_tINSD_8identityEEEEENSD_19counting_iterator_tIlEES8_S8_S8_S8_S8_S8_S8_S8_EEEEPS9_S9_NSD_9__find_if7functorIS9_EEEE10hipError_tPvRmT1_T2_T3_mT4_P12ihipStream_tbEUlT_E0_NS1_11comp_targetILNS1_3genE9ELNS1_11target_archE1100ELNS1_3gpuE3ELNS1_3repE0EEENS1_30default_config_static_selectorELNS0_4arch9wavefront6targetE1EEEvS14_.has_indirect_call, 0
	.section	.AMDGPU.csdata,"",@progbits
; Kernel info:
; codeLenInByte = 0
; TotalNumSgprs: 6
; NumVgprs: 0
; NumAgprs: 0
; TotalNumVgprs: 0
; ScratchSize: 0
; MemoryBound: 0
; FloatMode: 240
; IeeeMode: 1
; LDSByteSize: 0 bytes/workgroup (compile time only)
; SGPRBlocks: 0
; VGPRBlocks: 0
; NumSGPRsForWavesPerEU: 6
; NumVGPRsForWavesPerEU: 1
; AccumOffset: 4
; Occupancy: 8
; WaveLimiterHint : 0
; COMPUTE_PGM_RSRC2:SCRATCH_EN: 0
; COMPUTE_PGM_RSRC2:USER_SGPR: 2
; COMPUTE_PGM_RSRC2:TRAP_HANDLER: 0
; COMPUTE_PGM_RSRC2:TGID_X_EN: 1
; COMPUTE_PGM_RSRC2:TGID_Y_EN: 0
; COMPUTE_PGM_RSRC2:TGID_Z_EN: 0
; COMPUTE_PGM_RSRC2:TIDIG_COMP_CNT: 0
; COMPUTE_PGM_RSRC3_GFX90A:ACCUM_OFFSET: 0
; COMPUTE_PGM_RSRC3_GFX90A:TG_SPLIT: 0
	.section	.text._ZN7rocprim17ROCPRIM_400000_NS6detail17trampoline_kernelINS0_14default_configENS1_22reduce_config_selectorIN6thrust23THRUST_200600_302600_NS5tupleIblNS6_9null_typeES8_S8_S8_S8_S8_S8_S8_EEEEZNS1_11reduce_implILb1ES3_NS6_12zip_iteratorINS7_INS6_11hip_rocprim26transform_input_iterator_tIbNSD_35transform_pair_of_input_iterators_tIbNS6_6detail15normal_iteratorINS6_10device_ptrIKdEEEESL_NS6_8equal_toIdEEEENSG_9not_fun_tINSD_8identityEEEEENSD_19counting_iterator_tIlEES8_S8_S8_S8_S8_S8_S8_S8_EEEEPS9_S9_NSD_9__find_if7functorIS9_EEEE10hipError_tPvRmT1_T2_T3_mT4_P12ihipStream_tbEUlT_E0_NS1_11comp_targetILNS1_3genE8ELNS1_11target_archE1030ELNS1_3gpuE2ELNS1_3repE0EEENS1_30default_config_static_selectorELNS0_4arch9wavefront6targetE1EEEvS14_,"axG",@progbits,_ZN7rocprim17ROCPRIM_400000_NS6detail17trampoline_kernelINS0_14default_configENS1_22reduce_config_selectorIN6thrust23THRUST_200600_302600_NS5tupleIblNS6_9null_typeES8_S8_S8_S8_S8_S8_S8_EEEEZNS1_11reduce_implILb1ES3_NS6_12zip_iteratorINS7_INS6_11hip_rocprim26transform_input_iterator_tIbNSD_35transform_pair_of_input_iterators_tIbNS6_6detail15normal_iteratorINS6_10device_ptrIKdEEEESL_NS6_8equal_toIdEEEENSG_9not_fun_tINSD_8identityEEEEENSD_19counting_iterator_tIlEES8_S8_S8_S8_S8_S8_S8_S8_EEEEPS9_S9_NSD_9__find_if7functorIS9_EEEE10hipError_tPvRmT1_T2_T3_mT4_P12ihipStream_tbEUlT_E0_NS1_11comp_targetILNS1_3genE8ELNS1_11target_archE1030ELNS1_3gpuE2ELNS1_3repE0EEENS1_30default_config_static_selectorELNS0_4arch9wavefront6targetE1EEEvS14_,comdat
	.protected	_ZN7rocprim17ROCPRIM_400000_NS6detail17trampoline_kernelINS0_14default_configENS1_22reduce_config_selectorIN6thrust23THRUST_200600_302600_NS5tupleIblNS6_9null_typeES8_S8_S8_S8_S8_S8_S8_EEEEZNS1_11reduce_implILb1ES3_NS6_12zip_iteratorINS7_INS6_11hip_rocprim26transform_input_iterator_tIbNSD_35transform_pair_of_input_iterators_tIbNS6_6detail15normal_iteratorINS6_10device_ptrIKdEEEESL_NS6_8equal_toIdEEEENSG_9not_fun_tINSD_8identityEEEEENSD_19counting_iterator_tIlEES8_S8_S8_S8_S8_S8_S8_S8_EEEEPS9_S9_NSD_9__find_if7functorIS9_EEEE10hipError_tPvRmT1_T2_T3_mT4_P12ihipStream_tbEUlT_E0_NS1_11comp_targetILNS1_3genE8ELNS1_11target_archE1030ELNS1_3gpuE2ELNS1_3repE0EEENS1_30default_config_static_selectorELNS0_4arch9wavefront6targetE1EEEvS14_ ; -- Begin function _ZN7rocprim17ROCPRIM_400000_NS6detail17trampoline_kernelINS0_14default_configENS1_22reduce_config_selectorIN6thrust23THRUST_200600_302600_NS5tupleIblNS6_9null_typeES8_S8_S8_S8_S8_S8_S8_EEEEZNS1_11reduce_implILb1ES3_NS6_12zip_iteratorINS7_INS6_11hip_rocprim26transform_input_iterator_tIbNSD_35transform_pair_of_input_iterators_tIbNS6_6detail15normal_iteratorINS6_10device_ptrIKdEEEESL_NS6_8equal_toIdEEEENSG_9not_fun_tINSD_8identityEEEEENSD_19counting_iterator_tIlEES8_S8_S8_S8_S8_S8_S8_S8_EEEEPS9_S9_NSD_9__find_if7functorIS9_EEEE10hipError_tPvRmT1_T2_T3_mT4_P12ihipStream_tbEUlT_E0_NS1_11comp_targetILNS1_3genE8ELNS1_11target_archE1030ELNS1_3gpuE2ELNS1_3repE0EEENS1_30default_config_static_selectorELNS0_4arch9wavefront6targetE1EEEvS14_
	.globl	_ZN7rocprim17ROCPRIM_400000_NS6detail17trampoline_kernelINS0_14default_configENS1_22reduce_config_selectorIN6thrust23THRUST_200600_302600_NS5tupleIblNS6_9null_typeES8_S8_S8_S8_S8_S8_S8_EEEEZNS1_11reduce_implILb1ES3_NS6_12zip_iteratorINS7_INS6_11hip_rocprim26transform_input_iterator_tIbNSD_35transform_pair_of_input_iterators_tIbNS6_6detail15normal_iteratorINS6_10device_ptrIKdEEEESL_NS6_8equal_toIdEEEENSG_9not_fun_tINSD_8identityEEEEENSD_19counting_iterator_tIlEES8_S8_S8_S8_S8_S8_S8_S8_EEEEPS9_S9_NSD_9__find_if7functorIS9_EEEE10hipError_tPvRmT1_T2_T3_mT4_P12ihipStream_tbEUlT_E0_NS1_11comp_targetILNS1_3genE8ELNS1_11target_archE1030ELNS1_3gpuE2ELNS1_3repE0EEENS1_30default_config_static_selectorELNS0_4arch9wavefront6targetE1EEEvS14_
	.p2align	8
	.type	_ZN7rocprim17ROCPRIM_400000_NS6detail17trampoline_kernelINS0_14default_configENS1_22reduce_config_selectorIN6thrust23THRUST_200600_302600_NS5tupleIblNS6_9null_typeES8_S8_S8_S8_S8_S8_S8_EEEEZNS1_11reduce_implILb1ES3_NS6_12zip_iteratorINS7_INS6_11hip_rocprim26transform_input_iterator_tIbNSD_35transform_pair_of_input_iterators_tIbNS6_6detail15normal_iteratorINS6_10device_ptrIKdEEEESL_NS6_8equal_toIdEEEENSG_9not_fun_tINSD_8identityEEEEENSD_19counting_iterator_tIlEES8_S8_S8_S8_S8_S8_S8_S8_EEEEPS9_S9_NSD_9__find_if7functorIS9_EEEE10hipError_tPvRmT1_T2_T3_mT4_P12ihipStream_tbEUlT_E0_NS1_11comp_targetILNS1_3genE8ELNS1_11target_archE1030ELNS1_3gpuE2ELNS1_3repE0EEENS1_30default_config_static_selectorELNS0_4arch9wavefront6targetE1EEEvS14_,@function
_ZN7rocprim17ROCPRIM_400000_NS6detail17trampoline_kernelINS0_14default_configENS1_22reduce_config_selectorIN6thrust23THRUST_200600_302600_NS5tupleIblNS6_9null_typeES8_S8_S8_S8_S8_S8_S8_EEEEZNS1_11reduce_implILb1ES3_NS6_12zip_iteratorINS7_INS6_11hip_rocprim26transform_input_iterator_tIbNSD_35transform_pair_of_input_iterators_tIbNS6_6detail15normal_iteratorINS6_10device_ptrIKdEEEESL_NS6_8equal_toIdEEEENSG_9not_fun_tINSD_8identityEEEEENSD_19counting_iterator_tIlEES8_S8_S8_S8_S8_S8_S8_S8_EEEEPS9_S9_NSD_9__find_if7functorIS9_EEEE10hipError_tPvRmT1_T2_T3_mT4_P12ihipStream_tbEUlT_E0_NS1_11comp_targetILNS1_3genE8ELNS1_11target_archE1030ELNS1_3gpuE2ELNS1_3repE0EEENS1_30default_config_static_selectorELNS0_4arch9wavefront6targetE1EEEvS14_: ; @_ZN7rocprim17ROCPRIM_400000_NS6detail17trampoline_kernelINS0_14default_configENS1_22reduce_config_selectorIN6thrust23THRUST_200600_302600_NS5tupleIblNS6_9null_typeES8_S8_S8_S8_S8_S8_S8_EEEEZNS1_11reduce_implILb1ES3_NS6_12zip_iteratorINS7_INS6_11hip_rocprim26transform_input_iterator_tIbNSD_35transform_pair_of_input_iterators_tIbNS6_6detail15normal_iteratorINS6_10device_ptrIKdEEEESL_NS6_8equal_toIdEEEENSG_9not_fun_tINSD_8identityEEEEENSD_19counting_iterator_tIlEES8_S8_S8_S8_S8_S8_S8_S8_EEEEPS9_S9_NSD_9__find_if7functorIS9_EEEE10hipError_tPvRmT1_T2_T3_mT4_P12ihipStream_tbEUlT_E0_NS1_11comp_targetILNS1_3genE8ELNS1_11target_archE1030ELNS1_3gpuE2ELNS1_3repE0EEENS1_30default_config_static_selectorELNS0_4arch9wavefront6targetE1EEEvS14_
; %bb.0:
	.section	.rodata,"a",@progbits
	.p2align	6, 0x0
	.amdhsa_kernel _ZN7rocprim17ROCPRIM_400000_NS6detail17trampoline_kernelINS0_14default_configENS1_22reduce_config_selectorIN6thrust23THRUST_200600_302600_NS5tupleIblNS6_9null_typeES8_S8_S8_S8_S8_S8_S8_EEEEZNS1_11reduce_implILb1ES3_NS6_12zip_iteratorINS7_INS6_11hip_rocprim26transform_input_iterator_tIbNSD_35transform_pair_of_input_iterators_tIbNS6_6detail15normal_iteratorINS6_10device_ptrIKdEEEESL_NS6_8equal_toIdEEEENSG_9not_fun_tINSD_8identityEEEEENSD_19counting_iterator_tIlEES8_S8_S8_S8_S8_S8_S8_S8_EEEEPS9_S9_NSD_9__find_if7functorIS9_EEEE10hipError_tPvRmT1_T2_T3_mT4_P12ihipStream_tbEUlT_E0_NS1_11comp_targetILNS1_3genE8ELNS1_11target_archE1030ELNS1_3gpuE2ELNS1_3repE0EEENS1_30default_config_static_selectorELNS0_4arch9wavefront6targetE1EEEvS14_
		.amdhsa_group_segment_fixed_size 0
		.amdhsa_private_segment_fixed_size 0
		.amdhsa_kernarg_size 104
		.amdhsa_user_sgpr_count 2
		.amdhsa_user_sgpr_dispatch_ptr 0
		.amdhsa_user_sgpr_queue_ptr 0
		.amdhsa_user_sgpr_kernarg_segment_ptr 1
		.amdhsa_user_sgpr_dispatch_id 0
		.amdhsa_user_sgpr_kernarg_preload_length 0
		.amdhsa_user_sgpr_kernarg_preload_offset 0
		.amdhsa_user_sgpr_private_segment_size 0
		.amdhsa_uses_dynamic_stack 0
		.amdhsa_enable_private_segment 0
		.amdhsa_system_sgpr_workgroup_id_x 1
		.amdhsa_system_sgpr_workgroup_id_y 0
		.amdhsa_system_sgpr_workgroup_id_z 0
		.amdhsa_system_sgpr_workgroup_info 0
		.amdhsa_system_vgpr_workitem_id 0
		.amdhsa_next_free_vgpr 1
		.amdhsa_next_free_sgpr 0
		.amdhsa_accum_offset 4
		.amdhsa_reserve_vcc 0
		.amdhsa_float_round_mode_32 0
		.amdhsa_float_round_mode_16_64 0
		.amdhsa_float_denorm_mode_32 3
		.amdhsa_float_denorm_mode_16_64 3
		.amdhsa_dx10_clamp 1
		.amdhsa_ieee_mode 1
		.amdhsa_fp16_overflow 0
		.amdhsa_tg_split 0
		.amdhsa_exception_fp_ieee_invalid_op 0
		.amdhsa_exception_fp_denorm_src 0
		.amdhsa_exception_fp_ieee_div_zero 0
		.amdhsa_exception_fp_ieee_overflow 0
		.amdhsa_exception_fp_ieee_underflow 0
		.amdhsa_exception_fp_ieee_inexact 0
		.amdhsa_exception_int_div_zero 0
	.end_amdhsa_kernel
	.section	.text._ZN7rocprim17ROCPRIM_400000_NS6detail17trampoline_kernelINS0_14default_configENS1_22reduce_config_selectorIN6thrust23THRUST_200600_302600_NS5tupleIblNS6_9null_typeES8_S8_S8_S8_S8_S8_S8_EEEEZNS1_11reduce_implILb1ES3_NS6_12zip_iteratorINS7_INS6_11hip_rocprim26transform_input_iterator_tIbNSD_35transform_pair_of_input_iterators_tIbNS6_6detail15normal_iteratorINS6_10device_ptrIKdEEEESL_NS6_8equal_toIdEEEENSG_9not_fun_tINSD_8identityEEEEENSD_19counting_iterator_tIlEES8_S8_S8_S8_S8_S8_S8_S8_EEEEPS9_S9_NSD_9__find_if7functorIS9_EEEE10hipError_tPvRmT1_T2_T3_mT4_P12ihipStream_tbEUlT_E0_NS1_11comp_targetILNS1_3genE8ELNS1_11target_archE1030ELNS1_3gpuE2ELNS1_3repE0EEENS1_30default_config_static_selectorELNS0_4arch9wavefront6targetE1EEEvS14_,"axG",@progbits,_ZN7rocprim17ROCPRIM_400000_NS6detail17trampoline_kernelINS0_14default_configENS1_22reduce_config_selectorIN6thrust23THRUST_200600_302600_NS5tupleIblNS6_9null_typeES8_S8_S8_S8_S8_S8_S8_EEEEZNS1_11reduce_implILb1ES3_NS6_12zip_iteratorINS7_INS6_11hip_rocprim26transform_input_iterator_tIbNSD_35transform_pair_of_input_iterators_tIbNS6_6detail15normal_iteratorINS6_10device_ptrIKdEEEESL_NS6_8equal_toIdEEEENSG_9not_fun_tINSD_8identityEEEEENSD_19counting_iterator_tIlEES8_S8_S8_S8_S8_S8_S8_S8_EEEEPS9_S9_NSD_9__find_if7functorIS9_EEEE10hipError_tPvRmT1_T2_T3_mT4_P12ihipStream_tbEUlT_E0_NS1_11comp_targetILNS1_3genE8ELNS1_11target_archE1030ELNS1_3gpuE2ELNS1_3repE0EEENS1_30default_config_static_selectorELNS0_4arch9wavefront6targetE1EEEvS14_,comdat
.Lfunc_end189:
	.size	_ZN7rocprim17ROCPRIM_400000_NS6detail17trampoline_kernelINS0_14default_configENS1_22reduce_config_selectorIN6thrust23THRUST_200600_302600_NS5tupleIblNS6_9null_typeES8_S8_S8_S8_S8_S8_S8_EEEEZNS1_11reduce_implILb1ES3_NS6_12zip_iteratorINS7_INS6_11hip_rocprim26transform_input_iterator_tIbNSD_35transform_pair_of_input_iterators_tIbNS6_6detail15normal_iteratorINS6_10device_ptrIKdEEEESL_NS6_8equal_toIdEEEENSG_9not_fun_tINSD_8identityEEEEENSD_19counting_iterator_tIlEES8_S8_S8_S8_S8_S8_S8_S8_EEEEPS9_S9_NSD_9__find_if7functorIS9_EEEE10hipError_tPvRmT1_T2_T3_mT4_P12ihipStream_tbEUlT_E0_NS1_11comp_targetILNS1_3genE8ELNS1_11target_archE1030ELNS1_3gpuE2ELNS1_3repE0EEENS1_30default_config_static_selectorELNS0_4arch9wavefront6targetE1EEEvS14_, .Lfunc_end189-_ZN7rocprim17ROCPRIM_400000_NS6detail17trampoline_kernelINS0_14default_configENS1_22reduce_config_selectorIN6thrust23THRUST_200600_302600_NS5tupleIblNS6_9null_typeES8_S8_S8_S8_S8_S8_S8_EEEEZNS1_11reduce_implILb1ES3_NS6_12zip_iteratorINS7_INS6_11hip_rocprim26transform_input_iterator_tIbNSD_35transform_pair_of_input_iterators_tIbNS6_6detail15normal_iteratorINS6_10device_ptrIKdEEEESL_NS6_8equal_toIdEEEENSG_9not_fun_tINSD_8identityEEEEENSD_19counting_iterator_tIlEES8_S8_S8_S8_S8_S8_S8_S8_EEEEPS9_S9_NSD_9__find_if7functorIS9_EEEE10hipError_tPvRmT1_T2_T3_mT4_P12ihipStream_tbEUlT_E0_NS1_11comp_targetILNS1_3genE8ELNS1_11target_archE1030ELNS1_3gpuE2ELNS1_3repE0EEENS1_30default_config_static_selectorELNS0_4arch9wavefront6targetE1EEEvS14_
                                        ; -- End function
	.set _ZN7rocprim17ROCPRIM_400000_NS6detail17trampoline_kernelINS0_14default_configENS1_22reduce_config_selectorIN6thrust23THRUST_200600_302600_NS5tupleIblNS6_9null_typeES8_S8_S8_S8_S8_S8_S8_EEEEZNS1_11reduce_implILb1ES3_NS6_12zip_iteratorINS7_INS6_11hip_rocprim26transform_input_iterator_tIbNSD_35transform_pair_of_input_iterators_tIbNS6_6detail15normal_iteratorINS6_10device_ptrIKdEEEESL_NS6_8equal_toIdEEEENSG_9not_fun_tINSD_8identityEEEEENSD_19counting_iterator_tIlEES8_S8_S8_S8_S8_S8_S8_S8_EEEEPS9_S9_NSD_9__find_if7functorIS9_EEEE10hipError_tPvRmT1_T2_T3_mT4_P12ihipStream_tbEUlT_E0_NS1_11comp_targetILNS1_3genE8ELNS1_11target_archE1030ELNS1_3gpuE2ELNS1_3repE0EEENS1_30default_config_static_selectorELNS0_4arch9wavefront6targetE1EEEvS14_.num_vgpr, 0
	.set _ZN7rocprim17ROCPRIM_400000_NS6detail17trampoline_kernelINS0_14default_configENS1_22reduce_config_selectorIN6thrust23THRUST_200600_302600_NS5tupleIblNS6_9null_typeES8_S8_S8_S8_S8_S8_S8_EEEEZNS1_11reduce_implILb1ES3_NS6_12zip_iteratorINS7_INS6_11hip_rocprim26transform_input_iterator_tIbNSD_35transform_pair_of_input_iterators_tIbNS6_6detail15normal_iteratorINS6_10device_ptrIKdEEEESL_NS6_8equal_toIdEEEENSG_9not_fun_tINSD_8identityEEEEENSD_19counting_iterator_tIlEES8_S8_S8_S8_S8_S8_S8_S8_EEEEPS9_S9_NSD_9__find_if7functorIS9_EEEE10hipError_tPvRmT1_T2_T3_mT4_P12ihipStream_tbEUlT_E0_NS1_11comp_targetILNS1_3genE8ELNS1_11target_archE1030ELNS1_3gpuE2ELNS1_3repE0EEENS1_30default_config_static_selectorELNS0_4arch9wavefront6targetE1EEEvS14_.num_agpr, 0
	.set _ZN7rocprim17ROCPRIM_400000_NS6detail17trampoline_kernelINS0_14default_configENS1_22reduce_config_selectorIN6thrust23THRUST_200600_302600_NS5tupleIblNS6_9null_typeES8_S8_S8_S8_S8_S8_S8_EEEEZNS1_11reduce_implILb1ES3_NS6_12zip_iteratorINS7_INS6_11hip_rocprim26transform_input_iterator_tIbNSD_35transform_pair_of_input_iterators_tIbNS6_6detail15normal_iteratorINS6_10device_ptrIKdEEEESL_NS6_8equal_toIdEEEENSG_9not_fun_tINSD_8identityEEEEENSD_19counting_iterator_tIlEES8_S8_S8_S8_S8_S8_S8_S8_EEEEPS9_S9_NSD_9__find_if7functorIS9_EEEE10hipError_tPvRmT1_T2_T3_mT4_P12ihipStream_tbEUlT_E0_NS1_11comp_targetILNS1_3genE8ELNS1_11target_archE1030ELNS1_3gpuE2ELNS1_3repE0EEENS1_30default_config_static_selectorELNS0_4arch9wavefront6targetE1EEEvS14_.numbered_sgpr, 0
	.set _ZN7rocprim17ROCPRIM_400000_NS6detail17trampoline_kernelINS0_14default_configENS1_22reduce_config_selectorIN6thrust23THRUST_200600_302600_NS5tupleIblNS6_9null_typeES8_S8_S8_S8_S8_S8_S8_EEEEZNS1_11reduce_implILb1ES3_NS6_12zip_iteratorINS7_INS6_11hip_rocprim26transform_input_iterator_tIbNSD_35transform_pair_of_input_iterators_tIbNS6_6detail15normal_iteratorINS6_10device_ptrIKdEEEESL_NS6_8equal_toIdEEEENSG_9not_fun_tINSD_8identityEEEEENSD_19counting_iterator_tIlEES8_S8_S8_S8_S8_S8_S8_S8_EEEEPS9_S9_NSD_9__find_if7functorIS9_EEEE10hipError_tPvRmT1_T2_T3_mT4_P12ihipStream_tbEUlT_E0_NS1_11comp_targetILNS1_3genE8ELNS1_11target_archE1030ELNS1_3gpuE2ELNS1_3repE0EEENS1_30default_config_static_selectorELNS0_4arch9wavefront6targetE1EEEvS14_.num_named_barrier, 0
	.set _ZN7rocprim17ROCPRIM_400000_NS6detail17trampoline_kernelINS0_14default_configENS1_22reduce_config_selectorIN6thrust23THRUST_200600_302600_NS5tupleIblNS6_9null_typeES8_S8_S8_S8_S8_S8_S8_EEEEZNS1_11reduce_implILb1ES3_NS6_12zip_iteratorINS7_INS6_11hip_rocprim26transform_input_iterator_tIbNSD_35transform_pair_of_input_iterators_tIbNS6_6detail15normal_iteratorINS6_10device_ptrIKdEEEESL_NS6_8equal_toIdEEEENSG_9not_fun_tINSD_8identityEEEEENSD_19counting_iterator_tIlEES8_S8_S8_S8_S8_S8_S8_S8_EEEEPS9_S9_NSD_9__find_if7functorIS9_EEEE10hipError_tPvRmT1_T2_T3_mT4_P12ihipStream_tbEUlT_E0_NS1_11comp_targetILNS1_3genE8ELNS1_11target_archE1030ELNS1_3gpuE2ELNS1_3repE0EEENS1_30default_config_static_selectorELNS0_4arch9wavefront6targetE1EEEvS14_.private_seg_size, 0
	.set _ZN7rocprim17ROCPRIM_400000_NS6detail17trampoline_kernelINS0_14default_configENS1_22reduce_config_selectorIN6thrust23THRUST_200600_302600_NS5tupleIblNS6_9null_typeES8_S8_S8_S8_S8_S8_S8_EEEEZNS1_11reduce_implILb1ES3_NS6_12zip_iteratorINS7_INS6_11hip_rocprim26transform_input_iterator_tIbNSD_35transform_pair_of_input_iterators_tIbNS6_6detail15normal_iteratorINS6_10device_ptrIKdEEEESL_NS6_8equal_toIdEEEENSG_9not_fun_tINSD_8identityEEEEENSD_19counting_iterator_tIlEES8_S8_S8_S8_S8_S8_S8_S8_EEEEPS9_S9_NSD_9__find_if7functorIS9_EEEE10hipError_tPvRmT1_T2_T3_mT4_P12ihipStream_tbEUlT_E0_NS1_11comp_targetILNS1_3genE8ELNS1_11target_archE1030ELNS1_3gpuE2ELNS1_3repE0EEENS1_30default_config_static_selectorELNS0_4arch9wavefront6targetE1EEEvS14_.uses_vcc, 0
	.set _ZN7rocprim17ROCPRIM_400000_NS6detail17trampoline_kernelINS0_14default_configENS1_22reduce_config_selectorIN6thrust23THRUST_200600_302600_NS5tupleIblNS6_9null_typeES8_S8_S8_S8_S8_S8_S8_EEEEZNS1_11reduce_implILb1ES3_NS6_12zip_iteratorINS7_INS6_11hip_rocprim26transform_input_iterator_tIbNSD_35transform_pair_of_input_iterators_tIbNS6_6detail15normal_iteratorINS6_10device_ptrIKdEEEESL_NS6_8equal_toIdEEEENSG_9not_fun_tINSD_8identityEEEEENSD_19counting_iterator_tIlEES8_S8_S8_S8_S8_S8_S8_S8_EEEEPS9_S9_NSD_9__find_if7functorIS9_EEEE10hipError_tPvRmT1_T2_T3_mT4_P12ihipStream_tbEUlT_E0_NS1_11comp_targetILNS1_3genE8ELNS1_11target_archE1030ELNS1_3gpuE2ELNS1_3repE0EEENS1_30default_config_static_selectorELNS0_4arch9wavefront6targetE1EEEvS14_.uses_flat_scratch, 0
	.set _ZN7rocprim17ROCPRIM_400000_NS6detail17trampoline_kernelINS0_14default_configENS1_22reduce_config_selectorIN6thrust23THRUST_200600_302600_NS5tupleIblNS6_9null_typeES8_S8_S8_S8_S8_S8_S8_EEEEZNS1_11reduce_implILb1ES3_NS6_12zip_iteratorINS7_INS6_11hip_rocprim26transform_input_iterator_tIbNSD_35transform_pair_of_input_iterators_tIbNS6_6detail15normal_iteratorINS6_10device_ptrIKdEEEESL_NS6_8equal_toIdEEEENSG_9not_fun_tINSD_8identityEEEEENSD_19counting_iterator_tIlEES8_S8_S8_S8_S8_S8_S8_S8_EEEEPS9_S9_NSD_9__find_if7functorIS9_EEEE10hipError_tPvRmT1_T2_T3_mT4_P12ihipStream_tbEUlT_E0_NS1_11comp_targetILNS1_3genE8ELNS1_11target_archE1030ELNS1_3gpuE2ELNS1_3repE0EEENS1_30default_config_static_selectorELNS0_4arch9wavefront6targetE1EEEvS14_.has_dyn_sized_stack, 0
	.set _ZN7rocprim17ROCPRIM_400000_NS6detail17trampoline_kernelINS0_14default_configENS1_22reduce_config_selectorIN6thrust23THRUST_200600_302600_NS5tupleIblNS6_9null_typeES8_S8_S8_S8_S8_S8_S8_EEEEZNS1_11reduce_implILb1ES3_NS6_12zip_iteratorINS7_INS6_11hip_rocprim26transform_input_iterator_tIbNSD_35transform_pair_of_input_iterators_tIbNS6_6detail15normal_iteratorINS6_10device_ptrIKdEEEESL_NS6_8equal_toIdEEEENSG_9not_fun_tINSD_8identityEEEEENSD_19counting_iterator_tIlEES8_S8_S8_S8_S8_S8_S8_S8_EEEEPS9_S9_NSD_9__find_if7functorIS9_EEEE10hipError_tPvRmT1_T2_T3_mT4_P12ihipStream_tbEUlT_E0_NS1_11comp_targetILNS1_3genE8ELNS1_11target_archE1030ELNS1_3gpuE2ELNS1_3repE0EEENS1_30default_config_static_selectorELNS0_4arch9wavefront6targetE1EEEvS14_.has_recursion, 0
	.set _ZN7rocprim17ROCPRIM_400000_NS6detail17trampoline_kernelINS0_14default_configENS1_22reduce_config_selectorIN6thrust23THRUST_200600_302600_NS5tupleIblNS6_9null_typeES8_S8_S8_S8_S8_S8_S8_EEEEZNS1_11reduce_implILb1ES3_NS6_12zip_iteratorINS7_INS6_11hip_rocprim26transform_input_iterator_tIbNSD_35transform_pair_of_input_iterators_tIbNS6_6detail15normal_iteratorINS6_10device_ptrIKdEEEESL_NS6_8equal_toIdEEEENSG_9not_fun_tINSD_8identityEEEEENSD_19counting_iterator_tIlEES8_S8_S8_S8_S8_S8_S8_S8_EEEEPS9_S9_NSD_9__find_if7functorIS9_EEEE10hipError_tPvRmT1_T2_T3_mT4_P12ihipStream_tbEUlT_E0_NS1_11comp_targetILNS1_3genE8ELNS1_11target_archE1030ELNS1_3gpuE2ELNS1_3repE0EEENS1_30default_config_static_selectorELNS0_4arch9wavefront6targetE1EEEvS14_.has_indirect_call, 0
	.section	.AMDGPU.csdata,"",@progbits
; Kernel info:
; codeLenInByte = 0
; TotalNumSgprs: 6
; NumVgprs: 0
; NumAgprs: 0
; TotalNumVgprs: 0
; ScratchSize: 0
; MemoryBound: 0
; FloatMode: 240
; IeeeMode: 1
; LDSByteSize: 0 bytes/workgroup (compile time only)
; SGPRBlocks: 0
; VGPRBlocks: 0
; NumSGPRsForWavesPerEU: 6
; NumVGPRsForWavesPerEU: 1
; AccumOffset: 4
; Occupancy: 8
; WaveLimiterHint : 0
; COMPUTE_PGM_RSRC2:SCRATCH_EN: 0
; COMPUTE_PGM_RSRC2:USER_SGPR: 2
; COMPUTE_PGM_RSRC2:TRAP_HANDLER: 0
; COMPUTE_PGM_RSRC2:TGID_X_EN: 1
; COMPUTE_PGM_RSRC2:TGID_Y_EN: 0
; COMPUTE_PGM_RSRC2:TGID_Z_EN: 0
; COMPUTE_PGM_RSRC2:TIDIG_COMP_CNT: 0
; COMPUTE_PGM_RSRC3_GFX90A:ACCUM_OFFSET: 0
; COMPUTE_PGM_RSRC3_GFX90A:TG_SPLIT: 0
	.section	.text._ZN7rocprim17ROCPRIM_400000_NS6detail17trampoline_kernelINS0_14default_configENS1_22reduce_config_selectorIN6thrust23THRUST_200600_302600_NS5tupleIblNS6_9null_typeES8_S8_S8_S8_S8_S8_S8_EEEEZNS1_11reduce_implILb1ES3_NS6_12zip_iteratorINS7_INS6_11hip_rocprim26transform_input_iterator_tIbNSD_35transform_pair_of_input_iterators_tIbNS6_6detail15normal_iteratorINS6_10device_ptrIKdEEEESL_NS6_8equal_toIdEEEENSG_9not_fun_tINSD_8identityEEEEENSD_19counting_iterator_tIlEES8_S8_S8_S8_S8_S8_S8_S8_EEEEPS9_S9_NSD_9__find_if7functorIS9_EEEE10hipError_tPvRmT1_T2_T3_mT4_P12ihipStream_tbEUlT_E1_NS1_11comp_targetILNS1_3genE0ELNS1_11target_archE4294967295ELNS1_3gpuE0ELNS1_3repE0EEENS1_30default_config_static_selectorELNS0_4arch9wavefront6targetE1EEEvS14_,"axG",@progbits,_ZN7rocprim17ROCPRIM_400000_NS6detail17trampoline_kernelINS0_14default_configENS1_22reduce_config_selectorIN6thrust23THRUST_200600_302600_NS5tupleIblNS6_9null_typeES8_S8_S8_S8_S8_S8_S8_EEEEZNS1_11reduce_implILb1ES3_NS6_12zip_iteratorINS7_INS6_11hip_rocprim26transform_input_iterator_tIbNSD_35transform_pair_of_input_iterators_tIbNS6_6detail15normal_iteratorINS6_10device_ptrIKdEEEESL_NS6_8equal_toIdEEEENSG_9not_fun_tINSD_8identityEEEEENSD_19counting_iterator_tIlEES8_S8_S8_S8_S8_S8_S8_S8_EEEEPS9_S9_NSD_9__find_if7functorIS9_EEEE10hipError_tPvRmT1_T2_T3_mT4_P12ihipStream_tbEUlT_E1_NS1_11comp_targetILNS1_3genE0ELNS1_11target_archE4294967295ELNS1_3gpuE0ELNS1_3repE0EEENS1_30default_config_static_selectorELNS0_4arch9wavefront6targetE1EEEvS14_,comdat
	.protected	_ZN7rocprim17ROCPRIM_400000_NS6detail17trampoline_kernelINS0_14default_configENS1_22reduce_config_selectorIN6thrust23THRUST_200600_302600_NS5tupleIblNS6_9null_typeES8_S8_S8_S8_S8_S8_S8_EEEEZNS1_11reduce_implILb1ES3_NS6_12zip_iteratorINS7_INS6_11hip_rocprim26transform_input_iterator_tIbNSD_35transform_pair_of_input_iterators_tIbNS6_6detail15normal_iteratorINS6_10device_ptrIKdEEEESL_NS6_8equal_toIdEEEENSG_9not_fun_tINSD_8identityEEEEENSD_19counting_iterator_tIlEES8_S8_S8_S8_S8_S8_S8_S8_EEEEPS9_S9_NSD_9__find_if7functorIS9_EEEE10hipError_tPvRmT1_T2_T3_mT4_P12ihipStream_tbEUlT_E1_NS1_11comp_targetILNS1_3genE0ELNS1_11target_archE4294967295ELNS1_3gpuE0ELNS1_3repE0EEENS1_30default_config_static_selectorELNS0_4arch9wavefront6targetE1EEEvS14_ ; -- Begin function _ZN7rocprim17ROCPRIM_400000_NS6detail17trampoline_kernelINS0_14default_configENS1_22reduce_config_selectorIN6thrust23THRUST_200600_302600_NS5tupleIblNS6_9null_typeES8_S8_S8_S8_S8_S8_S8_EEEEZNS1_11reduce_implILb1ES3_NS6_12zip_iteratorINS7_INS6_11hip_rocprim26transform_input_iterator_tIbNSD_35transform_pair_of_input_iterators_tIbNS6_6detail15normal_iteratorINS6_10device_ptrIKdEEEESL_NS6_8equal_toIdEEEENSG_9not_fun_tINSD_8identityEEEEENSD_19counting_iterator_tIlEES8_S8_S8_S8_S8_S8_S8_S8_EEEEPS9_S9_NSD_9__find_if7functorIS9_EEEE10hipError_tPvRmT1_T2_T3_mT4_P12ihipStream_tbEUlT_E1_NS1_11comp_targetILNS1_3genE0ELNS1_11target_archE4294967295ELNS1_3gpuE0ELNS1_3repE0EEENS1_30default_config_static_selectorELNS0_4arch9wavefront6targetE1EEEvS14_
	.globl	_ZN7rocprim17ROCPRIM_400000_NS6detail17trampoline_kernelINS0_14default_configENS1_22reduce_config_selectorIN6thrust23THRUST_200600_302600_NS5tupleIblNS6_9null_typeES8_S8_S8_S8_S8_S8_S8_EEEEZNS1_11reduce_implILb1ES3_NS6_12zip_iteratorINS7_INS6_11hip_rocprim26transform_input_iterator_tIbNSD_35transform_pair_of_input_iterators_tIbNS6_6detail15normal_iteratorINS6_10device_ptrIKdEEEESL_NS6_8equal_toIdEEEENSG_9not_fun_tINSD_8identityEEEEENSD_19counting_iterator_tIlEES8_S8_S8_S8_S8_S8_S8_S8_EEEEPS9_S9_NSD_9__find_if7functorIS9_EEEE10hipError_tPvRmT1_T2_T3_mT4_P12ihipStream_tbEUlT_E1_NS1_11comp_targetILNS1_3genE0ELNS1_11target_archE4294967295ELNS1_3gpuE0ELNS1_3repE0EEENS1_30default_config_static_selectorELNS0_4arch9wavefront6targetE1EEEvS14_
	.p2align	8
	.type	_ZN7rocprim17ROCPRIM_400000_NS6detail17trampoline_kernelINS0_14default_configENS1_22reduce_config_selectorIN6thrust23THRUST_200600_302600_NS5tupleIblNS6_9null_typeES8_S8_S8_S8_S8_S8_S8_EEEEZNS1_11reduce_implILb1ES3_NS6_12zip_iteratorINS7_INS6_11hip_rocprim26transform_input_iterator_tIbNSD_35transform_pair_of_input_iterators_tIbNS6_6detail15normal_iteratorINS6_10device_ptrIKdEEEESL_NS6_8equal_toIdEEEENSG_9not_fun_tINSD_8identityEEEEENSD_19counting_iterator_tIlEES8_S8_S8_S8_S8_S8_S8_S8_EEEEPS9_S9_NSD_9__find_if7functorIS9_EEEE10hipError_tPvRmT1_T2_T3_mT4_P12ihipStream_tbEUlT_E1_NS1_11comp_targetILNS1_3genE0ELNS1_11target_archE4294967295ELNS1_3gpuE0ELNS1_3repE0EEENS1_30default_config_static_selectorELNS0_4arch9wavefront6targetE1EEEvS14_,@function
_ZN7rocprim17ROCPRIM_400000_NS6detail17trampoline_kernelINS0_14default_configENS1_22reduce_config_selectorIN6thrust23THRUST_200600_302600_NS5tupleIblNS6_9null_typeES8_S8_S8_S8_S8_S8_S8_EEEEZNS1_11reduce_implILb1ES3_NS6_12zip_iteratorINS7_INS6_11hip_rocprim26transform_input_iterator_tIbNSD_35transform_pair_of_input_iterators_tIbNS6_6detail15normal_iteratorINS6_10device_ptrIKdEEEESL_NS6_8equal_toIdEEEENSG_9not_fun_tINSD_8identityEEEEENSD_19counting_iterator_tIlEES8_S8_S8_S8_S8_S8_S8_S8_EEEEPS9_S9_NSD_9__find_if7functorIS9_EEEE10hipError_tPvRmT1_T2_T3_mT4_P12ihipStream_tbEUlT_E1_NS1_11comp_targetILNS1_3genE0ELNS1_11target_archE4294967295ELNS1_3gpuE0ELNS1_3repE0EEENS1_30default_config_static_selectorELNS0_4arch9wavefront6targetE1EEEvS14_: ; @_ZN7rocprim17ROCPRIM_400000_NS6detail17trampoline_kernelINS0_14default_configENS1_22reduce_config_selectorIN6thrust23THRUST_200600_302600_NS5tupleIblNS6_9null_typeES8_S8_S8_S8_S8_S8_S8_EEEEZNS1_11reduce_implILb1ES3_NS6_12zip_iteratorINS7_INS6_11hip_rocprim26transform_input_iterator_tIbNSD_35transform_pair_of_input_iterators_tIbNS6_6detail15normal_iteratorINS6_10device_ptrIKdEEEESL_NS6_8equal_toIdEEEENSG_9not_fun_tINSD_8identityEEEEENSD_19counting_iterator_tIlEES8_S8_S8_S8_S8_S8_S8_S8_EEEEPS9_S9_NSD_9__find_if7functorIS9_EEEE10hipError_tPvRmT1_T2_T3_mT4_P12ihipStream_tbEUlT_E1_NS1_11comp_targetILNS1_3genE0ELNS1_11target_archE4294967295ELNS1_3gpuE0ELNS1_3repE0EEENS1_30default_config_static_selectorELNS0_4arch9wavefront6targetE1EEEvS14_
; %bb.0:
	s_load_dword s38, s[0:1], 0x4
	s_load_dwordx4 s[24:27], s[0:1], 0x8
	s_load_dwordx4 s[20:23], s[0:1], 0x28
	s_load_dword s33, s[0:1], 0x40
	s_load_dwordx2 s[18:19], s[0:1], 0x48
	s_waitcnt lgkmcnt(0)
	s_cmp_lt_i32 s38, 4
	s_cbranch_scc1 .LBB190_13
; %bb.1:
	s_cmp_gt_i32 s38, 7
	s_cbranch_scc0 .LBB190_14
; %bb.2:
	s_cmp_eq_u32 s38, 8
	s_mov_b64 s[28:29], 0
	s_cbranch_scc0 .LBB190_15
; %bb.3:
	s_mov_b32 s3, 0
	s_lshl_b32 s12, s2, 10
	s_mov_b32 s13, s3
	s_lshr_b64 s[4:5], s[22:23], 10
	s_lshl_b64 s[6:7], s[12:13], 3
	s_add_u32 s16, s24, s6
	s_addc_u32 s17, s25, s7
	s_add_u32 s30, s26, s6
	s_addc_u32 s31, s27, s7
	;; [unrolled: 2-line block ×3, first 2 shown]
	s_cmp_lg_u64 s[4:5], s[2:3]
	s_cbranch_scc0 .LBB190_28
; %bb.4:
	v_mov_b32_e32 v1, 0
	v_lshlrev_b32_e32 v2, 3, v0
	v_mov_b32_e32 v3, v1
	v_lshl_add_u64 v[4:5], s[16:17], 0, v[2:3]
	s_movk_i32 s4, 0x1000
	v_lshl_add_u64 v[6:7], s[30:31], 0, v[2:3]
	global_load_dwordx2 v[8:9], v2, s[16:17]
	global_load_dwordx2 v[10:11], v2, s[16:17] offset:1024
	global_load_dwordx2 v[12:13], v2, s[16:17] offset:2048
	;; [unrolled: 1-line block ×3, first 2 shown]
	global_load_dwordx2 v[16:17], v2, s[30:31]
	global_load_dwordx2 v[18:19], v2, s[30:31] offset:1024
	global_load_dwordx2 v[20:21], v2, s[30:31] offset:2048
	;; [unrolled: 1-line block ×3, first 2 shown]
	v_add_co_u32_e32 v2, vcc, s4, v4
	v_mov_b32_e32 v38, 0x80
	s_nop 0
	v_addc_co_u32_e32 v3, vcc, 0, v5, vcc
	v_add_co_u32_e32 v4, vcc, s4, v6
	v_mov_b32_e32 v40, 0x200
	s_nop 0
	v_addc_co_u32_e32 v5, vcc, 0, v7, vcc
	global_load_dwordx2 v[6:7], v[4:5], off
	global_load_dwordx2 v[24:25], v[4:5], off offset:2048
	global_load_dwordx2 v[26:27], v[4:5], off offset:3072
	global_load_dwordx2 v[28:29], v[2:3], off
	global_load_dwordx2 v[30:31], v[2:3], off offset:2048
	global_load_dwordx2 v[32:33], v[2:3], off offset:3072
	;; [unrolled: 1-line block ×4, first 2 shown]
	v_mov_b32_e32 v5, 0x100
	v_mov_b32_e32 v41, 0x180
	v_lshl_add_u64 v[2:3], s[34:35], 0, v[0:1]
	v_mov_b32_e32 v39, v1
	v_mov_b32_e32 v42, 0x300
	;; [unrolled: 1-line block ×4, first 2 shown]
	v_mbcnt_lo_u32_b32 v4, -1, 0
	v_mbcnt_hi_u32_b32 v4, -1, v4
	s_waitcnt vmcnt(11)
	v_cmp_neq_f64_e64 s[8:9], v[8:9], v[16:17]
	s_waitcnt vmcnt(10)
	v_cmp_neq_f64_e64 s[4:5], v[10:11], v[18:19]
	s_waitcnt vmcnt(9)
	v_cmp_neq_f64_e32 vcc, v[12:13], v[20:21]
	s_waitcnt vmcnt(8)
	v_cmp_neq_f64_e64 s[6:7], v[14:15], v[22:23]
	v_cndmask_b32_e64 v1, v5, v38, s[4:5]
	s_or_b64 s[4:5], s[8:9], s[4:5]
	v_cndmask_b32_e64 v5, v40, v41, s[6:7]
	v_cndmask_b32_e64 v1, v1, 0, s[8:9]
	s_or_b64 vcc, s[4:5], vcc
	v_cndmask_b32_e32 v1, v5, v1, vcc
	s_waitcnt vmcnt(4)
	v_cmp_neq_f64_e64 s[4:5], v[28:29], v[6:7]
	s_or_b64 s[6:7], vcc, s[6:7]
	s_or_b64 s[4:5], s[6:7], s[4:5]
	s_waitcnt vmcnt(3)
	v_cmp_neq_f64_e64 s[8:9], v[30:31], v[24:25]
	s_waitcnt vmcnt(0)
	v_cmp_neq_f64_e32 vcc, v[34:35], v[36:37]
	v_cmp_neq_f64_e64 s[10:11], v[32:33], v[26:27]
	s_nop 0
	v_cndmask_b32_e32 v5, v42, v43, vcc
	v_cndmask_b32_e64 v1, v5, v1, s[4:5]
	s_or_b64 s[4:5], s[4:5], vcc
	s_or_b64 vcc, s[4:5], s[8:9]
	v_cndmask_b32_e32 v38, v44, v1, vcc
	v_lshl_add_u64 v[2:3], v[2:3], 0, v[38:39]
	s_or_b64 s[4:5], vcc, s[10:11]
	v_cndmask_b32_e64 v1, 0, 1, s[4:5]
	v_mov_b32_dpp v6, v2 quad_perm:[1,0,3,2] row_mask:0xf bank_mask:0xf bound_ctrl:1
	v_mov_b32_dpp v7, v3 quad_perm:[1,0,3,2] row_mask:0xf bank_mask:0xf bound_ctrl:1
	;; [unrolled: 1-line block ×3, first 2 shown]
	v_cmp_lt_i64_e32 vcc, v[2:3], v[6:7]
	v_and_b32_e32 v5, 1, v5
	s_and_b64 vcc, s[4:5], vcc
	v_cndmask_b32_e32 v6, v6, v2, vcc
	v_cndmask_b32_e32 v7, v7, v3, vcc
	v_cmp_eq_u32_e32 vcc, 1, v5
	s_nop 1
	v_cndmask_b32_e32 v3, v3, v7, vcc
	v_cndmask_b32_e32 v2, v2, v6, vcc
	v_cndmask_b32_e64 v1, v1, 1, vcc
	v_mov_b32_dpp v7, v3 quad_perm:[2,3,0,1] row_mask:0xf bank_mask:0xf bound_ctrl:1
	v_mov_b32_dpp v6, v2 quad_perm:[2,3,0,1] row_mask:0xf bank_mask:0xf bound_ctrl:1
	v_mov_b32_dpp v5, v1 quad_perm:[2,3,0,1] row_mask:0xf bank_mask:0xf bound_ctrl:1
	v_and_b32_e32 v8, 1, v1
	v_and_b32_e32 v5, 1, v5
	v_cmp_eq_u32_e32 vcc, 1, v8
	v_cmp_lt_i64_e64 s[4:5], v[2:3], v[6:7]
	v_cmp_eq_u32_e64 s[6:7], 1, v5
	s_and_b64 vcc, vcc, s[4:5]
	v_cndmask_b32_e32 v5, v6, v2, vcc
	v_cndmask_b32_e64 v1, v1, 1, s[6:7]
	v_cndmask_b32_e32 v6, v7, v3, vcc
	v_cndmask_b32_e64 v2, v2, v5, s[6:7]
	v_and_b32_e32 v7, 1, v1
	v_cndmask_b32_e64 v3, v3, v6, s[6:7]
	v_mov_b32_dpp v6, v2 row_ror:4 row_mask:0xf bank_mask:0xf bound_ctrl:1
	v_cmp_eq_u32_e32 vcc, 1, v7
	v_mov_b32_dpp v7, v3 row_ror:4 row_mask:0xf bank_mask:0xf bound_ctrl:1
	v_mov_b32_dpp v5, v1 row_ror:4 row_mask:0xf bank_mask:0xf bound_ctrl:1
	v_cmp_lt_i64_e64 s[6:7], v[2:3], v[6:7]
	v_and_b32_e32 v5, 1, v5
	s_and_b64 vcc, vcc, s[6:7]
	v_cmp_eq_u32_e64 s[4:5], 1, v5
	v_cndmask_b32_e32 v5, v6, v2, vcc
	v_cndmask_b32_e32 v6, v7, v3, vcc
	v_cndmask_b32_e64 v1, v1, 1, s[4:5]
	v_cndmask_b32_e64 v3, v3, v6, s[4:5]
	;; [unrolled: 1-line block ×3, first 2 shown]
	v_and_b32_e32 v8, 1, v1
	v_mov_b32_dpp v7, v3 row_ror:8 row_mask:0xf bank_mask:0xf bound_ctrl:1
	v_mov_b32_dpp v6, v2 row_ror:8 row_mask:0xf bank_mask:0xf bound_ctrl:1
	;; [unrolled: 1-line block ×3, first 2 shown]
	v_cmp_eq_u32_e32 vcc, 1, v8
	v_cmp_lt_i64_e64 s[4:5], v[2:3], v[6:7]
	v_and_b32_e32 v5, 1, v5
	s_and_b64 vcc, vcc, s[4:5]
	v_cmp_eq_u32_e64 s[6:7], 1, v5
	v_cndmask_b32_e32 v5, v6, v2, vcc
	v_cndmask_b32_e32 v6, v7, v3, vcc
	v_cndmask_b32_e64 v1, v1, 1, s[6:7]
	v_cndmask_b32_e64 v3, v3, v6, s[6:7]
	;; [unrolled: 1-line block ×3, first 2 shown]
	v_and_b32_e32 v8, 1, v1
	v_mov_b32_dpp v7, v3 row_bcast:15 row_mask:0xf bank_mask:0xf bound_ctrl:1
	v_mov_b32_dpp v6, v2 row_bcast:15 row_mask:0xf bank_mask:0xf bound_ctrl:1
	v_mov_b32_dpp v5, v1 row_bcast:15 row_mask:0xf bank_mask:0xf bound_ctrl:1
	v_cmp_eq_u32_e32 vcc, 1, v8
	v_cmp_lt_i64_e64 s[4:5], v[2:3], v[6:7]
	v_and_b32_e32 v5, 1, v5
	s_and_b64 vcc, vcc, s[4:5]
	v_cmp_eq_u32_e64 s[6:7], 1, v5
	v_cndmask_b32_e32 v5, v6, v2, vcc
	v_cndmask_b32_e32 v6, v7, v3, vcc
	v_cndmask_b32_e64 v1, v1, 1, s[6:7]
	v_cndmask_b32_e64 v3, v3, v6, s[6:7]
	;; [unrolled: 1-line block ×3, first 2 shown]
	v_and_b32_e32 v8, 1, v1
	v_mov_b32_dpp v7, v3 row_bcast:31 row_mask:0xf bank_mask:0xf bound_ctrl:1
	v_mov_b32_dpp v6, v2 row_bcast:31 row_mask:0xf bank_mask:0xf bound_ctrl:1
	;; [unrolled: 1-line block ×3, first 2 shown]
	v_cmp_eq_u32_e32 vcc, 1, v8
	v_cmp_lt_i64_e64 s[4:5], v[2:3], v[6:7]
	v_and_b32_e32 v5, 1, v5
	s_and_b64 vcc, vcc, s[4:5]
	v_cmp_eq_u32_e64 s[6:7], 1, v5
	v_cndmask_b32_e32 v5, v6, v2, vcc
	v_cndmask_b32_e32 v6, v7, v3, vcc
	v_cndmask_b32_e64 v3, v3, v6, s[6:7]
	v_lshlrev_b32_e32 v6, 2, v4
	v_cndmask_b32_e64 v1, v1, 1, s[6:7]
	v_cndmask_b32_e64 v2, v2, v5, s[6:7]
	v_or_b32_e32 v5, 0xfc, v6
	ds_bpermute_b32 v1, v5, v1
	ds_bpermute_b32 v2, v5, v2
	;; [unrolled: 1-line block ×3, first 2 shown]
	v_cmp_eq_u32_e32 vcc, 0, v4
	s_and_saveexec_b64 s[4:5], vcc
	s_cbranch_execz .LBB190_6
; %bb.5:
	v_lshrrev_b32_e32 v5, 2, v0
	v_and_b32_e32 v5, 16, v5
	s_waitcnt lgkmcnt(2)
	ds_write_b8 v5, v1 offset:96
	s_waitcnt lgkmcnt(1)
	ds_write_b64 v5, v[2:3] offset:104
.LBB190_6:
	s_or_b64 exec, exec, s[4:5]
	v_cmp_gt_u32_e32 vcc, 64, v0
	s_waitcnt lgkmcnt(0)
	s_barrier
	s_and_saveexec_b64 s[4:5], vcc
	s_cbranch_execz .LBB190_12
; %bb.7:
	v_and_b32_e32 v1, 1, v4
	v_lshlrev_b32_e32 v1, 4, v1
	ds_read_u8 v8, v1 offset:96
	ds_read_b64 v[4:5], v1 offset:104
	v_or_b32_e32 v2, 4, v6
	s_waitcnt lgkmcnt(1)
	v_and_b32_e32 v1, 0xff, v8
	ds_bpermute_b32 v9, v2, v1
	s_waitcnt lgkmcnt(1)
	ds_bpermute_b32 v6, v2, v4
	ds_bpermute_b32 v7, v2, v5
                                        ; implicit-def: $vgpr2_vgpr3
	s_waitcnt lgkmcnt(2)
	v_and_b32_e32 v1, v8, v9
	v_and_b32_e32 v1, 1, v1
	v_cmp_eq_u32_e32 vcc, 1, v1
	s_and_saveexec_b64 s[6:7], vcc
	s_xor_b64 s[6:7], exec, s[6:7]
	s_cbranch_execz .LBB190_9
; %bb.8:
	s_waitcnt lgkmcnt(0)
	v_cmp_lt_i64_e32 vcc, v[6:7], v[4:5]
                                        ; implicit-def: $vgpr8
                                        ; implicit-def: $vgpr9
	s_nop 1
	v_cndmask_b32_e32 v3, v5, v7, vcc
	v_cndmask_b32_e32 v2, v4, v6, vcc
                                        ; implicit-def: $vgpr6_vgpr7
                                        ; implicit-def: $vgpr4_vgpr5
.LBB190_9:
	s_or_saveexec_b64 s[6:7], s[6:7]
	v_mov_b32_e32 v1, 1
	s_xor_b64 exec, exec, s[6:7]
	s_cbranch_execz .LBB190_11
; %bb.10:
	v_and_b32_e32 v1, 1, v8
	v_cmp_eq_u32_e32 vcc, 1, v1
	s_waitcnt lgkmcnt(0)
	s_nop 0
	v_cndmask_b32_e32 v3, v7, v5, vcc
	v_cndmask_b32_e32 v2, v6, v4, vcc
	v_cndmask_b32_e64 v1, v9, 1, vcc
.LBB190_11:
	s_or_b64 exec, exec, s[6:7]
.LBB190_12:
	s_or_b64 exec, exec, s[4:5]
	s_branch .LBB190_145
.LBB190_13:
	s_mov_b64 s[12:13], 0
                                        ; implicit-def: $vgpr4_vgpr5
                                        ; implicit-def: $vgpr6
                                        ; implicit-def: $vgpr2_vgpr3
	s_cbranch_execnz .LBB190_219
	s_branch .LBB190_306
.LBB190_14:
	s_mov_b64 s[28:29], -1
.LBB190_15:
	s_mov_b64 s[12:13], 0
                                        ; implicit-def: $vgpr4_vgpr5
                                        ; implicit-def: $vgpr6
                                        ; implicit-def: $vgpr2_vgpr3
	s_and_b64 vcc, exec, s[28:29]
	s_cbranch_vccz .LBB190_150
.LBB190_16:
	s_cmp_eq_u32 s38, 4
	s_cbranch_scc0 .LBB190_27
; %bb.17:
	s_mov_b32 s3, 0
	s_lshl_b32 s30, s2, 9
	s_mov_b32 s31, s3
	s_lshr_b64 s[4:5], s[22:23], 9
	s_lshl_b64 s[6:7], s[30:31], 3
	s_add_u32 s14, s24, s6
	s_addc_u32 s15, s25, s7
	s_add_u32 s16, s26, s6
	s_addc_u32 s17, s27, s7
	;; [unrolled: 2-line block ×3, first 2 shown]
	s_cmp_lg_u64 s[4:5], s[2:3]
	s_cbranch_scc0 .LBB190_51
; %bb.18:
	v_lshlrev_b32_e32 v1, 3, v0
	global_load_dwordx2 v[2:3], v1, s[16:17] offset:1024
	s_waitcnt lgkmcnt(1)
	global_load_dwordx2 v[8:9], v1, s[16:17] offset:2048
	global_load_dwordx2 v[10:11], v1, s[16:17] offset:3072
	;; [unrolled: 1-line block ×5, first 2 shown]
	global_load_dwordx2 v[18:19], v1, s[14:15]
	global_load_dwordx2 v[20:21], v1, s[16:17]
	v_mov_b32_e32 v1, 0
	s_waitcnt lgkmcnt(0)
	v_mov_b32_e32 v5, 0x100
	v_mov_b32_e32 v7, 0x80
	v_lshl_add_u64 v[22:23], s[28:29], 0, v[0:1]
	v_mov_b32_e32 v25, v1
	v_mov_b32_e32 v24, 0x180
	v_mbcnt_lo_u32_b32 v4, -1, 0
	v_mbcnt_hi_u32_b32 v4, -1, v4
	v_lshlrev_b32_e32 v6, 2, v4
	v_or_b32_e32 v26, 0xfc, v6
	s_waitcnt vmcnt(4)
	v_cmp_neq_f64_e32 vcc, v[12:13], v[8:9]
	s_waitcnt vmcnt(3)
	v_cmp_neq_f64_e64 s[4:5], v[14:15], v[10:11]
	s_waitcnt vmcnt(2)
	v_cmp_neq_f64_e64 s[6:7], v[16:17], v[2:3]
	;; [unrolled: 2-line block ×3, first 2 shown]
	v_cndmask_b32_e64 v1, v5, v7, s[6:7]
	s_or_b64 s[6:7], s[8:9], s[6:7]
	v_cndmask_b32_e64 v1, v1, 0, s[8:9]
	s_or_b64 vcc, s[6:7], vcc
	v_cndmask_b32_e32 v24, v24, v1, vcc
	v_lshl_add_u64 v[2:3], v[22:23], 0, v[24:25]
	s_or_b64 s[4:5], vcc, s[4:5]
	v_cndmask_b32_e64 v1, 0, 1, s[4:5]
	v_mov_b32_dpp v8, v2 quad_perm:[1,0,3,2] row_mask:0xf bank_mask:0xf bound_ctrl:1
	v_mov_b32_dpp v9, v3 quad_perm:[1,0,3,2] row_mask:0xf bank_mask:0xf bound_ctrl:1
	;; [unrolled: 1-line block ×3, first 2 shown]
	v_cmp_lt_i64_e32 vcc, v[2:3], v[8:9]
	v_and_b32_e32 v5, 1, v5
	s_and_b64 vcc, s[4:5], vcc
	v_cndmask_b32_e32 v7, v8, v2, vcc
	v_cndmask_b32_e32 v8, v9, v3, vcc
	v_cmp_eq_u32_e32 vcc, 1, v5
	s_nop 1
	v_cndmask_b32_e32 v3, v3, v8, vcc
	v_cndmask_b32_e32 v2, v2, v7, vcc
	v_cndmask_b32_e64 v1, v1, 1, vcc
	v_mov_b32_dpp v9, v3 quad_perm:[2,3,0,1] row_mask:0xf bank_mask:0xf bound_ctrl:1
	v_mov_b32_dpp v8, v2 quad_perm:[2,3,0,1] row_mask:0xf bank_mask:0xf bound_ctrl:1
	;; [unrolled: 1-line block ×3, first 2 shown]
	v_and_b32_e32 v7, 1, v1
	v_and_b32_e32 v5, 1, v5
	v_cmp_eq_u32_e32 vcc, 1, v7
	v_cmp_lt_i64_e64 s[4:5], v[2:3], v[8:9]
	v_cmp_eq_u32_e64 s[6:7], 1, v5
	s_and_b64 vcc, vcc, s[4:5]
	v_cndmask_b32_e32 v5, v8, v2, vcc
	v_cndmask_b32_e64 v1, v1, 1, s[6:7]
	v_cndmask_b32_e64 v2, v2, v5, s[6:7]
	v_cndmask_b32_e32 v7, v9, v3, vcc
	v_mov_b32_dpp v5, v1 row_ror:4 row_mask:0xf bank_mask:0xf bound_ctrl:1
	v_and_b32_e32 v5, 1, v5
	v_and_b32_e32 v9, 1, v1
	v_cndmask_b32_e64 v3, v3, v7, s[6:7]
	v_cmp_eq_u32_e64 s[4:5], 1, v5
	v_mov_b32_dpp v8, v2 row_ror:4 row_mask:0xf bank_mask:0xf bound_ctrl:1
	v_cmp_eq_u32_e32 vcc, 1, v9
	v_mov_b32_dpp v9, v3 row_ror:4 row_mask:0xf bank_mask:0xf bound_ctrl:1
	v_cndmask_b32_e64 v1, v1, 1, s[4:5]
	v_cmp_lt_i64_e64 s[6:7], v[2:3], v[8:9]
	v_and_b32_e32 v7, 1, v1
	v_mov_b32_dpp v5, v1 row_ror:8 row_mask:0xf bank_mask:0xf bound_ctrl:1
	s_and_b64 vcc, vcc, s[6:7]
	v_and_b32_e32 v5, 1, v5
	v_cndmask_b32_e32 v8, v8, v2, vcc
	v_cmp_eq_u32_e64 s[6:7], 1, v7
	v_cndmask_b32_e32 v7, v9, v3, vcc
	v_cmp_eq_u32_e32 vcc, 1, v5
	v_cndmask_b32_e64 v2, v2, v8, s[4:5]
	v_cndmask_b32_e64 v3, v3, v7, s[4:5]
	v_cndmask_b32_e64 v1, v1, 1, vcc
	v_mov_b32_dpp v8, v2 row_ror:8 row_mask:0xf bank_mask:0xf bound_ctrl:1
	v_mov_b32_dpp v9, v3 row_ror:8 row_mask:0xf bank_mask:0xf bound_ctrl:1
	v_mov_b32_dpp v5, v1 row_bcast:15 row_mask:0xf bank_mask:0xf bound_ctrl:1
	v_and_b32_e32 v5, 1, v5
	v_cmp_lt_i64_e64 s[8:9], v[2:3], v[8:9]
	v_cmp_eq_u32_e64 s[10:11], 1, v5
	s_and_b64 s[6:7], s[6:7], s[8:9]
	v_and_b32_e32 v7, 1, v1
	v_cndmask_b32_e64 v1, v1, 1, s[10:11]
	v_cndmask_b32_e64 v5, v8, v2, s[6:7]
	v_cndmask_b32_e64 v9, v9, v3, s[6:7]
	v_and_b32_e32 v8, 1, v1
	v_cndmask_b32_e32 v2, v2, v5, vcc
	v_cndmask_b32_e32 v3, v3, v9, vcc
	v_cmp_eq_u32_e64 s[6:7], 1, v8
	v_mov_b32_dpp v8, v2 row_bcast:15 row_mask:0xf bank_mask:0xf bound_ctrl:1
	v_mov_b32_dpp v9, v3 row_bcast:15 row_mask:0xf bank_mask:0xf bound_ctrl:1
	v_cmp_eq_u32_e64 s[4:5], 1, v7
	v_mov_b32_dpp v7, v1 row_bcast:31 row_mask:0xf bank_mask:0xf bound_ctrl:1
	v_cmp_lt_i64_e64 s[8:9], v[2:3], v[8:9]
	v_and_b32_e32 v5, 1, v7
	s_and_b64 s[4:5], s[4:5], s[8:9]
	v_cmp_eq_u32_e32 vcc, 1, v5
	v_cndmask_b32_e64 v5, v8, v2, s[4:5]
	v_cndmask_b32_e64 v7, v9, v3, s[4:5]
	;; [unrolled: 1-line block ×4, first 2 shown]
	v_cndmask_b32_e64 v1, v1, 1, vcc
	v_mov_b32_dpp v8, v2 row_bcast:31 row_mask:0xf bank_mask:0xf bound_ctrl:1
	v_mov_b32_dpp v9, v3 row_bcast:31 row_mask:0xf bank_mask:0xf bound_ctrl:1
	v_cmp_lt_i64_e64 s[4:5], v[2:3], v[8:9]
	s_and_b64 s[4:5], s[6:7], s[4:5]
	ds_bpermute_b32 v1, v26, v1
	v_cndmask_b32_e64 v5, v8, v2, s[4:5]
	v_cndmask_b32_e64 v7, v9, v3, s[4:5]
	v_cndmask_b32_e32 v2, v2, v5, vcc
	v_cndmask_b32_e32 v3, v3, v7, vcc
	ds_bpermute_b32 v2, v26, v2
	ds_bpermute_b32 v3, v26, v3
	v_cmp_eq_u32_e32 vcc, 0, v4
	s_and_saveexec_b64 s[4:5], vcc
	s_cbranch_execz .LBB190_20
; %bb.19:
	v_lshrrev_b32_e32 v5, 2, v0
	v_and_b32_e32 v5, 16, v5
	s_waitcnt lgkmcnt(2)
	ds_write_b8 v5, v1 offset:64
	s_waitcnt lgkmcnt(1)
	ds_write_b64 v5, v[2:3] offset:72
.LBB190_20:
	s_or_b64 exec, exec, s[4:5]
	v_cmp_gt_u32_e32 vcc, 64, v0
	s_waitcnt lgkmcnt(0)
	s_barrier
	s_and_saveexec_b64 s[4:5], vcc
	s_cbranch_execz .LBB190_26
; %bb.21:
	v_and_b32_e32 v1, 1, v4
	v_lshlrev_b32_e32 v1, 4, v1
	ds_read_u8 v8, v1 offset:64
	ds_read_b64 v[4:5], v1 offset:72
	v_or_b32_e32 v2, 4, v6
	s_waitcnt lgkmcnt(1)
	v_and_b32_e32 v1, 0xff, v8
	ds_bpermute_b32 v9, v2, v1
	s_waitcnt lgkmcnt(1)
	ds_bpermute_b32 v6, v2, v4
	ds_bpermute_b32 v7, v2, v5
                                        ; implicit-def: $vgpr2_vgpr3
	s_waitcnt lgkmcnt(2)
	v_and_b32_e32 v1, v8, v9
	v_and_b32_e32 v1, 1, v1
	v_cmp_eq_u32_e32 vcc, 1, v1
	s_and_saveexec_b64 s[6:7], vcc
	s_xor_b64 s[6:7], exec, s[6:7]
	s_cbranch_execz .LBB190_23
; %bb.22:
	s_waitcnt lgkmcnt(0)
	v_cmp_lt_i64_e32 vcc, v[6:7], v[4:5]
                                        ; implicit-def: $vgpr8
                                        ; implicit-def: $vgpr9
	s_nop 1
	v_cndmask_b32_e32 v3, v5, v7, vcc
	v_cndmask_b32_e32 v2, v4, v6, vcc
                                        ; implicit-def: $vgpr6_vgpr7
                                        ; implicit-def: $vgpr4_vgpr5
.LBB190_23:
	s_or_saveexec_b64 s[6:7], s[6:7]
	v_mov_b32_e32 v1, 1
	s_xor_b64 exec, exec, s[6:7]
	s_cbranch_execz .LBB190_25
; %bb.24:
	v_and_b32_e32 v1, 1, v8
	v_cmp_eq_u32_e32 vcc, 1, v1
	s_waitcnt lgkmcnt(0)
	s_nop 0
	v_cndmask_b32_e32 v3, v7, v5, vcc
	v_cndmask_b32_e32 v2, v6, v4, vcc
	v_cndmask_b32_e64 v1, v9, 1, vcc
.LBB190_25:
	s_or_b64 exec, exec, s[6:7]
.LBB190_26:
	s_or_b64 exec, exec, s[4:5]
	s_branch .LBB190_214
.LBB190_27:
                                        ; implicit-def: $vgpr4_vgpr5
                                        ; implicit-def: $vgpr6
                                        ; implicit-def: $vgpr2_vgpr3
	s_branch .LBB190_306
.LBB190_28:
                                        ; implicit-def: $vgpr2_vgpr3
                                        ; implicit-def: $vgpr1
	s_cbranch_execz .LBB190_145
; %bb.29:
	s_sub_i32 s39, s22, s12
	v_cmp_gt_u32_e32 vcc, s39, v0
	v_mov_b32_e32 v26, 0
	v_mov_b64_e32 v[16:17], 0
	v_mov_b64_e32 v[2:3], 0
	v_mov_b32_e32 v1, 0
	s_and_saveexec_b64 s[4:5], vcc
	s_cbranch_execz .LBB190_31
; %bb.30:
	v_lshlrev_b32_e32 v1, 3, v0
	global_load_dwordx2 v[4:5], v1, s[16:17]
	s_waitcnt lgkmcnt(0)
	global_load_dwordx2 v[6:7], v1, s[30:31]
	v_mov_b32_e32 v1, 0
	v_lshl_add_u64 v[2:3], s[34:35], 0, v[0:1]
	s_waitcnt vmcnt(0)
	v_cmp_neq_f64_e32 vcc, v[4:5], v[6:7]
	s_nop 1
	v_cndmask_b32_e64 v1, 0, 1, vcc
.LBB190_31:
	s_or_b64 exec, exec, s[4:5]
	v_or_b32_e32 v4, 0x80, v0
	v_cmp_gt_u32_e64 s[14:15], s39, v4
	s_and_saveexec_b64 s[4:5], s[14:15]
	s_cbranch_execz .LBB190_33
; %bb.32:
	v_lshlrev_b32_e32 v5, 3, v0
	s_waitcnt lgkmcnt(0)
	global_load_dwordx2 v[6:7], v5, s[16:17] offset:1024
	global_load_dwordx2 v[8:9], v5, s[30:31] offset:1024
	v_mov_b32_e32 v5, 0
	v_lshl_add_u64 v[16:17], s[34:35], 0, v[4:5]
	s_waitcnt vmcnt(0)
	v_cmp_neq_f64_e32 vcc, v[6:7], v[8:9]
	s_nop 1
	v_cndmask_b32_e64 v26, 0, 1, vcc
.LBB190_33:
	s_or_b64 exec, exec, s[4:5]
	v_or_b32_e32 v4, 0x100, v0
	v_cmp_gt_u32_e64 s[12:13], s39, v4
	v_mov_b32_e32 v24, 0
	v_mov_b64_e32 v[12:13], 0
	v_mov_b64_e32 v[14:15], 0
	v_mov_b32_e32 v25, 0
	s_and_saveexec_b64 s[4:5], s[12:13]
	s_cbranch_execz .LBB190_35
; %bb.34:
	v_lshlrev_b32_e32 v5, 3, v0
	s_waitcnt lgkmcnt(0)
	global_load_dwordx2 v[6:7], v5, s[16:17] offset:2048
	global_load_dwordx2 v[8:9], v5, s[30:31] offset:2048
	v_mov_b32_e32 v5, 0
	v_lshl_add_u64 v[14:15], s[34:35], 0, v[4:5]
	s_waitcnt vmcnt(0)
	v_cmp_neq_f64_e32 vcc, v[6:7], v[8:9]
	s_nop 1
	v_cndmask_b32_e64 v25, 0, 1, vcc
.LBB190_35:
	s_or_b64 exec, exec, s[4:5]
	v_or_b32_e32 v4, 0x180, v0
	v_cmp_gt_u32_e64 s[10:11], s39, v4
	s_and_saveexec_b64 s[4:5], s[10:11]
	s_cbranch_execz .LBB190_37
; %bb.36:
	v_lshlrev_b32_e32 v5, 3, v0
	s_waitcnt lgkmcnt(0)
	global_load_dwordx2 v[6:7], v5, s[16:17] offset:3072
	global_load_dwordx2 v[8:9], v5, s[30:31] offset:3072
	v_mov_b32_e32 v5, 0
	v_lshl_add_u64 v[12:13], s[34:35], 0, v[4:5]
	s_waitcnt vmcnt(0)
	v_cmp_neq_f64_e32 vcc, v[6:7], v[8:9]
	s_nop 1
	v_cndmask_b32_e64 v24, 0, 1, vcc
.LBB190_37:
	s_or_b64 exec, exec, s[4:5]
	v_or_b32_e32 v4, 0x200, v0
	v_cmp_gt_u32_e64 s[8:9], s39, v4
	v_mov_b32_e32 v22, 0
	v_mov_b64_e32 v[8:9], 0
	v_mov_b64_e32 v[10:11], 0
	v_mov_b32_e32 v23, 0
	s_and_saveexec_b64 s[4:5], s[8:9]
	s_cbranch_execz .LBB190_39
; %bb.38:
	v_lshlrev_b32_e32 v5, 3, v4
	s_waitcnt lgkmcnt(0)
	global_load_dwordx2 v[6:7], v5, s[16:17]
	global_load_dwordx2 v[18:19], v5, s[30:31]
	v_mov_b32_e32 v5, 0
	v_lshl_add_u64 v[10:11], s[34:35], 0, v[4:5]
	s_waitcnt vmcnt(0)
	v_cmp_neq_f64_e32 vcc, v[6:7], v[18:19]
	s_nop 1
	v_cndmask_b32_e64 v23, 0, 1, vcc
.LBB190_39:
	s_or_b64 exec, exec, s[4:5]
	v_or_b32_e32 v4, 0x280, v0
	v_cmp_gt_u32_e64 s[6:7], s39, v4
	s_and_saveexec_b64 s[4:5], s[6:7]
	s_cbranch_execz .LBB190_41
; %bb.40:
	v_lshlrev_b32_e32 v5, 3, v4
	s_waitcnt lgkmcnt(0)
	global_load_dwordx2 v[6:7], v5, s[16:17]
	global_load_dwordx2 v[18:19], v5, s[30:31]
	v_mov_b32_e32 v5, 0
	v_lshl_add_u64 v[8:9], s[34:35], 0, v[4:5]
	s_waitcnt vmcnt(0)
	v_cmp_neq_f64_e32 vcc, v[6:7], v[18:19]
	s_nop 1
	v_cndmask_b32_e64 v22, 0, 1, vcc
.LBB190_41:
	s_or_b64 exec, exec, s[4:5]
	v_or_b32_e32 v18, 0x300, v0
	v_cmp_gt_u32_e64 s[4:5], s39, v18
	v_mov_b64_e32 v[4:5], 0
	v_mov_b32_e32 v20, 0
	v_mov_b32_e32 v21, 0
	s_waitcnt lgkmcnt(0)
	v_mov_b64_e32 v[6:7], 0
	s_and_saveexec_b64 s[36:37], s[4:5]
	s_cbranch_execz .LBB190_43
; %bb.42:
	v_lshlrev_b32_e32 v6, 3, v18
	global_load_dwordx2 v[28:29], v6, s[16:17]
	global_load_dwordx2 v[30:31], v6, s[30:31]
	v_mov_b32_e32 v19, 0
	v_lshl_add_u64 v[6:7], s[34:35], 0, v[18:19]
	s_waitcnt vmcnt(0)
	v_cmp_neq_f64_e32 vcc, v[28:29], v[30:31]
	s_nop 1
	v_cndmask_b32_e64 v21, 0, 1, vcc
.LBB190_43:
	s_or_b64 exec, exec, s[36:37]
	v_or_b32_e32 v18, 0x380, v0
	v_cmp_gt_u32_e32 vcc, s39, v18
	s_and_saveexec_b64 s[36:37], vcc
	s_cbranch_execnz .LBB190_62
; %bb.44:
	s_or_b64 exec, exec, s[36:37]
	s_and_saveexec_b64 s[30:31], s[14:15]
	s_cbranch_execnz .LBB190_63
.LBB190_45:
	s_or_b64 exec, exec, s[30:31]
	s_and_saveexec_b64 s[16:17], s[12:13]
	s_cbranch_execnz .LBB190_68
.LBB190_46:
	s_or_b64 exec, exec, s[16:17]
	s_and_saveexec_b64 s[14:15], s[10:11]
	s_cbranch_execnz .LBB190_73
.LBB190_47:
	s_or_b64 exec, exec, s[14:15]
	s_and_saveexec_b64 s[12:13], s[8:9]
	s_cbranch_execnz .LBB190_78
.LBB190_48:
	s_or_b64 exec, exec, s[12:13]
	s_and_saveexec_b64 s[10:11], s[6:7]
	s_cbranch_execnz .LBB190_83
.LBB190_49:
	s_or_b64 exec, exec, s[10:11]
	s_and_saveexec_b64 s[8:9], s[4:5]
	s_cbranch_execnz .LBB190_88
.LBB190_50:
	s_or_b64 exec, exec, s[8:9]
	s_and_saveexec_b64 s[6:7], vcc
	s_cbranch_execnz .LBB190_93
	s_branch .LBB190_98
.LBB190_51:
                                        ; implicit-def: $vgpr2_vgpr3
                                        ; implicit-def: $vgpr1
	s_cbranch_execz .LBB190_214
; %bb.52:
	s_sub_i32 s30, s22, s30
	v_cmp_gt_u32_e32 vcc, s30, v0
	v_mov_b32_e32 v14, 0
	s_waitcnt lgkmcnt(1)
	v_mov_b64_e32 v[8:9], 0
	v_mov_b64_e32 v[2:3], 0
	v_mov_b32_e32 v1, 0
	s_and_saveexec_b64 s[4:5], vcc
	s_cbranch_execz .LBB190_54
; %bb.53:
	v_lshlrev_b32_e32 v1, 3, v0
	s_waitcnt lgkmcnt(0)
	global_load_dwordx2 v[4:5], v1, s[14:15]
	global_load_dwordx2 v[6:7], v1, s[16:17]
	v_mov_b32_e32 v1, 0
	v_lshl_add_u64 v[2:3], s[28:29], 0, v[0:1]
	s_waitcnt vmcnt(0)
	v_cmp_neq_f64_e32 vcc, v[4:5], v[6:7]
	s_nop 1
	v_cndmask_b32_e64 v1, 0, 1, vcc
.LBB190_54:
	s_or_b64 exec, exec, s[4:5]
	v_or_b32_e32 v4, 0x80, v0
	v_cmp_gt_u32_e64 s[6:7], s30, v4
	s_and_saveexec_b64 s[4:5], s[6:7]
	s_cbranch_execz .LBB190_56
; %bb.55:
	s_waitcnt lgkmcnt(0)
	v_lshlrev_b32_e32 v5, 3, v0
	global_load_dwordx2 v[6:7], v5, s[14:15] offset:1024
	global_load_dwordx2 v[10:11], v5, s[16:17] offset:1024
	v_mov_b32_e32 v5, 0
	v_lshl_add_u64 v[8:9], s[28:29], 0, v[4:5]
	s_waitcnt vmcnt(0)
	v_cmp_neq_f64_e32 vcc, v[6:7], v[10:11]
	s_nop 1
	v_cndmask_b32_e64 v14, 0, 1, vcc
.LBB190_56:
	s_or_b64 exec, exec, s[4:5]
	v_or_b32_e32 v10, 0x100, v0
	v_cmp_gt_u32_e64 s[4:5], s30, v10
	v_mov_b32_e32 v12, 0
	s_waitcnt lgkmcnt(0)
	v_mov_b64_e32 v[4:5], 0
	v_mov_b64_e32 v[6:7], 0
	v_mov_b32_e32 v13, 0
	s_and_saveexec_b64 s[8:9], s[4:5]
	s_cbranch_execz .LBB190_58
; %bb.57:
	v_lshlrev_b32_e32 v6, 3, v0
	global_load_dwordx2 v[16:17], v6, s[14:15] offset:2048
	global_load_dwordx2 v[18:19], v6, s[16:17] offset:2048
	v_mov_b32_e32 v11, 0
	v_lshl_add_u64 v[6:7], s[28:29], 0, v[10:11]
	s_waitcnt vmcnt(0)
	v_cmp_neq_f64_e32 vcc, v[16:17], v[18:19]
	s_nop 1
	v_cndmask_b32_e64 v13, 0, 1, vcc
.LBB190_58:
	s_or_b64 exec, exec, s[8:9]
	v_or_b32_e32 v10, 0x180, v0
	v_cmp_gt_u32_e32 vcc, s30, v10
	s_and_saveexec_b64 s[10:11], vcc
	s_cbranch_execnz .LBB190_151
; %bb.59:
	s_or_b64 exec, exec, s[10:11]
	s_and_saveexec_b64 s[10:11], s[6:7]
	s_cbranch_execnz .LBB190_152
.LBB190_60:
	s_or_b64 exec, exec, s[10:11]
	s_and_saveexec_b64 s[8:9], s[4:5]
	s_cbranch_execnz .LBB190_157
.LBB190_61:
	s_or_b64 exec, exec, s[8:9]
	s_and_saveexec_b64 s[6:7], vcc
	s_cbranch_execnz .LBB190_162
	s_branch .LBB190_167
.LBB190_62:
	v_lshlrev_b32_e32 v4, 3, v18
	global_load_dwordx2 v[28:29], v4, s[16:17]
	global_load_dwordx2 v[30:31], v4, s[30:31]
	v_mov_b32_e32 v19, 0
	v_lshl_add_u64 v[4:5], s[34:35], 0, v[18:19]
	s_waitcnt vmcnt(0)
	v_cmp_neq_f64_e64 s[16:17], v[28:29], v[30:31]
	s_nop 1
	v_cndmask_b32_e64 v20, 0, 1, s[16:17]
	s_or_b64 exec, exec, s[36:37]
	s_and_saveexec_b64 s[30:31], s[14:15]
	s_cbranch_execz .LBB190_45
.LBB190_63:
	v_and_b32_e32 v1, 1, v1
	v_cmp_eq_u32_e64 s[14:15], 1, v1
	v_and_b32_e32 v1, 1, v26
	v_cmp_eq_u32_e64 s[16:17], 1, v1
	s_and_b64 s[16:17], s[14:15], s[16:17]
	s_xor_b64 s[16:17], s[16:17], -1
                                        ; implicit-def: $vgpr1
	s_and_saveexec_b64 s[34:35], s[16:17]
	s_xor_b64 s[16:17], exec, s[34:35]
; %bb.64:
	v_and_b32_e32 v1, 0xffff, v26
	v_cndmask_b32_e64 v1, v1, 1, s[14:15]
	v_cndmask_b32_e64 v3, v17, v3, s[14:15]
	v_cndmask_b32_e64 v2, v16, v2, s[14:15]
                                        ; implicit-def: $vgpr16_vgpr17
; %bb.65:
	s_andn2_saveexec_b64 s[16:17], s[16:17]
; %bb.66:
	v_cmp_lt_i64_e64 s[14:15], v[16:17], v[2:3]
	v_mov_b32_e32 v1, 1
	s_nop 0
	v_cndmask_b32_e64 v3, v3, v17, s[14:15]
	v_cndmask_b32_e64 v2, v2, v16, s[14:15]
; %bb.67:
	s_or_b64 exec, exec, s[16:17]
	s_or_b64 exec, exec, s[30:31]
	s_and_saveexec_b64 s[16:17], s[12:13]
	s_cbranch_execz .LBB190_46
.LBB190_68:
	v_and_b32_e32 v1, 1, v1
	v_cmp_eq_u32_e64 s[12:13], 1, v1
	v_and_b32_e32 v1, 1, v25
	v_cmp_eq_u32_e64 s[14:15], 1, v1
	s_and_b64 s[14:15], s[12:13], s[14:15]
	s_xor_b64 s[14:15], s[14:15], -1
                                        ; implicit-def: $vgpr1
	s_and_saveexec_b64 s[30:31], s[14:15]
	s_xor_b64 s[14:15], exec, s[30:31]
; %bb.69:
	v_and_b32_e32 v1, 0xffff, v25
	v_cndmask_b32_e64 v1, v1, 1, s[12:13]
	v_cndmask_b32_e64 v3, v15, v3, s[12:13]
	;; [unrolled: 1-line block ×3, first 2 shown]
                                        ; implicit-def: $vgpr14_vgpr15
; %bb.70:
	s_andn2_saveexec_b64 s[14:15], s[14:15]
; %bb.71:
	v_cmp_lt_i64_e64 s[12:13], v[14:15], v[2:3]
	v_mov_b32_e32 v1, 1
	s_nop 0
	v_cndmask_b32_e64 v3, v3, v15, s[12:13]
	v_cndmask_b32_e64 v2, v2, v14, s[12:13]
; %bb.72:
	s_or_b64 exec, exec, s[14:15]
	s_or_b64 exec, exec, s[16:17]
	s_and_saveexec_b64 s[14:15], s[10:11]
	s_cbranch_execz .LBB190_47
.LBB190_73:
	v_and_b32_e32 v1, 1, v1
	v_cmp_eq_u32_e64 s[10:11], 1, v1
	v_and_b32_e32 v1, 1, v24
	v_cmp_eq_u32_e64 s[12:13], 1, v1
	s_and_b64 s[12:13], s[10:11], s[12:13]
	s_xor_b64 s[12:13], s[12:13], -1
                                        ; implicit-def: $vgpr1
	s_and_saveexec_b64 s[16:17], s[12:13]
	s_xor_b64 s[12:13], exec, s[16:17]
; %bb.74:
	v_and_b32_e32 v1, 0xffff, v24
	v_cndmask_b32_e64 v1, v1, 1, s[10:11]
	v_cndmask_b32_e64 v3, v13, v3, s[10:11]
	;; [unrolled: 1-line block ×3, first 2 shown]
                                        ; implicit-def: $vgpr12_vgpr13
; %bb.75:
	s_andn2_saveexec_b64 s[12:13], s[12:13]
; %bb.76:
	v_cmp_lt_i64_e64 s[10:11], v[12:13], v[2:3]
	v_mov_b32_e32 v1, 1
	s_nop 0
	v_cndmask_b32_e64 v3, v3, v13, s[10:11]
	v_cndmask_b32_e64 v2, v2, v12, s[10:11]
; %bb.77:
	s_or_b64 exec, exec, s[12:13]
	s_or_b64 exec, exec, s[14:15]
	s_and_saveexec_b64 s[12:13], s[8:9]
	s_cbranch_execz .LBB190_48
.LBB190_78:
	v_and_b32_e32 v1, 1, v1
	v_cmp_eq_u32_e64 s[8:9], 1, v1
	v_and_b32_e32 v1, 1, v23
	v_cmp_eq_u32_e64 s[10:11], 1, v1
	s_and_b64 s[10:11], s[8:9], s[10:11]
	s_xor_b64 s[10:11], s[10:11], -1
                                        ; implicit-def: $vgpr1
	s_and_saveexec_b64 s[14:15], s[10:11]
	s_xor_b64 s[10:11], exec, s[14:15]
; %bb.79:
	v_and_b32_e32 v1, 0xffff, v23
	v_cndmask_b32_e64 v1, v1, 1, s[8:9]
	v_cndmask_b32_e64 v3, v11, v3, s[8:9]
	;; [unrolled: 1-line block ×3, first 2 shown]
                                        ; implicit-def: $vgpr10_vgpr11
; %bb.80:
	s_andn2_saveexec_b64 s[10:11], s[10:11]
; %bb.81:
	v_cmp_lt_i64_e64 s[8:9], v[10:11], v[2:3]
	v_mov_b32_e32 v1, 1
	s_nop 0
	v_cndmask_b32_e64 v3, v3, v11, s[8:9]
	v_cndmask_b32_e64 v2, v2, v10, s[8:9]
; %bb.82:
	s_or_b64 exec, exec, s[10:11]
	s_or_b64 exec, exec, s[12:13]
	s_and_saveexec_b64 s[10:11], s[6:7]
	s_cbranch_execz .LBB190_49
.LBB190_83:
	v_and_b32_e32 v1, 1, v1
	v_cmp_eq_u32_e64 s[6:7], 1, v1
	v_and_b32_e32 v1, 1, v22
	v_cmp_eq_u32_e64 s[8:9], 1, v1
	s_and_b64 s[8:9], s[6:7], s[8:9]
	s_xor_b64 s[8:9], s[8:9], -1
                                        ; implicit-def: $vgpr1
	s_and_saveexec_b64 s[12:13], s[8:9]
	s_xor_b64 s[8:9], exec, s[12:13]
; %bb.84:
	v_and_b32_e32 v1, 0xffff, v22
	v_cndmask_b32_e64 v1, v1, 1, s[6:7]
	v_cndmask_b32_e64 v3, v9, v3, s[6:7]
	v_cndmask_b32_e64 v2, v8, v2, s[6:7]
                                        ; implicit-def: $vgpr8_vgpr9
; %bb.85:
	s_andn2_saveexec_b64 s[8:9], s[8:9]
; %bb.86:
	v_cmp_lt_i64_e64 s[6:7], v[8:9], v[2:3]
	v_mov_b32_e32 v1, 1
	s_nop 0
	v_cndmask_b32_e64 v3, v3, v9, s[6:7]
	v_cndmask_b32_e64 v2, v2, v8, s[6:7]
; %bb.87:
	s_or_b64 exec, exec, s[8:9]
	s_or_b64 exec, exec, s[10:11]
	s_and_saveexec_b64 s[8:9], s[4:5]
	s_cbranch_execz .LBB190_50
.LBB190_88:
	v_and_b32_e32 v1, 1, v1
	v_cmp_eq_u32_e64 s[4:5], 1, v1
	v_and_b32_e32 v1, 1, v21
	v_cmp_eq_u32_e64 s[6:7], 1, v1
	s_and_b64 s[6:7], s[4:5], s[6:7]
	s_xor_b64 s[6:7], s[6:7], -1
                                        ; implicit-def: $vgpr1
	s_and_saveexec_b64 s[10:11], s[6:7]
	s_xor_b64 s[6:7], exec, s[10:11]
; %bb.89:
	v_and_b32_e32 v1, 0xffff, v21
	v_cndmask_b32_e64 v1, v1, 1, s[4:5]
	v_cndmask_b32_e64 v3, v7, v3, s[4:5]
	;; [unrolled: 1-line block ×3, first 2 shown]
                                        ; implicit-def: $vgpr6_vgpr7
; %bb.90:
	s_andn2_saveexec_b64 s[6:7], s[6:7]
; %bb.91:
	v_cmp_lt_i64_e64 s[4:5], v[6:7], v[2:3]
	v_mov_b32_e32 v1, 1
	s_nop 0
	v_cndmask_b32_e64 v3, v3, v7, s[4:5]
	v_cndmask_b32_e64 v2, v2, v6, s[4:5]
; %bb.92:
	s_or_b64 exec, exec, s[6:7]
	s_or_b64 exec, exec, s[8:9]
	s_and_saveexec_b64 s[6:7], vcc
	s_cbranch_execz .LBB190_98
.LBB190_93:
	v_and_b32_e32 v1, 1, v1
	v_cmp_eq_u32_e32 vcc, 1, v1
	v_and_b32_e32 v1, 1, v20
	v_cmp_eq_u32_e64 s[4:5], 1, v1
	s_and_b64 s[4:5], vcc, s[4:5]
	s_xor_b64 s[4:5], s[4:5], -1
                                        ; implicit-def: $vgpr1
	s_and_saveexec_b64 s[8:9], s[4:5]
	s_xor_b64 s[4:5], exec, s[8:9]
; %bb.94:
	v_and_b32_e32 v1, 0xffff, v20
	v_cndmask_b32_e64 v1, v1, 1, vcc
	v_cndmask_b32_e32 v3, v5, v3, vcc
	v_cndmask_b32_e32 v2, v4, v2, vcc
                                        ; implicit-def: $vgpr4_vgpr5
; %bb.95:
	s_andn2_saveexec_b64 s[4:5], s[4:5]
; %bb.96:
	v_cmp_lt_i64_e32 vcc, v[4:5], v[2:3]
	v_mov_b32_e32 v1, 1
	s_nop 0
	v_cndmask_b32_e32 v3, v3, v5, vcc
	v_cndmask_b32_e32 v2, v2, v4, vcc
; %bb.97:
	s_or_b64 exec, exec, s[4:5]
.LBB190_98:
	s_or_b64 exec, exec, s[6:7]
	v_mbcnt_lo_u32_b32 v4, -1, 0
	v_mbcnt_hi_u32_b32 v6, -1, v4
	v_and_b32_e32 v7, 63, v6
	v_cmp_ne_u32_e32 vcc, 63, v7
	s_min_u32 s8, s39, 0x80
	v_and_b32_e32 v8, 64, v0
	v_addc_co_u32_e32 v4, vcc, 0, v6, vcc
	v_lshlrev_b32_e32 v5, 2, v4
	ds_bpermute_b32 v9, v5, v1
	ds_bpermute_b32 v4, v5, v2
	;; [unrolled: 1-line block ×3, first 2 shown]
	v_sub_u32_e64 v8, s8, v8 clamp
	v_add_u32_e32 v10, 1, v7
	v_cmp_lt_u32_e32 vcc, v10, v8
	s_and_saveexec_b64 s[4:5], vcc
	s_xor_b64 s[4:5], exec, s[4:5]
	s_cbranch_execz .LBB190_104
; %bb.99:
	s_waitcnt lgkmcnt(2)
	v_and_b32_e32 v10, v9, v1
	v_cmp_ne_u32_e32 vcc, 0, v10
	s_and_saveexec_b64 s[6:7], vcc
	s_xor_b64 s[6:7], exec, s[6:7]
	s_cbranch_execz .LBB190_101
; %bb.100:
	s_waitcnt lgkmcnt(0)
	v_cmp_lt_i64_e32 vcc, v[4:5], v[2:3]
                                        ; implicit-def: $vgpr1
                                        ; implicit-def: $vgpr9
	s_nop 1
	v_cndmask_b32_e32 v3, v3, v5, vcc
	v_cndmask_b32_e32 v2, v2, v4, vcc
                                        ; implicit-def: $vgpr4_vgpr5
.LBB190_101:
	s_or_saveexec_b64 s[6:7], s[6:7]
	v_mov_b32_e32 v10, 1
	s_xor_b64 exec, exec, s[6:7]
	s_cbranch_execz .LBB190_103
; %bb.102:
	v_and_b32_e32 v1, 1, v1
	v_cmp_eq_u32_e32 vcc, 1, v1
	v_and_b32_e32 v1, 0xff, v9
	s_waitcnt lgkmcnt(0)
	v_cndmask_b32_e32 v3, v5, v3, vcc
	v_cndmask_b32_e32 v2, v4, v2, vcc
	v_cndmask_b32_e64 v10, v1, 1, vcc
.LBB190_103:
	s_or_b64 exec, exec, s[6:7]
	v_mov_b32_e32 v1, v10
.LBB190_104:
	s_or_b64 exec, exec, s[4:5]
	v_cmp_gt_u32_e32 vcc, 62, v7
	v_add_u32_e32 v10, 2, v7
	s_waitcnt lgkmcnt(1)
	v_cndmask_b32_e64 v4, 0, 2, vcc
	s_waitcnt lgkmcnt(0)
	v_add_lshl_u32 v5, v4, v6, 2
	ds_bpermute_b32 v9, v5, v1
	ds_bpermute_b32 v4, v5, v2
	ds_bpermute_b32 v5, v5, v3
	v_cmp_lt_u32_e32 vcc, v10, v8
	s_and_saveexec_b64 s[4:5], vcc
	s_cbranch_execz .LBB190_110
; %bb.105:
	s_waitcnt lgkmcnt(2)
	v_and_b32_e32 v10, v1, v9
	v_and_b32_e32 v10, 1, v10
	v_cmp_eq_u32_e32 vcc, 1, v10
	s_and_saveexec_b64 s[6:7], vcc
	s_xor_b64 s[6:7], exec, s[6:7]
	s_cbranch_execz .LBB190_107
; %bb.106:
	s_waitcnt lgkmcnt(0)
	v_cmp_lt_i64_e32 vcc, v[4:5], v[2:3]
                                        ; implicit-def: $vgpr1
                                        ; implicit-def: $vgpr9
	s_nop 1
	v_cndmask_b32_e32 v3, v3, v5, vcc
	v_cndmask_b32_e32 v2, v2, v4, vcc
                                        ; implicit-def: $vgpr4_vgpr5
.LBB190_107:
	s_or_saveexec_b64 s[6:7], s[6:7]
	v_mov_b32_e32 v10, 1
	s_xor_b64 exec, exec, s[6:7]
	s_cbranch_execz .LBB190_109
; %bb.108:
	v_and_b32_e32 v1, 1, v1
	v_cmp_eq_u32_e32 vcc, 1, v1
	v_and_b32_e32 v1, 0xff, v9
	s_waitcnt lgkmcnt(0)
	v_cndmask_b32_e32 v3, v5, v3, vcc
	v_cndmask_b32_e32 v2, v4, v2, vcc
	v_cndmask_b32_e64 v10, v1, 1, vcc
.LBB190_109:
	s_or_b64 exec, exec, s[6:7]
	v_mov_b32_e32 v1, v10
.LBB190_110:
	s_or_b64 exec, exec, s[4:5]
	v_cmp_gt_u32_e32 vcc, 60, v7
	v_add_u32_e32 v10, 4, v7
	s_waitcnt lgkmcnt(1)
	v_cndmask_b32_e64 v4, 0, 4, vcc
	s_waitcnt lgkmcnt(0)
	v_add_lshl_u32 v5, v4, v6, 2
	ds_bpermute_b32 v9, v5, v1
	ds_bpermute_b32 v4, v5, v2
	ds_bpermute_b32 v5, v5, v3
	v_cmp_lt_u32_e32 vcc, v10, v8
	s_and_saveexec_b64 s[4:5], vcc
	s_cbranch_execz .LBB190_116
; %bb.111:
	s_waitcnt lgkmcnt(2)
	v_and_b32_e32 v10, v1, v9
	v_and_b32_e32 v10, 1, v10
	v_cmp_eq_u32_e32 vcc, 1, v10
	s_and_saveexec_b64 s[6:7], vcc
	s_xor_b64 s[6:7], exec, s[6:7]
	s_cbranch_execz .LBB190_113
; %bb.112:
	s_waitcnt lgkmcnt(0)
	v_cmp_lt_i64_e32 vcc, v[4:5], v[2:3]
                                        ; implicit-def: $vgpr1
                                        ; implicit-def: $vgpr9
	s_nop 1
	v_cndmask_b32_e32 v3, v3, v5, vcc
	v_cndmask_b32_e32 v2, v2, v4, vcc
                                        ; implicit-def: $vgpr4_vgpr5
.LBB190_113:
	s_or_saveexec_b64 s[6:7], s[6:7]
	v_mov_b32_e32 v10, 1
	s_xor_b64 exec, exec, s[6:7]
	s_cbranch_execz .LBB190_115
; %bb.114:
	v_and_b32_e32 v1, 1, v1
	v_cmp_eq_u32_e32 vcc, 1, v1
	v_and_b32_e32 v1, 0xff, v9
	s_waitcnt lgkmcnt(0)
	v_cndmask_b32_e32 v3, v5, v3, vcc
	v_cndmask_b32_e32 v2, v4, v2, vcc
	v_cndmask_b32_e64 v10, v1, 1, vcc
.LBB190_115:
	s_or_b64 exec, exec, s[6:7]
	v_mov_b32_e32 v1, v10
.LBB190_116:
	;; [unrolled: 47-line block ×4, first 2 shown]
	s_or_b64 exec, exec, s[4:5]
	s_waitcnt lgkmcnt(2)
	v_lshlrev_b32_e32 v9, 2, v6
	s_waitcnt lgkmcnt(0)
	v_or_b32_e32 v5, 0x80, v9
	ds_bpermute_b32 v10, v5, v1
	ds_bpermute_b32 v4, v5, v2
	;; [unrolled: 1-line block ×3, first 2 shown]
	v_add_u32_e32 v7, 32, v7
	v_cmp_lt_u32_e32 vcc, v7, v8
	v_mov_b32_e32 v7, v1
	s_and_saveexec_b64 s[4:5], vcc
	s_cbranch_execz .LBB190_134
; %bb.129:
	s_waitcnt lgkmcnt(2)
	v_and_b32_e32 v7, v1, v10
	v_and_b32_e32 v7, 1, v7
	v_cmp_eq_u32_e32 vcc, 1, v7
	s_and_saveexec_b64 s[6:7], vcc
	s_xor_b64 s[6:7], exec, s[6:7]
	s_cbranch_execz .LBB190_131
; %bb.130:
	s_waitcnt lgkmcnt(0)
	v_cmp_lt_i64_e32 vcc, v[4:5], v[2:3]
                                        ; implicit-def: $vgpr1
                                        ; implicit-def: $vgpr10
	s_nop 1
	v_cndmask_b32_e32 v3, v3, v5, vcc
	v_cndmask_b32_e32 v2, v2, v4, vcc
                                        ; implicit-def: $vgpr4_vgpr5
.LBB190_131:
	s_or_saveexec_b64 s[6:7], s[6:7]
	v_mov_b32_e32 v7, 1
	s_xor_b64 exec, exec, s[6:7]
	s_cbranch_execz .LBB190_133
; %bb.132:
	v_and_b32_e32 v1, 1, v1
	v_cmp_eq_u32_e32 vcc, 1, v1
	s_nop 1
	v_cndmask_b32_e64 v7, v10, 1, vcc
	s_waitcnt lgkmcnt(0)
	v_cndmask_b32_e32 v3, v5, v3, vcc
	v_cndmask_b32_e32 v2, v4, v2, vcc
.LBB190_133:
	s_or_b64 exec, exec, s[6:7]
	v_and_b32_e32 v1, 0xff, v7
.LBB190_134:
	s_or_b64 exec, exec, s[4:5]
	v_cmp_eq_u32_e32 vcc, 0, v6
	s_and_saveexec_b64 s[4:5], vcc
	s_cbranch_execz .LBB190_136
; %bb.135:
	s_waitcnt lgkmcnt(1)
	v_lshrrev_b32_e32 v4, 2, v0
	v_and_b32_e32 v4, 16, v4
	ds_write_b8 v4, v7 offset:128
	ds_write_b64 v4, v[2:3] offset:136
.LBB190_136:
	s_or_b64 exec, exec, s[4:5]
	v_cmp_gt_u32_e32 vcc, 2, v0
	s_waitcnt lgkmcnt(0)
	s_barrier
	s_and_saveexec_b64 s[4:5], vcc
	s_cbranch_execz .LBB190_144
; %bb.137:
	v_lshlrev_b32_e32 v1, 4, v6
	ds_read_u8 v7, v1 offset:128
	ds_read_b64 v[2:3], v1 offset:136
	v_or_b32_e32 v5, 4, v9
	s_add_i32 s8, s8, 63
	v_and_b32_e32 v6, 1, v6
	s_waitcnt lgkmcnt(1)
	v_and_b32_e32 v1, 0xff, v7
	s_waitcnt lgkmcnt(0)
	ds_bpermute_b32 v4, v5, v2
	ds_bpermute_b32 v8, v5, v1
	;; [unrolled: 1-line block ×3, first 2 shown]
	s_lshr_b32 s6, s8, 6
	v_add_u32_e32 v6, 1, v6
	v_cmp_gt_u32_e32 vcc, s6, v6
	s_and_saveexec_b64 s[6:7], vcc
	s_cbranch_execz .LBB190_143
; %bb.138:
	s_waitcnt lgkmcnt(1)
	v_and_b32_e32 v1, v1, v8
	v_and_b32_e32 v1, 1, v1
	v_cmp_eq_u32_e32 vcc, 1, v1
	s_and_saveexec_b64 s[8:9], vcc
	s_xor_b64 s[8:9], exec, s[8:9]
	s_cbranch_execz .LBB190_140
; %bb.139:
	s_waitcnt lgkmcnt(0)
	v_cmp_lt_i64_e32 vcc, v[4:5], v[2:3]
                                        ; implicit-def: $vgpr7
                                        ; implicit-def: $vgpr8
	s_nop 1
	v_cndmask_b32_e32 v3, v3, v5, vcc
	v_cndmask_b32_e32 v2, v2, v4, vcc
                                        ; implicit-def: $vgpr4_vgpr5
.LBB190_140:
	s_or_saveexec_b64 s[8:9], s[8:9]
	v_mov_b32_e32 v1, 1
	s_xor_b64 exec, exec, s[8:9]
	s_cbranch_execz .LBB190_142
; %bb.141:
	v_and_b32_e32 v1, 1, v7
	v_cmp_eq_u32_e32 vcc, 1, v1
	s_waitcnt lgkmcnt(0)
	s_nop 0
	v_cndmask_b32_e32 v3, v5, v3, vcc
	v_cndmask_b32_e32 v2, v4, v2, vcc
	v_cndmask_b32_e64 v1, v8, 1, vcc
.LBB190_142:
	s_or_b64 exec, exec, s[8:9]
.LBB190_143:
	s_or_b64 exec, exec, s[6:7]
.LBB190_144:
	s_or_b64 exec, exec, s[4:5]
.LBB190_145:
	v_cmp_eq_u32_e32 vcc, 0, v0
	s_mov_b64 s[12:13], 0
                                        ; implicit-def: $vgpr4_vgpr5
                                        ; implicit-def: $vgpr6
	s_and_saveexec_b64 s[4:5], vcc
	s_xor_b64 s[8:9], exec, s[4:5]
	s_cbranch_execz .LBB190_149
; %bb.146:
	s_cmp_eq_u64 s[22:23], 0
	s_waitcnt lgkmcnt(0)
	v_mov_b64_e32 v[4:5], s[18:19]
	v_mov_b32_e32 v6, s33
	s_cbranch_scc1 .LBB190_148
; %bb.147:
	s_bitcmp1_b32 s33, 0
	v_and_b32_e32 v4, 1, v1
	v_cmp_eq_u32_e32 vcc, 1, v4
	v_cmp_gt_i64_e64 s[4:5], s[18:19], v[2:3]
	s_cselect_b64 s[6:7], -1, 0
	v_cndmask_b32_e64 v6, v1, 1, s[6:7]
	v_mov_b32_e32 v1, s18
	s_and_b64 vcc, vcc, s[4:5]
	v_mov_b32_e32 v4, s19
	v_cndmask_b32_e32 v1, v1, v2, vcc
	v_cndmask_b32_e32 v4, v4, v3, vcc
	v_cndmask_b32_e64 v5, v3, v4, s[6:7]
	v_cndmask_b32_e64 v4, v2, v1, s[6:7]
.LBB190_148:
	s_mov_b64 s[12:13], exec
.LBB190_149:
	s_or_b64 exec, exec, s[8:9]
	v_mov_b64_e32 v[2:3], s[2:3]
	s_and_b64 vcc, exec, s[28:29]
	s_cbranch_vccnz .LBB190_16
.LBB190_150:
	s_branch .LBB190_306
.LBB190_151:
	v_lshlrev_b32_e32 v4, 3, v0
	global_load_dwordx2 v[16:17], v4, s[14:15] offset:3072
	global_load_dwordx2 v[18:19], v4, s[16:17] offset:3072
	v_mov_b32_e32 v11, 0
	v_lshl_add_u64 v[4:5], s[28:29], 0, v[10:11]
	s_waitcnt vmcnt(0)
	v_cmp_neq_f64_e64 s[8:9], v[16:17], v[18:19]
	s_nop 1
	v_cndmask_b32_e64 v12, 0, 1, s[8:9]
	s_or_b64 exec, exec, s[10:11]
	s_and_saveexec_b64 s[10:11], s[6:7]
	s_cbranch_execz .LBB190_60
.LBB190_152:
	v_and_b32_e32 v1, 1, v1
	v_cmp_eq_u32_e64 s[6:7], 1, v1
	v_and_b32_e32 v1, 1, v14
	v_cmp_eq_u32_e64 s[8:9], 1, v1
	s_and_b64 s[8:9], s[6:7], s[8:9]
	s_xor_b64 s[8:9], s[8:9], -1
                                        ; implicit-def: $vgpr1
	s_and_saveexec_b64 s[14:15], s[8:9]
	s_xor_b64 s[8:9], exec, s[14:15]
; %bb.153:
	v_and_b32_e32 v1, 0xffff, v14
	v_cndmask_b32_e64 v1, v1, 1, s[6:7]
	v_cndmask_b32_e64 v3, v9, v3, s[6:7]
	;; [unrolled: 1-line block ×3, first 2 shown]
                                        ; implicit-def: $vgpr8_vgpr9
; %bb.154:
	s_andn2_saveexec_b64 s[8:9], s[8:9]
; %bb.155:
	v_cmp_lt_i64_e64 s[6:7], v[8:9], v[2:3]
	v_mov_b32_e32 v1, 1
	s_nop 0
	v_cndmask_b32_e64 v3, v3, v9, s[6:7]
	v_cndmask_b32_e64 v2, v2, v8, s[6:7]
; %bb.156:
	s_or_b64 exec, exec, s[8:9]
	s_or_b64 exec, exec, s[10:11]
	s_and_saveexec_b64 s[8:9], s[4:5]
	s_cbranch_execz .LBB190_61
.LBB190_157:
	v_and_b32_e32 v1, 1, v1
	v_cmp_eq_u32_e64 s[4:5], 1, v1
	v_and_b32_e32 v1, 1, v13
	v_cmp_eq_u32_e64 s[6:7], 1, v1
	s_and_b64 s[6:7], s[4:5], s[6:7]
	s_xor_b64 s[6:7], s[6:7], -1
                                        ; implicit-def: $vgpr1
	s_and_saveexec_b64 s[10:11], s[6:7]
	s_xor_b64 s[6:7], exec, s[10:11]
; %bb.158:
	v_and_b32_e32 v1, 0xffff, v13
	v_cndmask_b32_e64 v1, v1, 1, s[4:5]
	v_cndmask_b32_e64 v3, v7, v3, s[4:5]
	;; [unrolled: 1-line block ×3, first 2 shown]
                                        ; implicit-def: $vgpr6_vgpr7
; %bb.159:
	s_andn2_saveexec_b64 s[6:7], s[6:7]
; %bb.160:
	v_cmp_lt_i64_e64 s[4:5], v[6:7], v[2:3]
	v_mov_b32_e32 v1, 1
	s_nop 0
	v_cndmask_b32_e64 v3, v3, v7, s[4:5]
	v_cndmask_b32_e64 v2, v2, v6, s[4:5]
; %bb.161:
	s_or_b64 exec, exec, s[6:7]
	s_or_b64 exec, exec, s[8:9]
	s_and_saveexec_b64 s[6:7], vcc
	s_cbranch_execz .LBB190_167
.LBB190_162:
	v_and_b32_e32 v1, 1, v1
	v_cmp_eq_u32_e32 vcc, 1, v1
	v_and_b32_e32 v1, 1, v12
	v_cmp_eq_u32_e64 s[4:5], 1, v1
	s_and_b64 s[4:5], vcc, s[4:5]
	s_xor_b64 s[4:5], s[4:5], -1
                                        ; implicit-def: $vgpr1
	s_and_saveexec_b64 s[8:9], s[4:5]
	s_xor_b64 s[4:5], exec, s[8:9]
; %bb.163:
	v_and_b32_e32 v1, 0xffff, v12
	v_cndmask_b32_e64 v1, v1, 1, vcc
	v_cndmask_b32_e32 v3, v5, v3, vcc
	v_cndmask_b32_e32 v2, v4, v2, vcc
                                        ; implicit-def: $vgpr4_vgpr5
; %bb.164:
	s_andn2_saveexec_b64 s[4:5], s[4:5]
; %bb.165:
	v_cmp_lt_i64_e32 vcc, v[4:5], v[2:3]
	v_mov_b32_e32 v1, 1
	s_nop 0
	v_cndmask_b32_e32 v3, v3, v5, vcc
	v_cndmask_b32_e32 v2, v2, v4, vcc
; %bb.166:
	s_or_b64 exec, exec, s[4:5]
.LBB190_167:
	s_or_b64 exec, exec, s[6:7]
	v_mbcnt_lo_u32_b32 v4, -1, 0
	v_mbcnt_hi_u32_b32 v6, -1, v4
	v_and_b32_e32 v7, 63, v6
	v_cmp_ne_u32_e32 vcc, 63, v7
	s_min_u32 s8, s30, 0x80
	v_and_b32_e32 v8, 64, v0
	v_addc_co_u32_e32 v4, vcc, 0, v6, vcc
	v_lshlrev_b32_e32 v5, 2, v4
	ds_bpermute_b32 v9, v5, v1
	ds_bpermute_b32 v4, v5, v2
	ds_bpermute_b32 v5, v5, v3
	v_sub_u32_e64 v8, s8, v8 clamp
	v_add_u32_e32 v10, 1, v7
	v_cmp_lt_u32_e32 vcc, v10, v8
	s_and_saveexec_b64 s[4:5], vcc
	s_xor_b64 s[4:5], exec, s[4:5]
	s_cbranch_execz .LBB190_173
; %bb.168:
	s_waitcnt lgkmcnt(2)
	v_and_b32_e32 v10, v9, v1
	v_cmp_ne_u32_e32 vcc, 0, v10
	s_and_saveexec_b64 s[6:7], vcc
	s_xor_b64 s[6:7], exec, s[6:7]
	s_cbranch_execz .LBB190_170
; %bb.169:
	s_waitcnt lgkmcnt(0)
	v_cmp_lt_i64_e32 vcc, v[4:5], v[2:3]
                                        ; implicit-def: $vgpr1
                                        ; implicit-def: $vgpr9
	s_nop 1
	v_cndmask_b32_e32 v3, v3, v5, vcc
	v_cndmask_b32_e32 v2, v2, v4, vcc
                                        ; implicit-def: $vgpr4_vgpr5
.LBB190_170:
	s_or_saveexec_b64 s[6:7], s[6:7]
	v_mov_b32_e32 v10, 1
	s_xor_b64 exec, exec, s[6:7]
	s_cbranch_execz .LBB190_172
; %bb.171:
	v_and_b32_e32 v1, 1, v1
	v_cmp_eq_u32_e32 vcc, 1, v1
	v_and_b32_e32 v1, 0xff, v9
	s_waitcnt lgkmcnt(0)
	v_cndmask_b32_e32 v3, v5, v3, vcc
	v_cndmask_b32_e32 v2, v4, v2, vcc
	v_cndmask_b32_e64 v10, v1, 1, vcc
.LBB190_172:
	s_or_b64 exec, exec, s[6:7]
	v_mov_b32_e32 v1, v10
.LBB190_173:
	s_or_b64 exec, exec, s[4:5]
	v_cmp_gt_u32_e32 vcc, 62, v7
	v_add_u32_e32 v10, 2, v7
	s_waitcnt lgkmcnt(1)
	v_cndmask_b32_e64 v4, 0, 2, vcc
	s_waitcnt lgkmcnt(0)
	v_add_lshl_u32 v5, v4, v6, 2
	ds_bpermute_b32 v9, v5, v1
	ds_bpermute_b32 v4, v5, v2
	ds_bpermute_b32 v5, v5, v3
	v_cmp_lt_u32_e32 vcc, v10, v8
	s_and_saveexec_b64 s[4:5], vcc
	s_cbranch_execz .LBB190_179
; %bb.174:
	s_waitcnt lgkmcnt(2)
	v_and_b32_e32 v10, v1, v9
	v_and_b32_e32 v10, 1, v10
	v_cmp_eq_u32_e32 vcc, 1, v10
	s_and_saveexec_b64 s[6:7], vcc
	s_xor_b64 s[6:7], exec, s[6:7]
	s_cbranch_execz .LBB190_176
; %bb.175:
	s_waitcnt lgkmcnt(0)
	v_cmp_lt_i64_e32 vcc, v[4:5], v[2:3]
                                        ; implicit-def: $vgpr1
                                        ; implicit-def: $vgpr9
	s_nop 1
	v_cndmask_b32_e32 v3, v3, v5, vcc
	v_cndmask_b32_e32 v2, v2, v4, vcc
                                        ; implicit-def: $vgpr4_vgpr5
.LBB190_176:
	s_or_saveexec_b64 s[6:7], s[6:7]
	v_mov_b32_e32 v10, 1
	s_xor_b64 exec, exec, s[6:7]
	s_cbranch_execz .LBB190_178
; %bb.177:
	v_and_b32_e32 v1, 1, v1
	v_cmp_eq_u32_e32 vcc, 1, v1
	v_and_b32_e32 v1, 0xff, v9
	s_waitcnt lgkmcnt(0)
	v_cndmask_b32_e32 v3, v5, v3, vcc
	v_cndmask_b32_e32 v2, v4, v2, vcc
	v_cndmask_b32_e64 v10, v1, 1, vcc
.LBB190_178:
	s_or_b64 exec, exec, s[6:7]
	v_mov_b32_e32 v1, v10
.LBB190_179:
	s_or_b64 exec, exec, s[4:5]
	v_cmp_gt_u32_e32 vcc, 60, v7
	v_add_u32_e32 v10, 4, v7
	s_waitcnt lgkmcnt(1)
	v_cndmask_b32_e64 v4, 0, 4, vcc
	s_waitcnt lgkmcnt(0)
	v_add_lshl_u32 v5, v4, v6, 2
	ds_bpermute_b32 v9, v5, v1
	ds_bpermute_b32 v4, v5, v2
	ds_bpermute_b32 v5, v5, v3
	v_cmp_lt_u32_e32 vcc, v10, v8
	s_and_saveexec_b64 s[4:5], vcc
	s_cbranch_execz .LBB190_185
; %bb.180:
	s_waitcnt lgkmcnt(2)
	v_and_b32_e32 v10, v1, v9
	v_and_b32_e32 v10, 1, v10
	v_cmp_eq_u32_e32 vcc, 1, v10
	s_and_saveexec_b64 s[6:7], vcc
	s_xor_b64 s[6:7], exec, s[6:7]
	s_cbranch_execz .LBB190_182
; %bb.181:
	s_waitcnt lgkmcnt(0)
	v_cmp_lt_i64_e32 vcc, v[4:5], v[2:3]
                                        ; implicit-def: $vgpr1
                                        ; implicit-def: $vgpr9
	s_nop 1
	v_cndmask_b32_e32 v3, v3, v5, vcc
	v_cndmask_b32_e32 v2, v2, v4, vcc
                                        ; implicit-def: $vgpr4_vgpr5
.LBB190_182:
	s_or_saveexec_b64 s[6:7], s[6:7]
	v_mov_b32_e32 v10, 1
	s_xor_b64 exec, exec, s[6:7]
	s_cbranch_execz .LBB190_184
; %bb.183:
	v_and_b32_e32 v1, 1, v1
	v_cmp_eq_u32_e32 vcc, 1, v1
	v_and_b32_e32 v1, 0xff, v9
	s_waitcnt lgkmcnt(0)
	v_cndmask_b32_e32 v3, v5, v3, vcc
	v_cndmask_b32_e32 v2, v4, v2, vcc
	v_cndmask_b32_e64 v10, v1, 1, vcc
.LBB190_184:
	s_or_b64 exec, exec, s[6:7]
	v_mov_b32_e32 v1, v10
.LBB190_185:
	s_or_b64 exec, exec, s[4:5]
	v_cmp_gt_u32_e32 vcc, 56, v7
	v_add_u32_e32 v10, 8, v7
	s_waitcnt lgkmcnt(1)
	v_cndmask_b32_e64 v4, 0, 8, vcc
	s_waitcnt lgkmcnt(0)
	v_add_lshl_u32 v5, v4, v6, 2
	ds_bpermute_b32 v9, v5, v1
	ds_bpermute_b32 v4, v5, v2
	ds_bpermute_b32 v5, v5, v3
	v_cmp_lt_u32_e32 vcc, v10, v8
	s_and_saveexec_b64 s[4:5], vcc
	s_cbranch_execz .LBB190_191
; %bb.186:
	s_waitcnt lgkmcnt(2)
	v_and_b32_e32 v10, v1, v9
	v_and_b32_e32 v10, 1, v10
	v_cmp_eq_u32_e32 vcc, 1, v10
	s_and_saveexec_b64 s[6:7], vcc
	s_xor_b64 s[6:7], exec, s[6:7]
	s_cbranch_execz .LBB190_188
; %bb.187:
	s_waitcnt lgkmcnt(0)
	v_cmp_lt_i64_e32 vcc, v[4:5], v[2:3]
                                        ; implicit-def: $vgpr1
                                        ; implicit-def: $vgpr9
	s_nop 1
	v_cndmask_b32_e32 v3, v3, v5, vcc
	v_cndmask_b32_e32 v2, v2, v4, vcc
                                        ; implicit-def: $vgpr4_vgpr5
.LBB190_188:
	s_or_saveexec_b64 s[6:7], s[6:7]
	v_mov_b32_e32 v10, 1
	s_xor_b64 exec, exec, s[6:7]
	s_cbranch_execz .LBB190_190
; %bb.189:
	v_and_b32_e32 v1, 1, v1
	v_cmp_eq_u32_e32 vcc, 1, v1
	v_and_b32_e32 v1, 0xff, v9
	s_waitcnt lgkmcnt(0)
	v_cndmask_b32_e32 v3, v5, v3, vcc
	v_cndmask_b32_e32 v2, v4, v2, vcc
	v_cndmask_b32_e64 v10, v1, 1, vcc
.LBB190_190:
	s_or_b64 exec, exec, s[6:7]
	v_mov_b32_e32 v1, v10
.LBB190_191:
	s_or_b64 exec, exec, s[4:5]
	v_cmp_gt_u32_e32 vcc, 48, v7
	v_add_u32_e32 v10, 16, v7
	s_waitcnt lgkmcnt(1)
	v_cndmask_b32_e64 v4, 0, 16, vcc
	s_waitcnt lgkmcnt(0)
	v_add_lshl_u32 v5, v4, v6, 2
	ds_bpermute_b32 v9, v5, v1
	ds_bpermute_b32 v4, v5, v2
	ds_bpermute_b32 v5, v5, v3
	v_cmp_lt_u32_e32 vcc, v10, v8
	s_and_saveexec_b64 s[4:5], vcc
	s_cbranch_execz .LBB190_197
; %bb.192:
	s_waitcnt lgkmcnt(2)
	v_and_b32_e32 v10, v1, v9
	v_and_b32_e32 v10, 1, v10
	v_cmp_eq_u32_e32 vcc, 1, v10
	s_and_saveexec_b64 s[6:7], vcc
	s_xor_b64 s[6:7], exec, s[6:7]
	s_cbranch_execz .LBB190_194
; %bb.193:
	s_waitcnt lgkmcnt(0)
	v_cmp_lt_i64_e32 vcc, v[4:5], v[2:3]
                                        ; implicit-def: $vgpr1
                                        ; implicit-def: $vgpr9
	s_nop 1
	v_cndmask_b32_e32 v3, v3, v5, vcc
	v_cndmask_b32_e32 v2, v2, v4, vcc
                                        ; implicit-def: $vgpr4_vgpr5
.LBB190_194:
	s_or_saveexec_b64 s[6:7], s[6:7]
	v_mov_b32_e32 v10, 1
	s_xor_b64 exec, exec, s[6:7]
	s_cbranch_execz .LBB190_196
; %bb.195:
	v_and_b32_e32 v1, 1, v1
	v_cmp_eq_u32_e32 vcc, 1, v1
	v_and_b32_e32 v1, 0xff, v9
	s_waitcnt lgkmcnt(0)
	v_cndmask_b32_e32 v3, v5, v3, vcc
	v_cndmask_b32_e32 v2, v4, v2, vcc
	v_cndmask_b32_e64 v10, v1, 1, vcc
.LBB190_196:
	s_or_b64 exec, exec, s[6:7]
	v_mov_b32_e32 v1, v10
.LBB190_197:
	s_or_b64 exec, exec, s[4:5]
	s_waitcnt lgkmcnt(2)
	v_lshlrev_b32_e32 v9, 2, v6
	s_waitcnt lgkmcnt(0)
	v_or_b32_e32 v5, 0x80, v9
	ds_bpermute_b32 v10, v5, v1
	ds_bpermute_b32 v4, v5, v2
	;; [unrolled: 1-line block ×3, first 2 shown]
	v_add_u32_e32 v7, 32, v7
	v_cmp_lt_u32_e32 vcc, v7, v8
	v_mov_b32_e32 v7, v1
	s_and_saveexec_b64 s[4:5], vcc
	s_cbranch_execz .LBB190_203
; %bb.198:
	s_waitcnt lgkmcnt(2)
	v_and_b32_e32 v7, v1, v10
	v_and_b32_e32 v7, 1, v7
	v_cmp_eq_u32_e32 vcc, 1, v7
	s_and_saveexec_b64 s[6:7], vcc
	s_xor_b64 s[6:7], exec, s[6:7]
	s_cbranch_execz .LBB190_200
; %bb.199:
	s_waitcnt lgkmcnt(0)
	v_cmp_lt_i64_e32 vcc, v[4:5], v[2:3]
                                        ; implicit-def: $vgpr1
                                        ; implicit-def: $vgpr10
	s_nop 1
	v_cndmask_b32_e32 v3, v3, v5, vcc
	v_cndmask_b32_e32 v2, v2, v4, vcc
                                        ; implicit-def: $vgpr4_vgpr5
.LBB190_200:
	s_or_saveexec_b64 s[6:7], s[6:7]
	v_mov_b32_e32 v7, 1
	s_xor_b64 exec, exec, s[6:7]
	s_cbranch_execz .LBB190_202
; %bb.201:
	v_and_b32_e32 v1, 1, v1
	v_cmp_eq_u32_e32 vcc, 1, v1
	s_nop 1
	v_cndmask_b32_e64 v7, v10, 1, vcc
	s_waitcnt lgkmcnt(0)
	v_cndmask_b32_e32 v3, v5, v3, vcc
	v_cndmask_b32_e32 v2, v4, v2, vcc
.LBB190_202:
	s_or_b64 exec, exec, s[6:7]
	v_and_b32_e32 v1, 0xff, v7
.LBB190_203:
	s_or_b64 exec, exec, s[4:5]
	v_cmp_eq_u32_e32 vcc, 0, v6
	s_and_saveexec_b64 s[4:5], vcc
	s_cbranch_execz .LBB190_205
; %bb.204:
	s_waitcnt lgkmcnt(1)
	v_lshrrev_b32_e32 v4, 2, v0
	v_and_b32_e32 v4, 16, v4
	ds_write_b8 v4, v7 offset:128
	ds_write_b64 v4, v[2:3] offset:136
.LBB190_205:
	s_or_b64 exec, exec, s[4:5]
	v_cmp_gt_u32_e32 vcc, 2, v0
	s_waitcnt lgkmcnt(0)
	s_barrier
	s_and_saveexec_b64 s[4:5], vcc
	s_cbranch_execz .LBB190_213
; %bb.206:
	v_lshlrev_b32_e32 v1, 4, v6
	ds_read_u8 v7, v1 offset:128
	ds_read_b64 v[2:3], v1 offset:136
	v_or_b32_e32 v5, 4, v9
	s_add_i32 s8, s8, 63
	v_and_b32_e32 v6, 1, v6
	s_waitcnt lgkmcnt(1)
	v_and_b32_e32 v1, 0xff, v7
	s_waitcnt lgkmcnt(0)
	ds_bpermute_b32 v4, v5, v2
	ds_bpermute_b32 v8, v5, v1
	;; [unrolled: 1-line block ×3, first 2 shown]
	s_lshr_b32 s6, s8, 6
	v_add_u32_e32 v6, 1, v6
	v_cmp_gt_u32_e32 vcc, s6, v6
	s_and_saveexec_b64 s[6:7], vcc
	s_cbranch_execz .LBB190_212
; %bb.207:
	s_waitcnt lgkmcnt(1)
	v_and_b32_e32 v1, v1, v8
	v_and_b32_e32 v1, 1, v1
	v_cmp_eq_u32_e32 vcc, 1, v1
	s_and_saveexec_b64 s[8:9], vcc
	s_xor_b64 s[8:9], exec, s[8:9]
	s_cbranch_execz .LBB190_209
; %bb.208:
	s_waitcnt lgkmcnt(0)
	v_cmp_lt_i64_e32 vcc, v[4:5], v[2:3]
                                        ; implicit-def: $vgpr7
                                        ; implicit-def: $vgpr8
	s_nop 1
	v_cndmask_b32_e32 v3, v3, v5, vcc
	v_cndmask_b32_e32 v2, v2, v4, vcc
                                        ; implicit-def: $vgpr4_vgpr5
.LBB190_209:
	s_or_saveexec_b64 s[8:9], s[8:9]
	v_mov_b32_e32 v1, 1
	s_xor_b64 exec, exec, s[8:9]
	s_cbranch_execz .LBB190_211
; %bb.210:
	v_and_b32_e32 v1, 1, v7
	v_cmp_eq_u32_e32 vcc, 1, v1
	s_waitcnt lgkmcnt(0)
	s_nop 0
	v_cndmask_b32_e32 v3, v5, v3, vcc
	v_cndmask_b32_e32 v2, v4, v2, vcc
	v_cndmask_b32_e64 v1, v8, 1, vcc
.LBB190_211:
	s_or_b64 exec, exec, s[8:9]
.LBB190_212:
	s_or_b64 exec, exec, s[6:7]
.LBB190_213:
	s_or_b64 exec, exec, s[4:5]
.LBB190_214:
	v_cmp_eq_u32_e32 vcc, 0, v0
                                        ; implicit-def: $vgpr4_vgpr5
                                        ; implicit-def: $vgpr6
	s_and_saveexec_b64 s[4:5], vcc
	s_xor_b64 s[8:9], exec, s[4:5]
	s_cbranch_execz .LBB190_218
; %bb.215:
	s_cmp_eq_u64 s[22:23], 0
	s_waitcnt lgkmcnt(0)
	v_mov_b64_e32 v[4:5], s[18:19]
	v_mov_b32_e32 v6, s33
	s_cbranch_scc1 .LBB190_217
; %bb.216:
	s_bitcmp1_b32 s33, 0
	v_and_b32_e32 v4, 1, v1
	v_cmp_eq_u32_e32 vcc, 1, v4
	v_cmp_gt_i64_e64 s[4:5], s[18:19], v[2:3]
	s_cselect_b64 s[6:7], -1, 0
	v_cndmask_b32_e64 v6, v1, 1, s[6:7]
	v_mov_b32_e32 v1, s18
	s_and_b64 vcc, vcc, s[4:5]
	v_mov_b32_e32 v4, s19
	v_cndmask_b32_e32 v1, v1, v2, vcc
	v_cndmask_b32_e32 v4, v4, v3, vcc
	v_cndmask_b32_e64 v5, v3, v4, s[6:7]
	v_cndmask_b32_e64 v4, v2, v1, s[6:7]
.LBB190_217:
	s_or_b64 s[12:13], s[12:13], exec
.LBB190_218:
	s_or_b64 exec, exec, s[8:9]
	v_mov_b64_e32 v[2:3], s[2:3]
	s_branch .LBB190_306
.LBB190_219:
	s_cmp_gt_i32 s38, 1
	s_cbranch_scc0 .LBB190_231
; %bb.220:
	s_cmp_eq_u32 s38, 2
	s_cbranch_scc0 .LBB190_232
; %bb.221:
	s_mov_b32 s3, 0
	s_lshl_b32 s30, s2, 8
	s_mov_b32 s31, s3
	s_lshr_b64 s[4:5], s[22:23], 8
	s_lshl_b64 s[6:7], s[30:31], 3
	s_add_u32 s14, s24, s6
	s_addc_u32 s15, s25, s7
	s_add_u32 s16, s26, s6
	s_addc_u32 s17, s27, s7
	;; [unrolled: 2-line block ×3, first 2 shown]
	s_cmp_lg_u64 s[4:5], s[2:3]
	s_cbranch_scc0 .LBB190_233
; %bb.222:
	v_lshlrev_b32_e32 v1, 3, v0
	global_load_dwordx2 v[2:3], v1, s[16:17]
	s_waitcnt lgkmcnt(0)
	global_load_dwordx2 v[4:5], v1, s[16:17] offset:1024
	global_load_dwordx2 v[8:9], v1, s[14:15] offset:1024
	global_load_dwordx2 v[10:11], v1, s[14:15]
	v_mov_b32_e32 v1, 0
	s_mov_b64 s[4:5], 0x80
	v_lshl_add_u64 v[12:13], s[28:29], 0, v[0:1]
	v_lshl_add_u64 v[14:15], v[12:13], 0, s[4:5]
	v_mbcnt_lo_u32_b32 v6, -1, 0
	v_mbcnt_hi_u32_b32 v1, -1, v6
	v_lshlrev_b32_e32 v6, 2, v1
	v_or_b32_e32 v7, 0xfc, v6
	s_waitcnt vmcnt(1)
	v_cmp_neq_f64_e32 vcc, v[8:9], v[4:5]
	s_waitcnt vmcnt(0)
	v_cmp_neq_f64_e64 s[4:5], v[10:11], v[2:3]
	s_nop 1
	v_cndmask_b32_e64 v3, v15, v13, s[4:5]
	v_cndmask_b32_e64 v2, v14, v12, s[4:5]
	s_or_b64 s[4:5], s[4:5], vcc
	v_cndmask_b32_e64 v8, 0, 1, s[4:5]
	v_mov_b32_dpp v5, v3 quad_perm:[1,0,3,2] row_mask:0xf bank_mask:0xf bound_ctrl:1
	v_mov_b32_dpp v4, v2 quad_perm:[1,0,3,2] row_mask:0xf bank_mask:0xf bound_ctrl:1
	;; [unrolled: 1-line block ×3, first 2 shown]
	v_cmp_lt_i64_e32 vcc, v[2:3], v[4:5]
	v_and_b32_e32 v9, 1, v9
	s_and_b64 vcc, s[4:5], vcc
	v_cndmask_b32_e32 v4, v4, v2, vcc
	v_cndmask_b32_e32 v5, v5, v3, vcc
	v_cmp_eq_u32_e32 vcc, 1, v9
	s_nop 1
	v_cndmask_b32_e32 v3, v3, v5, vcc
	v_cndmask_b32_e32 v2, v2, v4, vcc
	v_cndmask_b32_e64 v8, v8, 1, vcc
	v_mov_b32_dpp v5, v3 quad_perm:[2,3,0,1] row_mask:0xf bank_mask:0xf bound_ctrl:1
	v_mov_b32_dpp v4, v2 quad_perm:[2,3,0,1] row_mask:0xf bank_mask:0xf bound_ctrl:1
	v_and_b32_e32 v10, 1, v8
	v_mov_b32_dpp v9, v8 quad_perm:[2,3,0,1] row_mask:0xf bank_mask:0xf bound_ctrl:1
	v_cmp_eq_u32_e32 vcc, 1, v10
	v_cmp_lt_i64_e64 s[4:5], v[2:3], v[4:5]
	v_and_b32_e32 v9, 1, v9
	s_and_b64 vcc, vcc, s[4:5]
	v_cmp_eq_u32_e64 s[6:7], 1, v9
	v_cndmask_b32_e32 v4, v4, v2, vcc
	v_cndmask_b32_e32 v5, v5, v3, vcc
	v_cndmask_b32_e64 v8, v8, 1, s[6:7]
	v_cndmask_b32_e64 v2, v2, v4, s[6:7]
	;; [unrolled: 1-line block ×3, first 2 shown]
	v_and_b32_e32 v10, 1, v8
	v_mov_b32_dpp v4, v2 row_ror:4 row_mask:0xf bank_mask:0xf bound_ctrl:1
	v_mov_b32_dpp v5, v3 row_ror:4 row_mask:0xf bank_mask:0xf bound_ctrl:1
	;; [unrolled: 1-line block ×3, first 2 shown]
	v_cmp_eq_u32_e32 vcc, 1, v10
	v_cmp_lt_i64_e64 s[6:7], v[2:3], v[4:5]
	v_and_b32_e32 v9, 1, v9
	s_and_b64 vcc, vcc, s[6:7]
	v_cmp_eq_u32_e64 s[4:5], 1, v9
	v_cndmask_b32_e32 v4, v4, v2, vcc
	v_cndmask_b32_e32 v5, v5, v3, vcc
	v_cndmask_b32_e64 v8, v8, 1, s[4:5]
	v_cndmask_b32_e64 v2, v2, v4, s[4:5]
	v_cndmask_b32_e64 v3, v3, v5, s[4:5]
	v_and_b32_e32 v10, 1, v8
	v_mov_b32_dpp v4, v2 row_ror:8 row_mask:0xf bank_mask:0xf bound_ctrl:1
	v_mov_b32_dpp v5, v3 row_ror:8 row_mask:0xf bank_mask:0xf bound_ctrl:1
	;; [unrolled: 1-line block ×3, first 2 shown]
	v_cmp_eq_u32_e64 s[6:7], 1, v10
	v_cmp_lt_i64_e64 s[8:9], v[2:3], v[4:5]
	v_and_b32_e32 v9, 1, v9
	s_and_b64 s[6:7], s[6:7], s[8:9]
	v_cmp_eq_u32_e32 vcc, 1, v9
	v_cndmask_b32_e64 v4, v4, v2, s[6:7]
	v_cndmask_b32_e64 v5, v5, v3, s[6:7]
	v_cndmask_b32_e64 v8, v8, 1, vcc
	v_cndmask_b32_e32 v2, v2, v4, vcc
	v_cndmask_b32_e32 v3, v3, v5, vcc
	v_and_b32_e32 v10, 1, v8
	v_mov_b32_dpp v4, v2 row_bcast:15 row_mask:0xf bank_mask:0xf bound_ctrl:1
	v_mov_b32_dpp v5, v3 row_bcast:15 row_mask:0xf bank_mask:0xf bound_ctrl:1
	;; [unrolled: 1-line block ×3, first 2 shown]
	v_cmp_eq_u32_e64 s[4:5], 1, v10
	v_cmp_lt_i64_e64 s[8:9], v[2:3], v[4:5]
	v_and_b32_e32 v9, 1, v9
	s_and_b64 s[4:5], s[4:5], s[8:9]
	v_cmp_eq_u32_e64 s[10:11], 1, v9
	v_cndmask_b32_e64 v4, v4, v2, s[4:5]
	v_cndmask_b32_e64 v5, v5, v3, s[4:5]
	;; [unrolled: 1-line block ×5, first 2 shown]
	v_and_b32_e32 v10, 1, v8
	v_mov_b32_dpp v4, v2 row_bcast:31 row_mask:0xf bank_mask:0xf bound_ctrl:1
	v_mov_b32_dpp v5, v3 row_bcast:31 row_mask:0xf bank_mask:0xf bound_ctrl:1
	;; [unrolled: 1-line block ×3, first 2 shown]
	v_cmp_eq_u32_e64 s[6:7], 1, v10
	v_cmp_lt_i64_e64 s[4:5], v[2:3], v[4:5]
	v_and_b32_e32 v9, 1, v9
	s_and_b64 s[4:5], s[6:7], s[4:5]
	v_cmp_eq_u32_e32 vcc, 1, v9
	v_cndmask_b32_e64 v4, v4, v2, s[4:5]
	v_cndmask_b32_e64 v5, v5, v3, s[4:5]
	v_cndmask_b32_e64 v8, v8, 1, vcc
	v_cndmask_b32_e32 v2, v2, v4, vcc
	v_cndmask_b32_e32 v3, v3, v5, vcc
	ds_bpermute_b32 v8, v7, v8
	ds_bpermute_b32 v2, v7, v2
	;; [unrolled: 1-line block ×3, first 2 shown]
	v_cmp_eq_u32_e32 vcc, 0, v1
	s_and_saveexec_b64 s[4:5], vcc
	s_cbranch_execz .LBB190_224
; %bb.223:
	v_lshrrev_b32_e32 v4, 2, v0
	v_and_b32_e32 v4, 16, v4
	s_waitcnt lgkmcnt(2)
	ds_write_b8 v4, v8 offset:32
	s_waitcnt lgkmcnt(1)
	ds_write_b64 v4, v[2:3] offset:40
.LBB190_224:
	s_or_b64 exec, exec, s[4:5]
	v_cmp_gt_u32_e32 vcc, 64, v0
	s_waitcnt lgkmcnt(0)
	s_barrier
	s_and_saveexec_b64 s[4:5], vcc
	s_cbranch_execz .LBB190_230
; %bb.225:
	v_and_b32_e32 v1, 1, v1
	v_lshlrev_b32_e32 v2, 4, v1
	ds_read_u8 v1, v2 offset:32
	ds_read_b64 v[4:5], v2 offset:40
	v_or_b32_e32 v3, 4, v6
	s_waitcnt lgkmcnt(1)
	v_and_b32_e32 v2, 0xff, v1
	ds_bpermute_b32 v9, v3, v2
	s_waitcnt lgkmcnt(1)
	ds_bpermute_b32 v6, v3, v4
	ds_bpermute_b32 v7, v3, v5
	s_waitcnt lgkmcnt(2)
	v_and_b32_e32 v2, v1, v9
	v_and_b32_e32 v2, 1, v2
	v_cmp_eq_u32_e32 vcc, 1, v2
                                        ; implicit-def: $vgpr2_vgpr3
	s_and_saveexec_b64 s[6:7], vcc
	s_xor_b64 s[6:7], exec, s[6:7]
	s_cbranch_execz .LBB190_227
; %bb.226:
	s_waitcnt lgkmcnt(0)
	v_cmp_lt_i64_e32 vcc, v[6:7], v[4:5]
                                        ; implicit-def: $vgpr1
                                        ; implicit-def: $vgpr9
	s_nop 1
	v_cndmask_b32_e32 v3, v5, v7, vcc
	v_cndmask_b32_e32 v2, v4, v6, vcc
                                        ; implicit-def: $vgpr6_vgpr7
                                        ; implicit-def: $vgpr4_vgpr5
.LBB190_227:
	s_or_saveexec_b64 s[6:7], s[6:7]
	v_mov_b32_e32 v8, 1
	s_xor_b64 exec, exec, s[6:7]
	s_cbranch_execz .LBB190_229
; %bb.228:
	v_and_b32_e32 v1, 1, v1
	v_cmp_eq_u32_e32 vcc, 1, v1
	s_waitcnt lgkmcnt(0)
	s_nop 0
	v_cndmask_b32_e32 v3, v7, v5, vcc
	v_cndmask_b32_e32 v2, v6, v4, vcc
	v_cndmask_b32_e64 v8, v9, 1, vcc
.LBB190_229:
	s_or_b64 exec, exec, s[6:7]
.LBB190_230:
	s_or_b64 exec, exec, s[4:5]
	s_branch .LBB190_285
.LBB190_231:
                                        ; implicit-def: $vgpr4_vgpr5
                                        ; implicit-def: $vgpr6
                                        ; implicit-def: $vgpr2_vgpr3
	s_cbranch_execnz .LBB190_290
	s_branch .LBB190_306
.LBB190_232:
                                        ; implicit-def: $vgpr4_vgpr5
                                        ; implicit-def: $vgpr6
                                        ; implicit-def: $vgpr2_vgpr3
	s_branch .LBB190_306
.LBB190_233:
                                        ; implicit-def: $vgpr2_vgpr3
                                        ; implicit-def: $vgpr8
	s_cbranch_execz .LBB190_285
; %bb.234:
	s_sub_i32 s10, s22, s30
	v_cmp_gt_u32_e32 vcc, s10, v0
	s_waitcnt lgkmcnt(0)
	v_mov_b32_e32 v7, 0
	v_mov_b64_e32 v[4:5], 0
	v_mov_b64_e32 v[2:3], 0
	v_mov_b32_e32 v1, 0
	s_and_saveexec_b64 s[4:5], vcc
	s_cbranch_execz .LBB190_236
; %bb.235:
	v_lshlrev_b32_e32 v1, 3, v0
	global_load_dwordx2 v[8:9], v1, s[14:15]
	global_load_dwordx2 v[10:11], v1, s[16:17]
	v_mov_b32_e32 v1, 0
	v_lshl_add_u64 v[2:3], s[28:29], 0, v[0:1]
	s_waitcnt vmcnt(0)
	v_cmp_neq_f64_e32 vcc, v[8:9], v[10:11]
	s_nop 1
	v_cndmask_b32_e64 v1, 0, 1, vcc
.LBB190_236:
	s_or_b64 exec, exec, s[4:5]
	v_or_b32_e32 v6, 0x80, v0
	v_cmp_gt_u32_e32 vcc, s10, v6
	s_and_saveexec_b64 s[6:7], vcc
	s_cbranch_execz .LBB190_238
; %bb.237:
	v_lshlrev_b32_e32 v4, 3, v0
	global_load_dwordx2 v[8:9], v4, s[14:15] offset:1024
	global_load_dwordx2 v[10:11], v4, s[16:17] offset:1024
	v_mov_b32_e32 v7, 0
	v_lshl_add_u64 v[4:5], s[28:29], 0, v[6:7]
	s_waitcnt vmcnt(0)
	v_cmp_neq_f64_e64 s[4:5], v[8:9], v[10:11]
	s_nop 1
	v_cndmask_b32_e64 v7, 0, 1, s[4:5]
.LBB190_238:
	s_or_b64 exec, exec, s[6:7]
	v_and_b32_e32 v8, 0xffff, v7
	v_and_b32_e32 v7, 1, v7
	;; [unrolled: 1-line block ×3, first 2 shown]
	v_cmp_eq_u32_e64 s[4:5], 1, v7
	v_and_b32_e32 v1, 1, v1
	v_cmp_lt_i64_e64 s[6:7], v[4:5], v[2:3]
	v_cmp_eq_u32_e64 s[8:9], 1, v1
	s_and_b64 s[4:5], s[4:5], s[6:7]
	v_cndmask_b32_e64 v7, v3, v5, s[4:5]
	v_cndmask_b32_e64 v1, v8, 1, s[8:9]
	v_cndmask_b32_e64 v8, v2, v4, s[4:5]
	v_cndmask_b32_e64 v4, v4, v8, s[8:9]
	v_cndmask_b32_e32 v8, v6, v1, vcc
	v_mbcnt_lo_u32_b32 v1, -1, 0
	v_mbcnt_hi_u32_b32 v1, -1, v1
	v_cndmask_b32_e64 v5, v5, v7, s[8:9]
	v_and_b32_e32 v6, 63, v1
	v_cndmask_b32_e32 v3, v3, v5, vcc
	v_cndmask_b32_e32 v2, v2, v4, vcc
	v_cmp_ne_u32_e32 vcc, 63, v6
	s_min_u32 s8, s10, 0x80
	v_and_b32_e32 v7, 64, v0
	v_addc_co_u32_e32 v4, vcc, 0, v1, vcc
	v_lshlrev_b32_e32 v5, 2, v4
	ds_bpermute_b32 v9, v5, v8
	ds_bpermute_b32 v4, v5, v2
	;; [unrolled: 1-line block ×3, first 2 shown]
	v_sub_u32_e64 v7, s8, v7 clamp
	v_add_u32_e32 v10, 1, v6
	v_cmp_lt_u32_e32 vcc, v10, v7
	s_and_saveexec_b64 s[4:5], vcc
	s_cbranch_execz .LBB190_244
; %bb.239:
	s_waitcnt lgkmcnt(2)
	v_and_b32_e32 v10, v9, v8
	v_cmp_ne_u32_e32 vcc, 0, v10
	s_and_saveexec_b64 s[6:7], vcc
	s_xor_b64 s[6:7], exec, s[6:7]
	s_cbranch_execz .LBB190_241
; %bb.240:
	s_waitcnt lgkmcnt(0)
	v_cmp_lt_i64_e32 vcc, v[4:5], v[2:3]
                                        ; implicit-def: $vgpr8
                                        ; implicit-def: $vgpr9
	s_nop 1
	v_cndmask_b32_e32 v3, v3, v5, vcc
	v_cndmask_b32_e32 v2, v2, v4, vcc
                                        ; implicit-def: $vgpr4_vgpr5
.LBB190_241:
	s_or_saveexec_b64 s[6:7], s[6:7]
	v_mov_b32_e32 v10, 1
	s_xor_b64 exec, exec, s[6:7]
	s_cbranch_execz .LBB190_243
; %bb.242:
	v_and_b32_e32 v8, 1, v8
	v_cmp_eq_u32_e32 vcc, 1, v8
	s_waitcnt lgkmcnt(1)
	s_nop 0
	v_cndmask_b32_e32 v2, v4, v2, vcc
	v_and_b32_e32 v4, 0xff, v9
	s_waitcnt lgkmcnt(0)
	v_cndmask_b32_e32 v3, v5, v3, vcc
	v_cndmask_b32_e64 v10, v4, 1, vcc
.LBB190_243:
	s_or_b64 exec, exec, s[6:7]
	v_mov_b32_e32 v8, v10
.LBB190_244:
	s_or_b64 exec, exec, s[4:5]
	v_cmp_gt_u32_e32 vcc, 62, v6
	v_add_u32_e32 v10, 2, v6
	s_waitcnt lgkmcnt(1)
	v_cndmask_b32_e64 v4, 0, 2, vcc
	s_waitcnt lgkmcnt(0)
	v_add_lshl_u32 v5, v4, v1, 2
	ds_bpermute_b32 v9, v5, v8
	ds_bpermute_b32 v4, v5, v2
	ds_bpermute_b32 v5, v5, v3
	v_cmp_lt_u32_e32 vcc, v10, v7
	s_and_saveexec_b64 s[4:5], vcc
	s_cbranch_execz .LBB190_250
; %bb.245:
	s_waitcnt lgkmcnt(2)
	v_and_b32_e32 v10, v8, v9
	v_and_b32_e32 v10, 1, v10
	v_cmp_eq_u32_e32 vcc, 1, v10
	s_and_saveexec_b64 s[6:7], vcc
	s_xor_b64 s[6:7], exec, s[6:7]
	s_cbranch_execz .LBB190_247
; %bb.246:
	s_waitcnt lgkmcnt(0)
	v_cmp_lt_i64_e32 vcc, v[4:5], v[2:3]
                                        ; implicit-def: $vgpr8
                                        ; implicit-def: $vgpr9
	s_nop 1
	v_cndmask_b32_e32 v3, v3, v5, vcc
	v_cndmask_b32_e32 v2, v2, v4, vcc
                                        ; implicit-def: $vgpr4_vgpr5
.LBB190_247:
	s_or_saveexec_b64 s[6:7], s[6:7]
	v_mov_b32_e32 v10, 1
	s_xor_b64 exec, exec, s[6:7]
	s_cbranch_execz .LBB190_249
; %bb.248:
	v_and_b32_e32 v8, 1, v8
	v_cmp_eq_u32_e32 vcc, 1, v8
	s_waitcnt lgkmcnt(1)
	s_nop 0
	v_cndmask_b32_e32 v2, v4, v2, vcc
	v_and_b32_e32 v4, 0xff, v9
	s_waitcnt lgkmcnt(0)
	v_cndmask_b32_e32 v3, v5, v3, vcc
	v_cndmask_b32_e64 v10, v4, 1, vcc
.LBB190_249:
	s_or_b64 exec, exec, s[6:7]
	v_mov_b32_e32 v8, v10
.LBB190_250:
	s_or_b64 exec, exec, s[4:5]
	v_cmp_gt_u32_e32 vcc, 60, v6
	v_add_u32_e32 v10, 4, v6
	s_waitcnt lgkmcnt(1)
	v_cndmask_b32_e64 v4, 0, 4, vcc
	s_waitcnt lgkmcnt(0)
	v_add_lshl_u32 v5, v4, v1, 2
	ds_bpermute_b32 v9, v5, v8
	ds_bpermute_b32 v4, v5, v2
	ds_bpermute_b32 v5, v5, v3
	v_cmp_lt_u32_e32 vcc, v10, v7
	s_and_saveexec_b64 s[4:5], vcc
	s_cbranch_execz .LBB190_256
; %bb.251:
	s_waitcnt lgkmcnt(2)
	v_and_b32_e32 v10, v8, v9
	v_and_b32_e32 v10, 1, v10
	v_cmp_eq_u32_e32 vcc, 1, v10
	s_and_saveexec_b64 s[6:7], vcc
	s_xor_b64 s[6:7], exec, s[6:7]
	s_cbranch_execz .LBB190_253
; %bb.252:
	s_waitcnt lgkmcnt(0)
	v_cmp_lt_i64_e32 vcc, v[4:5], v[2:3]
                                        ; implicit-def: $vgpr8
                                        ; implicit-def: $vgpr9
	s_nop 1
	v_cndmask_b32_e32 v3, v3, v5, vcc
	v_cndmask_b32_e32 v2, v2, v4, vcc
                                        ; implicit-def: $vgpr4_vgpr5
.LBB190_253:
	s_or_saveexec_b64 s[6:7], s[6:7]
	v_mov_b32_e32 v10, 1
	s_xor_b64 exec, exec, s[6:7]
	s_cbranch_execz .LBB190_255
; %bb.254:
	v_and_b32_e32 v8, 1, v8
	v_cmp_eq_u32_e32 vcc, 1, v8
	s_waitcnt lgkmcnt(1)
	s_nop 0
	v_cndmask_b32_e32 v2, v4, v2, vcc
	v_and_b32_e32 v4, 0xff, v9
	s_waitcnt lgkmcnt(0)
	v_cndmask_b32_e32 v3, v5, v3, vcc
	v_cndmask_b32_e64 v10, v4, 1, vcc
.LBB190_255:
	s_or_b64 exec, exec, s[6:7]
	v_mov_b32_e32 v8, v10
.LBB190_256:
	;; [unrolled: 49-line block ×4, first 2 shown]
	s_or_b64 exec, exec, s[4:5]
	s_waitcnt lgkmcnt(2)
	v_lshlrev_b32_e32 v9, 2, v1
	s_waitcnt lgkmcnt(0)
	v_or_b32_e32 v5, 0x80, v9
	ds_bpermute_b32 v10, v5, v8
	ds_bpermute_b32 v4, v5, v2
	;; [unrolled: 1-line block ×3, first 2 shown]
	v_add_u32_e32 v6, 32, v6
	v_cmp_lt_u32_e32 vcc, v6, v7
	v_mov_b32_e32 v6, v8
	s_and_saveexec_b64 s[4:5], vcc
	s_cbranch_execz .LBB190_274
; %bb.269:
	s_waitcnt lgkmcnt(2)
	v_and_b32_e32 v6, v8, v10
	v_and_b32_e32 v6, 1, v6
	v_cmp_eq_u32_e32 vcc, 1, v6
	s_and_saveexec_b64 s[6:7], vcc
	s_xor_b64 s[6:7], exec, s[6:7]
	s_cbranch_execz .LBB190_271
; %bb.270:
	s_waitcnt lgkmcnt(0)
	v_cmp_lt_i64_e32 vcc, v[4:5], v[2:3]
                                        ; implicit-def: $vgpr8
                                        ; implicit-def: $vgpr10
	s_nop 1
	v_cndmask_b32_e32 v3, v3, v5, vcc
	v_cndmask_b32_e32 v2, v2, v4, vcc
                                        ; implicit-def: $vgpr4_vgpr5
.LBB190_271:
	s_or_saveexec_b64 s[6:7], s[6:7]
	v_mov_b32_e32 v6, 1
	s_xor_b64 exec, exec, s[6:7]
	s_cbranch_execz .LBB190_273
; %bb.272:
	v_and_b32_e32 v6, 1, v8
	v_cmp_eq_u32_e32 vcc, 1, v6
	s_nop 1
	v_cndmask_b32_e64 v6, v10, 1, vcc
	s_waitcnt lgkmcnt(0)
	v_cndmask_b32_e32 v3, v5, v3, vcc
	v_cndmask_b32_e32 v2, v4, v2, vcc
.LBB190_273:
	s_or_b64 exec, exec, s[6:7]
	v_and_b32_e32 v8, 0xff, v6
.LBB190_274:
	s_or_b64 exec, exec, s[4:5]
	v_cmp_eq_u32_e32 vcc, 0, v1
	s_and_saveexec_b64 s[4:5], vcc
	s_cbranch_execz .LBB190_276
; %bb.275:
	s_waitcnt lgkmcnt(1)
	v_lshrrev_b32_e32 v4, 2, v0
	v_and_b32_e32 v4, 16, v4
	ds_write_b8 v4, v6 offset:128
	ds_write_b64 v4, v[2:3] offset:136
.LBB190_276:
	s_or_b64 exec, exec, s[4:5]
	v_cmp_gt_u32_e32 vcc, 2, v0
	s_waitcnt lgkmcnt(0)
	s_barrier
	s_and_saveexec_b64 s[4:5], vcc
	s_cbranch_execz .LBB190_284
; %bb.277:
	v_lshlrev_b32_e32 v2, 4, v1
	ds_read_u8 v6, v2 offset:128
	ds_read_b64 v[2:3], v2 offset:136
	v_or_b32_e32 v5, 4, v9
	s_add_i32 s8, s8, 63
	v_and_b32_e32 v1, 1, v1
	s_waitcnt lgkmcnt(1)
	v_and_b32_e32 v8, 0xff, v6
	s_waitcnt lgkmcnt(0)
	ds_bpermute_b32 v4, v5, v2
	ds_bpermute_b32 v7, v5, v8
	;; [unrolled: 1-line block ×3, first 2 shown]
	s_lshr_b32 s6, s8, 6
	v_add_u32_e32 v1, 1, v1
	v_cmp_gt_u32_e32 vcc, s6, v1
	s_and_saveexec_b64 s[6:7], vcc
	s_cbranch_execz .LBB190_283
; %bb.278:
	s_waitcnt lgkmcnt(1)
	v_and_b32_e32 v1, v8, v7
	v_and_b32_e32 v1, 1, v1
	v_cmp_eq_u32_e32 vcc, 1, v1
	s_and_saveexec_b64 s[8:9], vcc
	s_xor_b64 s[8:9], exec, s[8:9]
	s_cbranch_execz .LBB190_280
; %bb.279:
	s_waitcnt lgkmcnt(0)
	v_cmp_lt_i64_e32 vcc, v[4:5], v[2:3]
                                        ; implicit-def: $vgpr6
                                        ; implicit-def: $vgpr7
	s_nop 1
	v_cndmask_b32_e32 v3, v3, v5, vcc
	v_cndmask_b32_e32 v2, v2, v4, vcc
                                        ; implicit-def: $vgpr4_vgpr5
.LBB190_280:
	s_or_saveexec_b64 s[8:9], s[8:9]
	v_mov_b32_e32 v8, 1
	s_xor_b64 exec, exec, s[8:9]
	s_cbranch_execz .LBB190_282
; %bb.281:
	v_and_b32_e32 v1, 1, v6
	v_cmp_eq_u32_e32 vcc, 1, v1
	s_waitcnt lgkmcnt(0)
	s_nop 0
	v_cndmask_b32_e32 v3, v5, v3, vcc
	v_cndmask_b32_e32 v2, v4, v2, vcc
	v_cndmask_b32_e64 v8, v7, 1, vcc
.LBB190_282:
	s_or_b64 exec, exec, s[8:9]
.LBB190_283:
	s_or_b64 exec, exec, s[6:7]
.LBB190_284:
	s_or_b64 exec, exec, s[4:5]
.LBB190_285:
	v_cmp_eq_u32_e32 vcc, 0, v0
                                        ; implicit-def: $vgpr4_vgpr5
                                        ; implicit-def: $vgpr6
	s_and_saveexec_b64 s[4:5], vcc
	s_xor_b64 s[8:9], exec, s[4:5]
	s_cbranch_execz .LBB190_289
; %bb.286:
	s_cmp_eq_u64 s[22:23], 0
	s_waitcnt lgkmcnt(0)
	v_mov_b64_e32 v[4:5], s[18:19]
	v_mov_b32_e32 v6, s33
	s_cbranch_scc1 .LBB190_288
; %bb.287:
	v_and_b32_e32 v1, 1, v8
	s_bitcmp1_b32 s33, 0
	v_cmp_eq_u32_e32 vcc, 1, v1
	v_cmp_gt_i64_e64 s[4:5], s[18:19], v[2:3]
	s_cselect_b64 s[6:7], -1, 0
	v_mov_b32_e32 v1, s18
	s_and_b64 vcc, vcc, s[4:5]
	v_mov_b32_e32 v4, s19
	v_cndmask_b32_e32 v1, v1, v2, vcc
	v_cndmask_b32_e32 v4, v4, v3, vcc
	v_cndmask_b32_e64 v6, v8, 1, s[6:7]
	v_cndmask_b32_e64 v5, v3, v4, s[6:7]
	;; [unrolled: 1-line block ×3, first 2 shown]
.LBB190_288:
	s_or_b64 s[12:13], s[12:13], exec
.LBB190_289:
	s_or_b64 exec, exec, s[8:9]
	v_mov_b64_e32 v[2:3], s[2:3]
	s_branch .LBB190_306
.LBB190_290:
	s_cmp_eq_u32 s38, 1
	s_cbranch_scc0 .LBB190_305
; %bb.291:
	s_mov_b32 s9, 0
	s_lshl_b32 s8, s2, 7
	s_mov_b32 s3, s9
	s_lshr_b64 s[4:5], s[22:23], 7
	s_cmp_lg_u64 s[4:5], s[2:3]
	s_cbranch_scc0 .LBB190_309
; %bb.292:
	s_lshl_b64 s[4:5], s[8:9], 3
	s_add_u32 s6, s24, s4
	s_addc_u32 s7, s25, s5
	s_add_u32 s4, s26, s4
	v_lshlrev_b32_e32 v1, 3, v0
	s_addc_u32 s5, s27, s5
	global_load_dwordx2 v[2:3], v1, s[6:7]
	s_waitcnt lgkmcnt(0)
	global_load_dwordx2 v[4:5], v1, s[4:5]
	s_add_u32 s4, s20, s8
	v_mov_b32_e32 v1, 0
	s_addc_u32 s5, s21, 0
	v_lshl_add_u64 v[6:7], s[4:5], 0, v[0:1]
	s_waitcnt vmcnt(0)
	v_cmp_neq_f64_e64 s[4:5], v[2:3], v[4:5]
	v_mov_b32_dpp v8, v6 quad_perm:[1,0,3,2] row_mask:0xf bank_mask:0xf bound_ctrl:1
	v_mov_b32_dpp v9, v7 quad_perm:[1,0,3,2] row_mask:0xf bank_mask:0xf bound_ctrl:1
	v_cndmask_b32_e64 v1, 0, 1, s[4:5]
	v_cmp_lt_i64_e32 vcc, v[6:7], v[8:9]
	s_and_b64 vcc, s[4:5], vcc
	v_mov_b32_dpp v1, v1 quad_perm:[1,0,3,2] row_mask:0xf bank_mask:0xf bound_ctrl:1
	v_and_b32_e32 v1, 1, v1
	v_cndmask_b32_e32 v2, v8, v6, vcc
	v_cndmask_b32_e32 v3, v9, v7, vcc
	v_cmp_eq_u32_e32 vcc, 1, v1
	s_or_b64 s[4:5], vcc, s[4:5]
	v_cndmask_b32_e64 v1, 0, 1, s[4:5]
	v_cndmask_b32_e32 v5, v7, v3, vcc
	v_cndmask_b32_e32 v4, v6, v2, vcc
	v_mov_b32_dpp v1, v1 quad_perm:[2,3,0,1] row_mask:0xf bank_mask:0xf bound_ctrl:1
	v_and_b32_e32 v1, 1, v1
	v_cmp_eq_u32_e32 vcc, 1, v1
	s_and_b64 s[6:7], vcc, s[4:5]
	v_mov_b32_dpp v6, v4 quad_perm:[2,3,0,1] row_mask:0xf bank_mask:0xf bound_ctrl:1
	v_mov_b32_dpp v7, v5 quad_perm:[2,3,0,1] row_mask:0xf bank_mask:0xf bound_ctrl:1
	s_xor_b64 s[6:7], s[6:7], -1
                                        ; implicit-def: $vgpr2_vgpr3
                                        ; implicit-def: $vgpr8
	s_and_saveexec_b64 s[10:11], s[6:7]
	s_xor_b64 s[6:7], exec, s[10:11]
; %bb.293:
	s_or_b64 s[4:5], vcc, s[4:5]
	v_cndmask_b32_e32 v3, v5, v7, vcc
	v_cndmask_b32_e32 v2, v4, v6, vcc
	v_cndmask_b32_e64 v8, 0, 1, s[4:5]
                                        ; implicit-def: $vgpr4_vgpr5
                                        ; implicit-def: $vgpr6_vgpr7
; %bb.294:
	s_andn2_saveexec_b64 s[4:5], s[6:7]
; %bb.295:
	v_cmp_lt_i64_e32 vcc, v[4:5], v[6:7]
	v_mov_b32_e32 v8, 1
	s_nop 0
	v_cndmask_b32_e32 v3, v7, v5, vcc
	v_cndmask_b32_e32 v2, v6, v4, vcc
; %bb.296:
	s_or_b64 exec, exec, s[4:5]
	s_nop 0
	v_mov_b32_dpp v4, v2 row_ror:4 row_mask:0xf bank_mask:0xf bound_ctrl:1
	v_mov_b32_dpp v5, v3 row_ror:4 row_mask:0xf bank_mask:0xf bound_ctrl:1
	v_and_b32_e32 v7, 1, v8
	v_mov_b32_dpp v6, v8 row_ror:4 row_mask:0xf bank_mask:0xf bound_ctrl:1
	v_cmp_eq_u32_e32 vcc, 1, v7
	v_cmp_lt_i64_e64 s[4:5], v[2:3], v[4:5]
	v_and_b32_e32 v6, 1, v6
	s_and_b64 vcc, vcc, s[4:5]
	v_cmp_eq_u32_e64 s[6:7], 1, v6
	v_cndmask_b32_e32 v4, v4, v2, vcc
	v_cndmask_b32_e32 v5, v5, v3, vcc
	v_cndmask_b32_e64 v6, v8, 1, s[6:7]
	v_cndmask_b32_e64 v3, v3, v5, s[6:7]
	;; [unrolled: 1-line block ×3, first 2 shown]
	v_and_b32_e32 v8, 1, v6
	v_mov_b32_dpp v5, v3 row_ror:8 row_mask:0xf bank_mask:0xf bound_ctrl:1
	v_mov_b32_dpp v4, v2 row_ror:8 row_mask:0xf bank_mask:0xf bound_ctrl:1
	;; [unrolled: 1-line block ×3, first 2 shown]
	v_cmp_eq_u32_e32 vcc, 1, v8
	v_cmp_lt_i64_e64 s[4:5], v[2:3], v[4:5]
	v_and_b32_e32 v7, 1, v7
	s_and_b64 vcc, vcc, s[4:5]
	v_cmp_eq_u32_e64 s[6:7], 1, v7
	v_cndmask_b32_e32 v4, v4, v2, vcc
	v_cndmask_b32_e32 v5, v5, v3, vcc
	v_cndmask_b32_e64 v6, v6, 1, s[6:7]
	v_cndmask_b32_e64 v3, v3, v5, s[6:7]
	;; [unrolled: 1-line block ×3, first 2 shown]
	v_and_b32_e32 v8, 1, v6
	v_mov_b32_dpp v5, v3 row_bcast:15 row_mask:0xf bank_mask:0xf bound_ctrl:1
	v_mov_b32_dpp v4, v2 row_bcast:15 row_mask:0xf bank_mask:0xf bound_ctrl:1
	;; [unrolled: 1-line block ×3, first 2 shown]
	v_cmp_eq_u32_e32 vcc, 1, v8
	v_cmp_lt_i64_e64 s[4:5], v[2:3], v[4:5]
	v_and_b32_e32 v7, 1, v7
	s_and_b64 vcc, vcc, s[4:5]
	v_cmp_eq_u32_e64 s[6:7], 1, v7
	v_cndmask_b32_e32 v4, v4, v2, vcc
	v_cndmask_b32_e32 v5, v5, v3, vcc
	v_cndmask_b32_e64 v6, v6, 1, s[6:7]
	v_cndmask_b32_e64 v3, v3, v5, s[6:7]
	;; [unrolled: 1-line block ×3, first 2 shown]
	v_mov_b32_dpp v7, v6 row_bcast:31 row_mask:0xf bank_mask:0xf bound_ctrl:1
	v_mov_b32_dpp v5, v3 row_bcast:31 row_mask:0xf bank_mask:0xf bound_ctrl:1
	;; [unrolled: 1-line block ×3, first 2 shown]
	v_and_b32_e32 v8, 1, v6
	v_mbcnt_lo_u32_b32 v1, -1, 0
	v_and_b32_e32 v7, 1, v7
	v_cmp_eq_u32_e32 vcc, 1, v8
	v_cmp_lt_i64_e64 s[4:5], v[2:3], v[4:5]
	v_mbcnt_hi_u32_b32 v1, -1, v1
	v_cmp_eq_u32_e64 s[6:7], 1, v7
	s_and_b64 vcc, vcc, s[4:5]
	v_cndmask_b32_e32 v4, v4, v2, vcc
	v_cndmask_b32_e64 v7, v6, 1, s[6:7]
	v_cndmask_b32_e32 v5, v5, v3, vcc
	v_lshlrev_b32_e32 v6, 2, v1
	v_cndmask_b32_e64 v3, v3, v5, s[6:7]
	v_cndmask_b32_e64 v2, v2, v4, s[6:7]
	v_or_b32_e32 v4, 0xfc, v6
	ds_bpermute_b32 v8, v4, v7
	ds_bpermute_b32 v2, v4, v2
	;; [unrolled: 1-line block ×3, first 2 shown]
	v_cmp_eq_u32_e32 vcc, 0, v1
	s_and_saveexec_b64 s[4:5], vcc
	s_cbranch_execz .LBB190_298
; %bb.297:
	v_lshrrev_b32_e32 v4, 2, v0
	v_and_b32_e32 v4, 16, v4
	s_waitcnt lgkmcnt(2)
	ds_write_b8 v4, v8
	s_waitcnt lgkmcnt(1)
	ds_write_b64 v4, v[2:3] offset:8
.LBB190_298:
	s_or_b64 exec, exec, s[4:5]
	v_cmp_gt_u32_e32 vcc, 64, v0
	s_waitcnt lgkmcnt(0)
	s_barrier
	s_and_saveexec_b64 s[4:5], vcc
	s_cbranch_execz .LBB190_304
; %bb.299:
	v_and_b32_e32 v1, 1, v1
	v_lshlrev_b32_e32 v2, 4, v1
	ds_read_u8 v1, v2
	ds_read_b64 v[4:5], v2 offset:8
	v_or_b32_e32 v3, 4, v6
	s_waitcnt lgkmcnt(1)
	v_and_b32_e32 v2, 0xff, v1
	ds_bpermute_b32 v9, v3, v2
	s_waitcnt lgkmcnt(1)
	ds_bpermute_b32 v6, v3, v4
	ds_bpermute_b32 v7, v3, v5
	s_waitcnt lgkmcnt(2)
	v_and_b32_e32 v2, v1, v9
	v_and_b32_e32 v2, 1, v2
	v_cmp_eq_u32_e32 vcc, 1, v2
                                        ; implicit-def: $vgpr2_vgpr3
	s_and_saveexec_b64 s[6:7], vcc
	s_xor_b64 s[6:7], exec, s[6:7]
	s_cbranch_execz .LBB190_301
; %bb.300:
	s_waitcnt lgkmcnt(0)
	v_cmp_lt_i64_e32 vcc, v[6:7], v[4:5]
                                        ; implicit-def: $vgpr1
                                        ; implicit-def: $vgpr9
	s_nop 1
	v_cndmask_b32_e32 v3, v5, v7, vcc
	v_cndmask_b32_e32 v2, v4, v6, vcc
                                        ; implicit-def: $vgpr6_vgpr7
                                        ; implicit-def: $vgpr4_vgpr5
.LBB190_301:
	s_or_saveexec_b64 s[6:7], s[6:7]
	v_mov_b32_e32 v8, 1
	s_xor_b64 exec, exec, s[6:7]
	s_cbranch_execz .LBB190_303
; %bb.302:
	v_and_b32_e32 v1, 1, v1
	v_cmp_eq_u32_e32 vcc, 1, v1
	s_waitcnt lgkmcnt(0)
	s_nop 0
	v_cndmask_b32_e32 v3, v7, v5, vcc
	v_cndmask_b32_e32 v2, v6, v4, vcc
	v_cndmask_b32_e64 v8, v9, 1, vcc
.LBB190_303:
	s_or_b64 exec, exec, s[6:7]
.LBB190_304:
	s_or_b64 exec, exec, s[4:5]
	s_branch .LBB190_359
.LBB190_305:
                                        ; implicit-def: $vgpr4_vgpr5
                                        ; implicit-def: $vgpr6
                                        ; implicit-def: $vgpr2_vgpr3
.LBB190_306:
	s_and_saveexec_b64 s[2:3], s[12:13]
	s_cbranch_execz .LBB190_308
.LBB190_307:
	s_load_dwordx2 s[0:1], s[0:1], 0x38
	v_lshlrev_b64 v[0:1], 4, v[2:3]
	s_waitcnt lgkmcnt(0)
	v_lshl_add_u64 v[0:1], s[0:1], 0, v[0:1]
	global_store_byte v[0:1], v6, off
	global_store_dwordx2 v[0:1], v[4:5], off offset:8
.LBB190_308:
	s_endpgm
.LBB190_309:
                                        ; implicit-def: $vgpr2_vgpr3
                                        ; implicit-def: $vgpr8
	s_cbranch_execz .LBB190_359
; %bb.310:
	s_sub_i32 s6, s22, s8
	v_cmp_gt_u32_e32 vcc, s6, v0
	v_mov_b32_e32 v9, 0
	v_mov_b64_e32 v[2:3], 0
	s_and_saveexec_b64 s[4:5], vcc
	s_cbranch_execz .LBB190_312
; %bb.311:
	s_lshl_b64 s[10:11], s[8:9], 3
	s_add_u32 s14, s26, s10
	s_addc_u32 s15, s27, s11
	s_add_u32 s10, s24, s10
	s_addc_u32 s11, s25, s11
	v_lshlrev_b32_e32 v1, 3, v0
	s_waitcnt lgkmcnt(0)
	global_load_dwordx2 v[4:5], v1, s[10:11]
	global_load_dwordx2 v[6:7], v1, s[14:15]
	s_add_u32 s8, s20, s8
	v_mov_b32_e32 v1, 0
	s_addc_u32 s9, s21, 0
	v_lshl_add_u64 v[2:3], s[8:9], 0, v[0:1]
	s_waitcnt vmcnt(0)
	v_cmp_neq_f64_e32 vcc, v[4:5], v[6:7]
	s_nop 1
	v_cndmask_b32_e64 v9, 0, 1, vcc
.LBB190_312:
	s_or_b64 exec, exec, s[4:5]
	v_mbcnt_lo_u32_b32 v1, -1, 0
	v_mbcnt_hi_u32_b32 v1, -1, v1
	s_waitcnt lgkmcnt(1)
	v_and_b32_e32 v6, 63, v1
	v_cmp_ne_u32_e32 vcc, 63, v6
	v_and_b32_e32 v8, 0xffff, v9
	s_min_u32 s8, s6, 0x80
	v_addc_co_u32_e32 v4, vcc, 0, v1, vcc
	s_waitcnt lgkmcnt(0)
	v_lshlrev_b32_e32 v5, 2, v4
	ds_bpermute_b32 v10, v5, v8
	ds_bpermute_b32 v4, v5, v2
	ds_bpermute_b32 v5, v5, v3
	v_and_b32_e32 v7, 64, v0
	v_sub_u32_e64 v7, s8, v7 clamp
	v_add_u32_e32 v11, 1, v6
	v_cmp_lt_u32_e32 vcc, v11, v7
	s_and_saveexec_b64 s[4:5], vcc
	s_cbranch_execz .LBB190_318
; %bb.313:
	s_waitcnt lgkmcnt(2)
	v_and_b32_e32 v8, v10, v8
	v_and_b32_e32 v8, 1, v8
	v_cmp_eq_u32_e32 vcc, 1, v8
	s_and_saveexec_b64 s[6:7], vcc
	s_xor_b64 s[6:7], exec, s[6:7]
	s_cbranch_execz .LBB190_315
; %bb.314:
	s_waitcnt lgkmcnt(0)
	v_cmp_lt_i64_e32 vcc, v[4:5], v[2:3]
                                        ; implicit-def: $vgpr9
                                        ; implicit-def: $vgpr10
	s_nop 1
	v_cndmask_b32_e32 v3, v3, v5, vcc
	v_cndmask_b32_e32 v2, v2, v4, vcc
                                        ; implicit-def: $vgpr4_vgpr5
.LBB190_315:
	s_or_saveexec_b64 s[6:7], s[6:7]
	v_mov_b32_e32 v8, 1
	s_xor_b64 exec, exec, s[6:7]
	s_cbranch_execz .LBB190_317
; %bb.316:
	v_and_b32_e32 v8, 1, v9
	v_cmp_eq_u32_e32 vcc, 1, v8
	s_waitcnt lgkmcnt(1)
	s_nop 0
	v_cndmask_b32_e32 v2, v4, v2, vcc
	v_and_b32_e32 v4, 0xff, v10
	s_waitcnt lgkmcnt(0)
	v_cndmask_b32_e32 v3, v5, v3, vcc
	v_cndmask_b32_e64 v8, v4, 1, vcc
.LBB190_317:
	s_or_b64 exec, exec, s[6:7]
.LBB190_318:
	s_or_b64 exec, exec, s[4:5]
	v_cmp_gt_u32_e32 vcc, 62, v6
	s_waitcnt lgkmcnt(2)
	v_add_u32_e32 v10, 2, v6
	s_waitcnt lgkmcnt(1)
	v_cndmask_b32_e64 v4, 0, 2, vcc
	s_waitcnt lgkmcnt(0)
	v_add_lshl_u32 v5, v4, v1, 2
	ds_bpermute_b32 v9, v5, v8
	ds_bpermute_b32 v4, v5, v2
	ds_bpermute_b32 v5, v5, v3
	v_cmp_lt_u32_e32 vcc, v10, v7
	s_and_saveexec_b64 s[4:5], vcc
	s_cbranch_execz .LBB190_324
; %bb.319:
	s_waitcnt lgkmcnt(2)
	v_and_b32_e32 v10, v8, v9
	v_and_b32_e32 v10, 1, v10
	v_cmp_eq_u32_e32 vcc, 1, v10
	s_and_saveexec_b64 s[6:7], vcc
	s_xor_b64 s[6:7], exec, s[6:7]
	s_cbranch_execz .LBB190_321
; %bb.320:
	s_waitcnt lgkmcnt(0)
	v_cmp_lt_i64_e32 vcc, v[4:5], v[2:3]
                                        ; implicit-def: $vgpr8
                                        ; implicit-def: $vgpr9
	s_nop 1
	v_cndmask_b32_e32 v3, v3, v5, vcc
	v_cndmask_b32_e32 v2, v2, v4, vcc
                                        ; implicit-def: $vgpr4_vgpr5
.LBB190_321:
	s_or_saveexec_b64 s[6:7], s[6:7]
	v_mov_b32_e32 v10, 1
	s_xor_b64 exec, exec, s[6:7]
	s_cbranch_execz .LBB190_323
; %bb.322:
	v_and_b32_e32 v8, 1, v8
	v_cmp_eq_u32_e32 vcc, 1, v8
	s_waitcnt lgkmcnt(1)
	s_nop 0
	v_cndmask_b32_e32 v2, v4, v2, vcc
	v_and_b32_e32 v4, 0xff, v9
	s_waitcnt lgkmcnt(0)
	v_cndmask_b32_e32 v3, v5, v3, vcc
	v_cndmask_b32_e64 v10, v4, 1, vcc
.LBB190_323:
	s_or_b64 exec, exec, s[6:7]
	v_mov_b32_e32 v8, v10
.LBB190_324:
	s_or_b64 exec, exec, s[4:5]
	v_cmp_gt_u32_e32 vcc, 60, v6
	v_add_u32_e32 v10, 4, v6
	s_waitcnt lgkmcnt(1)
	v_cndmask_b32_e64 v4, 0, 4, vcc
	s_waitcnt lgkmcnt(0)
	v_add_lshl_u32 v5, v4, v1, 2
	ds_bpermute_b32 v9, v5, v8
	ds_bpermute_b32 v4, v5, v2
	ds_bpermute_b32 v5, v5, v3
	v_cmp_lt_u32_e32 vcc, v10, v7
	s_and_saveexec_b64 s[4:5], vcc
	s_cbranch_execz .LBB190_330
; %bb.325:
	s_waitcnt lgkmcnt(2)
	v_and_b32_e32 v10, v8, v9
	v_and_b32_e32 v10, 1, v10
	v_cmp_eq_u32_e32 vcc, 1, v10
	s_and_saveexec_b64 s[6:7], vcc
	s_xor_b64 s[6:7], exec, s[6:7]
	s_cbranch_execz .LBB190_327
; %bb.326:
	s_waitcnt lgkmcnt(0)
	v_cmp_lt_i64_e32 vcc, v[4:5], v[2:3]
                                        ; implicit-def: $vgpr8
                                        ; implicit-def: $vgpr9
	s_nop 1
	v_cndmask_b32_e32 v3, v3, v5, vcc
	v_cndmask_b32_e32 v2, v2, v4, vcc
                                        ; implicit-def: $vgpr4_vgpr5
.LBB190_327:
	s_or_saveexec_b64 s[6:7], s[6:7]
	v_mov_b32_e32 v10, 1
	s_xor_b64 exec, exec, s[6:7]
	s_cbranch_execz .LBB190_329
; %bb.328:
	v_and_b32_e32 v8, 1, v8
	v_cmp_eq_u32_e32 vcc, 1, v8
	s_waitcnt lgkmcnt(1)
	s_nop 0
	v_cndmask_b32_e32 v2, v4, v2, vcc
	v_and_b32_e32 v4, 0xff, v9
	s_waitcnt lgkmcnt(0)
	v_cndmask_b32_e32 v3, v5, v3, vcc
	v_cndmask_b32_e64 v10, v4, 1, vcc
.LBB190_329:
	s_or_b64 exec, exec, s[6:7]
	v_mov_b32_e32 v8, v10
.LBB190_330:
	s_or_b64 exec, exec, s[4:5]
	v_cmp_gt_u32_e32 vcc, 56, v6
	;; [unrolled: 49-line block ×3, first 2 shown]
	v_add_u32_e32 v10, 16, v6
	s_waitcnt lgkmcnt(1)
	v_cndmask_b32_e64 v4, 0, 16, vcc
	s_waitcnt lgkmcnt(0)
	v_add_lshl_u32 v5, v4, v1, 2
	ds_bpermute_b32 v9, v5, v8
	ds_bpermute_b32 v4, v5, v2
	;; [unrolled: 1-line block ×3, first 2 shown]
	v_cmp_lt_u32_e32 vcc, v10, v7
	s_and_saveexec_b64 s[4:5], vcc
	s_cbranch_execz .LBB190_342
; %bb.337:
	s_waitcnt lgkmcnt(2)
	v_and_b32_e32 v10, v8, v9
	v_and_b32_e32 v10, 1, v10
	v_cmp_eq_u32_e32 vcc, 1, v10
	s_and_saveexec_b64 s[6:7], vcc
	s_xor_b64 s[6:7], exec, s[6:7]
	s_cbranch_execz .LBB190_339
; %bb.338:
	s_waitcnt lgkmcnt(0)
	v_cmp_lt_i64_e32 vcc, v[4:5], v[2:3]
                                        ; implicit-def: $vgpr8
                                        ; implicit-def: $vgpr9
	s_nop 1
	v_cndmask_b32_e32 v3, v3, v5, vcc
	v_cndmask_b32_e32 v2, v2, v4, vcc
                                        ; implicit-def: $vgpr4_vgpr5
.LBB190_339:
	s_or_saveexec_b64 s[6:7], s[6:7]
	v_mov_b32_e32 v10, 1
	s_xor_b64 exec, exec, s[6:7]
	s_cbranch_execz .LBB190_341
; %bb.340:
	v_and_b32_e32 v8, 1, v8
	v_cmp_eq_u32_e32 vcc, 1, v8
	s_waitcnt lgkmcnt(1)
	s_nop 0
	v_cndmask_b32_e32 v2, v4, v2, vcc
	v_and_b32_e32 v4, 0xff, v9
	s_waitcnt lgkmcnt(0)
	v_cndmask_b32_e32 v3, v5, v3, vcc
	v_cndmask_b32_e64 v10, v4, 1, vcc
.LBB190_341:
	s_or_b64 exec, exec, s[6:7]
	v_mov_b32_e32 v8, v10
.LBB190_342:
	s_or_b64 exec, exec, s[4:5]
	s_waitcnt lgkmcnt(2)
	v_lshlrev_b32_e32 v9, 2, v1
	s_waitcnt lgkmcnt(0)
	v_or_b32_e32 v5, 0x80, v9
	ds_bpermute_b32 v10, v5, v8
	ds_bpermute_b32 v4, v5, v2
	;; [unrolled: 1-line block ×3, first 2 shown]
	v_add_u32_e32 v6, 32, v6
	v_cmp_lt_u32_e32 vcc, v6, v7
	v_mov_b32_e32 v6, v8
	s_and_saveexec_b64 s[4:5], vcc
	s_cbranch_execz .LBB190_348
; %bb.343:
	s_waitcnt lgkmcnt(2)
	v_and_b32_e32 v6, v8, v10
	v_and_b32_e32 v6, 1, v6
	v_cmp_eq_u32_e32 vcc, 1, v6
	s_and_saveexec_b64 s[6:7], vcc
	s_xor_b64 s[6:7], exec, s[6:7]
	s_cbranch_execz .LBB190_345
; %bb.344:
	s_waitcnt lgkmcnt(0)
	v_cmp_lt_i64_e32 vcc, v[4:5], v[2:3]
                                        ; implicit-def: $vgpr8
                                        ; implicit-def: $vgpr10
	s_nop 1
	v_cndmask_b32_e32 v3, v3, v5, vcc
	v_cndmask_b32_e32 v2, v2, v4, vcc
                                        ; implicit-def: $vgpr4_vgpr5
.LBB190_345:
	s_or_saveexec_b64 s[6:7], s[6:7]
	v_mov_b32_e32 v6, 1
	s_xor_b64 exec, exec, s[6:7]
	s_cbranch_execz .LBB190_347
; %bb.346:
	v_and_b32_e32 v6, 1, v8
	v_cmp_eq_u32_e32 vcc, 1, v6
	s_nop 1
	v_cndmask_b32_e64 v6, v10, 1, vcc
	s_waitcnt lgkmcnt(0)
	v_cndmask_b32_e32 v3, v5, v3, vcc
	v_cndmask_b32_e32 v2, v4, v2, vcc
.LBB190_347:
	s_or_b64 exec, exec, s[6:7]
	v_and_b32_e32 v8, 0xff, v6
.LBB190_348:
	s_or_b64 exec, exec, s[4:5]
	v_cmp_eq_u32_e32 vcc, 0, v1
	s_and_saveexec_b64 s[4:5], vcc
	s_cbranch_execz .LBB190_350
; %bb.349:
	s_waitcnt lgkmcnt(1)
	v_lshrrev_b32_e32 v4, 2, v0
	v_and_b32_e32 v4, 16, v4
	ds_write_b8 v4, v6 offset:128
	ds_write_b64 v4, v[2:3] offset:136
.LBB190_350:
	s_or_b64 exec, exec, s[4:5]
	v_cmp_gt_u32_e32 vcc, 2, v0
	s_waitcnt lgkmcnt(0)
	s_barrier
	s_and_saveexec_b64 s[4:5], vcc
	s_cbranch_execz .LBB190_358
; %bb.351:
	v_lshlrev_b32_e32 v2, 4, v1
	ds_read_u8 v6, v2 offset:128
	ds_read_b64 v[2:3], v2 offset:136
	v_or_b32_e32 v5, 4, v9
	s_add_i32 s8, s8, 63
	v_and_b32_e32 v1, 1, v1
	s_waitcnt lgkmcnt(1)
	v_and_b32_e32 v8, 0xff, v6
	s_waitcnt lgkmcnt(0)
	ds_bpermute_b32 v4, v5, v2
	ds_bpermute_b32 v7, v5, v8
	;; [unrolled: 1-line block ×3, first 2 shown]
	s_lshr_b32 s6, s8, 6
	v_add_u32_e32 v1, 1, v1
	v_cmp_gt_u32_e32 vcc, s6, v1
	s_and_saveexec_b64 s[6:7], vcc
	s_cbranch_execz .LBB190_357
; %bb.352:
	s_waitcnt lgkmcnt(1)
	v_and_b32_e32 v1, v8, v7
	v_and_b32_e32 v1, 1, v1
	v_cmp_eq_u32_e32 vcc, 1, v1
	s_and_saveexec_b64 s[8:9], vcc
	s_xor_b64 s[8:9], exec, s[8:9]
	s_cbranch_execz .LBB190_354
; %bb.353:
	s_waitcnt lgkmcnt(0)
	v_cmp_lt_i64_e32 vcc, v[4:5], v[2:3]
                                        ; implicit-def: $vgpr6
                                        ; implicit-def: $vgpr7
	s_nop 1
	v_cndmask_b32_e32 v3, v3, v5, vcc
	v_cndmask_b32_e32 v2, v2, v4, vcc
                                        ; implicit-def: $vgpr4_vgpr5
.LBB190_354:
	s_or_saveexec_b64 s[8:9], s[8:9]
	v_mov_b32_e32 v8, 1
	s_xor_b64 exec, exec, s[8:9]
	s_cbranch_execz .LBB190_356
; %bb.355:
	v_and_b32_e32 v1, 1, v6
	v_cmp_eq_u32_e32 vcc, 1, v1
	s_waitcnt lgkmcnt(0)
	s_nop 0
	v_cndmask_b32_e32 v3, v5, v3, vcc
	v_cndmask_b32_e32 v2, v4, v2, vcc
	v_cndmask_b32_e64 v8, v7, 1, vcc
.LBB190_356:
	s_or_b64 exec, exec, s[8:9]
.LBB190_357:
	s_or_b64 exec, exec, s[6:7]
.LBB190_358:
	s_or_b64 exec, exec, s[4:5]
.LBB190_359:
	v_cmp_eq_u32_e32 vcc, 0, v0
                                        ; implicit-def: $vgpr4_vgpr5
                                        ; implicit-def: $vgpr6
	s_and_saveexec_b64 s[8:9], vcc
	s_cbranch_execz .LBB190_363
; %bb.360:
	s_cmp_eq_u64 s[22:23], 0
	s_waitcnt lgkmcnt(0)
	v_mov_b64_e32 v[4:5], s[18:19]
	v_mov_b32_e32 v6, s33
	s_cbranch_scc1 .LBB190_362
; %bb.361:
	v_and_b32_e32 v0, 1, v8
	s_bitcmp1_b32 s33, 0
	v_cmp_eq_u32_e32 vcc, 1, v0
	v_cmp_gt_i64_e64 s[4:5], s[18:19], v[2:3]
	s_cselect_b64 s[6:7], -1, 0
	v_mov_b32_e32 v0, s18
	s_and_b64 vcc, vcc, s[4:5]
	v_mov_b32_e32 v1, s19
	v_cndmask_b32_e32 v0, v0, v2, vcc
	v_cndmask_b32_e32 v1, v1, v3, vcc
	v_cndmask_b32_e64 v6, v8, 1, s[6:7]
	v_cndmask_b32_e64 v5, v3, v1, s[6:7]
	;; [unrolled: 1-line block ×3, first 2 shown]
.LBB190_362:
	s_or_b64 s[12:13], s[12:13], exec
.LBB190_363:
	s_or_b64 exec, exec, s[8:9]
	v_mov_b64_e32 v[2:3], s[2:3]
	s_and_saveexec_b64 s[2:3], s[12:13]
	s_cbranch_execnz .LBB190_307
	s_branch .LBB190_308
	.section	.rodata,"a",@progbits
	.p2align	6, 0x0
	.amdhsa_kernel _ZN7rocprim17ROCPRIM_400000_NS6detail17trampoline_kernelINS0_14default_configENS1_22reduce_config_selectorIN6thrust23THRUST_200600_302600_NS5tupleIblNS6_9null_typeES8_S8_S8_S8_S8_S8_S8_EEEEZNS1_11reduce_implILb1ES3_NS6_12zip_iteratorINS7_INS6_11hip_rocprim26transform_input_iterator_tIbNSD_35transform_pair_of_input_iterators_tIbNS6_6detail15normal_iteratorINS6_10device_ptrIKdEEEESL_NS6_8equal_toIdEEEENSG_9not_fun_tINSD_8identityEEEEENSD_19counting_iterator_tIlEES8_S8_S8_S8_S8_S8_S8_S8_EEEEPS9_S9_NSD_9__find_if7functorIS9_EEEE10hipError_tPvRmT1_T2_T3_mT4_P12ihipStream_tbEUlT_E1_NS1_11comp_targetILNS1_3genE0ELNS1_11target_archE4294967295ELNS1_3gpuE0ELNS1_3repE0EEENS1_30default_config_static_selectorELNS0_4arch9wavefront6targetE1EEEvS14_
		.amdhsa_group_segment_fixed_size 160
		.amdhsa_private_segment_fixed_size 0
		.amdhsa_kernarg_size 88
		.amdhsa_user_sgpr_count 2
		.amdhsa_user_sgpr_dispatch_ptr 0
		.amdhsa_user_sgpr_queue_ptr 0
		.amdhsa_user_sgpr_kernarg_segment_ptr 1
		.amdhsa_user_sgpr_dispatch_id 0
		.amdhsa_user_sgpr_kernarg_preload_length 0
		.amdhsa_user_sgpr_kernarg_preload_offset 0
		.amdhsa_user_sgpr_private_segment_size 0
		.amdhsa_uses_dynamic_stack 0
		.amdhsa_enable_private_segment 0
		.amdhsa_system_sgpr_workgroup_id_x 1
		.amdhsa_system_sgpr_workgroup_id_y 0
		.amdhsa_system_sgpr_workgroup_id_z 0
		.amdhsa_system_sgpr_workgroup_info 0
		.amdhsa_system_vgpr_workitem_id 0
		.amdhsa_next_free_vgpr 45
		.amdhsa_next_free_sgpr 40
		.amdhsa_accum_offset 48
		.amdhsa_reserve_vcc 1
		.amdhsa_float_round_mode_32 0
		.amdhsa_float_round_mode_16_64 0
		.amdhsa_float_denorm_mode_32 3
		.amdhsa_float_denorm_mode_16_64 3
		.amdhsa_dx10_clamp 1
		.amdhsa_ieee_mode 1
		.amdhsa_fp16_overflow 0
		.amdhsa_tg_split 0
		.amdhsa_exception_fp_ieee_invalid_op 0
		.amdhsa_exception_fp_denorm_src 0
		.amdhsa_exception_fp_ieee_div_zero 0
		.amdhsa_exception_fp_ieee_overflow 0
		.amdhsa_exception_fp_ieee_underflow 0
		.amdhsa_exception_fp_ieee_inexact 0
		.amdhsa_exception_int_div_zero 0
	.end_amdhsa_kernel
	.section	.text._ZN7rocprim17ROCPRIM_400000_NS6detail17trampoline_kernelINS0_14default_configENS1_22reduce_config_selectorIN6thrust23THRUST_200600_302600_NS5tupleIblNS6_9null_typeES8_S8_S8_S8_S8_S8_S8_EEEEZNS1_11reduce_implILb1ES3_NS6_12zip_iteratorINS7_INS6_11hip_rocprim26transform_input_iterator_tIbNSD_35transform_pair_of_input_iterators_tIbNS6_6detail15normal_iteratorINS6_10device_ptrIKdEEEESL_NS6_8equal_toIdEEEENSG_9not_fun_tINSD_8identityEEEEENSD_19counting_iterator_tIlEES8_S8_S8_S8_S8_S8_S8_S8_EEEEPS9_S9_NSD_9__find_if7functorIS9_EEEE10hipError_tPvRmT1_T2_T3_mT4_P12ihipStream_tbEUlT_E1_NS1_11comp_targetILNS1_3genE0ELNS1_11target_archE4294967295ELNS1_3gpuE0ELNS1_3repE0EEENS1_30default_config_static_selectorELNS0_4arch9wavefront6targetE1EEEvS14_,"axG",@progbits,_ZN7rocprim17ROCPRIM_400000_NS6detail17trampoline_kernelINS0_14default_configENS1_22reduce_config_selectorIN6thrust23THRUST_200600_302600_NS5tupleIblNS6_9null_typeES8_S8_S8_S8_S8_S8_S8_EEEEZNS1_11reduce_implILb1ES3_NS6_12zip_iteratorINS7_INS6_11hip_rocprim26transform_input_iterator_tIbNSD_35transform_pair_of_input_iterators_tIbNS6_6detail15normal_iteratorINS6_10device_ptrIKdEEEESL_NS6_8equal_toIdEEEENSG_9not_fun_tINSD_8identityEEEEENSD_19counting_iterator_tIlEES8_S8_S8_S8_S8_S8_S8_S8_EEEEPS9_S9_NSD_9__find_if7functorIS9_EEEE10hipError_tPvRmT1_T2_T3_mT4_P12ihipStream_tbEUlT_E1_NS1_11comp_targetILNS1_3genE0ELNS1_11target_archE4294967295ELNS1_3gpuE0ELNS1_3repE0EEENS1_30default_config_static_selectorELNS0_4arch9wavefront6targetE1EEEvS14_,comdat
.Lfunc_end190:
	.size	_ZN7rocprim17ROCPRIM_400000_NS6detail17trampoline_kernelINS0_14default_configENS1_22reduce_config_selectorIN6thrust23THRUST_200600_302600_NS5tupleIblNS6_9null_typeES8_S8_S8_S8_S8_S8_S8_EEEEZNS1_11reduce_implILb1ES3_NS6_12zip_iteratorINS7_INS6_11hip_rocprim26transform_input_iterator_tIbNSD_35transform_pair_of_input_iterators_tIbNS6_6detail15normal_iteratorINS6_10device_ptrIKdEEEESL_NS6_8equal_toIdEEEENSG_9not_fun_tINSD_8identityEEEEENSD_19counting_iterator_tIlEES8_S8_S8_S8_S8_S8_S8_S8_EEEEPS9_S9_NSD_9__find_if7functorIS9_EEEE10hipError_tPvRmT1_T2_T3_mT4_P12ihipStream_tbEUlT_E1_NS1_11comp_targetILNS1_3genE0ELNS1_11target_archE4294967295ELNS1_3gpuE0ELNS1_3repE0EEENS1_30default_config_static_selectorELNS0_4arch9wavefront6targetE1EEEvS14_, .Lfunc_end190-_ZN7rocprim17ROCPRIM_400000_NS6detail17trampoline_kernelINS0_14default_configENS1_22reduce_config_selectorIN6thrust23THRUST_200600_302600_NS5tupleIblNS6_9null_typeES8_S8_S8_S8_S8_S8_S8_EEEEZNS1_11reduce_implILb1ES3_NS6_12zip_iteratorINS7_INS6_11hip_rocprim26transform_input_iterator_tIbNSD_35transform_pair_of_input_iterators_tIbNS6_6detail15normal_iteratorINS6_10device_ptrIKdEEEESL_NS6_8equal_toIdEEEENSG_9not_fun_tINSD_8identityEEEEENSD_19counting_iterator_tIlEES8_S8_S8_S8_S8_S8_S8_S8_EEEEPS9_S9_NSD_9__find_if7functorIS9_EEEE10hipError_tPvRmT1_T2_T3_mT4_P12ihipStream_tbEUlT_E1_NS1_11comp_targetILNS1_3genE0ELNS1_11target_archE4294967295ELNS1_3gpuE0ELNS1_3repE0EEENS1_30default_config_static_selectorELNS0_4arch9wavefront6targetE1EEEvS14_
                                        ; -- End function
	.set _ZN7rocprim17ROCPRIM_400000_NS6detail17trampoline_kernelINS0_14default_configENS1_22reduce_config_selectorIN6thrust23THRUST_200600_302600_NS5tupleIblNS6_9null_typeES8_S8_S8_S8_S8_S8_S8_EEEEZNS1_11reduce_implILb1ES3_NS6_12zip_iteratorINS7_INS6_11hip_rocprim26transform_input_iterator_tIbNSD_35transform_pair_of_input_iterators_tIbNS6_6detail15normal_iteratorINS6_10device_ptrIKdEEEESL_NS6_8equal_toIdEEEENSG_9not_fun_tINSD_8identityEEEEENSD_19counting_iterator_tIlEES8_S8_S8_S8_S8_S8_S8_S8_EEEEPS9_S9_NSD_9__find_if7functorIS9_EEEE10hipError_tPvRmT1_T2_T3_mT4_P12ihipStream_tbEUlT_E1_NS1_11comp_targetILNS1_3genE0ELNS1_11target_archE4294967295ELNS1_3gpuE0ELNS1_3repE0EEENS1_30default_config_static_selectorELNS0_4arch9wavefront6targetE1EEEvS14_.num_vgpr, 45
	.set _ZN7rocprim17ROCPRIM_400000_NS6detail17trampoline_kernelINS0_14default_configENS1_22reduce_config_selectorIN6thrust23THRUST_200600_302600_NS5tupleIblNS6_9null_typeES8_S8_S8_S8_S8_S8_S8_EEEEZNS1_11reduce_implILb1ES3_NS6_12zip_iteratorINS7_INS6_11hip_rocprim26transform_input_iterator_tIbNSD_35transform_pair_of_input_iterators_tIbNS6_6detail15normal_iteratorINS6_10device_ptrIKdEEEESL_NS6_8equal_toIdEEEENSG_9not_fun_tINSD_8identityEEEEENSD_19counting_iterator_tIlEES8_S8_S8_S8_S8_S8_S8_S8_EEEEPS9_S9_NSD_9__find_if7functorIS9_EEEE10hipError_tPvRmT1_T2_T3_mT4_P12ihipStream_tbEUlT_E1_NS1_11comp_targetILNS1_3genE0ELNS1_11target_archE4294967295ELNS1_3gpuE0ELNS1_3repE0EEENS1_30default_config_static_selectorELNS0_4arch9wavefront6targetE1EEEvS14_.num_agpr, 0
	.set _ZN7rocprim17ROCPRIM_400000_NS6detail17trampoline_kernelINS0_14default_configENS1_22reduce_config_selectorIN6thrust23THRUST_200600_302600_NS5tupleIblNS6_9null_typeES8_S8_S8_S8_S8_S8_S8_EEEEZNS1_11reduce_implILb1ES3_NS6_12zip_iteratorINS7_INS6_11hip_rocprim26transform_input_iterator_tIbNSD_35transform_pair_of_input_iterators_tIbNS6_6detail15normal_iteratorINS6_10device_ptrIKdEEEESL_NS6_8equal_toIdEEEENSG_9not_fun_tINSD_8identityEEEEENSD_19counting_iterator_tIlEES8_S8_S8_S8_S8_S8_S8_S8_EEEEPS9_S9_NSD_9__find_if7functorIS9_EEEE10hipError_tPvRmT1_T2_T3_mT4_P12ihipStream_tbEUlT_E1_NS1_11comp_targetILNS1_3genE0ELNS1_11target_archE4294967295ELNS1_3gpuE0ELNS1_3repE0EEENS1_30default_config_static_selectorELNS0_4arch9wavefront6targetE1EEEvS14_.numbered_sgpr, 40
	.set _ZN7rocprim17ROCPRIM_400000_NS6detail17trampoline_kernelINS0_14default_configENS1_22reduce_config_selectorIN6thrust23THRUST_200600_302600_NS5tupleIblNS6_9null_typeES8_S8_S8_S8_S8_S8_S8_EEEEZNS1_11reduce_implILb1ES3_NS6_12zip_iteratorINS7_INS6_11hip_rocprim26transform_input_iterator_tIbNSD_35transform_pair_of_input_iterators_tIbNS6_6detail15normal_iteratorINS6_10device_ptrIKdEEEESL_NS6_8equal_toIdEEEENSG_9not_fun_tINSD_8identityEEEEENSD_19counting_iterator_tIlEES8_S8_S8_S8_S8_S8_S8_S8_EEEEPS9_S9_NSD_9__find_if7functorIS9_EEEE10hipError_tPvRmT1_T2_T3_mT4_P12ihipStream_tbEUlT_E1_NS1_11comp_targetILNS1_3genE0ELNS1_11target_archE4294967295ELNS1_3gpuE0ELNS1_3repE0EEENS1_30default_config_static_selectorELNS0_4arch9wavefront6targetE1EEEvS14_.num_named_barrier, 0
	.set _ZN7rocprim17ROCPRIM_400000_NS6detail17trampoline_kernelINS0_14default_configENS1_22reduce_config_selectorIN6thrust23THRUST_200600_302600_NS5tupleIblNS6_9null_typeES8_S8_S8_S8_S8_S8_S8_EEEEZNS1_11reduce_implILb1ES3_NS6_12zip_iteratorINS7_INS6_11hip_rocprim26transform_input_iterator_tIbNSD_35transform_pair_of_input_iterators_tIbNS6_6detail15normal_iteratorINS6_10device_ptrIKdEEEESL_NS6_8equal_toIdEEEENSG_9not_fun_tINSD_8identityEEEEENSD_19counting_iterator_tIlEES8_S8_S8_S8_S8_S8_S8_S8_EEEEPS9_S9_NSD_9__find_if7functorIS9_EEEE10hipError_tPvRmT1_T2_T3_mT4_P12ihipStream_tbEUlT_E1_NS1_11comp_targetILNS1_3genE0ELNS1_11target_archE4294967295ELNS1_3gpuE0ELNS1_3repE0EEENS1_30default_config_static_selectorELNS0_4arch9wavefront6targetE1EEEvS14_.private_seg_size, 0
	.set _ZN7rocprim17ROCPRIM_400000_NS6detail17trampoline_kernelINS0_14default_configENS1_22reduce_config_selectorIN6thrust23THRUST_200600_302600_NS5tupleIblNS6_9null_typeES8_S8_S8_S8_S8_S8_S8_EEEEZNS1_11reduce_implILb1ES3_NS6_12zip_iteratorINS7_INS6_11hip_rocprim26transform_input_iterator_tIbNSD_35transform_pair_of_input_iterators_tIbNS6_6detail15normal_iteratorINS6_10device_ptrIKdEEEESL_NS6_8equal_toIdEEEENSG_9not_fun_tINSD_8identityEEEEENSD_19counting_iterator_tIlEES8_S8_S8_S8_S8_S8_S8_S8_EEEEPS9_S9_NSD_9__find_if7functorIS9_EEEE10hipError_tPvRmT1_T2_T3_mT4_P12ihipStream_tbEUlT_E1_NS1_11comp_targetILNS1_3genE0ELNS1_11target_archE4294967295ELNS1_3gpuE0ELNS1_3repE0EEENS1_30default_config_static_selectorELNS0_4arch9wavefront6targetE1EEEvS14_.uses_vcc, 1
	.set _ZN7rocprim17ROCPRIM_400000_NS6detail17trampoline_kernelINS0_14default_configENS1_22reduce_config_selectorIN6thrust23THRUST_200600_302600_NS5tupleIblNS6_9null_typeES8_S8_S8_S8_S8_S8_S8_EEEEZNS1_11reduce_implILb1ES3_NS6_12zip_iteratorINS7_INS6_11hip_rocprim26transform_input_iterator_tIbNSD_35transform_pair_of_input_iterators_tIbNS6_6detail15normal_iteratorINS6_10device_ptrIKdEEEESL_NS6_8equal_toIdEEEENSG_9not_fun_tINSD_8identityEEEEENSD_19counting_iterator_tIlEES8_S8_S8_S8_S8_S8_S8_S8_EEEEPS9_S9_NSD_9__find_if7functorIS9_EEEE10hipError_tPvRmT1_T2_T3_mT4_P12ihipStream_tbEUlT_E1_NS1_11comp_targetILNS1_3genE0ELNS1_11target_archE4294967295ELNS1_3gpuE0ELNS1_3repE0EEENS1_30default_config_static_selectorELNS0_4arch9wavefront6targetE1EEEvS14_.uses_flat_scratch, 0
	.set _ZN7rocprim17ROCPRIM_400000_NS6detail17trampoline_kernelINS0_14default_configENS1_22reduce_config_selectorIN6thrust23THRUST_200600_302600_NS5tupleIblNS6_9null_typeES8_S8_S8_S8_S8_S8_S8_EEEEZNS1_11reduce_implILb1ES3_NS6_12zip_iteratorINS7_INS6_11hip_rocprim26transform_input_iterator_tIbNSD_35transform_pair_of_input_iterators_tIbNS6_6detail15normal_iteratorINS6_10device_ptrIKdEEEESL_NS6_8equal_toIdEEEENSG_9not_fun_tINSD_8identityEEEEENSD_19counting_iterator_tIlEES8_S8_S8_S8_S8_S8_S8_S8_EEEEPS9_S9_NSD_9__find_if7functorIS9_EEEE10hipError_tPvRmT1_T2_T3_mT4_P12ihipStream_tbEUlT_E1_NS1_11comp_targetILNS1_3genE0ELNS1_11target_archE4294967295ELNS1_3gpuE0ELNS1_3repE0EEENS1_30default_config_static_selectorELNS0_4arch9wavefront6targetE1EEEvS14_.has_dyn_sized_stack, 0
	.set _ZN7rocprim17ROCPRIM_400000_NS6detail17trampoline_kernelINS0_14default_configENS1_22reduce_config_selectorIN6thrust23THRUST_200600_302600_NS5tupleIblNS6_9null_typeES8_S8_S8_S8_S8_S8_S8_EEEEZNS1_11reduce_implILb1ES3_NS6_12zip_iteratorINS7_INS6_11hip_rocprim26transform_input_iterator_tIbNSD_35transform_pair_of_input_iterators_tIbNS6_6detail15normal_iteratorINS6_10device_ptrIKdEEEESL_NS6_8equal_toIdEEEENSG_9not_fun_tINSD_8identityEEEEENSD_19counting_iterator_tIlEES8_S8_S8_S8_S8_S8_S8_S8_EEEEPS9_S9_NSD_9__find_if7functorIS9_EEEE10hipError_tPvRmT1_T2_T3_mT4_P12ihipStream_tbEUlT_E1_NS1_11comp_targetILNS1_3genE0ELNS1_11target_archE4294967295ELNS1_3gpuE0ELNS1_3repE0EEENS1_30default_config_static_selectorELNS0_4arch9wavefront6targetE1EEEvS14_.has_recursion, 0
	.set _ZN7rocprim17ROCPRIM_400000_NS6detail17trampoline_kernelINS0_14default_configENS1_22reduce_config_selectorIN6thrust23THRUST_200600_302600_NS5tupleIblNS6_9null_typeES8_S8_S8_S8_S8_S8_S8_EEEEZNS1_11reduce_implILb1ES3_NS6_12zip_iteratorINS7_INS6_11hip_rocprim26transform_input_iterator_tIbNSD_35transform_pair_of_input_iterators_tIbNS6_6detail15normal_iteratorINS6_10device_ptrIKdEEEESL_NS6_8equal_toIdEEEENSG_9not_fun_tINSD_8identityEEEEENSD_19counting_iterator_tIlEES8_S8_S8_S8_S8_S8_S8_S8_EEEEPS9_S9_NSD_9__find_if7functorIS9_EEEE10hipError_tPvRmT1_T2_T3_mT4_P12ihipStream_tbEUlT_E1_NS1_11comp_targetILNS1_3genE0ELNS1_11target_archE4294967295ELNS1_3gpuE0ELNS1_3repE0EEENS1_30default_config_static_selectorELNS0_4arch9wavefront6targetE1EEEvS14_.has_indirect_call, 0
	.section	.AMDGPU.csdata,"",@progbits
; Kernel info:
; codeLenInByte = 13328
; TotalNumSgprs: 46
; NumVgprs: 45
; NumAgprs: 0
; TotalNumVgprs: 45
; ScratchSize: 0
; MemoryBound: 0
; FloatMode: 240
; IeeeMode: 1
; LDSByteSize: 160 bytes/workgroup (compile time only)
; SGPRBlocks: 5
; VGPRBlocks: 5
; NumSGPRsForWavesPerEU: 46
; NumVGPRsForWavesPerEU: 45
; AccumOffset: 48
; Occupancy: 8
; WaveLimiterHint : 0
; COMPUTE_PGM_RSRC2:SCRATCH_EN: 0
; COMPUTE_PGM_RSRC2:USER_SGPR: 2
; COMPUTE_PGM_RSRC2:TRAP_HANDLER: 0
; COMPUTE_PGM_RSRC2:TGID_X_EN: 1
; COMPUTE_PGM_RSRC2:TGID_Y_EN: 0
; COMPUTE_PGM_RSRC2:TGID_Z_EN: 0
; COMPUTE_PGM_RSRC2:TIDIG_COMP_CNT: 0
; COMPUTE_PGM_RSRC3_GFX90A:ACCUM_OFFSET: 11
; COMPUTE_PGM_RSRC3_GFX90A:TG_SPLIT: 0
	.section	.text._ZN7rocprim17ROCPRIM_400000_NS6detail17trampoline_kernelINS0_14default_configENS1_22reduce_config_selectorIN6thrust23THRUST_200600_302600_NS5tupleIblNS6_9null_typeES8_S8_S8_S8_S8_S8_S8_EEEEZNS1_11reduce_implILb1ES3_NS6_12zip_iteratorINS7_INS6_11hip_rocprim26transform_input_iterator_tIbNSD_35transform_pair_of_input_iterators_tIbNS6_6detail15normal_iteratorINS6_10device_ptrIKdEEEESL_NS6_8equal_toIdEEEENSG_9not_fun_tINSD_8identityEEEEENSD_19counting_iterator_tIlEES8_S8_S8_S8_S8_S8_S8_S8_EEEEPS9_S9_NSD_9__find_if7functorIS9_EEEE10hipError_tPvRmT1_T2_T3_mT4_P12ihipStream_tbEUlT_E1_NS1_11comp_targetILNS1_3genE5ELNS1_11target_archE942ELNS1_3gpuE9ELNS1_3repE0EEENS1_30default_config_static_selectorELNS0_4arch9wavefront6targetE1EEEvS14_,"axG",@progbits,_ZN7rocprim17ROCPRIM_400000_NS6detail17trampoline_kernelINS0_14default_configENS1_22reduce_config_selectorIN6thrust23THRUST_200600_302600_NS5tupleIblNS6_9null_typeES8_S8_S8_S8_S8_S8_S8_EEEEZNS1_11reduce_implILb1ES3_NS6_12zip_iteratorINS7_INS6_11hip_rocprim26transform_input_iterator_tIbNSD_35transform_pair_of_input_iterators_tIbNS6_6detail15normal_iteratorINS6_10device_ptrIKdEEEESL_NS6_8equal_toIdEEEENSG_9not_fun_tINSD_8identityEEEEENSD_19counting_iterator_tIlEES8_S8_S8_S8_S8_S8_S8_S8_EEEEPS9_S9_NSD_9__find_if7functorIS9_EEEE10hipError_tPvRmT1_T2_T3_mT4_P12ihipStream_tbEUlT_E1_NS1_11comp_targetILNS1_3genE5ELNS1_11target_archE942ELNS1_3gpuE9ELNS1_3repE0EEENS1_30default_config_static_selectorELNS0_4arch9wavefront6targetE1EEEvS14_,comdat
	.protected	_ZN7rocprim17ROCPRIM_400000_NS6detail17trampoline_kernelINS0_14default_configENS1_22reduce_config_selectorIN6thrust23THRUST_200600_302600_NS5tupleIblNS6_9null_typeES8_S8_S8_S8_S8_S8_S8_EEEEZNS1_11reduce_implILb1ES3_NS6_12zip_iteratorINS7_INS6_11hip_rocprim26transform_input_iterator_tIbNSD_35transform_pair_of_input_iterators_tIbNS6_6detail15normal_iteratorINS6_10device_ptrIKdEEEESL_NS6_8equal_toIdEEEENSG_9not_fun_tINSD_8identityEEEEENSD_19counting_iterator_tIlEES8_S8_S8_S8_S8_S8_S8_S8_EEEEPS9_S9_NSD_9__find_if7functorIS9_EEEE10hipError_tPvRmT1_T2_T3_mT4_P12ihipStream_tbEUlT_E1_NS1_11comp_targetILNS1_3genE5ELNS1_11target_archE942ELNS1_3gpuE9ELNS1_3repE0EEENS1_30default_config_static_selectorELNS0_4arch9wavefront6targetE1EEEvS14_ ; -- Begin function _ZN7rocprim17ROCPRIM_400000_NS6detail17trampoline_kernelINS0_14default_configENS1_22reduce_config_selectorIN6thrust23THRUST_200600_302600_NS5tupleIblNS6_9null_typeES8_S8_S8_S8_S8_S8_S8_EEEEZNS1_11reduce_implILb1ES3_NS6_12zip_iteratorINS7_INS6_11hip_rocprim26transform_input_iterator_tIbNSD_35transform_pair_of_input_iterators_tIbNS6_6detail15normal_iteratorINS6_10device_ptrIKdEEEESL_NS6_8equal_toIdEEEENSG_9not_fun_tINSD_8identityEEEEENSD_19counting_iterator_tIlEES8_S8_S8_S8_S8_S8_S8_S8_EEEEPS9_S9_NSD_9__find_if7functorIS9_EEEE10hipError_tPvRmT1_T2_T3_mT4_P12ihipStream_tbEUlT_E1_NS1_11comp_targetILNS1_3genE5ELNS1_11target_archE942ELNS1_3gpuE9ELNS1_3repE0EEENS1_30default_config_static_selectorELNS0_4arch9wavefront6targetE1EEEvS14_
	.globl	_ZN7rocprim17ROCPRIM_400000_NS6detail17trampoline_kernelINS0_14default_configENS1_22reduce_config_selectorIN6thrust23THRUST_200600_302600_NS5tupleIblNS6_9null_typeES8_S8_S8_S8_S8_S8_S8_EEEEZNS1_11reduce_implILb1ES3_NS6_12zip_iteratorINS7_INS6_11hip_rocprim26transform_input_iterator_tIbNSD_35transform_pair_of_input_iterators_tIbNS6_6detail15normal_iteratorINS6_10device_ptrIKdEEEESL_NS6_8equal_toIdEEEENSG_9not_fun_tINSD_8identityEEEEENSD_19counting_iterator_tIlEES8_S8_S8_S8_S8_S8_S8_S8_EEEEPS9_S9_NSD_9__find_if7functorIS9_EEEE10hipError_tPvRmT1_T2_T3_mT4_P12ihipStream_tbEUlT_E1_NS1_11comp_targetILNS1_3genE5ELNS1_11target_archE942ELNS1_3gpuE9ELNS1_3repE0EEENS1_30default_config_static_selectorELNS0_4arch9wavefront6targetE1EEEvS14_
	.p2align	8
	.type	_ZN7rocprim17ROCPRIM_400000_NS6detail17trampoline_kernelINS0_14default_configENS1_22reduce_config_selectorIN6thrust23THRUST_200600_302600_NS5tupleIblNS6_9null_typeES8_S8_S8_S8_S8_S8_S8_EEEEZNS1_11reduce_implILb1ES3_NS6_12zip_iteratorINS7_INS6_11hip_rocprim26transform_input_iterator_tIbNSD_35transform_pair_of_input_iterators_tIbNS6_6detail15normal_iteratorINS6_10device_ptrIKdEEEESL_NS6_8equal_toIdEEEENSG_9not_fun_tINSD_8identityEEEEENSD_19counting_iterator_tIlEES8_S8_S8_S8_S8_S8_S8_S8_EEEEPS9_S9_NSD_9__find_if7functorIS9_EEEE10hipError_tPvRmT1_T2_T3_mT4_P12ihipStream_tbEUlT_E1_NS1_11comp_targetILNS1_3genE5ELNS1_11target_archE942ELNS1_3gpuE9ELNS1_3repE0EEENS1_30default_config_static_selectorELNS0_4arch9wavefront6targetE1EEEvS14_,@function
_ZN7rocprim17ROCPRIM_400000_NS6detail17trampoline_kernelINS0_14default_configENS1_22reduce_config_selectorIN6thrust23THRUST_200600_302600_NS5tupleIblNS6_9null_typeES8_S8_S8_S8_S8_S8_S8_EEEEZNS1_11reduce_implILb1ES3_NS6_12zip_iteratorINS7_INS6_11hip_rocprim26transform_input_iterator_tIbNSD_35transform_pair_of_input_iterators_tIbNS6_6detail15normal_iteratorINS6_10device_ptrIKdEEEESL_NS6_8equal_toIdEEEENSG_9not_fun_tINSD_8identityEEEEENSD_19counting_iterator_tIlEES8_S8_S8_S8_S8_S8_S8_S8_EEEEPS9_S9_NSD_9__find_if7functorIS9_EEEE10hipError_tPvRmT1_T2_T3_mT4_P12ihipStream_tbEUlT_E1_NS1_11comp_targetILNS1_3genE5ELNS1_11target_archE942ELNS1_3gpuE9ELNS1_3repE0EEENS1_30default_config_static_selectorELNS0_4arch9wavefront6targetE1EEEvS14_: ; @_ZN7rocprim17ROCPRIM_400000_NS6detail17trampoline_kernelINS0_14default_configENS1_22reduce_config_selectorIN6thrust23THRUST_200600_302600_NS5tupleIblNS6_9null_typeES8_S8_S8_S8_S8_S8_S8_EEEEZNS1_11reduce_implILb1ES3_NS6_12zip_iteratorINS7_INS6_11hip_rocprim26transform_input_iterator_tIbNSD_35transform_pair_of_input_iterators_tIbNS6_6detail15normal_iteratorINS6_10device_ptrIKdEEEESL_NS6_8equal_toIdEEEENSG_9not_fun_tINSD_8identityEEEEENSD_19counting_iterator_tIlEES8_S8_S8_S8_S8_S8_S8_S8_EEEEPS9_S9_NSD_9__find_if7functorIS9_EEEE10hipError_tPvRmT1_T2_T3_mT4_P12ihipStream_tbEUlT_E1_NS1_11comp_targetILNS1_3genE5ELNS1_11target_archE942ELNS1_3gpuE9ELNS1_3repE0EEENS1_30default_config_static_selectorELNS0_4arch9wavefront6targetE1EEEvS14_
; %bb.0:
	.section	.rodata,"a",@progbits
	.p2align	6, 0x0
	.amdhsa_kernel _ZN7rocprim17ROCPRIM_400000_NS6detail17trampoline_kernelINS0_14default_configENS1_22reduce_config_selectorIN6thrust23THRUST_200600_302600_NS5tupleIblNS6_9null_typeES8_S8_S8_S8_S8_S8_S8_EEEEZNS1_11reduce_implILb1ES3_NS6_12zip_iteratorINS7_INS6_11hip_rocprim26transform_input_iterator_tIbNSD_35transform_pair_of_input_iterators_tIbNS6_6detail15normal_iteratorINS6_10device_ptrIKdEEEESL_NS6_8equal_toIdEEEENSG_9not_fun_tINSD_8identityEEEEENSD_19counting_iterator_tIlEES8_S8_S8_S8_S8_S8_S8_S8_EEEEPS9_S9_NSD_9__find_if7functorIS9_EEEE10hipError_tPvRmT1_T2_T3_mT4_P12ihipStream_tbEUlT_E1_NS1_11comp_targetILNS1_3genE5ELNS1_11target_archE942ELNS1_3gpuE9ELNS1_3repE0EEENS1_30default_config_static_selectorELNS0_4arch9wavefront6targetE1EEEvS14_
		.amdhsa_group_segment_fixed_size 0
		.amdhsa_private_segment_fixed_size 0
		.amdhsa_kernarg_size 88
		.amdhsa_user_sgpr_count 2
		.amdhsa_user_sgpr_dispatch_ptr 0
		.amdhsa_user_sgpr_queue_ptr 0
		.amdhsa_user_sgpr_kernarg_segment_ptr 1
		.amdhsa_user_sgpr_dispatch_id 0
		.amdhsa_user_sgpr_kernarg_preload_length 0
		.amdhsa_user_sgpr_kernarg_preload_offset 0
		.amdhsa_user_sgpr_private_segment_size 0
		.amdhsa_uses_dynamic_stack 0
		.amdhsa_enable_private_segment 0
		.amdhsa_system_sgpr_workgroup_id_x 1
		.amdhsa_system_sgpr_workgroup_id_y 0
		.amdhsa_system_sgpr_workgroup_id_z 0
		.amdhsa_system_sgpr_workgroup_info 0
		.amdhsa_system_vgpr_workitem_id 0
		.amdhsa_next_free_vgpr 1
		.amdhsa_next_free_sgpr 0
		.amdhsa_accum_offset 4
		.amdhsa_reserve_vcc 0
		.amdhsa_float_round_mode_32 0
		.amdhsa_float_round_mode_16_64 0
		.amdhsa_float_denorm_mode_32 3
		.amdhsa_float_denorm_mode_16_64 3
		.amdhsa_dx10_clamp 1
		.amdhsa_ieee_mode 1
		.amdhsa_fp16_overflow 0
		.amdhsa_tg_split 0
		.amdhsa_exception_fp_ieee_invalid_op 0
		.amdhsa_exception_fp_denorm_src 0
		.amdhsa_exception_fp_ieee_div_zero 0
		.amdhsa_exception_fp_ieee_overflow 0
		.amdhsa_exception_fp_ieee_underflow 0
		.amdhsa_exception_fp_ieee_inexact 0
		.amdhsa_exception_int_div_zero 0
	.end_amdhsa_kernel
	.section	.text._ZN7rocprim17ROCPRIM_400000_NS6detail17trampoline_kernelINS0_14default_configENS1_22reduce_config_selectorIN6thrust23THRUST_200600_302600_NS5tupleIblNS6_9null_typeES8_S8_S8_S8_S8_S8_S8_EEEEZNS1_11reduce_implILb1ES3_NS6_12zip_iteratorINS7_INS6_11hip_rocprim26transform_input_iterator_tIbNSD_35transform_pair_of_input_iterators_tIbNS6_6detail15normal_iteratorINS6_10device_ptrIKdEEEESL_NS6_8equal_toIdEEEENSG_9not_fun_tINSD_8identityEEEEENSD_19counting_iterator_tIlEES8_S8_S8_S8_S8_S8_S8_S8_EEEEPS9_S9_NSD_9__find_if7functorIS9_EEEE10hipError_tPvRmT1_T2_T3_mT4_P12ihipStream_tbEUlT_E1_NS1_11comp_targetILNS1_3genE5ELNS1_11target_archE942ELNS1_3gpuE9ELNS1_3repE0EEENS1_30default_config_static_selectorELNS0_4arch9wavefront6targetE1EEEvS14_,"axG",@progbits,_ZN7rocprim17ROCPRIM_400000_NS6detail17trampoline_kernelINS0_14default_configENS1_22reduce_config_selectorIN6thrust23THRUST_200600_302600_NS5tupleIblNS6_9null_typeES8_S8_S8_S8_S8_S8_S8_EEEEZNS1_11reduce_implILb1ES3_NS6_12zip_iteratorINS7_INS6_11hip_rocprim26transform_input_iterator_tIbNSD_35transform_pair_of_input_iterators_tIbNS6_6detail15normal_iteratorINS6_10device_ptrIKdEEEESL_NS6_8equal_toIdEEEENSG_9not_fun_tINSD_8identityEEEEENSD_19counting_iterator_tIlEES8_S8_S8_S8_S8_S8_S8_S8_EEEEPS9_S9_NSD_9__find_if7functorIS9_EEEE10hipError_tPvRmT1_T2_T3_mT4_P12ihipStream_tbEUlT_E1_NS1_11comp_targetILNS1_3genE5ELNS1_11target_archE942ELNS1_3gpuE9ELNS1_3repE0EEENS1_30default_config_static_selectorELNS0_4arch9wavefront6targetE1EEEvS14_,comdat
.Lfunc_end191:
	.size	_ZN7rocprim17ROCPRIM_400000_NS6detail17trampoline_kernelINS0_14default_configENS1_22reduce_config_selectorIN6thrust23THRUST_200600_302600_NS5tupleIblNS6_9null_typeES8_S8_S8_S8_S8_S8_S8_EEEEZNS1_11reduce_implILb1ES3_NS6_12zip_iteratorINS7_INS6_11hip_rocprim26transform_input_iterator_tIbNSD_35transform_pair_of_input_iterators_tIbNS6_6detail15normal_iteratorINS6_10device_ptrIKdEEEESL_NS6_8equal_toIdEEEENSG_9not_fun_tINSD_8identityEEEEENSD_19counting_iterator_tIlEES8_S8_S8_S8_S8_S8_S8_S8_EEEEPS9_S9_NSD_9__find_if7functorIS9_EEEE10hipError_tPvRmT1_T2_T3_mT4_P12ihipStream_tbEUlT_E1_NS1_11comp_targetILNS1_3genE5ELNS1_11target_archE942ELNS1_3gpuE9ELNS1_3repE0EEENS1_30default_config_static_selectorELNS0_4arch9wavefront6targetE1EEEvS14_, .Lfunc_end191-_ZN7rocprim17ROCPRIM_400000_NS6detail17trampoline_kernelINS0_14default_configENS1_22reduce_config_selectorIN6thrust23THRUST_200600_302600_NS5tupleIblNS6_9null_typeES8_S8_S8_S8_S8_S8_S8_EEEEZNS1_11reduce_implILb1ES3_NS6_12zip_iteratorINS7_INS6_11hip_rocprim26transform_input_iterator_tIbNSD_35transform_pair_of_input_iterators_tIbNS6_6detail15normal_iteratorINS6_10device_ptrIKdEEEESL_NS6_8equal_toIdEEEENSG_9not_fun_tINSD_8identityEEEEENSD_19counting_iterator_tIlEES8_S8_S8_S8_S8_S8_S8_S8_EEEEPS9_S9_NSD_9__find_if7functorIS9_EEEE10hipError_tPvRmT1_T2_T3_mT4_P12ihipStream_tbEUlT_E1_NS1_11comp_targetILNS1_3genE5ELNS1_11target_archE942ELNS1_3gpuE9ELNS1_3repE0EEENS1_30default_config_static_selectorELNS0_4arch9wavefront6targetE1EEEvS14_
                                        ; -- End function
	.set _ZN7rocprim17ROCPRIM_400000_NS6detail17trampoline_kernelINS0_14default_configENS1_22reduce_config_selectorIN6thrust23THRUST_200600_302600_NS5tupleIblNS6_9null_typeES8_S8_S8_S8_S8_S8_S8_EEEEZNS1_11reduce_implILb1ES3_NS6_12zip_iteratorINS7_INS6_11hip_rocprim26transform_input_iterator_tIbNSD_35transform_pair_of_input_iterators_tIbNS6_6detail15normal_iteratorINS6_10device_ptrIKdEEEESL_NS6_8equal_toIdEEEENSG_9not_fun_tINSD_8identityEEEEENSD_19counting_iterator_tIlEES8_S8_S8_S8_S8_S8_S8_S8_EEEEPS9_S9_NSD_9__find_if7functorIS9_EEEE10hipError_tPvRmT1_T2_T3_mT4_P12ihipStream_tbEUlT_E1_NS1_11comp_targetILNS1_3genE5ELNS1_11target_archE942ELNS1_3gpuE9ELNS1_3repE0EEENS1_30default_config_static_selectorELNS0_4arch9wavefront6targetE1EEEvS14_.num_vgpr, 0
	.set _ZN7rocprim17ROCPRIM_400000_NS6detail17trampoline_kernelINS0_14default_configENS1_22reduce_config_selectorIN6thrust23THRUST_200600_302600_NS5tupleIblNS6_9null_typeES8_S8_S8_S8_S8_S8_S8_EEEEZNS1_11reduce_implILb1ES3_NS6_12zip_iteratorINS7_INS6_11hip_rocprim26transform_input_iterator_tIbNSD_35transform_pair_of_input_iterators_tIbNS6_6detail15normal_iteratorINS6_10device_ptrIKdEEEESL_NS6_8equal_toIdEEEENSG_9not_fun_tINSD_8identityEEEEENSD_19counting_iterator_tIlEES8_S8_S8_S8_S8_S8_S8_S8_EEEEPS9_S9_NSD_9__find_if7functorIS9_EEEE10hipError_tPvRmT1_T2_T3_mT4_P12ihipStream_tbEUlT_E1_NS1_11comp_targetILNS1_3genE5ELNS1_11target_archE942ELNS1_3gpuE9ELNS1_3repE0EEENS1_30default_config_static_selectorELNS0_4arch9wavefront6targetE1EEEvS14_.num_agpr, 0
	.set _ZN7rocprim17ROCPRIM_400000_NS6detail17trampoline_kernelINS0_14default_configENS1_22reduce_config_selectorIN6thrust23THRUST_200600_302600_NS5tupleIblNS6_9null_typeES8_S8_S8_S8_S8_S8_S8_EEEEZNS1_11reduce_implILb1ES3_NS6_12zip_iteratorINS7_INS6_11hip_rocprim26transform_input_iterator_tIbNSD_35transform_pair_of_input_iterators_tIbNS6_6detail15normal_iteratorINS6_10device_ptrIKdEEEESL_NS6_8equal_toIdEEEENSG_9not_fun_tINSD_8identityEEEEENSD_19counting_iterator_tIlEES8_S8_S8_S8_S8_S8_S8_S8_EEEEPS9_S9_NSD_9__find_if7functorIS9_EEEE10hipError_tPvRmT1_T2_T3_mT4_P12ihipStream_tbEUlT_E1_NS1_11comp_targetILNS1_3genE5ELNS1_11target_archE942ELNS1_3gpuE9ELNS1_3repE0EEENS1_30default_config_static_selectorELNS0_4arch9wavefront6targetE1EEEvS14_.numbered_sgpr, 0
	.set _ZN7rocprim17ROCPRIM_400000_NS6detail17trampoline_kernelINS0_14default_configENS1_22reduce_config_selectorIN6thrust23THRUST_200600_302600_NS5tupleIblNS6_9null_typeES8_S8_S8_S8_S8_S8_S8_EEEEZNS1_11reduce_implILb1ES3_NS6_12zip_iteratorINS7_INS6_11hip_rocprim26transform_input_iterator_tIbNSD_35transform_pair_of_input_iterators_tIbNS6_6detail15normal_iteratorINS6_10device_ptrIKdEEEESL_NS6_8equal_toIdEEEENSG_9not_fun_tINSD_8identityEEEEENSD_19counting_iterator_tIlEES8_S8_S8_S8_S8_S8_S8_S8_EEEEPS9_S9_NSD_9__find_if7functorIS9_EEEE10hipError_tPvRmT1_T2_T3_mT4_P12ihipStream_tbEUlT_E1_NS1_11comp_targetILNS1_3genE5ELNS1_11target_archE942ELNS1_3gpuE9ELNS1_3repE0EEENS1_30default_config_static_selectorELNS0_4arch9wavefront6targetE1EEEvS14_.num_named_barrier, 0
	.set _ZN7rocprim17ROCPRIM_400000_NS6detail17trampoline_kernelINS0_14default_configENS1_22reduce_config_selectorIN6thrust23THRUST_200600_302600_NS5tupleIblNS6_9null_typeES8_S8_S8_S8_S8_S8_S8_EEEEZNS1_11reduce_implILb1ES3_NS6_12zip_iteratorINS7_INS6_11hip_rocprim26transform_input_iterator_tIbNSD_35transform_pair_of_input_iterators_tIbNS6_6detail15normal_iteratorINS6_10device_ptrIKdEEEESL_NS6_8equal_toIdEEEENSG_9not_fun_tINSD_8identityEEEEENSD_19counting_iterator_tIlEES8_S8_S8_S8_S8_S8_S8_S8_EEEEPS9_S9_NSD_9__find_if7functorIS9_EEEE10hipError_tPvRmT1_T2_T3_mT4_P12ihipStream_tbEUlT_E1_NS1_11comp_targetILNS1_3genE5ELNS1_11target_archE942ELNS1_3gpuE9ELNS1_3repE0EEENS1_30default_config_static_selectorELNS0_4arch9wavefront6targetE1EEEvS14_.private_seg_size, 0
	.set _ZN7rocprim17ROCPRIM_400000_NS6detail17trampoline_kernelINS0_14default_configENS1_22reduce_config_selectorIN6thrust23THRUST_200600_302600_NS5tupleIblNS6_9null_typeES8_S8_S8_S8_S8_S8_S8_EEEEZNS1_11reduce_implILb1ES3_NS6_12zip_iteratorINS7_INS6_11hip_rocprim26transform_input_iterator_tIbNSD_35transform_pair_of_input_iterators_tIbNS6_6detail15normal_iteratorINS6_10device_ptrIKdEEEESL_NS6_8equal_toIdEEEENSG_9not_fun_tINSD_8identityEEEEENSD_19counting_iterator_tIlEES8_S8_S8_S8_S8_S8_S8_S8_EEEEPS9_S9_NSD_9__find_if7functorIS9_EEEE10hipError_tPvRmT1_T2_T3_mT4_P12ihipStream_tbEUlT_E1_NS1_11comp_targetILNS1_3genE5ELNS1_11target_archE942ELNS1_3gpuE9ELNS1_3repE0EEENS1_30default_config_static_selectorELNS0_4arch9wavefront6targetE1EEEvS14_.uses_vcc, 0
	.set _ZN7rocprim17ROCPRIM_400000_NS6detail17trampoline_kernelINS0_14default_configENS1_22reduce_config_selectorIN6thrust23THRUST_200600_302600_NS5tupleIblNS6_9null_typeES8_S8_S8_S8_S8_S8_S8_EEEEZNS1_11reduce_implILb1ES3_NS6_12zip_iteratorINS7_INS6_11hip_rocprim26transform_input_iterator_tIbNSD_35transform_pair_of_input_iterators_tIbNS6_6detail15normal_iteratorINS6_10device_ptrIKdEEEESL_NS6_8equal_toIdEEEENSG_9not_fun_tINSD_8identityEEEEENSD_19counting_iterator_tIlEES8_S8_S8_S8_S8_S8_S8_S8_EEEEPS9_S9_NSD_9__find_if7functorIS9_EEEE10hipError_tPvRmT1_T2_T3_mT4_P12ihipStream_tbEUlT_E1_NS1_11comp_targetILNS1_3genE5ELNS1_11target_archE942ELNS1_3gpuE9ELNS1_3repE0EEENS1_30default_config_static_selectorELNS0_4arch9wavefront6targetE1EEEvS14_.uses_flat_scratch, 0
	.set _ZN7rocprim17ROCPRIM_400000_NS6detail17trampoline_kernelINS0_14default_configENS1_22reduce_config_selectorIN6thrust23THRUST_200600_302600_NS5tupleIblNS6_9null_typeES8_S8_S8_S8_S8_S8_S8_EEEEZNS1_11reduce_implILb1ES3_NS6_12zip_iteratorINS7_INS6_11hip_rocprim26transform_input_iterator_tIbNSD_35transform_pair_of_input_iterators_tIbNS6_6detail15normal_iteratorINS6_10device_ptrIKdEEEESL_NS6_8equal_toIdEEEENSG_9not_fun_tINSD_8identityEEEEENSD_19counting_iterator_tIlEES8_S8_S8_S8_S8_S8_S8_S8_EEEEPS9_S9_NSD_9__find_if7functorIS9_EEEE10hipError_tPvRmT1_T2_T3_mT4_P12ihipStream_tbEUlT_E1_NS1_11comp_targetILNS1_3genE5ELNS1_11target_archE942ELNS1_3gpuE9ELNS1_3repE0EEENS1_30default_config_static_selectorELNS0_4arch9wavefront6targetE1EEEvS14_.has_dyn_sized_stack, 0
	.set _ZN7rocprim17ROCPRIM_400000_NS6detail17trampoline_kernelINS0_14default_configENS1_22reduce_config_selectorIN6thrust23THRUST_200600_302600_NS5tupleIblNS6_9null_typeES8_S8_S8_S8_S8_S8_S8_EEEEZNS1_11reduce_implILb1ES3_NS6_12zip_iteratorINS7_INS6_11hip_rocprim26transform_input_iterator_tIbNSD_35transform_pair_of_input_iterators_tIbNS6_6detail15normal_iteratorINS6_10device_ptrIKdEEEESL_NS6_8equal_toIdEEEENSG_9not_fun_tINSD_8identityEEEEENSD_19counting_iterator_tIlEES8_S8_S8_S8_S8_S8_S8_S8_EEEEPS9_S9_NSD_9__find_if7functorIS9_EEEE10hipError_tPvRmT1_T2_T3_mT4_P12ihipStream_tbEUlT_E1_NS1_11comp_targetILNS1_3genE5ELNS1_11target_archE942ELNS1_3gpuE9ELNS1_3repE0EEENS1_30default_config_static_selectorELNS0_4arch9wavefront6targetE1EEEvS14_.has_recursion, 0
	.set _ZN7rocprim17ROCPRIM_400000_NS6detail17trampoline_kernelINS0_14default_configENS1_22reduce_config_selectorIN6thrust23THRUST_200600_302600_NS5tupleIblNS6_9null_typeES8_S8_S8_S8_S8_S8_S8_EEEEZNS1_11reduce_implILb1ES3_NS6_12zip_iteratorINS7_INS6_11hip_rocprim26transform_input_iterator_tIbNSD_35transform_pair_of_input_iterators_tIbNS6_6detail15normal_iteratorINS6_10device_ptrIKdEEEESL_NS6_8equal_toIdEEEENSG_9not_fun_tINSD_8identityEEEEENSD_19counting_iterator_tIlEES8_S8_S8_S8_S8_S8_S8_S8_EEEEPS9_S9_NSD_9__find_if7functorIS9_EEEE10hipError_tPvRmT1_T2_T3_mT4_P12ihipStream_tbEUlT_E1_NS1_11comp_targetILNS1_3genE5ELNS1_11target_archE942ELNS1_3gpuE9ELNS1_3repE0EEENS1_30default_config_static_selectorELNS0_4arch9wavefront6targetE1EEEvS14_.has_indirect_call, 0
	.section	.AMDGPU.csdata,"",@progbits
; Kernel info:
; codeLenInByte = 0
; TotalNumSgprs: 6
; NumVgprs: 0
; NumAgprs: 0
; TotalNumVgprs: 0
; ScratchSize: 0
; MemoryBound: 0
; FloatMode: 240
; IeeeMode: 1
; LDSByteSize: 0 bytes/workgroup (compile time only)
; SGPRBlocks: 0
; VGPRBlocks: 0
; NumSGPRsForWavesPerEU: 6
; NumVGPRsForWavesPerEU: 1
; AccumOffset: 4
; Occupancy: 8
; WaveLimiterHint : 0
; COMPUTE_PGM_RSRC2:SCRATCH_EN: 0
; COMPUTE_PGM_RSRC2:USER_SGPR: 2
; COMPUTE_PGM_RSRC2:TRAP_HANDLER: 0
; COMPUTE_PGM_RSRC2:TGID_X_EN: 1
; COMPUTE_PGM_RSRC2:TGID_Y_EN: 0
; COMPUTE_PGM_RSRC2:TGID_Z_EN: 0
; COMPUTE_PGM_RSRC2:TIDIG_COMP_CNT: 0
; COMPUTE_PGM_RSRC3_GFX90A:ACCUM_OFFSET: 0
; COMPUTE_PGM_RSRC3_GFX90A:TG_SPLIT: 0
	.section	.text._ZN7rocprim17ROCPRIM_400000_NS6detail17trampoline_kernelINS0_14default_configENS1_22reduce_config_selectorIN6thrust23THRUST_200600_302600_NS5tupleIblNS6_9null_typeES8_S8_S8_S8_S8_S8_S8_EEEEZNS1_11reduce_implILb1ES3_NS6_12zip_iteratorINS7_INS6_11hip_rocprim26transform_input_iterator_tIbNSD_35transform_pair_of_input_iterators_tIbNS6_6detail15normal_iteratorINS6_10device_ptrIKdEEEESL_NS6_8equal_toIdEEEENSG_9not_fun_tINSD_8identityEEEEENSD_19counting_iterator_tIlEES8_S8_S8_S8_S8_S8_S8_S8_EEEEPS9_S9_NSD_9__find_if7functorIS9_EEEE10hipError_tPvRmT1_T2_T3_mT4_P12ihipStream_tbEUlT_E1_NS1_11comp_targetILNS1_3genE4ELNS1_11target_archE910ELNS1_3gpuE8ELNS1_3repE0EEENS1_30default_config_static_selectorELNS0_4arch9wavefront6targetE1EEEvS14_,"axG",@progbits,_ZN7rocprim17ROCPRIM_400000_NS6detail17trampoline_kernelINS0_14default_configENS1_22reduce_config_selectorIN6thrust23THRUST_200600_302600_NS5tupleIblNS6_9null_typeES8_S8_S8_S8_S8_S8_S8_EEEEZNS1_11reduce_implILb1ES3_NS6_12zip_iteratorINS7_INS6_11hip_rocprim26transform_input_iterator_tIbNSD_35transform_pair_of_input_iterators_tIbNS6_6detail15normal_iteratorINS6_10device_ptrIKdEEEESL_NS6_8equal_toIdEEEENSG_9not_fun_tINSD_8identityEEEEENSD_19counting_iterator_tIlEES8_S8_S8_S8_S8_S8_S8_S8_EEEEPS9_S9_NSD_9__find_if7functorIS9_EEEE10hipError_tPvRmT1_T2_T3_mT4_P12ihipStream_tbEUlT_E1_NS1_11comp_targetILNS1_3genE4ELNS1_11target_archE910ELNS1_3gpuE8ELNS1_3repE0EEENS1_30default_config_static_selectorELNS0_4arch9wavefront6targetE1EEEvS14_,comdat
	.protected	_ZN7rocprim17ROCPRIM_400000_NS6detail17trampoline_kernelINS0_14default_configENS1_22reduce_config_selectorIN6thrust23THRUST_200600_302600_NS5tupleIblNS6_9null_typeES8_S8_S8_S8_S8_S8_S8_EEEEZNS1_11reduce_implILb1ES3_NS6_12zip_iteratorINS7_INS6_11hip_rocprim26transform_input_iterator_tIbNSD_35transform_pair_of_input_iterators_tIbNS6_6detail15normal_iteratorINS6_10device_ptrIKdEEEESL_NS6_8equal_toIdEEEENSG_9not_fun_tINSD_8identityEEEEENSD_19counting_iterator_tIlEES8_S8_S8_S8_S8_S8_S8_S8_EEEEPS9_S9_NSD_9__find_if7functorIS9_EEEE10hipError_tPvRmT1_T2_T3_mT4_P12ihipStream_tbEUlT_E1_NS1_11comp_targetILNS1_3genE4ELNS1_11target_archE910ELNS1_3gpuE8ELNS1_3repE0EEENS1_30default_config_static_selectorELNS0_4arch9wavefront6targetE1EEEvS14_ ; -- Begin function _ZN7rocprim17ROCPRIM_400000_NS6detail17trampoline_kernelINS0_14default_configENS1_22reduce_config_selectorIN6thrust23THRUST_200600_302600_NS5tupleIblNS6_9null_typeES8_S8_S8_S8_S8_S8_S8_EEEEZNS1_11reduce_implILb1ES3_NS6_12zip_iteratorINS7_INS6_11hip_rocprim26transform_input_iterator_tIbNSD_35transform_pair_of_input_iterators_tIbNS6_6detail15normal_iteratorINS6_10device_ptrIKdEEEESL_NS6_8equal_toIdEEEENSG_9not_fun_tINSD_8identityEEEEENSD_19counting_iterator_tIlEES8_S8_S8_S8_S8_S8_S8_S8_EEEEPS9_S9_NSD_9__find_if7functorIS9_EEEE10hipError_tPvRmT1_T2_T3_mT4_P12ihipStream_tbEUlT_E1_NS1_11comp_targetILNS1_3genE4ELNS1_11target_archE910ELNS1_3gpuE8ELNS1_3repE0EEENS1_30default_config_static_selectorELNS0_4arch9wavefront6targetE1EEEvS14_
	.globl	_ZN7rocprim17ROCPRIM_400000_NS6detail17trampoline_kernelINS0_14default_configENS1_22reduce_config_selectorIN6thrust23THRUST_200600_302600_NS5tupleIblNS6_9null_typeES8_S8_S8_S8_S8_S8_S8_EEEEZNS1_11reduce_implILb1ES3_NS6_12zip_iteratorINS7_INS6_11hip_rocprim26transform_input_iterator_tIbNSD_35transform_pair_of_input_iterators_tIbNS6_6detail15normal_iteratorINS6_10device_ptrIKdEEEESL_NS6_8equal_toIdEEEENSG_9not_fun_tINSD_8identityEEEEENSD_19counting_iterator_tIlEES8_S8_S8_S8_S8_S8_S8_S8_EEEEPS9_S9_NSD_9__find_if7functorIS9_EEEE10hipError_tPvRmT1_T2_T3_mT4_P12ihipStream_tbEUlT_E1_NS1_11comp_targetILNS1_3genE4ELNS1_11target_archE910ELNS1_3gpuE8ELNS1_3repE0EEENS1_30default_config_static_selectorELNS0_4arch9wavefront6targetE1EEEvS14_
	.p2align	8
	.type	_ZN7rocprim17ROCPRIM_400000_NS6detail17trampoline_kernelINS0_14default_configENS1_22reduce_config_selectorIN6thrust23THRUST_200600_302600_NS5tupleIblNS6_9null_typeES8_S8_S8_S8_S8_S8_S8_EEEEZNS1_11reduce_implILb1ES3_NS6_12zip_iteratorINS7_INS6_11hip_rocprim26transform_input_iterator_tIbNSD_35transform_pair_of_input_iterators_tIbNS6_6detail15normal_iteratorINS6_10device_ptrIKdEEEESL_NS6_8equal_toIdEEEENSG_9not_fun_tINSD_8identityEEEEENSD_19counting_iterator_tIlEES8_S8_S8_S8_S8_S8_S8_S8_EEEEPS9_S9_NSD_9__find_if7functorIS9_EEEE10hipError_tPvRmT1_T2_T3_mT4_P12ihipStream_tbEUlT_E1_NS1_11comp_targetILNS1_3genE4ELNS1_11target_archE910ELNS1_3gpuE8ELNS1_3repE0EEENS1_30default_config_static_selectorELNS0_4arch9wavefront6targetE1EEEvS14_,@function
_ZN7rocprim17ROCPRIM_400000_NS6detail17trampoline_kernelINS0_14default_configENS1_22reduce_config_selectorIN6thrust23THRUST_200600_302600_NS5tupleIblNS6_9null_typeES8_S8_S8_S8_S8_S8_S8_EEEEZNS1_11reduce_implILb1ES3_NS6_12zip_iteratorINS7_INS6_11hip_rocprim26transform_input_iterator_tIbNSD_35transform_pair_of_input_iterators_tIbNS6_6detail15normal_iteratorINS6_10device_ptrIKdEEEESL_NS6_8equal_toIdEEEENSG_9not_fun_tINSD_8identityEEEEENSD_19counting_iterator_tIlEES8_S8_S8_S8_S8_S8_S8_S8_EEEEPS9_S9_NSD_9__find_if7functorIS9_EEEE10hipError_tPvRmT1_T2_T3_mT4_P12ihipStream_tbEUlT_E1_NS1_11comp_targetILNS1_3genE4ELNS1_11target_archE910ELNS1_3gpuE8ELNS1_3repE0EEENS1_30default_config_static_selectorELNS0_4arch9wavefront6targetE1EEEvS14_: ; @_ZN7rocprim17ROCPRIM_400000_NS6detail17trampoline_kernelINS0_14default_configENS1_22reduce_config_selectorIN6thrust23THRUST_200600_302600_NS5tupleIblNS6_9null_typeES8_S8_S8_S8_S8_S8_S8_EEEEZNS1_11reduce_implILb1ES3_NS6_12zip_iteratorINS7_INS6_11hip_rocprim26transform_input_iterator_tIbNSD_35transform_pair_of_input_iterators_tIbNS6_6detail15normal_iteratorINS6_10device_ptrIKdEEEESL_NS6_8equal_toIdEEEENSG_9not_fun_tINSD_8identityEEEEENSD_19counting_iterator_tIlEES8_S8_S8_S8_S8_S8_S8_S8_EEEEPS9_S9_NSD_9__find_if7functorIS9_EEEE10hipError_tPvRmT1_T2_T3_mT4_P12ihipStream_tbEUlT_E1_NS1_11comp_targetILNS1_3genE4ELNS1_11target_archE910ELNS1_3gpuE8ELNS1_3repE0EEENS1_30default_config_static_selectorELNS0_4arch9wavefront6targetE1EEEvS14_
; %bb.0:
	.section	.rodata,"a",@progbits
	.p2align	6, 0x0
	.amdhsa_kernel _ZN7rocprim17ROCPRIM_400000_NS6detail17trampoline_kernelINS0_14default_configENS1_22reduce_config_selectorIN6thrust23THRUST_200600_302600_NS5tupleIblNS6_9null_typeES8_S8_S8_S8_S8_S8_S8_EEEEZNS1_11reduce_implILb1ES3_NS6_12zip_iteratorINS7_INS6_11hip_rocprim26transform_input_iterator_tIbNSD_35transform_pair_of_input_iterators_tIbNS6_6detail15normal_iteratorINS6_10device_ptrIKdEEEESL_NS6_8equal_toIdEEEENSG_9not_fun_tINSD_8identityEEEEENSD_19counting_iterator_tIlEES8_S8_S8_S8_S8_S8_S8_S8_EEEEPS9_S9_NSD_9__find_if7functorIS9_EEEE10hipError_tPvRmT1_T2_T3_mT4_P12ihipStream_tbEUlT_E1_NS1_11comp_targetILNS1_3genE4ELNS1_11target_archE910ELNS1_3gpuE8ELNS1_3repE0EEENS1_30default_config_static_selectorELNS0_4arch9wavefront6targetE1EEEvS14_
		.amdhsa_group_segment_fixed_size 0
		.amdhsa_private_segment_fixed_size 0
		.amdhsa_kernarg_size 88
		.amdhsa_user_sgpr_count 2
		.amdhsa_user_sgpr_dispatch_ptr 0
		.amdhsa_user_sgpr_queue_ptr 0
		.amdhsa_user_sgpr_kernarg_segment_ptr 1
		.amdhsa_user_sgpr_dispatch_id 0
		.amdhsa_user_sgpr_kernarg_preload_length 0
		.amdhsa_user_sgpr_kernarg_preload_offset 0
		.amdhsa_user_sgpr_private_segment_size 0
		.amdhsa_uses_dynamic_stack 0
		.amdhsa_enable_private_segment 0
		.amdhsa_system_sgpr_workgroup_id_x 1
		.amdhsa_system_sgpr_workgroup_id_y 0
		.amdhsa_system_sgpr_workgroup_id_z 0
		.amdhsa_system_sgpr_workgroup_info 0
		.amdhsa_system_vgpr_workitem_id 0
		.amdhsa_next_free_vgpr 1
		.amdhsa_next_free_sgpr 0
		.amdhsa_accum_offset 4
		.amdhsa_reserve_vcc 0
		.amdhsa_float_round_mode_32 0
		.amdhsa_float_round_mode_16_64 0
		.amdhsa_float_denorm_mode_32 3
		.amdhsa_float_denorm_mode_16_64 3
		.amdhsa_dx10_clamp 1
		.amdhsa_ieee_mode 1
		.amdhsa_fp16_overflow 0
		.amdhsa_tg_split 0
		.amdhsa_exception_fp_ieee_invalid_op 0
		.amdhsa_exception_fp_denorm_src 0
		.amdhsa_exception_fp_ieee_div_zero 0
		.amdhsa_exception_fp_ieee_overflow 0
		.amdhsa_exception_fp_ieee_underflow 0
		.amdhsa_exception_fp_ieee_inexact 0
		.amdhsa_exception_int_div_zero 0
	.end_amdhsa_kernel
	.section	.text._ZN7rocprim17ROCPRIM_400000_NS6detail17trampoline_kernelINS0_14default_configENS1_22reduce_config_selectorIN6thrust23THRUST_200600_302600_NS5tupleIblNS6_9null_typeES8_S8_S8_S8_S8_S8_S8_EEEEZNS1_11reduce_implILb1ES3_NS6_12zip_iteratorINS7_INS6_11hip_rocprim26transform_input_iterator_tIbNSD_35transform_pair_of_input_iterators_tIbNS6_6detail15normal_iteratorINS6_10device_ptrIKdEEEESL_NS6_8equal_toIdEEEENSG_9not_fun_tINSD_8identityEEEEENSD_19counting_iterator_tIlEES8_S8_S8_S8_S8_S8_S8_S8_EEEEPS9_S9_NSD_9__find_if7functorIS9_EEEE10hipError_tPvRmT1_T2_T3_mT4_P12ihipStream_tbEUlT_E1_NS1_11comp_targetILNS1_3genE4ELNS1_11target_archE910ELNS1_3gpuE8ELNS1_3repE0EEENS1_30default_config_static_selectorELNS0_4arch9wavefront6targetE1EEEvS14_,"axG",@progbits,_ZN7rocprim17ROCPRIM_400000_NS6detail17trampoline_kernelINS0_14default_configENS1_22reduce_config_selectorIN6thrust23THRUST_200600_302600_NS5tupleIblNS6_9null_typeES8_S8_S8_S8_S8_S8_S8_EEEEZNS1_11reduce_implILb1ES3_NS6_12zip_iteratorINS7_INS6_11hip_rocprim26transform_input_iterator_tIbNSD_35transform_pair_of_input_iterators_tIbNS6_6detail15normal_iteratorINS6_10device_ptrIKdEEEESL_NS6_8equal_toIdEEEENSG_9not_fun_tINSD_8identityEEEEENSD_19counting_iterator_tIlEES8_S8_S8_S8_S8_S8_S8_S8_EEEEPS9_S9_NSD_9__find_if7functorIS9_EEEE10hipError_tPvRmT1_T2_T3_mT4_P12ihipStream_tbEUlT_E1_NS1_11comp_targetILNS1_3genE4ELNS1_11target_archE910ELNS1_3gpuE8ELNS1_3repE0EEENS1_30default_config_static_selectorELNS0_4arch9wavefront6targetE1EEEvS14_,comdat
.Lfunc_end192:
	.size	_ZN7rocprim17ROCPRIM_400000_NS6detail17trampoline_kernelINS0_14default_configENS1_22reduce_config_selectorIN6thrust23THRUST_200600_302600_NS5tupleIblNS6_9null_typeES8_S8_S8_S8_S8_S8_S8_EEEEZNS1_11reduce_implILb1ES3_NS6_12zip_iteratorINS7_INS6_11hip_rocprim26transform_input_iterator_tIbNSD_35transform_pair_of_input_iterators_tIbNS6_6detail15normal_iteratorINS6_10device_ptrIKdEEEESL_NS6_8equal_toIdEEEENSG_9not_fun_tINSD_8identityEEEEENSD_19counting_iterator_tIlEES8_S8_S8_S8_S8_S8_S8_S8_EEEEPS9_S9_NSD_9__find_if7functorIS9_EEEE10hipError_tPvRmT1_T2_T3_mT4_P12ihipStream_tbEUlT_E1_NS1_11comp_targetILNS1_3genE4ELNS1_11target_archE910ELNS1_3gpuE8ELNS1_3repE0EEENS1_30default_config_static_selectorELNS0_4arch9wavefront6targetE1EEEvS14_, .Lfunc_end192-_ZN7rocprim17ROCPRIM_400000_NS6detail17trampoline_kernelINS0_14default_configENS1_22reduce_config_selectorIN6thrust23THRUST_200600_302600_NS5tupleIblNS6_9null_typeES8_S8_S8_S8_S8_S8_S8_EEEEZNS1_11reduce_implILb1ES3_NS6_12zip_iteratorINS7_INS6_11hip_rocprim26transform_input_iterator_tIbNSD_35transform_pair_of_input_iterators_tIbNS6_6detail15normal_iteratorINS6_10device_ptrIKdEEEESL_NS6_8equal_toIdEEEENSG_9not_fun_tINSD_8identityEEEEENSD_19counting_iterator_tIlEES8_S8_S8_S8_S8_S8_S8_S8_EEEEPS9_S9_NSD_9__find_if7functorIS9_EEEE10hipError_tPvRmT1_T2_T3_mT4_P12ihipStream_tbEUlT_E1_NS1_11comp_targetILNS1_3genE4ELNS1_11target_archE910ELNS1_3gpuE8ELNS1_3repE0EEENS1_30default_config_static_selectorELNS0_4arch9wavefront6targetE1EEEvS14_
                                        ; -- End function
	.set _ZN7rocprim17ROCPRIM_400000_NS6detail17trampoline_kernelINS0_14default_configENS1_22reduce_config_selectorIN6thrust23THRUST_200600_302600_NS5tupleIblNS6_9null_typeES8_S8_S8_S8_S8_S8_S8_EEEEZNS1_11reduce_implILb1ES3_NS6_12zip_iteratorINS7_INS6_11hip_rocprim26transform_input_iterator_tIbNSD_35transform_pair_of_input_iterators_tIbNS6_6detail15normal_iteratorINS6_10device_ptrIKdEEEESL_NS6_8equal_toIdEEEENSG_9not_fun_tINSD_8identityEEEEENSD_19counting_iterator_tIlEES8_S8_S8_S8_S8_S8_S8_S8_EEEEPS9_S9_NSD_9__find_if7functorIS9_EEEE10hipError_tPvRmT1_T2_T3_mT4_P12ihipStream_tbEUlT_E1_NS1_11comp_targetILNS1_3genE4ELNS1_11target_archE910ELNS1_3gpuE8ELNS1_3repE0EEENS1_30default_config_static_selectorELNS0_4arch9wavefront6targetE1EEEvS14_.num_vgpr, 0
	.set _ZN7rocprim17ROCPRIM_400000_NS6detail17trampoline_kernelINS0_14default_configENS1_22reduce_config_selectorIN6thrust23THRUST_200600_302600_NS5tupleIblNS6_9null_typeES8_S8_S8_S8_S8_S8_S8_EEEEZNS1_11reduce_implILb1ES3_NS6_12zip_iteratorINS7_INS6_11hip_rocprim26transform_input_iterator_tIbNSD_35transform_pair_of_input_iterators_tIbNS6_6detail15normal_iteratorINS6_10device_ptrIKdEEEESL_NS6_8equal_toIdEEEENSG_9not_fun_tINSD_8identityEEEEENSD_19counting_iterator_tIlEES8_S8_S8_S8_S8_S8_S8_S8_EEEEPS9_S9_NSD_9__find_if7functorIS9_EEEE10hipError_tPvRmT1_T2_T3_mT4_P12ihipStream_tbEUlT_E1_NS1_11comp_targetILNS1_3genE4ELNS1_11target_archE910ELNS1_3gpuE8ELNS1_3repE0EEENS1_30default_config_static_selectorELNS0_4arch9wavefront6targetE1EEEvS14_.num_agpr, 0
	.set _ZN7rocprim17ROCPRIM_400000_NS6detail17trampoline_kernelINS0_14default_configENS1_22reduce_config_selectorIN6thrust23THRUST_200600_302600_NS5tupleIblNS6_9null_typeES8_S8_S8_S8_S8_S8_S8_EEEEZNS1_11reduce_implILb1ES3_NS6_12zip_iteratorINS7_INS6_11hip_rocprim26transform_input_iterator_tIbNSD_35transform_pair_of_input_iterators_tIbNS6_6detail15normal_iteratorINS6_10device_ptrIKdEEEESL_NS6_8equal_toIdEEEENSG_9not_fun_tINSD_8identityEEEEENSD_19counting_iterator_tIlEES8_S8_S8_S8_S8_S8_S8_S8_EEEEPS9_S9_NSD_9__find_if7functorIS9_EEEE10hipError_tPvRmT1_T2_T3_mT4_P12ihipStream_tbEUlT_E1_NS1_11comp_targetILNS1_3genE4ELNS1_11target_archE910ELNS1_3gpuE8ELNS1_3repE0EEENS1_30default_config_static_selectorELNS0_4arch9wavefront6targetE1EEEvS14_.numbered_sgpr, 0
	.set _ZN7rocprim17ROCPRIM_400000_NS6detail17trampoline_kernelINS0_14default_configENS1_22reduce_config_selectorIN6thrust23THRUST_200600_302600_NS5tupleIblNS6_9null_typeES8_S8_S8_S8_S8_S8_S8_EEEEZNS1_11reduce_implILb1ES3_NS6_12zip_iteratorINS7_INS6_11hip_rocprim26transform_input_iterator_tIbNSD_35transform_pair_of_input_iterators_tIbNS6_6detail15normal_iteratorINS6_10device_ptrIKdEEEESL_NS6_8equal_toIdEEEENSG_9not_fun_tINSD_8identityEEEEENSD_19counting_iterator_tIlEES8_S8_S8_S8_S8_S8_S8_S8_EEEEPS9_S9_NSD_9__find_if7functorIS9_EEEE10hipError_tPvRmT1_T2_T3_mT4_P12ihipStream_tbEUlT_E1_NS1_11comp_targetILNS1_3genE4ELNS1_11target_archE910ELNS1_3gpuE8ELNS1_3repE0EEENS1_30default_config_static_selectorELNS0_4arch9wavefront6targetE1EEEvS14_.num_named_barrier, 0
	.set _ZN7rocprim17ROCPRIM_400000_NS6detail17trampoline_kernelINS0_14default_configENS1_22reduce_config_selectorIN6thrust23THRUST_200600_302600_NS5tupleIblNS6_9null_typeES8_S8_S8_S8_S8_S8_S8_EEEEZNS1_11reduce_implILb1ES3_NS6_12zip_iteratorINS7_INS6_11hip_rocprim26transform_input_iterator_tIbNSD_35transform_pair_of_input_iterators_tIbNS6_6detail15normal_iteratorINS6_10device_ptrIKdEEEESL_NS6_8equal_toIdEEEENSG_9not_fun_tINSD_8identityEEEEENSD_19counting_iterator_tIlEES8_S8_S8_S8_S8_S8_S8_S8_EEEEPS9_S9_NSD_9__find_if7functorIS9_EEEE10hipError_tPvRmT1_T2_T3_mT4_P12ihipStream_tbEUlT_E1_NS1_11comp_targetILNS1_3genE4ELNS1_11target_archE910ELNS1_3gpuE8ELNS1_3repE0EEENS1_30default_config_static_selectorELNS0_4arch9wavefront6targetE1EEEvS14_.private_seg_size, 0
	.set _ZN7rocprim17ROCPRIM_400000_NS6detail17trampoline_kernelINS0_14default_configENS1_22reduce_config_selectorIN6thrust23THRUST_200600_302600_NS5tupleIblNS6_9null_typeES8_S8_S8_S8_S8_S8_S8_EEEEZNS1_11reduce_implILb1ES3_NS6_12zip_iteratorINS7_INS6_11hip_rocprim26transform_input_iterator_tIbNSD_35transform_pair_of_input_iterators_tIbNS6_6detail15normal_iteratorINS6_10device_ptrIKdEEEESL_NS6_8equal_toIdEEEENSG_9not_fun_tINSD_8identityEEEEENSD_19counting_iterator_tIlEES8_S8_S8_S8_S8_S8_S8_S8_EEEEPS9_S9_NSD_9__find_if7functorIS9_EEEE10hipError_tPvRmT1_T2_T3_mT4_P12ihipStream_tbEUlT_E1_NS1_11comp_targetILNS1_3genE4ELNS1_11target_archE910ELNS1_3gpuE8ELNS1_3repE0EEENS1_30default_config_static_selectorELNS0_4arch9wavefront6targetE1EEEvS14_.uses_vcc, 0
	.set _ZN7rocprim17ROCPRIM_400000_NS6detail17trampoline_kernelINS0_14default_configENS1_22reduce_config_selectorIN6thrust23THRUST_200600_302600_NS5tupleIblNS6_9null_typeES8_S8_S8_S8_S8_S8_S8_EEEEZNS1_11reduce_implILb1ES3_NS6_12zip_iteratorINS7_INS6_11hip_rocprim26transform_input_iterator_tIbNSD_35transform_pair_of_input_iterators_tIbNS6_6detail15normal_iteratorINS6_10device_ptrIKdEEEESL_NS6_8equal_toIdEEEENSG_9not_fun_tINSD_8identityEEEEENSD_19counting_iterator_tIlEES8_S8_S8_S8_S8_S8_S8_S8_EEEEPS9_S9_NSD_9__find_if7functorIS9_EEEE10hipError_tPvRmT1_T2_T3_mT4_P12ihipStream_tbEUlT_E1_NS1_11comp_targetILNS1_3genE4ELNS1_11target_archE910ELNS1_3gpuE8ELNS1_3repE0EEENS1_30default_config_static_selectorELNS0_4arch9wavefront6targetE1EEEvS14_.uses_flat_scratch, 0
	.set _ZN7rocprim17ROCPRIM_400000_NS6detail17trampoline_kernelINS0_14default_configENS1_22reduce_config_selectorIN6thrust23THRUST_200600_302600_NS5tupleIblNS6_9null_typeES8_S8_S8_S8_S8_S8_S8_EEEEZNS1_11reduce_implILb1ES3_NS6_12zip_iteratorINS7_INS6_11hip_rocprim26transform_input_iterator_tIbNSD_35transform_pair_of_input_iterators_tIbNS6_6detail15normal_iteratorINS6_10device_ptrIKdEEEESL_NS6_8equal_toIdEEEENSG_9not_fun_tINSD_8identityEEEEENSD_19counting_iterator_tIlEES8_S8_S8_S8_S8_S8_S8_S8_EEEEPS9_S9_NSD_9__find_if7functorIS9_EEEE10hipError_tPvRmT1_T2_T3_mT4_P12ihipStream_tbEUlT_E1_NS1_11comp_targetILNS1_3genE4ELNS1_11target_archE910ELNS1_3gpuE8ELNS1_3repE0EEENS1_30default_config_static_selectorELNS0_4arch9wavefront6targetE1EEEvS14_.has_dyn_sized_stack, 0
	.set _ZN7rocprim17ROCPRIM_400000_NS6detail17trampoline_kernelINS0_14default_configENS1_22reduce_config_selectorIN6thrust23THRUST_200600_302600_NS5tupleIblNS6_9null_typeES8_S8_S8_S8_S8_S8_S8_EEEEZNS1_11reduce_implILb1ES3_NS6_12zip_iteratorINS7_INS6_11hip_rocprim26transform_input_iterator_tIbNSD_35transform_pair_of_input_iterators_tIbNS6_6detail15normal_iteratorINS6_10device_ptrIKdEEEESL_NS6_8equal_toIdEEEENSG_9not_fun_tINSD_8identityEEEEENSD_19counting_iterator_tIlEES8_S8_S8_S8_S8_S8_S8_S8_EEEEPS9_S9_NSD_9__find_if7functorIS9_EEEE10hipError_tPvRmT1_T2_T3_mT4_P12ihipStream_tbEUlT_E1_NS1_11comp_targetILNS1_3genE4ELNS1_11target_archE910ELNS1_3gpuE8ELNS1_3repE0EEENS1_30default_config_static_selectorELNS0_4arch9wavefront6targetE1EEEvS14_.has_recursion, 0
	.set _ZN7rocprim17ROCPRIM_400000_NS6detail17trampoline_kernelINS0_14default_configENS1_22reduce_config_selectorIN6thrust23THRUST_200600_302600_NS5tupleIblNS6_9null_typeES8_S8_S8_S8_S8_S8_S8_EEEEZNS1_11reduce_implILb1ES3_NS6_12zip_iteratorINS7_INS6_11hip_rocprim26transform_input_iterator_tIbNSD_35transform_pair_of_input_iterators_tIbNS6_6detail15normal_iteratorINS6_10device_ptrIKdEEEESL_NS6_8equal_toIdEEEENSG_9not_fun_tINSD_8identityEEEEENSD_19counting_iterator_tIlEES8_S8_S8_S8_S8_S8_S8_S8_EEEEPS9_S9_NSD_9__find_if7functorIS9_EEEE10hipError_tPvRmT1_T2_T3_mT4_P12ihipStream_tbEUlT_E1_NS1_11comp_targetILNS1_3genE4ELNS1_11target_archE910ELNS1_3gpuE8ELNS1_3repE0EEENS1_30default_config_static_selectorELNS0_4arch9wavefront6targetE1EEEvS14_.has_indirect_call, 0
	.section	.AMDGPU.csdata,"",@progbits
; Kernel info:
; codeLenInByte = 0
; TotalNumSgprs: 6
; NumVgprs: 0
; NumAgprs: 0
; TotalNumVgprs: 0
; ScratchSize: 0
; MemoryBound: 0
; FloatMode: 240
; IeeeMode: 1
; LDSByteSize: 0 bytes/workgroup (compile time only)
; SGPRBlocks: 0
; VGPRBlocks: 0
; NumSGPRsForWavesPerEU: 6
; NumVGPRsForWavesPerEU: 1
; AccumOffset: 4
; Occupancy: 8
; WaveLimiterHint : 0
; COMPUTE_PGM_RSRC2:SCRATCH_EN: 0
; COMPUTE_PGM_RSRC2:USER_SGPR: 2
; COMPUTE_PGM_RSRC2:TRAP_HANDLER: 0
; COMPUTE_PGM_RSRC2:TGID_X_EN: 1
; COMPUTE_PGM_RSRC2:TGID_Y_EN: 0
; COMPUTE_PGM_RSRC2:TGID_Z_EN: 0
; COMPUTE_PGM_RSRC2:TIDIG_COMP_CNT: 0
; COMPUTE_PGM_RSRC3_GFX90A:ACCUM_OFFSET: 0
; COMPUTE_PGM_RSRC3_GFX90A:TG_SPLIT: 0
	.section	.text._ZN7rocprim17ROCPRIM_400000_NS6detail17trampoline_kernelINS0_14default_configENS1_22reduce_config_selectorIN6thrust23THRUST_200600_302600_NS5tupleIblNS6_9null_typeES8_S8_S8_S8_S8_S8_S8_EEEEZNS1_11reduce_implILb1ES3_NS6_12zip_iteratorINS7_INS6_11hip_rocprim26transform_input_iterator_tIbNSD_35transform_pair_of_input_iterators_tIbNS6_6detail15normal_iteratorINS6_10device_ptrIKdEEEESL_NS6_8equal_toIdEEEENSG_9not_fun_tINSD_8identityEEEEENSD_19counting_iterator_tIlEES8_S8_S8_S8_S8_S8_S8_S8_EEEEPS9_S9_NSD_9__find_if7functorIS9_EEEE10hipError_tPvRmT1_T2_T3_mT4_P12ihipStream_tbEUlT_E1_NS1_11comp_targetILNS1_3genE3ELNS1_11target_archE908ELNS1_3gpuE7ELNS1_3repE0EEENS1_30default_config_static_selectorELNS0_4arch9wavefront6targetE1EEEvS14_,"axG",@progbits,_ZN7rocprim17ROCPRIM_400000_NS6detail17trampoline_kernelINS0_14default_configENS1_22reduce_config_selectorIN6thrust23THRUST_200600_302600_NS5tupleIblNS6_9null_typeES8_S8_S8_S8_S8_S8_S8_EEEEZNS1_11reduce_implILb1ES3_NS6_12zip_iteratorINS7_INS6_11hip_rocprim26transform_input_iterator_tIbNSD_35transform_pair_of_input_iterators_tIbNS6_6detail15normal_iteratorINS6_10device_ptrIKdEEEESL_NS6_8equal_toIdEEEENSG_9not_fun_tINSD_8identityEEEEENSD_19counting_iterator_tIlEES8_S8_S8_S8_S8_S8_S8_S8_EEEEPS9_S9_NSD_9__find_if7functorIS9_EEEE10hipError_tPvRmT1_T2_T3_mT4_P12ihipStream_tbEUlT_E1_NS1_11comp_targetILNS1_3genE3ELNS1_11target_archE908ELNS1_3gpuE7ELNS1_3repE0EEENS1_30default_config_static_selectorELNS0_4arch9wavefront6targetE1EEEvS14_,comdat
	.protected	_ZN7rocprim17ROCPRIM_400000_NS6detail17trampoline_kernelINS0_14default_configENS1_22reduce_config_selectorIN6thrust23THRUST_200600_302600_NS5tupleIblNS6_9null_typeES8_S8_S8_S8_S8_S8_S8_EEEEZNS1_11reduce_implILb1ES3_NS6_12zip_iteratorINS7_INS6_11hip_rocprim26transform_input_iterator_tIbNSD_35transform_pair_of_input_iterators_tIbNS6_6detail15normal_iteratorINS6_10device_ptrIKdEEEESL_NS6_8equal_toIdEEEENSG_9not_fun_tINSD_8identityEEEEENSD_19counting_iterator_tIlEES8_S8_S8_S8_S8_S8_S8_S8_EEEEPS9_S9_NSD_9__find_if7functorIS9_EEEE10hipError_tPvRmT1_T2_T3_mT4_P12ihipStream_tbEUlT_E1_NS1_11comp_targetILNS1_3genE3ELNS1_11target_archE908ELNS1_3gpuE7ELNS1_3repE0EEENS1_30default_config_static_selectorELNS0_4arch9wavefront6targetE1EEEvS14_ ; -- Begin function _ZN7rocprim17ROCPRIM_400000_NS6detail17trampoline_kernelINS0_14default_configENS1_22reduce_config_selectorIN6thrust23THRUST_200600_302600_NS5tupleIblNS6_9null_typeES8_S8_S8_S8_S8_S8_S8_EEEEZNS1_11reduce_implILb1ES3_NS6_12zip_iteratorINS7_INS6_11hip_rocprim26transform_input_iterator_tIbNSD_35transform_pair_of_input_iterators_tIbNS6_6detail15normal_iteratorINS6_10device_ptrIKdEEEESL_NS6_8equal_toIdEEEENSG_9not_fun_tINSD_8identityEEEEENSD_19counting_iterator_tIlEES8_S8_S8_S8_S8_S8_S8_S8_EEEEPS9_S9_NSD_9__find_if7functorIS9_EEEE10hipError_tPvRmT1_T2_T3_mT4_P12ihipStream_tbEUlT_E1_NS1_11comp_targetILNS1_3genE3ELNS1_11target_archE908ELNS1_3gpuE7ELNS1_3repE0EEENS1_30default_config_static_selectorELNS0_4arch9wavefront6targetE1EEEvS14_
	.globl	_ZN7rocprim17ROCPRIM_400000_NS6detail17trampoline_kernelINS0_14default_configENS1_22reduce_config_selectorIN6thrust23THRUST_200600_302600_NS5tupleIblNS6_9null_typeES8_S8_S8_S8_S8_S8_S8_EEEEZNS1_11reduce_implILb1ES3_NS6_12zip_iteratorINS7_INS6_11hip_rocprim26transform_input_iterator_tIbNSD_35transform_pair_of_input_iterators_tIbNS6_6detail15normal_iteratorINS6_10device_ptrIKdEEEESL_NS6_8equal_toIdEEEENSG_9not_fun_tINSD_8identityEEEEENSD_19counting_iterator_tIlEES8_S8_S8_S8_S8_S8_S8_S8_EEEEPS9_S9_NSD_9__find_if7functorIS9_EEEE10hipError_tPvRmT1_T2_T3_mT4_P12ihipStream_tbEUlT_E1_NS1_11comp_targetILNS1_3genE3ELNS1_11target_archE908ELNS1_3gpuE7ELNS1_3repE0EEENS1_30default_config_static_selectorELNS0_4arch9wavefront6targetE1EEEvS14_
	.p2align	8
	.type	_ZN7rocprim17ROCPRIM_400000_NS6detail17trampoline_kernelINS0_14default_configENS1_22reduce_config_selectorIN6thrust23THRUST_200600_302600_NS5tupleIblNS6_9null_typeES8_S8_S8_S8_S8_S8_S8_EEEEZNS1_11reduce_implILb1ES3_NS6_12zip_iteratorINS7_INS6_11hip_rocprim26transform_input_iterator_tIbNSD_35transform_pair_of_input_iterators_tIbNS6_6detail15normal_iteratorINS6_10device_ptrIKdEEEESL_NS6_8equal_toIdEEEENSG_9not_fun_tINSD_8identityEEEEENSD_19counting_iterator_tIlEES8_S8_S8_S8_S8_S8_S8_S8_EEEEPS9_S9_NSD_9__find_if7functorIS9_EEEE10hipError_tPvRmT1_T2_T3_mT4_P12ihipStream_tbEUlT_E1_NS1_11comp_targetILNS1_3genE3ELNS1_11target_archE908ELNS1_3gpuE7ELNS1_3repE0EEENS1_30default_config_static_selectorELNS0_4arch9wavefront6targetE1EEEvS14_,@function
_ZN7rocprim17ROCPRIM_400000_NS6detail17trampoline_kernelINS0_14default_configENS1_22reduce_config_selectorIN6thrust23THRUST_200600_302600_NS5tupleIblNS6_9null_typeES8_S8_S8_S8_S8_S8_S8_EEEEZNS1_11reduce_implILb1ES3_NS6_12zip_iteratorINS7_INS6_11hip_rocprim26transform_input_iterator_tIbNSD_35transform_pair_of_input_iterators_tIbNS6_6detail15normal_iteratorINS6_10device_ptrIKdEEEESL_NS6_8equal_toIdEEEENSG_9not_fun_tINSD_8identityEEEEENSD_19counting_iterator_tIlEES8_S8_S8_S8_S8_S8_S8_S8_EEEEPS9_S9_NSD_9__find_if7functorIS9_EEEE10hipError_tPvRmT1_T2_T3_mT4_P12ihipStream_tbEUlT_E1_NS1_11comp_targetILNS1_3genE3ELNS1_11target_archE908ELNS1_3gpuE7ELNS1_3repE0EEENS1_30default_config_static_selectorELNS0_4arch9wavefront6targetE1EEEvS14_: ; @_ZN7rocprim17ROCPRIM_400000_NS6detail17trampoline_kernelINS0_14default_configENS1_22reduce_config_selectorIN6thrust23THRUST_200600_302600_NS5tupleIblNS6_9null_typeES8_S8_S8_S8_S8_S8_S8_EEEEZNS1_11reduce_implILb1ES3_NS6_12zip_iteratorINS7_INS6_11hip_rocprim26transform_input_iterator_tIbNSD_35transform_pair_of_input_iterators_tIbNS6_6detail15normal_iteratorINS6_10device_ptrIKdEEEESL_NS6_8equal_toIdEEEENSG_9not_fun_tINSD_8identityEEEEENSD_19counting_iterator_tIlEES8_S8_S8_S8_S8_S8_S8_S8_EEEEPS9_S9_NSD_9__find_if7functorIS9_EEEE10hipError_tPvRmT1_T2_T3_mT4_P12ihipStream_tbEUlT_E1_NS1_11comp_targetILNS1_3genE3ELNS1_11target_archE908ELNS1_3gpuE7ELNS1_3repE0EEENS1_30default_config_static_selectorELNS0_4arch9wavefront6targetE1EEEvS14_
; %bb.0:
	.section	.rodata,"a",@progbits
	.p2align	6, 0x0
	.amdhsa_kernel _ZN7rocprim17ROCPRIM_400000_NS6detail17trampoline_kernelINS0_14default_configENS1_22reduce_config_selectorIN6thrust23THRUST_200600_302600_NS5tupleIblNS6_9null_typeES8_S8_S8_S8_S8_S8_S8_EEEEZNS1_11reduce_implILb1ES3_NS6_12zip_iteratorINS7_INS6_11hip_rocprim26transform_input_iterator_tIbNSD_35transform_pair_of_input_iterators_tIbNS6_6detail15normal_iteratorINS6_10device_ptrIKdEEEESL_NS6_8equal_toIdEEEENSG_9not_fun_tINSD_8identityEEEEENSD_19counting_iterator_tIlEES8_S8_S8_S8_S8_S8_S8_S8_EEEEPS9_S9_NSD_9__find_if7functorIS9_EEEE10hipError_tPvRmT1_T2_T3_mT4_P12ihipStream_tbEUlT_E1_NS1_11comp_targetILNS1_3genE3ELNS1_11target_archE908ELNS1_3gpuE7ELNS1_3repE0EEENS1_30default_config_static_selectorELNS0_4arch9wavefront6targetE1EEEvS14_
		.amdhsa_group_segment_fixed_size 0
		.amdhsa_private_segment_fixed_size 0
		.amdhsa_kernarg_size 88
		.amdhsa_user_sgpr_count 2
		.amdhsa_user_sgpr_dispatch_ptr 0
		.amdhsa_user_sgpr_queue_ptr 0
		.amdhsa_user_sgpr_kernarg_segment_ptr 1
		.amdhsa_user_sgpr_dispatch_id 0
		.amdhsa_user_sgpr_kernarg_preload_length 0
		.amdhsa_user_sgpr_kernarg_preload_offset 0
		.amdhsa_user_sgpr_private_segment_size 0
		.amdhsa_uses_dynamic_stack 0
		.amdhsa_enable_private_segment 0
		.amdhsa_system_sgpr_workgroup_id_x 1
		.amdhsa_system_sgpr_workgroup_id_y 0
		.amdhsa_system_sgpr_workgroup_id_z 0
		.amdhsa_system_sgpr_workgroup_info 0
		.amdhsa_system_vgpr_workitem_id 0
		.amdhsa_next_free_vgpr 1
		.amdhsa_next_free_sgpr 0
		.amdhsa_accum_offset 4
		.amdhsa_reserve_vcc 0
		.amdhsa_float_round_mode_32 0
		.amdhsa_float_round_mode_16_64 0
		.amdhsa_float_denorm_mode_32 3
		.amdhsa_float_denorm_mode_16_64 3
		.amdhsa_dx10_clamp 1
		.amdhsa_ieee_mode 1
		.amdhsa_fp16_overflow 0
		.amdhsa_tg_split 0
		.amdhsa_exception_fp_ieee_invalid_op 0
		.amdhsa_exception_fp_denorm_src 0
		.amdhsa_exception_fp_ieee_div_zero 0
		.amdhsa_exception_fp_ieee_overflow 0
		.amdhsa_exception_fp_ieee_underflow 0
		.amdhsa_exception_fp_ieee_inexact 0
		.amdhsa_exception_int_div_zero 0
	.end_amdhsa_kernel
	.section	.text._ZN7rocprim17ROCPRIM_400000_NS6detail17trampoline_kernelINS0_14default_configENS1_22reduce_config_selectorIN6thrust23THRUST_200600_302600_NS5tupleIblNS6_9null_typeES8_S8_S8_S8_S8_S8_S8_EEEEZNS1_11reduce_implILb1ES3_NS6_12zip_iteratorINS7_INS6_11hip_rocprim26transform_input_iterator_tIbNSD_35transform_pair_of_input_iterators_tIbNS6_6detail15normal_iteratorINS6_10device_ptrIKdEEEESL_NS6_8equal_toIdEEEENSG_9not_fun_tINSD_8identityEEEEENSD_19counting_iterator_tIlEES8_S8_S8_S8_S8_S8_S8_S8_EEEEPS9_S9_NSD_9__find_if7functorIS9_EEEE10hipError_tPvRmT1_T2_T3_mT4_P12ihipStream_tbEUlT_E1_NS1_11comp_targetILNS1_3genE3ELNS1_11target_archE908ELNS1_3gpuE7ELNS1_3repE0EEENS1_30default_config_static_selectorELNS0_4arch9wavefront6targetE1EEEvS14_,"axG",@progbits,_ZN7rocprim17ROCPRIM_400000_NS6detail17trampoline_kernelINS0_14default_configENS1_22reduce_config_selectorIN6thrust23THRUST_200600_302600_NS5tupleIblNS6_9null_typeES8_S8_S8_S8_S8_S8_S8_EEEEZNS1_11reduce_implILb1ES3_NS6_12zip_iteratorINS7_INS6_11hip_rocprim26transform_input_iterator_tIbNSD_35transform_pair_of_input_iterators_tIbNS6_6detail15normal_iteratorINS6_10device_ptrIKdEEEESL_NS6_8equal_toIdEEEENSG_9not_fun_tINSD_8identityEEEEENSD_19counting_iterator_tIlEES8_S8_S8_S8_S8_S8_S8_S8_EEEEPS9_S9_NSD_9__find_if7functorIS9_EEEE10hipError_tPvRmT1_T2_T3_mT4_P12ihipStream_tbEUlT_E1_NS1_11comp_targetILNS1_3genE3ELNS1_11target_archE908ELNS1_3gpuE7ELNS1_3repE0EEENS1_30default_config_static_selectorELNS0_4arch9wavefront6targetE1EEEvS14_,comdat
.Lfunc_end193:
	.size	_ZN7rocprim17ROCPRIM_400000_NS6detail17trampoline_kernelINS0_14default_configENS1_22reduce_config_selectorIN6thrust23THRUST_200600_302600_NS5tupleIblNS6_9null_typeES8_S8_S8_S8_S8_S8_S8_EEEEZNS1_11reduce_implILb1ES3_NS6_12zip_iteratorINS7_INS6_11hip_rocprim26transform_input_iterator_tIbNSD_35transform_pair_of_input_iterators_tIbNS6_6detail15normal_iteratorINS6_10device_ptrIKdEEEESL_NS6_8equal_toIdEEEENSG_9not_fun_tINSD_8identityEEEEENSD_19counting_iterator_tIlEES8_S8_S8_S8_S8_S8_S8_S8_EEEEPS9_S9_NSD_9__find_if7functorIS9_EEEE10hipError_tPvRmT1_T2_T3_mT4_P12ihipStream_tbEUlT_E1_NS1_11comp_targetILNS1_3genE3ELNS1_11target_archE908ELNS1_3gpuE7ELNS1_3repE0EEENS1_30default_config_static_selectorELNS0_4arch9wavefront6targetE1EEEvS14_, .Lfunc_end193-_ZN7rocprim17ROCPRIM_400000_NS6detail17trampoline_kernelINS0_14default_configENS1_22reduce_config_selectorIN6thrust23THRUST_200600_302600_NS5tupleIblNS6_9null_typeES8_S8_S8_S8_S8_S8_S8_EEEEZNS1_11reduce_implILb1ES3_NS6_12zip_iteratorINS7_INS6_11hip_rocprim26transform_input_iterator_tIbNSD_35transform_pair_of_input_iterators_tIbNS6_6detail15normal_iteratorINS6_10device_ptrIKdEEEESL_NS6_8equal_toIdEEEENSG_9not_fun_tINSD_8identityEEEEENSD_19counting_iterator_tIlEES8_S8_S8_S8_S8_S8_S8_S8_EEEEPS9_S9_NSD_9__find_if7functorIS9_EEEE10hipError_tPvRmT1_T2_T3_mT4_P12ihipStream_tbEUlT_E1_NS1_11comp_targetILNS1_3genE3ELNS1_11target_archE908ELNS1_3gpuE7ELNS1_3repE0EEENS1_30default_config_static_selectorELNS0_4arch9wavefront6targetE1EEEvS14_
                                        ; -- End function
	.set _ZN7rocprim17ROCPRIM_400000_NS6detail17trampoline_kernelINS0_14default_configENS1_22reduce_config_selectorIN6thrust23THRUST_200600_302600_NS5tupleIblNS6_9null_typeES8_S8_S8_S8_S8_S8_S8_EEEEZNS1_11reduce_implILb1ES3_NS6_12zip_iteratorINS7_INS6_11hip_rocprim26transform_input_iterator_tIbNSD_35transform_pair_of_input_iterators_tIbNS6_6detail15normal_iteratorINS6_10device_ptrIKdEEEESL_NS6_8equal_toIdEEEENSG_9not_fun_tINSD_8identityEEEEENSD_19counting_iterator_tIlEES8_S8_S8_S8_S8_S8_S8_S8_EEEEPS9_S9_NSD_9__find_if7functorIS9_EEEE10hipError_tPvRmT1_T2_T3_mT4_P12ihipStream_tbEUlT_E1_NS1_11comp_targetILNS1_3genE3ELNS1_11target_archE908ELNS1_3gpuE7ELNS1_3repE0EEENS1_30default_config_static_selectorELNS0_4arch9wavefront6targetE1EEEvS14_.num_vgpr, 0
	.set _ZN7rocprim17ROCPRIM_400000_NS6detail17trampoline_kernelINS0_14default_configENS1_22reduce_config_selectorIN6thrust23THRUST_200600_302600_NS5tupleIblNS6_9null_typeES8_S8_S8_S8_S8_S8_S8_EEEEZNS1_11reduce_implILb1ES3_NS6_12zip_iteratorINS7_INS6_11hip_rocprim26transform_input_iterator_tIbNSD_35transform_pair_of_input_iterators_tIbNS6_6detail15normal_iteratorINS6_10device_ptrIKdEEEESL_NS6_8equal_toIdEEEENSG_9not_fun_tINSD_8identityEEEEENSD_19counting_iterator_tIlEES8_S8_S8_S8_S8_S8_S8_S8_EEEEPS9_S9_NSD_9__find_if7functorIS9_EEEE10hipError_tPvRmT1_T2_T3_mT4_P12ihipStream_tbEUlT_E1_NS1_11comp_targetILNS1_3genE3ELNS1_11target_archE908ELNS1_3gpuE7ELNS1_3repE0EEENS1_30default_config_static_selectorELNS0_4arch9wavefront6targetE1EEEvS14_.num_agpr, 0
	.set _ZN7rocprim17ROCPRIM_400000_NS6detail17trampoline_kernelINS0_14default_configENS1_22reduce_config_selectorIN6thrust23THRUST_200600_302600_NS5tupleIblNS6_9null_typeES8_S8_S8_S8_S8_S8_S8_EEEEZNS1_11reduce_implILb1ES3_NS6_12zip_iteratorINS7_INS6_11hip_rocprim26transform_input_iterator_tIbNSD_35transform_pair_of_input_iterators_tIbNS6_6detail15normal_iteratorINS6_10device_ptrIKdEEEESL_NS6_8equal_toIdEEEENSG_9not_fun_tINSD_8identityEEEEENSD_19counting_iterator_tIlEES8_S8_S8_S8_S8_S8_S8_S8_EEEEPS9_S9_NSD_9__find_if7functorIS9_EEEE10hipError_tPvRmT1_T2_T3_mT4_P12ihipStream_tbEUlT_E1_NS1_11comp_targetILNS1_3genE3ELNS1_11target_archE908ELNS1_3gpuE7ELNS1_3repE0EEENS1_30default_config_static_selectorELNS0_4arch9wavefront6targetE1EEEvS14_.numbered_sgpr, 0
	.set _ZN7rocprim17ROCPRIM_400000_NS6detail17trampoline_kernelINS0_14default_configENS1_22reduce_config_selectorIN6thrust23THRUST_200600_302600_NS5tupleIblNS6_9null_typeES8_S8_S8_S8_S8_S8_S8_EEEEZNS1_11reduce_implILb1ES3_NS6_12zip_iteratorINS7_INS6_11hip_rocprim26transform_input_iterator_tIbNSD_35transform_pair_of_input_iterators_tIbNS6_6detail15normal_iteratorINS6_10device_ptrIKdEEEESL_NS6_8equal_toIdEEEENSG_9not_fun_tINSD_8identityEEEEENSD_19counting_iterator_tIlEES8_S8_S8_S8_S8_S8_S8_S8_EEEEPS9_S9_NSD_9__find_if7functorIS9_EEEE10hipError_tPvRmT1_T2_T3_mT4_P12ihipStream_tbEUlT_E1_NS1_11comp_targetILNS1_3genE3ELNS1_11target_archE908ELNS1_3gpuE7ELNS1_3repE0EEENS1_30default_config_static_selectorELNS0_4arch9wavefront6targetE1EEEvS14_.num_named_barrier, 0
	.set _ZN7rocprim17ROCPRIM_400000_NS6detail17trampoline_kernelINS0_14default_configENS1_22reduce_config_selectorIN6thrust23THRUST_200600_302600_NS5tupleIblNS6_9null_typeES8_S8_S8_S8_S8_S8_S8_EEEEZNS1_11reduce_implILb1ES3_NS6_12zip_iteratorINS7_INS6_11hip_rocprim26transform_input_iterator_tIbNSD_35transform_pair_of_input_iterators_tIbNS6_6detail15normal_iteratorINS6_10device_ptrIKdEEEESL_NS6_8equal_toIdEEEENSG_9not_fun_tINSD_8identityEEEEENSD_19counting_iterator_tIlEES8_S8_S8_S8_S8_S8_S8_S8_EEEEPS9_S9_NSD_9__find_if7functorIS9_EEEE10hipError_tPvRmT1_T2_T3_mT4_P12ihipStream_tbEUlT_E1_NS1_11comp_targetILNS1_3genE3ELNS1_11target_archE908ELNS1_3gpuE7ELNS1_3repE0EEENS1_30default_config_static_selectorELNS0_4arch9wavefront6targetE1EEEvS14_.private_seg_size, 0
	.set _ZN7rocprim17ROCPRIM_400000_NS6detail17trampoline_kernelINS0_14default_configENS1_22reduce_config_selectorIN6thrust23THRUST_200600_302600_NS5tupleIblNS6_9null_typeES8_S8_S8_S8_S8_S8_S8_EEEEZNS1_11reduce_implILb1ES3_NS6_12zip_iteratorINS7_INS6_11hip_rocprim26transform_input_iterator_tIbNSD_35transform_pair_of_input_iterators_tIbNS6_6detail15normal_iteratorINS6_10device_ptrIKdEEEESL_NS6_8equal_toIdEEEENSG_9not_fun_tINSD_8identityEEEEENSD_19counting_iterator_tIlEES8_S8_S8_S8_S8_S8_S8_S8_EEEEPS9_S9_NSD_9__find_if7functorIS9_EEEE10hipError_tPvRmT1_T2_T3_mT4_P12ihipStream_tbEUlT_E1_NS1_11comp_targetILNS1_3genE3ELNS1_11target_archE908ELNS1_3gpuE7ELNS1_3repE0EEENS1_30default_config_static_selectorELNS0_4arch9wavefront6targetE1EEEvS14_.uses_vcc, 0
	.set _ZN7rocprim17ROCPRIM_400000_NS6detail17trampoline_kernelINS0_14default_configENS1_22reduce_config_selectorIN6thrust23THRUST_200600_302600_NS5tupleIblNS6_9null_typeES8_S8_S8_S8_S8_S8_S8_EEEEZNS1_11reduce_implILb1ES3_NS6_12zip_iteratorINS7_INS6_11hip_rocprim26transform_input_iterator_tIbNSD_35transform_pair_of_input_iterators_tIbNS6_6detail15normal_iteratorINS6_10device_ptrIKdEEEESL_NS6_8equal_toIdEEEENSG_9not_fun_tINSD_8identityEEEEENSD_19counting_iterator_tIlEES8_S8_S8_S8_S8_S8_S8_S8_EEEEPS9_S9_NSD_9__find_if7functorIS9_EEEE10hipError_tPvRmT1_T2_T3_mT4_P12ihipStream_tbEUlT_E1_NS1_11comp_targetILNS1_3genE3ELNS1_11target_archE908ELNS1_3gpuE7ELNS1_3repE0EEENS1_30default_config_static_selectorELNS0_4arch9wavefront6targetE1EEEvS14_.uses_flat_scratch, 0
	.set _ZN7rocprim17ROCPRIM_400000_NS6detail17trampoline_kernelINS0_14default_configENS1_22reduce_config_selectorIN6thrust23THRUST_200600_302600_NS5tupleIblNS6_9null_typeES8_S8_S8_S8_S8_S8_S8_EEEEZNS1_11reduce_implILb1ES3_NS6_12zip_iteratorINS7_INS6_11hip_rocprim26transform_input_iterator_tIbNSD_35transform_pair_of_input_iterators_tIbNS6_6detail15normal_iteratorINS6_10device_ptrIKdEEEESL_NS6_8equal_toIdEEEENSG_9not_fun_tINSD_8identityEEEEENSD_19counting_iterator_tIlEES8_S8_S8_S8_S8_S8_S8_S8_EEEEPS9_S9_NSD_9__find_if7functorIS9_EEEE10hipError_tPvRmT1_T2_T3_mT4_P12ihipStream_tbEUlT_E1_NS1_11comp_targetILNS1_3genE3ELNS1_11target_archE908ELNS1_3gpuE7ELNS1_3repE0EEENS1_30default_config_static_selectorELNS0_4arch9wavefront6targetE1EEEvS14_.has_dyn_sized_stack, 0
	.set _ZN7rocprim17ROCPRIM_400000_NS6detail17trampoline_kernelINS0_14default_configENS1_22reduce_config_selectorIN6thrust23THRUST_200600_302600_NS5tupleIblNS6_9null_typeES8_S8_S8_S8_S8_S8_S8_EEEEZNS1_11reduce_implILb1ES3_NS6_12zip_iteratorINS7_INS6_11hip_rocprim26transform_input_iterator_tIbNSD_35transform_pair_of_input_iterators_tIbNS6_6detail15normal_iteratorINS6_10device_ptrIKdEEEESL_NS6_8equal_toIdEEEENSG_9not_fun_tINSD_8identityEEEEENSD_19counting_iterator_tIlEES8_S8_S8_S8_S8_S8_S8_S8_EEEEPS9_S9_NSD_9__find_if7functorIS9_EEEE10hipError_tPvRmT1_T2_T3_mT4_P12ihipStream_tbEUlT_E1_NS1_11comp_targetILNS1_3genE3ELNS1_11target_archE908ELNS1_3gpuE7ELNS1_3repE0EEENS1_30default_config_static_selectorELNS0_4arch9wavefront6targetE1EEEvS14_.has_recursion, 0
	.set _ZN7rocprim17ROCPRIM_400000_NS6detail17trampoline_kernelINS0_14default_configENS1_22reduce_config_selectorIN6thrust23THRUST_200600_302600_NS5tupleIblNS6_9null_typeES8_S8_S8_S8_S8_S8_S8_EEEEZNS1_11reduce_implILb1ES3_NS6_12zip_iteratorINS7_INS6_11hip_rocprim26transform_input_iterator_tIbNSD_35transform_pair_of_input_iterators_tIbNS6_6detail15normal_iteratorINS6_10device_ptrIKdEEEESL_NS6_8equal_toIdEEEENSG_9not_fun_tINSD_8identityEEEEENSD_19counting_iterator_tIlEES8_S8_S8_S8_S8_S8_S8_S8_EEEEPS9_S9_NSD_9__find_if7functorIS9_EEEE10hipError_tPvRmT1_T2_T3_mT4_P12ihipStream_tbEUlT_E1_NS1_11comp_targetILNS1_3genE3ELNS1_11target_archE908ELNS1_3gpuE7ELNS1_3repE0EEENS1_30default_config_static_selectorELNS0_4arch9wavefront6targetE1EEEvS14_.has_indirect_call, 0
	.section	.AMDGPU.csdata,"",@progbits
; Kernel info:
; codeLenInByte = 0
; TotalNumSgprs: 6
; NumVgprs: 0
; NumAgprs: 0
; TotalNumVgprs: 0
; ScratchSize: 0
; MemoryBound: 0
; FloatMode: 240
; IeeeMode: 1
; LDSByteSize: 0 bytes/workgroup (compile time only)
; SGPRBlocks: 0
; VGPRBlocks: 0
; NumSGPRsForWavesPerEU: 6
; NumVGPRsForWavesPerEU: 1
; AccumOffset: 4
; Occupancy: 8
; WaveLimiterHint : 0
; COMPUTE_PGM_RSRC2:SCRATCH_EN: 0
; COMPUTE_PGM_RSRC2:USER_SGPR: 2
; COMPUTE_PGM_RSRC2:TRAP_HANDLER: 0
; COMPUTE_PGM_RSRC2:TGID_X_EN: 1
; COMPUTE_PGM_RSRC2:TGID_Y_EN: 0
; COMPUTE_PGM_RSRC2:TGID_Z_EN: 0
; COMPUTE_PGM_RSRC2:TIDIG_COMP_CNT: 0
; COMPUTE_PGM_RSRC3_GFX90A:ACCUM_OFFSET: 0
; COMPUTE_PGM_RSRC3_GFX90A:TG_SPLIT: 0
	.section	.text._ZN7rocprim17ROCPRIM_400000_NS6detail17trampoline_kernelINS0_14default_configENS1_22reduce_config_selectorIN6thrust23THRUST_200600_302600_NS5tupleIblNS6_9null_typeES8_S8_S8_S8_S8_S8_S8_EEEEZNS1_11reduce_implILb1ES3_NS6_12zip_iteratorINS7_INS6_11hip_rocprim26transform_input_iterator_tIbNSD_35transform_pair_of_input_iterators_tIbNS6_6detail15normal_iteratorINS6_10device_ptrIKdEEEESL_NS6_8equal_toIdEEEENSG_9not_fun_tINSD_8identityEEEEENSD_19counting_iterator_tIlEES8_S8_S8_S8_S8_S8_S8_S8_EEEEPS9_S9_NSD_9__find_if7functorIS9_EEEE10hipError_tPvRmT1_T2_T3_mT4_P12ihipStream_tbEUlT_E1_NS1_11comp_targetILNS1_3genE2ELNS1_11target_archE906ELNS1_3gpuE6ELNS1_3repE0EEENS1_30default_config_static_selectorELNS0_4arch9wavefront6targetE1EEEvS14_,"axG",@progbits,_ZN7rocprim17ROCPRIM_400000_NS6detail17trampoline_kernelINS0_14default_configENS1_22reduce_config_selectorIN6thrust23THRUST_200600_302600_NS5tupleIblNS6_9null_typeES8_S8_S8_S8_S8_S8_S8_EEEEZNS1_11reduce_implILb1ES3_NS6_12zip_iteratorINS7_INS6_11hip_rocprim26transform_input_iterator_tIbNSD_35transform_pair_of_input_iterators_tIbNS6_6detail15normal_iteratorINS6_10device_ptrIKdEEEESL_NS6_8equal_toIdEEEENSG_9not_fun_tINSD_8identityEEEEENSD_19counting_iterator_tIlEES8_S8_S8_S8_S8_S8_S8_S8_EEEEPS9_S9_NSD_9__find_if7functorIS9_EEEE10hipError_tPvRmT1_T2_T3_mT4_P12ihipStream_tbEUlT_E1_NS1_11comp_targetILNS1_3genE2ELNS1_11target_archE906ELNS1_3gpuE6ELNS1_3repE0EEENS1_30default_config_static_selectorELNS0_4arch9wavefront6targetE1EEEvS14_,comdat
	.protected	_ZN7rocprim17ROCPRIM_400000_NS6detail17trampoline_kernelINS0_14default_configENS1_22reduce_config_selectorIN6thrust23THRUST_200600_302600_NS5tupleIblNS6_9null_typeES8_S8_S8_S8_S8_S8_S8_EEEEZNS1_11reduce_implILb1ES3_NS6_12zip_iteratorINS7_INS6_11hip_rocprim26transform_input_iterator_tIbNSD_35transform_pair_of_input_iterators_tIbNS6_6detail15normal_iteratorINS6_10device_ptrIKdEEEESL_NS6_8equal_toIdEEEENSG_9not_fun_tINSD_8identityEEEEENSD_19counting_iterator_tIlEES8_S8_S8_S8_S8_S8_S8_S8_EEEEPS9_S9_NSD_9__find_if7functorIS9_EEEE10hipError_tPvRmT1_T2_T3_mT4_P12ihipStream_tbEUlT_E1_NS1_11comp_targetILNS1_3genE2ELNS1_11target_archE906ELNS1_3gpuE6ELNS1_3repE0EEENS1_30default_config_static_selectorELNS0_4arch9wavefront6targetE1EEEvS14_ ; -- Begin function _ZN7rocprim17ROCPRIM_400000_NS6detail17trampoline_kernelINS0_14default_configENS1_22reduce_config_selectorIN6thrust23THRUST_200600_302600_NS5tupleIblNS6_9null_typeES8_S8_S8_S8_S8_S8_S8_EEEEZNS1_11reduce_implILb1ES3_NS6_12zip_iteratorINS7_INS6_11hip_rocprim26transform_input_iterator_tIbNSD_35transform_pair_of_input_iterators_tIbNS6_6detail15normal_iteratorINS6_10device_ptrIKdEEEESL_NS6_8equal_toIdEEEENSG_9not_fun_tINSD_8identityEEEEENSD_19counting_iterator_tIlEES8_S8_S8_S8_S8_S8_S8_S8_EEEEPS9_S9_NSD_9__find_if7functorIS9_EEEE10hipError_tPvRmT1_T2_T3_mT4_P12ihipStream_tbEUlT_E1_NS1_11comp_targetILNS1_3genE2ELNS1_11target_archE906ELNS1_3gpuE6ELNS1_3repE0EEENS1_30default_config_static_selectorELNS0_4arch9wavefront6targetE1EEEvS14_
	.globl	_ZN7rocprim17ROCPRIM_400000_NS6detail17trampoline_kernelINS0_14default_configENS1_22reduce_config_selectorIN6thrust23THRUST_200600_302600_NS5tupleIblNS6_9null_typeES8_S8_S8_S8_S8_S8_S8_EEEEZNS1_11reduce_implILb1ES3_NS6_12zip_iteratorINS7_INS6_11hip_rocprim26transform_input_iterator_tIbNSD_35transform_pair_of_input_iterators_tIbNS6_6detail15normal_iteratorINS6_10device_ptrIKdEEEESL_NS6_8equal_toIdEEEENSG_9not_fun_tINSD_8identityEEEEENSD_19counting_iterator_tIlEES8_S8_S8_S8_S8_S8_S8_S8_EEEEPS9_S9_NSD_9__find_if7functorIS9_EEEE10hipError_tPvRmT1_T2_T3_mT4_P12ihipStream_tbEUlT_E1_NS1_11comp_targetILNS1_3genE2ELNS1_11target_archE906ELNS1_3gpuE6ELNS1_3repE0EEENS1_30default_config_static_selectorELNS0_4arch9wavefront6targetE1EEEvS14_
	.p2align	8
	.type	_ZN7rocprim17ROCPRIM_400000_NS6detail17trampoline_kernelINS0_14default_configENS1_22reduce_config_selectorIN6thrust23THRUST_200600_302600_NS5tupleIblNS6_9null_typeES8_S8_S8_S8_S8_S8_S8_EEEEZNS1_11reduce_implILb1ES3_NS6_12zip_iteratorINS7_INS6_11hip_rocprim26transform_input_iterator_tIbNSD_35transform_pair_of_input_iterators_tIbNS6_6detail15normal_iteratorINS6_10device_ptrIKdEEEESL_NS6_8equal_toIdEEEENSG_9not_fun_tINSD_8identityEEEEENSD_19counting_iterator_tIlEES8_S8_S8_S8_S8_S8_S8_S8_EEEEPS9_S9_NSD_9__find_if7functorIS9_EEEE10hipError_tPvRmT1_T2_T3_mT4_P12ihipStream_tbEUlT_E1_NS1_11comp_targetILNS1_3genE2ELNS1_11target_archE906ELNS1_3gpuE6ELNS1_3repE0EEENS1_30default_config_static_selectorELNS0_4arch9wavefront6targetE1EEEvS14_,@function
_ZN7rocprim17ROCPRIM_400000_NS6detail17trampoline_kernelINS0_14default_configENS1_22reduce_config_selectorIN6thrust23THRUST_200600_302600_NS5tupleIblNS6_9null_typeES8_S8_S8_S8_S8_S8_S8_EEEEZNS1_11reduce_implILb1ES3_NS6_12zip_iteratorINS7_INS6_11hip_rocprim26transform_input_iterator_tIbNSD_35transform_pair_of_input_iterators_tIbNS6_6detail15normal_iteratorINS6_10device_ptrIKdEEEESL_NS6_8equal_toIdEEEENSG_9not_fun_tINSD_8identityEEEEENSD_19counting_iterator_tIlEES8_S8_S8_S8_S8_S8_S8_S8_EEEEPS9_S9_NSD_9__find_if7functorIS9_EEEE10hipError_tPvRmT1_T2_T3_mT4_P12ihipStream_tbEUlT_E1_NS1_11comp_targetILNS1_3genE2ELNS1_11target_archE906ELNS1_3gpuE6ELNS1_3repE0EEENS1_30default_config_static_selectorELNS0_4arch9wavefront6targetE1EEEvS14_: ; @_ZN7rocprim17ROCPRIM_400000_NS6detail17trampoline_kernelINS0_14default_configENS1_22reduce_config_selectorIN6thrust23THRUST_200600_302600_NS5tupleIblNS6_9null_typeES8_S8_S8_S8_S8_S8_S8_EEEEZNS1_11reduce_implILb1ES3_NS6_12zip_iteratorINS7_INS6_11hip_rocprim26transform_input_iterator_tIbNSD_35transform_pair_of_input_iterators_tIbNS6_6detail15normal_iteratorINS6_10device_ptrIKdEEEESL_NS6_8equal_toIdEEEENSG_9not_fun_tINSD_8identityEEEEENSD_19counting_iterator_tIlEES8_S8_S8_S8_S8_S8_S8_S8_EEEEPS9_S9_NSD_9__find_if7functorIS9_EEEE10hipError_tPvRmT1_T2_T3_mT4_P12ihipStream_tbEUlT_E1_NS1_11comp_targetILNS1_3genE2ELNS1_11target_archE906ELNS1_3gpuE6ELNS1_3repE0EEENS1_30default_config_static_selectorELNS0_4arch9wavefront6targetE1EEEvS14_
; %bb.0:
	.section	.rodata,"a",@progbits
	.p2align	6, 0x0
	.amdhsa_kernel _ZN7rocprim17ROCPRIM_400000_NS6detail17trampoline_kernelINS0_14default_configENS1_22reduce_config_selectorIN6thrust23THRUST_200600_302600_NS5tupleIblNS6_9null_typeES8_S8_S8_S8_S8_S8_S8_EEEEZNS1_11reduce_implILb1ES3_NS6_12zip_iteratorINS7_INS6_11hip_rocprim26transform_input_iterator_tIbNSD_35transform_pair_of_input_iterators_tIbNS6_6detail15normal_iteratorINS6_10device_ptrIKdEEEESL_NS6_8equal_toIdEEEENSG_9not_fun_tINSD_8identityEEEEENSD_19counting_iterator_tIlEES8_S8_S8_S8_S8_S8_S8_S8_EEEEPS9_S9_NSD_9__find_if7functorIS9_EEEE10hipError_tPvRmT1_T2_T3_mT4_P12ihipStream_tbEUlT_E1_NS1_11comp_targetILNS1_3genE2ELNS1_11target_archE906ELNS1_3gpuE6ELNS1_3repE0EEENS1_30default_config_static_selectorELNS0_4arch9wavefront6targetE1EEEvS14_
		.amdhsa_group_segment_fixed_size 0
		.amdhsa_private_segment_fixed_size 0
		.amdhsa_kernarg_size 88
		.amdhsa_user_sgpr_count 2
		.amdhsa_user_sgpr_dispatch_ptr 0
		.amdhsa_user_sgpr_queue_ptr 0
		.amdhsa_user_sgpr_kernarg_segment_ptr 1
		.amdhsa_user_sgpr_dispatch_id 0
		.amdhsa_user_sgpr_kernarg_preload_length 0
		.amdhsa_user_sgpr_kernarg_preload_offset 0
		.amdhsa_user_sgpr_private_segment_size 0
		.amdhsa_uses_dynamic_stack 0
		.amdhsa_enable_private_segment 0
		.amdhsa_system_sgpr_workgroup_id_x 1
		.amdhsa_system_sgpr_workgroup_id_y 0
		.amdhsa_system_sgpr_workgroup_id_z 0
		.amdhsa_system_sgpr_workgroup_info 0
		.amdhsa_system_vgpr_workitem_id 0
		.amdhsa_next_free_vgpr 1
		.amdhsa_next_free_sgpr 0
		.amdhsa_accum_offset 4
		.amdhsa_reserve_vcc 0
		.amdhsa_float_round_mode_32 0
		.amdhsa_float_round_mode_16_64 0
		.amdhsa_float_denorm_mode_32 3
		.amdhsa_float_denorm_mode_16_64 3
		.amdhsa_dx10_clamp 1
		.amdhsa_ieee_mode 1
		.amdhsa_fp16_overflow 0
		.amdhsa_tg_split 0
		.amdhsa_exception_fp_ieee_invalid_op 0
		.amdhsa_exception_fp_denorm_src 0
		.amdhsa_exception_fp_ieee_div_zero 0
		.amdhsa_exception_fp_ieee_overflow 0
		.amdhsa_exception_fp_ieee_underflow 0
		.amdhsa_exception_fp_ieee_inexact 0
		.amdhsa_exception_int_div_zero 0
	.end_amdhsa_kernel
	.section	.text._ZN7rocprim17ROCPRIM_400000_NS6detail17trampoline_kernelINS0_14default_configENS1_22reduce_config_selectorIN6thrust23THRUST_200600_302600_NS5tupleIblNS6_9null_typeES8_S8_S8_S8_S8_S8_S8_EEEEZNS1_11reduce_implILb1ES3_NS6_12zip_iteratorINS7_INS6_11hip_rocprim26transform_input_iterator_tIbNSD_35transform_pair_of_input_iterators_tIbNS6_6detail15normal_iteratorINS6_10device_ptrIKdEEEESL_NS6_8equal_toIdEEEENSG_9not_fun_tINSD_8identityEEEEENSD_19counting_iterator_tIlEES8_S8_S8_S8_S8_S8_S8_S8_EEEEPS9_S9_NSD_9__find_if7functorIS9_EEEE10hipError_tPvRmT1_T2_T3_mT4_P12ihipStream_tbEUlT_E1_NS1_11comp_targetILNS1_3genE2ELNS1_11target_archE906ELNS1_3gpuE6ELNS1_3repE0EEENS1_30default_config_static_selectorELNS0_4arch9wavefront6targetE1EEEvS14_,"axG",@progbits,_ZN7rocprim17ROCPRIM_400000_NS6detail17trampoline_kernelINS0_14default_configENS1_22reduce_config_selectorIN6thrust23THRUST_200600_302600_NS5tupleIblNS6_9null_typeES8_S8_S8_S8_S8_S8_S8_EEEEZNS1_11reduce_implILb1ES3_NS6_12zip_iteratorINS7_INS6_11hip_rocprim26transform_input_iterator_tIbNSD_35transform_pair_of_input_iterators_tIbNS6_6detail15normal_iteratorINS6_10device_ptrIKdEEEESL_NS6_8equal_toIdEEEENSG_9not_fun_tINSD_8identityEEEEENSD_19counting_iterator_tIlEES8_S8_S8_S8_S8_S8_S8_S8_EEEEPS9_S9_NSD_9__find_if7functorIS9_EEEE10hipError_tPvRmT1_T2_T3_mT4_P12ihipStream_tbEUlT_E1_NS1_11comp_targetILNS1_3genE2ELNS1_11target_archE906ELNS1_3gpuE6ELNS1_3repE0EEENS1_30default_config_static_selectorELNS0_4arch9wavefront6targetE1EEEvS14_,comdat
.Lfunc_end194:
	.size	_ZN7rocprim17ROCPRIM_400000_NS6detail17trampoline_kernelINS0_14default_configENS1_22reduce_config_selectorIN6thrust23THRUST_200600_302600_NS5tupleIblNS6_9null_typeES8_S8_S8_S8_S8_S8_S8_EEEEZNS1_11reduce_implILb1ES3_NS6_12zip_iteratorINS7_INS6_11hip_rocprim26transform_input_iterator_tIbNSD_35transform_pair_of_input_iterators_tIbNS6_6detail15normal_iteratorINS6_10device_ptrIKdEEEESL_NS6_8equal_toIdEEEENSG_9not_fun_tINSD_8identityEEEEENSD_19counting_iterator_tIlEES8_S8_S8_S8_S8_S8_S8_S8_EEEEPS9_S9_NSD_9__find_if7functorIS9_EEEE10hipError_tPvRmT1_T2_T3_mT4_P12ihipStream_tbEUlT_E1_NS1_11comp_targetILNS1_3genE2ELNS1_11target_archE906ELNS1_3gpuE6ELNS1_3repE0EEENS1_30default_config_static_selectorELNS0_4arch9wavefront6targetE1EEEvS14_, .Lfunc_end194-_ZN7rocprim17ROCPRIM_400000_NS6detail17trampoline_kernelINS0_14default_configENS1_22reduce_config_selectorIN6thrust23THRUST_200600_302600_NS5tupleIblNS6_9null_typeES8_S8_S8_S8_S8_S8_S8_EEEEZNS1_11reduce_implILb1ES3_NS6_12zip_iteratorINS7_INS6_11hip_rocprim26transform_input_iterator_tIbNSD_35transform_pair_of_input_iterators_tIbNS6_6detail15normal_iteratorINS6_10device_ptrIKdEEEESL_NS6_8equal_toIdEEEENSG_9not_fun_tINSD_8identityEEEEENSD_19counting_iterator_tIlEES8_S8_S8_S8_S8_S8_S8_S8_EEEEPS9_S9_NSD_9__find_if7functorIS9_EEEE10hipError_tPvRmT1_T2_T3_mT4_P12ihipStream_tbEUlT_E1_NS1_11comp_targetILNS1_3genE2ELNS1_11target_archE906ELNS1_3gpuE6ELNS1_3repE0EEENS1_30default_config_static_selectorELNS0_4arch9wavefront6targetE1EEEvS14_
                                        ; -- End function
	.set _ZN7rocprim17ROCPRIM_400000_NS6detail17trampoline_kernelINS0_14default_configENS1_22reduce_config_selectorIN6thrust23THRUST_200600_302600_NS5tupleIblNS6_9null_typeES8_S8_S8_S8_S8_S8_S8_EEEEZNS1_11reduce_implILb1ES3_NS6_12zip_iteratorINS7_INS6_11hip_rocprim26transform_input_iterator_tIbNSD_35transform_pair_of_input_iterators_tIbNS6_6detail15normal_iteratorINS6_10device_ptrIKdEEEESL_NS6_8equal_toIdEEEENSG_9not_fun_tINSD_8identityEEEEENSD_19counting_iterator_tIlEES8_S8_S8_S8_S8_S8_S8_S8_EEEEPS9_S9_NSD_9__find_if7functorIS9_EEEE10hipError_tPvRmT1_T2_T3_mT4_P12ihipStream_tbEUlT_E1_NS1_11comp_targetILNS1_3genE2ELNS1_11target_archE906ELNS1_3gpuE6ELNS1_3repE0EEENS1_30default_config_static_selectorELNS0_4arch9wavefront6targetE1EEEvS14_.num_vgpr, 0
	.set _ZN7rocprim17ROCPRIM_400000_NS6detail17trampoline_kernelINS0_14default_configENS1_22reduce_config_selectorIN6thrust23THRUST_200600_302600_NS5tupleIblNS6_9null_typeES8_S8_S8_S8_S8_S8_S8_EEEEZNS1_11reduce_implILb1ES3_NS6_12zip_iteratorINS7_INS6_11hip_rocprim26transform_input_iterator_tIbNSD_35transform_pair_of_input_iterators_tIbNS6_6detail15normal_iteratorINS6_10device_ptrIKdEEEESL_NS6_8equal_toIdEEEENSG_9not_fun_tINSD_8identityEEEEENSD_19counting_iterator_tIlEES8_S8_S8_S8_S8_S8_S8_S8_EEEEPS9_S9_NSD_9__find_if7functorIS9_EEEE10hipError_tPvRmT1_T2_T3_mT4_P12ihipStream_tbEUlT_E1_NS1_11comp_targetILNS1_3genE2ELNS1_11target_archE906ELNS1_3gpuE6ELNS1_3repE0EEENS1_30default_config_static_selectorELNS0_4arch9wavefront6targetE1EEEvS14_.num_agpr, 0
	.set _ZN7rocprim17ROCPRIM_400000_NS6detail17trampoline_kernelINS0_14default_configENS1_22reduce_config_selectorIN6thrust23THRUST_200600_302600_NS5tupleIblNS6_9null_typeES8_S8_S8_S8_S8_S8_S8_EEEEZNS1_11reduce_implILb1ES3_NS6_12zip_iteratorINS7_INS6_11hip_rocprim26transform_input_iterator_tIbNSD_35transform_pair_of_input_iterators_tIbNS6_6detail15normal_iteratorINS6_10device_ptrIKdEEEESL_NS6_8equal_toIdEEEENSG_9not_fun_tINSD_8identityEEEEENSD_19counting_iterator_tIlEES8_S8_S8_S8_S8_S8_S8_S8_EEEEPS9_S9_NSD_9__find_if7functorIS9_EEEE10hipError_tPvRmT1_T2_T3_mT4_P12ihipStream_tbEUlT_E1_NS1_11comp_targetILNS1_3genE2ELNS1_11target_archE906ELNS1_3gpuE6ELNS1_3repE0EEENS1_30default_config_static_selectorELNS0_4arch9wavefront6targetE1EEEvS14_.numbered_sgpr, 0
	.set _ZN7rocprim17ROCPRIM_400000_NS6detail17trampoline_kernelINS0_14default_configENS1_22reduce_config_selectorIN6thrust23THRUST_200600_302600_NS5tupleIblNS6_9null_typeES8_S8_S8_S8_S8_S8_S8_EEEEZNS1_11reduce_implILb1ES3_NS6_12zip_iteratorINS7_INS6_11hip_rocprim26transform_input_iterator_tIbNSD_35transform_pair_of_input_iterators_tIbNS6_6detail15normal_iteratorINS6_10device_ptrIKdEEEESL_NS6_8equal_toIdEEEENSG_9not_fun_tINSD_8identityEEEEENSD_19counting_iterator_tIlEES8_S8_S8_S8_S8_S8_S8_S8_EEEEPS9_S9_NSD_9__find_if7functorIS9_EEEE10hipError_tPvRmT1_T2_T3_mT4_P12ihipStream_tbEUlT_E1_NS1_11comp_targetILNS1_3genE2ELNS1_11target_archE906ELNS1_3gpuE6ELNS1_3repE0EEENS1_30default_config_static_selectorELNS0_4arch9wavefront6targetE1EEEvS14_.num_named_barrier, 0
	.set _ZN7rocprim17ROCPRIM_400000_NS6detail17trampoline_kernelINS0_14default_configENS1_22reduce_config_selectorIN6thrust23THRUST_200600_302600_NS5tupleIblNS6_9null_typeES8_S8_S8_S8_S8_S8_S8_EEEEZNS1_11reduce_implILb1ES3_NS6_12zip_iteratorINS7_INS6_11hip_rocprim26transform_input_iterator_tIbNSD_35transform_pair_of_input_iterators_tIbNS6_6detail15normal_iteratorINS6_10device_ptrIKdEEEESL_NS6_8equal_toIdEEEENSG_9not_fun_tINSD_8identityEEEEENSD_19counting_iterator_tIlEES8_S8_S8_S8_S8_S8_S8_S8_EEEEPS9_S9_NSD_9__find_if7functorIS9_EEEE10hipError_tPvRmT1_T2_T3_mT4_P12ihipStream_tbEUlT_E1_NS1_11comp_targetILNS1_3genE2ELNS1_11target_archE906ELNS1_3gpuE6ELNS1_3repE0EEENS1_30default_config_static_selectorELNS0_4arch9wavefront6targetE1EEEvS14_.private_seg_size, 0
	.set _ZN7rocprim17ROCPRIM_400000_NS6detail17trampoline_kernelINS0_14default_configENS1_22reduce_config_selectorIN6thrust23THRUST_200600_302600_NS5tupleIblNS6_9null_typeES8_S8_S8_S8_S8_S8_S8_EEEEZNS1_11reduce_implILb1ES3_NS6_12zip_iteratorINS7_INS6_11hip_rocprim26transform_input_iterator_tIbNSD_35transform_pair_of_input_iterators_tIbNS6_6detail15normal_iteratorINS6_10device_ptrIKdEEEESL_NS6_8equal_toIdEEEENSG_9not_fun_tINSD_8identityEEEEENSD_19counting_iterator_tIlEES8_S8_S8_S8_S8_S8_S8_S8_EEEEPS9_S9_NSD_9__find_if7functorIS9_EEEE10hipError_tPvRmT1_T2_T3_mT4_P12ihipStream_tbEUlT_E1_NS1_11comp_targetILNS1_3genE2ELNS1_11target_archE906ELNS1_3gpuE6ELNS1_3repE0EEENS1_30default_config_static_selectorELNS0_4arch9wavefront6targetE1EEEvS14_.uses_vcc, 0
	.set _ZN7rocprim17ROCPRIM_400000_NS6detail17trampoline_kernelINS0_14default_configENS1_22reduce_config_selectorIN6thrust23THRUST_200600_302600_NS5tupleIblNS6_9null_typeES8_S8_S8_S8_S8_S8_S8_EEEEZNS1_11reduce_implILb1ES3_NS6_12zip_iteratorINS7_INS6_11hip_rocprim26transform_input_iterator_tIbNSD_35transform_pair_of_input_iterators_tIbNS6_6detail15normal_iteratorINS6_10device_ptrIKdEEEESL_NS6_8equal_toIdEEEENSG_9not_fun_tINSD_8identityEEEEENSD_19counting_iterator_tIlEES8_S8_S8_S8_S8_S8_S8_S8_EEEEPS9_S9_NSD_9__find_if7functorIS9_EEEE10hipError_tPvRmT1_T2_T3_mT4_P12ihipStream_tbEUlT_E1_NS1_11comp_targetILNS1_3genE2ELNS1_11target_archE906ELNS1_3gpuE6ELNS1_3repE0EEENS1_30default_config_static_selectorELNS0_4arch9wavefront6targetE1EEEvS14_.uses_flat_scratch, 0
	.set _ZN7rocprim17ROCPRIM_400000_NS6detail17trampoline_kernelINS0_14default_configENS1_22reduce_config_selectorIN6thrust23THRUST_200600_302600_NS5tupleIblNS6_9null_typeES8_S8_S8_S8_S8_S8_S8_EEEEZNS1_11reduce_implILb1ES3_NS6_12zip_iteratorINS7_INS6_11hip_rocprim26transform_input_iterator_tIbNSD_35transform_pair_of_input_iterators_tIbNS6_6detail15normal_iteratorINS6_10device_ptrIKdEEEESL_NS6_8equal_toIdEEEENSG_9not_fun_tINSD_8identityEEEEENSD_19counting_iterator_tIlEES8_S8_S8_S8_S8_S8_S8_S8_EEEEPS9_S9_NSD_9__find_if7functorIS9_EEEE10hipError_tPvRmT1_T2_T3_mT4_P12ihipStream_tbEUlT_E1_NS1_11comp_targetILNS1_3genE2ELNS1_11target_archE906ELNS1_3gpuE6ELNS1_3repE0EEENS1_30default_config_static_selectorELNS0_4arch9wavefront6targetE1EEEvS14_.has_dyn_sized_stack, 0
	.set _ZN7rocprim17ROCPRIM_400000_NS6detail17trampoline_kernelINS0_14default_configENS1_22reduce_config_selectorIN6thrust23THRUST_200600_302600_NS5tupleIblNS6_9null_typeES8_S8_S8_S8_S8_S8_S8_EEEEZNS1_11reduce_implILb1ES3_NS6_12zip_iteratorINS7_INS6_11hip_rocprim26transform_input_iterator_tIbNSD_35transform_pair_of_input_iterators_tIbNS6_6detail15normal_iteratorINS6_10device_ptrIKdEEEESL_NS6_8equal_toIdEEEENSG_9not_fun_tINSD_8identityEEEEENSD_19counting_iterator_tIlEES8_S8_S8_S8_S8_S8_S8_S8_EEEEPS9_S9_NSD_9__find_if7functorIS9_EEEE10hipError_tPvRmT1_T2_T3_mT4_P12ihipStream_tbEUlT_E1_NS1_11comp_targetILNS1_3genE2ELNS1_11target_archE906ELNS1_3gpuE6ELNS1_3repE0EEENS1_30default_config_static_selectorELNS0_4arch9wavefront6targetE1EEEvS14_.has_recursion, 0
	.set _ZN7rocprim17ROCPRIM_400000_NS6detail17trampoline_kernelINS0_14default_configENS1_22reduce_config_selectorIN6thrust23THRUST_200600_302600_NS5tupleIblNS6_9null_typeES8_S8_S8_S8_S8_S8_S8_EEEEZNS1_11reduce_implILb1ES3_NS6_12zip_iteratorINS7_INS6_11hip_rocprim26transform_input_iterator_tIbNSD_35transform_pair_of_input_iterators_tIbNS6_6detail15normal_iteratorINS6_10device_ptrIKdEEEESL_NS6_8equal_toIdEEEENSG_9not_fun_tINSD_8identityEEEEENSD_19counting_iterator_tIlEES8_S8_S8_S8_S8_S8_S8_S8_EEEEPS9_S9_NSD_9__find_if7functorIS9_EEEE10hipError_tPvRmT1_T2_T3_mT4_P12ihipStream_tbEUlT_E1_NS1_11comp_targetILNS1_3genE2ELNS1_11target_archE906ELNS1_3gpuE6ELNS1_3repE0EEENS1_30default_config_static_selectorELNS0_4arch9wavefront6targetE1EEEvS14_.has_indirect_call, 0
	.section	.AMDGPU.csdata,"",@progbits
; Kernel info:
; codeLenInByte = 0
; TotalNumSgprs: 6
; NumVgprs: 0
; NumAgprs: 0
; TotalNumVgprs: 0
; ScratchSize: 0
; MemoryBound: 0
; FloatMode: 240
; IeeeMode: 1
; LDSByteSize: 0 bytes/workgroup (compile time only)
; SGPRBlocks: 0
; VGPRBlocks: 0
; NumSGPRsForWavesPerEU: 6
; NumVGPRsForWavesPerEU: 1
; AccumOffset: 4
; Occupancy: 8
; WaveLimiterHint : 0
; COMPUTE_PGM_RSRC2:SCRATCH_EN: 0
; COMPUTE_PGM_RSRC2:USER_SGPR: 2
; COMPUTE_PGM_RSRC2:TRAP_HANDLER: 0
; COMPUTE_PGM_RSRC2:TGID_X_EN: 1
; COMPUTE_PGM_RSRC2:TGID_Y_EN: 0
; COMPUTE_PGM_RSRC2:TGID_Z_EN: 0
; COMPUTE_PGM_RSRC2:TIDIG_COMP_CNT: 0
; COMPUTE_PGM_RSRC3_GFX90A:ACCUM_OFFSET: 0
; COMPUTE_PGM_RSRC3_GFX90A:TG_SPLIT: 0
	.section	.text._ZN7rocprim17ROCPRIM_400000_NS6detail17trampoline_kernelINS0_14default_configENS1_22reduce_config_selectorIN6thrust23THRUST_200600_302600_NS5tupleIblNS6_9null_typeES8_S8_S8_S8_S8_S8_S8_EEEEZNS1_11reduce_implILb1ES3_NS6_12zip_iteratorINS7_INS6_11hip_rocprim26transform_input_iterator_tIbNSD_35transform_pair_of_input_iterators_tIbNS6_6detail15normal_iteratorINS6_10device_ptrIKdEEEESL_NS6_8equal_toIdEEEENSG_9not_fun_tINSD_8identityEEEEENSD_19counting_iterator_tIlEES8_S8_S8_S8_S8_S8_S8_S8_EEEEPS9_S9_NSD_9__find_if7functorIS9_EEEE10hipError_tPvRmT1_T2_T3_mT4_P12ihipStream_tbEUlT_E1_NS1_11comp_targetILNS1_3genE10ELNS1_11target_archE1201ELNS1_3gpuE5ELNS1_3repE0EEENS1_30default_config_static_selectorELNS0_4arch9wavefront6targetE1EEEvS14_,"axG",@progbits,_ZN7rocprim17ROCPRIM_400000_NS6detail17trampoline_kernelINS0_14default_configENS1_22reduce_config_selectorIN6thrust23THRUST_200600_302600_NS5tupleIblNS6_9null_typeES8_S8_S8_S8_S8_S8_S8_EEEEZNS1_11reduce_implILb1ES3_NS6_12zip_iteratorINS7_INS6_11hip_rocprim26transform_input_iterator_tIbNSD_35transform_pair_of_input_iterators_tIbNS6_6detail15normal_iteratorINS6_10device_ptrIKdEEEESL_NS6_8equal_toIdEEEENSG_9not_fun_tINSD_8identityEEEEENSD_19counting_iterator_tIlEES8_S8_S8_S8_S8_S8_S8_S8_EEEEPS9_S9_NSD_9__find_if7functorIS9_EEEE10hipError_tPvRmT1_T2_T3_mT4_P12ihipStream_tbEUlT_E1_NS1_11comp_targetILNS1_3genE10ELNS1_11target_archE1201ELNS1_3gpuE5ELNS1_3repE0EEENS1_30default_config_static_selectorELNS0_4arch9wavefront6targetE1EEEvS14_,comdat
	.protected	_ZN7rocprim17ROCPRIM_400000_NS6detail17trampoline_kernelINS0_14default_configENS1_22reduce_config_selectorIN6thrust23THRUST_200600_302600_NS5tupleIblNS6_9null_typeES8_S8_S8_S8_S8_S8_S8_EEEEZNS1_11reduce_implILb1ES3_NS6_12zip_iteratorINS7_INS6_11hip_rocprim26transform_input_iterator_tIbNSD_35transform_pair_of_input_iterators_tIbNS6_6detail15normal_iteratorINS6_10device_ptrIKdEEEESL_NS6_8equal_toIdEEEENSG_9not_fun_tINSD_8identityEEEEENSD_19counting_iterator_tIlEES8_S8_S8_S8_S8_S8_S8_S8_EEEEPS9_S9_NSD_9__find_if7functorIS9_EEEE10hipError_tPvRmT1_T2_T3_mT4_P12ihipStream_tbEUlT_E1_NS1_11comp_targetILNS1_3genE10ELNS1_11target_archE1201ELNS1_3gpuE5ELNS1_3repE0EEENS1_30default_config_static_selectorELNS0_4arch9wavefront6targetE1EEEvS14_ ; -- Begin function _ZN7rocprim17ROCPRIM_400000_NS6detail17trampoline_kernelINS0_14default_configENS1_22reduce_config_selectorIN6thrust23THRUST_200600_302600_NS5tupleIblNS6_9null_typeES8_S8_S8_S8_S8_S8_S8_EEEEZNS1_11reduce_implILb1ES3_NS6_12zip_iteratorINS7_INS6_11hip_rocprim26transform_input_iterator_tIbNSD_35transform_pair_of_input_iterators_tIbNS6_6detail15normal_iteratorINS6_10device_ptrIKdEEEESL_NS6_8equal_toIdEEEENSG_9not_fun_tINSD_8identityEEEEENSD_19counting_iterator_tIlEES8_S8_S8_S8_S8_S8_S8_S8_EEEEPS9_S9_NSD_9__find_if7functorIS9_EEEE10hipError_tPvRmT1_T2_T3_mT4_P12ihipStream_tbEUlT_E1_NS1_11comp_targetILNS1_3genE10ELNS1_11target_archE1201ELNS1_3gpuE5ELNS1_3repE0EEENS1_30default_config_static_selectorELNS0_4arch9wavefront6targetE1EEEvS14_
	.globl	_ZN7rocprim17ROCPRIM_400000_NS6detail17trampoline_kernelINS0_14default_configENS1_22reduce_config_selectorIN6thrust23THRUST_200600_302600_NS5tupleIblNS6_9null_typeES8_S8_S8_S8_S8_S8_S8_EEEEZNS1_11reduce_implILb1ES3_NS6_12zip_iteratorINS7_INS6_11hip_rocprim26transform_input_iterator_tIbNSD_35transform_pair_of_input_iterators_tIbNS6_6detail15normal_iteratorINS6_10device_ptrIKdEEEESL_NS6_8equal_toIdEEEENSG_9not_fun_tINSD_8identityEEEEENSD_19counting_iterator_tIlEES8_S8_S8_S8_S8_S8_S8_S8_EEEEPS9_S9_NSD_9__find_if7functorIS9_EEEE10hipError_tPvRmT1_T2_T3_mT4_P12ihipStream_tbEUlT_E1_NS1_11comp_targetILNS1_3genE10ELNS1_11target_archE1201ELNS1_3gpuE5ELNS1_3repE0EEENS1_30default_config_static_selectorELNS0_4arch9wavefront6targetE1EEEvS14_
	.p2align	8
	.type	_ZN7rocprim17ROCPRIM_400000_NS6detail17trampoline_kernelINS0_14default_configENS1_22reduce_config_selectorIN6thrust23THRUST_200600_302600_NS5tupleIblNS6_9null_typeES8_S8_S8_S8_S8_S8_S8_EEEEZNS1_11reduce_implILb1ES3_NS6_12zip_iteratorINS7_INS6_11hip_rocprim26transform_input_iterator_tIbNSD_35transform_pair_of_input_iterators_tIbNS6_6detail15normal_iteratorINS6_10device_ptrIKdEEEESL_NS6_8equal_toIdEEEENSG_9not_fun_tINSD_8identityEEEEENSD_19counting_iterator_tIlEES8_S8_S8_S8_S8_S8_S8_S8_EEEEPS9_S9_NSD_9__find_if7functorIS9_EEEE10hipError_tPvRmT1_T2_T3_mT4_P12ihipStream_tbEUlT_E1_NS1_11comp_targetILNS1_3genE10ELNS1_11target_archE1201ELNS1_3gpuE5ELNS1_3repE0EEENS1_30default_config_static_selectorELNS0_4arch9wavefront6targetE1EEEvS14_,@function
_ZN7rocprim17ROCPRIM_400000_NS6detail17trampoline_kernelINS0_14default_configENS1_22reduce_config_selectorIN6thrust23THRUST_200600_302600_NS5tupleIblNS6_9null_typeES8_S8_S8_S8_S8_S8_S8_EEEEZNS1_11reduce_implILb1ES3_NS6_12zip_iteratorINS7_INS6_11hip_rocprim26transform_input_iterator_tIbNSD_35transform_pair_of_input_iterators_tIbNS6_6detail15normal_iteratorINS6_10device_ptrIKdEEEESL_NS6_8equal_toIdEEEENSG_9not_fun_tINSD_8identityEEEEENSD_19counting_iterator_tIlEES8_S8_S8_S8_S8_S8_S8_S8_EEEEPS9_S9_NSD_9__find_if7functorIS9_EEEE10hipError_tPvRmT1_T2_T3_mT4_P12ihipStream_tbEUlT_E1_NS1_11comp_targetILNS1_3genE10ELNS1_11target_archE1201ELNS1_3gpuE5ELNS1_3repE0EEENS1_30default_config_static_selectorELNS0_4arch9wavefront6targetE1EEEvS14_: ; @_ZN7rocprim17ROCPRIM_400000_NS6detail17trampoline_kernelINS0_14default_configENS1_22reduce_config_selectorIN6thrust23THRUST_200600_302600_NS5tupleIblNS6_9null_typeES8_S8_S8_S8_S8_S8_S8_EEEEZNS1_11reduce_implILb1ES3_NS6_12zip_iteratorINS7_INS6_11hip_rocprim26transform_input_iterator_tIbNSD_35transform_pair_of_input_iterators_tIbNS6_6detail15normal_iteratorINS6_10device_ptrIKdEEEESL_NS6_8equal_toIdEEEENSG_9not_fun_tINSD_8identityEEEEENSD_19counting_iterator_tIlEES8_S8_S8_S8_S8_S8_S8_S8_EEEEPS9_S9_NSD_9__find_if7functorIS9_EEEE10hipError_tPvRmT1_T2_T3_mT4_P12ihipStream_tbEUlT_E1_NS1_11comp_targetILNS1_3genE10ELNS1_11target_archE1201ELNS1_3gpuE5ELNS1_3repE0EEENS1_30default_config_static_selectorELNS0_4arch9wavefront6targetE1EEEvS14_
; %bb.0:
	.section	.rodata,"a",@progbits
	.p2align	6, 0x0
	.amdhsa_kernel _ZN7rocprim17ROCPRIM_400000_NS6detail17trampoline_kernelINS0_14default_configENS1_22reduce_config_selectorIN6thrust23THRUST_200600_302600_NS5tupleIblNS6_9null_typeES8_S8_S8_S8_S8_S8_S8_EEEEZNS1_11reduce_implILb1ES3_NS6_12zip_iteratorINS7_INS6_11hip_rocprim26transform_input_iterator_tIbNSD_35transform_pair_of_input_iterators_tIbNS6_6detail15normal_iteratorINS6_10device_ptrIKdEEEESL_NS6_8equal_toIdEEEENSG_9not_fun_tINSD_8identityEEEEENSD_19counting_iterator_tIlEES8_S8_S8_S8_S8_S8_S8_S8_EEEEPS9_S9_NSD_9__find_if7functorIS9_EEEE10hipError_tPvRmT1_T2_T3_mT4_P12ihipStream_tbEUlT_E1_NS1_11comp_targetILNS1_3genE10ELNS1_11target_archE1201ELNS1_3gpuE5ELNS1_3repE0EEENS1_30default_config_static_selectorELNS0_4arch9wavefront6targetE1EEEvS14_
		.amdhsa_group_segment_fixed_size 0
		.amdhsa_private_segment_fixed_size 0
		.amdhsa_kernarg_size 88
		.amdhsa_user_sgpr_count 2
		.amdhsa_user_sgpr_dispatch_ptr 0
		.amdhsa_user_sgpr_queue_ptr 0
		.amdhsa_user_sgpr_kernarg_segment_ptr 1
		.amdhsa_user_sgpr_dispatch_id 0
		.amdhsa_user_sgpr_kernarg_preload_length 0
		.amdhsa_user_sgpr_kernarg_preload_offset 0
		.amdhsa_user_sgpr_private_segment_size 0
		.amdhsa_uses_dynamic_stack 0
		.amdhsa_enable_private_segment 0
		.amdhsa_system_sgpr_workgroup_id_x 1
		.amdhsa_system_sgpr_workgroup_id_y 0
		.amdhsa_system_sgpr_workgroup_id_z 0
		.amdhsa_system_sgpr_workgroup_info 0
		.amdhsa_system_vgpr_workitem_id 0
		.amdhsa_next_free_vgpr 1
		.amdhsa_next_free_sgpr 0
		.amdhsa_accum_offset 4
		.amdhsa_reserve_vcc 0
		.amdhsa_float_round_mode_32 0
		.amdhsa_float_round_mode_16_64 0
		.amdhsa_float_denorm_mode_32 3
		.amdhsa_float_denorm_mode_16_64 3
		.amdhsa_dx10_clamp 1
		.amdhsa_ieee_mode 1
		.amdhsa_fp16_overflow 0
		.amdhsa_tg_split 0
		.amdhsa_exception_fp_ieee_invalid_op 0
		.amdhsa_exception_fp_denorm_src 0
		.amdhsa_exception_fp_ieee_div_zero 0
		.amdhsa_exception_fp_ieee_overflow 0
		.amdhsa_exception_fp_ieee_underflow 0
		.amdhsa_exception_fp_ieee_inexact 0
		.amdhsa_exception_int_div_zero 0
	.end_amdhsa_kernel
	.section	.text._ZN7rocprim17ROCPRIM_400000_NS6detail17trampoline_kernelINS0_14default_configENS1_22reduce_config_selectorIN6thrust23THRUST_200600_302600_NS5tupleIblNS6_9null_typeES8_S8_S8_S8_S8_S8_S8_EEEEZNS1_11reduce_implILb1ES3_NS6_12zip_iteratorINS7_INS6_11hip_rocprim26transform_input_iterator_tIbNSD_35transform_pair_of_input_iterators_tIbNS6_6detail15normal_iteratorINS6_10device_ptrIKdEEEESL_NS6_8equal_toIdEEEENSG_9not_fun_tINSD_8identityEEEEENSD_19counting_iterator_tIlEES8_S8_S8_S8_S8_S8_S8_S8_EEEEPS9_S9_NSD_9__find_if7functorIS9_EEEE10hipError_tPvRmT1_T2_T3_mT4_P12ihipStream_tbEUlT_E1_NS1_11comp_targetILNS1_3genE10ELNS1_11target_archE1201ELNS1_3gpuE5ELNS1_3repE0EEENS1_30default_config_static_selectorELNS0_4arch9wavefront6targetE1EEEvS14_,"axG",@progbits,_ZN7rocprim17ROCPRIM_400000_NS6detail17trampoline_kernelINS0_14default_configENS1_22reduce_config_selectorIN6thrust23THRUST_200600_302600_NS5tupleIblNS6_9null_typeES8_S8_S8_S8_S8_S8_S8_EEEEZNS1_11reduce_implILb1ES3_NS6_12zip_iteratorINS7_INS6_11hip_rocprim26transform_input_iterator_tIbNSD_35transform_pair_of_input_iterators_tIbNS6_6detail15normal_iteratorINS6_10device_ptrIKdEEEESL_NS6_8equal_toIdEEEENSG_9not_fun_tINSD_8identityEEEEENSD_19counting_iterator_tIlEES8_S8_S8_S8_S8_S8_S8_S8_EEEEPS9_S9_NSD_9__find_if7functorIS9_EEEE10hipError_tPvRmT1_T2_T3_mT4_P12ihipStream_tbEUlT_E1_NS1_11comp_targetILNS1_3genE10ELNS1_11target_archE1201ELNS1_3gpuE5ELNS1_3repE0EEENS1_30default_config_static_selectorELNS0_4arch9wavefront6targetE1EEEvS14_,comdat
.Lfunc_end195:
	.size	_ZN7rocprim17ROCPRIM_400000_NS6detail17trampoline_kernelINS0_14default_configENS1_22reduce_config_selectorIN6thrust23THRUST_200600_302600_NS5tupleIblNS6_9null_typeES8_S8_S8_S8_S8_S8_S8_EEEEZNS1_11reduce_implILb1ES3_NS6_12zip_iteratorINS7_INS6_11hip_rocprim26transform_input_iterator_tIbNSD_35transform_pair_of_input_iterators_tIbNS6_6detail15normal_iteratorINS6_10device_ptrIKdEEEESL_NS6_8equal_toIdEEEENSG_9not_fun_tINSD_8identityEEEEENSD_19counting_iterator_tIlEES8_S8_S8_S8_S8_S8_S8_S8_EEEEPS9_S9_NSD_9__find_if7functorIS9_EEEE10hipError_tPvRmT1_T2_T3_mT4_P12ihipStream_tbEUlT_E1_NS1_11comp_targetILNS1_3genE10ELNS1_11target_archE1201ELNS1_3gpuE5ELNS1_3repE0EEENS1_30default_config_static_selectorELNS0_4arch9wavefront6targetE1EEEvS14_, .Lfunc_end195-_ZN7rocprim17ROCPRIM_400000_NS6detail17trampoline_kernelINS0_14default_configENS1_22reduce_config_selectorIN6thrust23THRUST_200600_302600_NS5tupleIblNS6_9null_typeES8_S8_S8_S8_S8_S8_S8_EEEEZNS1_11reduce_implILb1ES3_NS6_12zip_iteratorINS7_INS6_11hip_rocprim26transform_input_iterator_tIbNSD_35transform_pair_of_input_iterators_tIbNS6_6detail15normal_iteratorINS6_10device_ptrIKdEEEESL_NS6_8equal_toIdEEEENSG_9not_fun_tINSD_8identityEEEEENSD_19counting_iterator_tIlEES8_S8_S8_S8_S8_S8_S8_S8_EEEEPS9_S9_NSD_9__find_if7functorIS9_EEEE10hipError_tPvRmT1_T2_T3_mT4_P12ihipStream_tbEUlT_E1_NS1_11comp_targetILNS1_3genE10ELNS1_11target_archE1201ELNS1_3gpuE5ELNS1_3repE0EEENS1_30default_config_static_selectorELNS0_4arch9wavefront6targetE1EEEvS14_
                                        ; -- End function
	.set _ZN7rocprim17ROCPRIM_400000_NS6detail17trampoline_kernelINS0_14default_configENS1_22reduce_config_selectorIN6thrust23THRUST_200600_302600_NS5tupleIblNS6_9null_typeES8_S8_S8_S8_S8_S8_S8_EEEEZNS1_11reduce_implILb1ES3_NS6_12zip_iteratorINS7_INS6_11hip_rocprim26transform_input_iterator_tIbNSD_35transform_pair_of_input_iterators_tIbNS6_6detail15normal_iteratorINS6_10device_ptrIKdEEEESL_NS6_8equal_toIdEEEENSG_9not_fun_tINSD_8identityEEEEENSD_19counting_iterator_tIlEES8_S8_S8_S8_S8_S8_S8_S8_EEEEPS9_S9_NSD_9__find_if7functorIS9_EEEE10hipError_tPvRmT1_T2_T3_mT4_P12ihipStream_tbEUlT_E1_NS1_11comp_targetILNS1_3genE10ELNS1_11target_archE1201ELNS1_3gpuE5ELNS1_3repE0EEENS1_30default_config_static_selectorELNS0_4arch9wavefront6targetE1EEEvS14_.num_vgpr, 0
	.set _ZN7rocprim17ROCPRIM_400000_NS6detail17trampoline_kernelINS0_14default_configENS1_22reduce_config_selectorIN6thrust23THRUST_200600_302600_NS5tupleIblNS6_9null_typeES8_S8_S8_S8_S8_S8_S8_EEEEZNS1_11reduce_implILb1ES3_NS6_12zip_iteratorINS7_INS6_11hip_rocprim26transform_input_iterator_tIbNSD_35transform_pair_of_input_iterators_tIbNS6_6detail15normal_iteratorINS6_10device_ptrIKdEEEESL_NS6_8equal_toIdEEEENSG_9not_fun_tINSD_8identityEEEEENSD_19counting_iterator_tIlEES8_S8_S8_S8_S8_S8_S8_S8_EEEEPS9_S9_NSD_9__find_if7functorIS9_EEEE10hipError_tPvRmT1_T2_T3_mT4_P12ihipStream_tbEUlT_E1_NS1_11comp_targetILNS1_3genE10ELNS1_11target_archE1201ELNS1_3gpuE5ELNS1_3repE0EEENS1_30default_config_static_selectorELNS0_4arch9wavefront6targetE1EEEvS14_.num_agpr, 0
	.set _ZN7rocprim17ROCPRIM_400000_NS6detail17trampoline_kernelINS0_14default_configENS1_22reduce_config_selectorIN6thrust23THRUST_200600_302600_NS5tupleIblNS6_9null_typeES8_S8_S8_S8_S8_S8_S8_EEEEZNS1_11reduce_implILb1ES3_NS6_12zip_iteratorINS7_INS6_11hip_rocprim26transform_input_iterator_tIbNSD_35transform_pair_of_input_iterators_tIbNS6_6detail15normal_iteratorINS6_10device_ptrIKdEEEESL_NS6_8equal_toIdEEEENSG_9not_fun_tINSD_8identityEEEEENSD_19counting_iterator_tIlEES8_S8_S8_S8_S8_S8_S8_S8_EEEEPS9_S9_NSD_9__find_if7functorIS9_EEEE10hipError_tPvRmT1_T2_T3_mT4_P12ihipStream_tbEUlT_E1_NS1_11comp_targetILNS1_3genE10ELNS1_11target_archE1201ELNS1_3gpuE5ELNS1_3repE0EEENS1_30default_config_static_selectorELNS0_4arch9wavefront6targetE1EEEvS14_.numbered_sgpr, 0
	.set _ZN7rocprim17ROCPRIM_400000_NS6detail17trampoline_kernelINS0_14default_configENS1_22reduce_config_selectorIN6thrust23THRUST_200600_302600_NS5tupleIblNS6_9null_typeES8_S8_S8_S8_S8_S8_S8_EEEEZNS1_11reduce_implILb1ES3_NS6_12zip_iteratorINS7_INS6_11hip_rocprim26transform_input_iterator_tIbNSD_35transform_pair_of_input_iterators_tIbNS6_6detail15normal_iteratorINS6_10device_ptrIKdEEEESL_NS6_8equal_toIdEEEENSG_9not_fun_tINSD_8identityEEEEENSD_19counting_iterator_tIlEES8_S8_S8_S8_S8_S8_S8_S8_EEEEPS9_S9_NSD_9__find_if7functorIS9_EEEE10hipError_tPvRmT1_T2_T3_mT4_P12ihipStream_tbEUlT_E1_NS1_11comp_targetILNS1_3genE10ELNS1_11target_archE1201ELNS1_3gpuE5ELNS1_3repE0EEENS1_30default_config_static_selectorELNS0_4arch9wavefront6targetE1EEEvS14_.num_named_barrier, 0
	.set _ZN7rocprim17ROCPRIM_400000_NS6detail17trampoline_kernelINS0_14default_configENS1_22reduce_config_selectorIN6thrust23THRUST_200600_302600_NS5tupleIblNS6_9null_typeES8_S8_S8_S8_S8_S8_S8_EEEEZNS1_11reduce_implILb1ES3_NS6_12zip_iteratorINS7_INS6_11hip_rocprim26transform_input_iterator_tIbNSD_35transform_pair_of_input_iterators_tIbNS6_6detail15normal_iteratorINS6_10device_ptrIKdEEEESL_NS6_8equal_toIdEEEENSG_9not_fun_tINSD_8identityEEEEENSD_19counting_iterator_tIlEES8_S8_S8_S8_S8_S8_S8_S8_EEEEPS9_S9_NSD_9__find_if7functorIS9_EEEE10hipError_tPvRmT1_T2_T3_mT4_P12ihipStream_tbEUlT_E1_NS1_11comp_targetILNS1_3genE10ELNS1_11target_archE1201ELNS1_3gpuE5ELNS1_3repE0EEENS1_30default_config_static_selectorELNS0_4arch9wavefront6targetE1EEEvS14_.private_seg_size, 0
	.set _ZN7rocprim17ROCPRIM_400000_NS6detail17trampoline_kernelINS0_14default_configENS1_22reduce_config_selectorIN6thrust23THRUST_200600_302600_NS5tupleIblNS6_9null_typeES8_S8_S8_S8_S8_S8_S8_EEEEZNS1_11reduce_implILb1ES3_NS6_12zip_iteratorINS7_INS6_11hip_rocprim26transform_input_iterator_tIbNSD_35transform_pair_of_input_iterators_tIbNS6_6detail15normal_iteratorINS6_10device_ptrIKdEEEESL_NS6_8equal_toIdEEEENSG_9not_fun_tINSD_8identityEEEEENSD_19counting_iterator_tIlEES8_S8_S8_S8_S8_S8_S8_S8_EEEEPS9_S9_NSD_9__find_if7functorIS9_EEEE10hipError_tPvRmT1_T2_T3_mT4_P12ihipStream_tbEUlT_E1_NS1_11comp_targetILNS1_3genE10ELNS1_11target_archE1201ELNS1_3gpuE5ELNS1_3repE0EEENS1_30default_config_static_selectorELNS0_4arch9wavefront6targetE1EEEvS14_.uses_vcc, 0
	.set _ZN7rocprim17ROCPRIM_400000_NS6detail17trampoline_kernelINS0_14default_configENS1_22reduce_config_selectorIN6thrust23THRUST_200600_302600_NS5tupleIblNS6_9null_typeES8_S8_S8_S8_S8_S8_S8_EEEEZNS1_11reduce_implILb1ES3_NS6_12zip_iteratorINS7_INS6_11hip_rocprim26transform_input_iterator_tIbNSD_35transform_pair_of_input_iterators_tIbNS6_6detail15normal_iteratorINS6_10device_ptrIKdEEEESL_NS6_8equal_toIdEEEENSG_9not_fun_tINSD_8identityEEEEENSD_19counting_iterator_tIlEES8_S8_S8_S8_S8_S8_S8_S8_EEEEPS9_S9_NSD_9__find_if7functorIS9_EEEE10hipError_tPvRmT1_T2_T3_mT4_P12ihipStream_tbEUlT_E1_NS1_11comp_targetILNS1_3genE10ELNS1_11target_archE1201ELNS1_3gpuE5ELNS1_3repE0EEENS1_30default_config_static_selectorELNS0_4arch9wavefront6targetE1EEEvS14_.uses_flat_scratch, 0
	.set _ZN7rocprim17ROCPRIM_400000_NS6detail17trampoline_kernelINS0_14default_configENS1_22reduce_config_selectorIN6thrust23THRUST_200600_302600_NS5tupleIblNS6_9null_typeES8_S8_S8_S8_S8_S8_S8_EEEEZNS1_11reduce_implILb1ES3_NS6_12zip_iteratorINS7_INS6_11hip_rocprim26transform_input_iterator_tIbNSD_35transform_pair_of_input_iterators_tIbNS6_6detail15normal_iteratorINS6_10device_ptrIKdEEEESL_NS6_8equal_toIdEEEENSG_9not_fun_tINSD_8identityEEEEENSD_19counting_iterator_tIlEES8_S8_S8_S8_S8_S8_S8_S8_EEEEPS9_S9_NSD_9__find_if7functorIS9_EEEE10hipError_tPvRmT1_T2_T3_mT4_P12ihipStream_tbEUlT_E1_NS1_11comp_targetILNS1_3genE10ELNS1_11target_archE1201ELNS1_3gpuE5ELNS1_3repE0EEENS1_30default_config_static_selectorELNS0_4arch9wavefront6targetE1EEEvS14_.has_dyn_sized_stack, 0
	.set _ZN7rocprim17ROCPRIM_400000_NS6detail17trampoline_kernelINS0_14default_configENS1_22reduce_config_selectorIN6thrust23THRUST_200600_302600_NS5tupleIblNS6_9null_typeES8_S8_S8_S8_S8_S8_S8_EEEEZNS1_11reduce_implILb1ES3_NS6_12zip_iteratorINS7_INS6_11hip_rocprim26transform_input_iterator_tIbNSD_35transform_pair_of_input_iterators_tIbNS6_6detail15normal_iteratorINS6_10device_ptrIKdEEEESL_NS6_8equal_toIdEEEENSG_9not_fun_tINSD_8identityEEEEENSD_19counting_iterator_tIlEES8_S8_S8_S8_S8_S8_S8_S8_EEEEPS9_S9_NSD_9__find_if7functorIS9_EEEE10hipError_tPvRmT1_T2_T3_mT4_P12ihipStream_tbEUlT_E1_NS1_11comp_targetILNS1_3genE10ELNS1_11target_archE1201ELNS1_3gpuE5ELNS1_3repE0EEENS1_30default_config_static_selectorELNS0_4arch9wavefront6targetE1EEEvS14_.has_recursion, 0
	.set _ZN7rocprim17ROCPRIM_400000_NS6detail17trampoline_kernelINS0_14default_configENS1_22reduce_config_selectorIN6thrust23THRUST_200600_302600_NS5tupleIblNS6_9null_typeES8_S8_S8_S8_S8_S8_S8_EEEEZNS1_11reduce_implILb1ES3_NS6_12zip_iteratorINS7_INS6_11hip_rocprim26transform_input_iterator_tIbNSD_35transform_pair_of_input_iterators_tIbNS6_6detail15normal_iteratorINS6_10device_ptrIKdEEEESL_NS6_8equal_toIdEEEENSG_9not_fun_tINSD_8identityEEEEENSD_19counting_iterator_tIlEES8_S8_S8_S8_S8_S8_S8_S8_EEEEPS9_S9_NSD_9__find_if7functorIS9_EEEE10hipError_tPvRmT1_T2_T3_mT4_P12ihipStream_tbEUlT_E1_NS1_11comp_targetILNS1_3genE10ELNS1_11target_archE1201ELNS1_3gpuE5ELNS1_3repE0EEENS1_30default_config_static_selectorELNS0_4arch9wavefront6targetE1EEEvS14_.has_indirect_call, 0
	.section	.AMDGPU.csdata,"",@progbits
; Kernel info:
; codeLenInByte = 0
; TotalNumSgprs: 6
; NumVgprs: 0
; NumAgprs: 0
; TotalNumVgprs: 0
; ScratchSize: 0
; MemoryBound: 0
; FloatMode: 240
; IeeeMode: 1
; LDSByteSize: 0 bytes/workgroup (compile time only)
; SGPRBlocks: 0
; VGPRBlocks: 0
; NumSGPRsForWavesPerEU: 6
; NumVGPRsForWavesPerEU: 1
; AccumOffset: 4
; Occupancy: 8
; WaveLimiterHint : 0
; COMPUTE_PGM_RSRC2:SCRATCH_EN: 0
; COMPUTE_PGM_RSRC2:USER_SGPR: 2
; COMPUTE_PGM_RSRC2:TRAP_HANDLER: 0
; COMPUTE_PGM_RSRC2:TGID_X_EN: 1
; COMPUTE_PGM_RSRC2:TGID_Y_EN: 0
; COMPUTE_PGM_RSRC2:TGID_Z_EN: 0
; COMPUTE_PGM_RSRC2:TIDIG_COMP_CNT: 0
; COMPUTE_PGM_RSRC3_GFX90A:ACCUM_OFFSET: 0
; COMPUTE_PGM_RSRC3_GFX90A:TG_SPLIT: 0
	.section	.text._ZN7rocprim17ROCPRIM_400000_NS6detail17trampoline_kernelINS0_14default_configENS1_22reduce_config_selectorIN6thrust23THRUST_200600_302600_NS5tupleIblNS6_9null_typeES8_S8_S8_S8_S8_S8_S8_EEEEZNS1_11reduce_implILb1ES3_NS6_12zip_iteratorINS7_INS6_11hip_rocprim26transform_input_iterator_tIbNSD_35transform_pair_of_input_iterators_tIbNS6_6detail15normal_iteratorINS6_10device_ptrIKdEEEESL_NS6_8equal_toIdEEEENSG_9not_fun_tINSD_8identityEEEEENSD_19counting_iterator_tIlEES8_S8_S8_S8_S8_S8_S8_S8_EEEEPS9_S9_NSD_9__find_if7functorIS9_EEEE10hipError_tPvRmT1_T2_T3_mT4_P12ihipStream_tbEUlT_E1_NS1_11comp_targetILNS1_3genE10ELNS1_11target_archE1200ELNS1_3gpuE4ELNS1_3repE0EEENS1_30default_config_static_selectorELNS0_4arch9wavefront6targetE1EEEvS14_,"axG",@progbits,_ZN7rocprim17ROCPRIM_400000_NS6detail17trampoline_kernelINS0_14default_configENS1_22reduce_config_selectorIN6thrust23THRUST_200600_302600_NS5tupleIblNS6_9null_typeES8_S8_S8_S8_S8_S8_S8_EEEEZNS1_11reduce_implILb1ES3_NS6_12zip_iteratorINS7_INS6_11hip_rocprim26transform_input_iterator_tIbNSD_35transform_pair_of_input_iterators_tIbNS6_6detail15normal_iteratorINS6_10device_ptrIKdEEEESL_NS6_8equal_toIdEEEENSG_9not_fun_tINSD_8identityEEEEENSD_19counting_iterator_tIlEES8_S8_S8_S8_S8_S8_S8_S8_EEEEPS9_S9_NSD_9__find_if7functorIS9_EEEE10hipError_tPvRmT1_T2_T3_mT4_P12ihipStream_tbEUlT_E1_NS1_11comp_targetILNS1_3genE10ELNS1_11target_archE1200ELNS1_3gpuE4ELNS1_3repE0EEENS1_30default_config_static_selectorELNS0_4arch9wavefront6targetE1EEEvS14_,comdat
	.protected	_ZN7rocprim17ROCPRIM_400000_NS6detail17trampoline_kernelINS0_14default_configENS1_22reduce_config_selectorIN6thrust23THRUST_200600_302600_NS5tupleIblNS6_9null_typeES8_S8_S8_S8_S8_S8_S8_EEEEZNS1_11reduce_implILb1ES3_NS6_12zip_iteratorINS7_INS6_11hip_rocprim26transform_input_iterator_tIbNSD_35transform_pair_of_input_iterators_tIbNS6_6detail15normal_iteratorINS6_10device_ptrIKdEEEESL_NS6_8equal_toIdEEEENSG_9not_fun_tINSD_8identityEEEEENSD_19counting_iterator_tIlEES8_S8_S8_S8_S8_S8_S8_S8_EEEEPS9_S9_NSD_9__find_if7functorIS9_EEEE10hipError_tPvRmT1_T2_T3_mT4_P12ihipStream_tbEUlT_E1_NS1_11comp_targetILNS1_3genE10ELNS1_11target_archE1200ELNS1_3gpuE4ELNS1_3repE0EEENS1_30default_config_static_selectorELNS0_4arch9wavefront6targetE1EEEvS14_ ; -- Begin function _ZN7rocprim17ROCPRIM_400000_NS6detail17trampoline_kernelINS0_14default_configENS1_22reduce_config_selectorIN6thrust23THRUST_200600_302600_NS5tupleIblNS6_9null_typeES8_S8_S8_S8_S8_S8_S8_EEEEZNS1_11reduce_implILb1ES3_NS6_12zip_iteratorINS7_INS6_11hip_rocprim26transform_input_iterator_tIbNSD_35transform_pair_of_input_iterators_tIbNS6_6detail15normal_iteratorINS6_10device_ptrIKdEEEESL_NS6_8equal_toIdEEEENSG_9not_fun_tINSD_8identityEEEEENSD_19counting_iterator_tIlEES8_S8_S8_S8_S8_S8_S8_S8_EEEEPS9_S9_NSD_9__find_if7functorIS9_EEEE10hipError_tPvRmT1_T2_T3_mT4_P12ihipStream_tbEUlT_E1_NS1_11comp_targetILNS1_3genE10ELNS1_11target_archE1200ELNS1_3gpuE4ELNS1_3repE0EEENS1_30default_config_static_selectorELNS0_4arch9wavefront6targetE1EEEvS14_
	.globl	_ZN7rocprim17ROCPRIM_400000_NS6detail17trampoline_kernelINS0_14default_configENS1_22reduce_config_selectorIN6thrust23THRUST_200600_302600_NS5tupleIblNS6_9null_typeES8_S8_S8_S8_S8_S8_S8_EEEEZNS1_11reduce_implILb1ES3_NS6_12zip_iteratorINS7_INS6_11hip_rocprim26transform_input_iterator_tIbNSD_35transform_pair_of_input_iterators_tIbNS6_6detail15normal_iteratorINS6_10device_ptrIKdEEEESL_NS6_8equal_toIdEEEENSG_9not_fun_tINSD_8identityEEEEENSD_19counting_iterator_tIlEES8_S8_S8_S8_S8_S8_S8_S8_EEEEPS9_S9_NSD_9__find_if7functorIS9_EEEE10hipError_tPvRmT1_T2_T3_mT4_P12ihipStream_tbEUlT_E1_NS1_11comp_targetILNS1_3genE10ELNS1_11target_archE1200ELNS1_3gpuE4ELNS1_3repE0EEENS1_30default_config_static_selectorELNS0_4arch9wavefront6targetE1EEEvS14_
	.p2align	8
	.type	_ZN7rocprim17ROCPRIM_400000_NS6detail17trampoline_kernelINS0_14default_configENS1_22reduce_config_selectorIN6thrust23THRUST_200600_302600_NS5tupleIblNS6_9null_typeES8_S8_S8_S8_S8_S8_S8_EEEEZNS1_11reduce_implILb1ES3_NS6_12zip_iteratorINS7_INS6_11hip_rocprim26transform_input_iterator_tIbNSD_35transform_pair_of_input_iterators_tIbNS6_6detail15normal_iteratorINS6_10device_ptrIKdEEEESL_NS6_8equal_toIdEEEENSG_9not_fun_tINSD_8identityEEEEENSD_19counting_iterator_tIlEES8_S8_S8_S8_S8_S8_S8_S8_EEEEPS9_S9_NSD_9__find_if7functorIS9_EEEE10hipError_tPvRmT1_T2_T3_mT4_P12ihipStream_tbEUlT_E1_NS1_11comp_targetILNS1_3genE10ELNS1_11target_archE1200ELNS1_3gpuE4ELNS1_3repE0EEENS1_30default_config_static_selectorELNS0_4arch9wavefront6targetE1EEEvS14_,@function
_ZN7rocprim17ROCPRIM_400000_NS6detail17trampoline_kernelINS0_14default_configENS1_22reduce_config_selectorIN6thrust23THRUST_200600_302600_NS5tupleIblNS6_9null_typeES8_S8_S8_S8_S8_S8_S8_EEEEZNS1_11reduce_implILb1ES3_NS6_12zip_iteratorINS7_INS6_11hip_rocprim26transform_input_iterator_tIbNSD_35transform_pair_of_input_iterators_tIbNS6_6detail15normal_iteratorINS6_10device_ptrIKdEEEESL_NS6_8equal_toIdEEEENSG_9not_fun_tINSD_8identityEEEEENSD_19counting_iterator_tIlEES8_S8_S8_S8_S8_S8_S8_S8_EEEEPS9_S9_NSD_9__find_if7functorIS9_EEEE10hipError_tPvRmT1_T2_T3_mT4_P12ihipStream_tbEUlT_E1_NS1_11comp_targetILNS1_3genE10ELNS1_11target_archE1200ELNS1_3gpuE4ELNS1_3repE0EEENS1_30default_config_static_selectorELNS0_4arch9wavefront6targetE1EEEvS14_: ; @_ZN7rocprim17ROCPRIM_400000_NS6detail17trampoline_kernelINS0_14default_configENS1_22reduce_config_selectorIN6thrust23THRUST_200600_302600_NS5tupleIblNS6_9null_typeES8_S8_S8_S8_S8_S8_S8_EEEEZNS1_11reduce_implILb1ES3_NS6_12zip_iteratorINS7_INS6_11hip_rocprim26transform_input_iterator_tIbNSD_35transform_pair_of_input_iterators_tIbNS6_6detail15normal_iteratorINS6_10device_ptrIKdEEEESL_NS6_8equal_toIdEEEENSG_9not_fun_tINSD_8identityEEEEENSD_19counting_iterator_tIlEES8_S8_S8_S8_S8_S8_S8_S8_EEEEPS9_S9_NSD_9__find_if7functorIS9_EEEE10hipError_tPvRmT1_T2_T3_mT4_P12ihipStream_tbEUlT_E1_NS1_11comp_targetILNS1_3genE10ELNS1_11target_archE1200ELNS1_3gpuE4ELNS1_3repE0EEENS1_30default_config_static_selectorELNS0_4arch9wavefront6targetE1EEEvS14_
; %bb.0:
	.section	.rodata,"a",@progbits
	.p2align	6, 0x0
	.amdhsa_kernel _ZN7rocprim17ROCPRIM_400000_NS6detail17trampoline_kernelINS0_14default_configENS1_22reduce_config_selectorIN6thrust23THRUST_200600_302600_NS5tupleIblNS6_9null_typeES8_S8_S8_S8_S8_S8_S8_EEEEZNS1_11reduce_implILb1ES3_NS6_12zip_iteratorINS7_INS6_11hip_rocprim26transform_input_iterator_tIbNSD_35transform_pair_of_input_iterators_tIbNS6_6detail15normal_iteratorINS6_10device_ptrIKdEEEESL_NS6_8equal_toIdEEEENSG_9not_fun_tINSD_8identityEEEEENSD_19counting_iterator_tIlEES8_S8_S8_S8_S8_S8_S8_S8_EEEEPS9_S9_NSD_9__find_if7functorIS9_EEEE10hipError_tPvRmT1_T2_T3_mT4_P12ihipStream_tbEUlT_E1_NS1_11comp_targetILNS1_3genE10ELNS1_11target_archE1200ELNS1_3gpuE4ELNS1_3repE0EEENS1_30default_config_static_selectorELNS0_4arch9wavefront6targetE1EEEvS14_
		.amdhsa_group_segment_fixed_size 0
		.amdhsa_private_segment_fixed_size 0
		.amdhsa_kernarg_size 88
		.amdhsa_user_sgpr_count 2
		.amdhsa_user_sgpr_dispatch_ptr 0
		.amdhsa_user_sgpr_queue_ptr 0
		.amdhsa_user_sgpr_kernarg_segment_ptr 1
		.amdhsa_user_sgpr_dispatch_id 0
		.amdhsa_user_sgpr_kernarg_preload_length 0
		.amdhsa_user_sgpr_kernarg_preload_offset 0
		.amdhsa_user_sgpr_private_segment_size 0
		.amdhsa_uses_dynamic_stack 0
		.amdhsa_enable_private_segment 0
		.amdhsa_system_sgpr_workgroup_id_x 1
		.amdhsa_system_sgpr_workgroup_id_y 0
		.amdhsa_system_sgpr_workgroup_id_z 0
		.amdhsa_system_sgpr_workgroup_info 0
		.amdhsa_system_vgpr_workitem_id 0
		.amdhsa_next_free_vgpr 1
		.amdhsa_next_free_sgpr 0
		.amdhsa_accum_offset 4
		.amdhsa_reserve_vcc 0
		.amdhsa_float_round_mode_32 0
		.amdhsa_float_round_mode_16_64 0
		.amdhsa_float_denorm_mode_32 3
		.amdhsa_float_denorm_mode_16_64 3
		.amdhsa_dx10_clamp 1
		.amdhsa_ieee_mode 1
		.amdhsa_fp16_overflow 0
		.amdhsa_tg_split 0
		.amdhsa_exception_fp_ieee_invalid_op 0
		.amdhsa_exception_fp_denorm_src 0
		.amdhsa_exception_fp_ieee_div_zero 0
		.amdhsa_exception_fp_ieee_overflow 0
		.amdhsa_exception_fp_ieee_underflow 0
		.amdhsa_exception_fp_ieee_inexact 0
		.amdhsa_exception_int_div_zero 0
	.end_amdhsa_kernel
	.section	.text._ZN7rocprim17ROCPRIM_400000_NS6detail17trampoline_kernelINS0_14default_configENS1_22reduce_config_selectorIN6thrust23THRUST_200600_302600_NS5tupleIblNS6_9null_typeES8_S8_S8_S8_S8_S8_S8_EEEEZNS1_11reduce_implILb1ES3_NS6_12zip_iteratorINS7_INS6_11hip_rocprim26transform_input_iterator_tIbNSD_35transform_pair_of_input_iterators_tIbNS6_6detail15normal_iteratorINS6_10device_ptrIKdEEEESL_NS6_8equal_toIdEEEENSG_9not_fun_tINSD_8identityEEEEENSD_19counting_iterator_tIlEES8_S8_S8_S8_S8_S8_S8_S8_EEEEPS9_S9_NSD_9__find_if7functorIS9_EEEE10hipError_tPvRmT1_T2_T3_mT4_P12ihipStream_tbEUlT_E1_NS1_11comp_targetILNS1_3genE10ELNS1_11target_archE1200ELNS1_3gpuE4ELNS1_3repE0EEENS1_30default_config_static_selectorELNS0_4arch9wavefront6targetE1EEEvS14_,"axG",@progbits,_ZN7rocprim17ROCPRIM_400000_NS6detail17trampoline_kernelINS0_14default_configENS1_22reduce_config_selectorIN6thrust23THRUST_200600_302600_NS5tupleIblNS6_9null_typeES8_S8_S8_S8_S8_S8_S8_EEEEZNS1_11reduce_implILb1ES3_NS6_12zip_iteratorINS7_INS6_11hip_rocprim26transform_input_iterator_tIbNSD_35transform_pair_of_input_iterators_tIbNS6_6detail15normal_iteratorINS6_10device_ptrIKdEEEESL_NS6_8equal_toIdEEEENSG_9not_fun_tINSD_8identityEEEEENSD_19counting_iterator_tIlEES8_S8_S8_S8_S8_S8_S8_S8_EEEEPS9_S9_NSD_9__find_if7functorIS9_EEEE10hipError_tPvRmT1_T2_T3_mT4_P12ihipStream_tbEUlT_E1_NS1_11comp_targetILNS1_3genE10ELNS1_11target_archE1200ELNS1_3gpuE4ELNS1_3repE0EEENS1_30default_config_static_selectorELNS0_4arch9wavefront6targetE1EEEvS14_,comdat
.Lfunc_end196:
	.size	_ZN7rocprim17ROCPRIM_400000_NS6detail17trampoline_kernelINS0_14default_configENS1_22reduce_config_selectorIN6thrust23THRUST_200600_302600_NS5tupleIblNS6_9null_typeES8_S8_S8_S8_S8_S8_S8_EEEEZNS1_11reduce_implILb1ES3_NS6_12zip_iteratorINS7_INS6_11hip_rocprim26transform_input_iterator_tIbNSD_35transform_pair_of_input_iterators_tIbNS6_6detail15normal_iteratorINS6_10device_ptrIKdEEEESL_NS6_8equal_toIdEEEENSG_9not_fun_tINSD_8identityEEEEENSD_19counting_iterator_tIlEES8_S8_S8_S8_S8_S8_S8_S8_EEEEPS9_S9_NSD_9__find_if7functorIS9_EEEE10hipError_tPvRmT1_T2_T3_mT4_P12ihipStream_tbEUlT_E1_NS1_11comp_targetILNS1_3genE10ELNS1_11target_archE1200ELNS1_3gpuE4ELNS1_3repE0EEENS1_30default_config_static_selectorELNS0_4arch9wavefront6targetE1EEEvS14_, .Lfunc_end196-_ZN7rocprim17ROCPRIM_400000_NS6detail17trampoline_kernelINS0_14default_configENS1_22reduce_config_selectorIN6thrust23THRUST_200600_302600_NS5tupleIblNS6_9null_typeES8_S8_S8_S8_S8_S8_S8_EEEEZNS1_11reduce_implILb1ES3_NS6_12zip_iteratorINS7_INS6_11hip_rocprim26transform_input_iterator_tIbNSD_35transform_pair_of_input_iterators_tIbNS6_6detail15normal_iteratorINS6_10device_ptrIKdEEEESL_NS6_8equal_toIdEEEENSG_9not_fun_tINSD_8identityEEEEENSD_19counting_iterator_tIlEES8_S8_S8_S8_S8_S8_S8_S8_EEEEPS9_S9_NSD_9__find_if7functorIS9_EEEE10hipError_tPvRmT1_T2_T3_mT4_P12ihipStream_tbEUlT_E1_NS1_11comp_targetILNS1_3genE10ELNS1_11target_archE1200ELNS1_3gpuE4ELNS1_3repE0EEENS1_30default_config_static_selectorELNS0_4arch9wavefront6targetE1EEEvS14_
                                        ; -- End function
	.set _ZN7rocprim17ROCPRIM_400000_NS6detail17trampoline_kernelINS0_14default_configENS1_22reduce_config_selectorIN6thrust23THRUST_200600_302600_NS5tupleIblNS6_9null_typeES8_S8_S8_S8_S8_S8_S8_EEEEZNS1_11reduce_implILb1ES3_NS6_12zip_iteratorINS7_INS6_11hip_rocprim26transform_input_iterator_tIbNSD_35transform_pair_of_input_iterators_tIbNS6_6detail15normal_iteratorINS6_10device_ptrIKdEEEESL_NS6_8equal_toIdEEEENSG_9not_fun_tINSD_8identityEEEEENSD_19counting_iterator_tIlEES8_S8_S8_S8_S8_S8_S8_S8_EEEEPS9_S9_NSD_9__find_if7functorIS9_EEEE10hipError_tPvRmT1_T2_T3_mT4_P12ihipStream_tbEUlT_E1_NS1_11comp_targetILNS1_3genE10ELNS1_11target_archE1200ELNS1_3gpuE4ELNS1_3repE0EEENS1_30default_config_static_selectorELNS0_4arch9wavefront6targetE1EEEvS14_.num_vgpr, 0
	.set _ZN7rocprim17ROCPRIM_400000_NS6detail17trampoline_kernelINS0_14default_configENS1_22reduce_config_selectorIN6thrust23THRUST_200600_302600_NS5tupleIblNS6_9null_typeES8_S8_S8_S8_S8_S8_S8_EEEEZNS1_11reduce_implILb1ES3_NS6_12zip_iteratorINS7_INS6_11hip_rocprim26transform_input_iterator_tIbNSD_35transform_pair_of_input_iterators_tIbNS6_6detail15normal_iteratorINS6_10device_ptrIKdEEEESL_NS6_8equal_toIdEEEENSG_9not_fun_tINSD_8identityEEEEENSD_19counting_iterator_tIlEES8_S8_S8_S8_S8_S8_S8_S8_EEEEPS9_S9_NSD_9__find_if7functorIS9_EEEE10hipError_tPvRmT1_T2_T3_mT4_P12ihipStream_tbEUlT_E1_NS1_11comp_targetILNS1_3genE10ELNS1_11target_archE1200ELNS1_3gpuE4ELNS1_3repE0EEENS1_30default_config_static_selectorELNS0_4arch9wavefront6targetE1EEEvS14_.num_agpr, 0
	.set _ZN7rocprim17ROCPRIM_400000_NS6detail17trampoline_kernelINS0_14default_configENS1_22reduce_config_selectorIN6thrust23THRUST_200600_302600_NS5tupleIblNS6_9null_typeES8_S8_S8_S8_S8_S8_S8_EEEEZNS1_11reduce_implILb1ES3_NS6_12zip_iteratorINS7_INS6_11hip_rocprim26transform_input_iterator_tIbNSD_35transform_pair_of_input_iterators_tIbNS6_6detail15normal_iteratorINS6_10device_ptrIKdEEEESL_NS6_8equal_toIdEEEENSG_9not_fun_tINSD_8identityEEEEENSD_19counting_iterator_tIlEES8_S8_S8_S8_S8_S8_S8_S8_EEEEPS9_S9_NSD_9__find_if7functorIS9_EEEE10hipError_tPvRmT1_T2_T3_mT4_P12ihipStream_tbEUlT_E1_NS1_11comp_targetILNS1_3genE10ELNS1_11target_archE1200ELNS1_3gpuE4ELNS1_3repE0EEENS1_30default_config_static_selectorELNS0_4arch9wavefront6targetE1EEEvS14_.numbered_sgpr, 0
	.set _ZN7rocprim17ROCPRIM_400000_NS6detail17trampoline_kernelINS0_14default_configENS1_22reduce_config_selectorIN6thrust23THRUST_200600_302600_NS5tupleIblNS6_9null_typeES8_S8_S8_S8_S8_S8_S8_EEEEZNS1_11reduce_implILb1ES3_NS6_12zip_iteratorINS7_INS6_11hip_rocprim26transform_input_iterator_tIbNSD_35transform_pair_of_input_iterators_tIbNS6_6detail15normal_iteratorINS6_10device_ptrIKdEEEESL_NS6_8equal_toIdEEEENSG_9not_fun_tINSD_8identityEEEEENSD_19counting_iterator_tIlEES8_S8_S8_S8_S8_S8_S8_S8_EEEEPS9_S9_NSD_9__find_if7functorIS9_EEEE10hipError_tPvRmT1_T2_T3_mT4_P12ihipStream_tbEUlT_E1_NS1_11comp_targetILNS1_3genE10ELNS1_11target_archE1200ELNS1_3gpuE4ELNS1_3repE0EEENS1_30default_config_static_selectorELNS0_4arch9wavefront6targetE1EEEvS14_.num_named_barrier, 0
	.set _ZN7rocprim17ROCPRIM_400000_NS6detail17trampoline_kernelINS0_14default_configENS1_22reduce_config_selectorIN6thrust23THRUST_200600_302600_NS5tupleIblNS6_9null_typeES8_S8_S8_S8_S8_S8_S8_EEEEZNS1_11reduce_implILb1ES3_NS6_12zip_iteratorINS7_INS6_11hip_rocprim26transform_input_iterator_tIbNSD_35transform_pair_of_input_iterators_tIbNS6_6detail15normal_iteratorINS6_10device_ptrIKdEEEESL_NS6_8equal_toIdEEEENSG_9not_fun_tINSD_8identityEEEEENSD_19counting_iterator_tIlEES8_S8_S8_S8_S8_S8_S8_S8_EEEEPS9_S9_NSD_9__find_if7functorIS9_EEEE10hipError_tPvRmT1_T2_T3_mT4_P12ihipStream_tbEUlT_E1_NS1_11comp_targetILNS1_3genE10ELNS1_11target_archE1200ELNS1_3gpuE4ELNS1_3repE0EEENS1_30default_config_static_selectorELNS0_4arch9wavefront6targetE1EEEvS14_.private_seg_size, 0
	.set _ZN7rocprim17ROCPRIM_400000_NS6detail17trampoline_kernelINS0_14default_configENS1_22reduce_config_selectorIN6thrust23THRUST_200600_302600_NS5tupleIblNS6_9null_typeES8_S8_S8_S8_S8_S8_S8_EEEEZNS1_11reduce_implILb1ES3_NS6_12zip_iteratorINS7_INS6_11hip_rocprim26transform_input_iterator_tIbNSD_35transform_pair_of_input_iterators_tIbNS6_6detail15normal_iteratorINS6_10device_ptrIKdEEEESL_NS6_8equal_toIdEEEENSG_9not_fun_tINSD_8identityEEEEENSD_19counting_iterator_tIlEES8_S8_S8_S8_S8_S8_S8_S8_EEEEPS9_S9_NSD_9__find_if7functorIS9_EEEE10hipError_tPvRmT1_T2_T3_mT4_P12ihipStream_tbEUlT_E1_NS1_11comp_targetILNS1_3genE10ELNS1_11target_archE1200ELNS1_3gpuE4ELNS1_3repE0EEENS1_30default_config_static_selectorELNS0_4arch9wavefront6targetE1EEEvS14_.uses_vcc, 0
	.set _ZN7rocprim17ROCPRIM_400000_NS6detail17trampoline_kernelINS0_14default_configENS1_22reduce_config_selectorIN6thrust23THRUST_200600_302600_NS5tupleIblNS6_9null_typeES8_S8_S8_S8_S8_S8_S8_EEEEZNS1_11reduce_implILb1ES3_NS6_12zip_iteratorINS7_INS6_11hip_rocprim26transform_input_iterator_tIbNSD_35transform_pair_of_input_iterators_tIbNS6_6detail15normal_iteratorINS6_10device_ptrIKdEEEESL_NS6_8equal_toIdEEEENSG_9not_fun_tINSD_8identityEEEEENSD_19counting_iterator_tIlEES8_S8_S8_S8_S8_S8_S8_S8_EEEEPS9_S9_NSD_9__find_if7functorIS9_EEEE10hipError_tPvRmT1_T2_T3_mT4_P12ihipStream_tbEUlT_E1_NS1_11comp_targetILNS1_3genE10ELNS1_11target_archE1200ELNS1_3gpuE4ELNS1_3repE0EEENS1_30default_config_static_selectorELNS0_4arch9wavefront6targetE1EEEvS14_.uses_flat_scratch, 0
	.set _ZN7rocprim17ROCPRIM_400000_NS6detail17trampoline_kernelINS0_14default_configENS1_22reduce_config_selectorIN6thrust23THRUST_200600_302600_NS5tupleIblNS6_9null_typeES8_S8_S8_S8_S8_S8_S8_EEEEZNS1_11reduce_implILb1ES3_NS6_12zip_iteratorINS7_INS6_11hip_rocprim26transform_input_iterator_tIbNSD_35transform_pair_of_input_iterators_tIbNS6_6detail15normal_iteratorINS6_10device_ptrIKdEEEESL_NS6_8equal_toIdEEEENSG_9not_fun_tINSD_8identityEEEEENSD_19counting_iterator_tIlEES8_S8_S8_S8_S8_S8_S8_S8_EEEEPS9_S9_NSD_9__find_if7functorIS9_EEEE10hipError_tPvRmT1_T2_T3_mT4_P12ihipStream_tbEUlT_E1_NS1_11comp_targetILNS1_3genE10ELNS1_11target_archE1200ELNS1_3gpuE4ELNS1_3repE0EEENS1_30default_config_static_selectorELNS0_4arch9wavefront6targetE1EEEvS14_.has_dyn_sized_stack, 0
	.set _ZN7rocprim17ROCPRIM_400000_NS6detail17trampoline_kernelINS0_14default_configENS1_22reduce_config_selectorIN6thrust23THRUST_200600_302600_NS5tupleIblNS6_9null_typeES8_S8_S8_S8_S8_S8_S8_EEEEZNS1_11reduce_implILb1ES3_NS6_12zip_iteratorINS7_INS6_11hip_rocprim26transform_input_iterator_tIbNSD_35transform_pair_of_input_iterators_tIbNS6_6detail15normal_iteratorINS6_10device_ptrIKdEEEESL_NS6_8equal_toIdEEEENSG_9not_fun_tINSD_8identityEEEEENSD_19counting_iterator_tIlEES8_S8_S8_S8_S8_S8_S8_S8_EEEEPS9_S9_NSD_9__find_if7functorIS9_EEEE10hipError_tPvRmT1_T2_T3_mT4_P12ihipStream_tbEUlT_E1_NS1_11comp_targetILNS1_3genE10ELNS1_11target_archE1200ELNS1_3gpuE4ELNS1_3repE0EEENS1_30default_config_static_selectorELNS0_4arch9wavefront6targetE1EEEvS14_.has_recursion, 0
	.set _ZN7rocprim17ROCPRIM_400000_NS6detail17trampoline_kernelINS0_14default_configENS1_22reduce_config_selectorIN6thrust23THRUST_200600_302600_NS5tupleIblNS6_9null_typeES8_S8_S8_S8_S8_S8_S8_EEEEZNS1_11reduce_implILb1ES3_NS6_12zip_iteratorINS7_INS6_11hip_rocprim26transform_input_iterator_tIbNSD_35transform_pair_of_input_iterators_tIbNS6_6detail15normal_iteratorINS6_10device_ptrIKdEEEESL_NS6_8equal_toIdEEEENSG_9not_fun_tINSD_8identityEEEEENSD_19counting_iterator_tIlEES8_S8_S8_S8_S8_S8_S8_S8_EEEEPS9_S9_NSD_9__find_if7functorIS9_EEEE10hipError_tPvRmT1_T2_T3_mT4_P12ihipStream_tbEUlT_E1_NS1_11comp_targetILNS1_3genE10ELNS1_11target_archE1200ELNS1_3gpuE4ELNS1_3repE0EEENS1_30default_config_static_selectorELNS0_4arch9wavefront6targetE1EEEvS14_.has_indirect_call, 0
	.section	.AMDGPU.csdata,"",@progbits
; Kernel info:
; codeLenInByte = 0
; TotalNumSgprs: 6
; NumVgprs: 0
; NumAgprs: 0
; TotalNumVgprs: 0
; ScratchSize: 0
; MemoryBound: 0
; FloatMode: 240
; IeeeMode: 1
; LDSByteSize: 0 bytes/workgroup (compile time only)
; SGPRBlocks: 0
; VGPRBlocks: 0
; NumSGPRsForWavesPerEU: 6
; NumVGPRsForWavesPerEU: 1
; AccumOffset: 4
; Occupancy: 8
; WaveLimiterHint : 0
; COMPUTE_PGM_RSRC2:SCRATCH_EN: 0
; COMPUTE_PGM_RSRC2:USER_SGPR: 2
; COMPUTE_PGM_RSRC2:TRAP_HANDLER: 0
; COMPUTE_PGM_RSRC2:TGID_X_EN: 1
; COMPUTE_PGM_RSRC2:TGID_Y_EN: 0
; COMPUTE_PGM_RSRC2:TGID_Z_EN: 0
; COMPUTE_PGM_RSRC2:TIDIG_COMP_CNT: 0
; COMPUTE_PGM_RSRC3_GFX90A:ACCUM_OFFSET: 0
; COMPUTE_PGM_RSRC3_GFX90A:TG_SPLIT: 0
	.section	.text._ZN7rocprim17ROCPRIM_400000_NS6detail17trampoline_kernelINS0_14default_configENS1_22reduce_config_selectorIN6thrust23THRUST_200600_302600_NS5tupleIblNS6_9null_typeES8_S8_S8_S8_S8_S8_S8_EEEEZNS1_11reduce_implILb1ES3_NS6_12zip_iteratorINS7_INS6_11hip_rocprim26transform_input_iterator_tIbNSD_35transform_pair_of_input_iterators_tIbNS6_6detail15normal_iteratorINS6_10device_ptrIKdEEEESL_NS6_8equal_toIdEEEENSG_9not_fun_tINSD_8identityEEEEENSD_19counting_iterator_tIlEES8_S8_S8_S8_S8_S8_S8_S8_EEEEPS9_S9_NSD_9__find_if7functorIS9_EEEE10hipError_tPvRmT1_T2_T3_mT4_P12ihipStream_tbEUlT_E1_NS1_11comp_targetILNS1_3genE9ELNS1_11target_archE1100ELNS1_3gpuE3ELNS1_3repE0EEENS1_30default_config_static_selectorELNS0_4arch9wavefront6targetE1EEEvS14_,"axG",@progbits,_ZN7rocprim17ROCPRIM_400000_NS6detail17trampoline_kernelINS0_14default_configENS1_22reduce_config_selectorIN6thrust23THRUST_200600_302600_NS5tupleIblNS6_9null_typeES8_S8_S8_S8_S8_S8_S8_EEEEZNS1_11reduce_implILb1ES3_NS6_12zip_iteratorINS7_INS6_11hip_rocprim26transform_input_iterator_tIbNSD_35transform_pair_of_input_iterators_tIbNS6_6detail15normal_iteratorINS6_10device_ptrIKdEEEESL_NS6_8equal_toIdEEEENSG_9not_fun_tINSD_8identityEEEEENSD_19counting_iterator_tIlEES8_S8_S8_S8_S8_S8_S8_S8_EEEEPS9_S9_NSD_9__find_if7functorIS9_EEEE10hipError_tPvRmT1_T2_T3_mT4_P12ihipStream_tbEUlT_E1_NS1_11comp_targetILNS1_3genE9ELNS1_11target_archE1100ELNS1_3gpuE3ELNS1_3repE0EEENS1_30default_config_static_selectorELNS0_4arch9wavefront6targetE1EEEvS14_,comdat
	.protected	_ZN7rocprim17ROCPRIM_400000_NS6detail17trampoline_kernelINS0_14default_configENS1_22reduce_config_selectorIN6thrust23THRUST_200600_302600_NS5tupleIblNS6_9null_typeES8_S8_S8_S8_S8_S8_S8_EEEEZNS1_11reduce_implILb1ES3_NS6_12zip_iteratorINS7_INS6_11hip_rocprim26transform_input_iterator_tIbNSD_35transform_pair_of_input_iterators_tIbNS6_6detail15normal_iteratorINS6_10device_ptrIKdEEEESL_NS6_8equal_toIdEEEENSG_9not_fun_tINSD_8identityEEEEENSD_19counting_iterator_tIlEES8_S8_S8_S8_S8_S8_S8_S8_EEEEPS9_S9_NSD_9__find_if7functorIS9_EEEE10hipError_tPvRmT1_T2_T3_mT4_P12ihipStream_tbEUlT_E1_NS1_11comp_targetILNS1_3genE9ELNS1_11target_archE1100ELNS1_3gpuE3ELNS1_3repE0EEENS1_30default_config_static_selectorELNS0_4arch9wavefront6targetE1EEEvS14_ ; -- Begin function _ZN7rocprim17ROCPRIM_400000_NS6detail17trampoline_kernelINS0_14default_configENS1_22reduce_config_selectorIN6thrust23THRUST_200600_302600_NS5tupleIblNS6_9null_typeES8_S8_S8_S8_S8_S8_S8_EEEEZNS1_11reduce_implILb1ES3_NS6_12zip_iteratorINS7_INS6_11hip_rocprim26transform_input_iterator_tIbNSD_35transform_pair_of_input_iterators_tIbNS6_6detail15normal_iteratorINS6_10device_ptrIKdEEEESL_NS6_8equal_toIdEEEENSG_9not_fun_tINSD_8identityEEEEENSD_19counting_iterator_tIlEES8_S8_S8_S8_S8_S8_S8_S8_EEEEPS9_S9_NSD_9__find_if7functorIS9_EEEE10hipError_tPvRmT1_T2_T3_mT4_P12ihipStream_tbEUlT_E1_NS1_11comp_targetILNS1_3genE9ELNS1_11target_archE1100ELNS1_3gpuE3ELNS1_3repE0EEENS1_30default_config_static_selectorELNS0_4arch9wavefront6targetE1EEEvS14_
	.globl	_ZN7rocprim17ROCPRIM_400000_NS6detail17trampoline_kernelINS0_14default_configENS1_22reduce_config_selectorIN6thrust23THRUST_200600_302600_NS5tupleIblNS6_9null_typeES8_S8_S8_S8_S8_S8_S8_EEEEZNS1_11reduce_implILb1ES3_NS6_12zip_iteratorINS7_INS6_11hip_rocprim26transform_input_iterator_tIbNSD_35transform_pair_of_input_iterators_tIbNS6_6detail15normal_iteratorINS6_10device_ptrIKdEEEESL_NS6_8equal_toIdEEEENSG_9not_fun_tINSD_8identityEEEEENSD_19counting_iterator_tIlEES8_S8_S8_S8_S8_S8_S8_S8_EEEEPS9_S9_NSD_9__find_if7functorIS9_EEEE10hipError_tPvRmT1_T2_T3_mT4_P12ihipStream_tbEUlT_E1_NS1_11comp_targetILNS1_3genE9ELNS1_11target_archE1100ELNS1_3gpuE3ELNS1_3repE0EEENS1_30default_config_static_selectorELNS0_4arch9wavefront6targetE1EEEvS14_
	.p2align	8
	.type	_ZN7rocprim17ROCPRIM_400000_NS6detail17trampoline_kernelINS0_14default_configENS1_22reduce_config_selectorIN6thrust23THRUST_200600_302600_NS5tupleIblNS6_9null_typeES8_S8_S8_S8_S8_S8_S8_EEEEZNS1_11reduce_implILb1ES3_NS6_12zip_iteratorINS7_INS6_11hip_rocprim26transform_input_iterator_tIbNSD_35transform_pair_of_input_iterators_tIbNS6_6detail15normal_iteratorINS6_10device_ptrIKdEEEESL_NS6_8equal_toIdEEEENSG_9not_fun_tINSD_8identityEEEEENSD_19counting_iterator_tIlEES8_S8_S8_S8_S8_S8_S8_S8_EEEEPS9_S9_NSD_9__find_if7functorIS9_EEEE10hipError_tPvRmT1_T2_T3_mT4_P12ihipStream_tbEUlT_E1_NS1_11comp_targetILNS1_3genE9ELNS1_11target_archE1100ELNS1_3gpuE3ELNS1_3repE0EEENS1_30default_config_static_selectorELNS0_4arch9wavefront6targetE1EEEvS14_,@function
_ZN7rocprim17ROCPRIM_400000_NS6detail17trampoline_kernelINS0_14default_configENS1_22reduce_config_selectorIN6thrust23THRUST_200600_302600_NS5tupleIblNS6_9null_typeES8_S8_S8_S8_S8_S8_S8_EEEEZNS1_11reduce_implILb1ES3_NS6_12zip_iteratorINS7_INS6_11hip_rocprim26transform_input_iterator_tIbNSD_35transform_pair_of_input_iterators_tIbNS6_6detail15normal_iteratorINS6_10device_ptrIKdEEEESL_NS6_8equal_toIdEEEENSG_9not_fun_tINSD_8identityEEEEENSD_19counting_iterator_tIlEES8_S8_S8_S8_S8_S8_S8_S8_EEEEPS9_S9_NSD_9__find_if7functorIS9_EEEE10hipError_tPvRmT1_T2_T3_mT4_P12ihipStream_tbEUlT_E1_NS1_11comp_targetILNS1_3genE9ELNS1_11target_archE1100ELNS1_3gpuE3ELNS1_3repE0EEENS1_30default_config_static_selectorELNS0_4arch9wavefront6targetE1EEEvS14_: ; @_ZN7rocprim17ROCPRIM_400000_NS6detail17trampoline_kernelINS0_14default_configENS1_22reduce_config_selectorIN6thrust23THRUST_200600_302600_NS5tupleIblNS6_9null_typeES8_S8_S8_S8_S8_S8_S8_EEEEZNS1_11reduce_implILb1ES3_NS6_12zip_iteratorINS7_INS6_11hip_rocprim26transform_input_iterator_tIbNSD_35transform_pair_of_input_iterators_tIbNS6_6detail15normal_iteratorINS6_10device_ptrIKdEEEESL_NS6_8equal_toIdEEEENSG_9not_fun_tINSD_8identityEEEEENSD_19counting_iterator_tIlEES8_S8_S8_S8_S8_S8_S8_S8_EEEEPS9_S9_NSD_9__find_if7functorIS9_EEEE10hipError_tPvRmT1_T2_T3_mT4_P12ihipStream_tbEUlT_E1_NS1_11comp_targetILNS1_3genE9ELNS1_11target_archE1100ELNS1_3gpuE3ELNS1_3repE0EEENS1_30default_config_static_selectorELNS0_4arch9wavefront6targetE1EEEvS14_
; %bb.0:
	.section	.rodata,"a",@progbits
	.p2align	6, 0x0
	.amdhsa_kernel _ZN7rocprim17ROCPRIM_400000_NS6detail17trampoline_kernelINS0_14default_configENS1_22reduce_config_selectorIN6thrust23THRUST_200600_302600_NS5tupleIblNS6_9null_typeES8_S8_S8_S8_S8_S8_S8_EEEEZNS1_11reduce_implILb1ES3_NS6_12zip_iteratorINS7_INS6_11hip_rocprim26transform_input_iterator_tIbNSD_35transform_pair_of_input_iterators_tIbNS6_6detail15normal_iteratorINS6_10device_ptrIKdEEEESL_NS6_8equal_toIdEEEENSG_9not_fun_tINSD_8identityEEEEENSD_19counting_iterator_tIlEES8_S8_S8_S8_S8_S8_S8_S8_EEEEPS9_S9_NSD_9__find_if7functorIS9_EEEE10hipError_tPvRmT1_T2_T3_mT4_P12ihipStream_tbEUlT_E1_NS1_11comp_targetILNS1_3genE9ELNS1_11target_archE1100ELNS1_3gpuE3ELNS1_3repE0EEENS1_30default_config_static_selectorELNS0_4arch9wavefront6targetE1EEEvS14_
		.amdhsa_group_segment_fixed_size 0
		.amdhsa_private_segment_fixed_size 0
		.amdhsa_kernarg_size 88
		.amdhsa_user_sgpr_count 2
		.amdhsa_user_sgpr_dispatch_ptr 0
		.amdhsa_user_sgpr_queue_ptr 0
		.amdhsa_user_sgpr_kernarg_segment_ptr 1
		.amdhsa_user_sgpr_dispatch_id 0
		.amdhsa_user_sgpr_kernarg_preload_length 0
		.amdhsa_user_sgpr_kernarg_preload_offset 0
		.amdhsa_user_sgpr_private_segment_size 0
		.amdhsa_uses_dynamic_stack 0
		.amdhsa_enable_private_segment 0
		.amdhsa_system_sgpr_workgroup_id_x 1
		.amdhsa_system_sgpr_workgroup_id_y 0
		.amdhsa_system_sgpr_workgroup_id_z 0
		.amdhsa_system_sgpr_workgroup_info 0
		.amdhsa_system_vgpr_workitem_id 0
		.amdhsa_next_free_vgpr 1
		.amdhsa_next_free_sgpr 0
		.amdhsa_accum_offset 4
		.amdhsa_reserve_vcc 0
		.amdhsa_float_round_mode_32 0
		.amdhsa_float_round_mode_16_64 0
		.amdhsa_float_denorm_mode_32 3
		.amdhsa_float_denorm_mode_16_64 3
		.amdhsa_dx10_clamp 1
		.amdhsa_ieee_mode 1
		.amdhsa_fp16_overflow 0
		.amdhsa_tg_split 0
		.amdhsa_exception_fp_ieee_invalid_op 0
		.amdhsa_exception_fp_denorm_src 0
		.amdhsa_exception_fp_ieee_div_zero 0
		.amdhsa_exception_fp_ieee_overflow 0
		.amdhsa_exception_fp_ieee_underflow 0
		.amdhsa_exception_fp_ieee_inexact 0
		.amdhsa_exception_int_div_zero 0
	.end_amdhsa_kernel
	.section	.text._ZN7rocprim17ROCPRIM_400000_NS6detail17trampoline_kernelINS0_14default_configENS1_22reduce_config_selectorIN6thrust23THRUST_200600_302600_NS5tupleIblNS6_9null_typeES8_S8_S8_S8_S8_S8_S8_EEEEZNS1_11reduce_implILb1ES3_NS6_12zip_iteratorINS7_INS6_11hip_rocprim26transform_input_iterator_tIbNSD_35transform_pair_of_input_iterators_tIbNS6_6detail15normal_iteratorINS6_10device_ptrIKdEEEESL_NS6_8equal_toIdEEEENSG_9not_fun_tINSD_8identityEEEEENSD_19counting_iterator_tIlEES8_S8_S8_S8_S8_S8_S8_S8_EEEEPS9_S9_NSD_9__find_if7functorIS9_EEEE10hipError_tPvRmT1_T2_T3_mT4_P12ihipStream_tbEUlT_E1_NS1_11comp_targetILNS1_3genE9ELNS1_11target_archE1100ELNS1_3gpuE3ELNS1_3repE0EEENS1_30default_config_static_selectorELNS0_4arch9wavefront6targetE1EEEvS14_,"axG",@progbits,_ZN7rocprim17ROCPRIM_400000_NS6detail17trampoline_kernelINS0_14default_configENS1_22reduce_config_selectorIN6thrust23THRUST_200600_302600_NS5tupleIblNS6_9null_typeES8_S8_S8_S8_S8_S8_S8_EEEEZNS1_11reduce_implILb1ES3_NS6_12zip_iteratorINS7_INS6_11hip_rocprim26transform_input_iterator_tIbNSD_35transform_pair_of_input_iterators_tIbNS6_6detail15normal_iteratorINS6_10device_ptrIKdEEEESL_NS6_8equal_toIdEEEENSG_9not_fun_tINSD_8identityEEEEENSD_19counting_iterator_tIlEES8_S8_S8_S8_S8_S8_S8_S8_EEEEPS9_S9_NSD_9__find_if7functorIS9_EEEE10hipError_tPvRmT1_T2_T3_mT4_P12ihipStream_tbEUlT_E1_NS1_11comp_targetILNS1_3genE9ELNS1_11target_archE1100ELNS1_3gpuE3ELNS1_3repE0EEENS1_30default_config_static_selectorELNS0_4arch9wavefront6targetE1EEEvS14_,comdat
.Lfunc_end197:
	.size	_ZN7rocprim17ROCPRIM_400000_NS6detail17trampoline_kernelINS0_14default_configENS1_22reduce_config_selectorIN6thrust23THRUST_200600_302600_NS5tupleIblNS6_9null_typeES8_S8_S8_S8_S8_S8_S8_EEEEZNS1_11reduce_implILb1ES3_NS6_12zip_iteratorINS7_INS6_11hip_rocprim26transform_input_iterator_tIbNSD_35transform_pair_of_input_iterators_tIbNS6_6detail15normal_iteratorINS6_10device_ptrIKdEEEESL_NS6_8equal_toIdEEEENSG_9not_fun_tINSD_8identityEEEEENSD_19counting_iterator_tIlEES8_S8_S8_S8_S8_S8_S8_S8_EEEEPS9_S9_NSD_9__find_if7functorIS9_EEEE10hipError_tPvRmT1_T2_T3_mT4_P12ihipStream_tbEUlT_E1_NS1_11comp_targetILNS1_3genE9ELNS1_11target_archE1100ELNS1_3gpuE3ELNS1_3repE0EEENS1_30default_config_static_selectorELNS0_4arch9wavefront6targetE1EEEvS14_, .Lfunc_end197-_ZN7rocprim17ROCPRIM_400000_NS6detail17trampoline_kernelINS0_14default_configENS1_22reduce_config_selectorIN6thrust23THRUST_200600_302600_NS5tupleIblNS6_9null_typeES8_S8_S8_S8_S8_S8_S8_EEEEZNS1_11reduce_implILb1ES3_NS6_12zip_iteratorINS7_INS6_11hip_rocprim26transform_input_iterator_tIbNSD_35transform_pair_of_input_iterators_tIbNS6_6detail15normal_iteratorINS6_10device_ptrIKdEEEESL_NS6_8equal_toIdEEEENSG_9not_fun_tINSD_8identityEEEEENSD_19counting_iterator_tIlEES8_S8_S8_S8_S8_S8_S8_S8_EEEEPS9_S9_NSD_9__find_if7functorIS9_EEEE10hipError_tPvRmT1_T2_T3_mT4_P12ihipStream_tbEUlT_E1_NS1_11comp_targetILNS1_3genE9ELNS1_11target_archE1100ELNS1_3gpuE3ELNS1_3repE0EEENS1_30default_config_static_selectorELNS0_4arch9wavefront6targetE1EEEvS14_
                                        ; -- End function
	.set _ZN7rocprim17ROCPRIM_400000_NS6detail17trampoline_kernelINS0_14default_configENS1_22reduce_config_selectorIN6thrust23THRUST_200600_302600_NS5tupleIblNS6_9null_typeES8_S8_S8_S8_S8_S8_S8_EEEEZNS1_11reduce_implILb1ES3_NS6_12zip_iteratorINS7_INS6_11hip_rocprim26transform_input_iterator_tIbNSD_35transform_pair_of_input_iterators_tIbNS6_6detail15normal_iteratorINS6_10device_ptrIKdEEEESL_NS6_8equal_toIdEEEENSG_9not_fun_tINSD_8identityEEEEENSD_19counting_iterator_tIlEES8_S8_S8_S8_S8_S8_S8_S8_EEEEPS9_S9_NSD_9__find_if7functorIS9_EEEE10hipError_tPvRmT1_T2_T3_mT4_P12ihipStream_tbEUlT_E1_NS1_11comp_targetILNS1_3genE9ELNS1_11target_archE1100ELNS1_3gpuE3ELNS1_3repE0EEENS1_30default_config_static_selectorELNS0_4arch9wavefront6targetE1EEEvS14_.num_vgpr, 0
	.set _ZN7rocprim17ROCPRIM_400000_NS6detail17trampoline_kernelINS0_14default_configENS1_22reduce_config_selectorIN6thrust23THRUST_200600_302600_NS5tupleIblNS6_9null_typeES8_S8_S8_S8_S8_S8_S8_EEEEZNS1_11reduce_implILb1ES3_NS6_12zip_iteratorINS7_INS6_11hip_rocprim26transform_input_iterator_tIbNSD_35transform_pair_of_input_iterators_tIbNS6_6detail15normal_iteratorINS6_10device_ptrIKdEEEESL_NS6_8equal_toIdEEEENSG_9not_fun_tINSD_8identityEEEEENSD_19counting_iterator_tIlEES8_S8_S8_S8_S8_S8_S8_S8_EEEEPS9_S9_NSD_9__find_if7functorIS9_EEEE10hipError_tPvRmT1_T2_T3_mT4_P12ihipStream_tbEUlT_E1_NS1_11comp_targetILNS1_3genE9ELNS1_11target_archE1100ELNS1_3gpuE3ELNS1_3repE0EEENS1_30default_config_static_selectorELNS0_4arch9wavefront6targetE1EEEvS14_.num_agpr, 0
	.set _ZN7rocprim17ROCPRIM_400000_NS6detail17trampoline_kernelINS0_14default_configENS1_22reduce_config_selectorIN6thrust23THRUST_200600_302600_NS5tupleIblNS6_9null_typeES8_S8_S8_S8_S8_S8_S8_EEEEZNS1_11reduce_implILb1ES3_NS6_12zip_iteratorINS7_INS6_11hip_rocprim26transform_input_iterator_tIbNSD_35transform_pair_of_input_iterators_tIbNS6_6detail15normal_iteratorINS6_10device_ptrIKdEEEESL_NS6_8equal_toIdEEEENSG_9not_fun_tINSD_8identityEEEEENSD_19counting_iterator_tIlEES8_S8_S8_S8_S8_S8_S8_S8_EEEEPS9_S9_NSD_9__find_if7functorIS9_EEEE10hipError_tPvRmT1_T2_T3_mT4_P12ihipStream_tbEUlT_E1_NS1_11comp_targetILNS1_3genE9ELNS1_11target_archE1100ELNS1_3gpuE3ELNS1_3repE0EEENS1_30default_config_static_selectorELNS0_4arch9wavefront6targetE1EEEvS14_.numbered_sgpr, 0
	.set _ZN7rocprim17ROCPRIM_400000_NS6detail17trampoline_kernelINS0_14default_configENS1_22reduce_config_selectorIN6thrust23THRUST_200600_302600_NS5tupleIblNS6_9null_typeES8_S8_S8_S8_S8_S8_S8_EEEEZNS1_11reduce_implILb1ES3_NS6_12zip_iteratorINS7_INS6_11hip_rocprim26transform_input_iterator_tIbNSD_35transform_pair_of_input_iterators_tIbNS6_6detail15normal_iteratorINS6_10device_ptrIKdEEEESL_NS6_8equal_toIdEEEENSG_9not_fun_tINSD_8identityEEEEENSD_19counting_iterator_tIlEES8_S8_S8_S8_S8_S8_S8_S8_EEEEPS9_S9_NSD_9__find_if7functorIS9_EEEE10hipError_tPvRmT1_T2_T3_mT4_P12ihipStream_tbEUlT_E1_NS1_11comp_targetILNS1_3genE9ELNS1_11target_archE1100ELNS1_3gpuE3ELNS1_3repE0EEENS1_30default_config_static_selectorELNS0_4arch9wavefront6targetE1EEEvS14_.num_named_barrier, 0
	.set _ZN7rocprim17ROCPRIM_400000_NS6detail17trampoline_kernelINS0_14default_configENS1_22reduce_config_selectorIN6thrust23THRUST_200600_302600_NS5tupleIblNS6_9null_typeES8_S8_S8_S8_S8_S8_S8_EEEEZNS1_11reduce_implILb1ES3_NS6_12zip_iteratorINS7_INS6_11hip_rocprim26transform_input_iterator_tIbNSD_35transform_pair_of_input_iterators_tIbNS6_6detail15normal_iteratorINS6_10device_ptrIKdEEEESL_NS6_8equal_toIdEEEENSG_9not_fun_tINSD_8identityEEEEENSD_19counting_iterator_tIlEES8_S8_S8_S8_S8_S8_S8_S8_EEEEPS9_S9_NSD_9__find_if7functorIS9_EEEE10hipError_tPvRmT1_T2_T3_mT4_P12ihipStream_tbEUlT_E1_NS1_11comp_targetILNS1_3genE9ELNS1_11target_archE1100ELNS1_3gpuE3ELNS1_3repE0EEENS1_30default_config_static_selectorELNS0_4arch9wavefront6targetE1EEEvS14_.private_seg_size, 0
	.set _ZN7rocprim17ROCPRIM_400000_NS6detail17trampoline_kernelINS0_14default_configENS1_22reduce_config_selectorIN6thrust23THRUST_200600_302600_NS5tupleIblNS6_9null_typeES8_S8_S8_S8_S8_S8_S8_EEEEZNS1_11reduce_implILb1ES3_NS6_12zip_iteratorINS7_INS6_11hip_rocprim26transform_input_iterator_tIbNSD_35transform_pair_of_input_iterators_tIbNS6_6detail15normal_iteratorINS6_10device_ptrIKdEEEESL_NS6_8equal_toIdEEEENSG_9not_fun_tINSD_8identityEEEEENSD_19counting_iterator_tIlEES8_S8_S8_S8_S8_S8_S8_S8_EEEEPS9_S9_NSD_9__find_if7functorIS9_EEEE10hipError_tPvRmT1_T2_T3_mT4_P12ihipStream_tbEUlT_E1_NS1_11comp_targetILNS1_3genE9ELNS1_11target_archE1100ELNS1_3gpuE3ELNS1_3repE0EEENS1_30default_config_static_selectorELNS0_4arch9wavefront6targetE1EEEvS14_.uses_vcc, 0
	.set _ZN7rocprim17ROCPRIM_400000_NS6detail17trampoline_kernelINS0_14default_configENS1_22reduce_config_selectorIN6thrust23THRUST_200600_302600_NS5tupleIblNS6_9null_typeES8_S8_S8_S8_S8_S8_S8_EEEEZNS1_11reduce_implILb1ES3_NS6_12zip_iteratorINS7_INS6_11hip_rocprim26transform_input_iterator_tIbNSD_35transform_pair_of_input_iterators_tIbNS6_6detail15normal_iteratorINS6_10device_ptrIKdEEEESL_NS6_8equal_toIdEEEENSG_9not_fun_tINSD_8identityEEEEENSD_19counting_iterator_tIlEES8_S8_S8_S8_S8_S8_S8_S8_EEEEPS9_S9_NSD_9__find_if7functorIS9_EEEE10hipError_tPvRmT1_T2_T3_mT4_P12ihipStream_tbEUlT_E1_NS1_11comp_targetILNS1_3genE9ELNS1_11target_archE1100ELNS1_3gpuE3ELNS1_3repE0EEENS1_30default_config_static_selectorELNS0_4arch9wavefront6targetE1EEEvS14_.uses_flat_scratch, 0
	.set _ZN7rocprim17ROCPRIM_400000_NS6detail17trampoline_kernelINS0_14default_configENS1_22reduce_config_selectorIN6thrust23THRUST_200600_302600_NS5tupleIblNS6_9null_typeES8_S8_S8_S8_S8_S8_S8_EEEEZNS1_11reduce_implILb1ES3_NS6_12zip_iteratorINS7_INS6_11hip_rocprim26transform_input_iterator_tIbNSD_35transform_pair_of_input_iterators_tIbNS6_6detail15normal_iteratorINS6_10device_ptrIKdEEEESL_NS6_8equal_toIdEEEENSG_9not_fun_tINSD_8identityEEEEENSD_19counting_iterator_tIlEES8_S8_S8_S8_S8_S8_S8_S8_EEEEPS9_S9_NSD_9__find_if7functorIS9_EEEE10hipError_tPvRmT1_T2_T3_mT4_P12ihipStream_tbEUlT_E1_NS1_11comp_targetILNS1_3genE9ELNS1_11target_archE1100ELNS1_3gpuE3ELNS1_3repE0EEENS1_30default_config_static_selectorELNS0_4arch9wavefront6targetE1EEEvS14_.has_dyn_sized_stack, 0
	.set _ZN7rocprim17ROCPRIM_400000_NS6detail17trampoline_kernelINS0_14default_configENS1_22reduce_config_selectorIN6thrust23THRUST_200600_302600_NS5tupleIblNS6_9null_typeES8_S8_S8_S8_S8_S8_S8_EEEEZNS1_11reduce_implILb1ES3_NS6_12zip_iteratorINS7_INS6_11hip_rocprim26transform_input_iterator_tIbNSD_35transform_pair_of_input_iterators_tIbNS6_6detail15normal_iteratorINS6_10device_ptrIKdEEEESL_NS6_8equal_toIdEEEENSG_9not_fun_tINSD_8identityEEEEENSD_19counting_iterator_tIlEES8_S8_S8_S8_S8_S8_S8_S8_EEEEPS9_S9_NSD_9__find_if7functorIS9_EEEE10hipError_tPvRmT1_T2_T3_mT4_P12ihipStream_tbEUlT_E1_NS1_11comp_targetILNS1_3genE9ELNS1_11target_archE1100ELNS1_3gpuE3ELNS1_3repE0EEENS1_30default_config_static_selectorELNS0_4arch9wavefront6targetE1EEEvS14_.has_recursion, 0
	.set _ZN7rocprim17ROCPRIM_400000_NS6detail17trampoline_kernelINS0_14default_configENS1_22reduce_config_selectorIN6thrust23THRUST_200600_302600_NS5tupleIblNS6_9null_typeES8_S8_S8_S8_S8_S8_S8_EEEEZNS1_11reduce_implILb1ES3_NS6_12zip_iteratorINS7_INS6_11hip_rocprim26transform_input_iterator_tIbNSD_35transform_pair_of_input_iterators_tIbNS6_6detail15normal_iteratorINS6_10device_ptrIKdEEEESL_NS6_8equal_toIdEEEENSG_9not_fun_tINSD_8identityEEEEENSD_19counting_iterator_tIlEES8_S8_S8_S8_S8_S8_S8_S8_EEEEPS9_S9_NSD_9__find_if7functorIS9_EEEE10hipError_tPvRmT1_T2_T3_mT4_P12ihipStream_tbEUlT_E1_NS1_11comp_targetILNS1_3genE9ELNS1_11target_archE1100ELNS1_3gpuE3ELNS1_3repE0EEENS1_30default_config_static_selectorELNS0_4arch9wavefront6targetE1EEEvS14_.has_indirect_call, 0
	.section	.AMDGPU.csdata,"",@progbits
; Kernel info:
; codeLenInByte = 0
; TotalNumSgprs: 6
; NumVgprs: 0
; NumAgprs: 0
; TotalNumVgprs: 0
; ScratchSize: 0
; MemoryBound: 0
; FloatMode: 240
; IeeeMode: 1
; LDSByteSize: 0 bytes/workgroup (compile time only)
; SGPRBlocks: 0
; VGPRBlocks: 0
; NumSGPRsForWavesPerEU: 6
; NumVGPRsForWavesPerEU: 1
; AccumOffset: 4
; Occupancy: 8
; WaveLimiterHint : 0
; COMPUTE_PGM_RSRC2:SCRATCH_EN: 0
; COMPUTE_PGM_RSRC2:USER_SGPR: 2
; COMPUTE_PGM_RSRC2:TRAP_HANDLER: 0
; COMPUTE_PGM_RSRC2:TGID_X_EN: 1
; COMPUTE_PGM_RSRC2:TGID_Y_EN: 0
; COMPUTE_PGM_RSRC2:TGID_Z_EN: 0
; COMPUTE_PGM_RSRC2:TIDIG_COMP_CNT: 0
; COMPUTE_PGM_RSRC3_GFX90A:ACCUM_OFFSET: 0
; COMPUTE_PGM_RSRC3_GFX90A:TG_SPLIT: 0
	.section	.text._ZN7rocprim17ROCPRIM_400000_NS6detail17trampoline_kernelINS0_14default_configENS1_22reduce_config_selectorIN6thrust23THRUST_200600_302600_NS5tupleIblNS6_9null_typeES8_S8_S8_S8_S8_S8_S8_EEEEZNS1_11reduce_implILb1ES3_NS6_12zip_iteratorINS7_INS6_11hip_rocprim26transform_input_iterator_tIbNSD_35transform_pair_of_input_iterators_tIbNS6_6detail15normal_iteratorINS6_10device_ptrIKdEEEESL_NS6_8equal_toIdEEEENSG_9not_fun_tINSD_8identityEEEEENSD_19counting_iterator_tIlEES8_S8_S8_S8_S8_S8_S8_S8_EEEEPS9_S9_NSD_9__find_if7functorIS9_EEEE10hipError_tPvRmT1_T2_T3_mT4_P12ihipStream_tbEUlT_E1_NS1_11comp_targetILNS1_3genE8ELNS1_11target_archE1030ELNS1_3gpuE2ELNS1_3repE0EEENS1_30default_config_static_selectorELNS0_4arch9wavefront6targetE1EEEvS14_,"axG",@progbits,_ZN7rocprim17ROCPRIM_400000_NS6detail17trampoline_kernelINS0_14default_configENS1_22reduce_config_selectorIN6thrust23THRUST_200600_302600_NS5tupleIblNS6_9null_typeES8_S8_S8_S8_S8_S8_S8_EEEEZNS1_11reduce_implILb1ES3_NS6_12zip_iteratorINS7_INS6_11hip_rocprim26transform_input_iterator_tIbNSD_35transform_pair_of_input_iterators_tIbNS6_6detail15normal_iteratorINS6_10device_ptrIKdEEEESL_NS6_8equal_toIdEEEENSG_9not_fun_tINSD_8identityEEEEENSD_19counting_iterator_tIlEES8_S8_S8_S8_S8_S8_S8_S8_EEEEPS9_S9_NSD_9__find_if7functorIS9_EEEE10hipError_tPvRmT1_T2_T3_mT4_P12ihipStream_tbEUlT_E1_NS1_11comp_targetILNS1_3genE8ELNS1_11target_archE1030ELNS1_3gpuE2ELNS1_3repE0EEENS1_30default_config_static_selectorELNS0_4arch9wavefront6targetE1EEEvS14_,comdat
	.protected	_ZN7rocprim17ROCPRIM_400000_NS6detail17trampoline_kernelINS0_14default_configENS1_22reduce_config_selectorIN6thrust23THRUST_200600_302600_NS5tupleIblNS6_9null_typeES8_S8_S8_S8_S8_S8_S8_EEEEZNS1_11reduce_implILb1ES3_NS6_12zip_iteratorINS7_INS6_11hip_rocprim26transform_input_iterator_tIbNSD_35transform_pair_of_input_iterators_tIbNS6_6detail15normal_iteratorINS6_10device_ptrIKdEEEESL_NS6_8equal_toIdEEEENSG_9not_fun_tINSD_8identityEEEEENSD_19counting_iterator_tIlEES8_S8_S8_S8_S8_S8_S8_S8_EEEEPS9_S9_NSD_9__find_if7functorIS9_EEEE10hipError_tPvRmT1_T2_T3_mT4_P12ihipStream_tbEUlT_E1_NS1_11comp_targetILNS1_3genE8ELNS1_11target_archE1030ELNS1_3gpuE2ELNS1_3repE0EEENS1_30default_config_static_selectorELNS0_4arch9wavefront6targetE1EEEvS14_ ; -- Begin function _ZN7rocprim17ROCPRIM_400000_NS6detail17trampoline_kernelINS0_14default_configENS1_22reduce_config_selectorIN6thrust23THRUST_200600_302600_NS5tupleIblNS6_9null_typeES8_S8_S8_S8_S8_S8_S8_EEEEZNS1_11reduce_implILb1ES3_NS6_12zip_iteratorINS7_INS6_11hip_rocprim26transform_input_iterator_tIbNSD_35transform_pair_of_input_iterators_tIbNS6_6detail15normal_iteratorINS6_10device_ptrIKdEEEESL_NS6_8equal_toIdEEEENSG_9not_fun_tINSD_8identityEEEEENSD_19counting_iterator_tIlEES8_S8_S8_S8_S8_S8_S8_S8_EEEEPS9_S9_NSD_9__find_if7functorIS9_EEEE10hipError_tPvRmT1_T2_T3_mT4_P12ihipStream_tbEUlT_E1_NS1_11comp_targetILNS1_3genE8ELNS1_11target_archE1030ELNS1_3gpuE2ELNS1_3repE0EEENS1_30default_config_static_selectorELNS0_4arch9wavefront6targetE1EEEvS14_
	.globl	_ZN7rocprim17ROCPRIM_400000_NS6detail17trampoline_kernelINS0_14default_configENS1_22reduce_config_selectorIN6thrust23THRUST_200600_302600_NS5tupleIblNS6_9null_typeES8_S8_S8_S8_S8_S8_S8_EEEEZNS1_11reduce_implILb1ES3_NS6_12zip_iteratorINS7_INS6_11hip_rocprim26transform_input_iterator_tIbNSD_35transform_pair_of_input_iterators_tIbNS6_6detail15normal_iteratorINS6_10device_ptrIKdEEEESL_NS6_8equal_toIdEEEENSG_9not_fun_tINSD_8identityEEEEENSD_19counting_iterator_tIlEES8_S8_S8_S8_S8_S8_S8_S8_EEEEPS9_S9_NSD_9__find_if7functorIS9_EEEE10hipError_tPvRmT1_T2_T3_mT4_P12ihipStream_tbEUlT_E1_NS1_11comp_targetILNS1_3genE8ELNS1_11target_archE1030ELNS1_3gpuE2ELNS1_3repE0EEENS1_30default_config_static_selectorELNS0_4arch9wavefront6targetE1EEEvS14_
	.p2align	8
	.type	_ZN7rocprim17ROCPRIM_400000_NS6detail17trampoline_kernelINS0_14default_configENS1_22reduce_config_selectorIN6thrust23THRUST_200600_302600_NS5tupleIblNS6_9null_typeES8_S8_S8_S8_S8_S8_S8_EEEEZNS1_11reduce_implILb1ES3_NS6_12zip_iteratorINS7_INS6_11hip_rocprim26transform_input_iterator_tIbNSD_35transform_pair_of_input_iterators_tIbNS6_6detail15normal_iteratorINS6_10device_ptrIKdEEEESL_NS6_8equal_toIdEEEENSG_9not_fun_tINSD_8identityEEEEENSD_19counting_iterator_tIlEES8_S8_S8_S8_S8_S8_S8_S8_EEEEPS9_S9_NSD_9__find_if7functorIS9_EEEE10hipError_tPvRmT1_T2_T3_mT4_P12ihipStream_tbEUlT_E1_NS1_11comp_targetILNS1_3genE8ELNS1_11target_archE1030ELNS1_3gpuE2ELNS1_3repE0EEENS1_30default_config_static_selectorELNS0_4arch9wavefront6targetE1EEEvS14_,@function
_ZN7rocprim17ROCPRIM_400000_NS6detail17trampoline_kernelINS0_14default_configENS1_22reduce_config_selectorIN6thrust23THRUST_200600_302600_NS5tupleIblNS6_9null_typeES8_S8_S8_S8_S8_S8_S8_EEEEZNS1_11reduce_implILb1ES3_NS6_12zip_iteratorINS7_INS6_11hip_rocprim26transform_input_iterator_tIbNSD_35transform_pair_of_input_iterators_tIbNS6_6detail15normal_iteratorINS6_10device_ptrIKdEEEESL_NS6_8equal_toIdEEEENSG_9not_fun_tINSD_8identityEEEEENSD_19counting_iterator_tIlEES8_S8_S8_S8_S8_S8_S8_S8_EEEEPS9_S9_NSD_9__find_if7functorIS9_EEEE10hipError_tPvRmT1_T2_T3_mT4_P12ihipStream_tbEUlT_E1_NS1_11comp_targetILNS1_3genE8ELNS1_11target_archE1030ELNS1_3gpuE2ELNS1_3repE0EEENS1_30default_config_static_selectorELNS0_4arch9wavefront6targetE1EEEvS14_: ; @_ZN7rocprim17ROCPRIM_400000_NS6detail17trampoline_kernelINS0_14default_configENS1_22reduce_config_selectorIN6thrust23THRUST_200600_302600_NS5tupleIblNS6_9null_typeES8_S8_S8_S8_S8_S8_S8_EEEEZNS1_11reduce_implILb1ES3_NS6_12zip_iteratorINS7_INS6_11hip_rocprim26transform_input_iterator_tIbNSD_35transform_pair_of_input_iterators_tIbNS6_6detail15normal_iteratorINS6_10device_ptrIKdEEEESL_NS6_8equal_toIdEEEENSG_9not_fun_tINSD_8identityEEEEENSD_19counting_iterator_tIlEES8_S8_S8_S8_S8_S8_S8_S8_EEEEPS9_S9_NSD_9__find_if7functorIS9_EEEE10hipError_tPvRmT1_T2_T3_mT4_P12ihipStream_tbEUlT_E1_NS1_11comp_targetILNS1_3genE8ELNS1_11target_archE1030ELNS1_3gpuE2ELNS1_3repE0EEENS1_30default_config_static_selectorELNS0_4arch9wavefront6targetE1EEEvS14_
; %bb.0:
	.section	.rodata,"a",@progbits
	.p2align	6, 0x0
	.amdhsa_kernel _ZN7rocprim17ROCPRIM_400000_NS6detail17trampoline_kernelINS0_14default_configENS1_22reduce_config_selectorIN6thrust23THRUST_200600_302600_NS5tupleIblNS6_9null_typeES8_S8_S8_S8_S8_S8_S8_EEEEZNS1_11reduce_implILb1ES3_NS6_12zip_iteratorINS7_INS6_11hip_rocprim26transform_input_iterator_tIbNSD_35transform_pair_of_input_iterators_tIbNS6_6detail15normal_iteratorINS6_10device_ptrIKdEEEESL_NS6_8equal_toIdEEEENSG_9not_fun_tINSD_8identityEEEEENSD_19counting_iterator_tIlEES8_S8_S8_S8_S8_S8_S8_S8_EEEEPS9_S9_NSD_9__find_if7functorIS9_EEEE10hipError_tPvRmT1_T2_T3_mT4_P12ihipStream_tbEUlT_E1_NS1_11comp_targetILNS1_3genE8ELNS1_11target_archE1030ELNS1_3gpuE2ELNS1_3repE0EEENS1_30default_config_static_selectorELNS0_4arch9wavefront6targetE1EEEvS14_
		.amdhsa_group_segment_fixed_size 0
		.amdhsa_private_segment_fixed_size 0
		.amdhsa_kernarg_size 88
		.amdhsa_user_sgpr_count 2
		.amdhsa_user_sgpr_dispatch_ptr 0
		.amdhsa_user_sgpr_queue_ptr 0
		.amdhsa_user_sgpr_kernarg_segment_ptr 1
		.amdhsa_user_sgpr_dispatch_id 0
		.amdhsa_user_sgpr_kernarg_preload_length 0
		.amdhsa_user_sgpr_kernarg_preload_offset 0
		.amdhsa_user_sgpr_private_segment_size 0
		.amdhsa_uses_dynamic_stack 0
		.amdhsa_enable_private_segment 0
		.amdhsa_system_sgpr_workgroup_id_x 1
		.amdhsa_system_sgpr_workgroup_id_y 0
		.amdhsa_system_sgpr_workgroup_id_z 0
		.amdhsa_system_sgpr_workgroup_info 0
		.amdhsa_system_vgpr_workitem_id 0
		.amdhsa_next_free_vgpr 1
		.amdhsa_next_free_sgpr 0
		.amdhsa_accum_offset 4
		.amdhsa_reserve_vcc 0
		.amdhsa_float_round_mode_32 0
		.amdhsa_float_round_mode_16_64 0
		.amdhsa_float_denorm_mode_32 3
		.amdhsa_float_denorm_mode_16_64 3
		.amdhsa_dx10_clamp 1
		.amdhsa_ieee_mode 1
		.amdhsa_fp16_overflow 0
		.amdhsa_tg_split 0
		.amdhsa_exception_fp_ieee_invalid_op 0
		.amdhsa_exception_fp_denorm_src 0
		.amdhsa_exception_fp_ieee_div_zero 0
		.amdhsa_exception_fp_ieee_overflow 0
		.amdhsa_exception_fp_ieee_underflow 0
		.amdhsa_exception_fp_ieee_inexact 0
		.amdhsa_exception_int_div_zero 0
	.end_amdhsa_kernel
	.section	.text._ZN7rocprim17ROCPRIM_400000_NS6detail17trampoline_kernelINS0_14default_configENS1_22reduce_config_selectorIN6thrust23THRUST_200600_302600_NS5tupleIblNS6_9null_typeES8_S8_S8_S8_S8_S8_S8_EEEEZNS1_11reduce_implILb1ES3_NS6_12zip_iteratorINS7_INS6_11hip_rocprim26transform_input_iterator_tIbNSD_35transform_pair_of_input_iterators_tIbNS6_6detail15normal_iteratorINS6_10device_ptrIKdEEEESL_NS6_8equal_toIdEEEENSG_9not_fun_tINSD_8identityEEEEENSD_19counting_iterator_tIlEES8_S8_S8_S8_S8_S8_S8_S8_EEEEPS9_S9_NSD_9__find_if7functorIS9_EEEE10hipError_tPvRmT1_T2_T3_mT4_P12ihipStream_tbEUlT_E1_NS1_11comp_targetILNS1_3genE8ELNS1_11target_archE1030ELNS1_3gpuE2ELNS1_3repE0EEENS1_30default_config_static_selectorELNS0_4arch9wavefront6targetE1EEEvS14_,"axG",@progbits,_ZN7rocprim17ROCPRIM_400000_NS6detail17trampoline_kernelINS0_14default_configENS1_22reduce_config_selectorIN6thrust23THRUST_200600_302600_NS5tupleIblNS6_9null_typeES8_S8_S8_S8_S8_S8_S8_EEEEZNS1_11reduce_implILb1ES3_NS6_12zip_iteratorINS7_INS6_11hip_rocprim26transform_input_iterator_tIbNSD_35transform_pair_of_input_iterators_tIbNS6_6detail15normal_iteratorINS6_10device_ptrIKdEEEESL_NS6_8equal_toIdEEEENSG_9not_fun_tINSD_8identityEEEEENSD_19counting_iterator_tIlEES8_S8_S8_S8_S8_S8_S8_S8_EEEEPS9_S9_NSD_9__find_if7functorIS9_EEEE10hipError_tPvRmT1_T2_T3_mT4_P12ihipStream_tbEUlT_E1_NS1_11comp_targetILNS1_3genE8ELNS1_11target_archE1030ELNS1_3gpuE2ELNS1_3repE0EEENS1_30default_config_static_selectorELNS0_4arch9wavefront6targetE1EEEvS14_,comdat
.Lfunc_end198:
	.size	_ZN7rocprim17ROCPRIM_400000_NS6detail17trampoline_kernelINS0_14default_configENS1_22reduce_config_selectorIN6thrust23THRUST_200600_302600_NS5tupleIblNS6_9null_typeES8_S8_S8_S8_S8_S8_S8_EEEEZNS1_11reduce_implILb1ES3_NS6_12zip_iteratorINS7_INS6_11hip_rocprim26transform_input_iterator_tIbNSD_35transform_pair_of_input_iterators_tIbNS6_6detail15normal_iteratorINS6_10device_ptrIKdEEEESL_NS6_8equal_toIdEEEENSG_9not_fun_tINSD_8identityEEEEENSD_19counting_iterator_tIlEES8_S8_S8_S8_S8_S8_S8_S8_EEEEPS9_S9_NSD_9__find_if7functorIS9_EEEE10hipError_tPvRmT1_T2_T3_mT4_P12ihipStream_tbEUlT_E1_NS1_11comp_targetILNS1_3genE8ELNS1_11target_archE1030ELNS1_3gpuE2ELNS1_3repE0EEENS1_30default_config_static_selectorELNS0_4arch9wavefront6targetE1EEEvS14_, .Lfunc_end198-_ZN7rocprim17ROCPRIM_400000_NS6detail17trampoline_kernelINS0_14default_configENS1_22reduce_config_selectorIN6thrust23THRUST_200600_302600_NS5tupleIblNS6_9null_typeES8_S8_S8_S8_S8_S8_S8_EEEEZNS1_11reduce_implILb1ES3_NS6_12zip_iteratorINS7_INS6_11hip_rocprim26transform_input_iterator_tIbNSD_35transform_pair_of_input_iterators_tIbNS6_6detail15normal_iteratorINS6_10device_ptrIKdEEEESL_NS6_8equal_toIdEEEENSG_9not_fun_tINSD_8identityEEEEENSD_19counting_iterator_tIlEES8_S8_S8_S8_S8_S8_S8_S8_EEEEPS9_S9_NSD_9__find_if7functorIS9_EEEE10hipError_tPvRmT1_T2_T3_mT4_P12ihipStream_tbEUlT_E1_NS1_11comp_targetILNS1_3genE8ELNS1_11target_archE1030ELNS1_3gpuE2ELNS1_3repE0EEENS1_30default_config_static_selectorELNS0_4arch9wavefront6targetE1EEEvS14_
                                        ; -- End function
	.set _ZN7rocprim17ROCPRIM_400000_NS6detail17trampoline_kernelINS0_14default_configENS1_22reduce_config_selectorIN6thrust23THRUST_200600_302600_NS5tupleIblNS6_9null_typeES8_S8_S8_S8_S8_S8_S8_EEEEZNS1_11reduce_implILb1ES3_NS6_12zip_iteratorINS7_INS6_11hip_rocprim26transform_input_iterator_tIbNSD_35transform_pair_of_input_iterators_tIbNS6_6detail15normal_iteratorINS6_10device_ptrIKdEEEESL_NS6_8equal_toIdEEEENSG_9not_fun_tINSD_8identityEEEEENSD_19counting_iterator_tIlEES8_S8_S8_S8_S8_S8_S8_S8_EEEEPS9_S9_NSD_9__find_if7functorIS9_EEEE10hipError_tPvRmT1_T2_T3_mT4_P12ihipStream_tbEUlT_E1_NS1_11comp_targetILNS1_3genE8ELNS1_11target_archE1030ELNS1_3gpuE2ELNS1_3repE0EEENS1_30default_config_static_selectorELNS0_4arch9wavefront6targetE1EEEvS14_.num_vgpr, 0
	.set _ZN7rocprim17ROCPRIM_400000_NS6detail17trampoline_kernelINS0_14default_configENS1_22reduce_config_selectorIN6thrust23THRUST_200600_302600_NS5tupleIblNS6_9null_typeES8_S8_S8_S8_S8_S8_S8_EEEEZNS1_11reduce_implILb1ES3_NS6_12zip_iteratorINS7_INS6_11hip_rocprim26transform_input_iterator_tIbNSD_35transform_pair_of_input_iterators_tIbNS6_6detail15normal_iteratorINS6_10device_ptrIKdEEEESL_NS6_8equal_toIdEEEENSG_9not_fun_tINSD_8identityEEEEENSD_19counting_iterator_tIlEES8_S8_S8_S8_S8_S8_S8_S8_EEEEPS9_S9_NSD_9__find_if7functorIS9_EEEE10hipError_tPvRmT1_T2_T3_mT4_P12ihipStream_tbEUlT_E1_NS1_11comp_targetILNS1_3genE8ELNS1_11target_archE1030ELNS1_3gpuE2ELNS1_3repE0EEENS1_30default_config_static_selectorELNS0_4arch9wavefront6targetE1EEEvS14_.num_agpr, 0
	.set _ZN7rocprim17ROCPRIM_400000_NS6detail17trampoline_kernelINS0_14default_configENS1_22reduce_config_selectorIN6thrust23THRUST_200600_302600_NS5tupleIblNS6_9null_typeES8_S8_S8_S8_S8_S8_S8_EEEEZNS1_11reduce_implILb1ES3_NS6_12zip_iteratorINS7_INS6_11hip_rocprim26transform_input_iterator_tIbNSD_35transform_pair_of_input_iterators_tIbNS6_6detail15normal_iteratorINS6_10device_ptrIKdEEEESL_NS6_8equal_toIdEEEENSG_9not_fun_tINSD_8identityEEEEENSD_19counting_iterator_tIlEES8_S8_S8_S8_S8_S8_S8_S8_EEEEPS9_S9_NSD_9__find_if7functorIS9_EEEE10hipError_tPvRmT1_T2_T3_mT4_P12ihipStream_tbEUlT_E1_NS1_11comp_targetILNS1_3genE8ELNS1_11target_archE1030ELNS1_3gpuE2ELNS1_3repE0EEENS1_30default_config_static_selectorELNS0_4arch9wavefront6targetE1EEEvS14_.numbered_sgpr, 0
	.set _ZN7rocprim17ROCPRIM_400000_NS6detail17trampoline_kernelINS0_14default_configENS1_22reduce_config_selectorIN6thrust23THRUST_200600_302600_NS5tupleIblNS6_9null_typeES8_S8_S8_S8_S8_S8_S8_EEEEZNS1_11reduce_implILb1ES3_NS6_12zip_iteratorINS7_INS6_11hip_rocprim26transform_input_iterator_tIbNSD_35transform_pair_of_input_iterators_tIbNS6_6detail15normal_iteratorINS6_10device_ptrIKdEEEESL_NS6_8equal_toIdEEEENSG_9not_fun_tINSD_8identityEEEEENSD_19counting_iterator_tIlEES8_S8_S8_S8_S8_S8_S8_S8_EEEEPS9_S9_NSD_9__find_if7functorIS9_EEEE10hipError_tPvRmT1_T2_T3_mT4_P12ihipStream_tbEUlT_E1_NS1_11comp_targetILNS1_3genE8ELNS1_11target_archE1030ELNS1_3gpuE2ELNS1_3repE0EEENS1_30default_config_static_selectorELNS0_4arch9wavefront6targetE1EEEvS14_.num_named_barrier, 0
	.set _ZN7rocprim17ROCPRIM_400000_NS6detail17trampoline_kernelINS0_14default_configENS1_22reduce_config_selectorIN6thrust23THRUST_200600_302600_NS5tupleIblNS6_9null_typeES8_S8_S8_S8_S8_S8_S8_EEEEZNS1_11reduce_implILb1ES3_NS6_12zip_iteratorINS7_INS6_11hip_rocprim26transform_input_iterator_tIbNSD_35transform_pair_of_input_iterators_tIbNS6_6detail15normal_iteratorINS6_10device_ptrIKdEEEESL_NS6_8equal_toIdEEEENSG_9not_fun_tINSD_8identityEEEEENSD_19counting_iterator_tIlEES8_S8_S8_S8_S8_S8_S8_S8_EEEEPS9_S9_NSD_9__find_if7functorIS9_EEEE10hipError_tPvRmT1_T2_T3_mT4_P12ihipStream_tbEUlT_E1_NS1_11comp_targetILNS1_3genE8ELNS1_11target_archE1030ELNS1_3gpuE2ELNS1_3repE0EEENS1_30default_config_static_selectorELNS0_4arch9wavefront6targetE1EEEvS14_.private_seg_size, 0
	.set _ZN7rocprim17ROCPRIM_400000_NS6detail17trampoline_kernelINS0_14default_configENS1_22reduce_config_selectorIN6thrust23THRUST_200600_302600_NS5tupleIblNS6_9null_typeES8_S8_S8_S8_S8_S8_S8_EEEEZNS1_11reduce_implILb1ES3_NS6_12zip_iteratorINS7_INS6_11hip_rocprim26transform_input_iterator_tIbNSD_35transform_pair_of_input_iterators_tIbNS6_6detail15normal_iteratorINS6_10device_ptrIKdEEEESL_NS6_8equal_toIdEEEENSG_9not_fun_tINSD_8identityEEEEENSD_19counting_iterator_tIlEES8_S8_S8_S8_S8_S8_S8_S8_EEEEPS9_S9_NSD_9__find_if7functorIS9_EEEE10hipError_tPvRmT1_T2_T3_mT4_P12ihipStream_tbEUlT_E1_NS1_11comp_targetILNS1_3genE8ELNS1_11target_archE1030ELNS1_3gpuE2ELNS1_3repE0EEENS1_30default_config_static_selectorELNS0_4arch9wavefront6targetE1EEEvS14_.uses_vcc, 0
	.set _ZN7rocprim17ROCPRIM_400000_NS6detail17trampoline_kernelINS0_14default_configENS1_22reduce_config_selectorIN6thrust23THRUST_200600_302600_NS5tupleIblNS6_9null_typeES8_S8_S8_S8_S8_S8_S8_EEEEZNS1_11reduce_implILb1ES3_NS6_12zip_iteratorINS7_INS6_11hip_rocprim26transform_input_iterator_tIbNSD_35transform_pair_of_input_iterators_tIbNS6_6detail15normal_iteratorINS6_10device_ptrIKdEEEESL_NS6_8equal_toIdEEEENSG_9not_fun_tINSD_8identityEEEEENSD_19counting_iterator_tIlEES8_S8_S8_S8_S8_S8_S8_S8_EEEEPS9_S9_NSD_9__find_if7functorIS9_EEEE10hipError_tPvRmT1_T2_T3_mT4_P12ihipStream_tbEUlT_E1_NS1_11comp_targetILNS1_3genE8ELNS1_11target_archE1030ELNS1_3gpuE2ELNS1_3repE0EEENS1_30default_config_static_selectorELNS0_4arch9wavefront6targetE1EEEvS14_.uses_flat_scratch, 0
	.set _ZN7rocprim17ROCPRIM_400000_NS6detail17trampoline_kernelINS0_14default_configENS1_22reduce_config_selectorIN6thrust23THRUST_200600_302600_NS5tupleIblNS6_9null_typeES8_S8_S8_S8_S8_S8_S8_EEEEZNS1_11reduce_implILb1ES3_NS6_12zip_iteratorINS7_INS6_11hip_rocprim26transform_input_iterator_tIbNSD_35transform_pair_of_input_iterators_tIbNS6_6detail15normal_iteratorINS6_10device_ptrIKdEEEESL_NS6_8equal_toIdEEEENSG_9not_fun_tINSD_8identityEEEEENSD_19counting_iterator_tIlEES8_S8_S8_S8_S8_S8_S8_S8_EEEEPS9_S9_NSD_9__find_if7functorIS9_EEEE10hipError_tPvRmT1_T2_T3_mT4_P12ihipStream_tbEUlT_E1_NS1_11comp_targetILNS1_3genE8ELNS1_11target_archE1030ELNS1_3gpuE2ELNS1_3repE0EEENS1_30default_config_static_selectorELNS0_4arch9wavefront6targetE1EEEvS14_.has_dyn_sized_stack, 0
	.set _ZN7rocprim17ROCPRIM_400000_NS6detail17trampoline_kernelINS0_14default_configENS1_22reduce_config_selectorIN6thrust23THRUST_200600_302600_NS5tupleIblNS6_9null_typeES8_S8_S8_S8_S8_S8_S8_EEEEZNS1_11reduce_implILb1ES3_NS6_12zip_iteratorINS7_INS6_11hip_rocprim26transform_input_iterator_tIbNSD_35transform_pair_of_input_iterators_tIbNS6_6detail15normal_iteratorINS6_10device_ptrIKdEEEESL_NS6_8equal_toIdEEEENSG_9not_fun_tINSD_8identityEEEEENSD_19counting_iterator_tIlEES8_S8_S8_S8_S8_S8_S8_S8_EEEEPS9_S9_NSD_9__find_if7functorIS9_EEEE10hipError_tPvRmT1_T2_T3_mT4_P12ihipStream_tbEUlT_E1_NS1_11comp_targetILNS1_3genE8ELNS1_11target_archE1030ELNS1_3gpuE2ELNS1_3repE0EEENS1_30default_config_static_selectorELNS0_4arch9wavefront6targetE1EEEvS14_.has_recursion, 0
	.set _ZN7rocprim17ROCPRIM_400000_NS6detail17trampoline_kernelINS0_14default_configENS1_22reduce_config_selectorIN6thrust23THRUST_200600_302600_NS5tupleIblNS6_9null_typeES8_S8_S8_S8_S8_S8_S8_EEEEZNS1_11reduce_implILb1ES3_NS6_12zip_iteratorINS7_INS6_11hip_rocprim26transform_input_iterator_tIbNSD_35transform_pair_of_input_iterators_tIbNS6_6detail15normal_iteratorINS6_10device_ptrIKdEEEESL_NS6_8equal_toIdEEEENSG_9not_fun_tINSD_8identityEEEEENSD_19counting_iterator_tIlEES8_S8_S8_S8_S8_S8_S8_S8_EEEEPS9_S9_NSD_9__find_if7functorIS9_EEEE10hipError_tPvRmT1_T2_T3_mT4_P12ihipStream_tbEUlT_E1_NS1_11comp_targetILNS1_3genE8ELNS1_11target_archE1030ELNS1_3gpuE2ELNS1_3repE0EEENS1_30default_config_static_selectorELNS0_4arch9wavefront6targetE1EEEvS14_.has_indirect_call, 0
	.section	.AMDGPU.csdata,"",@progbits
; Kernel info:
; codeLenInByte = 0
; TotalNumSgprs: 6
; NumVgprs: 0
; NumAgprs: 0
; TotalNumVgprs: 0
; ScratchSize: 0
; MemoryBound: 0
; FloatMode: 240
; IeeeMode: 1
; LDSByteSize: 0 bytes/workgroup (compile time only)
; SGPRBlocks: 0
; VGPRBlocks: 0
; NumSGPRsForWavesPerEU: 6
; NumVGPRsForWavesPerEU: 1
; AccumOffset: 4
; Occupancy: 8
; WaveLimiterHint : 0
; COMPUTE_PGM_RSRC2:SCRATCH_EN: 0
; COMPUTE_PGM_RSRC2:USER_SGPR: 2
; COMPUTE_PGM_RSRC2:TRAP_HANDLER: 0
; COMPUTE_PGM_RSRC2:TGID_X_EN: 1
; COMPUTE_PGM_RSRC2:TGID_Y_EN: 0
; COMPUTE_PGM_RSRC2:TGID_Z_EN: 0
; COMPUTE_PGM_RSRC2:TIDIG_COMP_CNT: 0
; COMPUTE_PGM_RSRC3_GFX90A:ACCUM_OFFSET: 0
; COMPUTE_PGM_RSRC3_GFX90A:TG_SPLIT: 0
	.section	.text._ZN6thrust23THRUST_200600_302600_NS11hip_rocprim14__parallel_for6kernelILj256ENS1_10for_each_fINS0_7pointerINS0_5tupleIblNS0_9null_typeES7_S7_S7_S7_S7_S7_S7_EENS1_3tagENS0_11use_defaultESA_EENS0_6detail16wrapped_functionINSC_23allocator_traits_detail24construct1_via_allocatorINSC_18no_throw_allocatorINSC_19temporary_allocatorIS8_S9_EEEEEEvEEEEmLj1EEEvT0_T1_SO_,"axG",@progbits,_ZN6thrust23THRUST_200600_302600_NS11hip_rocprim14__parallel_for6kernelILj256ENS1_10for_each_fINS0_7pointerINS0_5tupleIblNS0_9null_typeES7_S7_S7_S7_S7_S7_S7_EENS1_3tagENS0_11use_defaultESA_EENS0_6detail16wrapped_functionINSC_23allocator_traits_detail24construct1_via_allocatorINSC_18no_throw_allocatorINSC_19temporary_allocatorIS8_S9_EEEEEEvEEEEmLj1EEEvT0_T1_SO_,comdat
	.protected	_ZN6thrust23THRUST_200600_302600_NS11hip_rocprim14__parallel_for6kernelILj256ENS1_10for_each_fINS0_7pointerINS0_5tupleIblNS0_9null_typeES7_S7_S7_S7_S7_S7_S7_EENS1_3tagENS0_11use_defaultESA_EENS0_6detail16wrapped_functionINSC_23allocator_traits_detail24construct1_via_allocatorINSC_18no_throw_allocatorINSC_19temporary_allocatorIS8_S9_EEEEEEvEEEEmLj1EEEvT0_T1_SO_ ; -- Begin function _ZN6thrust23THRUST_200600_302600_NS11hip_rocprim14__parallel_for6kernelILj256ENS1_10for_each_fINS0_7pointerINS0_5tupleIblNS0_9null_typeES7_S7_S7_S7_S7_S7_S7_EENS1_3tagENS0_11use_defaultESA_EENS0_6detail16wrapped_functionINSC_23allocator_traits_detail24construct1_via_allocatorINSC_18no_throw_allocatorINSC_19temporary_allocatorIS8_S9_EEEEEEvEEEEmLj1EEEvT0_T1_SO_
	.globl	_ZN6thrust23THRUST_200600_302600_NS11hip_rocprim14__parallel_for6kernelILj256ENS1_10for_each_fINS0_7pointerINS0_5tupleIblNS0_9null_typeES7_S7_S7_S7_S7_S7_S7_EENS1_3tagENS0_11use_defaultESA_EENS0_6detail16wrapped_functionINSC_23allocator_traits_detail24construct1_via_allocatorINSC_18no_throw_allocatorINSC_19temporary_allocatorIS8_S9_EEEEEEvEEEEmLj1EEEvT0_T1_SO_
	.p2align	8
	.type	_ZN6thrust23THRUST_200600_302600_NS11hip_rocprim14__parallel_for6kernelILj256ENS1_10for_each_fINS0_7pointerINS0_5tupleIblNS0_9null_typeES7_S7_S7_S7_S7_S7_S7_EENS1_3tagENS0_11use_defaultESA_EENS0_6detail16wrapped_functionINSC_23allocator_traits_detail24construct1_via_allocatorINSC_18no_throw_allocatorINSC_19temporary_allocatorIS8_S9_EEEEEEvEEEEmLj1EEEvT0_T1_SO_,@function
_ZN6thrust23THRUST_200600_302600_NS11hip_rocprim14__parallel_for6kernelILj256ENS1_10for_each_fINS0_7pointerINS0_5tupleIblNS0_9null_typeES7_S7_S7_S7_S7_S7_S7_EENS1_3tagENS0_11use_defaultESA_EENS0_6detail16wrapped_functionINSC_23allocator_traits_detail24construct1_via_allocatorINSC_18no_throw_allocatorINSC_19temporary_allocatorIS8_S9_EEEEEEvEEEEmLj1EEEvT0_T1_SO_: ; @_ZN6thrust23THRUST_200600_302600_NS11hip_rocprim14__parallel_for6kernelILj256ENS1_10for_each_fINS0_7pointerINS0_5tupleIblNS0_9null_typeES7_S7_S7_S7_S7_S7_S7_EENS1_3tagENS0_11use_defaultESA_EENS0_6detail16wrapped_functionINSC_23allocator_traits_detail24construct1_via_allocatorINSC_18no_throw_allocatorINSC_19temporary_allocatorIS8_S9_EEEEEEvEEEEmLj1EEEvT0_T1_SO_
; %bb.0:
	s_load_dwordx4 s[8:11], s[0:1], 0x10
	s_load_dwordx2 s[4:5], s[0:1], 0x0
	s_lshl_b32 s0, s2, 8
	v_mov_b64_e32 v[2:3], 0xff
	s_mov_b64 s[6:7], -1
	s_waitcnt lgkmcnt(0)
	s_add_u32 s0, s10, s0
	s_addc_u32 s1, s11, 0
	s_sub_u32 s2, s8, s0
	s_subb_u32 s3, s9, s1
	v_cmp_gt_u64_e32 vcc, s[2:3], v[2:3]
	s_cbranch_vccz .LBB199_3
; %bb.1:
	s_andn2_b64 vcc, exec, s[6:7]
	s_cbranch_vccz .LBB199_6
.LBB199_2:
	s_endpgm
.LBB199_3:
	v_cmp_gt_u32_e32 vcc, s2, v0
	s_and_saveexec_b64 s[2:3], vcc
	s_cbranch_execz .LBB199_5
; %bb.4:
	s_lshl_b64 s[6:7], s[0:1], 4
	s_add_u32 s6, s4, s6
	s_addc_u32 s7, s5, s7
	v_lshlrev_b32_e32 v2, 4, v0
	v_mov_b32_e32 v3, 0
	v_lshl_add_u64 v[4:5], s[6:7], 0, v[2:3]
	v_mov_b32_e32 v2, v3
	flat_store_byte v[4:5], v3
	flat_store_dwordx2 v[4:5], v[2:3] offset:8
.LBB199_5:
	s_or_b64 exec, exec, s[2:3]
	s_cbranch_execnz .LBB199_2
.LBB199_6:
	s_lshl_b64 s[0:1], s[0:1], 4
	s_add_u32 s0, s4, s0
	s_addc_u32 s1, s5, s1
	v_lshlrev_b32_e32 v0, 4, v0
	v_mov_b32_e32 v1, 0
	v_lshl_add_u64 v[2:3], s[0:1], 0, v[0:1]
	v_mov_b32_e32 v0, v1
	flat_store_byte v[2:3], v1
	flat_store_dwordx2 v[2:3], v[0:1] offset:8
	s_endpgm
	.section	.rodata,"a",@progbits
	.p2align	6, 0x0
	.amdhsa_kernel _ZN6thrust23THRUST_200600_302600_NS11hip_rocprim14__parallel_for6kernelILj256ENS1_10for_each_fINS0_7pointerINS0_5tupleIblNS0_9null_typeES7_S7_S7_S7_S7_S7_S7_EENS1_3tagENS0_11use_defaultESA_EENS0_6detail16wrapped_functionINSC_23allocator_traits_detail24construct1_via_allocatorINSC_18no_throw_allocatorINSC_19temporary_allocatorIS8_S9_EEEEEEvEEEEmLj1EEEvT0_T1_SO_
		.amdhsa_group_segment_fixed_size 0
		.amdhsa_private_segment_fixed_size 0
		.amdhsa_kernarg_size 32
		.amdhsa_user_sgpr_count 2
		.amdhsa_user_sgpr_dispatch_ptr 0
		.amdhsa_user_sgpr_queue_ptr 0
		.amdhsa_user_sgpr_kernarg_segment_ptr 1
		.amdhsa_user_sgpr_dispatch_id 0
		.amdhsa_user_sgpr_kernarg_preload_length 0
		.amdhsa_user_sgpr_kernarg_preload_offset 0
		.amdhsa_user_sgpr_private_segment_size 0
		.amdhsa_uses_dynamic_stack 0
		.amdhsa_enable_private_segment 0
		.amdhsa_system_sgpr_workgroup_id_x 1
		.amdhsa_system_sgpr_workgroup_id_y 0
		.amdhsa_system_sgpr_workgroup_id_z 0
		.amdhsa_system_sgpr_workgroup_info 0
		.amdhsa_system_vgpr_workitem_id 0
		.amdhsa_next_free_vgpr 6
		.amdhsa_next_free_sgpr 12
		.amdhsa_accum_offset 8
		.amdhsa_reserve_vcc 1
		.amdhsa_float_round_mode_32 0
		.amdhsa_float_round_mode_16_64 0
		.amdhsa_float_denorm_mode_32 3
		.amdhsa_float_denorm_mode_16_64 3
		.amdhsa_dx10_clamp 1
		.amdhsa_ieee_mode 1
		.amdhsa_fp16_overflow 0
		.amdhsa_tg_split 0
		.amdhsa_exception_fp_ieee_invalid_op 0
		.amdhsa_exception_fp_denorm_src 0
		.amdhsa_exception_fp_ieee_div_zero 0
		.amdhsa_exception_fp_ieee_overflow 0
		.amdhsa_exception_fp_ieee_underflow 0
		.amdhsa_exception_fp_ieee_inexact 0
		.amdhsa_exception_int_div_zero 0
	.end_amdhsa_kernel
	.section	.text._ZN6thrust23THRUST_200600_302600_NS11hip_rocprim14__parallel_for6kernelILj256ENS1_10for_each_fINS0_7pointerINS0_5tupleIblNS0_9null_typeES7_S7_S7_S7_S7_S7_S7_EENS1_3tagENS0_11use_defaultESA_EENS0_6detail16wrapped_functionINSC_23allocator_traits_detail24construct1_via_allocatorINSC_18no_throw_allocatorINSC_19temporary_allocatorIS8_S9_EEEEEEvEEEEmLj1EEEvT0_T1_SO_,"axG",@progbits,_ZN6thrust23THRUST_200600_302600_NS11hip_rocprim14__parallel_for6kernelILj256ENS1_10for_each_fINS0_7pointerINS0_5tupleIblNS0_9null_typeES7_S7_S7_S7_S7_S7_S7_EENS1_3tagENS0_11use_defaultESA_EENS0_6detail16wrapped_functionINSC_23allocator_traits_detail24construct1_via_allocatorINSC_18no_throw_allocatorINSC_19temporary_allocatorIS8_S9_EEEEEEvEEEEmLj1EEEvT0_T1_SO_,comdat
.Lfunc_end199:
	.size	_ZN6thrust23THRUST_200600_302600_NS11hip_rocprim14__parallel_for6kernelILj256ENS1_10for_each_fINS0_7pointerINS0_5tupleIblNS0_9null_typeES7_S7_S7_S7_S7_S7_S7_EENS1_3tagENS0_11use_defaultESA_EENS0_6detail16wrapped_functionINSC_23allocator_traits_detail24construct1_via_allocatorINSC_18no_throw_allocatorINSC_19temporary_allocatorIS8_S9_EEEEEEvEEEEmLj1EEEvT0_T1_SO_, .Lfunc_end199-_ZN6thrust23THRUST_200600_302600_NS11hip_rocprim14__parallel_for6kernelILj256ENS1_10for_each_fINS0_7pointerINS0_5tupleIblNS0_9null_typeES7_S7_S7_S7_S7_S7_S7_EENS1_3tagENS0_11use_defaultESA_EENS0_6detail16wrapped_functionINSC_23allocator_traits_detail24construct1_via_allocatorINSC_18no_throw_allocatorINSC_19temporary_allocatorIS8_S9_EEEEEEvEEEEmLj1EEEvT0_T1_SO_
                                        ; -- End function
	.set _ZN6thrust23THRUST_200600_302600_NS11hip_rocprim14__parallel_for6kernelILj256ENS1_10for_each_fINS0_7pointerINS0_5tupleIblNS0_9null_typeES7_S7_S7_S7_S7_S7_S7_EENS1_3tagENS0_11use_defaultESA_EENS0_6detail16wrapped_functionINSC_23allocator_traits_detail24construct1_via_allocatorINSC_18no_throw_allocatorINSC_19temporary_allocatorIS8_S9_EEEEEEvEEEEmLj1EEEvT0_T1_SO_.num_vgpr, 6
	.set _ZN6thrust23THRUST_200600_302600_NS11hip_rocprim14__parallel_for6kernelILj256ENS1_10for_each_fINS0_7pointerINS0_5tupleIblNS0_9null_typeES7_S7_S7_S7_S7_S7_S7_EENS1_3tagENS0_11use_defaultESA_EENS0_6detail16wrapped_functionINSC_23allocator_traits_detail24construct1_via_allocatorINSC_18no_throw_allocatorINSC_19temporary_allocatorIS8_S9_EEEEEEvEEEEmLj1EEEvT0_T1_SO_.num_agpr, 0
	.set _ZN6thrust23THRUST_200600_302600_NS11hip_rocprim14__parallel_for6kernelILj256ENS1_10for_each_fINS0_7pointerINS0_5tupleIblNS0_9null_typeES7_S7_S7_S7_S7_S7_S7_EENS1_3tagENS0_11use_defaultESA_EENS0_6detail16wrapped_functionINSC_23allocator_traits_detail24construct1_via_allocatorINSC_18no_throw_allocatorINSC_19temporary_allocatorIS8_S9_EEEEEEvEEEEmLj1EEEvT0_T1_SO_.numbered_sgpr, 12
	.set _ZN6thrust23THRUST_200600_302600_NS11hip_rocprim14__parallel_for6kernelILj256ENS1_10for_each_fINS0_7pointerINS0_5tupleIblNS0_9null_typeES7_S7_S7_S7_S7_S7_S7_EENS1_3tagENS0_11use_defaultESA_EENS0_6detail16wrapped_functionINSC_23allocator_traits_detail24construct1_via_allocatorINSC_18no_throw_allocatorINSC_19temporary_allocatorIS8_S9_EEEEEEvEEEEmLj1EEEvT0_T1_SO_.num_named_barrier, 0
	.set _ZN6thrust23THRUST_200600_302600_NS11hip_rocprim14__parallel_for6kernelILj256ENS1_10for_each_fINS0_7pointerINS0_5tupleIblNS0_9null_typeES7_S7_S7_S7_S7_S7_S7_EENS1_3tagENS0_11use_defaultESA_EENS0_6detail16wrapped_functionINSC_23allocator_traits_detail24construct1_via_allocatorINSC_18no_throw_allocatorINSC_19temporary_allocatorIS8_S9_EEEEEEvEEEEmLj1EEEvT0_T1_SO_.private_seg_size, 0
	.set _ZN6thrust23THRUST_200600_302600_NS11hip_rocprim14__parallel_for6kernelILj256ENS1_10for_each_fINS0_7pointerINS0_5tupleIblNS0_9null_typeES7_S7_S7_S7_S7_S7_S7_EENS1_3tagENS0_11use_defaultESA_EENS0_6detail16wrapped_functionINSC_23allocator_traits_detail24construct1_via_allocatorINSC_18no_throw_allocatorINSC_19temporary_allocatorIS8_S9_EEEEEEvEEEEmLj1EEEvT0_T1_SO_.uses_vcc, 1
	.set _ZN6thrust23THRUST_200600_302600_NS11hip_rocprim14__parallel_for6kernelILj256ENS1_10for_each_fINS0_7pointerINS0_5tupleIblNS0_9null_typeES7_S7_S7_S7_S7_S7_S7_EENS1_3tagENS0_11use_defaultESA_EENS0_6detail16wrapped_functionINSC_23allocator_traits_detail24construct1_via_allocatorINSC_18no_throw_allocatorINSC_19temporary_allocatorIS8_S9_EEEEEEvEEEEmLj1EEEvT0_T1_SO_.uses_flat_scratch, 0
	.set _ZN6thrust23THRUST_200600_302600_NS11hip_rocprim14__parallel_for6kernelILj256ENS1_10for_each_fINS0_7pointerINS0_5tupleIblNS0_9null_typeES7_S7_S7_S7_S7_S7_S7_EENS1_3tagENS0_11use_defaultESA_EENS0_6detail16wrapped_functionINSC_23allocator_traits_detail24construct1_via_allocatorINSC_18no_throw_allocatorINSC_19temporary_allocatorIS8_S9_EEEEEEvEEEEmLj1EEEvT0_T1_SO_.has_dyn_sized_stack, 0
	.set _ZN6thrust23THRUST_200600_302600_NS11hip_rocprim14__parallel_for6kernelILj256ENS1_10for_each_fINS0_7pointerINS0_5tupleIblNS0_9null_typeES7_S7_S7_S7_S7_S7_S7_EENS1_3tagENS0_11use_defaultESA_EENS0_6detail16wrapped_functionINSC_23allocator_traits_detail24construct1_via_allocatorINSC_18no_throw_allocatorINSC_19temporary_allocatorIS8_S9_EEEEEEvEEEEmLj1EEEvT0_T1_SO_.has_recursion, 0
	.set _ZN6thrust23THRUST_200600_302600_NS11hip_rocprim14__parallel_for6kernelILj256ENS1_10for_each_fINS0_7pointerINS0_5tupleIblNS0_9null_typeES7_S7_S7_S7_S7_S7_S7_EENS1_3tagENS0_11use_defaultESA_EENS0_6detail16wrapped_functionINSC_23allocator_traits_detail24construct1_via_allocatorINSC_18no_throw_allocatorINSC_19temporary_allocatorIS8_S9_EEEEEEvEEEEmLj1EEEvT0_T1_SO_.has_indirect_call, 0
	.section	.AMDGPU.csdata,"",@progbits
; Kernel info:
; codeLenInByte = 192
; TotalNumSgprs: 18
; NumVgprs: 6
; NumAgprs: 0
; TotalNumVgprs: 6
; ScratchSize: 0
; MemoryBound: 0
; FloatMode: 240
; IeeeMode: 1
; LDSByteSize: 0 bytes/workgroup (compile time only)
; SGPRBlocks: 2
; VGPRBlocks: 0
; NumSGPRsForWavesPerEU: 18
; NumVGPRsForWavesPerEU: 6
; AccumOffset: 8
; Occupancy: 8
; WaveLimiterHint : 0
; COMPUTE_PGM_RSRC2:SCRATCH_EN: 0
; COMPUTE_PGM_RSRC2:USER_SGPR: 2
; COMPUTE_PGM_RSRC2:TRAP_HANDLER: 0
; COMPUTE_PGM_RSRC2:TGID_X_EN: 1
; COMPUTE_PGM_RSRC2:TGID_Y_EN: 0
; COMPUTE_PGM_RSRC2:TGID_Z_EN: 0
; COMPUTE_PGM_RSRC2:TIDIG_COMP_CNT: 0
; COMPUTE_PGM_RSRC3_GFX90A:ACCUM_OFFSET: 1
; COMPUTE_PGM_RSRC3_GFX90A:TG_SPLIT: 0
	.section	.text._ZN6thrust23THRUST_200600_302600_NS11hip_rocprim14__parallel_for6kernelILj256ENS1_10for_each_fINS0_7pointerINS0_5tupleIblNS0_9null_typeES7_S7_S7_S7_S7_S7_S7_EENS1_3tagENS0_11use_defaultESA_EENS0_6detail16wrapped_functionINSC_23allocator_traits_detail5gozerEvEEEElLj1EEEvT0_T1_SJ_,"axG",@progbits,_ZN6thrust23THRUST_200600_302600_NS11hip_rocprim14__parallel_for6kernelILj256ENS1_10for_each_fINS0_7pointerINS0_5tupleIblNS0_9null_typeES7_S7_S7_S7_S7_S7_S7_EENS1_3tagENS0_11use_defaultESA_EENS0_6detail16wrapped_functionINSC_23allocator_traits_detail5gozerEvEEEElLj1EEEvT0_T1_SJ_,comdat
	.protected	_ZN6thrust23THRUST_200600_302600_NS11hip_rocprim14__parallel_for6kernelILj256ENS1_10for_each_fINS0_7pointerINS0_5tupleIblNS0_9null_typeES7_S7_S7_S7_S7_S7_S7_EENS1_3tagENS0_11use_defaultESA_EENS0_6detail16wrapped_functionINSC_23allocator_traits_detail5gozerEvEEEElLj1EEEvT0_T1_SJ_ ; -- Begin function _ZN6thrust23THRUST_200600_302600_NS11hip_rocprim14__parallel_for6kernelILj256ENS1_10for_each_fINS0_7pointerINS0_5tupleIblNS0_9null_typeES7_S7_S7_S7_S7_S7_S7_EENS1_3tagENS0_11use_defaultESA_EENS0_6detail16wrapped_functionINSC_23allocator_traits_detail5gozerEvEEEElLj1EEEvT0_T1_SJ_
	.globl	_ZN6thrust23THRUST_200600_302600_NS11hip_rocprim14__parallel_for6kernelILj256ENS1_10for_each_fINS0_7pointerINS0_5tupleIblNS0_9null_typeES7_S7_S7_S7_S7_S7_S7_EENS1_3tagENS0_11use_defaultESA_EENS0_6detail16wrapped_functionINSC_23allocator_traits_detail5gozerEvEEEElLj1EEEvT0_T1_SJ_
	.p2align	8
	.type	_ZN6thrust23THRUST_200600_302600_NS11hip_rocprim14__parallel_for6kernelILj256ENS1_10for_each_fINS0_7pointerINS0_5tupleIblNS0_9null_typeES7_S7_S7_S7_S7_S7_S7_EENS1_3tagENS0_11use_defaultESA_EENS0_6detail16wrapped_functionINSC_23allocator_traits_detail5gozerEvEEEElLj1EEEvT0_T1_SJ_,@function
_ZN6thrust23THRUST_200600_302600_NS11hip_rocprim14__parallel_for6kernelILj256ENS1_10for_each_fINS0_7pointerINS0_5tupleIblNS0_9null_typeES7_S7_S7_S7_S7_S7_S7_EENS1_3tagENS0_11use_defaultESA_EENS0_6detail16wrapped_functionINSC_23allocator_traits_detail5gozerEvEEEElLj1EEEvT0_T1_SJ_: ; @_ZN6thrust23THRUST_200600_302600_NS11hip_rocprim14__parallel_for6kernelILj256ENS1_10for_each_fINS0_7pointerINS0_5tupleIblNS0_9null_typeES7_S7_S7_S7_S7_S7_S7_EENS1_3tagENS0_11use_defaultESA_EENS0_6detail16wrapped_functionINSC_23allocator_traits_detail5gozerEvEEEElLj1EEEvT0_T1_SJ_
; %bb.0:
	s_endpgm
	.section	.rodata,"a",@progbits
	.p2align	6, 0x0
	.amdhsa_kernel _ZN6thrust23THRUST_200600_302600_NS11hip_rocprim14__parallel_for6kernelILj256ENS1_10for_each_fINS0_7pointerINS0_5tupleIblNS0_9null_typeES7_S7_S7_S7_S7_S7_S7_EENS1_3tagENS0_11use_defaultESA_EENS0_6detail16wrapped_functionINSC_23allocator_traits_detail5gozerEvEEEElLj1EEEvT0_T1_SJ_
		.amdhsa_group_segment_fixed_size 0
		.amdhsa_private_segment_fixed_size 0
		.amdhsa_kernarg_size 32
		.amdhsa_user_sgpr_count 2
		.amdhsa_user_sgpr_dispatch_ptr 0
		.amdhsa_user_sgpr_queue_ptr 0
		.amdhsa_user_sgpr_kernarg_segment_ptr 1
		.amdhsa_user_sgpr_dispatch_id 0
		.amdhsa_user_sgpr_kernarg_preload_length 0
		.amdhsa_user_sgpr_kernarg_preload_offset 0
		.amdhsa_user_sgpr_private_segment_size 0
		.amdhsa_uses_dynamic_stack 0
		.amdhsa_enable_private_segment 0
		.amdhsa_system_sgpr_workgroup_id_x 1
		.amdhsa_system_sgpr_workgroup_id_y 0
		.amdhsa_system_sgpr_workgroup_id_z 0
		.amdhsa_system_sgpr_workgroup_info 0
		.amdhsa_system_vgpr_workitem_id 0
		.amdhsa_next_free_vgpr 1
		.amdhsa_next_free_sgpr 0
		.amdhsa_accum_offset 4
		.amdhsa_reserve_vcc 0
		.amdhsa_float_round_mode_32 0
		.amdhsa_float_round_mode_16_64 0
		.amdhsa_float_denorm_mode_32 3
		.amdhsa_float_denorm_mode_16_64 3
		.amdhsa_dx10_clamp 1
		.amdhsa_ieee_mode 1
		.amdhsa_fp16_overflow 0
		.amdhsa_tg_split 0
		.amdhsa_exception_fp_ieee_invalid_op 0
		.amdhsa_exception_fp_denorm_src 0
		.amdhsa_exception_fp_ieee_div_zero 0
		.amdhsa_exception_fp_ieee_overflow 0
		.amdhsa_exception_fp_ieee_underflow 0
		.amdhsa_exception_fp_ieee_inexact 0
		.amdhsa_exception_int_div_zero 0
	.end_amdhsa_kernel
	.section	.text._ZN6thrust23THRUST_200600_302600_NS11hip_rocprim14__parallel_for6kernelILj256ENS1_10for_each_fINS0_7pointerINS0_5tupleIblNS0_9null_typeES7_S7_S7_S7_S7_S7_S7_EENS1_3tagENS0_11use_defaultESA_EENS0_6detail16wrapped_functionINSC_23allocator_traits_detail5gozerEvEEEElLj1EEEvT0_T1_SJ_,"axG",@progbits,_ZN6thrust23THRUST_200600_302600_NS11hip_rocprim14__parallel_for6kernelILj256ENS1_10for_each_fINS0_7pointerINS0_5tupleIblNS0_9null_typeES7_S7_S7_S7_S7_S7_S7_EENS1_3tagENS0_11use_defaultESA_EENS0_6detail16wrapped_functionINSC_23allocator_traits_detail5gozerEvEEEElLj1EEEvT0_T1_SJ_,comdat
.Lfunc_end200:
	.size	_ZN6thrust23THRUST_200600_302600_NS11hip_rocprim14__parallel_for6kernelILj256ENS1_10for_each_fINS0_7pointerINS0_5tupleIblNS0_9null_typeES7_S7_S7_S7_S7_S7_S7_EENS1_3tagENS0_11use_defaultESA_EENS0_6detail16wrapped_functionINSC_23allocator_traits_detail5gozerEvEEEElLj1EEEvT0_T1_SJ_, .Lfunc_end200-_ZN6thrust23THRUST_200600_302600_NS11hip_rocprim14__parallel_for6kernelILj256ENS1_10for_each_fINS0_7pointerINS0_5tupleIblNS0_9null_typeES7_S7_S7_S7_S7_S7_S7_EENS1_3tagENS0_11use_defaultESA_EENS0_6detail16wrapped_functionINSC_23allocator_traits_detail5gozerEvEEEElLj1EEEvT0_T1_SJ_
                                        ; -- End function
	.set _ZN6thrust23THRUST_200600_302600_NS11hip_rocprim14__parallel_for6kernelILj256ENS1_10for_each_fINS0_7pointerINS0_5tupleIblNS0_9null_typeES7_S7_S7_S7_S7_S7_S7_EENS1_3tagENS0_11use_defaultESA_EENS0_6detail16wrapped_functionINSC_23allocator_traits_detail5gozerEvEEEElLj1EEEvT0_T1_SJ_.num_vgpr, 0
	.set _ZN6thrust23THRUST_200600_302600_NS11hip_rocprim14__parallel_for6kernelILj256ENS1_10for_each_fINS0_7pointerINS0_5tupleIblNS0_9null_typeES7_S7_S7_S7_S7_S7_S7_EENS1_3tagENS0_11use_defaultESA_EENS0_6detail16wrapped_functionINSC_23allocator_traits_detail5gozerEvEEEElLj1EEEvT0_T1_SJ_.num_agpr, 0
	.set _ZN6thrust23THRUST_200600_302600_NS11hip_rocprim14__parallel_for6kernelILj256ENS1_10for_each_fINS0_7pointerINS0_5tupleIblNS0_9null_typeES7_S7_S7_S7_S7_S7_S7_EENS1_3tagENS0_11use_defaultESA_EENS0_6detail16wrapped_functionINSC_23allocator_traits_detail5gozerEvEEEElLj1EEEvT0_T1_SJ_.numbered_sgpr, 0
	.set _ZN6thrust23THRUST_200600_302600_NS11hip_rocprim14__parallel_for6kernelILj256ENS1_10for_each_fINS0_7pointerINS0_5tupleIblNS0_9null_typeES7_S7_S7_S7_S7_S7_S7_EENS1_3tagENS0_11use_defaultESA_EENS0_6detail16wrapped_functionINSC_23allocator_traits_detail5gozerEvEEEElLj1EEEvT0_T1_SJ_.num_named_barrier, 0
	.set _ZN6thrust23THRUST_200600_302600_NS11hip_rocprim14__parallel_for6kernelILj256ENS1_10for_each_fINS0_7pointerINS0_5tupleIblNS0_9null_typeES7_S7_S7_S7_S7_S7_S7_EENS1_3tagENS0_11use_defaultESA_EENS0_6detail16wrapped_functionINSC_23allocator_traits_detail5gozerEvEEEElLj1EEEvT0_T1_SJ_.private_seg_size, 0
	.set _ZN6thrust23THRUST_200600_302600_NS11hip_rocprim14__parallel_for6kernelILj256ENS1_10for_each_fINS0_7pointerINS0_5tupleIblNS0_9null_typeES7_S7_S7_S7_S7_S7_S7_EENS1_3tagENS0_11use_defaultESA_EENS0_6detail16wrapped_functionINSC_23allocator_traits_detail5gozerEvEEEElLj1EEEvT0_T1_SJ_.uses_vcc, 0
	.set _ZN6thrust23THRUST_200600_302600_NS11hip_rocprim14__parallel_for6kernelILj256ENS1_10for_each_fINS0_7pointerINS0_5tupleIblNS0_9null_typeES7_S7_S7_S7_S7_S7_S7_EENS1_3tagENS0_11use_defaultESA_EENS0_6detail16wrapped_functionINSC_23allocator_traits_detail5gozerEvEEEElLj1EEEvT0_T1_SJ_.uses_flat_scratch, 0
	.set _ZN6thrust23THRUST_200600_302600_NS11hip_rocprim14__parallel_for6kernelILj256ENS1_10for_each_fINS0_7pointerINS0_5tupleIblNS0_9null_typeES7_S7_S7_S7_S7_S7_S7_EENS1_3tagENS0_11use_defaultESA_EENS0_6detail16wrapped_functionINSC_23allocator_traits_detail5gozerEvEEEElLj1EEEvT0_T1_SJ_.has_dyn_sized_stack, 0
	.set _ZN6thrust23THRUST_200600_302600_NS11hip_rocprim14__parallel_for6kernelILj256ENS1_10for_each_fINS0_7pointerINS0_5tupleIblNS0_9null_typeES7_S7_S7_S7_S7_S7_S7_EENS1_3tagENS0_11use_defaultESA_EENS0_6detail16wrapped_functionINSC_23allocator_traits_detail5gozerEvEEEElLj1EEEvT0_T1_SJ_.has_recursion, 0
	.set _ZN6thrust23THRUST_200600_302600_NS11hip_rocprim14__parallel_for6kernelILj256ENS1_10for_each_fINS0_7pointerINS0_5tupleIblNS0_9null_typeES7_S7_S7_S7_S7_S7_S7_EENS1_3tagENS0_11use_defaultESA_EENS0_6detail16wrapped_functionINSC_23allocator_traits_detail5gozerEvEEEElLj1EEEvT0_T1_SJ_.has_indirect_call, 0
	.section	.AMDGPU.csdata,"",@progbits
; Kernel info:
; codeLenInByte = 4
; TotalNumSgprs: 6
; NumVgprs: 0
; NumAgprs: 0
; TotalNumVgprs: 0
; ScratchSize: 0
; MemoryBound: 0
; FloatMode: 240
; IeeeMode: 1
; LDSByteSize: 0 bytes/workgroup (compile time only)
; SGPRBlocks: 0
; VGPRBlocks: 0
; NumSGPRsForWavesPerEU: 6
; NumVGPRsForWavesPerEU: 1
; AccumOffset: 4
; Occupancy: 8
; WaveLimiterHint : 0
; COMPUTE_PGM_RSRC2:SCRATCH_EN: 0
; COMPUTE_PGM_RSRC2:USER_SGPR: 2
; COMPUTE_PGM_RSRC2:TRAP_HANDLER: 0
; COMPUTE_PGM_RSRC2:TGID_X_EN: 1
; COMPUTE_PGM_RSRC2:TGID_Y_EN: 0
; COMPUTE_PGM_RSRC2:TGID_Z_EN: 0
; COMPUTE_PGM_RSRC2:TIDIG_COMP_CNT: 0
; COMPUTE_PGM_RSRC3_GFX90A:ACCUM_OFFSET: 0
; COMPUTE_PGM_RSRC3_GFX90A:TG_SPLIT: 0
	.section	.text._ZN6thrust23THRUST_200600_302600_NS11hip_rocprim14__parallel_for6kernelILj256ENS1_20__uninitialized_copy7functorIPNS0_5tupleIblNS0_9null_typeES7_S7_S7_S7_S7_S7_S7_EENS0_7pointerIS8_NS1_3tagENS0_11use_defaultESC_EEEEmLj1EEEvT0_T1_SG_,"axG",@progbits,_ZN6thrust23THRUST_200600_302600_NS11hip_rocprim14__parallel_for6kernelILj256ENS1_20__uninitialized_copy7functorIPNS0_5tupleIblNS0_9null_typeES7_S7_S7_S7_S7_S7_S7_EENS0_7pointerIS8_NS1_3tagENS0_11use_defaultESC_EEEEmLj1EEEvT0_T1_SG_,comdat
	.protected	_ZN6thrust23THRUST_200600_302600_NS11hip_rocprim14__parallel_for6kernelILj256ENS1_20__uninitialized_copy7functorIPNS0_5tupleIblNS0_9null_typeES7_S7_S7_S7_S7_S7_S7_EENS0_7pointerIS8_NS1_3tagENS0_11use_defaultESC_EEEEmLj1EEEvT0_T1_SG_ ; -- Begin function _ZN6thrust23THRUST_200600_302600_NS11hip_rocprim14__parallel_for6kernelILj256ENS1_20__uninitialized_copy7functorIPNS0_5tupleIblNS0_9null_typeES7_S7_S7_S7_S7_S7_S7_EENS0_7pointerIS8_NS1_3tagENS0_11use_defaultESC_EEEEmLj1EEEvT0_T1_SG_
	.globl	_ZN6thrust23THRUST_200600_302600_NS11hip_rocprim14__parallel_for6kernelILj256ENS1_20__uninitialized_copy7functorIPNS0_5tupleIblNS0_9null_typeES7_S7_S7_S7_S7_S7_S7_EENS0_7pointerIS8_NS1_3tagENS0_11use_defaultESC_EEEEmLj1EEEvT0_T1_SG_
	.p2align	8
	.type	_ZN6thrust23THRUST_200600_302600_NS11hip_rocprim14__parallel_for6kernelILj256ENS1_20__uninitialized_copy7functorIPNS0_5tupleIblNS0_9null_typeES7_S7_S7_S7_S7_S7_S7_EENS0_7pointerIS8_NS1_3tagENS0_11use_defaultESC_EEEEmLj1EEEvT0_T1_SG_,@function
_ZN6thrust23THRUST_200600_302600_NS11hip_rocprim14__parallel_for6kernelILj256ENS1_20__uninitialized_copy7functorIPNS0_5tupleIblNS0_9null_typeES7_S7_S7_S7_S7_S7_S7_EENS0_7pointerIS8_NS1_3tagENS0_11use_defaultESC_EEEEmLj1EEEvT0_T1_SG_: ; @_ZN6thrust23THRUST_200600_302600_NS11hip_rocprim14__parallel_for6kernelILj256ENS1_20__uninitialized_copy7functorIPNS0_5tupleIblNS0_9null_typeES7_S7_S7_S7_S7_S7_S7_EENS0_7pointerIS8_NS1_3tagENS0_11use_defaultESC_EEEEmLj1EEEvT0_T1_SG_
; %bb.0:
	s_load_dwordx8 s[4:11], s[0:1], 0x0
	s_lshl_b32 s0, s2, 8
	v_mov_b64_e32 v[2:3], 0xff
	s_waitcnt lgkmcnt(0)
	s_add_u32 s0, s10, s0
	s_addc_u32 s1, s11, 0
	s_sub_u32 s2, s8, s0
	s_subb_u32 s3, s9, s1
	v_cmp_gt_u64_e32 vcc, s[2:3], v[2:3]
	s_cbranch_vccnz .LBB201_2
; %bb.1:
	v_cmp_gt_u32_e32 vcc, s2, v0
	s_and_b64 s[2:3], vcc, exec
	s_cbranch_execz .LBB201_3
	s_branch .LBB201_4
.LBB201_2:
	s_mov_b64 s[2:3], 0
.LBB201_3:
	s_or_b64 s[2:3], s[2:3], exec
.LBB201_4:
	s_and_saveexec_b64 s[8:9], s[2:3]
	s_cbranch_execnz .LBB201_6
; %bb.5:
	s_endpgm
.LBB201_6:
	v_mov_b32_e32 v1, 0
	v_lshl_add_u64 v[0:1], s[0:1], 0, v[0:1]
	v_lshlrev_b64 v[4:5], 4, v[0:1]
	v_lshl_add_u64 v[0:1], s[4:5], 0, v[4:5]
	global_load_dwordx4 v[0:3], v[0:1], off
	v_lshl_add_u64 v[4:5], s[6:7], 0, v[4:5]
	s_waitcnt vmcnt(0)
	flat_store_dwordx4 v[4:5], v[0:3]
	s_endpgm
	.section	.rodata,"a",@progbits
	.p2align	6, 0x0
	.amdhsa_kernel _ZN6thrust23THRUST_200600_302600_NS11hip_rocprim14__parallel_for6kernelILj256ENS1_20__uninitialized_copy7functorIPNS0_5tupleIblNS0_9null_typeES7_S7_S7_S7_S7_S7_S7_EENS0_7pointerIS8_NS1_3tagENS0_11use_defaultESC_EEEEmLj1EEEvT0_T1_SG_
		.amdhsa_group_segment_fixed_size 0
		.amdhsa_private_segment_fixed_size 0
		.amdhsa_kernarg_size 32
		.amdhsa_user_sgpr_count 2
		.amdhsa_user_sgpr_dispatch_ptr 0
		.amdhsa_user_sgpr_queue_ptr 0
		.amdhsa_user_sgpr_kernarg_segment_ptr 1
		.amdhsa_user_sgpr_dispatch_id 0
		.amdhsa_user_sgpr_kernarg_preload_length 0
		.amdhsa_user_sgpr_kernarg_preload_offset 0
		.amdhsa_user_sgpr_private_segment_size 0
		.amdhsa_uses_dynamic_stack 0
		.amdhsa_enable_private_segment 0
		.amdhsa_system_sgpr_workgroup_id_x 1
		.amdhsa_system_sgpr_workgroup_id_y 0
		.amdhsa_system_sgpr_workgroup_id_z 0
		.amdhsa_system_sgpr_workgroup_info 0
		.amdhsa_system_vgpr_workitem_id 0
		.amdhsa_next_free_vgpr 6
		.amdhsa_next_free_sgpr 12
		.amdhsa_accum_offset 8
		.amdhsa_reserve_vcc 1
		.amdhsa_float_round_mode_32 0
		.amdhsa_float_round_mode_16_64 0
		.amdhsa_float_denorm_mode_32 3
		.amdhsa_float_denorm_mode_16_64 3
		.amdhsa_dx10_clamp 1
		.amdhsa_ieee_mode 1
		.amdhsa_fp16_overflow 0
		.amdhsa_tg_split 0
		.amdhsa_exception_fp_ieee_invalid_op 0
		.amdhsa_exception_fp_denorm_src 0
		.amdhsa_exception_fp_ieee_div_zero 0
		.amdhsa_exception_fp_ieee_overflow 0
		.amdhsa_exception_fp_ieee_underflow 0
		.amdhsa_exception_fp_ieee_inexact 0
		.amdhsa_exception_int_div_zero 0
	.end_amdhsa_kernel
	.section	.text._ZN6thrust23THRUST_200600_302600_NS11hip_rocprim14__parallel_for6kernelILj256ENS1_20__uninitialized_copy7functorIPNS0_5tupleIblNS0_9null_typeES7_S7_S7_S7_S7_S7_S7_EENS0_7pointerIS8_NS1_3tagENS0_11use_defaultESC_EEEEmLj1EEEvT0_T1_SG_,"axG",@progbits,_ZN6thrust23THRUST_200600_302600_NS11hip_rocprim14__parallel_for6kernelILj256ENS1_20__uninitialized_copy7functorIPNS0_5tupleIblNS0_9null_typeES7_S7_S7_S7_S7_S7_S7_EENS0_7pointerIS8_NS1_3tagENS0_11use_defaultESC_EEEEmLj1EEEvT0_T1_SG_,comdat
.Lfunc_end201:
	.size	_ZN6thrust23THRUST_200600_302600_NS11hip_rocprim14__parallel_for6kernelILj256ENS1_20__uninitialized_copy7functorIPNS0_5tupleIblNS0_9null_typeES7_S7_S7_S7_S7_S7_S7_EENS0_7pointerIS8_NS1_3tagENS0_11use_defaultESC_EEEEmLj1EEEvT0_T1_SG_, .Lfunc_end201-_ZN6thrust23THRUST_200600_302600_NS11hip_rocprim14__parallel_for6kernelILj256ENS1_20__uninitialized_copy7functorIPNS0_5tupleIblNS0_9null_typeES7_S7_S7_S7_S7_S7_S7_EENS0_7pointerIS8_NS1_3tagENS0_11use_defaultESC_EEEEmLj1EEEvT0_T1_SG_
                                        ; -- End function
	.set _ZN6thrust23THRUST_200600_302600_NS11hip_rocprim14__parallel_for6kernelILj256ENS1_20__uninitialized_copy7functorIPNS0_5tupleIblNS0_9null_typeES7_S7_S7_S7_S7_S7_S7_EENS0_7pointerIS8_NS1_3tagENS0_11use_defaultESC_EEEEmLj1EEEvT0_T1_SG_.num_vgpr, 6
	.set _ZN6thrust23THRUST_200600_302600_NS11hip_rocprim14__parallel_for6kernelILj256ENS1_20__uninitialized_copy7functorIPNS0_5tupleIblNS0_9null_typeES7_S7_S7_S7_S7_S7_S7_EENS0_7pointerIS8_NS1_3tagENS0_11use_defaultESC_EEEEmLj1EEEvT0_T1_SG_.num_agpr, 0
	.set _ZN6thrust23THRUST_200600_302600_NS11hip_rocprim14__parallel_for6kernelILj256ENS1_20__uninitialized_copy7functorIPNS0_5tupleIblNS0_9null_typeES7_S7_S7_S7_S7_S7_S7_EENS0_7pointerIS8_NS1_3tagENS0_11use_defaultESC_EEEEmLj1EEEvT0_T1_SG_.numbered_sgpr, 12
	.set _ZN6thrust23THRUST_200600_302600_NS11hip_rocprim14__parallel_for6kernelILj256ENS1_20__uninitialized_copy7functorIPNS0_5tupleIblNS0_9null_typeES7_S7_S7_S7_S7_S7_S7_EENS0_7pointerIS8_NS1_3tagENS0_11use_defaultESC_EEEEmLj1EEEvT0_T1_SG_.num_named_barrier, 0
	.set _ZN6thrust23THRUST_200600_302600_NS11hip_rocprim14__parallel_for6kernelILj256ENS1_20__uninitialized_copy7functorIPNS0_5tupleIblNS0_9null_typeES7_S7_S7_S7_S7_S7_S7_EENS0_7pointerIS8_NS1_3tagENS0_11use_defaultESC_EEEEmLj1EEEvT0_T1_SG_.private_seg_size, 0
	.set _ZN6thrust23THRUST_200600_302600_NS11hip_rocprim14__parallel_for6kernelILj256ENS1_20__uninitialized_copy7functorIPNS0_5tupleIblNS0_9null_typeES7_S7_S7_S7_S7_S7_S7_EENS0_7pointerIS8_NS1_3tagENS0_11use_defaultESC_EEEEmLj1EEEvT0_T1_SG_.uses_vcc, 1
	.set _ZN6thrust23THRUST_200600_302600_NS11hip_rocprim14__parallel_for6kernelILj256ENS1_20__uninitialized_copy7functorIPNS0_5tupleIblNS0_9null_typeES7_S7_S7_S7_S7_S7_S7_EENS0_7pointerIS8_NS1_3tagENS0_11use_defaultESC_EEEEmLj1EEEvT0_T1_SG_.uses_flat_scratch, 0
	.set _ZN6thrust23THRUST_200600_302600_NS11hip_rocprim14__parallel_for6kernelILj256ENS1_20__uninitialized_copy7functorIPNS0_5tupleIblNS0_9null_typeES7_S7_S7_S7_S7_S7_S7_EENS0_7pointerIS8_NS1_3tagENS0_11use_defaultESC_EEEEmLj1EEEvT0_T1_SG_.has_dyn_sized_stack, 0
	.set _ZN6thrust23THRUST_200600_302600_NS11hip_rocprim14__parallel_for6kernelILj256ENS1_20__uninitialized_copy7functorIPNS0_5tupleIblNS0_9null_typeES7_S7_S7_S7_S7_S7_S7_EENS0_7pointerIS8_NS1_3tagENS0_11use_defaultESC_EEEEmLj1EEEvT0_T1_SG_.has_recursion, 0
	.set _ZN6thrust23THRUST_200600_302600_NS11hip_rocprim14__parallel_for6kernelILj256ENS1_20__uninitialized_copy7functorIPNS0_5tupleIblNS0_9null_typeES7_S7_S7_S7_S7_S7_S7_EENS0_7pointerIS8_NS1_3tagENS0_11use_defaultESC_EEEEmLj1EEEvT0_T1_SG_.has_indirect_call, 0
	.section	.AMDGPU.csdata,"",@progbits
; Kernel info:
; codeLenInByte = 144
; TotalNumSgprs: 18
; NumVgprs: 6
; NumAgprs: 0
; TotalNumVgprs: 6
; ScratchSize: 0
; MemoryBound: 0
; FloatMode: 240
; IeeeMode: 1
; LDSByteSize: 0 bytes/workgroup (compile time only)
; SGPRBlocks: 2
; VGPRBlocks: 0
; NumSGPRsForWavesPerEU: 18
; NumVGPRsForWavesPerEU: 6
; AccumOffset: 8
; Occupancy: 8
; WaveLimiterHint : 0
; COMPUTE_PGM_RSRC2:SCRATCH_EN: 0
; COMPUTE_PGM_RSRC2:USER_SGPR: 2
; COMPUTE_PGM_RSRC2:TRAP_HANDLER: 0
; COMPUTE_PGM_RSRC2:TGID_X_EN: 1
; COMPUTE_PGM_RSRC2:TGID_Y_EN: 0
; COMPUTE_PGM_RSRC2:TGID_Z_EN: 0
; COMPUTE_PGM_RSRC2:TIDIG_COMP_CNT: 0
; COMPUTE_PGM_RSRC3_GFX90A:ACCUM_OFFSET: 1
; COMPUTE_PGM_RSRC3_GFX90A:TG_SPLIT: 0
	.section	.text._ZN6thrust23THRUST_200600_302600_NS11hip_rocprim14__parallel_for6kernelILj256ENS1_20__uninitialized_fill7functorINS0_10device_ptrIfEEfEEmLj1EEEvT0_T1_SA_,"axG",@progbits,_ZN6thrust23THRUST_200600_302600_NS11hip_rocprim14__parallel_for6kernelILj256ENS1_20__uninitialized_fill7functorINS0_10device_ptrIfEEfEEmLj1EEEvT0_T1_SA_,comdat
	.protected	_ZN6thrust23THRUST_200600_302600_NS11hip_rocprim14__parallel_for6kernelILj256ENS1_20__uninitialized_fill7functorINS0_10device_ptrIfEEfEEmLj1EEEvT0_T1_SA_ ; -- Begin function _ZN6thrust23THRUST_200600_302600_NS11hip_rocprim14__parallel_for6kernelILj256ENS1_20__uninitialized_fill7functorINS0_10device_ptrIfEEfEEmLj1EEEvT0_T1_SA_
	.globl	_ZN6thrust23THRUST_200600_302600_NS11hip_rocprim14__parallel_for6kernelILj256ENS1_20__uninitialized_fill7functorINS0_10device_ptrIfEEfEEmLj1EEEvT0_T1_SA_
	.p2align	8
	.type	_ZN6thrust23THRUST_200600_302600_NS11hip_rocprim14__parallel_for6kernelILj256ENS1_20__uninitialized_fill7functorINS0_10device_ptrIfEEfEEmLj1EEEvT0_T1_SA_,@function
_ZN6thrust23THRUST_200600_302600_NS11hip_rocprim14__parallel_for6kernelILj256ENS1_20__uninitialized_fill7functorINS0_10device_ptrIfEEfEEmLj1EEEvT0_T1_SA_: ; @_ZN6thrust23THRUST_200600_302600_NS11hip_rocprim14__parallel_for6kernelILj256ENS1_20__uninitialized_fill7functorINS0_10device_ptrIfEEfEEmLj1EEEvT0_T1_SA_
; %bb.0:
	s_load_dwordx4 s[12:15], s[0:1], 0x10
	s_load_dwordx2 s[4:5], s[0:1], 0x0
	s_load_dword s8, s[0:1], 0x8
	s_lshl_b32 s0, s2, 8
	v_mov_b64_e32 v[2:3], 0xff
	s_waitcnt lgkmcnt(0)
	s_add_u32 s0, s14, s0
	s_addc_u32 s1, s15, 0
	s_sub_u32 s2, s12, s0
	s_subb_u32 s3, s13, s1
	v_cmp_gt_u64_e32 vcc, s[2:3], v[2:3]
	s_mov_b64 s[6:7], -1
	s_cbranch_vccz .LBB202_3
; %bb.1:
	s_andn2_b64 vcc, exec, s[6:7]
	s_cbranch_vccz .LBB202_6
.LBB202_2:
	s_endpgm
.LBB202_3:
	v_cmp_gt_u32_e32 vcc, s2, v0
	s_and_saveexec_b64 s[2:3], vcc
	s_cbranch_execz .LBB202_5
; %bb.4:
	s_lshl_b64 s[6:7], s[0:1], 2
	s_add_u32 s6, s4, s6
	s_addc_u32 s7, s5, s7
	v_lshlrev_b32_e32 v2, 2, v0
	v_mov_b32_e32 v3, 0
	v_lshl_add_u64 v[2:3], s[6:7], 0, v[2:3]
	v_mov_b32_e32 v1, s8
	flat_store_dword v[2:3], v1
.LBB202_5:
	s_or_b64 exec, exec, s[2:3]
	s_cbranch_execnz .LBB202_2
.LBB202_6:
	s_lshl_b64 s[0:1], s[0:1], 2
	s_add_u32 s0, s4, s0
	s_addc_u32 s1, s5, s1
	v_lshlrev_b32_e32 v0, 2, v0
	v_mov_b32_e32 v1, 0
	v_lshl_add_u64 v[0:1], s[0:1], 0, v[0:1]
	v_mov_b32_e32 v2, s8
	flat_store_dword v[0:1], v2
	s_endpgm
	.section	.rodata,"a",@progbits
	.p2align	6, 0x0
	.amdhsa_kernel _ZN6thrust23THRUST_200600_302600_NS11hip_rocprim14__parallel_for6kernelILj256ENS1_20__uninitialized_fill7functorINS0_10device_ptrIfEEfEEmLj1EEEvT0_T1_SA_
		.amdhsa_group_segment_fixed_size 0
		.amdhsa_private_segment_fixed_size 0
		.amdhsa_kernarg_size 32
		.amdhsa_user_sgpr_count 2
		.amdhsa_user_sgpr_dispatch_ptr 0
		.amdhsa_user_sgpr_queue_ptr 0
		.amdhsa_user_sgpr_kernarg_segment_ptr 1
		.amdhsa_user_sgpr_dispatch_id 0
		.amdhsa_user_sgpr_kernarg_preload_length 0
		.amdhsa_user_sgpr_kernarg_preload_offset 0
		.amdhsa_user_sgpr_private_segment_size 0
		.amdhsa_uses_dynamic_stack 0
		.amdhsa_enable_private_segment 0
		.amdhsa_system_sgpr_workgroup_id_x 1
		.amdhsa_system_sgpr_workgroup_id_y 0
		.amdhsa_system_sgpr_workgroup_id_z 0
		.amdhsa_system_sgpr_workgroup_info 0
		.amdhsa_system_vgpr_workitem_id 0
		.amdhsa_next_free_vgpr 4
		.amdhsa_next_free_sgpr 16
		.amdhsa_accum_offset 4
		.amdhsa_reserve_vcc 1
		.amdhsa_float_round_mode_32 0
		.amdhsa_float_round_mode_16_64 0
		.amdhsa_float_denorm_mode_32 3
		.amdhsa_float_denorm_mode_16_64 3
		.amdhsa_dx10_clamp 1
		.amdhsa_ieee_mode 1
		.amdhsa_fp16_overflow 0
		.amdhsa_tg_split 0
		.amdhsa_exception_fp_ieee_invalid_op 0
		.amdhsa_exception_fp_denorm_src 0
		.amdhsa_exception_fp_ieee_div_zero 0
		.amdhsa_exception_fp_ieee_overflow 0
		.amdhsa_exception_fp_ieee_underflow 0
		.amdhsa_exception_fp_ieee_inexact 0
		.amdhsa_exception_int_div_zero 0
	.end_amdhsa_kernel
	.section	.text._ZN6thrust23THRUST_200600_302600_NS11hip_rocprim14__parallel_for6kernelILj256ENS1_20__uninitialized_fill7functorINS0_10device_ptrIfEEfEEmLj1EEEvT0_T1_SA_,"axG",@progbits,_ZN6thrust23THRUST_200600_302600_NS11hip_rocprim14__parallel_for6kernelILj256ENS1_20__uninitialized_fill7functorINS0_10device_ptrIfEEfEEmLj1EEEvT0_T1_SA_,comdat
.Lfunc_end202:
	.size	_ZN6thrust23THRUST_200600_302600_NS11hip_rocprim14__parallel_for6kernelILj256ENS1_20__uninitialized_fill7functorINS0_10device_ptrIfEEfEEmLj1EEEvT0_T1_SA_, .Lfunc_end202-_ZN6thrust23THRUST_200600_302600_NS11hip_rocprim14__parallel_for6kernelILj256ENS1_20__uninitialized_fill7functorINS0_10device_ptrIfEEfEEmLj1EEEvT0_T1_SA_
                                        ; -- End function
	.set _ZN6thrust23THRUST_200600_302600_NS11hip_rocprim14__parallel_for6kernelILj256ENS1_20__uninitialized_fill7functorINS0_10device_ptrIfEEfEEmLj1EEEvT0_T1_SA_.num_vgpr, 4
	.set _ZN6thrust23THRUST_200600_302600_NS11hip_rocprim14__parallel_for6kernelILj256ENS1_20__uninitialized_fill7functorINS0_10device_ptrIfEEfEEmLj1EEEvT0_T1_SA_.num_agpr, 0
	.set _ZN6thrust23THRUST_200600_302600_NS11hip_rocprim14__parallel_for6kernelILj256ENS1_20__uninitialized_fill7functorINS0_10device_ptrIfEEfEEmLj1EEEvT0_T1_SA_.numbered_sgpr, 16
	.set _ZN6thrust23THRUST_200600_302600_NS11hip_rocprim14__parallel_for6kernelILj256ENS1_20__uninitialized_fill7functorINS0_10device_ptrIfEEfEEmLj1EEEvT0_T1_SA_.num_named_barrier, 0
	.set _ZN6thrust23THRUST_200600_302600_NS11hip_rocprim14__parallel_for6kernelILj256ENS1_20__uninitialized_fill7functorINS0_10device_ptrIfEEfEEmLj1EEEvT0_T1_SA_.private_seg_size, 0
	.set _ZN6thrust23THRUST_200600_302600_NS11hip_rocprim14__parallel_for6kernelILj256ENS1_20__uninitialized_fill7functorINS0_10device_ptrIfEEfEEmLj1EEEvT0_T1_SA_.uses_vcc, 1
	.set _ZN6thrust23THRUST_200600_302600_NS11hip_rocprim14__parallel_for6kernelILj256ENS1_20__uninitialized_fill7functorINS0_10device_ptrIfEEfEEmLj1EEEvT0_T1_SA_.uses_flat_scratch, 0
	.set _ZN6thrust23THRUST_200600_302600_NS11hip_rocprim14__parallel_for6kernelILj256ENS1_20__uninitialized_fill7functorINS0_10device_ptrIfEEfEEmLj1EEEvT0_T1_SA_.has_dyn_sized_stack, 0
	.set _ZN6thrust23THRUST_200600_302600_NS11hip_rocprim14__parallel_for6kernelILj256ENS1_20__uninitialized_fill7functorINS0_10device_ptrIfEEfEEmLj1EEEvT0_T1_SA_.has_recursion, 0
	.set _ZN6thrust23THRUST_200600_302600_NS11hip_rocprim14__parallel_for6kernelILj256ENS1_20__uninitialized_fill7functorINS0_10device_ptrIfEEfEEmLj1EEEvT0_T1_SA_.has_indirect_call, 0
	.section	.AMDGPU.csdata,"",@progbits
; Kernel info:
; codeLenInByte = 184
; TotalNumSgprs: 22
; NumVgprs: 4
; NumAgprs: 0
; TotalNumVgprs: 4
; ScratchSize: 0
; MemoryBound: 0
; FloatMode: 240
; IeeeMode: 1
; LDSByteSize: 0 bytes/workgroup (compile time only)
; SGPRBlocks: 2
; VGPRBlocks: 0
; NumSGPRsForWavesPerEU: 22
; NumVGPRsForWavesPerEU: 4
; AccumOffset: 4
; Occupancy: 8
; WaveLimiterHint : 0
; COMPUTE_PGM_RSRC2:SCRATCH_EN: 0
; COMPUTE_PGM_RSRC2:USER_SGPR: 2
; COMPUTE_PGM_RSRC2:TRAP_HANDLER: 0
; COMPUTE_PGM_RSRC2:TGID_X_EN: 1
; COMPUTE_PGM_RSRC2:TGID_Y_EN: 0
; COMPUTE_PGM_RSRC2:TGID_Z_EN: 0
; COMPUTE_PGM_RSRC2:TIDIG_COMP_CNT: 0
; COMPUTE_PGM_RSRC3_GFX90A:ACCUM_OFFSET: 0
; COMPUTE_PGM_RSRC3_GFX90A:TG_SPLIT: 0
	.section	.text._ZN7rocprim17ROCPRIM_400000_NS6detail17trampoline_kernelINS0_13kernel_configILj256ELj4ELj4294967295EEENS1_37radix_sort_block_sort_config_selectorIffEEZNS1_21radix_sort_block_sortIS4_Lb0EN6thrust23THRUST_200600_302600_NS6detail15normal_iteratorINS9_10device_ptrIfEEEESE_SE_SE_NS0_19identity_decomposerEEE10hipError_tT1_T2_T3_T4_jRjT5_jjP12ihipStream_tbEUlT_E_NS1_11comp_targetILNS1_3genE0ELNS1_11target_archE4294967295ELNS1_3gpuE0ELNS1_3repE0EEENS1_44radix_sort_block_sort_config_static_selectorELNS0_4arch9wavefront6targetE1EEEvSH_,"axG",@progbits,_ZN7rocprim17ROCPRIM_400000_NS6detail17trampoline_kernelINS0_13kernel_configILj256ELj4ELj4294967295EEENS1_37radix_sort_block_sort_config_selectorIffEEZNS1_21radix_sort_block_sortIS4_Lb0EN6thrust23THRUST_200600_302600_NS6detail15normal_iteratorINS9_10device_ptrIfEEEESE_SE_SE_NS0_19identity_decomposerEEE10hipError_tT1_T2_T3_T4_jRjT5_jjP12ihipStream_tbEUlT_E_NS1_11comp_targetILNS1_3genE0ELNS1_11target_archE4294967295ELNS1_3gpuE0ELNS1_3repE0EEENS1_44radix_sort_block_sort_config_static_selectorELNS0_4arch9wavefront6targetE1EEEvSH_,comdat
	.protected	_ZN7rocprim17ROCPRIM_400000_NS6detail17trampoline_kernelINS0_13kernel_configILj256ELj4ELj4294967295EEENS1_37radix_sort_block_sort_config_selectorIffEEZNS1_21radix_sort_block_sortIS4_Lb0EN6thrust23THRUST_200600_302600_NS6detail15normal_iteratorINS9_10device_ptrIfEEEESE_SE_SE_NS0_19identity_decomposerEEE10hipError_tT1_T2_T3_T4_jRjT5_jjP12ihipStream_tbEUlT_E_NS1_11comp_targetILNS1_3genE0ELNS1_11target_archE4294967295ELNS1_3gpuE0ELNS1_3repE0EEENS1_44radix_sort_block_sort_config_static_selectorELNS0_4arch9wavefront6targetE1EEEvSH_ ; -- Begin function _ZN7rocprim17ROCPRIM_400000_NS6detail17trampoline_kernelINS0_13kernel_configILj256ELj4ELj4294967295EEENS1_37radix_sort_block_sort_config_selectorIffEEZNS1_21radix_sort_block_sortIS4_Lb0EN6thrust23THRUST_200600_302600_NS6detail15normal_iteratorINS9_10device_ptrIfEEEESE_SE_SE_NS0_19identity_decomposerEEE10hipError_tT1_T2_T3_T4_jRjT5_jjP12ihipStream_tbEUlT_E_NS1_11comp_targetILNS1_3genE0ELNS1_11target_archE4294967295ELNS1_3gpuE0ELNS1_3repE0EEENS1_44radix_sort_block_sort_config_static_selectorELNS0_4arch9wavefront6targetE1EEEvSH_
	.globl	_ZN7rocprim17ROCPRIM_400000_NS6detail17trampoline_kernelINS0_13kernel_configILj256ELj4ELj4294967295EEENS1_37radix_sort_block_sort_config_selectorIffEEZNS1_21radix_sort_block_sortIS4_Lb0EN6thrust23THRUST_200600_302600_NS6detail15normal_iteratorINS9_10device_ptrIfEEEESE_SE_SE_NS0_19identity_decomposerEEE10hipError_tT1_T2_T3_T4_jRjT5_jjP12ihipStream_tbEUlT_E_NS1_11comp_targetILNS1_3genE0ELNS1_11target_archE4294967295ELNS1_3gpuE0ELNS1_3repE0EEENS1_44radix_sort_block_sort_config_static_selectorELNS0_4arch9wavefront6targetE1EEEvSH_
	.p2align	8
	.type	_ZN7rocprim17ROCPRIM_400000_NS6detail17trampoline_kernelINS0_13kernel_configILj256ELj4ELj4294967295EEENS1_37radix_sort_block_sort_config_selectorIffEEZNS1_21radix_sort_block_sortIS4_Lb0EN6thrust23THRUST_200600_302600_NS6detail15normal_iteratorINS9_10device_ptrIfEEEESE_SE_SE_NS0_19identity_decomposerEEE10hipError_tT1_T2_T3_T4_jRjT5_jjP12ihipStream_tbEUlT_E_NS1_11comp_targetILNS1_3genE0ELNS1_11target_archE4294967295ELNS1_3gpuE0ELNS1_3repE0EEENS1_44radix_sort_block_sort_config_static_selectorELNS0_4arch9wavefront6targetE1EEEvSH_,@function
_ZN7rocprim17ROCPRIM_400000_NS6detail17trampoline_kernelINS0_13kernel_configILj256ELj4ELj4294967295EEENS1_37radix_sort_block_sort_config_selectorIffEEZNS1_21radix_sort_block_sortIS4_Lb0EN6thrust23THRUST_200600_302600_NS6detail15normal_iteratorINS9_10device_ptrIfEEEESE_SE_SE_NS0_19identity_decomposerEEE10hipError_tT1_T2_T3_T4_jRjT5_jjP12ihipStream_tbEUlT_E_NS1_11comp_targetILNS1_3genE0ELNS1_11target_archE4294967295ELNS1_3gpuE0ELNS1_3repE0EEENS1_44radix_sort_block_sort_config_static_selectorELNS0_4arch9wavefront6targetE1EEEvSH_: ; @_ZN7rocprim17ROCPRIM_400000_NS6detail17trampoline_kernelINS0_13kernel_configILj256ELj4ELj4294967295EEENS1_37radix_sort_block_sort_config_selectorIffEEZNS1_21radix_sort_block_sortIS4_Lb0EN6thrust23THRUST_200600_302600_NS6detail15normal_iteratorINS9_10device_ptrIfEEEESE_SE_SE_NS0_19identity_decomposerEEE10hipError_tT1_T2_T3_T4_jRjT5_jjP12ihipStream_tbEUlT_E_NS1_11comp_targetILNS1_3genE0ELNS1_11target_archE4294967295ELNS1_3gpuE0ELNS1_3repE0EEENS1_44radix_sort_block_sort_config_static_selectorELNS0_4arch9wavefront6targetE1EEEvSH_
; %bb.0:
	s_load_dword s8, s[0:1], 0x20
	s_load_dwordx8 s[36:43], s[0:1], 0x0
	s_lshl_b32 s4, s2, 10
	s_mov_b32 s5, 0
	v_mbcnt_lo_u32_b32 v1, -1, 0
	s_waitcnt lgkmcnt(0)
	s_lshr_b32 s3, s8, 10
	s_cmp_lg_u32 s2, s3
	v_and_b32_e32 v10, 0x3ff, v0
	s_cselect_b64 s[30:31], -1, 0
	s_lshl_b64 s[28:29], s[4:5], 2
	v_mbcnt_hi_u32_b32 v16, -1, v1
	s_add_u32 s6, s36, s28
	v_and_b32_e32 v1, 63, v16
	v_lshlrev_b32_e32 v8, 2, v10
	s_addc_u32 s7, s37, s29
	v_and_b32_e32 v9, 0x300, v8
	v_mov_b32_e32 v13, 0
	v_lshlrev_b32_e32 v12, 2, v1
	v_lshl_add_u64 v[2:3], s[6:7], 0, v[12:13]
	v_lshlrev_b32_e32 v6, 2, v9
	v_mov_b32_e32 v7, v13
	s_cmp_eq_u32 s2, s3
	v_lshl_add_u64 v[14:15], v[2:3], 0, v[6:7]
	s_cbranch_scc1 .LBB203_2
; %bb.1:
	s_add_u32 s2, s40, s28
	s_addc_u32 s3, s41, s29
	v_lshl_add_u64 v[18:19], s[2:3], 0, v[12:13]
	global_load_dword v2, v[14:15], off
	global_load_dword v3, v[14:15], off offset:256
	global_load_dword v4, v[14:15], off offset:512
	;; [unrolled: 1-line block ×3, first 2 shown]
	v_lshl_add_u64 v[18:19], v[18:19], 0, v[6:7]
	global_load_dword v32, v[18:19], off
	global_load_dword v33, v[18:19], off offset:256
	global_load_dword v34, v[18:19], off offset:512
	s_mov_b64 s[6:7], -1
	s_load_dwordx2 s[34:35], s[0:1], 0x28
	s_sub_i32 s33, s8, s4
	s_cbranch_execz .LBB203_3
	s_branch .LBB203_16
.LBB203_2:
	s_mov_b64 s[6:7], 0
                                        ; implicit-def: $vgpr2_vgpr3_vgpr4_vgpr5
                                        ; implicit-def: $vgpr32_vgpr33_vgpr34_vgpr35
	s_load_dwordx2 s[34:35], s[0:1], 0x28
	s_sub_i32 s33, s8, s4
.LBB203_3:
	v_or_b32_e32 v7, v1, v9
	s_waitcnt vmcnt(6)
	v_bfrev_b32_e32 v2, -2
	v_cmp_gt_u32_e32 vcc, s33, v7
	s_waitcnt vmcnt(5)
	v_mov_b32_e32 v3, v2
	s_waitcnt vmcnt(4)
	v_mov_b32_e32 v4, v2
	;; [unrolled: 2-line block ×3, first 2 shown]
	s_and_saveexec_b64 s[2:3], vcc
	s_cbranch_execz .LBB203_5
; %bb.4:
	global_load_dword v18, v[14:15], off
	v_mov_b32_e32 v19, v2
	v_mov_b32_e32 v20, v2
	v_mov_b32_e32 v21, v2
	s_waitcnt vmcnt(0)
	v_mov_b64_e32 v[2:3], v[18:19]
	v_mov_b64_e32 v[4:5], v[20:21]
.LBB203_5:
	s_or_b64 exec, exec, s[2:3]
	v_or_b32_e32 v9, 64, v7
	v_cmp_gt_u32_e64 s[2:3], s33, v9
	s_and_saveexec_b64 s[4:5], s[2:3]
	s_cbranch_execz .LBB203_7
; %bb.6:
	global_load_dword v3, v[14:15], off offset:256
.LBB203_7:
	s_or_b64 exec, exec, s[4:5]
	v_or_b32_e32 v9, 0x80, v7
	v_cmp_gt_u32_e64 s[4:5], s33, v9
	s_and_saveexec_b64 s[6:7], s[4:5]
	s_cbranch_execz .LBB203_9
; %bb.8:
	global_load_dword v4, v[14:15], off offset:512
.LBB203_9:
	;; [unrolled: 8-line block ×3, first 2 shown]
	s_or_b64 exec, exec, s[8:9]
	s_add_u32 s8, s40, s28
	s_addc_u32 s9, s41, s29
	v_mov_b32_e32 v13, 0
	v_lshl_add_u64 v[14:15], s[8:9], 0, v[12:13]
	v_mov_b32_e32 v7, v13
	v_lshl_add_u64 v[14:15], v[14:15], 0, v[6:7]
	s_waitcnt vmcnt(2)
	v_mov_b32_e32 v32, v13
	s_waitcnt vmcnt(1)
	v_mov_b32_e32 v33, v13
	;; [unrolled: 2-line block ×3, first 2 shown]
	v_mov_b32_e32 v35, v13
	s_and_saveexec_b64 s[8:9], vcc
	s_cbranch_execnz .LBB203_55
; %bb.12:
	s_or_b64 exec, exec, s[8:9]
	s_and_saveexec_b64 s[8:9], s[2:3]
	s_cbranch_execnz .LBB203_56
.LBB203_13:
	s_or_b64 exec, exec, s[8:9]
	s_and_saveexec_b64 s[2:3], s[4:5]
	s_cbranch_execz .LBB203_15
.LBB203_14:
	global_load_dword v34, v[14:15], off offset:512
.LBB203_15:
	s_or_b64 exec, exec, s[2:3]
.LBB203_16:
	s_and_saveexec_b64 s[2:3], s[6:7]
	s_cbranch_execz .LBB203_18
; %bb.17:
	s_add_u32 s4, s40, s28
	s_addc_u32 s5, s41, s29
	v_mov_b32_e32 v13, 0
	v_lshl_add_u64 v[14:15], s[4:5], 0, v[12:13]
	v_mov_b32_e32 v7, v13
	v_lshl_add_u64 v[12:13], v[14:15], 0, v[6:7]
	global_load_dword v35, v[12:13], off offset:768
.LBB203_18:
	s_or_b64 exec, exec, s[2:3]
	v_bfrev_b32_e32 v9, 1
	s_waitcnt vmcnt(6)
	v_cmp_lt_i32_e32 vcc, -1, v2
	s_load_dword s2, s[0:1], 0x3c
	s_waitcnt lgkmcnt(0)
	s_add_i32 s36, s35, s34
	v_cndmask_b32_e32 v7, -1, v9, vcc
	s_waitcnt vmcnt(5)
	v_cmp_lt_i32_e32 vcc, -1, v3
	v_xor_b32_e32 v18, v7, v2
	s_getpc_b64 s[0:1]
	s_add_u32 s0, s0, _ZN7rocprim17ROCPRIM_400000_NS16block_radix_sortIfLj256ELj4EfLj1ELj1ELj0ELNS0_26block_radix_rank_algorithmE1ELNS0_18block_padding_hintE2ELNS0_4arch9wavefront6targetE1EE19radix_bits_per_passE@rel32@lo+4
	s_addc_u32 s1, s1, _ZN7rocprim17ROCPRIM_400000_NS16block_radix_sortIfLj256ELj4EfLj1ELj1ELj0ELNS0_26block_radix_rank_algorithmE1ELNS0_18block_padding_hintE2ELNS0_4arch9wavefront6targetE1EE19radix_bits_per_passE@rel32@hi+12
	v_cndmask_b32_e32 v2, -1, v9, vcc
	s_waitcnt vmcnt(4)
	v_cmp_lt_i32_e32 vcc, -1, v4
	v_xor_b32_e32 v19, v2, v3
	s_load_dword s37, s[0:1], 0x0
	v_cndmask_b32_e32 v2, -1, v9, vcc
	s_waitcnt vmcnt(3)
	v_cmp_lt_i32_e32 vcc, -1, v5
	v_xor_b32_e32 v4, v2, v4
	s_lshr_b32 s0, s2, 16
	v_cndmask_b32_e32 v2, -1, v9, vcc
	v_xor_b32_e32 v5, v2, v5
	v_bfe_u32 v2, v0, 10, 10
	v_bfe_u32 v0, v0, 20, 10
	s_and_b32 s1, s2, 0xffff
	v_mad_u32_u24 v0, v0, s0, v2
	v_mad_u64_u32 v[2:3], s[0:1], v0, s1, v[10:11]
	v_lshrrev_b32_e32 v0, 4, v2
	v_and_b32_e32 v20, 0xffffffc, v0
	v_and_b32_e32 v0, 15, v16
	v_cmp_eq_u32_e64 s[0:1], 0, v0
	v_cmp_lt_u32_e64 s[2:3], 1, v0
	v_cmp_lt_u32_e64 s[4:5], 3, v0
	;; [unrolled: 1-line block ×3, first 2 shown]
	v_and_b32_e32 v0, 16, v16
	v_cmp_eq_u32_e64 s[8:9], 0, v0
	v_and_b32_e32 v0, 0x3c0, v10
	v_min_u32_e32 v0, 0xc0, v0
	v_or_b32_e32 v0, 63, v0
	v_cmp_eq_u32_e64 s[12:13], v10, v0
	v_subrev_co_u32_e64 v0, s[18:19], 1, v16
	v_and_b32_e32 v2, 64, v16
	v_cmp_lt_i32_e32 vcc, v0, v2
	s_mov_b32 s26, 0
	s_mov_b32 s27, s26
	v_cndmask_b32_e32 v0, v0, v16, vcc
	v_lshlrev_b32_e32 v22, 2, v0
	v_lshrrev_b32_e32 v0, 4, v10
	v_and_b32_e32 v23, 60, v0
	v_and_b32_e32 v0, 3, v16
	s_mov_b32 s40, s26
	s_mov_b32 s41, s26
	v_lshlrev_b32_e32 v11, 4, v10
	v_cmp_lt_u32_e64 s[10:11], 31, v16
	v_cmp_gt_u32_e64 s[14:15], 4, v10
	v_cmp_lt_u32_e64 s[16:17], 63, v10
	v_cmp_eq_u32_e64 s[20:21], 0, v10
	v_mul_i32_i24_e32 v21, -12, v10
	v_cmp_eq_u32_e64 s[22:23], 0, v0
	v_cmp_lt_u32_e64 s[24:25], 1, v0
	v_add_u32_e32 v24, -4, v23
	v_lshl_add_u32 v25, v1, 2, v6
	v_mov_b64_e32 v[12:13], s[26:27]
	v_mov_b64_e32 v[14:15], s[40:41]
	s_brev_b32 s40, -2
	v_mov_b32_e32 v17, 0
	s_branch .LBB203_20
.LBB203_19:                             ;   in Loop: Header=BB203_20 Depth=1
	s_andn2_b64 vcc, exec, s[26:27]
	s_cbranch_vccz .LBB203_36
.LBB203_20:                             ; =>This Inner Loop Header: Depth=1
	v_mov_b32_e32 v29, v18
	v_cmp_ne_u32_e32 vcc, s40, v29
	v_mov_b32_e32 v27, v4
	s_waitcnt lgkmcnt(0)
	s_min_u32 s26, s37, s35
	v_cndmask_b32_e32 v4, v9, v29, vcc
	s_lshl_b32 s41, -1, s26
	v_lshrrev_b32_e32 v4, s34, v4
	v_bitop3_b32 v6, v4, s41, v4 bitop3:0x30
	v_and_b32_e32 v16, 1, v6
	v_mov_b32_e32 v26, v5
	v_lshl_add_u64 v[4:5], v[16:17], 0, -1
	v_cmp_ne_u32_e32 vcc, 0, v16
	v_lshlrev_b32_e32 v7, 4, v6
	s_waitcnt vmcnt(0)
	v_mov_b64_e32 v[0:1], v[32:33]
	v_xor_b32_e32 v5, vcc_hi, v5
	v_xor_b32_e32 v4, vcc_lo, v4
	v_and_b32_e32 v16, exec_hi, v5
	v_and_b32_e32 v18, exec_lo, v4
	v_lshlrev_b32_e32 v5, 30, v6
	v_mov_b32_e32 v4, v17
	v_cmp_gt_i64_e32 vcc, 0, v[4:5]
	v_not_b32_e32 v4, v5
	v_ashrrev_i32_e32 v4, 31, v4
	v_xor_b32_e32 v5, vcc_hi, v4
	v_xor_b32_e32 v4, vcc_lo, v4
	v_and_b32_e32 v16, v16, v5
	v_and_b32_e32 v18, v18, v4
	v_lshlrev_b32_e32 v5, 29, v6
	v_mov_b32_e32 v4, v17
	v_cmp_gt_i64_e32 vcc, 0, v[4:5]
	v_not_b32_e32 v4, v5
	v_ashrrev_i32_e32 v4, 31, v4
	v_xor_b32_e32 v5, vcc_hi, v4
	v_xor_b32_e32 v4, vcc_lo, v4
	v_and_b32_e32 v16, v16, v5
	v_and_b32_e32 v18, v18, v4
	;; [unrolled: 9-line block ×7, first 2 shown]
	v_mbcnt_lo_u32_b32 v6, v4, 0
	v_mbcnt_hi_u32_b32 v18, v5, v6
	v_cmp_eq_u32_e32 vcc, 0, v18
	v_cmp_ne_u64_e64 s[26:27], 0, v[4:5]
	v_mov_b32_e32 v28, v19
	v_mov_b64_e32 v[2:3], v[34:35]
	s_and_b64 s[44:45], s[26:27], vcc
	v_add_u32_e32 v19, v20, v7
	ds_write2_b64 v11, v[12:13], v[14:15] offset0:2 offset1:3
	s_waitcnt lgkmcnt(0)
	s_barrier
	; wave barrier
	s_and_saveexec_b64 s[26:27], s[44:45]
; %bb.21:                               ;   in Loop: Header=BB203_20 Depth=1
	v_bcnt_u32_b32 v4, v4, 0
	v_bcnt_u32_b32 v4, v5, v4
	ds_write_b32 v19, v4 offset:16
; %bb.22:                               ;   in Loop: Header=BB203_20 Depth=1
	s_or_b64 exec, exec, s[26:27]
	v_cmp_ne_u32_e32 vcc, s40, v28
	s_not_b32 s41, s41
	s_nop 0
	v_cndmask_b32_e32 v4, v9, v28, vcc
	v_lshrrev_b32_e32 v4, s34, v4
	v_and_b32_e32 v6, s41, v4
	v_lshlrev_b32_e32 v4, 4, v6
	v_and_b32_e32 v16, 1, v6
	v_add_u32_e32 v31, v20, v4
	v_lshl_add_u64 v[4:5], v[16:17], 0, -1
	v_cmp_ne_u32_e32 vcc, 0, v16
	; wave barrier
	ds_read_b32 v30, v31 offset:16
	s_nop 0
	v_xor_b32_e32 v5, vcc_hi, v5
	v_xor_b32_e32 v4, vcc_lo, v4
	v_and_b32_e32 v7, exec_hi, v5
	v_and_b32_e32 v16, exec_lo, v4
	v_lshlrev_b32_e32 v5, 30, v6
	v_mov_b32_e32 v4, v17
	v_cmp_gt_i64_e32 vcc, 0, v[4:5]
	v_not_b32_e32 v4, v5
	v_ashrrev_i32_e32 v4, 31, v4
	v_xor_b32_e32 v5, vcc_hi, v4
	v_xor_b32_e32 v4, vcc_lo, v4
	v_and_b32_e32 v7, v7, v5
	v_and_b32_e32 v16, v16, v4
	v_lshlrev_b32_e32 v5, 29, v6
	v_mov_b32_e32 v4, v17
	v_cmp_gt_i64_e32 vcc, 0, v[4:5]
	v_not_b32_e32 v4, v5
	v_ashrrev_i32_e32 v4, 31, v4
	v_xor_b32_e32 v5, vcc_hi, v4
	v_xor_b32_e32 v4, vcc_lo, v4
	v_and_b32_e32 v7, v7, v5
	v_and_b32_e32 v16, v16, v4
	;; [unrolled: 9-line block ×7, first 2 shown]
	v_mbcnt_lo_u32_b32 v6, v4, 0
	v_mbcnt_hi_u32_b32 v32, v5, v6
	v_cmp_eq_u32_e32 vcc, 0, v32
	v_cmp_ne_u64_e64 s[26:27], 0, v[4:5]
	s_and_b64 s[44:45], s[26:27], vcc
	; wave barrier
	s_and_saveexec_b64 s[26:27], s[44:45]
	s_cbranch_execz .LBB203_24
; %bb.23:                               ;   in Loop: Header=BB203_20 Depth=1
	v_bcnt_u32_b32 v4, v4, 0
	v_bcnt_u32_b32 v4, v5, v4
	s_waitcnt lgkmcnt(0)
	v_add_u32_e32 v4, v30, v4
	ds_write_b32 v31, v4 offset:16
.LBB203_24:                             ;   in Loop: Header=BB203_20 Depth=1
	s_or_b64 exec, exec, s[26:27]
	v_cmp_ne_u32_e32 vcc, s40, v27
	; wave barrier
	s_nop 1
	v_cndmask_b32_e32 v4, v9, v27, vcc
	v_lshrrev_b32_e32 v4, s34, v4
	v_and_b32_e32 v6, s41, v4
	v_lshlrev_b32_e32 v4, 4, v6
	v_and_b32_e32 v16, 1, v6
	v_add_u32_e32 v34, v20, v4
	v_lshl_add_u64 v[4:5], v[16:17], 0, -1
	v_cmp_ne_u32_e32 vcc, 0, v16
	ds_read_b32 v33, v34 offset:16
	s_nop 0
	v_xor_b32_e32 v5, vcc_hi, v5
	v_xor_b32_e32 v4, vcc_lo, v4
	v_and_b32_e32 v7, exec_hi, v5
	v_and_b32_e32 v16, exec_lo, v4
	v_lshlrev_b32_e32 v5, 30, v6
	v_mov_b32_e32 v4, v17
	v_cmp_gt_i64_e32 vcc, 0, v[4:5]
	v_not_b32_e32 v4, v5
	v_ashrrev_i32_e32 v4, 31, v4
	v_xor_b32_e32 v5, vcc_hi, v4
	v_xor_b32_e32 v4, vcc_lo, v4
	v_and_b32_e32 v7, v7, v5
	v_and_b32_e32 v16, v16, v4
	v_lshlrev_b32_e32 v5, 29, v6
	v_mov_b32_e32 v4, v17
	v_cmp_gt_i64_e32 vcc, 0, v[4:5]
	v_not_b32_e32 v4, v5
	v_ashrrev_i32_e32 v4, 31, v4
	v_xor_b32_e32 v5, vcc_hi, v4
	v_xor_b32_e32 v4, vcc_lo, v4
	v_and_b32_e32 v7, v7, v5
	v_and_b32_e32 v16, v16, v4
	;; [unrolled: 9-line block ×7, first 2 shown]
	v_mbcnt_lo_u32_b32 v6, v4, 0
	v_mbcnt_hi_u32_b32 v35, v5, v6
	v_cmp_eq_u32_e32 vcc, 0, v35
	v_cmp_ne_u64_e64 s[26:27], 0, v[4:5]
	s_and_b64 s[44:45], s[26:27], vcc
	; wave barrier
	s_and_saveexec_b64 s[26:27], s[44:45]
	s_cbranch_execz .LBB203_26
; %bb.25:                               ;   in Loop: Header=BB203_20 Depth=1
	v_bcnt_u32_b32 v4, v4, 0
	v_bcnt_u32_b32 v4, v5, v4
	s_waitcnt lgkmcnt(0)
	v_add_u32_e32 v4, v33, v4
	ds_write_b32 v34, v4 offset:16
.LBB203_26:                             ;   in Loop: Header=BB203_20 Depth=1
	s_or_b64 exec, exec, s[26:27]
	v_cmp_ne_u32_e32 vcc, s40, v26
	; wave barrier
	s_nop 1
	v_cndmask_b32_e32 v4, v9, v26, vcc
	v_lshrrev_b32_e32 v4, s34, v4
	v_and_b32_e32 v6, s41, v4
	v_lshlrev_b32_e32 v4, 4, v6
	v_and_b32_e32 v16, 1, v6
	v_add_u32_e32 v37, v20, v4
	v_lshl_add_u64 v[4:5], v[16:17], 0, -1
	v_cmp_ne_u32_e32 vcc, 0, v16
	ds_read_b32 v36, v37 offset:16
	s_nop 0
	v_xor_b32_e32 v5, vcc_hi, v5
	v_xor_b32_e32 v4, vcc_lo, v4
	v_and_b32_e32 v7, exec_hi, v5
	v_and_b32_e32 v16, exec_lo, v4
	v_lshlrev_b32_e32 v5, 30, v6
	v_mov_b32_e32 v4, v17
	v_cmp_gt_i64_e32 vcc, 0, v[4:5]
	v_not_b32_e32 v4, v5
	v_ashrrev_i32_e32 v4, 31, v4
	v_xor_b32_e32 v5, vcc_hi, v4
	v_xor_b32_e32 v4, vcc_lo, v4
	v_and_b32_e32 v7, v7, v5
	v_and_b32_e32 v16, v16, v4
	v_lshlrev_b32_e32 v5, 29, v6
	v_mov_b32_e32 v4, v17
	v_cmp_gt_i64_e32 vcc, 0, v[4:5]
	v_not_b32_e32 v4, v5
	v_ashrrev_i32_e32 v4, 31, v4
	v_xor_b32_e32 v5, vcc_hi, v4
	v_xor_b32_e32 v4, vcc_lo, v4
	v_and_b32_e32 v7, v7, v5
	v_and_b32_e32 v16, v16, v4
	;; [unrolled: 9-line block ×7, first 2 shown]
	v_mbcnt_lo_u32_b32 v6, v4, 0
	v_mbcnt_hi_u32_b32 v16, v5, v6
	v_cmp_eq_u32_e32 vcc, 0, v16
	v_cmp_ne_u64_e64 s[26:27], 0, v[4:5]
	s_and_b64 s[44:45], s[26:27], vcc
	; wave barrier
	s_and_saveexec_b64 s[26:27], s[44:45]
	s_cbranch_execz .LBB203_28
; %bb.27:                               ;   in Loop: Header=BB203_20 Depth=1
	v_bcnt_u32_b32 v4, v4, 0
	v_bcnt_u32_b32 v4, v5, v4
	s_waitcnt lgkmcnt(0)
	v_add_u32_e32 v4, v36, v4
	ds_write_b32 v37, v4 offset:16
.LBB203_28:                             ;   in Loop: Header=BB203_20 Depth=1
	s_or_b64 exec, exec, s[26:27]
	; wave barrier
	s_waitcnt lgkmcnt(0)
	s_barrier
	ds_read2_b64 v[4:7], v11 offset0:2 offset1:3
	s_waitcnt lgkmcnt(0)
	v_add_u32_e32 v38, v5, v4
	v_add3_u32 v7, v38, v6, v7
	s_nop 1
	v_mov_b32_dpp v38, v7 row_shr:1 row_mask:0xf bank_mask:0xf
	v_cndmask_b32_e64 v38, v38, 0, s[0:1]
	v_add_u32_e32 v7, v38, v7
	s_nop 1
	v_mov_b32_dpp v38, v7 row_shr:2 row_mask:0xf bank_mask:0xf
	v_cndmask_b32_e64 v38, 0, v38, s[2:3]
	v_add_u32_e32 v7, v7, v38
	;; [unrolled: 4-line block ×4, first 2 shown]
	s_nop 1
	v_mov_b32_dpp v38, v7 row_bcast:15 row_mask:0xf bank_mask:0xf
	v_cndmask_b32_e64 v38, v38, 0, s[8:9]
	v_add_u32_e32 v7, v7, v38
	s_nop 1
	v_mov_b32_dpp v38, v7 row_bcast:31 row_mask:0xf bank_mask:0xf
	v_cndmask_b32_e64 v38, 0, v38, s[10:11]
	v_add_u32_e32 v7, v7, v38
	s_and_saveexec_b64 s[26:27], s[12:13]
; %bb.29:                               ;   in Loop: Header=BB203_20 Depth=1
	ds_write_b32 v23, v7
; %bb.30:                               ;   in Loop: Header=BB203_20 Depth=1
	s_or_b64 exec, exec, s[26:27]
	s_waitcnt lgkmcnt(0)
	s_barrier
	s_and_saveexec_b64 s[26:27], s[14:15]
	s_cbranch_execz .LBB203_32
; %bb.31:                               ;   in Loop: Header=BB203_20 Depth=1
	v_add_u32_e32 v38, v11, v21
	ds_read_b32 v39, v38
	s_waitcnt lgkmcnt(0)
	s_nop 0
	v_mov_b32_dpp v40, v39 row_shr:1 row_mask:0xf bank_mask:0xf
	v_cndmask_b32_e64 v40, v40, 0, s[22:23]
	v_add_u32_e32 v39, v40, v39
	s_nop 1
	v_mov_b32_dpp v40, v39 row_shr:2 row_mask:0xf bank_mask:0xf
	v_cndmask_b32_e64 v40, 0, v40, s[24:25]
	v_add_u32_e32 v39, v39, v40
	ds_write_b32 v38, v39
.LBB203_32:                             ;   in Loop: Header=BB203_20 Depth=1
	s_or_b64 exec, exec, s[26:27]
	v_mov_b32_e32 v38, 0
	s_waitcnt lgkmcnt(0)
	s_barrier
	s_and_saveexec_b64 s[26:27], s[16:17]
; %bb.33:                               ;   in Loop: Header=BB203_20 Depth=1
	ds_read_b32 v38, v24
; %bb.34:                               ;   in Loop: Header=BB203_20 Depth=1
	s_or_b64 exec, exec, s[26:27]
	s_waitcnt lgkmcnt(0)
	v_add_u32_e32 v7, v38, v7
	ds_bpermute_b32 v7, v22, v7
	s_add_i32 s34, s34, 8
	s_cmp_ge_u32 s34, s36
	s_mov_b64 s[26:27], -1
	s_waitcnt lgkmcnt(0)
	v_cndmask_b32_e64 v7, v7, v38, s[18:19]
	v_cndmask_b32_e64 v38, v7, 0, s[20:21]
	v_add_u32_e32 v39, v38, v4
	v_add_u32_e32 v4, v39, v5
	;; [unrolled: 1-line block ×3, first 2 shown]
	ds_write2_b64 v11, v[38:39], v[4:5] offset0:2 offset1:3
	s_waitcnt lgkmcnt(0)
	s_barrier
	ds_read_b32 v4, v19 offset:16
	ds_read_b32 v5, v31 offset:16
	;; [unrolled: 1-line block ×4, first 2 shown]
	v_lshlrev_b32_e32 v6, 2, v18
	s_waitcnt lgkmcnt(3)
	v_lshl_add_u32 v6, v4, 2, v6
	v_lshlrev_b32_e32 v4, 2, v32
	v_lshlrev_b32_e32 v7, 2, v30
	s_waitcnt lgkmcnt(2)
	v_lshlrev_b32_e32 v5, 2, v5
	v_add3_u32 v7, v4, v7, v5
	v_lshlrev_b32_e32 v4, 2, v35
	v_lshlrev_b32_e32 v5, 2, v33
	s_waitcnt lgkmcnt(1)
	v_lshlrev_b32_e32 v18, 2, v19
	v_add3_u32 v30, v4, v5, v18
	;; [unrolled: 5-line block ×3, first 2 shown]
                                        ; implicit-def: $vgpr5
                                        ; implicit-def: $vgpr19
                                        ; implicit-def: $vgpr32_vgpr33_vgpr34_vgpr35
	s_cbranch_scc1 .LBB203_19
; %bb.35:                               ;   in Loop: Header=BB203_20 Depth=1
	s_barrier
	ds_write_b32 v6, v29
	ds_write_b32 v7, v28
	;; [unrolled: 1-line block ×4, first 2 shown]
	s_waitcnt lgkmcnt(0)
	s_barrier
	ds_read2st64_b32 v[18:19], v25 offset1:1
	ds_read2st64_b32 v[4:5], v25 offset0:2 offset1:3
	s_waitcnt lgkmcnt(0)
	s_barrier
	ds_write_b32 v6, v0
	ds_write_b32 v7, v1
	;; [unrolled: 1-line block ×4, first 2 shown]
	s_waitcnt lgkmcnt(0)
	s_barrier
	ds_read2st64_b32 v[32:33], v25 offset1:1
	ds_read2st64_b32 v[34:35], v25 offset0:2 offset1:3
	s_add_i32 s35, s35, -8
	s_mov_b64 s[26:27], 0
	s_waitcnt lgkmcnt(0)
	s_barrier
	s_branch .LBB203_19
.LBB203_36:
	v_add_u32_e32 v9, v11, v21
	s_barrier
	ds_write_b32 v6, v29
	ds_write_b32 v7, v28
	ds_write_b32 v30, v27
	ds_write_b32 v16, v26
	s_waitcnt lgkmcnt(0)
	s_barrier
	ds_read2st64_b32 v[4:5], v9 offset1:4
	ds_read2st64_b32 v[14:15], v9 offset0:8 offset1:12
	s_waitcnt lgkmcnt(0)
	s_barrier
	ds_write_b32 v6, v0
	ds_write_b32 v7, v1
	;; [unrolled: 1-line block ×4, first 2 shown]
	v_bfrev_b32_e32 v6, 1
	v_cmp_lt_i32_e32 vcc, -1, v4
	s_waitcnt lgkmcnt(0)
	s_barrier
	ds_read2st64_b32 v[2:3], v9 offset1:4
	ds_read2st64_b32 v[0:1], v9 offset0:8 offset1:12
	v_cndmask_b32_e64 v7, v6, -1, vcc
	v_cmp_lt_i32_e32 vcc, -1, v5
	v_xor_b32_e32 v12, v7, v4
	s_add_u32 s0, s38, s28
	v_cndmask_b32_e64 v4, v6, -1, vcc
	v_cmp_lt_i32_e32 vcc, -1, v14
	v_xor_b32_e32 v11, v4, v5
	s_addc_u32 s1, s39, s29
	v_cndmask_b32_e64 v4, v6, -1, vcc
	v_cmp_lt_i32_e32 vcc, -1, v15
	v_xor_b32_e32 v7, v4, v14
	v_mov_b32_e32 v9, 0
	v_cndmask_b32_e64 v4, v6, -1, vcc
	v_xor_b32_e32 v6, v4, v15
	s_andn2_b64 vcc, exec, s[30:31]
	v_lshl_add_u64 v[4:5], s[0:1], 0, v[8:9]
	s_cbranch_vccnz .LBB203_38
; %bb.37:
	s_add_u32 s0, s42, s28
	s_addc_u32 s1, s43, s29
	global_store_dword v[4:5], v12, off
	global_store_dword v[4:5], v11, off offset:1024
	global_store_dword v[4:5], v7, off offset:2048
	;; [unrolled: 1-line block ×3, first 2 shown]
	s_waitcnt lgkmcnt(1)
	global_store_dword v8, v2, s[0:1]
	global_store_dword v8, v3, s[0:1] offset:1024
	s_waitcnt lgkmcnt(0)
	global_store_dword v8, v0, s[0:1] offset:2048
	s_mov_b64 s[4:5], -1
	s_cbranch_execz .LBB203_39
	s_branch .LBB203_52
.LBB203_38:
	s_mov_b64 s[4:5], 0
.LBB203_39:
	v_cmp_gt_u32_e32 vcc, s33, v10
	s_and_saveexec_b64 s[0:1], vcc
	s_cbranch_execz .LBB203_41
; %bb.40:
	global_store_dword v[4:5], v12, off
.LBB203_41:
	s_or_b64 exec, exec, s[0:1]
	v_add_u32_e32 v9, 0x100, v10
	v_cmp_gt_u32_e64 s[0:1], s33, v9
	s_and_saveexec_b64 s[2:3], s[0:1]
	s_cbranch_execz .LBB203_43
; %bb.42:
	global_store_dword v[4:5], v11, off offset:1024
.LBB203_43:
	s_or_b64 exec, exec, s[2:3]
	v_add_u32_e32 v9, 0x200, v10
	v_cmp_gt_u32_e64 s[2:3], s33, v9
	s_and_saveexec_b64 s[4:5], s[2:3]
	s_cbranch_execz .LBB203_45
; %bb.44:
	global_store_dword v[4:5], v7, off offset:2048
.LBB203_45:
	;; [unrolled: 8-line block ×3, first 2 shown]
	s_or_b64 exec, exec, s[6:7]
	s_add_u32 s6, s42, s28
	s_addc_u32 s7, s43, s29
	v_mov_b32_e32 v9, 0
	v_lshl_add_u64 v[4:5], s[6:7], 0, v[8:9]
	s_and_saveexec_b64 s[6:7], vcc
	s_cbranch_execnz .LBB203_57
; %bb.48:
	s_or_b64 exec, exec, s[6:7]
	s_and_saveexec_b64 s[6:7], s[0:1]
	s_cbranch_execnz .LBB203_58
.LBB203_49:
	s_or_b64 exec, exec, s[6:7]
	s_and_saveexec_b64 s[0:1], s[2:3]
	s_cbranch_execz .LBB203_51
.LBB203_50:
	s_waitcnt lgkmcnt(0)
	global_store_dword v[4:5], v0, off offset:2048
.LBB203_51:
	s_or_b64 exec, exec, s[0:1]
.LBB203_52:
	s_and_saveexec_b64 s[0:1], s[4:5]
	s_cbranch_execnz .LBB203_54
; %bb.53:
	s_endpgm
.LBB203_54:
	s_add_u32 s0, s42, s28
	s_addc_u32 s1, s43, s29
	s_waitcnt lgkmcnt(0)
	global_store_dword v8, v1, s[0:1] offset:3072
	s_endpgm
.LBB203_55:
	global_load_dword v32, v[14:15], off
	v_mov_b32_e32 v33, v13
	v_mov_b32_e32 v34, v13
	;; [unrolled: 1-line block ×3, first 2 shown]
	s_or_b64 exec, exec, s[8:9]
	s_and_saveexec_b64 s[8:9], s[2:3]
	s_cbranch_execz .LBB203_13
.LBB203_56:
	global_load_dword v33, v[14:15], off offset:256
	s_or_b64 exec, exec, s[8:9]
	s_and_saveexec_b64 s[2:3], s[4:5]
	s_cbranch_execnz .LBB203_14
	s_branch .LBB203_15
.LBB203_57:
	s_waitcnt lgkmcnt(1)
	global_store_dword v[4:5], v2, off
	s_or_b64 exec, exec, s[6:7]
	s_and_saveexec_b64 s[6:7], s[0:1]
	s_cbranch_execz .LBB203_49
.LBB203_58:
	s_waitcnt lgkmcnt(1)
	global_store_dword v[4:5], v3, off offset:1024
	s_or_b64 exec, exec, s[6:7]
	s_and_saveexec_b64 s[0:1], s[2:3]
	s_cbranch_execnz .LBB203_50
	s_branch .LBB203_51
	.section	.rodata,"a",@progbits
	.p2align	6, 0x0
	.amdhsa_kernel _ZN7rocprim17ROCPRIM_400000_NS6detail17trampoline_kernelINS0_13kernel_configILj256ELj4ELj4294967295EEENS1_37radix_sort_block_sort_config_selectorIffEEZNS1_21radix_sort_block_sortIS4_Lb0EN6thrust23THRUST_200600_302600_NS6detail15normal_iteratorINS9_10device_ptrIfEEEESE_SE_SE_NS0_19identity_decomposerEEE10hipError_tT1_T2_T3_T4_jRjT5_jjP12ihipStream_tbEUlT_E_NS1_11comp_targetILNS1_3genE0ELNS1_11target_archE4294967295ELNS1_3gpuE0ELNS1_3repE0EEENS1_44radix_sort_block_sort_config_static_selectorELNS0_4arch9wavefront6targetE1EEEvSH_
		.amdhsa_group_segment_fixed_size 4112
		.amdhsa_private_segment_fixed_size 0
		.amdhsa_kernarg_size 304
		.amdhsa_user_sgpr_count 2
		.amdhsa_user_sgpr_dispatch_ptr 0
		.amdhsa_user_sgpr_queue_ptr 0
		.amdhsa_user_sgpr_kernarg_segment_ptr 1
		.amdhsa_user_sgpr_dispatch_id 0
		.amdhsa_user_sgpr_kernarg_preload_length 0
		.amdhsa_user_sgpr_kernarg_preload_offset 0
		.amdhsa_user_sgpr_private_segment_size 0
		.amdhsa_uses_dynamic_stack 0
		.amdhsa_enable_private_segment 0
		.amdhsa_system_sgpr_workgroup_id_x 1
		.amdhsa_system_sgpr_workgroup_id_y 0
		.amdhsa_system_sgpr_workgroup_id_z 0
		.amdhsa_system_sgpr_workgroup_info 0
		.amdhsa_system_vgpr_workitem_id 2
		.amdhsa_next_free_vgpr 41
		.amdhsa_next_free_sgpr 46
		.amdhsa_accum_offset 44
		.amdhsa_reserve_vcc 1
		.amdhsa_float_round_mode_32 0
		.amdhsa_float_round_mode_16_64 0
		.amdhsa_float_denorm_mode_32 3
		.amdhsa_float_denorm_mode_16_64 3
		.amdhsa_dx10_clamp 1
		.amdhsa_ieee_mode 1
		.amdhsa_fp16_overflow 0
		.amdhsa_tg_split 0
		.amdhsa_exception_fp_ieee_invalid_op 0
		.amdhsa_exception_fp_denorm_src 0
		.amdhsa_exception_fp_ieee_div_zero 0
		.amdhsa_exception_fp_ieee_overflow 0
		.amdhsa_exception_fp_ieee_underflow 0
		.amdhsa_exception_fp_ieee_inexact 0
		.amdhsa_exception_int_div_zero 0
	.end_amdhsa_kernel
	.section	.text._ZN7rocprim17ROCPRIM_400000_NS6detail17trampoline_kernelINS0_13kernel_configILj256ELj4ELj4294967295EEENS1_37radix_sort_block_sort_config_selectorIffEEZNS1_21radix_sort_block_sortIS4_Lb0EN6thrust23THRUST_200600_302600_NS6detail15normal_iteratorINS9_10device_ptrIfEEEESE_SE_SE_NS0_19identity_decomposerEEE10hipError_tT1_T2_T3_T4_jRjT5_jjP12ihipStream_tbEUlT_E_NS1_11comp_targetILNS1_3genE0ELNS1_11target_archE4294967295ELNS1_3gpuE0ELNS1_3repE0EEENS1_44radix_sort_block_sort_config_static_selectorELNS0_4arch9wavefront6targetE1EEEvSH_,"axG",@progbits,_ZN7rocprim17ROCPRIM_400000_NS6detail17trampoline_kernelINS0_13kernel_configILj256ELj4ELj4294967295EEENS1_37radix_sort_block_sort_config_selectorIffEEZNS1_21radix_sort_block_sortIS4_Lb0EN6thrust23THRUST_200600_302600_NS6detail15normal_iteratorINS9_10device_ptrIfEEEESE_SE_SE_NS0_19identity_decomposerEEE10hipError_tT1_T2_T3_T4_jRjT5_jjP12ihipStream_tbEUlT_E_NS1_11comp_targetILNS1_3genE0ELNS1_11target_archE4294967295ELNS1_3gpuE0ELNS1_3repE0EEENS1_44radix_sort_block_sort_config_static_selectorELNS0_4arch9wavefront6targetE1EEEvSH_,comdat
.Lfunc_end203:
	.size	_ZN7rocprim17ROCPRIM_400000_NS6detail17trampoline_kernelINS0_13kernel_configILj256ELj4ELj4294967295EEENS1_37radix_sort_block_sort_config_selectorIffEEZNS1_21radix_sort_block_sortIS4_Lb0EN6thrust23THRUST_200600_302600_NS6detail15normal_iteratorINS9_10device_ptrIfEEEESE_SE_SE_NS0_19identity_decomposerEEE10hipError_tT1_T2_T3_T4_jRjT5_jjP12ihipStream_tbEUlT_E_NS1_11comp_targetILNS1_3genE0ELNS1_11target_archE4294967295ELNS1_3gpuE0ELNS1_3repE0EEENS1_44radix_sort_block_sort_config_static_selectorELNS0_4arch9wavefront6targetE1EEEvSH_, .Lfunc_end203-_ZN7rocprim17ROCPRIM_400000_NS6detail17trampoline_kernelINS0_13kernel_configILj256ELj4ELj4294967295EEENS1_37radix_sort_block_sort_config_selectorIffEEZNS1_21radix_sort_block_sortIS4_Lb0EN6thrust23THRUST_200600_302600_NS6detail15normal_iteratorINS9_10device_ptrIfEEEESE_SE_SE_NS0_19identity_decomposerEEE10hipError_tT1_T2_T3_T4_jRjT5_jjP12ihipStream_tbEUlT_E_NS1_11comp_targetILNS1_3genE0ELNS1_11target_archE4294967295ELNS1_3gpuE0ELNS1_3repE0EEENS1_44radix_sort_block_sort_config_static_selectorELNS0_4arch9wavefront6targetE1EEEvSH_
                                        ; -- End function
	.set _ZN7rocprim17ROCPRIM_400000_NS6detail17trampoline_kernelINS0_13kernel_configILj256ELj4ELj4294967295EEENS1_37radix_sort_block_sort_config_selectorIffEEZNS1_21radix_sort_block_sortIS4_Lb0EN6thrust23THRUST_200600_302600_NS6detail15normal_iteratorINS9_10device_ptrIfEEEESE_SE_SE_NS0_19identity_decomposerEEE10hipError_tT1_T2_T3_T4_jRjT5_jjP12ihipStream_tbEUlT_E_NS1_11comp_targetILNS1_3genE0ELNS1_11target_archE4294967295ELNS1_3gpuE0ELNS1_3repE0EEENS1_44radix_sort_block_sort_config_static_selectorELNS0_4arch9wavefront6targetE1EEEvSH_.num_vgpr, 41
	.set _ZN7rocprim17ROCPRIM_400000_NS6detail17trampoline_kernelINS0_13kernel_configILj256ELj4ELj4294967295EEENS1_37radix_sort_block_sort_config_selectorIffEEZNS1_21radix_sort_block_sortIS4_Lb0EN6thrust23THRUST_200600_302600_NS6detail15normal_iteratorINS9_10device_ptrIfEEEESE_SE_SE_NS0_19identity_decomposerEEE10hipError_tT1_T2_T3_T4_jRjT5_jjP12ihipStream_tbEUlT_E_NS1_11comp_targetILNS1_3genE0ELNS1_11target_archE4294967295ELNS1_3gpuE0ELNS1_3repE0EEENS1_44radix_sort_block_sort_config_static_selectorELNS0_4arch9wavefront6targetE1EEEvSH_.num_agpr, 0
	.set _ZN7rocprim17ROCPRIM_400000_NS6detail17trampoline_kernelINS0_13kernel_configILj256ELj4ELj4294967295EEENS1_37radix_sort_block_sort_config_selectorIffEEZNS1_21radix_sort_block_sortIS4_Lb0EN6thrust23THRUST_200600_302600_NS6detail15normal_iteratorINS9_10device_ptrIfEEEESE_SE_SE_NS0_19identity_decomposerEEE10hipError_tT1_T2_T3_T4_jRjT5_jjP12ihipStream_tbEUlT_E_NS1_11comp_targetILNS1_3genE0ELNS1_11target_archE4294967295ELNS1_3gpuE0ELNS1_3repE0EEENS1_44radix_sort_block_sort_config_static_selectorELNS0_4arch9wavefront6targetE1EEEvSH_.numbered_sgpr, 46
	.set _ZN7rocprim17ROCPRIM_400000_NS6detail17trampoline_kernelINS0_13kernel_configILj256ELj4ELj4294967295EEENS1_37radix_sort_block_sort_config_selectorIffEEZNS1_21radix_sort_block_sortIS4_Lb0EN6thrust23THRUST_200600_302600_NS6detail15normal_iteratorINS9_10device_ptrIfEEEESE_SE_SE_NS0_19identity_decomposerEEE10hipError_tT1_T2_T3_T4_jRjT5_jjP12ihipStream_tbEUlT_E_NS1_11comp_targetILNS1_3genE0ELNS1_11target_archE4294967295ELNS1_3gpuE0ELNS1_3repE0EEENS1_44radix_sort_block_sort_config_static_selectorELNS0_4arch9wavefront6targetE1EEEvSH_.num_named_barrier, 0
	.set _ZN7rocprim17ROCPRIM_400000_NS6detail17trampoline_kernelINS0_13kernel_configILj256ELj4ELj4294967295EEENS1_37radix_sort_block_sort_config_selectorIffEEZNS1_21radix_sort_block_sortIS4_Lb0EN6thrust23THRUST_200600_302600_NS6detail15normal_iteratorINS9_10device_ptrIfEEEESE_SE_SE_NS0_19identity_decomposerEEE10hipError_tT1_T2_T3_T4_jRjT5_jjP12ihipStream_tbEUlT_E_NS1_11comp_targetILNS1_3genE0ELNS1_11target_archE4294967295ELNS1_3gpuE0ELNS1_3repE0EEENS1_44radix_sort_block_sort_config_static_selectorELNS0_4arch9wavefront6targetE1EEEvSH_.private_seg_size, 0
	.set _ZN7rocprim17ROCPRIM_400000_NS6detail17trampoline_kernelINS0_13kernel_configILj256ELj4ELj4294967295EEENS1_37radix_sort_block_sort_config_selectorIffEEZNS1_21radix_sort_block_sortIS4_Lb0EN6thrust23THRUST_200600_302600_NS6detail15normal_iteratorINS9_10device_ptrIfEEEESE_SE_SE_NS0_19identity_decomposerEEE10hipError_tT1_T2_T3_T4_jRjT5_jjP12ihipStream_tbEUlT_E_NS1_11comp_targetILNS1_3genE0ELNS1_11target_archE4294967295ELNS1_3gpuE0ELNS1_3repE0EEENS1_44radix_sort_block_sort_config_static_selectorELNS0_4arch9wavefront6targetE1EEEvSH_.uses_vcc, 1
	.set _ZN7rocprim17ROCPRIM_400000_NS6detail17trampoline_kernelINS0_13kernel_configILj256ELj4ELj4294967295EEENS1_37radix_sort_block_sort_config_selectorIffEEZNS1_21radix_sort_block_sortIS4_Lb0EN6thrust23THRUST_200600_302600_NS6detail15normal_iteratorINS9_10device_ptrIfEEEESE_SE_SE_NS0_19identity_decomposerEEE10hipError_tT1_T2_T3_T4_jRjT5_jjP12ihipStream_tbEUlT_E_NS1_11comp_targetILNS1_3genE0ELNS1_11target_archE4294967295ELNS1_3gpuE0ELNS1_3repE0EEENS1_44radix_sort_block_sort_config_static_selectorELNS0_4arch9wavefront6targetE1EEEvSH_.uses_flat_scratch, 0
	.set _ZN7rocprim17ROCPRIM_400000_NS6detail17trampoline_kernelINS0_13kernel_configILj256ELj4ELj4294967295EEENS1_37radix_sort_block_sort_config_selectorIffEEZNS1_21radix_sort_block_sortIS4_Lb0EN6thrust23THRUST_200600_302600_NS6detail15normal_iteratorINS9_10device_ptrIfEEEESE_SE_SE_NS0_19identity_decomposerEEE10hipError_tT1_T2_T3_T4_jRjT5_jjP12ihipStream_tbEUlT_E_NS1_11comp_targetILNS1_3genE0ELNS1_11target_archE4294967295ELNS1_3gpuE0ELNS1_3repE0EEENS1_44radix_sort_block_sort_config_static_selectorELNS0_4arch9wavefront6targetE1EEEvSH_.has_dyn_sized_stack, 0
	.set _ZN7rocprim17ROCPRIM_400000_NS6detail17trampoline_kernelINS0_13kernel_configILj256ELj4ELj4294967295EEENS1_37radix_sort_block_sort_config_selectorIffEEZNS1_21radix_sort_block_sortIS4_Lb0EN6thrust23THRUST_200600_302600_NS6detail15normal_iteratorINS9_10device_ptrIfEEEESE_SE_SE_NS0_19identity_decomposerEEE10hipError_tT1_T2_T3_T4_jRjT5_jjP12ihipStream_tbEUlT_E_NS1_11comp_targetILNS1_3genE0ELNS1_11target_archE4294967295ELNS1_3gpuE0ELNS1_3repE0EEENS1_44radix_sort_block_sort_config_static_selectorELNS0_4arch9wavefront6targetE1EEEvSH_.has_recursion, 0
	.set _ZN7rocprim17ROCPRIM_400000_NS6detail17trampoline_kernelINS0_13kernel_configILj256ELj4ELj4294967295EEENS1_37radix_sort_block_sort_config_selectorIffEEZNS1_21radix_sort_block_sortIS4_Lb0EN6thrust23THRUST_200600_302600_NS6detail15normal_iteratorINS9_10device_ptrIfEEEESE_SE_SE_NS0_19identity_decomposerEEE10hipError_tT1_T2_T3_T4_jRjT5_jjP12ihipStream_tbEUlT_E_NS1_11comp_targetILNS1_3genE0ELNS1_11target_archE4294967295ELNS1_3gpuE0ELNS1_3repE0EEENS1_44radix_sort_block_sort_config_static_selectorELNS0_4arch9wavefront6targetE1EEEvSH_.has_indirect_call, 0
	.section	.AMDGPU.csdata,"",@progbits
; Kernel info:
; codeLenInByte = 3936
; TotalNumSgprs: 52
; NumVgprs: 41
; NumAgprs: 0
; TotalNumVgprs: 41
; ScratchSize: 0
; MemoryBound: 0
; FloatMode: 240
; IeeeMode: 1
; LDSByteSize: 4112 bytes/workgroup (compile time only)
; SGPRBlocks: 6
; VGPRBlocks: 5
; NumSGPRsForWavesPerEU: 52
; NumVGPRsForWavesPerEU: 41
; AccumOffset: 44
; Occupancy: 8
; WaveLimiterHint : 1
; COMPUTE_PGM_RSRC2:SCRATCH_EN: 0
; COMPUTE_PGM_RSRC2:USER_SGPR: 2
; COMPUTE_PGM_RSRC2:TRAP_HANDLER: 0
; COMPUTE_PGM_RSRC2:TGID_X_EN: 1
; COMPUTE_PGM_RSRC2:TGID_Y_EN: 0
; COMPUTE_PGM_RSRC2:TGID_Z_EN: 0
; COMPUTE_PGM_RSRC2:TIDIG_COMP_CNT: 2
; COMPUTE_PGM_RSRC3_GFX90A:ACCUM_OFFSET: 10
; COMPUTE_PGM_RSRC3_GFX90A:TG_SPLIT: 0
	.section	.text._ZN7rocprim17ROCPRIM_400000_NS6detail17trampoline_kernelINS0_13kernel_configILj256ELj4ELj4294967295EEENS1_37radix_sort_block_sort_config_selectorIffEEZNS1_21radix_sort_block_sortIS4_Lb0EN6thrust23THRUST_200600_302600_NS6detail15normal_iteratorINS9_10device_ptrIfEEEESE_SE_SE_NS0_19identity_decomposerEEE10hipError_tT1_T2_T3_T4_jRjT5_jjP12ihipStream_tbEUlT_E_NS1_11comp_targetILNS1_3genE5ELNS1_11target_archE942ELNS1_3gpuE9ELNS1_3repE0EEENS1_44radix_sort_block_sort_config_static_selectorELNS0_4arch9wavefront6targetE1EEEvSH_,"axG",@progbits,_ZN7rocprim17ROCPRIM_400000_NS6detail17trampoline_kernelINS0_13kernel_configILj256ELj4ELj4294967295EEENS1_37radix_sort_block_sort_config_selectorIffEEZNS1_21radix_sort_block_sortIS4_Lb0EN6thrust23THRUST_200600_302600_NS6detail15normal_iteratorINS9_10device_ptrIfEEEESE_SE_SE_NS0_19identity_decomposerEEE10hipError_tT1_T2_T3_T4_jRjT5_jjP12ihipStream_tbEUlT_E_NS1_11comp_targetILNS1_3genE5ELNS1_11target_archE942ELNS1_3gpuE9ELNS1_3repE0EEENS1_44radix_sort_block_sort_config_static_selectorELNS0_4arch9wavefront6targetE1EEEvSH_,comdat
	.protected	_ZN7rocprim17ROCPRIM_400000_NS6detail17trampoline_kernelINS0_13kernel_configILj256ELj4ELj4294967295EEENS1_37radix_sort_block_sort_config_selectorIffEEZNS1_21radix_sort_block_sortIS4_Lb0EN6thrust23THRUST_200600_302600_NS6detail15normal_iteratorINS9_10device_ptrIfEEEESE_SE_SE_NS0_19identity_decomposerEEE10hipError_tT1_T2_T3_T4_jRjT5_jjP12ihipStream_tbEUlT_E_NS1_11comp_targetILNS1_3genE5ELNS1_11target_archE942ELNS1_3gpuE9ELNS1_3repE0EEENS1_44radix_sort_block_sort_config_static_selectorELNS0_4arch9wavefront6targetE1EEEvSH_ ; -- Begin function _ZN7rocprim17ROCPRIM_400000_NS6detail17trampoline_kernelINS0_13kernel_configILj256ELj4ELj4294967295EEENS1_37radix_sort_block_sort_config_selectorIffEEZNS1_21radix_sort_block_sortIS4_Lb0EN6thrust23THRUST_200600_302600_NS6detail15normal_iteratorINS9_10device_ptrIfEEEESE_SE_SE_NS0_19identity_decomposerEEE10hipError_tT1_T2_T3_T4_jRjT5_jjP12ihipStream_tbEUlT_E_NS1_11comp_targetILNS1_3genE5ELNS1_11target_archE942ELNS1_3gpuE9ELNS1_3repE0EEENS1_44radix_sort_block_sort_config_static_selectorELNS0_4arch9wavefront6targetE1EEEvSH_
	.globl	_ZN7rocprim17ROCPRIM_400000_NS6detail17trampoline_kernelINS0_13kernel_configILj256ELj4ELj4294967295EEENS1_37radix_sort_block_sort_config_selectorIffEEZNS1_21radix_sort_block_sortIS4_Lb0EN6thrust23THRUST_200600_302600_NS6detail15normal_iteratorINS9_10device_ptrIfEEEESE_SE_SE_NS0_19identity_decomposerEEE10hipError_tT1_T2_T3_T4_jRjT5_jjP12ihipStream_tbEUlT_E_NS1_11comp_targetILNS1_3genE5ELNS1_11target_archE942ELNS1_3gpuE9ELNS1_3repE0EEENS1_44radix_sort_block_sort_config_static_selectorELNS0_4arch9wavefront6targetE1EEEvSH_
	.p2align	8
	.type	_ZN7rocprim17ROCPRIM_400000_NS6detail17trampoline_kernelINS0_13kernel_configILj256ELj4ELj4294967295EEENS1_37radix_sort_block_sort_config_selectorIffEEZNS1_21radix_sort_block_sortIS4_Lb0EN6thrust23THRUST_200600_302600_NS6detail15normal_iteratorINS9_10device_ptrIfEEEESE_SE_SE_NS0_19identity_decomposerEEE10hipError_tT1_T2_T3_T4_jRjT5_jjP12ihipStream_tbEUlT_E_NS1_11comp_targetILNS1_3genE5ELNS1_11target_archE942ELNS1_3gpuE9ELNS1_3repE0EEENS1_44radix_sort_block_sort_config_static_selectorELNS0_4arch9wavefront6targetE1EEEvSH_,@function
_ZN7rocprim17ROCPRIM_400000_NS6detail17trampoline_kernelINS0_13kernel_configILj256ELj4ELj4294967295EEENS1_37radix_sort_block_sort_config_selectorIffEEZNS1_21radix_sort_block_sortIS4_Lb0EN6thrust23THRUST_200600_302600_NS6detail15normal_iteratorINS9_10device_ptrIfEEEESE_SE_SE_NS0_19identity_decomposerEEE10hipError_tT1_T2_T3_T4_jRjT5_jjP12ihipStream_tbEUlT_E_NS1_11comp_targetILNS1_3genE5ELNS1_11target_archE942ELNS1_3gpuE9ELNS1_3repE0EEENS1_44radix_sort_block_sort_config_static_selectorELNS0_4arch9wavefront6targetE1EEEvSH_: ; @_ZN7rocprim17ROCPRIM_400000_NS6detail17trampoline_kernelINS0_13kernel_configILj256ELj4ELj4294967295EEENS1_37radix_sort_block_sort_config_selectorIffEEZNS1_21radix_sort_block_sortIS4_Lb0EN6thrust23THRUST_200600_302600_NS6detail15normal_iteratorINS9_10device_ptrIfEEEESE_SE_SE_NS0_19identity_decomposerEEE10hipError_tT1_T2_T3_T4_jRjT5_jjP12ihipStream_tbEUlT_E_NS1_11comp_targetILNS1_3genE5ELNS1_11target_archE942ELNS1_3gpuE9ELNS1_3repE0EEENS1_44radix_sort_block_sort_config_static_selectorELNS0_4arch9wavefront6targetE1EEEvSH_
; %bb.0:
	.section	.rodata,"a",@progbits
	.p2align	6, 0x0
	.amdhsa_kernel _ZN7rocprim17ROCPRIM_400000_NS6detail17trampoline_kernelINS0_13kernel_configILj256ELj4ELj4294967295EEENS1_37radix_sort_block_sort_config_selectorIffEEZNS1_21radix_sort_block_sortIS4_Lb0EN6thrust23THRUST_200600_302600_NS6detail15normal_iteratorINS9_10device_ptrIfEEEESE_SE_SE_NS0_19identity_decomposerEEE10hipError_tT1_T2_T3_T4_jRjT5_jjP12ihipStream_tbEUlT_E_NS1_11comp_targetILNS1_3genE5ELNS1_11target_archE942ELNS1_3gpuE9ELNS1_3repE0EEENS1_44radix_sort_block_sort_config_static_selectorELNS0_4arch9wavefront6targetE1EEEvSH_
		.amdhsa_group_segment_fixed_size 0
		.amdhsa_private_segment_fixed_size 0
		.amdhsa_kernarg_size 48
		.amdhsa_user_sgpr_count 2
		.amdhsa_user_sgpr_dispatch_ptr 0
		.amdhsa_user_sgpr_queue_ptr 0
		.amdhsa_user_sgpr_kernarg_segment_ptr 1
		.amdhsa_user_sgpr_dispatch_id 0
		.amdhsa_user_sgpr_kernarg_preload_length 0
		.amdhsa_user_sgpr_kernarg_preload_offset 0
		.amdhsa_user_sgpr_private_segment_size 0
		.amdhsa_uses_dynamic_stack 0
		.amdhsa_enable_private_segment 0
		.amdhsa_system_sgpr_workgroup_id_x 1
		.amdhsa_system_sgpr_workgroup_id_y 0
		.amdhsa_system_sgpr_workgroup_id_z 0
		.amdhsa_system_sgpr_workgroup_info 0
		.amdhsa_system_vgpr_workitem_id 0
		.amdhsa_next_free_vgpr 1
		.amdhsa_next_free_sgpr 0
		.amdhsa_accum_offset 4
		.amdhsa_reserve_vcc 0
		.amdhsa_float_round_mode_32 0
		.amdhsa_float_round_mode_16_64 0
		.amdhsa_float_denorm_mode_32 3
		.amdhsa_float_denorm_mode_16_64 3
		.amdhsa_dx10_clamp 1
		.amdhsa_ieee_mode 1
		.amdhsa_fp16_overflow 0
		.amdhsa_tg_split 0
		.amdhsa_exception_fp_ieee_invalid_op 0
		.amdhsa_exception_fp_denorm_src 0
		.amdhsa_exception_fp_ieee_div_zero 0
		.amdhsa_exception_fp_ieee_overflow 0
		.amdhsa_exception_fp_ieee_underflow 0
		.amdhsa_exception_fp_ieee_inexact 0
		.amdhsa_exception_int_div_zero 0
	.end_amdhsa_kernel
	.section	.text._ZN7rocprim17ROCPRIM_400000_NS6detail17trampoline_kernelINS0_13kernel_configILj256ELj4ELj4294967295EEENS1_37radix_sort_block_sort_config_selectorIffEEZNS1_21radix_sort_block_sortIS4_Lb0EN6thrust23THRUST_200600_302600_NS6detail15normal_iteratorINS9_10device_ptrIfEEEESE_SE_SE_NS0_19identity_decomposerEEE10hipError_tT1_T2_T3_T4_jRjT5_jjP12ihipStream_tbEUlT_E_NS1_11comp_targetILNS1_3genE5ELNS1_11target_archE942ELNS1_3gpuE9ELNS1_3repE0EEENS1_44radix_sort_block_sort_config_static_selectorELNS0_4arch9wavefront6targetE1EEEvSH_,"axG",@progbits,_ZN7rocprim17ROCPRIM_400000_NS6detail17trampoline_kernelINS0_13kernel_configILj256ELj4ELj4294967295EEENS1_37radix_sort_block_sort_config_selectorIffEEZNS1_21radix_sort_block_sortIS4_Lb0EN6thrust23THRUST_200600_302600_NS6detail15normal_iteratorINS9_10device_ptrIfEEEESE_SE_SE_NS0_19identity_decomposerEEE10hipError_tT1_T2_T3_T4_jRjT5_jjP12ihipStream_tbEUlT_E_NS1_11comp_targetILNS1_3genE5ELNS1_11target_archE942ELNS1_3gpuE9ELNS1_3repE0EEENS1_44radix_sort_block_sort_config_static_selectorELNS0_4arch9wavefront6targetE1EEEvSH_,comdat
.Lfunc_end204:
	.size	_ZN7rocprim17ROCPRIM_400000_NS6detail17trampoline_kernelINS0_13kernel_configILj256ELj4ELj4294967295EEENS1_37radix_sort_block_sort_config_selectorIffEEZNS1_21radix_sort_block_sortIS4_Lb0EN6thrust23THRUST_200600_302600_NS6detail15normal_iteratorINS9_10device_ptrIfEEEESE_SE_SE_NS0_19identity_decomposerEEE10hipError_tT1_T2_T3_T4_jRjT5_jjP12ihipStream_tbEUlT_E_NS1_11comp_targetILNS1_3genE5ELNS1_11target_archE942ELNS1_3gpuE9ELNS1_3repE0EEENS1_44radix_sort_block_sort_config_static_selectorELNS0_4arch9wavefront6targetE1EEEvSH_, .Lfunc_end204-_ZN7rocprim17ROCPRIM_400000_NS6detail17trampoline_kernelINS0_13kernel_configILj256ELj4ELj4294967295EEENS1_37radix_sort_block_sort_config_selectorIffEEZNS1_21radix_sort_block_sortIS4_Lb0EN6thrust23THRUST_200600_302600_NS6detail15normal_iteratorINS9_10device_ptrIfEEEESE_SE_SE_NS0_19identity_decomposerEEE10hipError_tT1_T2_T3_T4_jRjT5_jjP12ihipStream_tbEUlT_E_NS1_11comp_targetILNS1_3genE5ELNS1_11target_archE942ELNS1_3gpuE9ELNS1_3repE0EEENS1_44radix_sort_block_sort_config_static_selectorELNS0_4arch9wavefront6targetE1EEEvSH_
                                        ; -- End function
	.set _ZN7rocprim17ROCPRIM_400000_NS6detail17trampoline_kernelINS0_13kernel_configILj256ELj4ELj4294967295EEENS1_37radix_sort_block_sort_config_selectorIffEEZNS1_21radix_sort_block_sortIS4_Lb0EN6thrust23THRUST_200600_302600_NS6detail15normal_iteratorINS9_10device_ptrIfEEEESE_SE_SE_NS0_19identity_decomposerEEE10hipError_tT1_T2_T3_T4_jRjT5_jjP12ihipStream_tbEUlT_E_NS1_11comp_targetILNS1_3genE5ELNS1_11target_archE942ELNS1_3gpuE9ELNS1_3repE0EEENS1_44radix_sort_block_sort_config_static_selectorELNS0_4arch9wavefront6targetE1EEEvSH_.num_vgpr, 0
	.set _ZN7rocprim17ROCPRIM_400000_NS6detail17trampoline_kernelINS0_13kernel_configILj256ELj4ELj4294967295EEENS1_37radix_sort_block_sort_config_selectorIffEEZNS1_21radix_sort_block_sortIS4_Lb0EN6thrust23THRUST_200600_302600_NS6detail15normal_iteratorINS9_10device_ptrIfEEEESE_SE_SE_NS0_19identity_decomposerEEE10hipError_tT1_T2_T3_T4_jRjT5_jjP12ihipStream_tbEUlT_E_NS1_11comp_targetILNS1_3genE5ELNS1_11target_archE942ELNS1_3gpuE9ELNS1_3repE0EEENS1_44radix_sort_block_sort_config_static_selectorELNS0_4arch9wavefront6targetE1EEEvSH_.num_agpr, 0
	.set _ZN7rocprim17ROCPRIM_400000_NS6detail17trampoline_kernelINS0_13kernel_configILj256ELj4ELj4294967295EEENS1_37radix_sort_block_sort_config_selectorIffEEZNS1_21radix_sort_block_sortIS4_Lb0EN6thrust23THRUST_200600_302600_NS6detail15normal_iteratorINS9_10device_ptrIfEEEESE_SE_SE_NS0_19identity_decomposerEEE10hipError_tT1_T2_T3_T4_jRjT5_jjP12ihipStream_tbEUlT_E_NS1_11comp_targetILNS1_3genE5ELNS1_11target_archE942ELNS1_3gpuE9ELNS1_3repE0EEENS1_44radix_sort_block_sort_config_static_selectorELNS0_4arch9wavefront6targetE1EEEvSH_.numbered_sgpr, 0
	.set _ZN7rocprim17ROCPRIM_400000_NS6detail17trampoline_kernelINS0_13kernel_configILj256ELj4ELj4294967295EEENS1_37radix_sort_block_sort_config_selectorIffEEZNS1_21radix_sort_block_sortIS4_Lb0EN6thrust23THRUST_200600_302600_NS6detail15normal_iteratorINS9_10device_ptrIfEEEESE_SE_SE_NS0_19identity_decomposerEEE10hipError_tT1_T2_T3_T4_jRjT5_jjP12ihipStream_tbEUlT_E_NS1_11comp_targetILNS1_3genE5ELNS1_11target_archE942ELNS1_3gpuE9ELNS1_3repE0EEENS1_44radix_sort_block_sort_config_static_selectorELNS0_4arch9wavefront6targetE1EEEvSH_.num_named_barrier, 0
	.set _ZN7rocprim17ROCPRIM_400000_NS6detail17trampoline_kernelINS0_13kernel_configILj256ELj4ELj4294967295EEENS1_37radix_sort_block_sort_config_selectorIffEEZNS1_21radix_sort_block_sortIS4_Lb0EN6thrust23THRUST_200600_302600_NS6detail15normal_iteratorINS9_10device_ptrIfEEEESE_SE_SE_NS0_19identity_decomposerEEE10hipError_tT1_T2_T3_T4_jRjT5_jjP12ihipStream_tbEUlT_E_NS1_11comp_targetILNS1_3genE5ELNS1_11target_archE942ELNS1_3gpuE9ELNS1_3repE0EEENS1_44radix_sort_block_sort_config_static_selectorELNS0_4arch9wavefront6targetE1EEEvSH_.private_seg_size, 0
	.set _ZN7rocprim17ROCPRIM_400000_NS6detail17trampoline_kernelINS0_13kernel_configILj256ELj4ELj4294967295EEENS1_37radix_sort_block_sort_config_selectorIffEEZNS1_21radix_sort_block_sortIS4_Lb0EN6thrust23THRUST_200600_302600_NS6detail15normal_iteratorINS9_10device_ptrIfEEEESE_SE_SE_NS0_19identity_decomposerEEE10hipError_tT1_T2_T3_T4_jRjT5_jjP12ihipStream_tbEUlT_E_NS1_11comp_targetILNS1_3genE5ELNS1_11target_archE942ELNS1_3gpuE9ELNS1_3repE0EEENS1_44radix_sort_block_sort_config_static_selectorELNS0_4arch9wavefront6targetE1EEEvSH_.uses_vcc, 0
	.set _ZN7rocprim17ROCPRIM_400000_NS6detail17trampoline_kernelINS0_13kernel_configILj256ELj4ELj4294967295EEENS1_37radix_sort_block_sort_config_selectorIffEEZNS1_21radix_sort_block_sortIS4_Lb0EN6thrust23THRUST_200600_302600_NS6detail15normal_iteratorINS9_10device_ptrIfEEEESE_SE_SE_NS0_19identity_decomposerEEE10hipError_tT1_T2_T3_T4_jRjT5_jjP12ihipStream_tbEUlT_E_NS1_11comp_targetILNS1_3genE5ELNS1_11target_archE942ELNS1_3gpuE9ELNS1_3repE0EEENS1_44radix_sort_block_sort_config_static_selectorELNS0_4arch9wavefront6targetE1EEEvSH_.uses_flat_scratch, 0
	.set _ZN7rocprim17ROCPRIM_400000_NS6detail17trampoline_kernelINS0_13kernel_configILj256ELj4ELj4294967295EEENS1_37radix_sort_block_sort_config_selectorIffEEZNS1_21radix_sort_block_sortIS4_Lb0EN6thrust23THRUST_200600_302600_NS6detail15normal_iteratorINS9_10device_ptrIfEEEESE_SE_SE_NS0_19identity_decomposerEEE10hipError_tT1_T2_T3_T4_jRjT5_jjP12ihipStream_tbEUlT_E_NS1_11comp_targetILNS1_3genE5ELNS1_11target_archE942ELNS1_3gpuE9ELNS1_3repE0EEENS1_44radix_sort_block_sort_config_static_selectorELNS0_4arch9wavefront6targetE1EEEvSH_.has_dyn_sized_stack, 0
	.set _ZN7rocprim17ROCPRIM_400000_NS6detail17trampoline_kernelINS0_13kernel_configILj256ELj4ELj4294967295EEENS1_37radix_sort_block_sort_config_selectorIffEEZNS1_21radix_sort_block_sortIS4_Lb0EN6thrust23THRUST_200600_302600_NS6detail15normal_iteratorINS9_10device_ptrIfEEEESE_SE_SE_NS0_19identity_decomposerEEE10hipError_tT1_T2_T3_T4_jRjT5_jjP12ihipStream_tbEUlT_E_NS1_11comp_targetILNS1_3genE5ELNS1_11target_archE942ELNS1_3gpuE9ELNS1_3repE0EEENS1_44radix_sort_block_sort_config_static_selectorELNS0_4arch9wavefront6targetE1EEEvSH_.has_recursion, 0
	.set _ZN7rocprim17ROCPRIM_400000_NS6detail17trampoline_kernelINS0_13kernel_configILj256ELj4ELj4294967295EEENS1_37radix_sort_block_sort_config_selectorIffEEZNS1_21radix_sort_block_sortIS4_Lb0EN6thrust23THRUST_200600_302600_NS6detail15normal_iteratorINS9_10device_ptrIfEEEESE_SE_SE_NS0_19identity_decomposerEEE10hipError_tT1_T2_T3_T4_jRjT5_jjP12ihipStream_tbEUlT_E_NS1_11comp_targetILNS1_3genE5ELNS1_11target_archE942ELNS1_3gpuE9ELNS1_3repE0EEENS1_44radix_sort_block_sort_config_static_selectorELNS0_4arch9wavefront6targetE1EEEvSH_.has_indirect_call, 0
	.section	.AMDGPU.csdata,"",@progbits
; Kernel info:
; codeLenInByte = 0
; TotalNumSgprs: 6
; NumVgprs: 0
; NumAgprs: 0
; TotalNumVgprs: 0
; ScratchSize: 0
; MemoryBound: 0
; FloatMode: 240
; IeeeMode: 1
; LDSByteSize: 0 bytes/workgroup (compile time only)
; SGPRBlocks: 0
; VGPRBlocks: 0
; NumSGPRsForWavesPerEU: 6
; NumVGPRsForWavesPerEU: 1
; AccumOffset: 4
; Occupancy: 8
; WaveLimiterHint : 0
; COMPUTE_PGM_RSRC2:SCRATCH_EN: 0
; COMPUTE_PGM_RSRC2:USER_SGPR: 2
; COMPUTE_PGM_RSRC2:TRAP_HANDLER: 0
; COMPUTE_PGM_RSRC2:TGID_X_EN: 1
; COMPUTE_PGM_RSRC2:TGID_Y_EN: 0
; COMPUTE_PGM_RSRC2:TGID_Z_EN: 0
; COMPUTE_PGM_RSRC2:TIDIG_COMP_CNT: 0
; COMPUTE_PGM_RSRC3_GFX90A:ACCUM_OFFSET: 0
; COMPUTE_PGM_RSRC3_GFX90A:TG_SPLIT: 0
	.section	.text._ZN7rocprim17ROCPRIM_400000_NS6detail17trampoline_kernelINS0_13kernel_configILj256ELj4ELj4294967295EEENS1_37radix_sort_block_sort_config_selectorIffEEZNS1_21radix_sort_block_sortIS4_Lb0EN6thrust23THRUST_200600_302600_NS6detail15normal_iteratorINS9_10device_ptrIfEEEESE_SE_SE_NS0_19identity_decomposerEEE10hipError_tT1_T2_T3_T4_jRjT5_jjP12ihipStream_tbEUlT_E_NS1_11comp_targetILNS1_3genE4ELNS1_11target_archE910ELNS1_3gpuE8ELNS1_3repE0EEENS1_44radix_sort_block_sort_config_static_selectorELNS0_4arch9wavefront6targetE1EEEvSH_,"axG",@progbits,_ZN7rocprim17ROCPRIM_400000_NS6detail17trampoline_kernelINS0_13kernel_configILj256ELj4ELj4294967295EEENS1_37radix_sort_block_sort_config_selectorIffEEZNS1_21radix_sort_block_sortIS4_Lb0EN6thrust23THRUST_200600_302600_NS6detail15normal_iteratorINS9_10device_ptrIfEEEESE_SE_SE_NS0_19identity_decomposerEEE10hipError_tT1_T2_T3_T4_jRjT5_jjP12ihipStream_tbEUlT_E_NS1_11comp_targetILNS1_3genE4ELNS1_11target_archE910ELNS1_3gpuE8ELNS1_3repE0EEENS1_44radix_sort_block_sort_config_static_selectorELNS0_4arch9wavefront6targetE1EEEvSH_,comdat
	.protected	_ZN7rocprim17ROCPRIM_400000_NS6detail17trampoline_kernelINS0_13kernel_configILj256ELj4ELj4294967295EEENS1_37radix_sort_block_sort_config_selectorIffEEZNS1_21radix_sort_block_sortIS4_Lb0EN6thrust23THRUST_200600_302600_NS6detail15normal_iteratorINS9_10device_ptrIfEEEESE_SE_SE_NS0_19identity_decomposerEEE10hipError_tT1_T2_T3_T4_jRjT5_jjP12ihipStream_tbEUlT_E_NS1_11comp_targetILNS1_3genE4ELNS1_11target_archE910ELNS1_3gpuE8ELNS1_3repE0EEENS1_44radix_sort_block_sort_config_static_selectorELNS0_4arch9wavefront6targetE1EEEvSH_ ; -- Begin function _ZN7rocprim17ROCPRIM_400000_NS6detail17trampoline_kernelINS0_13kernel_configILj256ELj4ELj4294967295EEENS1_37radix_sort_block_sort_config_selectorIffEEZNS1_21radix_sort_block_sortIS4_Lb0EN6thrust23THRUST_200600_302600_NS6detail15normal_iteratorINS9_10device_ptrIfEEEESE_SE_SE_NS0_19identity_decomposerEEE10hipError_tT1_T2_T3_T4_jRjT5_jjP12ihipStream_tbEUlT_E_NS1_11comp_targetILNS1_3genE4ELNS1_11target_archE910ELNS1_3gpuE8ELNS1_3repE0EEENS1_44radix_sort_block_sort_config_static_selectorELNS0_4arch9wavefront6targetE1EEEvSH_
	.globl	_ZN7rocprim17ROCPRIM_400000_NS6detail17trampoline_kernelINS0_13kernel_configILj256ELj4ELj4294967295EEENS1_37radix_sort_block_sort_config_selectorIffEEZNS1_21radix_sort_block_sortIS4_Lb0EN6thrust23THRUST_200600_302600_NS6detail15normal_iteratorINS9_10device_ptrIfEEEESE_SE_SE_NS0_19identity_decomposerEEE10hipError_tT1_T2_T3_T4_jRjT5_jjP12ihipStream_tbEUlT_E_NS1_11comp_targetILNS1_3genE4ELNS1_11target_archE910ELNS1_3gpuE8ELNS1_3repE0EEENS1_44radix_sort_block_sort_config_static_selectorELNS0_4arch9wavefront6targetE1EEEvSH_
	.p2align	8
	.type	_ZN7rocprim17ROCPRIM_400000_NS6detail17trampoline_kernelINS0_13kernel_configILj256ELj4ELj4294967295EEENS1_37radix_sort_block_sort_config_selectorIffEEZNS1_21radix_sort_block_sortIS4_Lb0EN6thrust23THRUST_200600_302600_NS6detail15normal_iteratorINS9_10device_ptrIfEEEESE_SE_SE_NS0_19identity_decomposerEEE10hipError_tT1_T2_T3_T4_jRjT5_jjP12ihipStream_tbEUlT_E_NS1_11comp_targetILNS1_3genE4ELNS1_11target_archE910ELNS1_3gpuE8ELNS1_3repE0EEENS1_44radix_sort_block_sort_config_static_selectorELNS0_4arch9wavefront6targetE1EEEvSH_,@function
_ZN7rocprim17ROCPRIM_400000_NS6detail17trampoline_kernelINS0_13kernel_configILj256ELj4ELj4294967295EEENS1_37radix_sort_block_sort_config_selectorIffEEZNS1_21radix_sort_block_sortIS4_Lb0EN6thrust23THRUST_200600_302600_NS6detail15normal_iteratorINS9_10device_ptrIfEEEESE_SE_SE_NS0_19identity_decomposerEEE10hipError_tT1_T2_T3_T4_jRjT5_jjP12ihipStream_tbEUlT_E_NS1_11comp_targetILNS1_3genE4ELNS1_11target_archE910ELNS1_3gpuE8ELNS1_3repE0EEENS1_44radix_sort_block_sort_config_static_selectorELNS0_4arch9wavefront6targetE1EEEvSH_: ; @_ZN7rocprim17ROCPRIM_400000_NS6detail17trampoline_kernelINS0_13kernel_configILj256ELj4ELj4294967295EEENS1_37radix_sort_block_sort_config_selectorIffEEZNS1_21radix_sort_block_sortIS4_Lb0EN6thrust23THRUST_200600_302600_NS6detail15normal_iteratorINS9_10device_ptrIfEEEESE_SE_SE_NS0_19identity_decomposerEEE10hipError_tT1_T2_T3_T4_jRjT5_jjP12ihipStream_tbEUlT_E_NS1_11comp_targetILNS1_3genE4ELNS1_11target_archE910ELNS1_3gpuE8ELNS1_3repE0EEENS1_44radix_sort_block_sort_config_static_selectorELNS0_4arch9wavefront6targetE1EEEvSH_
; %bb.0:
	.section	.rodata,"a",@progbits
	.p2align	6, 0x0
	.amdhsa_kernel _ZN7rocprim17ROCPRIM_400000_NS6detail17trampoline_kernelINS0_13kernel_configILj256ELj4ELj4294967295EEENS1_37radix_sort_block_sort_config_selectorIffEEZNS1_21radix_sort_block_sortIS4_Lb0EN6thrust23THRUST_200600_302600_NS6detail15normal_iteratorINS9_10device_ptrIfEEEESE_SE_SE_NS0_19identity_decomposerEEE10hipError_tT1_T2_T3_T4_jRjT5_jjP12ihipStream_tbEUlT_E_NS1_11comp_targetILNS1_3genE4ELNS1_11target_archE910ELNS1_3gpuE8ELNS1_3repE0EEENS1_44radix_sort_block_sort_config_static_selectorELNS0_4arch9wavefront6targetE1EEEvSH_
		.amdhsa_group_segment_fixed_size 0
		.amdhsa_private_segment_fixed_size 0
		.amdhsa_kernarg_size 48
		.amdhsa_user_sgpr_count 2
		.amdhsa_user_sgpr_dispatch_ptr 0
		.amdhsa_user_sgpr_queue_ptr 0
		.amdhsa_user_sgpr_kernarg_segment_ptr 1
		.amdhsa_user_sgpr_dispatch_id 0
		.amdhsa_user_sgpr_kernarg_preload_length 0
		.amdhsa_user_sgpr_kernarg_preload_offset 0
		.amdhsa_user_sgpr_private_segment_size 0
		.amdhsa_uses_dynamic_stack 0
		.amdhsa_enable_private_segment 0
		.amdhsa_system_sgpr_workgroup_id_x 1
		.amdhsa_system_sgpr_workgroup_id_y 0
		.amdhsa_system_sgpr_workgroup_id_z 0
		.amdhsa_system_sgpr_workgroup_info 0
		.amdhsa_system_vgpr_workitem_id 0
		.amdhsa_next_free_vgpr 1
		.amdhsa_next_free_sgpr 0
		.amdhsa_accum_offset 4
		.amdhsa_reserve_vcc 0
		.amdhsa_float_round_mode_32 0
		.amdhsa_float_round_mode_16_64 0
		.amdhsa_float_denorm_mode_32 3
		.amdhsa_float_denorm_mode_16_64 3
		.amdhsa_dx10_clamp 1
		.amdhsa_ieee_mode 1
		.amdhsa_fp16_overflow 0
		.amdhsa_tg_split 0
		.amdhsa_exception_fp_ieee_invalid_op 0
		.amdhsa_exception_fp_denorm_src 0
		.amdhsa_exception_fp_ieee_div_zero 0
		.amdhsa_exception_fp_ieee_overflow 0
		.amdhsa_exception_fp_ieee_underflow 0
		.amdhsa_exception_fp_ieee_inexact 0
		.amdhsa_exception_int_div_zero 0
	.end_amdhsa_kernel
	.section	.text._ZN7rocprim17ROCPRIM_400000_NS6detail17trampoline_kernelINS0_13kernel_configILj256ELj4ELj4294967295EEENS1_37radix_sort_block_sort_config_selectorIffEEZNS1_21radix_sort_block_sortIS4_Lb0EN6thrust23THRUST_200600_302600_NS6detail15normal_iteratorINS9_10device_ptrIfEEEESE_SE_SE_NS0_19identity_decomposerEEE10hipError_tT1_T2_T3_T4_jRjT5_jjP12ihipStream_tbEUlT_E_NS1_11comp_targetILNS1_3genE4ELNS1_11target_archE910ELNS1_3gpuE8ELNS1_3repE0EEENS1_44radix_sort_block_sort_config_static_selectorELNS0_4arch9wavefront6targetE1EEEvSH_,"axG",@progbits,_ZN7rocprim17ROCPRIM_400000_NS6detail17trampoline_kernelINS0_13kernel_configILj256ELj4ELj4294967295EEENS1_37radix_sort_block_sort_config_selectorIffEEZNS1_21radix_sort_block_sortIS4_Lb0EN6thrust23THRUST_200600_302600_NS6detail15normal_iteratorINS9_10device_ptrIfEEEESE_SE_SE_NS0_19identity_decomposerEEE10hipError_tT1_T2_T3_T4_jRjT5_jjP12ihipStream_tbEUlT_E_NS1_11comp_targetILNS1_3genE4ELNS1_11target_archE910ELNS1_3gpuE8ELNS1_3repE0EEENS1_44radix_sort_block_sort_config_static_selectorELNS0_4arch9wavefront6targetE1EEEvSH_,comdat
.Lfunc_end205:
	.size	_ZN7rocprim17ROCPRIM_400000_NS6detail17trampoline_kernelINS0_13kernel_configILj256ELj4ELj4294967295EEENS1_37radix_sort_block_sort_config_selectorIffEEZNS1_21radix_sort_block_sortIS4_Lb0EN6thrust23THRUST_200600_302600_NS6detail15normal_iteratorINS9_10device_ptrIfEEEESE_SE_SE_NS0_19identity_decomposerEEE10hipError_tT1_T2_T3_T4_jRjT5_jjP12ihipStream_tbEUlT_E_NS1_11comp_targetILNS1_3genE4ELNS1_11target_archE910ELNS1_3gpuE8ELNS1_3repE0EEENS1_44radix_sort_block_sort_config_static_selectorELNS0_4arch9wavefront6targetE1EEEvSH_, .Lfunc_end205-_ZN7rocprim17ROCPRIM_400000_NS6detail17trampoline_kernelINS0_13kernel_configILj256ELj4ELj4294967295EEENS1_37radix_sort_block_sort_config_selectorIffEEZNS1_21radix_sort_block_sortIS4_Lb0EN6thrust23THRUST_200600_302600_NS6detail15normal_iteratorINS9_10device_ptrIfEEEESE_SE_SE_NS0_19identity_decomposerEEE10hipError_tT1_T2_T3_T4_jRjT5_jjP12ihipStream_tbEUlT_E_NS1_11comp_targetILNS1_3genE4ELNS1_11target_archE910ELNS1_3gpuE8ELNS1_3repE0EEENS1_44radix_sort_block_sort_config_static_selectorELNS0_4arch9wavefront6targetE1EEEvSH_
                                        ; -- End function
	.set _ZN7rocprim17ROCPRIM_400000_NS6detail17trampoline_kernelINS0_13kernel_configILj256ELj4ELj4294967295EEENS1_37radix_sort_block_sort_config_selectorIffEEZNS1_21radix_sort_block_sortIS4_Lb0EN6thrust23THRUST_200600_302600_NS6detail15normal_iteratorINS9_10device_ptrIfEEEESE_SE_SE_NS0_19identity_decomposerEEE10hipError_tT1_T2_T3_T4_jRjT5_jjP12ihipStream_tbEUlT_E_NS1_11comp_targetILNS1_3genE4ELNS1_11target_archE910ELNS1_3gpuE8ELNS1_3repE0EEENS1_44radix_sort_block_sort_config_static_selectorELNS0_4arch9wavefront6targetE1EEEvSH_.num_vgpr, 0
	.set _ZN7rocprim17ROCPRIM_400000_NS6detail17trampoline_kernelINS0_13kernel_configILj256ELj4ELj4294967295EEENS1_37radix_sort_block_sort_config_selectorIffEEZNS1_21radix_sort_block_sortIS4_Lb0EN6thrust23THRUST_200600_302600_NS6detail15normal_iteratorINS9_10device_ptrIfEEEESE_SE_SE_NS0_19identity_decomposerEEE10hipError_tT1_T2_T3_T4_jRjT5_jjP12ihipStream_tbEUlT_E_NS1_11comp_targetILNS1_3genE4ELNS1_11target_archE910ELNS1_3gpuE8ELNS1_3repE0EEENS1_44radix_sort_block_sort_config_static_selectorELNS0_4arch9wavefront6targetE1EEEvSH_.num_agpr, 0
	.set _ZN7rocprim17ROCPRIM_400000_NS6detail17trampoline_kernelINS0_13kernel_configILj256ELj4ELj4294967295EEENS1_37radix_sort_block_sort_config_selectorIffEEZNS1_21radix_sort_block_sortIS4_Lb0EN6thrust23THRUST_200600_302600_NS6detail15normal_iteratorINS9_10device_ptrIfEEEESE_SE_SE_NS0_19identity_decomposerEEE10hipError_tT1_T2_T3_T4_jRjT5_jjP12ihipStream_tbEUlT_E_NS1_11comp_targetILNS1_3genE4ELNS1_11target_archE910ELNS1_3gpuE8ELNS1_3repE0EEENS1_44radix_sort_block_sort_config_static_selectorELNS0_4arch9wavefront6targetE1EEEvSH_.numbered_sgpr, 0
	.set _ZN7rocprim17ROCPRIM_400000_NS6detail17trampoline_kernelINS0_13kernel_configILj256ELj4ELj4294967295EEENS1_37radix_sort_block_sort_config_selectorIffEEZNS1_21radix_sort_block_sortIS4_Lb0EN6thrust23THRUST_200600_302600_NS6detail15normal_iteratorINS9_10device_ptrIfEEEESE_SE_SE_NS0_19identity_decomposerEEE10hipError_tT1_T2_T3_T4_jRjT5_jjP12ihipStream_tbEUlT_E_NS1_11comp_targetILNS1_3genE4ELNS1_11target_archE910ELNS1_3gpuE8ELNS1_3repE0EEENS1_44radix_sort_block_sort_config_static_selectorELNS0_4arch9wavefront6targetE1EEEvSH_.num_named_barrier, 0
	.set _ZN7rocprim17ROCPRIM_400000_NS6detail17trampoline_kernelINS0_13kernel_configILj256ELj4ELj4294967295EEENS1_37radix_sort_block_sort_config_selectorIffEEZNS1_21radix_sort_block_sortIS4_Lb0EN6thrust23THRUST_200600_302600_NS6detail15normal_iteratorINS9_10device_ptrIfEEEESE_SE_SE_NS0_19identity_decomposerEEE10hipError_tT1_T2_T3_T4_jRjT5_jjP12ihipStream_tbEUlT_E_NS1_11comp_targetILNS1_3genE4ELNS1_11target_archE910ELNS1_3gpuE8ELNS1_3repE0EEENS1_44radix_sort_block_sort_config_static_selectorELNS0_4arch9wavefront6targetE1EEEvSH_.private_seg_size, 0
	.set _ZN7rocprim17ROCPRIM_400000_NS6detail17trampoline_kernelINS0_13kernel_configILj256ELj4ELj4294967295EEENS1_37radix_sort_block_sort_config_selectorIffEEZNS1_21radix_sort_block_sortIS4_Lb0EN6thrust23THRUST_200600_302600_NS6detail15normal_iteratorINS9_10device_ptrIfEEEESE_SE_SE_NS0_19identity_decomposerEEE10hipError_tT1_T2_T3_T4_jRjT5_jjP12ihipStream_tbEUlT_E_NS1_11comp_targetILNS1_3genE4ELNS1_11target_archE910ELNS1_3gpuE8ELNS1_3repE0EEENS1_44radix_sort_block_sort_config_static_selectorELNS0_4arch9wavefront6targetE1EEEvSH_.uses_vcc, 0
	.set _ZN7rocprim17ROCPRIM_400000_NS6detail17trampoline_kernelINS0_13kernel_configILj256ELj4ELj4294967295EEENS1_37radix_sort_block_sort_config_selectorIffEEZNS1_21radix_sort_block_sortIS4_Lb0EN6thrust23THRUST_200600_302600_NS6detail15normal_iteratorINS9_10device_ptrIfEEEESE_SE_SE_NS0_19identity_decomposerEEE10hipError_tT1_T2_T3_T4_jRjT5_jjP12ihipStream_tbEUlT_E_NS1_11comp_targetILNS1_3genE4ELNS1_11target_archE910ELNS1_3gpuE8ELNS1_3repE0EEENS1_44radix_sort_block_sort_config_static_selectorELNS0_4arch9wavefront6targetE1EEEvSH_.uses_flat_scratch, 0
	.set _ZN7rocprim17ROCPRIM_400000_NS6detail17trampoline_kernelINS0_13kernel_configILj256ELj4ELj4294967295EEENS1_37radix_sort_block_sort_config_selectorIffEEZNS1_21radix_sort_block_sortIS4_Lb0EN6thrust23THRUST_200600_302600_NS6detail15normal_iteratorINS9_10device_ptrIfEEEESE_SE_SE_NS0_19identity_decomposerEEE10hipError_tT1_T2_T3_T4_jRjT5_jjP12ihipStream_tbEUlT_E_NS1_11comp_targetILNS1_3genE4ELNS1_11target_archE910ELNS1_3gpuE8ELNS1_3repE0EEENS1_44radix_sort_block_sort_config_static_selectorELNS0_4arch9wavefront6targetE1EEEvSH_.has_dyn_sized_stack, 0
	.set _ZN7rocprim17ROCPRIM_400000_NS6detail17trampoline_kernelINS0_13kernel_configILj256ELj4ELj4294967295EEENS1_37radix_sort_block_sort_config_selectorIffEEZNS1_21radix_sort_block_sortIS4_Lb0EN6thrust23THRUST_200600_302600_NS6detail15normal_iteratorINS9_10device_ptrIfEEEESE_SE_SE_NS0_19identity_decomposerEEE10hipError_tT1_T2_T3_T4_jRjT5_jjP12ihipStream_tbEUlT_E_NS1_11comp_targetILNS1_3genE4ELNS1_11target_archE910ELNS1_3gpuE8ELNS1_3repE0EEENS1_44radix_sort_block_sort_config_static_selectorELNS0_4arch9wavefront6targetE1EEEvSH_.has_recursion, 0
	.set _ZN7rocprim17ROCPRIM_400000_NS6detail17trampoline_kernelINS0_13kernel_configILj256ELj4ELj4294967295EEENS1_37radix_sort_block_sort_config_selectorIffEEZNS1_21radix_sort_block_sortIS4_Lb0EN6thrust23THRUST_200600_302600_NS6detail15normal_iteratorINS9_10device_ptrIfEEEESE_SE_SE_NS0_19identity_decomposerEEE10hipError_tT1_T2_T3_T4_jRjT5_jjP12ihipStream_tbEUlT_E_NS1_11comp_targetILNS1_3genE4ELNS1_11target_archE910ELNS1_3gpuE8ELNS1_3repE0EEENS1_44radix_sort_block_sort_config_static_selectorELNS0_4arch9wavefront6targetE1EEEvSH_.has_indirect_call, 0
	.section	.AMDGPU.csdata,"",@progbits
; Kernel info:
; codeLenInByte = 0
; TotalNumSgprs: 6
; NumVgprs: 0
; NumAgprs: 0
; TotalNumVgprs: 0
; ScratchSize: 0
; MemoryBound: 0
; FloatMode: 240
; IeeeMode: 1
; LDSByteSize: 0 bytes/workgroup (compile time only)
; SGPRBlocks: 0
; VGPRBlocks: 0
; NumSGPRsForWavesPerEU: 6
; NumVGPRsForWavesPerEU: 1
; AccumOffset: 4
; Occupancy: 8
; WaveLimiterHint : 0
; COMPUTE_PGM_RSRC2:SCRATCH_EN: 0
; COMPUTE_PGM_RSRC2:USER_SGPR: 2
; COMPUTE_PGM_RSRC2:TRAP_HANDLER: 0
; COMPUTE_PGM_RSRC2:TGID_X_EN: 1
; COMPUTE_PGM_RSRC2:TGID_Y_EN: 0
; COMPUTE_PGM_RSRC2:TGID_Z_EN: 0
; COMPUTE_PGM_RSRC2:TIDIG_COMP_CNT: 0
; COMPUTE_PGM_RSRC3_GFX90A:ACCUM_OFFSET: 0
; COMPUTE_PGM_RSRC3_GFX90A:TG_SPLIT: 0
	.section	.text._ZN7rocprim17ROCPRIM_400000_NS6detail17trampoline_kernelINS0_13kernel_configILj256ELj4ELj4294967295EEENS1_37radix_sort_block_sort_config_selectorIffEEZNS1_21radix_sort_block_sortIS4_Lb0EN6thrust23THRUST_200600_302600_NS6detail15normal_iteratorINS9_10device_ptrIfEEEESE_SE_SE_NS0_19identity_decomposerEEE10hipError_tT1_T2_T3_T4_jRjT5_jjP12ihipStream_tbEUlT_E_NS1_11comp_targetILNS1_3genE3ELNS1_11target_archE908ELNS1_3gpuE7ELNS1_3repE0EEENS1_44radix_sort_block_sort_config_static_selectorELNS0_4arch9wavefront6targetE1EEEvSH_,"axG",@progbits,_ZN7rocprim17ROCPRIM_400000_NS6detail17trampoline_kernelINS0_13kernel_configILj256ELj4ELj4294967295EEENS1_37radix_sort_block_sort_config_selectorIffEEZNS1_21radix_sort_block_sortIS4_Lb0EN6thrust23THRUST_200600_302600_NS6detail15normal_iteratorINS9_10device_ptrIfEEEESE_SE_SE_NS0_19identity_decomposerEEE10hipError_tT1_T2_T3_T4_jRjT5_jjP12ihipStream_tbEUlT_E_NS1_11comp_targetILNS1_3genE3ELNS1_11target_archE908ELNS1_3gpuE7ELNS1_3repE0EEENS1_44radix_sort_block_sort_config_static_selectorELNS0_4arch9wavefront6targetE1EEEvSH_,comdat
	.protected	_ZN7rocprim17ROCPRIM_400000_NS6detail17trampoline_kernelINS0_13kernel_configILj256ELj4ELj4294967295EEENS1_37radix_sort_block_sort_config_selectorIffEEZNS1_21radix_sort_block_sortIS4_Lb0EN6thrust23THRUST_200600_302600_NS6detail15normal_iteratorINS9_10device_ptrIfEEEESE_SE_SE_NS0_19identity_decomposerEEE10hipError_tT1_T2_T3_T4_jRjT5_jjP12ihipStream_tbEUlT_E_NS1_11comp_targetILNS1_3genE3ELNS1_11target_archE908ELNS1_3gpuE7ELNS1_3repE0EEENS1_44radix_sort_block_sort_config_static_selectorELNS0_4arch9wavefront6targetE1EEEvSH_ ; -- Begin function _ZN7rocprim17ROCPRIM_400000_NS6detail17trampoline_kernelINS0_13kernel_configILj256ELj4ELj4294967295EEENS1_37radix_sort_block_sort_config_selectorIffEEZNS1_21radix_sort_block_sortIS4_Lb0EN6thrust23THRUST_200600_302600_NS6detail15normal_iteratorINS9_10device_ptrIfEEEESE_SE_SE_NS0_19identity_decomposerEEE10hipError_tT1_T2_T3_T4_jRjT5_jjP12ihipStream_tbEUlT_E_NS1_11comp_targetILNS1_3genE3ELNS1_11target_archE908ELNS1_3gpuE7ELNS1_3repE0EEENS1_44radix_sort_block_sort_config_static_selectorELNS0_4arch9wavefront6targetE1EEEvSH_
	.globl	_ZN7rocprim17ROCPRIM_400000_NS6detail17trampoline_kernelINS0_13kernel_configILj256ELj4ELj4294967295EEENS1_37radix_sort_block_sort_config_selectorIffEEZNS1_21radix_sort_block_sortIS4_Lb0EN6thrust23THRUST_200600_302600_NS6detail15normal_iteratorINS9_10device_ptrIfEEEESE_SE_SE_NS0_19identity_decomposerEEE10hipError_tT1_T2_T3_T4_jRjT5_jjP12ihipStream_tbEUlT_E_NS1_11comp_targetILNS1_3genE3ELNS1_11target_archE908ELNS1_3gpuE7ELNS1_3repE0EEENS1_44radix_sort_block_sort_config_static_selectorELNS0_4arch9wavefront6targetE1EEEvSH_
	.p2align	8
	.type	_ZN7rocprim17ROCPRIM_400000_NS6detail17trampoline_kernelINS0_13kernel_configILj256ELj4ELj4294967295EEENS1_37radix_sort_block_sort_config_selectorIffEEZNS1_21radix_sort_block_sortIS4_Lb0EN6thrust23THRUST_200600_302600_NS6detail15normal_iteratorINS9_10device_ptrIfEEEESE_SE_SE_NS0_19identity_decomposerEEE10hipError_tT1_T2_T3_T4_jRjT5_jjP12ihipStream_tbEUlT_E_NS1_11comp_targetILNS1_3genE3ELNS1_11target_archE908ELNS1_3gpuE7ELNS1_3repE0EEENS1_44radix_sort_block_sort_config_static_selectorELNS0_4arch9wavefront6targetE1EEEvSH_,@function
_ZN7rocprim17ROCPRIM_400000_NS6detail17trampoline_kernelINS0_13kernel_configILj256ELj4ELj4294967295EEENS1_37radix_sort_block_sort_config_selectorIffEEZNS1_21radix_sort_block_sortIS4_Lb0EN6thrust23THRUST_200600_302600_NS6detail15normal_iteratorINS9_10device_ptrIfEEEESE_SE_SE_NS0_19identity_decomposerEEE10hipError_tT1_T2_T3_T4_jRjT5_jjP12ihipStream_tbEUlT_E_NS1_11comp_targetILNS1_3genE3ELNS1_11target_archE908ELNS1_3gpuE7ELNS1_3repE0EEENS1_44radix_sort_block_sort_config_static_selectorELNS0_4arch9wavefront6targetE1EEEvSH_: ; @_ZN7rocprim17ROCPRIM_400000_NS6detail17trampoline_kernelINS0_13kernel_configILj256ELj4ELj4294967295EEENS1_37radix_sort_block_sort_config_selectorIffEEZNS1_21radix_sort_block_sortIS4_Lb0EN6thrust23THRUST_200600_302600_NS6detail15normal_iteratorINS9_10device_ptrIfEEEESE_SE_SE_NS0_19identity_decomposerEEE10hipError_tT1_T2_T3_T4_jRjT5_jjP12ihipStream_tbEUlT_E_NS1_11comp_targetILNS1_3genE3ELNS1_11target_archE908ELNS1_3gpuE7ELNS1_3repE0EEENS1_44radix_sort_block_sort_config_static_selectorELNS0_4arch9wavefront6targetE1EEEvSH_
; %bb.0:
	.section	.rodata,"a",@progbits
	.p2align	6, 0x0
	.amdhsa_kernel _ZN7rocprim17ROCPRIM_400000_NS6detail17trampoline_kernelINS0_13kernel_configILj256ELj4ELj4294967295EEENS1_37radix_sort_block_sort_config_selectorIffEEZNS1_21radix_sort_block_sortIS4_Lb0EN6thrust23THRUST_200600_302600_NS6detail15normal_iteratorINS9_10device_ptrIfEEEESE_SE_SE_NS0_19identity_decomposerEEE10hipError_tT1_T2_T3_T4_jRjT5_jjP12ihipStream_tbEUlT_E_NS1_11comp_targetILNS1_3genE3ELNS1_11target_archE908ELNS1_3gpuE7ELNS1_3repE0EEENS1_44radix_sort_block_sort_config_static_selectorELNS0_4arch9wavefront6targetE1EEEvSH_
		.amdhsa_group_segment_fixed_size 0
		.amdhsa_private_segment_fixed_size 0
		.amdhsa_kernarg_size 48
		.amdhsa_user_sgpr_count 2
		.amdhsa_user_sgpr_dispatch_ptr 0
		.amdhsa_user_sgpr_queue_ptr 0
		.amdhsa_user_sgpr_kernarg_segment_ptr 1
		.amdhsa_user_sgpr_dispatch_id 0
		.amdhsa_user_sgpr_kernarg_preload_length 0
		.amdhsa_user_sgpr_kernarg_preload_offset 0
		.amdhsa_user_sgpr_private_segment_size 0
		.amdhsa_uses_dynamic_stack 0
		.amdhsa_enable_private_segment 0
		.amdhsa_system_sgpr_workgroup_id_x 1
		.amdhsa_system_sgpr_workgroup_id_y 0
		.amdhsa_system_sgpr_workgroup_id_z 0
		.amdhsa_system_sgpr_workgroup_info 0
		.amdhsa_system_vgpr_workitem_id 0
		.amdhsa_next_free_vgpr 1
		.amdhsa_next_free_sgpr 0
		.amdhsa_accum_offset 4
		.amdhsa_reserve_vcc 0
		.amdhsa_float_round_mode_32 0
		.amdhsa_float_round_mode_16_64 0
		.amdhsa_float_denorm_mode_32 3
		.amdhsa_float_denorm_mode_16_64 3
		.amdhsa_dx10_clamp 1
		.amdhsa_ieee_mode 1
		.amdhsa_fp16_overflow 0
		.amdhsa_tg_split 0
		.amdhsa_exception_fp_ieee_invalid_op 0
		.amdhsa_exception_fp_denorm_src 0
		.amdhsa_exception_fp_ieee_div_zero 0
		.amdhsa_exception_fp_ieee_overflow 0
		.amdhsa_exception_fp_ieee_underflow 0
		.amdhsa_exception_fp_ieee_inexact 0
		.amdhsa_exception_int_div_zero 0
	.end_amdhsa_kernel
	.section	.text._ZN7rocprim17ROCPRIM_400000_NS6detail17trampoline_kernelINS0_13kernel_configILj256ELj4ELj4294967295EEENS1_37radix_sort_block_sort_config_selectorIffEEZNS1_21radix_sort_block_sortIS4_Lb0EN6thrust23THRUST_200600_302600_NS6detail15normal_iteratorINS9_10device_ptrIfEEEESE_SE_SE_NS0_19identity_decomposerEEE10hipError_tT1_T2_T3_T4_jRjT5_jjP12ihipStream_tbEUlT_E_NS1_11comp_targetILNS1_3genE3ELNS1_11target_archE908ELNS1_3gpuE7ELNS1_3repE0EEENS1_44radix_sort_block_sort_config_static_selectorELNS0_4arch9wavefront6targetE1EEEvSH_,"axG",@progbits,_ZN7rocprim17ROCPRIM_400000_NS6detail17trampoline_kernelINS0_13kernel_configILj256ELj4ELj4294967295EEENS1_37radix_sort_block_sort_config_selectorIffEEZNS1_21radix_sort_block_sortIS4_Lb0EN6thrust23THRUST_200600_302600_NS6detail15normal_iteratorINS9_10device_ptrIfEEEESE_SE_SE_NS0_19identity_decomposerEEE10hipError_tT1_T2_T3_T4_jRjT5_jjP12ihipStream_tbEUlT_E_NS1_11comp_targetILNS1_3genE3ELNS1_11target_archE908ELNS1_3gpuE7ELNS1_3repE0EEENS1_44radix_sort_block_sort_config_static_selectorELNS0_4arch9wavefront6targetE1EEEvSH_,comdat
.Lfunc_end206:
	.size	_ZN7rocprim17ROCPRIM_400000_NS6detail17trampoline_kernelINS0_13kernel_configILj256ELj4ELj4294967295EEENS1_37radix_sort_block_sort_config_selectorIffEEZNS1_21radix_sort_block_sortIS4_Lb0EN6thrust23THRUST_200600_302600_NS6detail15normal_iteratorINS9_10device_ptrIfEEEESE_SE_SE_NS0_19identity_decomposerEEE10hipError_tT1_T2_T3_T4_jRjT5_jjP12ihipStream_tbEUlT_E_NS1_11comp_targetILNS1_3genE3ELNS1_11target_archE908ELNS1_3gpuE7ELNS1_3repE0EEENS1_44radix_sort_block_sort_config_static_selectorELNS0_4arch9wavefront6targetE1EEEvSH_, .Lfunc_end206-_ZN7rocprim17ROCPRIM_400000_NS6detail17trampoline_kernelINS0_13kernel_configILj256ELj4ELj4294967295EEENS1_37radix_sort_block_sort_config_selectorIffEEZNS1_21radix_sort_block_sortIS4_Lb0EN6thrust23THRUST_200600_302600_NS6detail15normal_iteratorINS9_10device_ptrIfEEEESE_SE_SE_NS0_19identity_decomposerEEE10hipError_tT1_T2_T3_T4_jRjT5_jjP12ihipStream_tbEUlT_E_NS1_11comp_targetILNS1_3genE3ELNS1_11target_archE908ELNS1_3gpuE7ELNS1_3repE0EEENS1_44radix_sort_block_sort_config_static_selectorELNS0_4arch9wavefront6targetE1EEEvSH_
                                        ; -- End function
	.set _ZN7rocprim17ROCPRIM_400000_NS6detail17trampoline_kernelINS0_13kernel_configILj256ELj4ELj4294967295EEENS1_37radix_sort_block_sort_config_selectorIffEEZNS1_21radix_sort_block_sortIS4_Lb0EN6thrust23THRUST_200600_302600_NS6detail15normal_iteratorINS9_10device_ptrIfEEEESE_SE_SE_NS0_19identity_decomposerEEE10hipError_tT1_T2_T3_T4_jRjT5_jjP12ihipStream_tbEUlT_E_NS1_11comp_targetILNS1_3genE3ELNS1_11target_archE908ELNS1_3gpuE7ELNS1_3repE0EEENS1_44radix_sort_block_sort_config_static_selectorELNS0_4arch9wavefront6targetE1EEEvSH_.num_vgpr, 0
	.set _ZN7rocprim17ROCPRIM_400000_NS6detail17trampoline_kernelINS0_13kernel_configILj256ELj4ELj4294967295EEENS1_37radix_sort_block_sort_config_selectorIffEEZNS1_21radix_sort_block_sortIS4_Lb0EN6thrust23THRUST_200600_302600_NS6detail15normal_iteratorINS9_10device_ptrIfEEEESE_SE_SE_NS0_19identity_decomposerEEE10hipError_tT1_T2_T3_T4_jRjT5_jjP12ihipStream_tbEUlT_E_NS1_11comp_targetILNS1_3genE3ELNS1_11target_archE908ELNS1_3gpuE7ELNS1_3repE0EEENS1_44radix_sort_block_sort_config_static_selectorELNS0_4arch9wavefront6targetE1EEEvSH_.num_agpr, 0
	.set _ZN7rocprim17ROCPRIM_400000_NS6detail17trampoline_kernelINS0_13kernel_configILj256ELj4ELj4294967295EEENS1_37radix_sort_block_sort_config_selectorIffEEZNS1_21radix_sort_block_sortIS4_Lb0EN6thrust23THRUST_200600_302600_NS6detail15normal_iteratorINS9_10device_ptrIfEEEESE_SE_SE_NS0_19identity_decomposerEEE10hipError_tT1_T2_T3_T4_jRjT5_jjP12ihipStream_tbEUlT_E_NS1_11comp_targetILNS1_3genE3ELNS1_11target_archE908ELNS1_3gpuE7ELNS1_3repE0EEENS1_44radix_sort_block_sort_config_static_selectorELNS0_4arch9wavefront6targetE1EEEvSH_.numbered_sgpr, 0
	.set _ZN7rocprim17ROCPRIM_400000_NS6detail17trampoline_kernelINS0_13kernel_configILj256ELj4ELj4294967295EEENS1_37radix_sort_block_sort_config_selectorIffEEZNS1_21radix_sort_block_sortIS4_Lb0EN6thrust23THRUST_200600_302600_NS6detail15normal_iteratorINS9_10device_ptrIfEEEESE_SE_SE_NS0_19identity_decomposerEEE10hipError_tT1_T2_T3_T4_jRjT5_jjP12ihipStream_tbEUlT_E_NS1_11comp_targetILNS1_3genE3ELNS1_11target_archE908ELNS1_3gpuE7ELNS1_3repE0EEENS1_44radix_sort_block_sort_config_static_selectorELNS0_4arch9wavefront6targetE1EEEvSH_.num_named_barrier, 0
	.set _ZN7rocprim17ROCPRIM_400000_NS6detail17trampoline_kernelINS0_13kernel_configILj256ELj4ELj4294967295EEENS1_37radix_sort_block_sort_config_selectorIffEEZNS1_21radix_sort_block_sortIS4_Lb0EN6thrust23THRUST_200600_302600_NS6detail15normal_iteratorINS9_10device_ptrIfEEEESE_SE_SE_NS0_19identity_decomposerEEE10hipError_tT1_T2_T3_T4_jRjT5_jjP12ihipStream_tbEUlT_E_NS1_11comp_targetILNS1_3genE3ELNS1_11target_archE908ELNS1_3gpuE7ELNS1_3repE0EEENS1_44radix_sort_block_sort_config_static_selectorELNS0_4arch9wavefront6targetE1EEEvSH_.private_seg_size, 0
	.set _ZN7rocprim17ROCPRIM_400000_NS6detail17trampoline_kernelINS0_13kernel_configILj256ELj4ELj4294967295EEENS1_37radix_sort_block_sort_config_selectorIffEEZNS1_21radix_sort_block_sortIS4_Lb0EN6thrust23THRUST_200600_302600_NS6detail15normal_iteratorINS9_10device_ptrIfEEEESE_SE_SE_NS0_19identity_decomposerEEE10hipError_tT1_T2_T3_T4_jRjT5_jjP12ihipStream_tbEUlT_E_NS1_11comp_targetILNS1_3genE3ELNS1_11target_archE908ELNS1_3gpuE7ELNS1_3repE0EEENS1_44radix_sort_block_sort_config_static_selectorELNS0_4arch9wavefront6targetE1EEEvSH_.uses_vcc, 0
	.set _ZN7rocprim17ROCPRIM_400000_NS6detail17trampoline_kernelINS0_13kernel_configILj256ELj4ELj4294967295EEENS1_37radix_sort_block_sort_config_selectorIffEEZNS1_21radix_sort_block_sortIS4_Lb0EN6thrust23THRUST_200600_302600_NS6detail15normal_iteratorINS9_10device_ptrIfEEEESE_SE_SE_NS0_19identity_decomposerEEE10hipError_tT1_T2_T3_T4_jRjT5_jjP12ihipStream_tbEUlT_E_NS1_11comp_targetILNS1_3genE3ELNS1_11target_archE908ELNS1_3gpuE7ELNS1_3repE0EEENS1_44radix_sort_block_sort_config_static_selectorELNS0_4arch9wavefront6targetE1EEEvSH_.uses_flat_scratch, 0
	.set _ZN7rocprim17ROCPRIM_400000_NS6detail17trampoline_kernelINS0_13kernel_configILj256ELj4ELj4294967295EEENS1_37radix_sort_block_sort_config_selectorIffEEZNS1_21radix_sort_block_sortIS4_Lb0EN6thrust23THRUST_200600_302600_NS6detail15normal_iteratorINS9_10device_ptrIfEEEESE_SE_SE_NS0_19identity_decomposerEEE10hipError_tT1_T2_T3_T4_jRjT5_jjP12ihipStream_tbEUlT_E_NS1_11comp_targetILNS1_3genE3ELNS1_11target_archE908ELNS1_3gpuE7ELNS1_3repE0EEENS1_44radix_sort_block_sort_config_static_selectorELNS0_4arch9wavefront6targetE1EEEvSH_.has_dyn_sized_stack, 0
	.set _ZN7rocprim17ROCPRIM_400000_NS6detail17trampoline_kernelINS0_13kernel_configILj256ELj4ELj4294967295EEENS1_37radix_sort_block_sort_config_selectorIffEEZNS1_21radix_sort_block_sortIS4_Lb0EN6thrust23THRUST_200600_302600_NS6detail15normal_iteratorINS9_10device_ptrIfEEEESE_SE_SE_NS0_19identity_decomposerEEE10hipError_tT1_T2_T3_T4_jRjT5_jjP12ihipStream_tbEUlT_E_NS1_11comp_targetILNS1_3genE3ELNS1_11target_archE908ELNS1_3gpuE7ELNS1_3repE0EEENS1_44radix_sort_block_sort_config_static_selectorELNS0_4arch9wavefront6targetE1EEEvSH_.has_recursion, 0
	.set _ZN7rocprim17ROCPRIM_400000_NS6detail17trampoline_kernelINS0_13kernel_configILj256ELj4ELj4294967295EEENS1_37radix_sort_block_sort_config_selectorIffEEZNS1_21radix_sort_block_sortIS4_Lb0EN6thrust23THRUST_200600_302600_NS6detail15normal_iteratorINS9_10device_ptrIfEEEESE_SE_SE_NS0_19identity_decomposerEEE10hipError_tT1_T2_T3_T4_jRjT5_jjP12ihipStream_tbEUlT_E_NS1_11comp_targetILNS1_3genE3ELNS1_11target_archE908ELNS1_3gpuE7ELNS1_3repE0EEENS1_44radix_sort_block_sort_config_static_selectorELNS0_4arch9wavefront6targetE1EEEvSH_.has_indirect_call, 0
	.section	.AMDGPU.csdata,"",@progbits
; Kernel info:
; codeLenInByte = 0
; TotalNumSgprs: 6
; NumVgprs: 0
; NumAgprs: 0
; TotalNumVgprs: 0
; ScratchSize: 0
; MemoryBound: 0
; FloatMode: 240
; IeeeMode: 1
; LDSByteSize: 0 bytes/workgroup (compile time only)
; SGPRBlocks: 0
; VGPRBlocks: 0
; NumSGPRsForWavesPerEU: 6
; NumVGPRsForWavesPerEU: 1
; AccumOffset: 4
; Occupancy: 8
; WaveLimiterHint : 0
; COMPUTE_PGM_RSRC2:SCRATCH_EN: 0
; COMPUTE_PGM_RSRC2:USER_SGPR: 2
; COMPUTE_PGM_RSRC2:TRAP_HANDLER: 0
; COMPUTE_PGM_RSRC2:TGID_X_EN: 1
; COMPUTE_PGM_RSRC2:TGID_Y_EN: 0
; COMPUTE_PGM_RSRC2:TGID_Z_EN: 0
; COMPUTE_PGM_RSRC2:TIDIG_COMP_CNT: 0
; COMPUTE_PGM_RSRC3_GFX90A:ACCUM_OFFSET: 0
; COMPUTE_PGM_RSRC3_GFX90A:TG_SPLIT: 0
	.section	.text._ZN7rocprim17ROCPRIM_400000_NS6detail17trampoline_kernelINS0_13kernel_configILj256ELj4ELj4294967295EEENS1_37radix_sort_block_sort_config_selectorIffEEZNS1_21radix_sort_block_sortIS4_Lb0EN6thrust23THRUST_200600_302600_NS6detail15normal_iteratorINS9_10device_ptrIfEEEESE_SE_SE_NS0_19identity_decomposerEEE10hipError_tT1_T2_T3_T4_jRjT5_jjP12ihipStream_tbEUlT_E_NS1_11comp_targetILNS1_3genE2ELNS1_11target_archE906ELNS1_3gpuE6ELNS1_3repE0EEENS1_44radix_sort_block_sort_config_static_selectorELNS0_4arch9wavefront6targetE1EEEvSH_,"axG",@progbits,_ZN7rocprim17ROCPRIM_400000_NS6detail17trampoline_kernelINS0_13kernel_configILj256ELj4ELj4294967295EEENS1_37radix_sort_block_sort_config_selectorIffEEZNS1_21radix_sort_block_sortIS4_Lb0EN6thrust23THRUST_200600_302600_NS6detail15normal_iteratorINS9_10device_ptrIfEEEESE_SE_SE_NS0_19identity_decomposerEEE10hipError_tT1_T2_T3_T4_jRjT5_jjP12ihipStream_tbEUlT_E_NS1_11comp_targetILNS1_3genE2ELNS1_11target_archE906ELNS1_3gpuE6ELNS1_3repE0EEENS1_44radix_sort_block_sort_config_static_selectorELNS0_4arch9wavefront6targetE1EEEvSH_,comdat
	.protected	_ZN7rocprim17ROCPRIM_400000_NS6detail17trampoline_kernelINS0_13kernel_configILj256ELj4ELj4294967295EEENS1_37radix_sort_block_sort_config_selectorIffEEZNS1_21radix_sort_block_sortIS4_Lb0EN6thrust23THRUST_200600_302600_NS6detail15normal_iteratorINS9_10device_ptrIfEEEESE_SE_SE_NS0_19identity_decomposerEEE10hipError_tT1_T2_T3_T4_jRjT5_jjP12ihipStream_tbEUlT_E_NS1_11comp_targetILNS1_3genE2ELNS1_11target_archE906ELNS1_3gpuE6ELNS1_3repE0EEENS1_44radix_sort_block_sort_config_static_selectorELNS0_4arch9wavefront6targetE1EEEvSH_ ; -- Begin function _ZN7rocprim17ROCPRIM_400000_NS6detail17trampoline_kernelINS0_13kernel_configILj256ELj4ELj4294967295EEENS1_37radix_sort_block_sort_config_selectorIffEEZNS1_21radix_sort_block_sortIS4_Lb0EN6thrust23THRUST_200600_302600_NS6detail15normal_iteratorINS9_10device_ptrIfEEEESE_SE_SE_NS0_19identity_decomposerEEE10hipError_tT1_T2_T3_T4_jRjT5_jjP12ihipStream_tbEUlT_E_NS1_11comp_targetILNS1_3genE2ELNS1_11target_archE906ELNS1_3gpuE6ELNS1_3repE0EEENS1_44radix_sort_block_sort_config_static_selectorELNS0_4arch9wavefront6targetE1EEEvSH_
	.globl	_ZN7rocprim17ROCPRIM_400000_NS6detail17trampoline_kernelINS0_13kernel_configILj256ELj4ELj4294967295EEENS1_37radix_sort_block_sort_config_selectorIffEEZNS1_21radix_sort_block_sortIS4_Lb0EN6thrust23THRUST_200600_302600_NS6detail15normal_iteratorINS9_10device_ptrIfEEEESE_SE_SE_NS0_19identity_decomposerEEE10hipError_tT1_T2_T3_T4_jRjT5_jjP12ihipStream_tbEUlT_E_NS1_11comp_targetILNS1_3genE2ELNS1_11target_archE906ELNS1_3gpuE6ELNS1_3repE0EEENS1_44radix_sort_block_sort_config_static_selectorELNS0_4arch9wavefront6targetE1EEEvSH_
	.p2align	8
	.type	_ZN7rocprim17ROCPRIM_400000_NS6detail17trampoline_kernelINS0_13kernel_configILj256ELj4ELj4294967295EEENS1_37radix_sort_block_sort_config_selectorIffEEZNS1_21radix_sort_block_sortIS4_Lb0EN6thrust23THRUST_200600_302600_NS6detail15normal_iteratorINS9_10device_ptrIfEEEESE_SE_SE_NS0_19identity_decomposerEEE10hipError_tT1_T2_T3_T4_jRjT5_jjP12ihipStream_tbEUlT_E_NS1_11comp_targetILNS1_3genE2ELNS1_11target_archE906ELNS1_3gpuE6ELNS1_3repE0EEENS1_44radix_sort_block_sort_config_static_selectorELNS0_4arch9wavefront6targetE1EEEvSH_,@function
_ZN7rocprim17ROCPRIM_400000_NS6detail17trampoline_kernelINS0_13kernel_configILj256ELj4ELj4294967295EEENS1_37radix_sort_block_sort_config_selectorIffEEZNS1_21radix_sort_block_sortIS4_Lb0EN6thrust23THRUST_200600_302600_NS6detail15normal_iteratorINS9_10device_ptrIfEEEESE_SE_SE_NS0_19identity_decomposerEEE10hipError_tT1_T2_T3_T4_jRjT5_jjP12ihipStream_tbEUlT_E_NS1_11comp_targetILNS1_3genE2ELNS1_11target_archE906ELNS1_3gpuE6ELNS1_3repE0EEENS1_44radix_sort_block_sort_config_static_selectorELNS0_4arch9wavefront6targetE1EEEvSH_: ; @_ZN7rocprim17ROCPRIM_400000_NS6detail17trampoline_kernelINS0_13kernel_configILj256ELj4ELj4294967295EEENS1_37radix_sort_block_sort_config_selectorIffEEZNS1_21radix_sort_block_sortIS4_Lb0EN6thrust23THRUST_200600_302600_NS6detail15normal_iteratorINS9_10device_ptrIfEEEESE_SE_SE_NS0_19identity_decomposerEEE10hipError_tT1_T2_T3_T4_jRjT5_jjP12ihipStream_tbEUlT_E_NS1_11comp_targetILNS1_3genE2ELNS1_11target_archE906ELNS1_3gpuE6ELNS1_3repE0EEENS1_44radix_sort_block_sort_config_static_selectorELNS0_4arch9wavefront6targetE1EEEvSH_
; %bb.0:
	.section	.rodata,"a",@progbits
	.p2align	6, 0x0
	.amdhsa_kernel _ZN7rocprim17ROCPRIM_400000_NS6detail17trampoline_kernelINS0_13kernel_configILj256ELj4ELj4294967295EEENS1_37radix_sort_block_sort_config_selectorIffEEZNS1_21radix_sort_block_sortIS4_Lb0EN6thrust23THRUST_200600_302600_NS6detail15normal_iteratorINS9_10device_ptrIfEEEESE_SE_SE_NS0_19identity_decomposerEEE10hipError_tT1_T2_T3_T4_jRjT5_jjP12ihipStream_tbEUlT_E_NS1_11comp_targetILNS1_3genE2ELNS1_11target_archE906ELNS1_3gpuE6ELNS1_3repE0EEENS1_44radix_sort_block_sort_config_static_selectorELNS0_4arch9wavefront6targetE1EEEvSH_
		.amdhsa_group_segment_fixed_size 0
		.amdhsa_private_segment_fixed_size 0
		.amdhsa_kernarg_size 48
		.amdhsa_user_sgpr_count 2
		.amdhsa_user_sgpr_dispatch_ptr 0
		.amdhsa_user_sgpr_queue_ptr 0
		.amdhsa_user_sgpr_kernarg_segment_ptr 1
		.amdhsa_user_sgpr_dispatch_id 0
		.amdhsa_user_sgpr_kernarg_preload_length 0
		.amdhsa_user_sgpr_kernarg_preload_offset 0
		.amdhsa_user_sgpr_private_segment_size 0
		.amdhsa_uses_dynamic_stack 0
		.amdhsa_enable_private_segment 0
		.amdhsa_system_sgpr_workgroup_id_x 1
		.amdhsa_system_sgpr_workgroup_id_y 0
		.amdhsa_system_sgpr_workgroup_id_z 0
		.amdhsa_system_sgpr_workgroup_info 0
		.amdhsa_system_vgpr_workitem_id 0
		.amdhsa_next_free_vgpr 1
		.amdhsa_next_free_sgpr 0
		.amdhsa_accum_offset 4
		.amdhsa_reserve_vcc 0
		.amdhsa_float_round_mode_32 0
		.amdhsa_float_round_mode_16_64 0
		.amdhsa_float_denorm_mode_32 3
		.amdhsa_float_denorm_mode_16_64 3
		.amdhsa_dx10_clamp 1
		.amdhsa_ieee_mode 1
		.amdhsa_fp16_overflow 0
		.amdhsa_tg_split 0
		.amdhsa_exception_fp_ieee_invalid_op 0
		.amdhsa_exception_fp_denorm_src 0
		.amdhsa_exception_fp_ieee_div_zero 0
		.amdhsa_exception_fp_ieee_overflow 0
		.amdhsa_exception_fp_ieee_underflow 0
		.amdhsa_exception_fp_ieee_inexact 0
		.amdhsa_exception_int_div_zero 0
	.end_amdhsa_kernel
	.section	.text._ZN7rocprim17ROCPRIM_400000_NS6detail17trampoline_kernelINS0_13kernel_configILj256ELj4ELj4294967295EEENS1_37radix_sort_block_sort_config_selectorIffEEZNS1_21radix_sort_block_sortIS4_Lb0EN6thrust23THRUST_200600_302600_NS6detail15normal_iteratorINS9_10device_ptrIfEEEESE_SE_SE_NS0_19identity_decomposerEEE10hipError_tT1_T2_T3_T4_jRjT5_jjP12ihipStream_tbEUlT_E_NS1_11comp_targetILNS1_3genE2ELNS1_11target_archE906ELNS1_3gpuE6ELNS1_3repE0EEENS1_44radix_sort_block_sort_config_static_selectorELNS0_4arch9wavefront6targetE1EEEvSH_,"axG",@progbits,_ZN7rocprim17ROCPRIM_400000_NS6detail17trampoline_kernelINS0_13kernel_configILj256ELj4ELj4294967295EEENS1_37radix_sort_block_sort_config_selectorIffEEZNS1_21radix_sort_block_sortIS4_Lb0EN6thrust23THRUST_200600_302600_NS6detail15normal_iteratorINS9_10device_ptrIfEEEESE_SE_SE_NS0_19identity_decomposerEEE10hipError_tT1_T2_T3_T4_jRjT5_jjP12ihipStream_tbEUlT_E_NS1_11comp_targetILNS1_3genE2ELNS1_11target_archE906ELNS1_3gpuE6ELNS1_3repE0EEENS1_44radix_sort_block_sort_config_static_selectorELNS0_4arch9wavefront6targetE1EEEvSH_,comdat
.Lfunc_end207:
	.size	_ZN7rocprim17ROCPRIM_400000_NS6detail17trampoline_kernelINS0_13kernel_configILj256ELj4ELj4294967295EEENS1_37radix_sort_block_sort_config_selectorIffEEZNS1_21radix_sort_block_sortIS4_Lb0EN6thrust23THRUST_200600_302600_NS6detail15normal_iteratorINS9_10device_ptrIfEEEESE_SE_SE_NS0_19identity_decomposerEEE10hipError_tT1_T2_T3_T4_jRjT5_jjP12ihipStream_tbEUlT_E_NS1_11comp_targetILNS1_3genE2ELNS1_11target_archE906ELNS1_3gpuE6ELNS1_3repE0EEENS1_44radix_sort_block_sort_config_static_selectorELNS0_4arch9wavefront6targetE1EEEvSH_, .Lfunc_end207-_ZN7rocprim17ROCPRIM_400000_NS6detail17trampoline_kernelINS0_13kernel_configILj256ELj4ELj4294967295EEENS1_37radix_sort_block_sort_config_selectorIffEEZNS1_21radix_sort_block_sortIS4_Lb0EN6thrust23THRUST_200600_302600_NS6detail15normal_iteratorINS9_10device_ptrIfEEEESE_SE_SE_NS0_19identity_decomposerEEE10hipError_tT1_T2_T3_T4_jRjT5_jjP12ihipStream_tbEUlT_E_NS1_11comp_targetILNS1_3genE2ELNS1_11target_archE906ELNS1_3gpuE6ELNS1_3repE0EEENS1_44radix_sort_block_sort_config_static_selectorELNS0_4arch9wavefront6targetE1EEEvSH_
                                        ; -- End function
	.set _ZN7rocprim17ROCPRIM_400000_NS6detail17trampoline_kernelINS0_13kernel_configILj256ELj4ELj4294967295EEENS1_37radix_sort_block_sort_config_selectorIffEEZNS1_21radix_sort_block_sortIS4_Lb0EN6thrust23THRUST_200600_302600_NS6detail15normal_iteratorINS9_10device_ptrIfEEEESE_SE_SE_NS0_19identity_decomposerEEE10hipError_tT1_T2_T3_T4_jRjT5_jjP12ihipStream_tbEUlT_E_NS1_11comp_targetILNS1_3genE2ELNS1_11target_archE906ELNS1_3gpuE6ELNS1_3repE0EEENS1_44radix_sort_block_sort_config_static_selectorELNS0_4arch9wavefront6targetE1EEEvSH_.num_vgpr, 0
	.set _ZN7rocprim17ROCPRIM_400000_NS6detail17trampoline_kernelINS0_13kernel_configILj256ELj4ELj4294967295EEENS1_37radix_sort_block_sort_config_selectorIffEEZNS1_21radix_sort_block_sortIS4_Lb0EN6thrust23THRUST_200600_302600_NS6detail15normal_iteratorINS9_10device_ptrIfEEEESE_SE_SE_NS0_19identity_decomposerEEE10hipError_tT1_T2_T3_T4_jRjT5_jjP12ihipStream_tbEUlT_E_NS1_11comp_targetILNS1_3genE2ELNS1_11target_archE906ELNS1_3gpuE6ELNS1_3repE0EEENS1_44radix_sort_block_sort_config_static_selectorELNS0_4arch9wavefront6targetE1EEEvSH_.num_agpr, 0
	.set _ZN7rocprim17ROCPRIM_400000_NS6detail17trampoline_kernelINS0_13kernel_configILj256ELj4ELj4294967295EEENS1_37radix_sort_block_sort_config_selectorIffEEZNS1_21radix_sort_block_sortIS4_Lb0EN6thrust23THRUST_200600_302600_NS6detail15normal_iteratorINS9_10device_ptrIfEEEESE_SE_SE_NS0_19identity_decomposerEEE10hipError_tT1_T2_T3_T4_jRjT5_jjP12ihipStream_tbEUlT_E_NS1_11comp_targetILNS1_3genE2ELNS1_11target_archE906ELNS1_3gpuE6ELNS1_3repE0EEENS1_44radix_sort_block_sort_config_static_selectorELNS0_4arch9wavefront6targetE1EEEvSH_.numbered_sgpr, 0
	.set _ZN7rocprim17ROCPRIM_400000_NS6detail17trampoline_kernelINS0_13kernel_configILj256ELj4ELj4294967295EEENS1_37radix_sort_block_sort_config_selectorIffEEZNS1_21radix_sort_block_sortIS4_Lb0EN6thrust23THRUST_200600_302600_NS6detail15normal_iteratorINS9_10device_ptrIfEEEESE_SE_SE_NS0_19identity_decomposerEEE10hipError_tT1_T2_T3_T4_jRjT5_jjP12ihipStream_tbEUlT_E_NS1_11comp_targetILNS1_3genE2ELNS1_11target_archE906ELNS1_3gpuE6ELNS1_3repE0EEENS1_44radix_sort_block_sort_config_static_selectorELNS0_4arch9wavefront6targetE1EEEvSH_.num_named_barrier, 0
	.set _ZN7rocprim17ROCPRIM_400000_NS6detail17trampoline_kernelINS0_13kernel_configILj256ELj4ELj4294967295EEENS1_37radix_sort_block_sort_config_selectorIffEEZNS1_21radix_sort_block_sortIS4_Lb0EN6thrust23THRUST_200600_302600_NS6detail15normal_iteratorINS9_10device_ptrIfEEEESE_SE_SE_NS0_19identity_decomposerEEE10hipError_tT1_T2_T3_T4_jRjT5_jjP12ihipStream_tbEUlT_E_NS1_11comp_targetILNS1_3genE2ELNS1_11target_archE906ELNS1_3gpuE6ELNS1_3repE0EEENS1_44radix_sort_block_sort_config_static_selectorELNS0_4arch9wavefront6targetE1EEEvSH_.private_seg_size, 0
	.set _ZN7rocprim17ROCPRIM_400000_NS6detail17trampoline_kernelINS0_13kernel_configILj256ELj4ELj4294967295EEENS1_37radix_sort_block_sort_config_selectorIffEEZNS1_21radix_sort_block_sortIS4_Lb0EN6thrust23THRUST_200600_302600_NS6detail15normal_iteratorINS9_10device_ptrIfEEEESE_SE_SE_NS0_19identity_decomposerEEE10hipError_tT1_T2_T3_T4_jRjT5_jjP12ihipStream_tbEUlT_E_NS1_11comp_targetILNS1_3genE2ELNS1_11target_archE906ELNS1_3gpuE6ELNS1_3repE0EEENS1_44radix_sort_block_sort_config_static_selectorELNS0_4arch9wavefront6targetE1EEEvSH_.uses_vcc, 0
	.set _ZN7rocprim17ROCPRIM_400000_NS6detail17trampoline_kernelINS0_13kernel_configILj256ELj4ELj4294967295EEENS1_37radix_sort_block_sort_config_selectorIffEEZNS1_21radix_sort_block_sortIS4_Lb0EN6thrust23THRUST_200600_302600_NS6detail15normal_iteratorINS9_10device_ptrIfEEEESE_SE_SE_NS0_19identity_decomposerEEE10hipError_tT1_T2_T3_T4_jRjT5_jjP12ihipStream_tbEUlT_E_NS1_11comp_targetILNS1_3genE2ELNS1_11target_archE906ELNS1_3gpuE6ELNS1_3repE0EEENS1_44radix_sort_block_sort_config_static_selectorELNS0_4arch9wavefront6targetE1EEEvSH_.uses_flat_scratch, 0
	.set _ZN7rocprim17ROCPRIM_400000_NS6detail17trampoline_kernelINS0_13kernel_configILj256ELj4ELj4294967295EEENS1_37radix_sort_block_sort_config_selectorIffEEZNS1_21radix_sort_block_sortIS4_Lb0EN6thrust23THRUST_200600_302600_NS6detail15normal_iteratorINS9_10device_ptrIfEEEESE_SE_SE_NS0_19identity_decomposerEEE10hipError_tT1_T2_T3_T4_jRjT5_jjP12ihipStream_tbEUlT_E_NS1_11comp_targetILNS1_3genE2ELNS1_11target_archE906ELNS1_3gpuE6ELNS1_3repE0EEENS1_44radix_sort_block_sort_config_static_selectorELNS0_4arch9wavefront6targetE1EEEvSH_.has_dyn_sized_stack, 0
	.set _ZN7rocprim17ROCPRIM_400000_NS6detail17trampoline_kernelINS0_13kernel_configILj256ELj4ELj4294967295EEENS1_37radix_sort_block_sort_config_selectorIffEEZNS1_21radix_sort_block_sortIS4_Lb0EN6thrust23THRUST_200600_302600_NS6detail15normal_iteratorINS9_10device_ptrIfEEEESE_SE_SE_NS0_19identity_decomposerEEE10hipError_tT1_T2_T3_T4_jRjT5_jjP12ihipStream_tbEUlT_E_NS1_11comp_targetILNS1_3genE2ELNS1_11target_archE906ELNS1_3gpuE6ELNS1_3repE0EEENS1_44radix_sort_block_sort_config_static_selectorELNS0_4arch9wavefront6targetE1EEEvSH_.has_recursion, 0
	.set _ZN7rocprim17ROCPRIM_400000_NS6detail17trampoline_kernelINS0_13kernel_configILj256ELj4ELj4294967295EEENS1_37radix_sort_block_sort_config_selectorIffEEZNS1_21radix_sort_block_sortIS4_Lb0EN6thrust23THRUST_200600_302600_NS6detail15normal_iteratorINS9_10device_ptrIfEEEESE_SE_SE_NS0_19identity_decomposerEEE10hipError_tT1_T2_T3_T4_jRjT5_jjP12ihipStream_tbEUlT_E_NS1_11comp_targetILNS1_3genE2ELNS1_11target_archE906ELNS1_3gpuE6ELNS1_3repE0EEENS1_44radix_sort_block_sort_config_static_selectorELNS0_4arch9wavefront6targetE1EEEvSH_.has_indirect_call, 0
	.section	.AMDGPU.csdata,"",@progbits
; Kernel info:
; codeLenInByte = 0
; TotalNumSgprs: 6
; NumVgprs: 0
; NumAgprs: 0
; TotalNumVgprs: 0
; ScratchSize: 0
; MemoryBound: 0
; FloatMode: 240
; IeeeMode: 1
; LDSByteSize: 0 bytes/workgroup (compile time only)
; SGPRBlocks: 0
; VGPRBlocks: 0
; NumSGPRsForWavesPerEU: 6
; NumVGPRsForWavesPerEU: 1
; AccumOffset: 4
; Occupancy: 8
; WaveLimiterHint : 0
; COMPUTE_PGM_RSRC2:SCRATCH_EN: 0
; COMPUTE_PGM_RSRC2:USER_SGPR: 2
; COMPUTE_PGM_RSRC2:TRAP_HANDLER: 0
; COMPUTE_PGM_RSRC2:TGID_X_EN: 1
; COMPUTE_PGM_RSRC2:TGID_Y_EN: 0
; COMPUTE_PGM_RSRC2:TGID_Z_EN: 0
; COMPUTE_PGM_RSRC2:TIDIG_COMP_CNT: 0
; COMPUTE_PGM_RSRC3_GFX90A:ACCUM_OFFSET: 0
; COMPUTE_PGM_RSRC3_GFX90A:TG_SPLIT: 0
	.section	.text._ZN7rocprim17ROCPRIM_400000_NS6detail17trampoline_kernelINS0_13kernel_configILj256ELj4ELj4294967295EEENS1_37radix_sort_block_sort_config_selectorIffEEZNS1_21radix_sort_block_sortIS4_Lb0EN6thrust23THRUST_200600_302600_NS6detail15normal_iteratorINS9_10device_ptrIfEEEESE_SE_SE_NS0_19identity_decomposerEEE10hipError_tT1_T2_T3_T4_jRjT5_jjP12ihipStream_tbEUlT_E_NS1_11comp_targetILNS1_3genE10ELNS1_11target_archE1201ELNS1_3gpuE5ELNS1_3repE0EEENS1_44radix_sort_block_sort_config_static_selectorELNS0_4arch9wavefront6targetE1EEEvSH_,"axG",@progbits,_ZN7rocprim17ROCPRIM_400000_NS6detail17trampoline_kernelINS0_13kernel_configILj256ELj4ELj4294967295EEENS1_37radix_sort_block_sort_config_selectorIffEEZNS1_21radix_sort_block_sortIS4_Lb0EN6thrust23THRUST_200600_302600_NS6detail15normal_iteratorINS9_10device_ptrIfEEEESE_SE_SE_NS0_19identity_decomposerEEE10hipError_tT1_T2_T3_T4_jRjT5_jjP12ihipStream_tbEUlT_E_NS1_11comp_targetILNS1_3genE10ELNS1_11target_archE1201ELNS1_3gpuE5ELNS1_3repE0EEENS1_44radix_sort_block_sort_config_static_selectorELNS0_4arch9wavefront6targetE1EEEvSH_,comdat
	.protected	_ZN7rocprim17ROCPRIM_400000_NS6detail17trampoline_kernelINS0_13kernel_configILj256ELj4ELj4294967295EEENS1_37radix_sort_block_sort_config_selectorIffEEZNS1_21radix_sort_block_sortIS4_Lb0EN6thrust23THRUST_200600_302600_NS6detail15normal_iteratorINS9_10device_ptrIfEEEESE_SE_SE_NS0_19identity_decomposerEEE10hipError_tT1_T2_T3_T4_jRjT5_jjP12ihipStream_tbEUlT_E_NS1_11comp_targetILNS1_3genE10ELNS1_11target_archE1201ELNS1_3gpuE5ELNS1_3repE0EEENS1_44radix_sort_block_sort_config_static_selectorELNS0_4arch9wavefront6targetE1EEEvSH_ ; -- Begin function _ZN7rocprim17ROCPRIM_400000_NS6detail17trampoline_kernelINS0_13kernel_configILj256ELj4ELj4294967295EEENS1_37radix_sort_block_sort_config_selectorIffEEZNS1_21radix_sort_block_sortIS4_Lb0EN6thrust23THRUST_200600_302600_NS6detail15normal_iteratorINS9_10device_ptrIfEEEESE_SE_SE_NS0_19identity_decomposerEEE10hipError_tT1_T2_T3_T4_jRjT5_jjP12ihipStream_tbEUlT_E_NS1_11comp_targetILNS1_3genE10ELNS1_11target_archE1201ELNS1_3gpuE5ELNS1_3repE0EEENS1_44radix_sort_block_sort_config_static_selectorELNS0_4arch9wavefront6targetE1EEEvSH_
	.globl	_ZN7rocprim17ROCPRIM_400000_NS6detail17trampoline_kernelINS0_13kernel_configILj256ELj4ELj4294967295EEENS1_37radix_sort_block_sort_config_selectorIffEEZNS1_21radix_sort_block_sortIS4_Lb0EN6thrust23THRUST_200600_302600_NS6detail15normal_iteratorINS9_10device_ptrIfEEEESE_SE_SE_NS0_19identity_decomposerEEE10hipError_tT1_T2_T3_T4_jRjT5_jjP12ihipStream_tbEUlT_E_NS1_11comp_targetILNS1_3genE10ELNS1_11target_archE1201ELNS1_3gpuE5ELNS1_3repE0EEENS1_44radix_sort_block_sort_config_static_selectorELNS0_4arch9wavefront6targetE1EEEvSH_
	.p2align	8
	.type	_ZN7rocprim17ROCPRIM_400000_NS6detail17trampoline_kernelINS0_13kernel_configILj256ELj4ELj4294967295EEENS1_37radix_sort_block_sort_config_selectorIffEEZNS1_21radix_sort_block_sortIS4_Lb0EN6thrust23THRUST_200600_302600_NS6detail15normal_iteratorINS9_10device_ptrIfEEEESE_SE_SE_NS0_19identity_decomposerEEE10hipError_tT1_T2_T3_T4_jRjT5_jjP12ihipStream_tbEUlT_E_NS1_11comp_targetILNS1_3genE10ELNS1_11target_archE1201ELNS1_3gpuE5ELNS1_3repE0EEENS1_44radix_sort_block_sort_config_static_selectorELNS0_4arch9wavefront6targetE1EEEvSH_,@function
_ZN7rocprim17ROCPRIM_400000_NS6detail17trampoline_kernelINS0_13kernel_configILj256ELj4ELj4294967295EEENS1_37radix_sort_block_sort_config_selectorIffEEZNS1_21radix_sort_block_sortIS4_Lb0EN6thrust23THRUST_200600_302600_NS6detail15normal_iteratorINS9_10device_ptrIfEEEESE_SE_SE_NS0_19identity_decomposerEEE10hipError_tT1_T2_T3_T4_jRjT5_jjP12ihipStream_tbEUlT_E_NS1_11comp_targetILNS1_3genE10ELNS1_11target_archE1201ELNS1_3gpuE5ELNS1_3repE0EEENS1_44radix_sort_block_sort_config_static_selectorELNS0_4arch9wavefront6targetE1EEEvSH_: ; @_ZN7rocprim17ROCPRIM_400000_NS6detail17trampoline_kernelINS0_13kernel_configILj256ELj4ELj4294967295EEENS1_37radix_sort_block_sort_config_selectorIffEEZNS1_21radix_sort_block_sortIS4_Lb0EN6thrust23THRUST_200600_302600_NS6detail15normal_iteratorINS9_10device_ptrIfEEEESE_SE_SE_NS0_19identity_decomposerEEE10hipError_tT1_T2_T3_T4_jRjT5_jjP12ihipStream_tbEUlT_E_NS1_11comp_targetILNS1_3genE10ELNS1_11target_archE1201ELNS1_3gpuE5ELNS1_3repE0EEENS1_44radix_sort_block_sort_config_static_selectorELNS0_4arch9wavefront6targetE1EEEvSH_
; %bb.0:
	.section	.rodata,"a",@progbits
	.p2align	6, 0x0
	.amdhsa_kernel _ZN7rocprim17ROCPRIM_400000_NS6detail17trampoline_kernelINS0_13kernel_configILj256ELj4ELj4294967295EEENS1_37radix_sort_block_sort_config_selectorIffEEZNS1_21radix_sort_block_sortIS4_Lb0EN6thrust23THRUST_200600_302600_NS6detail15normal_iteratorINS9_10device_ptrIfEEEESE_SE_SE_NS0_19identity_decomposerEEE10hipError_tT1_T2_T3_T4_jRjT5_jjP12ihipStream_tbEUlT_E_NS1_11comp_targetILNS1_3genE10ELNS1_11target_archE1201ELNS1_3gpuE5ELNS1_3repE0EEENS1_44radix_sort_block_sort_config_static_selectorELNS0_4arch9wavefront6targetE1EEEvSH_
		.amdhsa_group_segment_fixed_size 0
		.amdhsa_private_segment_fixed_size 0
		.amdhsa_kernarg_size 48
		.amdhsa_user_sgpr_count 2
		.amdhsa_user_sgpr_dispatch_ptr 0
		.amdhsa_user_sgpr_queue_ptr 0
		.amdhsa_user_sgpr_kernarg_segment_ptr 1
		.amdhsa_user_sgpr_dispatch_id 0
		.amdhsa_user_sgpr_kernarg_preload_length 0
		.amdhsa_user_sgpr_kernarg_preload_offset 0
		.amdhsa_user_sgpr_private_segment_size 0
		.amdhsa_uses_dynamic_stack 0
		.amdhsa_enable_private_segment 0
		.amdhsa_system_sgpr_workgroup_id_x 1
		.amdhsa_system_sgpr_workgroup_id_y 0
		.amdhsa_system_sgpr_workgroup_id_z 0
		.amdhsa_system_sgpr_workgroup_info 0
		.amdhsa_system_vgpr_workitem_id 0
		.amdhsa_next_free_vgpr 1
		.amdhsa_next_free_sgpr 0
		.amdhsa_accum_offset 4
		.amdhsa_reserve_vcc 0
		.amdhsa_float_round_mode_32 0
		.amdhsa_float_round_mode_16_64 0
		.amdhsa_float_denorm_mode_32 3
		.amdhsa_float_denorm_mode_16_64 3
		.amdhsa_dx10_clamp 1
		.amdhsa_ieee_mode 1
		.amdhsa_fp16_overflow 0
		.amdhsa_tg_split 0
		.amdhsa_exception_fp_ieee_invalid_op 0
		.amdhsa_exception_fp_denorm_src 0
		.amdhsa_exception_fp_ieee_div_zero 0
		.amdhsa_exception_fp_ieee_overflow 0
		.amdhsa_exception_fp_ieee_underflow 0
		.amdhsa_exception_fp_ieee_inexact 0
		.amdhsa_exception_int_div_zero 0
	.end_amdhsa_kernel
	.section	.text._ZN7rocprim17ROCPRIM_400000_NS6detail17trampoline_kernelINS0_13kernel_configILj256ELj4ELj4294967295EEENS1_37radix_sort_block_sort_config_selectorIffEEZNS1_21radix_sort_block_sortIS4_Lb0EN6thrust23THRUST_200600_302600_NS6detail15normal_iteratorINS9_10device_ptrIfEEEESE_SE_SE_NS0_19identity_decomposerEEE10hipError_tT1_T2_T3_T4_jRjT5_jjP12ihipStream_tbEUlT_E_NS1_11comp_targetILNS1_3genE10ELNS1_11target_archE1201ELNS1_3gpuE5ELNS1_3repE0EEENS1_44radix_sort_block_sort_config_static_selectorELNS0_4arch9wavefront6targetE1EEEvSH_,"axG",@progbits,_ZN7rocprim17ROCPRIM_400000_NS6detail17trampoline_kernelINS0_13kernel_configILj256ELj4ELj4294967295EEENS1_37radix_sort_block_sort_config_selectorIffEEZNS1_21radix_sort_block_sortIS4_Lb0EN6thrust23THRUST_200600_302600_NS6detail15normal_iteratorINS9_10device_ptrIfEEEESE_SE_SE_NS0_19identity_decomposerEEE10hipError_tT1_T2_T3_T4_jRjT5_jjP12ihipStream_tbEUlT_E_NS1_11comp_targetILNS1_3genE10ELNS1_11target_archE1201ELNS1_3gpuE5ELNS1_3repE0EEENS1_44radix_sort_block_sort_config_static_selectorELNS0_4arch9wavefront6targetE1EEEvSH_,comdat
.Lfunc_end208:
	.size	_ZN7rocprim17ROCPRIM_400000_NS6detail17trampoline_kernelINS0_13kernel_configILj256ELj4ELj4294967295EEENS1_37radix_sort_block_sort_config_selectorIffEEZNS1_21radix_sort_block_sortIS4_Lb0EN6thrust23THRUST_200600_302600_NS6detail15normal_iteratorINS9_10device_ptrIfEEEESE_SE_SE_NS0_19identity_decomposerEEE10hipError_tT1_T2_T3_T4_jRjT5_jjP12ihipStream_tbEUlT_E_NS1_11comp_targetILNS1_3genE10ELNS1_11target_archE1201ELNS1_3gpuE5ELNS1_3repE0EEENS1_44radix_sort_block_sort_config_static_selectorELNS0_4arch9wavefront6targetE1EEEvSH_, .Lfunc_end208-_ZN7rocprim17ROCPRIM_400000_NS6detail17trampoline_kernelINS0_13kernel_configILj256ELj4ELj4294967295EEENS1_37radix_sort_block_sort_config_selectorIffEEZNS1_21radix_sort_block_sortIS4_Lb0EN6thrust23THRUST_200600_302600_NS6detail15normal_iteratorINS9_10device_ptrIfEEEESE_SE_SE_NS0_19identity_decomposerEEE10hipError_tT1_T2_T3_T4_jRjT5_jjP12ihipStream_tbEUlT_E_NS1_11comp_targetILNS1_3genE10ELNS1_11target_archE1201ELNS1_3gpuE5ELNS1_3repE0EEENS1_44radix_sort_block_sort_config_static_selectorELNS0_4arch9wavefront6targetE1EEEvSH_
                                        ; -- End function
	.set _ZN7rocprim17ROCPRIM_400000_NS6detail17trampoline_kernelINS0_13kernel_configILj256ELj4ELj4294967295EEENS1_37radix_sort_block_sort_config_selectorIffEEZNS1_21radix_sort_block_sortIS4_Lb0EN6thrust23THRUST_200600_302600_NS6detail15normal_iteratorINS9_10device_ptrIfEEEESE_SE_SE_NS0_19identity_decomposerEEE10hipError_tT1_T2_T3_T4_jRjT5_jjP12ihipStream_tbEUlT_E_NS1_11comp_targetILNS1_3genE10ELNS1_11target_archE1201ELNS1_3gpuE5ELNS1_3repE0EEENS1_44radix_sort_block_sort_config_static_selectorELNS0_4arch9wavefront6targetE1EEEvSH_.num_vgpr, 0
	.set _ZN7rocprim17ROCPRIM_400000_NS6detail17trampoline_kernelINS0_13kernel_configILj256ELj4ELj4294967295EEENS1_37radix_sort_block_sort_config_selectorIffEEZNS1_21radix_sort_block_sortIS4_Lb0EN6thrust23THRUST_200600_302600_NS6detail15normal_iteratorINS9_10device_ptrIfEEEESE_SE_SE_NS0_19identity_decomposerEEE10hipError_tT1_T2_T3_T4_jRjT5_jjP12ihipStream_tbEUlT_E_NS1_11comp_targetILNS1_3genE10ELNS1_11target_archE1201ELNS1_3gpuE5ELNS1_3repE0EEENS1_44radix_sort_block_sort_config_static_selectorELNS0_4arch9wavefront6targetE1EEEvSH_.num_agpr, 0
	.set _ZN7rocprim17ROCPRIM_400000_NS6detail17trampoline_kernelINS0_13kernel_configILj256ELj4ELj4294967295EEENS1_37radix_sort_block_sort_config_selectorIffEEZNS1_21radix_sort_block_sortIS4_Lb0EN6thrust23THRUST_200600_302600_NS6detail15normal_iteratorINS9_10device_ptrIfEEEESE_SE_SE_NS0_19identity_decomposerEEE10hipError_tT1_T2_T3_T4_jRjT5_jjP12ihipStream_tbEUlT_E_NS1_11comp_targetILNS1_3genE10ELNS1_11target_archE1201ELNS1_3gpuE5ELNS1_3repE0EEENS1_44radix_sort_block_sort_config_static_selectorELNS0_4arch9wavefront6targetE1EEEvSH_.numbered_sgpr, 0
	.set _ZN7rocprim17ROCPRIM_400000_NS6detail17trampoline_kernelINS0_13kernel_configILj256ELj4ELj4294967295EEENS1_37radix_sort_block_sort_config_selectorIffEEZNS1_21radix_sort_block_sortIS4_Lb0EN6thrust23THRUST_200600_302600_NS6detail15normal_iteratorINS9_10device_ptrIfEEEESE_SE_SE_NS0_19identity_decomposerEEE10hipError_tT1_T2_T3_T4_jRjT5_jjP12ihipStream_tbEUlT_E_NS1_11comp_targetILNS1_3genE10ELNS1_11target_archE1201ELNS1_3gpuE5ELNS1_3repE0EEENS1_44radix_sort_block_sort_config_static_selectorELNS0_4arch9wavefront6targetE1EEEvSH_.num_named_barrier, 0
	.set _ZN7rocprim17ROCPRIM_400000_NS6detail17trampoline_kernelINS0_13kernel_configILj256ELj4ELj4294967295EEENS1_37radix_sort_block_sort_config_selectorIffEEZNS1_21radix_sort_block_sortIS4_Lb0EN6thrust23THRUST_200600_302600_NS6detail15normal_iteratorINS9_10device_ptrIfEEEESE_SE_SE_NS0_19identity_decomposerEEE10hipError_tT1_T2_T3_T4_jRjT5_jjP12ihipStream_tbEUlT_E_NS1_11comp_targetILNS1_3genE10ELNS1_11target_archE1201ELNS1_3gpuE5ELNS1_3repE0EEENS1_44radix_sort_block_sort_config_static_selectorELNS0_4arch9wavefront6targetE1EEEvSH_.private_seg_size, 0
	.set _ZN7rocprim17ROCPRIM_400000_NS6detail17trampoline_kernelINS0_13kernel_configILj256ELj4ELj4294967295EEENS1_37radix_sort_block_sort_config_selectorIffEEZNS1_21radix_sort_block_sortIS4_Lb0EN6thrust23THRUST_200600_302600_NS6detail15normal_iteratorINS9_10device_ptrIfEEEESE_SE_SE_NS0_19identity_decomposerEEE10hipError_tT1_T2_T3_T4_jRjT5_jjP12ihipStream_tbEUlT_E_NS1_11comp_targetILNS1_3genE10ELNS1_11target_archE1201ELNS1_3gpuE5ELNS1_3repE0EEENS1_44radix_sort_block_sort_config_static_selectorELNS0_4arch9wavefront6targetE1EEEvSH_.uses_vcc, 0
	.set _ZN7rocprim17ROCPRIM_400000_NS6detail17trampoline_kernelINS0_13kernel_configILj256ELj4ELj4294967295EEENS1_37radix_sort_block_sort_config_selectorIffEEZNS1_21radix_sort_block_sortIS4_Lb0EN6thrust23THRUST_200600_302600_NS6detail15normal_iteratorINS9_10device_ptrIfEEEESE_SE_SE_NS0_19identity_decomposerEEE10hipError_tT1_T2_T3_T4_jRjT5_jjP12ihipStream_tbEUlT_E_NS1_11comp_targetILNS1_3genE10ELNS1_11target_archE1201ELNS1_3gpuE5ELNS1_3repE0EEENS1_44radix_sort_block_sort_config_static_selectorELNS0_4arch9wavefront6targetE1EEEvSH_.uses_flat_scratch, 0
	.set _ZN7rocprim17ROCPRIM_400000_NS6detail17trampoline_kernelINS0_13kernel_configILj256ELj4ELj4294967295EEENS1_37radix_sort_block_sort_config_selectorIffEEZNS1_21radix_sort_block_sortIS4_Lb0EN6thrust23THRUST_200600_302600_NS6detail15normal_iteratorINS9_10device_ptrIfEEEESE_SE_SE_NS0_19identity_decomposerEEE10hipError_tT1_T2_T3_T4_jRjT5_jjP12ihipStream_tbEUlT_E_NS1_11comp_targetILNS1_3genE10ELNS1_11target_archE1201ELNS1_3gpuE5ELNS1_3repE0EEENS1_44radix_sort_block_sort_config_static_selectorELNS0_4arch9wavefront6targetE1EEEvSH_.has_dyn_sized_stack, 0
	.set _ZN7rocprim17ROCPRIM_400000_NS6detail17trampoline_kernelINS0_13kernel_configILj256ELj4ELj4294967295EEENS1_37radix_sort_block_sort_config_selectorIffEEZNS1_21radix_sort_block_sortIS4_Lb0EN6thrust23THRUST_200600_302600_NS6detail15normal_iteratorINS9_10device_ptrIfEEEESE_SE_SE_NS0_19identity_decomposerEEE10hipError_tT1_T2_T3_T4_jRjT5_jjP12ihipStream_tbEUlT_E_NS1_11comp_targetILNS1_3genE10ELNS1_11target_archE1201ELNS1_3gpuE5ELNS1_3repE0EEENS1_44radix_sort_block_sort_config_static_selectorELNS0_4arch9wavefront6targetE1EEEvSH_.has_recursion, 0
	.set _ZN7rocprim17ROCPRIM_400000_NS6detail17trampoline_kernelINS0_13kernel_configILj256ELj4ELj4294967295EEENS1_37radix_sort_block_sort_config_selectorIffEEZNS1_21radix_sort_block_sortIS4_Lb0EN6thrust23THRUST_200600_302600_NS6detail15normal_iteratorINS9_10device_ptrIfEEEESE_SE_SE_NS0_19identity_decomposerEEE10hipError_tT1_T2_T3_T4_jRjT5_jjP12ihipStream_tbEUlT_E_NS1_11comp_targetILNS1_3genE10ELNS1_11target_archE1201ELNS1_3gpuE5ELNS1_3repE0EEENS1_44radix_sort_block_sort_config_static_selectorELNS0_4arch9wavefront6targetE1EEEvSH_.has_indirect_call, 0
	.section	.AMDGPU.csdata,"",@progbits
; Kernel info:
; codeLenInByte = 0
; TotalNumSgprs: 6
; NumVgprs: 0
; NumAgprs: 0
; TotalNumVgprs: 0
; ScratchSize: 0
; MemoryBound: 0
; FloatMode: 240
; IeeeMode: 1
; LDSByteSize: 0 bytes/workgroup (compile time only)
; SGPRBlocks: 0
; VGPRBlocks: 0
; NumSGPRsForWavesPerEU: 6
; NumVGPRsForWavesPerEU: 1
; AccumOffset: 4
; Occupancy: 8
; WaveLimiterHint : 0
; COMPUTE_PGM_RSRC2:SCRATCH_EN: 0
; COMPUTE_PGM_RSRC2:USER_SGPR: 2
; COMPUTE_PGM_RSRC2:TRAP_HANDLER: 0
; COMPUTE_PGM_RSRC2:TGID_X_EN: 1
; COMPUTE_PGM_RSRC2:TGID_Y_EN: 0
; COMPUTE_PGM_RSRC2:TGID_Z_EN: 0
; COMPUTE_PGM_RSRC2:TIDIG_COMP_CNT: 0
; COMPUTE_PGM_RSRC3_GFX90A:ACCUM_OFFSET: 0
; COMPUTE_PGM_RSRC3_GFX90A:TG_SPLIT: 0
	.section	.text._ZN7rocprim17ROCPRIM_400000_NS6detail17trampoline_kernelINS0_13kernel_configILj256ELj4ELj4294967295EEENS1_37radix_sort_block_sort_config_selectorIffEEZNS1_21radix_sort_block_sortIS4_Lb0EN6thrust23THRUST_200600_302600_NS6detail15normal_iteratorINS9_10device_ptrIfEEEESE_SE_SE_NS0_19identity_decomposerEEE10hipError_tT1_T2_T3_T4_jRjT5_jjP12ihipStream_tbEUlT_E_NS1_11comp_targetILNS1_3genE10ELNS1_11target_archE1200ELNS1_3gpuE4ELNS1_3repE0EEENS1_44radix_sort_block_sort_config_static_selectorELNS0_4arch9wavefront6targetE1EEEvSH_,"axG",@progbits,_ZN7rocprim17ROCPRIM_400000_NS6detail17trampoline_kernelINS0_13kernel_configILj256ELj4ELj4294967295EEENS1_37radix_sort_block_sort_config_selectorIffEEZNS1_21radix_sort_block_sortIS4_Lb0EN6thrust23THRUST_200600_302600_NS6detail15normal_iteratorINS9_10device_ptrIfEEEESE_SE_SE_NS0_19identity_decomposerEEE10hipError_tT1_T2_T3_T4_jRjT5_jjP12ihipStream_tbEUlT_E_NS1_11comp_targetILNS1_3genE10ELNS1_11target_archE1200ELNS1_3gpuE4ELNS1_3repE0EEENS1_44radix_sort_block_sort_config_static_selectorELNS0_4arch9wavefront6targetE1EEEvSH_,comdat
	.protected	_ZN7rocprim17ROCPRIM_400000_NS6detail17trampoline_kernelINS0_13kernel_configILj256ELj4ELj4294967295EEENS1_37radix_sort_block_sort_config_selectorIffEEZNS1_21radix_sort_block_sortIS4_Lb0EN6thrust23THRUST_200600_302600_NS6detail15normal_iteratorINS9_10device_ptrIfEEEESE_SE_SE_NS0_19identity_decomposerEEE10hipError_tT1_T2_T3_T4_jRjT5_jjP12ihipStream_tbEUlT_E_NS1_11comp_targetILNS1_3genE10ELNS1_11target_archE1200ELNS1_3gpuE4ELNS1_3repE0EEENS1_44radix_sort_block_sort_config_static_selectorELNS0_4arch9wavefront6targetE1EEEvSH_ ; -- Begin function _ZN7rocprim17ROCPRIM_400000_NS6detail17trampoline_kernelINS0_13kernel_configILj256ELj4ELj4294967295EEENS1_37radix_sort_block_sort_config_selectorIffEEZNS1_21radix_sort_block_sortIS4_Lb0EN6thrust23THRUST_200600_302600_NS6detail15normal_iteratorINS9_10device_ptrIfEEEESE_SE_SE_NS0_19identity_decomposerEEE10hipError_tT1_T2_T3_T4_jRjT5_jjP12ihipStream_tbEUlT_E_NS1_11comp_targetILNS1_3genE10ELNS1_11target_archE1200ELNS1_3gpuE4ELNS1_3repE0EEENS1_44radix_sort_block_sort_config_static_selectorELNS0_4arch9wavefront6targetE1EEEvSH_
	.globl	_ZN7rocprim17ROCPRIM_400000_NS6detail17trampoline_kernelINS0_13kernel_configILj256ELj4ELj4294967295EEENS1_37radix_sort_block_sort_config_selectorIffEEZNS1_21radix_sort_block_sortIS4_Lb0EN6thrust23THRUST_200600_302600_NS6detail15normal_iteratorINS9_10device_ptrIfEEEESE_SE_SE_NS0_19identity_decomposerEEE10hipError_tT1_T2_T3_T4_jRjT5_jjP12ihipStream_tbEUlT_E_NS1_11comp_targetILNS1_3genE10ELNS1_11target_archE1200ELNS1_3gpuE4ELNS1_3repE0EEENS1_44radix_sort_block_sort_config_static_selectorELNS0_4arch9wavefront6targetE1EEEvSH_
	.p2align	8
	.type	_ZN7rocprim17ROCPRIM_400000_NS6detail17trampoline_kernelINS0_13kernel_configILj256ELj4ELj4294967295EEENS1_37radix_sort_block_sort_config_selectorIffEEZNS1_21radix_sort_block_sortIS4_Lb0EN6thrust23THRUST_200600_302600_NS6detail15normal_iteratorINS9_10device_ptrIfEEEESE_SE_SE_NS0_19identity_decomposerEEE10hipError_tT1_T2_T3_T4_jRjT5_jjP12ihipStream_tbEUlT_E_NS1_11comp_targetILNS1_3genE10ELNS1_11target_archE1200ELNS1_3gpuE4ELNS1_3repE0EEENS1_44radix_sort_block_sort_config_static_selectorELNS0_4arch9wavefront6targetE1EEEvSH_,@function
_ZN7rocprim17ROCPRIM_400000_NS6detail17trampoline_kernelINS0_13kernel_configILj256ELj4ELj4294967295EEENS1_37radix_sort_block_sort_config_selectorIffEEZNS1_21radix_sort_block_sortIS4_Lb0EN6thrust23THRUST_200600_302600_NS6detail15normal_iteratorINS9_10device_ptrIfEEEESE_SE_SE_NS0_19identity_decomposerEEE10hipError_tT1_T2_T3_T4_jRjT5_jjP12ihipStream_tbEUlT_E_NS1_11comp_targetILNS1_3genE10ELNS1_11target_archE1200ELNS1_3gpuE4ELNS1_3repE0EEENS1_44radix_sort_block_sort_config_static_selectorELNS0_4arch9wavefront6targetE1EEEvSH_: ; @_ZN7rocprim17ROCPRIM_400000_NS6detail17trampoline_kernelINS0_13kernel_configILj256ELj4ELj4294967295EEENS1_37radix_sort_block_sort_config_selectorIffEEZNS1_21radix_sort_block_sortIS4_Lb0EN6thrust23THRUST_200600_302600_NS6detail15normal_iteratorINS9_10device_ptrIfEEEESE_SE_SE_NS0_19identity_decomposerEEE10hipError_tT1_T2_T3_T4_jRjT5_jjP12ihipStream_tbEUlT_E_NS1_11comp_targetILNS1_3genE10ELNS1_11target_archE1200ELNS1_3gpuE4ELNS1_3repE0EEENS1_44radix_sort_block_sort_config_static_selectorELNS0_4arch9wavefront6targetE1EEEvSH_
; %bb.0:
	.section	.rodata,"a",@progbits
	.p2align	6, 0x0
	.amdhsa_kernel _ZN7rocprim17ROCPRIM_400000_NS6detail17trampoline_kernelINS0_13kernel_configILj256ELj4ELj4294967295EEENS1_37radix_sort_block_sort_config_selectorIffEEZNS1_21radix_sort_block_sortIS4_Lb0EN6thrust23THRUST_200600_302600_NS6detail15normal_iteratorINS9_10device_ptrIfEEEESE_SE_SE_NS0_19identity_decomposerEEE10hipError_tT1_T2_T3_T4_jRjT5_jjP12ihipStream_tbEUlT_E_NS1_11comp_targetILNS1_3genE10ELNS1_11target_archE1200ELNS1_3gpuE4ELNS1_3repE0EEENS1_44radix_sort_block_sort_config_static_selectorELNS0_4arch9wavefront6targetE1EEEvSH_
		.amdhsa_group_segment_fixed_size 0
		.amdhsa_private_segment_fixed_size 0
		.amdhsa_kernarg_size 48
		.amdhsa_user_sgpr_count 2
		.amdhsa_user_sgpr_dispatch_ptr 0
		.amdhsa_user_sgpr_queue_ptr 0
		.amdhsa_user_sgpr_kernarg_segment_ptr 1
		.amdhsa_user_sgpr_dispatch_id 0
		.amdhsa_user_sgpr_kernarg_preload_length 0
		.amdhsa_user_sgpr_kernarg_preload_offset 0
		.amdhsa_user_sgpr_private_segment_size 0
		.amdhsa_uses_dynamic_stack 0
		.amdhsa_enable_private_segment 0
		.amdhsa_system_sgpr_workgroup_id_x 1
		.amdhsa_system_sgpr_workgroup_id_y 0
		.amdhsa_system_sgpr_workgroup_id_z 0
		.amdhsa_system_sgpr_workgroup_info 0
		.amdhsa_system_vgpr_workitem_id 0
		.amdhsa_next_free_vgpr 1
		.amdhsa_next_free_sgpr 0
		.amdhsa_accum_offset 4
		.amdhsa_reserve_vcc 0
		.amdhsa_float_round_mode_32 0
		.amdhsa_float_round_mode_16_64 0
		.amdhsa_float_denorm_mode_32 3
		.amdhsa_float_denorm_mode_16_64 3
		.amdhsa_dx10_clamp 1
		.amdhsa_ieee_mode 1
		.amdhsa_fp16_overflow 0
		.amdhsa_tg_split 0
		.amdhsa_exception_fp_ieee_invalid_op 0
		.amdhsa_exception_fp_denorm_src 0
		.amdhsa_exception_fp_ieee_div_zero 0
		.amdhsa_exception_fp_ieee_overflow 0
		.amdhsa_exception_fp_ieee_underflow 0
		.amdhsa_exception_fp_ieee_inexact 0
		.amdhsa_exception_int_div_zero 0
	.end_amdhsa_kernel
	.section	.text._ZN7rocprim17ROCPRIM_400000_NS6detail17trampoline_kernelINS0_13kernel_configILj256ELj4ELj4294967295EEENS1_37radix_sort_block_sort_config_selectorIffEEZNS1_21radix_sort_block_sortIS4_Lb0EN6thrust23THRUST_200600_302600_NS6detail15normal_iteratorINS9_10device_ptrIfEEEESE_SE_SE_NS0_19identity_decomposerEEE10hipError_tT1_T2_T3_T4_jRjT5_jjP12ihipStream_tbEUlT_E_NS1_11comp_targetILNS1_3genE10ELNS1_11target_archE1200ELNS1_3gpuE4ELNS1_3repE0EEENS1_44radix_sort_block_sort_config_static_selectorELNS0_4arch9wavefront6targetE1EEEvSH_,"axG",@progbits,_ZN7rocprim17ROCPRIM_400000_NS6detail17trampoline_kernelINS0_13kernel_configILj256ELj4ELj4294967295EEENS1_37radix_sort_block_sort_config_selectorIffEEZNS1_21radix_sort_block_sortIS4_Lb0EN6thrust23THRUST_200600_302600_NS6detail15normal_iteratorINS9_10device_ptrIfEEEESE_SE_SE_NS0_19identity_decomposerEEE10hipError_tT1_T2_T3_T4_jRjT5_jjP12ihipStream_tbEUlT_E_NS1_11comp_targetILNS1_3genE10ELNS1_11target_archE1200ELNS1_3gpuE4ELNS1_3repE0EEENS1_44radix_sort_block_sort_config_static_selectorELNS0_4arch9wavefront6targetE1EEEvSH_,comdat
.Lfunc_end209:
	.size	_ZN7rocprim17ROCPRIM_400000_NS6detail17trampoline_kernelINS0_13kernel_configILj256ELj4ELj4294967295EEENS1_37radix_sort_block_sort_config_selectorIffEEZNS1_21radix_sort_block_sortIS4_Lb0EN6thrust23THRUST_200600_302600_NS6detail15normal_iteratorINS9_10device_ptrIfEEEESE_SE_SE_NS0_19identity_decomposerEEE10hipError_tT1_T2_T3_T4_jRjT5_jjP12ihipStream_tbEUlT_E_NS1_11comp_targetILNS1_3genE10ELNS1_11target_archE1200ELNS1_3gpuE4ELNS1_3repE0EEENS1_44radix_sort_block_sort_config_static_selectorELNS0_4arch9wavefront6targetE1EEEvSH_, .Lfunc_end209-_ZN7rocprim17ROCPRIM_400000_NS6detail17trampoline_kernelINS0_13kernel_configILj256ELj4ELj4294967295EEENS1_37radix_sort_block_sort_config_selectorIffEEZNS1_21radix_sort_block_sortIS4_Lb0EN6thrust23THRUST_200600_302600_NS6detail15normal_iteratorINS9_10device_ptrIfEEEESE_SE_SE_NS0_19identity_decomposerEEE10hipError_tT1_T2_T3_T4_jRjT5_jjP12ihipStream_tbEUlT_E_NS1_11comp_targetILNS1_3genE10ELNS1_11target_archE1200ELNS1_3gpuE4ELNS1_3repE0EEENS1_44radix_sort_block_sort_config_static_selectorELNS0_4arch9wavefront6targetE1EEEvSH_
                                        ; -- End function
	.set _ZN7rocprim17ROCPRIM_400000_NS6detail17trampoline_kernelINS0_13kernel_configILj256ELj4ELj4294967295EEENS1_37radix_sort_block_sort_config_selectorIffEEZNS1_21radix_sort_block_sortIS4_Lb0EN6thrust23THRUST_200600_302600_NS6detail15normal_iteratorINS9_10device_ptrIfEEEESE_SE_SE_NS0_19identity_decomposerEEE10hipError_tT1_T2_T3_T4_jRjT5_jjP12ihipStream_tbEUlT_E_NS1_11comp_targetILNS1_3genE10ELNS1_11target_archE1200ELNS1_3gpuE4ELNS1_3repE0EEENS1_44radix_sort_block_sort_config_static_selectorELNS0_4arch9wavefront6targetE1EEEvSH_.num_vgpr, 0
	.set _ZN7rocprim17ROCPRIM_400000_NS6detail17trampoline_kernelINS0_13kernel_configILj256ELj4ELj4294967295EEENS1_37radix_sort_block_sort_config_selectorIffEEZNS1_21radix_sort_block_sortIS4_Lb0EN6thrust23THRUST_200600_302600_NS6detail15normal_iteratorINS9_10device_ptrIfEEEESE_SE_SE_NS0_19identity_decomposerEEE10hipError_tT1_T2_T3_T4_jRjT5_jjP12ihipStream_tbEUlT_E_NS1_11comp_targetILNS1_3genE10ELNS1_11target_archE1200ELNS1_3gpuE4ELNS1_3repE0EEENS1_44radix_sort_block_sort_config_static_selectorELNS0_4arch9wavefront6targetE1EEEvSH_.num_agpr, 0
	.set _ZN7rocprim17ROCPRIM_400000_NS6detail17trampoline_kernelINS0_13kernel_configILj256ELj4ELj4294967295EEENS1_37radix_sort_block_sort_config_selectorIffEEZNS1_21radix_sort_block_sortIS4_Lb0EN6thrust23THRUST_200600_302600_NS6detail15normal_iteratorINS9_10device_ptrIfEEEESE_SE_SE_NS0_19identity_decomposerEEE10hipError_tT1_T2_T3_T4_jRjT5_jjP12ihipStream_tbEUlT_E_NS1_11comp_targetILNS1_3genE10ELNS1_11target_archE1200ELNS1_3gpuE4ELNS1_3repE0EEENS1_44radix_sort_block_sort_config_static_selectorELNS0_4arch9wavefront6targetE1EEEvSH_.numbered_sgpr, 0
	.set _ZN7rocprim17ROCPRIM_400000_NS6detail17trampoline_kernelINS0_13kernel_configILj256ELj4ELj4294967295EEENS1_37radix_sort_block_sort_config_selectorIffEEZNS1_21radix_sort_block_sortIS4_Lb0EN6thrust23THRUST_200600_302600_NS6detail15normal_iteratorINS9_10device_ptrIfEEEESE_SE_SE_NS0_19identity_decomposerEEE10hipError_tT1_T2_T3_T4_jRjT5_jjP12ihipStream_tbEUlT_E_NS1_11comp_targetILNS1_3genE10ELNS1_11target_archE1200ELNS1_3gpuE4ELNS1_3repE0EEENS1_44radix_sort_block_sort_config_static_selectorELNS0_4arch9wavefront6targetE1EEEvSH_.num_named_barrier, 0
	.set _ZN7rocprim17ROCPRIM_400000_NS6detail17trampoline_kernelINS0_13kernel_configILj256ELj4ELj4294967295EEENS1_37radix_sort_block_sort_config_selectorIffEEZNS1_21radix_sort_block_sortIS4_Lb0EN6thrust23THRUST_200600_302600_NS6detail15normal_iteratorINS9_10device_ptrIfEEEESE_SE_SE_NS0_19identity_decomposerEEE10hipError_tT1_T2_T3_T4_jRjT5_jjP12ihipStream_tbEUlT_E_NS1_11comp_targetILNS1_3genE10ELNS1_11target_archE1200ELNS1_3gpuE4ELNS1_3repE0EEENS1_44radix_sort_block_sort_config_static_selectorELNS0_4arch9wavefront6targetE1EEEvSH_.private_seg_size, 0
	.set _ZN7rocprim17ROCPRIM_400000_NS6detail17trampoline_kernelINS0_13kernel_configILj256ELj4ELj4294967295EEENS1_37radix_sort_block_sort_config_selectorIffEEZNS1_21radix_sort_block_sortIS4_Lb0EN6thrust23THRUST_200600_302600_NS6detail15normal_iteratorINS9_10device_ptrIfEEEESE_SE_SE_NS0_19identity_decomposerEEE10hipError_tT1_T2_T3_T4_jRjT5_jjP12ihipStream_tbEUlT_E_NS1_11comp_targetILNS1_3genE10ELNS1_11target_archE1200ELNS1_3gpuE4ELNS1_3repE0EEENS1_44radix_sort_block_sort_config_static_selectorELNS0_4arch9wavefront6targetE1EEEvSH_.uses_vcc, 0
	.set _ZN7rocprim17ROCPRIM_400000_NS6detail17trampoline_kernelINS0_13kernel_configILj256ELj4ELj4294967295EEENS1_37radix_sort_block_sort_config_selectorIffEEZNS1_21radix_sort_block_sortIS4_Lb0EN6thrust23THRUST_200600_302600_NS6detail15normal_iteratorINS9_10device_ptrIfEEEESE_SE_SE_NS0_19identity_decomposerEEE10hipError_tT1_T2_T3_T4_jRjT5_jjP12ihipStream_tbEUlT_E_NS1_11comp_targetILNS1_3genE10ELNS1_11target_archE1200ELNS1_3gpuE4ELNS1_3repE0EEENS1_44radix_sort_block_sort_config_static_selectorELNS0_4arch9wavefront6targetE1EEEvSH_.uses_flat_scratch, 0
	.set _ZN7rocprim17ROCPRIM_400000_NS6detail17trampoline_kernelINS0_13kernel_configILj256ELj4ELj4294967295EEENS1_37radix_sort_block_sort_config_selectorIffEEZNS1_21radix_sort_block_sortIS4_Lb0EN6thrust23THRUST_200600_302600_NS6detail15normal_iteratorINS9_10device_ptrIfEEEESE_SE_SE_NS0_19identity_decomposerEEE10hipError_tT1_T2_T3_T4_jRjT5_jjP12ihipStream_tbEUlT_E_NS1_11comp_targetILNS1_3genE10ELNS1_11target_archE1200ELNS1_3gpuE4ELNS1_3repE0EEENS1_44radix_sort_block_sort_config_static_selectorELNS0_4arch9wavefront6targetE1EEEvSH_.has_dyn_sized_stack, 0
	.set _ZN7rocprim17ROCPRIM_400000_NS6detail17trampoline_kernelINS0_13kernel_configILj256ELj4ELj4294967295EEENS1_37radix_sort_block_sort_config_selectorIffEEZNS1_21radix_sort_block_sortIS4_Lb0EN6thrust23THRUST_200600_302600_NS6detail15normal_iteratorINS9_10device_ptrIfEEEESE_SE_SE_NS0_19identity_decomposerEEE10hipError_tT1_T2_T3_T4_jRjT5_jjP12ihipStream_tbEUlT_E_NS1_11comp_targetILNS1_3genE10ELNS1_11target_archE1200ELNS1_3gpuE4ELNS1_3repE0EEENS1_44radix_sort_block_sort_config_static_selectorELNS0_4arch9wavefront6targetE1EEEvSH_.has_recursion, 0
	.set _ZN7rocprim17ROCPRIM_400000_NS6detail17trampoline_kernelINS0_13kernel_configILj256ELj4ELj4294967295EEENS1_37radix_sort_block_sort_config_selectorIffEEZNS1_21radix_sort_block_sortIS4_Lb0EN6thrust23THRUST_200600_302600_NS6detail15normal_iteratorINS9_10device_ptrIfEEEESE_SE_SE_NS0_19identity_decomposerEEE10hipError_tT1_T2_T3_T4_jRjT5_jjP12ihipStream_tbEUlT_E_NS1_11comp_targetILNS1_3genE10ELNS1_11target_archE1200ELNS1_3gpuE4ELNS1_3repE0EEENS1_44radix_sort_block_sort_config_static_selectorELNS0_4arch9wavefront6targetE1EEEvSH_.has_indirect_call, 0
	.section	.AMDGPU.csdata,"",@progbits
; Kernel info:
; codeLenInByte = 0
; TotalNumSgprs: 6
; NumVgprs: 0
; NumAgprs: 0
; TotalNumVgprs: 0
; ScratchSize: 0
; MemoryBound: 0
; FloatMode: 240
; IeeeMode: 1
; LDSByteSize: 0 bytes/workgroup (compile time only)
; SGPRBlocks: 0
; VGPRBlocks: 0
; NumSGPRsForWavesPerEU: 6
; NumVGPRsForWavesPerEU: 1
; AccumOffset: 4
; Occupancy: 8
; WaveLimiterHint : 0
; COMPUTE_PGM_RSRC2:SCRATCH_EN: 0
; COMPUTE_PGM_RSRC2:USER_SGPR: 2
; COMPUTE_PGM_RSRC2:TRAP_HANDLER: 0
; COMPUTE_PGM_RSRC2:TGID_X_EN: 1
; COMPUTE_PGM_RSRC2:TGID_Y_EN: 0
; COMPUTE_PGM_RSRC2:TGID_Z_EN: 0
; COMPUTE_PGM_RSRC2:TIDIG_COMP_CNT: 0
; COMPUTE_PGM_RSRC3_GFX90A:ACCUM_OFFSET: 0
; COMPUTE_PGM_RSRC3_GFX90A:TG_SPLIT: 0
	.section	.text._ZN7rocprim17ROCPRIM_400000_NS6detail17trampoline_kernelINS0_13kernel_configILj256ELj4ELj4294967295EEENS1_37radix_sort_block_sort_config_selectorIffEEZNS1_21radix_sort_block_sortIS4_Lb0EN6thrust23THRUST_200600_302600_NS6detail15normal_iteratorINS9_10device_ptrIfEEEESE_SE_SE_NS0_19identity_decomposerEEE10hipError_tT1_T2_T3_T4_jRjT5_jjP12ihipStream_tbEUlT_E_NS1_11comp_targetILNS1_3genE9ELNS1_11target_archE1100ELNS1_3gpuE3ELNS1_3repE0EEENS1_44radix_sort_block_sort_config_static_selectorELNS0_4arch9wavefront6targetE1EEEvSH_,"axG",@progbits,_ZN7rocprim17ROCPRIM_400000_NS6detail17trampoline_kernelINS0_13kernel_configILj256ELj4ELj4294967295EEENS1_37radix_sort_block_sort_config_selectorIffEEZNS1_21radix_sort_block_sortIS4_Lb0EN6thrust23THRUST_200600_302600_NS6detail15normal_iteratorINS9_10device_ptrIfEEEESE_SE_SE_NS0_19identity_decomposerEEE10hipError_tT1_T2_T3_T4_jRjT5_jjP12ihipStream_tbEUlT_E_NS1_11comp_targetILNS1_3genE9ELNS1_11target_archE1100ELNS1_3gpuE3ELNS1_3repE0EEENS1_44radix_sort_block_sort_config_static_selectorELNS0_4arch9wavefront6targetE1EEEvSH_,comdat
	.protected	_ZN7rocprim17ROCPRIM_400000_NS6detail17trampoline_kernelINS0_13kernel_configILj256ELj4ELj4294967295EEENS1_37radix_sort_block_sort_config_selectorIffEEZNS1_21radix_sort_block_sortIS4_Lb0EN6thrust23THRUST_200600_302600_NS6detail15normal_iteratorINS9_10device_ptrIfEEEESE_SE_SE_NS0_19identity_decomposerEEE10hipError_tT1_T2_T3_T4_jRjT5_jjP12ihipStream_tbEUlT_E_NS1_11comp_targetILNS1_3genE9ELNS1_11target_archE1100ELNS1_3gpuE3ELNS1_3repE0EEENS1_44radix_sort_block_sort_config_static_selectorELNS0_4arch9wavefront6targetE1EEEvSH_ ; -- Begin function _ZN7rocprim17ROCPRIM_400000_NS6detail17trampoline_kernelINS0_13kernel_configILj256ELj4ELj4294967295EEENS1_37radix_sort_block_sort_config_selectorIffEEZNS1_21radix_sort_block_sortIS4_Lb0EN6thrust23THRUST_200600_302600_NS6detail15normal_iteratorINS9_10device_ptrIfEEEESE_SE_SE_NS0_19identity_decomposerEEE10hipError_tT1_T2_T3_T4_jRjT5_jjP12ihipStream_tbEUlT_E_NS1_11comp_targetILNS1_3genE9ELNS1_11target_archE1100ELNS1_3gpuE3ELNS1_3repE0EEENS1_44radix_sort_block_sort_config_static_selectorELNS0_4arch9wavefront6targetE1EEEvSH_
	.globl	_ZN7rocprim17ROCPRIM_400000_NS6detail17trampoline_kernelINS0_13kernel_configILj256ELj4ELj4294967295EEENS1_37radix_sort_block_sort_config_selectorIffEEZNS1_21radix_sort_block_sortIS4_Lb0EN6thrust23THRUST_200600_302600_NS6detail15normal_iteratorINS9_10device_ptrIfEEEESE_SE_SE_NS0_19identity_decomposerEEE10hipError_tT1_T2_T3_T4_jRjT5_jjP12ihipStream_tbEUlT_E_NS1_11comp_targetILNS1_3genE9ELNS1_11target_archE1100ELNS1_3gpuE3ELNS1_3repE0EEENS1_44radix_sort_block_sort_config_static_selectorELNS0_4arch9wavefront6targetE1EEEvSH_
	.p2align	8
	.type	_ZN7rocprim17ROCPRIM_400000_NS6detail17trampoline_kernelINS0_13kernel_configILj256ELj4ELj4294967295EEENS1_37radix_sort_block_sort_config_selectorIffEEZNS1_21radix_sort_block_sortIS4_Lb0EN6thrust23THRUST_200600_302600_NS6detail15normal_iteratorINS9_10device_ptrIfEEEESE_SE_SE_NS0_19identity_decomposerEEE10hipError_tT1_T2_T3_T4_jRjT5_jjP12ihipStream_tbEUlT_E_NS1_11comp_targetILNS1_3genE9ELNS1_11target_archE1100ELNS1_3gpuE3ELNS1_3repE0EEENS1_44radix_sort_block_sort_config_static_selectorELNS0_4arch9wavefront6targetE1EEEvSH_,@function
_ZN7rocprim17ROCPRIM_400000_NS6detail17trampoline_kernelINS0_13kernel_configILj256ELj4ELj4294967295EEENS1_37radix_sort_block_sort_config_selectorIffEEZNS1_21radix_sort_block_sortIS4_Lb0EN6thrust23THRUST_200600_302600_NS6detail15normal_iteratorINS9_10device_ptrIfEEEESE_SE_SE_NS0_19identity_decomposerEEE10hipError_tT1_T2_T3_T4_jRjT5_jjP12ihipStream_tbEUlT_E_NS1_11comp_targetILNS1_3genE9ELNS1_11target_archE1100ELNS1_3gpuE3ELNS1_3repE0EEENS1_44radix_sort_block_sort_config_static_selectorELNS0_4arch9wavefront6targetE1EEEvSH_: ; @_ZN7rocprim17ROCPRIM_400000_NS6detail17trampoline_kernelINS0_13kernel_configILj256ELj4ELj4294967295EEENS1_37radix_sort_block_sort_config_selectorIffEEZNS1_21radix_sort_block_sortIS4_Lb0EN6thrust23THRUST_200600_302600_NS6detail15normal_iteratorINS9_10device_ptrIfEEEESE_SE_SE_NS0_19identity_decomposerEEE10hipError_tT1_T2_T3_T4_jRjT5_jjP12ihipStream_tbEUlT_E_NS1_11comp_targetILNS1_3genE9ELNS1_11target_archE1100ELNS1_3gpuE3ELNS1_3repE0EEENS1_44radix_sort_block_sort_config_static_selectorELNS0_4arch9wavefront6targetE1EEEvSH_
; %bb.0:
	.section	.rodata,"a",@progbits
	.p2align	6, 0x0
	.amdhsa_kernel _ZN7rocprim17ROCPRIM_400000_NS6detail17trampoline_kernelINS0_13kernel_configILj256ELj4ELj4294967295EEENS1_37radix_sort_block_sort_config_selectorIffEEZNS1_21radix_sort_block_sortIS4_Lb0EN6thrust23THRUST_200600_302600_NS6detail15normal_iteratorINS9_10device_ptrIfEEEESE_SE_SE_NS0_19identity_decomposerEEE10hipError_tT1_T2_T3_T4_jRjT5_jjP12ihipStream_tbEUlT_E_NS1_11comp_targetILNS1_3genE9ELNS1_11target_archE1100ELNS1_3gpuE3ELNS1_3repE0EEENS1_44radix_sort_block_sort_config_static_selectorELNS0_4arch9wavefront6targetE1EEEvSH_
		.amdhsa_group_segment_fixed_size 0
		.amdhsa_private_segment_fixed_size 0
		.amdhsa_kernarg_size 48
		.amdhsa_user_sgpr_count 2
		.amdhsa_user_sgpr_dispatch_ptr 0
		.amdhsa_user_sgpr_queue_ptr 0
		.amdhsa_user_sgpr_kernarg_segment_ptr 1
		.amdhsa_user_sgpr_dispatch_id 0
		.amdhsa_user_sgpr_kernarg_preload_length 0
		.amdhsa_user_sgpr_kernarg_preload_offset 0
		.amdhsa_user_sgpr_private_segment_size 0
		.amdhsa_uses_dynamic_stack 0
		.amdhsa_enable_private_segment 0
		.amdhsa_system_sgpr_workgroup_id_x 1
		.amdhsa_system_sgpr_workgroup_id_y 0
		.amdhsa_system_sgpr_workgroup_id_z 0
		.amdhsa_system_sgpr_workgroup_info 0
		.amdhsa_system_vgpr_workitem_id 0
		.amdhsa_next_free_vgpr 1
		.amdhsa_next_free_sgpr 0
		.amdhsa_accum_offset 4
		.amdhsa_reserve_vcc 0
		.amdhsa_float_round_mode_32 0
		.amdhsa_float_round_mode_16_64 0
		.amdhsa_float_denorm_mode_32 3
		.amdhsa_float_denorm_mode_16_64 3
		.amdhsa_dx10_clamp 1
		.amdhsa_ieee_mode 1
		.amdhsa_fp16_overflow 0
		.amdhsa_tg_split 0
		.amdhsa_exception_fp_ieee_invalid_op 0
		.amdhsa_exception_fp_denorm_src 0
		.amdhsa_exception_fp_ieee_div_zero 0
		.amdhsa_exception_fp_ieee_overflow 0
		.amdhsa_exception_fp_ieee_underflow 0
		.amdhsa_exception_fp_ieee_inexact 0
		.amdhsa_exception_int_div_zero 0
	.end_amdhsa_kernel
	.section	.text._ZN7rocprim17ROCPRIM_400000_NS6detail17trampoline_kernelINS0_13kernel_configILj256ELj4ELj4294967295EEENS1_37radix_sort_block_sort_config_selectorIffEEZNS1_21radix_sort_block_sortIS4_Lb0EN6thrust23THRUST_200600_302600_NS6detail15normal_iteratorINS9_10device_ptrIfEEEESE_SE_SE_NS0_19identity_decomposerEEE10hipError_tT1_T2_T3_T4_jRjT5_jjP12ihipStream_tbEUlT_E_NS1_11comp_targetILNS1_3genE9ELNS1_11target_archE1100ELNS1_3gpuE3ELNS1_3repE0EEENS1_44radix_sort_block_sort_config_static_selectorELNS0_4arch9wavefront6targetE1EEEvSH_,"axG",@progbits,_ZN7rocprim17ROCPRIM_400000_NS6detail17trampoline_kernelINS0_13kernel_configILj256ELj4ELj4294967295EEENS1_37radix_sort_block_sort_config_selectorIffEEZNS1_21radix_sort_block_sortIS4_Lb0EN6thrust23THRUST_200600_302600_NS6detail15normal_iteratorINS9_10device_ptrIfEEEESE_SE_SE_NS0_19identity_decomposerEEE10hipError_tT1_T2_T3_T4_jRjT5_jjP12ihipStream_tbEUlT_E_NS1_11comp_targetILNS1_3genE9ELNS1_11target_archE1100ELNS1_3gpuE3ELNS1_3repE0EEENS1_44radix_sort_block_sort_config_static_selectorELNS0_4arch9wavefront6targetE1EEEvSH_,comdat
.Lfunc_end210:
	.size	_ZN7rocprim17ROCPRIM_400000_NS6detail17trampoline_kernelINS0_13kernel_configILj256ELj4ELj4294967295EEENS1_37radix_sort_block_sort_config_selectorIffEEZNS1_21radix_sort_block_sortIS4_Lb0EN6thrust23THRUST_200600_302600_NS6detail15normal_iteratorINS9_10device_ptrIfEEEESE_SE_SE_NS0_19identity_decomposerEEE10hipError_tT1_T2_T3_T4_jRjT5_jjP12ihipStream_tbEUlT_E_NS1_11comp_targetILNS1_3genE9ELNS1_11target_archE1100ELNS1_3gpuE3ELNS1_3repE0EEENS1_44radix_sort_block_sort_config_static_selectorELNS0_4arch9wavefront6targetE1EEEvSH_, .Lfunc_end210-_ZN7rocprim17ROCPRIM_400000_NS6detail17trampoline_kernelINS0_13kernel_configILj256ELj4ELj4294967295EEENS1_37radix_sort_block_sort_config_selectorIffEEZNS1_21radix_sort_block_sortIS4_Lb0EN6thrust23THRUST_200600_302600_NS6detail15normal_iteratorINS9_10device_ptrIfEEEESE_SE_SE_NS0_19identity_decomposerEEE10hipError_tT1_T2_T3_T4_jRjT5_jjP12ihipStream_tbEUlT_E_NS1_11comp_targetILNS1_3genE9ELNS1_11target_archE1100ELNS1_3gpuE3ELNS1_3repE0EEENS1_44radix_sort_block_sort_config_static_selectorELNS0_4arch9wavefront6targetE1EEEvSH_
                                        ; -- End function
	.set _ZN7rocprim17ROCPRIM_400000_NS6detail17trampoline_kernelINS0_13kernel_configILj256ELj4ELj4294967295EEENS1_37radix_sort_block_sort_config_selectorIffEEZNS1_21radix_sort_block_sortIS4_Lb0EN6thrust23THRUST_200600_302600_NS6detail15normal_iteratorINS9_10device_ptrIfEEEESE_SE_SE_NS0_19identity_decomposerEEE10hipError_tT1_T2_T3_T4_jRjT5_jjP12ihipStream_tbEUlT_E_NS1_11comp_targetILNS1_3genE9ELNS1_11target_archE1100ELNS1_3gpuE3ELNS1_3repE0EEENS1_44radix_sort_block_sort_config_static_selectorELNS0_4arch9wavefront6targetE1EEEvSH_.num_vgpr, 0
	.set _ZN7rocprim17ROCPRIM_400000_NS6detail17trampoline_kernelINS0_13kernel_configILj256ELj4ELj4294967295EEENS1_37radix_sort_block_sort_config_selectorIffEEZNS1_21radix_sort_block_sortIS4_Lb0EN6thrust23THRUST_200600_302600_NS6detail15normal_iteratorINS9_10device_ptrIfEEEESE_SE_SE_NS0_19identity_decomposerEEE10hipError_tT1_T2_T3_T4_jRjT5_jjP12ihipStream_tbEUlT_E_NS1_11comp_targetILNS1_3genE9ELNS1_11target_archE1100ELNS1_3gpuE3ELNS1_3repE0EEENS1_44radix_sort_block_sort_config_static_selectorELNS0_4arch9wavefront6targetE1EEEvSH_.num_agpr, 0
	.set _ZN7rocprim17ROCPRIM_400000_NS6detail17trampoline_kernelINS0_13kernel_configILj256ELj4ELj4294967295EEENS1_37radix_sort_block_sort_config_selectorIffEEZNS1_21radix_sort_block_sortIS4_Lb0EN6thrust23THRUST_200600_302600_NS6detail15normal_iteratorINS9_10device_ptrIfEEEESE_SE_SE_NS0_19identity_decomposerEEE10hipError_tT1_T2_T3_T4_jRjT5_jjP12ihipStream_tbEUlT_E_NS1_11comp_targetILNS1_3genE9ELNS1_11target_archE1100ELNS1_3gpuE3ELNS1_3repE0EEENS1_44radix_sort_block_sort_config_static_selectorELNS0_4arch9wavefront6targetE1EEEvSH_.numbered_sgpr, 0
	.set _ZN7rocprim17ROCPRIM_400000_NS6detail17trampoline_kernelINS0_13kernel_configILj256ELj4ELj4294967295EEENS1_37radix_sort_block_sort_config_selectorIffEEZNS1_21radix_sort_block_sortIS4_Lb0EN6thrust23THRUST_200600_302600_NS6detail15normal_iteratorINS9_10device_ptrIfEEEESE_SE_SE_NS0_19identity_decomposerEEE10hipError_tT1_T2_T3_T4_jRjT5_jjP12ihipStream_tbEUlT_E_NS1_11comp_targetILNS1_3genE9ELNS1_11target_archE1100ELNS1_3gpuE3ELNS1_3repE0EEENS1_44radix_sort_block_sort_config_static_selectorELNS0_4arch9wavefront6targetE1EEEvSH_.num_named_barrier, 0
	.set _ZN7rocprim17ROCPRIM_400000_NS6detail17trampoline_kernelINS0_13kernel_configILj256ELj4ELj4294967295EEENS1_37radix_sort_block_sort_config_selectorIffEEZNS1_21radix_sort_block_sortIS4_Lb0EN6thrust23THRUST_200600_302600_NS6detail15normal_iteratorINS9_10device_ptrIfEEEESE_SE_SE_NS0_19identity_decomposerEEE10hipError_tT1_T2_T3_T4_jRjT5_jjP12ihipStream_tbEUlT_E_NS1_11comp_targetILNS1_3genE9ELNS1_11target_archE1100ELNS1_3gpuE3ELNS1_3repE0EEENS1_44radix_sort_block_sort_config_static_selectorELNS0_4arch9wavefront6targetE1EEEvSH_.private_seg_size, 0
	.set _ZN7rocprim17ROCPRIM_400000_NS6detail17trampoline_kernelINS0_13kernel_configILj256ELj4ELj4294967295EEENS1_37radix_sort_block_sort_config_selectorIffEEZNS1_21radix_sort_block_sortIS4_Lb0EN6thrust23THRUST_200600_302600_NS6detail15normal_iteratorINS9_10device_ptrIfEEEESE_SE_SE_NS0_19identity_decomposerEEE10hipError_tT1_T2_T3_T4_jRjT5_jjP12ihipStream_tbEUlT_E_NS1_11comp_targetILNS1_3genE9ELNS1_11target_archE1100ELNS1_3gpuE3ELNS1_3repE0EEENS1_44radix_sort_block_sort_config_static_selectorELNS0_4arch9wavefront6targetE1EEEvSH_.uses_vcc, 0
	.set _ZN7rocprim17ROCPRIM_400000_NS6detail17trampoline_kernelINS0_13kernel_configILj256ELj4ELj4294967295EEENS1_37radix_sort_block_sort_config_selectorIffEEZNS1_21radix_sort_block_sortIS4_Lb0EN6thrust23THRUST_200600_302600_NS6detail15normal_iteratorINS9_10device_ptrIfEEEESE_SE_SE_NS0_19identity_decomposerEEE10hipError_tT1_T2_T3_T4_jRjT5_jjP12ihipStream_tbEUlT_E_NS1_11comp_targetILNS1_3genE9ELNS1_11target_archE1100ELNS1_3gpuE3ELNS1_3repE0EEENS1_44radix_sort_block_sort_config_static_selectorELNS0_4arch9wavefront6targetE1EEEvSH_.uses_flat_scratch, 0
	.set _ZN7rocprim17ROCPRIM_400000_NS6detail17trampoline_kernelINS0_13kernel_configILj256ELj4ELj4294967295EEENS1_37radix_sort_block_sort_config_selectorIffEEZNS1_21radix_sort_block_sortIS4_Lb0EN6thrust23THRUST_200600_302600_NS6detail15normal_iteratorINS9_10device_ptrIfEEEESE_SE_SE_NS0_19identity_decomposerEEE10hipError_tT1_T2_T3_T4_jRjT5_jjP12ihipStream_tbEUlT_E_NS1_11comp_targetILNS1_3genE9ELNS1_11target_archE1100ELNS1_3gpuE3ELNS1_3repE0EEENS1_44radix_sort_block_sort_config_static_selectorELNS0_4arch9wavefront6targetE1EEEvSH_.has_dyn_sized_stack, 0
	.set _ZN7rocprim17ROCPRIM_400000_NS6detail17trampoline_kernelINS0_13kernel_configILj256ELj4ELj4294967295EEENS1_37radix_sort_block_sort_config_selectorIffEEZNS1_21radix_sort_block_sortIS4_Lb0EN6thrust23THRUST_200600_302600_NS6detail15normal_iteratorINS9_10device_ptrIfEEEESE_SE_SE_NS0_19identity_decomposerEEE10hipError_tT1_T2_T3_T4_jRjT5_jjP12ihipStream_tbEUlT_E_NS1_11comp_targetILNS1_3genE9ELNS1_11target_archE1100ELNS1_3gpuE3ELNS1_3repE0EEENS1_44radix_sort_block_sort_config_static_selectorELNS0_4arch9wavefront6targetE1EEEvSH_.has_recursion, 0
	.set _ZN7rocprim17ROCPRIM_400000_NS6detail17trampoline_kernelINS0_13kernel_configILj256ELj4ELj4294967295EEENS1_37radix_sort_block_sort_config_selectorIffEEZNS1_21radix_sort_block_sortIS4_Lb0EN6thrust23THRUST_200600_302600_NS6detail15normal_iteratorINS9_10device_ptrIfEEEESE_SE_SE_NS0_19identity_decomposerEEE10hipError_tT1_T2_T3_T4_jRjT5_jjP12ihipStream_tbEUlT_E_NS1_11comp_targetILNS1_3genE9ELNS1_11target_archE1100ELNS1_3gpuE3ELNS1_3repE0EEENS1_44radix_sort_block_sort_config_static_selectorELNS0_4arch9wavefront6targetE1EEEvSH_.has_indirect_call, 0
	.section	.AMDGPU.csdata,"",@progbits
; Kernel info:
; codeLenInByte = 0
; TotalNumSgprs: 6
; NumVgprs: 0
; NumAgprs: 0
; TotalNumVgprs: 0
; ScratchSize: 0
; MemoryBound: 0
; FloatMode: 240
; IeeeMode: 1
; LDSByteSize: 0 bytes/workgroup (compile time only)
; SGPRBlocks: 0
; VGPRBlocks: 0
; NumSGPRsForWavesPerEU: 6
; NumVGPRsForWavesPerEU: 1
; AccumOffset: 4
; Occupancy: 8
; WaveLimiterHint : 0
; COMPUTE_PGM_RSRC2:SCRATCH_EN: 0
; COMPUTE_PGM_RSRC2:USER_SGPR: 2
; COMPUTE_PGM_RSRC2:TRAP_HANDLER: 0
; COMPUTE_PGM_RSRC2:TGID_X_EN: 1
; COMPUTE_PGM_RSRC2:TGID_Y_EN: 0
; COMPUTE_PGM_RSRC2:TGID_Z_EN: 0
; COMPUTE_PGM_RSRC2:TIDIG_COMP_CNT: 0
; COMPUTE_PGM_RSRC3_GFX90A:ACCUM_OFFSET: 0
; COMPUTE_PGM_RSRC3_GFX90A:TG_SPLIT: 0
	.section	.text._ZN7rocprim17ROCPRIM_400000_NS6detail17trampoline_kernelINS0_13kernel_configILj256ELj4ELj4294967295EEENS1_37radix_sort_block_sort_config_selectorIffEEZNS1_21radix_sort_block_sortIS4_Lb0EN6thrust23THRUST_200600_302600_NS6detail15normal_iteratorINS9_10device_ptrIfEEEESE_SE_SE_NS0_19identity_decomposerEEE10hipError_tT1_T2_T3_T4_jRjT5_jjP12ihipStream_tbEUlT_E_NS1_11comp_targetILNS1_3genE8ELNS1_11target_archE1030ELNS1_3gpuE2ELNS1_3repE0EEENS1_44radix_sort_block_sort_config_static_selectorELNS0_4arch9wavefront6targetE1EEEvSH_,"axG",@progbits,_ZN7rocprim17ROCPRIM_400000_NS6detail17trampoline_kernelINS0_13kernel_configILj256ELj4ELj4294967295EEENS1_37radix_sort_block_sort_config_selectorIffEEZNS1_21radix_sort_block_sortIS4_Lb0EN6thrust23THRUST_200600_302600_NS6detail15normal_iteratorINS9_10device_ptrIfEEEESE_SE_SE_NS0_19identity_decomposerEEE10hipError_tT1_T2_T3_T4_jRjT5_jjP12ihipStream_tbEUlT_E_NS1_11comp_targetILNS1_3genE8ELNS1_11target_archE1030ELNS1_3gpuE2ELNS1_3repE0EEENS1_44radix_sort_block_sort_config_static_selectorELNS0_4arch9wavefront6targetE1EEEvSH_,comdat
	.protected	_ZN7rocprim17ROCPRIM_400000_NS6detail17trampoline_kernelINS0_13kernel_configILj256ELj4ELj4294967295EEENS1_37radix_sort_block_sort_config_selectorIffEEZNS1_21radix_sort_block_sortIS4_Lb0EN6thrust23THRUST_200600_302600_NS6detail15normal_iteratorINS9_10device_ptrIfEEEESE_SE_SE_NS0_19identity_decomposerEEE10hipError_tT1_T2_T3_T4_jRjT5_jjP12ihipStream_tbEUlT_E_NS1_11comp_targetILNS1_3genE8ELNS1_11target_archE1030ELNS1_3gpuE2ELNS1_3repE0EEENS1_44radix_sort_block_sort_config_static_selectorELNS0_4arch9wavefront6targetE1EEEvSH_ ; -- Begin function _ZN7rocprim17ROCPRIM_400000_NS6detail17trampoline_kernelINS0_13kernel_configILj256ELj4ELj4294967295EEENS1_37radix_sort_block_sort_config_selectorIffEEZNS1_21radix_sort_block_sortIS4_Lb0EN6thrust23THRUST_200600_302600_NS6detail15normal_iteratorINS9_10device_ptrIfEEEESE_SE_SE_NS0_19identity_decomposerEEE10hipError_tT1_T2_T3_T4_jRjT5_jjP12ihipStream_tbEUlT_E_NS1_11comp_targetILNS1_3genE8ELNS1_11target_archE1030ELNS1_3gpuE2ELNS1_3repE0EEENS1_44radix_sort_block_sort_config_static_selectorELNS0_4arch9wavefront6targetE1EEEvSH_
	.globl	_ZN7rocprim17ROCPRIM_400000_NS6detail17trampoline_kernelINS0_13kernel_configILj256ELj4ELj4294967295EEENS1_37radix_sort_block_sort_config_selectorIffEEZNS1_21radix_sort_block_sortIS4_Lb0EN6thrust23THRUST_200600_302600_NS6detail15normal_iteratorINS9_10device_ptrIfEEEESE_SE_SE_NS0_19identity_decomposerEEE10hipError_tT1_T2_T3_T4_jRjT5_jjP12ihipStream_tbEUlT_E_NS1_11comp_targetILNS1_3genE8ELNS1_11target_archE1030ELNS1_3gpuE2ELNS1_3repE0EEENS1_44radix_sort_block_sort_config_static_selectorELNS0_4arch9wavefront6targetE1EEEvSH_
	.p2align	8
	.type	_ZN7rocprim17ROCPRIM_400000_NS6detail17trampoline_kernelINS0_13kernel_configILj256ELj4ELj4294967295EEENS1_37radix_sort_block_sort_config_selectorIffEEZNS1_21radix_sort_block_sortIS4_Lb0EN6thrust23THRUST_200600_302600_NS6detail15normal_iteratorINS9_10device_ptrIfEEEESE_SE_SE_NS0_19identity_decomposerEEE10hipError_tT1_T2_T3_T4_jRjT5_jjP12ihipStream_tbEUlT_E_NS1_11comp_targetILNS1_3genE8ELNS1_11target_archE1030ELNS1_3gpuE2ELNS1_3repE0EEENS1_44radix_sort_block_sort_config_static_selectorELNS0_4arch9wavefront6targetE1EEEvSH_,@function
_ZN7rocprim17ROCPRIM_400000_NS6detail17trampoline_kernelINS0_13kernel_configILj256ELj4ELj4294967295EEENS1_37radix_sort_block_sort_config_selectorIffEEZNS1_21radix_sort_block_sortIS4_Lb0EN6thrust23THRUST_200600_302600_NS6detail15normal_iteratorINS9_10device_ptrIfEEEESE_SE_SE_NS0_19identity_decomposerEEE10hipError_tT1_T2_T3_T4_jRjT5_jjP12ihipStream_tbEUlT_E_NS1_11comp_targetILNS1_3genE8ELNS1_11target_archE1030ELNS1_3gpuE2ELNS1_3repE0EEENS1_44radix_sort_block_sort_config_static_selectorELNS0_4arch9wavefront6targetE1EEEvSH_: ; @_ZN7rocprim17ROCPRIM_400000_NS6detail17trampoline_kernelINS0_13kernel_configILj256ELj4ELj4294967295EEENS1_37radix_sort_block_sort_config_selectorIffEEZNS1_21radix_sort_block_sortIS4_Lb0EN6thrust23THRUST_200600_302600_NS6detail15normal_iteratorINS9_10device_ptrIfEEEESE_SE_SE_NS0_19identity_decomposerEEE10hipError_tT1_T2_T3_T4_jRjT5_jjP12ihipStream_tbEUlT_E_NS1_11comp_targetILNS1_3genE8ELNS1_11target_archE1030ELNS1_3gpuE2ELNS1_3repE0EEENS1_44radix_sort_block_sort_config_static_selectorELNS0_4arch9wavefront6targetE1EEEvSH_
; %bb.0:
	.section	.rodata,"a",@progbits
	.p2align	6, 0x0
	.amdhsa_kernel _ZN7rocprim17ROCPRIM_400000_NS6detail17trampoline_kernelINS0_13kernel_configILj256ELj4ELj4294967295EEENS1_37radix_sort_block_sort_config_selectorIffEEZNS1_21radix_sort_block_sortIS4_Lb0EN6thrust23THRUST_200600_302600_NS6detail15normal_iteratorINS9_10device_ptrIfEEEESE_SE_SE_NS0_19identity_decomposerEEE10hipError_tT1_T2_T3_T4_jRjT5_jjP12ihipStream_tbEUlT_E_NS1_11comp_targetILNS1_3genE8ELNS1_11target_archE1030ELNS1_3gpuE2ELNS1_3repE0EEENS1_44radix_sort_block_sort_config_static_selectorELNS0_4arch9wavefront6targetE1EEEvSH_
		.amdhsa_group_segment_fixed_size 0
		.amdhsa_private_segment_fixed_size 0
		.amdhsa_kernarg_size 48
		.amdhsa_user_sgpr_count 2
		.amdhsa_user_sgpr_dispatch_ptr 0
		.amdhsa_user_sgpr_queue_ptr 0
		.amdhsa_user_sgpr_kernarg_segment_ptr 1
		.amdhsa_user_sgpr_dispatch_id 0
		.amdhsa_user_sgpr_kernarg_preload_length 0
		.amdhsa_user_sgpr_kernarg_preload_offset 0
		.amdhsa_user_sgpr_private_segment_size 0
		.amdhsa_uses_dynamic_stack 0
		.amdhsa_enable_private_segment 0
		.amdhsa_system_sgpr_workgroup_id_x 1
		.amdhsa_system_sgpr_workgroup_id_y 0
		.amdhsa_system_sgpr_workgroup_id_z 0
		.amdhsa_system_sgpr_workgroup_info 0
		.amdhsa_system_vgpr_workitem_id 0
		.amdhsa_next_free_vgpr 1
		.amdhsa_next_free_sgpr 0
		.amdhsa_accum_offset 4
		.amdhsa_reserve_vcc 0
		.amdhsa_float_round_mode_32 0
		.amdhsa_float_round_mode_16_64 0
		.amdhsa_float_denorm_mode_32 3
		.amdhsa_float_denorm_mode_16_64 3
		.amdhsa_dx10_clamp 1
		.amdhsa_ieee_mode 1
		.amdhsa_fp16_overflow 0
		.amdhsa_tg_split 0
		.amdhsa_exception_fp_ieee_invalid_op 0
		.amdhsa_exception_fp_denorm_src 0
		.amdhsa_exception_fp_ieee_div_zero 0
		.amdhsa_exception_fp_ieee_overflow 0
		.amdhsa_exception_fp_ieee_underflow 0
		.amdhsa_exception_fp_ieee_inexact 0
		.amdhsa_exception_int_div_zero 0
	.end_amdhsa_kernel
	.section	.text._ZN7rocprim17ROCPRIM_400000_NS6detail17trampoline_kernelINS0_13kernel_configILj256ELj4ELj4294967295EEENS1_37radix_sort_block_sort_config_selectorIffEEZNS1_21radix_sort_block_sortIS4_Lb0EN6thrust23THRUST_200600_302600_NS6detail15normal_iteratorINS9_10device_ptrIfEEEESE_SE_SE_NS0_19identity_decomposerEEE10hipError_tT1_T2_T3_T4_jRjT5_jjP12ihipStream_tbEUlT_E_NS1_11comp_targetILNS1_3genE8ELNS1_11target_archE1030ELNS1_3gpuE2ELNS1_3repE0EEENS1_44radix_sort_block_sort_config_static_selectorELNS0_4arch9wavefront6targetE1EEEvSH_,"axG",@progbits,_ZN7rocprim17ROCPRIM_400000_NS6detail17trampoline_kernelINS0_13kernel_configILj256ELj4ELj4294967295EEENS1_37radix_sort_block_sort_config_selectorIffEEZNS1_21radix_sort_block_sortIS4_Lb0EN6thrust23THRUST_200600_302600_NS6detail15normal_iteratorINS9_10device_ptrIfEEEESE_SE_SE_NS0_19identity_decomposerEEE10hipError_tT1_T2_T3_T4_jRjT5_jjP12ihipStream_tbEUlT_E_NS1_11comp_targetILNS1_3genE8ELNS1_11target_archE1030ELNS1_3gpuE2ELNS1_3repE0EEENS1_44radix_sort_block_sort_config_static_selectorELNS0_4arch9wavefront6targetE1EEEvSH_,comdat
.Lfunc_end211:
	.size	_ZN7rocprim17ROCPRIM_400000_NS6detail17trampoline_kernelINS0_13kernel_configILj256ELj4ELj4294967295EEENS1_37radix_sort_block_sort_config_selectorIffEEZNS1_21radix_sort_block_sortIS4_Lb0EN6thrust23THRUST_200600_302600_NS6detail15normal_iteratorINS9_10device_ptrIfEEEESE_SE_SE_NS0_19identity_decomposerEEE10hipError_tT1_T2_T3_T4_jRjT5_jjP12ihipStream_tbEUlT_E_NS1_11comp_targetILNS1_3genE8ELNS1_11target_archE1030ELNS1_3gpuE2ELNS1_3repE0EEENS1_44radix_sort_block_sort_config_static_selectorELNS0_4arch9wavefront6targetE1EEEvSH_, .Lfunc_end211-_ZN7rocprim17ROCPRIM_400000_NS6detail17trampoline_kernelINS0_13kernel_configILj256ELj4ELj4294967295EEENS1_37radix_sort_block_sort_config_selectorIffEEZNS1_21radix_sort_block_sortIS4_Lb0EN6thrust23THRUST_200600_302600_NS6detail15normal_iteratorINS9_10device_ptrIfEEEESE_SE_SE_NS0_19identity_decomposerEEE10hipError_tT1_T2_T3_T4_jRjT5_jjP12ihipStream_tbEUlT_E_NS1_11comp_targetILNS1_3genE8ELNS1_11target_archE1030ELNS1_3gpuE2ELNS1_3repE0EEENS1_44radix_sort_block_sort_config_static_selectorELNS0_4arch9wavefront6targetE1EEEvSH_
                                        ; -- End function
	.set _ZN7rocprim17ROCPRIM_400000_NS6detail17trampoline_kernelINS0_13kernel_configILj256ELj4ELj4294967295EEENS1_37radix_sort_block_sort_config_selectorIffEEZNS1_21radix_sort_block_sortIS4_Lb0EN6thrust23THRUST_200600_302600_NS6detail15normal_iteratorINS9_10device_ptrIfEEEESE_SE_SE_NS0_19identity_decomposerEEE10hipError_tT1_T2_T3_T4_jRjT5_jjP12ihipStream_tbEUlT_E_NS1_11comp_targetILNS1_3genE8ELNS1_11target_archE1030ELNS1_3gpuE2ELNS1_3repE0EEENS1_44radix_sort_block_sort_config_static_selectorELNS0_4arch9wavefront6targetE1EEEvSH_.num_vgpr, 0
	.set _ZN7rocprim17ROCPRIM_400000_NS6detail17trampoline_kernelINS0_13kernel_configILj256ELj4ELj4294967295EEENS1_37radix_sort_block_sort_config_selectorIffEEZNS1_21radix_sort_block_sortIS4_Lb0EN6thrust23THRUST_200600_302600_NS6detail15normal_iteratorINS9_10device_ptrIfEEEESE_SE_SE_NS0_19identity_decomposerEEE10hipError_tT1_T2_T3_T4_jRjT5_jjP12ihipStream_tbEUlT_E_NS1_11comp_targetILNS1_3genE8ELNS1_11target_archE1030ELNS1_3gpuE2ELNS1_3repE0EEENS1_44radix_sort_block_sort_config_static_selectorELNS0_4arch9wavefront6targetE1EEEvSH_.num_agpr, 0
	.set _ZN7rocprim17ROCPRIM_400000_NS6detail17trampoline_kernelINS0_13kernel_configILj256ELj4ELj4294967295EEENS1_37radix_sort_block_sort_config_selectorIffEEZNS1_21radix_sort_block_sortIS4_Lb0EN6thrust23THRUST_200600_302600_NS6detail15normal_iteratorINS9_10device_ptrIfEEEESE_SE_SE_NS0_19identity_decomposerEEE10hipError_tT1_T2_T3_T4_jRjT5_jjP12ihipStream_tbEUlT_E_NS1_11comp_targetILNS1_3genE8ELNS1_11target_archE1030ELNS1_3gpuE2ELNS1_3repE0EEENS1_44radix_sort_block_sort_config_static_selectorELNS0_4arch9wavefront6targetE1EEEvSH_.numbered_sgpr, 0
	.set _ZN7rocprim17ROCPRIM_400000_NS6detail17trampoline_kernelINS0_13kernel_configILj256ELj4ELj4294967295EEENS1_37radix_sort_block_sort_config_selectorIffEEZNS1_21radix_sort_block_sortIS4_Lb0EN6thrust23THRUST_200600_302600_NS6detail15normal_iteratorINS9_10device_ptrIfEEEESE_SE_SE_NS0_19identity_decomposerEEE10hipError_tT1_T2_T3_T4_jRjT5_jjP12ihipStream_tbEUlT_E_NS1_11comp_targetILNS1_3genE8ELNS1_11target_archE1030ELNS1_3gpuE2ELNS1_3repE0EEENS1_44radix_sort_block_sort_config_static_selectorELNS0_4arch9wavefront6targetE1EEEvSH_.num_named_barrier, 0
	.set _ZN7rocprim17ROCPRIM_400000_NS6detail17trampoline_kernelINS0_13kernel_configILj256ELj4ELj4294967295EEENS1_37radix_sort_block_sort_config_selectorIffEEZNS1_21radix_sort_block_sortIS4_Lb0EN6thrust23THRUST_200600_302600_NS6detail15normal_iteratorINS9_10device_ptrIfEEEESE_SE_SE_NS0_19identity_decomposerEEE10hipError_tT1_T2_T3_T4_jRjT5_jjP12ihipStream_tbEUlT_E_NS1_11comp_targetILNS1_3genE8ELNS1_11target_archE1030ELNS1_3gpuE2ELNS1_3repE0EEENS1_44radix_sort_block_sort_config_static_selectorELNS0_4arch9wavefront6targetE1EEEvSH_.private_seg_size, 0
	.set _ZN7rocprim17ROCPRIM_400000_NS6detail17trampoline_kernelINS0_13kernel_configILj256ELj4ELj4294967295EEENS1_37radix_sort_block_sort_config_selectorIffEEZNS1_21radix_sort_block_sortIS4_Lb0EN6thrust23THRUST_200600_302600_NS6detail15normal_iteratorINS9_10device_ptrIfEEEESE_SE_SE_NS0_19identity_decomposerEEE10hipError_tT1_T2_T3_T4_jRjT5_jjP12ihipStream_tbEUlT_E_NS1_11comp_targetILNS1_3genE8ELNS1_11target_archE1030ELNS1_3gpuE2ELNS1_3repE0EEENS1_44radix_sort_block_sort_config_static_selectorELNS0_4arch9wavefront6targetE1EEEvSH_.uses_vcc, 0
	.set _ZN7rocprim17ROCPRIM_400000_NS6detail17trampoline_kernelINS0_13kernel_configILj256ELj4ELj4294967295EEENS1_37radix_sort_block_sort_config_selectorIffEEZNS1_21radix_sort_block_sortIS4_Lb0EN6thrust23THRUST_200600_302600_NS6detail15normal_iteratorINS9_10device_ptrIfEEEESE_SE_SE_NS0_19identity_decomposerEEE10hipError_tT1_T2_T3_T4_jRjT5_jjP12ihipStream_tbEUlT_E_NS1_11comp_targetILNS1_3genE8ELNS1_11target_archE1030ELNS1_3gpuE2ELNS1_3repE0EEENS1_44radix_sort_block_sort_config_static_selectorELNS0_4arch9wavefront6targetE1EEEvSH_.uses_flat_scratch, 0
	.set _ZN7rocprim17ROCPRIM_400000_NS6detail17trampoline_kernelINS0_13kernel_configILj256ELj4ELj4294967295EEENS1_37radix_sort_block_sort_config_selectorIffEEZNS1_21radix_sort_block_sortIS4_Lb0EN6thrust23THRUST_200600_302600_NS6detail15normal_iteratorINS9_10device_ptrIfEEEESE_SE_SE_NS0_19identity_decomposerEEE10hipError_tT1_T2_T3_T4_jRjT5_jjP12ihipStream_tbEUlT_E_NS1_11comp_targetILNS1_3genE8ELNS1_11target_archE1030ELNS1_3gpuE2ELNS1_3repE0EEENS1_44radix_sort_block_sort_config_static_selectorELNS0_4arch9wavefront6targetE1EEEvSH_.has_dyn_sized_stack, 0
	.set _ZN7rocprim17ROCPRIM_400000_NS6detail17trampoline_kernelINS0_13kernel_configILj256ELj4ELj4294967295EEENS1_37radix_sort_block_sort_config_selectorIffEEZNS1_21radix_sort_block_sortIS4_Lb0EN6thrust23THRUST_200600_302600_NS6detail15normal_iteratorINS9_10device_ptrIfEEEESE_SE_SE_NS0_19identity_decomposerEEE10hipError_tT1_T2_T3_T4_jRjT5_jjP12ihipStream_tbEUlT_E_NS1_11comp_targetILNS1_3genE8ELNS1_11target_archE1030ELNS1_3gpuE2ELNS1_3repE0EEENS1_44radix_sort_block_sort_config_static_selectorELNS0_4arch9wavefront6targetE1EEEvSH_.has_recursion, 0
	.set _ZN7rocprim17ROCPRIM_400000_NS6detail17trampoline_kernelINS0_13kernel_configILj256ELj4ELj4294967295EEENS1_37radix_sort_block_sort_config_selectorIffEEZNS1_21radix_sort_block_sortIS4_Lb0EN6thrust23THRUST_200600_302600_NS6detail15normal_iteratorINS9_10device_ptrIfEEEESE_SE_SE_NS0_19identity_decomposerEEE10hipError_tT1_T2_T3_T4_jRjT5_jjP12ihipStream_tbEUlT_E_NS1_11comp_targetILNS1_3genE8ELNS1_11target_archE1030ELNS1_3gpuE2ELNS1_3repE0EEENS1_44radix_sort_block_sort_config_static_selectorELNS0_4arch9wavefront6targetE1EEEvSH_.has_indirect_call, 0
	.section	.AMDGPU.csdata,"",@progbits
; Kernel info:
; codeLenInByte = 0
; TotalNumSgprs: 6
; NumVgprs: 0
; NumAgprs: 0
; TotalNumVgprs: 0
; ScratchSize: 0
; MemoryBound: 0
; FloatMode: 240
; IeeeMode: 1
; LDSByteSize: 0 bytes/workgroup (compile time only)
; SGPRBlocks: 0
; VGPRBlocks: 0
; NumSGPRsForWavesPerEU: 6
; NumVGPRsForWavesPerEU: 1
; AccumOffset: 4
; Occupancy: 8
; WaveLimiterHint : 0
; COMPUTE_PGM_RSRC2:SCRATCH_EN: 0
; COMPUTE_PGM_RSRC2:USER_SGPR: 2
; COMPUTE_PGM_RSRC2:TRAP_HANDLER: 0
; COMPUTE_PGM_RSRC2:TGID_X_EN: 1
; COMPUTE_PGM_RSRC2:TGID_Y_EN: 0
; COMPUTE_PGM_RSRC2:TGID_Z_EN: 0
; COMPUTE_PGM_RSRC2:TIDIG_COMP_CNT: 0
; COMPUTE_PGM_RSRC3_GFX90A:ACCUM_OFFSET: 0
; COMPUTE_PGM_RSRC3_GFX90A:TG_SPLIT: 0
	.section	.text._ZN7rocprim17ROCPRIM_400000_NS6detail44device_merge_sort_compile_time_verifier_archINS1_11comp_targetILNS1_3genE0ELNS1_11target_archE4294967295ELNS1_3gpuE0ELNS1_3repE0EEES8_NS1_28merge_sort_block_sort_configILj256ELj4ELNS0_20block_sort_algorithmE0EEENS0_14default_configENS1_37merge_sort_block_sort_config_selectorIffEENS1_38merge_sort_block_merge_config_selectorIffEEEEvv,"axG",@progbits,_ZN7rocprim17ROCPRIM_400000_NS6detail44device_merge_sort_compile_time_verifier_archINS1_11comp_targetILNS1_3genE0ELNS1_11target_archE4294967295ELNS1_3gpuE0ELNS1_3repE0EEES8_NS1_28merge_sort_block_sort_configILj256ELj4ELNS0_20block_sort_algorithmE0EEENS0_14default_configENS1_37merge_sort_block_sort_config_selectorIffEENS1_38merge_sort_block_merge_config_selectorIffEEEEvv,comdat
	.protected	_ZN7rocprim17ROCPRIM_400000_NS6detail44device_merge_sort_compile_time_verifier_archINS1_11comp_targetILNS1_3genE0ELNS1_11target_archE4294967295ELNS1_3gpuE0ELNS1_3repE0EEES8_NS1_28merge_sort_block_sort_configILj256ELj4ELNS0_20block_sort_algorithmE0EEENS0_14default_configENS1_37merge_sort_block_sort_config_selectorIffEENS1_38merge_sort_block_merge_config_selectorIffEEEEvv ; -- Begin function _ZN7rocprim17ROCPRIM_400000_NS6detail44device_merge_sort_compile_time_verifier_archINS1_11comp_targetILNS1_3genE0ELNS1_11target_archE4294967295ELNS1_3gpuE0ELNS1_3repE0EEES8_NS1_28merge_sort_block_sort_configILj256ELj4ELNS0_20block_sort_algorithmE0EEENS0_14default_configENS1_37merge_sort_block_sort_config_selectorIffEENS1_38merge_sort_block_merge_config_selectorIffEEEEvv
	.globl	_ZN7rocprim17ROCPRIM_400000_NS6detail44device_merge_sort_compile_time_verifier_archINS1_11comp_targetILNS1_3genE0ELNS1_11target_archE4294967295ELNS1_3gpuE0ELNS1_3repE0EEES8_NS1_28merge_sort_block_sort_configILj256ELj4ELNS0_20block_sort_algorithmE0EEENS0_14default_configENS1_37merge_sort_block_sort_config_selectorIffEENS1_38merge_sort_block_merge_config_selectorIffEEEEvv
	.p2align	8
	.type	_ZN7rocprim17ROCPRIM_400000_NS6detail44device_merge_sort_compile_time_verifier_archINS1_11comp_targetILNS1_3genE0ELNS1_11target_archE4294967295ELNS1_3gpuE0ELNS1_3repE0EEES8_NS1_28merge_sort_block_sort_configILj256ELj4ELNS0_20block_sort_algorithmE0EEENS0_14default_configENS1_37merge_sort_block_sort_config_selectorIffEENS1_38merge_sort_block_merge_config_selectorIffEEEEvv,@function
_ZN7rocprim17ROCPRIM_400000_NS6detail44device_merge_sort_compile_time_verifier_archINS1_11comp_targetILNS1_3genE0ELNS1_11target_archE4294967295ELNS1_3gpuE0ELNS1_3repE0EEES8_NS1_28merge_sort_block_sort_configILj256ELj4ELNS0_20block_sort_algorithmE0EEENS0_14default_configENS1_37merge_sort_block_sort_config_selectorIffEENS1_38merge_sort_block_merge_config_selectorIffEEEEvv: ; @_ZN7rocprim17ROCPRIM_400000_NS6detail44device_merge_sort_compile_time_verifier_archINS1_11comp_targetILNS1_3genE0ELNS1_11target_archE4294967295ELNS1_3gpuE0ELNS1_3repE0EEES8_NS1_28merge_sort_block_sort_configILj256ELj4ELNS0_20block_sort_algorithmE0EEENS0_14default_configENS1_37merge_sort_block_sort_config_selectorIffEENS1_38merge_sort_block_merge_config_selectorIffEEEEvv
; %bb.0:
	s_endpgm
	.section	.rodata,"a",@progbits
	.p2align	6, 0x0
	.amdhsa_kernel _ZN7rocprim17ROCPRIM_400000_NS6detail44device_merge_sort_compile_time_verifier_archINS1_11comp_targetILNS1_3genE0ELNS1_11target_archE4294967295ELNS1_3gpuE0ELNS1_3repE0EEES8_NS1_28merge_sort_block_sort_configILj256ELj4ELNS0_20block_sort_algorithmE0EEENS0_14default_configENS1_37merge_sort_block_sort_config_selectorIffEENS1_38merge_sort_block_merge_config_selectorIffEEEEvv
		.amdhsa_group_segment_fixed_size 0
		.amdhsa_private_segment_fixed_size 0
		.amdhsa_kernarg_size 0
		.amdhsa_user_sgpr_count 0
		.amdhsa_user_sgpr_dispatch_ptr 0
		.amdhsa_user_sgpr_queue_ptr 0
		.amdhsa_user_sgpr_kernarg_segment_ptr 0
		.amdhsa_user_sgpr_dispatch_id 0
		.amdhsa_user_sgpr_kernarg_preload_length 0
		.amdhsa_user_sgpr_kernarg_preload_offset 0
		.amdhsa_user_sgpr_private_segment_size 0
		.amdhsa_uses_dynamic_stack 0
		.amdhsa_enable_private_segment 0
		.amdhsa_system_sgpr_workgroup_id_x 1
		.amdhsa_system_sgpr_workgroup_id_y 0
		.amdhsa_system_sgpr_workgroup_id_z 0
		.amdhsa_system_sgpr_workgroup_info 0
		.amdhsa_system_vgpr_workitem_id 0
		.amdhsa_next_free_vgpr 1
		.amdhsa_next_free_sgpr 0
		.amdhsa_accum_offset 4
		.amdhsa_reserve_vcc 0
		.amdhsa_float_round_mode_32 0
		.amdhsa_float_round_mode_16_64 0
		.amdhsa_float_denorm_mode_32 3
		.amdhsa_float_denorm_mode_16_64 3
		.amdhsa_dx10_clamp 1
		.amdhsa_ieee_mode 1
		.amdhsa_fp16_overflow 0
		.amdhsa_tg_split 0
		.amdhsa_exception_fp_ieee_invalid_op 0
		.amdhsa_exception_fp_denorm_src 0
		.amdhsa_exception_fp_ieee_div_zero 0
		.amdhsa_exception_fp_ieee_overflow 0
		.amdhsa_exception_fp_ieee_underflow 0
		.amdhsa_exception_fp_ieee_inexact 0
		.amdhsa_exception_int_div_zero 0
	.end_amdhsa_kernel
	.section	.text._ZN7rocprim17ROCPRIM_400000_NS6detail44device_merge_sort_compile_time_verifier_archINS1_11comp_targetILNS1_3genE0ELNS1_11target_archE4294967295ELNS1_3gpuE0ELNS1_3repE0EEES8_NS1_28merge_sort_block_sort_configILj256ELj4ELNS0_20block_sort_algorithmE0EEENS0_14default_configENS1_37merge_sort_block_sort_config_selectorIffEENS1_38merge_sort_block_merge_config_selectorIffEEEEvv,"axG",@progbits,_ZN7rocprim17ROCPRIM_400000_NS6detail44device_merge_sort_compile_time_verifier_archINS1_11comp_targetILNS1_3genE0ELNS1_11target_archE4294967295ELNS1_3gpuE0ELNS1_3repE0EEES8_NS1_28merge_sort_block_sort_configILj256ELj4ELNS0_20block_sort_algorithmE0EEENS0_14default_configENS1_37merge_sort_block_sort_config_selectorIffEENS1_38merge_sort_block_merge_config_selectorIffEEEEvv,comdat
.Lfunc_end212:
	.size	_ZN7rocprim17ROCPRIM_400000_NS6detail44device_merge_sort_compile_time_verifier_archINS1_11comp_targetILNS1_3genE0ELNS1_11target_archE4294967295ELNS1_3gpuE0ELNS1_3repE0EEES8_NS1_28merge_sort_block_sort_configILj256ELj4ELNS0_20block_sort_algorithmE0EEENS0_14default_configENS1_37merge_sort_block_sort_config_selectorIffEENS1_38merge_sort_block_merge_config_selectorIffEEEEvv, .Lfunc_end212-_ZN7rocprim17ROCPRIM_400000_NS6detail44device_merge_sort_compile_time_verifier_archINS1_11comp_targetILNS1_3genE0ELNS1_11target_archE4294967295ELNS1_3gpuE0ELNS1_3repE0EEES8_NS1_28merge_sort_block_sort_configILj256ELj4ELNS0_20block_sort_algorithmE0EEENS0_14default_configENS1_37merge_sort_block_sort_config_selectorIffEENS1_38merge_sort_block_merge_config_selectorIffEEEEvv
                                        ; -- End function
	.set _ZN7rocprim17ROCPRIM_400000_NS6detail44device_merge_sort_compile_time_verifier_archINS1_11comp_targetILNS1_3genE0ELNS1_11target_archE4294967295ELNS1_3gpuE0ELNS1_3repE0EEES8_NS1_28merge_sort_block_sort_configILj256ELj4ELNS0_20block_sort_algorithmE0EEENS0_14default_configENS1_37merge_sort_block_sort_config_selectorIffEENS1_38merge_sort_block_merge_config_selectorIffEEEEvv.num_vgpr, 0
	.set _ZN7rocprim17ROCPRIM_400000_NS6detail44device_merge_sort_compile_time_verifier_archINS1_11comp_targetILNS1_3genE0ELNS1_11target_archE4294967295ELNS1_3gpuE0ELNS1_3repE0EEES8_NS1_28merge_sort_block_sort_configILj256ELj4ELNS0_20block_sort_algorithmE0EEENS0_14default_configENS1_37merge_sort_block_sort_config_selectorIffEENS1_38merge_sort_block_merge_config_selectorIffEEEEvv.num_agpr, 0
	.set _ZN7rocprim17ROCPRIM_400000_NS6detail44device_merge_sort_compile_time_verifier_archINS1_11comp_targetILNS1_3genE0ELNS1_11target_archE4294967295ELNS1_3gpuE0ELNS1_3repE0EEES8_NS1_28merge_sort_block_sort_configILj256ELj4ELNS0_20block_sort_algorithmE0EEENS0_14default_configENS1_37merge_sort_block_sort_config_selectorIffEENS1_38merge_sort_block_merge_config_selectorIffEEEEvv.numbered_sgpr, 0
	.set _ZN7rocprim17ROCPRIM_400000_NS6detail44device_merge_sort_compile_time_verifier_archINS1_11comp_targetILNS1_3genE0ELNS1_11target_archE4294967295ELNS1_3gpuE0ELNS1_3repE0EEES8_NS1_28merge_sort_block_sort_configILj256ELj4ELNS0_20block_sort_algorithmE0EEENS0_14default_configENS1_37merge_sort_block_sort_config_selectorIffEENS1_38merge_sort_block_merge_config_selectorIffEEEEvv.num_named_barrier, 0
	.set _ZN7rocprim17ROCPRIM_400000_NS6detail44device_merge_sort_compile_time_verifier_archINS1_11comp_targetILNS1_3genE0ELNS1_11target_archE4294967295ELNS1_3gpuE0ELNS1_3repE0EEES8_NS1_28merge_sort_block_sort_configILj256ELj4ELNS0_20block_sort_algorithmE0EEENS0_14default_configENS1_37merge_sort_block_sort_config_selectorIffEENS1_38merge_sort_block_merge_config_selectorIffEEEEvv.private_seg_size, 0
	.set _ZN7rocprim17ROCPRIM_400000_NS6detail44device_merge_sort_compile_time_verifier_archINS1_11comp_targetILNS1_3genE0ELNS1_11target_archE4294967295ELNS1_3gpuE0ELNS1_3repE0EEES8_NS1_28merge_sort_block_sort_configILj256ELj4ELNS0_20block_sort_algorithmE0EEENS0_14default_configENS1_37merge_sort_block_sort_config_selectorIffEENS1_38merge_sort_block_merge_config_selectorIffEEEEvv.uses_vcc, 0
	.set _ZN7rocprim17ROCPRIM_400000_NS6detail44device_merge_sort_compile_time_verifier_archINS1_11comp_targetILNS1_3genE0ELNS1_11target_archE4294967295ELNS1_3gpuE0ELNS1_3repE0EEES8_NS1_28merge_sort_block_sort_configILj256ELj4ELNS0_20block_sort_algorithmE0EEENS0_14default_configENS1_37merge_sort_block_sort_config_selectorIffEENS1_38merge_sort_block_merge_config_selectorIffEEEEvv.uses_flat_scratch, 0
	.set _ZN7rocprim17ROCPRIM_400000_NS6detail44device_merge_sort_compile_time_verifier_archINS1_11comp_targetILNS1_3genE0ELNS1_11target_archE4294967295ELNS1_3gpuE0ELNS1_3repE0EEES8_NS1_28merge_sort_block_sort_configILj256ELj4ELNS0_20block_sort_algorithmE0EEENS0_14default_configENS1_37merge_sort_block_sort_config_selectorIffEENS1_38merge_sort_block_merge_config_selectorIffEEEEvv.has_dyn_sized_stack, 0
	.set _ZN7rocprim17ROCPRIM_400000_NS6detail44device_merge_sort_compile_time_verifier_archINS1_11comp_targetILNS1_3genE0ELNS1_11target_archE4294967295ELNS1_3gpuE0ELNS1_3repE0EEES8_NS1_28merge_sort_block_sort_configILj256ELj4ELNS0_20block_sort_algorithmE0EEENS0_14default_configENS1_37merge_sort_block_sort_config_selectorIffEENS1_38merge_sort_block_merge_config_selectorIffEEEEvv.has_recursion, 0
	.set _ZN7rocprim17ROCPRIM_400000_NS6detail44device_merge_sort_compile_time_verifier_archINS1_11comp_targetILNS1_3genE0ELNS1_11target_archE4294967295ELNS1_3gpuE0ELNS1_3repE0EEES8_NS1_28merge_sort_block_sort_configILj256ELj4ELNS0_20block_sort_algorithmE0EEENS0_14default_configENS1_37merge_sort_block_sort_config_selectorIffEENS1_38merge_sort_block_merge_config_selectorIffEEEEvv.has_indirect_call, 0
	.section	.AMDGPU.csdata,"",@progbits
; Kernel info:
; codeLenInByte = 4
; TotalNumSgprs: 6
; NumVgprs: 0
; NumAgprs: 0
; TotalNumVgprs: 0
; ScratchSize: 0
; MemoryBound: 0
; FloatMode: 240
; IeeeMode: 1
; LDSByteSize: 0 bytes/workgroup (compile time only)
; SGPRBlocks: 0
; VGPRBlocks: 0
; NumSGPRsForWavesPerEU: 6
; NumVGPRsForWavesPerEU: 1
; AccumOffset: 4
; Occupancy: 8
; WaveLimiterHint : 0
; COMPUTE_PGM_RSRC2:SCRATCH_EN: 0
; COMPUTE_PGM_RSRC2:USER_SGPR: 0
; COMPUTE_PGM_RSRC2:TRAP_HANDLER: 0
; COMPUTE_PGM_RSRC2:TGID_X_EN: 1
; COMPUTE_PGM_RSRC2:TGID_Y_EN: 0
; COMPUTE_PGM_RSRC2:TGID_Z_EN: 0
; COMPUTE_PGM_RSRC2:TIDIG_COMP_CNT: 0
; COMPUTE_PGM_RSRC3_GFX90A:ACCUM_OFFSET: 0
; COMPUTE_PGM_RSRC3_GFX90A:TG_SPLIT: 0
	.section	.text._ZN7rocprim17ROCPRIM_400000_NS6detail44device_merge_sort_compile_time_verifier_archINS1_11comp_targetILNS1_3genE5ELNS1_11target_archE942ELNS1_3gpuE9ELNS1_3repE0EEES8_NS1_28merge_sort_block_sort_configILj256ELj4ELNS0_20block_sort_algorithmE0EEENS0_14default_configENS1_37merge_sort_block_sort_config_selectorIffEENS1_38merge_sort_block_merge_config_selectorIffEEEEvv,"axG",@progbits,_ZN7rocprim17ROCPRIM_400000_NS6detail44device_merge_sort_compile_time_verifier_archINS1_11comp_targetILNS1_3genE5ELNS1_11target_archE942ELNS1_3gpuE9ELNS1_3repE0EEES8_NS1_28merge_sort_block_sort_configILj256ELj4ELNS0_20block_sort_algorithmE0EEENS0_14default_configENS1_37merge_sort_block_sort_config_selectorIffEENS1_38merge_sort_block_merge_config_selectorIffEEEEvv,comdat
	.protected	_ZN7rocprim17ROCPRIM_400000_NS6detail44device_merge_sort_compile_time_verifier_archINS1_11comp_targetILNS1_3genE5ELNS1_11target_archE942ELNS1_3gpuE9ELNS1_3repE0EEES8_NS1_28merge_sort_block_sort_configILj256ELj4ELNS0_20block_sort_algorithmE0EEENS0_14default_configENS1_37merge_sort_block_sort_config_selectorIffEENS1_38merge_sort_block_merge_config_selectorIffEEEEvv ; -- Begin function _ZN7rocprim17ROCPRIM_400000_NS6detail44device_merge_sort_compile_time_verifier_archINS1_11comp_targetILNS1_3genE5ELNS1_11target_archE942ELNS1_3gpuE9ELNS1_3repE0EEES8_NS1_28merge_sort_block_sort_configILj256ELj4ELNS0_20block_sort_algorithmE0EEENS0_14default_configENS1_37merge_sort_block_sort_config_selectorIffEENS1_38merge_sort_block_merge_config_selectorIffEEEEvv
	.globl	_ZN7rocprim17ROCPRIM_400000_NS6detail44device_merge_sort_compile_time_verifier_archINS1_11comp_targetILNS1_3genE5ELNS1_11target_archE942ELNS1_3gpuE9ELNS1_3repE0EEES8_NS1_28merge_sort_block_sort_configILj256ELj4ELNS0_20block_sort_algorithmE0EEENS0_14default_configENS1_37merge_sort_block_sort_config_selectorIffEENS1_38merge_sort_block_merge_config_selectorIffEEEEvv
	.p2align	8
	.type	_ZN7rocprim17ROCPRIM_400000_NS6detail44device_merge_sort_compile_time_verifier_archINS1_11comp_targetILNS1_3genE5ELNS1_11target_archE942ELNS1_3gpuE9ELNS1_3repE0EEES8_NS1_28merge_sort_block_sort_configILj256ELj4ELNS0_20block_sort_algorithmE0EEENS0_14default_configENS1_37merge_sort_block_sort_config_selectorIffEENS1_38merge_sort_block_merge_config_selectorIffEEEEvv,@function
_ZN7rocprim17ROCPRIM_400000_NS6detail44device_merge_sort_compile_time_verifier_archINS1_11comp_targetILNS1_3genE5ELNS1_11target_archE942ELNS1_3gpuE9ELNS1_3repE0EEES8_NS1_28merge_sort_block_sort_configILj256ELj4ELNS0_20block_sort_algorithmE0EEENS0_14default_configENS1_37merge_sort_block_sort_config_selectorIffEENS1_38merge_sort_block_merge_config_selectorIffEEEEvv: ; @_ZN7rocprim17ROCPRIM_400000_NS6detail44device_merge_sort_compile_time_verifier_archINS1_11comp_targetILNS1_3genE5ELNS1_11target_archE942ELNS1_3gpuE9ELNS1_3repE0EEES8_NS1_28merge_sort_block_sort_configILj256ELj4ELNS0_20block_sort_algorithmE0EEENS0_14default_configENS1_37merge_sort_block_sort_config_selectorIffEENS1_38merge_sort_block_merge_config_selectorIffEEEEvv
; %bb.0:
	s_endpgm
	.section	.rodata,"a",@progbits
	.p2align	6, 0x0
	.amdhsa_kernel _ZN7rocprim17ROCPRIM_400000_NS6detail44device_merge_sort_compile_time_verifier_archINS1_11comp_targetILNS1_3genE5ELNS1_11target_archE942ELNS1_3gpuE9ELNS1_3repE0EEES8_NS1_28merge_sort_block_sort_configILj256ELj4ELNS0_20block_sort_algorithmE0EEENS0_14default_configENS1_37merge_sort_block_sort_config_selectorIffEENS1_38merge_sort_block_merge_config_selectorIffEEEEvv
		.amdhsa_group_segment_fixed_size 0
		.amdhsa_private_segment_fixed_size 0
		.amdhsa_kernarg_size 0
		.amdhsa_user_sgpr_count 0
		.amdhsa_user_sgpr_dispatch_ptr 0
		.amdhsa_user_sgpr_queue_ptr 0
		.amdhsa_user_sgpr_kernarg_segment_ptr 0
		.amdhsa_user_sgpr_dispatch_id 0
		.amdhsa_user_sgpr_kernarg_preload_length 0
		.amdhsa_user_sgpr_kernarg_preload_offset 0
		.amdhsa_user_sgpr_private_segment_size 0
		.amdhsa_uses_dynamic_stack 0
		.amdhsa_enable_private_segment 0
		.amdhsa_system_sgpr_workgroup_id_x 1
		.amdhsa_system_sgpr_workgroup_id_y 0
		.amdhsa_system_sgpr_workgroup_id_z 0
		.amdhsa_system_sgpr_workgroup_info 0
		.amdhsa_system_vgpr_workitem_id 0
		.amdhsa_next_free_vgpr 1
		.amdhsa_next_free_sgpr 0
		.amdhsa_accum_offset 4
		.amdhsa_reserve_vcc 0
		.amdhsa_float_round_mode_32 0
		.amdhsa_float_round_mode_16_64 0
		.amdhsa_float_denorm_mode_32 3
		.amdhsa_float_denorm_mode_16_64 3
		.amdhsa_dx10_clamp 1
		.amdhsa_ieee_mode 1
		.amdhsa_fp16_overflow 0
		.amdhsa_tg_split 0
		.amdhsa_exception_fp_ieee_invalid_op 0
		.amdhsa_exception_fp_denorm_src 0
		.amdhsa_exception_fp_ieee_div_zero 0
		.amdhsa_exception_fp_ieee_overflow 0
		.amdhsa_exception_fp_ieee_underflow 0
		.amdhsa_exception_fp_ieee_inexact 0
		.amdhsa_exception_int_div_zero 0
	.end_amdhsa_kernel
	.section	.text._ZN7rocprim17ROCPRIM_400000_NS6detail44device_merge_sort_compile_time_verifier_archINS1_11comp_targetILNS1_3genE5ELNS1_11target_archE942ELNS1_3gpuE9ELNS1_3repE0EEES8_NS1_28merge_sort_block_sort_configILj256ELj4ELNS0_20block_sort_algorithmE0EEENS0_14default_configENS1_37merge_sort_block_sort_config_selectorIffEENS1_38merge_sort_block_merge_config_selectorIffEEEEvv,"axG",@progbits,_ZN7rocprim17ROCPRIM_400000_NS6detail44device_merge_sort_compile_time_verifier_archINS1_11comp_targetILNS1_3genE5ELNS1_11target_archE942ELNS1_3gpuE9ELNS1_3repE0EEES8_NS1_28merge_sort_block_sort_configILj256ELj4ELNS0_20block_sort_algorithmE0EEENS0_14default_configENS1_37merge_sort_block_sort_config_selectorIffEENS1_38merge_sort_block_merge_config_selectorIffEEEEvv,comdat
.Lfunc_end213:
	.size	_ZN7rocprim17ROCPRIM_400000_NS6detail44device_merge_sort_compile_time_verifier_archINS1_11comp_targetILNS1_3genE5ELNS1_11target_archE942ELNS1_3gpuE9ELNS1_3repE0EEES8_NS1_28merge_sort_block_sort_configILj256ELj4ELNS0_20block_sort_algorithmE0EEENS0_14default_configENS1_37merge_sort_block_sort_config_selectorIffEENS1_38merge_sort_block_merge_config_selectorIffEEEEvv, .Lfunc_end213-_ZN7rocprim17ROCPRIM_400000_NS6detail44device_merge_sort_compile_time_verifier_archINS1_11comp_targetILNS1_3genE5ELNS1_11target_archE942ELNS1_3gpuE9ELNS1_3repE0EEES8_NS1_28merge_sort_block_sort_configILj256ELj4ELNS0_20block_sort_algorithmE0EEENS0_14default_configENS1_37merge_sort_block_sort_config_selectorIffEENS1_38merge_sort_block_merge_config_selectorIffEEEEvv
                                        ; -- End function
	.set _ZN7rocprim17ROCPRIM_400000_NS6detail44device_merge_sort_compile_time_verifier_archINS1_11comp_targetILNS1_3genE5ELNS1_11target_archE942ELNS1_3gpuE9ELNS1_3repE0EEES8_NS1_28merge_sort_block_sort_configILj256ELj4ELNS0_20block_sort_algorithmE0EEENS0_14default_configENS1_37merge_sort_block_sort_config_selectorIffEENS1_38merge_sort_block_merge_config_selectorIffEEEEvv.num_vgpr, 0
	.set _ZN7rocprim17ROCPRIM_400000_NS6detail44device_merge_sort_compile_time_verifier_archINS1_11comp_targetILNS1_3genE5ELNS1_11target_archE942ELNS1_3gpuE9ELNS1_3repE0EEES8_NS1_28merge_sort_block_sort_configILj256ELj4ELNS0_20block_sort_algorithmE0EEENS0_14default_configENS1_37merge_sort_block_sort_config_selectorIffEENS1_38merge_sort_block_merge_config_selectorIffEEEEvv.num_agpr, 0
	.set _ZN7rocprim17ROCPRIM_400000_NS6detail44device_merge_sort_compile_time_verifier_archINS1_11comp_targetILNS1_3genE5ELNS1_11target_archE942ELNS1_3gpuE9ELNS1_3repE0EEES8_NS1_28merge_sort_block_sort_configILj256ELj4ELNS0_20block_sort_algorithmE0EEENS0_14default_configENS1_37merge_sort_block_sort_config_selectorIffEENS1_38merge_sort_block_merge_config_selectorIffEEEEvv.numbered_sgpr, 0
	.set _ZN7rocprim17ROCPRIM_400000_NS6detail44device_merge_sort_compile_time_verifier_archINS1_11comp_targetILNS1_3genE5ELNS1_11target_archE942ELNS1_3gpuE9ELNS1_3repE0EEES8_NS1_28merge_sort_block_sort_configILj256ELj4ELNS0_20block_sort_algorithmE0EEENS0_14default_configENS1_37merge_sort_block_sort_config_selectorIffEENS1_38merge_sort_block_merge_config_selectorIffEEEEvv.num_named_barrier, 0
	.set _ZN7rocprim17ROCPRIM_400000_NS6detail44device_merge_sort_compile_time_verifier_archINS1_11comp_targetILNS1_3genE5ELNS1_11target_archE942ELNS1_3gpuE9ELNS1_3repE0EEES8_NS1_28merge_sort_block_sort_configILj256ELj4ELNS0_20block_sort_algorithmE0EEENS0_14default_configENS1_37merge_sort_block_sort_config_selectorIffEENS1_38merge_sort_block_merge_config_selectorIffEEEEvv.private_seg_size, 0
	.set _ZN7rocprim17ROCPRIM_400000_NS6detail44device_merge_sort_compile_time_verifier_archINS1_11comp_targetILNS1_3genE5ELNS1_11target_archE942ELNS1_3gpuE9ELNS1_3repE0EEES8_NS1_28merge_sort_block_sort_configILj256ELj4ELNS0_20block_sort_algorithmE0EEENS0_14default_configENS1_37merge_sort_block_sort_config_selectorIffEENS1_38merge_sort_block_merge_config_selectorIffEEEEvv.uses_vcc, 0
	.set _ZN7rocprim17ROCPRIM_400000_NS6detail44device_merge_sort_compile_time_verifier_archINS1_11comp_targetILNS1_3genE5ELNS1_11target_archE942ELNS1_3gpuE9ELNS1_3repE0EEES8_NS1_28merge_sort_block_sort_configILj256ELj4ELNS0_20block_sort_algorithmE0EEENS0_14default_configENS1_37merge_sort_block_sort_config_selectorIffEENS1_38merge_sort_block_merge_config_selectorIffEEEEvv.uses_flat_scratch, 0
	.set _ZN7rocprim17ROCPRIM_400000_NS6detail44device_merge_sort_compile_time_verifier_archINS1_11comp_targetILNS1_3genE5ELNS1_11target_archE942ELNS1_3gpuE9ELNS1_3repE0EEES8_NS1_28merge_sort_block_sort_configILj256ELj4ELNS0_20block_sort_algorithmE0EEENS0_14default_configENS1_37merge_sort_block_sort_config_selectorIffEENS1_38merge_sort_block_merge_config_selectorIffEEEEvv.has_dyn_sized_stack, 0
	.set _ZN7rocprim17ROCPRIM_400000_NS6detail44device_merge_sort_compile_time_verifier_archINS1_11comp_targetILNS1_3genE5ELNS1_11target_archE942ELNS1_3gpuE9ELNS1_3repE0EEES8_NS1_28merge_sort_block_sort_configILj256ELj4ELNS0_20block_sort_algorithmE0EEENS0_14default_configENS1_37merge_sort_block_sort_config_selectorIffEENS1_38merge_sort_block_merge_config_selectorIffEEEEvv.has_recursion, 0
	.set _ZN7rocprim17ROCPRIM_400000_NS6detail44device_merge_sort_compile_time_verifier_archINS1_11comp_targetILNS1_3genE5ELNS1_11target_archE942ELNS1_3gpuE9ELNS1_3repE0EEES8_NS1_28merge_sort_block_sort_configILj256ELj4ELNS0_20block_sort_algorithmE0EEENS0_14default_configENS1_37merge_sort_block_sort_config_selectorIffEENS1_38merge_sort_block_merge_config_selectorIffEEEEvv.has_indirect_call, 0
	.section	.AMDGPU.csdata,"",@progbits
; Kernel info:
; codeLenInByte = 4
; TotalNumSgprs: 6
; NumVgprs: 0
; NumAgprs: 0
; TotalNumVgprs: 0
; ScratchSize: 0
; MemoryBound: 0
; FloatMode: 240
; IeeeMode: 1
; LDSByteSize: 0 bytes/workgroup (compile time only)
; SGPRBlocks: 0
; VGPRBlocks: 0
; NumSGPRsForWavesPerEU: 6
; NumVGPRsForWavesPerEU: 1
; AccumOffset: 4
; Occupancy: 8
; WaveLimiterHint : 0
; COMPUTE_PGM_RSRC2:SCRATCH_EN: 0
; COMPUTE_PGM_RSRC2:USER_SGPR: 0
; COMPUTE_PGM_RSRC2:TRAP_HANDLER: 0
; COMPUTE_PGM_RSRC2:TGID_X_EN: 1
; COMPUTE_PGM_RSRC2:TGID_Y_EN: 0
; COMPUTE_PGM_RSRC2:TGID_Z_EN: 0
; COMPUTE_PGM_RSRC2:TIDIG_COMP_CNT: 0
; COMPUTE_PGM_RSRC3_GFX90A:ACCUM_OFFSET: 0
; COMPUTE_PGM_RSRC3_GFX90A:TG_SPLIT: 0
	.section	.text._ZN7rocprim17ROCPRIM_400000_NS6detail44device_merge_sort_compile_time_verifier_archINS1_11comp_targetILNS1_3genE4ELNS1_11target_archE910ELNS1_3gpuE8ELNS1_3repE0EEES8_NS1_28merge_sort_block_sort_configILj256ELj4ELNS0_20block_sort_algorithmE0EEENS0_14default_configENS1_37merge_sort_block_sort_config_selectorIffEENS1_38merge_sort_block_merge_config_selectorIffEEEEvv,"axG",@progbits,_ZN7rocprim17ROCPRIM_400000_NS6detail44device_merge_sort_compile_time_verifier_archINS1_11comp_targetILNS1_3genE4ELNS1_11target_archE910ELNS1_3gpuE8ELNS1_3repE0EEES8_NS1_28merge_sort_block_sort_configILj256ELj4ELNS0_20block_sort_algorithmE0EEENS0_14default_configENS1_37merge_sort_block_sort_config_selectorIffEENS1_38merge_sort_block_merge_config_selectorIffEEEEvv,comdat
	.protected	_ZN7rocprim17ROCPRIM_400000_NS6detail44device_merge_sort_compile_time_verifier_archINS1_11comp_targetILNS1_3genE4ELNS1_11target_archE910ELNS1_3gpuE8ELNS1_3repE0EEES8_NS1_28merge_sort_block_sort_configILj256ELj4ELNS0_20block_sort_algorithmE0EEENS0_14default_configENS1_37merge_sort_block_sort_config_selectorIffEENS1_38merge_sort_block_merge_config_selectorIffEEEEvv ; -- Begin function _ZN7rocprim17ROCPRIM_400000_NS6detail44device_merge_sort_compile_time_verifier_archINS1_11comp_targetILNS1_3genE4ELNS1_11target_archE910ELNS1_3gpuE8ELNS1_3repE0EEES8_NS1_28merge_sort_block_sort_configILj256ELj4ELNS0_20block_sort_algorithmE0EEENS0_14default_configENS1_37merge_sort_block_sort_config_selectorIffEENS1_38merge_sort_block_merge_config_selectorIffEEEEvv
	.globl	_ZN7rocprim17ROCPRIM_400000_NS6detail44device_merge_sort_compile_time_verifier_archINS1_11comp_targetILNS1_3genE4ELNS1_11target_archE910ELNS1_3gpuE8ELNS1_3repE0EEES8_NS1_28merge_sort_block_sort_configILj256ELj4ELNS0_20block_sort_algorithmE0EEENS0_14default_configENS1_37merge_sort_block_sort_config_selectorIffEENS1_38merge_sort_block_merge_config_selectorIffEEEEvv
	.p2align	8
	.type	_ZN7rocprim17ROCPRIM_400000_NS6detail44device_merge_sort_compile_time_verifier_archINS1_11comp_targetILNS1_3genE4ELNS1_11target_archE910ELNS1_3gpuE8ELNS1_3repE0EEES8_NS1_28merge_sort_block_sort_configILj256ELj4ELNS0_20block_sort_algorithmE0EEENS0_14default_configENS1_37merge_sort_block_sort_config_selectorIffEENS1_38merge_sort_block_merge_config_selectorIffEEEEvv,@function
_ZN7rocprim17ROCPRIM_400000_NS6detail44device_merge_sort_compile_time_verifier_archINS1_11comp_targetILNS1_3genE4ELNS1_11target_archE910ELNS1_3gpuE8ELNS1_3repE0EEES8_NS1_28merge_sort_block_sort_configILj256ELj4ELNS0_20block_sort_algorithmE0EEENS0_14default_configENS1_37merge_sort_block_sort_config_selectorIffEENS1_38merge_sort_block_merge_config_selectorIffEEEEvv: ; @_ZN7rocprim17ROCPRIM_400000_NS6detail44device_merge_sort_compile_time_verifier_archINS1_11comp_targetILNS1_3genE4ELNS1_11target_archE910ELNS1_3gpuE8ELNS1_3repE0EEES8_NS1_28merge_sort_block_sort_configILj256ELj4ELNS0_20block_sort_algorithmE0EEENS0_14default_configENS1_37merge_sort_block_sort_config_selectorIffEENS1_38merge_sort_block_merge_config_selectorIffEEEEvv
; %bb.0:
	s_endpgm
	.section	.rodata,"a",@progbits
	.p2align	6, 0x0
	.amdhsa_kernel _ZN7rocprim17ROCPRIM_400000_NS6detail44device_merge_sort_compile_time_verifier_archINS1_11comp_targetILNS1_3genE4ELNS1_11target_archE910ELNS1_3gpuE8ELNS1_3repE0EEES8_NS1_28merge_sort_block_sort_configILj256ELj4ELNS0_20block_sort_algorithmE0EEENS0_14default_configENS1_37merge_sort_block_sort_config_selectorIffEENS1_38merge_sort_block_merge_config_selectorIffEEEEvv
		.amdhsa_group_segment_fixed_size 0
		.amdhsa_private_segment_fixed_size 0
		.amdhsa_kernarg_size 0
		.amdhsa_user_sgpr_count 0
		.amdhsa_user_sgpr_dispatch_ptr 0
		.amdhsa_user_sgpr_queue_ptr 0
		.amdhsa_user_sgpr_kernarg_segment_ptr 0
		.amdhsa_user_sgpr_dispatch_id 0
		.amdhsa_user_sgpr_kernarg_preload_length 0
		.amdhsa_user_sgpr_kernarg_preload_offset 0
		.amdhsa_user_sgpr_private_segment_size 0
		.amdhsa_uses_dynamic_stack 0
		.amdhsa_enable_private_segment 0
		.amdhsa_system_sgpr_workgroup_id_x 1
		.amdhsa_system_sgpr_workgroup_id_y 0
		.amdhsa_system_sgpr_workgroup_id_z 0
		.amdhsa_system_sgpr_workgroup_info 0
		.amdhsa_system_vgpr_workitem_id 0
		.amdhsa_next_free_vgpr 1
		.amdhsa_next_free_sgpr 0
		.amdhsa_accum_offset 4
		.amdhsa_reserve_vcc 0
		.amdhsa_float_round_mode_32 0
		.amdhsa_float_round_mode_16_64 0
		.amdhsa_float_denorm_mode_32 3
		.amdhsa_float_denorm_mode_16_64 3
		.amdhsa_dx10_clamp 1
		.amdhsa_ieee_mode 1
		.amdhsa_fp16_overflow 0
		.amdhsa_tg_split 0
		.amdhsa_exception_fp_ieee_invalid_op 0
		.amdhsa_exception_fp_denorm_src 0
		.amdhsa_exception_fp_ieee_div_zero 0
		.amdhsa_exception_fp_ieee_overflow 0
		.amdhsa_exception_fp_ieee_underflow 0
		.amdhsa_exception_fp_ieee_inexact 0
		.amdhsa_exception_int_div_zero 0
	.end_amdhsa_kernel
	.section	.text._ZN7rocprim17ROCPRIM_400000_NS6detail44device_merge_sort_compile_time_verifier_archINS1_11comp_targetILNS1_3genE4ELNS1_11target_archE910ELNS1_3gpuE8ELNS1_3repE0EEES8_NS1_28merge_sort_block_sort_configILj256ELj4ELNS0_20block_sort_algorithmE0EEENS0_14default_configENS1_37merge_sort_block_sort_config_selectorIffEENS1_38merge_sort_block_merge_config_selectorIffEEEEvv,"axG",@progbits,_ZN7rocprim17ROCPRIM_400000_NS6detail44device_merge_sort_compile_time_verifier_archINS1_11comp_targetILNS1_3genE4ELNS1_11target_archE910ELNS1_3gpuE8ELNS1_3repE0EEES8_NS1_28merge_sort_block_sort_configILj256ELj4ELNS0_20block_sort_algorithmE0EEENS0_14default_configENS1_37merge_sort_block_sort_config_selectorIffEENS1_38merge_sort_block_merge_config_selectorIffEEEEvv,comdat
.Lfunc_end214:
	.size	_ZN7rocprim17ROCPRIM_400000_NS6detail44device_merge_sort_compile_time_verifier_archINS1_11comp_targetILNS1_3genE4ELNS1_11target_archE910ELNS1_3gpuE8ELNS1_3repE0EEES8_NS1_28merge_sort_block_sort_configILj256ELj4ELNS0_20block_sort_algorithmE0EEENS0_14default_configENS1_37merge_sort_block_sort_config_selectorIffEENS1_38merge_sort_block_merge_config_selectorIffEEEEvv, .Lfunc_end214-_ZN7rocprim17ROCPRIM_400000_NS6detail44device_merge_sort_compile_time_verifier_archINS1_11comp_targetILNS1_3genE4ELNS1_11target_archE910ELNS1_3gpuE8ELNS1_3repE0EEES8_NS1_28merge_sort_block_sort_configILj256ELj4ELNS0_20block_sort_algorithmE0EEENS0_14default_configENS1_37merge_sort_block_sort_config_selectorIffEENS1_38merge_sort_block_merge_config_selectorIffEEEEvv
                                        ; -- End function
	.set _ZN7rocprim17ROCPRIM_400000_NS6detail44device_merge_sort_compile_time_verifier_archINS1_11comp_targetILNS1_3genE4ELNS1_11target_archE910ELNS1_3gpuE8ELNS1_3repE0EEES8_NS1_28merge_sort_block_sort_configILj256ELj4ELNS0_20block_sort_algorithmE0EEENS0_14default_configENS1_37merge_sort_block_sort_config_selectorIffEENS1_38merge_sort_block_merge_config_selectorIffEEEEvv.num_vgpr, 0
	.set _ZN7rocprim17ROCPRIM_400000_NS6detail44device_merge_sort_compile_time_verifier_archINS1_11comp_targetILNS1_3genE4ELNS1_11target_archE910ELNS1_3gpuE8ELNS1_3repE0EEES8_NS1_28merge_sort_block_sort_configILj256ELj4ELNS0_20block_sort_algorithmE0EEENS0_14default_configENS1_37merge_sort_block_sort_config_selectorIffEENS1_38merge_sort_block_merge_config_selectorIffEEEEvv.num_agpr, 0
	.set _ZN7rocprim17ROCPRIM_400000_NS6detail44device_merge_sort_compile_time_verifier_archINS1_11comp_targetILNS1_3genE4ELNS1_11target_archE910ELNS1_3gpuE8ELNS1_3repE0EEES8_NS1_28merge_sort_block_sort_configILj256ELj4ELNS0_20block_sort_algorithmE0EEENS0_14default_configENS1_37merge_sort_block_sort_config_selectorIffEENS1_38merge_sort_block_merge_config_selectorIffEEEEvv.numbered_sgpr, 0
	.set _ZN7rocprim17ROCPRIM_400000_NS6detail44device_merge_sort_compile_time_verifier_archINS1_11comp_targetILNS1_3genE4ELNS1_11target_archE910ELNS1_3gpuE8ELNS1_3repE0EEES8_NS1_28merge_sort_block_sort_configILj256ELj4ELNS0_20block_sort_algorithmE0EEENS0_14default_configENS1_37merge_sort_block_sort_config_selectorIffEENS1_38merge_sort_block_merge_config_selectorIffEEEEvv.num_named_barrier, 0
	.set _ZN7rocprim17ROCPRIM_400000_NS6detail44device_merge_sort_compile_time_verifier_archINS1_11comp_targetILNS1_3genE4ELNS1_11target_archE910ELNS1_3gpuE8ELNS1_3repE0EEES8_NS1_28merge_sort_block_sort_configILj256ELj4ELNS0_20block_sort_algorithmE0EEENS0_14default_configENS1_37merge_sort_block_sort_config_selectorIffEENS1_38merge_sort_block_merge_config_selectorIffEEEEvv.private_seg_size, 0
	.set _ZN7rocprim17ROCPRIM_400000_NS6detail44device_merge_sort_compile_time_verifier_archINS1_11comp_targetILNS1_3genE4ELNS1_11target_archE910ELNS1_3gpuE8ELNS1_3repE0EEES8_NS1_28merge_sort_block_sort_configILj256ELj4ELNS0_20block_sort_algorithmE0EEENS0_14default_configENS1_37merge_sort_block_sort_config_selectorIffEENS1_38merge_sort_block_merge_config_selectorIffEEEEvv.uses_vcc, 0
	.set _ZN7rocprim17ROCPRIM_400000_NS6detail44device_merge_sort_compile_time_verifier_archINS1_11comp_targetILNS1_3genE4ELNS1_11target_archE910ELNS1_3gpuE8ELNS1_3repE0EEES8_NS1_28merge_sort_block_sort_configILj256ELj4ELNS0_20block_sort_algorithmE0EEENS0_14default_configENS1_37merge_sort_block_sort_config_selectorIffEENS1_38merge_sort_block_merge_config_selectorIffEEEEvv.uses_flat_scratch, 0
	.set _ZN7rocprim17ROCPRIM_400000_NS6detail44device_merge_sort_compile_time_verifier_archINS1_11comp_targetILNS1_3genE4ELNS1_11target_archE910ELNS1_3gpuE8ELNS1_3repE0EEES8_NS1_28merge_sort_block_sort_configILj256ELj4ELNS0_20block_sort_algorithmE0EEENS0_14default_configENS1_37merge_sort_block_sort_config_selectorIffEENS1_38merge_sort_block_merge_config_selectorIffEEEEvv.has_dyn_sized_stack, 0
	.set _ZN7rocprim17ROCPRIM_400000_NS6detail44device_merge_sort_compile_time_verifier_archINS1_11comp_targetILNS1_3genE4ELNS1_11target_archE910ELNS1_3gpuE8ELNS1_3repE0EEES8_NS1_28merge_sort_block_sort_configILj256ELj4ELNS0_20block_sort_algorithmE0EEENS0_14default_configENS1_37merge_sort_block_sort_config_selectorIffEENS1_38merge_sort_block_merge_config_selectorIffEEEEvv.has_recursion, 0
	.set _ZN7rocprim17ROCPRIM_400000_NS6detail44device_merge_sort_compile_time_verifier_archINS1_11comp_targetILNS1_3genE4ELNS1_11target_archE910ELNS1_3gpuE8ELNS1_3repE0EEES8_NS1_28merge_sort_block_sort_configILj256ELj4ELNS0_20block_sort_algorithmE0EEENS0_14default_configENS1_37merge_sort_block_sort_config_selectorIffEENS1_38merge_sort_block_merge_config_selectorIffEEEEvv.has_indirect_call, 0
	.section	.AMDGPU.csdata,"",@progbits
; Kernel info:
; codeLenInByte = 4
; TotalNumSgprs: 6
; NumVgprs: 0
; NumAgprs: 0
; TotalNumVgprs: 0
; ScratchSize: 0
; MemoryBound: 0
; FloatMode: 240
; IeeeMode: 1
; LDSByteSize: 0 bytes/workgroup (compile time only)
; SGPRBlocks: 0
; VGPRBlocks: 0
; NumSGPRsForWavesPerEU: 6
; NumVGPRsForWavesPerEU: 1
; AccumOffset: 4
; Occupancy: 8
; WaveLimiterHint : 0
; COMPUTE_PGM_RSRC2:SCRATCH_EN: 0
; COMPUTE_PGM_RSRC2:USER_SGPR: 0
; COMPUTE_PGM_RSRC2:TRAP_HANDLER: 0
; COMPUTE_PGM_RSRC2:TGID_X_EN: 1
; COMPUTE_PGM_RSRC2:TGID_Y_EN: 0
; COMPUTE_PGM_RSRC2:TGID_Z_EN: 0
; COMPUTE_PGM_RSRC2:TIDIG_COMP_CNT: 0
; COMPUTE_PGM_RSRC3_GFX90A:ACCUM_OFFSET: 0
; COMPUTE_PGM_RSRC3_GFX90A:TG_SPLIT: 0
	.section	.text._ZN7rocprim17ROCPRIM_400000_NS6detail44device_merge_sort_compile_time_verifier_archINS1_11comp_targetILNS1_3genE3ELNS1_11target_archE908ELNS1_3gpuE7ELNS1_3repE0EEES8_NS1_28merge_sort_block_sort_configILj256ELj4ELNS0_20block_sort_algorithmE0EEENS0_14default_configENS1_37merge_sort_block_sort_config_selectorIffEENS1_38merge_sort_block_merge_config_selectorIffEEEEvv,"axG",@progbits,_ZN7rocprim17ROCPRIM_400000_NS6detail44device_merge_sort_compile_time_verifier_archINS1_11comp_targetILNS1_3genE3ELNS1_11target_archE908ELNS1_3gpuE7ELNS1_3repE0EEES8_NS1_28merge_sort_block_sort_configILj256ELj4ELNS0_20block_sort_algorithmE0EEENS0_14default_configENS1_37merge_sort_block_sort_config_selectorIffEENS1_38merge_sort_block_merge_config_selectorIffEEEEvv,comdat
	.protected	_ZN7rocprim17ROCPRIM_400000_NS6detail44device_merge_sort_compile_time_verifier_archINS1_11comp_targetILNS1_3genE3ELNS1_11target_archE908ELNS1_3gpuE7ELNS1_3repE0EEES8_NS1_28merge_sort_block_sort_configILj256ELj4ELNS0_20block_sort_algorithmE0EEENS0_14default_configENS1_37merge_sort_block_sort_config_selectorIffEENS1_38merge_sort_block_merge_config_selectorIffEEEEvv ; -- Begin function _ZN7rocprim17ROCPRIM_400000_NS6detail44device_merge_sort_compile_time_verifier_archINS1_11comp_targetILNS1_3genE3ELNS1_11target_archE908ELNS1_3gpuE7ELNS1_3repE0EEES8_NS1_28merge_sort_block_sort_configILj256ELj4ELNS0_20block_sort_algorithmE0EEENS0_14default_configENS1_37merge_sort_block_sort_config_selectorIffEENS1_38merge_sort_block_merge_config_selectorIffEEEEvv
	.globl	_ZN7rocprim17ROCPRIM_400000_NS6detail44device_merge_sort_compile_time_verifier_archINS1_11comp_targetILNS1_3genE3ELNS1_11target_archE908ELNS1_3gpuE7ELNS1_3repE0EEES8_NS1_28merge_sort_block_sort_configILj256ELj4ELNS0_20block_sort_algorithmE0EEENS0_14default_configENS1_37merge_sort_block_sort_config_selectorIffEENS1_38merge_sort_block_merge_config_selectorIffEEEEvv
	.p2align	8
	.type	_ZN7rocprim17ROCPRIM_400000_NS6detail44device_merge_sort_compile_time_verifier_archINS1_11comp_targetILNS1_3genE3ELNS1_11target_archE908ELNS1_3gpuE7ELNS1_3repE0EEES8_NS1_28merge_sort_block_sort_configILj256ELj4ELNS0_20block_sort_algorithmE0EEENS0_14default_configENS1_37merge_sort_block_sort_config_selectorIffEENS1_38merge_sort_block_merge_config_selectorIffEEEEvv,@function
_ZN7rocprim17ROCPRIM_400000_NS6detail44device_merge_sort_compile_time_verifier_archINS1_11comp_targetILNS1_3genE3ELNS1_11target_archE908ELNS1_3gpuE7ELNS1_3repE0EEES8_NS1_28merge_sort_block_sort_configILj256ELj4ELNS0_20block_sort_algorithmE0EEENS0_14default_configENS1_37merge_sort_block_sort_config_selectorIffEENS1_38merge_sort_block_merge_config_selectorIffEEEEvv: ; @_ZN7rocprim17ROCPRIM_400000_NS6detail44device_merge_sort_compile_time_verifier_archINS1_11comp_targetILNS1_3genE3ELNS1_11target_archE908ELNS1_3gpuE7ELNS1_3repE0EEES8_NS1_28merge_sort_block_sort_configILj256ELj4ELNS0_20block_sort_algorithmE0EEENS0_14default_configENS1_37merge_sort_block_sort_config_selectorIffEENS1_38merge_sort_block_merge_config_selectorIffEEEEvv
; %bb.0:
	s_endpgm
	.section	.rodata,"a",@progbits
	.p2align	6, 0x0
	.amdhsa_kernel _ZN7rocprim17ROCPRIM_400000_NS6detail44device_merge_sort_compile_time_verifier_archINS1_11comp_targetILNS1_3genE3ELNS1_11target_archE908ELNS1_3gpuE7ELNS1_3repE0EEES8_NS1_28merge_sort_block_sort_configILj256ELj4ELNS0_20block_sort_algorithmE0EEENS0_14default_configENS1_37merge_sort_block_sort_config_selectorIffEENS1_38merge_sort_block_merge_config_selectorIffEEEEvv
		.amdhsa_group_segment_fixed_size 0
		.amdhsa_private_segment_fixed_size 0
		.amdhsa_kernarg_size 0
		.amdhsa_user_sgpr_count 0
		.amdhsa_user_sgpr_dispatch_ptr 0
		.amdhsa_user_sgpr_queue_ptr 0
		.amdhsa_user_sgpr_kernarg_segment_ptr 0
		.amdhsa_user_sgpr_dispatch_id 0
		.amdhsa_user_sgpr_kernarg_preload_length 0
		.amdhsa_user_sgpr_kernarg_preload_offset 0
		.amdhsa_user_sgpr_private_segment_size 0
		.amdhsa_uses_dynamic_stack 0
		.amdhsa_enable_private_segment 0
		.amdhsa_system_sgpr_workgroup_id_x 1
		.amdhsa_system_sgpr_workgroup_id_y 0
		.amdhsa_system_sgpr_workgroup_id_z 0
		.amdhsa_system_sgpr_workgroup_info 0
		.amdhsa_system_vgpr_workitem_id 0
		.amdhsa_next_free_vgpr 1
		.amdhsa_next_free_sgpr 0
		.amdhsa_accum_offset 4
		.amdhsa_reserve_vcc 0
		.amdhsa_float_round_mode_32 0
		.amdhsa_float_round_mode_16_64 0
		.amdhsa_float_denorm_mode_32 3
		.amdhsa_float_denorm_mode_16_64 3
		.amdhsa_dx10_clamp 1
		.amdhsa_ieee_mode 1
		.amdhsa_fp16_overflow 0
		.amdhsa_tg_split 0
		.amdhsa_exception_fp_ieee_invalid_op 0
		.amdhsa_exception_fp_denorm_src 0
		.amdhsa_exception_fp_ieee_div_zero 0
		.amdhsa_exception_fp_ieee_overflow 0
		.amdhsa_exception_fp_ieee_underflow 0
		.amdhsa_exception_fp_ieee_inexact 0
		.amdhsa_exception_int_div_zero 0
	.end_amdhsa_kernel
	.section	.text._ZN7rocprim17ROCPRIM_400000_NS6detail44device_merge_sort_compile_time_verifier_archINS1_11comp_targetILNS1_3genE3ELNS1_11target_archE908ELNS1_3gpuE7ELNS1_3repE0EEES8_NS1_28merge_sort_block_sort_configILj256ELj4ELNS0_20block_sort_algorithmE0EEENS0_14default_configENS1_37merge_sort_block_sort_config_selectorIffEENS1_38merge_sort_block_merge_config_selectorIffEEEEvv,"axG",@progbits,_ZN7rocprim17ROCPRIM_400000_NS6detail44device_merge_sort_compile_time_verifier_archINS1_11comp_targetILNS1_3genE3ELNS1_11target_archE908ELNS1_3gpuE7ELNS1_3repE0EEES8_NS1_28merge_sort_block_sort_configILj256ELj4ELNS0_20block_sort_algorithmE0EEENS0_14default_configENS1_37merge_sort_block_sort_config_selectorIffEENS1_38merge_sort_block_merge_config_selectorIffEEEEvv,comdat
.Lfunc_end215:
	.size	_ZN7rocprim17ROCPRIM_400000_NS6detail44device_merge_sort_compile_time_verifier_archINS1_11comp_targetILNS1_3genE3ELNS1_11target_archE908ELNS1_3gpuE7ELNS1_3repE0EEES8_NS1_28merge_sort_block_sort_configILj256ELj4ELNS0_20block_sort_algorithmE0EEENS0_14default_configENS1_37merge_sort_block_sort_config_selectorIffEENS1_38merge_sort_block_merge_config_selectorIffEEEEvv, .Lfunc_end215-_ZN7rocprim17ROCPRIM_400000_NS6detail44device_merge_sort_compile_time_verifier_archINS1_11comp_targetILNS1_3genE3ELNS1_11target_archE908ELNS1_3gpuE7ELNS1_3repE0EEES8_NS1_28merge_sort_block_sort_configILj256ELj4ELNS0_20block_sort_algorithmE0EEENS0_14default_configENS1_37merge_sort_block_sort_config_selectorIffEENS1_38merge_sort_block_merge_config_selectorIffEEEEvv
                                        ; -- End function
	.set _ZN7rocprim17ROCPRIM_400000_NS6detail44device_merge_sort_compile_time_verifier_archINS1_11comp_targetILNS1_3genE3ELNS1_11target_archE908ELNS1_3gpuE7ELNS1_3repE0EEES8_NS1_28merge_sort_block_sort_configILj256ELj4ELNS0_20block_sort_algorithmE0EEENS0_14default_configENS1_37merge_sort_block_sort_config_selectorIffEENS1_38merge_sort_block_merge_config_selectorIffEEEEvv.num_vgpr, 0
	.set _ZN7rocprim17ROCPRIM_400000_NS6detail44device_merge_sort_compile_time_verifier_archINS1_11comp_targetILNS1_3genE3ELNS1_11target_archE908ELNS1_3gpuE7ELNS1_3repE0EEES8_NS1_28merge_sort_block_sort_configILj256ELj4ELNS0_20block_sort_algorithmE0EEENS0_14default_configENS1_37merge_sort_block_sort_config_selectorIffEENS1_38merge_sort_block_merge_config_selectorIffEEEEvv.num_agpr, 0
	.set _ZN7rocprim17ROCPRIM_400000_NS6detail44device_merge_sort_compile_time_verifier_archINS1_11comp_targetILNS1_3genE3ELNS1_11target_archE908ELNS1_3gpuE7ELNS1_3repE0EEES8_NS1_28merge_sort_block_sort_configILj256ELj4ELNS0_20block_sort_algorithmE0EEENS0_14default_configENS1_37merge_sort_block_sort_config_selectorIffEENS1_38merge_sort_block_merge_config_selectorIffEEEEvv.numbered_sgpr, 0
	.set _ZN7rocprim17ROCPRIM_400000_NS6detail44device_merge_sort_compile_time_verifier_archINS1_11comp_targetILNS1_3genE3ELNS1_11target_archE908ELNS1_3gpuE7ELNS1_3repE0EEES8_NS1_28merge_sort_block_sort_configILj256ELj4ELNS0_20block_sort_algorithmE0EEENS0_14default_configENS1_37merge_sort_block_sort_config_selectorIffEENS1_38merge_sort_block_merge_config_selectorIffEEEEvv.num_named_barrier, 0
	.set _ZN7rocprim17ROCPRIM_400000_NS6detail44device_merge_sort_compile_time_verifier_archINS1_11comp_targetILNS1_3genE3ELNS1_11target_archE908ELNS1_3gpuE7ELNS1_3repE0EEES8_NS1_28merge_sort_block_sort_configILj256ELj4ELNS0_20block_sort_algorithmE0EEENS0_14default_configENS1_37merge_sort_block_sort_config_selectorIffEENS1_38merge_sort_block_merge_config_selectorIffEEEEvv.private_seg_size, 0
	.set _ZN7rocprim17ROCPRIM_400000_NS6detail44device_merge_sort_compile_time_verifier_archINS1_11comp_targetILNS1_3genE3ELNS1_11target_archE908ELNS1_3gpuE7ELNS1_3repE0EEES8_NS1_28merge_sort_block_sort_configILj256ELj4ELNS0_20block_sort_algorithmE0EEENS0_14default_configENS1_37merge_sort_block_sort_config_selectorIffEENS1_38merge_sort_block_merge_config_selectorIffEEEEvv.uses_vcc, 0
	.set _ZN7rocprim17ROCPRIM_400000_NS6detail44device_merge_sort_compile_time_verifier_archINS1_11comp_targetILNS1_3genE3ELNS1_11target_archE908ELNS1_3gpuE7ELNS1_3repE0EEES8_NS1_28merge_sort_block_sort_configILj256ELj4ELNS0_20block_sort_algorithmE0EEENS0_14default_configENS1_37merge_sort_block_sort_config_selectorIffEENS1_38merge_sort_block_merge_config_selectorIffEEEEvv.uses_flat_scratch, 0
	.set _ZN7rocprim17ROCPRIM_400000_NS6detail44device_merge_sort_compile_time_verifier_archINS1_11comp_targetILNS1_3genE3ELNS1_11target_archE908ELNS1_3gpuE7ELNS1_3repE0EEES8_NS1_28merge_sort_block_sort_configILj256ELj4ELNS0_20block_sort_algorithmE0EEENS0_14default_configENS1_37merge_sort_block_sort_config_selectorIffEENS1_38merge_sort_block_merge_config_selectorIffEEEEvv.has_dyn_sized_stack, 0
	.set _ZN7rocprim17ROCPRIM_400000_NS6detail44device_merge_sort_compile_time_verifier_archINS1_11comp_targetILNS1_3genE3ELNS1_11target_archE908ELNS1_3gpuE7ELNS1_3repE0EEES8_NS1_28merge_sort_block_sort_configILj256ELj4ELNS0_20block_sort_algorithmE0EEENS0_14default_configENS1_37merge_sort_block_sort_config_selectorIffEENS1_38merge_sort_block_merge_config_selectorIffEEEEvv.has_recursion, 0
	.set _ZN7rocprim17ROCPRIM_400000_NS6detail44device_merge_sort_compile_time_verifier_archINS1_11comp_targetILNS1_3genE3ELNS1_11target_archE908ELNS1_3gpuE7ELNS1_3repE0EEES8_NS1_28merge_sort_block_sort_configILj256ELj4ELNS0_20block_sort_algorithmE0EEENS0_14default_configENS1_37merge_sort_block_sort_config_selectorIffEENS1_38merge_sort_block_merge_config_selectorIffEEEEvv.has_indirect_call, 0
	.section	.AMDGPU.csdata,"",@progbits
; Kernel info:
; codeLenInByte = 4
; TotalNumSgprs: 6
; NumVgprs: 0
; NumAgprs: 0
; TotalNumVgprs: 0
; ScratchSize: 0
; MemoryBound: 0
; FloatMode: 240
; IeeeMode: 1
; LDSByteSize: 0 bytes/workgroup (compile time only)
; SGPRBlocks: 0
; VGPRBlocks: 0
; NumSGPRsForWavesPerEU: 6
; NumVGPRsForWavesPerEU: 1
; AccumOffset: 4
; Occupancy: 8
; WaveLimiterHint : 0
; COMPUTE_PGM_RSRC2:SCRATCH_EN: 0
; COMPUTE_PGM_RSRC2:USER_SGPR: 0
; COMPUTE_PGM_RSRC2:TRAP_HANDLER: 0
; COMPUTE_PGM_RSRC2:TGID_X_EN: 1
; COMPUTE_PGM_RSRC2:TGID_Y_EN: 0
; COMPUTE_PGM_RSRC2:TGID_Z_EN: 0
; COMPUTE_PGM_RSRC2:TIDIG_COMP_CNT: 0
; COMPUTE_PGM_RSRC3_GFX90A:ACCUM_OFFSET: 0
; COMPUTE_PGM_RSRC3_GFX90A:TG_SPLIT: 0
	.section	.text._ZN7rocprim17ROCPRIM_400000_NS6detail44device_merge_sort_compile_time_verifier_archINS1_11comp_targetILNS1_3genE2ELNS1_11target_archE906ELNS1_3gpuE6ELNS1_3repE0EEES8_NS1_28merge_sort_block_sort_configILj256ELj4ELNS0_20block_sort_algorithmE0EEENS0_14default_configENS1_37merge_sort_block_sort_config_selectorIffEENS1_38merge_sort_block_merge_config_selectorIffEEEEvv,"axG",@progbits,_ZN7rocprim17ROCPRIM_400000_NS6detail44device_merge_sort_compile_time_verifier_archINS1_11comp_targetILNS1_3genE2ELNS1_11target_archE906ELNS1_3gpuE6ELNS1_3repE0EEES8_NS1_28merge_sort_block_sort_configILj256ELj4ELNS0_20block_sort_algorithmE0EEENS0_14default_configENS1_37merge_sort_block_sort_config_selectorIffEENS1_38merge_sort_block_merge_config_selectorIffEEEEvv,comdat
	.protected	_ZN7rocprim17ROCPRIM_400000_NS6detail44device_merge_sort_compile_time_verifier_archINS1_11comp_targetILNS1_3genE2ELNS1_11target_archE906ELNS1_3gpuE6ELNS1_3repE0EEES8_NS1_28merge_sort_block_sort_configILj256ELj4ELNS0_20block_sort_algorithmE0EEENS0_14default_configENS1_37merge_sort_block_sort_config_selectorIffEENS1_38merge_sort_block_merge_config_selectorIffEEEEvv ; -- Begin function _ZN7rocprim17ROCPRIM_400000_NS6detail44device_merge_sort_compile_time_verifier_archINS1_11comp_targetILNS1_3genE2ELNS1_11target_archE906ELNS1_3gpuE6ELNS1_3repE0EEES8_NS1_28merge_sort_block_sort_configILj256ELj4ELNS0_20block_sort_algorithmE0EEENS0_14default_configENS1_37merge_sort_block_sort_config_selectorIffEENS1_38merge_sort_block_merge_config_selectorIffEEEEvv
	.globl	_ZN7rocprim17ROCPRIM_400000_NS6detail44device_merge_sort_compile_time_verifier_archINS1_11comp_targetILNS1_3genE2ELNS1_11target_archE906ELNS1_3gpuE6ELNS1_3repE0EEES8_NS1_28merge_sort_block_sort_configILj256ELj4ELNS0_20block_sort_algorithmE0EEENS0_14default_configENS1_37merge_sort_block_sort_config_selectorIffEENS1_38merge_sort_block_merge_config_selectorIffEEEEvv
	.p2align	8
	.type	_ZN7rocprim17ROCPRIM_400000_NS6detail44device_merge_sort_compile_time_verifier_archINS1_11comp_targetILNS1_3genE2ELNS1_11target_archE906ELNS1_3gpuE6ELNS1_3repE0EEES8_NS1_28merge_sort_block_sort_configILj256ELj4ELNS0_20block_sort_algorithmE0EEENS0_14default_configENS1_37merge_sort_block_sort_config_selectorIffEENS1_38merge_sort_block_merge_config_selectorIffEEEEvv,@function
_ZN7rocprim17ROCPRIM_400000_NS6detail44device_merge_sort_compile_time_verifier_archINS1_11comp_targetILNS1_3genE2ELNS1_11target_archE906ELNS1_3gpuE6ELNS1_3repE0EEES8_NS1_28merge_sort_block_sort_configILj256ELj4ELNS0_20block_sort_algorithmE0EEENS0_14default_configENS1_37merge_sort_block_sort_config_selectorIffEENS1_38merge_sort_block_merge_config_selectorIffEEEEvv: ; @_ZN7rocprim17ROCPRIM_400000_NS6detail44device_merge_sort_compile_time_verifier_archINS1_11comp_targetILNS1_3genE2ELNS1_11target_archE906ELNS1_3gpuE6ELNS1_3repE0EEES8_NS1_28merge_sort_block_sort_configILj256ELj4ELNS0_20block_sort_algorithmE0EEENS0_14default_configENS1_37merge_sort_block_sort_config_selectorIffEENS1_38merge_sort_block_merge_config_selectorIffEEEEvv
; %bb.0:
	s_endpgm
	.section	.rodata,"a",@progbits
	.p2align	6, 0x0
	.amdhsa_kernel _ZN7rocprim17ROCPRIM_400000_NS6detail44device_merge_sort_compile_time_verifier_archINS1_11comp_targetILNS1_3genE2ELNS1_11target_archE906ELNS1_3gpuE6ELNS1_3repE0EEES8_NS1_28merge_sort_block_sort_configILj256ELj4ELNS0_20block_sort_algorithmE0EEENS0_14default_configENS1_37merge_sort_block_sort_config_selectorIffEENS1_38merge_sort_block_merge_config_selectorIffEEEEvv
		.amdhsa_group_segment_fixed_size 0
		.amdhsa_private_segment_fixed_size 0
		.amdhsa_kernarg_size 0
		.amdhsa_user_sgpr_count 0
		.amdhsa_user_sgpr_dispatch_ptr 0
		.amdhsa_user_sgpr_queue_ptr 0
		.amdhsa_user_sgpr_kernarg_segment_ptr 0
		.amdhsa_user_sgpr_dispatch_id 0
		.amdhsa_user_sgpr_kernarg_preload_length 0
		.amdhsa_user_sgpr_kernarg_preload_offset 0
		.amdhsa_user_sgpr_private_segment_size 0
		.amdhsa_uses_dynamic_stack 0
		.amdhsa_enable_private_segment 0
		.amdhsa_system_sgpr_workgroup_id_x 1
		.amdhsa_system_sgpr_workgroup_id_y 0
		.amdhsa_system_sgpr_workgroup_id_z 0
		.amdhsa_system_sgpr_workgroup_info 0
		.amdhsa_system_vgpr_workitem_id 0
		.amdhsa_next_free_vgpr 1
		.amdhsa_next_free_sgpr 0
		.amdhsa_accum_offset 4
		.amdhsa_reserve_vcc 0
		.amdhsa_float_round_mode_32 0
		.amdhsa_float_round_mode_16_64 0
		.amdhsa_float_denorm_mode_32 3
		.amdhsa_float_denorm_mode_16_64 3
		.amdhsa_dx10_clamp 1
		.amdhsa_ieee_mode 1
		.amdhsa_fp16_overflow 0
		.amdhsa_tg_split 0
		.amdhsa_exception_fp_ieee_invalid_op 0
		.amdhsa_exception_fp_denorm_src 0
		.amdhsa_exception_fp_ieee_div_zero 0
		.amdhsa_exception_fp_ieee_overflow 0
		.amdhsa_exception_fp_ieee_underflow 0
		.amdhsa_exception_fp_ieee_inexact 0
		.amdhsa_exception_int_div_zero 0
	.end_amdhsa_kernel
	.section	.text._ZN7rocprim17ROCPRIM_400000_NS6detail44device_merge_sort_compile_time_verifier_archINS1_11comp_targetILNS1_3genE2ELNS1_11target_archE906ELNS1_3gpuE6ELNS1_3repE0EEES8_NS1_28merge_sort_block_sort_configILj256ELj4ELNS0_20block_sort_algorithmE0EEENS0_14default_configENS1_37merge_sort_block_sort_config_selectorIffEENS1_38merge_sort_block_merge_config_selectorIffEEEEvv,"axG",@progbits,_ZN7rocprim17ROCPRIM_400000_NS6detail44device_merge_sort_compile_time_verifier_archINS1_11comp_targetILNS1_3genE2ELNS1_11target_archE906ELNS1_3gpuE6ELNS1_3repE0EEES8_NS1_28merge_sort_block_sort_configILj256ELj4ELNS0_20block_sort_algorithmE0EEENS0_14default_configENS1_37merge_sort_block_sort_config_selectorIffEENS1_38merge_sort_block_merge_config_selectorIffEEEEvv,comdat
.Lfunc_end216:
	.size	_ZN7rocprim17ROCPRIM_400000_NS6detail44device_merge_sort_compile_time_verifier_archINS1_11comp_targetILNS1_3genE2ELNS1_11target_archE906ELNS1_3gpuE6ELNS1_3repE0EEES8_NS1_28merge_sort_block_sort_configILj256ELj4ELNS0_20block_sort_algorithmE0EEENS0_14default_configENS1_37merge_sort_block_sort_config_selectorIffEENS1_38merge_sort_block_merge_config_selectorIffEEEEvv, .Lfunc_end216-_ZN7rocprim17ROCPRIM_400000_NS6detail44device_merge_sort_compile_time_verifier_archINS1_11comp_targetILNS1_3genE2ELNS1_11target_archE906ELNS1_3gpuE6ELNS1_3repE0EEES8_NS1_28merge_sort_block_sort_configILj256ELj4ELNS0_20block_sort_algorithmE0EEENS0_14default_configENS1_37merge_sort_block_sort_config_selectorIffEENS1_38merge_sort_block_merge_config_selectorIffEEEEvv
                                        ; -- End function
	.set _ZN7rocprim17ROCPRIM_400000_NS6detail44device_merge_sort_compile_time_verifier_archINS1_11comp_targetILNS1_3genE2ELNS1_11target_archE906ELNS1_3gpuE6ELNS1_3repE0EEES8_NS1_28merge_sort_block_sort_configILj256ELj4ELNS0_20block_sort_algorithmE0EEENS0_14default_configENS1_37merge_sort_block_sort_config_selectorIffEENS1_38merge_sort_block_merge_config_selectorIffEEEEvv.num_vgpr, 0
	.set _ZN7rocprim17ROCPRIM_400000_NS6detail44device_merge_sort_compile_time_verifier_archINS1_11comp_targetILNS1_3genE2ELNS1_11target_archE906ELNS1_3gpuE6ELNS1_3repE0EEES8_NS1_28merge_sort_block_sort_configILj256ELj4ELNS0_20block_sort_algorithmE0EEENS0_14default_configENS1_37merge_sort_block_sort_config_selectorIffEENS1_38merge_sort_block_merge_config_selectorIffEEEEvv.num_agpr, 0
	.set _ZN7rocprim17ROCPRIM_400000_NS6detail44device_merge_sort_compile_time_verifier_archINS1_11comp_targetILNS1_3genE2ELNS1_11target_archE906ELNS1_3gpuE6ELNS1_3repE0EEES8_NS1_28merge_sort_block_sort_configILj256ELj4ELNS0_20block_sort_algorithmE0EEENS0_14default_configENS1_37merge_sort_block_sort_config_selectorIffEENS1_38merge_sort_block_merge_config_selectorIffEEEEvv.numbered_sgpr, 0
	.set _ZN7rocprim17ROCPRIM_400000_NS6detail44device_merge_sort_compile_time_verifier_archINS1_11comp_targetILNS1_3genE2ELNS1_11target_archE906ELNS1_3gpuE6ELNS1_3repE0EEES8_NS1_28merge_sort_block_sort_configILj256ELj4ELNS0_20block_sort_algorithmE0EEENS0_14default_configENS1_37merge_sort_block_sort_config_selectorIffEENS1_38merge_sort_block_merge_config_selectorIffEEEEvv.num_named_barrier, 0
	.set _ZN7rocprim17ROCPRIM_400000_NS6detail44device_merge_sort_compile_time_verifier_archINS1_11comp_targetILNS1_3genE2ELNS1_11target_archE906ELNS1_3gpuE6ELNS1_3repE0EEES8_NS1_28merge_sort_block_sort_configILj256ELj4ELNS0_20block_sort_algorithmE0EEENS0_14default_configENS1_37merge_sort_block_sort_config_selectorIffEENS1_38merge_sort_block_merge_config_selectorIffEEEEvv.private_seg_size, 0
	.set _ZN7rocprim17ROCPRIM_400000_NS6detail44device_merge_sort_compile_time_verifier_archINS1_11comp_targetILNS1_3genE2ELNS1_11target_archE906ELNS1_3gpuE6ELNS1_3repE0EEES8_NS1_28merge_sort_block_sort_configILj256ELj4ELNS0_20block_sort_algorithmE0EEENS0_14default_configENS1_37merge_sort_block_sort_config_selectorIffEENS1_38merge_sort_block_merge_config_selectorIffEEEEvv.uses_vcc, 0
	.set _ZN7rocprim17ROCPRIM_400000_NS6detail44device_merge_sort_compile_time_verifier_archINS1_11comp_targetILNS1_3genE2ELNS1_11target_archE906ELNS1_3gpuE6ELNS1_3repE0EEES8_NS1_28merge_sort_block_sort_configILj256ELj4ELNS0_20block_sort_algorithmE0EEENS0_14default_configENS1_37merge_sort_block_sort_config_selectorIffEENS1_38merge_sort_block_merge_config_selectorIffEEEEvv.uses_flat_scratch, 0
	.set _ZN7rocprim17ROCPRIM_400000_NS6detail44device_merge_sort_compile_time_verifier_archINS1_11comp_targetILNS1_3genE2ELNS1_11target_archE906ELNS1_3gpuE6ELNS1_3repE0EEES8_NS1_28merge_sort_block_sort_configILj256ELj4ELNS0_20block_sort_algorithmE0EEENS0_14default_configENS1_37merge_sort_block_sort_config_selectorIffEENS1_38merge_sort_block_merge_config_selectorIffEEEEvv.has_dyn_sized_stack, 0
	.set _ZN7rocprim17ROCPRIM_400000_NS6detail44device_merge_sort_compile_time_verifier_archINS1_11comp_targetILNS1_3genE2ELNS1_11target_archE906ELNS1_3gpuE6ELNS1_3repE0EEES8_NS1_28merge_sort_block_sort_configILj256ELj4ELNS0_20block_sort_algorithmE0EEENS0_14default_configENS1_37merge_sort_block_sort_config_selectorIffEENS1_38merge_sort_block_merge_config_selectorIffEEEEvv.has_recursion, 0
	.set _ZN7rocprim17ROCPRIM_400000_NS6detail44device_merge_sort_compile_time_verifier_archINS1_11comp_targetILNS1_3genE2ELNS1_11target_archE906ELNS1_3gpuE6ELNS1_3repE0EEES8_NS1_28merge_sort_block_sort_configILj256ELj4ELNS0_20block_sort_algorithmE0EEENS0_14default_configENS1_37merge_sort_block_sort_config_selectorIffEENS1_38merge_sort_block_merge_config_selectorIffEEEEvv.has_indirect_call, 0
	.section	.AMDGPU.csdata,"",@progbits
; Kernel info:
; codeLenInByte = 4
; TotalNumSgprs: 6
; NumVgprs: 0
; NumAgprs: 0
; TotalNumVgprs: 0
; ScratchSize: 0
; MemoryBound: 0
; FloatMode: 240
; IeeeMode: 1
; LDSByteSize: 0 bytes/workgroup (compile time only)
; SGPRBlocks: 0
; VGPRBlocks: 0
; NumSGPRsForWavesPerEU: 6
; NumVGPRsForWavesPerEU: 1
; AccumOffset: 4
; Occupancy: 8
; WaveLimiterHint : 0
; COMPUTE_PGM_RSRC2:SCRATCH_EN: 0
; COMPUTE_PGM_RSRC2:USER_SGPR: 0
; COMPUTE_PGM_RSRC2:TRAP_HANDLER: 0
; COMPUTE_PGM_RSRC2:TGID_X_EN: 1
; COMPUTE_PGM_RSRC2:TGID_Y_EN: 0
; COMPUTE_PGM_RSRC2:TGID_Z_EN: 0
; COMPUTE_PGM_RSRC2:TIDIG_COMP_CNT: 0
; COMPUTE_PGM_RSRC3_GFX90A:ACCUM_OFFSET: 0
; COMPUTE_PGM_RSRC3_GFX90A:TG_SPLIT: 0
	.section	.text._ZN7rocprim17ROCPRIM_400000_NS6detail44device_merge_sort_compile_time_verifier_archINS1_11comp_targetILNS1_3genE10ELNS1_11target_archE1201ELNS1_3gpuE5ELNS1_3repE0EEES8_NS1_28merge_sort_block_sort_configILj256ELj4ELNS0_20block_sort_algorithmE0EEENS0_14default_configENS1_37merge_sort_block_sort_config_selectorIffEENS1_38merge_sort_block_merge_config_selectorIffEEEEvv,"axG",@progbits,_ZN7rocprim17ROCPRIM_400000_NS6detail44device_merge_sort_compile_time_verifier_archINS1_11comp_targetILNS1_3genE10ELNS1_11target_archE1201ELNS1_3gpuE5ELNS1_3repE0EEES8_NS1_28merge_sort_block_sort_configILj256ELj4ELNS0_20block_sort_algorithmE0EEENS0_14default_configENS1_37merge_sort_block_sort_config_selectorIffEENS1_38merge_sort_block_merge_config_selectorIffEEEEvv,comdat
	.protected	_ZN7rocprim17ROCPRIM_400000_NS6detail44device_merge_sort_compile_time_verifier_archINS1_11comp_targetILNS1_3genE10ELNS1_11target_archE1201ELNS1_3gpuE5ELNS1_3repE0EEES8_NS1_28merge_sort_block_sort_configILj256ELj4ELNS0_20block_sort_algorithmE0EEENS0_14default_configENS1_37merge_sort_block_sort_config_selectorIffEENS1_38merge_sort_block_merge_config_selectorIffEEEEvv ; -- Begin function _ZN7rocprim17ROCPRIM_400000_NS6detail44device_merge_sort_compile_time_verifier_archINS1_11comp_targetILNS1_3genE10ELNS1_11target_archE1201ELNS1_3gpuE5ELNS1_3repE0EEES8_NS1_28merge_sort_block_sort_configILj256ELj4ELNS0_20block_sort_algorithmE0EEENS0_14default_configENS1_37merge_sort_block_sort_config_selectorIffEENS1_38merge_sort_block_merge_config_selectorIffEEEEvv
	.globl	_ZN7rocprim17ROCPRIM_400000_NS6detail44device_merge_sort_compile_time_verifier_archINS1_11comp_targetILNS1_3genE10ELNS1_11target_archE1201ELNS1_3gpuE5ELNS1_3repE0EEES8_NS1_28merge_sort_block_sort_configILj256ELj4ELNS0_20block_sort_algorithmE0EEENS0_14default_configENS1_37merge_sort_block_sort_config_selectorIffEENS1_38merge_sort_block_merge_config_selectorIffEEEEvv
	.p2align	8
	.type	_ZN7rocprim17ROCPRIM_400000_NS6detail44device_merge_sort_compile_time_verifier_archINS1_11comp_targetILNS1_3genE10ELNS1_11target_archE1201ELNS1_3gpuE5ELNS1_3repE0EEES8_NS1_28merge_sort_block_sort_configILj256ELj4ELNS0_20block_sort_algorithmE0EEENS0_14default_configENS1_37merge_sort_block_sort_config_selectorIffEENS1_38merge_sort_block_merge_config_selectorIffEEEEvv,@function
_ZN7rocprim17ROCPRIM_400000_NS6detail44device_merge_sort_compile_time_verifier_archINS1_11comp_targetILNS1_3genE10ELNS1_11target_archE1201ELNS1_3gpuE5ELNS1_3repE0EEES8_NS1_28merge_sort_block_sort_configILj256ELj4ELNS0_20block_sort_algorithmE0EEENS0_14default_configENS1_37merge_sort_block_sort_config_selectorIffEENS1_38merge_sort_block_merge_config_selectorIffEEEEvv: ; @_ZN7rocprim17ROCPRIM_400000_NS6detail44device_merge_sort_compile_time_verifier_archINS1_11comp_targetILNS1_3genE10ELNS1_11target_archE1201ELNS1_3gpuE5ELNS1_3repE0EEES8_NS1_28merge_sort_block_sort_configILj256ELj4ELNS0_20block_sort_algorithmE0EEENS0_14default_configENS1_37merge_sort_block_sort_config_selectorIffEENS1_38merge_sort_block_merge_config_selectorIffEEEEvv
; %bb.0:
	s_endpgm
	.section	.rodata,"a",@progbits
	.p2align	6, 0x0
	.amdhsa_kernel _ZN7rocprim17ROCPRIM_400000_NS6detail44device_merge_sort_compile_time_verifier_archINS1_11comp_targetILNS1_3genE10ELNS1_11target_archE1201ELNS1_3gpuE5ELNS1_3repE0EEES8_NS1_28merge_sort_block_sort_configILj256ELj4ELNS0_20block_sort_algorithmE0EEENS0_14default_configENS1_37merge_sort_block_sort_config_selectorIffEENS1_38merge_sort_block_merge_config_selectorIffEEEEvv
		.amdhsa_group_segment_fixed_size 0
		.amdhsa_private_segment_fixed_size 0
		.amdhsa_kernarg_size 0
		.amdhsa_user_sgpr_count 0
		.amdhsa_user_sgpr_dispatch_ptr 0
		.amdhsa_user_sgpr_queue_ptr 0
		.amdhsa_user_sgpr_kernarg_segment_ptr 0
		.amdhsa_user_sgpr_dispatch_id 0
		.amdhsa_user_sgpr_kernarg_preload_length 0
		.amdhsa_user_sgpr_kernarg_preload_offset 0
		.amdhsa_user_sgpr_private_segment_size 0
		.amdhsa_uses_dynamic_stack 0
		.amdhsa_enable_private_segment 0
		.amdhsa_system_sgpr_workgroup_id_x 1
		.amdhsa_system_sgpr_workgroup_id_y 0
		.amdhsa_system_sgpr_workgroup_id_z 0
		.amdhsa_system_sgpr_workgroup_info 0
		.amdhsa_system_vgpr_workitem_id 0
		.amdhsa_next_free_vgpr 1
		.amdhsa_next_free_sgpr 0
		.amdhsa_accum_offset 4
		.amdhsa_reserve_vcc 0
		.amdhsa_float_round_mode_32 0
		.amdhsa_float_round_mode_16_64 0
		.amdhsa_float_denorm_mode_32 3
		.amdhsa_float_denorm_mode_16_64 3
		.amdhsa_dx10_clamp 1
		.amdhsa_ieee_mode 1
		.amdhsa_fp16_overflow 0
		.amdhsa_tg_split 0
		.amdhsa_exception_fp_ieee_invalid_op 0
		.amdhsa_exception_fp_denorm_src 0
		.amdhsa_exception_fp_ieee_div_zero 0
		.amdhsa_exception_fp_ieee_overflow 0
		.amdhsa_exception_fp_ieee_underflow 0
		.amdhsa_exception_fp_ieee_inexact 0
		.amdhsa_exception_int_div_zero 0
	.end_amdhsa_kernel
	.section	.text._ZN7rocprim17ROCPRIM_400000_NS6detail44device_merge_sort_compile_time_verifier_archINS1_11comp_targetILNS1_3genE10ELNS1_11target_archE1201ELNS1_3gpuE5ELNS1_3repE0EEES8_NS1_28merge_sort_block_sort_configILj256ELj4ELNS0_20block_sort_algorithmE0EEENS0_14default_configENS1_37merge_sort_block_sort_config_selectorIffEENS1_38merge_sort_block_merge_config_selectorIffEEEEvv,"axG",@progbits,_ZN7rocprim17ROCPRIM_400000_NS6detail44device_merge_sort_compile_time_verifier_archINS1_11comp_targetILNS1_3genE10ELNS1_11target_archE1201ELNS1_3gpuE5ELNS1_3repE0EEES8_NS1_28merge_sort_block_sort_configILj256ELj4ELNS0_20block_sort_algorithmE0EEENS0_14default_configENS1_37merge_sort_block_sort_config_selectorIffEENS1_38merge_sort_block_merge_config_selectorIffEEEEvv,comdat
.Lfunc_end217:
	.size	_ZN7rocprim17ROCPRIM_400000_NS6detail44device_merge_sort_compile_time_verifier_archINS1_11comp_targetILNS1_3genE10ELNS1_11target_archE1201ELNS1_3gpuE5ELNS1_3repE0EEES8_NS1_28merge_sort_block_sort_configILj256ELj4ELNS0_20block_sort_algorithmE0EEENS0_14default_configENS1_37merge_sort_block_sort_config_selectorIffEENS1_38merge_sort_block_merge_config_selectorIffEEEEvv, .Lfunc_end217-_ZN7rocprim17ROCPRIM_400000_NS6detail44device_merge_sort_compile_time_verifier_archINS1_11comp_targetILNS1_3genE10ELNS1_11target_archE1201ELNS1_3gpuE5ELNS1_3repE0EEES8_NS1_28merge_sort_block_sort_configILj256ELj4ELNS0_20block_sort_algorithmE0EEENS0_14default_configENS1_37merge_sort_block_sort_config_selectorIffEENS1_38merge_sort_block_merge_config_selectorIffEEEEvv
                                        ; -- End function
	.set _ZN7rocprim17ROCPRIM_400000_NS6detail44device_merge_sort_compile_time_verifier_archINS1_11comp_targetILNS1_3genE10ELNS1_11target_archE1201ELNS1_3gpuE5ELNS1_3repE0EEES8_NS1_28merge_sort_block_sort_configILj256ELj4ELNS0_20block_sort_algorithmE0EEENS0_14default_configENS1_37merge_sort_block_sort_config_selectorIffEENS1_38merge_sort_block_merge_config_selectorIffEEEEvv.num_vgpr, 0
	.set _ZN7rocprim17ROCPRIM_400000_NS6detail44device_merge_sort_compile_time_verifier_archINS1_11comp_targetILNS1_3genE10ELNS1_11target_archE1201ELNS1_3gpuE5ELNS1_3repE0EEES8_NS1_28merge_sort_block_sort_configILj256ELj4ELNS0_20block_sort_algorithmE0EEENS0_14default_configENS1_37merge_sort_block_sort_config_selectorIffEENS1_38merge_sort_block_merge_config_selectorIffEEEEvv.num_agpr, 0
	.set _ZN7rocprim17ROCPRIM_400000_NS6detail44device_merge_sort_compile_time_verifier_archINS1_11comp_targetILNS1_3genE10ELNS1_11target_archE1201ELNS1_3gpuE5ELNS1_3repE0EEES8_NS1_28merge_sort_block_sort_configILj256ELj4ELNS0_20block_sort_algorithmE0EEENS0_14default_configENS1_37merge_sort_block_sort_config_selectorIffEENS1_38merge_sort_block_merge_config_selectorIffEEEEvv.numbered_sgpr, 0
	.set _ZN7rocprim17ROCPRIM_400000_NS6detail44device_merge_sort_compile_time_verifier_archINS1_11comp_targetILNS1_3genE10ELNS1_11target_archE1201ELNS1_3gpuE5ELNS1_3repE0EEES8_NS1_28merge_sort_block_sort_configILj256ELj4ELNS0_20block_sort_algorithmE0EEENS0_14default_configENS1_37merge_sort_block_sort_config_selectorIffEENS1_38merge_sort_block_merge_config_selectorIffEEEEvv.num_named_barrier, 0
	.set _ZN7rocprim17ROCPRIM_400000_NS6detail44device_merge_sort_compile_time_verifier_archINS1_11comp_targetILNS1_3genE10ELNS1_11target_archE1201ELNS1_3gpuE5ELNS1_3repE0EEES8_NS1_28merge_sort_block_sort_configILj256ELj4ELNS0_20block_sort_algorithmE0EEENS0_14default_configENS1_37merge_sort_block_sort_config_selectorIffEENS1_38merge_sort_block_merge_config_selectorIffEEEEvv.private_seg_size, 0
	.set _ZN7rocprim17ROCPRIM_400000_NS6detail44device_merge_sort_compile_time_verifier_archINS1_11comp_targetILNS1_3genE10ELNS1_11target_archE1201ELNS1_3gpuE5ELNS1_3repE0EEES8_NS1_28merge_sort_block_sort_configILj256ELj4ELNS0_20block_sort_algorithmE0EEENS0_14default_configENS1_37merge_sort_block_sort_config_selectorIffEENS1_38merge_sort_block_merge_config_selectorIffEEEEvv.uses_vcc, 0
	.set _ZN7rocprim17ROCPRIM_400000_NS6detail44device_merge_sort_compile_time_verifier_archINS1_11comp_targetILNS1_3genE10ELNS1_11target_archE1201ELNS1_3gpuE5ELNS1_3repE0EEES8_NS1_28merge_sort_block_sort_configILj256ELj4ELNS0_20block_sort_algorithmE0EEENS0_14default_configENS1_37merge_sort_block_sort_config_selectorIffEENS1_38merge_sort_block_merge_config_selectorIffEEEEvv.uses_flat_scratch, 0
	.set _ZN7rocprim17ROCPRIM_400000_NS6detail44device_merge_sort_compile_time_verifier_archINS1_11comp_targetILNS1_3genE10ELNS1_11target_archE1201ELNS1_3gpuE5ELNS1_3repE0EEES8_NS1_28merge_sort_block_sort_configILj256ELj4ELNS0_20block_sort_algorithmE0EEENS0_14default_configENS1_37merge_sort_block_sort_config_selectorIffEENS1_38merge_sort_block_merge_config_selectorIffEEEEvv.has_dyn_sized_stack, 0
	.set _ZN7rocprim17ROCPRIM_400000_NS6detail44device_merge_sort_compile_time_verifier_archINS1_11comp_targetILNS1_3genE10ELNS1_11target_archE1201ELNS1_3gpuE5ELNS1_3repE0EEES8_NS1_28merge_sort_block_sort_configILj256ELj4ELNS0_20block_sort_algorithmE0EEENS0_14default_configENS1_37merge_sort_block_sort_config_selectorIffEENS1_38merge_sort_block_merge_config_selectorIffEEEEvv.has_recursion, 0
	.set _ZN7rocprim17ROCPRIM_400000_NS6detail44device_merge_sort_compile_time_verifier_archINS1_11comp_targetILNS1_3genE10ELNS1_11target_archE1201ELNS1_3gpuE5ELNS1_3repE0EEES8_NS1_28merge_sort_block_sort_configILj256ELj4ELNS0_20block_sort_algorithmE0EEENS0_14default_configENS1_37merge_sort_block_sort_config_selectorIffEENS1_38merge_sort_block_merge_config_selectorIffEEEEvv.has_indirect_call, 0
	.section	.AMDGPU.csdata,"",@progbits
; Kernel info:
; codeLenInByte = 4
; TotalNumSgprs: 6
; NumVgprs: 0
; NumAgprs: 0
; TotalNumVgprs: 0
; ScratchSize: 0
; MemoryBound: 0
; FloatMode: 240
; IeeeMode: 1
; LDSByteSize: 0 bytes/workgroup (compile time only)
; SGPRBlocks: 0
; VGPRBlocks: 0
; NumSGPRsForWavesPerEU: 6
; NumVGPRsForWavesPerEU: 1
; AccumOffset: 4
; Occupancy: 8
; WaveLimiterHint : 0
; COMPUTE_PGM_RSRC2:SCRATCH_EN: 0
; COMPUTE_PGM_RSRC2:USER_SGPR: 0
; COMPUTE_PGM_RSRC2:TRAP_HANDLER: 0
; COMPUTE_PGM_RSRC2:TGID_X_EN: 1
; COMPUTE_PGM_RSRC2:TGID_Y_EN: 0
; COMPUTE_PGM_RSRC2:TGID_Z_EN: 0
; COMPUTE_PGM_RSRC2:TIDIG_COMP_CNT: 0
; COMPUTE_PGM_RSRC3_GFX90A:ACCUM_OFFSET: 0
; COMPUTE_PGM_RSRC3_GFX90A:TG_SPLIT: 0
	.section	.text._ZN7rocprim17ROCPRIM_400000_NS6detail44device_merge_sort_compile_time_verifier_archINS1_11comp_targetILNS1_3genE10ELNS1_11target_archE1200ELNS1_3gpuE4ELNS1_3repE0EEENS3_ILS4_10ELS5_1201ELS6_5ELS7_0EEENS1_28merge_sort_block_sort_configILj256ELj4ELNS0_20block_sort_algorithmE0EEENS0_14default_configENS1_37merge_sort_block_sort_config_selectorIffEENS1_38merge_sort_block_merge_config_selectorIffEEEEvv,"axG",@progbits,_ZN7rocprim17ROCPRIM_400000_NS6detail44device_merge_sort_compile_time_verifier_archINS1_11comp_targetILNS1_3genE10ELNS1_11target_archE1200ELNS1_3gpuE4ELNS1_3repE0EEENS3_ILS4_10ELS5_1201ELS6_5ELS7_0EEENS1_28merge_sort_block_sort_configILj256ELj4ELNS0_20block_sort_algorithmE0EEENS0_14default_configENS1_37merge_sort_block_sort_config_selectorIffEENS1_38merge_sort_block_merge_config_selectorIffEEEEvv,comdat
	.protected	_ZN7rocprim17ROCPRIM_400000_NS6detail44device_merge_sort_compile_time_verifier_archINS1_11comp_targetILNS1_3genE10ELNS1_11target_archE1200ELNS1_3gpuE4ELNS1_3repE0EEENS3_ILS4_10ELS5_1201ELS6_5ELS7_0EEENS1_28merge_sort_block_sort_configILj256ELj4ELNS0_20block_sort_algorithmE0EEENS0_14default_configENS1_37merge_sort_block_sort_config_selectorIffEENS1_38merge_sort_block_merge_config_selectorIffEEEEvv ; -- Begin function _ZN7rocprim17ROCPRIM_400000_NS6detail44device_merge_sort_compile_time_verifier_archINS1_11comp_targetILNS1_3genE10ELNS1_11target_archE1200ELNS1_3gpuE4ELNS1_3repE0EEENS3_ILS4_10ELS5_1201ELS6_5ELS7_0EEENS1_28merge_sort_block_sort_configILj256ELj4ELNS0_20block_sort_algorithmE0EEENS0_14default_configENS1_37merge_sort_block_sort_config_selectorIffEENS1_38merge_sort_block_merge_config_selectorIffEEEEvv
	.globl	_ZN7rocprim17ROCPRIM_400000_NS6detail44device_merge_sort_compile_time_verifier_archINS1_11comp_targetILNS1_3genE10ELNS1_11target_archE1200ELNS1_3gpuE4ELNS1_3repE0EEENS3_ILS4_10ELS5_1201ELS6_5ELS7_0EEENS1_28merge_sort_block_sort_configILj256ELj4ELNS0_20block_sort_algorithmE0EEENS0_14default_configENS1_37merge_sort_block_sort_config_selectorIffEENS1_38merge_sort_block_merge_config_selectorIffEEEEvv
	.p2align	8
	.type	_ZN7rocprim17ROCPRIM_400000_NS6detail44device_merge_sort_compile_time_verifier_archINS1_11comp_targetILNS1_3genE10ELNS1_11target_archE1200ELNS1_3gpuE4ELNS1_3repE0EEENS3_ILS4_10ELS5_1201ELS6_5ELS7_0EEENS1_28merge_sort_block_sort_configILj256ELj4ELNS0_20block_sort_algorithmE0EEENS0_14default_configENS1_37merge_sort_block_sort_config_selectorIffEENS1_38merge_sort_block_merge_config_selectorIffEEEEvv,@function
_ZN7rocprim17ROCPRIM_400000_NS6detail44device_merge_sort_compile_time_verifier_archINS1_11comp_targetILNS1_3genE10ELNS1_11target_archE1200ELNS1_3gpuE4ELNS1_3repE0EEENS3_ILS4_10ELS5_1201ELS6_5ELS7_0EEENS1_28merge_sort_block_sort_configILj256ELj4ELNS0_20block_sort_algorithmE0EEENS0_14default_configENS1_37merge_sort_block_sort_config_selectorIffEENS1_38merge_sort_block_merge_config_selectorIffEEEEvv: ; @_ZN7rocprim17ROCPRIM_400000_NS6detail44device_merge_sort_compile_time_verifier_archINS1_11comp_targetILNS1_3genE10ELNS1_11target_archE1200ELNS1_3gpuE4ELNS1_3repE0EEENS3_ILS4_10ELS5_1201ELS6_5ELS7_0EEENS1_28merge_sort_block_sort_configILj256ELj4ELNS0_20block_sort_algorithmE0EEENS0_14default_configENS1_37merge_sort_block_sort_config_selectorIffEENS1_38merge_sort_block_merge_config_selectorIffEEEEvv
; %bb.0:
	s_endpgm
	.section	.rodata,"a",@progbits
	.p2align	6, 0x0
	.amdhsa_kernel _ZN7rocprim17ROCPRIM_400000_NS6detail44device_merge_sort_compile_time_verifier_archINS1_11comp_targetILNS1_3genE10ELNS1_11target_archE1200ELNS1_3gpuE4ELNS1_3repE0EEENS3_ILS4_10ELS5_1201ELS6_5ELS7_0EEENS1_28merge_sort_block_sort_configILj256ELj4ELNS0_20block_sort_algorithmE0EEENS0_14default_configENS1_37merge_sort_block_sort_config_selectorIffEENS1_38merge_sort_block_merge_config_selectorIffEEEEvv
		.amdhsa_group_segment_fixed_size 0
		.amdhsa_private_segment_fixed_size 0
		.amdhsa_kernarg_size 0
		.amdhsa_user_sgpr_count 0
		.amdhsa_user_sgpr_dispatch_ptr 0
		.amdhsa_user_sgpr_queue_ptr 0
		.amdhsa_user_sgpr_kernarg_segment_ptr 0
		.amdhsa_user_sgpr_dispatch_id 0
		.amdhsa_user_sgpr_kernarg_preload_length 0
		.amdhsa_user_sgpr_kernarg_preload_offset 0
		.amdhsa_user_sgpr_private_segment_size 0
		.amdhsa_uses_dynamic_stack 0
		.amdhsa_enable_private_segment 0
		.amdhsa_system_sgpr_workgroup_id_x 1
		.amdhsa_system_sgpr_workgroup_id_y 0
		.amdhsa_system_sgpr_workgroup_id_z 0
		.amdhsa_system_sgpr_workgroup_info 0
		.amdhsa_system_vgpr_workitem_id 0
		.amdhsa_next_free_vgpr 1
		.amdhsa_next_free_sgpr 0
		.amdhsa_accum_offset 4
		.amdhsa_reserve_vcc 0
		.amdhsa_float_round_mode_32 0
		.amdhsa_float_round_mode_16_64 0
		.amdhsa_float_denorm_mode_32 3
		.amdhsa_float_denorm_mode_16_64 3
		.amdhsa_dx10_clamp 1
		.amdhsa_ieee_mode 1
		.amdhsa_fp16_overflow 0
		.amdhsa_tg_split 0
		.amdhsa_exception_fp_ieee_invalid_op 0
		.amdhsa_exception_fp_denorm_src 0
		.amdhsa_exception_fp_ieee_div_zero 0
		.amdhsa_exception_fp_ieee_overflow 0
		.amdhsa_exception_fp_ieee_underflow 0
		.amdhsa_exception_fp_ieee_inexact 0
		.amdhsa_exception_int_div_zero 0
	.end_amdhsa_kernel
	.section	.text._ZN7rocprim17ROCPRIM_400000_NS6detail44device_merge_sort_compile_time_verifier_archINS1_11comp_targetILNS1_3genE10ELNS1_11target_archE1200ELNS1_3gpuE4ELNS1_3repE0EEENS3_ILS4_10ELS5_1201ELS6_5ELS7_0EEENS1_28merge_sort_block_sort_configILj256ELj4ELNS0_20block_sort_algorithmE0EEENS0_14default_configENS1_37merge_sort_block_sort_config_selectorIffEENS1_38merge_sort_block_merge_config_selectorIffEEEEvv,"axG",@progbits,_ZN7rocprim17ROCPRIM_400000_NS6detail44device_merge_sort_compile_time_verifier_archINS1_11comp_targetILNS1_3genE10ELNS1_11target_archE1200ELNS1_3gpuE4ELNS1_3repE0EEENS3_ILS4_10ELS5_1201ELS6_5ELS7_0EEENS1_28merge_sort_block_sort_configILj256ELj4ELNS0_20block_sort_algorithmE0EEENS0_14default_configENS1_37merge_sort_block_sort_config_selectorIffEENS1_38merge_sort_block_merge_config_selectorIffEEEEvv,comdat
.Lfunc_end218:
	.size	_ZN7rocprim17ROCPRIM_400000_NS6detail44device_merge_sort_compile_time_verifier_archINS1_11comp_targetILNS1_3genE10ELNS1_11target_archE1200ELNS1_3gpuE4ELNS1_3repE0EEENS3_ILS4_10ELS5_1201ELS6_5ELS7_0EEENS1_28merge_sort_block_sort_configILj256ELj4ELNS0_20block_sort_algorithmE0EEENS0_14default_configENS1_37merge_sort_block_sort_config_selectorIffEENS1_38merge_sort_block_merge_config_selectorIffEEEEvv, .Lfunc_end218-_ZN7rocprim17ROCPRIM_400000_NS6detail44device_merge_sort_compile_time_verifier_archINS1_11comp_targetILNS1_3genE10ELNS1_11target_archE1200ELNS1_3gpuE4ELNS1_3repE0EEENS3_ILS4_10ELS5_1201ELS6_5ELS7_0EEENS1_28merge_sort_block_sort_configILj256ELj4ELNS0_20block_sort_algorithmE0EEENS0_14default_configENS1_37merge_sort_block_sort_config_selectorIffEENS1_38merge_sort_block_merge_config_selectorIffEEEEvv
                                        ; -- End function
	.set _ZN7rocprim17ROCPRIM_400000_NS6detail44device_merge_sort_compile_time_verifier_archINS1_11comp_targetILNS1_3genE10ELNS1_11target_archE1200ELNS1_3gpuE4ELNS1_3repE0EEENS3_ILS4_10ELS5_1201ELS6_5ELS7_0EEENS1_28merge_sort_block_sort_configILj256ELj4ELNS0_20block_sort_algorithmE0EEENS0_14default_configENS1_37merge_sort_block_sort_config_selectorIffEENS1_38merge_sort_block_merge_config_selectorIffEEEEvv.num_vgpr, 0
	.set _ZN7rocprim17ROCPRIM_400000_NS6detail44device_merge_sort_compile_time_verifier_archINS1_11comp_targetILNS1_3genE10ELNS1_11target_archE1200ELNS1_3gpuE4ELNS1_3repE0EEENS3_ILS4_10ELS5_1201ELS6_5ELS7_0EEENS1_28merge_sort_block_sort_configILj256ELj4ELNS0_20block_sort_algorithmE0EEENS0_14default_configENS1_37merge_sort_block_sort_config_selectorIffEENS1_38merge_sort_block_merge_config_selectorIffEEEEvv.num_agpr, 0
	.set _ZN7rocprim17ROCPRIM_400000_NS6detail44device_merge_sort_compile_time_verifier_archINS1_11comp_targetILNS1_3genE10ELNS1_11target_archE1200ELNS1_3gpuE4ELNS1_3repE0EEENS3_ILS4_10ELS5_1201ELS6_5ELS7_0EEENS1_28merge_sort_block_sort_configILj256ELj4ELNS0_20block_sort_algorithmE0EEENS0_14default_configENS1_37merge_sort_block_sort_config_selectorIffEENS1_38merge_sort_block_merge_config_selectorIffEEEEvv.numbered_sgpr, 0
	.set _ZN7rocprim17ROCPRIM_400000_NS6detail44device_merge_sort_compile_time_verifier_archINS1_11comp_targetILNS1_3genE10ELNS1_11target_archE1200ELNS1_3gpuE4ELNS1_3repE0EEENS3_ILS4_10ELS5_1201ELS6_5ELS7_0EEENS1_28merge_sort_block_sort_configILj256ELj4ELNS0_20block_sort_algorithmE0EEENS0_14default_configENS1_37merge_sort_block_sort_config_selectorIffEENS1_38merge_sort_block_merge_config_selectorIffEEEEvv.num_named_barrier, 0
	.set _ZN7rocprim17ROCPRIM_400000_NS6detail44device_merge_sort_compile_time_verifier_archINS1_11comp_targetILNS1_3genE10ELNS1_11target_archE1200ELNS1_3gpuE4ELNS1_3repE0EEENS3_ILS4_10ELS5_1201ELS6_5ELS7_0EEENS1_28merge_sort_block_sort_configILj256ELj4ELNS0_20block_sort_algorithmE0EEENS0_14default_configENS1_37merge_sort_block_sort_config_selectorIffEENS1_38merge_sort_block_merge_config_selectorIffEEEEvv.private_seg_size, 0
	.set _ZN7rocprim17ROCPRIM_400000_NS6detail44device_merge_sort_compile_time_verifier_archINS1_11comp_targetILNS1_3genE10ELNS1_11target_archE1200ELNS1_3gpuE4ELNS1_3repE0EEENS3_ILS4_10ELS5_1201ELS6_5ELS7_0EEENS1_28merge_sort_block_sort_configILj256ELj4ELNS0_20block_sort_algorithmE0EEENS0_14default_configENS1_37merge_sort_block_sort_config_selectorIffEENS1_38merge_sort_block_merge_config_selectorIffEEEEvv.uses_vcc, 0
	.set _ZN7rocprim17ROCPRIM_400000_NS6detail44device_merge_sort_compile_time_verifier_archINS1_11comp_targetILNS1_3genE10ELNS1_11target_archE1200ELNS1_3gpuE4ELNS1_3repE0EEENS3_ILS4_10ELS5_1201ELS6_5ELS7_0EEENS1_28merge_sort_block_sort_configILj256ELj4ELNS0_20block_sort_algorithmE0EEENS0_14default_configENS1_37merge_sort_block_sort_config_selectorIffEENS1_38merge_sort_block_merge_config_selectorIffEEEEvv.uses_flat_scratch, 0
	.set _ZN7rocprim17ROCPRIM_400000_NS6detail44device_merge_sort_compile_time_verifier_archINS1_11comp_targetILNS1_3genE10ELNS1_11target_archE1200ELNS1_3gpuE4ELNS1_3repE0EEENS3_ILS4_10ELS5_1201ELS6_5ELS7_0EEENS1_28merge_sort_block_sort_configILj256ELj4ELNS0_20block_sort_algorithmE0EEENS0_14default_configENS1_37merge_sort_block_sort_config_selectorIffEENS1_38merge_sort_block_merge_config_selectorIffEEEEvv.has_dyn_sized_stack, 0
	.set _ZN7rocprim17ROCPRIM_400000_NS6detail44device_merge_sort_compile_time_verifier_archINS1_11comp_targetILNS1_3genE10ELNS1_11target_archE1200ELNS1_3gpuE4ELNS1_3repE0EEENS3_ILS4_10ELS5_1201ELS6_5ELS7_0EEENS1_28merge_sort_block_sort_configILj256ELj4ELNS0_20block_sort_algorithmE0EEENS0_14default_configENS1_37merge_sort_block_sort_config_selectorIffEENS1_38merge_sort_block_merge_config_selectorIffEEEEvv.has_recursion, 0
	.set _ZN7rocprim17ROCPRIM_400000_NS6detail44device_merge_sort_compile_time_verifier_archINS1_11comp_targetILNS1_3genE10ELNS1_11target_archE1200ELNS1_3gpuE4ELNS1_3repE0EEENS3_ILS4_10ELS5_1201ELS6_5ELS7_0EEENS1_28merge_sort_block_sort_configILj256ELj4ELNS0_20block_sort_algorithmE0EEENS0_14default_configENS1_37merge_sort_block_sort_config_selectorIffEENS1_38merge_sort_block_merge_config_selectorIffEEEEvv.has_indirect_call, 0
	.section	.AMDGPU.csdata,"",@progbits
; Kernel info:
; codeLenInByte = 4
; TotalNumSgprs: 6
; NumVgprs: 0
; NumAgprs: 0
; TotalNumVgprs: 0
; ScratchSize: 0
; MemoryBound: 0
; FloatMode: 240
; IeeeMode: 1
; LDSByteSize: 0 bytes/workgroup (compile time only)
; SGPRBlocks: 0
; VGPRBlocks: 0
; NumSGPRsForWavesPerEU: 6
; NumVGPRsForWavesPerEU: 1
; AccumOffset: 4
; Occupancy: 8
; WaveLimiterHint : 0
; COMPUTE_PGM_RSRC2:SCRATCH_EN: 0
; COMPUTE_PGM_RSRC2:USER_SGPR: 0
; COMPUTE_PGM_RSRC2:TRAP_HANDLER: 0
; COMPUTE_PGM_RSRC2:TGID_X_EN: 1
; COMPUTE_PGM_RSRC2:TGID_Y_EN: 0
; COMPUTE_PGM_RSRC2:TGID_Z_EN: 0
; COMPUTE_PGM_RSRC2:TIDIG_COMP_CNT: 0
; COMPUTE_PGM_RSRC3_GFX90A:ACCUM_OFFSET: 0
; COMPUTE_PGM_RSRC3_GFX90A:TG_SPLIT: 0
	.section	.text._ZN7rocprim17ROCPRIM_400000_NS6detail44device_merge_sort_compile_time_verifier_archINS1_11comp_targetILNS1_3genE9ELNS1_11target_archE1100ELNS1_3gpuE3ELNS1_3repE0EEES8_NS1_28merge_sort_block_sort_configILj256ELj4ELNS0_20block_sort_algorithmE0EEENS0_14default_configENS1_37merge_sort_block_sort_config_selectorIffEENS1_38merge_sort_block_merge_config_selectorIffEEEEvv,"axG",@progbits,_ZN7rocprim17ROCPRIM_400000_NS6detail44device_merge_sort_compile_time_verifier_archINS1_11comp_targetILNS1_3genE9ELNS1_11target_archE1100ELNS1_3gpuE3ELNS1_3repE0EEES8_NS1_28merge_sort_block_sort_configILj256ELj4ELNS0_20block_sort_algorithmE0EEENS0_14default_configENS1_37merge_sort_block_sort_config_selectorIffEENS1_38merge_sort_block_merge_config_selectorIffEEEEvv,comdat
	.protected	_ZN7rocprim17ROCPRIM_400000_NS6detail44device_merge_sort_compile_time_verifier_archINS1_11comp_targetILNS1_3genE9ELNS1_11target_archE1100ELNS1_3gpuE3ELNS1_3repE0EEES8_NS1_28merge_sort_block_sort_configILj256ELj4ELNS0_20block_sort_algorithmE0EEENS0_14default_configENS1_37merge_sort_block_sort_config_selectorIffEENS1_38merge_sort_block_merge_config_selectorIffEEEEvv ; -- Begin function _ZN7rocprim17ROCPRIM_400000_NS6detail44device_merge_sort_compile_time_verifier_archINS1_11comp_targetILNS1_3genE9ELNS1_11target_archE1100ELNS1_3gpuE3ELNS1_3repE0EEES8_NS1_28merge_sort_block_sort_configILj256ELj4ELNS0_20block_sort_algorithmE0EEENS0_14default_configENS1_37merge_sort_block_sort_config_selectorIffEENS1_38merge_sort_block_merge_config_selectorIffEEEEvv
	.globl	_ZN7rocprim17ROCPRIM_400000_NS6detail44device_merge_sort_compile_time_verifier_archINS1_11comp_targetILNS1_3genE9ELNS1_11target_archE1100ELNS1_3gpuE3ELNS1_3repE0EEES8_NS1_28merge_sort_block_sort_configILj256ELj4ELNS0_20block_sort_algorithmE0EEENS0_14default_configENS1_37merge_sort_block_sort_config_selectorIffEENS1_38merge_sort_block_merge_config_selectorIffEEEEvv
	.p2align	8
	.type	_ZN7rocprim17ROCPRIM_400000_NS6detail44device_merge_sort_compile_time_verifier_archINS1_11comp_targetILNS1_3genE9ELNS1_11target_archE1100ELNS1_3gpuE3ELNS1_3repE0EEES8_NS1_28merge_sort_block_sort_configILj256ELj4ELNS0_20block_sort_algorithmE0EEENS0_14default_configENS1_37merge_sort_block_sort_config_selectorIffEENS1_38merge_sort_block_merge_config_selectorIffEEEEvv,@function
_ZN7rocprim17ROCPRIM_400000_NS6detail44device_merge_sort_compile_time_verifier_archINS1_11comp_targetILNS1_3genE9ELNS1_11target_archE1100ELNS1_3gpuE3ELNS1_3repE0EEES8_NS1_28merge_sort_block_sort_configILj256ELj4ELNS0_20block_sort_algorithmE0EEENS0_14default_configENS1_37merge_sort_block_sort_config_selectorIffEENS1_38merge_sort_block_merge_config_selectorIffEEEEvv: ; @_ZN7rocprim17ROCPRIM_400000_NS6detail44device_merge_sort_compile_time_verifier_archINS1_11comp_targetILNS1_3genE9ELNS1_11target_archE1100ELNS1_3gpuE3ELNS1_3repE0EEES8_NS1_28merge_sort_block_sort_configILj256ELj4ELNS0_20block_sort_algorithmE0EEENS0_14default_configENS1_37merge_sort_block_sort_config_selectorIffEENS1_38merge_sort_block_merge_config_selectorIffEEEEvv
; %bb.0:
	s_endpgm
	.section	.rodata,"a",@progbits
	.p2align	6, 0x0
	.amdhsa_kernel _ZN7rocprim17ROCPRIM_400000_NS6detail44device_merge_sort_compile_time_verifier_archINS1_11comp_targetILNS1_3genE9ELNS1_11target_archE1100ELNS1_3gpuE3ELNS1_3repE0EEES8_NS1_28merge_sort_block_sort_configILj256ELj4ELNS0_20block_sort_algorithmE0EEENS0_14default_configENS1_37merge_sort_block_sort_config_selectorIffEENS1_38merge_sort_block_merge_config_selectorIffEEEEvv
		.amdhsa_group_segment_fixed_size 0
		.amdhsa_private_segment_fixed_size 0
		.amdhsa_kernarg_size 0
		.amdhsa_user_sgpr_count 0
		.amdhsa_user_sgpr_dispatch_ptr 0
		.amdhsa_user_sgpr_queue_ptr 0
		.amdhsa_user_sgpr_kernarg_segment_ptr 0
		.amdhsa_user_sgpr_dispatch_id 0
		.amdhsa_user_sgpr_kernarg_preload_length 0
		.amdhsa_user_sgpr_kernarg_preload_offset 0
		.amdhsa_user_sgpr_private_segment_size 0
		.amdhsa_uses_dynamic_stack 0
		.amdhsa_enable_private_segment 0
		.amdhsa_system_sgpr_workgroup_id_x 1
		.amdhsa_system_sgpr_workgroup_id_y 0
		.amdhsa_system_sgpr_workgroup_id_z 0
		.amdhsa_system_sgpr_workgroup_info 0
		.amdhsa_system_vgpr_workitem_id 0
		.amdhsa_next_free_vgpr 1
		.amdhsa_next_free_sgpr 0
		.amdhsa_accum_offset 4
		.amdhsa_reserve_vcc 0
		.amdhsa_float_round_mode_32 0
		.amdhsa_float_round_mode_16_64 0
		.amdhsa_float_denorm_mode_32 3
		.amdhsa_float_denorm_mode_16_64 3
		.amdhsa_dx10_clamp 1
		.amdhsa_ieee_mode 1
		.amdhsa_fp16_overflow 0
		.amdhsa_tg_split 0
		.amdhsa_exception_fp_ieee_invalid_op 0
		.amdhsa_exception_fp_denorm_src 0
		.amdhsa_exception_fp_ieee_div_zero 0
		.amdhsa_exception_fp_ieee_overflow 0
		.amdhsa_exception_fp_ieee_underflow 0
		.amdhsa_exception_fp_ieee_inexact 0
		.amdhsa_exception_int_div_zero 0
	.end_amdhsa_kernel
	.section	.text._ZN7rocprim17ROCPRIM_400000_NS6detail44device_merge_sort_compile_time_verifier_archINS1_11comp_targetILNS1_3genE9ELNS1_11target_archE1100ELNS1_3gpuE3ELNS1_3repE0EEES8_NS1_28merge_sort_block_sort_configILj256ELj4ELNS0_20block_sort_algorithmE0EEENS0_14default_configENS1_37merge_sort_block_sort_config_selectorIffEENS1_38merge_sort_block_merge_config_selectorIffEEEEvv,"axG",@progbits,_ZN7rocprim17ROCPRIM_400000_NS6detail44device_merge_sort_compile_time_verifier_archINS1_11comp_targetILNS1_3genE9ELNS1_11target_archE1100ELNS1_3gpuE3ELNS1_3repE0EEES8_NS1_28merge_sort_block_sort_configILj256ELj4ELNS0_20block_sort_algorithmE0EEENS0_14default_configENS1_37merge_sort_block_sort_config_selectorIffEENS1_38merge_sort_block_merge_config_selectorIffEEEEvv,comdat
.Lfunc_end219:
	.size	_ZN7rocprim17ROCPRIM_400000_NS6detail44device_merge_sort_compile_time_verifier_archINS1_11comp_targetILNS1_3genE9ELNS1_11target_archE1100ELNS1_3gpuE3ELNS1_3repE0EEES8_NS1_28merge_sort_block_sort_configILj256ELj4ELNS0_20block_sort_algorithmE0EEENS0_14default_configENS1_37merge_sort_block_sort_config_selectorIffEENS1_38merge_sort_block_merge_config_selectorIffEEEEvv, .Lfunc_end219-_ZN7rocprim17ROCPRIM_400000_NS6detail44device_merge_sort_compile_time_verifier_archINS1_11comp_targetILNS1_3genE9ELNS1_11target_archE1100ELNS1_3gpuE3ELNS1_3repE0EEES8_NS1_28merge_sort_block_sort_configILj256ELj4ELNS0_20block_sort_algorithmE0EEENS0_14default_configENS1_37merge_sort_block_sort_config_selectorIffEENS1_38merge_sort_block_merge_config_selectorIffEEEEvv
                                        ; -- End function
	.set _ZN7rocprim17ROCPRIM_400000_NS6detail44device_merge_sort_compile_time_verifier_archINS1_11comp_targetILNS1_3genE9ELNS1_11target_archE1100ELNS1_3gpuE3ELNS1_3repE0EEES8_NS1_28merge_sort_block_sort_configILj256ELj4ELNS0_20block_sort_algorithmE0EEENS0_14default_configENS1_37merge_sort_block_sort_config_selectorIffEENS1_38merge_sort_block_merge_config_selectorIffEEEEvv.num_vgpr, 0
	.set _ZN7rocprim17ROCPRIM_400000_NS6detail44device_merge_sort_compile_time_verifier_archINS1_11comp_targetILNS1_3genE9ELNS1_11target_archE1100ELNS1_3gpuE3ELNS1_3repE0EEES8_NS1_28merge_sort_block_sort_configILj256ELj4ELNS0_20block_sort_algorithmE0EEENS0_14default_configENS1_37merge_sort_block_sort_config_selectorIffEENS1_38merge_sort_block_merge_config_selectorIffEEEEvv.num_agpr, 0
	.set _ZN7rocprim17ROCPRIM_400000_NS6detail44device_merge_sort_compile_time_verifier_archINS1_11comp_targetILNS1_3genE9ELNS1_11target_archE1100ELNS1_3gpuE3ELNS1_3repE0EEES8_NS1_28merge_sort_block_sort_configILj256ELj4ELNS0_20block_sort_algorithmE0EEENS0_14default_configENS1_37merge_sort_block_sort_config_selectorIffEENS1_38merge_sort_block_merge_config_selectorIffEEEEvv.numbered_sgpr, 0
	.set _ZN7rocprim17ROCPRIM_400000_NS6detail44device_merge_sort_compile_time_verifier_archINS1_11comp_targetILNS1_3genE9ELNS1_11target_archE1100ELNS1_3gpuE3ELNS1_3repE0EEES8_NS1_28merge_sort_block_sort_configILj256ELj4ELNS0_20block_sort_algorithmE0EEENS0_14default_configENS1_37merge_sort_block_sort_config_selectorIffEENS1_38merge_sort_block_merge_config_selectorIffEEEEvv.num_named_barrier, 0
	.set _ZN7rocprim17ROCPRIM_400000_NS6detail44device_merge_sort_compile_time_verifier_archINS1_11comp_targetILNS1_3genE9ELNS1_11target_archE1100ELNS1_3gpuE3ELNS1_3repE0EEES8_NS1_28merge_sort_block_sort_configILj256ELj4ELNS0_20block_sort_algorithmE0EEENS0_14default_configENS1_37merge_sort_block_sort_config_selectorIffEENS1_38merge_sort_block_merge_config_selectorIffEEEEvv.private_seg_size, 0
	.set _ZN7rocprim17ROCPRIM_400000_NS6detail44device_merge_sort_compile_time_verifier_archINS1_11comp_targetILNS1_3genE9ELNS1_11target_archE1100ELNS1_3gpuE3ELNS1_3repE0EEES8_NS1_28merge_sort_block_sort_configILj256ELj4ELNS0_20block_sort_algorithmE0EEENS0_14default_configENS1_37merge_sort_block_sort_config_selectorIffEENS1_38merge_sort_block_merge_config_selectorIffEEEEvv.uses_vcc, 0
	.set _ZN7rocprim17ROCPRIM_400000_NS6detail44device_merge_sort_compile_time_verifier_archINS1_11comp_targetILNS1_3genE9ELNS1_11target_archE1100ELNS1_3gpuE3ELNS1_3repE0EEES8_NS1_28merge_sort_block_sort_configILj256ELj4ELNS0_20block_sort_algorithmE0EEENS0_14default_configENS1_37merge_sort_block_sort_config_selectorIffEENS1_38merge_sort_block_merge_config_selectorIffEEEEvv.uses_flat_scratch, 0
	.set _ZN7rocprim17ROCPRIM_400000_NS6detail44device_merge_sort_compile_time_verifier_archINS1_11comp_targetILNS1_3genE9ELNS1_11target_archE1100ELNS1_3gpuE3ELNS1_3repE0EEES8_NS1_28merge_sort_block_sort_configILj256ELj4ELNS0_20block_sort_algorithmE0EEENS0_14default_configENS1_37merge_sort_block_sort_config_selectorIffEENS1_38merge_sort_block_merge_config_selectorIffEEEEvv.has_dyn_sized_stack, 0
	.set _ZN7rocprim17ROCPRIM_400000_NS6detail44device_merge_sort_compile_time_verifier_archINS1_11comp_targetILNS1_3genE9ELNS1_11target_archE1100ELNS1_3gpuE3ELNS1_3repE0EEES8_NS1_28merge_sort_block_sort_configILj256ELj4ELNS0_20block_sort_algorithmE0EEENS0_14default_configENS1_37merge_sort_block_sort_config_selectorIffEENS1_38merge_sort_block_merge_config_selectorIffEEEEvv.has_recursion, 0
	.set _ZN7rocprim17ROCPRIM_400000_NS6detail44device_merge_sort_compile_time_verifier_archINS1_11comp_targetILNS1_3genE9ELNS1_11target_archE1100ELNS1_3gpuE3ELNS1_3repE0EEES8_NS1_28merge_sort_block_sort_configILj256ELj4ELNS0_20block_sort_algorithmE0EEENS0_14default_configENS1_37merge_sort_block_sort_config_selectorIffEENS1_38merge_sort_block_merge_config_selectorIffEEEEvv.has_indirect_call, 0
	.section	.AMDGPU.csdata,"",@progbits
; Kernel info:
; codeLenInByte = 4
; TotalNumSgprs: 6
; NumVgprs: 0
; NumAgprs: 0
; TotalNumVgprs: 0
; ScratchSize: 0
; MemoryBound: 0
; FloatMode: 240
; IeeeMode: 1
; LDSByteSize: 0 bytes/workgroup (compile time only)
; SGPRBlocks: 0
; VGPRBlocks: 0
; NumSGPRsForWavesPerEU: 6
; NumVGPRsForWavesPerEU: 1
; AccumOffset: 4
; Occupancy: 8
; WaveLimiterHint : 0
; COMPUTE_PGM_RSRC2:SCRATCH_EN: 0
; COMPUTE_PGM_RSRC2:USER_SGPR: 0
; COMPUTE_PGM_RSRC2:TRAP_HANDLER: 0
; COMPUTE_PGM_RSRC2:TGID_X_EN: 1
; COMPUTE_PGM_RSRC2:TGID_Y_EN: 0
; COMPUTE_PGM_RSRC2:TGID_Z_EN: 0
; COMPUTE_PGM_RSRC2:TIDIG_COMP_CNT: 0
; COMPUTE_PGM_RSRC3_GFX90A:ACCUM_OFFSET: 0
; COMPUTE_PGM_RSRC3_GFX90A:TG_SPLIT: 0
	.section	.text._ZN7rocprim17ROCPRIM_400000_NS6detail44device_merge_sort_compile_time_verifier_archINS1_11comp_targetILNS1_3genE8ELNS1_11target_archE1030ELNS1_3gpuE2ELNS1_3repE0EEES8_NS1_28merge_sort_block_sort_configILj256ELj4ELNS0_20block_sort_algorithmE0EEENS0_14default_configENS1_37merge_sort_block_sort_config_selectorIffEENS1_38merge_sort_block_merge_config_selectorIffEEEEvv,"axG",@progbits,_ZN7rocprim17ROCPRIM_400000_NS6detail44device_merge_sort_compile_time_verifier_archINS1_11comp_targetILNS1_3genE8ELNS1_11target_archE1030ELNS1_3gpuE2ELNS1_3repE0EEES8_NS1_28merge_sort_block_sort_configILj256ELj4ELNS0_20block_sort_algorithmE0EEENS0_14default_configENS1_37merge_sort_block_sort_config_selectorIffEENS1_38merge_sort_block_merge_config_selectorIffEEEEvv,comdat
	.protected	_ZN7rocprim17ROCPRIM_400000_NS6detail44device_merge_sort_compile_time_verifier_archINS1_11comp_targetILNS1_3genE8ELNS1_11target_archE1030ELNS1_3gpuE2ELNS1_3repE0EEES8_NS1_28merge_sort_block_sort_configILj256ELj4ELNS0_20block_sort_algorithmE0EEENS0_14default_configENS1_37merge_sort_block_sort_config_selectorIffEENS1_38merge_sort_block_merge_config_selectorIffEEEEvv ; -- Begin function _ZN7rocprim17ROCPRIM_400000_NS6detail44device_merge_sort_compile_time_verifier_archINS1_11comp_targetILNS1_3genE8ELNS1_11target_archE1030ELNS1_3gpuE2ELNS1_3repE0EEES8_NS1_28merge_sort_block_sort_configILj256ELj4ELNS0_20block_sort_algorithmE0EEENS0_14default_configENS1_37merge_sort_block_sort_config_selectorIffEENS1_38merge_sort_block_merge_config_selectorIffEEEEvv
	.globl	_ZN7rocprim17ROCPRIM_400000_NS6detail44device_merge_sort_compile_time_verifier_archINS1_11comp_targetILNS1_3genE8ELNS1_11target_archE1030ELNS1_3gpuE2ELNS1_3repE0EEES8_NS1_28merge_sort_block_sort_configILj256ELj4ELNS0_20block_sort_algorithmE0EEENS0_14default_configENS1_37merge_sort_block_sort_config_selectorIffEENS1_38merge_sort_block_merge_config_selectorIffEEEEvv
	.p2align	8
	.type	_ZN7rocprim17ROCPRIM_400000_NS6detail44device_merge_sort_compile_time_verifier_archINS1_11comp_targetILNS1_3genE8ELNS1_11target_archE1030ELNS1_3gpuE2ELNS1_3repE0EEES8_NS1_28merge_sort_block_sort_configILj256ELj4ELNS0_20block_sort_algorithmE0EEENS0_14default_configENS1_37merge_sort_block_sort_config_selectorIffEENS1_38merge_sort_block_merge_config_selectorIffEEEEvv,@function
_ZN7rocprim17ROCPRIM_400000_NS6detail44device_merge_sort_compile_time_verifier_archINS1_11comp_targetILNS1_3genE8ELNS1_11target_archE1030ELNS1_3gpuE2ELNS1_3repE0EEES8_NS1_28merge_sort_block_sort_configILj256ELj4ELNS0_20block_sort_algorithmE0EEENS0_14default_configENS1_37merge_sort_block_sort_config_selectorIffEENS1_38merge_sort_block_merge_config_selectorIffEEEEvv: ; @_ZN7rocprim17ROCPRIM_400000_NS6detail44device_merge_sort_compile_time_verifier_archINS1_11comp_targetILNS1_3genE8ELNS1_11target_archE1030ELNS1_3gpuE2ELNS1_3repE0EEES8_NS1_28merge_sort_block_sort_configILj256ELj4ELNS0_20block_sort_algorithmE0EEENS0_14default_configENS1_37merge_sort_block_sort_config_selectorIffEENS1_38merge_sort_block_merge_config_selectorIffEEEEvv
; %bb.0:
	s_endpgm
	.section	.rodata,"a",@progbits
	.p2align	6, 0x0
	.amdhsa_kernel _ZN7rocprim17ROCPRIM_400000_NS6detail44device_merge_sort_compile_time_verifier_archINS1_11comp_targetILNS1_3genE8ELNS1_11target_archE1030ELNS1_3gpuE2ELNS1_3repE0EEES8_NS1_28merge_sort_block_sort_configILj256ELj4ELNS0_20block_sort_algorithmE0EEENS0_14default_configENS1_37merge_sort_block_sort_config_selectorIffEENS1_38merge_sort_block_merge_config_selectorIffEEEEvv
		.amdhsa_group_segment_fixed_size 0
		.amdhsa_private_segment_fixed_size 0
		.amdhsa_kernarg_size 0
		.amdhsa_user_sgpr_count 0
		.amdhsa_user_sgpr_dispatch_ptr 0
		.amdhsa_user_sgpr_queue_ptr 0
		.amdhsa_user_sgpr_kernarg_segment_ptr 0
		.amdhsa_user_sgpr_dispatch_id 0
		.amdhsa_user_sgpr_kernarg_preload_length 0
		.amdhsa_user_sgpr_kernarg_preload_offset 0
		.amdhsa_user_sgpr_private_segment_size 0
		.amdhsa_uses_dynamic_stack 0
		.amdhsa_enable_private_segment 0
		.amdhsa_system_sgpr_workgroup_id_x 1
		.amdhsa_system_sgpr_workgroup_id_y 0
		.amdhsa_system_sgpr_workgroup_id_z 0
		.amdhsa_system_sgpr_workgroup_info 0
		.amdhsa_system_vgpr_workitem_id 0
		.amdhsa_next_free_vgpr 1
		.amdhsa_next_free_sgpr 0
		.amdhsa_accum_offset 4
		.amdhsa_reserve_vcc 0
		.amdhsa_float_round_mode_32 0
		.amdhsa_float_round_mode_16_64 0
		.amdhsa_float_denorm_mode_32 3
		.amdhsa_float_denorm_mode_16_64 3
		.amdhsa_dx10_clamp 1
		.amdhsa_ieee_mode 1
		.amdhsa_fp16_overflow 0
		.amdhsa_tg_split 0
		.amdhsa_exception_fp_ieee_invalid_op 0
		.amdhsa_exception_fp_denorm_src 0
		.amdhsa_exception_fp_ieee_div_zero 0
		.amdhsa_exception_fp_ieee_overflow 0
		.amdhsa_exception_fp_ieee_underflow 0
		.amdhsa_exception_fp_ieee_inexact 0
		.amdhsa_exception_int_div_zero 0
	.end_amdhsa_kernel
	.section	.text._ZN7rocprim17ROCPRIM_400000_NS6detail44device_merge_sort_compile_time_verifier_archINS1_11comp_targetILNS1_3genE8ELNS1_11target_archE1030ELNS1_3gpuE2ELNS1_3repE0EEES8_NS1_28merge_sort_block_sort_configILj256ELj4ELNS0_20block_sort_algorithmE0EEENS0_14default_configENS1_37merge_sort_block_sort_config_selectorIffEENS1_38merge_sort_block_merge_config_selectorIffEEEEvv,"axG",@progbits,_ZN7rocprim17ROCPRIM_400000_NS6detail44device_merge_sort_compile_time_verifier_archINS1_11comp_targetILNS1_3genE8ELNS1_11target_archE1030ELNS1_3gpuE2ELNS1_3repE0EEES8_NS1_28merge_sort_block_sort_configILj256ELj4ELNS0_20block_sort_algorithmE0EEENS0_14default_configENS1_37merge_sort_block_sort_config_selectorIffEENS1_38merge_sort_block_merge_config_selectorIffEEEEvv,comdat
.Lfunc_end220:
	.size	_ZN7rocprim17ROCPRIM_400000_NS6detail44device_merge_sort_compile_time_verifier_archINS1_11comp_targetILNS1_3genE8ELNS1_11target_archE1030ELNS1_3gpuE2ELNS1_3repE0EEES8_NS1_28merge_sort_block_sort_configILj256ELj4ELNS0_20block_sort_algorithmE0EEENS0_14default_configENS1_37merge_sort_block_sort_config_selectorIffEENS1_38merge_sort_block_merge_config_selectorIffEEEEvv, .Lfunc_end220-_ZN7rocprim17ROCPRIM_400000_NS6detail44device_merge_sort_compile_time_verifier_archINS1_11comp_targetILNS1_3genE8ELNS1_11target_archE1030ELNS1_3gpuE2ELNS1_3repE0EEES8_NS1_28merge_sort_block_sort_configILj256ELj4ELNS0_20block_sort_algorithmE0EEENS0_14default_configENS1_37merge_sort_block_sort_config_selectorIffEENS1_38merge_sort_block_merge_config_selectorIffEEEEvv
                                        ; -- End function
	.set _ZN7rocprim17ROCPRIM_400000_NS6detail44device_merge_sort_compile_time_verifier_archINS1_11comp_targetILNS1_3genE8ELNS1_11target_archE1030ELNS1_3gpuE2ELNS1_3repE0EEES8_NS1_28merge_sort_block_sort_configILj256ELj4ELNS0_20block_sort_algorithmE0EEENS0_14default_configENS1_37merge_sort_block_sort_config_selectorIffEENS1_38merge_sort_block_merge_config_selectorIffEEEEvv.num_vgpr, 0
	.set _ZN7rocprim17ROCPRIM_400000_NS6detail44device_merge_sort_compile_time_verifier_archINS1_11comp_targetILNS1_3genE8ELNS1_11target_archE1030ELNS1_3gpuE2ELNS1_3repE0EEES8_NS1_28merge_sort_block_sort_configILj256ELj4ELNS0_20block_sort_algorithmE0EEENS0_14default_configENS1_37merge_sort_block_sort_config_selectorIffEENS1_38merge_sort_block_merge_config_selectorIffEEEEvv.num_agpr, 0
	.set _ZN7rocprim17ROCPRIM_400000_NS6detail44device_merge_sort_compile_time_verifier_archINS1_11comp_targetILNS1_3genE8ELNS1_11target_archE1030ELNS1_3gpuE2ELNS1_3repE0EEES8_NS1_28merge_sort_block_sort_configILj256ELj4ELNS0_20block_sort_algorithmE0EEENS0_14default_configENS1_37merge_sort_block_sort_config_selectorIffEENS1_38merge_sort_block_merge_config_selectorIffEEEEvv.numbered_sgpr, 0
	.set _ZN7rocprim17ROCPRIM_400000_NS6detail44device_merge_sort_compile_time_verifier_archINS1_11comp_targetILNS1_3genE8ELNS1_11target_archE1030ELNS1_3gpuE2ELNS1_3repE0EEES8_NS1_28merge_sort_block_sort_configILj256ELj4ELNS0_20block_sort_algorithmE0EEENS0_14default_configENS1_37merge_sort_block_sort_config_selectorIffEENS1_38merge_sort_block_merge_config_selectorIffEEEEvv.num_named_barrier, 0
	.set _ZN7rocprim17ROCPRIM_400000_NS6detail44device_merge_sort_compile_time_verifier_archINS1_11comp_targetILNS1_3genE8ELNS1_11target_archE1030ELNS1_3gpuE2ELNS1_3repE0EEES8_NS1_28merge_sort_block_sort_configILj256ELj4ELNS0_20block_sort_algorithmE0EEENS0_14default_configENS1_37merge_sort_block_sort_config_selectorIffEENS1_38merge_sort_block_merge_config_selectorIffEEEEvv.private_seg_size, 0
	.set _ZN7rocprim17ROCPRIM_400000_NS6detail44device_merge_sort_compile_time_verifier_archINS1_11comp_targetILNS1_3genE8ELNS1_11target_archE1030ELNS1_3gpuE2ELNS1_3repE0EEES8_NS1_28merge_sort_block_sort_configILj256ELj4ELNS0_20block_sort_algorithmE0EEENS0_14default_configENS1_37merge_sort_block_sort_config_selectorIffEENS1_38merge_sort_block_merge_config_selectorIffEEEEvv.uses_vcc, 0
	.set _ZN7rocprim17ROCPRIM_400000_NS6detail44device_merge_sort_compile_time_verifier_archINS1_11comp_targetILNS1_3genE8ELNS1_11target_archE1030ELNS1_3gpuE2ELNS1_3repE0EEES8_NS1_28merge_sort_block_sort_configILj256ELj4ELNS0_20block_sort_algorithmE0EEENS0_14default_configENS1_37merge_sort_block_sort_config_selectorIffEENS1_38merge_sort_block_merge_config_selectorIffEEEEvv.uses_flat_scratch, 0
	.set _ZN7rocprim17ROCPRIM_400000_NS6detail44device_merge_sort_compile_time_verifier_archINS1_11comp_targetILNS1_3genE8ELNS1_11target_archE1030ELNS1_3gpuE2ELNS1_3repE0EEES8_NS1_28merge_sort_block_sort_configILj256ELj4ELNS0_20block_sort_algorithmE0EEENS0_14default_configENS1_37merge_sort_block_sort_config_selectorIffEENS1_38merge_sort_block_merge_config_selectorIffEEEEvv.has_dyn_sized_stack, 0
	.set _ZN7rocprim17ROCPRIM_400000_NS6detail44device_merge_sort_compile_time_verifier_archINS1_11comp_targetILNS1_3genE8ELNS1_11target_archE1030ELNS1_3gpuE2ELNS1_3repE0EEES8_NS1_28merge_sort_block_sort_configILj256ELj4ELNS0_20block_sort_algorithmE0EEENS0_14default_configENS1_37merge_sort_block_sort_config_selectorIffEENS1_38merge_sort_block_merge_config_selectorIffEEEEvv.has_recursion, 0
	.set _ZN7rocprim17ROCPRIM_400000_NS6detail44device_merge_sort_compile_time_verifier_archINS1_11comp_targetILNS1_3genE8ELNS1_11target_archE1030ELNS1_3gpuE2ELNS1_3repE0EEES8_NS1_28merge_sort_block_sort_configILj256ELj4ELNS0_20block_sort_algorithmE0EEENS0_14default_configENS1_37merge_sort_block_sort_config_selectorIffEENS1_38merge_sort_block_merge_config_selectorIffEEEEvv.has_indirect_call, 0
	.section	.AMDGPU.csdata,"",@progbits
; Kernel info:
; codeLenInByte = 4
; TotalNumSgprs: 6
; NumVgprs: 0
; NumAgprs: 0
; TotalNumVgprs: 0
; ScratchSize: 0
; MemoryBound: 0
; FloatMode: 240
; IeeeMode: 1
; LDSByteSize: 0 bytes/workgroup (compile time only)
; SGPRBlocks: 0
; VGPRBlocks: 0
; NumSGPRsForWavesPerEU: 6
; NumVGPRsForWavesPerEU: 1
; AccumOffset: 4
; Occupancy: 8
; WaveLimiterHint : 0
; COMPUTE_PGM_RSRC2:SCRATCH_EN: 0
; COMPUTE_PGM_RSRC2:USER_SGPR: 0
; COMPUTE_PGM_RSRC2:TRAP_HANDLER: 0
; COMPUTE_PGM_RSRC2:TGID_X_EN: 1
; COMPUTE_PGM_RSRC2:TGID_Y_EN: 0
; COMPUTE_PGM_RSRC2:TGID_Z_EN: 0
; COMPUTE_PGM_RSRC2:TIDIG_COMP_CNT: 0
; COMPUTE_PGM_RSRC3_GFX90A:ACCUM_OFFSET: 0
; COMPUTE_PGM_RSRC3_GFX90A:TG_SPLIT: 0
	.section	.text._ZN7rocprim17ROCPRIM_400000_NS6detail17trampoline_kernelINS0_14default_configENS1_38merge_sort_block_merge_config_selectorIffEEZZNS1_27merge_sort_block_merge_implIS3_N6thrust23THRUST_200600_302600_NS6detail15normal_iteratorINS8_10device_ptrIfEEEESD_jNS1_19radix_merge_compareILb0ELb0EfNS0_19identity_decomposerEEEEE10hipError_tT0_T1_T2_jT3_P12ihipStream_tbPNSt15iterator_traitsISI_E10value_typeEPNSO_ISJ_E10value_typeEPSK_NS1_7vsmem_tEENKUlT_SI_SJ_SK_E_clIPfSD_S10_SD_EESH_SX_SI_SJ_SK_EUlSX_E_NS1_11comp_targetILNS1_3genE0ELNS1_11target_archE4294967295ELNS1_3gpuE0ELNS1_3repE0EEENS1_48merge_mergepath_partition_config_static_selectorELNS0_4arch9wavefront6targetE1EEEvSJ_,"axG",@progbits,_ZN7rocprim17ROCPRIM_400000_NS6detail17trampoline_kernelINS0_14default_configENS1_38merge_sort_block_merge_config_selectorIffEEZZNS1_27merge_sort_block_merge_implIS3_N6thrust23THRUST_200600_302600_NS6detail15normal_iteratorINS8_10device_ptrIfEEEESD_jNS1_19radix_merge_compareILb0ELb0EfNS0_19identity_decomposerEEEEE10hipError_tT0_T1_T2_jT3_P12ihipStream_tbPNSt15iterator_traitsISI_E10value_typeEPNSO_ISJ_E10value_typeEPSK_NS1_7vsmem_tEENKUlT_SI_SJ_SK_E_clIPfSD_S10_SD_EESH_SX_SI_SJ_SK_EUlSX_E_NS1_11comp_targetILNS1_3genE0ELNS1_11target_archE4294967295ELNS1_3gpuE0ELNS1_3repE0EEENS1_48merge_mergepath_partition_config_static_selectorELNS0_4arch9wavefront6targetE1EEEvSJ_,comdat
	.protected	_ZN7rocprim17ROCPRIM_400000_NS6detail17trampoline_kernelINS0_14default_configENS1_38merge_sort_block_merge_config_selectorIffEEZZNS1_27merge_sort_block_merge_implIS3_N6thrust23THRUST_200600_302600_NS6detail15normal_iteratorINS8_10device_ptrIfEEEESD_jNS1_19radix_merge_compareILb0ELb0EfNS0_19identity_decomposerEEEEE10hipError_tT0_T1_T2_jT3_P12ihipStream_tbPNSt15iterator_traitsISI_E10value_typeEPNSO_ISJ_E10value_typeEPSK_NS1_7vsmem_tEENKUlT_SI_SJ_SK_E_clIPfSD_S10_SD_EESH_SX_SI_SJ_SK_EUlSX_E_NS1_11comp_targetILNS1_3genE0ELNS1_11target_archE4294967295ELNS1_3gpuE0ELNS1_3repE0EEENS1_48merge_mergepath_partition_config_static_selectorELNS0_4arch9wavefront6targetE1EEEvSJ_ ; -- Begin function _ZN7rocprim17ROCPRIM_400000_NS6detail17trampoline_kernelINS0_14default_configENS1_38merge_sort_block_merge_config_selectorIffEEZZNS1_27merge_sort_block_merge_implIS3_N6thrust23THRUST_200600_302600_NS6detail15normal_iteratorINS8_10device_ptrIfEEEESD_jNS1_19radix_merge_compareILb0ELb0EfNS0_19identity_decomposerEEEEE10hipError_tT0_T1_T2_jT3_P12ihipStream_tbPNSt15iterator_traitsISI_E10value_typeEPNSO_ISJ_E10value_typeEPSK_NS1_7vsmem_tEENKUlT_SI_SJ_SK_E_clIPfSD_S10_SD_EESH_SX_SI_SJ_SK_EUlSX_E_NS1_11comp_targetILNS1_3genE0ELNS1_11target_archE4294967295ELNS1_3gpuE0ELNS1_3repE0EEENS1_48merge_mergepath_partition_config_static_selectorELNS0_4arch9wavefront6targetE1EEEvSJ_
	.globl	_ZN7rocprim17ROCPRIM_400000_NS6detail17trampoline_kernelINS0_14default_configENS1_38merge_sort_block_merge_config_selectorIffEEZZNS1_27merge_sort_block_merge_implIS3_N6thrust23THRUST_200600_302600_NS6detail15normal_iteratorINS8_10device_ptrIfEEEESD_jNS1_19radix_merge_compareILb0ELb0EfNS0_19identity_decomposerEEEEE10hipError_tT0_T1_T2_jT3_P12ihipStream_tbPNSt15iterator_traitsISI_E10value_typeEPNSO_ISJ_E10value_typeEPSK_NS1_7vsmem_tEENKUlT_SI_SJ_SK_E_clIPfSD_S10_SD_EESH_SX_SI_SJ_SK_EUlSX_E_NS1_11comp_targetILNS1_3genE0ELNS1_11target_archE4294967295ELNS1_3gpuE0ELNS1_3repE0EEENS1_48merge_mergepath_partition_config_static_selectorELNS0_4arch9wavefront6targetE1EEEvSJ_
	.p2align	8
	.type	_ZN7rocprim17ROCPRIM_400000_NS6detail17trampoline_kernelINS0_14default_configENS1_38merge_sort_block_merge_config_selectorIffEEZZNS1_27merge_sort_block_merge_implIS3_N6thrust23THRUST_200600_302600_NS6detail15normal_iteratorINS8_10device_ptrIfEEEESD_jNS1_19radix_merge_compareILb0ELb0EfNS0_19identity_decomposerEEEEE10hipError_tT0_T1_T2_jT3_P12ihipStream_tbPNSt15iterator_traitsISI_E10value_typeEPNSO_ISJ_E10value_typeEPSK_NS1_7vsmem_tEENKUlT_SI_SJ_SK_E_clIPfSD_S10_SD_EESH_SX_SI_SJ_SK_EUlSX_E_NS1_11comp_targetILNS1_3genE0ELNS1_11target_archE4294967295ELNS1_3gpuE0ELNS1_3repE0EEENS1_48merge_mergepath_partition_config_static_selectorELNS0_4arch9wavefront6targetE1EEEvSJ_,@function
_ZN7rocprim17ROCPRIM_400000_NS6detail17trampoline_kernelINS0_14default_configENS1_38merge_sort_block_merge_config_selectorIffEEZZNS1_27merge_sort_block_merge_implIS3_N6thrust23THRUST_200600_302600_NS6detail15normal_iteratorINS8_10device_ptrIfEEEESD_jNS1_19radix_merge_compareILb0ELb0EfNS0_19identity_decomposerEEEEE10hipError_tT0_T1_T2_jT3_P12ihipStream_tbPNSt15iterator_traitsISI_E10value_typeEPNSO_ISJ_E10value_typeEPSK_NS1_7vsmem_tEENKUlT_SI_SJ_SK_E_clIPfSD_S10_SD_EESH_SX_SI_SJ_SK_EUlSX_E_NS1_11comp_targetILNS1_3genE0ELNS1_11target_archE4294967295ELNS1_3gpuE0ELNS1_3repE0EEENS1_48merge_mergepath_partition_config_static_selectorELNS0_4arch9wavefront6targetE1EEEvSJ_: ; @_ZN7rocprim17ROCPRIM_400000_NS6detail17trampoline_kernelINS0_14default_configENS1_38merge_sort_block_merge_config_selectorIffEEZZNS1_27merge_sort_block_merge_implIS3_N6thrust23THRUST_200600_302600_NS6detail15normal_iteratorINS8_10device_ptrIfEEEESD_jNS1_19radix_merge_compareILb0ELb0EfNS0_19identity_decomposerEEEEE10hipError_tT0_T1_T2_jT3_P12ihipStream_tbPNSt15iterator_traitsISI_E10value_typeEPNSO_ISJ_E10value_typeEPSK_NS1_7vsmem_tEENKUlT_SI_SJ_SK_E_clIPfSD_S10_SD_EESH_SX_SI_SJ_SK_EUlSX_E_NS1_11comp_targetILNS1_3genE0ELNS1_11target_archE4294967295ELNS1_3gpuE0ELNS1_3repE0EEENS1_48merge_mergepath_partition_config_static_selectorELNS0_4arch9wavefront6targetE1EEEvSJ_
; %bb.0:
	s_load_dword s3, s[0:1], 0x0
	v_lshl_or_b32 v0, s2, 7, v0
	s_waitcnt lgkmcnt(0)
	v_cmp_gt_u32_e32 vcc, s3, v0
	s_and_saveexec_b64 s[2:3], vcc
	s_cbranch_execz .LBB221_6
; %bb.1:
	s_load_dwordx2 s[4:5], s[0:1], 0x4
	s_load_dwordx2 s[2:3], s[0:1], 0x20
	s_waitcnt lgkmcnt(0)
	s_lshr_b32 s6, s4, 9
	s_and_b32 s6, s6, 0x7ffffe
	s_add_i32 s7, s6, -1
	s_sub_i32 s6, 0, s6
	v_and_b32_e32 v1, s6, v0
	v_lshlrev_b32_e32 v1, 10, v1
	v_min_u32_e32 v2, s5, v1
	v_add_u32_e32 v1, s4, v1
	v_min_u32_e32 v4, s5, v1
	v_add_u32_e32 v1, s4, v4
	v_and_b32_e32 v3, s7, v0
	v_min_u32_e32 v1, s5, v1
	v_sub_u32_e32 v5, v1, v2
	v_lshlrev_b32_e32 v3, 10, v3
	v_min_u32_e32 v10, v5, v3
	v_sub_u32_e32 v3, v4, v2
	v_sub_u32_e32 v1, v1, v4
	v_sub_u32_e64 v1, v10, v1 clamp
	v_min_u32_e32 v11, v10, v3
	v_cmp_lt_u32_e32 vcc, v1, v11
	s_and_saveexec_b64 s[4:5], vcc
	s_cbranch_execz .LBB221_5
; %bb.2:
	s_load_dwordx2 s[0:1], s[0:1], 0x10
	v_mov_b32_e32 v5, 0
	v_mov_b32_e32 v3, v5
	s_waitcnt lgkmcnt(0)
	v_lshl_add_u64 v[6:7], v[2:3], 2, s[0:1]
	v_lshl_add_u64 v[8:9], v[4:5], 2, s[0:1]
	s_mov_b64 s[0:1], 0
.LBB221_3:                              ; =>This Inner Loop Header: Depth=1
	v_add_u32_e32 v3, v11, v1
	v_lshrrev_b32_e32 v4, 1, v3
	v_mov_b32_e32 v13, v5
	v_xad_u32 v12, v4, -1, v10
	v_lshl_add_u64 v[14:15], v[4:5], 2, v[6:7]
	v_lshl_add_u64 v[12:13], v[12:13], 2, v[8:9]
	global_load_dword v16, v[14:15], off
	global_load_dword v17, v[12:13], off
	v_add_u32_e32 v3, 1, v4
	s_waitcnt vmcnt(0)
	v_pk_add_f32 v[12:13], v[16:17], 0 op_sel_hi:[1,0]
	s_nop 0
	v_ashrrev_i32_e32 v14, 31, v13
	v_ashrrev_i32_e32 v15, 31, v12
	v_or_b32_e32 v14, 0x80000000, v14
	v_or_b32_e32 v15, 0x80000000, v15
	v_xor_b32_e32 v13, v14, v13
	v_xor_b32_e32 v12, v15, v12
	v_cmp_gt_u32_e32 vcc, v12, v13
	s_nop 1
	v_cndmask_b32_e32 v11, v11, v4, vcc
	v_cndmask_b32_e32 v1, v3, v1, vcc
	v_cmp_ge_u32_e32 vcc, v1, v11
	s_or_b64 s[0:1], vcc, s[0:1]
	s_andn2_b64 exec, exec, s[0:1]
	s_cbranch_execnz .LBB221_3
; %bb.4:
	s_or_b64 exec, exec, s[0:1]
.LBB221_5:
	s_or_b64 exec, exec, s[4:5]
	v_add_u32_e32 v2, v1, v2
	v_mov_b32_e32 v1, 0
	v_lshl_add_u64 v[0:1], v[0:1], 2, s[2:3]
	global_store_dword v[0:1], v2, off
.LBB221_6:
	s_endpgm
	.section	.rodata,"a",@progbits
	.p2align	6, 0x0
	.amdhsa_kernel _ZN7rocprim17ROCPRIM_400000_NS6detail17trampoline_kernelINS0_14default_configENS1_38merge_sort_block_merge_config_selectorIffEEZZNS1_27merge_sort_block_merge_implIS3_N6thrust23THRUST_200600_302600_NS6detail15normal_iteratorINS8_10device_ptrIfEEEESD_jNS1_19radix_merge_compareILb0ELb0EfNS0_19identity_decomposerEEEEE10hipError_tT0_T1_T2_jT3_P12ihipStream_tbPNSt15iterator_traitsISI_E10value_typeEPNSO_ISJ_E10value_typeEPSK_NS1_7vsmem_tEENKUlT_SI_SJ_SK_E_clIPfSD_S10_SD_EESH_SX_SI_SJ_SK_EUlSX_E_NS1_11comp_targetILNS1_3genE0ELNS1_11target_archE4294967295ELNS1_3gpuE0ELNS1_3repE0EEENS1_48merge_mergepath_partition_config_static_selectorELNS0_4arch9wavefront6targetE1EEEvSJ_
		.amdhsa_group_segment_fixed_size 0
		.amdhsa_private_segment_fixed_size 0
		.amdhsa_kernarg_size 40
		.amdhsa_user_sgpr_count 2
		.amdhsa_user_sgpr_dispatch_ptr 0
		.amdhsa_user_sgpr_queue_ptr 0
		.amdhsa_user_sgpr_kernarg_segment_ptr 1
		.amdhsa_user_sgpr_dispatch_id 0
		.amdhsa_user_sgpr_kernarg_preload_length 0
		.amdhsa_user_sgpr_kernarg_preload_offset 0
		.amdhsa_user_sgpr_private_segment_size 0
		.amdhsa_uses_dynamic_stack 0
		.amdhsa_enable_private_segment 0
		.amdhsa_system_sgpr_workgroup_id_x 1
		.amdhsa_system_sgpr_workgroup_id_y 0
		.amdhsa_system_sgpr_workgroup_id_z 0
		.amdhsa_system_sgpr_workgroup_info 0
		.amdhsa_system_vgpr_workitem_id 0
		.amdhsa_next_free_vgpr 18
		.amdhsa_next_free_sgpr 8
		.amdhsa_accum_offset 20
		.amdhsa_reserve_vcc 1
		.amdhsa_float_round_mode_32 0
		.amdhsa_float_round_mode_16_64 0
		.amdhsa_float_denorm_mode_32 3
		.amdhsa_float_denorm_mode_16_64 3
		.amdhsa_dx10_clamp 1
		.amdhsa_ieee_mode 1
		.amdhsa_fp16_overflow 0
		.amdhsa_tg_split 0
		.amdhsa_exception_fp_ieee_invalid_op 0
		.amdhsa_exception_fp_denorm_src 0
		.amdhsa_exception_fp_ieee_div_zero 0
		.amdhsa_exception_fp_ieee_overflow 0
		.amdhsa_exception_fp_ieee_underflow 0
		.amdhsa_exception_fp_ieee_inexact 0
		.amdhsa_exception_int_div_zero 0
	.end_amdhsa_kernel
	.section	.text._ZN7rocprim17ROCPRIM_400000_NS6detail17trampoline_kernelINS0_14default_configENS1_38merge_sort_block_merge_config_selectorIffEEZZNS1_27merge_sort_block_merge_implIS3_N6thrust23THRUST_200600_302600_NS6detail15normal_iteratorINS8_10device_ptrIfEEEESD_jNS1_19radix_merge_compareILb0ELb0EfNS0_19identity_decomposerEEEEE10hipError_tT0_T1_T2_jT3_P12ihipStream_tbPNSt15iterator_traitsISI_E10value_typeEPNSO_ISJ_E10value_typeEPSK_NS1_7vsmem_tEENKUlT_SI_SJ_SK_E_clIPfSD_S10_SD_EESH_SX_SI_SJ_SK_EUlSX_E_NS1_11comp_targetILNS1_3genE0ELNS1_11target_archE4294967295ELNS1_3gpuE0ELNS1_3repE0EEENS1_48merge_mergepath_partition_config_static_selectorELNS0_4arch9wavefront6targetE1EEEvSJ_,"axG",@progbits,_ZN7rocprim17ROCPRIM_400000_NS6detail17trampoline_kernelINS0_14default_configENS1_38merge_sort_block_merge_config_selectorIffEEZZNS1_27merge_sort_block_merge_implIS3_N6thrust23THRUST_200600_302600_NS6detail15normal_iteratorINS8_10device_ptrIfEEEESD_jNS1_19radix_merge_compareILb0ELb0EfNS0_19identity_decomposerEEEEE10hipError_tT0_T1_T2_jT3_P12ihipStream_tbPNSt15iterator_traitsISI_E10value_typeEPNSO_ISJ_E10value_typeEPSK_NS1_7vsmem_tEENKUlT_SI_SJ_SK_E_clIPfSD_S10_SD_EESH_SX_SI_SJ_SK_EUlSX_E_NS1_11comp_targetILNS1_3genE0ELNS1_11target_archE4294967295ELNS1_3gpuE0ELNS1_3repE0EEENS1_48merge_mergepath_partition_config_static_selectorELNS0_4arch9wavefront6targetE1EEEvSJ_,comdat
.Lfunc_end221:
	.size	_ZN7rocprim17ROCPRIM_400000_NS6detail17trampoline_kernelINS0_14default_configENS1_38merge_sort_block_merge_config_selectorIffEEZZNS1_27merge_sort_block_merge_implIS3_N6thrust23THRUST_200600_302600_NS6detail15normal_iteratorINS8_10device_ptrIfEEEESD_jNS1_19radix_merge_compareILb0ELb0EfNS0_19identity_decomposerEEEEE10hipError_tT0_T1_T2_jT3_P12ihipStream_tbPNSt15iterator_traitsISI_E10value_typeEPNSO_ISJ_E10value_typeEPSK_NS1_7vsmem_tEENKUlT_SI_SJ_SK_E_clIPfSD_S10_SD_EESH_SX_SI_SJ_SK_EUlSX_E_NS1_11comp_targetILNS1_3genE0ELNS1_11target_archE4294967295ELNS1_3gpuE0ELNS1_3repE0EEENS1_48merge_mergepath_partition_config_static_selectorELNS0_4arch9wavefront6targetE1EEEvSJ_, .Lfunc_end221-_ZN7rocprim17ROCPRIM_400000_NS6detail17trampoline_kernelINS0_14default_configENS1_38merge_sort_block_merge_config_selectorIffEEZZNS1_27merge_sort_block_merge_implIS3_N6thrust23THRUST_200600_302600_NS6detail15normal_iteratorINS8_10device_ptrIfEEEESD_jNS1_19radix_merge_compareILb0ELb0EfNS0_19identity_decomposerEEEEE10hipError_tT0_T1_T2_jT3_P12ihipStream_tbPNSt15iterator_traitsISI_E10value_typeEPNSO_ISJ_E10value_typeEPSK_NS1_7vsmem_tEENKUlT_SI_SJ_SK_E_clIPfSD_S10_SD_EESH_SX_SI_SJ_SK_EUlSX_E_NS1_11comp_targetILNS1_3genE0ELNS1_11target_archE4294967295ELNS1_3gpuE0ELNS1_3repE0EEENS1_48merge_mergepath_partition_config_static_selectorELNS0_4arch9wavefront6targetE1EEEvSJ_
                                        ; -- End function
	.set _ZN7rocprim17ROCPRIM_400000_NS6detail17trampoline_kernelINS0_14default_configENS1_38merge_sort_block_merge_config_selectorIffEEZZNS1_27merge_sort_block_merge_implIS3_N6thrust23THRUST_200600_302600_NS6detail15normal_iteratorINS8_10device_ptrIfEEEESD_jNS1_19radix_merge_compareILb0ELb0EfNS0_19identity_decomposerEEEEE10hipError_tT0_T1_T2_jT3_P12ihipStream_tbPNSt15iterator_traitsISI_E10value_typeEPNSO_ISJ_E10value_typeEPSK_NS1_7vsmem_tEENKUlT_SI_SJ_SK_E_clIPfSD_S10_SD_EESH_SX_SI_SJ_SK_EUlSX_E_NS1_11comp_targetILNS1_3genE0ELNS1_11target_archE4294967295ELNS1_3gpuE0ELNS1_3repE0EEENS1_48merge_mergepath_partition_config_static_selectorELNS0_4arch9wavefront6targetE1EEEvSJ_.num_vgpr, 18
	.set _ZN7rocprim17ROCPRIM_400000_NS6detail17trampoline_kernelINS0_14default_configENS1_38merge_sort_block_merge_config_selectorIffEEZZNS1_27merge_sort_block_merge_implIS3_N6thrust23THRUST_200600_302600_NS6detail15normal_iteratorINS8_10device_ptrIfEEEESD_jNS1_19radix_merge_compareILb0ELb0EfNS0_19identity_decomposerEEEEE10hipError_tT0_T1_T2_jT3_P12ihipStream_tbPNSt15iterator_traitsISI_E10value_typeEPNSO_ISJ_E10value_typeEPSK_NS1_7vsmem_tEENKUlT_SI_SJ_SK_E_clIPfSD_S10_SD_EESH_SX_SI_SJ_SK_EUlSX_E_NS1_11comp_targetILNS1_3genE0ELNS1_11target_archE4294967295ELNS1_3gpuE0ELNS1_3repE0EEENS1_48merge_mergepath_partition_config_static_selectorELNS0_4arch9wavefront6targetE1EEEvSJ_.num_agpr, 0
	.set _ZN7rocprim17ROCPRIM_400000_NS6detail17trampoline_kernelINS0_14default_configENS1_38merge_sort_block_merge_config_selectorIffEEZZNS1_27merge_sort_block_merge_implIS3_N6thrust23THRUST_200600_302600_NS6detail15normal_iteratorINS8_10device_ptrIfEEEESD_jNS1_19radix_merge_compareILb0ELb0EfNS0_19identity_decomposerEEEEE10hipError_tT0_T1_T2_jT3_P12ihipStream_tbPNSt15iterator_traitsISI_E10value_typeEPNSO_ISJ_E10value_typeEPSK_NS1_7vsmem_tEENKUlT_SI_SJ_SK_E_clIPfSD_S10_SD_EESH_SX_SI_SJ_SK_EUlSX_E_NS1_11comp_targetILNS1_3genE0ELNS1_11target_archE4294967295ELNS1_3gpuE0ELNS1_3repE0EEENS1_48merge_mergepath_partition_config_static_selectorELNS0_4arch9wavefront6targetE1EEEvSJ_.numbered_sgpr, 8
	.set _ZN7rocprim17ROCPRIM_400000_NS6detail17trampoline_kernelINS0_14default_configENS1_38merge_sort_block_merge_config_selectorIffEEZZNS1_27merge_sort_block_merge_implIS3_N6thrust23THRUST_200600_302600_NS6detail15normal_iteratorINS8_10device_ptrIfEEEESD_jNS1_19radix_merge_compareILb0ELb0EfNS0_19identity_decomposerEEEEE10hipError_tT0_T1_T2_jT3_P12ihipStream_tbPNSt15iterator_traitsISI_E10value_typeEPNSO_ISJ_E10value_typeEPSK_NS1_7vsmem_tEENKUlT_SI_SJ_SK_E_clIPfSD_S10_SD_EESH_SX_SI_SJ_SK_EUlSX_E_NS1_11comp_targetILNS1_3genE0ELNS1_11target_archE4294967295ELNS1_3gpuE0ELNS1_3repE0EEENS1_48merge_mergepath_partition_config_static_selectorELNS0_4arch9wavefront6targetE1EEEvSJ_.num_named_barrier, 0
	.set _ZN7rocprim17ROCPRIM_400000_NS6detail17trampoline_kernelINS0_14default_configENS1_38merge_sort_block_merge_config_selectorIffEEZZNS1_27merge_sort_block_merge_implIS3_N6thrust23THRUST_200600_302600_NS6detail15normal_iteratorINS8_10device_ptrIfEEEESD_jNS1_19radix_merge_compareILb0ELb0EfNS0_19identity_decomposerEEEEE10hipError_tT0_T1_T2_jT3_P12ihipStream_tbPNSt15iterator_traitsISI_E10value_typeEPNSO_ISJ_E10value_typeEPSK_NS1_7vsmem_tEENKUlT_SI_SJ_SK_E_clIPfSD_S10_SD_EESH_SX_SI_SJ_SK_EUlSX_E_NS1_11comp_targetILNS1_3genE0ELNS1_11target_archE4294967295ELNS1_3gpuE0ELNS1_3repE0EEENS1_48merge_mergepath_partition_config_static_selectorELNS0_4arch9wavefront6targetE1EEEvSJ_.private_seg_size, 0
	.set _ZN7rocprim17ROCPRIM_400000_NS6detail17trampoline_kernelINS0_14default_configENS1_38merge_sort_block_merge_config_selectorIffEEZZNS1_27merge_sort_block_merge_implIS3_N6thrust23THRUST_200600_302600_NS6detail15normal_iteratorINS8_10device_ptrIfEEEESD_jNS1_19radix_merge_compareILb0ELb0EfNS0_19identity_decomposerEEEEE10hipError_tT0_T1_T2_jT3_P12ihipStream_tbPNSt15iterator_traitsISI_E10value_typeEPNSO_ISJ_E10value_typeEPSK_NS1_7vsmem_tEENKUlT_SI_SJ_SK_E_clIPfSD_S10_SD_EESH_SX_SI_SJ_SK_EUlSX_E_NS1_11comp_targetILNS1_3genE0ELNS1_11target_archE4294967295ELNS1_3gpuE0ELNS1_3repE0EEENS1_48merge_mergepath_partition_config_static_selectorELNS0_4arch9wavefront6targetE1EEEvSJ_.uses_vcc, 1
	.set _ZN7rocprim17ROCPRIM_400000_NS6detail17trampoline_kernelINS0_14default_configENS1_38merge_sort_block_merge_config_selectorIffEEZZNS1_27merge_sort_block_merge_implIS3_N6thrust23THRUST_200600_302600_NS6detail15normal_iteratorINS8_10device_ptrIfEEEESD_jNS1_19radix_merge_compareILb0ELb0EfNS0_19identity_decomposerEEEEE10hipError_tT0_T1_T2_jT3_P12ihipStream_tbPNSt15iterator_traitsISI_E10value_typeEPNSO_ISJ_E10value_typeEPSK_NS1_7vsmem_tEENKUlT_SI_SJ_SK_E_clIPfSD_S10_SD_EESH_SX_SI_SJ_SK_EUlSX_E_NS1_11comp_targetILNS1_3genE0ELNS1_11target_archE4294967295ELNS1_3gpuE0ELNS1_3repE0EEENS1_48merge_mergepath_partition_config_static_selectorELNS0_4arch9wavefront6targetE1EEEvSJ_.uses_flat_scratch, 0
	.set _ZN7rocprim17ROCPRIM_400000_NS6detail17trampoline_kernelINS0_14default_configENS1_38merge_sort_block_merge_config_selectorIffEEZZNS1_27merge_sort_block_merge_implIS3_N6thrust23THRUST_200600_302600_NS6detail15normal_iteratorINS8_10device_ptrIfEEEESD_jNS1_19radix_merge_compareILb0ELb0EfNS0_19identity_decomposerEEEEE10hipError_tT0_T1_T2_jT3_P12ihipStream_tbPNSt15iterator_traitsISI_E10value_typeEPNSO_ISJ_E10value_typeEPSK_NS1_7vsmem_tEENKUlT_SI_SJ_SK_E_clIPfSD_S10_SD_EESH_SX_SI_SJ_SK_EUlSX_E_NS1_11comp_targetILNS1_3genE0ELNS1_11target_archE4294967295ELNS1_3gpuE0ELNS1_3repE0EEENS1_48merge_mergepath_partition_config_static_selectorELNS0_4arch9wavefront6targetE1EEEvSJ_.has_dyn_sized_stack, 0
	.set _ZN7rocprim17ROCPRIM_400000_NS6detail17trampoline_kernelINS0_14default_configENS1_38merge_sort_block_merge_config_selectorIffEEZZNS1_27merge_sort_block_merge_implIS3_N6thrust23THRUST_200600_302600_NS6detail15normal_iteratorINS8_10device_ptrIfEEEESD_jNS1_19radix_merge_compareILb0ELb0EfNS0_19identity_decomposerEEEEE10hipError_tT0_T1_T2_jT3_P12ihipStream_tbPNSt15iterator_traitsISI_E10value_typeEPNSO_ISJ_E10value_typeEPSK_NS1_7vsmem_tEENKUlT_SI_SJ_SK_E_clIPfSD_S10_SD_EESH_SX_SI_SJ_SK_EUlSX_E_NS1_11comp_targetILNS1_3genE0ELNS1_11target_archE4294967295ELNS1_3gpuE0ELNS1_3repE0EEENS1_48merge_mergepath_partition_config_static_selectorELNS0_4arch9wavefront6targetE1EEEvSJ_.has_recursion, 0
	.set _ZN7rocprim17ROCPRIM_400000_NS6detail17trampoline_kernelINS0_14default_configENS1_38merge_sort_block_merge_config_selectorIffEEZZNS1_27merge_sort_block_merge_implIS3_N6thrust23THRUST_200600_302600_NS6detail15normal_iteratorINS8_10device_ptrIfEEEESD_jNS1_19radix_merge_compareILb0ELb0EfNS0_19identity_decomposerEEEEE10hipError_tT0_T1_T2_jT3_P12ihipStream_tbPNSt15iterator_traitsISI_E10value_typeEPNSO_ISJ_E10value_typeEPSK_NS1_7vsmem_tEENKUlT_SI_SJ_SK_E_clIPfSD_S10_SD_EESH_SX_SI_SJ_SK_EUlSX_E_NS1_11comp_targetILNS1_3genE0ELNS1_11target_archE4294967295ELNS1_3gpuE0ELNS1_3repE0EEENS1_48merge_mergepath_partition_config_static_selectorELNS0_4arch9wavefront6targetE1EEEvSJ_.has_indirect_call, 0
	.section	.AMDGPU.csdata,"",@progbits
; Kernel info:
; codeLenInByte = 360
; TotalNumSgprs: 14
; NumVgprs: 18
; NumAgprs: 0
; TotalNumVgprs: 18
; ScratchSize: 0
; MemoryBound: 0
; FloatMode: 240
; IeeeMode: 1
; LDSByteSize: 0 bytes/workgroup (compile time only)
; SGPRBlocks: 1
; VGPRBlocks: 2
; NumSGPRsForWavesPerEU: 14
; NumVGPRsForWavesPerEU: 18
; AccumOffset: 20
; Occupancy: 8
; WaveLimiterHint : 0
; COMPUTE_PGM_RSRC2:SCRATCH_EN: 0
; COMPUTE_PGM_RSRC2:USER_SGPR: 2
; COMPUTE_PGM_RSRC2:TRAP_HANDLER: 0
; COMPUTE_PGM_RSRC2:TGID_X_EN: 1
; COMPUTE_PGM_RSRC2:TGID_Y_EN: 0
; COMPUTE_PGM_RSRC2:TGID_Z_EN: 0
; COMPUTE_PGM_RSRC2:TIDIG_COMP_CNT: 0
; COMPUTE_PGM_RSRC3_GFX90A:ACCUM_OFFSET: 4
; COMPUTE_PGM_RSRC3_GFX90A:TG_SPLIT: 0
	.section	.text._ZN7rocprim17ROCPRIM_400000_NS6detail17trampoline_kernelINS0_14default_configENS1_38merge_sort_block_merge_config_selectorIffEEZZNS1_27merge_sort_block_merge_implIS3_N6thrust23THRUST_200600_302600_NS6detail15normal_iteratorINS8_10device_ptrIfEEEESD_jNS1_19radix_merge_compareILb0ELb0EfNS0_19identity_decomposerEEEEE10hipError_tT0_T1_T2_jT3_P12ihipStream_tbPNSt15iterator_traitsISI_E10value_typeEPNSO_ISJ_E10value_typeEPSK_NS1_7vsmem_tEENKUlT_SI_SJ_SK_E_clIPfSD_S10_SD_EESH_SX_SI_SJ_SK_EUlSX_E_NS1_11comp_targetILNS1_3genE10ELNS1_11target_archE1201ELNS1_3gpuE5ELNS1_3repE0EEENS1_48merge_mergepath_partition_config_static_selectorELNS0_4arch9wavefront6targetE1EEEvSJ_,"axG",@progbits,_ZN7rocprim17ROCPRIM_400000_NS6detail17trampoline_kernelINS0_14default_configENS1_38merge_sort_block_merge_config_selectorIffEEZZNS1_27merge_sort_block_merge_implIS3_N6thrust23THRUST_200600_302600_NS6detail15normal_iteratorINS8_10device_ptrIfEEEESD_jNS1_19radix_merge_compareILb0ELb0EfNS0_19identity_decomposerEEEEE10hipError_tT0_T1_T2_jT3_P12ihipStream_tbPNSt15iterator_traitsISI_E10value_typeEPNSO_ISJ_E10value_typeEPSK_NS1_7vsmem_tEENKUlT_SI_SJ_SK_E_clIPfSD_S10_SD_EESH_SX_SI_SJ_SK_EUlSX_E_NS1_11comp_targetILNS1_3genE10ELNS1_11target_archE1201ELNS1_3gpuE5ELNS1_3repE0EEENS1_48merge_mergepath_partition_config_static_selectorELNS0_4arch9wavefront6targetE1EEEvSJ_,comdat
	.protected	_ZN7rocprim17ROCPRIM_400000_NS6detail17trampoline_kernelINS0_14default_configENS1_38merge_sort_block_merge_config_selectorIffEEZZNS1_27merge_sort_block_merge_implIS3_N6thrust23THRUST_200600_302600_NS6detail15normal_iteratorINS8_10device_ptrIfEEEESD_jNS1_19radix_merge_compareILb0ELb0EfNS0_19identity_decomposerEEEEE10hipError_tT0_T1_T2_jT3_P12ihipStream_tbPNSt15iterator_traitsISI_E10value_typeEPNSO_ISJ_E10value_typeEPSK_NS1_7vsmem_tEENKUlT_SI_SJ_SK_E_clIPfSD_S10_SD_EESH_SX_SI_SJ_SK_EUlSX_E_NS1_11comp_targetILNS1_3genE10ELNS1_11target_archE1201ELNS1_3gpuE5ELNS1_3repE0EEENS1_48merge_mergepath_partition_config_static_selectorELNS0_4arch9wavefront6targetE1EEEvSJ_ ; -- Begin function _ZN7rocprim17ROCPRIM_400000_NS6detail17trampoline_kernelINS0_14default_configENS1_38merge_sort_block_merge_config_selectorIffEEZZNS1_27merge_sort_block_merge_implIS3_N6thrust23THRUST_200600_302600_NS6detail15normal_iteratorINS8_10device_ptrIfEEEESD_jNS1_19radix_merge_compareILb0ELb0EfNS0_19identity_decomposerEEEEE10hipError_tT0_T1_T2_jT3_P12ihipStream_tbPNSt15iterator_traitsISI_E10value_typeEPNSO_ISJ_E10value_typeEPSK_NS1_7vsmem_tEENKUlT_SI_SJ_SK_E_clIPfSD_S10_SD_EESH_SX_SI_SJ_SK_EUlSX_E_NS1_11comp_targetILNS1_3genE10ELNS1_11target_archE1201ELNS1_3gpuE5ELNS1_3repE0EEENS1_48merge_mergepath_partition_config_static_selectorELNS0_4arch9wavefront6targetE1EEEvSJ_
	.globl	_ZN7rocprim17ROCPRIM_400000_NS6detail17trampoline_kernelINS0_14default_configENS1_38merge_sort_block_merge_config_selectorIffEEZZNS1_27merge_sort_block_merge_implIS3_N6thrust23THRUST_200600_302600_NS6detail15normal_iteratorINS8_10device_ptrIfEEEESD_jNS1_19radix_merge_compareILb0ELb0EfNS0_19identity_decomposerEEEEE10hipError_tT0_T1_T2_jT3_P12ihipStream_tbPNSt15iterator_traitsISI_E10value_typeEPNSO_ISJ_E10value_typeEPSK_NS1_7vsmem_tEENKUlT_SI_SJ_SK_E_clIPfSD_S10_SD_EESH_SX_SI_SJ_SK_EUlSX_E_NS1_11comp_targetILNS1_3genE10ELNS1_11target_archE1201ELNS1_3gpuE5ELNS1_3repE0EEENS1_48merge_mergepath_partition_config_static_selectorELNS0_4arch9wavefront6targetE1EEEvSJ_
	.p2align	8
	.type	_ZN7rocprim17ROCPRIM_400000_NS6detail17trampoline_kernelINS0_14default_configENS1_38merge_sort_block_merge_config_selectorIffEEZZNS1_27merge_sort_block_merge_implIS3_N6thrust23THRUST_200600_302600_NS6detail15normal_iteratorINS8_10device_ptrIfEEEESD_jNS1_19radix_merge_compareILb0ELb0EfNS0_19identity_decomposerEEEEE10hipError_tT0_T1_T2_jT3_P12ihipStream_tbPNSt15iterator_traitsISI_E10value_typeEPNSO_ISJ_E10value_typeEPSK_NS1_7vsmem_tEENKUlT_SI_SJ_SK_E_clIPfSD_S10_SD_EESH_SX_SI_SJ_SK_EUlSX_E_NS1_11comp_targetILNS1_3genE10ELNS1_11target_archE1201ELNS1_3gpuE5ELNS1_3repE0EEENS1_48merge_mergepath_partition_config_static_selectorELNS0_4arch9wavefront6targetE1EEEvSJ_,@function
_ZN7rocprim17ROCPRIM_400000_NS6detail17trampoline_kernelINS0_14default_configENS1_38merge_sort_block_merge_config_selectorIffEEZZNS1_27merge_sort_block_merge_implIS3_N6thrust23THRUST_200600_302600_NS6detail15normal_iteratorINS8_10device_ptrIfEEEESD_jNS1_19radix_merge_compareILb0ELb0EfNS0_19identity_decomposerEEEEE10hipError_tT0_T1_T2_jT3_P12ihipStream_tbPNSt15iterator_traitsISI_E10value_typeEPNSO_ISJ_E10value_typeEPSK_NS1_7vsmem_tEENKUlT_SI_SJ_SK_E_clIPfSD_S10_SD_EESH_SX_SI_SJ_SK_EUlSX_E_NS1_11comp_targetILNS1_3genE10ELNS1_11target_archE1201ELNS1_3gpuE5ELNS1_3repE0EEENS1_48merge_mergepath_partition_config_static_selectorELNS0_4arch9wavefront6targetE1EEEvSJ_: ; @_ZN7rocprim17ROCPRIM_400000_NS6detail17trampoline_kernelINS0_14default_configENS1_38merge_sort_block_merge_config_selectorIffEEZZNS1_27merge_sort_block_merge_implIS3_N6thrust23THRUST_200600_302600_NS6detail15normal_iteratorINS8_10device_ptrIfEEEESD_jNS1_19radix_merge_compareILb0ELb0EfNS0_19identity_decomposerEEEEE10hipError_tT0_T1_T2_jT3_P12ihipStream_tbPNSt15iterator_traitsISI_E10value_typeEPNSO_ISJ_E10value_typeEPSK_NS1_7vsmem_tEENKUlT_SI_SJ_SK_E_clIPfSD_S10_SD_EESH_SX_SI_SJ_SK_EUlSX_E_NS1_11comp_targetILNS1_3genE10ELNS1_11target_archE1201ELNS1_3gpuE5ELNS1_3repE0EEENS1_48merge_mergepath_partition_config_static_selectorELNS0_4arch9wavefront6targetE1EEEvSJ_
; %bb.0:
	.section	.rodata,"a",@progbits
	.p2align	6, 0x0
	.amdhsa_kernel _ZN7rocprim17ROCPRIM_400000_NS6detail17trampoline_kernelINS0_14default_configENS1_38merge_sort_block_merge_config_selectorIffEEZZNS1_27merge_sort_block_merge_implIS3_N6thrust23THRUST_200600_302600_NS6detail15normal_iteratorINS8_10device_ptrIfEEEESD_jNS1_19radix_merge_compareILb0ELb0EfNS0_19identity_decomposerEEEEE10hipError_tT0_T1_T2_jT3_P12ihipStream_tbPNSt15iterator_traitsISI_E10value_typeEPNSO_ISJ_E10value_typeEPSK_NS1_7vsmem_tEENKUlT_SI_SJ_SK_E_clIPfSD_S10_SD_EESH_SX_SI_SJ_SK_EUlSX_E_NS1_11comp_targetILNS1_3genE10ELNS1_11target_archE1201ELNS1_3gpuE5ELNS1_3repE0EEENS1_48merge_mergepath_partition_config_static_selectorELNS0_4arch9wavefront6targetE1EEEvSJ_
		.amdhsa_group_segment_fixed_size 0
		.amdhsa_private_segment_fixed_size 0
		.amdhsa_kernarg_size 40
		.amdhsa_user_sgpr_count 2
		.amdhsa_user_sgpr_dispatch_ptr 0
		.amdhsa_user_sgpr_queue_ptr 0
		.amdhsa_user_sgpr_kernarg_segment_ptr 1
		.amdhsa_user_sgpr_dispatch_id 0
		.amdhsa_user_sgpr_kernarg_preload_length 0
		.amdhsa_user_sgpr_kernarg_preload_offset 0
		.amdhsa_user_sgpr_private_segment_size 0
		.amdhsa_uses_dynamic_stack 0
		.amdhsa_enable_private_segment 0
		.amdhsa_system_sgpr_workgroup_id_x 1
		.amdhsa_system_sgpr_workgroup_id_y 0
		.amdhsa_system_sgpr_workgroup_id_z 0
		.amdhsa_system_sgpr_workgroup_info 0
		.amdhsa_system_vgpr_workitem_id 0
		.amdhsa_next_free_vgpr 1
		.amdhsa_next_free_sgpr 0
		.amdhsa_accum_offset 4
		.amdhsa_reserve_vcc 0
		.amdhsa_float_round_mode_32 0
		.amdhsa_float_round_mode_16_64 0
		.amdhsa_float_denorm_mode_32 3
		.amdhsa_float_denorm_mode_16_64 3
		.amdhsa_dx10_clamp 1
		.amdhsa_ieee_mode 1
		.amdhsa_fp16_overflow 0
		.amdhsa_tg_split 0
		.amdhsa_exception_fp_ieee_invalid_op 0
		.amdhsa_exception_fp_denorm_src 0
		.amdhsa_exception_fp_ieee_div_zero 0
		.amdhsa_exception_fp_ieee_overflow 0
		.amdhsa_exception_fp_ieee_underflow 0
		.amdhsa_exception_fp_ieee_inexact 0
		.amdhsa_exception_int_div_zero 0
	.end_amdhsa_kernel
	.section	.text._ZN7rocprim17ROCPRIM_400000_NS6detail17trampoline_kernelINS0_14default_configENS1_38merge_sort_block_merge_config_selectorIffEEZZNS1_27merge_sort_block_merge_implIS3_N6thrust23THRUST_200600_302600_NS6detail15normal_iteratorINS8_10device_ptrIfEEEESD_jNS1_19radix_merge_compareILb0ELb0EfNS0_19identity_decomposerEEEEE10hipError_tT0_T1_T2_jT3_P12ihipStream_tbPNSt15iterator_traitsISI_E10value_typeEPNSO_ISJ_E10value_typeEPSK_NS1_7vsmem_tEENKUlT_SI_SJ_SK_E_clIPfSD_S10_SD_EESH_SX_SI_SJ_SK_EUlSX_E_NS1_11comp_targetILNS1_3genE10ELNS1_11target_archE1201ELNS1_3gpuE5ELNS1_3repE0EEENS1_48merge_mergepath_partition_config_static_selectorELNS0_4arch9wavefront6targetE1EEEvSJ_,"axG",@progbits,_ZN7rocprim17ROCPRIM_400000_NS6detail17trampoline_kernelINS0_14default_configENS1_38merge_sort_block_merge_config_selectorIffEEZZNS1_27merge_sort_block_merge_implIS3_N6thrust23THRUST_200600_302600_NS6detail15normal_iteratorINS8_10device_ptrIfEEEESD_jNS1_19radix_merge_compareILb0ELb0EfNS0_19identity_decomposerEEEEE10hipError_tT0_T1_T2_jT3_P12ihipStream_tbPNSt15iterator_traitsISI_E10value_typeEPNSO_ISJ_E10value_typeEPSK_NS1_7vsmem_tEENKUlT_SI_SJ_SK_E_clIPfSD_S10_SD_EESH_SX_SI_SJ_SK_EUlSX_E_NS1_11comp_targetILNS1_3genE10ELNS1_11target_archE1201ELNS1_3gpuE5ELNS1_3repE0EEENS1_48merge_mergepath_partition_config_static_selectorELNS0_4arch9wavefront6targetE1EEEvSJ_,comdat
.Lfunc_end222:
	.size	_ZN7rocprim17ROCPRIM_400000_NS6detail17trampoline_kernelINS0_14default_configENS1_38merge_sort_block_merge_config_selectorIffEEZZNS1_27merge_sort_block_merge_implIS3_N6thrust23THRUST_200600_302600_NS6detail15normal_iteratorINS8_10device_ptrIfEEEESD_jNS1_19radix_merge_compareILb0ELb0EfNS0_19identity_decomposerEEEEE10hipError_tT0_T1_T2_jT3_P12ihipStream_tbPNSt15iterator_traitsISI_E10value_typeEPNSO_ISJ_E10value_typeEPSK_NS1_7vsmem_tEENKUlT_SI_SJ_SK_E_clIPfSD_S10_SD_EESH_SX_SI_SJ_SK_EUlSX_E_NS1_11comp_targetILNS1_3genE10ELNS1_11target_archE1201ELNS1_3gpuE5ELNS1_3repE0EEENS1_48merge_mergepath_partition_config_static_selectorELNS0_4arch9wavefront6targetE1EEEvSJ_, .Lfunc_end222-_ZN7rocprim17ROCPRIM_400000_NS6detail17trampoline_kernelINS0_14default_configENS1_38merge_sort_block_merge_config_selectorIffEEZZNS1_27merge_sort_block_merge_implIS3_N6thrust23THRUST_200600_302600_NS6detail15normal_iteratorINS8_10device_ptrIfEEEESD_jNS1_19radix_merge_compareILb0ELb0EfNS0_19identity_decomposerEEEEE10hipError_tT0_T1_T2_jT3_P12ihipStream_tbPNSt15iterator_traitsISI_E10value_typeEPNSO_ISJ_E10value_typeEPSK_NS1_7vsmem_tEENKUlT_SI_SJ_SK_E_clIPfSD_S10_SD_EESH_SX_SI_SJ_SK_EUlSX_E_NS1_11comp_targetILNS1_3genE10ELNS1_11target_archE1201ELNS1_3gpuE5ELNS1_3repE0EEENS1_48merge_mergepath_partition_config_static_selectorELNS0_4arch9wavefront6targetE1EEEvSJ_
                                        ; -- End function
	.set _ZN7rocprim17ROCPRIM_400000_NS6detail17trampoline_kernelINS0_14default_configENS1_38merge_sort_block_merge_config_selectorIffEEZZNS1_27merge_sort_block_merge_implIS3_N6thrust23THRUST_200600_302600_NS6detail15normal_iteratorINS8_10device_ptrIfEEEESD_jNS1_19radix_merge_compareILb0ELb0EfNS0_19identity_decomposerEEEEE10hipError_tT0_T1_T2_jT3_P12ihipStream_tbPNSt15iterator_traitsISI_E10value_typeEPNSO_ISJ_E10value_typeEPSK_NS1_7vsmem_tEENKUlT_SI_SJ_SK_E_clIPfSD_S10_SD_EESH_SX_SI_SJ_SK_EUlSX_E_NS1_11comp_targetILNS1_3genE10ELNS1_11target_archE1201ELNS1_3gpuE5ELNS1_3repE0EEENS1_48merge_mergepath_partition_config_static_selectorELNS0_4arch9wavefront6targetE1EEEvSJ_.num_vgpr, 0
	.set _ZN7rocprim17ROCPRIM_400000_NS6detail17trampoline_kernelINS0_14default_configENS1_38merge_sort_block_merge_config_selectorIffEEZZNS1_27merge_sort_block_merge_implIS3_N6thrust23THRUST_200600_302600_NS6detail15normal_iteratorINS8_10device_ptrIfEEEESD_jNS1_19radix_merge_compareILb0ELb0EfNS0_19identity_decomposerEEEEE10hipError_tT0_T1_T2_jT3_P12ihipStream_tbPNSt15iterator_traitsISI_E10value_typeEPNSO_ISJ_E10value_typeEPSK_NS1_7vsmem_tEENKUlT_SI_SJ_SK_E_clIPfSD_S10_SD_EESH_SX_SI_SJ_SK_EUlSX_E_NS1_11comp_targetILNS1_3genE10ELNS1_11target_archE1201ELNS1_3gpuE5ELNS1_3repE0EEENS1_48merge_mergepath_partition_config_static_selectorELNS0_4arch9wavefront6targetE1EEEvSJ_.num_agpr, 0
	.set _ZN7rocprim17ROCPRIM_400000_NS6detail17trampoline_kernelINS0_14default_configENS1_38merge_sort_block_merge_config_selectorIffEEZZNS1_27merge_sort_block_merge_implIS3_N6thrust23THRUST_200600_302600_NS6detail15normal_iteratorINS8_10device_ptrIfEEEESD_jNS1_19radix_merge_compareILb0ELb0EfNS0_19identity_decomposerEEEEE10hipError_tT0_T1_T2_jT3_P12ihipStream_tbPNSt15iterator_traitsISI_E10value_typeEPNSO_ISJ_E10value_typeEPSK_NS1_7vsmem_tEENKUlT_SI_SJ_SK_E_clIPfSD_S10_SD_EESH_SX_SI_SJ_SK_EUlSX_E_NS1_11comp_targetILNS1_3genE10ELNS1_11target_archE1201ELNS1_3gpuE5ELNS1_3repE0EEENS1_48merge_mergepath_partition_config_static_selectorELNS0_4arch9wavefront6targetE1EEEvSJ_.numbered_sgpr, 0
	.set _ZN7rocprim17ROCPRIM_400000_NS6detail17trampoline_kernelINS0_14default_configENS1_38merge_sort_block_merge_config_selectorIffEEZZNS1_27merge_sort_block_merge_implIS3_N6thrust23THRUST_200600_302600_NS6detail15normal_iteratorINS8_10device_ptrIfEEEESD_jNS1_19radix_merge_compareILb0ELb0EfNS0_19identity_decomposerEEEEE10hipError_tT0_T1_T2_jT3_P12ihipStream_tbPNSt15iterator_traitsISI_E10value_typeEPNSO_ISJ_E10value_typeEPSK_NS1_7vsmem_tEENKUlT_SI_SJ_SK_E_clIPfSD_S10_SD_EESH_SX_SI_SJ_SK_EUlSX_E_NS1_11comp_targetILNS1_3genE10ELNS1_11target_archE1201ELNS1_3gpuE5ELNS1_3repE0EEENS1_48merge_mergepath_partition_config_static_selectorELNS0_4arch9wavefront6targetE1EEEvSJ_.num_named_barrier, 0
	.set _ZN7rocprim17ROCPRIM_400000_NS6detail17trampoline_kernelINS0_14default_configENS1_38merge_sort_block_merge_config_selectorIffEEZZNS1_27merge_sort_block_merge_implIS3_N6thrust23THRUST_200600_302600_NS6detail15normal_iteratorINS8_10device_ptrIfEEEESD_jNS1_19radix_merge_compareILb0ELb0EfNS0_19identity_decomposerEEEEE10hipError_tT0_T1_T2_jT3_P12ihipStream_tbPNSt15iterator_traitsISI_E10value_typeEPNSO_ISJ_E10value_typeEPSK_NS1_7vsmem_tEENKUlT_SI_SJ_SK_E_clIPfSD_S10_SD_EESH_SX_SI_SJ_SK_EUlSX_E_NS1_11comp_targetILNS1_3genE10ELNS1_11target_archE1201ELNS1_3gpuE5ELNS1_3repE0EEENS1_48merge_mergepath_partition_config_static_selectorELNS0_4arch9wavefront6targetE1EEEvSJ_.private_seg_size, 0
	.set _ZN7rocprim17ROCPRIM_400000_NS6detail17trampoline_kernelINS0_14default_configENS1_38merge_sort_block_merge_config_selectorIffEEZZNS1_27merge_sort_block_merge_implIS3_N6thrust23THRUST_200600_302600_NS6detail15normal_iteratorINS8_10device_ptrIfEEEESD_jNS1_19radix_merge_compareILb0ELb0EfNS0_19identity_decomposerEEEEE10hipError_tT0_T1_T2_jT3_P12ihipStream_tbPNSt15iterator_traitsISI_E10value_typeEPNSO_ISJ_E10value_typeEPSK_NS1_7vsmem_tEENKUlT_SI_SJ_SK_E_clIPfSD_S10_SD_EESH_SX_SI_SJ_SK_EUlSX_E_NS1_11comp_targetILNS1_3genE10ELNS1_11target_archE1201ELNS1_3gpuE5ELNS1_3repE0EEENS1_48merge_mergepath_partition_config_static_selectorELNS0_4arch9wavefront6targetE1EEEvSJ_.uses_vcc, 0
	.set _ZN7rocprim17ROCPRIM_400000_NS6detail17trampoline_kernelINS0_14default_configENS1_38merge_sort_block_merge_config_selectorIffEEZZNS1_27merge_sort_block_merge_implIS3_N6thrust23THRUST_200600_302600_NS6detail15normal_iteratorINS8_10device_ptrIfEEEESD_jNS1_19radix_merge_compareILb0ELb0EfNS0_19identity_decomposerEEEEE10hipError_tT0_T1_T2_jT3_P12ihipStream_tbPNSt15iterator_traitsISI_E10value_typeEPNSO_ISJ_E10value_typeEPSK_NS1_7vsmem_tEENKUlT_SI_SJ_SK_E_clIPfSD_S10_SD_EESH_SX_SI_SJ_SK_EUlSX_E_NS1_11comp_targetILNS1_3genE10ELNS1_11target_archE1201ELNS1_3gpuE5ELNS1_3repE0EEENS1_48merge_mergepath_partition_config_static_selectorELNS0_4arch9wavefront6targetE1EEEvSJ_.uses_flat_scratch, 0
	.set _ZN7rocprim17ROCPRIM_400000_NS6detail17trampoline_kernelINS0_14default_configENS1_38merge_sort_block_merge_config_selectorIffEEZZNS1_27merge_sort_block_merge_implIS3_N6thrust23THRUST_200600_302600_NS6detail15normal_iteratorINS8_10device_ptrIfEEEESD_jNS1_19radix_merge_compareILb0ELb0EfNS0_19identity_decomposerEEEEE10hipError_tT0_T1_T2_jT3_P12ihipStream_tbPNSt15iterator_traitsISI_E10value_typeEPNSO_ISJ_E10value_typeEPSK_NS1_7vsmem_tEENKUlT_SI_SJ_SK_E_clIPfSD_S10_SD_EESH_SX_SI_SJ_SK_EUlSX_E_NS1_11comp_targetILNS1_3genE10ELNS1_11target_archE1201ELNS1_3gpuE5ELNS1_3repE0EEENS1_48merge_mergepath_partition_config_static_selectorELNS0_4arch9wavefront6targetE1EEEvSJ_.has_dyn_sized_stack, 0
	.set _ZN7rocprim17ROCPRIM_400000_NS6detail17trampoline_kernelINS0_14default_configENS1_38merge_sort_block_merge_config_selectorIffEEZZNS1_27merge_sort_block_merge_implIS3_N6thrust23THRUST_200600_302600_NS6detail15normal_iteratorINS8_10device_ptrIfEEEESD_jNS1_19radix_merge_compareILb0ELb0EfNS0_19identity_decomposerEEEEE10hipError_tT0_T1_T2_jT3_P12ihipStream_tbPNSt15iterator_traitsISI_E10value_typeEPNSO_ISJ_E10value_typeEPSK_NS1_7vsmem_tEENKUlT_SI_SJ_SK_E_clIPfSD_S10_SD_EESH_SX_SI_SJ_SK_EUlSX_E_NS1_11comp_targetILNS1_3genE10ELNS1_11target_archE1201ELNS1_3gpuE5ELNS1_3repE0EEENS1_48merge_mergepath_partition_config_static_selectorELNS0_4arch9wavefront6targetE1EEEvSJ_.has_recursion, 0
	.set _ZN7rocprim17ROCPRIM_400000_NS6detail17trampoline_kernelINS0_14default_configENS1_38merge_sort_block_merge_config_selectorIffEEZZNS1_27merge_sort_block_merge_implIS3_N6thrust23THRUST_200600_302600_NS6detail15normal_iteratorINS8_10device_ptrIfEEEESD_jNS1_19radix_merge_compareILb0ELb0EfNS0_19identity_decomposerEEEEE10hipError_tT0_T1_T2_jT3_P12ihipStream_tbPNSt15iterator_traitsISI_E10value_typeEPNSO_ISJ_E10value_typeEPSK_NS1_7vsmem_tEENKUlT_SI_SJ_SK_E_clIPfSD_S10_SD_EESH_SX_SI_SJ_SK_EUlSX_E_NS1_11comp_targetILNS1_3genE10ELNS1_11target_archE1201ELNS1_3gpuE5ELNS1_3repE0EEENS1_48merge_mergepath_partition_config_static_selectorELNS0_4arch9wavefront6targetE1EEEvSJ_.has_indirect_call, 0
	.section	.AMDGPU.csdata,"",@progbits
; Kernel info:
; codeLenInByte = 0
; TotalNumSgprs: 6
; NumVgprs: 0
; NumAgprs: 0
; TotalNumVgprs: 0
; ScratchSize: 0
; MemoryBound: 0
; FloatMode: 240
; IeeeMode: 1
; LDSByteSize: 0 bytes/workgroup (compile time only)
; SGPRBlocks: 0
; VGPRBlocks: 0
; NumSGPRsForWavesPerEU: 6
; NumVGPRsForWavesPerEU: 1
; AccumOffset: 4
; Occupancy: 8
; WaveLimiterHint : 0
; COMPUTE_PGM_RSRC2:SCRATCH_EN: 0
; COMPUTE_PGM_RSRC2:USER_SGPR: 2
; COMPUTE_PGM_RSRC2:TRAP_HANDLER: 0
; COMPUTE_PGM_RSRC2:TGID_X_EN: 1
; COMPUTE_PGM_RSRC2:TGID_Y_EN: 0
; COMPUTE_PGM_RSRC2:TGID_Z_EN: 0
; COMPUTE_PGM_RSRC2:TIDIG_COMP_CNT: 0
; COMPUTE_PGM_RSRC3_GFX90A:ACCUM_OFFSET: 0
; COMPUTE_PGM_RSRC3_GFX90A:TG_SPLIT: 0
	.section	.text._ZN7rocprim17ROCPRIM_400000_NS6detail17trampoline_kernelINS0_14default_configENS1_38merge_sort_block_merge_config_selectorIffEEZZNS1_27merge_sort_block_merge_implIS3_N6thrust23THRUST_200600_302600_NS6detail15normal_iteratorINS8_10device_ptrIfEEEESD_jNS1_19radix_merge_compareILb0ELb0EfNS0_19identity_decomposerEEEEE10hipError_tT0_T1_T2_jT3_P12ihipStream_tbPNSt15iterator_traitsISI_E10value_typeEPNSO_ISJ_E10value_typeEPSK_NS1_7vsmem_tEENKUlT_SI_SJ_SK_E_clIPfSD_S10_SD_EESH_SX_SI_SJ_SK_EUlSX_E_NS1_11comp_targetILNS1_3genE5ELNS1_11target_archE942ELNS1_3gpuE9ELNS1_3repE0EEENS1_48merge_mergepath_partition_config_static_selectorELNS0_4arch9wavefront6targetE1EEEvSJ_,"axG",@progbits,_ZN7rocprim17ROCPRIM_400000_NS6detail17trampoline_kernelINS0_14default_configENS1_38merge_sort_block_merge_config_selectorIffEEZZNS1_27merge_sort_block_merge_implIS3_N6thrust23THRUST_200600_302600_NS6detail15normal_iteratorINS8_10device_ptrIfEEEESD_jNS1_19radix_merge_compareILb0ELb0EfNS0_19identity_decomposerEEEEE10hipError_tT0_T1_T2_jT3_P12ihipStream_tbPNSt15iterator_traitsISI_E10value_typeEPNSO_ISJ_E10value_typeEPSK_NS1_7vsmem_tEENKUlT_SI_SJ_SK_E_clIPfSD_S10_SD_EESH_SX_SI_SJ_SK_EUlSX_E_NS1_11comp_targetILNS1_3genE5ELNS1_11target_archE942ELNS1_3gpuE9ELNS1_3repE0EEENS1_48merge_mergepath_partition_config_static_selectorELNS0_4arch9wavefront6targetE1EEEvSJ_,comdat
	.protected	_ZN7rocprim17ROCPRIM_400000_NS6detail17trampoline_kernelINS0_14default_configENS1_38merge_sort_block_merge_config_selectorIffEEZZNS1_27merge_sort_block_merge_implIS3_N6thrust23THRUST_200600_302600_NS6detail15normal_iteratorINS8_10device_ptrIfEEEESD_jNS1_19radix_merge_compareILb0ELb0EfNS0_19identity_decomposerEEEEE10hipError_tT0_T1_T2_jT3_P12ihipStream_tbPNSt15iterator_traitsISI_E10value_typeEPNSO_ISJ_E10value_typeEPSK_NS1_7vsmem_tEENKUlT_SI_SJ_SK_E_clIPfSD_S10_SD_EESH_SX_SI_SJ_SK_EUlSX_E_NS1_11comp_targetILNS1_3genE5ELNS1_11target_archE942ELNS1_3gpuE9ELNS1_3repE0EEENS1_48merge_mergepath_partition_config_static_selectorELNS0_4arch9wavefront6targetE1EEEvSJ_ ; -- Begin function _ZN7rocprim17ROCPRIM_400000_NS6detail17trampoline_kernelINS0_14default_configENS1_38merge_sort_block_merge_config_selectorIffEEZZNS1_27merge_sort_block_merge_implIS3_N6thrust23THRUST_200600_302600_NS6detail15normal_iteratorINS8_10device_ptrIfEEEESD_jNS1_19radix_merge_compareILb0ELb0EfNS0_19identity_decomposerEEEEE10hipError_tT0_T1_T2_jT3_P12ihipStream_tbPNSt15iterator_traitsISI_E10value_typeEPNSO_ISJ_E10value_typeEPSK_NS1_7vsmem_tEENKUlT_SI_SJ_SK_E_clIPfSD_S10_SD_EESH_SX_SI_SJ_SK_EUlSX_E_NS1_11comp_targetILNS1_3genE5ELNS1_11target_archE942ELNS1_3gpuE9ELNS1_3repE0EEENS1_48merge_mergepath_partition_config_static_selectorELNS0_4arch9wavefront6targetE1EEEvSJ_
	.globl	_ZN7rocprim17ROCPRIM_400000_NS6detail17trampoline_kernelINS0_14default_configENS1_38merge_sort_block_merge_config_selectorIffEEZZNS1_27merge_sort_block_merge_implIS3_N6thrust23THRUST_200600_302600_NS6detail15normal_iteratorINS8_10device_ptrIfEEEESD_jNS1_19radix_merge_compareILb0ELb0EfNS0_19identity_decomposerEEEEE10hipError_tT0_T1_T2_jT3_P12ihipStream_tbPNSt15iterator_traitsISI_E10value_typeEPNSO_ISJ_E10value_typeEPSK_NS1_7vsmem_tEENKUlT_SI_SJ_SK_E_clIPfSD_S10_SD_EESH_SX_SI_SJ_SK_EUlSX_E_NS1_11comp_targetILNS1_3genE5ELNS1_11target_archE942ELNS1_3gpuE9ELNS1_3repE0EEENS1_48merge_mergepath_partition_config_static_selectorELNS0_4arch9wavefront6targetE1EEEvSJ_
	.p2align	8
	.type	_ZN7rocprim17ROCPRIM_400000_NS6detail17trampoline_kernelINS0_14default_configENS1_38merge_sort_block_merge_config_selectorIffEEZZNS1_27merge_sort_block_merge_implIS3_N6thrust23THRUST_200600_302600_NS6detail15normal_iteratorINS8_10device_ptrIfEEEESD_jNS1_19radix_merge_compareILb0ELb0EfNS0_19identity_decomposerEEEEE10hipError_tT0_T1_T2_jT3_P12ihipStream_tbPNSt15iterator_traitsISI_E10value_typeEPNSO_ISJ_E10value_typeEPSK_NS1_7vsmem_tEENKUlT_SI_SJ_SK_E_clIPfSD_S10_SD_EESH_SX_SI_SJ_SK_EUlSX_E_NS1_11comp_targetILNS1_3genE5ELNS1_11target_archE942ELNS1_3gpuE9ELNS1_3repE0EEENS1_48merge_mergepath_partition_config_static_selectorELNS0_4arch9wavefront6targetE1EEEvSJ_,@function
_ZN7rocprim17ROCPRIM_400000_NS6detail17trampoline_kernelINS0_14default_configENS1_38merge_sort_block_merge_config_selectorIffEEZZNS1_27merge_sort_block_merge_implIS3_N6thrust23THRUST_200600_302600_NS6detail15normal_iteratorINS8_10device_ptrIfEEEESD_jNS1_19radix_merge_compareILb0ELb0EfNS0_19identity_decomposerEEEEE10hipError_tT0_T1_T2_jT3_P12ihipStream_tbPNSt15iterator_traitsISI_E10value_typeEPNSO_ISJ_E10value_typeEPSK_NS1_7vsmem_tEENKUlT_SI_SJ_SK_E_clIPfSD_S10_SD_EESH_SX_SI_SJ_SK_EUlSX_E_NS1_11comp_targetILNS1_3genE5ELNS1_11target_archE942ELNS1_3gpuE9ELNS1_3repE0EEENS1_48merge_mergepath_partition_config_static_selectorELNS0_4arch9wavefront6targetE1EEEvSJ_: ; @_ZN7rocprim17ROCPRIM_400000_NS6detail17trampoline_kernelINS0_14default_configENS1_38merge_sort_block_merge_config_selectorIffEEZZNS1_27merge_sort_block_merge_implIS3_N6thrust23THRUST_200600_302600_NS6detail15normal_iteratorINS8_10device_ptrIfEEEESD_jNS1_19radix_merge_compareILb0ELb0EfNS0_19identity_decomposerEEEEE10hipError_tT0_T1_T2_jT3_P12ihipStream_tbPNSt15iterator_traitsISI_E10value_typeEPNSO_ISJ_E10value_typeEPSK_NS1_7vsmem_tEENKUlT_SI_SJ_SK_E_clIPfSD_S10_SD_EESH_SX_SI_SJ_SK_EUlSX_E_NS1_11comp_targetILNS1_3genE5ELNS1_11target_archE942ELNS1_3gpuE9ELNS1_3repE0EEENS1_48merge_mergepath_partition_config_static_selectorELNS0_4arch9wavefront6targetE1EEEvSJ_
; %bb.0:
	.section	.rodata,"a",@progbits
	.p2align	6, 0x0
	.amdhsa_kernel _ZN7rocprim17ROCPRIM_400000_NS6detail17trampoline_kernelINS0_14default_configENS1_38merge_sort_block_merge_config_selectorIffEEZZNS1_27merge_sort_block_merge_implIS3_N6thrust23THRUST_200600_302600_NS6detail15normal_iteratorINS8_10device_ptrIfEEEESD_jNS1_19radix_merge_compareILb0ELb0EfNS0_19identity_decomposerEEEEE10hipError_tT0_T1_T2_jT3_P12ihipStream_tbPNSt15iterator_traitsISI_E10value_typeEPNSO_ISJ_E10value_typeEPSK_NS1_7vsmem_tEENKUlT_SI_SJ_SK_E_clIPfSD_S10_SD_EESH_SX_SI_SJ_SK_EUlSX_E_NS1_11comp_targetILNS1_3genE5ELNS1_11target_archE942ELNS1_3gpuE9ELNS1_3repE0EEENS1_48merge_mergepath_partition_config_static_selectorELNS0_4arch9wavefront6targetE1EEEvSJ_
		.amdhsa_group_segment_fixed_size 0
		.amdhsa_private_segment_fixed_size 0
		.amdhsa_kernarg_size 40
		.amdhsa_user_sgpr_count 2
		.amdhsa_user_sgpr_dispatch_ptr 0
		.amdhsa_user_sgpr_queue_ptr 0
		.amdhsa_user_sgpr_kernarg_segment_ptr 1
		.amdhsa_user_sgpr_dispatch_id 0
		.amdhsa_user_sgpr_kernarg_preload_length 0
		.amdhsa_user_sgpr_kernarg_preload_offset 0
		.amdhsa_user_sgpr_private_segment_size 0
		.amdhsa_uses_dynamic_stack 0
		.amdhsa_enable_private_segment 0
		.amdhsa_system_sgpr_workgroup_id_x 1
		.amdhsa_system_sgpr_workgroup_id_y 0
		.amdhsa_system_sgpr_workgroup_id_z 0
		.amdhsa_system_sgpr_workgroup_info 0
		.amdhsa_system_vgpr_workitem_id 0
		.amdhsa_next_free_vgpr 1
		.amdhsa_next_free_sgpr 0
		.amdhsa_accum_offset 4
		.amdhsa_reserve_vcc 0
		.amdhsa_float_round_mode_32 0
		.amdhsa_float_round_mode_16_64 0
		.amdhsa_float_denorm_mode_32 3
		.amdhsa_float_denorm_mode_16_64 3
		.amdhsa_dx10_clamp 1
		.amdhsa_ieee_mode 1
		.amdhsa_fp16_overflow 0
		.amdhsa_tg_split 0
		.amdhsa_exception_fp_ieee_invalid_op 0
		.amdhsa_exception_fp_denorm_src 0
		.amdhsa_exception_fp_ieee_div_zero 0
		.amdhsa_exception_fp_ieee_overflow 0
		.amdhsa_exception_fp_ieee_underflow 0
		.amdhsa_exception_fp_ieee_inexact 0
		.amdhsa_exception_int_div_zero 0
	.end_amdhsa_kernel
	.section	.text._ZN7rocprim17ROCPRIM_400000_NS6detail17trampoline_kernelINS0_14default_configENS1_38merge_sort_block_merge_config_selectorIffEEZZNS1_27merge_sort_block_merge_implIS3_N6thrust23THRUST_200600_302600_NS6detail15normal_iteratorINS8_10device_ptrIfEEEESD_jNS1_19radix_merge_compareILb0ELb0EfNS0_19identity_decomposerEEEEE10hipError_tT0_T1_T2_jT3_P12ihipStream_tbPNSt15iterator_traitsISI_E10value_typeEPNSO_ISJ_E10value_typeEPSK_NS1_7vsmem_tEENKUlT_SI_SJ_SK_E_clIPfSD_S10_SD_EESH_SX_SI_SJ_SK_EUlSX_E_NS1_11comp_targetILNS1_3genE5ELNS1_11target_archE942ELNS1_3gpuE9ELNS1_3repE0EEENS1_48merge_mergepath_partition_config_static_selectorELNS0_4arch9wavefront6targetE1EEEvSJ_,"axG",@progbits,_ZN7rocprim17ROCPRIM_400000_NS6detail17trampoline_kernelINS0_14default_configENS1_38merge_sort_block_merge_config_selectorIffEEZZNS1_27merge_sort_block_merge_implIS3_N6thrust23THRUST_200600_302600_NS6detail15normal_iteratorINS8_10device_ptrIfEEEESD_jNS1_19radix_merge_compareILb0ELb0EfNS0_19identity_decomposerEEEEE10hipError_tT0_T1_T2_jT3_P12ihipStream_tbPNSt15iterator_traitsISI_E10value_typeEPNSO_ISJ_E10value_typeEPSK_NS1_7vsmem_tEENKUlT_SI_SJ_SK_E_clIPfSD_S10_SD_EESH_SX_SI_SJ_SK_EUlSX_E_NS1_11comp_targetILNS1_3genE5ELNS1_11target_archE942ELNS1_3gpuE9ELNS1_3repE0EEENS1_48merge_mergepath_partition_config_static_selectorELNS0_4arch9wavefront6targetE1EEEvSJ_,comdat
.Lfunc_end223:
	.size	_ZN7rocprim17ROCPRIM_400000_NS6detail17trampoline_kernelINS0_14default_configENS1_38merge_sort_block_merge_config_selectorIffEEZZNS1_27merge_sort_block_merge_implIS3_N6thrust23THRUST_200600_302600_NS6detail15normal_iteratorINS8_10device_ptrIfEEEESD_jNS1_19radix_merge_compareILb0ELb0EfNS0_19identity_decomposerEEEEE10hipError_tT0_T1_T2_jT3_P12ihipStream_tbPNSt15iterator_traitsISI_E10value_typeEPNSO_ISJ_E10value_typeEPSK_NS1_7vsmem_tEENKUlT_SI_SJ_SK_E_clIPfSD_S10_SD_EESH_SX_SI_SJ_SK_EUlSX_E_NS1_11comp_targetILNS1_3genE5ELNS1_11target_archE942ELNS1_3gpuE9ELNS1_3repE0EEENS1_48merge_mergepath_partition_config_static_selectorELNS0_4arch9wavefront6targetE1EEEvSJ_, .Lfunc_end223-_ZN7rocprim17ROCPRIM_400000_NS6detail17trampoline_kernelINS0_14default_configENS1_38merge_sort_block_merge_config_selectorIffEEZZNS1_27merge_sort_block_merge_implIS3_N6thrust23THRUST_200600_302600_NS6detail15normal_iteratorINS8_10device_ptrIfEEEESD_jNS1_19radix_merge_compareILb0ELb0EfNS0_19identity_decomposerEEEEE10hipError_tT0_T1_T2_jT3_P12ihipStream_tbPNSt15iterator_traitsISI_E10value_typeEPNSO_ISJ_E10value_typeEPSK_NS1_7vsmem_tEENKUlT_SI_SJ_SK_E_clIPfSD_S10_SD_EESH_SX_SI_SJ_SK_EUlSX_E_NS1_11comp_targetILNS1_3genE5ELNS1_11target_archE942ELNS1_3gpuE9ELNS1_3repE0EEENS1_48merge_mergepath_partition_config_static_selectorELNS0_4arch9wavefront6targetE1EEEvSJ_
                                        ; -- End function
	.set _ZN7rocprim17ROCPRIM_400000_NS6detail17trampoline_kernelINS0_14default_configENS1_38merge_sort_block_merge_config_selectorIffEEZZNS1_27merge_sort_block_merge_implIS3_N6thrust23THRUST_200600_302600_NS6detail15normal_iteratorINS8_10device_ptrIfEEEESD_jNS1_19radix_merge_compareILb0ELb0EfNS0_19identity_decomposerEEEEE10hipError_tT0_T1_T2_jT3_P12ihipStream_tbPNSt15iterator_traitsISI_E10value_typeEPNSO_ISJ_E10value_typeEPSK_NS1_7vsmem_tEENKUlT_SI_SJ_SK_E_clIPfSD_S10_SD_EESH_SX_SI_SJ_SK_EUlSX_E_NS1_11comp_targetILNS1_3genE5ELNS1_11target_archE942ELNS1_3gpuE9ELNS1_3repE0EEENS1_48merge_mergepath_partition_config_static_selectorELNS0_4arch9wavefront6targetE1EEEvSJ_.num_vgpr, 0
	.set _ZN7rocprim17ROCPRIM_400000_NS6detail17trampoline_kernelINS0_14default_configENS1_38merge_sort_block_merge_config_selectorIffEEZZNS1_27merge_sort_block_merge_implIS3_N6thrust23THRUST_200600_302600_NS6detail15normal_iteratorINS8_10device_ptrIfEEEESD_jNS1_19radix_merge_compareILb0ELb0EfNS0_19identity_decomposerEEEEE10hipError_tT0_T1_T2_jT3_P12ihipStream_tbPNSt15iterator_traitsISI_E10value_typeEPNSO_ISJ_E10value_typeEPSK_NS1_7vsmem_tEENKUlT_SI_SJ_SK_E_clIPfSD_S10_SD_EESH_SX_SI_SJ_SK_EUlSX_E_NS1_11comp_targetILNS1_3genE5ELNS1_11target_archE942ELNS1_3gpuE9ELNS1_3repE0EEENS1_48merge_mergepath_partition_config_static_selectorELNS0_4arch9wavefront6targetE1EEEvSJ_.num_agpr, 0
	.set _ZN7rocprim17ROCPRIM_400000_NS6detail17trampoline_kernelINS0_14default_configENS1_38merge_sort_block_merge_config_selectorIffEEZZNS1_27merge_sort_block_merge_implIS3_N6thrust23THRUST_200600_302600_NS6detail15normal_iteratorINS8_10device_ptrIfEEEESD_jNS1_19radix_merge_compareILb0ELb0EfNS0_19identity_decomposerEEEEE10hipError_tT0_T1_T2_jT3_P12ihipStream_tbPNSt15iterator_traitsISI_E10value_typeEPNSO_ISJ_E10value_typeEPSK_NS1_7vsmem_tEENKUlT_SI_SJ_SK_E_clIPfSD_S10_SD_EESH_SX_SI_SJ_SK_EUlSX_E_NS1_11comp_targetILNS1_3genE5ELNS1_11target_archE942ELNS1_3gpuE9ELNS1_3repE0EEENS1_48merge_mergepath_partition_config_static_selectorELNS0_4arch9wavefront6targetE1EEEvSJ_.numbered_sgpr, 0
	.set _ZN7rocprim17ROCPRIM_400000_NS6detail17trampoline_kernelINS0_14default_configENS1_38merge_sort_block_merge_config_selectorIffEEZZNS1_27merge_sort_block_merge_implIS3_N6thrust23THRUST_200600_302600_NS6detail15normal_iteratorINS8_10device_ptrIfEEEESD_jNS1_19radix_merge_compareILb0ELb0EfNS0_19identity_decomposerEEEEE10hipError_tT0_T1_T2_jT3_P12ihipStream_tbPNSt15iterator_traitsISI_E10value_typeEPNSO_ISJ_E10value_typeEPSK_NS1_7vsmem_tEENKUlT_SI_SJ_SK_E_clIPfSD_S10_SD_EESH_SX_SI_SJ_SK_EUlSX_E_NS1_11comp_targetILNS1_3genE5ELNS1_11target_archE942ELNS1_3gpuE9ELNS1_3repE0EEENS1_48merge_mergepath_partition_config_static_selectorELNS0_4arch9wavefront6targetE1EEEvSJ_.num_named_barrier, 0
	.set _ZN7rocprim17ROCPRIM_400000_NS6detail17trampoline_kernelINS0_14default_configENS1_38merge_sort_block_merge_config_selectorIffEEZZNS1_27merge_sort_block_merge_implIS3_N6thrust23THRUST_200600_302600_NS6detail15normal_iteratorINS8_10device_ptrIfEEEESD_jNS1_19radix_merge_compareILb0ELb0EfNS0_19identity_decomposerEEEEE10hipError_tT0_T1_T2_jT3_P12ihipStream_tbPNSt15iterator_traitsISI_E10value_typeEPNSO_ISJ_E10value_typeEPSK_NS1_7vsmem_tEENKUlT_SI_SJ_SK_E_clIPfSD_S10_SD_EESH_SX_SI_SJ_SK_EUlSX_E_NS1_11comp_targetILNS1_3genE5ELNS1_11target_archE942ELNS1_3gpuE9ELNS1_3repE0EEENS1_48merge_mergepath_partition_config_static_selectorELNS0_4arch9wavefront6targetE1EEEvSJ_.private_seg_size, 0
	.set _ZN7rocprim17ROCPRIM_400000_NS6detail17trampoline_kernelINS0_14default_configENS1_38merge_sort_block_merge_config_selectorIffEEZZNS1_27merge_sort_block_merge_implIS3_N6thrust23THRUST_200600_302600_NS6detail15normal_iteratorINS8_10device_ptrIfEEEESD_jNS1_19radix_merge_compareILb0ELb0EfNS0_19identity_decomposerEEEEE10hipError_tT0_T1_T2_jT3_P12ihipStream_tbPNSt15iterator_traitsISI_E10value_typeEPNSO_ISJ_E10value_typeEPSK_NS1_7vsmem_tEENKUlT_SI_SJ_SK_E_clIPfSD_S10_SD_EESH_SX_SI_SJ_SK_EUlSX_E_NS1_11comp_targetILNS1_3genE5ELNS1_11target_archE942ELNS1_3gpuE9ELNS1_3repE0EEENS1_48merge_mergepath_partition_config_static_selectorELNS0_4arch9wavefront6targetE1EEEvSJ_.uses_vcc, 0
	.set _ZN7rocprim17ROCPRIM_400000_NS6detail17trampoline_kernelINS0_14default_configENS1_38merge_sort_block_merge_config_selectorIffEEZZNS1_27merge_sort_block_merge_implIS3_N6thrust23THRUST_200600_302600_NS6detail15normal_iteratorINS8_10device_ptrIfEEEESD_jNS1_19radix_merge_compareILb0ELb0EfNS0_19identity_decomposerEEEEE10hipError_tT0_T1_T2_jT3_P12ihipStream_tbPNSt15iterator_traitsISI_E10value_typeEPNSO_ISJ_E10value_typeEPSK_NS1_7vsmem_tEENKUlT_SI_SJ_SK_E_clIPfSD_S10_SD_EESH_SX_SI_SJ_SK_EUlSX_E_NS1_11comp_targetILNS1_3genE5ELNS1_11target_archE942ELNS1_3gpuE9ELNS1_3repE0EEENS1_48merge_mergepath_partition_config_static_selectorELNS0_4arch9wavefront6targetE1EEEvSJ_.uses_flat_scratch, 0
	.set _ZN7rocprim17ROCPRIM_400000_NS6detail17trampoline_kernelINS0_14default_configENS1_38merge_sort_block_merge_config_selectorIffEEZZNS1_27merge_sort_block_merge_implIS3_N6thrust23THRUST_200600_302600_NS6detail15normal_iteratorINS8_10device_ptrIfEEEESD_jNS1_19radix_merge_compareILb0ELb0EfNS0_19identity_decomposerEEEEE10hipError_tT0_T1_T2_jT3_P12ihipStream_tbPNSt15iterator_traitsISI_E10value_typeEPNSO_ISJ_E10value_typeEPSK_NS1_7vsmem_tEENKUlT_SI_SJ_SK_E_clIPfSD_S10_SD_EESH_SX_SI_SJ_SK_EUlSX_E_NS1_11comp_targetILNS1_3genE5ELNS1_11target_archE942ELNS1_3gpuE9ELNS1_3repE0EEENS1_48merge_mergepath_partition_config_static_selectorELNS0_4arch9wavefront6targetE1EEEvSJ_.has_dyn_sized_stack, 0
	.set _ZN7rocprim17ROCPRIM_400000_NS6detail17trampoline_kernelINS0_14default_configENS1_38merge_sort_block_merge_config_selectorIffEEZZNS1_27merge_sort_block_merge_implIS3_N6thrust23THRUST_200600_302600_NS6detail15normal_iteratorINS8_10device_ptrIfEEEESD_jNS1_19radix_merge_compareILb0ELb0EfNS0_19identity_decomposerEEEEE10hipError_tT0_T1_T2_jT3_P12ihipStream_tbPNSt15iterator_traitsISI_E10value_typeEPNSO_ISJ_E10value_typeEPSK_NS1_7vsmem_tEENKUlT_SI_SJ_SK_E_clIPfSD_S10_SD_EESH_SX_SI_SJ_SK_EUlSX_E_NS1_11comp_targetILNS1_3genE5ELNS1_11target_archE942ELNS1_3gpuE9ELNS1_3repE0EEENS1_48merge_mergepath_partition_config_static_selectorELNS0_4arch9wavefront6targetE1EEEvSJ_.has_recursion, 0
	.set _ZN7rocprim17ROCPRIM_400000_NS6detail17trampoline_kernelINS0_14default_configENS1_38merge_sort_block_merge_config_selectorIffEEZZNS1_27merge_sort_block_merge_implIS3_N6thrust23THRUST_200600_302600_NS6detail15normal_iteratorINS8_10device_ptrIfEEEESD_jNS1_19radix_merge_compareILb0ELb0EfNS0_19identity_decomposerEEEEE10hipError_tT0_T1_T2_jT3_P12ihipStream_tbPNSt15iterator_traitsISI_E10value_typeEPNSO_ISJ_E10value_typeEPSK_NS1_7vsmem_tEENKUlT_SI_SJ_SK_E_clIPfSD_S10_SD_EESH_SX_SI_SJ_SK_EUlSX_E_NS1_11comp_targetILNS1_3genE5ELNS1_11target_archE942ELNS1_3gpuE9ELNS1_3repE0EEENS1_48merge_mergepath_partition_config_static_selectorELNS0_4arch9wavefront6targetE1EEEvSJ_.has_indirect_call, 0
	.section	.AMDGPU.csdata,"",@progbits
; Kernel info:
; codeLenInByte = 0
; TotalNumSgprs: 6
; NumVgprs: 0
; NumAgprs: 0
; TotalNumVgprs: 0
; ScratchSize: 0
; MemoryBound: 0
; FloatMode: 240
; IeeeMode: 1
; LDSByteSize: 0 bytes/workgroup (compile time only)
; SGPRBlocks: 0
; VGPRBlocks: 0
; NumSGPRsForWavesPerEU: 6
; NumVGPRsForWavesPerEU: 1
; AccumOffset: 4
; Occupancy: 8
; WaveLimiterHint : 0
; COMPUTE_PGM_RSRC2:SCRATCH_EN: 0
; COMPUTE_PGM_RSRC2:USER_SGPR: 2
; COMPUTE_PGM_RSRC2:TRAP_HANDLER: 0
; COMPUTE_PGM_RSRC2:TGID_X_EN: 1
; COMPUTE_PGM_RSRC2:TGID_Y_EN: 0
; COMPUTE_PGM_RSRC2:TGID_Z_EN: 0
; COMPUTE_PGM_RSRC2:TIDIG_COMP_CNT: 0
; COMPUTE_PGM_RSRC3_GFX90A:ACCUM_OFFSET: 0
; COMPUTE_PGM_RSRC3_GFX90A:TG_SPLIT: 0
	.section	.text._ZN7rocprim17ROCPRIM_400000_NS6detail17trampoline_kernelINS0_14default_configENS1_38merge_sort_block_merge_config_selectorIffEEZZNS1_27merge_sort_block_merge_implIS3_N6thrust23THRUST_200600_302600_NS6detail15normal_iteratorINS8_10device_ptrIfEEEESD_jNS1_19radix_merge_compareILb0ELb0EfNS0_19identity_decomposerEEEEE10hipError_tT0_T1_T2_jT3_P12ihipStream_tbPNSt15iterator_traitsISI_E10value_typeEPNSO_ISJ_E10value_typeEPSK_NS1_7vsmem_tEENKUlT_SI_SJ_SK_E_clIPfSD_S10_SD_EESH_SX_SI_SJ_SK_EUlSX_E_NS1_11comp_targetILNS1_3genE4ELNS1_11target_archE910ELNS1_3gpuE8ELNS1_3repE0EEENS1_48merge_mergepath_partition_config_static_selectorELNS0_4arch9wavefront6targetE1EEEvSJ_,"axG",@progbits,_ZN7rocprim17ROCPRIM_400000_NS6detail17trampoline_kernelINS0_14default_configENS1_38merge_sort_block_merge_config_selectorIffEEZZNS1_27merge_sort_block_merge_implIS3_N6thrust23THRUST_200600_302600_NS6detail15normal_iteratorINS8_10device_ptrIfEEEESD_jNS1_19radix_merge_compareILb0ELb0EfNS0_19identity_decomposerEEEEE10hipError_tT0_T1_T2_jT3_P12ihipStream_tbPNSt15iterator_traitsISI_E10value_typeEPNSO_ISJ_E10value_typeEPSK_NS1_7vsmem_tEENKUlT_SI_SJ_SK_E_clIPfSD_S10_SD_EESH_SX_SI_SJ_SK_EUlSX_E_NS1_11comp_targetILNS1_3genE4ELNS1_11target_archE910ELNS1_3gpuE8ELNS1_3repE0EEENS1_48merge_mergepath_partition_config_static_selectorELNS0_4arch9wavefront6targetE1EEEvSJ_,comdat
	.protected	_ZN7rocprim17ROCPRIM_400000_NS6detail17trampoline_kernelINS0_14default_configENS1_38merge_sort_block_merge_config_selectorIffEEZZNS1_27merge_sort_block_merge_implIS3_N6thrust23THRUST_200600_302600_NS6detail15normal_iteratorINS8_10device_ptrIfEEEESD_jNS1_19radix_merge_compareILb0ELb0EfNS0_19identity_decomposerEEEEE10hipError_tT0_T1_T2_jT3_P12ihipStream_tbPNSt15iterator_traitsISI_E10value_typeEPNSO_ISJ_E10value_typeEPSK_NS1_7vsmem_tEENKUlT_SI_SJ_SK_E_clIPfSD_S10_SD_EESH_SX_SI_SJ_SK_EUlSX_E_NS1_11comp_targetILNS1_3genE4ELNS1_11target_archE910ELNS1_3gpuE8ELNS1_3repE0EEENS1_48merge_mergepath_partition_config_static_selectorELNS0_4arch9wavefront6targetE1EEEvSJ_ ; -- Begin function _ZN7rocprim17ROCPRIM_400000_NS6detail17trampoline_kernelINS0_14default_configENS1_38merge_sort_block_merge_config_selectorIffEEZZNS1_27merge_sort_block_merge_implIS3_N6thrust23THRUST_200600_302600_NS6detail15normal_iteratorINS8_10device_ptrIfEEEESD_jNS1_19radix_merge_compareILb0ELb0EfNS0_19identity_decomposerEEEEE10hipError_tT0_T1_T2_jT3_P12ihipStream_tbPNSt15iterator_traitsISI_E10value_typeEPNSO_ISJ_E10value_typeEPSK_NS1_7vsmem_tEENKUlT_SI_SJ_SK_E_clIPfSD_S10_SD_EESH_SX_SI_SJ_SK_EUlSX_E_NS1_11comp_targetILNS1_3genE4ELNS1_11target_archE910ELNS1_3gpuE8ELNS1_3repE0EEENS1_48merge_mergepath_partition_config_static_selectorELNS0_4arch9wavefront6targetE1EEEvSJ_
	.globl	_ZN7rocprim17ROCPRIM_400000_NS6detail17trampoline_kernelINS0_14default_configENS1_38merge_sort_block_merge_config_selectorIffEEZZNS1_27merge_sort_block_merge_implIS3_N6thrust23THRUST_200600_302600_NS6detail15normal_iteratorINS8_10device_ptrIfEEEESD_jNS1_19radix_merge_compareILb0ELb0EfNS0_19identity_decomposerEEEEE10hipError_tT0_T1_T2_jT3_P12ihipStream_tbPNSt15iterator_traitsISI_E10value_typeEPNSO_ISJ_E10value_typeEPSK_NS1_7vsmem_tEENKUlT_SI_SJ_SK_E_clIPfSD_S10_SD_EESH_SX_SI_SJ_SK_EUlSX_E_NS1_11comp_targetILNS1_3genE4ELNS1_11target_archE910ELNS1_3gpuE8ELNS1_3repE0EEENS1_48merge_mergepath_partition_config_static_selectorELNS0_4arch9wavefront6targetE1EEEvSJ_
	.p2align	8
	.type	_ZN7rocprim17ROCPRIM_400000_NS6detail17trampoline_kernelINS0_14default_configENS1_38merge_sort_block_merge_config_selectorIffEEZZNS1_27merge_sort_block_merge_implIS3_N6thrust23THRUST_200600_302600_NS6detail15normal_iteratorINS8_10device_ptrIfEEEESD_jNS1_19radix_merge_compareILb0ELb0EfNS0_19identity_decomposerEEEEE10hipError_tT0_T1_T2_jT3_P12ihipStream_tbPNSt15iterator_traitsISI_E10value_typeEPNSO_ISJ_E10value_typeEPSK_NS1_7vsmem_tEENKUlT_SI_SJ_SK_E_clIPfSD_S10_SD_EESH_SX_SI_SJ_SK_EUlSX_E_NS1_11comp_targetILNS1_3genE4ELNS1_11target_archE910ELNS1_3gpuE8ELNS1_3repE0EEENS1_48merge_mergepath_partition_config_static_selectorELNS0_4arch9wavefront6targetE1EEEvSJ_,@function
_ZN7rocprim17ROCPRIM_400000_NS6detail17trampoline_kernelINS0_14default_configENS1_38merge_sort_block_merge_config_selectorIffEEZZNS1_27merge_sort_block_merge_implIS3_N6thrust23THRUST_200600_302600_NS6detail15normal_iteratorINS8_10device_ptrIfEEEESD_jNS1_19radix_merge_compareILb0ELb0EfNS0_19identity_decomposerEEEEE10hipError_tT0_T1_T2_jT3_P12ihipStream_tbPNSt15iterator_traitsISI_E10value_typeEPNSO_ISJ_E10value_typeEPSK_NS1_7vsmem_tEENKUlT_SI_SJ_SK_E_clIPfSD_S10_SD_EESH_SX_SI_SJ_SK_EUlSX_E_NS1_11comp_targetILNS1_3genE4ELNS1_11target_archE910ELNS1_3gpuE8ELNS1_3repE0EEENS1_48merge_mergepath_partition_config_static_selectorELNS0_4arch9wavefront6targetE1EEEvSJ_: ; @_ZN7rocprim17ROCPRIM_400000_NS6detail17trampoline_kernelINS0_14default_configENS1_38merge_sort_block_merge_config_selectorIffEEZZNS1_27merge_sort_block_merge_implIS3_N6thrust23THRUST_200600_302600_NS6detail15normal_iteratorINS8_10device_ptrIfEEEESD_jNS1_19radix_merge_compareILb0ELb0EfNS0_19identity_decomposerEEEEE10hipError_tT0_T1_T2_jT3_P12ihipStream_tbPNSt15iterator_traitsISI_E10value_typeEPNSO_ISJ_E10value_typeEPSK_NS1_7vsmem_tEENKUlT_SI_SJ_SK_E_clIPfSD_S10_SD_EESH_SX_SI_SJ_SK_EUlSX_E_NS1_11comp_targetILNS1_3genE4ELNS1_11target_archE910ELNS1_3gpuE8ELNS1_3repE0EEENS1_48merge_mergepath_partition_config_static_selectorELNS0_4arch9wavefront6targetE1EEEvSJ_
; %bb.0:
	.section	.rodata,"a",@progbits
	.p2align	6, 0x0
	.amdhsa_kernel _ZN7rocprim17ROCPRIM_400000_NS6detail17trampoline_kernelINS0_14default_configENS1_38merge_sort_block_merge_config_selectorIffEEZZNS1_27merge_sort_block_merge_implIS3_N6thrust23THRUST_200600_302600_NS6detail15normal_iteratorINS8_10device_ptrIfEEEESD_jNS1_19radix_merge_compareILb0ELb0EfNS0_19identity_decomposerEEEEE10hipError_tT0_T1_T2_jT3_P12ihipStream_tbPNSt15iterator_traitsISI_E10value_typeEPNSO_ISJ_E10value_typeEPSK_NS1_7vsmem_tEENKUlT_SI_SJ_SK_E_clIPfSD_S10_SD_EESH_SX_SI_SJ_SK_EUlSX_E_NS1_11comp_targetILNS1_3genE4ELNS1_11target_archE910ELNS1_3gpuE8ELNS1_3repE0EEENS1_48merge_mergepath_partition_config_static_selectorELNS0_4arch9wavefront6targetE1EEEvSJ_
		.amdhsa_group_segment_fixed_size 0
		.amdhsa_private_segment_fixed_size 0
		.amdhsa_kernarg_size 40
		.amdhsa_user_sgpr_count 2
		.amdhsa_user_sgpr_dispatch_ptr 0
		.amdhsa_user_sgpr_queue_ptr 0
		.amdhsa_user_sgpr_kernarg_segment_ptr 1
		.amdhsa_user_sgpr_dispatch_id 0
		.amdhsa_user_sgpr_kernarg_preload_length 0
		.amdhsa_user_sgpr_kernarg_preload_offset 0
		.amdhsa_user_sgpr_private_segment_size 0
		.amdhsa_uses_dynamic_stack 0
		.amdhsa_enable_private_segment 0
		.amdhsa_system_sgpr_workgroup_id_x 1
		.amdhsa_system_sgpr_workgroup_id_y 0
		.amdhsa_system_sgpr_workgroup_id_z 0
		.amdhsa_system_sgpr_workgroup_info 0
		.amdhsa_system_vgpr_workitem_id 0
		.amdhsa_next_free_vgpr 1
		.amdhsa_next_free_sgpr 0
		.amdhsa_accum_offset 4
		.amdhsa_reserve_vcc 0
		.amdhsa_float_round_mode_32 0
		.amdhsa_float_round_mode_16_64 0
		.amdhsa_float_denorm_mode_32 3
		.amdhsa_float_denorm_mode_16_64 3
		.amdhsa_dx10_clamp 1
		.amdhsa_ieee_mode 1
		.amdhsa_fp16_overflow 0
		.amdhsa_tg_split 0
		.amdhsa_exception_fp_ieee_invalid_op 0
		.amdhsa_exception_fp_denorm_src 0
		.amdhsa_exception_fp_ieee_div_zero 0
		.amdhsa_exception_fp_ieee_overflow 0
		.amdhsa_exception_fp_ieee_underflow 0
		.amdhsa_exception_fp_ieee_inexact 0
		.amdhsa_exception_int_div_zero 0
	.end_amdhsa_kernel
	.section	.text._ZN7rocprim17ROCPRIM_400000_NS6detail17trampoline_kernelINS0_14default_configENS1_38merge_sort_block_merge_config_selectorIffEEZZNS1_27merge_sort_block_merge_implIS3_N6thrust23THRUST_200600_302600_NS6detail15normal_iteratorINS8_10device_ptrIfEEEESD_jNS1_19radix_merge_compareILb0ELb0EfNS0_19identity_decomposerEEEEE10hipError_tT0_T1_T2_jT3_P12ihipStream_tbPNSt15iterator_traitsISI_E10value_typeEPNSO_ISJ_E10value_typeEPSK_NS1_7vsmem_tEENKUlT_SI_SJ_SK_E_clIPfSD_S10_SD_EESH_SX_SI_SJ_SK_EUlSX_E_NS1_11comp_targetILNS1_3genE4ELNS1_11target_archE910ELNS1_3gpuE8ELNS1_3repE0EEENS1_48merge_mergepath_partition_config_static_selectorELNS0_4arch9wavefront6targetE1EEEvSJ_,"axG",@progbits,_ZN7rocprim17ROCPRIM_400000_NS6detail17trampoline_kernelINS0_14default_configENS1_38merge_sort_block_merge_config_selectorIffEEZZNS1_27merge_sort_block_merge_implIS3_N6thrust23THRUST_200600_302600_NS6detail15normal_iteratorINS8_10device_ptrIfEEEESD_jNS1_19radix_merge_compareILb0ELb0EfNS0_19identity_decomposerEEEEE10hipError_tT0_T1_T2_jT3_P12ihipStream_tbPNSt15iterator_traitsISI_E10value_typeEPNSO_ISJ_E10value_typeEPSK_NS1_7vsmem_tEENKUlT_SI_SJ_SK_E_clIPfSD_S10_SD_EESH_SX_SI_SJ_SK_EUlSX_E_NS1_11comp_targetILNS1_3genE4ELNS1_11target_archE910ELNS1_3gpuE8ELNS1_3repE0EEENS1_48merge_mergepath_partition_config_static_selectorELNS0_4arch9wavefront6targetE1EEEvSJ_,comdat
.Lfunc_end224:
	.size	_ZN7rocprim17ROCPRIM_400000_NS6detail17trampoline_kernelINS0_14default_configENS1_38merge_sort_block_merge_config_selectorIffEEZZNS1_27merge_sort_block_merge_implIS3_N6thrust23THRUST_200600_302600_NS6detail15normal_iteratorINS8_10device_ptrIfEEEESD_jNS1_19radix_merge_compareILb0ELb0EfNS0_19identity_decomposerEEEEE10hipError_tT0_T1_T2_jT3_P12ihipStream_tbPNSt15iterator_traitsISI_E10value_typeEPNSO_ISJ_E10value_typeEPSK_NS1_7vsmem_tEENKUlT_SI_SJ_SK_E_clIPfSD_S10_SD_EESH_SX_SI_SJ_SK_EUlSX_E_NS1_11comp_targetILNS1_3genE4ELNS1_11target_archE910ELNS1_3gpuE8ELNS1_3repE0EEENS1_48merge_mergepath_partition_config_static_selectorELNS0_4arch9wavefront6targetE1EEEvSJ_, .Lfunc_end224-_ZN7rocprim17ROCPRIM_400000_NS6detail17trampoline_kernelINS0_14default_configENS1_38merge_sort_block_merge_config_selectorIffEEZZNS1_27merge_sort_block_merge_implIS3_N6thrust23THRUST_200600_302600_NS6detail15normal_iteratorINS8_10device_ptrIfEEEESD_jNS1_19radix_merge_compareILb0ELb0EfNS0_19identity_decomposerEEEEE10hipError_tT0_T1_T2_jT3_P12ihipStream_tbPNSt15iterator_traitsISI_E10value_typeEPNSO_ISJ_E10value_typeEPSK_NS1_7vsmem_tEENKUlT_SI_SJ_SK_E_clIPfSD_S10_SD_EESH_SX_SI_SJ_SK_EUlSX_E_NS1_11comp_targetILNS1_3genE4ELNS1_11target_archE910ELNS1_3gpuE8ELNS1_3repE0EEENS1_48merge_mergepath_partition_config_static_selectorELNS0_4arch9wavefront6targetE1EEEvSJ_
                                        ; -- End function
	.set _ZN7rocprim17ROCPRIM_400000_NS6detail17trampoline_kernelINS0_14default_configENS1_38merge_sort_block_merge_config_selectorIffEEZZNS1_27merge_sort_block_merge_implIS3_N6thrust23THRUST_200600_302600_NS6detail15normal_iteratorINS8_10device_ptrIfEEEESD_jNS1_19radix_merge_compareILb0ELb0EfNS0_19identity_decomposerEEEEE10hipError_tT0_T1_T2_jT3_P12ihipStream_tbPNSt15iterator_traitsISI_E10value_typeEPNSO_ISJ_E10value_typeEPSK_NS1_7vsmem_tEENKUlT_SI_SJ_SK_E_clIPfSD_S10_SD_EESH_SX_SI_SJ_SK_EUlSX_E_NS1_11comp_targetILNS1_3genE4ELNS1_11target_archE910ELNS1_3gpuE8ELNS1_3repE0EEENS1_48merge_mergepath_partition_config_static_selectorELNS0_4arch9wavefront6targetE1EEEvSJ_.num_vgpr, 0
	.set _ZN7rocprim17ROCPRIM_400000_NS6detail17trampoline_kernelINS0_14default_configENS1_38merge_sort_block_merge_config_selectorIffEEZZNS1_27merge_sort_block_merge_implIS3_N6thrust23THRUST_200600_302600_NS6detail15normal_iteratorINS8_10device_ptrIfEEEESD_jNS1_19radix_merge_compareILb0ELb0EfNS0_19identity_decomposerEEEEE10hipError_tT0_T1_T2_jT3_P12ihipStream_tbPNSt15iterator_traitsISI_E10value_typeEPNSO_ISJ_E10value_typeEPSK_NS1_7vsmem_tEENKUlT_SI_SJ_SK_E_clIPfSD_S10_SD_EESH_SX_SI_SJ_SK_EUlSX_E_NS1_11comp_targetILNS1_3genE4ELNS1_11target_archE910ELNS1_3gpuE8ELNS1_3repE0EEENS1_48merge_mergepath_partition_config_static_selectorELNS0_4arch9wavefront6targetE1EEEvSJ_.num_agpr, 0
	.set _ZN7rocprim17ROCPRIM_400000_NS6detail17trampoline_kernelINS0_14default_configENS1_38merge_sort_block_merge_config_selectorIffEEZZNS1_27merge_sort_block_merge_implIS3_N6thrust23THRUST_200600_302600_NS6detail15normal_iteratorINS8_10device_ptrIfEEEESD_jNS1_19radix_merge_compareILb0ELb0EfNS0_19identity_decomposerEEEEE10hipError_tT0_T1_T2_jT3_P12ihipStream_tbPNSt15iterator_traitsISI_E10value_typeEPNSO_ISJ_E10value_typeEPSK_NS1_7vsmem_tEENKUlT_SI_SJ_SK_E_clIPfSD_S10_SD_EESH_SX_SI_SJ_SK_EUlSX_E_NS1_11comp_targetILNS1_3genE4ELNS1_11target_archE910ELNS1_3gpuE8ELNS1_3repE0EEENS1_48merge_mergepath_partition_config_static_selectorELNS0_4arch9wavefront6targetE1EEEvSJ_.numbered_sgpr, 0
	.set _ZN7rocprim17ROCPRIM_400000_NS6detail17trampoline_kernelINS0_14default_configENS1_38merge_sort_block_merge_config_selectorIffEEZZNS1_27merge_sort_block_merge_implIS3_N6thrust23THRUST_200600_302600_NS6detail15normal_iteratorINS8_10device_ptrIfEEEESD_jNS1_19radix_merge_compareILb0ELb0EfNS0_19identity_decomposerEEEEE10hipError_tT0_T1_T2_jT3_P12ihipStream_tbPNSt15iterator_traitsISI_E10value_typeEPNSO_ISJ_E10value_typeEPSK_NS1_7vsmem_tEENKUlT_SI_SJ_SK_E_clIPfSD_S10_SD_EESH_SX_SI_SJ_SK_EUlSX_E_NS1_11comp_targetILNS1_3genE4ELNS1_11target_archE910ELNS1_3gpuE8ELNS1_3repE0EEENS1_48merge_mergepath_partition_config_static_selectorELNS0_4arch9wavefront6targetE1EEEvSJ_.num_named_barrier, 0
	.set _ZN7rocprim17ROCPRIM_400000_NS6detail17trampoline_kernelINS0_14default_configENS1_38merge_sort_block_merge_config_selectorIffEEZZNS1_27merge_sort_block_merge_implIS3_N6thrust23THRUST_200600_302600_NS6detail15normal_iteratorINS8_10device_ptrIfEEEESD_jNS1_19radix_merge_compareILb0ELb0EfNS0_19identity_decomposerEEEEE10hipError_tT0_T1_T2_jT3_P12ihipStream_tbPNSt15iterator_traitsISI_E10value_typeEPNSO_ISJ_E10value_typeEPSK_NS1_7vsmem_tEENKUlT_SI_SJ_SK_E_clIPfSD_S10_SD_EESH_SX_SI_SJ_SK_EUlSX_E_NS1_11comp_targetILNS1_3genE4ELNS1_11target_archE910ELNS1_3gpuE8ELNS1_3repE0EEENS1_48merge_mergepath_partition_config_static_selectorELNS0_4arch9wavefront6targetE1EEEvSJ_.private_seg_size, 0
	.set _ZN7rocprim17ROCPRIM_400000_NS6detail17trampoline_kernelINS0_14default_configENS1_38merge_sort_block_merge_config_selectorIffEEZZNS1_27merge_sort_block_merge_implIS3_N6thrust23THRUST_200600_302600_NS6detail15normal_iteratorINS8_10device_ptrIfEEEESD_jNS1_19radix_merge_compareILb0ELb0EfNS0_19identity_decomposerEEEEE10hipError_tT0_T1_T2_jT3_P12ihipStream_tbPNSt15iterator_traitsISI_E10value_typeEPNSO_ISJ_E10value_typeEPSK_NS1_7vsmem_tEENKUlT_SI_SJ_SK_E_clIPfSD_S10_SD_EESH_SX_SI_SJ_SK_EUlSX_E_NS1_11comp_targetILNS1_3genE4ELNS1_11target_archE910ELNS1_3gpuE8ELNS1_3repE0EEENS1_48merge_mergepath_partition_config_static_selectorELNS0_4arch9wavefront6targetE1EEEvSJ_.uses_vcc, 0
	.set _ZN7rocprim17ROCPRIM_400000_NS6detail17trampoline_kernelINS0_14default_configENS1_38merge_sort_block_merge_config_selectorIffEEZZNS1_27merge_sort_block_merge_implIS3_N6thrust23THRUST_200600_302600_NS6detail15normal_iteratorINS8_10device_ptrIfEEEESD_jNS1_19radix_merge_compareILb0ELb0EfNS0_19identity_decomposerEEEEE10hipError_tT0_T1_T2_jT3_P12ihipStream_tbPNSt15iterator_traitsISI_E10value_typeEPNSO_ISJ_E10value_typeEPSK_NS1_7vsmem_tEENKUlT_SI_SJ_SK_E_clIPfSD_S10_SD_EESH_SX_SI_SJ_SK_EUlSX_E_NS1_11comp_targetILNS1_3genE4ELNS1_11target_archE910ELNS1_3gpuE8ELNS1_3repE0EEENS1_48merge_mergepath_partition_config_static_selectorELNS0_4arch9wavefront6targetE1EEEvSJ_.uses_flat_scratch, 0
	.set _ZN7rocprim17ROCPRIM_400000_NS6detail17trampoline_kernelINS0_14default_configENS1_38merge_sort_block_merge_config_selectorIffEEZZNS1_27merge_sort_block_merge_implIS3_N6thrust23THRUST_200600_302600_NS6detail15normal_iteratorINS8_10device_ptrIfEEEESD_jNS1_19radix_merge_compareILb0ELb0EfNS0_19identity_decomposerEEEEE10hipError_tT0_T1_T2_jT3_P12ihipStream_tbPNSt15iterator_traitsISI_E10value_typeEPNSO_ISJ_E10value_typeEPSK_NS1_7vsmem_tEENKUlT_SI_SJ_SK_E_clIPfSD_S10_SD_EESH_SX_SI_SJ_SK_EUlSX_E_NS1_11comp_targetILNS1_3genE4ELNS1_11target_archE910ELNS1_3gpuE8ELNS1_3repE0EEENS1_48merge_mergepath_partition_config_static_selectorELNS0_4arch9wavefront6targetE1EEEvSJ_.has_dyn_sized_stack, 0
	.set _ZN7rocprim17ROCPRIM_400000_NS6detail17trampoline_kernelINS0_14default_configENS1_38merge_sort_block_merge_config_selectorIffEEZZNS1_27merge_sort_block_merge_implIS3_N6thrust23THRUST_200600_302600_NS6detail15normal_iteratorINS8_10device_ptrIfEEEESD_jNS1_19radix_merge_compareILb0ELb0EfNS0_19identity_decomposerEEEEE10hipError_tT0_T1_T2_jT3_P12ihipStream_tbPNSt15iterator_traitsISI_E10value_typeEPNSO_ISJ_E10value_typeEPSK_NS1_7vsmem_tEENKUlT_SI_SJ_SK_E_clIPfSD_S10_SD_EESH_SX_SI_SJ_SK_EUlSX_E_NS1_11comp_targetILNS1_3genE4ELNS1_11target_archE910ELNS1_3gpuE8ELNS1_3repE0EEENS1_48merge_mergepath_partition_config_static_selectorELNS0_4arch9wavefront6targetE1EEEvSJ_.has_recursion, 0
	.set _ZN7rocprim17ROCPRIM_400000_NS6detail17trampoline_kernelINS0_14default_configENS1_38merge_sort_block_merge_config_selectorIffEEZZNS1_27merge_sort_block_merge_implIS3_N6thrust23THRUST_200600_302600_NS6detail15normal_iteratorINS8_10device_ptrIfEEEESD_jNS1_19radix_merge_compareILb0ELb0EfNS0_19identity_decomposerEEEEE10hipError_tT0_T1_T2_jT3_P12ihipStream_tbPNSt15iterator_traitsISI_E10value_typeEPNSO_ISJ_E10value_typeEPSK_NS1_7vsmem_tEENKUlT_SI_SJ_SK_E_clIPfSD_S10_SD_EESH_SX_SI_SJ_SK_EUlSX_E_NS1_11comp_targetILNS1_3genE4ELNS1_11target_archE910ELNS1_3gpuE8ELNS1_3repE0EEENS1_48merge_mergepath_partition_config_static_selectorELNS0_4arch9wavefront6targetE1EEEvSJ_.has_indirect_call, 0
	.section	.AMDGPU.csdata,"",@progbits
; Kernel info:
; codeLenInByte = 0
; TotalNumSgprs: 6
; NumVgprs: 0
; NumAgprs: 0
; TotalNumVgprs: 0
; ScratchSize: 0
; MemoryBound: 0
; FloatMode: 240
; IeeeMode: 1
; LDSByteSize: 0 bytes/workgroup (compile time only)
; SGPRBlocks: 0
; VGPRBlocks: 0
; NumSGPRsForWavesPerEU: 6
; NumVGPRsForWavesPerEU: 1
; AccumOffset: 4
; Occupancy: 8
; WaveLimiterHint : 0
; COMPUTE_PGM_RSRC2:SCRATCH_EN: 0
; COMPUTE_PGM_RSRC2:USER_SGPR: 2
; COMPUTE_PGM_RSRC2:TRAP_HANDLER: 0
; COMPUTE_PGM_RSRC2:TGID_X_EN: 1
; COMPUTE_PGM_RSRC2:TGID_Y_EN: 0
; COMPUTE_PGM_RSRC2:TGID_Z_EN: 0
; COMPUTE_PGM_RSRC2:TIDIG_COMP_CNT: 0
; COMPUTE_PGM_RSRC3_GFX90A:ACCUM_OFFSET: 0
; COMPUTE_PGM_RSRC3_GFX90A:TG_SPLIT: 0
	.section	.text._ZN7rocprim17ROCPRIM_400000_NS6detail17trampoline_kernelINS0_14default_configENS1_38merge_sort_block_merge_config_selectorIffEEZZNS1_27merge_sort_block_merge_implIS3_N6thrust23THRUST_200600_302600_NS6detail15normal_iteratorINS8_10device_ptrIfEEEESD_jNS1_19radix_merge_compareILb0ELb0EfNS0_19identity_decomposerEEEEE10hipError_tT0_T1_T2_jT3_P12ihipStream_tbPNSt15iterator_traitsISI_E10value_typeEPNSO_ISJ_E10value_typeEPSK_NS1_7vsmem_tEENKUlT_SI_SJ_SK_E_clIPfSD_S10_SD_EESH_SX_SI_SJ_SK_EUlSX_E_NS1_11comp_targetILNS1_3genE3ELNS1_11target_archE908ELNS1_3gpuE7ELNS1_3repE0EEENS1_48merge_mergepath_partition_config_static_selectorELNS0_4arch9wavefront6targetE1EEEvSJ_,"axG",@progbits,_ZN7rocprim17ROCPRIM_400000_NS6detail17trampoline_kernelINS0_14default_configENS1_38merge_sort_block_merge_config_selectorIffEEZZNS1_27merge_sort_block_merge_implIS3_N6thrust23THRUST_200600_302600_NS6detail15normal_iteratorINS8_10device_ptrIfEEEESD_jNS1_19radix_merge_compareILb0ELb0EfNS0_19identity_decomposerEEEEE10hipError_tT0_T1_T2_jT3_P12ihipStream_tbPNSt15iterator_traitsISI_E10value_typeEPNSO_ISJ_E10value_typeEPSK_NS1_7vsmem_tEENKUlT_SI_SJ_SK_E_clIPfSD_S10_SD_EESH_SX_SI_SJ_SK_EUlSX_E_NS1_11comp_targetILNS1_3genE3ELNS1_11target_archE908ELNS1_3gpuE7ELNS1_3repE0EEENS1_48merge_mergepath_partition_config_static_selectorELNS0_4arch9wavefront6targetE1EEEvSJ_,comdat
	.protected	_ZN7rocprim17ROCPRIM_400000_NS6detail17trampoline_kernelINS0_14default_configENS1_38merge_sort_block_merge_config_selectorIffEEZZNS1_27merge_sort_block_merge_implIS3_N6thrust23THRUST_200600_302600_NS6detail15normal_iteratorINS8_10device_ptrIfEEEESD_jNS1_19radix_merge_compareILb0ELb0EfNS0_19identity_decomposerEEEEE10hipError_tT0_T1_T2_jT3_P12ihipStream_tbPNSt15iterator_traitsISI_E10value_typeEPNSO_ISJ_E10value_typeEPSK_NS1_7vsmem_tEENKUlT_SI_SJ_SK_E_clIPfSD_S10_SD_EESH_SX_SI_SJ_SK_EUlSX_E_NS1_11comp_targetILNS1_3genE3ELNS1_11target_archE908ELNS1_3gpuE7ELNS1_3repE0EEENS1_48merge_mergepath_partition_config_static_selectorELNS0_4arch9wavefront6targetE1EEEvSJ_ ; -- Begin function _ZN7rocprim17ROCPRIM_400000_NS6detail17trampoline_kernelINS0_14default_configENS1_38merge_sort_block_merge_config_selectorIffEEZZNS1_27merge_sort_block_merge_implIS3_N6thrust23THRUST_200600_302600_NS6detail15normal_iteratorINS8_10device_ptrIfEEEESD_jNS1_19radix_merge_compareILb0ELb0EfNS0_19identity_decomposerEEEEE10hipError_tT0_T1_T2_jT3_P12ihipStream_tbPNSt15iterator_traitsISI_E10value_typeEPNSO_ISJ_E10value_typeEPSK_NS1_7vsmem_tEENKUlT_SI_SJ_SK_E_clIPfSD_S10_SD_EESH_SX_SI_SJ_SK_EUlSX_E_NS1_11comp_targetILNS1_3genE3ELNS1_11target_archE908ELNS1_3gpuE7ELNS1_3repE0EEENS1_48merge_mergepath_partition_config_static_selectorELNS0_4arch9wavefront6targetE1EEEvSJ_
	.globl	_ZN7rocprim17ROCPRIM_400000_NS6detail17trampoline_kernelINS0_14default_configENS1_38merge_sort_block_merge_config_selectorIffEEZZNS1_27merge_sort_block_merge_implIS3_N6thrust23THRUST_200600_302600_NS6detail15normal_iteratorINS8_10device_ptrIfEEEESD_jNS1_19radix_merge_compareILb0ELb0EfNS0_19identity_decomposerEEEEE10hipError_tT0_T1_T2_jT3_P12ihipStream_tbPNSt15iterator_traitsISI_E10value_typeEPNSO_ISJ_E10value_typeEPSK_NS1_7vsmem_tEENKUlT_SI_SJ_SK_E_clIPfSD_S10_SD_EESH_SX_SI_SJ_SK_EUlSX_E_NS1_11comp_targetILNS1_3genE3ELNS1_11target_archE908ELNS1_3gpuE7ELNS1_3repE0EEENS1_48merge_mergepath_partition_config_static_selectorELNS0_4arch9wavefront6targetE1EEEvSJ_
	.p2align	8
	.type	_ZN7rocprim17ROCPRIM_400000_NS6detail17trampoline_kernelINS0_14default_configENS1_38merge_sort_block_merge_config_selectorIffEEZZNS1_27merge_sort_block_merge_implIS3_N6thrust23THRUST_200600_302600_NS6detail15normal_iteratorINS8_10device_ptrIfEEEESD_jNS1_19radix_merge_compareILb0ELb0EfNS0_19identity_decomposerEEEEE10hipError_tT0_T1_T2_jT3_P12ihipStream_tbPNSt15iterator_traitsISI_E10value_typeEPNSO_ISJ_E10value_typeEPSK_NS1_7vsmem_tEENKUlT_SI_SJ_SK_E_clIPfSD_S10_SD_EESH_SX_SI_SJ_SK_EUlSX_E_NS1_11comp_targetILNS1_3genE3ELNS1_11target_archE908ELNS1_3gpuE7ELNS1_3repE0EEENS1_48merge_mergepath_partition_config_static_selectorELNS0_4arch9wavefront6targetE1EEEvSJ_,@function
_ZN7rocprim17ROCPRIM_400000_NS6detail17trampoline_kernelINS0_14default_configENS1_38merge_sort_block_merge_config_selectorIffEEZZNS1_27merge_sort_block_merge_implIS3_N6thrust23THRUST_200600_302600_NS6detail15normal_iteratorINS8_10device_ptrIfEEEESD_jNS1_19radix_merge_compareILb0ELb0EfNS0_19identity_decomposerEEEEE10hipError_tT0_T1_T2_jT3_P12ihipStream_tbPNSt15iterator_traitsISI_E10value_typeEPNSO_ISJ_E10value_typeEPSK_NS1_7vsmem_tEENKUlT_SI_SJ_SK_E_clIPfSD_S10_SD_EESH_SX_SI_SJ_SK_EUlSX_E_NS1_11comp_targetILNS1_3genE3ELNS1_11target_archE908ELNS1_3gpuE7ELNS1_3repE0EEENS1_48merge_mergepath_partition_config_static_selectorELNS0_4arch9wavefront6targetE1EEEvSJ_: ; @_ZN7rocprim17ROCPRIM_400000_NS6detail17trampoline_kernelINS0_14default_configENS1_38merge_sort_block_merge_config_selectorIffEEZZNS1_27merge_sort_block_merge_implIS3_N6thrust23THRUST_200600_302600_NS6detail15normal_iteratorINS8_10device_ptrIfEEEESD_jNS1_19radix_merge_compareILb0ELb0EfNS0_19identity_decomposerEEEEE10hipError_tT0_T1_T2_jT3_P12ihipStream_tbPNSt15iterator_traitsISI_E10value_typeEPNSO_ISJ_E10value_typeEPSK_NS1_7vsmem_tEENKUlT_SI_SJ_SK_E_clIPfSD_S10_SD_EESH_SX_SI_SJ_SK_EUlSX_E_NS1_11comp_targetILNS1_3genE3ELNS1_11target_archE908ELNS1_3gpuE7ELNS1_3repE0EEENS1_48merge_mergepath_partition_config_static_selectorELNS0_4arch9wavefront6targetE1EEEvSJ_
; %bb.0:
	.section	.rodata,"a",@progbits
	.p2align	6, 0x0
	.amdhsa_kernel _ZN7rocprim17ROCPRIM_400000_NS6detail17trampoline_kernelINS0_14default_configENS1_38merge_sort_block_merge_config_selectorIffEEZZNS1_27merge_sort_block_merge_implIS3_N6thrust23THRUST_200600_302600_NS6detail15normal_iteratorINS8_10device_ptrIfEEEESD_jNS1_19radix_merge_compareILb0ELb0EfNS0_19identity_decomposerEEEEE10hipError_tT0_T1_T2_jT3_P12ihipStream_tbPNSt15iterator_traitsISI_E10value_typeEPNSO_ISJ_E10value_typeEPSK_NS1_7vsmem_tEENKUlT_SI_SJ_SK_E_clIPfSD_S10_SD_EESH_SX_SI_SJ_SK_EUlSX_E_NS1_11comp_targetILNS1_3genE3ELNS1_11target_archE908ELNS1_3gpuE7ELNS1_3repE0EEENS1_48merge_mergepath_partition_config_static_selectorELNS0_4arch9wavefront6targetE1EEEvSJ_
		.amdhsa_group_segment_fixed_size 0
		.amdhsa_private_segment_fixed_size 0
		.amdhsa_kernarg_size 40
		.amdhsa_user_sgpr_count 2
		.amdhsa_user_sgpr_dispatch_ptr 0
		.amdhsa_user_sgpr_queue_ptr 0
		.amdhsa_user_sgpr_kernarg_segment_ptr 1
		.amdhsa_user_sgpr_dispatch_id 0
		.amdhsa_user_sgpr_kernarg_preload_length 0
		.amdhsa_user_sgpr_kernarg_preload_offset 0
		.amdhsa_user_sgpr_private_segment_size 0
		.amdhsa_uses_dynamic_stack 0
		.amdhsa_enable_private_segment 0
		.amdhsa_system_sgpr_workgroup_id_x 1
		.amdhsa_system_sgpr_workgroup_id_y 0
		.amdhsa_system_sgpr_workgroup_id_z 0
		.amdhsa_system_sgpr_workgroup_info 0
		.amdhsa_system_vgpr_workitem_id 0
		.amdhsa_next_free_vgpr 1
		.amdhsa_next_free_sgpr 0
		.amdhsa_accum_offset 4
		.amdhsa_reserve_vcc 0
		.amdhsa_float_round_mode_32 0
		.amdhsa_float_round_mode_16_64 0
		.amdhsa_float_denorm_mode_32 3
		.amdhsa_float_denorm_mode_16_64 3
		.amdhsa_dx10_clamp 1
		.amdhsa_ieee_mode 1
		.amdhsa_fp16_overflow 0
		.amdhsa_tg_split 0
		.amdhsa_exception_fp_ieee_invalid_op 0
		.amdhsa_exception_fp_denorm_src 0
		.amdhsa_exception_fp_ieee_div_zero 0
		.amdhsa_exception_fp_ieee_overflow 0
		.amdhsa_exception_fp_ieee_underflow 0
		.amdhsa_exception_fp_ieee_inexact 0
		.amdhsa_exception_int_div_zero 0
	.end_amdhsa_kernel
	.section	.text._ZN7rocprim17ROCPRIM_400000_NS6detail17trampoline_kernelINS0_14default_configENS1_38merge_sort_block_merge_config_selectorIffEEZZNS1_27merge_sort_block_merge_implIS3_N6thrust23THRUST_200600_302600_NS6detail15normal_iteratorINS8_10device_ptrIfEEEESD_jNS1_19radix_merge_compareILb0ELb0EfNS0_19identity_decomposerEEEEE10hipError_tT0_T1_T2_jT3_P12ihipStream_tbPNSt15iterator_traitsISI_E10value_typeEPNSO_ISJ_E10value_typeEPSK_NS1_7vsmem_tEENKUlT_SI_SJ_SK_E_clIPfSD_S10_SD_EESH_SX_SI_SJ_SK_EUlSX_E_NS1_11comp_targetILNS1_3genE3ELNS1_11target_archE908ELNS1_3gpuE7ELNS1_3repE0EEENS1_48merge_mergepath_partition_config_static_selectorELNS0_4arch9wavefront6targetE1EEEvSJ_,"axG",@progbits,_ZN7rocprim17ROCPRIM_400000_NS6detail17trampoline_kernelINS0_14default_configENS1_38merge_sort_block_merge_config_selectorIffEEZZNS1_27merge_sort_block_merge_implIS3_N6thrust23THRUST_200600_302600_NS6detail15normal_iteratorINS8_10device_ptrIfEEEESD_jNS1_19radix_merge_compareILb0ELb0EfNS0_19identity_decomposerEEEEE10hipError_tT0_T1_T2_jT3_P12ihipStream_tbPNSt15iterator_traitsISI_E10value_typeEPNSO_ISJ_E10value_typeEPSK_NS1_7vsmem_tEENKUlT_SI_SJ_SK_E_clIPfSD_S10_SD_EESH_SX_SI_SJ_SK_EUlSX_E_NS1_11comp_targetILNS1_3genE3ELNS1_11target_archE908ELNS1_3gpuE7ELNS1_3repE0EEENS1_48merge_mergepath_partition_config_static_selectorELNS0_4arch9wavefront6targetE1EEEvSJ_,comdat
.Lfunc_end225:
	.size	_ZN7rocprim17ROCPRIM_400000_NS6detail17trampoline_kernelINS0_14default_configENS1_38merge_sort_block_merge_config_selectorIffEEZZNS1_27merge_sort_block_merge_implIS3_N6thrust23THRUST_200600_302600_NS6detail15normal_iteratorINS8_10device_ptrIfEEEESD_jNS1_19radix_merge_compareILb0ELb0EfNS0_19identity_decomposerEEEEE10hipError_tT0_T1_T2_jT3_P12ihipStream_tbPNSt15iterator_traitsISI_E10value_typeEPNSO_ISJ_E10value_typeEPSK_NS1_7vsmem_tEENKUlT_SI_SJ_SK_E_clIPfSD_S10_SD_EESH_SX_SI_SJ_SK_EUlSX_E_NS1_11comp_targetILNS1_3genE3ELNS1_11target_archE908ELNS1_3gpuE7ELNS1_3repE0EEENS1_48merge_mergepath_partition_config_static_selectorELNS0_4arch9wavefront6targetE1EEEvSJ_, .Lfunc_end225-_ZN7rocprim17ROCPRIM_400000_NS6detail17trampoline_kernelINS0_14default_configENS1_38merge_sort_block_merge_config_selectorIffEEZZNS1_27merge_sort_block_merge_implIS3_N6thrust23THRUST_200600_302600_NS6detail15normal_iteratorINS8_10device_ptrIfEEEESD_jNS1_19radix_merge_compareILb0ELb0EfNS0_19identity_decomposerEEEEE10hipError_tT0_T1_T2_jT3_P12ihipStream_tbPNSt15iterator_traitsISI_E10value_typeEPNSO_ISJ_E10value_typeEPSK_NS1_7vsmem_tEENKUlT_SI_SJ_SK_E_clIPfSD_S10_SD_EESH_SX_SI_SJ_SK_EUlSX_E_NS1_11comp_targetILNS1_3genE3ELNS1_11target_archE908ELNS1_3gpuE7ELNS1_3repE0EEENS1_48merge_mergepath_partition_config_static_selectorELNS0_4arch9wavefront6targetE1EEEvSJ_
                                        ; -- End function
	.set _ZN7rocprim17ROCPRIM_400000_NS6detail17trampoline_kernelINS0_14default_configENS1_38merge_sort_block_merge_config_selectorIffEEZZNS1_27merge_sort_block_merge_implIS3_N6thrust23THRUST_200600_302600_NS6detail15normal_iteratorINS8_10device_ptrIfEEEESD_jNS1_19radix_merge_compareILb0ELb0EfNS0_19identity_decomposerEEEEE10hipError_tT0_T1_T2_jT3_P12ihipStream_tbPNSt15iterator_traitsISI_E10value_typeEPNSO_ISJ_E10value_typeEPSK_NS1_7vsmem_tEENKUlT_SI_SJ_SK_E_clIPfSD_S10_SD_EESH_SX_SI_SJ_SK_EUlSX_E_NS1_11comp_targetILNS1_3genE3ELNS1_11target_archE908ELNS1_3gpuE7ELNS1_3repE0EEENS1_48merge_mergepath_partition_config_static_selectorELNS0_4arch9wavefront6targetE1EEEvSJ_.num_vgpr, 0
	.set _ZN7rocprim17ROCPRIM_400000_NS6detail17trampoline_kernelINS0_14default_configENS1_38merge_sort_block_merge_config_selectorIffEEZZNS1_27merge_sort_block_merge_implIS3_N6thrust23THRUST_200600_302600_NS6detail15normal_iteratorINS8_10device_ptrIfEEEESD_jNS1_19radix_merge_compareILb0ELb0EfNS0_19identity_decomposerEEEEE10hipError_tT0_T1_T2_jT3_P12ihipStream_tbPNSt15iterator_traitsISI_E10value_typeEPNSO_ISJ_E10value_typeEPSK_NS1_7vsmem_tEENKUlT_SI_SJ_SK_E_clIPfSD_S10_SD_EESH_SX_SI_SJ_SK_EUlSX_E_NS1_11comp_targetILNS1_3genE3ELNS1_11target_archE908ELNS1_3gpuE7ELNS1_3repE0EEENS1_48merge_mergepath_partition_config_static_selectorELNS0_4arch9wavefront6targetE1EEEvSJ_.num_agpr, 0
	.set _ZN7rocprim17ROCPRIM_400000_NS6detail17trampoline_kernelINS0_14default_configENS1_38merge_sort_block_merge_config_selectorIffEEZZNS1_27merge_sort_block_merge_implIS3_N6thrust23THRUST_200600_302600_NS6detail15normal_iteratorINS8_10device_ptrIfEEEESD_jNS1_19radix_merge_compareILb0ELb0EfNS0_19identity_decomposerEEEEE10hipError_tT0_T1_T2_jT3_P12ihipStream_tbPNSt15iterator_traitsISI_E10value_typeEPNSO_ISJ_E10value_typeEPSK_NS1_7vsmem_tEENKUlT_SI_SJ_SK_E_clIPfSD_S10_SD_EESH_SX_SI_SJ_SK_EUlSX_E_NS1_11comp_targetILNS1_3genE3ELNS1_11target_archE908ELNS1_3gpuE7ELNS1_3repE0EEENS1_48merge_mergepath_partition_config_static_selectorELNS0_4arch9wavefront6targetE1EEEvSJ_.numbered_sgpr, 0
	.set _ZN7rocprim17ROCPRIM_400000_NS6detail17trampoline_kernelINS0_14default_configENS1_38merge_sort_block_merge_config_selectorIffEEZZNS1_27merge_sort_block_merge_implIS3_N6thrust23THRUST_200600_302600_NS6detail15normal_iteratorINS8_10device_ptrIfEEEESD_jNS1_19radix_merge_compareILb0ELb0EfNS0_19identity_decomposerEEEEE10hipError_tT0_T1_T2_jT3_P12ihipStream_tbPNSt15iterator_traitsISI_E10value_typeEPNSO_ISJ_E10value_typeEPSK_NS1_7vsmem_tEENKUlT_SI_SJ_SK_E_clIPfSD_S10_SD_EESH_SX_SI_SJ_SK_EUlSX_E_NS1_11comp_targetILNS1_3genE3ELNS1_11target_archE908ELNS1_3gpuE7ELNS1_3repE0EEENS1_48merge_mergepath_partition_config_static_selectorELNS0_4arch9wavefront6targetE1EEEvSJ_.num_named_barrier, 0
	.set _ZN7rocprim17ROCPRIM_400000_NS6detail17trampoline_kernelINS0_14default_configENS1_38merge_sort_block_merge_config_selectorIffEEZZNS1_27merge_sort_block_merge_implIS3_N6thrust23THRUST_200600_302600_NS6detail15normal_iteratorINS8_10device_ptrIfEEEESD_jNS1_19radix_merge_compareILb0ELb0EfNS0_19identity_decomposerEEEEE10hipError_tT0_T1_T2_jT3_P12ihipStream_tbPNSt15iterator_traitsISI_E10value_typeEPNSO_ISJ_E10value_typeEPSK_NS1_7vsmem_tEENKUlT_SI_SJ_SK_E_clIPfSD_S10_SD_EESH_SX_SI_SJ_SK_EUlSX_E_NS1_11comp_targetILNS1_3genE3ELNS1_11target_archE908ELNS1_3gpuE7ELNS1_3repE0EEENS1_48merge_mergepath_partition_config_static_selectorELNS0_4arch9wavefront6targetE1EEEvSJ_.private_seg_size, 0
	.set _ZN7rocprim17ROCPRIM_400000_NS6detail17trampoline_kernelINS0_14default_configENS1_38merge_sort_block_merge_config_selectorIffEEZZNS1_27merge_sort_block_merge_implIS3_N6thrust23THRUST_200600_302600_NS6detail15normal_iteratorINS8_10device_ptrIfEEEESD_jNS1_19radix_merge_compareILb0ELb0EfNS0_19identity_decomposerEEEEE10hipError_tT0_T1_T2_jT3_P12ihipStream_tbPNSt15iterator_traitsISI_E10value_typeEPNSO_ISJ_E10value_typeEPSK_NS1_7vsmem_tEENKUlT_SI_SJ_SK_E_clIPfSD_S10_SD_EESH_SX_SI_SJ_SK_EUlSX_E_NS1_11comp_targetILNS1_3genE3ELNS1_11target_archE908ELNS1_3gpuE7ELNS1_3repE0EEENS1_48merge_mergepath_partition_config_static_selectorELNS0_4arch9wavefront6targetE1EEEvSJ_.uses_vcc, 0
	.set _ZN7rocprim17ROCPRIM_400000_NS6detail17trampoline_kernelINS0_14default_configENS1_38merge_sort_block_merge_config_selectorIffEEZZNS1_27merge_sort_block_merge_implIS3_N6thrust23THRUST_200600_302600_NS6detail15normal_iteratorINS8_10device_ptrIfEEEESD_jNS1_19radix_merge_compareILb0ELb0EfNS0_19identity_decomposerEEEEE10hipError_tT0_T1_T2_jT3_P12ihipStream_tbPNSt15iterator_traitsISI_E10value_typeEPNSO_ISJ_E10value_typeEPSK_NS1_7vsmem_tEENKUlT_SI_SJ_SK_E_clIPfSD_S10_SD_EESH_SX_SI_SJ_SK_EUlSX_E_NS1_11comp_targetILNS1_3genE3ELNS1_11target_archE908ELNS1_3gpuE7ELNS1_3repE0EEENS1_48merge_mergepath_partition_config_static_selectorELNS0_4arch9wavefront6targetE1EEEvSJ_.uses_flat_scratch, 0
	.set _ZN7rocprim17ROCPRIM_400000_NS6detail17trampoline_kernelINS0_14default_configENS1_38merge_sort_block_merge_config_selectorIffEEZZNS1_27merge_sort_block_merge_implIS3_N6thrust23THRUST_200600_302600_NS6detail15normal_iteratorINS8_10device_ptrIfEEEESD_jNS1_19radix_merge_compareILb0ELb0EfNS0_19identity_decomposerEEEEE10hipError_tT0_T1_T2_jT3_P12ihipStream_tbPNSt15iterator_traitsISI_E10value_typeEPNSO_ISJ_E10value_typeEPSK_NS1_7vsmem_tEENKUlT_SI_SJ_SK_E_clIPfSD_S10_SD_EESH_SX_SI_SJ_SK_EUlSX_E_NS1_11comp_targetILNS1_3genE3ELNS1_11target_archE908ELNS1_3gpuE7ELNS1_3repE0EEENS1_48merge_mergepath_partition_config_static_selectorELNS0_4arch9wavefront6targetE1EEEvSJ_.has_dyn_sized_stack, 0
	.set _ZN7rocprim17ROCPRIM_400000_NS6detail17trampoline_kernelINS0_14default_configENS1_38merge_sort_block_merge_config_selectorIffEEZZNS1_27merge_sort_block_merge_implIS3_N6thrust23THRUST_200600_302600_NS6detail15normal_iteratorINS8_10device_ptrIfEEEESD_jNS1_19radix_merge_compareILb0ELb0EfNS0_19identity_decomposerEEEEE10hipError_tT0_T1_T2_jT3_P12ihipStream_tbPNSt15iterator_traitsISI_E10value_typeEPNSO_ISJ_E10value_typeEPSK_NS1_7vsmem_tEENKUlT_SI_SJ_SK_E_clIPfSD_S10_SD_EESH_SX_SI_SJ_SK_EUlSX_E_NS1_11comp_targetILNS1_3genE3ELNS1_11target_archE908ELNS1_3gpuE7ELNS1_3repE0EEENS1_48merge_mergepath_partition_config_static_selectorELNS0_4arch9wavefront6targetE1EEEvSJ_.has_recursion, 0
	.set _ZN7rocprim17ROCPRIM_400000_NS6detail17trampoline_kernelINS0_14default_configENS1_38merge_sort_block_merge_config_selectorIffEEZZNS1_27merge_sort_block_merge_implIS3_N6thrust23THRUST_200600_302600_NS6detail15normal_iteratorINS8_10device_ptrIfEEEESD_jNS1_19radix_merge_compareILb0ELb0EfNS0_19identity_decomposerEEEEE10hipError_tT0_T1_T2_jT3_P12ihipStream_tbPNSt15iterator_traitsISI_E10value_typeEPNSO_ISJ_E10value_typeEPSK_NS1_7vsmem_tEENKUlT_SI_SJ_SK_E_clIPfSD_S10_SD_EESH_SX_SI_SJ_SK_EUlSX_E_NS1_11comp_targetILNS1_3genE3ELNS1_11target_archE908ELNS1_3gpuE7ELNS1_3repE0EEENS1_48merge_mergepath_partition_config_static_selectorELNS0_4arch9wavefront6targetE1EEEvSJ_.has_indirect_call, 0
	.section	.AMDGPU.csdata,"",@progbits
; Kernel info:
; codeLenInByte = 0
; TotalNumSgprs: 6
; NumVgprs: 0
; NumAgprs: 0
; TotalNumVgprs: 0
; ScratchSize: 0
; MemoryBound: 0
; FloatMode: 240
; IeeeMode: 1
; LDSByteSize: 0 bytes/workgroup (compile time only)
; SGPRBlocks: 0
; VGPRBlocks: 0
; NumSGPRsForWavesPerEU: 6
; NumVGPRsForWavesPerEU: 1
; AccumOffset: 4
; Occupancy: 8
; WaveLimiterHint : 0
; COMPUTE_PGM_RSRC2:SCRATCH_EN: 0
; COMPUTE_PGM_RSRC2:USER_SGPR: 2
; COMPUTE_PGM_RSRC2:TRAP_HANDLER: 0
; COMPUTE_PGM_RSRC2:TGID_X_EN: 1
; COMPUTE_PGM_RSRC2:TGID_Y_EN: 0
; COMPUTE_PGM_RSRC2:TGID_Z_EN: 0
; COMPUTE_PGM_RSRC2:TIDIG_COMP_CNT: 0
; COMPUTE_PGM_RSRC3_GFX90A:ACCUM_OFFSET: 0
; COMPUTE_PGM_RSRC3_GFX90A:TG_SPLIT: 0
	.section	.text._ZN7rocprim17ROCPRIM_400000_NS6detail17trampoline_kernelINS0_14default_configENS1_38merge_sort_block_merge_config_selectorIffEEZZNS1_27merge_sort_block_merge_implIS3_N6thrust23THRUST_200600_302600_NS6detail15normal_iteratorINS8_10device_ptrIfEEEESD_jNS1_19radix_merge_compareILb0ELb0EfNS0_19identity_decomposerEEEEE10hipError_tT0_T1_T2_jT3_P12ihipStream_tbPNSt15iterator_traitsISI_E10value_typeEPNSO_ISJ_E10value_typeEPSK_NS1_7vsmem_tEENKUlT_SI_SJ_SK_E_clIPfSD_S10_SD_EESH_SX_SI_SJ_SK_EUlSX_E_NS1_11comp_targetILNS1_3genE2ELNS1_11target_archE906ELNS1_3gpuE6ELNS1_3repE0EEENS1_48merge_mergepath_partition_config_static_selectorELNS0_4arch9wavefront6targetE1EEEvSJ_,"axG",@progbits,_ZN7rocprim17ROCPRIM_400000_NS6detail17trampoline_kernelINS0_14default_configENS1_38merge_sort_block_merge_config_selectorIffEEZZNS1_27merge_sort_block_merge_implIS3_N6thrust23THRUST_200600_302600_NS6detail15normal_iteratorINS8_10device_ptrIfEEEESD_jNS1_19radix_merge_compareILb0ELb0EfNS0_19identity_decomposerEEEEE10hipError_tT0_T1_T2_jT3_P12ihipStream_tbPNSt15iterator_traitsISI_E10value_typeEPNSO_ISJ_E10value_typeEPSK_NS1_7vsmem_tEENKUlT_SI_SJ_SK_E_clIPfSD_S10_SD_EESH_SX_SI_SJ_SK_EUlSX_E_NS1_11comp_targetILNS1_3genE2ELNS1_11target_archE906ELNS1_3gpuE6ELNS1_3repE0EEENS1_48merge_mergepath_partition_config_static_selectorELNS0_4arch9wavefront6targetE1EEEvSJ_,comdat
	.protected	_ZN7rocprim17ROCPRIM_400000_NS6detail17trampoline_kernelINS0_14default_configENS1_38merge_sort_block_merge_config_selectorIffEEZZNS1_27merge_sort_block_merge_implIS3_N6thrust23THRUST_200600_302600_NS6detail15normal_iteratorINS8_10device_ptrIfEEEESD_jNS1_19radix_merge_compareILb0ELb0EfNS0_19identity_decomposerEEEEE10hipError_tT0_T1_T2_jT3_P12ihipStream_tbPNSt15iterator_traitsISI_E10value_typeEPNSO_ISJ_E10value_typeEPSK_NS1_7vsmem_tEENKUlT_SI_SJ_SK_E_clIPfSD_S10_SD_EESH_SX_SI_SJ_SK_EUlSX_E_NS1_11comp_targetILNS1_3genE2ELNS1_11target_archE906ELNS1_3gpuE6ELNS1_3repE0EEENS1_48merge_mergepath_partition_config_static_selectorELNS0_4arch9wavefront6targetE1EEEvSJ_ ; -- Begin function _ZN7rocprim17ROCPRIM_400000_NS6detail17trampoline_kernelINS0_14default_configENS1_38merge_sort_block_merge_config_selectorIffEEZZNS1_27merge_sort_block_merge_implIS3_N6thrust23THRUST_200600_302600_NS6detail15normal_iteratorINS8_10device_ptrIfEEEESD_jNS1_19radix_merge_compareILb0ELb0EfNS0_19identity_decomposerEEEEE10hipError_tT0_T1_T2_jT3_P12ihipStream_tbPNSt15iterator_traitsISI_E10value_typeEPNSO_ISJ_E10value_typeEPSK_NS1_7vsmem_tEENKUlT_SI_SJ_SK_E_clIPfSD_S10_SD_EESH_SX_SI_SJ_SK_EUlSX_E_NS1_11comp_targetILNS1_3genE2ELNS1_11target_archE906ELNS1_3gpuE6ELNS1_3repE0EEENS1_48merge_mergepath_partition_config_static_selectorELNS0_4arch9wavefront6targetE1EEEvSJ_
	.globl	_ZN7rocprim17ROCPRIM_400000_NS6detail17trampoline_kernelINS0_14default_configENS1_38merge_sort_block_merge_config_selectorIffEEZZNS1_27merge_sort_block_merge_implIS3_N6thrust23THRUST_200600_302600_NS6detail15normal_iteratorINS8_10device_ptrIfEEEESD_jNS1_19radix_merge_compareILb0ELb0EfNS0_19identity_decomposerEEEEE10hipError_tT0_T1_T2_jT3_P12ihipStream_tbPNSt15iterator_traitsISI_E10value_typeEPNSO_ISJ_E10value_typeEPSK_NS1_7vsmem_tEENKUlT_SI_SJ_SK_E_clIPfSD_S10_SD_EESH_SX_SI_SJ_SK_EUlSX_E_NS1_11comp_targetILNS1_3genE2ELNS1_11target_archE906ELNS1_3gpuE6ELNS1_3repE0EEENS1_48merge_mergepath_partition_config_static_selectorELNS0_4arch9wavefront6targetE1EEEvSJ_
	.p2align	8
	.type	_ZN7rocprim17ROCPRIM_400000_NS6detail17trampoline_kernelINS0_14default_configENS1_38merge_sort_block_merge_config_selectorIffEEZZNS1_27merge_sort_block_merge_implIS3_N6thrust23THRUST_200600_302600_NS6detail15normal_iteratorINS8_10device_ptrIfEEEESD_jNS1_19radix_merge_compareILb0ELb0EfNS0_19identity_decomposerEEEEE10hipError_tT0_T1_T2_jT3_P12ihipStream_tbPNSt15iterator_traitsISI_E10value_typeEPNSO_ISJ_E10value_typeEPSK_NS1_7vsmem_tEENKUlT_SI_SJ_SK_E_clIPfSD_S10_SD_EESH_SX_SI_SJ_SK_EUlSX_E_NS1_11comp_targetILNS1_3genE2ELNS1_11target_archE906ELNS1_3gpuE6ELNS1_3repE0EEENS1_48merge_mergepath_partition_config_static_selectorELNS0_4arch9wavefront6targetE1EEEvSJ_,@function
_ZN7rocprim17ROCPRIM_400000_NS6detail17trampoline_kernelINS0_14default_configENS1_38merge_sort_block_merge_config_selectorIffEEZZNS1_27merge_sort_block_merge_implIS3_N6thrust23THRUST_200600_302600_NS6detail15normal_iteratorINS8_10device_ptrIfEEEESD_jNS1_19radix_merge_compareILb0ELb0EfNS0_19identity_decomposerEEEEE10hipError_tT0_T1_T2_jT3_P12ihipStream_tbPNSt15iterator_traitsISI_E10value_typeEPNSO_ISJ_E10value_typeEPSK_NS1_7vsmem_tEENKUlT_SI_SJ_SK_E_clIPfSD_S10_SD_EESH_SX_SI_SJ_SK_EUlSX_E_NS1_11comp_targetILNS1_3genE2ELNS1_11target_archE906ELNS1_3gpuE6ELNS1_3repE0EEENS1_48merge_mergepath_partition_config_static_selectorELNS0_4arch9wavefront6targetE1EEEvSJ_: ; @_ZN7rocprim17ROCPRIM_400000_NS6detail17trampoline_kernelINS0_14default_configENS1_38merge_sort_block_merge_config_selectorIffEEZZNS1_27merge_sort_block_merge_implIS3_N6thrust23THRUST_200600_302600_NS6detail15normal_iteratorINS8_10device_ptrIfEEEESD_jNS1_19radix_merge_compareILb0ELb0EfNS0_19identity_decomposerEEEEE10hipError_tT0_T1_T2_jT3_P12ihipStream_tbPNSt15iterator_traitsISI_E10value_typeEPNSO_ISJ_E10value_typeEPSK_NS1_7vsmem_tEENKUlT_SI_SJ_SK_E_clIPfSD_S10_SD_EESH_SX_SI_SJ_SK_EUlSX_E_NS1_11comp_targetILNS1_3genE2ELNS1_11target_archE906ELNS1_3gpuE6ELNS1_3repE0EEENS1_48merge_mergepath_partition_config_static_selectorELNS0_4arch9wavefront6targetE1EEEvSJ_
; %bb.0:
	.section	.rodata,"a",@progbits
	.p2align	6, 0x0
	.amdhsa_kernel _ZN7rocprim17ROCPRIM_400000_NS6detail17trampoline_kernelINS0_14default_configENS1_38merge_sort_block_merge_config_selectorIffEEZZNS1_27merge_sort_block_merge_implIS3_N6thrust23THRUST_200600_302600_NS6detail15normal_iteratorINS8_10device_ptrIfEEEESD_jNS1_19radix_merge_compareILb0ELb0EfNS0_19identity_decomposerEEEEE10hipError_tT0_T1_T2_jT3_P12ihipStream_tbPNSt15iterator_traitsISI_E10value_typeEPNSO_ISJ_E10value_typeEPSK_NS1_7vsmem_tEENKUlT_SI_SJ_SK_E_clIPfSD_S10_SD_EESH_SX_SI_SJ_SK_EUlSX_E_NS1_11comp_targetILNS1_3genE2ELNS1_11target_archE906ELNS1_3gpuE6ELNS1_3repE0EEENS1_48merge_mergepath_partition_config_static_selectorELNS0_4arch9wavefront6targetE1EEEvSJ_
		.amdhsa_group_segment_fixed_size 0
		.amdhsa_private_segment_fixed_size 0
		.amdhsa_kernarg_size 40
		.amdhsa_user_sgpr_count 2
		.amdhsa_user_sgpr_dispatch_ptr 0
		.amdhsa_user_sgpr_queue_ptr 0
		.amdhsa_user_sgpr_kernarg_segment_ptr 1
		.amdhsa_user_sgpr_dispatch_id 0
		.amdhsa_user_sgpr_kernarg_preload_length 0
		.amdhsa_user_sgpr_kernarg_preload_offset 0
		.amdhsa_user_sgpr_private_segment_size 0
		.amdhsa_uses_dynamic_stack 0
		.amdhsa_enable_private_segment 0
		.amdhsa_system_sgpr_workgroup_id_x 1
		.amdhsa_system_sgpr_workgroup_id_y 0
		.amdhsa_system_sgpr_workgroup_id_z 0
		.amdhsa_system_sgpr_workgroup_info 0
		.amdhsa_system_vgpr_workitem_id 0
		.amdhsa_next_free_vgpr 1
		.amdhsa_next_free_sgpr 0
		.amdhsa_accum_offset 4
		.amdhsa_reserve_vcc 0
		.amdhsa_float_round_mode_32 0
		.amdhsa_float_round_mode_16_64 0
		.amdhsa_float_denorm_mode_32 3
		.amdhsa_float_denorm_mode_16_64 3
		.amdhsa_dx10_clamp 1
		.amdhsa_ieee_mode 1
		.amdhsa_fp16_overflow 0
		.amdhsa_tg_split 0
		.amdhsa_exception_fp_ieee_invalid_op 0
		.amdhsa_exception_fp_denorm_src 0
		.amdhsa_exception_fp_ieee_div_zero 0
		.amdhsa_exception_fp_ieee_overflow 0
		.amdhsa_exception_fp_ieee_underflow 0
		.amdhsa_exception_fp_ieee_inexact 0
		.amdhsa_exception_int_div_zero 0
	.end_amdhsa_kernel
	.section	.text._ZN7rocprim17ROCPRIM_400000_NS6detail17trampoline_kernelINS0_14default_configENS1_38merge_sort_block_merge_config_selectorIffEEZZNS1_27merge_sort_block_merge_implIS3_N6thrust23THRUST_200600_302600_NS6detail15normal_iteratorINS8_10device_ptrIfEEEESD_jNS1_19radix_merge_compareILb0ELb0EfNS0_19identity_decomposerEEEEE10hipError_tT0_T1_T2_jT3_P12ihipStream_tbPNSt15iterator_traitsISI_E10value_typeEPNSO_ISJ_E10value_typeEPSK_NS1_7vsmem_tEENKUlT_SI_SJ_SK_E_clIPfSD_S10_SD_EESH_SX_SI_SJ_SK_EUlSX_E_NS1_11comp_targetILNS1_3genE2ELNS1_11target_archE906ELNS1_3gpuE6ELNS1_3repE0EEENS1_48merge_mergepath_partition_config_static_selectorELNS0_4arch9wavefront6targetE1EEEvSJ_,"axG",@progbits,_ZN7rocprim17ROCPRIM_400000_NS6detail17trampoline_kernelINS0_14default_configENS1_38merge_sort_block_merge_config_selectorIffEEZZNS1_27merge_sort_block_merge_implIS3_N6thrust23THRUST_200600_302600_NS6detail15normal_iteratorINS8_10device_ptrIfEEEESD_jNS1_19radix_merge_compareILb0ELb0EfNS0_19identity_decomposerEEEEE10hipError_tT0_T1_T2_jT3_P12ihipStream_tbPNSt15iterator_traitsISI_E10value_typeEPNSO_ISJ_E10value_typeEPSK_NS1_7vsmem_tEENKUlT_SI_SJ_SK_E_clIPfSD_S10_SD_EESH_SX_SI_SJ_SK_EUlSX_E_NS1_11comp_targetILNS1_3genE2ELNS1_11target_archE906ELNS1_3gpuE6ELNS1_3repE0EEENS1_48merge_mergepath_partition_config_static_selectorELNS0_4arch9wavefront6targetE1EEEvSJ_,comdat
.Lfunc_end226:
	.size	_ZN7rocprim17ROCPRIM_400000_NS6detail17trampoline_kernelINS0_14default_configENS1_38merge_sort_block_merge_config_selectorIffEEZZNS1_27merge_sort_block_merge_implIS3_N6thrust23THRUST_200600_302600_NS6detail15normal_iteratorINS8_10device_ptrIfEEEESD_jNS1_19radix_merge_compareILb0ELb0EfNS0_19identity_decomposerEEEEE10hipError_tT0_T1_T2_jT3_P12ihipStream_tbPNSt15iterator_traitsISI_E10value_typeEPNSO_ISJ_E10value_typeEPSK_NS1_7vsmem_tEENKUlT_SI_SJ_SK_E_clIPfSD_S10_SD_EESH_SX_SI_SJ_SK_EUlSX_E_NS1_11comp_targetILNS1_3genE2ELNS1_11target_archE906ELNS1_3gpuE6ELNS1_3repE0EEENS1_48merge_mergepath_partition_config_static_selectorELNS0_4arch9wavefront6targetE1EEEvSJ_, .Lfunc_end226-_ZN7rocprim17ROCPRIM_400000_NS6detail17trampoline_kernelINS0_14default_configENS1_38merge_sort_block_merge_config_selectorIffEEZZNS1_27merge_sort_block_merge_implIS3_N6thrust23THRUST_200600_302600_NS6detail15normal_iteratorINS8_10device_ptrIfEEEESD_jNS1_19radix_merge_compareILb0ELb0EfNS0_19identity_decomposerEEEEE10hipError_tT0_T1_T2_jT3_P12ihipStream_tbPNSt15iterator_traitsISI_E10value_typeEPNSO_ISJ_E10value_typeEPSK_NS1_7vsmem_tEENKUlT_SI_SJ_SK_E_clIPfSD_S10_SD_EESH_SX_SI_SJ_SK_EUlSX_E_NS1_11comp_targetILNS1_3genE2ELNS1_11target_archE906ELNS1_3gpuE6ELNS1_3repE0EEENS1_48merge_mergepath_partition_config_static_selectorELNS0_4arch9wavefront6targetE1EEEvSJ_
                                        ; -- End function
	.set _ZN7rocprim17ROCPRIM_400000_NS6detail17trampoline_kernelINS0_14default_configENS1_38merge_sort_block_merge_config_selectorIffEEZZNS1_27merge_sort_block_merge_implIS3_N6thrust23THRUST_200600_302600_NS6detail15normal_iteratorINS8_10device_ptrIfEEEESD_jNS1_19radix_merge_compareILb0ELb0EfNS0_19identity_decomposerEEEEE10hipError_tT0_T1_T2_jT3_P12ihipStream_tbPNSt15iterator_traitsISI_E10value_typeEPNSO_ISJ_E10value_typeEPSK_NS1_7vsmem_tEENKUlT_SI_SJ_SK_E_clIPfSD_S10_SD_EESH_SX_SI_SJ_SK_EUlSX_E_NS1_11comp_targetILNS1_3genE2ELNS1_11target_archE906ELNS1_3gpuE6ELNS1_3repE0EEENS1_48merge_mergepath_partition_config_static_selectorELNS0_4arch9wavefront6targetE1EEEvSJ_.num_vgpr, 0
	.set _ZN7rocprim17ROCPRIM_400000_NS6detail17trampoline_kernelINS0_14default_configENS1_38merge_sort_block_merge_config_selectorIffEEZZNS1_27merge_sort_block_merge_implIS3_N6thrust23THRUST_200600_302600_NS6detail15normal_iteratorINS8_10device_ptrIfEEEESD_jNS1_19radix_merge_compareILb0ELb0EfNS0_19identity_decomposerEEEEE10hipError_tT0_T1_T2_jT3_P12ihipStream_tbPNSt15iterator_traitsISI_E10value_typeEPNSO_ISJ_E10value_typeEPSK_NS1_7vsmem_tEENKUlT_SI_SJ_SK_E_clIPfSD_S10_SD_EESH_SX_SI_SJ_SK_EUlSX_E_NS1_11comp_targetILNS1_3genE2ELNS1_11target_archE906ELNS1_3gpuE6ELNS1_3repE0EEENS1_48merge_mergepath_partition_config_static_selectorELNS0_4arch9wavefront6targetE1EEEvSJ_.num_agpr, 0
	.set _ZN7rocprim17ROCPRIM_400000_NS6detail17trampoline_kernelINS0_14default_configENS1_38merge_sort_block_merge_config_selectorIffEEZZNS1_27merge_sort_block_merge_implIS3_N6thrust23THRUST_200600_302600_NS6detail15normal_iteratorINS8_10device_ptrIfEEEESD_jNS1_19radix_merge_compareILb0ELb0EfNS0_19identity_decomposerEEEEE10hipError_tT0_T1_T2_jT3_P12ihipStream_tbPNSt15iterator_traitsISI_E10value_typeEPNSO_ISJ_E10value_typeEPSK_NS1_7vsmem_tEENKUlT_SI_SJ_SK_E_clIPfSD_S10_SD_EESH_SX_SI_SJ_SK_EUlSX_E_NS1_11comp_targetILNS1_3genE2ELNS1_11target_archE906ELNS1_3gpuE6ELNS1_3repE0EEENS1_48merge_mergepath_partition_config_static_selectorELNS0_4arch9wavefront6targetE1EEEvSJ_.numbered_sgpr, 0
	.set _ZN7rocprim17ROCPRIM_400000_NS6detail17trampoline_kernelINS0_14default_configENS1_38merge_sort_block_merge_config_selectorIffEEZZNS1_27merge_sort_block_merge_implIS3_N6thrust23THRUST_200600_302600_NS6detail15normal_iteratorINS8_10device_ptrIfEEEESD_jNS1_19radix_merge_compareILb0ELb0EfNS0_19identity_decomposerEEEEE10hipError_tT0_T1_T2_jT3_P12ihipStream_tbPNSt15iterator_traitsISI_E10value_typeEPNSO_ISJ_E10value_typeEPSK_NS1_7vsmem_tEENKUlT_SI_SJ_SK_E_clIPfSD_S10_SD_EESH_SX_SI_SJ_SK_EUlSX_E_NS1_11comp_targetILNS1_3genE2ELNS1_11target_archE906ELNS1_3gpuE6ELNS1_3repE0EEENS1_48merge_mergepath_partition_config_static_selectorELNS0_4arch9wavefront6targetE1EEEvSJ_.num_named_barrier, 0
	.set _ZN7rocprim17ROCPRIM_400000_NS6detail17trampoline_kernelINS0_14default_configENS1_38merge_sort_block_merge_config_selectorIffEEZZNS1_27merge_sort_block_merge_implIS3_N6thrust23THRUST_200600_302600_NS6detail15normal_iteratorINS8_10device_ptrIfEEEESD_jNS1_19radix_merge_compareILb0ELb0EfNS0_19identity_decomposerEEEEE10hipError_tT0_T1_T2_jT3_P12ihipStream_tbPNSt15iterator_traitsISI_E10value_typeEPNSO_ISJ_E10value_typeEPSK_NS1_7vsmem_tEENKUlT_SI_SJ_SK_E_clIPfSD_S10_SD_EESH_SX_SI_SJ_SK_EUlSX_E_NS1_11comp_targetILNS1_3genE2ELNS1_11target_archE906ELNS1_3gpuE6ELNS1_3repE0EEENS1_48merge_mergepath_partition_config_static_selectorELNS0_4arch9wavefront6targetE1EEEvSJ_.private_seg_size, 0
	.set _ZN7rocprim17ROCPRIM_400000_NS6detail17trampoline_kernelINS0_14default_configENS1_38merge_sort_block_merge_config_selectorIffEEZZNS1_27merge_sort_block_merge_implIS3_N6thrust23THRUST_200600_302600_NS6detail15normal_iteratorINS8_10device_ptrIfEEEESD_jNS1_19radix_merge_compareILb0ELb0EfNS0_19identity_decomposerEEEEE10hipError_tT0_T1_T2_jT3_P12ihipStream_tbPNSt15iterator_traitsISI_E10value_typeEPNSO_ISJ_E10value_typeEPSK_NS1_7vsmem_tEENKUlT_SI_SJ_SK_E_clIPfSD_S10_SD_EESH_SX_SI_SJ_SK_EUlSX_E_NS1_11comp_targetILNS1_3genE2ELNS1_11target_archE906ELNS1_3gpuE6ELNS1_3repE0EEENS1_48merge_mergepath_partition_config_static_selectorELNS0_4arch9wavefront6targetE1EEEvSJ_.uses_vcc, 0
	.set _ZN7rocprim17ROCPRIM_400000_NS6detail17trampoline_kernelINS0_14default_configENS1_38merge_sort_block_merge_config_selectorIffEEZZNS1_27merge_sort_block_merge_implIS3_N6thrust23THRUST_200600_302600_NS6detail15normal_iteratorINS8_10device_ptrIfEEEESD_jNS1_19radix_merge_compareILb0ELb0EfNS0_19identity_decomposerEEEEE10hipError_tT0_T1_T2_jT3_P12ihipStream_tbPNSt15iterator_traitsISI_E10value_typeEPNSO_ISJ_E10value_typeEPSK_NS1_7vsmem_tEENKUlT_SI_SJ_SK_E_clIPfSD_S10_SD_EESH_SX_SI_SJ_SK_EUlSX_E_NS1_11comp_targetILNS1_3genE2ELNS1_11target_archE906ELNS1_3gpuE6ELNS1_3repE0EEENS1_48merge_mergepath_partition_config_static_selectorELNS0_4arch9wavefront6targetE1EEEvSJ_.uses_flat_scratch, 0
	.set _ZN7rocprim17ROCPRIM_400000_NS6detail17trampoline_kernelINS0_14default_configENS1_38merge_sort_block_merge_config_selectorIffEEZZNS1_27merge_sort_block_merge_implIS3_N6thrust23THRUST_200600_302600_NS6detail15normal_iteratorINS8_10device_ptrIfEEEESD_jNS1_19radix_merge_compareILb0ELb0EfNS0_19identity_decomposerEEEEE10hipError_tT0_T1_T2_jT3_P12ihipStream_tbPNSt15iterator_traitsISI_E10value_typeEPNSO_ISJ_E10value_typeEPSK_NS1_7vsmem_tEENKUlT_SI_SJ_SK_E_clIPfSD_S10_SD_EESH_SX_SI_SJ_SK_EUlSX_E_NS1_11comp_targetILNS1_3genE2ELNS1_11target_archE906ELNS1_3gpuE6ELNS1_3repE0EEENS1_48merge_mergepath_partition_config_static_selectorELNS0_4arch9wavefront6targetE1EEEvSJ_.has_dyn_sized_stack, 0
	.set _ZN7rocprim17ROCPRIM_400000_NS6detail17trampoline_kernelINS0_14default_configENS1_38merge_sort_block_merge_config_selectorIffEEZZNS1_27merge_sort_block_merge_implIS3_N6thrust23THRUST_200600_302600_NS6detail15normal_iteratorINS8_10device_ptrIfEEEESD_jNS1_19radix_merge_compareILb0ELb0EfNS0_19identity_decomposerEEEEE10hipError_tT0_T1_T2_jT3_P12ihipStream_tbPNSt15iterator_traitsISI_E10value_typeEPNSO_ISJ_E10value_typeEPSK_NS1_7vsmem_tEENKUlT_SI_SJ_SK_E_clIPfSD_S10_SD_EESH_SX_SI_SJ_SK_EUlSX_E_NS1_11comp_targetILNS1_3genE2ELNS1_11target_archE906ELNS1_3gpuE6ELNS1_3repE0EEENS1_48merge_mergepath_partition_config_static_selectorELNS0_4arch9wavefront6targetE1EEEvSJ_.has_recursion, 0
	.set _ZN7rocprim17ROCPRIM_400000_NS6detail17trampoline_kernelINS0_14default_configENS1_38merge_sort_block_merge_config_selectorIffEEZZNS1_27merge_sort_block_merge_implIS3_N6thrust23THRUST_200600_302600_NS6detail15normal_iteratorINS8_10device_ptrIfEEEESD_jNS1_19radix_merge_compareILb0ELb0EfNS0_19identity_decomposerEEEEE10hipError_tT0_T1_T2_jT3_P12ihipStream_tbPNSt15iterator_traitsISI_E10value_typeEPNSO_ISJ_E10value_typeEPSK_NS1_7vsmem_tEENKUlT_SI_SJ_SK_E_clIPfSD_S10_SD_EESH_SX_SI_SJ_SK_EUlSX_E_NS1_11comp_targetILNS1_3genE2ELNS1_11target_archE906ELNS1_3gpuE6ELNS1_3repE0EEENS1_48merge_mergepath_partition_config_static_selectorELNS0_4arch9wavefront6targetE1EEEvSJ_.has_indirect_call, 0
	.section	.AMDGPU.csdata,"",@progbits
; Kernel info:
; codeLenInByte = 0
; TotalNumSgprs: 6
; NumVgprs: 0
; NumAgprs: 0
; TotalNumVgprs: 0
; ScratchSize: 0
; MemoryBound: 0
; FloatMode: 240
; IeeeMode: 1
; LDSByteSize: 0 bytes/workgroup (compile time only)
; SGPRBlocks: 0
; VGPRBlocks: 0
; NumSGPRsForWavesPerEU: 6
; NumVGPRsForWavesPerEU: 1
; AccumOffset: 4
; Occupancy: 8
; WaveLimiterHint : 0
; COMPUTE_PGM_RSRC2:SCRATCH_EN: 0
; COMPUTE_PGM_RSRC2:USER_SGPR: 2
; COMPUTE_PGM_RSRC2:TRAP_HANDLER: 0
; COMPUTE_PGM_RSRC2:TGID_X_EN: 1
; COMPUTE_PGM_RSRC2:TGID_Y_EN: 0
; COMPUTE_PGM_RSRC2:TGID_Z_EN: 0
; COMPUTE_PGM_RSRC2:TIDIG_COMP_CNT: 0
; COMPUTE_PGM_RSRC3_GFX90A:ACCUM_OFFSET: 0
; COMPUTE_PGM_RSRC3_GFX90A:TG_SPLIT: 0
	.section	.text._ZN7rocprim17ROCPRIM_400000_NS6detail17trampoline_kernelINS0_14default_configENS1_38merge_sort_block_merge_config_selectorIffEEZZNS1_27merge_sort_block_merge_implIS3_N6thrust23THRUST_200600_302600_NS6detail15normal_iteratorINS8_10device_ptrIfEEEESD_jNS1_19radix_merge_compareILb0ELb0EfNS0_19identity_decomposerEEEEE10hipError_tT0_T1_T2_jT3_P12ihipStream_tbPNSt15iterator_traitsISI_E10value_typeEPNSO_ISJ_E10value_typeEPSK_NS1_7vsmem_tEENKUlT_SI_SJ_SK_E_clIPfSD_S10_SD_EESH_SX_SI_SJ_SK_EUlSX_E_NS1_11comp_targetILNS1_3genE9ELNS1_11target_archE1100ELNS1_3gpuE3ELNS1_3repE0EEENS1_48merge_mergepath_partition_config_static_selectorELNS0_4arch9wavefront6targetE1EEEvSJ_,"axG",@progbits,_ZN7rocprim17ROCPRIM_400000_NS6detail17trampoline_kernelINS0_14default_configENS1_38merge_sort_block_merge_config_selectorIffEEZZNS1_27merge_sort_block_merge_implIS3_N6thrust23THRUST_200600_302600_NS6detail15normal_iteratorINS8_10device_ptrIfEEEESD_jNS1_19radix_merge_compareILb0ELb0EfNS0_19identity_decomposerEEEEE10hipError_tT0_T1_T2_jT3_P12ihipStream_tbPNSt15iterator_traitsISI_E10value_typeEPNSO_ISJ_E10value_typeEPSK_NS1_7vsmem_tEENKUlT_SI_SJ_SK_E_clIPfSD_S10_SD_EESH_SX_SI_SJ_SK_EUlSX_E_NS1_11comp_targetILNS1_3genE9ELNS1_11target_archE1100ELNS1_3gpuE3ELNS1_3repE0EEENS1_48merge_mergepath_partition_config_static_selectorELNS0_4arch9wavefront6targetE1EEEvSJ_,comdat
	.protected	_ZN7rocprim17ROCPRIM_400000_NS6detail17trampoline_kernelINS0_14default_configENS1_38merge_sort_block_merge_config_selectorIffEEZZNS1_27merge_sort_block_merge_implIS3_N6thrust23THRUST_200600_302600_NS6detail15normal_iteratorINS8_10device_ptrIfEEEESD_jNS1_19radix_merge_compareILb0ELb0EfNS0_19identity_decomposerEEEEE10hipError_tT0_T1_T2_jT3_P12ihipStream_tbPNSt15iterator_traitsISI_E10value_typeEPNSO_ISJ_E10value_typeEPSK_NS1_7vsmem_tEENKUlT_SI_SJ_SK_E_clIPfSD_S10_SD_EESH_SX_SI_SJ_SK_EUlSX_E_NS1_11comp_targetILNS1_3genE9ELNS1_11target_archE1100ELNS1_3gpuE3ELNS1_3repE0EEENS1_48merge_mergepath_partition_config_static_selectorELNS0_4arch9wavefront6targetE1EEEvSJ_ ; -- Begin function _ZN7rocprim17ROCPRIM_400000_NS6detail17trampoline_kernelINS0_14default_configENS1_38merge_sort_block_merge_config_selectorIffEEZZNS1_27merge_sort_block_merge_implIS3_N6thrust23THRUST_200600_302600_NS6detail15normal_iteratorINS8_10device_ptrIfEEEESD_jNS1_19radix_merge_compareILb0ELb0EfNS0_19identity_decomposerEEEEE10hipError_tT0_T1_T2_jT3_P12ihipStream_tbPNSt15iterator_traitsISI_E10value_typeEPNSO_ISJ_E10value_typeEPSK_NS1_7vsmem_tEENKUlT_SI_SJ_SK_E_clIPfSD_S10_SD_EESH_SX_SI_SJ_SK_EUlSX_E_NS1_11comp_targetILNS1_3genE9ELNS1_11target_archE1100ELNS1_3gpuE3ELNS1_3repE0EEENS1_48merge_mergepath_partition_config_static_selectorELNS0_4arch9wavefront6targetE1EEEvSJ_
	.globl	_ZN7rocprim17ROCPRIM_400000_NS6detail17trampoline_kernelINS0_14default_configENS1_38merge_sort_block_merge_config_selectorIffEEZZNS1_27merge_sort_block_merge_implIS3_N6thrust23THRUST_200600_302600_NS6detail15normal_iteratorINS8_10device_ptrIfEEEESD_jNS1_19radix_merge_compareILb0ELb0EfNS0_19identity_decomposerEEEEE10hipError_tT0_T1_T2_jT3_P12ihipStream_tbPNSt15iterator_traitsISI_E10value_typeEPNSO_ISJ_E10value_typeEPSK_NS1_7vsmem_tEENKUlT_SI_SJ_SK_E_clIPfSD_S10_SD_EESH_SX_SI_SJ_SK_EUlSX_E_NS1_11comp_targetILNS1_3genE9ELNS1_11target_archE1100ELNS1_3gpuE3ELNS1_3repE0EEENS1_48merge_mergepath_partition_config_static_selectorELNS0_4arch9wavefront6targetE1EEEvSJ_
	.p2align	8
	.type	_ZN7rocprim17ROCPRIM_400000_NS6detail17trampoline_kernelINS0_14default_configENS1_38merge_sort_block_merge_config_selectorIffEEZZNS1_27merge_sort_block_merge_implIS3_N6thrust23THRUST_200600_302600_NS6detail15normal_iteratorINS8_10device_ptrIfEEEESD_jNS1_19radix_merge_compareILb0ELb0EfNS0_19identity_decomposerEEEEE10hipError_tT0_T1_T2_jT3_P12ihipStream_tbPNSt15iterator_traitsISI_E10value_typeEPNSO_ISJ_E10value_typeEPSK_NS1_7vsmem_tEENKUlT_SI_SJ_SK_E_clIPfSD_S10_SD_EESH_SX_SI_SJ_SK_EUlSX_E_NS1_11comp_targetILNS1_3genE9ELNS1_11target_archE1100ELNS1_3gpuE3ELNS1_3repE0EEENS1_48merge_mergepath_partition_config_static_selectorELNS0_4arch9wavefront6targetE1EEEvSJ_,@function
_ZN7rocprim17ROCPRIM_400000_NS6detail17trampoline_kernelINS0_14default_configENS1_38merge_sort_block_merge_config_selectorIffEEZZNS1_27merge_sort_block_merge_implIS3_N6thrust23THRUST_200600_302600_NS6detail15normal_iteratorINS8_10device_ptrIfEEEESD_jNS1_19radix_merge_compareILb0ELb0EfNS0_19identity_decomposerEEEEE10hipError_tT0_T1_T2_jT3_P12ihipStream_tbPNSt15iterator_traitsISI_E10value_typeEPNSO_ISJ_E10value_typeEPSK_NS1_7vsmem_tEENKUlT_SI_SJ_SK_E_clIPfSD_S10_SD_EESH_SX_SI_SJ_SK_EUlSX_E_NS1_11comp_targetILNS1_3genE9ELNS1_11target_archE1100ELNS1_3gpuE3ELNS1_3repE0EEENS1_48merge_mergepath_partition_config_static_selectorELNS0_4arch9wavefront6targetE1EEEvSJ_: ; @_ZN7rocprim17ROCPRIM_400000_NS6detail17trampoline_kernelINS0_14default_configENS1_38merge_sort_block_merge_config_selectorIffEEZZNS1_27merge_sort_block_merge_implIS3_N6thrust23THRUST_200600_302600_NS6detail15normal_iteratorINS8_10device_ptrIfEEEESD_jNS1_19radix_merge_compareILb0ELb0EfNS0_19identity_decomposerEEEEE10hipError_tT0_T1_T2_jT3_P12ihipStream_tbPNSt15iterator_traitsISI_E10value_typeEPNSO_ISJ_E10value_typeEPSK_NS1_7vsmem_tEENKUlT_SI_SJ_SK_E_clIPfSD_S10_SD_EESH_SX_SI_SJ_SK_EUlSX_E_NS1_11comp_targetILNS1_3genE9ELNS1_11target_archE1100ELNS1_3gpuE3ELNS1_3repE0EEENS1_48merge_mergepath_partition_config_static_selectorELNS0_4arch9wavefront6targetE1EEEvSJ_
; %bb.0:
	.section	.rodata,"a",@progbits
	.p2align	6, 0x0
	.amdhsa_kernel _ZN7rocprim17ROCPRIM_400000_NS6detail17trampoline_kernelINS0_14default_configENS1_38merge_sort_block_merge_config_selectorIffEEZZNS1_27merge_sort_block_merge_implIS3_N6thrust23THRUST_200600_302600_NS6detail15normal_iteratorINS8_10device_ptrIfEEEESD_jNS1_19radix_merge_compareILb0ELb0EfNS0_19identity_decomposerEEEEE10hipError_tT0_T1_T2_jT3_P12ihipStream_tbPNSt15iterator_traitsISI_E10value_typeEPNSO_ISJ_E10value_typeEPSK_NS1_7vsmem_tEENKUlT_SI_SJ_SK_E_clIPfSD_S10_SD_EESH_SX_SI_SJ_SK_EUlSX_E_NS1_11comp_targetILNS1_3genE9ELNS1_11target_archE1100ELNS1_3gpuE3ELNS1_3repE0EEENS1_48merge_mergepath_partition_config_static_selectorELNS0_4arch9wavefront6targetE1EEEvSJ_
		.amdhsa_group_segment_fixed_size 0
		.amdhsa_private_segment_fixed_size 0
		.amdhsa_kernarg_size 40
		.amdhsa_user_sgpr_count 2
		.amdhsa_user_sgpr_dispatch_ptr 0
		.amdhsa_user_sgpr_queue_ptr 0
		.amdhsa_user_sgpr_kernarg_segment_ptr 1
		.amdhsa_user_sgpr_dispatch_id 0
		.amdhsa_user_sgpr_kernarg_preload_length 0
		.amdhsa_user_sgpr_kernarg_preload_offset 0
		.amdhsa_user_sgpr_private_segment_size 0
		.amdhsa_uses_dynamic_stack 0
		.amdhsa_enable_private_segment 0
		.amdhsa_system_sgpr_workgroup_id_x 1
		.amdhsa_system_sgpr_workgroup_id_y 0
		.amdhsa_system_sgpr_workgroup_id_z 0
		.amdhsa_system_sgpr_workgroup_info 0
		.amdhsa_system_vgpr_workitem_id 0
		.amdhsa_next_free_vgpr 1
		.amdhsa_next_free_sgpr 0
		.amdhsa_accum_offset 4
		.amdhsa_reserve_vcc 0
		.amdhsa_float_round_mode_32 0
		.amdhsa_float_round_mode_16_64 0
		.amdhsa_float_denorm_mode_32 3
		.amdhsa_float_denorm_mode_16_64 3
		.amdhsa_dx10_clamp 1
		.amdhsa_ieee_mode 1
		.amdhsa_fp16_overflow 0
		.amdhsa_tg_split 0
		.amdhsa_exception_fp_ieee_invalid_op 0
		.amdhsa_exception_fp_denorm_src 0
		.amdhsa_exception_fp_ieee_div_zero 0
		.amdhsa_exception_fp_ieee_overflow 0
		.amdhsa_exception_fp_ieee_underflow 0
		.amdhsa_exception_fp_ieee_inexact 0
		.amdhsa_exception_int_div_zero 0
	.end_amdhsa_kernel
	.section	.text._ZN7rocprim17ROCPRIM_400000_NS6detail17trampoline_kernelINS0_14default_configENS1_38merge_sort_block_merge_config_selectorIffEEZZNS1_27merge_sort_block_merge_implIS3_N6thrust23THRUST_200600_302600_NS6detail15normal_iteratorINS8_10device_ptrIfEEEESD_jNS1_19radix_merge_compareILb0ELb0EfNS0_19identity_decomposerEEEEE10hipError_tT0_T1_T2_jT3_P12ihipStream_tbPNSt15iterator_traitsISI_E10value_typeEPNSO_ISJ_E10value_typeEPSK_NS1_7vsmem_tEENKUlT_SI_SJ_SK_E_clIPfSD_S10_SD_EESH_SX_SI_SJ_SK_EUlSX_E_NS1_11comp_targetILNS1_3genE9ELNS1_11target_archE1100ELNS1_3gpuE3ELNS1_3repE0EEENS1_48merge_mergepath_partition_config_static_selectorELNS0_4arch9wavefront6targetE1EEEvSJ_,"axG",@progbits,_ZN7rocprim17ROCPRIM_400000_NS6detail17trampoline_kernelINS0_14default_configENS1_38merge_sort_block_merge_config_selectorIffEEZZNS1_27merge_sort_block_merge_implIS3_N6thrust23THRUST_200600_302600_NS6detail15normal_iteratorINS8_10device_ptrIfEEEESD_jNS1_19radix_merge_compareILb0ELb0EfNS0_19identity_decomposerEEEEE10hipError_tT0_T1_T2_jT3_P12ihipStream_tbPNSt15iterator_traitsISI_E10value_typeEPNSO_ISJ_E10value_typeEPSK_NS1_7vsmem_tEENKUlT_SI_SJ_SK_E_clIPfSD_S10_SD_EESH_SX_SI_SJ_SK_EUlSX_E_NS1_11comp_targetILNS1_3genE9ELNS1_11target_archE1100ELNS1_3gpuE3ELNS1_3repE0EEENS1_48merge_mergepath_partition_config_static_selectorELNS0_4arch9wavefront6targetE1EEEvSJ_,comdat
.Lfunc_end227:
	.size	_ZN7rocprim17ROCPRIM_400000_NS6detail17trampoline_kernelINS0_14default_configENS1_38merge_sort_block_merge_config_selectorIffEEZZNS1_27merge_sort_block_merge_implIS3_N6thrust23THRUST_200600_302600_NS6detail15normal_iteratorINS8_10device_ptrIfEEEESD_jNS1_19radix_merge_compareILb0ELb0EfNS0_19identity_decomposerEEEEE10hipError_tT0_T1_T2_jT3_P12ihipStream_tbPNSt15iterator_traitsISI_E10value_typeEPNSO_ISJ_E10value_typeEPSK_NS1_7vsmem_tEENKUlT_SI_SJ_SK_E_clIPfSD_S10_SD_EESH_SX_SI_SJ_SK_EUlSX_E_NS1_11comp_targetILNS1_3genE9ELNS1_11target_archE1100ELNS1_3gpuE3ELNS1_3repE0EEENS1_48merge_mergepath_partition_config_static_selectorELNS0_4arch9wavefront6targetE1EEEvSJ_, .Lfunc_end227-_ZN7rocprim17ROCPRIM_400000_NS6detail17trampoline_kernelINS0_14default_configENS1_38merge_sort_block_merge_config_selectorIffEEZZNS1_27merge_sort_block_merge_implIS3_N6thrust23THRUST_200600_302600_NS6detail15normal_iteratorINS8_10device_ptrIfEEEESD_jNS1_19radix_merge_compareILb0ELb0EfNS0_19identity_decomposerEEEEE10hipError_tT0_T1_T2_jT3_P12ihipStream_tbPNSt15iterator_traitsISI_E10value_typeEPNSO_ISJ_E10value_typeEPSK_NS1_7vsmem_tEENKUlT_SI_SJ_SK_E_clIPfSD_S10_SD_EESH_SX_SI_SJ_SK_EUlSX_E_NS1_11comp_targetILNS1_3genE9ELNS1_11target_archE1100ELNS1_3gpuE3ELNS1_3repE0EEENS1_48merge_mergepath_partition_config_static_selectorELNS0_4arch9wavefront6targetE1EEEvSJ_
                                        ; -- End function
	.set _ZN7rocprim17ROCPRIM_400000_NS6detail17trampoline_kernelINS0_14default_configENS1_38merge_sort_block_merge_config_selectorIffEEZZNS1_27merge_sort_block_merge_implIS3_N6thrust23THRUST_200600_302600_NS6detail15normal_iteratorINS8_10device_ptrIfEEEESD_jNS1_19radix_merge_compareILb0ELb0EfNS0_19identity_decomposerEEEEE10hipError_tT0_T1_T2_jT3_P12ihipStream_tbPNSt15iterator_traitsISI_E10value_typeEPNSO_ISJ_E10value_typeEPSK_NS1_7vsmem_tEENKUlT_SI_SJ_SK_E_clIPfSD_S10_SD_EESH_SX_SI_SJ_SK_EUlSX_E_NS1_11comp_targetILNS1_3genE9ELNS1_11target_archE1100ELNS1_3gpuE3ELNS1_3repE0EEENS1_48merge_mergepath_partition_config_static_selectorELNS0_4arch9wavefront6targetE1EEEvSJ_.num_vgpr, 0
	.set _ZN7rocprim17ROCPRIM_400000_NS6detail17trampoline_kernelINS0_14default_configENS1_38merge_sort_block_merge_config_selectorIffEEZZNS1_27merge_sort_block_merge_implIS3_N6thrust23THRUST_200600_302600_NS6detail15normal_iteratorINS8_10device_ptrIfEEEESD_jNS1_19radix_merge_compareILb0ELb0EfNS0_19identity_decomposerEEEEE10hipError_tT0_T1_T2_jT3_P12ihipStream_tbPNSt15iterator_traitsISI_E10value_typeEPNSO_ISJ_E10value_typeEPSK_NS1_7vsmem_tEENKUlT_SI_SJ_SK_E_clIPfSD_S10_SD_EESH_SX_SI_SJ_SK_EUlSX_E_NS1_11comp_targetILNS1_3genE9ELNS1_11target_archE1100ELNS1_3gpuE3ELNS1_3repE0EEENS1_48merge_mergepath_partition_config_static_selectorELNS0_4arch9wavefront6targetE1EEEvSJ_.num_agpr, 0
	.set _ZN7rocprim17ROCPRIM_400000_NS6detail17trampoline_kernelINS0_14default_configENS1_38merge_sort_block_merge_config_selectorIffEEZZNS1_27merge_sort_block_merge_implIS3_N6thrust23THRUST_200600_302600_NS6detail15normal_iteratorINS8_10device_ptrIfEEEESD_jNS1_19radix_merge_compareILb0ELb0EfNS0_19identity_decomposerEEEEE10hipError_tT0_T1_T2_jT3_P12ihipStream_tbPNSt15iterator_traitsISI_E10value_typeEPNSO_ISJ_E10value_typeEPSK_NS1_7vsmem_tEENKUlT_SI_SJ_SK_E_clIPfSD_S10_SD_EESH_SX_SI_SJ_SK_EUlSX_E_NS1_11comp_targetILNS1_3genE9ELNS1_11target_archE1100ELNS1_3gpuE3ELNS1_3repE0EEENS1_48merge_mergepath_partition_config_static_selectorELNS0_4arch9wavefront6targetE1EEEvSJ_.numbered_sgpr, 0
	.set _ZN7rocprim17ROCPRIM_400000_NS6detail17trampoline_kernelINS0_14default_configENS1_38merge_sort_block_merge_config_selectorIffEEZZNS1_27merge_sort_block_merge_implIS3_N6thrust23THRUST_200600_302600_NS6detail15normal_iteratorINS8_10device_ptrIfEEEESD_jNS1_19radix_merge_compareILb0ELb0EfNS0_19identity_decomposerEEEEE10hipError_tT0_T1_T2_jT3_P12ihipStream_tbPNSt15iterator_traitsISI_E10value_typeEPNSO_ISJ_E10value_typeEPSK_NS1_7vsmem_tEENKUlT_SI_SJ_SK_E_clIPfSD_S10_SD_EESH_SX_SI_SJ_SK_EUlSX_E_NS1_11comp_targetILNS1_3genE9ELNS1_11target_archE1100ELNS1_3gpuE3ELNS1_3repE0EEENS1_48merge_mergepath_partition_config_static_selectorELNS0_4arch9wavefront6targetE1EEEvSJ_.num_named_barrier, 0
	.set _ZN7rocprim17ROCPRIM_400000_NS6detail17trampoline_kernelINS0_14default_configENS1_38merge_sort_block_merge_config_selectorIffEEZZNS1_27merge_sort_block_merge_implIS3_N6thrust23THRUST_200600_302600_NS6detail15normal_iteratorINS8_10device_ptrIfEEEESD_jNS1_19radix_merge_compareILb0ELb0EfNS0_19identity_decomposerEEEEE10hipError_tT0_T1_T2_jT3_P12ihipStream_tbPNSt15iterator_traitsISI_E10value_typeEPNSO_ISJ_E10value_typeEPSK_NS1_7vsmem_tEENKUlT_SI_SJ_SK_E_clIPfSD_S10_SD_EESH_SX_SI_SJ_SK_EUlSX_E_NS1_11comp_targetILNS1_3genE9ELNS1_11target_archE1100ELNS1_3gpuE3ELNS1_3repE0EEENS1_48merge_mergepath_partition_config_static_selectorELNS0_4arch9wavefront6targetE1EEEvSJ_.private_seg_size, 0
	.set _ZN7rocprim17ROCPRIM_400000_NS6detail17trampoline_kernelINS0_14default_configENS1_38merge_sort_block_merge_config_selectorIffEEZZNS1_27merge_sort_block_merge_implIS3_N6thrust23THRUST_200600_302600_NS6detail15normal_iteratorINS8_10device_ptrIfEEEESD_jNS1_19radix_merge_compareILb0ELb0EfNS0_19identity_decomposerEEEEE10hipError_tT0_T1_T2_jT3_P12ihipStream_tbPNSt15iterator_traitsISI_E10value_typeEPNSO_ISJ_E10value_typeEPSK_NS1_7vsmem_tEENKUlT_SI_SJ_SK_E_clIPfSD_S10_SD_EESH_SX_SI_SJ_SK_EUlSX_E_NS1_11comp_targetILNS1_3genE9ELNS1_11target_archE1100ELNS1_3gpuE3ELNS1_3repE0EEENS1_48merge_mergepath_partition_config_static_selectorELNS0_4arch9wavefront6targetE1EEEvSJ_.uses_vcc, 0
	.set _ZN7rocprim17ROCPRIM_400000_NS6detail17trampoline_kernelINS0_14default_configENS1_38merge_sort_block_merge_config_selectorIffEEZZNS1_27merge_sort_block_merge_implIS3_N6thrust23THRUST_200600_302600_NS6detail15normal_iteratorINS8_10device_ptrIfEEEESD_jNS1_19radix_merge_compareILb0ELb0EfNS0_19identity_decomposerEEEEE10hipError_tT0_T1_T2_jT3_P12ihipStream_tbPNSt15iterator_traitsISI_E10value_typeEPNSO_ISJ_E10value_typeEPSK_NS1_7vsmem_tEENKUlT_SI_SJ_SK_E_clIPfSD_S10_SD_EESH_SX_SI_SJ_SK_EUlSX_E_NS1_11comp_targetILNS1_3genE9ELNS1_11target_archE1100ELNS1_3gpuE3ELNS1_3repE0EEENS1_48merge_mergepath_partition_config_static_selectorELNS0_4arch9wavefront6targetE1EEEvSJ_.uses_flat_scratch, 0
	.set _ZN7rocprim17ROCPRIM_400000_NS6detail17trampoline_kernelINS0_14default_configENS1_38merge_sort_block_merge_config_selectorIffEEZZNS1_27merge_sort_block_merge_implIS3_N6thrust23THRUST_200600_302600_NS6detail15normal_iteratorINS8_10device_ptrIfEEEESD_jNS1_19radix_merge_compareILb0ELb0EfNS0_19identity_decomposerEEEEE10hipError_tT0_T1_T2_jT3_P12ihipStream_tbPNSt15iterator_traitsISI_E10value_typeEPNSO_ISJ_E10value_typeEPSK_NS1_7vsmem_tEENKUlT_SI_SJ_SK_E_clIPfSD_S10_SD_EESH_SX_SI_SJ_SK_EUlSX_E_NS1_11comp_targetILNS1_3genE9ELNS1_11target_archE1100ELNS1_3gpuE3ELNS1_3repE0EEENS1_48merge_mergepath_partition_config_static_selectorELNS0_4arch9wavefront6targetE1EEEvSJ_.has_dyn_sized_stack, 0
	.set _ZN7rocprim17ROCPRIM_400000_NS6detail17trampoline_kernelINS0_14default_configENS1_38merge_sort_block_merge_config_selectorIffEEZZNS1_27merge_sort_block_merge_implIS3_N6thrust23THRUST_200600_302600_NS6detail15normal_iteratorINS8_10device_ptrIfEEEESD_jNS1_19radix_merge_compareILb0ELb0EfNS0_19identity_decomposerEEEEE10hipError_tT0_T1_T2_jT3_P12ihipStream_tbPNSt15iterator_traitsISI_E10value_typeEPNSO_ISJ_E10value_typeEPSK_NS1_7vsmem_tEENKUlT_SI_SJ_SK_E_clIPfSD_S10_SD_EESH_SX_SI_SJ_SK_EUlSX_E_NS1_11comp_targetILNS1_3genE9ELNS1_11target_archE1100ELNS1_3gpuE3ELNS1_3repE0EEENS1_48merge_mergepath_partition_config_static_selectorELNS0_4arch9wavefront6targetE1EEEvSJ_.has_recursion, 0
	.set _ZN7rocprim17ROCPRIM_400000_NS6detail17trampoline_kernelINS0_14default_configENS1_38merge_sort_block_merge_config_selectorIffEEZZNS1_27merge_sort_block_merge_implIS3_N6thrust23THRUST_200600_302600_NS6detail15normal_iteratorINS8_10device_ptrIfEEEESD_jNS1_19radix_merge_compareILb0ELb0EfNS0_19identity_decomposerEEEEE10hipError_tT0_T1_T2_jT3_P12ihipStream_tbPNSt15iterator_traitsISI_E10value_typeEPNSO_ISJ_E10value_typeEPSK_NS1_7vsmem_tEENKUlT_SI_SJ_SK_E_clIPfSD_S10_SD_EESH_SX_SI_SJ_SK_EUlSX_E_NS1_11comp_targetILNS1_3genE9ELNS1_11target_archE1100ELNS1_3gpuE3ELNS1_3repE0EEENS1_48merge_mergepath_partition_config_static_selectorELNS0_4arch9wavefront6targetE1EEEvSJ_.has_indirect_call, 0
	.section	.AMDGPU.csdata,"",@progbits
; Kernel info:
; codeLenInByte = 0
; TotalNumSgprs: 6
; NumVgprs: 0
; NumAgprs: 0
; TotalNumVgprs: 0
; ScratchSize: 0
; MemoryBound: 0
; FloatMode: 240
; IeeeMode: 1
; LDSByteSize: 0 bytes/workgroup (compile time only)
; SGPRBlocks: 0
; VGPRBlocks: 0
; NumSGPRsForWavesPerEU: 6
; NumVGPRsForWavesPerEU: 1
; AccumOffset: 4
; Occupancy: 8
; WaveLimiterHint : 0
; COMPUTE_PGM_RSRC2:SCRATCH_EN: 0
; COMPUTE_PGM_RSRC2:USER_SGPR: 2
; COMPUTE_PGM_RSRC2:TRAP_HANDLER: 0
; COMPUTE_PGM_RSRC2:TGID_X_EN: 1
; COMPUTE_PGM_RSRC2:TGID_Y_EN: 0
; COMPUTE_PGM_RSRC2:TGID_Z_EN: 0
; COMPUTE_PGM_RSRC2:TIDIG_COMP_CNT: 0
; COMPUTE_PGM_RSRC3_GFX90A:ACCUM_OFFSET: 0
; COMPUTE_PGM_RSRC3_GFX90A:TG_SPLIT: 0
	.section	.text._ZN7rocprim17ROCPRIM_400000_NS6detail17trampoline_kernelINS0_14default_configENS1_38merge_sort_block_merge_config_selectorIffEEZZNS1_27merge_sort_block_merge_implIS3_N6thrust23THRUST_200600_302600_NS6detail15normal_iteratorINS8_10device_ptrIfEEEESD_jNS1_19radix_merge_compareILb0ELb0EfNS0_19identity_decomposerEEEEE10hipError_tT0_T1_T2_jT3_P12ihipStream_tbPNSt15iterator_traitsISI_E10value_typeEPNSO_ISJ_E10value_typeEPSK_NS1_7vsmem_tEENKUlT_SI_SJ_SK_E_clIPfSD_S10_SD_EESH_SX_SI_SJ_SK_EUlSX_E_NS1_11comp_targetILNS1_3genE8ELNS1_11target_archE1030ELNS1_3gpuE2ELNS1_3repE0EEENS1_48merge_mergepath_partition_config_static_selectorELNS0_4arch9wavefront6targetE1EEEvSJ_,"axG",@progbits,_ZN7rocprim17ROCPRIM_400000_NS6detail17trampoline_kernelINS0_14default_configENS1_38merge_sort_block_merge_config_selectorIffEEZZNS1_27merge_sort_block_merge_implIS3_N6thrust23THRUST_200600_302600_NS6detail15normal_iteratorINS8_10device_ptrIfEEEESD_jNS1_19radix_merge_compareILb0ELb0EfNS0_19identity_decomposerEEEEE10hipError_tT0_T1_T2_jT3_P12ihipStream_tbPNSt15iterator_traitsISI_E10value_typeEPNSO_ISJ_E10value_typeEPSK_NS1_7vsmem_tEENKUlT_SI_SJ_SK_E_clIPfSD_S10_SD_EESH_SX_SI_SJ_SK_EUlSX_E_NS1_11comp_targetILNS1_3genE8ELNS1_11target_archE1030ELNS1_3gpuE2ELNS1_3repE0EEENS1_48merge_mergepath_partition_config_static_selectorELNS0_4arch9wavefront6targetE1EEEvSJ_,comdat
	.protected	_ZN7rocprim17ROCPRIM_400000_NS6detail17trampoline_kernelINS0_14default_configENS1_38merge_sort_block_merge_config_selectorIffEEZZNS1_27merge_sort_block_merge_implIS3_N6thrust23THRUST_200600_302600_NS6detail15normal_iteratorINS8_10device_ptrIfEEEESD_jNS1_19radix_merge_compareILb0ELb0EfNS0_19identity_decomposerEEEEE10hipError_tT0_T1_T2_jT3_P12ihipStream_tbPNSt15iterator_traitsISI_E10value_typeEPNSO_ISJ_E10value_typeEPSK_NS1_7vsmem_tEENKUlT_SI_SJ_SK_E_clIPfSD_S10_SD_EESH_SX_SI_SJ_SK_EUlSX_E_NS1_11comp_targetILNS1_3genE8ELNS1_11target_archE1030ELNS1_3gpuE2ELNS1_3repE0EEENS1_48merge_mergepath_partition_config_static_selectorELNS0_4arch9wavefront6targetE1EEEvSJ_ ; -- Begin function _ZN7rocprim17ROCPRIM_400000_NS6detail17trampoline_kernelINS0_14default_configENS1_38merge_sort_block_merge_config_selectorIffEEZZNS1_27merge_sort_block_merge_implIS3_N6thrust23THRUST_200600_302600_NS6detail15normal_iteratorINS8_10device_ptrIfEEEESD_jNS1_19radix_merge_compareILb0ELb0EfNS0_19identity_decomposerEEEEE10hipError_tT0_T1_T2_jT3_P12ihipStream_tbPNSt15iterator_traitsISI_E10value_typeEPNSO_ISJ_E10value_typeEPSK_NS1_7vsmem_tEENKUlT_SI_SJ_SK_E_clIPfSD_S10_SD_EESH_SX_SI_SJ_SK_EUlSX_E_NS1_11comp_targetILNS1_3genE8ELNS1_11target_archE1030ELNS1_3gpuE2ELNS1_3repE0EEENS1_48merge_mergepath_partition_config_static_selectorELNS0_4arch9wavefront6targetE1EEEvSJ_
	.globl	_ZN7rocprim17ROCPRIM_400000_NS6detail17trampoline_kernelINS0_14default_configENS1_38merge_sort_block_merge_config_selectorIffEEZZNS1_27merge_sort_block_merge_implIS3_N6thrust23THRUST_200600_302600_NS6detail15normal_iteratorINS8_10device_ptrIfEEEESD_jNS1_19radix_merge_compareILb0ELb0EfNS0_19identity_decomposerEEEEE10hipError_tT0_T1_T2_jT3_P12ihipStream_tbPNSt15iterator_traitsISI_E10value_typeEPNSO_ISJ_E10value_typeEPSK_NS1_7vsmem_tEENKUlT_SI_SJ_SK_E_clIPfSD_S10_SD_EESH_SX_SI_SJ_SK_EUlSX_E_NS1_11comp_targetILNS1_3genE8ELNS1_11target_archE1030ELNS1_3gpuE2ELNS1_3repE0EEENS1_48merge_mergepath_partition_config_static_selectorELNS0_4arch9wavefront6targetE1EEEvSJ_
	.p2align	8
	.type	_ZN7rocprim17ROCPRIM_400000_NS6detail17trampoline_kernelINS0_14default_configENS1_38merge_sort_block_merge_config_selectorIffEEZZNS1_27merge_sort_block_merge_implIS3_N6thrust23THRUST_200600_302600_NS6detail15normal_iteratorINS8_10device_ptrIfEEEESD_jNS1_19radix_merge_compareILb0ELb0EfNS0_19identity_decomposerEEEEE10hipError_tT0_T1_T2_jT3_P12ihipStream_tbPNSt15iterator_traitsISI_E10value_typeEPNSO_ISJ_E10value_typeEPSK_NS1_7vsmem_tEENKUlT_SI_SJ_SK_E_clIPfSD_S10_SD_EESH_SX_SI_SJ_SK_EUlSX_E_NS1_11comp_targetILNS1_3genE8ELNS1_11target_archE1030ELNS1_3gpuE2ELNS1_3repE0EEENS1_48merge_mergepath_partition_config_static_selectorELNS0_4arch9wavefront6targetE1EEEvSJ_,@function
_ZN7rocprim17ROCPRIM_400000_NS6detail17trampoline_kernelINS0_14default_configENS1_38merge_sort_block_merge_config_selectorIffEEZZNS1_27merge_sort_block_merge_implIS3_N6thrust23THRUST_200600_302600_NS6detail15normal_iteratorINS8_10device_ptrIfEEEESD_jNS1_19radix_merge_compareILb0ELb0EfNS0_19identity_decomposerEEEEE10hipError_tT0_T1_T2_jT3_P12ihipStream_tbPNSt15iterator_traitsISI_E10value_typeEPNSO_ISJ_E10value_typeEPSK_NS1_7vsmem_tEENKUlT_SI_SJ_SK_E_clIPfSD_S10_SD_EESH_SX_SI_SJ_SK_EUlSX_E_NS1_11comp_targetILNS1_3genE8ELNS1_11target_archE1030ELNS1_3gpuE2ELNS1_3repE0EEENS1_48merge_mergepath_partition_config_static_selectorELNS0_4arch9wavefront6targetE1EEEvSJ_: ; @_ZN7rocprim17ROCPRIM_400000_NS6detail17trampoline_kernelINS0_14default_configENS1_38merge_sort_block_merge_config_selectorIffEEZZNS1_27merge_sort_block_merge_implIS3_N6thrust23THRUST_200600_302600_NS6detail15normal_iteratorINS8_10device_ptrIfEEEESD_jNS1_19radix_merge_compareILb0ELb0EfNS0_19identity_decomposerEEEEE10hipError_tT0_T1_T2_jT3_P12ihipStream_tbPNSt15iterator_traitsISI_E10value_typeEPNSO_ISJ_E10value_typeEPSK_NS1_7vsmem_tEENKUlT_SI_SJ_SK_E_clIPfSD_S10_SD_EESH_SX_SI_SJ_SK_EUlSX_E_NS1_11comp_targetILNS1_3genE8ELNS1_11target_archE1030ELNS1_3gpuE2ELNS1_3repE0EEENS1_48merge_mergepath_partition_config_static_selectorELNS0_4arch9wavefront6targetE1EEEvSJ_
; %bb.0:
	.section	.rodata,"a",@progbits
	.p2align	6, 0x0
	.amdhsa_kernel _ZN7rocprim17ROCPRIM_400000_NS6detail17trampoline_kernelINS0_14default_configENS1_38merge_sort_block_merge_config_selectorIffEEZZNS1_27merge_sort_block_merge_implIS3_N6thrust23THRUST_200600_302600_NS6detail15normal_iteratorINS8_10device_ptrIfEEEESD_jNS1_19radix_merge_compareILb0ELb0EfNS0_19identity_decomposerEEEEE10hipError_tT0_T1_T2_jT3_P12ihipStream_tbPNSt15iterator_traitsISI_E10value_typeEPNSO_ISJ_E10value_typeEPSK_NS1_7vsmem_tEENKUlT_SI_SJ_SK_E_clIPfSD_S10_SD_EESH_SX_SI_SJ_SK_EUlSX_E_NS1_11comp_targetILNS1_3genE8ELNS1_11target_archE1030ELNS1_3gpuE2ELNS1_3repE0EEENS1_48merge_mergepath_partition_config_static_selectorELNS0_4arch9wavefront6targetE1EEEvSJ_
		.amdhsa_group_segment_fixed_size 0
		.amdhsa_private_segment_fixed_size 0
		.amdhsa_kernarg_size 40
		.amdhsa_user_sgpr_count 2
		.amdhsa_user_sgpr_dispatch_ptr 0
		.amdhsa_user_sgpr_queue_ptr 0
		.amdhsa_user_sgpr_kernarg_segment_ptr 1
		.amdhsa_user_sgpr_dispatch_id 0
		.amdhsa_user_sgpr_kernarg_preload_length 0
		.amdhsa_user_sgpr_kernarg_preload_offset 0
		.amdhsa_user_sgpr_private_segment_size 0
		.amdhsa_uses_dynamic_stack 0
		.amdhsa_enable_private_segment 0
		.amdhsa_system_sgpr_workgroup_id_x 1
		.amdhsa_system_sgpr_workgroup_id_y 0
		.amdhsa_system_sgpr_workgroup_id_z 0
		.amdhsa_system_sgpr_workgroup_info 0
		.amdhsa_system_vgpr_workitem_id 0
		.amdhsa_next_free_vgpr 1
		.amdhsa_next_free_sgpr 0
		.amdhsa_accum_offset 4
		.amdhsa_reserve_vcc 0
		.amdhsa_float_round_mode_32 0
		.amdhsa_float_round_mode_16_64 0
		.amdhsa_float_denorm_mode_32 3
		.amdhsa_float_denorm_mode_16_64 3
		.amdhsa_dx10_clamp 1
		.amdhsa_ieee_mode 1
		.amdhsa_fp16_overflow 0
		.amdhsa_tg_split 0
		.amdhsa_exception_fp_ieee_invalid_op 0
		.amdhsa_exception_fp_denorm_src 0
		.amdhsa_exception_fp_ieee_div_zero 0
		.amdhsa_exception_fp_ieee_overflow 0
		.amdhsa_exception_fp_ieee_underflow 0
		.amdhsa_exception_fp_ieee_inexact 0
		.amdhsa_exception_int_div_zero 0
	.end_amdhsa_kernel
	.section	.text._ZN7rocprim17ROCPRIM_400000_NS6detail17trampoline_kernelINS0_14default_configENS1_38merge_sort_block_merge_config_selectorIffEEZZNS1_27merge_sort_block_merge_implIS3_N6thrust23THRUST_200600_302600_NS6detail15normal_iteratorINS8_10device_ptrIfEEEESD_jNS1_19radix_merge_compareILb0ELb0EfNS0_19identity_decomposerEEEEE10hipError_tT0_T1_T2_jT3_P12ihipStream_tbPNSt15iterator_traitsISI_E10value_typeEPNSO_ISJ_E10value_typeEPSK_NS1_7vsmem_tEENKUlT_SI_SJ_SK_E_clIPfSD_S10_SD_EESH_SX_SI_SJ_SK_EUlSX_E_NS1_11comp_targetILNS1_3genE8ELNS1_11target_archE1030ELNS1_3gpuE2ELNS1_3repE0EEENS1_48merge_mergepath_partition_config_static_selectorELNS0_4arch9wavefront6targetE1EEEvSJ_,"axG",@progbits,_ZN7rocprim17ROCPRIM_400000_NS6detail17trampoline_kernelINS0_14default_configENS1_38merge_sort_block_merge_config_selectorIffEEZZNS1_27merge_sort_block_merge_implIS3_N6thrust23THRUST_200600_302600_NS6detail15normal_iteratorINS8_10device_ptrIfEEEESD_jNS1_19radix_merge_compareILb0ELb0EfNS0_19identity_decomposerEEEEE10hipError_tT0_T1_T2_jT3_P12ihipStream_tbPNSt15iterator_traitsISI_E10value_typeEPNSO_ISJ_E10value_typeEPSK_NS1_7vsmem_tEENKUlT_SI_SJ_SK_E_clIPfSD_S10_SD_EESH_SX_SI_SJ_SK_EUlSX_E_NS1_11comp_targetILNS1_3genE8ELNS1_11target_archE1030ELNS1_3gpuE2ELNS1_3repE0EEENS1_48merge_mergepath_partition_config_static_selectorELNS0_4arch9wavefront6targetE1EEEvSJ_,comdat
.Lfunc_end228:
	.size	_ZN7rocprim17ROCPRIM_400000_NS6detail17trampoline_kernelINS0_14default_configENS1_38merge_sort_block_merge_config_selectorIffEEZZNS1_27merge_sort_block_merge_implIS3_N6thrust23THRUST_200600_302600_NS6detail15normal_iteratorINS8_10device_ptrIfEEEESD_jNS1_19radix_merge_compareILb0ELb0EfNS0_19identity_decomposerEEEEE10hipError_tT0_T1_T2_jT3_P12ihipStream_tbPNSt15iterator_traitsISI_E10value_typeEPNSO_ISJ_E10value_typeEPSK_NS1_7vsmem_tEENKUlT_SI_SJ_SK_E_clIPfSD_S10_SD_EESH_SX_SI_SJ_SK_EUlSX_E_NS1_11comp_targetILNS1_3genE8ELNS1_11target_archE1030ELNS1_3gpuE2ELNS1_3repE0EEENS1_48merge_mergepath_partition_config_static_selectorELNS0_4arch9wavefront6targetE1EEEvSJ_, .Lfunc_end228-_ZN7rocprim17ROCPRIM_400000_NS6detail17trampoline_kernelINS0_14default_configENS1_38merge_sort_block_merge_config_selectorIffEEZZNS1_27merge_sort_block_merge_implIS3_N6thrust23THRUST_200600_302600_NS6detail15normal_iteratorINS8_10device_ptrIfEEEESD_jNS1_19radix_merge_compareILb0ELb0EfNS0_19identity_decomposerEEEEE10hipError_tT0_T1_T2_jT3_P12ihipStream_tbPNSt15iterator_traitsISI_E10value_typeEPNSO_ISJ_E10value_typeEPSK_NS1_7vsmem_tEENKUlT_SI_SJ_SK_E_clIPfSD_S10_SD_EESH_SX_SI_SJ_SK_EUlSX_E_NS1_11comp_targetILNS1_3genE8ELNS1_11target_archE1030ELNS1_3gpuE2ELNS1_3repE0EEENS1_48merge_mergepath_partition_config_static_selectorELNS0_4arch9wavefront6targetE1EEEvSJ_
                                        ; -- End function
	.set _ZN7rocprim17ROCPRIM_400000_NS6detail17trampoline_kernelINS0_14default_configENS1_38merge_sort_block_merge_config_selectorIffEEZZNS1_27merge_sort_block_merge_implIS3_N6thrust23THRUST_200600_302600_NS6detail15normal_iteratorINS8_10device_ptrIfEEEESD_jNS1_19radix_merge_compareILb0ELb0EfNS0_19identity_decomposerEEEEE10hipError_tT0_T1_T2_jT3_P12ihipStream_tbPNSt15iterator_traitsISI_E10value_typeEPNSO_ISJ_E10value_typeEPSK_NS1_7vsmem_tEENKUlT_SI_SJ_SK_E_clIPfSD_S10_SD_EESH_SX_SI_SJ_SK_EUlSX_E_NS1_11comp_targetILNS1_3genE8ELNS1_11target_archE1030ELNS1_3gpuE2ELNS1_3repE0EEENS1_48merge_mergepath_partition_config_static_selectorELNS0_4arch9wavefront6targetE1EEEvSJ_.num_vgpr, 0
	.set _ZN7rocprim17ROCPRIM_400000_NS6detail17trampoline_kernelINS0_14default_configENS1_38merge_sort_block_merge_config_selectorIffEEZZNS1_27merge_sort_block_merge_implIS3_N6thrust23THRUST_200600_302600_NS6detail15normal_iteratorINS8_10device_ptrIfEEEESD_jNS1_19radix_merge_compareILb0ELb0EfNS0_19identity_decomposerEEEEE10hipError_tT0_T1_T2_jT3_P12ihipStream_tbPNSt15iterator_traitsISI_E10value_typeEPNSO_ISJ_E10value_typeEPSK_NS1_7vsmem_tEENKUlT_SI_SJ_SK_E_clIPfSD_S10_SD_EESH_SX_SI_SJ_SK_EUlSX_E_NS1_11comp_targetILNS1_3genE8ELNS1_11target_archE1030ELNS1_3gpuE2ELNS1_3repE0EEENS1_48merge_mergepath_partition_config_static_selectorELNS0_4arch9wavefront6targetE1EEEvSJ_.num_agpr, 0
	.set _ZN7rocprim17ROCPRIM_400000_NS6detail17trampoline_kernelINS0_14default_configENS1_38merge_sort_block_merge_config_selectorIffEEZZNS1_27merge_sort_block_merge_implIS3_N6thrust23THRUST_200600_302600_NS6detail15normal_iteratorINS8_10device_ptrIfEEEESD_jNS1_19radix_merge_compareILb0ELb0EfNS0_19identity_decomposerEEEEE10hipError_tT0_T1_T2_jT3_P12ihipStream_tbPNSt15iterator_traitsISI_E10value_typeEPNSO_ISJ_E10value_typeEPSK_NS1_7vsmem_tEENKUlT_SI_SJ_SK_E_clIPfSD_S10_SD_EESH_SX_SI_SJ_SK_EUlSX_E_NS1_11comp_targetILNS1_3genE8ELNS1_11target_archE1030ELNS1_3gpuE2ELNS1_3repE0EEENS1_48merge_mergepath_partition_config_static_selectorELNS0_4arch9wavefront6targetE1EEEvSJ_.numbered_sgpr, 0
	.set _ZN7rocprim17ROCPRIM_400000_NS6detail17trampoline_kernelINS0_14default_configENS1_38merge_sort_block_merge_config_selectorIffEEZZNS1_27merge_sort_block_merge_implIS3_N6thrust23THRUST_200600_302600_NS6detail15normal_iteratorINS8_10device_ptrIfEEEESD_jNS1_19radix_merge_compareILb0ELb0EfNS0_19identity_decomposerEEEEE10hipError_tT0_T1_T2_jT3_P12ihipStream_tbPNSt15iterator_traitsISI_E10value_typeEPNSO_ISJ_E10value_typeEPSK_NS1_7vsmem_tEENKUlT_SI_SJ_SK_E_clIPfSD_S10_SD_EESH_SX_SI_SJ_SK_EUlSX_E_NS1_11comp_targetILNS1_3genE8ELNS1_11target_archE1030ELNS1_3gpuE2ELNS1_3repE0EEENS1_48merge_mergepath_partition_config_static_selectorELNS0_4arch9wavefront6targetE1EEEvSJ_.num_named_barrier, 0
	.set _ZN7rocprim17ROCPRIM_400000_NS6detail17trampoline_kernelINS0_14default_configENS1_38merge_sort_block_merge_config_selectorIffEEZZNS1_27merge_sort_block_merge_implIS3_N6thrust23THRUST_200600_302600_NS6detail15normal_iteratorINS8_10device_ptrIfEEEESD_jNS1_19radix_merge_compareILb0ELb0EfNS0_19identity_decomposerEEEEE10hipError_tT0_T1_T2_jT3_P12ihipStream_tbPNSt15iterator_traitsISI_E10value_typeEPNSO_ISJ_E10value_typeEPSK_NS1_7vsmem_tEENKUlT_SI_SJ_SK_E_clIPfSD_S10_SD_EESH_SX_SI_SJ_SK_EUlSX_E_NS1_11comp_targetILNS1_3genE8ELNS1_11target_archE1030ELNS1_3gpuE2ELNS1_3repE0EEENS1_48merge_mergepath_partition_config_static_selectorELNS0_4arch9wavefront6targetE1EEEvSJ_.private_seg_size, 0
	.set _ZN7rocprim17ROCPRIM_400000_NS6detail17trampoline_kernelINS0_14default_configENS1_38merge_sort_block_merge_config_selectorIffEEZZNS1_27merge_sort_block_merge_implIS3_N6thrust23THRUST_200600_302600_NS6detail15normal_iteratorINS8_10device_ptrIfEEEESD_jNS1_19radix_merge_compareILb0ELb0EfNS0_19identity_decomposerEEEEE10hipError_tT0_T1_T2_jT3_P12ihipStream_tbPNSt15iterator_traitsISI_E10value_typeEPNSO_ISJ_E10value_typeEPSK_NS1_7vsmem_tEENKUlT_SI_SJ_SK_E_clIPfSD_S10_SD_EESH_SX_SI_SJ_SK_EUlSX_E_NS1_11comp_targetILNS1_3genE8ELNS1_11target_archE1030ELNS1_3gpuE2ELNS1_3repE0EEENS1_48merge_mergepath_partition_config_static_selectorELNS0_4arch9wavefront6targetE1EEEvSJ_.uses_vcc, 0
	.set _ZN7rocprim17ROCPRIM_400000_NS6detail17trampoline_kernelINS0_14default_configENS1_38merge_sort_block_merge_config_selectorIffEEZZNS1_27merge_sort_block_merge_implIS3_N6thrust23THRUST_200600_302600_NS6detail15normal_iteratorINS8_10device_ptrIfEEEESD_jNS1_19radix_merge_compareILb0ELb0EfNS0_19identity_decomposerEEEEE10hipError_tT0_T1_T2_jT3_P12ihipStream_tbPNSt15iterator_traitsISI_E10value_typeEPNSO_ISJ_E10value_typeEPSK_NS1_7vsmem_tEENKUlT_SI_SJ_SK_E_clIPfSD_S10_SD_EESH_SX_SI_SJ_SK_EUlSX_E_NS1_11comp_targetILNS1_3genE8ELNS1_11target_archE1030ELNS1_3gpuE2ELNS1_3repE0EEENS1_48merge_mergepath_partition_config_static_selectorELNS0_4arch9wavefront6targetE1EEEvSJ_.uses_flat_scratch, 0
	.set _ZN7rocprim17ROCPRIM_400000_NS6detail17trampoline_kernelINS0_14default_configENS1_38merge_sort_block_merge_config_selectorIffEEZZNS1_27merge_sort_block_merge_implIS3_N6thrust23THRUST_200600_302600_NS6detail15normal_iteratorINS8_10device_ptrIfEEEESD_jNS1_19radix_merge_compareILb0ELb0EfNS0_19identity_decomposerEEEEE10hipError_tT0_T1_T2_jT3_P12ihipStream_tbPNSt15iterator_traitsISI_E10value_typeEPNSO_ISJ_E10value_typeEPSK_NS1_7vsmem_tEENKUlT_SI_SJ_SK_E_clIPfSD_S10_SD_EESH_SX_SI_SJ_SK_EUlSX_E_NS1_11comp_targetILNS1_3genE8ELNS1_11target_archE1030ELNS1_3gpuE2ELNS1_3repE0EEENS1_48merge_mergepath_partition_config_static_selectorELNS0_4arch9wavefront6targetE1EEEvSJ_.has_dyn_sized_stack, 0
	.set _ZN7rocprim17ROCPRIM_400000_NS6detail17trampoline_kernelINS0_14default_configENS1_38merge_sort_block_merge_config_selectorIffEEZZNS1_27merge_sort_block_merge_implIS3_N6thrust23THRUST_200600_302600_NS6detail15normal_iteratorINS8_10device_ptrIfEEEESD_jNS1_19radix_merge_compareILb0ELb0EfNS0_19identity_decomposerEEEEE10hipError_tT0_T1_T2_jT3_P12ihipStream_tbPNSt15iterator_traitsISI_E10value_typeEPNSO_ISJ_E10value_typeEPSK_NS1_7vsmem_tEENKUlT_SI_SJ_SK_E_clIPfSD_S10_SD_EESH_SX_SI_SJ_SK_EUlSX_E_NS1_11comp_targetILNS1_3genE8ELNS1_11target_archE1030ELNS1_3gpuE2ELNS1_3repE0EEENS1_48merge_mergepath_partition_config_static_selectorELNS0_4arch9wavefront6targetE1EEEvSJ_.has_recursion, 0
	.set _ZN7rocprim17ROCPRIM_400000_NS6detail17trampoline_kernelINS0_14default_configENS1_38merge_sort_block_merge_config_selectorIffEEZZNS1_27merge_sort_block_merge_implIS3_N6thrust23THRUST_200600_302600_NS6detail15normal_iteratorINS8_10device_ptrIfEEEESD_jNS1_19radix_merge_compareILb0ELb0EfNS0_19identity_decomposerEEEEE10hipError_tT0_T1_T2_jT3_P12ihipStream_tbPNSt15iterator_traitsISI_E10value_typeEPNSO_ISJ_E10value_typeEPSK_NS1_7vsmem_tEENKUlT_SI_SJ_SK_E_clIPfSD_S10_SD_EESH_SX_SI_SJ_SK_EUlSX_E_NS1_11comp_targetILNS1_3genE8ELNS1_11target_archE1030ELNS1_3gpuE2ELNS1_3repE0EEENS1_48merge_mergepath_partition_config_static_selectorELNS0_4arch9wavefront6targetE1EEEvSJ_.has_indirect_call, 0
	.section	.AMDGPU.csdata,"",@progbits
; Kernel info:
; codeLenInByte = 0
; TotalNumSgprs: 6
; NumVgprs: 0
; NumAgprs: 0
; TotalNumVgprs: 0
; ScratchSize: 0
; MemoryBound: 0
; FloatMode: 240
; IeeeMode: 1
; LDSByteSize: 0 bytes/workgroup (compile time only)
; SGPRBlocks: 0
; VGPRBlocks: 0
; NumSGPRsForWavesPerEU: 6
; NumVGPRsForWavesPerEU: 1
; AccumOffset: 4
; Occupancy: 8
; WaveLimiterHint : 0
; COMPUTE_PGM_RSRC2:SCRATCH_EN: 0
; COMPUTE_PGM_RSRC2:USER_SGPR: 2
; COMPUTE_PGM_RSRC2:TRAP_HANDLER: 0
; COMPUTE_PGM_RSRC2:TGID_X_EN: 1
; COMPUTE_PGM_RSRC2:TGID_Y_EN: 0
; COMPUTE_PGM_RSRC2:TGID_Z_EN: 0
; COMPUTE_PGM_RSRC2:TIDIG_COMP_CNT: 0
; COMPUTE_PGM_RSRC3_GFX90A:ACCUM_OFFSET: 0
; COMPUTE_PGM_RSRC3_GFX90A:TG_SPLIT: 0
	.section	.text._ZN7rocprim17ROCPRIM_400000_NS6detail17trampoline_kernelINS0_14default_configENS1_38merge_sort_block_merge_config_selectorIffEEZZNS1_27merge_sort_block_merge_implIS3_N6thrust23THRUST_200600_302600_NS6detail15normal_iteratorINS8_10device_ptrIfEEEESD_jNS1_19radix_merge_compareILb0ELb0EfNS0_19identity_decomposerEEEEE10hipError_tT0_T1_T2_jT3_P12ihipStream_tbPNSt15iterator_traitsISI_E10value_typeEPNSO_ISJ_E10value_typeEPSK_NS1_7vsmem_tEENKUlT_SI_SJ_SK_E_clIPfSD_S10_SD_EESH_SX_SI_SJ_SK_EUlSX_E0_NS1_11comp_targetILNS1_3genE0ELNS1_11target_archE4294967295ELNS1_3gpuE0ELNS1_3repE0EEENS1_38merge_mergepath_config_static_selectorELNS0_4arch9wavefront6targetE1EEEvSJ_,"axG",@progbits,_ZN7rocprim17ROCPRIM_400000_NS6detail17trampoline_kernelINS0_14default_configENS1_38merge_sort_block_merge_config_selectorIffEEZZNS1_27merge_sort_block_merge_implIS3_N6thrust23THRUST_200600_302600_NS6detail15normal_iteratorINS8_10device_ptrIfEEEESD_jNS1_19radix_merge_compareILb0ELb0EfNS0_19identity_decomposerEEEEE10hipError_tT0_T1_T2_jT3_P12ihipStream_tbPNSt15iterator_traitsISI_E10value_typeEPNSO_ISJ_E10value_typeEPSK_NS1_7vsmem_tEENKUlT_SI_SJ_SK_E_clIPfSD_S10_SD_EESH_SX_SI_SJ_SK_EUlSX_E0_NS1_11comp_targetILNS1_3genE0ELNS1_11target_archE4294967295ELNS1_3gpuE0ELNS1_3repE0EEENS1_38merge_mergepath_config_static_selectorELNS0_4arch9wavefront6targetE1EEEvSJ_,comdat
	.protected	_ZN7rocprim17ROCPRIM_400000_NS6detail17trampoline_kernelINS0_14default_configENS1_38merge_sort_block_merge_config_selectorIffEEZZNS1_27merge_sort_block_merge_implIS3_N6thrust23THRUST_200600_302600_NS6detail15normal_iteratorINS8_10device_ptrIfEEEESD_jNS1_19radix_merge_compareILb0ELb0EfNS0_19identity_decomposerEEEEE10hipError_tT0_T1_T2_jT3_P12ihipStream_tbPNSt15iterator_traitsISI_E10value_typeEPNSO_ISJ_E10value_typeEPSK_NS1_7vsmem_tEENKUlT_SI_SJ_SK_E_clIPfSD_S10_SD_EESH_SX_SI_SJ_SK_EUlSX_E0_NS1_11comp_targetILNS1_3genE0ELNS1_11target_archE4294967295ELNS1_3gpuE0ELNS1_3repE0EEENS1_38merge_mergepath_config_static_selectorELNS0_4arch9wavefront6targetE1EEEvSJ_ ; -- Begin function _ZN7rocprim17ROCPRIM_400000_NS6detail17trampoline_kernelINS0_14default_configENS1_38merge_sort_block_merge_config_selectorIffEEZZNS1_27merge_sort_block_merge_implIS3_N6thrust23THRUST_200600_302600_NS6detail15normal_iteratorINS8_10device_ptrIfEEEESD_jNS1_19radix_merge_compareILb0ELb0EfNS0_19identity_decomposerEEEEE10hipError_tT0_T1_T2_jT3_P12ihipStream_tbPNSt15iterator_traitsISI_E10value_typeEPNSO_ISJ_E10value_typeEPSK_NS1_7vsmem_tEENKUlT_SI_SJ_SK_E_clIPfSD_S10_SD_EESH_SX_SI_SJ_SK_EUlSX_E0_NS1_11comp_targetILNS1_3genE0ELNS1_11target_archE4294967295ELNS1_3gpuE0ELNS1_3repE0EEENS1_38merge_mergepath_config_static_selectorELNS0_4arch9wavefront6targetE1EEEvSJ_
	.globl	_ZN7rocprim17ROCPRIM_400000_NS6detail17trampoline_kernelINS0_14default_configENS1_38merge_sort_block_merge_config_selectorIffEEZZNS1_27merge_sort_block_merge_implIS3_N6thrust23THRUST_200600_302600_NS6detail15normal_iteratorINS8_10device_ptrIfEEEESD_jNS1_19radix_merge_compareILb0ELb0EfNS0_19identity_decomposerEEEEE10hipError_tT0_T1_T2_jT3_P12ihipStream_tbPNSt15iterator_traitsISI_E10value_typeEPNSO_ISJ_E10value_typeEPSK_NS1_7vsmem_tEENKUlT_SI_SJ_SK_E_clIPfSD_S10_SD_EESH_SX_SI_SJ_SK_EUlSX_E0_NS1_11comp_targetILNS1_3genE0ELNS1_11target_archE4294967295ELNS1_3gpuE0ELNS1_3repE0EEENS1_38merge_mergepath_config_static_selectorELNS0_4arch9wavefront6targetE1EEEvSJ_
	.p2align	8
	.type	_ZN7rocprim17ROCPRIM_400000_NS6detail17trampoline_kernelINS0_14default_configENS1_38merge_sort_block_merge_config_selectorIffEEZZNS1_27merge_sort_block_merge_implIS3_N6thrust23THRUST_200600_302600_NS6detail15normal_iteratorINS8_10device_ptrIfEEEESD_jNS1_19radix_merge_compareILb0ELb0EfNS0_19identity_decomposerEEEEE10hipError_tT0_T1_T2_jT3_P12ihipStream_tbPNSt15iterator_traitsISI_E10value_typeEPNSO_ISJ_E10value_typeEPSK_NS1_7vsmem_tEENKUlT_SI_SJ_SK_E_clIPfSD_S10_SD_EESH_SX_SI_SJ_SK_EUlSX_E0_NS1_11comp_targetILNS1_3genE0ELNS1_11target_archE4294967295ELNS1_3gpuE0ELNS1_3repE0EEENS1_38merge_mergepath_config_static_selectorELNS0_4arch9wavefront6targetE1EEEvSJ_,@function
_ZN7rocprim17ROCPRIM_400000_NS6detail17trampoline_kernelINS0_14default_configENS1_38merge_sort_block_merge_config_selectorIffEEZZNS1_27merge_sort_block_merge_implIS3_N6thrust23THRUST_200600_302600_NS6detail15normal_iteratorINS8_10device_ptrIfEEEESD_jNS1_19radix_merge_compareILb0ELb0EfNS0_19identity_decomposerEEEEE10hipError_tT0_T1_T2_jT3_P12ihipStream_tbPNSt15iterator_traitsISI_E10value_typeEPNSO_ISJ_E10value_typeEPSK_NS1_7vsmem_tEENKUlT_SI_SJ_SK_E_clIPfSD_S10_SD_EESH_SX_SI_SJ_SK_EUlSX_E0_NS1_11comp_targetILNS1_3genE0ELNS1_11target_archE4294967295ELNS1_3gpuE0ELNS1_3repE0EEENS1_38merge_mergepath_config_static_selectorELNS0_4arch9wavefront6targetE1EEEvSJ_: ; @_ZN7rocprim17ROCPRIM_400000_NS6detail17trampoline_kernelINS0_14default_configENS1_38merge_sort_block_merge_config_selectorIffEEZZNS1_27merge_sort_block_merge_implIS3_N6thrust23THRUST_200600_302600_NS6detail15normal_iteratorINS8_10device_ptrIfEEEESD_jNS1_19radix_merge_compareILb0ELb0EfNS0_19identity_decomposerEEEEE10hipError_tT0_T1_T2_jT3_P12ihipStream_tbPNSt15iterator_traitsISI_E10value_typeEPNSO_ISJ_E10value_typeEPSK_NS1_7vsmem_tEENKUlT_SI_SJ_SK_E_clIPfSD_S10_SD_EESH_SX_SI_SJ_SK_EUlSX_E0_NS1_11comp_targetILNS1_3genE0ELNS1_11target_archE4294967295ELNS1_3gpuE0ELNS1_3repE0EEENS1_38merge_mergepath_config_static_selectorELNS0_4arch9wavefront6targetE1EEEvSJ_
; %bb.0:
	s_load_dwordx2 s[28:29], s[0:1], 0x40
	s_load_dword s5, s[0:1], 0x30
	s_add_u32 s24, s0, 64
	s_addc_u32 s25, s1, 0
	s_waitcnt lgkmcnt(0)
	s_mul_i32 s4, s29, s4
	s_add_i32 s3, s4, s3
	s_mul_i32 s3, s3, s28
	s_add_i32 s26, s3, s2
	s_cmp_ge_u32 s26, s5
	s_cbranch_scc1 .LBB229_102
; %bb.1:
	s_load_dwordx8 s[8:15], s[0:1], 0x10
	s_load_dwordx2 s[20:21], s[0:1], 0x8
	s_load_dwordx2 s[4:5], s[0:1], 0x38
	s_mov_b32 s27, 0
	s_mov_b32 s23, s27
	s_waitcnt lgkmcnt(0)
	s_lshr_b32 s29, s14, 10
	s_cmp_lg_u32 s26, s29
	s_cselect_b64 s[6:7], -1, 0
	s_lshl_b64 s[0:1], s[26:27], 2
	s_add_u32 s0, s4, s0
	s_addc_u32 s1, s5, s1
	s_load_dwordx2 s[16:17], s[0:1], 0x0
	s_lshr_b32 s0, s15, 9
	s_and_b32 s0, s0, 0x7ffffe
	s_sub_i32 s0, 0, s0
	s_and_b32 s1, s26, s0
	s_lshl_b32 s3, s1, 10
	s_lshl_b32 s4, s26, 10
	;; [unrolled: 1-line block ×3, first 2 shown]
	s_sub_i32 s5, s4, s3
	s_add_i32 s1, s1, s15
	s_add_i32 s5, s1, s5
	s_waitcnt lgkmcnt(0)
	s_sub_i32 s18, s5, s16
	s_sub_i32 s5, s5, s17
	;; [unrolled: 1-line block ×3, first 2 shown]
	s_min_u32 s22, s14, s18
	s_addk_i32 s5, 0x400
	s_or_b32 s0, s26, s0
	s_min_u32 s3, s14, s1
	s_add_i32 s1, s1, s15
	s_cmp_eq_u32 s0, -1
	s_cselect_b32 s0, s1, s5
	s_cselect_b32 s1, s3, s17
	s_mov_b32 s17, s27
	s_min_u32 s15, s0, s14
	s_sub_i32 s5, s1, s16
	s_lshl_b64 s[0:1], s[16:17], 2
	s_add_u32 s18, s20, s0
	s_addc_u32 s19, s21, s1
	s_lshl_b64 s[16:17], s[22:23], 2
	s_add_u32 s20, s20, s16
	s_addc_u32 s21, s21, s17
	s_cmp_lt_u32 s2, s28
	v_mov_b32_e32 v19, 0
	s_cselect_b32 s2, 12, 18
	global_load_dword v1, v19, s[24:25] offset:14
	s_add_u32 s2, s24, s2
	s_addc_u32 s3, s25, 0
	global_load_ushort v2, v19, s[2:3]
	s_cmp_eq_u32 s26, s29
	v_lshlrev_b32_e32 v18, 2, v0
	s_waitcnt vmcnt(1)
	v_lshrrev_b32_e32 v3, 16, v1
	v_and_b32_e32 v1, 0xffff, v1
	v_mul_lo_u32 v1, v1, v3
	s_waitcnt vmcnt(0)
	v_mul_lo_u32 v1, v1, v2
	v_add_u32_e32 v22, v1, v0
	v_add_u32_e32 v20, v22, v1
	s_cbranch_scc1 .LBB229_3
; %bb.2:
	v_subrev_co_u32_e32 v4, vcc, s5, v0
	v_mov_b32_e32 v5, v19
	v_lshl_add_u64 v[2:3], s[18:19], 0, v[18:19]
	v_lshl_add_u64 v[4:5], v[4:5], 2, s[20:21]
	v_cndmask_b32_e32 v3, v5, v3, vcc
	v_cndmask_b32_e32 v2, v4, v2, vcc
	v_mov_b32_e32 v23, v19
	v_subrev_co_u32_e32 v6, vcc, s5, v22
	v_mov_b32_e32 v7, v19
	v_lshl_add_u64 v[4:5], v[22:23], 2, s[18:19]
	v_lshl_add_u64 v[6:7], v[6:7], 2, s[20:21]
	v_cndmask_b32_e32 v5, v7, v5, vcc
	v_cndmask_b32_e32 v4, v6, v4, vcc
	v_mov_b32_e32 v21, v19
	v_subrev_co_u32_e32 v6, vcc, s5, v20
	v_mov_b32_e32 v7, v19
	global_load_dword v2, v[2:3], off
	v_lshl_add_u64 v[6:7], v[6:7], 2, s[20:21]
	global_load_dword v3, v[4:5], off
	v_lshl_add_u64 v[4:5], v[20:21], 2, s[18:19]
	v_cndmask_b32_e32 v4, v6, v4, vcc
	v_add_u32_e32 v6, v20, v1
	v_cndmask_b32_e32 v5, v7, v5, vcc
	v_mov_b32_e32 v7, v19
	v_subrev_co_u32_e32 v10, vcc, s5, v6
	v_mov_b32_e32 v11, v19
	v_lshl_add_u64 v[8:9], v[6:7], 2, s[18:19]
	v_lshl_add_u64 v[10:11], v[10:11], 2, s[20:21]
	v_cndmask_b32_e32 v9, v11, v9, vcc
	v_cndmask_b32_e32 v8, v10, v8, vcc
	global_load_dword v4, v[4:5], off
	v_mov_b32_e32 v11, v19
	global_load_dword v5, v[8:9], off
	v_add_u32_e32 v8, v6, v1
	v_mov_b32_e32 v9, v19
	v_subrev_co_u32_e32 v10, vcc, s5, v8
	v_lshl_add_u64 v[6:7], v[8:9], 2, s[18:19]
	v_lshl_add_u64 v[10:11], v[10:11], 2, s[20:21]
	v_add_u32_e32 v8, v8, v1
	v_cndmask_b32_e32 v7, v11, v7, vcc
	v_cndmask_b32_e32 v6, v10, v6, vcc
	v_subrev_co_u32_e32 v12, vcc, s5, v8
	v_mov_b32_e32 v13, v19
	v_lshl_add_u64 v[10:11], v[8:9], 2, s[18:19]
	v_lshl_add_u64 v[12:13], v[12:13], 2, s[20:21]
	v_cndmask_b32_e32 v11, v13, v11, vcc
	v_cndmask_b32_e32 v10, v12, v10, vcc
	global_load_dword v6, v[6:7], off
	v_mov_b32_e32 v13, v19
	global_load_dword v7, v[10:11], off
	v_add_u32_e32 v10, v8, v1
	v_mov_b32_e32 v11, v19
	v_subrev_co_u32_e32 v12, vcc, s5, v10
	v_lshl_add_u64 v[8:9], v[10:11], 2, s[18:19]
	v_lshl_add_u64 v[12:13], v[12:13], 2, s[20:21]
	v_cndmask_b32_e32 v9, v13, v9, vcc
	v_cndmask_b32_e32 v8, v12, v8, vcc
	global_load_dword v8, v[8:9], off
	v_add_u32_e32 v10, v10, v1
	s_mov_b64 s[2:3], -1
	s_sub_i32 s24, s15, s22
	s_cbranch_execz .LBB229_4
	s_branch .LBB229_17
.LBB229_3:
	s_mov_b64 s[2:3], 0
                                        ; implicit-def: $vgpr10
                                        ; implicit-def: $vgpr2_vgpr3_vgpr4_vgpr5_vgpr6_vgpr7_vgpr8_vgpr9
	s_sub_i32 s24, s15, s22
.LBB229_4:
	s_add_i32 s15, s24, s5
	s_waitcnt vmcnt(6)
	v_mov_b32_e32 v2, 0
	v_cmp_gt_u32_e32 vcc, s15, v0
	s_waitcnt vmcnt(5)
	v_mov_b32_e32 v3, v2
	s_waitcnt vmcnt(4)
	v_mov_b32_e32 v4, v2
	;; [unrolled: 2-line block ×6, first 2 shown]
	v_mov_b32_e32 v9, v2
	s_and_saveexec_b64 s[2:3], vcc
	s_cbranch_execnz .LBB229_103
; %bb.5:
	s_or_b64 exec, exec, s[2:3]
	v_cmp_gt_u32_e32 vcc, s15, v22
	s_and_saveexec_b64 s[2:3], vcc
	s_cbranch_execnz .LBB229_104
.LBB229_6:
	s_or_b64 exec, exec, s[2:3]
	v_cmp_gt_u32_e32 vcc, s15, v20
	s_and_saveexec_b64 s[2:3], vcc
	s_cbranch_execz .LBB229_8
.LBB229_7:
	v_mov_b32_e32 v21, 0
	v_subrev_co_u32_e32 v12, vcc, s5, v20
	v_mov_b32_e32 v13, v21
	v_lshl_add_u64 v[10:11], v[20:21], 2, s[18:19]
	v_lshl_add_u64 v[12:13], v[12:13], 2, s[20:21]
	v_cndmask_b32_e32 v11, v13, v11, vcc
	v_cndmask_b32_e32 v10, v12, v10, vcc
	global_load_dword v4, v[10:11], off
.LBB229_8:
	s_or_b64 exec, exec, s[2:3]
	v_add_u32_e32 v10, v20, v1
	v_cmp_gt_u32_e32 vcc, s15, v10
	s_and_saveexec_b64 s[2:3], vcc
	s_cbranch_execz .LBB229_10
; %bb.9:
	v_mov_b32_e32 v11, 0
	v_subrev_co_u32_e32 v14, vcc, s5, v10
	v_mov_b32_e32 v15, v11
	v_lshl_add_u64 v[12:13], v[10:11], 2, s[18:19]
	v_lshl_add_u64 v[14:15], v[14:15], 2, s[20:21]
	v_cndmask_b32_e32 v13, v15, v13, vcc
	v_cndmask_b32_e32 v12, v14, v12, vcc
	global_load_dword v5, v[12:13], off
.LBB229_10:
	s_or_b64 exec, exec, s[2:3]
	v_add_u32_e32 v10, v10, v1
	v_cmp_gt_u32_e32 vcc, s15, v10
	s_and_saveexec_b64 s[2:3], vcc
	s_cbranch_execz .LBB229_12
; %bb.11:
	v_mov_b32_e32 v11, 0
	v_subrev_co_u32_e32 v14, vcc, s5, v10
	v_mov_b32_e32 v15, v11
	v_lshl_add_u64 v[12:13], v[10:11], 2, s[18:19]
	v_lshl_add_u64 v[14:15], v[14:15], 2, s[20:21]
	v_cndmask_b32_e32 v13, v15, v13, vcc
	v_cndmask_b32_e32 v12, v14, v12, vcc
	global_load_dword v6, v[12:13], off
.LBB229_12:
	;; [unrolled: 15-line block ×4, first 2 shown]
	s_or_b64 exec, exec, s[2:3]
	v_add_u32_e32 v10, v10, v1
	v_cmp_gt_u32_e64 s[2:3], s15, v10
.LBB229_17:
	s_and_saveexec_b64 s[22:23], s[2:3]
	s_cbranch_execz .LBB229_19
; %bb.18:
	v_mov_b32_e32 v11, 0
	v_lshl_add_u64 v[12:13], v[10:11], 2, s[18:19]
	v_subrev_co_u32_e32 v10, vcc, s5, v10
	v_lshl_add_u64 v[10:11], v[10:11], 2, s[20:21]
	s_nop 0
	v_cndmask_b32_e32 v11, v11, v13, vcc
	v_cndmask_b32_e32 v10, v10, v12, vcc
	global_load_dword v9, v[10:11], off
.LBB229_19:
	s_or_b64 exec, exec, s[22:23]
	s_add_u32 s0, s10, s0
	s_addc_u32 s1, s11, s1
	s_add_u32 s2, s10, s16
	v_mov_b32_e32 v19, 0
	s_addc_u32 s3, s11, s17
	s_andn2_b64 vcc, exec, s[6:7]
	s_waitcnt vmcnt(0)
	ds_write2st64_b32 v18, v2, v3 offset1:2
	ds_write2st64_b32 v18, v4, v5 offset0:4 offset1:6
	ds_write2st64_b32 v18, v6, v7 offset0:8 offset1:10
	;; [unrolled: 1-line block ×3, first 2 shown]
	s_cbranch_vccnz .LBB229_21
; %bb.20:
	v_subrev_co_u32_e32 v12, vcc, s5, v0
	v_mov_b32_e32 v13, v19
	v_lshl_add_u64 v[10:11], s[0:1], 0, v[18:19]
	v_lshl_add_u64 v[12:13], v[12:13], 2, s[2:3]
	v_cndmask_b32_e32 v11, v13, v11, vcc
	v_cndmask_b32_e32 v10, v12, v10, vcc
	v_mov_b32_e32 v23, v19
	v_subrev_co_u32_e32 v14, vcc, s5, v22
	v_mov_b32_e32 v15, v19
	v_lshl_add_u64 v[12:13], v[22:23], 2, s[0:1]
	v_lshl_add_u64 v[14:15], v[14:15], 2, s[2:3]
	v_cndmask_b32_e32 v13, v15, v13, vcc
	v_cndmask_b32_e32 v12, v14, v12, vcc
	v_mov_b32_e32 v21, v19
	v_subrev_co_u32_e32 v14, vcc, s5, v20
	v_mov_b32_e32 v15, v19
	global_load_dword v10, v[10:11], off
	v_lshl_add_u64 v[14:15], v[14:15], 2, s[2:3]
	global_load_dword v11, v[12:13], off
	v_lshl_add_u64 v[12:13], v[20:21], 2, s[0:1]
	v_cndmask_b32_e32 v12, v14, v12, vcc
	v_add_u32_e32 v14, v20, v1
	v_cndmask_b32_e32 v13, v15, v13, vcc
	v_mov_b32_e32 v15, v19
	v_subrev_co_u32_e32 v24, vcc, s5, v14
	v_mov_b32_e32 v25, v19
	v_lshl_add_u64 v[16:17], v[14:15], 2, s[0:1]
	v_lshl_add_u64 v[24:25], v[24:25], 2, s[2:3]
	v_cndmask_b32_e32 v17, v25, v17, vcc
	v_cndmask_b32_e32 v16, v24, v16, vcc
	global_load_dword v12, v[12:13], off
	v_mov_b32_e32 v25, v19
	global_load_dword v13, v[16:17], off
	v_add_u32_e32 v16, v14, v1
	v_mov_b32_e32 v17, v19
	v_subrev_co_u32_e32 v24, vcc, s5, v16
	v_lshl_add_u64 v[14:15], v[16:17], 2, s[0:1]
	v_lshl_add_u64 v[24:25], v[24:25], 2, s[2:3]
	v_add_u32_e32 v16, v16, v1
	v_cndmask_b32_e32 v15, v25, v15, vcc
	v_cndmask_b32_e32 v14, v24, v14, vcc
	v_subrev_co_u32_e32 v26, vcc, s5, v16
	v_mov_b32_e32 v27, v19
	v_lshl_add_u64 v[24:25], v[16:17], 2, s[0:1]
	v_lshl_add_u64 v[26:27], v[26:27], 2, s[2:3]
	v_cndmask_b32_e32 v25, v27, v25, vcc
	v_cndmask_b32_e32 v24, v26, v24, vcc
	global_load_dword v14, v[14:15], off
	v_mov_b32_e32 v27, v19
	global_load_dword v15, v[24:25], off
	v_add_u32_e32 v24, v16, v1
	v_mov_b32_e32 v25, v19
	v_subrev_co_u32_e32 v26, vcc, s5, v24
	v_lshl_add_u64 v[16:17], v[24:25], 2, s[0:1]
	v_lshl_add_u64 v[26:27], v[26:27], 2, s[2:3]
	v_add_u32_e32 v24, v24, v1
	v_cndmask_b32_e32 v17, v27, v17, vcc
	v_cndmask_b32_e32 v16, v26, v16, vcc
	v_lshl_add_u64 v[26:27], v[24:25], 2, s[0:1]
	v_subrev_co_u32_e32 v24, vcc, s5, v24
	v_lshl_add_u64 v[24:25], v[24:25], 2, s[2:3]
	s_nop 0
	v_cndmask_b32_e32 v25, v25, v27, vcc
	v_cndmask_b32_e32 v24, v24, v26, vcc
	global_load_dword v16, v[16:17], off
	s_add_i32 s15, s24, s5
	global_load_dword v17, v[24:25], off
	s_cbranch_execz .LBB229_22
	s_branch .LBB229_37
.LBB229_21:
                                        ; implicit-def: $vgpr10_vgpr11_vgpr12_vgpr13_vgpr14_vgpr15_vgpr16_vgpr17
                                        ; implicit-def: $sgpr15
.LBB229_22:
	s_add_i32 s15, s24, s5
	s_waitcnt vmcnt(7)
	v_mov_b32_e32 v10, 0
	v_cmp_gt_u32_e32 vcc, s15, v0
	s_waitcnt vmcnt(6)
	v_mov_b32_e32 v11, v10
	s_waitcnt vmcnt(5)
	v_mov_b32_e32 v12, v10
	;; [unrolled: 2-line block ×7, first 2 shown]
	s_and_saveexec_b64 s[10:11], vcc
	s_cbranch_execnz .LBB229_105
; %bb.23:
	s_or_b64 exec, exec, s[10:11]
	v_cmp_gt_u32_e32 vcc, s15, v22
	s_and_saveexec_b64 s[10:11], vcc
	s_cbranch_execnz .LBB229_106
.LBB229_24:
	s_or_b64 exec, exec, s[10:11]
	v_cmp_gt_u32_e32 vcc, s15, v20
	s_and_saveexec_b64 s[10:11], vcc
	s_cbranch_execz .LBB229_26
.LBB229_25:
	v_mov_b32_e32 v21, 0
	v_subrev_co_u32_e32 v24, vcc, s5, v20
	v_mov_b32_e32 v25, v21
	v_lshl_add_u64 v[22:23], v[20:21], 2, s[0:1]
	v_lshl_add_u64 v[24:25], v[24:25], 2, s[2:3]
	v_cndmask_b32_e32 v23, v25, v23, vcc
	v_cndmask_b32_e32 v22, v24, v22, vcc
	global_load_dword v12, v[22:23], off
.LBB229_26:
	s_or_b64 exec, exec, s[10:11]
	v_add_u32_e32 v20, v20, v1
	v_cmp_gt_u32_e32 vcc, s15, v20
	s_and_saveexec_b64 s[10:11], vcc
	s_cbranch_execz .LBB229_28
; %bb.27:
	v_mov_b32_e32 v21, 0
	v_subrev_co_u32_e32 v24, vcc, s5, v20
	v_mov_b32_e32 v25, v21
	v_lshl_add_u64 v[22:23], v[20:21], 2, s[0:1]
	v_lshl_add_u64 v[24:25], v[24:25], 2, s[2:3]
	v_cndmask_b32_e32 v23, v25, v23, vcc
	v_cndmask_b32_e32 v22, v24, v22, vcc
	global_load_dword v13, v[22:23], off
.LBB229_28:
	s_or_b64 exec, exec, s[10:11]
	v_add_u32_e32 v20, v20, v1
	v_cmp_gt_u32_e32 vcc, s15, v20
	s_and_saveexec_b64 s[10:11], vcc
	s_cbranch_execz .LBB229_30
; %bb.29:
	v_mov_b32_e32 v21, 0
	v_subrev_co_u32_e32 v24, vcc, s5, v20
	v_mov_b32_e32 v25, v21
	v_lshl_add_u64 v[22:23], v[20:21], 2, s[0:1]
	v_lshl_add_u64 v[24:25], v[24:25], 2, s[2:3]
	v_cndmask_b32_e32 v23, v25, v23, vcc
	v_cndmask_b32_e32 v22, v24, v22, vcc
	global_load_dword v14, v[22:23], off
.LBB229_30:
	;; [unrolled: 15-line block ×4, first 2 shown]
	s_or_b64 exec, exec, s[10:11]
	v_add_u32_e32 v20, v20, v1
	v_cmp_gt_u32_e32 vcc, s15, v20
	s_and_saveexec_b64 s[10:11], vcc
	s_cbranch_execz .LBB229_36
; %bb.35:
	v_mov_b32_e32 v21, 0
	v_lshl_add_u64 v[22:23], v[20:21], 2, s[0:1]
	v_subrev_co_u32_e32 v20, vcc, s5, v20
	v_lshl_add_u64 v[20:21], v[20:21], 2, s[2:3]
	s_nop 0
	v_cndmask_b32_e32 v21, v21, v23, vcc
	v_cndmask_b32_e32 v20, v20, v22, vcc
	global_load_dword v17, v[20:21], off
.LBB229_36:
	s_or_b64 exec, exec, s[10:11]
.LBB229_37:
	v_lshlrev_b32_e32 v1, 3, v0
	v_min_u32_e32 v19, s15, v1
	v_sub_u32_e64 v26, v19, s24 clamp
	v_min_u32_e32 v20, s5, v19
	v_cmp_lt_u32_e32 vcc, v26, v20
	s_waitcnt lgkmcnt(0)
	s_barrier
	s_and_saveexec_b64 s[0:1], vcc
	s_cbranch_execz .LBB229_41
; %bb.38:
	v_lshlrev_b32_e32 v21, 2, v19
	v_lshl_add_u32 v21, s5, 2, v21
	s_mov_b64 s[2:3], 0
.LBB229_39:                             ; =>This Inner Loop Header: Depth=1
	v_add_u32_e32 v22, v20, v26
	v_lshrrev_b32_e32 v24, 1, v22
	v_not_b32_e32 v22, v24
	v_lshlrev_b32_e32 v23, 2, v24
	v_lshl_add_u32 v27, v22, 2, v21
	ds_read_b32 v22, v23
	ds_read_b32 v23, v27
	v_add_u32_e32 v25, 1, v24
	s_waitcnt lgkmcnt(0)
	v_pk_add_f32 v[22:23], v[22:23], 0 op_sel_hi:[1,0]
	s_nop 0
	v_ashrrev_i32_e32 v27, 31, v23
	v_ashrrev_i32_e32 v28, 31, v22
	v_or_b32_e32 v27, 0x80000000, v27
	v_or_b32_e32 v28, 0x80000000, v28
	v_xor_b32_e32 v23, v27, v23
	v_xor_b32_e32 v22, v28, v22
	v_cmp_gt_u32_e32 vcc, v22, v23
	s_nop 1
	v_cndmask_b32_e32 v20, v20, v24, vcc
	v_cndmask_b32_e32 v26, v25, v26, vcc
	v_cmp_ge_u32_e32 vcc, v26, v20
	s_or_b64 s[2:3], vcc, s[2:3]
	s_andn2_b64 exec, exec, s[2:3]
	s_cbranch_execnz .LBB229_39
; %bb.40:
	s_or_b64 exec, exec, s[2:3]
.LBB229_41:
	s_or_b64 exec, exec, s[0:1]
	v_sub_u32_e32 v19, v19, v26
	v_add_u32_e32 v28, s5, v19
	v_cmp_ge_u32_e32 vcc, s5, v26
	v_cmp_ge_u32_e64 s[0:1], s15, v28
	s_or_b64 s[0:1], vcc, s[0:1]
                                        ; implicit-def: $vgpr20
                                        ; implicit-def: $vgpr29
                                        ; implicit-def: $vgpr27
                                        ; implicit-def: $vgpr25
                                        ; implicit-def: $vgpr24
                                        ; implicit-def: $vgpr23
                                        ; implicit-def: $vgpr22
                                        ; implicit-def: $vgpr19
	s_and_saveexec_b64 s[2:3], s[0:1]
	s_xor_b64 s[2:3], exec, s[2:3]
	s_cbranch_execz .LBB229_77
; %bb.42:
	v_cmp_le_u32_e32 vcc, s5, v26
	v_cmp_gt_u32_e64 s[0:1], s5, v26
                                        ; implicit-def: $vgpr20
	s_and_saveexec_b64 s[10:11], s[0:1]
; %bb.43:
	v_lshlrev_b32_e32 v2, 2, v26
	ds_read_b32 v20, v2
; %bb.44:
	s_or_b64 exec, exec, s[10:11]
	v_cmp_le_u32_e64 s[10:11], s15, v28
	v_cmp_gt_u32_e64 s[0:1], s15, v28
	s_and_saveexec_b64 s[16:17], s[0:1]
; %bb.45:
	v_lshlrev_b32_e32 v2, 2, v28
	ds_read_b32 v21, v2
; %bb.46:
	s_or_b64 exec, exec, s[16:17]
	s_nor_b64 s[16:17], vcc, s[10:11]
	s_and_saveexec_b64 s[0:1], s[16:17]
	s_cbranch_execz .LBB229_48
; %bb.47:
	s_waitcnt lgkmcnt(0)
	v_pk_add_f32 v[2:3], v[20:21], 0 op_sel_hi:[1,0]
	s_andn2_b64 s[10:11], s[10:11], exec
	v_ashrrev_i32_e32 v4, 31, v3
	v_ashrrev_i32_e32 v5, 31, v2
	v_or_b32_e32 v4, 0x80000000, v4
	v_or_b32_e32 v5, 0x80000000, v5
	v_xor_b32_e32 v3, v4, v3
	v_xor_b32_e32 v2, v5, v2
	v_cmp_le_u32_e32 vcc, v2, v3
	s_and_b64 s[16:17], vcc, exec
	s_or_b64 s[10:11], s[10:11], s[16:17]
.LBB229_48:
	s_or_b64 exec, exec, s[0:1]
	v_mov_b32_e32 v2, s15
	v_mov_b32_e32 v3, s5
	v_cndmask_b32_e64 v19, v28, v26, s[10:11]
	v_cndmask_b32_e64 v2, v2, v3, s[10:11]
	v_add_u32_e32 v4, 1, v19
	v_add_u32_e32 v2, -1, v2
	v_min_u32_e32 v2, v4, v2
	v_lshlrev_b32_e32 v2, 2, v2
	ds_read_b32 v3, v2
	v_cndmask_b32_e64 v5, v4, v28, s[10:11]
	v_cndmask_b32_e64 v6, v26, v4, s[10:11]
	v_cmp_gt_u32_e32 vcc, s15, v5
	s_mov_b64 s[16:17], -1
	s_waitcnt lgkmcnt(0)
	v_cndmask_b32_e64 v2, v3, v21, s[10:11]
	v_cndmask_b32_e64 v3, v20, v3, s[10:11]
	s_mov_b64 s[0:1], -1
	s_and_saveexec_b64 s[18:19], vcc
	s_cbranch_execz .LBB229_52
; %bb.49:
	v_cmp_gt_u32_e32 vcc, s5, v6
	s_mov_b64 s[20:21], 0
	s_and_saveexec_b64 s[0:1], vcc
; %bb.50:
	v_add_f32_e32 v4, 0, v3
	v_add_f32_e32 v7, 0, v2
	v_ashrrev_i32_e32 v8, 31, v4
	s_brev_b32 s20, 1
	v_bitop3_b32 v4, v8, v4, s20 bitop3:0x36
	v_ashrrev_i32_e32 v8, 31, v7
	v_bitop3_b32 v7, v8, v7, s20 bitop3:0x36
	v_cmp_le_u32_e32 vcc, v4, v7
	s_and_b64 s[20:21], vcc, exec
; %bb.51:
	s_or_b64 exec, exec, s[0:1]
	s_orn2_b64 s[0:1], s[20:21], exec
.LBB229_52:
	s_or_b64 exec, exec, s[18:19]
	v_mov_b32_e32 v4, s15
	v_mov_b32_e32 v7, s5
	v_cndmask_b32_e64 v22, v5, v6, s[0:1]
	v_cndmask_b32_e64 v4, v4, v7, s[0:1]
	v_add_u32_e32 v8, 1, v22
	v_add_u32_e32 v4, -1, v4
	v_min_u32_e32 v4, v8, v4
	v_lshlrev_b32_e32 v4, 2, v4
	ds_read_b32 v7, v4
	v_cndmask_b32_e64 v6, v6, v8, s[0:1]
	s_waitcnt lgkmcnt(0)
	v_cndmask_b32_e64 v4, v7, v2, s[0:1]
	v_cndmask_b32_e64 v9, v3, v7, s[0:1]
	;; [unrolled: 1-line block ×3, first 2 shown]
	v_cmp_gt_u32_e32 vcc, s15, v7
	s_and_saveexec_b64 s[18:19], vcc
	s_cbranch_execz .LBB229_56
; %bb.53:
	v_cmp_gt_u32_e32 vcc, s5, v6
	s_mov_b64 s[20:21], 0
	s_and_saveexec_b64 s[16:17], vcc
; %bb.54:
	v_add_f32_e32 v5, 0, v9
	v_add_f32_e32 v8, 0, v4
	v_ashrrev_i32_e32 v23, 31, v5
	s_brev_b32 s20, 1
	v_bitop3_b32 v5, v23, v5, s20 bitop3:0x36
	v_ashrrev_i32_e32 v23, 31, v8
	v_bitop3_b32 v8, v23, v8, s20 bitop3:0x36
	v_cmp_le_u32_e32 vcc, v5, v8
	s_and_b64 s[20:21], vcc, exec
; %bb.55:
	s_or_b64 exec, exec, s[16:17]
	s_orn2_b64 s[16:17], s[20:21], exec
.LBB229_56:
	s_or_b64 exec, exec, s[18:19]
	v_mov_b32_e32 v5, s15
	v_mov_b32_e32 v8, s5
	v_cndmask_b32_e64 v23, v7, v6, s[16:17]
	v_cndmask_b32_e64 v5, v5, v8, s[16:17]
	v_add_u32_e32 v8, 1, v23
	v_add_u32_e32 v5, -1, v5
	v_min_u32_e32 v5, v8, v5
	v_lshlrev_b32_e32 v5, 2, v5
	ds_read_b32 v24, v5
	v_cndmask_b32_e64 v7, v8, v7, s[16:17]
	v_cndmask_b32_e64 v8, v6, v8, s[16:17]
	v_cmp_gt_u32_e32 vcc, s15, v7
	s_mov_b64 s[20:21], -1
	s_waitcnt lgkmcnt(0)
	v_cndmask_b32_e64 v5, v24, v4, s[16:17]
	v_cndmask_b32_e64 v26, v9, v24, s[16:17]
	s_mov_b64 s[18:19], -1
	s_and_saveexec_b64 s[22:23], vcc
	s_cbranch_execz .LBB229_60
; %bb.57:
	v_cmp_gt_u32_e32 vcc, s5, v8
	s_mov_b64 s[24:25], 0
	s_and_saveexec_b64 s[18:19], vcc
; %bb.58:
	v_add_f32_e32 v6, 0, v26
	v_add_f32_e32 v24, 0, v5
	v_ashrrev_i32_e32 v25, 31, v6
	s_brev_b32 s24, 1
	v_bitop3_b32 v6, v25, v6, s24 bitop3:0x36
	v_ashrrev_i32_e32 v25, 31, v24
	v_bitop3_b32 v24, v25, v24, s24 bitop3:0x36
	v_cmp_le_u32_e32 vcc, v6, v24
	s_and_b64 s[24:25], vcc, exec
; %bb.59:
	s_or_b64 exec, exec, s[18:19]
	s_orn2_b64 s[18:19], s[24:25], exec
.LBB229_60:
	s_or_b64 exec, exec, s[22:23]
	v_mov_b32_e32 v6, s15
	v_mov_b32_e32 v25, s5
	v_cndmask_b32_e64 v24, v7, v8, s[18:19]
	v_cndmask_b32_e64 v6, v6, v25, s[18:19]
	v_add_u32_e32 v25, 1, v24
	v_add_u32_e32 v6, -1, v6
	v_min_u32_e32 v6, v25, v6
	v_lshlrev_b32_e32 v6, 2, v6
	ds_read_b32 v27, v6
	v_cndmask_b32_e64 v8, v8, v25, s[18:19]
	s_waitcnt lgkmcnt(0)
	v_cndmask_b32_e64 v6, v27, v5, s[18:19]
	v_cndmask_b32_e64 v28, v26, v27, s[18:19]
	;; [unrolled: 1-line block ×3, first 2 shown]
	v_cmp_gt_u32_e32 vcc, s15, v27
	s_and_saveexec_b64 s[22:23], vcc
	s_cbranch_execz .LBB229_64
; %bb.61:
	v_cmp_gt_u32_e32 vcc, s5, v8
	s_mov_b64 s[24:25], 0
	s_and_saveexec_b64 s[20:21], vcc
; %bb.62:
	v_add_f32_e32 v7, 0, v28
	v_add_f32_e32 v25, 0, v6
	v_ashrrev_i32_e32 v29, 31, v7
	s_brev_b32 s24, 1
	v_bitop3_b32 v7, v29, v7, s24 bitop3:0x36
	v_ashrrev_i32_e32 v29, 31, v25
	v_bitop3_b32 v25, v29, v25, s24 bitop3:0x36
	v_cmp_le_u32_e32 vcc, v7, v25
	s_and_b64 s[24:25], vcc, exec
; %bb.63:
	s_or_b64 exec, exec, s[20:21]
	s_orn2_b64 s[20:21], s[24:25], exec
.LBB229_64:
	s_or_b64 exec, exec, s[22:23]
	v_mov_b32_e32 v7, s15
	v_mov_b32_e32 v29, s5
	v_cndmask_b32_e64 v25, v27, v8, s[20:21]
	v_cndmask_b32_e64 v7, v7, v29, s[20:21]
	v_add_u32_e32 v31, 1, v25
	v_add_u32_e32 v7, -1, v7
	v_min_u32_e32 v7, v31, v7
	v_lshlrev_b32_e32 v7, 2, v7
	ds_read_b32 v29, v7
	v_cndmask_b32_e64 v32, v8, v31, s[20:21]
	s_mov_b64 s[24:25], -1
	s_mov_b64 s[22:23], -1
	s_waitcnt lgkmcnt(0)
	v_cndmask_b32_e64 v7, v29, v6, s[20:21]
	v_cndmask_b32_e64 v30, v28, v29, s[20:21]
	;; [unrolled: 1-line block ×3, first 2 shown]
	v_cmp_gt_u32_e32 vcc, s15, v29
	s_and_saveexec_b64 s[26:27], vcc
	s_cbranch_execz .LBB229_68
; %bb.65:
	v_cmp_gt_u32_e32 vcc, s5, v32
	s_mov_b64 s[28:29], 0
	s_and_saveexec_b64 s[22:23], vcc
; %bb.66:
	v_add_f32_e32 v8, 0, v30
	v_add_f32_e32 v27, 0, v7
	v_ashrrev_i32_e32 v31, 31, v8
	s_brev_b32 s28, 1
	v_bitop3_b32 v8, v31, v8, s28 bitop3:0x36
	v_ashrrev_i32_e32 v31, 31, v27
	v_bitop3_b32 v27, v31, v27, s28 bitop3:0x36
	v_cmp_le_u32_e32 vcc, v8, v27
	s_and_b64 s[28:29], vcc, exec
; %bb.67:
	s_or_b64 exec, exec, s[22:23]
	s_orn2_b64 s[22:23], s[28:29], exec
.LBB229_68:
	s_or_b64 exec, exec, s[26:27]
	v_mov_b32_e32 v8, s15
	v_mov_b32_e32 v31, s5
	v_cndmask_b32_e64 v27, v29, v32, s[22:23]
	v_cndmask_b32_e64 v8, v8, v31, s[22:23]
	v_add_u32_e32 v34, 1, v27
	v_add_u32_e32 v8, -1, v8
	v_min_u32_e32 v8, v34, v8
	v_lshlrev_b32_e32 v8, 2, v8
	ds_read_b32 v31, v8
	v_cndmask_b32_e64 v33, v34, v29, s[22:23]
	v_cndmask_b32_e64 v32, v32, v34, s[22:23]
	v_cmp_gt_u32_e32 vcc, s15, v33
	s_waitcnt lgkmcnt(0)
	v_cndmask_b32_e64 v8, v31, v7, s[22:23]
	v_cndmask_b32_e64 v31, v30, v31, s[22:23]
	s_and_saveexec_b64 s[26:27], vcc
	s_cbranch_execz .LBB229_72
; %bb.69:
	v_cmp_gt_u32_e32 vcc, s5, v32
	s_mov_b64 s[28:29], 0
	s_and_saveexec_b64 s[24:25], vcc
; %bb.70:
	v_add_f32_e32 v29, 0, v31
	v_add_f32_e32 v34, 0, v8
	v_ashrrev_i32_e32 v35, 31, v29
	s_brev_b32 s28, 1
	v_bitop3_b32 v29, v35, v29, s28 bitop3:0x36
	v_ashrrev_i32_e32 v35, 31, v34
	v_bitop3_b32 v34, v35, v34, s28 bitop3:0x36
	v_cmp_le_u32_e32 vcc, v29, v34
	s_and_b64 s[28:29], vcc, exec
; %bb.71:
	s_or_b64 exec, exec, s[24:25]
	s_orn2_b64 s[24:25], s[28:29], exec
.LBB229_72:
	s_or_b64 exec, exec, s[26:27]
	v_mov_b32_e32 v34, s15
	v_mov_b32_e32 v35, s5
	v_cndmask_b32_e64 v29, v33, v32, s[24:25]
	v_cndmask_b32_e64 v34, v34, v35, s[24:25]
	v_add_u32_e32 v36, 1, v29
	v_add_u32_e32 v34, -1, v34
	v_min_u32_e32 v34, v36, v34
	v_lshlrev_b32_e32 v34, 2, v34
	ds_read_b32 v35, v34
	v_cndmask_b32_e64 v33, v36, v33, s[24:25]
	v_cndmask_b32_e64 v32, v32, v36, s[24:25]
	v_cmp_gt_u32_e32 vcc, s15, v33
	s_mov_b64 s[28:29], -1
	s_waitcnt lgkmcnt(0)
	v_cndmask_b32_e64 v34, v35, v8, s[24:25]
	v_cndmask_b32_e64 v35, v31, v35, s[24:25]
	s_and_saveexec_b64 s[26:27], vcc
	s_cbranch_execz .LBB229_76
; %bb.73:
	v_cmp_gt_u32_e32 vcc, s5, v32
	s_mov_b64 s[30:31], 0
	s_and_saveexec_b64 s[28:29], vcc
; %bb.74:
	v_add_f32_e32 v36, 0, v35
	v_add_f32_e32 v37, 0, v34
	v_ashrrev_i32_e32 v38, 31, v36
	s_brev_b32 s5, 1
	v_bitop3_b32 v36, v38, v36, s5 bitop3:0x36
	v_ashrrev_i32_e32 v38, 31, v37
	v_bitop3_b32 v37, v38, v37, s5 bitop3:0x36
	v_cmp_le_u32_e32 vcc, v36, v37
	s_and_b64 s[30:31], vcc, exec
; %bb.75:
	s_or_b64 exec, exec, s[28:29]
	s_orn2_b64 s[28:29], s[30:31], exec
.LBB229_76:
	s_or_b64 exec, exec, s[26:27]
	v_cndmask_b32_e64 v8, v8, v31, s[24:25]
	v_cndmask_b32_e64 v7, v7, v30, s[22:23]
	;; [unrolled: 1-line block ×9, first 2 shown]
.LBB229_77:
	s_andn2_saveexec_b64 s[0:1], s[2:3]
; %bb.78:
	v_mov_b32_e32 v19, 0
	v_mov_b32_e32 v22, 0
	;; [unrolled: 1-line block ×8, first 2 shown]
; %bb.79:
	s_or_b64 exec, exec, s[0:1]
	s_barrier
	s_waitcnt vmcnt(0)
	ds_write2st64_b32 v18, v10, v11 offset1:2
	ds_write2st64_b32 v18, v12, v13 offset0:4 offset1:6
	ds_write2st64_b32 v18, v14, v15 offset0:8 offset1:10
	;; [unrolled: 1-line block ×3, first 2 shown]
	v_lshlrev_b32_e32 v10, 2, v19
	v_and_b32_e32 v19, 0x7c, v0
	v_lshlrev_b32_e32 v11, 2, v22
	v_lshlrev_b32_e32 v12, 2, v23
	;; [unrolled: 1-line block ×7, first 2 shown]
	v_lshl_add_u32 v1, v1, 2, v19
	s_waitcnt lgkmcnt(0)
	s_barrier
	ds_read_b32 v10, v10
	ds_read_b32 v11, v11
	;; [unrolled: 1-line block ×8, first 2 shown]
	s_waitcnt lgkmcnt(0)
	s_barrier
	s_barrier
	ds_write2_b32 v1, v2, v3 offset1:1
	ds_write2_b32 v1, v4, v5 offset0:2 offset1:3
	ds_write2_b32 v1, v6, v7 offset0:4 offset1:5
	;; [unrolled: 1-line block ×3, first 2 shown]
	v_lshrrev_b32_e32 v2, 3, v0
	v_and_b32_e32 v2, 12, v2
	v_or_b32_e32 v28, 0x80, v0
	v_add_u32_e32 v4, v2, v18
	v_lshrrev_b32_e32 v2, 3, v28
	v_and_b32_e32 v2, 28, v2
	v_or_b32_e32 v27, 0x100, v0
	v_add_u32_e32 v5, v2, v18
	;; [unrolled: 4-line block ×5, first 2 shown]
	v_lshrrev_b32_e32 v2, 3, v24
	v_and_b32_e32 v2, 0x5c, v2
	v_or_b32_e32 v23, 0x300, v0
	s_mov_b32 s5, 0
	v_add_u32_e32 v9, v2, v18
	v_lshrrev_b32_e32 v2, 3, v23
	s_lshl_b64 s[16:17], s[4:5], 2
	v_and_b32_e32 v2, 0x6c, v2
	v_or_b32_e32 v22, 0x380, v0
	s_add_u32 s0, s8, s16
	v_add_u32_e32 v20, v2, v18
	v_lshrrev_b32_e32 v2, 3, v22
	s_addc_u32 s1, s9, s17
	v_and_b32_e32 v2, 0x7c, v2
	v_mov_b32_e32 v19, 0
	v_add_u32_e32 v21, v2, v18
	v_lshl_add_u64 v[2:3], s[0:1], 0, v[18:19]
	s_and_b64 vcc, exec, s[6:7]
	s_waitcnt lgkmcnt(0)
	s_cbranch_vccz .LBB229_81
; %bb.80:
	s_barrier
	ds_read_b32 v19, v4
	ds_read_b32 v29, v5 offset:512
	ds_read_b32 v30, v6 offset:1024
	;; [unrolled: 1-line block ×7, first 2 shown]
	s_add_u32 s0, s12, s16
	s_addc_u32 s1, s13, s17
	s_waitcnt lgkmcnt(7)
	global_store_dword v[2:3], v19, off
	s_waitcnt lgkmcnt(6)
	global_store_dword v[2:3], v29, off offset:512
	s_waitcnt lgkmcnt(5)
	global_store_dword v[2:3], v30, off offset:1024
	;; [unrolled: 2-line block ×7, first 2 shown]
	s_barrier
	ds_write2_b32 v1, v10, v11 offset1:1
	ds_write2_b32 v1, v12, v13 offset0:2 offset1:3
	ds_write2_b32 v1, v14, v15 offset0:4 offset1:5
	;; [unrolled: 1-line block ×3, first 2 shown]
	s_waitcnt lgkmcnt(0)
	s_barrier
	ds_read_b32 v19, v4
	ds_read_b32 v30, v5 offset:512
	ds_read_b32 v31, v6 offset:1024
	;; [unrolled: 1-line block ×7, first 2 shown]
	s_waitcnt lgkmcnt(7)
	global_store_dword v18, v19, s[0:1]
	s_waitcnt lgkmcnt(6)
	global_store_dword v18, v30, s[0:1] offset:512
	s_waitcnt lgkmcnt(5)
	global_store_dword v18, v31, s[0:1] offset:1024
	s_waitcnt lgkmcnt(4)
	global_store_dword v18, v32, s[0:1] offset:1536
	s_waitcnt lgkmcnt(3)
	global_store_dword v18, v33, s[0:1] offset:2048
	s_waitcnt lgkmcnt(2)
	global_store_dword v18, v34, s[0:1] offset:2560
	s_waitcnt lgkmcnt(1)
	global_store_dword v18, v35, s[0:1] offset:3072
	s_mov_b64 s[18:19], -1
	s_cbranch_execz .LBB229_82
	s_branch .LBB229_100
.LBB229_81:
	s_mov_b64 s[18:19], 0
                                        ; implicit-def: $vgpr29
.LBB229_82:
	s_barrier
	s_waitcnt lgkmcnt(0)
	ds_read_b32 v34, v5 offset:512
	ds_read_b32 v33, v6 offset:1024
	;; [unrolled: 1-line block ×7, first 2 shown]
	s_sub_i32 s18, s14, s4
	v_cmp_gt_u32_e32 vcc, s18, v0
	s_and_saveexec_b64 s[0:1], vcc
	s_cbranch_execnz .LBB229_107
; %bb.83:
	s_or_b64 exec, exec, s[0:1]
	v_cmp_gt_u32_e64 s[0:1], s18, v28
	s_and_saveexec_b64 s[2:3], s[0:1]
	s_cbranch_execnz .LBB229_108
.LBB229_84:
	s_or_b64 exec, exec, s[2:3]
	v_cmp_gt_u32_e64 s[2:3], s18, v27
	s_and_saveexec_b64 s[4:5], s[2:3]
	s_cbranch_execnz .LBB229_109
.LBB229_85:
	s_or_b64 exec, exec, s[4:5]
	v_cmp_gt_u32_e64 s[4:5], s18, v26
	s_and_saveexec_b64 s[6:7], s[4:5]
	s_cbranch_execnz .LBB229_110
.LBB229_86:
	s_or_b64 exec, exec, s[6:7]
	v_cmp_gt_u32_e64 s[6:7], s18, v25
	s_and_saveexec_b64 s[8:9], s[6:7]
	s_cbranch_execnz .LBB229_111
.LBB229_87:
	s_or_b64 exec, exec, s[8:9]
	v_cmp_gt_u32_e64 s[8:9], s18, v24
	s_and_saveexec_b64 s[10:11], s[8:9]
	s_cbranch_execnz .LBB229_112
.LBB229_88:
	s_or_b64 exec, exec, s[10:11]
	v_cmp_gt_u32_e64 s[10:11], s18, v23
	s_and_saveexec_b64 s[14:15], s[10:11]
	s_cbranch_execnz .LBB229_113
.LBB229_89:
	s_or_b64 exec, exec, s[14:15]
	v_cmp_gt_u32_e64 s[18:19], s18, v22
	s_and_saveexec_b64 s[14:15], s[18:19]
	s_cbranch_execz .LBB229_91
.LBB229_90:
	s_waitcnt lgkmcnt(0)
	global_store_dword v[2:3], v19, off offset:3584
.LBB229_91:
	s_or_b64 exec, exec, s[14:15]
	s_waitcnt lgkmcnt(0)
	s_barrier
	ds_write2_b32 v1, v10, v11 offset1:1
	ds_write2_b32 v1, v12, v13 offset0:2 offset1:3
	ds_write2_b32 v1, v14, v15 offset0:4 offset1:5
	ds_write2_b32 v1, v16, v17 offset0:6 offset1:7
	s_waitcnt lgkmcnt(0)
	s_barrier
	ds_read_b32 v11, v5 offset:512
	ds_read_b32 v10, v6 offset:1024
	;; [unrolled: 1-line block ×7, first 2 shown]
	s_add_u32 s14, s12, s16
	s_addc_u32 s15, s13, s17
	v_mov_b32_e32 v19, 0
	v_lshl_add_u64 v[0:1], s[14:15], 0, v[18:19]
	s_and_saveexec_b64 s[14:15], vcc
	s_cbranch_execnz .LBB229_114
; %bb.92:
	s_or_b64 exec, exec, s[14:15]
	s_and_saveexec_b64 s[14:15], s[0:1]
	s_cbranch_execnz .LBB229_115
.LBB229_93:
	s_or_b64 exec, exec, s[14:15]
	s_and_saveexec_b64 s[0:1], s[2:3]
	s_cbranch_execnz .LBB229_116
.LBB229_94:
	s_or_b64 exec, exec, s[0:1]
	s_and_saveexec_b64 s[0:1], s[4:5]
	s_cbranch_execnz .LBB229_117
.LBB229_95:
	s_or_b64 exec, exec, s[0:1]
	s_and_saveexec_b64 s[0:1], s[6:7]
	s_cbranch_execnz .LBB229_118
.LBB229_96:
	s_or_b64 exec, exec, s[0:1]
	s_and_saveexec_b64 s[0:1], s[8:9]
	s_cbranch_execnz .LBB229_119
.LBB229_97:
	s_or_b64 exec, exec, s[0:1]
	s_and_saveexec_b64 s[0:1], s[10:11]
	s_cbranch_execz .LBB229_99
.LBB229_98:
	s_waitcnt lgkmcnt(1)
	global_store_dword v[0:1], v2, off offset:3072
.LBB229_99:
	s_or_b64 exec, exec, s[0:1]
.LBB229_100:
	s_and_saveexec_b64 s[0:1], s[18:19]
	s_cbranch_execz .LBB229_102
; %bb.101:
	s_add_u32 s0, s12, s16
	s_addc_u32 s1, s13, s17
	s_waitcnt lgkmcnt(0)
	global_store_dword v18, v29, s[0:1] offset:3584
.LBB229_102:
	s_endpgm
.LBB229_103:
	v_mov_b32_e32 v19, v2
	v_subrev_co_u32_e32 v6, vcc, s5, v0
	v_mov_b32_e32 v7, v2
	v_lshl_add_u64 v[4:5], s[18:19], 0, v[18:19]
	v_lshl_add_u64 v[6:7], v[6:7], 2, s[20:21]
	v_cndmask_b32_e32 v5, v7, v5, vcc
	v_cndmask_b32_e32 v4, v6, v4, vcc
	global_load_dword v4, v[4:5], off
	v_mov_b32_e32 v5, v2
	v_mov_b32_e32 v6, v2
	;; [unrolled: 1-line block ×7, first 2 shown]
	s_waitcnt vmcnt(0)
	v_mov_b64_e32 v[2:3], v[4:5]
	v_mov_b64_e32 v[4:5], v[6:7]
	;; [unrolled: 1-line block ×4, first 2 shown]
	s_or_b64 exec, exec, s[2:3]
	v_cmp_gt_u32_e32 vcc, s15, v22
	s_and_saveexec_b64 s[2:3], vcc
	s_cbranch_execz .LBB229_6
.LBB229_104:
	v_mov_b32_e32 v23, 0
	v_subrev_co_u32_e32 v12, vcc, s5, v22
	v_mov_b32_e32 v13, v23
	v_lshl_add_u64 v[10:11], v[22:23], 2, s[18:19]
	v_lshl_add_u64 v[12:13], v[12:13], 2, s[20:21]
	v_cndmask_b32_e32 v11, v13, v11, vcc
	v_cndmask_b32_e32 v10, v12, v10, vcc
	global_load_dword v3, v[10:11], off
	s_or_b64 exec, exec, s[2:3]
	v_cmp_gt_u32_e32 vcc, s15, v20
	s_and_saveexec_b64 s[2:3], vcc
	s_cbranch_execnz .LBB229_7
	s_branch .LBB229_8
.LBB229_105:
	v_mov_b32_e32 v19, v10
	v_subrev_co_u32_e32 v14, vcc, s5, v0
	v_mov_b32_e32 v15, v10
	v_lshl_add_u64 v[12:13], s[0:1], 0, v[18:19]
	v_lshl_add_u64 v[14:15], v[14:15], 2, s[2:3]
	v_cndmask_b32_e32 v13, v15, v13, vcc
	v_cndmask_b32_e32 v12, v14, v12, vcc
	global_load_dword v24, v[12:13], off
	v_mov_b32_e32 v25, v10
	v_mov_b32_e32 v26, v10
	;; [unrolled: 1-line block ×7, first 2 shown]
	s_waitcnt vmcnt(0)
	v_mov_b64_e32 v[10:11], v[24:25]
	v_mov_b64_e32 v[12:13], v[26:27]
	;; [unrolled: 1-line block ×4, first 2 shown]
	s_or_b64 exec, exec, s[10:11]
	v_cmp_gt_u32_e32 vcc, s15, v22
	s_and_saveexec_b64 s[10:11], vcc
	s_cbranch_execz .LBB229_24
.LBB229_106:
	v_mov_b32_e32 v23, 0
	v_lshl_add_u64 v[24:25], v[22:23], 2, s[0:1]
	v_subrev_co_u32_e32 v22, vcc, s5, v22
	v_lshl_add_u64 v[22:23], v[22:23], 2, s[2:3]
	s_nop 0
	v_cndmask_b32_e32 v23, v23, v25, vcc
	v_cndmask_b32_e32 v22, v22, v24, vcc
	global_load_dword v11, v[22:23], off
	s_or_b64 exec, exec, s[10:11]
	v_cmp_gt_u32_e32 vcc, s15, v20
	s_and_saveexec_b64 s[10:11], vcc
	s_cbranch_execnz .LBB229_25
	s_branch .LBB229_26
.LBB229_107:
	ds_read_b32 v0, v4
	s_waitcnt lgkmcnt(0)
	global_store_dword v[2:3], v0, off
	s_or_b64 exec, exec, s[0:1]
	v_cmp_gt_u32_e64 s[0:1], s18, v28
	s_and_saveexec_b64 s[2:3], s[0:1]
	s_cbranch_execz .LBB229_84
.LBB229_108:
	s_waitcnt lgkmcnt(6)
	global_store_dword v[2:3], v34, off offset:512
	s_or_b64 exec, exec, s[2:3]
	v_cmp_gt_u32_e64 s[2:3], s18, v27
	s_and_saveexec_b64 s[4:5], s[2:3]
	s_cbranch_execz .LBB229_85
.LBB229_109:
	s_waitcnt lgkmcnt(5)
	global_store_dword v[2:3], v33, off offset:1024
	s_or_b64 exec, exec, s[4:5]
	v_cmp_gt_u32_e64 s[4:5], s18, v26
	s_and_saveexec_b64 s[6:7], s[4:5]
	s_cbranch_execz .LBB229_86
.LBB229_110:
	s_waitcnt lgkmcnt(4)
	global_store_dword v[2:3], v32, off offset:1536
	s_or_b64 exec, exec, s[6:7]
	v_cmp_gt_u32_e64 s[6:7], s18, v25
	s_and_saveexec_b64 s[8:9], s[6:7]
	s_cbranch_execz .LBB229_87
.LBB229_111:
	s_waitcnt lgkmcnt(3)
	global_store_dword v[2:3], v31, off offset:2048
	s_or_b64 exec, exec, s[8:9]
	v_cmp_gt_u32_e64 s[8:9], s18, v24
	s_and_saveexec_b64 s[10:11], s[8:9]
	s_cbranch_execz .LBB229_88
.LBB229_112:
	s_waitcnt lgkmcnt(2)
	global_store_dword v[2:3], v30, off offset:2560
	s_or_b64 exec, exec, s[10:11]
	v_cmp_gt_u32_e64 s[10:11], s18, v23
	s_and_saveexec_b64 s[14:15], s[10:11]
	s_cbranch_execz .LBB229_89
.LBB229_113:
	s_waitcnt lgkmcnt(1)
	global_store_dword v[2:3], v29, off offset:3072
	s_or_b64 exec, exec, s[14:15]
	v_cmp_gt_u32_e64 s[18:19], s18, v22
	s_and_saveexec_b64 s[14:15], s[18:19]
	s_cbranch_execnz .LBB229_90
	s_branch .LBB229_91
.LBB229_114:
	ds_read_b32 v4, v4
	s_waitcnt lgkmcnt(0)
	global_store_dword v[0:1], v4, off
	s_or_b64 exec, exec, s[14:15]
	s_and_saveexec_b64 s[14:15], s[0:1]
	s_cbranch_execz .LBB229_93
.LBB229_115:
	s_waitcnt lgkmcnt(6)
	global_store_dword v[0:1], v11, off offset:512
	s_or_b64 exec, exec, s[14:15]
	s_and_saveexec_b64 s[0:1], s[2:3]
	s_cbranch_execz .LBB229_94
.LBB229_116:
	s_waitcnt lgkmcnt(5)
	global_store_dword v[0:1], v10, off offset:1024
	s_or_b64 exec, exec, s[0:1]
	s_and_saveexec_b64 s[0:1], s[4:5]
	s_cbranch_execz .LBB229_95
.LBB229_117:
	s_waitcnt lgkmcnt(4)
	global_store_dword v[0:1], v6, off offset:1536
	s_or_b64 exec, exec, s[0:1]
	s_and_saveexec_b64 s[0:1], s[6:7]
	s_cbranch_execz .LBB229_96
.LBB229_118:
	s_waitcnt lgkmcnt(3)
	global_store_dword v[0:1], v5, off offset:2048
	s_or_b64 exec, exec, s[0:1]
	s_and_saveexec_b64 s[0:1], s[8:9]
	s_cbranch_execz .LBB229_97
.LBB229_119:
	s_waitcnt lgkmcnt(2)
	global_store_dword v[0:1], v3, off offset:2560
	s_or_b64 exec, exec, s[0:1]
	s_and_saveexec_b64 s[0:1], s[10:11]
	s_cbranch_execnz .LBB229_98
	s_branch .LBB229_99
	.section	.rodata,"a",@progbits
	.p2align	6, 0x0
	.amdhsa_kernel _ZN7rocprim17ROCPRIM_400000_NS6detail17trampoline_kernelINS0_14default_configENS1_38merge_sort_block_merge_config_selectorIffEEZZNS1_27merge_sort_block_merge_implIS3_N6thrust23THRUST_200600_302600_NS6detail15normal_iteratorINS8_10device_ptrIfEEEESD_jNS1_19radix_merge_compareILb0ELb0EfNS0_19identity_decomposerEEEEE10hipError_tT0_T1_T2_jT3_P12ihipStream_tbPNSt15iterator_traitsISI_E10value_typeEPNSO_ISJ_E10value_typeEPSK_NS1_7vsmem_tEENKUlT_SI_SJ_SK_E_clIPfSD_S10_SD_EESH_SX_SI_SJ_SK_EUlSX_E0_NS1_11comp_targetILNS1_3genE0ELNS1_11target_archE4294967295ELNS1_3gpuE0ELNS1_3repE0EEENS1_38merge_mergepath_config_static_selectorELNS0_4arch9wavefront6targetE1EEEvSJ_
		.amdhsa_group_segment_fixed_size 4224
		.amdhsa_private_segment_fixed_size 0
		.amdhsa_kernarg_size 320
		.amdhsa_user_sgpr_count 2
		.amdhsa_user_sgpr_dispatch_ptr 0
		.amdhsa_user_sgpr_queue_ptr 0
		.amdhsa_user_sgpr_kernarg_segment_ptr 1
		.amdhsa_user_sgpr_dispatch_id 0
		.amdhsa_user_sgpr_kernarg_preload_length 0
		.amdhsa_user_sgpr_kernarg_preload_offset 0
		.amdhsa_user_sgpr_private_segment_size 0
		.amdhsa_uses_dynamic_stack 0
		.amdhsa_enable_private_segment 0
		.amdhsa_system_sgpr_workgroup_id_x 1
		.amdhsa_system_sgpr_workgroup_id_y 1
		.amdhsa_system_sgpr_workgroup_id_z 1
		.amdhsa_system_sgpr_workgroup_info 0
		.amdhsa_system_vgpr_workitem_id 0
		.amdhsa_next_free_vgpr 39
		.amdhsa_next_free_sgpr 32
		.amdhsa_accum_offset 40
		.amdhsa_reserve_vcc 1
		.amdhsa_float_round_mode_32 0
		.amdhsa_float_round_mode_16_64 0
		.amdhsa_float_denorm_mode_32 3
		.amdhsa_float_denorm_mode_16_64 3
		.amdhsa_dx10_clamp 1
		.amdhsa_ieee_mode 1
		.amdhsa_fp16_overflow 0
		.amdhsa_tg_split 0
		.amdhsa_exception_fp_ieee_invalid_op 0
		.amdhsa_exception_fp_denorm_src 0
		.amdhsa_exception_fp_ieee_div_zero 0
		.amdhsa_exception_fp_ieee_overflow 0
		.amdhsa_exception_fp_ieee_underflow 0
		.amdhsa_exception_fp_ieee_inexact 0
		.amdhsa_exception_int_div_zero 0
	.end_amdhsa_kernel
	.section	.text._ZN7rocprim17ROCPRIM_400000_NS6detail17trampoline_kernelINS0_14default_configENS1_38merge_sort_block_merge_config_selectorIffEEZZNS1_27merge_sort_block_merge_implIS3_N6thrust23THRUST_200600_302600_NS6detail15normal_iteratorINS8_10device_ptrIfEEEESD_jNS1_19radix_merge_compareILb0ELb0EfNS0_19identity_decomposerEEEEE10hipError_tT0_T1_T2_jT3_P12ihipStream_tbPNSt15iterator_traitsISI_E10value_typeEPNSO_ISJ_E10value_typeEPSK_NS1_7vsmem_tEENKUlT_SI_SJ_SK_E_clIPfSD_S10_SD_EESH_SX_SI_SJ_SK_EUlSX_E0_NS1_11comp_targetILNS1_3genE0ELNS1_11target_archE4294967295ELNS1_3gpuE0ELNS1_3repE0EEENS1_38merge_mergepath_config_static_selectorELNS0_4arch9wavefront6targetE1EEEvSJ_,"axG",@progbits,_ZN7rocprim17ROCPRIM_400000_NS6detail17trampoline_kernelINS0_14default_configENS1_38merge_sort_block_merge_config_selectorIffEEZZNS1_27merge_sort_block_merge_implIS3_N6thrust23THRUST_200600_302600_NS6detail15normal_iteratorINS8_10device_ptrIfEEEESD_jNS1_19radix_merge_compareILb0ELb0EfNS0_19identity_decomposerEEEEE10hipError_tT0_T1_T2_jT3_P12ihipStream_tbPNSt15iterator_traitsISI_E10value_typeEPNSO_ISJ_E10value_typeEPSK_NS1_7vsmem_tEENKUlT_SI_SJ_SK_E_clIPfSD_S10_SD_EESH_SX_SI_SJ_SK_EUlSX_E0_NS1_11comp_targetILNS1_3genE0ELNS1_11target_archE4294967295ELNS1_3gpuE0ELNS1_3repE0EEENS1_38merge_mergepath_config_static_selectorELNS0_4arch9wavefront6targetE1EEEvSJ_,comdat
.Lfunc_end229:
	.size	_ZN7rocprim17ROCPRIM_400000_NS6detail17trampoline_kernelINS0_14default_configENS1_38merge_sort_block_merge_config_selectorIffEEZZNS1_27merge_sort_block_merge_implIS3_N6thrust23THRUST_200600_302600_NS6detail15normal_iteratorINS8_10device_ptrIfEEEESD_jNS1_19radix_merge_compareILb0ELb0EfNS0_19identity_decomposerEEEEE10hipError_tT0_T1_T2_jT3_P12ihipStream_tbPNSt15iterator_traitsISI_E10value_typeEPNSO_ISJ_E10value_typeEPSK_NS1_7vsmem_tEENKUlT_SI_SJ_SK_E_clIPfSD_S10_SD_EESH_SX_SI_SJ_SK_EUlSX_E0_NS1_11comp_targetILNS1_3genE0ELNS1_11target_archE4294967295ELNS1_3gpuE0ELNS1_3repE0EEENS1_38merge_mergepath_config_static_selectorELNS0_4arch9wavefront6targetE1EEEvSJ_, .Lfunc_end229-_ZN7rocprim17ROCPRIM_400000_NS6detail17trampoline_kernelINS0_14default_configENS1_38merge_sort_block_merge_config_selectorIffEEZZNS1_27merge_sort_block_merge_implIS3_N6thrust23THRUST_200600_302600_NS6detail15normal_iteratorINS8_10device_ptrIfEEEESD_jNS1_19radix_merge_compareILb0ELb0EfNS0_19identity_decomposerEEEEE10hipError_tT0_T1_T2_jT3_P12ihipStream_tbPNSt15iterator_traitsISI_E10value_typeEPNSO_ISJ_E10value_typeEPSK_NS1_7vsmem_tEENKUlT_SI_SJ_SK_E_clIPfSD_S10_SD_EESH_SX_SI_SJ_SK_EUlSX_E0_NS1_11comp_targetILNS1_3genE0ELNS1_11target_archE4294967295ELNS1_3gpuE0ELNS1_3repE0EEENS1_38merge_mergepath_config_static_selectorELNS0_4arch9wavefront6targetE1EEEvSJ_
                                        ; -- End function
	.set _ZN7rocprim17ROCPRIM_400000_NS6detail17trampoline_kernelINS0_14default_configENS1_38merge_sort_block_merge_config_selectorIffEEZZNS1_27merge_sort_block_merge_implIS3_N6thrust23THRUST_200600_302600_NS6detail15normal_iteratorINS8_10device_ptrIfEEEESD_jNS1_19radix_merge_compareILb0ELb0EfNS0_19identity_decomposerEEEEE10hipError_tT0_T1_T2_jT3_P12ihipStream_tbPNSt15iterator_traitsISI_E10value_typeEPNSO_ISJ_E10value_typeEPSK_NS1_7vsmem_tEENKUlT_SI_SJ_SK_E_clIPfSD_S10_SD_EESH_SX_SI_SJ_SK_EUlSX_E0_NS1_11comp_targetILNS1_3genE0ELNS1_11target_archE4294967295ELNS1_3gpuE0ELNS1_3repE0EEENS1_38merge_mergepath_config_static_selectorELNS0_4arch9wavefront6targetE1EEEvSJ_.num_vgpr, 39
	.set _ZN7rocprim17ROCPRIM_400000_NS6detail17trampoline_kernelINS0_14default_configENS1_38merge_sort_block_merge_config_selectorIffEEZZNS1_27merge_sort_block_merge_implIS3_N6thrust23THRUST_200600_302600_NS6detail15normal_iteratorINS8_10device_ptrIfEEEESD_jNS1_19radix_merge_compareILb0ELb0EfNS0_19identity_decomposerEEEEE10hipError_tT0_T1_T2_jT3_P12ihipStream_tbPNSt15iterator_traitsISI_E10value_typeEPNSO_ISJ_E10value_typeEPSK_NS1_7vsmem_tEENKUlT_SI_SJ_SK_E_clIPfSD_S10_SD_EESH_SX_SI_SJ_SK_EUlSX_E0_NS1_11comp_targetILNS1_3genE0ELNS1_11target_archE4294967295ELNS1_3gpuE0ELNS1_3repE0EEENS1_38merge_mergepath_config_static_selectorELNS0_4arch9wavefront6targetE1EEEvSJ_.num_agpr, 0
	.set _ZN7rocprim17ROCPRIM_400000_NS6detail17trampoline_kernelINS0_14default_configENS1_38merge_sort_block_merge_config_selectorIffEEZZNS1_27merge_sort_block_merge_implIS3_N6thrust23THRUST_200600_302600_NS6detail15normal_iteratorINS8_10device_ptrIfEEEESD_jNS1_19radix_merge_compareILb0ELb0EfNS0_19identity_decomposerEEEEE10hipError_tT0_T1_T2_jT3_P12ihipStream_tbPNSt15iterator_traitsISI_E10value_typeEPNSO_ISJ_E10value_typeEPSK_NS1_7vsmem_tEENKUlT_SI_SJ_SK_E_clIPfSD_S10_SD_EESH_SX_SI_SJ_SK_EUlSX_E0_NS1_11comp_targetILNS1_3genE0ELNS1_11target_archE4294967295ELNS1_3gpuE0ELNS1_3repE0EEENS1_38merge_mergepath_config_static_selectorELNS0_4arch9wavefront6targetE1EEEvSJ_.numbered_sgpr, 32
	.set _ZN7rocprim17ROCPRIM_400000_NS6detail17trampoline_kernelINS0_14default_configENS1_38merge_sort_block_merge_config_selectorIffEEZZNS1_27merge_sort_block_merge_implIS3_N6thrust23THRUST_200600_302600_NS6detail15normal_iteratorINS8_10device_ptrIfEEEESD_jNS1_19radix_merge_compareILb0ELb0EfNS0_19identity_decomposerEEEEE10hipError_tT0_T1_T2_jT3_P12ihipStream_tbPNSt15iterator_traitsISI_E10value_typeEPNSO_ISJ_E10value_typeEPSK_NS1_7vsmem_tEENKUlT_SI_SJ_SK_E_clIPfSD_S10_SD_EESH_SX_SI_SJ_SK_EUlSX_E0_NS1_11comp_targetILNS1_3genE0ELNS1_11target_archE4294967295ELNS1_3gpuE0ELNS1_3repE0EEENS1_38merge_mergepath_config_static_selectorELNS0_4arch9wavefront6targetE1EEEvSJ_.num_named_barrier, 0
	.set _ZN7rocprim17ROCPRIM_400000_NS6detail17trampoline_kernelINS0_14default_configENS1_38merge_sort_block_merge_config_selectorIffEEZZNS1_27merge_sort_block_merge_implIS3_N6thrust23THRUST_200600_302600_NS6detail15normal_iteratorINS8_10device_ptrIfEEEESD_jNS1_19radix_merge_compareILb0ELb0EfNS0_19identity_decomposerEEEEE10hipError_tT0_T1_T2_jT3_P12ihipStream_tbPNSt15iterator_traitsISI_E10value_typeEPNSO_ISJ_E10value_typeEPSK_NS1_7vsmem_tEENKUlT_SI_SJ_SK_E_clIPfSD_S10_SD_EESH_SX_SI_SJ_SK_EUlSX_E0_NS1_11comp_targetILNS1_3genE0ELNS1_11target_archE4294967295ELNS1_3gpuE0ELNS1_3repE0EEENS1_38merge_mergepath_config_static_selectorELNS0_4arch9wavefront6targetE1EEEvSJ_.private_seg_size, 0
	.set _ZN7rocprim17ROCPRIM_400000_NS6detail17trampoline_kernelINS0_14default_configENS1_38merge_sort_block_merge_config_selectorIffEEZZNS1_27merge_sort_block_merge_implIS3_N6thrust23THRUST_200600_302600_NS6detail15normal_iteratorINS8_10device_ptrIfEEEESD_jNS1_19radix_merge_compareILb0ELb0EfNS0_19identity_decomposerEEEEE10hipError_tT0_T1_T2_jT3_P12ihipStream_tbPNSt15iterator_traitsISI_E10value_typeEPNSO_ISJ_E10value_typeEPSK_NS1_7vsmem_tEENKUlT_SI_SJ_SK_E_clIPfSD_S10_SD_EESH_SX_SI_SJ_SK_EUlSX_E0_NS1_11comp_targetILNS1_3genE0ELNS1_11target_archE4294967295ELNS1_3gpuE0ELNS1_3repE0EEENS1_38merge_mergepath_config_static_selectorELNS0_4arch9wavefront6targetE1EEEvSJ_.uses_vcc, 1
	.set _ZN7rocprim17ROCPRIM_400000_NS6detail17trampoline_kernelINS0_14default_configENS1_38merge_sort_block_merge_config_selectorIffEEZZNS1_27merge_sort_block_merge_implIS3_N6thrust23THRUST_200600_302600_NS6detail15normal_iteratorINS8_10device_ptrIfEEEESD_jNS1_19radix_merge_compareILb0ELb0EfNS0_19identity_decomposerEEEEE10hipError_tT0_T1_T2_jT3_P12ihipStream_tbPNSt15iterator_traitsISI_E10value_typeEPNSO_ISJ_E10value_typeEPSK_NS1_7vsmem_tEENKUlT_SI_SJ_SK_E_clIPfSD_S10_SD_EESH_SX_SI_SJ_SK_EUlSX_E0_NS1_11comp_targetILNS1_3genE0ELNS1_11target_archE4294967295ELNS1_3gpuE0ELNS1_3repE0EEENS1_38merge_mergepath_config_static_selectorELNS0_4arch9wavefront6targetE1EEEvSJ_.uses_flat_scratch, 0
	.set _ZN7rocprim17ROCPRIM_400000_NS6detail17trampoline_kernelINS0_14default_configENS1_38merge_sort_block_merge_config_selectorIffEEZZNS1_27merge_sort_block_merge_implIS3_N6thrust23THRUST_200600_302600_NS6detail15normal_iteratorINS8_10device_ptrIfEEEESD_jNS1_19radix_merge_compareILb0ELb0EfNS0_19identity_decomposerEEEEE10hipError_tT0_T1_T2_jT3_P12ihipStream_tbPNSt15iterator_traitsISI_E10value_typeEPNSO_ISJ_E10value_typeEPSK_NS1_7vsmem_tEENKUlT_SI_SJ_SK_E_clIPfSD_S10_SD_EESH_SX_SI_SJ_SK_EUlSX_E0_NS1_11comp_targetILNS1_3genE0ELNS1_11target_archE4294967295ELNS1_3gpuE0ELNS1_3repE0EEENS1_38merge_mergepath_config_static_selectorELNS0_4arch9wavefront6targetE1EEEvSJ_.has_dyn_sized_stack, 0
	.set _ZN7rocprim17ROCPRIM_400000_NS6detail17trampoline_kernelINS0_14default_configENS1_38merge_sort_block_merge_config_selectorIffEEZZNS1_27merge_sort_block_merge_implIS3_N6thrust23THRUST_200600_302600_NS6detail15normal_iteratorINS8_10device_ptrIfEEEESD_jNS1_19radix_merge_compareILb0ELb0EfNS0_19identity_decomposerEEEEE10hipError_tT0_T1_T2_jT3_P12ihipStream_tbPNSt15iterator_traitsISI_E10value_typeEPNSO_ISJ_E10value_typeEPSK_NS1_7vsmem_tEENKUlT_SI_SJ_SK_E_clIPfSD_S10_SD_EESH_SX_SI_SJ_SK_EUlSX_E0_NS1_11comp_targetILNS1_3genE0ELNS1_11target_archE4294967295ELNS1_3gpuE0ELNS1_3repE0EEENS1_38merge_mergepath_config_static_selectorELNS0_4arch9wavefront6targetE1EEEvSJ_.has_recursion, 0
	.set _ZN7rocprim17ROCPRIM_400000_NS6detail17trampoline_kernelINS0_14default_configENS1_38merge_sort_block_merge_config_selectorIffEEZZNS1_27merge_sort_block_merge_implIS3_N6thrust23THRUST_200600_302600_NS6detail15normal_iteratorINS8_10device_ptrIfEEEESD_jNS1_19radix_merge_compareILb0ELb0EfNS0_19identity_decomposerEEEEE10hipError_tT0_T1_T2_jT3_P12ihipStream_tbPNSt15iterator_traitsISI_E10value_typeEPNSO_ISJ_E10value_typeEPSK_NS1_7vsmem_tEENKUlT_SI_SJ_SK_E_clIPfSD_S10_SD_EESH_SX_SI_SJ_SK_EUlSX_E0_NS1_11comp_targetILNS1_3genE0ELNS1_11target_archE4294967295ELNS1_3gpuE0ELNS1_3repE0EEENS1_38merge_mergepath_config_static_selectorELNS0_4arch9wavefront6targetE1EEEvSJ_.has_indirect_call, 0
	.section	.AMDGPU.csdata,"",@progbits
; Kernel info:
; codeLenInByte = 5752
; TotalNumSgprs: 38
; NumVgprs: 39
; NumAgprs: 0
; TotalNumVgprs: 39
; ScratchSize: 0
; MemoryBound: 0
; FloatMode: 240
; IeeeMode: 1
; LDSByteSize: 4224 bytes/workgroup (compile time only)
; SGPRBlocks: 4
; VGPRBlocks: 4
; NumSGPRsForWavesPerEU: 38
; NumVGPRsForWavesPerEU: 39
; AccumOffset: 40
; Occupancy: 8
; WaveLimiterHint : 1
; COMPUTE_PGM_RSRC2:SCRATCH_EN: 0
; COMPUTE_PGM_RSRC2:USER_SGPR: 2
; COMPUTE_PGM_RSRC2:TRAP_HANDLER: 0
; COMPUTE_PGM_RSRC2:TGID_X_EN: 1
; COMPUTE_PGM_RSRC2:TGID_Y_EN: 1
; COMPUTE_PGM_RSRC2:TGID_Z_EN: 1
; COMPUTE_PGM_RSRC2:TIDIG_COMP_CNT: 0
; COMPUTE_PGM_RSRC3_GFX90A:ACCUM_OFFSET: 9
; COMPUTE_PGM_RSRC3_GFX90A:TG_SPLIT: 0
	.section	.text._ZN7rocprim17ROCPRIM_400000_NS6detail17trampoline_kernelINS0_14default_configENS1_38merge_sort_block_merge_config_selectorIffEEZZNS1_27merge_sort_block_merge_implIS3_N6thrust23THRUST_200600_302600_NS6detail15normal_iteratorINS8_10device_ptrIfEEEESD_jNS1_19radix_merge_compareILb0ELb0EfNS0_19identity_decomposerEEEEE10hipError_tT0_T1_T2_jT3_P12ihipStream_tbPNSt15iterator_traitsISI_E10value_typeEPNSO_ISJ_E10value_typeEPSK_NS1_7vsmem_tEENKUlT_SI_SJ_SK_E_clIPfSD_S10_SD_EESH_SX_SI_SJ_SK_EUlSX_E0_NS1_11comp_targetILNS1_3genE10ELNS1_11target_archE1201ELNS1_3gpuE5ELNS1_3repE0EEENS1_38merge_mergepath_config_static_selectorELNS0_4arch9wavefront6targetE1EEEvSJ_,"axG",@progbits,_ZN7rocprim17ROCPRIM_400000_NS6detail17trampoline_kernelINS0_14default_configENS1_38merge_sort_block_merge_config_selectorIffEEZZNS1_27merge_sort_block_merge_implIS3_N6thrust23THRUST_200600_302600_NS6detail15normal_iteratorINS8_10device_ptrIfEEEESD_jNS1_19radix_merge_compareILb0ELb0EfNS0_19identity_decomposerEEEEE10hipError_tT0_T1_T2_jT3_P12ihipStream_tbPNSt15iterator_traitsISI_E10value_typeEPNSO_ISJ_E10value_typeEPSK_NS1_7vsmem_tEENKUlT_SI_SJ_SK_E_clIPfSD_S10_SD_EESH_SX_SI_SJ_SK_EUlSX_E0_NS1_11comp_targetILNS1_3genE10ELNS1_11target_archE1201ELNS1_3gpuE5ELNS1_3repE0EEENS1_38merge_mergepath_config_static_selectorELNS0_4arch9wavefront6targetE1EEEvSJ_,comdat
	.protected	_ZN7rocprim17ROCPRIM_400000_NS6detail17trampoline_kernelINS0_14default_configENS1_38merge_sort_block_merge_config_selectorIffEEZZNS1_27merge_sort_block_merge_implIS3_N6thrust23THRUST_200600_302600_NS6detail15normal_iteratorINS8_10device_ptrIfEEEESD_jNS1_19radix_merge_compareILb0ELb0EfNS0_19identity_decomposerEEEEE10hipError_tT0_T1_T2_jT3_P12ihipStream_tbPNSt15iterator_traitsISI_E10value_typeEPNSO_ISJ_E10value_typeEPSK_NS1_7vsmem_tEENKUlT_SI_SJ_SK_E_clIPfSD_S10_SD_EESH_SX_SI_SJ_SK_EUlSX_E0_NS1_11comp_targetILNS1_3genE10ELNS1_11target_archE1201ELNS1_3gpuE5ELNS1_3repE0EEENS1_38merge_mergepath_config_static_selectorELNS0_4arch9wavefront6targetE1EEEvSJ_ ; -- Begin function _ZN7rocprim17ROCPRIM_400000_NS6detail17trampoline_kernelINS0_14default_configENS1_38merge_sort_block_merge_config_selectorIffEEZZNS1_27merge_sort_block_merge_implIS3_N6thrust23THRUST_200600_302600_NS6detail15normal_iteratorINS8_10device_ptrIfEEEESD_jNS1_19radix_merge_compareILb0ELb0EfNS0_19identity_decomposerEEEEE10hipError_tT0_T1_T2_jT3_P12ihipStream_tbPNSt15iterator_traitsISI_E10value_typeEPNSO_ISJ_E10value_typeEPSK_NS1_7vsmem_tEENKUlT_SI_SJ_SK_E_clIPfSD_S10_SD_EESH_SX_SI_SJ_SK_EUlSX_E0_NS1_11comp_targetILNS1_3genE10ELNS1_11target_archE1201ELNS1_3gpuE5ELNS1_3repE0EEENS1_38merge_mergepath_config_static_selectorELNS0_4arch9wavefront6targetE1EEEvSJ_
	.globl	_ZN7rocprim17ROCPRIM_400000_NS6detail17trampoline_kernelINS0_14default_configENS1_38merge_sort_block_merge_config_selectorIffEEZZNS1_27merge_sort_block_merge_implIS3_N6thrust23THRUST_200600_302600_NS6detail15normal_iteratorINS8_10device_ptrIfEEEESD_jNS1_19radix_merge_compareILb0ELb0EfNS0_19identity_decomposerEEEEE10hipError_tT0_T1_T2_jT3_P12ihipStream_tbPNSt15iterator_traitsISI_E10value_typeEPNSO_ISJ_E10value_typeEPSK_NS1_7vsmem_tEENKUlT_SI_SJ_SK_E_clIPfSD_S10_SD_EESH_SX_SI_SJ_SK_EUlSX_E0_NS1_11comp_targetILNS1_3genE10ELNS1_11target_archE1201ELNS1_3gpuE5ELNS1_3repE0EEENS1_38merge_mergepath_config_static_selectorELNS0_4arch9wavefront6targetE1EEEvSJ_
	.p2align	8
	.type	_ZN7rocprim17ROCPRIM_400000_NS6detail17trampoline_kernelINS0_14default_configENS1_38merge_sort_block_merge_config_selectorIffEEZZNS1_27merge_sort_block_merge_implIS3_N6thrust23THRUST_200600_302600_NS6detail15normal_iteratorINS8_10device_ptrIfEEEESD_jNS1_19radix_merge_compareILb0ELb0EfNS0_19identity_decomposerEEEEE10hipError_tT0_T1_T2_jT3_P12ihipStream_tbPNSt15iterator_traitsISI_E10value_typeEPNSO_ISJ_E10value_typeEPSK_NS1_7vsmem_tEENKUlT_SI_SJ_SK_E_clIPfSD_S10_SD_EESH_SX_SI_SJ_SK_EUlSX_E0_NS1_11comp_targetILNS1_3genE10ELNS1_11target_archE1201ELNS1_3gpuE5ELNS1_3repE0EEENS1_38merge_mergepath_config_static_selectorELNS0_4arch9wavefront6targetE1EEEvSJ_,@function
_ZN7rocprim17ROCPRIM_400000_NS6detail17trampoline_kernelINS0_14default_configENS1_38merge_sort_block_merge_config_selectorIffEEZZNS1_27merge_sort_block_merge_implIS3_N6thrust23THRUST_200600_302600_NS6detail15normal_iteratorINS8_10device_ptrIfEEEESD_jNS1_19radix_merge_compareILb0ELb0EfNS0_19identity_decomposerEEEEE10hipError_tT0_T1_T2_jT3_P12ihipStream_tbPNSt15iterator_traitsISI_E10value_typeEPNSO_ISJ_E10value_typeEPSK_NS1_7vsmem_tEENKUlT_SI_SJ_SK_E_clIPfSD_S10_SD_EESH_SX_SI_SJ_SK_EUlSX_E0_NS1_11comp_targetILNS1_3genE10ELNS1_11target_archE1201ELNS1_3gpuE5ELNS1_3repE0EEENS1_38merge_mergepath_config_static_selectorELNS0_4arch9wavefront6targetE1EEEvSJ_: ; @_ZN7rocprim17ROCPRIM_400000_NS6detail17trampoline_kernelINS0_14default_configENS1_38merge_sort_block_merge_config_selectorIffEEZZNS1_27merge_sort_block_merge_implIS3_N6thrust23THRUST_200600_302600_NS6detail15normal_iteratorINS8_10device_ptrIfEEEESD_jNS1_19radix_merge_compareILb0ELb0EfNS0_19identity_decomposerEEEEE10hipError_tT0_T1_T2_jT3_P12ihipStream_tbPNSt15iterator_traitsISI_E10value_typeEPNSO_ISJ_E10value_typeEPSK_NS1_7vsmem_tEENKUlT_SI_SJ_SK_E_clIPfSD_S10_SD_EESH_SX_SI_SJ_SK_EUlSX_E0_NS1_11comp_targetILNS1_3genE10ELNS1_11target_archE1201ELNS1_3gpuE5ELNS1_3repE0EEENS1_38merge_mergepath_config_static_selectorELNS0_4arch9wavefront6targetE1EEEvSJ_
; %bb.0:
	.section	.rodata,"a",@progbits
	.p2align	6, 0x0
	.amdhsa_kernel _ZN7rocprim17ROCPRIM_400000_NS6detail17trampoline_kernelINS0_14default_configENS1_38merge_sort_block_merge_config_selectorIffEEZZNS1_27merge_sort_block_merge_implIS3_N6thrust23THRUST_200600_302600_NS6detail15normal_iteratorINS8_10device_ptrIfEEEESD_jNS1_19radix_merge_compareILb0ELb0EfNS0_19identity_decomposerEEEEE10hipError_tT0_T1_T2_jT3_P12ihipStream_tbPNSt15iterator_traitsISI_E10value_typeEPNSO_ISJ_E10value_typeEPSK_NS1_7vsmem_tEENKUlT_SI_SJ_SK_E_clIPfSD_S10_SD_EESH_SX_SI_SJ_SK_EUlSX_E0_NS1_11comp_targetILNS1_3genE10ELNS1_11target_archE1201ELNS1_3gpuE5ELNS1_3repE0EEENS1_38merge_mergepath_config_static_selectorELNS0_4arch9wavefront6targetE1EEEvSJ_
		.amdhsa_group_segment_fixed_size 0
		.amdhsa_private_segment_fixed_size 0
		.amdhsa_kernarg_size 64
		.amdhsa_user_sgpr_count 2
		.amdhsa_user_sgpr_dispatch_ptr 0
		.amdhsa_user_sgpr_queue_ptr 0
		.amdhsa_user_sgpr_kernarg_segment_ptr 1
		.amdhsa_user_sgpr_dispatch_id 0
		.amdhsa_user_sgpr_kernarg_preload_length 0
		.amdhsa_user_sgpr_kernarg_preload_offset 0
		.amdhsa_user_sgpr_private_segment_size 0
		.amdhsa_uses_dynamic_stack 0
		.amdhsa_enable_private_segment 0
		.amdhsa_system_sgpr_workgroup_id_x 1
		.amdhsa_system_sgpr_workgroup_id_y 0
		.amdhsa_system_sgpr_workgroup_id_z 0
		.amdhsa_system_sgpr_workgroup_info 0
		.amdhsa_system_vgpr_workitem_id 0
		.amdhsa_next_free_vgpr 1
		.amdhsa_next_free_sgpr 0
		.amdhsa_accum_offset 4
		.amdhsa_reserve_vcc 0
		.amdhsa_float_round_mode_32 0
		.amdhsa_float_round_mode_16_64 0
		.amdhsa_float_denorm_mode_32 3
		.amdhsa_float_denorm_mode_16_64 3
		.amdhsa_dx10_clamp 1
		.amdhsa_ieee_mode 1
		.amdhsa_fp16_overflow 0
		.amdhsa_tg_split 0
		.amdhsa_exception_fp_ieee_invalid_op 0
		.amdhsa_exception_fp_denorm_src 0
		.amdhsa_exception_fp_ieee_div_zero 0
		.amdhsa_exception_fp_ieee_overflow 0
		.amdhsa_exception_fp_ieee_underflow 0
		.amdhsa_exception_fp_ieee_inexact 0
		.amdhsa_exception_int_div_zero 0
	.end_amdhsa_kernel
	.section	.text._ZN7rocprim17ROCPRIM_400000_NS6detail17trampoline_kernelINS0_14default_configENS1_38merge_sort_block_merge_config_selectorIffEEZZNS1_27merge_sort_block_merge_implIS3_N6thrust23THRUST_200600_302600_NS6detail15normal_iteratorINS8_10device_ptrIfEEEESD_jNS1_19radix_merge_compareILb0ELb0EfNS0_19identity_decomposerEEEEE10hipError_tT0_T1_T2_jT3_P12ihipStream_tbPNSt15iterator_traitsISI_E10value_typeEPNSO_ISJ_E10value_typeEPSK_NS1_7vsmem_tEENKUlT_SI_SJ_SK_E_clIPfSD_S10_SD_EESH_SX_SI_SJ_SK_EUlSX_E0_NS1_11comp_targetILNS1_3genE10ELNS1_11target_archE1201ELNS1_3gpuE5ELNS1_3repE0EEENS1_38merge_mergepath_config_static_selectorELNS0_4arch9wavefront6targetE1EEEvSJ_,"axG",@progbits,_ZN7rocprim17ROCPRIM_400000_NS6detail17trampoline_kernelINS0_14default_configENS1_38merge_sort_block_merge_config_selectorIffEEZZNS1_27merge_sort_block_merge_implIS3_N6thrust23THRUST_200600_302600_NS6detail15normal_iteratorINS8_10device_ptrIfEEEESD_jNS1_19radix_merge_compareILb0ELb0EfNS0_19identity_decomposerEEEEE10hipError_tT0_T1_T2_jT3_P12ihipStream_tbPNSt15iterator_traitsISI_E10value_typeEPNSO_ISJ_E10value_typeEPSK_NS1_7vsmem_tEENKUlT_SI_SJ_SK_E_clIPfSD_S10_SD_EESH_SX_SI_SJ_SK_EUlSX_E0_NS1_11comp_targetILNS1_3genE10ELNS1_11target_archE1201ELNS1_3gpuE5ELNS1_3repE0EEENS1_38merge_mergepath_config_static_selectorELNS0_4arch9wavefront6targetE1EEEvSJ_,comdat
.Lfunc_end230:
	.size	_ZN7rocprim17ROCPRIM_400000_NS6detail17trampoline_kernelINS0_14default_configENS1_38merge_sort_block_merge_config_selectorIffEEZZNS1_27merge_sort_block_merge_implIS3_N6thrust23THRUST_200600_302600_NS6detail15normal_iteratorINS8_10device_ptrIfEEEESD_jNS1_19radix_merge_compareILb0ELb0EfNS0_19identity_decomposerEEEEE10hipError_tT0_T1_T2_jT3_P12ihipStream_tbPNSt15iterator_traitsISI_E10value_typeEPNSO_ISJ_E10value_typeEPSK_NS1_7vsmem_tEENKUlT_SI_SJ_SK_E_clIPfSD_S10_SD_EESH_SX_SI_SJ_SK_EUlSX_E0_NS1_11comp_targetILNS1_3genE10ELNS1_11target_archE1201ELNS1_3gpuE5ELNS1_3repE0EEENS1_38merge_mergepath_config_static_selectorELNS0_4arch9wavefront6targetE1EEEvSJ_, .Lfunc_end230-_ZN7rocprim17ROCPRIM_400000_NS6detail17trampoline_kernelINS0_14default_configENS1_38merge_sort_block_merge_config_selectorIffEEZZNS1_27merge_sort_block_merge_implIS3_N6thrust23THRUST_200600_302600_NS6detail15normal_iteratorINS8_10device_ptrIfEEEESD_jNS1_19radix_merge_compareILb0ELb0EfNS0_19identity_decomposerEEEEE10hipError_tT0_T1_T2_jT3_P12ihipStream_tbPNSt15iterator_traitsISI_E10value_typeEPNSO_ISJ_E10value_typeEPSK_NS1_7vsmem_tEENKUlT_SI_SJ_SK_E_clIPfSD_S10_SD_EESH_SX_SI_SJ_SK_EUlSX_E0_NS1_11comp_targetILNS1_3genE10ELNS1_11target_archE1201ELNS1_3gpuE5ELNS1_3repE0EEENS1_38merge_mergepath_config_static_selectorELNS0_4arch9wavefront6targetE1EEEvSJ_
                                        ; -- End function
	.set _ZN7rocprim17ROCPRIM_400000_NS6detail17trampoline_kernelINS0_14default_configENS1_38merge_sort_block_merge_config_selectorIffEEZZNS1_27merge_sort_block_merge_implIS3_N6thrust23THRUST_200600_302600_NS6detail15normal_iteratorINS8_10device_ptrIfEEEESD_jNS1_19radix_merge_compareILb0ELb0EfNS0_19identity_decomposerEEEEE10hipError_tT0_T1_T2_jT3_P12ihipStream_tbPNSt15iterator_traitsISI_E10value_typeEPNSO_ISJ_E10value_typeEPSK_NS1_7vsmem_tEENKUlT_SI_SJ_SK_E_clIPfSD_S10_SD_EESH_SX_SI_SJ_SK_EUlSX_E0_NS1_11comp_targetILNS1_3genE10ELNS1_11target_archE1201ELNS1_3gpuE5ELNS1_3repE0EEENS1_38merge_mergepath_config_static_selectorELNS0_4arch9wavefront6targetE1EEEvSJ_.num_vgpr, 0
	.set _ZN7rocprim17ROCPRIM_400000_NS6detail17trampoline_kernelINS0_14default_configENS1_38merge_sort_block_merge_config_selectorIffEEZZNS1_27merge_sort_block_merge_implIS3_N6thrust23THRUST_200600_302600_NS6detail15normal_iteratorINS8_10device_ptrIfEEEESD_jNS1_19radix_merge_compareILb0ELb0EfNS0_19identity_decomposerEEEEE10hipError_tT0_T1_T2_jT3_P12ihipStream_tbPNSt15iterator_traitsISI_E10value_typeEPNSO_ISJ_E10value_typeEPSK_NS1_7vsmem_tEENKUlT_SI_SJ_SK_E_clIPfSD_S10_SD_EESH_SX_SI_SJ_SK_EUlSX_E0_NS1_11comp_targetILNS1_3genE10ELNS1_11target_archE1201ELNS1_3gpuE5ELNS1_3repE0EEENS1_38merge_mergepath_config_static_selectorELNS0_4arch9wavefront6targetE1EEEvSJ_.num_agpr, 0
	.set _ZN7rocprim17ROCPRIM_400000_NS6detail17trampoline_kernelINS0_14default_configENS1_38merge_sort_block_merge_config_selectorIffEEZZNS1_27merge_sort_block_merge_implIS3_N6thrust23THRUST_200600_302600_NS6detail15normal_iteratorINS8_10device_ptrIfEEEESD_jNS1_19radix_merge_compareILb0ELb0EfNS0_19identity_decomposerEEEEE10hipError_tT0_T1_T2_jT3_P12ihipStream_tbPNSt15iterator_traitsISI_E10value_typeEPNSO_ISJ_E10value_typeEPSK_NS1_7vsmem_tEENKUlT_SI_SJ_SK_E_clIPfSD_S10_SD_EESH_SX_SI_SJ_SK_EUlSX_E0_NS1_11comp_targetILNS1_3genE10ELNS1_11target_archE1201ELNS1_3gpuE5ELNS1_3repE0EEENS1_38merge_mergepath_config_static_selectorELNS0_4arch9wavefront6targetE1EEEvSJ_.numbered_sgpr, 0
	.set _ZN7rocprim17ROCPRIM_400000_NS6detail17trampoline_kernelINS0_14default_configENS1_38merge_sort_block_merge_config_selectorIffEEZZNS1_27merge_sort_block_merge_implIS3_N6thrust23THRUST_200600_302600_NS6detail15normal_iteratorINS8_10device_ptrIfEEEESD_jNS1_19radix_merge_compareILb0ELb0EfNS0_19identity_decomposerEEEEE10hipError_tT0_T1_T2_jT3_P12ihipStream_tbPNSt15iterator_traitsISI_E10value_typeEPNSO_ISJ_E10value_typeEPSK_NS1_7vsmem_tEENKUlT_SI_SJ_SK_E_clIPfSD_S10_SD_EESH_SX_SI_SJ_SK_EUlSX_E0_NS1_11comp_targetILNS1_3genE10ELNS1_11target_archE1201ELNS1_3gpuE5ELNS1_3repE0EEENS1_38merge_mergepath_config_static_selectorELNS0_4arch9wavefront6targetE1EEEvSJ_.num_named_barrier, 0
	.set _ZN7rocprim17ROCPRIM_400000_NS6detail17trampoline_kernelINS0_14default_configENS1_38merge_sort_block_merge_config_selectorIffEEZZNS1_27merge_sort_block_merge_implIS3_N6thrust23THRUST_200600_302600_NS6detail15normal_iteratorINS8_10device_ptrIfEEEESD_jNS1_19radix_merge_compareILb0ELb0EfNS0_19identity_decomposerEEEEE10hipError_tT0_T1_T2_jT3_P12ihipStream_tbPNSt15iterator_traitsISI_E10value_typeEPNSO_ISJ_E10value_typeEPSK_NS1_7vsmem_tEENKUlT_SI_SJ_SK_E_clIPfSD_S10_SD_EESH_SX_SI_SJ_SK_EUlSX_E0_NS1_11comp_targetILNS1_3genE10ELNS1_11target_archE1201ELNS1_3gpuE5ELNS1_3repE0EEENS1_38merge_mergepath_config_static_selectorELNS0_4arch9wavefront6targetE1EEEvSJ_.private_seg_size, 0
	.set _ZN7rocprim17ROCPRIM_400000_NS6detail17trampoline_kernelINS0_14default_configENS1_38merge_sort_block_merge_config_selectorIffEEZZNS1_27merge_sort_block_merge_implIS3_N6thrust23THRUST_200600_302600_NS6detail15normal_iteratorINS8_10device_ptrIfEEEESD_jNS1_19radix_merge_compareILb0ELb0EfNS0_19identity_decomposerEEEEE10hipError_tT0_T1_T2_jT3_P12ihipStream_tbPNSt15iterator_traitsISI_E10value_typeEPNSO_ISJ_E10value_typeEPSK_NS1_7vsmem_tEENKUlT_SI_SJ_SK_E_clIPfSD_S10_SD_EESH_SX_SI_SJ_SK_EUlSX_E0_NS1_11comp_targetILNS1_3genE10ELNS1_11target_archE1201ELNS1_3gpuE5ELNS1_3repE0EEENS1_38merge_mergepath_config_static_selectorELNS0_4arch9wavefront6targetE1EEEvSJ_.uses_vcc, 0
	.set _ZN7rocprim17ROCPRIM_400000_NS6detail17trampoline_kernelINS0_14default_configENS1_38merge_sort_block_merge_config_selectorIffEEZZNS1_27merge_sort_block_merge_implIS3_N6thrust23THRUST_200600_302600_NS6detail15normal_iteratorINS8_10device_ptrIfEEEESD_jNS1_19radix_merge_compareILb0ELb0EfNS0_19identity_decomposerEEEEE10hipError_tT0_T1_T2_jT3_P12ihipStream_tbPNSt15iterator_traitsISI_E10value_typeEPNSO_ISJ_E10value_typeEPSK_NS1_7vsmem_tEENKUlT_SI_SJ_SK_E_clIPfSD_S10_SD_EESH_SX_SI_SJ_SK_EUlSX_E0_NS1_11comp_targetILNS1_3genE10ELNS1_11target_archE1201ELNS1_3gpuE5ELNS1_3repE0EEENS1_38merge_mergepath_config_static_selectorELNS0_4arch9wavefront6targetE1EEEvSJ_.uses_flat_scratch, 0
	.set _ZN7rocprim17ROCPRIM_400000_NS6detail17trampoline_kernelINS0_14default_configENS1_38merge_sort_block_merge_config_selectorIffEEZZNS1_27merge_sort_block_merge_implIS3_N6thrust23THRUST_200600_302600_NS6detail15normal_iteratorINS8_10device_ptrIfEEEESD_jNS1_19radix_merge_compareILb0ELb0EfNS0_19identity_decomposerEEEEE10hipError_tT0_T1_T2_jT3_P12ihipStream_tbPNSt15iterator_traitsISI_E10value_typeEPNSO_ISJ_E10value_typeEPSK_NS1_7vsmem_tEENKUlT_SI_SJ_SK_E_clIPfSD_S10_SD_EESH_SX_SI_SJ_SK_EUlSX_E0_NS1_11comp_targetILNS1_3genE10ELNS1_11target_archE1201ELNS1_3gpuE5ELNS1_3repE0EEENS1_38merge_mergepath_config_static_selectorELNS0_4arch9wavefront6targetE1EEEvSJ_.has_dyn_sized_stack, 0
	.set _ZN7rocprim17ROCPRIM_400000_NS6detail17trampoline_kernelINS0_14default_configENS1_38merge_sort_block_merge_config_selectorIffEEZZNS1_27merge_sort_block_merge_implIS3_N6thrust23THRUST_200600_302600_NS6detail15normal_iteratorINS8_10device_ptrIfEEEESD_jNS1_19radix_merge_compareILb0ELb0EfNS0_19identity_decomposerEEEEE10hipError_tT0_T1_T2_jT3_P12ihipStream_tbPNSt15iterator_traitsISI_E10value_typeEPNSO_ISJ_E10value_typeEPSK_NS1_7vsmem_tEENKUlT_SI_SJ_SK_E_clIPfSD_S10_SD_EESH_SX_SI_SJ_SK_EUlSX_E0_NS1_11comp_targetILNS1_3genE10ELNS1_11target_archE1201ELNS1_3gpuE5ELNS1_3repE0EEENS1_38merge_mergepath_config_static_selectorELNS0_4arch9wavefront6targetE1EEEvSJ_.has_recursion, 0
	.set _ZN7rocprim17ROCPRIM_400000_NS6detail17trampoline_kernelINS0_14default_configENS1_38merge_sort_block_merge_config_selectorIffEEZZNS1_27merge_sort_block_merge_implIS3_N6thrust23THRUST_200600_302600_NS6detail15normal_iteratorINS8_10device_ptrIfEEEESD_jNS1_19radix_merge_compareILb0ELb0EfNS0_19identity_decomposerEEEEE10hipError_tT0_T1_T2_jT3_P12ihipStream_tbPNSt15iterator_traitsISI_E10value_typeEPNSO_ISJ_E10value_typeEPSK_NS1_7vsmem_tEENKUlT_SI_SJ_SK_E_clIPfSD_S10_SD_EESH_SX_SI_SJ_SK_EUlSX_E0_NS1_11comp_targetILNS1_3genE10ELNS1_11target_archE1201ELNS1_3gpuE5ELNS1_3repE0EEENS1_38merge_mergepath_config_static_selectorELNS0_4arch9wavefront6targetE1EEEvSJ_.has_indirect_call, 0
	.section	.AMDGPU.csdata,"",@progbits
; Kernel info:
; codeLenInByte = 0
; TotalNumSgprs: 6
; NumVgprs: 0
; NumAgprs: 0
; TotalNumVgprs: 0
; ScratchSize: 0
; MemoryBound: 0
; FloatMode: 240
; IeeeMode: 1
; LDSByteSize: 0 bytes/workgroup (compile time only)
; SGPRBlocks: 0
; VGPRBlocks: 0
; NumSGPRsForWavesPerEU: 6
; NumVGPRsForWavesPerEU: 1
; AccumOffset: 4
; Occupancy: 8
; WaveLimiterHint : 0
; COMPUTE_PGM_RSRC2:SCRATCH_EN: 0
; COMPUTE_PGM_RSRC2:USER_SGPR: 2
; COMPUTE_PGM_RSRC2:TRAP_HANDLER: 0
; COMPUTE_PGM_RSRC2:TGID_X_EN: 1
; COMPUTE_PGM_RSRC2:TGID_Y_EN: 0
; COMPUTE_PGM_RSRC2:TGID_Z_EN: 0
; COMPUTE_PGM_RSRC2:TIDIG_COMP_CNT: 0
; COMPUTE_PGM_RSRC3_GFX90A:ACCUM_OFFSET: 0
; COMPUTE_PGM_RSRC3_GFX90A:TG_SPLIT: 0
	.section	.text._ZN7rocprim17ROCPRIM_400000_NS6detail17trampoline_kernelINS0_14default_configENS1_38merge_sort_block_merge_config_selectorIffEEZZNS1_27merge_sort_block_merge_implIS3_N6thrust23THRUST_200600_302600_NS6detail15normal_iteratorINS8_10device_ptrIfEEEESD_jNS1_19radix_merge_compareILb0ELb0EfNS0_19identity_decomposerEEEEE10hipError_tT0_T1_T2_jT3_P12ihipStream_tbPNSt15iterator_traitsISI_E10value_typeEPNSO_ISJ_E10value_typeEPSK_NS1_7vsmem_tEENKUlT_SI_SJ_SK_E_clIPfSD_S10_SD_EESH_SX_SI_SJ_SK_EUlSX_E0_NS1_11comp_targetILNS1_3genE5ELNS1_11target_archE942ELNS1_3gpuE9ELNS1_3repE0EEENS1_38merge_mergepath_config_static_selectorELNS0_4arch9wavefront6targetE1EEEvSJ_,"axG",@progbits,_ZN7rocprim17ROCPRIM_400000_NS6detail17trampoline_kernelINS0_14default_configENS1_38merge_sort_block_merge_config_selectorIffEEZZNS1_27merge_sort_block_merge_implIS3_N6thrust23THRUST_200600_302600_NS6detail15normal_iteratorINS8_10device_ptrIfEEEESD_jNS1_19radix_merge_compareILb0ELb0EfNS0_19identity_decomposerEEEEE10hipError_tT0_T1_T2_jT3_P12ihipStream_tbPNSt15iterator_traitsISI_E10value_typeEPNSO_ISJ_E10value_typeEPSK_NS1_7vsmem_tEENKUlT_SI_SJ_SK_E_clIPfSD_S10_SD_EESH_SX_SI_SJ_SK_EUlSX_E0_NS1_11comp_targetILNS1_3genE5ELNS1_11target_archE942ELNS1_3gpuE9ELNS1_3repE0EEENS1_38merge_mergepath_config_static_selectorELNS0_4arch9wavefront6targetE1EEEvSJ_,comdat
	.protected	_ZN7rocprim17ROCPRIM_400000_NS6detail17trampoline_kernelINS0_14default_configENS1_38merge_sort_block_merge_config_selectorIffEEZZNS1_27merge_sort_block_merge_implIS3_N6thrust23THRUST_200600_302600_NS6detail15normal_iteratorINS8_10device_ptrIfEEEESD_jNS1_19radix_merge_compareILb0ELb0EfNS0_19identity_decomposerEEEEE10hipError_tT0_T1_T2_jT3_P12ihipStream_tbPNSt15iterator_traitsISI_E10value_typeEPNSO_ISJ_E10value_typeEPSK_NS1_7vsmem_tEENKUlT_SI_SJ_SK_E_clIPfSD_S10_SD_EESH_SX_SI_SJ_SK_EUlSX_E0_NS1_11comp_targetILNS1_3genE5ELNS1_11target_archE942ELNS1_3gpuE9ELNS1_3repE0EEENS1_38merge_mergepath_config_static_selectorELNS0_4arch9wavefront6targetE1EEEvSJ_ ; -- Begin function _ZN7rocprim17ROCPRIM_400000_NS6detail17trampoline_kernelINS0_14default_configENS1_38merge_sort_block_merge_config_selectorIffEEZZNS1_27merge_sort_block_merge_implIS3_N6thrust23THRUST_200600_302600_NS6detail15normal_iteratorINS8_10device_ptrIfEEEESD_jNS1_19radix_merge_compareILb0ELb0EfNS0_19identity_decomposerEEEEE10hipError_tT0_T1_T2_jT3_P12ihipStream_tbPNSt15iterator_traitsISI_E10value_typeEPNSO_ISJ_E10value_typeEPSK_NS1_7vsmem_tEENKUlT_SI_SJ_SK_E_clIPfSD_S10_SD_EESH_SX_SI_SJ_SK_EUlSX_E0_NS1_11comp_targetILNS1_3genE5ELNS1_11target_archE942ELNS1_3gpuE9ELNS1_3repE0EEENS1_38merge_mergepath_config_static_selectorELNS0_4arch9wavefront6targetE1EEEvSJ_
	.globl	_ZN7rocprim17ROCPRIM_400000_NS6detail17trampoline_kernelINS0_14default_configENS1_38merge_sort_block_merge_config_selectorIffEEZZNS1_27merge_sort_block_merge_implIS3_N6thrust23THRUST_200600_302600_NS6detail15normal_iteratorINS8_10device_ptrIfEEEESD_jNS1_19radix_merge_compareILb0ELb0EfNS0_19identity_decomposerEEEEE10hipError_tT0_T1_T2_jT3_P12ihipStream_tbPNSt15iterator_traitsISI_E10value_typeEPNSO_ISJ_E10value_typeEPSK_NS1_7vsmem_tEENKUlT_SI_SJ_SK_E_clIPfSD_S10_SD_EESH_SX_SI_SJ_SK_EUlSX_E0_NS1_11comp_targetILNS1_3genE5ELNS1_11target_archE942ELNS1_3gpuE9ELNS1_3repE0EEENS1_38merge_mergepath_config_static_selectorELNS0_4arch9wavefront6targetE1EEEvSJ_
	.p2align	8
	.type	_ZN7rocprim17ROCPRIM_400000_NS6detail17trampoline_kernelINS0_14default_configENS1_38merge_sort_block_merge_config_selectorIffEEZZNS1_27merge_sort_block_merge_implIS3_N6thrust23THRUST_200600_302600_NS6detail15normal_iteratorINS8_10device_ptrIfEEEESD_jNS1_19radix_merge_compareILb0ELb0EfNS0_19identity_decomposerEEEEE10hipError_tT0_T1_T2_jT3_P12ihipStream_tbPNSt15iterator_traitsISI_E10value_typeEPNSO_ISJ_E10value_typeEPSK_NS1_7vsmem_tEENKUlT_SI_SJ_SK_E_clIPfSD_S10_SD_EESH_SX_SI_SJ_SK_EUlSX_E0_NS1_11comp_targetILNS1_3genE5ELNS1_11target_archE942ELNS1_3gpuE9ELNS1_3repE0EEENS1_38merge_mergepath_config_static_selectorELNS0_4arch9wavefront6targetE1EEEvSJ_,@function
_ZN7rocprim17ROCPRIM_400000_NS6detail17trampoline_kernelINS0_14default_configENS1_38merge_sort_block_merge_config_selectorIffEEZZNS1_27merge_sort_block_merge_implIS3_N6thrust23THRUST_200600_302600_NS6detail15normal_iteratorINS8_10device_ptrIfEEEESD_jNS1_19radix_merge_compareILb0ELb0EfNS0_19identity_decomposerEEEEE10hipError_tT0_T1_T2_jT3_P12ihipStream_tbPNSt15iterator_traitsISI_E10value_typeEPNSO_ISJ_E10value_typeEPSK_NS1_7vsmem_tEENKUlT_SI_SJ_SK_E_clIPfSD_S10_SD_EESH_SX_SI_SJ_SK_EUlSX_E0_NS1_11comp_targetILNS1_3genE5ELNS1_11target_archE942ELNS1_3gpuE9ELNS1_3repE0EEENS1_38merge_mergepath_config_static_selectorELNS0_4arch9wavefront6targetE1EEEvSJ_: ; @_ZN7rocprim17ROCPRIM_400000_NS6detail17trampoline_kernelINS0_14default_configENS1_38merge_sort_block_merge_config_selectorIffEEZZNS1_27merge_sort_block_merge_implIS3_N6thrust23THRUST_200600_302600_NS6detail15normal_iteratorINS8_10device_ptrIfEEEESD_jNS1_19radix_merge_compareILb0ELb0EfNS0_19identity_decomposerEEEEE10hipError_tT0_T1_T2_jT3_P12ihipStream_tbPNSt15iterator_traitsISI_E10value_typeEPNSO_ISJ_E10value_typeEPSK_NS1_7vsmem_tEENKUlT_SI_SJ_SK_E_clIPfSD_S10_SD_EESH_SX_SI_SJ_SK_EUlSX_E0_NS1_11comp_targetILNS1_3genE5ELNS1_11target_archE942ELNS1_3gpuE9ELNS1_3repE0EEENS1_38merge_mergepath_config_static_selectorELNS0_4arch9wavefront6targetE1EEEvSJ_
; %bb.0:
	.section	.rodata,"a",@progbits
	.p2align	6, 0x0
	.amdhsa_kernel _ZN7rocprim17ROCPRIM_400000_NS6detail17trampoline_kernelINS0_14default_configENS1_38merge_sort_block_merge_config_selectorIffEEZZNS1_27merge_sort_block_merge_implIS3_N6thrust23THRUST_200600_302600_NS6detail15normal_iteratorINS8_10device_ptrIfEEEESD_jNS1_19radix_merge_compareILb0ELb0EfNS0_19identity_decomposerEEEEE10hipError_tT0_T1_T2_jT3_P12ihipStream_tbPNSt15iterator_traitsISI_E10value_typeEPNSO_ISJ_E10value_typeEPSK_NS1_7vsmem_tEENKUlT_SI_SJ_SK_E_clIPfSD_S10_SD_EESH_SX_SI_SJ_SK_EUlSX_E0_NS1_11comp_targetILNS1_3genE5ELNS1_11target_archE942ELNS1_3gpuE9ELNS1_3repE0EEENS1_38merge_mergepath_config_static_selectorELNS0_4arch9wavefront6targetE1EEEvSJ_
		.amdhsa_group_segment_fixed_size 0
		.amdhsa_private_segment_fixed_size 0
		.amdhsa_kernarg_size 64
		.amdhsa_user_sgpr_count 2
		.amdhsa_user_sgpr_dispatch_ptr 0
		.amdhsa_user_sgpr_queue_ptr 0
		.amdhsa_user_sgpr_kernarg_segment_ptr 1
		.amdhsa_user_sgpr_dispatch_id 0
		.amdhsa_user_sgpr_kernarg_preload_length 0
		.amdhsa_user_sgpr_kernarg_preload_offset 0
		.amdhsa_user_sgpr_private_segment_size 0
		.amdhsa_uses_dynamic_stack 0
		.amdhsa_enable_private_segment 0
		.amdhsa_system_sgpr_workgroup_id_x 1
		.amdhsa_system_sgpr_workgroup_id_y 0
		.amdhsa_system_sgpr_workgroup_id_z 0
		.amdhsa_system_sgpr_workgroup_info 0
		.amdhsa_system_vgpr_workitem_id 0
		.amdhsa_next_free_vgpr 1
		.amdhsa_next_free_sgpr 0
		.amdhsa_accum_offset 4
		.amdhsa_reserve_vcc 0
		.amdhsa_float_round_mode_32 0
		.amdhsa_float_round_mode_16_64 0
		.amdhsa_float_denorm_mode_32 3
		.amdhsa_float_denorm_mode_16_64 3
		.amdhsa_dx10_clamp 1
		.amdhsa_ieee_mode 1
		.amdhsa_fp16_overflow 0
		.amdhsa_tg_split 0
		.amdhsa_exception_fp_ieee_invalid_op 0
		.amdhsa_exception_fp_denorm_src 0
		.amdhsa_exception_fp_ieee_div_zero 0
		.amdhsa_exception_fp_ieee_overflow 0
		.amdhsa_exception_fp_ieee_underflow 0
		.amdhsa_exception_fp_ieee_inexact 0
		.amdhsa_exception_int_div_zero 0
	.end_amdhsa_kernel
	.section	.text._ZN7rocprim17ROCPRIM_400000_NS6detail17trampoline_kernelINS0_14default_configENS1_38merge_sort_block_merge_config_selectorIffEEZZNS1_27merge_sort_block_merge_implIS3_N6thrust23THRUST_200600_302600_NS6detail15normal_iteratorINS8_10device_ptrIfEEEESD_jNS1_19radix_merge_compareILb0ELb0EfNS0_19identity_decomposerEEEEE10hipError_tT0_T1_T2_jT3_P12ihipStream_tbPNSt15iterator_traitsISI_E10value_typeEPNSO_ISJ_E10value_typeEPSK_NS1_7vsmem_tEENKUlT_SI_SJ_SK_E_clIPfSD_S10_SD_EESH_SX_SI_SJ_SK_EUlSX_E0_NS1_11comp_targetILNS1_3genE5ELNS1_11target_archE942ELNS1_3gpuE9ELNS1_3repE0EEENS1_38merge_mergepath_config_static_selectorELNS0_4arch9wavefront6targetE1EEEvSJ_,"axG",@progbits,_ZN7rocprim17ROCPRIM_400000_NS6detail17trampoline_kernelINS0_14default_configENS1_38merge_sort_block_merge_config_selectorIffEEZZNS1_27merge_sort_block_merge_implIS3_N6thrust23THRUST_200600_302600_NS6detail15normal_iteratorINS8_10device_ptrIfEEEESD_jNS1_19radix_merge_compareILb0ELb0EfNS0_19identity_decomposerEEEEE10hipError_tT0_T1_T2_jT3_P12ihipStream_tbPNSt15iterator_traitsISI_E10value_typeEPNSO_ISJ_E10value_typeEPSK_NS1_7vsmem_tEENKUlT_SI_SJ_SK_E_clIPfSD_S10_SD_EESH_SX_SI_SJ_SK_EUlSX_E0_NS1_11comp_targetILNS1_3genE5ELNS1_11target_archE942ELNS1_3gpuE9ELNS1_3repE0EEENS1_38merge_mergepath_config_static_selectorELNS0_4arch9wavefront6targetE1EEEvSJ_,comdat
.Lfunc_end231:
	.size	_ZN7rocprim17ROCPRIM_400000_NS6detail17trampoline_kernelINS0_14default_configENS1_38merge_sort_block_merge_config_selectorIffEEZZNS1_27merge_sort_block_merge_implIS3_N6thrust23THRUST_200600_302600_NS6detail15normal_iteratorINS8_10device_ptrIfEEEESD_jNS1_19radix_merge_compareILb0ELb0EfNS0_19identity_decomposerEEEEE10hipError_tT0_T1_T2_jT3_P12ihipStream_tbPNSt15iterator_traitsISI_E10value_typeEPNSO_ISJ_E10value_typeEPSK_NS1_7vsmem_tEENKUlT_SI_SJ_SK_E_clIPfSD_S10_SD_EESH_SX_SI_SJ_SK_EUlSX_E0_NS1_11comp_targetILNS1_3genE5ELNS1_11target_archE942ELNS1_3gpuE9ELNS1_3repE0EEENS1_38merge_mergepath_config_static_selectorELNS0_4arch9wavefront6targetE1EEEvSJ_, .Lfunc_end231-_ZN7rocprim17ROCPRIM_400000_NS6detail17trampoline_kernelINS0_14default_configENS1_38merge_sort_block_merge_config_selectorIffEEZZNS1_27merge_sort_block_merge_implIS3_N6thrust23THRUST_200600_302600_NS6detail15normal_iteratorINS8_10device_ptrIfEEEESD_jNS1_19radix_merge_compareILb0ELb0EfNS0_19identity_decomposerEEEEE10hipError_tT0_T1_T2_jT3_P12ihipStream_tbPNSt15iterator_traitsISI_E10value_typeEPNSO_ISJ_E10value_typeEPSK_NS1_7vsmem_tEENKUlT_SI_SJ_SK_E_clIPfSD_S10_SD_EESH_SX_SI_SJ_SK_EUlSX_E0_NS1_11comp_targetILNS1_3genE5ELNS1_11target_archE942ELNS1_3gpuE9ELNS1_3repE0EEENS1_38merge_mergepath_config_static_selectorELNS0_4arch9wavefront6targetE1EEEvSJ_
                                        ; -- End function
	.set _ZN7rocprim17ROCPRIM_400000_NS6detail17trampoline_kernelINS0_14default_configENS1_38merge_sort_block_merge_config_selectorIffEEZZNS1_27merge_sort_block_merge_implIS3_N6thrust23THRUST_200600_302600_NS6detail15normal_iteratorINS8_10device_ptrIfEEEESD_jNS1_19radix_merge_compareILb0ELb0EfNS0_19identity_decomposerEEEEE10hipError_tT0_T1_T2_jT3_P12ihipStream_tbPNSt15iterator_traitsISI_E10value_typeEPNSO_ISJ_E10value_typeEPSK_NS1_7vsmem_tEENKUlT_SI_SJ_SK_E_clIPfSD_S10_SD_EESH_SX_SI_SJ_SK_EUlSX_E0_NS1_11comp_targetILNS1_3genE5ELNS1_11target_archE942ELNS1_3gpuE9ELNS1_3repE0EEENS1_38merge_mergepath_config_static_selectorELNS0_4arch9wavefront6targetE1EEEvSJ_.num_vgpr, 0
	.set _ZN7rocprim17ROCPRIM_400000_NS6detail17trampoline_kernelINS0_14default_configENS1_38merge_sort_block_merge_config_selectorIffEEZZNS1_27merge_sort_block_merge_implIS3_N6thrust23THRUST_200600_302600_NS6detail15normal_iteratorINS8_10device_ptrIfEEEESD_jNS1_19radix_merge_compareILb0ELb0EfNS0_19identity_decomposerEEEEE10hipError_tT0_T1_T2_jT3_P12ihipStream_tbPNSt15iterator_traitsISI_E10value_typeEPNSO_ISJ_E10value_typeEPSK_NS1_7vsmem_tEENKUlT_SI_SJ_SK_E_clIPfSD_S10_SD_EESH_SX_SI_SJ_SK_EUlSX_E0_NS1_11comp_targetILNS1_3genE5ELNS1_11target_archE942ELNS1_3gpuE9ELNS1_3repE0EEENS1_38merge_mergepath_config_static_selectorELNS0_4arch9wavefront6targetE1EEEvSJ_.num_agpr, 0
	.set _ZN7rocprim17ROCPRIM_400000_NS6detail17trampoline_kernelINS0_14default_configENS1_38merge_sort_block_merge_config_selectorIffEEZZNS1_27merge_sort_block_merge_implIS3_N6thrust23THRUST_200600_302600_NS6detail15normal_iteratorINS8_10device_ptrIfEEEESD_jNS1_19radix_merge_compareILb0ELb0EfNS0_19identity_decomposerEEEEE10hipError_tT0_T1_T2_jT3_P12ihipStream_tbPNSt15iterator_traitsISI_E10value_typeEPNSO_ISJ_E10value_typeEPSK_NS1_7vsmem_tEENKUlT_SI_SJ_SK_E_clIPfSD_S10_SD_EESH_SX_SI_SJ_SK_EUlSX_E0_NS1_11comp_targetILNS1_3genE5ELNS1_11target_archE942ELNS1_3gpuE9ELNS1_3repE0EEENS1_38merge_mergepath_config_static_selectorELNS0_4arch9wavefront6targetE1EEEvSJ_.numbered_sgpr, 0
	.set _ZN7rocprim17ROCPRIM_400000_NS6detail17trampoline_kernelINS0_14default_configENS1_38merge_sort_block_merge_config_selectorIffEEZZNS1_27merge_sort_block_merge_implIS3_N6thrust23THRUST_200600_302600_NS6detail15normal_iteratorINS8_10device_ptrIfEEEESD_jNS1_19radix_merge_compareILb0ELb0EfNS0_19identity_decomposerEEEEE10hipError_tT0_T1_T2_jT3_P12ihipStream_tbPNSt15iterator_traitsISI_E10value_typeEPNSO_ISJ_E10value_typeEPSK_NS1_7vsmem_tEENKUlT_SI_SJ_SK_E_clIPfSD_S10_SD_EESH_SX_SI_SJ_SK_EUlSX_E0_NS1_11comp_targetILNS1_3genE5ELNS1_11target_archE942ELNS1_3gpuE9ELNS1_3repE0EEENS1_38merge_mergepath_config_static_selectorELNS0_4arch9wavefront6targetE1EEEvSJ_.num_named_barrier, 0
	.set _ZN7rocprim17ROCPRIM_400000_NS6detail17trampoline_kernelINS0_14default_configENS1_38merge_sort_block_merge_config_selectorIffEEZZNS1_27merge_sort_block_merge_implIS3_N6thrust23THRUST_200600_302600_NS6detail15normal_iteratorINS8_10device_ptrIfEEEESD_jNS1_19radix_merge_compareILb0ELb0EfNS0_19identity_decomposerEEEEE10hipError_tT0_T1_T2_jT3_P12ihipStream_tbPNSt15iterator_traitsISI_E10value_typeEPNSO_ISJ_E10value_typeEPSK_NS1_7vsmem_tEENKUlT_SI_SJ_SK_E_clIPfSD_S10_SD_EESH_SX_SI_SJ_SK_EUlSX_E0_NS1_11comp_targetILNS1_3genE5ELNS1_11target_archE942ELNS1_3gpuE9ELNS1_3repE0EEENS1_38merge_mergepath_config_static_selectorELNS0_4arch9wavefront6targetE1EEEvSJ_.private_seg_size, 0
	.set _ZN7rocprim17ROCPRIM_400000_NS6detail17trampoline_kernelINS0_14default_configENS1_38merge_sort_block_merge_config_selectorIffEEZZNS1_27merge_sort_block_merge_implIS3_N6thrust23THRUST_200600_302600_NS6detail15normal_iteratorINS8_10device_ptrIfEEEESD_jNS1_19radix_merge_compareILb0ELb0EfNS0_19identity_decomposerEEEEE10hipError_tT0_T1_T2_jT3_P12ihipStream_tbPNSt15iterator_traitsISI_E10value_typeEPNSO_ISJ_E10value_typeEPSK_NS1_7vsmem_tEENKUlT_SI_SJ_SK_E_clIPfSD_S10_SD_EESH_SX_SI_SJ_SK_EUlSX_E0_NS1_11comp_targetILNS1_3genE5ELNS1_11target_archE942ELNS1_3gpuE9ELNS1_3repE0EEENS1_38merge_mergepath_config_static_selectorELNS0_4arch9wavefront6targetE1EEEvSJ_.uses_vcc, 0
	.set _ZN7rocprim17ROCPRIM_400000_NS6detail17trampoline_kernelINS0_14default_configENS1_38merge_sort_block_merge_config_selectorIffEEZZNS1_27merge_sort_block_merge_implIS3_N6thrust23THRUST_200600_302600_NS6detail15normal_iteratorINS8_10device_ptrIfEEEESD_jNS1_19radix_merge_compareILb0ELb0EfNS0_19identity_decomposerEEEEE10hipError_tT0_T1_T2_jT3_P12ihipStream_tbPNSt15iterator_traitsISI_E10value_typeEPNSO_ISJ_E10value_typeEPSK_NS1_7vsmem_tEENKUlT_SI_SJ_SK_E_clIPfSD_S10_SD_EESH_SX_SI_SJ_SK_EUlSX_E0_NS1_11comp_targetILNS1_3genE5ELNS1_11target_archE942ELNS1_3gpuE9ELNS1_3repE0EEENS1_38merge_mergepath_config_static_selectorELNS0_4arch9wavefront6targetE1EEEvSJ_.uses_flat_scratch, 0
	.set _ZN7rocprim17ROCPRIM_400000_NS6detail17trampoline_kernelINS0_14default_configENS1_38merge_sort_block_merge_config_selectorIffEEZZNS1_27merge_sort_block_merge_implIS3_N6thrust23THRUST_200600_302600_NS6detail15normal_iteratorINS8_10device_ptrIfEEEESD_jNS1_19radix_merge_compareILb0ELb0EfNS0_19identity_decomposerEEEEE10hipError_tT0_T1_T2_jT3_P12ihipStream_tbPNSt15iterator_traitsISI_E10value_typeEPNSO_ISJ_E10value_typeEPSK_NS1_7vsmem_tEENKUlT_SI_SJ_SK_E_clIPfSD_S10_SD_EESH_SX_SI_SJ_SK_EUlSX_E0_NS1_11comp_targetILNS1_3genE5ELNS1_11target_archE942ELNS1_3gpuE9ELNS1_3repE0EEENS1_38merge_mergepath_config_static_selectorELNS0_4arch9wavefront6targetE1EEEvSJ_.has_dyn_sized_stack, 0
	.set _ZN7rocprim17ROCPRIM_400000_NS6detail17trampoline_kernelINS0_14default_configENS1_38merge_sort_block_merge_config_selectorIffEEZZNS1_27merge_sort_block_merge_implIS3_N6thrust23THRUST_200600_302600_NS6detail15normal_iteratorINS8_10device_ptrIfEEEESD_jNS1_19radix_merge_compareILb0ELb0EfNS0_19identity_decomposerEEEEE10hipError_tT0_T1_T2_jT3_P12ihipStream_tbPNSt15iterator_traitsISI_E10value_typeEPNSO_ISJ_E10value_typeEPSK_NS1_7vsmem_tEENKUlT_SI_SJ_SK_E_clIPfSD_S10_SD_EESH_SX_SI_SJ_SK_EUlSX_E0_NS1_11comp_targetILNS1_3genE5ELNS1_11target_archE942ELNS1_3gpuE9ELNS1_3repE0EEENS1_38merge_mergepath_config_static_selectorELNS0_4arch9wavefront6targetE1EEEvSJ_.has_recursion, 0
	.set _ZN7rocprim17ROCPRIM_400000_NS6detail17trampoline_kernelINS0_14default_configENS1_38merge_sort_block_merge_config_selectorIffEEZZNS1_27merge_sort_block_merge_implIS3_N6thrust23THRUST_200600_302600_NS6detail15normal_iteratorINS8_10device_ptrIfEEEESD_jNS1_19radix_merge_compareILb0ELb0EfNS0_19identity_decomposerEEEEE10hipError_tT0_T1_T2_jT3_P12ihipStream_tbPNSt15iterator_traitsISI_E10value_typeEPNSO_ISJ_E10value_typeEPSK_NS1_7vsmem_tEENKUlT_SI_SJ_SK_E_clIPfSD_S10_SD_EESH_SX_SI_SJ_SK_EUlSX_E0_NS1_11comp_targetILNS1_3genE5ELNS1_11target_archE942ELNS1_3gpuE9ELNS1_3repE0EEENS1_38merge_mergepath_config_static_selectorELNS0_4arch9wavefront6targetE1EEEvSJ_.has_indirect_call, 0
	.section	.AMDGPU.csdata,"",@progbits
; Kernel info:
; codeLenInByte = 0
; TotalNumSgprs: 6
; NumVgprs: 0
; NumAgprs: 0
; TotalNumVgprs: 0
; ScratchSize: 0
; MemoryBound: 0
; FloatMode: 240
; IeeeMode: 1
; LDSByteSize: 0 bytes/workgroup (compile time only)
; SGPRBlocks: 0
; VGPRBlocks: 0
; NumSGPRsForWavesPerEU: 6
; NumVGPRsForWavesPerEU: 1
; AccumOffset: 4
; Occupancy: 8
; WaveLimiterHint : 0
; COMPUTE_PGM_RSRC2:SCRATCH_EN: 0
; COMPUTE_PGM_RSRC2:USER_SGPR: 2
; COMPUTE_PGM_RSRC2:TRAP_HANDLER: 0
; COMPUTE_PGM_RSRC2:TGID_X_EN: 1
; COMPUTE_PGM_RSRC2:TGID_Y_EN: 0
; COMPUTE_PGM_RSRC2:TGID_Z_EN: 0
; COMPUTE_PGM_RSRC2:TIDIG_COMP_CNT: 0
; COMPUTE_PGM_RSRC3_GFX90A:ACCUM_OFFSET: 0
; COMPUTE_PGM_RSRC3_GFX90A:TG_SPLIT: 0
	.section	.text._ZN7rocprim17ROCPRIM_400000_NS6detail17trampoline_kernelINS0_14default_configENS1_38merge_sort_block_merge_config_selectorIffEEZZNS1_27merge_sort_block_merge_implIS3_N6thrust23THRUST_200600_302600_NS6detail15normal_iteratorINS8_10device_ptrIfEEEESD_jNS1_19radix_merge_compareILb0ELb0EfNS0_19identity_decomposerEEEEE10hipError_tT0_T1_T2_jT3_P12ihipStream_tbPNSt15iterator_traitsISI_E10value_typeEPNSO_ISJ_E10value_typeEPSK_NS1_7vsmem_tEENKUlT_SI_SJ_SK_E_clIPfSD_S10_SD_EESH_SX_SI_SJ_SK_EUlSX_E0_NS1_11comp_targetILNS1_3genE4ELNS1_11target_archE910ELNS1_3gpuE8ELNS1_3repE0EEENS1_38merge_mergepath_config_static_selectorELNS0_4arch9wavefront6targetE1EEEvSJ_,"axG",@progbits,_ZN7rocprim17ROCPRIM_400000_NS6detail17trampoline_kernelINS0_14default_configENS1_38merge_sort_block_merge_config_selectorIffEEZZNS1_27merge_sort_block_merge_implIS3_N6thrust23THRUST_200600_302600_NS6detail15normal_iteratorINS8_10device_ptrIfEEEESD_jNS1_19radix_merge_compareILb0ELb0EfNS0_19identity_decomposerEEEEE10hipError_tT0_T1_T2_jT3_P12ihipStream_tbPNSt15iterator_traitsISI_E10value_typeEPNSO_ISJ_E10value_typeEPSK_NS1_7vsmem_tEENKUlT_SI_SJ_SK_E_clIPfSD_S10_SD_EESH_SX_SI_SJ_SK_EUlSX_E0_NS1_11comp_targetILNS1_3genE4ELNS1_11target_archE910ELNS1_3gpuE8ELNS1_3repE0EEENS1_38merge_mergepath_config_static_selectorELNS0_4arch9wavefront6targetE1EEEvSJ_,comdat
	.protected	_ZN7rocprim17ROCPRIM_400000_NS6detail17trampoline_kernelINS0_14default_configENS1_38merge_sort_block_merge_config_selectorIffEEZZNS1_27merge_sort_block_merge_implIS3_N6thrust23THRUST_200600_302600_NS6detail15normal_iteratorINS8_10device_ptrIfEEEESD_jNS1_19radix_merge_compareILb0ELb0EfNS0_19identity_decomposerEEEEE10hipError_tT0_T1_T2_jT3_P12ihipStream_tbPNSt15iterator_traitsISI_E10value_typeEPNSO_ISJ_E10value_typeEPSK_NS1_7vsmem_tEENKUlT_SI_SJ_SK_E_clIPfSD_S10_SD_EESH_SX_SI_SJ_SK_EUlSX_E0_NS1_11comp_targetILNS1_3genE4ELNS1_11target_archE910ELNS1_3gpuE8ELNS1_3repE0EEENS1_38merge_mergepath_config_static_selectorELNS0_4arch9wavefront6targetE1EEEvSJ_ ; -- Begin function _ZN7rocprim17ROCPRIM_400000_NS6detail17trampoline_kernelINS0_14default_configENS1_38merge_sort_block_merge_config_selectorIffEEZZNS1_27merge_sort_block_merge_implIS3_N6thrust23THRUST_200600_302600_NS6detail15normal_iteratorINS8_10device_ptrIfEEEESD_jNS1_19radix_merge_compareILb0ELb0EfNS0_19identity_decomposerEEEEE10hipError_tT0_T1_T2_jT3_P12ihipStream_tbPNSt15iterator_traitsISI_E10value_typeEPNSO_ISJ_E10value_typeEPSK_NS1_7vsmem_tEENKUlT_SI_SJ_SK_E_clIPfSD_S10_SD_EESH_SX_SI_SJ_SK_EUlSX_E0_NS1_11comp_targetILNS1_3genE4ELNS1_11target_archE910ELNS1_3gpuE8ELNS1_3repE0EEENS1_38merge_mergepath_config_static_selectorELNS0_4arch9wavefront6targetE1EEEvSJ_
	.globl	_ZN7rocprim17ROCPRIM_400000_NS6detail17trampoline_kernelINS0_14default_configENS1_38merge_sort_block_merge_config_selectorIffEEZZNS1_27merge_sort_block_merge_implIS3_N6thrust23THRUST_200600_302600_NS6detail15normal_iteratorINS8_10device_ptrIfEEEESD_jNS1_19radix_merge_compareILb0ELb0EfNS0_19identity_decomposerEEEEE10hipError_tT0_T1_T2_jT3_P12ihipStream_tbPNSt15iterator_traitsISI_E10value_typeEPNSO_ISJ_E10value_typeEPSK_NS1_7vsmem_tEENKUlT_SI_SJ_SK_E_clIPfSD_S10_SD_EESH_SX_SI_SJ_SK_EUlSX_E0_NS1_11comp_targetILNS1_3genE4ELNS1_11target_archE910ELNS1_3gpuE8ELNS1_3repE0EEENS1_38merge_mergepath_config_static_selectorELNS0_4arch9wavefront6targetE1EEEvSJ_
	.p2align	8
	.type	_ZN7rocprim17ROCPRIM_400000_NS6detail17trampoline_kernelINS0_14default_configENS1_38merge_sort_block_merge_config_selectorIffEEZZNS1_27merge_sort_block_merge_implIS3_N6thrust23THRUST_200600_302600_NS6detail15normal_iteratorINS8_10device_ptrIfEEEESD_jNS1_19radix_merge_compareILb0ELb0EfNS0_19identity_decomposerEEEEE10hipError_tT0_T1_T2_jT3_P12ihipStream_tbPNSt15iterator_traitsISI_E10value_typeEPNSO_ISJ_E10value_typeEPSK_NS1_7vsmem_tEENKUlT_SI_SJ_SK_E_clIPfSD_S10_SD_EESH_SX_SI_SJ_SK_EUlSX_E0_NS1_11comp_targetILNS1_3genE4ELNS1_11target_archE910ELNS1_3gpuE8ELNS1_3repE0EEENS1_38merge_mergepath_config_static_selectorELNS0_4arch9wavefront6targetE1EEEvSJ_,@function
_ZN7rocprim17ROCPRIM_400000_NS6detail17trampoline_kernelINS0_14default_configENS1_38merge_sort_block_merge_config_selectorIffEEZZNS1_27merge_sort_block_merge_implIS3_N6thrust23THRUST_200600_302600_NS6detail15normal_iteratorINS8_10device_ptrIfEEEESD_jNS1_19radix_merge_compareILb0ELb0EfNS0_19identity_decomposerEEEEE10hipError_tT0_T1_T2_jT3_P12ihipStream_tbPNSt15iterator_traitsISI_E10value_typeEPNSO_ISJ_E10value_typeEPSK_NS1_7vsmem_tEENKUlT_SI_SJ_SK_E_clIPfSD_S10_SD_EESH_SX_SI_SJ_SK_EUlSX_E0_NS1_11comp_targetILNS1_3genE4ELNS1_11target_archE910ELNS1_3gpuE8ELNS1_3repE0EEENS1_38merge_mergepath_config_static_selectorELNS0_4arch9wavefront6targetE1EEEvSJ_: ; @_ZN7rocprim17ROCPRIM_400000_NS6detail17trampoline_kernelINS0_14default_configENS1_38merge_sort_block_merge_config_selectorIffEEZZNS1_27merge_sort_block_merge_implIS3_N6thrust23THRUST_200600_302600_NS6detail15normal_iteratorINS8_10device_ptrIfEEEESD_jNS1_19radix_merge_compareILb0ELb0EfNS0_19identity_decomposerEEEEE10hipError_tT0_T1_T2_jT3_P12ihipStream_tbPNSt15iterator_traitsISI_E10value_typeEPNSO_ISJ_E10value_typeEPSK_NS1_7vsmem_tEENKUlT_SI_SJ_SK_E_clIPfSD_S10_SD_EESH_SX_SI_SJ_SK_EUlSX_E0_NS1_11comp_targetILNS1_3genE4ELNS1_11target_archE910ELNS1_3gpuE8ELNS1_3repE0EEENS1_38merge_mergepath_config_static_selectorELNS0_4arch9wavefront6targetE1EEEvSJ_
; %bb.0:
	.section	.rodata,"a",@progbits
	.p2align	6, 0x0
	.amdhsa_kernel _ZN7rocprim17ROCPRIM_400000_NS6detail17trampoline_kernelINS0_14default_configENS1_38merge_sort_block_merge_config_selectorIffEEZZNS1_27merge_sort_block_merge_implIS3_N6thrust23THRUST_200600_302600_NS6detail15normal_iteratorINS8_10device_ptrIfEEEESD_jNS1_19radix_merge_compareILb0ELb0EfNS0_19identity_decomposerEEEEE10hipError_tT0_T1_T2_jT3_P12ihipStream_tbPNSt15iterator_traitsISI_E10value_typeEPNSO_ISJ_E10value_typeEPSK_NS1_7vsmem_tEENKUlT_SI_SJ_SK_E_clIPfSD_S10_SD_EESH_SX_SI_SJ_SK_EUlSX_E0_NS1_11comp_targetILNS1_3genE4ELNS1_11target_archE910ELNS1_3gpuE8ELNS1_3repE0EEENS1_38merge_mergepath_config_static_selectorELNS0_4arch9wavefront6targetE1EEEvSJ_
		.amdhsa_group_segment_fixed_size 0
		.amdhsa_private_segment_fixed_size 0
		.amdhsa_kernarg_size 64
		.amdhsa_user_sgpr_count 2
		.amdhsa_user_sgpr_dispatch_ptr 0
		.amdhsa_user_sgpr_queue_ptr 0
		.amdhsa_user_sgpr_kernarg_segment_ptr 1
		.amdhsa_user_sgpr_dispatch_id 0
		.amdhsa_user_sgpr_kernarg_preload_length 0
		.amdhsa_user_sgpr_kernarg_preload_offset 0
		.amdhsa_user_sgpr_private_segment_size 0
		.amdhsa_uses_dynamic_stack 0
		.amdhsa_enable_private_segment 0
		.amdhsa_system_sgpr_workgroup_id_x 1
		.amdhsa_system_sgpr_workgroup_id_y 0
		.amdhsa_system_sgpr_workgroup_id_z 0
		.amdhsa_system_sgpr_workgroup_info 0
		.amdhsa_system_vgpr_workitem_id 0
		.amdhsa_next_free_vgpr 1
		.amdhsa_next_free_sgpr 0
		.amdhsa_accum_offset 4
		.amdhsa_reserve_vcc 0
		.amdhsa_float_round_mode_32 0
		.amdhsa_float_round_mode_16_64 0
		.amdhsa_float_denorm_mode_32 3
		.amdhsa_float_denorm_mode_16_64 3
		.amdhsa_dx10_clamp 1
		.amdhsa_ieee_mode 1
		.amdhsa_fp16_overflow 0
		.amdhsa_tg_split 0
		.amdhsa_exception_fp_ieee_invalid_op 0
		.amdhsa_exception_fp_denorm_src 0
		.amdhsa_exception_fp_ieee_div_zero 0
		.amdhsa_exception_fp_ieee_overflow 0
		.amdhsa_exception_fp_ieee_underflow 0
		.amdhsa_exception_fp_ieee_inexact 0
		.amdhsa_exception_int_div_zero 0
	.end_amdhsa_kernel
	.section	.text._ZN7rocprim17ROCPRIM_400000_NS6detail17trampoline_kernelINS0_14default_configENS1_38merge_sort_block_merge_config_selectorIffEEZZNS1_27merge_sort_block_merge_implIS3_N6thrust23THRUST_200600_302600_NS6detail15normal_iteratorINS8_10device_ptrIfEEEESD_jNS1_19radix_merge_compareILb0ELb0EfNS0_19identity_decomposerEEEEE10hipError_tT0_T1_T2_jT3_P12ihipStream_tbPNSt15iterator_traitsISI_E10value_typeEPNSO_ISJ_E10value_typeEPSK_NS1_7vsmem_tEENKUlT_SI_SJ_SK_E_clIPfSD_S10_SD_EESH_SX_SI_SJ_SK_EUlSX_E0_NS1_11comp_targetILNS1_3genE4ELNS1_11target_archE910ELNS1_3gpuE8ELNS1_3repE0EEENS1_38merge_mergepath_config_static_selectorELNS0_4arch9wavefront6targetE1EEEvSJ_,"axG",@progbits,_ZN7rocprim17ROCPRIM_400000_NS6detail17trampoline_kernelINS0_14default_configENS1_38merge_sort_block_merge_config_selectorIffEEZZNS1_27merge_sort_block_merge_implIS3_N6thrust23THRUST_200600_302600_NS6detail15normal_iteratorINS8_10device_ptrIfEEEESD_jNS1_19radix_merge_compareILb0ELb0EfNS0_19identity_decomposerEEEEE10hipError_tT0_T1_T2_jT3_P12ihipStream_tbPNSt15iterator_traitsISI_E10value_typeEPNSO_ISJ_E10value_typeEPSK_NS1_7vsmem_tEENKUlT_SI_SJ_SK_E_clIPfSD_S10_SD_EESH_SX_SI_SJ_SK_EUlSX_E0_NS1_11comp_targetILNS1_3genE4ELNS1_11target_archE910ELNS1_3gpuE8ELNS1_3repE0EEENS1_38merge_mergepath_config_static_selectorELNS0_4arch9wavefront6targetE1EEEvSJ_,comdat
.Lfunc_end232:
	.size	_ZN7rocprim17ROCPRIM_400000_NS6detail17trampoline_kernelINS0_14default_configENS1_38merge_sort_block_merge_config_selectorIffEEZZNS1_27merge_sort_block_merge_implIS3_N6thrust23THRUST_200600_302600_NS6detail15normal_iteratorINS8_10device_ptrIfEEEESD_jNS1_19radix_merge_compareILb0ELb0EfNS0_19identity_decomposerEEEEE10hipError_tT0_T1_T2_jT3_P12ihipStream_tbPNSt15iterator_traitsISI_E10value_typeEPNSO_ISJ_E10value_typeEPSK_NS1_7vsmem_tEENKUlT_SI_SJ_SK_E_clIPfSD_S10_SD_EESH_SX_SI_SJ_SK_EUlSX_E0_NS1_11comp_targetILNS1_3genE4ELNS1_11target_archE910ELNS1_3gpuE8ELNS1_3repE0EEENS1_38merge_mergepath_config_static_selectorELNS0_4arch9wavefront6targetE1EEEvSJ_, .Lfunc_end232-_ZN7rocprim17ROCPRIM_400000_NS6detail17trampoline_kernelINS0_14default_configENS1_38merge_sort_block_merge_config_selectorIffEEZZNS1_27merge_sort_block_merge_implIS3_N6thrust23THRUST_200600_302600_NS6detail15normal_iteratorINS8_10device_ptrIfEEEESD_jNS1_19radix_merge_compareILb0ELb0EfNS0_19identity_decomposerEEEEE10hipError_tT0_T1_T2_jT3_P12ihipStream_tbPNSt15iterator_traitsISI_E10value_typeEPNSO_ISJ_E10value_typeEPSK_NS1_7vsmem_tEENKUlT_SI_SJ_SK_E_clIPfSD_S10_SD_EESH_SX_SI_SJ_SK_EUlSX_E0_NS1_11comp_targetILNS1_3genE4ELNS1_11target_archE910ELNS1_3gpuE8ELNS1_3repE0EEENS1_38merge_mergepath_config_static_selectorELNS0_4arch9wavefront6targetE1EEEvSJ_
                                        ; -- End function
	.set _ZN7rocprim17ROCPRIM_400000_NS6detail17trampoline_kernelINS0_14default_configENS1_38merge_sort_block_merge_config_selectorIffEEZZNS1_27merge_sort_block_merge_implIS3_N6thrust23THRUST_200600_302600_NS6detail15normal_iteratorINS8_10device_ptrIfEEEESD_jNS1_19radix_merge_compareILb0ELb0EfNS0_19identity_decomposerEEEEE10hipError_tT0_T1_T2_jT3_P12ihipStream_tbPNSt15iterator_traitsISI_E10value_typeEPNSO_ISJ_E10value_typeEPSK_NS1_7vsmem_tEENKUlT_SI_SJ_SK_E_clIPfSD_S10_SD_EESH_SX_SI_SJ_SK_EUlSX_E0_NS1_11comp_targetILNS1_3genE4ELNS1_11target_archE910ELNS1_3gpuE8ELNS1_3repE0EEENS1_38merge_mergepath_config_static_selectorELNS0_4arch9wavefront6targetE1EEEvSJ_.num_vgpr, 0
	.set _ZN7rocprim17ROCPRIM_400000_NS6detail17trampoline_kernelINS0_14default_configENS1_38merge_sort_block_merge_config_selectorIffEEZZNS1_27merge_sort_block_merge_implIS3_N6thrust23THRUST_200600_302600_NS6detail15normal_iteratorINS8_10device_ptrIfEEEESD_jNS1_19radix_merge_compareILb0ELb0EfNS0_19identity_decomposerEEEEE10hipError_tT0_T1_T2_jT3_P12ihipStream_tbPNSt15iterator_traitsISI_E10value_typeEPNSO_ISJ_E10value_typeEPSK_NS1_7vsmem_tEENKUlT_SI_SJ_SK_E_clIPfSD_S10_SD_EESH_SX_SI_SJ_SK_EUlSX_E0_NS1_11comp_targetILNS1_3genE4ELNS1_11target_archE910ELNS1_3gpuE8ELNS1_3repE0EEENS1_38merge_mergepath_config_static_selectorELNS0_4arch9wavefront6targetE1EEEvSJ_.num_agpr, 0
	.set _ZN7rocprim17ROCPRIM_400000_NS6detail17trampoline_kernelINS0_14default_configENS1_38merge_sort_block_merge_config_selectorIffEEZZNS1_27merge_sort_block_merge_implIS3_N6thrust23THRUST_200600_302600_NS6detail15normal_iteratorINS8_10device_ptrIfEEEESD_jNS1_19radix_merge_compareILb0ELb0EfNS0_19identity_decomposerEEEEE10hipError_tT0_T1_T2_jT3_P12ihipStream_tbPNSt15iterator_traitsISI_E10value_typeEPNSO_ISJ_E10value_typeEPSK_NS1_7vsmem_tEENKUlT_SI_SJ_SK_E_clIPfSD_S10_SD_EESH_SX_SI_SJ_SK_EUlSX_E0_NS1_11comp_targetILNS1_3genE4ELNS1_11target_archE910ELNS1_3gpuE8ELNS1_3repE0EEENS1_38merge_mergepath_config_static_selectorELNS0_4arch9wavefront6targetE1EEEvSJ_.numbered_sgpr, 0
	.set _ZN7rocprim17ROCPRIM_400000_NS6detail17trampoline_kernelINS0_14default_configENS1_38merge_sort_block_merge_config_selectorIffEEZZNS1_27merge_sort_block_merge_implIS3_N6thrust23THRUST_200600_302600_NS6detail15normal_iteratorINS8_10device_ptrIfEEEESD_jNS1_19radix_merge_compareILb0ELb0EfNS0_19identity_decomposerEEEEE10hipError_tT0_T1_T2_jT3_P12ihipStream_tbPNSt15iterator_traitsISI_E10value_typeEPNSO_ISJ_E10value_typeEPSK_NS1_7vsmem_tEENKUlT_SI_SJ_SK_E_clIPfSD_S10_SD_EESH_SX_SI_SJ_SK_EUlSX_E0_NS1_11comp_targetILNS1_3genE4ELNS1_11target_archE910ELNS1_3gpuE8ELNS1_3repE0EEENS1_38merge_mergepath_config_static_selectorELNS0_4arch9wavefront6targetE1EEEvSJ_.num_named_barrier, 0
	.set _ZN7rocprim17ROCPRIM_400000_NS6detail17trampoline_kernelINS0_14default_configENS1_38merge_sort_block_merge_config_selectorIffEEZZNS1_27merge_sort_block_merge_implIS3_N6thrust23THRUST_200600_302600_NS6detail15normal_iteratorINS8_10device_ptrIfEEEESD_jNS1_19radix_merge_compareILb0ELb0EfNS0_19identity_decomposerEEEEE10hipError_tT0_T1_T2_jT3_P12ihipStream_tbPNSt15iterator_traitsISI_E10value_typeEPNSO_ISJ_E10value_typeEPSK_NS1_7vsmem_tEENKUlT_SI_SJ_SK_E_clIPfSD_S10_SD_EESH_SX_SI_SJ_SK_EUlSX_E0_NS1_11comp_targetILNS1_3genE4ELNS1_11target_archE910ELNS1_3gpuE8ELNS1_3repE0EEENS1_38merge_mergepath_config_static_selectorELNS0_4arch9wavefront6targetE1EEEvSJ_.private_seg_size, 0
	.set _ZN7rocprim17ROCPRIM_400000_NS6detail17trampoline_kernelINS0_14default_configENS1_38merge_sort_block_merge_config_selectorIffEEZZNS1_27merge_sort_block_merge_implIS3_N6thrust23THRUST_200600_302600_NS6detail15normal_iteratorINS8_10device_ptrIfEEEESD_jNS1_19radix_merge_compareILb0ELb0EfNS0_19identity_decomposerEEEEE10hipError_tT0_T1_T2_jT3_P12ihipStream_tbPNSt15iterator_traitsISI_E10value_typeEPNSO_ISJ_E10value_typeEPSK_NS1_7vsmem_tEENKUlT_SI_SJ_SK_E_clIPfSD_S10_SD_EESH_SX_SI_SJ_SK_EUlSX_E0_NS1_11comp_targetILNS1_3genE4ELNS1_11target_archE910ELNS1_3gpuE8ELNS1_3repE0EEENS1_38merge_mergepath_config_static_selectorELNS0_4arch9wavefront6targetE1EEEvSJ_.uses_vcc, 0
	.set _ZN7rocprim17ROCPRIM_400000_NS6detail17trampoline_kernelINS0_14default_configENS1_38merge_sort_block_merge_config_selectorIffEEZZNS1_27merge_sort_block_merge_implIS3_N6thrust23THRUST_200600_302600_NS6detail15normal_iteratorINS8_10device_ptrIfEEEESD_jNS1_19radix_merge_compareILb0ELb0EfNS0_19identity_decomposerEEEEE10hipError_tT0_T1_T2_jT3_P12ihipStream_tbPNSt15iterator_traitsISI_E10value_typeEPNSO_ISJ_E10value_typeEPSK_NS1_7vsmem_tEENKUlT_SI_SJ_SK_E_clIPfSD_S10_SD_EESH_SX_SI_SJ_SK_EUlSX_E0_NS1_11comp_targetILNS1_3genE4ELNS1_11target_archE910ELNS1_3gpuE8ELNS1_3repE0EEENS1_38merge_mergepath_config_static_selectorELNS0_4arch9wavefront6targetE1EEEvSJ_.uses_flat_scratch, 0
	.set _ZN7rocprim17ROCPRIM_400000_NS6detail17trampoline_kernelINS0_14default_configENS1_38merge_sort_block_merge_config_selectorIffEEZZNS1_27merge_sort_block_merge_implIS3_N6thrust23THRUST_200600_302600_NS6detail15normal_iteratorINS8_10device_ptrIfEEEESD_jNS1_19radix_merge_compareILb0ELb0EfNS0_19identity_decomposerEEEEE10hipError_tT0_T1_T2_jT3_P12ihipStream_tbPNSt15iterator_traitsISI_E10value_typeEPNSO_ISJ_E10value_typeEPSK_NS1_7vsmem_tEENKUlT_SI_SJ_SK_E_clIPfSD_S10_SD_EESH_SX_SI_SJ_SK_EUlSX_E0_NS1_11comp_targetILNS1_3genE4ELNS1_11target_archE910ELNS1_3gpuE8ELNS1_3repE0EEENS1_38merge_mergepath_config_static_selectorELNS0_4arch9wavefront6targetE1EEEvSJ_.has_dyn_sized_stack, 0
	.set _ZN7rocprim17ROCPRIM_400000_NS6detail17trampoline_kernelINS0_14default_configENS1_38merge_sort_block_merge_config_selectorIffEEZZNS1_27merge_sort_block_merge_implIS3_N6thrust23THRUST_200600_302600_NS6detail15normal_iteratorINS8_10device_ptrIfEEEESD_jNS1_19radix_merge_compareILb0ELb0EfNS0_19identity_decomposerEEEEE10hipError_tT0_T1_T2_jT3_P12ihipStream_tbPNSt15iterator_traitsISI_E10value_typeEPNSO_ISJ_E10value_typeEPSK_NS1_7vsmem_tEENKUlT_SI_SJ_SK_E_clIPfSD_S10_SD_EESH_SX_SI_SJ_SK_EUlSX_E0_NS1_11comp_targetILNS1_3genE4ELNS1_11target_archE910ELNS1_3gpuE8ELNS1_3repE0EEENS1_38merge_mergepath_config_static_selectorELNS0_4arch9wavefront6targetE1EEEvSJ_.has_recursion, 0
	.set _ZN7rocprim17ROCPRIM_400000_NS6detail17trampoline_kernelINS0_14default_configENS1_38merge_sort_block_merge_config_selectorIffEEZZNS1_27merge_sort_block_merge_implIS3_N6thrust23THRUST_200600_302600_NS6detail15normal_iteratorINS8_10device_ptrIfEEEESD_jNS1_19radix_merge_compareILb0ELb0EfNS0_19identity_decomposerEEEEE10hipError_tT0_T1_T2_jT3_P12ihipStream_tbPNSt15iterator_traitsISI_E10value_typeEPNSO_ISJ_E10value_typeEPSK_NS1_7vsmem_tEENKUlT_SI_SJ_SK_E_clIPfSD_S10_SD_EESH_SX_SI_SJ_SK_EUlSX_E0_NS1_11comp_targetILNS1_3genE4ELNS1_11target_archE910ELNS1_3gpuE8ELNS1_3repE0EEENS1_38merge_mergepath_config_static_selectorELNS0_4arch9wavefront6targetE1EEEvSJ_.has_indirect_call, 0
	.section	.AMDGPU.csdata,"",@progbits
; Kernel info:
; codeLenInByte = 0
; TotalNumSgprs: 6
; NumVgprs: 0
; NumAgprs: 0
; TotalNumVgprs: 0
; ScratchSize: 0
; MemoryBound: 0
; FloatMode: 240
; IeeeMode: 1
; LDSByteSize: 0 bytes/workgroup (compile time only)
; SGPRBlocks: 0
; VGPRBlocks: 0
; NumSGPRsForWavesPerEU: 6
; NumVGPRsForWavesPerEU: 1
; AccumOffset: 4
; Occupancy: 8
; WaveLimiterHint : 0
; COMPUTE_PGM_RSRC2:SCRATCH_EN: 0
; COMPUTE_PGM_RSRC2:USER_SGPR: 2
; COMPUTE_PGM_RSRC2:TRAP_HANDLER: 0
; COMPUTE_PGM_RSRC2:TGID_X_EN: 1
; COMPUTE_PGM_RSRC2:TGID_Y_EN: 0
; COMPUTE_PGM_RSRC2:TGID_Z_EN: 0
; COMPUTE_PGM_RSRC2:TIDIG_COMP_CNT: 0
; COMPUTE_PGM_RSRC3_GFX90A:ACCUM_OFFSET: 0
; COMPUTE_PGM_RSRC3_GFX90A:TG_SPLIT: 0
	.section	.text._ZN7rocprim17ROCPRIM_400000_NS6detail17trampoline_kernelINS0_14default_configENS1_38merge_sort_block_merge_config_selectorIffEEZZNS1_27merge_sort_block_merge_implIS3_N6thrust23THRUST_200600_302600_NS6detail15normal_iteratorINS8_10device_ptrIfEEEESD_jNS1_19radix_merge_compareILb0ELb0EfNS0_19identity_decomposerEEEEE10hipError_tT0_T1_T2_jT3_P12ihipStream_tbPNSt15iterator_traitsISI_E10value_typeEPNSO_ISJ_E10value_typeEPSK_NS1_7vsmem_tEENKUlT_SI_SJ_SK_E_clIPfSD_S10_SD_EESH_SX_SI_SJ_SK_EUlSX_E0_NS1_11comp_targetILNS1_3genE3ELNS1_11target_archE908ELNS1_3gpuE7ELNS1_3repE0EEENS1_38merge_mergepath_config_static_selectorELNS0_4arch9wavefront6targetE1EEEvSJ_,"axG",@progbits,_ZN7rocprim17ROCPRIM_400000_NS6detail17trampoline_kernelINS0_14default_configENS1_38merge_sort_block_merge_config_selectorIffEEZZNS1_27merge_sort_block_merge_implIS3_N6thrust23THRUST_200600_302600_NS6detail15normal_iteratorINS8_10device_ptrIfEEEESD_jNS1_19radix_merge_compareILb0ELb0EfNS0_19identity_decomposerEEEEE10hipError_tT0_T1_T2_jT3_P12ihipStream_tbPNSt15iterator_traitsISI_E10value_typeEPNSO_ISJ_E10value_typeEPSK_NS1_7vsmem_tEENKUlT_SI_SJ_SK_E_clIPfSD_S10_SD_EESH_SX_SI_SJ_SK_EUlSX_E0_NS1_11comp_targetILNS1_3genE3ELNS1_11target_archE908ELNS1_3gpuE7ELNS1_3repE0EEENS1_38merge_mergepath_config_static_selectorELNS0_4arch9wavefront6targetE1EEEvSJ_,comdat
	.protected	_ZN7rocprim17ROCPRIM_400000_NS6detail17trampoline_kernelINS0_14default_configENS1_38merge_sort_block_merge_config_selectorIffEEZZNS1_27merge_sort_block_merge_implIS3_N6thrust23THRUST_200600_302600_NS6detail15normal_iteratorINS8_10device_ptrIfEEEESD_jNS1_19radix_merge_compareILb0ELb0EfNS0_19identity_decomposerEEEEE10hipError_tT0_T1_T2_jT3_P12ihipStream_tbPNSt15iterator_traitsISI_E10value_typeEPNSO_ISJ_E10value_typeEPSK_NS1_7vsmem_tEENKUlT_SI_SJ_SK_E_clIPfSD_S10_SD_EESH_SX_SI_SJ_SK_EUlSX_E0_NS1_11comp_targetILNS1_3genE3ELNS1_11target_archE908ELNS1_3gpuE7ELNS1_3repE0EEENS1_38merge_mergepath_config_static_selectorELNS0_4arch9wavefront6targetE1EEEvSJ_ ; -- Begin function _ZN7rocprim17ROCPRIM_400000_NS6detail17trampoline_kernelINS0_14default_configENS1_38merge_sort_block_merge_config_selectorIffEEZZNS1_27merge_sort_block_merge_implIS3_N6thrust23THRUST_200600_302600_NS6detail15normal_iteratorINS8_10device_ptrIfEEEESD_jNS1_19radix_merge_compareILb0ELb0EfNS0_19identity_decomposerEEEEE10hipError_tT0_T1_T2_jT3_P12ihipStream_tbPNSt15iterator_traitsISI_E10value_typeEPNSO_ISJ_E10value_typeEPSK_NS1_7vsmem_tEENKUlT_SI_SJ_SK_E_clIPfSD_S10_SD_EESH_SX_SI_SJ_SK_EUlSX_E0_NS1_11comp_targetILNS1_3genE3ELNS1_11target_archE908ELNS1_3gpuE7ELNS1_3repE0EEENS1_38merge_mergepath_config_static_selectorELNS0_4arch9wavefront6targetE1EEEvSJ_
	.globl	_ZN7rocprim17ROCPRIM_400000_NS6detail17trampoline_kernelINS0_14default_configENS1_38merge_sort_block_merge_config_selectorIffEEZZNS1_27merge_sort_block_merge_implIS3_N6thrust23THRUST_200600_302600_NS6detail15normal_iteratorINS8_10device_ptrIfEEEESD_jNS1_19radix_merge_compareILb0ELb0EfNS0_19identity_decomposerEEEEE10hipError_tT0_T1_T2_jT3_P12ihipStream_tbPNSt15iterator_traitsISI_E10value_typeEPNSO_ISJ_E10value_typeEPSK_NS1_7vsmem_tEENKUlT_SI_SJ_SK_E_clIPfSD_S10_SD_EESH_SX_SI_SJ_SK_EUlSX_E0_NS1_11comp_targetILNS1_3genE3ELNS1_11target_archE908ELNS1_3gpuE7ELNS1_3repE0EEENS1_38merge_mergepath_config_static_selectorELNS0_4arch9wavefront6targetE1EEEvSJ_
	.p2align	8
	.type	_ZN7rocprim17ROCPRIM_400000_NS6detail17trampoline_kernelINS0_14default_configENS1_38merge_sort_block_merge_config_selectorIffEEZZNS1_27merge_sort_block_merge_implIS3_N6thrust23THRUST_200600_302600_NS6detail15normal_iteratorINS8_10device_ptrIfEEEESD_jNS1_19radix_merge_compareILb0ELb0EfNS0_19identity_decomposerEEEEE10hipError_tT0_T1_T2_jT3_P12ihipStream_tbPNSt15iterator_traitsISI_E10value_typeEPNSO_ISJ_E10value_typeEPSK_NS1_7vsmem_tEENKUlT_SI_SJ_SK_E_clIPfSD_S10_SD_EESH_SX_SI_SJ_SK_EUlSX_E0_NS1_11comp_targetILNS1_3genE3ELNS1_11target_archE908ELNS1_3gpuE7ELNS1_3repE0EEENS1_38merge_mergepath_config_static_selectorELNS0_4arch9wavefront6targetE1EEEvSJ_,@function
_ZN7rocprim17ROCPRIM_400000_NS6detail17trampoline_kernelINS0_14default_configENS1_38merge_sort_block_merge_config_selectorIffEEZZNS1_27merge_sort_block_merge_implIS3_N6thrust23THRUST_200600_302600_NS6detail15normal_iteratorINS8_10device_ptrIfEEEESD_jNS1_19radix_merge_compareILb0ELb0EfNS0_19identity_decomposerEEEEE10hipError_tT0_T1_T2_jT3_P12ihipStream_tbPNSt15iterator_traitsISI_E10value_typeEPNSO_ISJ_E10value_typeEPSK_NS1_7vsmem_tEENKUlT_SI_SJ_SK_E_clIPfSD_S10_SD_EESH_SX_SI_SJ_SK_EUlSX_E0_NS1_11comp_targetILNS1_3genE3ELNS1_11target_archE908ELNS1_3gpuE7ELNS1_3repE0EEENS1_38merge_mergepath_config_static_selectorELNS0_4arch9wavefront6targetE1EEEvSJ_: ; @_ZN7rocprim17ROCPRIM_400000_NS6detail17trampoline_kernelINS0_14default_configENS1_38merge_sort_block_merge_config_selectorIffEEZZNS1_27merge_sort_block_merge_implIS3_N6thrust23THRUST_200600_302600_NS6detail15normal_iteratorINS8_10device_ptrIfEEEESD_jNS1_19radix_merge_compareILb0ELb0EfNS0_19identity_decomposerEEEEE10hipError_tT0_T1_T2_jT3_P12ihipStream_tbPNSt15iterator_traitsISI_E10value_typeEPNSO_ISJ_E10value_typeEPSK_NS1_7vsmem_tEENKUlT_SI_SJ_SK_E_clIPfSD_S10_SD_EESH_SX_SI_SJ_SK_EUlSX_E0_NS1_11comp_targetILNS1_3genE3ELNS1_11target_archE908ELNS1_3gpuE7ELNS1_3repE0EEENS1_38merge_mergepath_config_static_selectorELNS0_4arch9wavefront6targetE1EEEvSJ_
; %bb.0:
	.section	.rodata,"a",@progbits
	.p2align	6, 0x0
	.amdhsa_kernel _ZN7rocprim17ROCPRIM_400000_NS6detail17trampoline_kernelINS0_14default_configENS1_38merge_sort_block_merge_config_selectorIffEEZZNS1_27merge_sort_block_merge_implIS3_N6thrust23THRUST_200600_302600_NS6detail15normal_iteratorINS8_10device_ptrIfEEEESD_jNS1_19radix_merge_compareILb0ELb0EfNS0_19identity_decomposerEEEEE10hipError_tT0_T1_T2_jT3_P12ihipStream_tbPNSt15iterator_traitsISI_E10value_typeEPNSO_ISJ_E10value_typeEPSK_NS1_7vsmem_tEENKUlT_SI_SJ_SK_E_clIPfSD_S10_SD_EESH_SX_SI_SJ_SK_EUlSX_E0_NS1_11comp_targetILNS1_3genE3ELNS1_11target_archE908ELNS1_3gpuE7ELNS1_3repE0EEENS1_38merge_mergepath_config_static_selectorELNS0_4arch9wavefront6targetE1EEEvSJ_
		.amdhsa_group_segment_fixed_size 0
		.amdhsa_private_segment_fixed_size 0
		.amdhsa_kernarg_size 64
		.amdhsa_user_sgpr_count 2
		.amdhsa_user_sgpr_dispatch_ptr 0
		.amdhsa_user_sgpr_queue_ptr 0
		.amdhsa_user_sgpr_kernarg_segment_ptr 1
		.amdhsa_user_sgpr_dispatch_id 0
		.amdhsa_user_sgpr_kernarg_preload_length 0
		.amdhsa_user_sgpr_kernarg_preload_offset 0
		.amdhsa_user_sgpr_private_segment_size 0
		.amdhsa_uses_dynamic_stack 0
		.amdhsa_enable_private_segment 0
		.amdhsa_system_sgpr_workgroup_id_x 1
		.amdhsa_system_sgpr_workgroup_id_y 0
		.amdhsa_system_sgpr_workgroup_id_z 0
		.amdhsa_system_sgpr_workgroup_info 0
		.amdhsa_system_vgpr_workitem_id 0
		.amdhsa_next_free_vgpr 1
		.amdhsa_next_free_sgpr 0
		.amdhsa_accum_offset 4
		.amdhsa_reserve_vcc 0
		.amdhsa_float_round_mode_32 0
		.amdhsa_float_round_mode_16_64 0
		.amdhsa_float_denorm_mode_32 3
		.amdhsa_float_denorm_mode_16_64 3
		.amdhsa_dx10_clamp 1
		.amdhsa_ieee_mode 1
		.amdhsa_fp16_overflow 0
		.amdhsa_tg_split 0
		.amdhsa_exception_fp_ieee_invalid_op 0
		.amdhsa_exception_fp_denorm_src 0
		.amdhsa_exception_fp_ieee_div_zero 0
		.amdhsa_exception_fp_ieee_overflow 0
		.amdhsa_exception_fp_ieee_underflow 0
		.amdhsa_exception_fp_ieee_inexact 0
		.amdhsa_exception_int_div_zero 0
	.end_amdhsa_kernel
	.section	.text._ZN7rocprim17ROCPRIM_400000_NS6detail17trampoline_kernelINS0_14default_configENS1_38merge_sort_block_merge_config_selectorIffEEZZNS1_27merge_sort_block_merge_implIS3_N6thrust23THRUST_200600_302600_NS6detail15normal_iteratorINS8_10device_ptrIfEEEESD_jNS1_19radix_merge_compareILb0ELb0EfNS0_19identity_decomposerEEEEE10hipError_tT0_T1_T2_jT3_P12ihipStream_tbPNSt15iterator_traitsISI_E10value_typeEPNSO_ISJ_E10value_typeEPSK_NS1_7vsmem_tEENKUlT_SI_SJ_SK_E_clIPfSD_S10_SD_EESH_SX_SI_SJ_SK_EUlSX_E0_NS1_11comp_targetILNS1_3genE3ELNS1_11target_archE908ELNS1_3gpuE7ELNS1_3repE0EEENS1_38merge_mergepath_config_static_selectorELNS0_4arch9wavefront6targetE1EEEvSJ_,"axG",@progbits,_ZN7rocprim17ROCPRIM_400000_NS6detail17trampoline_kernelINS0_14default_configENS1_38merge_sort_block_merge_config_selectorIffEEZZNS1_27merge_sort_block_merge_implIS3_N6thrust23THRUST_200600_302600_NS6detail15normal_iteratorINS8_10device_ptrIfEEEESD_jNS1_19radix_merge_compareILb0ELb0EfNS0_19identity_decomposerEEEEE10hipError_tT0_T1_T2_jT3_P12ihipStream_tbPNSt15iterator_traitsISI_E10value_typeEPNSO_ISJ_E10value_typeEPSK_NS1_7vsmem_tEENKUlT_SI_SJ_SK_E_clIPfSD_S10_SD_EESH_SX_SI_SJ_SK_EUlSX_E0_NS1_11comp_targetILNS1_3genE3ELNS1_11target_archE908ELNS1_3gpuE7ELNS1_3repE0EEENS1_38merge_mergepath_config_static_selectorELNS0_4arch9wavefront6targetE1EEEvSJ_,comdat
.Lfunc_end233:
	.size	_ZN7rocprim17ROCPRIM_400000_NS6detail17trampoline_kernelINS0_14default_configENS1_38merge_sort_block_merge_config_selectorIffEEZZNS1_27merge_sort_block_merge_implIS3_N6thrust23THRUST_200600_302600_NS6detail15normal_iteratorINS8_10device_ptrIfEEEESD_jNS1_19radix_merge_compareILb0ELb0EfNS0_19identity_decomposerEEEEE10hipError_tT0_T1_T2_jT3_P12ihipStream_tbPNSt15iterator_traitsISI_E10value_typeEPNSO_ISJ_E10value_typeEPSK_NS1_7vsmem_tEENKUlT_SI_SJ_SK_E_clIPfSD_S10_SD_EESH_SX_SI_SJ_SK_EUlSX_E0_NS1_11comp_targetILNS1_3genE3ELNS1_11target_archE908ELNS1_3gpuE7ELNS1_3repE0EEENS1_38merge_mergepath_config_static_selectorELNS0_4arch9wavefront6targetE1EEEvSJ_, .Lfunc_end233-_ZN7rocprim17ROCPRIM_400000_NS6detail17trampoline_kernelINS0_14default_configENS1_38merge_sort_block_merge_config_selectorIffEEZZNS1_27merge_sort_block_merge_implIS3_N6thrust23THRUST_200600_302600_NS6detail15normal_iteratorINS8_10device_ptrIfEEEESD_jNS1_19radix_merge_compareILb0ELb0EfNS0_19identity_decomposerEEEEE10hipError_tT0_T1_T2_jT3_P12ihipStream_tbPNSt15iterator_traitsISI_E10value_typeEPNSO_ISJ_E10value_typeEPSK_NS1_7vsmem_tEENKUlT_SI_SJ_SK_E_clIPfSD_S10_SD_EESH_SX_SI_SJ_SK_EUlSX_E0_NS1_11comp_targetILNS1_3genE3ELNS1_11target_archE908ELNS1_3gpuE7ELNS1_3repE0EEENS1_38merge_mergepath_config_static_selectorELNS0_4arch9wavefront6targetE1EEEvSJ_
                                        ; -- End function
	.set _ZN7rocprim17ROCPRIM_400000_NS6detail17trampoline_kernelINS0_14default_configENS1_38merge_sort_block_merge_config_selectorIffEEZZNS1_27merge_sort_block_merge_implIS3_N6thrust23THRUST_200600_302600_NS6detail15normal_iteratorINS8_10device_ptrIfEEEESD_jNS1_19radix_merge_compareILb0ELb0EfNS0_19identity_decomposerEEEEE10hipError_tT0_T1_T2_jT3_P12ihipStream_tbPNSt15iterator_traitsISI_E10value_typeEPNSO_ISJ_E10value_typeEPSK_NS1_7vsmem_tEENKUlT_SI_SJ_SK_E_clIPfSD_S10_SD_EESH_SX_SI_SJ_SK_EUlSX_E0_NS1_11comp_targetILNS1_3genE3ELNS1_11target_archE908ELNS1_3gpuE7ELNS1_3repE0EEENS1_38merge_mergepath_config_static_selectorELNS0_4arch9wavefront6targetE1EEEvSJ_.num_vgpr, 0
	.set _ZN7rocprim17ROCPRIM_400000_NS6detail17trampoline_kernelINS0_14default_configENS1_38merge_sort_block_merge_config_selectorIffEEZZNS1_27merge_sort_block_merge_implIS3_N6thrust23THRUST_200600_302600_NS6detail15normal_iteratorINS8_10device_ptrIfEEEESD_jNS1_19radix_merge_compareILb0ELb0EfNS0_19identity_decomposerEEEEE10hipError_tT0_T1_T2_jT3_P12ihipStream_tbPNSt15iterator_traitsISI_E10value_typeEPNSO_ISJ_E10value_typeEPSK_NS1_7vsmem_tEENKUlT_SI_SJ_SK_E_clIPfSD_S10_SD_EESH_SX_SI_SJ_SK_EUlSX_E0_NS1_11comp_targetILNS1_3genE3ELNS1_11target_archE908ELNS1_3gpuE7ELNS1_3repE0EEENS1_38merge_mergepath_config_static_selectorELNS0_4arch9wavefront6targetE1EEEvSJ_.num_agpr, 0
	.set _ZN7rocprim17ROCPRIM_400000_NS6detail17trampoline_kernelINS0_14default_configENS1_38merge_sort_block_merge_config_selectorIffEEZZNS1_27merge_sort_block_merge_implIS3_N6thrust23THRUST_200600_302600_NS6detail15normal_iteratorINS8_10device_ptrIfEEEESD_jNS1_19radix_merge_compareILb0ELb0EfNS0_19identity_decomposerEEEEE10hipError_tT0_T1_T2_jT3_P12ihipStream_tbPNSt15iterator_traitsISI_E10value_typeEPNSO_ISJ_E10value_typeEPSK_NS1_7vsmem_tEENKUlT_SI_SJ_SK_E_clIPfSD_S10_SD_EESH_SX_SI_SJ_SK_EUlSX_E0_NS1_11comp_targetILNS1_3genE3ELNS1_11target_archE908ELNS1_3gpuE7ELNS1_3repE0EEENS1_38merge_mergepath_config_static_selectorELNS0_4arch9wavefront6targetE1EEEvSJ_.numbered_sgpr, 0
	.set _ZN7rocprim17ROCPRIM_400000_NS6detail17trampoline_kernelINS0_14default_configENS1_38merge_sort_block_merge_config_selectorIffEEZZNS1_27merge_sort_block_merge_implIS3_N6thrust23THRUST_200600_302600_NS6detail15normal_iteratorINS8_10device_ptrIfEEEESD_jNS1_19radix_merge_compareILb0ELb0EfNS0_19identity_decomposerEEEEE10hipError_tT0_T1_T2_jT3_P12ihipStream_tbPNSt15iterator_traitsISI_E10value_typeEPNSO_ISJ_E10value_typeEPSK_NS1_7vsmem_tEENKUlT_SI_SJ_SK_E_clIPfSD_S10_SD_EESH_SX_SI_SJ_SK_EUlSX_E0_NS1_11comp_targetILNS1_3genE3ELNS1_11target_archE908ELNS1_3gpuE7ELNS1_3repE0EEENS1_38merge_mergepath_config_static_selectorELNS0_4arch9wavefront6targetE1EEEvSJ_.num_named_barrier, 0
	.set _ZN7rocprim17ROCPRIM_400000_NS6detail17trampoline_kernelINS0_14default_configENS1_38merge_sort_block_merge_config_selectorIffEEZZNS1_27merge_sort_block_merge_implIS3_N6thrust23THRUST_200600_302600_NS6detail15normal_iteratorINS8_10device_ptrIfEEEESD_jNS1_19radix_merge_compareILb0ELb0EfNS0_19identity_decomposerEEEEE10hipError_tT0_T1_T2_jT3_P12ihipStream_tbPNSt15iterator_traitsISI_E10value_typeEPNSO_ISJ_E10value_typeEPSK_NS1_7vsmem_tEENKUlT_SI_SJ_SK_E_clIPfSD_S10_SD_EESH_SX_SI_SJ_SK_EUlSX_E0_NS1_11comp_targetILNS1_3genE3ELNS1_11target_archE908ELNS1_3gpuE7ELNS1_3repE0EEENS1_38merge_mergepath_config_static_selectorELNS0_4arch9wavefront6targetE1EEEvSJ_.private_seg_size, 0
	.set _ZN7rocprim17ROCPRIM_400000_NS6detail17trampoline_kernelINS0_14default_configENS1_38merge_sort_block_merge_config_selectorIffEEZZNS1_27merge_sort_block_merge_implIS3_N6thrust23THRUST_200600_302600_NS6detail15normal_iteratorINS8_10device_ptrIfEEEESD_jNS1_19radix_merge_compareILb0ELb0EfNS0_19identity_decomposerEEEEE10hipError_tT0_T1_T2_jT3_P12ihipStream_tbPNSt15iterator_traitsISI_E10value_typeEPNSO_ISJ_E10value_typeEPSK_NS1_7vsmem_tEENKUlT_SI_SJ_SK_E_clIPfSD_S10_SD_EESH_SX_SI_SJ_SK_EUlSX_E0_NS1_11comp_targetILNS1_3genE3ELNS1_11target_archE908ELNS1_3gpuE7ELNS1_3repE0EEENS1_38merge_mergepath_config_static_selectorELNS0_4arch9wavefront6targetE1EEEvSJ_.uses_vcc, 0
	.set _ZN7rocprim17ROCPRIM_400000_NS6detail17trampoline_kernelINS0_14default_configENS1_38merge_sort_block_merge_config_selectorIffEEZZNS1_27merge_sort_block_merge_implIS3_N6thrust23THRUST_200600_302600_NS6detail15normal_iteratorINS8_10device_ptrIfEEEESD_jNS1_19radix_merge_compareILb0ELb0EfNS0_19identity_decomposerEEEEE10hipError_tT0_T1_T2_jT3_P12ihipStream_tbPNSt15iterator_traitsISI_E10value_typeEPNSO_ISJ_E10value_typeEPSK_NS1_7vsmem_tEENKUlT_SI_SJ_SK_E_clIPfSD_S10_SD_EESH_SX_SI_SJ_SK_EUlSX_E0_NS1_11comp_targetILNS1_3genE3ELNS1_11target_archE908ELNS1_3gpuE7ELNS1_3repE0EEENS1_38merge_mergepath_config_static_selectorELNS0_4arch9wavefront6targetE1EEEvSJ_.uses_flat_scratch, 0
	.set _ZN7rocprim17ROCPRIM_400000_NS6detail17trampoline_kernelINS0_14default_configENS1_38merge_sort_block_merge_config_selectorIffEEZZNS1_27merge_sort_block_merge_implIS3_N6thrust23THRUST_200600_302600_NS6detail15normal_iteratorINS8_10device_ptrIfEEEESD_jNS1_19radix_merge_compareILb0ELb0EfNS0_19identity_decomposerEEEEE10hipError_tT0_T1_T2_jT3_P12ihipStream_tbPNSt15iterator_traitsISI_E10value_typeEPNSO_ISJ_E10value_typeEPSK_NS1_7vsmem_tEENKUlT_SI_SJ_SK_E_clIPfSD_S10_SD_EESH_SX_SI_SJ_SK_EUlSX_E0_NS1_11comp_targetILNS1_3genE3ELNS1_11target_archE908ELNS1_3gpuE7ELNS1_3repE0EEENS1_38merge_mergepath_config_static_selectorELNS0_4arch9wavefront6targetE1EEEvSJ_.has_dyn_sized_stack, 0
	.set _ZN7rocprim17ROCPRIM_400000_NS6detail17trampoline_kernelINS0_14default_configENS1_38merge_sort_block_merge_config_selectorIffEEZZNS1_27merge_sort_block_merge_implIS3_N6thrust23THRUST_200600_302600_NS6detail15normal_iteratorINS8_10device_ptrIfEEEESD_jNS1_19radix_merge_compareILb0ELb0EfNS0_19identity_decomposerEEEEE10hipError_tT0_T1_T2_jT3_P12ihipStream_tbPNSt15iterator_traitsISI_E10value_typeEPNSO_ISJ_E10value_typeEPSK_NS1_7vsmem_tEENKUlT_SI_SJ_SK_E_clIPfSD_S10_SD_EESH_SX_SI_SJ_SK_EUlSX_E0_NS1_11comp_targetILNS1_3genE3ELNS1_11target_archE908ELNS1_3gpuE7ELNS1_3repE0EEENS1_38merge_mergepath_config_static_selectorELNS0_4arch9wavefront6targetE1EEEvSJ_.has_recursion, 0
	.set _ZN7rocprim17ROCPRIM_400000_NS6detail17trampoline_kernelINS0_14default_configENS1_38merge_sort_block_merge_config_selectorIffEEZZNS1_27merge_sort_block_merge_implIS3_N6thrust23THRUST_200600_302600_NS6detail15normal_iteratorINS8_10device_ptrIfEEEESD_jNS1_19radix_merge_compareILb0ELb0EfNS0_19identity_decomposerEEEEE10hipError_tT0_T1_T2_jT3_P12ihipStream_tbPNSt15iterator_traitsISI_E10value_typeEPNSO_ISJ_E10value_typeEPSK_NS1_7vsmem_tEENKUlT_SI_SJ_SK_E_clIPfSD_S10_SD_EESH_SX_SI_SJ_SK_EUlSX_E0_NS1_11comp_targetILNS1_3genE3ELNS1_11target_archE908ELNS1_3gpuE7ELNS1_3repE0EEENS1_38merge_mergepath_config_static_selectorELNS0_4arch9wavefront6targetE1EEEvSJ_.has_indirect_call, 0
	.section	.AMDGPU.csdata,"",@progbits
; Kernel info:
; codeLenInByte = 0
; TotalNumSgprs: 6
; NumVgprs: 0
; NumAgprs: 0
; TotalNumVgprs: 0
; ScratchSize: 0
; MemoryBound: 0
; FloatMode: 240
; IeeeMode: 1
; LDSByteSize: 0 bytes/workgroup (compile time only)
; SGPRBlocks: 0
; VGPRBlocks: 0
; NumSGPRsForWavesPerEU: 6
; NumVGPRsForWavesPerEU: 1
; AccumOffset: 4
; Occupancy: 8
; WaveLimiterHint : 0
; COMPUTE_PGM_RSRC2:SCRATCH_EN: 0
; COMPUTE_PGM_RSRC2:USER_SGPR: 2
; COMPUTE_PGM_RSRC2:TRAP_HANDLER: 0
; COMPUTE_PGM_RSRC2:TGID_X_EN: 1
; COMPUTE_PGM_RSRC2:TGID_Y_EN: 0
; COMPUTE_PGM_RSRC2:TGID_Z_EN: 0
; COMPUTE_PGM_RSRC2:TIDIG_COMP_CNT: 0
; COMPUTE_PGM_RSRC3_GFX90A:ACCUM_OFFSET: 0
; COMPUTE_PGM_RSRC3_GFX90A:TG_SPLIT: 0
	.section	.text._ZN7rocprim17ROCPRIM_400000_NS6detail17trampoline_kernelINS0_14default_configENS1_38merge_sort_block_merge_config_selectorIffEEZZNS1_27merge_sort_block_merge_implIS3_N6thrust23THRUST_200600_302600_NS6detail15normal_iteratorINS8_10device_ptrIfEEEESD_jNS1_19radix_merge_compareILb0ELb0EfNS0_19identity_decomposerEEEEE10hipError_tT0_T1_T2_jT3_P12ihipStream_tbPNSt15iterator_traitsISI_E10value_typeEPNSO_ISJ_E10value_typeEPSK_NS1_7vsmem_tEENKUlT_SI_SJ_SK_E_clIPfSD_S10_SD_EESH_SX_SI_SJ_SK_EUlSX_E0_NS1_11comp_targetILNS1_3genE2ELNS1_11target_archE906ELNS1_3gpuE6ELNS1_3repE0EEENS1_38merge_mergepath_config_static_selectorELNS0_4arch9wavefront6targetE1EEEvSJ_,"axG",@progbits,_ZN7rocprim17ROCPRIM_400000_NS6detail17trampoline_kernelINS0_14default_configENS1_38merge_sort_block_merge_config_selectorIffEEZZNS1_27merge_sort_block_merge_implIS3_N6thrust23THRUST_200600_302600_NS6detail15normal_iteratorINS8_10device_ptrIfEEEESD_jNS1_19radix_merge_compareILb0ELb0EfNS0_19identity_decomposerEEEEE10hipError_tT0_T1_T2_jT3_P12ihipStream_tbPNSt15iterator_traitsISI_E10value_typeEPNSO_ISJ_E10value_typeEPSK_NS1_7vsmem_tEENKUlT_SI_SJ_SK_E_clIPfSD_S10_SD_EESH_SX_SI_SJ_SK_EUlSX_E0_NS1_11comp_targetILNS1_3genE2ELNS1_11target_archE906ELNS1_3gpuE6ELNS1_3repE0EEENS1_38merge_mergepath_config_static_selectorELNS0_4arch9wavefront6targetE1EEEvSJ_,comdat
	.protected	_ZN7rocprim17ROCPRIM_400000_NS6detail17trampoline_kernelINS0_14default_configENS1_38merge_sort_block_merge_config_selectorIffEEZZNS1_27merge_sort_block_merge_implIS3_N6thrust23THRUST_200600_302600_NS6detail15normal_iteratorINS8_10device_ptrIfEEEESD_jNS1_19radix_merge_compareILb0ELb0EfNS0_19identity_decomposerEEEEE10hipError_tT0_T1_T2_jT3_P12ihipStream_tbPNSt15iterator_traitsISI_E10value_typeEPNSO_ISJ_E10value_typeEPSK_NS1_7vsmem_tEENKUlT_SI_SJ_SK_E_clIPfSD_S10_SD_EESH_SX_SI_SJ_SK_EUlSX_E0_NS1_11comp_targetILNS1_3genE2ELNS1_11target_archE906ELNS1_3gpuE6ELNS1_3repE0EEENS1_38merge_mergepath_config_static_selectorELNS0_4arch9wavefront6targetE1EEEvSJ_ ; -- Begin function _ZN7rocprim17ROCPRIM_400000_NS6detail17trampoline_kernelINS0_14default_configENS1_38merge_sort_block_merge_config_selectorIffEEZZNS1_27merge_sort_block_merge_implIS3_N6thrust23THRUST_200600_302600_NS6detail15normal_iteratorINS8_10device_ptrIfEEEESD_jNS1_19radix_merge_compareILb0ELb0EfNS0_19identity_decomposerEEEEE10hipError_tT0_T1_T2_jT3_P12ihipStream_tbPNSt15iterator_traitsISI_E10value_typeEPNSO_ISJ_E10value_typeEPSK_NS1_7vsmem_tEENKUlT_SI_SJ_SK_E_clIPfSD_S10_SD_EESH_SX_SI_SJ_SK_EUlSX_E0_NS1_11comp_targetILNS1_3genE2ELNS1_11target_archE906ELNS1_3gpuE6ELNS1_3repE0EEENS1_38merge_mergepath_config_static_selectorELNS0_4arch9wavefront6targetE1EEEvSJ_
	.globl	_ZN7rocprim17ROCPRIM_400000_NS6detail17trampoline_kernelINS0_14default_configENS1_38merge_sort_block_merge_config_selectorIffEEZZNS1_27merge_sort_block_merge_implIS3_N6thrust23THRUST_200600_302600_NS6detail15normal_iteratorINS8_10device_ptrIfEEEESD_jNS1_19radix_merge_compareILb0ELb0EfNS0_19identity_decomposerEEEEE10hipError_tT0_T1_T2_jT3_P12ihipStream_tbPNSt15iterator_traitsISI_E10value_typeEPNSO_ISJ_E10value_typeEPSK_NS1_7vsmem_tEENKUlT_SI_SJ_SK_E_clIPfSD_S10_SD_EESH_SX_SI_SJ_SK_EUlSX_E0_NS1_11comp_targetILNS1_3genE2ELNS1_11target_archE906ELNS1_3gpuE6ELNS1_3repE0EEENS1_38merge_mergepath_config_static_selectorELNS0_4arch9wavefront6targetE1EEEvSJ_
	.p2align	8
	.type	_ZN7rocprim17ROCPRIM_400000_NS6detail17trampoline_kernelINS0_14default_configENS1_38merge_sort_block_merge_config_selectorIffEEZZNS1_27merge_sort_block_merge_implIS3_N6thrust23THRUST_200600_302600_NS6detail15normal_iteratorINS8_10device_ptrIfEEEESD_jNS1_19radix_merge_compareILb0ELb0EfNS0_19identity_decomposerEEEEE10hipError_tT0_T1_T2_jT3_P12ihipStream_tbPNSt15iterator_traitsISI_E10value_typeEPNSO_ISJ_E10value_typeEPSK_NS1_7vsmem_tEENKUlT_SI_SJ_SK_E_clIPfSD_S10_SD_EESH_SX_SI_SJ_SK_EUlSX_E0_NS1_11comp_targetILNS1_3genE2ELNS1_11target_archE906ELNS1_3gpuE6ELNS1_3repE0EEENS1_38merge_mergepath_config_static_selectorELNS0_4arch9wavefront6targetE1EEEvSJ_,@function
_ZN7rocprim17ROCPRIM_400000_NS6detail17trampoline_kernelINS0_14default_configENS1_38merge_sort_block_merge_config_selectorIffEEZZNS1_27merge_sort_block_merge_implIS3_N6thrust23THRUST_200600_302600_NS6detail15normal_iteratorINS8_10device_ptrIfEEEESD_jNS1_19radix_merge_compareILb0ELb0EfNS0_19identity_decomposerEEEEE10hipError_tT0_T1_T2_jT3_P12ihipStream_tbPNSt15iterator_traitsISI_E10value_typeEPNSO_ISJ_E10value_typeEPSK_NS1_7vsmem_tEENKUlT_SI_SJ_SK_E_clIPfSD_S10_SD_EESH_SX_SI_SJ_SK_EUlSX_E0_NS1_11comp_targetILNS1_3genE2ELNS1_11target_archE906ELNS1_3gpuE6ELNS1_3repE0EEENS1_38merge_mergepath_config_static_selectorELNS0_4arch9wavefront6targetE1EEEvSJ_: ; @_ZN7rocprim17ROCPRIM_400000_NS6detail17trampoline_kernelINS0_14default_configENS1_38merge_sort_block_merge_config_selectorIffEEZZNS1_27merge_sort_block_merge_implIS3_N6thrust23THRUST_200600_302600_NS6detail15normal_iteratorINS8_10device_ptrIfEEEESD_jNS1_19radix_merge_compareILb0ELb0EfNS0_19identity_decomposerEEEEE10hipError_tT0_T1_T2_jT3_P12ihipStream_tbPNSt15iterator_traitsISI_E10value_typeEPNSO_ISJ_E10value_typeEPSK_NS1_7vsmem_tEENKUlT_SI_SJ_SK_E_clIPfSD_S10_SD_EESH_SX_SI_SJ_SK_EUlSX_E0_NS1_11comp_targetILNS1_3genE2ELNS1_11target_archE906ELNS1_3gpuE6ELNS1_3repE0EEENS1_38merge_mergepath_config_static_selectorELNS0_4arch9wavefront6targetE1EEEvSJ_
; %bb.0:
	.section	.rodata,"a",@progbits
	.p2align	6, 0x0
	.amdhsa_kernel _ZN7rocprim17ROCPRIM_400000_NS6detail17trampoline_kernelINS0_14default_configENS1_38merge_sort_block_merge_config_selectorIffEEZZNS1_27merge_sort_block_merge_implIS3_N6thrust23THRUST_200600_302600_NS6detail15normal_iteratorINS8_10device_ptrIfEEEESD_jNS1_19radix_merge_compareILb0ELb0EfNS0_19identity_decomposerEEEEE10hipError_tT0_T1_T2_jT3_P12ihipStream_tbPNSt15iterator_traitsISI_E10value_typeEPNSO_ISJ_E10value_typeEPSK_NS1_7vsmem_tEENKUlT_SI_SJ_SK_E_clIPfSD_S10_SD_EESH_SX_SI_SJ_SK_EUlSX_E0_NS1_11comp_targetILNS1_3genE2ELNS1_11target_archE906ELNS1_3gpuE6ELNS1_3repE0EEENS1_38merge_mergepath_config_static_selectorELNS0_4arch9wavefront6targetE1EEEvSJ_
		.amdhsa_group_segment_fixed_size 0
		.amdhsa_private_segment_fixed_size 0
		.amdhsa_kernarg_size 64
		.amdhsa_user_sgpr_count 2
		.amdhsa_user_sgpr_dispatch_ptr 0
		.amdhsa_user_sgpr_queue_ptr 0
		.amdhsa_user_sgpr_kernarg_segment_ptr 1
		.amdhsa_user_sgpr_dispatch_id 0
		.amdhsa_user_sgpr_kernarg_preload_length 0
		.amdhsa_user_sgpr_kernarg_preload_offset 0
		.amdhsa_user_sgpr_private_segment_size 0
		.amdhsa_uses_dynamic_stack 0
		.amdhsa_enable_private_segment 0
		.amdhsa_system_sgpr_workgroup_id_x 1
		.amdhsa_system_sgpr_workgroup_id_y 0
		.amdhsa_system_sgpr_workgroup_id_z 0
		.amdhsa_system_sgpr_workgroup_info 0
		.amdhsa_system_vgpr_workitem_id 0
		.amdhsa_next_free_vgpr 1
		.amdhsa_next_free_sgpr 0
		.amdhsa_accum_offset 4
		.amdhsa_reserve_vcc 0
		.amdhsa_float_round_mode_32 0
		.amdhsa_float_round_mode_16_64 0
		.amdhsa_float_denorm_mode_32 3
		.amdhsa_float_denorm_mode_16_64 3
		.amdhsa_dx10_clamp 1
		.amdhsa_ieee_mode 1
		.amdhsa_fp16_overflow 0
		.amdhsa_tg_split 0
		.amdhsa_exception_fp_ieee_invalid_op 0
		.amdhsa_exception_fp_denorm_src 0
		.amdhsa_exception_fp_ieee_div_zero 0
		.amdhsa_exception_fp_ieee_overflow 0
		.amdhsa_exception_fp_ieee_underflow 0
		.amdhsa_exception_fp_ieee_inexact 0
		.amdhsa_exception_int_div_zero 0
	.end_amdhsa_kernel
	.section	.text._ZN7rocprim17ROCPRIM_400000_NS6detail17trampoline_kernelINS0_14default_configENS1_38merge_sort_block_merge_config_selectorIffEEZZNS1_27merge_sort_block_merge_implIS3_N6thrust23THRUST_200600_302600_NS6detail15normal_iteratorINS8_10device_ptrIfEEEESD_jNS1_19radix_merge_compareILb0ELb0EfNS0_19identity_decomposerEEEEE10hipError_tT0_T1_T2_jT3_P12ihipStream_tbPNSt15iterator_traitsISI_E10value_typeEPNSO_ISJ_E10value_typeEPSK_NS1_7vsmem_tEENKUlT_SI_SJ_SK_E_clIPfSD_S10_SD_EESH_SX_SI_SJ_SK_EUlSX_E0_NS1_11comp_targetILNS1_3genE2ELNS1_11target_archE906ELNS1_3gpuE6ELNS1_3repE0EEENS1_38merge_mergepath_config_static_selectorELNS0_4arch9wavefront6targetE1EEEvSJ_,"axG",@progbits,_ZN7rocprim17ROCPRIM_400000_NS6detail17trampoline_kernelINS0_14default_configENS1_38merge_sort_block_merge_config_selectorIffEEZZNS1_27merge_sort_block_merge_implIS3_N6thrust23THRUST_200600_302600_NS6detail15normal_iteratorINS8_10device_ptrIfEEEESD_jNS1_19radix_merge_compareILb0ELb0EfNS0_19identity_decomposerEEEEE10hipError_tT0_T1_T2_jT3_P12ihipStream_tbPNSt15iterator_traitsISI_E10value_typeEPNSO_ISJ_E10value_typeEPSK_NS1_7vsmem_tEENKUlT_SI_SJ_SK_E_clIPfSD_S10_SD_EESH_SX_SI_SJ_SK_EUlSX_E0_NS1_11comp_targetILNS1_3genE2ELNS1_11target_archE906ELNS1_3gpuE6ELNS1_3repE0EEENS1_38merge_mergepath_config_static_selectorELNS0_4arch9wavefront6targetE1EEEvSJ_,comdat
.Lfunc_end234:
	.size	_ZN7rocprim17ROCPRIM_400000_NS6detail17trampoline_kernelINS0_14default_configENS1_38merge_sort_block_merge_config_selectorIffEEZZNS1_27merge_sort_block_merge_implIS3_N6thrust23THRUST_200600_302600_NS6detail15normal_iteratorINS8_10device_ptrIfEEEESD_jNS1_19radix_merge_compareILb0ELb0EfNS0_19identity_decomposerEEEEE10hipError_tT0_T1_T2_jT3_P12ihipStream_tbPNSt15iterator_traitsISI_E10value_typeEPNSO_ISJ_E10value_typeEPSK_NS1_7vsmem_tEENKUlT_SI_SJ_SK_E_clIPfSD_S10_SD_EESH_SX_SI_SJ_SK_EUlSX_E0_NS1_11comp_targetILNS1_3genE2ELNS1_11target_archE906ELNS1_3gpuE6ELNS1_3repE0EEENS1_38merge_mergepath_config_static_selectorELNS0_4arch9wavefront6targetE1EEEvSJ_, .Lfunc_end234-_ZN7rocprim17ROCPRIM_400000_NS6detail17trampoline_kernelINS0_14default_configENS1_38merge_sort_block_merge_config_selectorIffEEZZNS1_27merge_sort_block_merge_implIS3_N6thrust23THRUST_200600_302600_NS6detail15normal_iteratorINS8_10device_ptrIfEEEESD_jNS1_19radix_merge_compareILb0ELb0EfNS0_19identity_decomposerEEEEE10hipError_tT0_T1_T2_jT3_P12ihipStream_tbPNSt15iterator_traitsISI_E10value_typeEPNSO_ISJ_E10value_typeEPSK_NS1_7vsmem_tEENKUlT_SI_SJ_SK_E_clIPfSD_S10_SD_EESH_SX_SI_SJ_SK_EUlSX_E0_NS1_11comp_targetILNS1_3genE2ELNS1_11target_archE906ELNS1_3gpuE6ELNS1_3repE0EEENS1_38merge_mergepath_config_static_selectorELNS0_4arch9wavefront6targetE1EEEvSJ_
                                        ; -- End function
	.set _ZN7rocprim17ROCPRIM_400000_NS6detail17trampoline_kernelINS0_14default_configENS1_38merge_sort_block_merge_config_selectorIffEEZZNS1_27merge_sort_block_merge_implIS3_N6thrust23THRUST_200600_302600_NS6detail15normal_iteratorINS8_10device_ptrIfEEEESD_jNS1_19radix_merge_compareILb0ELb0EfNS0_19identity_decomposerEEEEE10hipError_tT0_T1_T2_jT3_P12ihipStream_tbPNSt15iterator_traitsISI_E10value_typeEPNSO_ISJ_E10value_typeEPSK_NS1_7vsmem_tEENKUlT_SI_SJ_SK_E_clIPfSD_S10_SD_EESH_SX_SI_SJ_SK_EUlSX_E0_NS1_11comp_targetILNS1_3genE2ELNS1_11target_archE906ELNS1_3gpuE6ELNS1_3repE0EEENS1_38merge_mergepath_config_static_selectorELNS0_4arch9wavefront6targetE1EEEvSJ_.num_vgpr, 0
	.set _ZN7rocprim17ROCPRIM_400000_NS6detail17trampoline_kernelINS0_14default_configENS1_38merge_sort_block_merge_config_selectorIffEEZZNS1_27merge_sort_block_merge_implIS3_N6thrust23THRUST_200600_302600_NS6detail15normal_iteratorINS8_10device_ptrIfEEEESD_jNS1_19radix_merge_compareILb0ELb0EfNS0_19identity_decomposerEEEEE10hipError_tT0_T1_T2_jT3_P12ihipStream_tbPNSt15iterator_traitsISI_E10value_typeEPNSO_ISJ_E10value_typeEPSK_NS1_7vsmem_tEENKUlT_SI_SJ_SK_E_clIPfSD_S10_SD_EESH_SX_SI_SJ_SK_EUlSX_E0_NS1_11comp_targetILNS1_3genE2ELNS1_11target_archE906ELNS1_3gpuE6ELNS1_3repE0EEENS1_38merge_mergepath_config_static_selectorELNS0_4arch9wavefront6targetE1EEEvSJ_.num_agpr, 0
	.set _ZN7rocprim17ROCPRIM_400000_NS6detail17trampoline_kernelINS0_14default_configENS1_38merge_sort_block_merge_config_selectorIffEEZZNS1_27merge_sort_block_merge_implIS3_N6thrust23THRUST_200600_302600_NS6detail15normal_iteratorINS8_10device_ptrIfEEEESD_jNS1_19radix_merge_compareILb0ELb0EfNS0_19identity_decomposerEEEEE10hipError_tT0_T1_T2_jT3_P12ihipStream_tbPNSt15iterator_traitsISI_E10value_typeEPNSO_ISJ_E10value_typeEPSK_NS1_7vsmem_tEENKUlT_SI_SJ_SK_E_clIPfSD_S10_SD_EESH_SX_SI_SJ_SK_EUlSX_E0_NS1_11comp_targetILNS1_3genE2ELNS1_11target_archE906ELNS1_3gpuE6ELNS1_3repE0EEENS1_38merge_mergepath_config_static_selectorELNS0_4arch9wavefront6targetE1EEEvSJ_.numbered_sgpr, 0
	.set _ZN7rocprim17ROCPRIM_400000_NS6detail17trampoline_kernelINS0_14default_configENS1_38merge_sort_block_merge_config_selectorIffEEZZNS1_27merge_sort_block_merge_implIS3_N6thrust23THRUST_200600_302600_NS6detail15normal_iteratorINS8_10device_ptrIfEEEESD_jNS1_19radix_merge_compareILb0ELb0EfNS0_19identity_decomposerEEEEE10hipError_tT0_T1_T2_jT3_P12ihipStream_tbPNSt15iterator_traitsISI_E10value_typeEPNSO_ISJ_E10value_typeEPSK_NS1_7vsmem_tEENKUlT_SI_SJ_SK_E_clIPfSD_S10_SD_EESH_SX_SI_SJ_SK_EUlSX_E0_NS1_11comp_targetILNS1_3genE2ELNS1_11target_archE906ELNS1_3gpuE6ELNS1_3repE0EEENS1_38merge_mergepath_config_static_selectorELNS0_4arch9wavefront6targetE1EEEvSJ_.num_named_barrier, 0
	.set _ZN7rocprim17ROCPRIM_400000_NS6detail17trampoline_kernelINS0_14default_configENS1_38merge_sort_block_merge_config_selectorIffEEZZNS1_27merge_sort_block_merge_implIS3_N6thrust23THRUST_200600_302600_NS6detail15normal_iteratorINS8_10device_ptrIfEEEESD_jNS1_19radix_merge_compareILb0ELb0EfNS0_19identity_decomposerEEEEE10hipError_tT0_T1_T2_jT3_P12ihipStream_tbPNSt15iterator_traitsISI_E10value_typeEPNSO_ISJ_E10value_typeEPSK_NS1_7vsmem_tEENKUlT_SI_SJ_SK_E_clIPfSD_S10_SD_EESH_SX_SI_SJ_SK_EUlSX_E0_NS1_11comp_targetILNS1_3genE2ELNS1_11target_archE906ELNS1_3gpuE6ELNS1_3repE0EEENS1_38merge_mergepath_config_static_selectorELNS0_4arch9wavefront6targetE1EEEvSJ_.private_seg_size, 0
	.set _ZN7rocprim17ROCPRIM_400000_NS6detail17trampoline_kernelINS0_14default_configENS1_38merge_sort_block_merge_config_selectorIffEEZZNS1_27merge_sort_block_merge_implIS3_N6thrust23THRUST_200600_302600_NS6detail15normal_iteratorINS8_10device_ptrIfEEEESD_jNS1_19radix_merge_compareILb0ELb0EfNS0_19identity_decomposerEEEEE10hipError_tT0_T1_T2_jT3_P12ihipStream_tbPNSt15iterator_traitsISI_E10value_typeEPNSO_ISJ_E10value_typeEPSK_NS1_7vsmem_tEENKUlT_SI_SJ_SK_E_clIPfSD_S10_SD_EESH_SX_SI_SJ_SK_EUlSX_E0_NS1_11comp_targetILNS1_3genE2ELNS1_11target_archE906ELNS1_3gpuE6ELNS1_3repE0EEENS1_38merge_mergepath_config_static_selectorELNS0_4arch9wavefront6targetE1EEEvSJ_.uses_vcc, 0
	.set _ZN7rocprim17ROCPRIM_400000_NS6detail17trampoline_kernelINS0_14default_configENS1_38merge_sort_block_merge_config_selectorIffEEZZNS1_27merge_sort_block_merge_implIS3_N6thrust23THRUST_200600_302600_NS6detail15normal_iteratorINS8_10device_ptrIfEEEESD_jNS1_19radix_merge_compareILb0ELb0EfNS0_19identity_decomposerEEEEE10hipError_tT0_T1_T2_jT3_P12ihipStream_tbPNSt15iterator_traitsISI_E10value_typeEPNSO_ISJ_E10value_typeEPSK_NS1_7vsmem_tEENKUlT_SI_SJ_SK_E_clIPfSD_S10_SD_EESH_SX_SI_SJ_SK_EUlSX_E0_NS1_11comp_targetILNS1_3genE2ELNS1_11target_archE906ELNS1_3gpuE6ELNS1_3repE0EEENS1_38merge_mergepath_config_static_selectorELNS0_4arch9wavefront6targetE1EEEvSJ_.uses_flat_scratch, 0
	.set _ZN7rocprim17ROCPRIM_400000_NS6detail17trampoline_kernelINS0_14default_configENS1_38merge_sort_block_merge_config_selectorIffEEZZNS1_27merge_sort_block_merge_implIS3_N6thrust23THRUST_200600_302600_NS6detail15normal_iteratorINS8_10device_ptrIfEEEESD_jNS1_19radix_merge_compareILb0ELb0EfNS0_19identity_decomposerEEEEE10hipError_tT0_T1_T2_jT3_P12ihipStream_tbPNSt15iterator_traitsISI_E10value_typeEPNSO_ISJ_E10value_typeEPSK_NS1_7vsmem_tEENKUlT_SI_SJ_SK_E_clIPfSD_S10_SD_EESH_SX_SI_SJ_SK_EUlSX_E0_NS1_11comp_targetILNS1_3genE2ELNS1_11target_archE906ELNS1_3gpuE6ELNS1_3repE0EEENS1_38merge_mergepath_config_static_selectorELNS0_4arch9wavefront6targetE1EEEvSJ_.has_dyn_sized_stack, 0
	.set _ZN7rocprim17ROCPRIM_400000_NS6detail17trampoline_kernelINS0_14default_configENS1_38merge_sort_block_merge_config_selectorIffEEZZNS1_27merge_sort_block_merge_implIS3_N6thrust23THRUST_200600_302600_NS6detail15normal_iteratorINS8_10device_ptrIfEEEESD_jNS1_19radix_merge_compareILb0ELb0EfNS0_19identity_decomposerEEEEE10hipError_tT0_T1_T2_jT3_P12ihipStream_tbPNSt15iterator_traitsISI_E10value_typeEPNSO_ISJ_E10value_typeEPSK_NS1_7vsmem_tEENKUlT_SI_SJ_SK_E_clIPfSD_S10_SD_EESH_SX_SI_SJ_SK_EUlSX_E0_NS1_11comp_targetILNS1_3genE2ELNS1_11target_archE906ELNS1_3gpuE6ELNS1_3repE0EEENS1_38merge_mergepath_config_static_selectorELNS0_4arch9wavefront6targetE1EEEvSJ_.has_recursion, 0
	.set _ZN7rocprim17ROCPRIM_400000_NS6detail17trampoline_kernelINS0_14default_configENS1_38merge_sort_block_merge_config_selectorIffEEZZNS1_27merge_sort_block_merge_implIS3_N6thrust23THRUST_200600_302600_NS6detail15normal_iteratorINS8_10device_ptrIfEEEESD_jNS1_19radix_merge_compareILb0ELb0EfNS0_19identity_decomposerEEEEE10hipError_tT0_T1_T2_jT3_P12ihipStream_tbPNSt15iterator_traitsISI_E10value_typeEPNSO_ISJ_E10value_typeEPSK_NS1_7vsmem_tEENKUlT_SI_SJ_SK_E_clIPfSD_S10_SD_EESH_SX_SI_SJ_SK_EUlSX_E0_NS1_11comp_targetILNS1_3genE2ELNS1_11target_archE906ELNS1_3gpuE6ELNS1_3repE0EEENS1_38merge_mergepath_config_static_selectorELNS0_4arch9wavefront6targetE1EEEvSJ_.has_indirect_call, 0
	.section	.AMDGPU.csdata,"",@progbits
; Kernel info:
; codeLenInByte = 0
; TotalNumSgprs: 6
; NumVgprs: 0
; NumAgprs: 0
; TotalNumVgprs: 0
; ScratchSize: 0
; MemoryBound: 0
; FloatMode: 240
; IeeeMode: 1
; LDSByteSize: 0 bytes/workgroup (compile time only)
; SGPRBlocks: 0
; VGPRBlocks: 0
; NumSGPRsForWavesPerEU: 6
; NumVGPRsForWavesPerEU: 1
; AccumOffset: 4
; Occupancy: 8
; WaveLimiterHint : 0
; COMPUTE_PGM_RSRC2:SCRATCH_EN: 0
; COMPUTE_PGM_RSRC2:USER_SGPR: 2
; COMPUTE_PGM_RSRC2:TRAP_HANDLER: 0
; COMPUTE_PGM_RSRC2:TGID_X_EN: 1
; COMPUTE_PGM_RSRC2:TGID_Y_EN: 0
; COMPUTE_PGM_RSRC2:TGID_Z_EN: 0
; COMPUTE_PGM_RSRC2:TIDIG_COMP_CNT: 0
; COMPUTE_PGM_RSRC3_GFX90A:ACCUM_OFFSET: 0
; COMPUTE_PGM_RSRC3_GFX90A:TG_SPLIT: 0
	.section	.text._ZN7rocprim17ROCPRIM_400000_NS6detail17trampoline_kernelINS0_14default_configENS1_38merge_sort_block_merge_config_selectorIffEEZZNS1_27merge_sort_block_merge_implIS3_N6thrust23THRUST_200600_302600_NS6detail15normal_iteratorINS8_10device_ptrIfEEEESD_jNS1_19radix_merge_compareILb0ELb0EfNS0_19identity_decomposerEEEEE10hipError_tT0_T1_T2_jT3_P12ihipStream_tbPNSt15iterator_traitsISI_E10value_typeEPNSO_ISJ_E10value_typeEPSK_NS1_7vsmem_tEENKUlT_SI_SJ_SK_E_clIPfSD_S10_SD_EESH_SX_SI_SJ_SK_EUlSX_E0_NS1_11comp_targetILNS1_3genE9ELNS1_11target_archE1100ELNS1_3gpuE3ELNS1_3repE0EEENS1_38merge_mergepath_config_static_selectorELNS0_4arch9wavefront6targetE1EEEvSJ_,"axG",@progbits,_ZN7rocprim17ROCPRIM_400000_NS6detail17trampoline_kernelINS0_14default_configENS1_38merge_sort_block_merge_config_selectorIffEEZZNS1_27merge_sort_block_merge_implIS3_N6thrust23THRUST_200600_302600_NS6detail15normal_iteratorINS8_10device_ptrIfEEEESD_jNS1_19radix_merge_compareILb0ELb0EfNS0_19identity_decomposerEEEEE10hipError_tT0_T1_T2_jT3_P12ihipStream_tbPNSt15iterator_traitsISI_E10value_typeEPNSO_ISJ_E10value_typeEPSK_NS1_7vsmem_tEENKUlT_SI_SJ_SK_E_clIPfSD_S10_SD_EESH_SX_SI_SJ_SK_EUlSX_E0_NS1_11comp_targetILNS1_3genE9ELNS1_11target_archE1100ELNS1_3gpuE3ELNS1_3repE0EEENS1_38merge_mergepath_config_static_selectorELNS0_4arch9wavefront6targetE1EEEvSJ_,comdat
	.protected	_ZN7rocprim17ROCPRIM_400000_NS6detail17trampoline_kernelINS0_14default_configENS1_38merge_sort_block_merge_config_selectorIffEEZZNS1_27merge_sort_block_merge_implIS3_N6thrust23THRUST_200600_302600_NS6detail15normal_iteratorINS8_10device_ptrIfEEEESD_jNS1_19radix_merge_compareILb0ELb0EfNS0_19identity_decomposerEEEEE10hipError_tT0_T1_T2_jT3_P12ihipStream_tbPNSt15iterator_traitsISI_E10value_typeEPNSO_ISJ_E10value_typeEPSK_NS1_7vsmem_tEENKUlT_SI_SJ_SK_E_clIPfSD_S10_SD_EESH_SX_SI_SJ_SK_EUlSX_E0_NS1_11comp_targetILNS1_3genE9ELNS1_11target_archE1100ELNS1_3gpuE3ELNS1_3repE0EEENS1_38merge_mergepath_config_static_selectorELNS0_4arch9wavefront6targetE1EEEvSJ_ ; -- Begin function _ZN7rocprim17ROCPRIM_400000_NS6detail17trampoline_kernelINS0_14default_configENS1_38merge_sort_block_merge_config_selectorIffEEZZNS1_27merge_sort_block_merge_implIS3_N6thrust23THRUST_200600_302600_NS6detail15normal_iteratorINS8_10device_ptrIfEEEESD_jNS1_19radix_merge_compareILb0ELb0EfNS0_19identity_decomposerEEEEE10hipError_tT0_T1_T2_jT3_P12ihipStream_tbPNSt15iterator_traitsISI_E10value_typeEPNSO_ISJ_E10value_typeEPSK_NS1_7vsmem_tEENKUlT_SI_SJ_SK_E_clIPfSD_S10_SD_EESH_SX_SI_SJ_SK_EUlSX_E0_NS1_11comp_targetILNS1_3genE9ELNS1_11target_archE1100ELNS1_3gpuE3ELNS1_3repE0EEENS1_38merge_mergepath_config_static_selectorELNS0_4arch9wavefront6targetE1EEEvSJ_
	.globl	_ZN7rocprim17ROCPRIM_400000_NS6detail17trampoline_kernelINS0_14default_configENS1_38merge_sort_block_merge_config_selectorIffEEZZNS1_27merge_sort_block_merge_implIS3_N6thrust23THRUST_200600_302600_NS6detail15normal_iteratorINS8_10device_ptrIfEEEESD_jNS1_19radix_merge_compareILb0ELb0EfNS0_19identity_decomposerEEEEE10hipError_tT0_T1_T2_jT3_P12ihipStream_tbPNSt15iterator_traitsISI_E10value_typeEPNSO_ISJ_E10value_typeEPSK_NS1_7vsmem_tEENKUlT_SI_SJ_SK_E_clIPfSD_S10_SD_EESH_SX_SI_SJ_SK_EUlSX_E0_NS1_11comp_targetILNS1_3genE9ELNS1_11target_archE1100ELNS1_3gpuE3ELNS1_3repE0EEENS1_38merge_mergepath_config_static_selectorELNS0_4arch9wavefront6targetE1EEEvSJ_
	.p2align	8
	.type	_ZN7rocprim17ROCPRIM_400000_NS6detail17trampoline_kernelINS0_14default_configENS1_38merge_sort_block_merge_config_selectorIffEEZZNS1_27merge_sort_block_merge_implIS3_N6thrust23THRUST_200600_302600_NS6detail15normal_iteratorINS8_10device_ptrIfEEEESD_jNS1_19radix_merge_compareILb0ELb0EfNS0_19identity_decomposerEEEEE10hipError_tT0_T1_T2_jT3_P12ihipStream_tbPNSt15iterator_traitsISI_E10value_typeEPNSO_ISJ_E10value_typeEPSK_NS1_7vsmem_tEENKUlT_SI_SJ_SK_E_clIPfSD_S10_SD_EESH_SX_SI_SJ_SK_EUlSX_E0_NS1_11comp_targetILNS1_3genE9ELNS1_11target_archE1100ELNS1_3gpuE3ELNS1_3repE0EEENS1_38merge_mergepath_config_static_selectorELNS0_4arch9wavefront6targetE1EEEvSJ_,@function
_ZN7rocprim17ROCPRIM_400000_NS6detail17trampoline_kernelINS0_14default_configENS1_38merge_sort_block_merge_config_selectorIffEEZZNS1_27merge_sort_block_merge_implIS3_N6thrust23THRUST_200600_302600_NS6detail15normal_iteratorINS8_10device_ptrIfEEEESD_jNS1_19radix_merge_compareILb0ELb0EfNS0_19identity_decomposerEEEEE10hipError_tT0_T1_T2_jT3_P12ihipStream_tbPNSt15iterator_traitsISI_E10value_typeEPNSO_ISJ_E10value_typeEPSK_NS1_7vsmem_tEENKUlT_SI_SJ_SK_E_clIPfSD_S10_SD_EESH_SX_SI_SJ_SK_EUlSX_E0_NS1_11comp_targetILNS1_3genE9ELNS1_11target_archE1100ELNS1_3gpuE3ELNS1_3repE0EEENS1_38merge_mergepath_config_static_selectorELNS0_4arch9wavefront6targetE1EEEvSJ_: ; @_ZN7rocprim17ROCPRIM_400000_NS6detail17trampoline_kernelINS0_14default_configENS1_38merge_sort_block_merge_config_selectorIffEEZZNS1_27merge_sort_block_merge_implIS3_N6thrust23THRUST_200600_302600_NS6detail15normal_iteratorINS8_10device_ptrIfEEEESD_jNS1_19radix_merge_compareILb0ELb0EfNS0_19identity_decomposerEEEEE10hipError_tT0_T1_T2_jT3_P12ihipStream_tbPNSt15iterator_traitsISI_E10value_typeEPNSO_ISJ_E10value_typeEPSK_NS1_7vsmem_tEENKUlT_SI_SJ_SK_E_clIPfSD_S10_SD_EESH_SX_SI_SJ_SK_EUlSX_E0_NS1_11comp_targetILNS1_3genE9ELNS1_11target_archE1100ELNS1_3gpuE3ELNS1_3repE0EEENS1_38merge_mergepath_config_static_selectorELNS0_4arch9wavefront6targetE1EEEvSJ_
; %bb.0:
	.section	.rodata,"a",@progbits
	.p2align	6, 0x0
	.amdhsa_kernel _ZN7rocprim17ROCPRIM_400000_NS6detail17trampoline_kernelINS0_14default_configENS1_38merge_sort_block_merge_config_selectorIffEEZZNS1_27merge_sort_block_merge_implIS3_N6thrust23THRUST_200600_302600_NS6detail15normal_iteratorINS8_10device_ptrIfEEEESD_jNS1_19radix_merge_compareILb0ELb0EfNS0_19identity_decomposerEEEEE10hipError_tT0_T1_T2_jT3_P12ihipStream_tbPNSt15iterator_traitsISI_E10value_typeEPNSO_ISJ_E10value_typeEPSK_NS1_7vsmem_tEENKUlT_SI_SJ_SK_E_clIPfSD_S10_SD_EESH_SX_SI_SJ_SK_EUlSX_E0_NS1_11comp_targetILNS1_3genE9ELNS1_11target_archE1100ELNS1_3gpuE3ELNS1_3repE0EEENS1_38merge_mergepath_config_static_selectorELNS0_4arch9wavefront6targetE1EEEvSJ_
		.amdhsa_group_segment_fixed_size 0
		.amdhsa_private_segment_fixed_size 0
		.amdhsa_kernarg_size 64
		.amdhsa_user_sgpr_count 2
		.amdhsa_user_sgpr_dispatch_ptr 0
		.amdhsa_user_sgpr_queue_ptr 0
		.amdhsa_user_sgpr_kernarg_segment_ptr 1
		.amdhsa_user_sgpr_dispatch_id 0
		.amdhsa_user_sgpr_kernarg_preload_length 0
		.amdhsa_user_sgpr_kernarg_preload_offset 0
		.amdhsa_user_sgpr_private_segment_size 0
		.amdhsa_uses_dynamic_stack 0
		.amdhsa_enable_private_segment 0
		.amdhsa_system_sgpr_workgroup_id_x 1
		.amdhsa_system_sgpr_workgroup_id_y 0
		.amdhsa_system_sgpr_workgroup_id_z 0
		.amdhsa_system_sgpr_workgroup_info 0
		.amdhsa_system_vgpr_workitem_id 0
		.amdhsa_next_free_vgpr 1
		.amdhsa_next_free_sgpr 0
		.amdhsa_accum_offset 4
		.amdhsa_reserve_vcc 0
		.amdhsa_float_round_mode_32 0
		.amdhsa_float_round_mode_16_64 0
		.amdhsa_float_denorm_mode_32 3
		.amdhsa_float_denorm_mode_16_64 3
		.amdhsa_dx10_clamp 1
		.amdhsa_ieee_mode 1
		.amdhsa_fp16_overflow 0
		.amdhsa_tg_split 0
		.amdhsa_exception_fp_ieee_invalid_op 0
		.amdhsa_exception_fp_denorm_src 0
		.amdhsa_exception_fp_ieee_div_zero 0
		.amdhsa_exception_fp_ieee_overflow 0
		.amdhsa_exception_fp_ieee_underflow 0
		.amdhsa_exception_fp_ieee_inexact 0
		.amdhsa_exception_int_div_zero 0
	.end_amdhsa_kernel
	.section	.text._ZN7rocprim17ROCPRIM_400000_NS6detail17trampoline_kernelINS0_14default_configENS1_38merge_sort_block_merge_config_selectorIffEEZZNS1_27merge_sort_block_merge_implIS3_N6thrust23THRUST_200600_302600_NS6detail15normal_iteratorINS8_10device_ptrIfEEEESD_jNS1_19radix_merge_compareILb0ELb0EfNS0_19identity_decomposerEEEEE10hipError_tT0_T1_T2_jT3_P12ihipStream_tbPNSt15iterator_traitsISI_E10value_typeEPNSO_ISJ_E10value_typeEPSK_NS1_7vsmem_tEENKUlT_SI_SJ_SK_E_clIPfSD_S10_SD_EESH_SX_SI_SJ_SK_EUlSX_E0_NS1_11comp_targetILNS1_3genE9ELNS1_11target_archE1100ELNS1_3gpuE3ELNS1_3repE0EEENS1_38merge_mergepath_config_static_selectorELNS0_4arch9wavefront6targetE1EEEvSJ_,"axG",@progbits,_ZN7rocprim17ROCPRIM_400000_NS6detail17trampoline_kernelINS0_14default_configENS1_38merge_sort_block_merge_config_selectorIffEEZZNS1_27merge_sort_block_merge_implIS3_N6thrust23THRUST_200600_302600_NS6detail15normal_iteratorINS8_10device_ptrIfEEEESD_jNS1_19radix_merge_compareILb0ELb0EfNS0_19identity_decomposerEEEEE10hipError_tT0_T1_T2_jT3_P12ihipStream_tbPNSt15iterator_traitsISI_E10value_typeEPNSO_ISJ_E10value_typeEPSK_NS1_7vsmem_tEENKUlT_SI_SJ_SK_E_clIPfSD_S10_SD_EESH_SX_SI_SJ_SK_EUlSX_E0_NS1_11comp_targetILNS1_3genE9ELNS1_11target_archE1100ELNS1_3gpuE3ELNS1_3repE0EEENS1_38merge_mergepath_config_static_selectorELNS0_4arch9wavefront6targetE1EEEvSJ_,comdat
.Lfunc_end235:
	.size	_ZN7rocprim17ROCPRIM_400000_NS6detail17trampoline_kernelINS0_14default_configENS1_38merge_sort_block_merge_config_selectorIffEEZZNS1_27merge_sort_block_merge_implIS3_N6thrust23THRUST_200600_302600_NS6detail15normal_iteratorINS8_10device_ptrIfEEEESD_jNS1_19radix_merge_compareILb0ELb0EfNS0_19identity_decomposerEEEEE10hipError_tT0_T1_T2_jT3_P12ihipStream_tbPNSt15iterator_traitsISI_E10value_typeEPNSO_ISJ_E10value_typeEPSK_NS1_7vsmem_tEENKUlT_SI_SJ_SK_E_clIPfSD_S10_SD_EESH_SX_SI_SJ_SK_EUlSX_E0_NS1_11comp_targetILNS1_3genE9ELNS1_11target_archE1100ELNS1_3gpuE3ELNS1_3repE0EEENS1_38merge_mergepath_config_static_selectorELNS0_4arch9wavefront6targetE1EEEvSJ_, .Lfunc_end235-_ZN7rocprim17ROCPRIM_400000_NS6detail17trampoline_kernelINS0_14default_configENS1_38merge_sort_block_merge_config_selectorIffEEZZNS1_27merge_sort_block_merge_implIS3_N6thrust23THRUST_200600_302600_NS6detail15normal_iteratorINS8_10device_ptrIfEEEESD_jNS1_19radix_merge_compareILb0ELb0EfNS0_19identity_decomposerEEEEE10hipError_tT0_T1_T2_jT3_P12ihipStream_tbPNSt15iterator_traitsISI_E10value_typeEPNSO_ISJ_E10value_typeEPSK_NS1_7vsmem_tEENKUlT_SI_SJ_SK_E_clIPfSD_S10_SD_EESH_SX_SI_SJ_SK_EUlSX_E0_NS1_11comp_targetILNS1_3genE9ELNS1_11target_archE1100ELNS1_3gpuE3ELNS1_3repE0EEENS1_38merge_mergepath_config_static_selectorELNS0_4arch9wavefront6targetE1EEEvSJ_
                                        ; -- End function
	.set _ZN7rocprim17ROCPRIM_400000_NS6detail17trampoline_kernelINS0_14default_configENS1_38merge_sort_block_merge_config_selectorIffEEZZNS1_27merge_sort_block_merge_implIS3_N6thrust23THRUST_200600_302600_NS6detail15normal_iteratorINS8_10device_ptrIfEEEESD_jNS1_19radix_merge_compareILb0ELb0EfNS0_19identity_decomposerEEEEE10hipError_tT0_T1_T2_jT3_P12ihipStream_tbPNSt15iterator_traitsISI_E10value_typeEPNSO_ISJ_E10value_typeEPSK_NS1_7vsmem_tEENKUlT_SI_SJ_SK_E_clIPfSD_S10_SD_EESH_SX_SI_SJ_SK_EUlSX_E0_NS1_11comp_targetILNS1_3genE9ELNS1_11target_archE1100ELNS1_3gpuE3ELNS1_3repE0EEENS1_38merge_mergepath_config_static_selectorELNS0_4arch9wavefront6targetE1EEEvSJ_.num_vgpr, 0
	.set _ZN7rocprim17ROCPRIM_400000_NS6detail17trampoline_kernelINS0_14default_configENS1_38merge_sort_block_merge_config_selectorIffEEZZNS1_27merge_sort_block_merge_implIS3_N6thrust23THRUST_200600_302600_NS6detail15normal_iteratorINS8_10device_ptrIfEEEESD_jNS1_19radix_merge_compareILb0ELb0EfNS0_19identity_decomposerEEEEE10hipError_tT0_T1_T2_jT3_P12ihipStream_tbPNSt15iterator_traitsISI_E10value_typeEPNSO_ISJ_E10value_typeEPSK_NS1_7vsmem_tEENKUlT_SI_SJ_SK_E_clIPfSD_S10_SD_EESH_SX_SI_SJ_SK_EUlSX_E0_NS1_11comp_targetILNS1_3genE9ELNS1_11target_archE1100ELNS1_3gpuE3ELNS1_3repE0EEENS1_38merge_mergepath_config_static_selectorELNS0_4arch9wavefront6targetE1EEEvSJ_.num_agpr, 0
	.set _ZN7rocprim17ROCPRIM_400000_NS6detail17trampoline_kernelINS0_14default_configENS1_38merge_sort_block_merge_config_selectorIffEEZZNS1_27merge_sort_block_merge_implIS3_N6thrust23THRUST_200600_302600_NS6detail15normal_iteratorINS8_10device_ptrIfEEEESD_jNS1_19radix_merge_compareILb0ELb0EfNS0_19identity_decomposerEEEEE10hipError_tT0_T1_T2_jT3_P12ihipStream_tbPNSt15iterator_traitsISI_E10value_typeEPNSO_ISJ_E10value_typeEPSK_NS1_7vsmem_tEENKUlT_SI_SJ_SK_E_clIPfSD_S10_SD_EESH_SX_SI_SJ_SK_EUlSX_E0_NS1_11comp_targetILNS1_3genE9ELNS1_11target_archE1100ELNS1_3gpuE3ELNS1_3repE0EEENS1_38merge_mergepath_config_static_selectorELNS0_4arch9wavefront6targetE1EEEvSJ_.numbered_sgpr, 0
	.set _ZN7rocprim17ROCPRIM_400000_NS6detail17trampoline_kernelINS0_14default_configENS1_38merge_sort_block_merge_config_selectorIffEEZZNS1_27merge_sort_block_merge_implIS3_N6thrust23THRUST_200600_302600_NS6detail15normal_iteratorINS8_10device_ptrIfEEEESD_jNS1_19radix_merge_compareILb0ELb0EfNS0_19identity_decomposerEEEEE10hipError_tT0_T1_T2_jT3_P12ihipStream_tbPNSt15iterator_traitsISI_E10value_typeEPNSO_ISJ_E10value_typeEPSK_NS1_7vsmem_tEENKUlT_SI_SJ_SK_E_clIPfSD_S10_SD_EESH_SX_SI_SJ_SK_EUlSX_E0_NS1_11comp_targetILNS1_3genE9ELNS1_11target_archE1100ELNS1_3gpuE3ELNS1_3repE0EEENS1_38merge_mergepath_config_static_selectorELNS0_4arch9wavefront6targetE1EEEvSJ_.num_named_barrier, 0
	.set _ZN7rocprim17ROCPRIM_400000_NS6detail17trampoline_kernelINS0_14default_configENS1_38merge_sort_block_merge_config_selectorIffEEZZNS1_27merge_sort_block_merge_implIS3_N6thrust23THRUST_200600_302600_NS6detail15normal_iteratorINS8_10device_ptrIfEEEESD_jNS1_19radix_merge_compareILb0ELb0EfNS0_19identity_decomposerEEEEE10hipError_tT0_T1_T2_jT3_P12ihipStream_tbPNSt15iterator_traitsISI_E10value_typeEPNSO_ISJ_E10value_typeEPSK_NS1_7vsmem_tEENKUlT_SI_SJ_SK_E_clIPfSD_S10_SD_EESH_SX_SI_SJ_SK_EUlSX_E0_NS1_11comp_targetILNS1_3genE9ELNS1_11target_archE1100ELNS1_3gpuE3ELNS1_3repE0EEENS1_38merge_mergepath_config_static_selectorELNS0_4arch9wavefront6targetE1EEEvSJ_.private_seg_size, 0
	.set _ZN7rocprim17ROCPRIM_400000_NS6detail17trampoline_kernelINS0_14default_configENS1_38merge_sort_block_merge_config_selectorIffEEZZNS1_27merge_sort_block_merge_implIS3_N6thrust23THRUST_200600_302600_NS6detail15normal_iteratorINS8_10device_ptrIfEEEESD_jNS1_19radix_merge_compareILb0ELb0EfNS0_19identity_decomposerEEEEE10hipError_tT0_T1_T2_jT3_P12ihipStream_tbPNSt15iterator_traitsISI_E10value_typeEPNSO_ISJ_E10value_typeEPSK_NS1_7vsmem_tEENKUlT_SI_SJ_SK_E_clIPfSD_S10_SD_EESH_SX_SI_SJ_SK_EUlSX_E0_NS1_11comp_targetILNS1_3genE9ELNS1_11target_archE1100ELNS1_3gpuE3ELNS1_3repE0EEENS1_38merge_mergepath_config_static_selectorELNS0_4arch9wavefront6targetE1EEEvSJ_.uses_vcc, 0
	.set _ZN7rocprim17ROCPRIM_400000_NS6detail17trampoline_kernelINS0_14default_configENS1_38merge_sort_block_merge_config_selectorIffEEZZNS1_27merge_sort_block_merge_implIS3_N6thrust23THRUST_200600_302600_NS6detail15normal_iteratorINS8_10device_ptrIfEEEESD_jNS1_19radix_merge_compareILb0ELb0EfNS0_19identity_decomposerEEEEE10hipError_tT0_T1_T2_jT3_P12ihipStream_tbPNSt15iterator_traitsISI_E10value_typeEPNSO_ISJ_E10value_typeEPSK_NS1_7vsmem_tEENKUlT_SI_SJ_SK_E_clIPfSD_S10_SD_EESH_SX_SI_SJ_SK_EUlSX_E0_NS1_11comp_targetILNS1_3genE9ELNS1_11target_archE1100ELNS1_3gpuE3ELNS1_3repE0EEENS1_38merge_mergepath_config_static_selectorELNS0_4arch9wavefront6targetE1EEEvSJ_.uses_flat_scratch, 0
	.set _ZN7rocprim17ROCPRIM_400000_NS6detail17trampoline_kernelINS0_14default_configENS1_38merge_sort_block_merge_config_selectorIffEEZZNS1_27merge_sort_block_merge_implIS3_N6thrust23THRUST_200600_302600_NS6detail15normal_iteratorINS8_10device_ptrIfEEEESD_jNS1_19radix_merge_compareILb0ELb0EfNS0_19identity_decomposerEEEEE10hipError_tT0_T1_T2_jT3_P12ihipStream_tbPNSt15iterator_traitsISI_E10value_typeEPNSO_ISJ_E10value_typeEPSK_NS1_7vsmem_tEENKUlT_SI_SJ_SK_E_clIPfSD_S10_SD_EESH_SX_SI_SJ_SK_EUlSX_E0_NS1_11comp_targetILNS1_3genE9ELNS1_11target_archE1100ELNS1_3gpuE3ELNS1_3repE0EEENS1_38merge_mergepath_config_static_selectorELNS0_4arch9wavefront6targetE1EEEvSJ_.has_dyn_sized_stack, 0
	.set _ZN7rocprim17ROCPRIM_400000_NS6detail17trampoline_kernelINS0_14default_configENS1_38merge_sort_block_merge_config_selectorIffEEZZNS1_27merge_sort_block_merge_implIS3_N6thrust23THRUST_200600_302600_NS6detail15normal_iteratorINS8_10device_ptrIfEEEESD_jNS1_19radix_merge_compareILb0ELb0EfNS0_19identity_decomposerEEEEE10hipError_tT0_T1_T2_jT3_P12ihipStream_tbPNSt15iterator_traitsISI_E10value_typeEPNSO_ISJ_E10value_typeEPSK_NS1_7vsmem_tEENKUlT_SI_SJ_SK_E_clIPfSD_S10_SD_EESH_SX_SI_SJ_SK_EUlSX_E0_NS1_11comp_targetILNS1_3genE9ELNS1_11target_archE1100ELNS1_3gpuE3ELNS1_3repE0EEENS1_38merge_mergepath_config_static_selectorELNS0_4arch9wavefront6targetE1EEEvSJ_.has_recursion, 0
	.set _ZN7rocprim17ROCPRIM_400000_NS6detail17trampoline_kernelINS0_14default_configENS1_38merge_sort_block_merge_config_selectorIffEEZZNS1_27merge_sort_block_merge_implIS3_N6thrust23THRUST_200600_302600_NS6detail15normal_iteratorINS8_10device_ptrIfEEEESD_jNS1_19radix_merge_compareILb0ELb0EfNS0_19identity_decomposerEEEEE10hipError_tT0_T1_T2_jT3_P12ihipStream_tbPNSt15iterator_traitsISI_E10value_typeEPNSO_ISJ_E10value_typeEPSK_NS1_7vsmem_tEENKUlT_SI_SJ_SK_E_clIPfSD_S10_SD_EESH_SX_SI_SJ_SK_EUlSX_E0_NS1_11comp_targetILNS1_3genE9ELNS1_11target_archE1100ELNS1_3gpuE3ELNS1_3repE0EEENS1_38merge_mergepath_config_static_selectorELNS0_4arch9wavefront6targetE1EEEvSJ_.has_indirect_call, 0
	.section	.AMDGPU.csdata,"",@progbits
; Kernel info:
; codeLenInByte = 0
; TotalNumSgprs: 6
; NumVgprs: 0
; NumAgprs: 0
; TotalNumVgprs: 0
; ScratchSize: 0
; MemoryBound: 0
; FloatMode: 240
; IeeeMode: 1
; LDSByteSize: 0 bytes/workgroup (compile time only)
; SGPRBlocks: 0
; VGPRBlocks: 0
; NumSGPRsForWavesPerEU: 6
; NumVGPRsForWavesPerEU: 1
; AccumOffset: 4
; Occupancy: 8
; WaveLimiterHint : 0
; COMPUTE_PGM_RSRC2:SCRATCH_EN: 0
; COMPUTE_PGM_RSRC2:USER_SGPR: 2
; COMPUTE_PGM_RSRC2:TRAP_HANDLER: 0
; COMPUTE_PGM_RSRC2:TGID_X_EN: 1
; COMPUTE_PGM_RSRC2:TGID_Y_EN: 0
; COMPUTE_PGM_RSRC2:TGID_Z_EN: 0
; COMPUTE_PGM_RSRC2:TIDIG_COMP_CNT: 0
; COMPUTE_PGM_RSRC3_GFX90A:ACCUM_OFFSET: 0
; COMPUTE_PGM_RSRC3_GFX90A:TG_SPLIT: 0
	.section	.text._ZN7rocprim17ROCPRIM_400000_NS6detail17trampoline_kernelINS0_14default_configENS1_38merge_sort_block_merge_config_selectorIffEEZZNS1_27merge_sort_block_merge_implIS3_N6thrust23THRUST_200600_302600_NS6detail15normal_iteratorINS8_10device_ptrIfEEEESD_jNS1_19radix_merge_compareILb0ELb0EfNS0_19identity_decomposerEEEEE10hipError_tT0_T1_T2_jT3_P12ihipStream_tbPNSt15iterator_traitsISI_E10value_typeEPNSO_ISJ_E10value_typeEPSK_NS1_7vsmem_tEENKUlT_SI_SJ_SK_E_clIPfSD_S10_SD_EESH_SX_SI_SJ_SK_EUlSX_E0_NS1_11comp_targetILNS1_3genE8ELNS1_11target_archE1030ELNS1_3gpuE2ELNS1_3repE0EEENS1_38merge_mergepath_config_static_selectorELNS0_4arch9wavefront6targetE1EEEvSJ_,"axG",@progbits,_ZN7rocprim17ROCPRIM_400000_NS6detail17trampoline_kernelINS0_14default_configENS1_38merge_sort_block_merge_config_selectorIffEEZZNS1_27merge_sort_block_merge_implIS3_N6thrust23THRUST_200600_302600_NS6detail15normal_iteratorINS8_10device_ptrIfEEEESD_jNS1_19radix_merge_compareILb0ELb0EfNS0_19identity_decomposerEEEEE10hipError_tT0_T1_T2_jT3_P12ihipStream_tbPNSt15iterator_traitsISI_E10value_typeEPNSO_ISJ_E10value_typeEPSK_NS1_7vsmem_tEENKUlT_SI_SJ_SK_E_clIPfSD_S10_SD_EESH_SX_SI_SJ_SK_EUlSX_E0_NS1_11comp_targetILNS1_3genE8ELNS1_11target_archE1030ELNS1_3gpuE2ELNS1_3repE0EEENS1_38merge_mergepath_config_static_selectorELNS0_4arch9wavefront6targetE1EEEvSJ_,comdat
	.protected	_ZN7rocprim17ROCPRIM_400000_NS6detail17trampoline_kernelINS0_14default_configENS1_38merge_sort_block_merge_config_selectorIffEEZZNS1_27merge_sort_block_merge_implIS3_N6thrust23THRUST_200600_302600_NS6detail15normal_iteratorINS8_10device_ptrIfEEEESD_jNS1_19radix_merge_compareILb0ELb0EfNS0_19identity_decomposerEEEEE10hipError_tT0_T1_T2_jT3_P12ihipStream_tbPNSt15iterator_traitsISI_E10value_typeEPNSO_ISJ_E10value_typeEPSK_NS1_7vsmem_tEENKUlT_SI_SJ_SK_E_clIPfSD_S10_SD_EESH_SX_SI_SJ_SK_EUlSX_E0_NS1_11comp_targetILNS1_3genE8ELNS1_11target_archE1030ELNS1_3gpuE2ELNS1_3repE0EEENS1_38merge_mergepath_config_static_selectorELNS0_4arch9wavefront6targetE1EEEvSJ_ ; -- Begin function _ZN7rocprim17ROCPRIM_400000_NS6detail17trampoline_kernelINS0_14default_configENS1_38merge_sort_block_merge_config_selectorIffEEZZNS1_27merge_sort_block_merge_implIS3_N6thrust23THRUST_200600_302600_NS6detail15normal_iteratorINS8_10device_ptrIfEEEESD_jNS1_19radix_merge_compareILb0ELb0EfNS0_19identity_decomposerEEEEE10hipError_tT0_T1_T2_jT3_P12ihipStream_tbPNSt15iterator_traitsISI_E10value_typeEPNSO_ISJ_E10value_typeEPSK_NS1_7vsmem_tEENKUlT_SI_SJ_SK_E_clIPfSD_S10_SD_EESH_SX_SI_SJ_SK_EUlSX_E0_NS1_11comp_targetILNS1_3genE8ELNS1_11target_archE1030ELNS1_3gpuE2ELNS1_3repE0EEENS1_38merge_mergepath_config_static_selectorELNS0_4arch9wavefront6targetE1EEEvSJ_
	.globl	_ZN7rocprim17ROCPRIM_400000_NS6detail17trampoline_kernelINS0_14default_configENS1_38merge_sort_block_merge_config_selectorIffEEZZNS1_27merge_sort_block_merge_implIS3_N6thrust23THRUST_200600_302600_NS6detail15normal_iteratorINS8_10device_ptrIfEEEESD_jNS1_19radix_merge_compareILb0ELb0EfNS0_19identity_decomposerEEEEE10hipError_tT0_T1_T2_jT3_P12ihipStream_tbPNSt15iterator_traitsISI_E10value_typeEPNSO_ISJ_E10value_typeEPSK_NS1_7vsmem_tEENKUlT_SI_SJ_SK_E_clIPfSD_S10_SD_EESH_SX_SI_SJ_SK_EUlSX_E0_NS1_11comp_targetILNS1_3genE8ELNS1_11target_archE1030ELNS1_3gpuE2ELNS1_3repE0EEENS1_38merge_mergepath_config_static_selectorELNS0_4arch9wavefront6targetE1EEEvSJ_
	.p2align	8
	.type	_ZN7rocprim17ROCPRIM_400000_NS6detail17trampoline_kernelINS0_14default_configENS1_38merge_sort_block_merge_config_selectorIffEEZZNS1_27merge_sort_block_merge_implIS3_N6thrust23THRUST_200600_302600_NS6detail15normal_iteratorINS8_10device_ptrIfEEEESD_jNS1_19radix_merge_compareILb0ELb0EfNS0_19identity_decomposerEEEEE10hipError_tT0_T1_T2_jT3_P12ihipStream_tbPNSt15iterator_traitsISI_E10value_typeEPNSO_ISJ_E10value_typeEPSK_NS1_7vsmem_tEENKUlT_SI_SJ_SK_E_clIPfSD_S10_SD_EESH_SX_SI_SJ_SK_EUlSX_E0_NS1_11comp_targetILNS1_3genE8ELNS1_11target_archE1030ELNS1_3gpuE2ELNS1_3repE0EEENS1_38merge_mergepath_config_static_selectorELNS0_4arch9wavefront6targetE1EEEvSJ_,@function
_ZN7rocprim17ROCPRIM_400000_NS6detail17trampoline_kernelINS0_14default_configENS1_38merge_sort_block_merge_config_selectorIffEEZZNS1_27merge_sort_block_merge_implIS3_N6thrust23THRUST_200600_302600_NS6detail15normal_iteratorINS8_10device_ptrIfEEEESD_jNS1_19radix_merge_compareILb0ELb0EfNS0_19identity_decomposerEEEEE10hipError_tT0_T1_T2_jT3_P12ihipStream_tbPNSt15iterator_traitsISI_E10value_typeEPNSO_ISJ_E10value_typeEPSK_NS1_7vsmem_tEENKUlT_SI_SJ_SK_E_clIPfSD_S10_SD_EESH_SX_SI_SJ_SK_EUlSX_E0_NS1_11comp_targetILNS1_3genE8ELNS1_11target_archE1030ELNS1_3gpuE2ELNS1_3repE0EEENS1_38merge_mergepath_config_static_selectorELNS0_4arch9wavefront6targetE1EEEvSJ_: ; @_ZN7rocprim17ROCPRIM_400000_NS6detail17trampoline_kernelINS0_14default_configENS1_38merge_sort_block_merge_config_selectorIffEEZZNS1_27merge_sort_block_merge_implIS3_N6thrust23THRUST_200600_302600_NS6detail15normal_iteratorINS8_10device_ptrIfEEEESD_jNS1_19radix_merge_compareILb0ELb0EfNS0_19identity_decomposerEEEEE10hipError_tT0_T1_T2_jT3_P12ihipStream_tbPNSt15iterator_traitsISI_E10value_typeEPNSO_ISJ_E10value_typeEPSK_NS1_7vsmem_tEENKUlT_SI_SJ_SK_E_clIPfSD_S10_SD_EESH_SX_SI_SJ_SK_EUlSX_E0_NS1_11comp_targetILNS1_3genE8ELNS1_11target_archE1030ELNS1_3gpuE2ELNS1_3repE0EEENS1_38merge_mergepath_config_static_selectorELNS0_4arch9wavefront6targetE1EEEvSJ_
; %bb.0:
	.section	.rodata,"a",@progbits
	.p2align	6, 0x0
	.amdhsa_kernel _ZN7rocprim17ROCPRIM_400000_NS6detail17trampoline_kernelINS0_14default_configENS1_38merge_sort_block_merge_config_selectorIffEEZZNS1_27merge_sort_block_merge_implIS3_N6thrust23THRUST_200600_302600_NS6detail15normal_iteratorINS8_10device_ptrIfEEEESD_jNS1_19radix_merge_compareILb0ELb0EfNS0_19identity_decomposerEEEEE10hipError_tT0_T1_T2_jT3_P12ihipStream_tbPNSt15iterator_traitsISI_E10value_typeEPNSO_ISJ_E10value_typeEPSK_NS1_7vsmem_tEENKUlT_SI_SJ_SK_E_clIPfSD_S10_SD_EESH_SX_SI_SJ_SK_EUlSX_E0_NS1_11comp_targetILNS1_3genE8ELNS1_11target_archE1030ELNS1_3gpuE2ELNS1_3repE0EEENS1_38merge_mergepath_config_static_selectorELNS0_4arch9wavefront6targetE1EEEvSJ_
		.amdhsa_group_segment_fixed_size 0
		.amdhsa_private_segment_fixed_size 0
		.amdhsa_kernarg_size 64
		.amdhsa_user_sgpr_count 2
		.amdhsa_user_sgpr_dispatch_ptr 0
		.amdhsa_user_sgpr_queue_ptr 0
		.amdhsa_user_sgpr_kernarg_segment_ptr 1
		.amdhsa_user_sgpr_dispatch_id 0
		.amdhsa_user_sgpr_kernarg_preload_length 0
		.amdhsa_user_sgpr_kernarg_preload_offset 0
		.amdhsa_user_sgpr_private_segment_size 0
		.amdhsa_uses_dynamic_stack 0
		.amdhsa_enable_private_segment 0
		.amdhsa_system_sgpr_workgroup_id_x 1
		.amdhsa_system_sgpr_workgroup_id_y 0
		.amdhsa_system_sgpr_workgroup_id_z 0
		.amdhsa_system_sgpr_workgroup_info 0
		.amdhsa_system_vgpr_workitem_id 0
		.amdhsa_next_free_vgpr 1
		.amdhsa_next_free_sgpr 0
		.amdhsa_accum_offset 4
		.amdhsa_reserve_vcc 0
		.amdhsa_float_round_mode_32 0
		.amdhsa_float_round_mode_16_64 0
		.amdhsa_float_denorm_mode_32 3
		.amdhsa_float_denorm_mode_16_64 3
		.amdhsa_dx10_clamp 1
		.amdhsa_ieee_mode 1
		.amdhsa_fp16_overflow 0
		.amdhsa_tg_split 0
		.amdhsa_exception_fp_ieee_invalid_op 0
		.amdhsa_exception_fp_denorm_src 0
		.amdhsa_exception_fp_ieee_div_zero 0
		.amdhsa_exception_fp_ieee_overflow 0
		.amdhsa_exception_fp_ieee_underflow 0
		.amdhsa_exception_fp_ieee_inexact 0
		.amdhsa_exception_int_div_zero 0
	.end_amdhsa_kernel
	.section	.text._ZN7rocprim17ROCPRIM_400000_NS6detail17trampoline_kernelINS0_14default_configENS1_38merge_sort_block_merge_config_selectorIffEEZZNS1_27merge_sort_block_merge_implIS3_N6thrust23THRUST_200600_302600_NS6detail15normal_iteratorINS8_10device_ptrIfEEEESD_jNS1_19radix_merge_compareILb0ELb0EfNS0_19identity_decomposerEEEEE10hipError_tT0_T1_T2_jT3_P12ihipStream_tbPNSt15iterator_traitsISI_E10value_typeEPNSO_ISJ_E10value_typeEPSK_NS1_7vsmem_tEENKUlT_SI_SJ_SK_E_clIPfSD_S10_SD_EESH_SX_SI_SJ_SK_EUlSX_E0_NS1_11comp_targetILNS1_3genE8ELNS1_11target_archE1030ELNS1_3gpuE2ELNS1_3repE0EEENS1_38merge_mergepath_config_static_selectorELNS0_4arch9wavefront6targetE1EEEvSJ_,"axG",@progbits,_ZN7rocprim17ROCPRIM_400000_NS6detail17trampoline_kernelINS0_14default_configENS1_38merge_sort_block_merge_config_selectorIffEEZZNS1_27merge_sort_block_merge_implIS3_N6thrust23THRUST_200600_302600_NS6detail15normal_iteratorINS8_10device_ptrIfEEEESD_jNS1_19radix_merge_compareILb0ELb0EfNS0_19identity_decomposerEEEEE10hipError_tT0_T1_T2_jT3_P12ihipStream_tbPNSt15iterator_traitsISI_E10value_typeEPNSO_ISJ_E10value_typeEPSK_NS1_7vsmem_tEENKUlT_SI_SJ_SK_E_clIPfSD_S10_SD_EESH_SX_SI_SJ_SK_EUlSX_E0_NS1_11comp_targetILNS1_3genE8ELNS1_11target_archE1030ELNS1_3gpuE2ELNS1_3repE0EEENS1_38merge_mergepath_config_static_selectorELNS0_4arch9wavefront6targetE1EEEvSJ_,comdat
.Lfunc_end236:
	.size	_ZN7rocprim17ROCPRIM_400000_NS6detail17trampoline_kernelINS0_14default_configENS1_38merge_sort_block_merge_config_selectorIffEEZZNS1_27merge_sort_block_merge_implIS3_N6thrust23THRUST_200600_302600_NS6detail15normal_iteratorINS8_10device_ptrIfEEEESD_jNS1_19radix_merge_compareILb0ELb0EfNS0_19identity_decomposerEEEEE10hipError_tT0_T1_T2_jT3_P12ihipStream_tbPNSt15iterator_traitsISI_E10value_typeEPNSO_ISJ_E10value_typeEPSK_NS1_7vsmem_tEENKUlT_SI_SJ_SK_E_clIPfSD_S10_SD_EESH_SX_SI_SJ_SK_EUlSX_E0_NS1_11comp_targetILNS1_3genE8ELNS1_11target_archE1030ELNS1_3gpuE2ELNS1_3repE0EEENS1_38merge_mergepath_config_static_selectorELNS0_4arch9wavefront6targetE1EEEvSJ_, .Lfunc_end236-_ZN7rocprim17ROCPRIM_400000_NS6detail17trampoline_kernelINS0_14default_configENS1_38merge_sort_block_merge_config_selectorIffEEZZNS1_27merge_sort_block_merge_implIS3_N6thrust23THRUST_200600_302600_NS6detail15normal_iteratorINS8_10device_ptrIfEEEESD_jNS1_19radix_merge_compareILb0ELb0EfNS0_19identity_decomposerEEEEE10hipError_tT0_T1_T2_jT3_P12ihipStream_tbPNSt15iterator_traitsISI_E10value_typeEPNSO_ISJ_E10value_typeEPSK_NS1_7vsmem_tEENKUlT_SI_SJ_SK_E_clIPfSD_S10_SD_EESH_SX_SI_SJ_SK_EUlSX_E0_NS1_11comp_targetILNS1_3genE8ELNS1_11target_archE1030ELNS1_3gpuE2ELNS1_3repE0EEENS1_38merge_mergepath_config_static_selectorELNS0_4arch9wavefront6targetE1EEEvSJ_
                                        ; -- End function
	.set _ZN7rocprim17ROCPRIM_400000_NS6detail17trampoline_kernelINS0_14default_configENS1_38merge_sort_block_merge_config_selectorIffEEZZNS1_27merge_sort_block_merge_implIS3_N6thrust23THRUST_200600_302600_NS6detail15normal_iteratorINS8_10device_ptrIfEEEESD_jNS1_19radix_merge_compareILb0ELb0EfNS0_19identity_decomposerEEEEE10hipError_tT0_T1_T2_jT3_P12ihipStream_tbPNSt15iterator_traitsISI_E10value_typeEPNSO_ISJ_E10value_typeEPSK_NS1_7vsmem_tEENKUlT_SI_SJ_SK_E_clIPfSD_S10_SD_EESH_SX_SI_SJ_SK_EUlSX_E0_NS1_11comp_targetILNS1_3genE8ELNS1_11target_archE1030ELNS1_3gpuE2ELNS1_3repE0EEENS1_38merge_mergepath_config_static_selectorELNS0_4arch9wavefront6targetE1EEEvSJ_.num_vgpr, 0
	.set _ZN7rocprim17ROCPRIM_400000_NS6detail17trampoline_kernelINS0_14default_configENS1_38merge_sort_block_merge_config_selectorIffEEZZNS1_27merge_sort_block_merge_implIS3_N6thrust23THRUST_200600_302600_NS6detail15normal_iteratorINS8_10device_ptrIfEEEESD_jNS1_19radix_merge_compareILb0ELb0EfNS0_19identity_decomposerEEEEE10hipError_tT0_T1_T2_jT3_P12ihipStream_tbPNSt15iterator_traitsISI_E10value_typeEPNSO_ISJ_E10value_typeEPSK_NS1_7vsmem_tEENKUlT_SI_SJ_SK_E_clIPfSD_S10_SD_EESH_SX_SI_SJ_SK_EUlSX_E0_NS1_11comp_targetILNS1_3genE8ELNS1_11target_archE1030ELNS1_3gpuE2ELNS1_3repE0EEENS1_38merge_mergepath_config_static_selectorELNS0_4arch9wavefront6targetE1EEEvSJ_.num_agpr, 0
	.set _ZN7rocprim17ROCPRIM_400000_NS6detail17trampoline_kernelINS0_14default_configENS1_38merge_sort_block_merge_config_selectorIffEEZZNS1_27merge_sort_block_merge_implIS3_N6thrust23THRUST_200600_302600_NS6detail15normal_iteratorINS8_10device_ptrIfEEEESD_jNS1_19radix_merge_compareILb0ELb0EfNS0_19identity_decomposerEEEEE10hipError_tT0_T1_T2_jT3_P12ihipStream_tbPNSt15iterator_traitsISI_E10value_typeEPNSO_ISJ_E10value_typeEPSK_NS1_7vsmem_tEENKUlT_SI_SJ_SK_E_clIPfSD_S10_SD_EESH_SX_SI_SJ_SK_EUlSX_E0_NS1_11comp_targetILNS1_3genE8ELNS1_11target_archE1030ELNS1_3gpuE2ELNS1_3repE0EEENS1_38merge_mergepath_config_static_selectorELNS0_4arch9wavefront6targetE1EEEvSJ_.numbered_sgpr, 0
	.set _ZN7rocprim17ROCPRIM_400000_NS6detail17trampoline_kernelINS0_14default_configENS1_38merge_sort_block_merge_config_selectorIffEEZZNS1_27merge_sort_block_merge_implIS3_N6thrust23THRUST_200600_302600_NS6detail15normal_iteratorINS8_10device_ptrIfEEEESD_jNS1_19radix_merge_compareILb0ELb0EfNS0_19identity_decomposerEEEEE10hipError_tT0_T1_T2_jT3_P12ihipStream_tbPNSt15iterator_traitsISI_E10value_typeEPNSO_ISJ_E10value_typeEPSK_NS1_7vsmem_tEENKUlT_SI_SJ_SK_E_clIPfSD_S10_SD_EESH_SX_SI_SJ_SK_EUlSX_E0_NS1_11comp_targetILNS1_3genE8ELNS1_11target_archE1030ELNS1_3gpuE2ELNS1_3repE0EEENS1_38merge_mergepath_config_static_selectorELNS0_4arch9wavefront6targetE1EEEvSJ_.num_named_barrier, 0
	.set _ZN7rocprim17ROCPRIM_400000_NS6detail17trampoline_kernelINS0_14default_configENS1_38merge_sort_block_merge_config_selectorIffEEZZNS1_27merge_sort_block_merge_implIS3_N6thrust23THRUST_200600_302600_NS6detail15normal_iteratorINS8_10device_ptrIfEEEESD_jNS1_19radix_merge_compareILb0ELb0EfNS0_19identity_decomposerEEEEE10hipError_tT0_T1_T2_jT3_P12ihipStream_tbPNSt15iterator_traitsISI_E10value_typeEPNSO_ISJ_E10value_typeEPSK_NS1_7vsmem_tEENKUlT_SI_SJ_SK_E_clIPfSD_S10_SD_EESH_SX_SI_SJ_SK_EUlSX_E0_NS1_11comp_targetILNS1_3genE8ELNS1_11target_archE1030ELNS1_3gpuE2ELNS1_3repE0EEENS1_38merge_mergepath_config_static_selectorELNS0_4arch9wavefront6targetE1EEEvSJ_.private_seg_size, 0
	.set _ZN7rocprim17ROCPRIM_400000_NS6detail17trampoline_kernelINS0_14default_configENS1_38merge_sort_block_merge_config_selectorIffEEZZNS1_27merge_sort_block_merge_implIS3_N6thrust23THRUST_200600_302600_NS6detail15normal_iteratorINS8_10device_ptrIfEEEESD_jNS1_19radix_merge_compareILb0ELb0EfNS0_19identity_decomposerEEEEE10hipError_tT0_T1_T2_jT3_P12ihipStream_tbPNSt15iterator_traitsISI_E10value_typeEPNSO_ISJ_E10value_typeEPSK_NS1_7vsmem_tEENKUlT_SI_SJ_SK_E_clIPfSD_S10_SD_EESH_SX_SI_SJ_SK_EUlSX_E0_NS1_11comp_targetILNS1_3genE8ELNS1_11target_archE1030ELNS1_3gpuE2ELNS1_3repE0EEENS1_38merge_mergepath_config_static_selectorELNS0_4arch9wavefront6targetE1EEEvSJ_.uses_vcc, 0
	.set _ZN7rocprim17ROCPRIM_400000_NS6detail17trampoline_kernelINS0_14default_configENS1_38merge_sort_block_merge_config_selectorIffEEZZNS1_27merge_sort_block_merge_implIS3_N6thrust23THRUST_200600_302600_NS6detail15normal_iteratorINS8_10device_ptrIfEEEESD_jNS1_19radix_merge_compareILb0ELb0EfNS0_19identity_decomposerEEEEE10hipError_tT0_T1_T2_jT3_P12ihipStream_tbPNSt15iterator_traitsISI_E10value_typeEPNSO_ISJ_E10value_typeEPSK_NS1_7vsmem_tEENKUlT_SI_SJ_SK_E_clIPfSD_S10_SD_EESH_SX_SI_SJ_SK_EUlSX_E0_NS1_11comp_targetILNS1_3genE8ELNS1_11target_archE1030ELNS1_3gpuE2ELNS1_3repE0EEENS1_38merge_mergepath_config_static_selectorELNS0_4arch9wavefront6targetE1EEEvSJ_.uses_flat_scratch, 0
	.set _ZN7rocprim17ROCPRIM_400000_NS6detail17trampoline_kernelINS0_14default_configENS1_38merge_sort_block_merge_config_selectorIffEEZZNS1_27merge_sort_block_merge_implIS3_N6thrust23THRUST_200600_302600_NS6detail15normal_iteratorINS8_10device_ptrIfEEEESD_jNS1_19radix_merge_compareILb0ELb0EfNS0_19identity_decomposerEEEEE10hipError_tT0_T1_T2_jT3_P12ihipStream_tbPNSt15iterator_traitsISI_E10value_typeEPNSO_ISJ_E10value_typeEPSK_NS1_7vsmem_tEENKUlT_SI_SJ_SK_E_clIPfSD_S10_SD_EESH_SX_SI_SJ_SK_EUlSX_E0_NS1_11comp_targetILNS1_3genE8ELNS1_11target_archE1030ELNS1_3gpuE2ELNS1_3repE0EEENS1_38merge_mergepath_config_static_selectorELNS0_4arch9wavefront6targetE1EEEvSJ_.has_dyn_sized_stack, 0
	.set _ZN7rocprim17ROCPRIM_400000_NS6detail17trampoline_kernelINS0_14default_configENS1_38merge_sort_block_merge_config_selectorIffEEZZNS1_27merge_sort_block_merge_implIS3_N6thrust23THRUST_200600_302600_NS6detail15normal_iteratorINS8_10device_ptrIfEEEESD_jNS1_19radix_merge_compareILb0ELb0EfNS0_19identity_decomposerEEEEE10hipError_tT0_T1_T2_jT3_P12ihipStream_tbPNSt15iterator_traitsISI_E10value_typeEPNSO_ISJ_E10value_typeEPSK_NS1_7vsmem_tEENKUlT_SI_SJ_SK_E_clIPfSD_S10_SD_EESH_SX_SI_SJ_SK_EUlSX_E0_NS1_11comp_targetILNS1_3genE8ELNS1_11target_archE1030ELNS1_3gpuE2ELNS1_3repE0EEENS1_38merge_mergepath_config_static_selectorELNS0_4arch9wavefront6targetE1EEEvSJ_.has_recursion, 0
	.set _ZN7rocprim17ROCPRIM_400000_NS6detail17trampoline_kernelINS0_14default_configENS1_38merge_sort_block_merge_config_selectorIffEEZZNS1_27merge_sort_block_merge_implIS3_N6thrust23THRUST_200600_302600_NS6detail15normal_iteratorINS8_10device_ptrIfEEEESD_jNS1_19radix_merge_compareILb0ELb0EfNS0_19identity_decomposerEEEEE10hipError_tT0_T1_T2_jT3_P12ihipStream_tbPNSt15iterator_traitsISI_E10value_typeEPNSO_ISJ_E10value_typeEPSK_NS1_7vsmem_tEENKUlT_SI_SJ_SK_E_clIPfSD_S10_SD_EESH_SX_SI_SJ_SK_EUlSX_E0_NS1_11comp_targetILNS1_3genE8ELNS1_11target_archE1030ELNS1_3gpuE2ELNS1_3repE0EEENS1_38merge_mergepath_config_static_selectorELNS0_4arch9wavefront6targetE1EEEvSJ_.has_indirect_call, 0
	.section	.AMDGPU.csdata,"",@progbits
; Kernel info:
; codeLenInByte = 0
; TotalNumSgprs: 6
; NumVgprs: 0
; NumAgprs: 0
; TotalNumVgprs: 0
; ScratchSize: 0
; MemoryBound: 0
; FloatMode: 240
; IeeeMode: 1
; LDSByteSize: 0 bytes/workgroup (compile time only)
; SGPRBlocks: 0
; VGPRBlocks: 0
; NumSGPRsForWavesPerEU: 6
; NumVGPRsForWavesPerEU: 1
; AccumOffset: 4
; Occupancy: 8
; WaveLimiterHint : 0
; COMPUTE_PGM_RSRC2:SCRATCH_EN: 0
; COMPUTE_PGM_RSRC2:USER_SGPR: 2
; COMPUTE_PGM_RSRC2:TRAP_HANDLER: 0
; COMPUTE_PGM_RSRC2:TGID_X_EN: 1
; COMPUTE_PGM_RSRC2:TGID_Y_EN: 0
; COMPUTE_PGM_RSRC2:TGID_Z_EN: 0
; COMPUTE_PGM_RSRC2:TIDIG_COMP_CNT: 0
; COMPUTE_PGM_RSRC3_GFX90A:ACCUM_OFFSET: 0
; COMPUTE_PGM_RSRC3_GFX90A:TG_SPLIT: 0
	.section	.text._ZN7rocprim17ROCPRIM_400000_NS6detail17trampoline_kernelINS0_14default_configENS1_38merge_sort_block_merge_config_selectorIffEEZZNS1_27merge_sort_block_merge_implIS3_N6thrust23THRUST_200600_302600_NS6detail15normal_iteratorINS8_10device_ptrIfEEEESD_jNS1_19radix_merge_compareILb0ELb0EfNS0_19identity_decomposerEEEEE10hipError_tT0_T1_T2_jT3_P12ihipStream_tbPNSt15iterator_traitsISI_E10value_typeEPNSO_ISJ_E10value_typeEPSK_NS1_7vsmem_tEENKUlT_SI_SJ_SK_E_clIPfSD_S10_SD_EESH_SX_SI_SJ_SK_EUlSX_E1_NS1_11comp_targetILNS1_3genE0ELNS1_11target_archE4294967295ELNS1_3gpuE0ELNS1_3repE0EEENS1_36merge_oddeven_config_static_selectorELNS0_4arch9wavefront6targetE1EEEvSJ_,"axG",@progbits,_ZN7rocprim17ROCPRIM_400000_NS6detail17trampoline_kernelINS0_14default_configENS1_38merge_sort_block_merge_config_selectorIffEEZZNS1_27merge_sort_block_merge_implIS3_N6thrust23THRUST_200600_302600_NS6detail15normal_iteratorINS8_10device_ptrIfEEEESD_jNS1_19radix_merge_compareILb0ELb0EfNS0_19identity_decomposerEEEEE10hipError_tT0_T1_T2_jT3_P12ihipStream_tbPNSt15iterator_traitsISI_E10value_typeEPNSO_ISJ_E10value_typeEPSK_NS1_7vsmem_tEENKUlT_SI_SJ_SK_E_clIPfSD_S10_SD_EESH_SX_SI_SJ_SK_EUlSX_E1_NS1_11comp_targetILNS1_3genE0ELNS1_11target_archE4294967295ELNS1_3gpuE0ELNS1_3repE0EEENS1_36merge_oddeven_config_static_selectorELNS0_4arch9wavefront6targetE1EEEvSJ_,comdat
	.protected	_ZN7rocprim17ROCPRIM_400000_NS6detail17trampoline_kernelINS0_14default_configENS1_38merge_sort_block_merge_config_selectorIffEEZZNS1_27merge_sort_block_merge_implIS3_N6thrust23THRUST_200600_302600_NS6detail15normal_iteratorINS8_10device_ptrIfEEEESD_jNS1_19radix_merge_compareILb0ELb0EfNS0_19identity_decomposerEEEEE10hipError_tT0_T1_T2_jT3_P12ihipStream_tbPNSt15iterator_traitsISI_E10value_typeEPNSO_ISJ_E10value_typeEPSK_NS1_7vsmem_tEENKUlT_SI_SJ_SK_E_clIPfSD_S10_SD_EESH_SX_SI_SJ_SK_EUlSX_E1_NS1_11comp_targetILNS1_3genE0ELNS1_11target_archE4294967295ELNS1_3gpuE0ELNS1_3repE0EEENS1_36merge_oddeven_config_static_selectorELNS0_4arch9wavefront6targetE1EEEvSJ_ ; -- Begin function _ZN7rocprim17ROCPRIM_400000_NS6detail17trampoline_kernelINS0_14default_configENS1_38merge_sort_block_merge_config_selectorIffEEZZNS1_27merge_sort_block_merge_implIS3_N6thrust23THRUST_200600_302600_NS6detail15normal_iteratorINS8_10device_ptrIfEEEESD_jNS1_19radix_merge_compareILb0ELb0EfNS0_19identity_decomposerEEEEE10hipError_tT0_T1_T2_jT3_P12ihipStream_tbPNSt15iterator_traitsISI_E10value_typeEPNSO_ISJ_E10value_typeEPSK_NS1_7vsmem_tEENKUlT_SI_SJ_SK_E_clIPfSD_S10_SD_EESH_SX_SI_SJ_SK_EUlSX_E1_NS1_11comp_targetILNS1_3genE0ELNS1_11target_archE4294967295ELNS1_3gpuE0ELNS1_3repE0EEENS1_36merge_oddeven_config_static_selectorELNS0_4arch9wavefront6targetE1EEEvSJ_
	.globl	_ZN7rocprim17ROCPRIM_400000_NS6detail17trampoline_kernelINS0_14default_configENS1_38merge_sort_block_merge_config_selectorIffEEZZNS1_27merge_sort_block_merge_implIS3_N6thrust23THRUST_200600_302600_NS6detail15normal_iteratorINS8_10device_ptrIfEEEESD_jNS1_19radix_merge_compareILb0ELb0EfNS0_19identity_decomposerEEEEE10hipError_tT0_T1_T2_jT3_P12ihipStream_tbPNSt15iterator_traitsISI_E10value_typeEPNSO_ISJ_E10value_typeEPSK_NS1_7vsmem_tEENKUlT_SI_SJ_SK_E_clIPfSD_S10_SD_EESH_SX_SI_SJ_SK_EUlSX_E1_NS1_11comp_targetILNS1_3genE0ELNS1_11target_archE4294967295ELNS1_3gpuE0ELNS1_3repE0EEENS1_36merge_oddeven_config_static_selectorELNS0_4arch9wavefront6targetE1EEEvSJ_
	.p2align	8
	.type	_ZN7rocprim17ROCPRIM_400000_NS6detail17trampoline_kernelINS0_14default_configENS1_38merge_sort_block_merge_config_selectorIffEEZZNS1_27merge_sort_block_merge_implIS3_N6thrust23THRUST_200600_302600_NS6detail15normal_iteratorINS8_10device_ptrIfEEEESD_jNS1_19radix_merge_compareILb0ELb0EfNS0_19identity_decomposerEEEEE10hipError_tT0_T1_T2_jT3_P12ihipStream_tbPNSt15iterator_traitsISI_E10value_typeEPNSO_ISJ_E10value_typeEPSK_NS1_7vsmem_tEENKUlT_SI_SJ_SK_E_clIPfSD_S10_SD_EESH_SX_SI_SJ_SK_EUlSX_E1_NS1_11comp_targetILNS1_3genE0ELNS1_11target_archE4294967295ELNS1_3gpuE0ELNS1_3repE0EEENS1_36merge_oddeven_config_static_selectorELNS0_4arch9wavefront6targetE1EEEvSJ_,@function
_ZN7rocprim17ROCPRIM_400000_NS6detail17trampoline_kernelINS0_14default_configENS1_38merge_sort_block_merge_config_selectorIffEEZZNS1_27merge_sort_block_merge_implIS3_N6thrust23THRUST_200600_302600_NS6detail15normal_iteratorINS8_10device_ptrIfEEEESD_jNS1_19radix_merge_compareILb0ELb0EfNS0_19identity_decomposerEEEEE10hipError_tT0_T1_T2_jT3_P12ihipStream_tbPNSt15iterator_traitsISI_E10value_typeEPNSO_ISJ_E10value_typeEPSK_NS1_7vsmem_tEENKUlT_SI_SJ_SK_E_clIPfSD_S10_SD_EESH_SX_SI_SJ_SK_EUlSX_E1_NS1_11comp_targetILNS1_3genE0ELNS1_11target_archE4294967295ELNS1_3gpuE0ELNS1_3repE0EEENS1_36merge_oddeven_config_static_selectorELNS0_4arch9wavefront6targetE1EEEvSJ_: ; @_ZN7rocprim17ROCPRIM_400000_NS6detail17trampoline_kernelINS0_14default_configENS1_38merge_sort_block_merge_config_selectorIffEEZZNS1_27merge_sort_block_merge_implIS3_N6thrust23THRUST_200600_302600_NS6detail15normal_iteratorINS8_10device_ptrIfEEEESD_jNS1_19radix_merge_compareILb0ELb0EfNS0_19identity_decomposerEEEEE10hipError_tT0_T1_T2_jT3_P12ihipStream_tbPNSt15iterator_traitsISI_E10value_typeEPNSO_ISJ_E10value_typeEPSK_NS1_7vsmem_tEENKUlT_SI_SJ_SK_E_clIPfSD_S10_SD_EESH_SX_SI_SJ_SK_EUlSX_E1_NS1_11comp_targetILNS1_3genE0ELNS1_11target_archE4294967295ELNS1_3gpuE0ELNS1_3repE0EEENS1_36merge_oddeven_config_static_selectorELNS0_4arch9wavefront6targetE1EEEvSJ_
; %bb.0:
	s_load_dword s18, s[0:1], 0x20
	s_waitcnt lgkmcnt(0)
	s_lshr_b32 s3, s18, 8
	s_cmp_eq_u32 s2, s3
	s_cselect_b64 s[6:7], -1, 0
	s_cmp_lg_u32 s2, s3
	s_cselect_b64 s[8:9], -1, 0
	s_lshl_b32 s16, s2, 8
	s_sub_i32 s3, s18, s16
	v_cmp_gt_u32_e64 s[4:5], s3, v0
	s_or_b64 s[8:9], s[8:9], s[4:5]
	s_and_saveexec_b64 s[10:11], s[8:9]
	s_cbranch_execz .LBB237_24
; %bb.1:
	s_load_dwordx8 s[8:15], s[0:1], 0x0
	s_mov_b32 s17, 0
	s_lshl_b64 s[20:21], s[16:17], 2
	v_lshlrev_b32_e32 v1, 2, v0
	s_load_dword s17, s[0:1], 0x24
	s_waitcnt lgkmcnt(0)
	s_add_u32 s22, s8, s20
	s_addc_u32 s23, s9, s21
	s_add_u32 s12, s12, s20
	s_addc_u32 s13, s13, s21
	global_load_dword v2, v1, s[12:13]
	global_load_dword v3, v1, s[22:23]
	s_lshr_b32 s0, s17, 8
	s_sub_i32 s1, 0, s0
	s_and_b32 s1, s2, s1
	s_and_b32 s0, s1, s0
	s_lshl_b32 s19, s1, 8
	s_sub_i32 s12, 0, s17
	s_cmp_eq_u32 s0, 0
	s_cselect_b64 s[0:1], -1, 0
	s_and_b64 s[2:3], s[0:1], exec
	s_cselect_b32 s12, s17, s12
	s_add_i32 s12, s12, s19
	s_mov_b64 s[2:3], -1
	s_cmp_gt_u32 s18, s12
	v_add_u32_e32 v0, s16, v0
	s_cbranch_scc1 .LBB237_9
; %bb.2:
	s_and_b64 vcc, exec, s[6:7]
	s_cbranch_vccz .LBB237_6
; %bb.3:
	v_cmp_gt_u32_e32 vcc, s18, v0
	s_and_saveexec_b64 s[2:3], vcc
	s_cbranch_execz .LBB237_5
; %bb.4:
	v_mov_b32_e32 v1, 0
	v_lshlrev_b64 v[4:5], 2, v[0:1]
	v_lshl_add_u64 v[6:7], s[10:11], 0, v[4:5]
	v_lshl_add_u64 v[4:5], s[14:15], 0, v[4:5]
	s_waitcnt vmcnt(0)
	global_store_dword v[6:7], v3, off
	global_store_dword v[4:5], v2, off
.LBB237_5:
	s_or_b64 exec, exec, s[2:3]
	s_mov_b64 s[2:3], 0
.LBB237_6:
	s_andn2_b64 vcc, exec, s[2:3]
	s_cbranch_vccnz .LBB237_8
; %bb.7:
	v_mov_b32_e32 v1, 0
	v_lshlrev_b64 v[4:5], 2, v[0:1]
	v_lshl_add_u64 v[6:7], s[10:11], 0, v[4:5]
	v_lshl_add_u64 v[4:5], s[14:15], 0, v[4:5]
	s_waitcnt vmcnt(0)
	global_store_dword v[6:7], v3, off
	global_store_dword v[4:5], v2, off
.LBB237_8:
	s_mov_b64 s[2:3], 0
.LBB237_9:
	s_andn2_b64 vcc, exec, s[2:3]
	s_cbranch_vccnz .LBB237_24
; %bb.10:
	s_min_u32 s13, s12, s18
	s_add_i32 s2, s13, s17
	s_min_u32 s16, s2, s18
	s_min_u32 s2, s19, s13
	s_add_i32 s19, s19, s13
	v_subrev_u32_e32 v0, s19, v0
	v_add_u32_e32 v4, s2, v0
	s_waitcnt vmcnt(0)
	v_add_f32_e32 v0, 0, v3
	v_ashrrev_i32_e32 v1, 31, v0
	s_brev_b32 s2, 1
	v_bitop3_b32 v5, v1, v0, s2 bitop3:0x36
	s_mov_b64 s[2:3], -1
	s_and_b64 vcc, exec, s[6:7]
	s_cbranch_vccz .LBB237_18
; %bb.11:
	s_and_saveexec_b64 s[2:3], s[4:5]
	s_cbranch_execz .LBB237_17
; %bb.12:
	s_cmp_ge_u32 s12, s16
	v_mov_b32_e32 v6, s13
	s_cbranch_scc1 .LBB237_16
; %bb.13:
	s_mov_b64 s[4:5], 0
	v_mov_b32_e32 v7, s16
	v_mov_b32_e32 v6, s13
	v_mov_b32_e32 v1, 0
	s_brev_b32 s6, 1
.LBB237_14:                             ; =>This Inner Loop Header: Depth=1
	v_add_u32_e32 v0, v6, v7
	v_lshrrev_b32_e32 v0, 1, v0
	v_lshl_add_u64 v[8:9], v[0:1], 2, s[8:9]
	global_load_dword v8, v[8:9], off
	v_add_u32_e32 v9, 1, v0
	s_waitcnt vmcnt(0)
	v_add_f32_e32 v8, 0, v8
	v_ashrrev_i32_e32 v10, 31, v8
	v_bitop3_b32 v8, v10, v8, s6 bitop3:0x36
	v_cmp_gt_u32_e32 vcc, v5, v8
	s_nop 1
	v_cndmask_b32_e64 v10, 0, 1, vcc
	v_cmp_le_u32_e32 vcc, v8, v5
	s_nop 1
	v_cndmask_b32_e64 v8, 0, 1, vcc
	v_cndmask_b32_e64 v8, v8, v10, s[0:1]
	v_and_b32_e32 v8, 1, v8
	v_cmp_eq_u32_e32 vcc, 1, v8
	s_nop 1
	v_cndmask_b32_e32 v7, v0, v7, vcc
	v_cndmask_b32_e32 v6, v6, v9, vcc
	v_cmp_ge_u32_e32 vcc, v6, v7
	s_or_b64 s[4:5], vcc, s[4:5]
	s_andn2_b64 exec, exec, s[4:5]
	s_cbranch_execnz .LBB237_14
; %bb.15:
	s_or_b64 exec, exec, s[4:5]
.LBB237_16:
	v_add_u32_e32 v0, v6, v4
	v_mov_b32_e32 v1, 0
	v_lshlrev_b64 v[0:1], 2, v[0:1]
	v_lshl_add_u64 v[6:7], s[10:11], 0, v[0:1]
	v_lshl_add_u64 v[0:1], s[14:15], 0, v[0:1]
	global_store_dword v[6:7], v3, off
	global_store_dword v[0:1], v2, off
.LBB237_17:
	s_or_b64 exec, exec, s[2:3]
	s_mov_b64 s[2:3], 0
.LBB237_18:
	s_andn2_b64 vcc, exec, s[2:3]
	s_cbranch_vccnz .LBB237_24
; %bb.19:
	s_cmp_ge_u32 s12, s16
	v_mov_b32_e32 v6, s13
	s_cbranch_scc1 .LBB237_23
; %bb.20:
	s_mov_b64 s[2:3], 0
	v_mov_b32_e32 v7, s16
	v_mov_b32_e32 v6, s13
	;; [unrolled: 1-line block ×3, first 2 shown]
	s_brev_b32 s4, 1
.LBB237_21:                             ; =>This Inner Loop Header: Depth=1
	v_add_u32_e32 v0, v6, v7
	v_lshrrev_b32_e32 v0, 1, v0
	v_lshl_add_u64 v[8:9], v[0:1], 2, s[8:9]
	global_load_dword v8, v[8:9], off
	v_add_u32_e32 v9, 1, v0
	s_waitcnt vmcnt(0)
	v_add_f32_e32 v8, 0, v8
	v_ashrrev_i32_e32 v10, 31, v8
	v_bitop3_b32 v8, v10, v8, s4 bitop3:0x36
	v_cmp_gt_u32_e32 vcc, v5, v8
	s_nop 1
	v_cndmask_b32_e64 v10, 0, 1, vcc
	v_cmp_le_u32_e32 vcc, v8, v5
	s_nop 1
	v_cndmask_b32_e64 v8, 0, 1, vcc
	v_cndmask_b32_e64 v8, v8, v10, s[0:1]
	v_and_b32_e32 v8, 1, v8
	v_cmp_eq_u32_e32 vcc, 1, v8
	s_nop 1
	v_cndmask_b32_e32 v7, v0, v7, vcc
	v_cndmask_b32_e32 v6, v6, v9, vcc
	v_cmp_ge_u32_e32 vcc, v6, v7
	s_or_b64 s[2:3], vcc, s[2:3]
	s_andn2_b64 exec, exec, s[2:3]
	s_cbranch_execnz .LBB237_21
; %bb.22:
	s_or_b64 exec, exec, s[2:3]
.LBB237_23:
	v_add_u32_e32 v0, v6, v4
	v_mov_b32_e32 v1, 0
	v_lshlrev_b64 v[0:1], 2, v[0:1]
	v_lshl_add_u64 v[4:5], s[10:11], 0, v[0:1]
	v_lshl_add_u64 v[0:1], s[14:15], 0, v[0:1]
	global_store_dword v[4:5], v3, off
	global_store_dword v[0:1], v2, off
.LBB237_24:
	s_endpgm
	.section	.rodata,"a",@progbits
	.p2align	6, 0x0
	.amdhsa_kernel _ZN7rocprim17ROCPRIM_400000_NS6detail17trampoline_kernelINS0_14default_configENS1_38merge_sort_block_merge_config_selectorIffEEZZNS1_27merge_sort_block_merge_implIS3_N6thrust23THRUST_200600_302600_NS6detail15normal_iteratorINS8_10device_ptrIfEEEESD_jNS1_19radix_merge_compareILb0ELb0EfNS0_19identity_decomposerEEEEE10hipError_tT0_T1_T2_jT3_P12ihipStream_tbPNSt15iterator_traitsISI_E10value_typeEPNSO_ISJ_E10value_typeEPSK_NS1_7vsmem_tEENKUlT_SI_SJ_SK_E_clIPfSD_S10_SD_EESH_SX_SI_SJ_SK_EUlSX_E1_NS1_11comp_targetILNS1_3genE0ELNS1_11target_archE4294967295ELNS1_3gpuE0ELNS1_3repE0EEENS1_36merge_oddeven_config_static_selectorELNS0_4arch9wavefront6targetE1EEEvSJ_
		.amdhsa_group_segment_fixed_size 0
		.amdhsa_private_segment_fixed_size 0
		.amdhsa_kernarg_size 48
		.amdhsa_user_sgpr_count 2
		.amdhsa_user_sgpr_dispatch_ptr 0
		.amdhsa_user_sgpr_queue_ptr 0
		.amdhsa_user_sgpr_kernarg_segment_ptr 1
		.amdhsa_user_sgpr_dispatch_id 0
		.amdhsa_user_sgpr_kernarg_preload_length 0
		.amdhsa_user_sgpr_kernarg_preload_offset 0
		.amdhsa_user_sgpr_private_segment_size 0
		.amdhsa_uses_dynamic_stack 0
		.amdhsa_enable_private_segment 0
		.amdhsa_system_sgpr_workgroup_id_x 1
		.amdhsa_system_sgpr_workgroup_id_y 0
		.amdhsa_system_sgpr_workgroup_id_z 0
		.amdhsa_system_sgpr_workgroup_info 0
		.amdhsa_system_vgpr_workitem_id 0
		.amdhsa_next_free_vgpr 11
		.amdhsa_next_free_sgpr 24
		.amdhsa_accum_offset 12
		.amdhsa_reserve_vcc 1
		.amdhsa_float_round_mode_32 0
		.amdhsa_float_round_mode_16_64 0
		.amdhsa_float_denorm_mode_32 3
		.amdhsa_float_denorm_mode_16_64 3
		.amdhsa_dx10_clamp 1
		.amdhsa_ieee_mode 1
		.amdhsa_fp16_overflow 0
		.amdhsa_tg_split 0
		.amdhsa_exception_fp_ieee_invalid_op 0
		.amdhsa_exception_fp_denorm_src 0
		.amdhsa_exception_fp_ieee_div_zero 0
		.amdhsa_exception_fp_ieee_overflow 0
		.amdhsa_exception_fp_ieee_underflow 0
		.amdhsa_exception_fp_ieee_inexact 0
		.amdhsa_exception_int_div_zero 0
	.end_amdhsa_kernel
	.section	.text._ZN7rocprim17ROCPRIM_400000_NS6detail17trampoline_kernelINS0_14default_configENS1_38merge_sort_block_merge_config_selectorIffEEZZNS1_27merge_sort_block_merge_implIS3_N6thrust23THRUST_200600_302600_NS6detail15normal_iteratorINS8_10device_ptrIfEEEESD_jNS1_19radix_merge_compareILb0ELb0EfNS0_19identity_decomposerEEEEE10hipError_tT0_T1_T2_jT3_P12ihipStream_tbPNSt15iterator_traitsISI_E10value_typeEPNSO_ISJ_E10value_typeEPSK_NS1_7vsmem_tEENKUlT_SI_SJ_SK_E_clIPfSD_S10_SD_EESH_SX_SI_SJ_SK_EUlSX_E1_NS1_11comp_targetILNS1_3genE0ELNS1_11target_archE4294967295ELNS1_3gpuE0ELNS1_3repE0EEENS1_36merge_oddeven_config_static_selectorELNS0_4arch9wavefront6targetE1EEEvSJ_,"axG",@progbits,_ZN7rocprim17ROCPRIM_400000_NS6detail17trampoline_kernelINS0_14default_configENS1_38merge_sort_block_merge_config_selectorIffEEZZNS1_27merge_sort_block_merge_implIS3_N6thrust23THRUST_200600_302600_NS6detail15normal_iteratorINS8_10device_ptrIfEEEESD_jNS1_19radix_merge_compareILb0ELb0EfNS0_19identity_decomposerEEEEE10hipError_tT0_T1_T2_jT3_P12ihipStream_tbPNSt15iterator_traitsISI_E10value_typeEPNSO_ISJ_E10value_typeEPSK_NS1_7vsmem_tEENKUlT_SI_SJ_SK_E_clIPfSD_S10_SD_EESH_SX_SI_SJ_SK_EUlSX_E1_NS1_11comp_targetILNS1_3genE0ELNS1_11target_archE4294967295ELNS1_3gpuE0ELNS1_3repE0EEENS1_36merge_oddeven_config_static_selectorELNS0_4arch9wavefront6targetE1EEEvSJ_,comdat
.Lfunc_end237:
	.size	_ZN7rocprim17ROCPRIM_400000_NS6detail17trampoline_kernelINS0_14default_configENS1_38merge_sort_block_merge_config_selectorIffEEZZNS1_27merge_sort_block_merge_implIS3_N6thrust23THRUST_200600_302600_NS6detail15normal_iteratorINS8_10device_ptrIfEEEESD_jNS1_19radix_merge_compareILb0ELb0EfNS0_19identity_decomposerEEEEE10hipError_tT0_T1_T2_jT3_P12ihipStream_tbPNSt15iterator_traitsISI_E10value_typeEPNSO_ISJ_E10value_typeEPSK_NS1_7vsmem_tEENKUlT_SI_SJ_SK_E_clIPfSD_S10_SD_EESH_SX_SI_SJ_SK_EUlSX_E1_NS1_11comp_targetILNS1_3genE0ELNS1_11target_archE4294967295ELNS1_3gpuE0ELNS1_3repE0EEENS1_36merge_oddeven_config_static_selectorELNS0_4arch9wavefront6targetE1EEEvSJ_, .Lfunc_end237-_ZN7rocprim17ROCPRIM_400000_NS6detail17trampoline_kernelINS0_14default_configENS1_38merge_sort_block_merge_config_selectorIffEEZZNS1_27merge_sort_block_merge_implIS3_N6thrust23THRUST_200600_302600_NS6detail15normal_iteratorINS8_10device_ptrIfEEEESD_jNS1_19radix_merge_compareILb0ELb0EfNS0_19identity_decomposerEEEEE10hipError_tT0_T1_T2_jT3_P12ihipStream_tbPNSt15iterator_traitsISI_E10value_typeEPNSO_ISJ_E10value_typeEPSK_NS1_7vsmem_tEENKUlT_SI_SJ_SK_E_clIPfSD_S10_SD_EESH_SX_SI_SJ_SK_EUlSX_E1_NS1_11comp_targetILNS1_3genE0ELNS1_11target_archE4294967295ELNS1_3gpuE0ELNS1_3repE0EEENS1_36merge_oddeven_config_static_selectorELNS0_4arch9wavefront6targetE1EEEvSJ_
                                        ; -- End function
	.set _ZN7rocprim17ROCPRIM_400000_NS6detail17trampoline_kernelINS0_14default_configENS1_38merge_sort_block_merge_config_selectorIffEEZZNS1_27merge_sort_block_merge_implIS3_N6thrust23THRUST_200600_302600_NS6detail15normal_iteratorINS8_10device_ptrIfEEEESD_jNS1_19radix_merge_compareILb0ELb0EfNS0_19identity_decomposerEEEEE10hipError_tT0_T1_T2_jT3_P12ihipStream_tbPNSt15iterator_traitsISI_E10value_typeEPNSO_ISJ_E10value_typeEPSK_NS1_7vsmem_tEENKUlT_SI_SJ_SK_E_clIPfSD_S10_SD_EESH_SX_SI_SJ_SK_EUlSX_E1_NS1_11comp_targetILNS1_3genE0ELNS1_11target_archE4294967295ELNS1_3gpuE0ELNS1_3repE0EEENS1_36merge_oddeven_config_static_selectorELNS0_4arch9wavefront6targetE1EEEvSJ_.num_vgpr, 11
	.set _ZN7rocprim17ROCPRIM_400000_NS6detail17trampoline_kernelINS0_14default_configENS1_38merge_sort_block_merge_config_selectorIffEEZZNS1_27merge_sort_block_merge_implIS3_N6thrust23THRUST_200600_302600_NS6detail15normal_iteratorINS8_10device_ptrIfEEEESD_jNS1_19radix_merge_compareILb0ELb0EfNS0_19identity_decomposerEEEEE10hipError_tT0_T1_T2_jT3_P12ihipStream_tbPNSt15iterator_traitsISI_E10value_typeEPNSO_ISJ_E10value_typeEPSK_NS1_7vsmem_tEENKUlT_SI_SJ_SK_E_clIPfSD_S10_SD_EESH_SX_SI_SJ_SK_EUlSX_E1_NS1_11comp_targetILNS1_3genE0ELNS1_11target_archE4294967295ELNS1_3gpuE0ELNS1_3repE0EEENS1_36merge_oddeven_config_static_selectorELNS0_4arch9wavefront6targetE1EEEvSJ_.num_agpr, 0
	.set _ZN7rocprim17ROCPRIM_400000_NS6detail17trampoline_kernelINS0_14default_configENS1_38merge_sort_block_merge_config_selectorIffEEZZNS1_27merge_sort_block_merge_implIS3_N6thrust23THRUST_200600_302600_NS6detail15normal_iteratorINS8_10device_ptrIfEEEESD_jNS1_19radix_merge_compareILb0ELb0EfNS0_19identity_decomposerEEEEE10hipError_tT0_T1_T2_jT3_P12ihipStream_tbPNSt15iterator_traitsISI_E10value_typeEPNSO_ISJ_E10value_typeEPSK_NS1_7vsmem_tEENKUlT_SI_SJ_SK_E_clIPfSD_S10_SD_EESH_SX_SI_SJ_SK_EUlSX_E1_NS1_11comp_targetILNS1_3genE0ELNS1_11target_archE4294967295ELNS1_3gpuE0ELNS1_3repE0EEENS1_36merge_oddeven_config_static_selectorELNS0_4arch9wavefront6targetE1EEEvSJ_.numbered_sgpr, 24
	.set _ZN7rocprim17ROCPRIM_400000_NS6detail17trampoline_kernelINS0_14default_configENS1_38merge_sort_block_merge_config_selectorIffEEZZNS1_27merge_sort_block_merge_implIS3_N6thrust23THRUST_200600_302600_NS6detail15normal_iteratorINS8_10device_ptrIfEEEESD_jNS1_19radix_merge_compareILb0ELb0EfNS0_19identity_decomposerEEEEE10hipError_tT0_T1_T2_jT3_P12ihipStream_tbPNSt15iterator_traitsISI_E10value_typeEPNSO_ISJ_E10value_typeEPSK_NS1_7vsmem_tEENKUlT_SI_SJ_SK_E_clIPfSD_S10_SD_EESH_SX_SI_SJ_SK_EUlSX_E1_NS1_11comp_targetILNS1_3genE0ELNS1_11target_archE4294967295ELNS1_3gpuE0ELNS1_3repE0EEENS1_36merge_oddeven_config_static_selectorELNS0_4arch9wavefront6targetE1EEEvSJ_.num_named_barrier, 0
	.set _ZN7rocprim17ROCPRIM_400000_NS6detail17trampoline_kernelINS0_14default_configENS1_38merge_sort_block_merge_config_selectorIffEEZZNS1_27merge_sort_block_merge_implIS3_N6thrust23THRUST_200600_302600_NS6detail15normal_iteratorINS8_10device_ptrIfEEEESD_jNS1_19radix_merge_compareILb0ELb0EfNS0_19identity_decomposerEEEEE10hipError_tT0_T1_T2_jT3_P12ihipStream_tbPNSt15iterator_traitsISI_E10value_typeEPNSO_ISJ_E10value_typeEPSK_NS1_7vsmem_tEENKUlT_SI_SJ_SK_E_clIPfSD_S10_SD_EESH_SX_SI_SJ_SK_EUlSX_E1_NS1_11comp_targetILNS1_3genE0ELNS1_11target_archE4294967295ELNS1_3gpuE0ELNS1_3repE0EEENS1_36merge_oddeven_config_static_selectorELNS0_4arch9wavefront6targetE1EEEvSJ_.private_seg_size, 0
	.set _ZN7rocprim17ROCPRIM_400000_NS6detail17trampoline_kernelINS0_14default_configENS1_38merge_sort_block_merge_config_selectorIffEEZZNS1_27merge_sort_block_merge_implIS3_N6thrust23THRUST_200600_302600_NS6detail15normal_iteratorINS8_10device_ptrIfEEEESD_jNS1_19radix_merge_compareILb0ELb0EfNS0_19identity_decomposerEEEEE10hipError_tT0_T1_T2_jT3_P12ihipStream_tbPNSt15iterator_traitsISI_E10value_typeEPNSO_ISJ_E10value_typeEPSK_NS1_7vsmem_tEENKUlT_SI_SJ_SK_E_clIPfSD_S10_SD_EESH_SX_SI_SJ_SK_EUlSX_E1_NS1_11comp_targetILNS1_3genE0ELNS1_11target_archE4294967295ELNS1_3gpuE0ELNS1_3repE0EEENS1_36merge_oddeven_config_static_selectorELNS0_4arch9wavefront6targetE1EEEvSJ_.uses_vcc, 1
	.set _ZN7rocprim17ROCPRIM_400000_NS6detail17trampoline_kernelINS0_14default_configENS1_38merge_sort_block_merge_config_selectorIffEEZZNS1_27merge_sort_block_merge_implIS3_N6thrust23THRUST_200600_302600_NS6detail15normal_iteratorINS8_10device_ptrIfEEEESD_jNS1_19radix_merge_compareILb0ELb0EfNS0_19identity_decomposerEEEEE10hipError_tT0_T1_T2_jT3_P12ihipStream_tbPNSt15iterator_traitsISI_E10value_typeEPNSO_ISJ_E10value_typeEPSK_NS1_7vsmem_tEENKUlT_SI_SJ_SK_E_clIPfSD_S10_SD_EESH_SX_SI_SJ_SK_EUlSX_E1_NS1_11comp_targetILNS1_3genE0ELNS1_11target_archE4294967295ELNS1_3gpuE0ELNS1_3repE0EEENS1_36merge_oddeven_config_static_selectorELNS0_4arch9wavefront6targetE1EEEvSJ_.uses_flat_scratch, 0
	.set _ZN7rocprim17ROCPRIM_400000_NS6detail17trampoline_kernelINS0_14default_configENS1_38merge_sort_block_merge_config_selectorIffEEZZNS1_27merge_sort_block_merge_implIS3_N6thrust23THRUST_200600_302600_NS6detail15normal_iteratorINS8_10device_ptrIfEEEESD_jNS1_19radix_merge_compareILb0ELb0EfNS0_19identity_decomposerEEEEE10hipError_tT0_T1_T2_jT3_P12ihipStream_tbPNSt15iterator_traitsISI_E10value_typeEPNSO_ISJ_E10value_typeEPSK_NS1_7vsmem_tEENKUlT_SI_SJ_SK_E_clIPfSD_S10_SD_EESH_SX_SI_SJ_SK_EUlSX_E1_NS1_11comp_targetILNS1_3genE0ELNS1_11target_archE4294967295ELNS1_3gpuE0ELNS1_3repE0EEENS1_36merge_oddeven_config_static_selectorELNS0_4arch9wavefront6targetE1EEEvSJ_.has_dyn_sized_stack, 0
	.set _ZN7rocprim17ROCPRIM_400000_NS6detail17trampoline_kernelINS0_14default_configENS1_38merge_sort_block_merge_config_selectorIffEEZZNS1_27merge_sort_block_merge_implIS3_N6thrust23THRUST_200600_302600_NS6detail15normal_iteratorINS8_10device_ptrIfEEEESD_jNS1_19radix_merge_compareILb0ELb0EfNS0_19identity_decomposerEEEEE10hipError_tT0_T1_T2_jT3_P12ihipStream_tbPNSt15iterator_traitsISI_E10value_typeEPNSO_ISJ_E10value_typeEPSK_NS1_7vsmem_tEENKUlT_SI_SJ_SK_E_clIPfSD_S10_SD_EESH_SX_SI_SJ_SK_EUlSX_E1_NS1_11comp_targetILNS1_3genE0ELNS1_11target_archE4294967295ELNS1_3gpuE0ELNS1_3repE0EEENS1_36merge_oddeven_config_static_selectorELNS0_4arch9wavefront6targetE1EEEvSJ_.has_recursion, 0
	.set _ZN7rocprim17ROCPRIM_400000_NS6detail17trampoline_kernelINS0_14default_configENS1_38merge_sort_block_merge_config_selectorIffEEZZNS1_27merge_sort_block_merge_implIS3_N6thrust23THRUST_200600_302600_NS6detail15normal_iteratorINS8_10device_ptrIfEEEESD_jNS1_19radix_merge_compareILb0ELb0EfNS0_19identity_decomposerEEEEE10hipError_tT0_T1_T2_jT3_P12ihipStream_tbPNSt15iterator_traitsISI_E10value_typeEPNSO_ISJ_E10value_typeEPSK_NS1_7vsmem_tEENKUlT_SI_SJ_SK_E_clIPfSD_S10_SD_EESH_SX_SI_SJ_SK_EUlSX_E1_NS1_11comp_targetILNS1_3genE0ELNS1_11target_archE4294967295ELNS1_3gpuE0ELNS1_3repE0EEENS1_36merge_oddeven_config_static_selectorELNS0_4arch9wavefront6targetE1EEEvSJ_.has_indirect_call, 0
	.section	.AMDGPU.csdata,"",@progbits
; Kernel info:
; codeLenInByte = 836
; TotalNumSgprs: 30
; NumVgprs: 11
; NumAgprs: 0
; TotalNumVgprs: 11
; ScratchSize: 0
; MemoryBound: 0
; FloatMode: 240
; IeeeMode: 1
; LDSByteSize: 0 bytes/workgroup (compile time only)
; SGPRBlocks: 3
; VGPRBlocks: 1
; NumSGPRsForWavesPerEU: 30
; NumVGPRsForWavesPerEU: 11
; AccumOffset: 12
; Occupancy: 8
; WaveLimiterHint : 0
; COMPUTE_PGM_RSRC2:SCRATCH_EN: 0
; COMPUTE_PGM_RSRC2:USER_SGPR: 2
; COMPUTE_PGM_RSRC2:TRAP_HANDLER: 0
; COMPUTE_PGM_RSRC2:TGID_X_EN: 1
; COMPUTE_PGM_RSRC2:TGID_Y_EN: 0
; COMPUTE_PGM_RSRC2:TGID_Z_EN: 0
; COMPUTE_PGM_RSRC2:TIDIG_COMP_CNT: 0
; COMPUTE_PGM_RSRC3_GFX90A:ACCUM_OFFSET: 2
; COMPUTE_PGM_RSRC3_GFX90A:TG_SPLIT: 0
	.section	.text._ZN7rocprim17ROCPRIM_400000_NS6detail17trampoline_kernelINS0_14default_configENS1_38merge_sort_block_merge_config_selectorIffEEZZNS1_27merge_sort_block_merge_implIS3_N6thrust23THRUST_200600_302600_NS6detail15normal_iteratorINS8_10device_ptrIfEEEESD_jNS1_19radix_merge_compareILb0ELb0EfNS0_19identity_decomposerEEEEE10hipError_tT0_T1_T2_jT3_P12ihipStream_tbPNSt15iterator_traitsISI_E10value_typeEPNSO_ISJ_E10value_typeEPSK_NS1_7vsmem_tEENKUlT_SI_SJ_SK_E_clIPfSD_S10_SD_EESH_SX_SI_SJ_SK_EUlSX_E1_NS1_11comp_targetILNS1_3genE10ELNS1_11target_archE1201ELNS1_3gpuE5ELNS1_3repE0EEENS1_36merge_oddeven_config_static_selectorELNS0_4arch9wavefront6targetE1EEEvSJ_,"axG",@progbits,_ZN7rocprim17ROCPRIM_400000_NS6detail17trampoline_kernelINS0_14default_configENS1_38merge_sort_block_merge_config_selectorIffEEZZNS1_27merge_sort_block_merge_implIS3_N6thrust23THRUST_200600_302600_NS6detail15normal_iteratorINS8_10device_ptrIfEEEESD_jNS1_19radix_merge_compareILb0ELb0EfNS0_19identity_decomposerEEEEE10hipError_tT0_T1_T2_jT3_P12ihipStream_tbPNSt15iterator_traitsISI_E10value_typeEPNSO_ISJ_E10value_typeEPSK_NS1_7vsmem_tEENKUlT_SI_SJ_SK_E_clIPfSD_S10_SD_EESH_SX_SI_SJ_SK_EUlSX_E1_NS1_11comp_targetILNS1_3genE10ELNS1_11target_archE1201ELNS1_3gpuE5ELNS1_3repE0EEENS1_36merge_oddeven_config_static_selectorELNS0_4arch9wavefront6targetE1EEEvSJ_,comdat
	.protected	_ZN7rocprim17ROCPRIM_400000_NS6detail17trampoline_kernelINS0_14default_configENS1_38merge_sort_block_merge_config_selectorIffEEZZNS1_27merge_sort_block_merge_implIS3_N6thrust23THRUST_200600_302600_NS6detail15normal_iteratorINS8_10device_ptrIfEEEESD_jNS1_19radix_merge_compareILb0ELb0EfNS0_19identity_decomposerEEEEE10hipError_tT0_T1_T2_jT3_P12ihipStream_tbPNSt15iterator_traitsISI_E10value_typeEPNSO_ISJ_E10value_typeEPSK_NS1_7vsmem_tEENKUlT_SI_SJ_SK_E_clIPfSD_S10_SD_EESH_SX_SI_SJ_SK_EUlSX_E1_NS1_11comp_targetILNS1_3genE10ELNS1_11target_archE1201ELNS1_3gpuE5ELNS1_3repE0EEENS1_36merge_oddeven_config_static_selectorELNS0_4arch9wavefront6targetE1EEEvSJ_ ; -- Begin function _ZN7rocprim17ROCPRIM_400000_NS6detail17trampoline_kernelINS0_14default_configENS1_38merge_sort_block_merge_config_selectorIffEEZZNS1_27merge_sort_block_merge_implIS3_N6thrust23THRUST_200600_302600_NS6detail15normal_iteratorINS8_10device_ptrIfEEEESD_jNS1_19radix_merge_compareILb0ELb0EfNS0_19identity_decomposerEEEEE10hipError_tT0_T1_T2_jT3_P12ihipStream_tbPNSt15iterator_traitsISI_E10value_typeEPNSO_ISJ_E10value_typeEPSK_NS1_7vsmem_tEENKUlT_SI_SJ_SK_E_clIPfSD_S10_SD_EESH_SX_SI_SJ_SK_EUlSX_E1_NS1_11comp_targetILNS1_3genE10ELNS1_11target_archE1201ELNS1_3gpuE5ELNS1_3repE0EEENS1_36merge_oddeven_config_static_selectorELNS0_4arch9wavefront6targetE1EEEvSJ_
	.globl	_ZN7rocprim17ROCPRIM_400000_NS6detail17trampoline_kernelINS0_14default_configENS1_38merge_sort_block_merge_config_selectorIffEEZZNS1_27merge_sort_block_merge_implIS3_N6thrust23THRUST_200600_302600_NS6detail15normal_iteratorINS8_10device_ptrIfEEEESD_jNS1_19radix_merge_compareILb0ELb0EfNS0_19identity_decomposerEEEEE10hipError_tT0_T1_T2_jT3_P12ihipStream_tbPNSt15iterator_traitsISI_E10value_typeEPNSO_ISJ_E10value_typeEPSK_NS1_7vsmem_tEENKUlT_SI_SJ_SK_E_clIPfSD_S10_SD_EESH_SX_SI_SJ_SK_EUlSX_E1_NS1_11comp_targetILNS1_3genE10ELNS1_11target_archE1201ELNS1_3gpuE5ELNS1_3repE0EEENS1_36merge_oddeven_config_static_selectorELNS0_4arch9wavefront6targetE1EEEvSJ_
	.p2align	8
	.type	_ZN7rocprim17ROCPRIM_400000_NS6detail17trampoline_kernelINS0_14default_configENS1_38merge_sort_block_merge_config_selectorIffEEZZNS1_27merge_sort_block_merge_implIS3_N6thrust23THRUST_200600_302600_NS6detail15normal_iteratorINS8_10device_ptrIfEEEESD_jNS1_19radix_merge_compareILb0ELb0EfNS0_19identity_decomposerEEEEE10hipError_tT0_T1_T2_jT3_P12ihipStream_tbPNSt15iterator_traitsISI_E10value_typeEPNSO_ISJ_E10value_typeEPSK_NS1_7vsmem_tEENKUlT_SI_SJ_SK_E_clIPfSD_S10_SD_EESH_SX_SI_SJ_SK_EUlSX_E1_NS1_11comp_targetILNS1_3genE10ELNS1_11target_archE1201ELNS1_3gpuE5ELNS1_3repE0EEENS1_36merge_oddeven_config_static_selectorELNS0_4arch9wavefront6targetE1EEEvSJ_,@function
_ZN7rocprim17ROCPRIM_400000_NS6detail17trampoline_kernelINS0_14default_configENS1_38merge_sort_block_merge_config_selectorIffEEZZNS1_27merge_sort_block_merge_implIS3_N6thrust23THRUST_200600_302600_NS6detail15normal_iteratorINS8_10device_ptrIfEEEESD_jNS1_19radix_merge_compareILb0ELb0EfNS0_19identity_decomposerEEEEE10hipError_tT0_T1_T2_jT3_P12ihipStream_tbPNSt15iterator_traitsISI_E10value_typeEPNSO_ISJ_E10value_typeEPSK_NS1_7vsmem_tEENKUlT_SI_SJ_SK_E_clIPfSD_S10_SD_EESH_SX_SI_SJ_SK_EUlSX_E1_NS1_11comp_targetILNS1_3genE10ELNS1_11target_archE1201ELNS1_3gpuE5ELNS1_3repE0EEENS1_36merge_oddeven_config_static_selectorELNS0_4arch9wavefront6targetE1EEEvSJ_: ; @_ZN7rocprim17ROCPRIM_400000_NS6detail17trampoline_kernelINS0_14default_configENS1_38merge_sort_block_merge_config_selectorIffEEZZNS1_27merge_sort_block_merge_implIS3_N6thrust23THRUST_200600_302600_NS6detail15normal_iteratorINS8_10device_ptrIfEEEESD_jNS1_19radix_merge_compareILb0ELb0EfNS0_19identity_decomposerEEEEE10hipError_tT0_T1_T2_jT3_P12ihipStream_tbPNSt15iterator_traitsISI_E10value_typeEPNSO_ISJ_E10value_typeEPSK_NS1_7vsmem_tEENKUlT_SI_SJ_SK_E_clIPfSD_S10_SD_EESH_SX_SI_SJ_SK_EUlSX_E1_NS1_11comp_targetILNS1_3genE10ELNS1_11target_archE1201ELNS1_3gpuE5ELNS1_3repE0EEENS1_36merge_oddeven_config_static_selectorELNS0_4arch9wavefront6targetE1EEEvSJ_
; %bb.0:
	.section	.rodata,"a",@progbits
	.p2align	6, 0x0
	.amdhsa_kernel _ZN7rocprim17ROCPRIM_400000_NS6detail17trampoline_kernelINS0_14default_configENS1_38merge_sort_block_merge_config_selectorIffEEZZNS1_27merge_sort_block_merge_implIS3_N6thrust23THRUST_200600_302600_NS6detail15normal_iteratorINS8_10device_ptrIfEEEESD_jNS1_19radix_merge_compareILb0ELb0EfNS0_19identity_decomposerEEEEE10hipError_tT0_T1_T2_jT3_P12ihipStream_tbPNSt15iterator_traitsISI_E10value_typeEPNSO_ISJ_E10value_typeEPSK_NS1_7vsmem_tEENKUlT_SI_SJ_SK_E_clIPfSD_S10_SD_EESH_SX_SI_SJ_SK_EUlSX_E1_NS1_11comp_targetILNS1_3genE10ELNS1_11target_archE1201ELNS1_3gpuE5ELNS1_3repE0EEENS1_36merge_oddeven_config_static_selectorELNS0_4arch9wavefront6targetE1EEEvSJ_
		.amdhsa_group_segment_fixed_size 0
		.amdhsa_private_segment_fixed_size 0
		.amdhsa_kernarg_size 48
		.amdhsa_user_sgpr_count 2
		.amdhsa_user_sgpr_dispatch_ptr 0
		.amdhsa_user_sgpr_queue_ptr 0
		.amdhsa_user_sgpr_kernarg_segment_ptr 1
		.amdhsa_user_sgpr_dispatch_id 0
		.amdhsa_user_sgpr_kernarg_preload_length 0
		.amdhsa_user_sgpr_kernarg_preload_offset 0
		.amdhsa_user_sgpr_private_segment_size 0
		.amdhsa_uses_dynamic_stack 0
		.amdhsa_enable_private_segment 0
		.amdhsa_system_sgpr_workgroup_id_x 1
		.amdhsa_system_sgpr_workgroup_id_y 0
		.amdhsa_system_sgpr_workgroup_id_z 0
		.amdhsa_system_sgpr_workgroup_info 0
		.amdhsa_system_vgpr_workitem_id 0
		.amdhsa_next_free_vgpr 1
		.amdhsa_next_free_sgpr 0
		.amdhsa_accum_offset 4
		.amdhsa_reserve_vcc 0
		.amdhsa_float_round_mode_32 0
		.amdhsa_float_round_mode_16_64 0
		.amdhsa_float_denorm_mode_32 3
		.amdhsa_float_denorm_mode_16_64 3
		.amdhsa_dx10_clamp 1
		.amdhsa_ieee_mode 1
		.amdhsa_fp16_overflow 0
		.amdhsa_tg_split 0
		.amdhsa_exception_fp_ieee_invalid_op 0
		.amdhsa_exception_fp_denorm_src 0
		.amdhsa_exception_fp_ieee_div_zero 0
		.amdhsa_exception_fp_ieee_overflow 0
		.amdhsa_exception_fp_ieee_underflow 0
		.amdhsa_exception_fp_ieee_inexact 0
		.amdhsa_exception_int_div_zero 0
	.end_amdhsa_kernel
	.section	.text._ZN7rocprim17ROCPRIM_400000_NS6detail17trampoline_kernelINS0_14default_configENS1_38merge_sort_block_merge_config_selectorIffEEZZNS1_27merge_sort_block_merge_implIS3_N6thrust23THRUST_200600_302600_NS6detail15normal_iteratorINS8_10device_ptrIfEEEESD_jNS1_19radix_merge_compareILb0ELb0EfNS0_19identity_decomposerEEEEE10hipError_tT0_T1_T2_jT3_P12ihipStream_tbPNSt15iterator_traitsISI_E10value_typeEPNSO_ISJ_E10value_typeEPSK_NS1_7vsmem_tEENKUlT_SI_SJ_SK_E_clIPfSD_S10_SD_EESH_SX_SI_SJ_SK_EUlSX_E1_NS1_11comp_targetILNS1_3genE10ELNS1_11target_archE1201ELNS1_3gpuE5ELNS1_3repE0EEENS1_36merge_oddeven_config_static_selectorELNS0_4arch9wavefront6targetE1EEEvSJ_,"axG",@progbits,_ZN7rocprim17ROCPRIM_400000_NS6detail17trampoline_kernelINS0_14default_configENS1_38merge_sort_block_merge_config_selectorIffEEZZNS1_27merge_sort_block_merge_implIS3_N6thrust23THRUST_200600_302600_NS6detail15normal_iteratorINS8_10device_ptrIfEEEESD_jNS1_19radix_merge_compareILb0ELb0EfNS0_19identity_decomposerEEEEE10hipError_tT0_T1_T2_jT3_P12ihipStream_tbPNSt15iterator_traitsISI_E10value_typeEPNSO_ISJ_E10value_typeEPSK_NS1_7vsmem_tEENKUlT_SI_SJ_SK_E_clIPfSD_S10_SD_EESH_SX_SI_SJ_SK_EUlSX_E1_NS1_11comp_targetILNS1_3genE10ELNS1_11target_archE1201ELNS1_3gpuE5ELNS1_3repE0EEENS1_36merge_oddeven_config_static_selectorELNS0_4arch9wavefront6targetE1EEEvSJ_,comdat
.Lfunc_end238:
	.size	_ZN7rocprim17ROCPRIM_400000_NS6detail17trampoline_kernelINS0_14default_configENS1_38merge_sort_block_merge_config_selectorIffEEZZNS1_27merge_sort_block_merge_implIS3_N6thrust23THRUST_200600_302600_NS6detail15normal_iteratorINS8_10device_ptrIfEEEESD_jNS1_19radix_merge_compareILb0ELb0EfNS0_19identity_decomposerEEEEE10hipError_tT0_T1_T2_jT3_P12ihipStream_tbPNSt15iterator_traitsISI_E10value_typeEPNSO_ISJ_E10value_typeEPSK_NS1_7vsmem_tEENKUlT_SI_SJ_SK_E_clIPfSD_S10_SD_EESH_SX_SI_SJ_SK_EUlSX_E1_NS1_11comp_targetILNS1_3genE10ELNS1_11target_archE1201ELNS1_3gpuE5ELNS1_3repE0EEENS1_36merge_oddeven_config_static_selectorELNS0_4arch9wavefront6targetE1EEEvSJ_, .Lfunc_end238-_ZN7rocprim17ROCPRIM_400000_NS6detail17trampoline_kernelINS0_14default_configENS1_38merge_sort_block_merge_config_selectorIffEEZZNS1_27merge_sort_block_merge_implIS3_N6thrust23THRUST_200600_302600_NS6detail15normal_iteratorINS8_10device_ptrIfEEEESD_jNS1_19radix_merge_compareILb0ELb0EfNS0_19identity_decomposerEEEEE10hipError_tT0_T1_T2_jT3_P12ihipStream_tbPNSt15iterator_traitsISI_E10value_typeEPNSO_ISJ_E10value_typeEPSK_NS1_7vsmem_tEENKUlT_SI_SJ_SK_E_clIPfSD_S10_SD_EESH_SX_SI_SJ_SK_EUlSX_E1_NS1_11comp_targetILNS1_3genE10ELNS1_11target_archE1201ELNS1_3gpuE5ELNS1_3repE0EEENS1_36merge_oddeven_config_static_selectorELNS0_4arch9wavefront6targetE1EEEvSJ_
                                        ; -- End function
	.set _ZN7rocprim17ROCPRIM_400000_NS6detail17trampoline_kernelINS0_14default_configENS1_38merge_sort_block_merge_config_selectorIffEEZZNS1_27merge_sort_block_merge_implIS3_N6thrust23THRUST_200600_302600_NS6detail15normal_iteratorINS8_10device_ptrIfEEEESD_jNS1_19radix_merge_compareILb0ELb0EfNS0_19identity_decomposerEEEEE10hipError_tT0_T1_T2_jT3_P12ihipStream_tbPNSt15iterator_traitsISI_E10value_typeEPNSO_ISJ_E10value_typeEPSK_NS1_7vsmem_tEENKUlT_SI_SJ_SK_E_clIPfSD_S10_SD_EESH_SX_SI_SJ_SK_EUlSX_E1_NS1_11comp_targetILNS1_3genE10ELNS1_11target_archE1201ELNS1_3gpuE5ELNS1_3repE0EEENS1_36merge_oddeven_config_static_selectorELNS0_4arch9wavefront6targetE1EEEvSJ_.num_vgpr, 0
	.set _ZN7rocprim17ROCPRIM_400000_NS6detail17trampoline_kernelINS0_14default_configENS1_38merge_sort_block_merge_config_selectorIffEEZZNS1_27merge_sort_block_merge_implIS3_N6thrust23THRUST_200600_302600_NS6detail15normal_iteratorINS8_10device_ptrIfEEEESD_jNS1_19radix_merge_compareILb0ELb0EfNS0_19identity_decomposerEEEEE10hipError_tT0_T1_T2_jT3_P12ihipStream_tbPNSt15iterator_traitsISI_E10value_typeEPNSO_ISJ_E10value_typeEPSK_NS1_7vsmem_tEENKUlT_SI_SJ_SK_E_clIPfSD_S10_SD_EESH_SX_SI_SJ_SK_EUlSX_E1_NS1_11comp_targetILNS1_3genE10ELNS1_11target_archE1201ELNS1_3gpuE5ELNS1_3repE0EEENS1_36merge_oddeven_config_static_selectorELNS0_4arch9wavefront6targetE1EEEvSJ_.num_agpr, 0
	.set _ZN7rocprim17ROCPRIM_400000_NS6detail17trampoline_kernelINS0_14default_configENS1_38merge_sort_block_merge_config_selectorIffEEZZNS1_27merge_sort_block_merge_implIS3_N6thrust23THRUST_200600_302600_NS6detail15normal_iteratorINS8_10device_ptrIfEEEESD_jNS1_19radix_merge_compareILb0ELb0EfNS0_19identity_decomposerEEEEE10hipError_tT0_T1_T2_jT3_P12ihipStream_tbPNSt15iterator_traitsISI_E10value_typeEPNSO_ISJ_E10value_typeEPSK_NS1_7vsmem_tEENKUlT_SI_SJ_SK_E_clIPfSD_S10_SD_EESH_SX_SI_SJ_SK_EUlSX_E1_NS1_11comp_targetILNS1_3genE10ELNS1_11target_archE1201ELNS1_3gpuE5ELNS1_3repE0EEENS1_36merge_oddeven_config_static_selectorELNS0_4arch9wavefront6targetE1EEEvSJ_.numbered_sgpr, 0
	.set _ZN7rocprim17ROCPRIM_400000_NS6detail17trampoline_kernelINS0_14default_configENS1_38merge_sort_block_merge_config_selectorIffEEZZNS1_27merge_sort_block_merge_implIS3_N6thrust23THRUST_200600_302600_NS6detail15normal_iteratorINS8_10device_ptrIfEEEESD_jNS1_19radix_merge_compareILb0ELb0EfNS0_19identity_decomposerEEEEE10hipError_tT0_T1_T2_jT3_P12ihipStream_tbPNSt15iterator_traitsISI_E10value_typeEPNSO_ISJ_E10value_typeEPSK_NS1_7vsmem_tEENKUlT_SI_SJ_SK_E_clIPfSD_S10_SD_EESH_SX_SI_SJ_SK_EUlSX_E1_NS1_11comp_targetILNS1_3genE10ELNS1_11target_archE1201ELNS1_3gpuE5ELNS1_3repE0EEENS1_36merge_oddeven_config_static_selectorELNS0_4arch9wavefront6targetE1EEEvSJ_.num_named_barrier, 0
	.set _ZN7rocprim17ROCPRIM_400000_NS6detail17trampoline_kernelINS0_14default_configENS1_38merge_sort_block_merge_config_selectorIffEEZZNS1_27merge_sort_block_merge_implIS3_N6thrust23THRUST_200600_302600_NS6detail15normal_iteratorINS8_10device_ptrIfEEEESD_jNS1_19radix_merge_compareILb0ELb0EfNS0_19identity_decomposerEEEEE10hipError_tT0_T1_T2_jT3_P12ihipStream_tbPNSt15iterator_traitsISI_E10value_typeEPNSO_ISJ_E10value_typeEPSK_NS1_7vsmem_tEENKUlT_SI_SJ_SK_E_clIPfSD_S10_SD_EESH_SX_SI_SJ_SK_EUlSX_E1_NS1_11comp_targetILNS1_3genE10ELNS1_11target_archE1201ELNS1_3gpuE5ELNS1_3repE0EEENS1_36merge_oddeven_config_static_selectorELNS0_4arch9wavefront6targetE1EEEvSJ_.private_seg_size, 0
	.set _ZN7rocprim17ROCPRIM_400000_NS6detail17trampoline_kernelINS0_14default_configENS1_38merge_sort_block_merge_config_selectorIffEEZZNS1_27merge_sort_block_merge_implIS3_N6thrust23THRUST_200600_302600_NS6detail15normal_iteratorINS8_10device_ptrIfEEEESD_jNS1_19radix_merge_compareILb0ELb0EfNS0_19identity_decomposerEEEEE10hipError_tT0_T1_T2_jT3_P12ihipStream_tbPNSt15iterator_traitsISI_E10value_typeEPNSO_ISJ_E10value_typeEPSK_NS1_7vsmem_tEENKUlT_SI_SJ_SK_E_clIPfSD_S10_SD_EESH_SX_SI_SJ_SK_EUlSX_E1_NS1_11comp_targetILNS1_3genE10ELNS1_11target_archE1201ELNS1_3gpuE5ELNS1_3repE0EEENS1_36merge_oddeven_config_static_selectorELNS0_4arch9wavefront6targetE1EEEvSJ_.uses_vcc, 0
	.set _ZN7rocprim17ROCPRIM_400000_NS6detail17trampoline_kernelINS0_14default_configENS1_38merge_sort_block_merge_config_selectorIffEEZZNS1_27merge_sort_block_merge_implIS3_N6thrust23THRUST_200600_302600_NS6detail15normal_iteratorINS8_10device_ptrIfEEEESD_jNS1_19radix_merge_compareILb0ELb0EfNS0_19identity_decomposerEEEEE10hipError_tT0_T1_T2_jT3_P12ihipStream_tbPNSt15iterator_traitsISI_E10value_typeEPNSO_ISJ_E10value_typeEPSK_NS1_7vsmem_tEENKUlT_SI_SJ_SK_E_clIPfSD_S10_SD_EESH_SX_SI_SJ_SK_EUlSX_E1_NS1_11comp_targetILNS1_3genE10ELNS1_11target_archE1201ELNS1_3gpuE5ELNS1_3repE0EEENS1_36merge_oddeven_config_static_selectorELNS0_4arch9wavefront6targetE1EEEvSJ_.uses_flat_scratch, 0
	.set _ZN7rocprim17ROCPRIM_400000_NS6detail17trampoline_kernelINS0_14default_configENS1_38merge_sort_block_merge_config_selectorIffEEZZNS1_27merge_sort_block_merge_implIS3_N6thrust23THRUST_200600_302600_NS6detail15normal_iteratorINS8_10device_ptrIfEEEESD_jNS1_19radix_merge_compareILb0ELb0EfNS0_19identity_decomposerEEEEE10hipError_tT0_T1_T2_jT3_P12ihipStream_tbPNSt15iterator_traitsISI_E10value_typeEPNSO_ISJ_E10value_typeEPSK_NS1_7vsmem_tEENKUlT_SI_SJ_SK_E_clIPfSD_S10_SD_EESH_SX_SI_SJ_SK_EUlSX_E1_NS1_11comp_targetILNS1_3genE10ELNS1_11target_archE1201ELNS1_3gpuE5ELNS1_3repE0EEENS1_36merge_oddeven_config_static_selectorELNS0_4arch9wavefront6targetE1EEEvSJ_.has_dyn_sized_stack, 0
	.set _ZN7rocprim17ROCPRIM_400000_NS6detail17trampoline_kernelINS0_14default_configENS1_38merge_sort_block_merge_config_selectorIffEEZZNS1_27merge_sort_block_merge_implIS3_N6thrust23THRUST_200600_302600_NS6detail15normal_iteratorINS8_10device_ptrIfEEEESD_jNS1_19radix_merge_compareILb0ELb0EfNS0_19identity_decomposerEEEEE10hipError_tT0_T1_T2_jT3_P12ihipStream_tbPNSt15iterator_traitsISI_E10value_typeEPNSO_ISJ_E10value_typeEPSK_NS1_7vsmem_tEENKUlT_SI_SJ_SK_E_clIPfSD_S10_SD_EESH_SX_SI_SJ_SK_EUlSX_E1_NS1_11comp_targetILNS1_3genE10ELNS1_11target_archE1201ELNS1_3gpuE5ELNS1_3repE0EEENS1_36merge_oddeven_config_static_selectorELNS0_4arch9wavefront6targetE1EEEvSJ_.has_recursion, 0
	.set _ZN7rocprim17ROCPRIM_400000_NS6detail17trampoline_kernelINS0_14default_configENS1_38merge_sort_block_merge_config_selectorIffEEZZNS1_27merge_sort_block_merge_implIS3_N6thrust23THRUST_200600_302600_NS6detail15normal_iteratorINS8_10device_ptrIfEEEESD_jNS1_19radix_merge_compareILb0ELb0EfNS0_19identity_decomposerEEEEE10hipError_tT0_T1_T2_jT3_P12ihipStream_tbPNSt15iterator_traitsISI_E10value_typeEPNSO_ISJ_E10value_typeEPSK_NS1_7vsmem_tEENKUlT_SI_SJ_SK_E_clIPfSD_S10_SD_EESH_SX_SI_SJ_SK_EUlSX_E1_NS1_11comp_targetILNS1_3genE10ELNS1_11target_archE1201ELNS1_3gpuE5ELNS1_3repE0EEENS1_36merge_oddeven_config_static_selectorELNS0_4arch9wavefront6targetE1EEEvSJ_.has_indirect_call, 0
	.section	.AMDGPU.csdata,"",@progbits
; Kernel info:
; codeLenInByte = 0
; TotalNumSgprs: 6
; NumVgprs: 0
; NumAgprs: 0
; TotalNumVgprs: 0
; ScratchSize: 0
; MemoryBound: 0
; FloatMode: 240
; IeeeMode: 1
; LDSByteSize: 0 bytes/workgroup (compile time only)
; SGPRBlocks: 0
; VGPRBlocks: 0
; NumSGPRsForWavesPerEU: 6
; NumVGPRsForWavesPerEU: 1
; AccumOffset: 4
; Occupancy: 8
; WaveLimiterHint : 0
; COMPUTE_PGM_RSRC2:SCRATCH_EN: 0
; COMPUTE_PGM_RSRC2:USER_SGPR: 2
; COMPUTE_PGM_RSRC2:TRAP_HANDLER: 0
; COMPUTE_PGM_RSRC2:TGID_X_EN: 1
; COMPUTE_PGM_RSRC2:TGID_Y_EN: 0
; COMPUTE_PGM_RSRC2:TGID_Z_EN: 0
; COMPUTE_PGM_RSRC2:TIDIG_COMP_CNT: 0
; COMPUTE_PGM_RSRC3_GFX90A:ACCUM_OFFSET: 0
; COMPUTE_PGM_RSRC3_GFX90A:TG_SPLIT: 0
	.section	.text._ZN7rocprim17ROCPRIM_400000_NS6detail17trampoline_kernelINS0_14default_configENS1_38merge_sort_block_merge_config_selectorIffEEZZNS1_27merge_sort_block_merge_implIS3_N6thrust23THRUST_200600_302600_NS6detail15normal_iteratorINS8_10device_ptrIfEEEESD_jNS1_19radix_merge_compareILb0ELb0EfNS0_19identity_decomposerEEEEE10hipError_tT0_T1_T2_jT3_P12ihipStream_tbPNSt15iterator_traitsISI_E10value_typeEPNSO_ISJ_E10value_typeEPSK_NS1_7vsmem_tEENKUlT_SI_SJ_SK_E_clIPfSD_S10_SD_EESH_SX_SI_SJ_SK_EUlSX_E1_NS1_11comp_targetILNS1_3genE5ELNS1_11target_archE942ELNS1_3gpuE9ELNS1_3repE0EEENS1_36merge_oddeven_config_static_selectorELNS0_4arch9wavefront6targetE1EEEvSJ_,"axG",@progbits,_ZN7rocprim17ROCPRIM_400000_NS6detail17trampoline_kernelINS0_14default_configENS1_38merge_sort_block_merge_config_selectorIffEEZZNS1_27merge_sort_block_merge_implIS3_N6thrust23THRUST_200600_302600_NS6detail15normal_iteratorINS8_10device_ptrIfEEEESD_jNS1_19radix_merge_compareILb0ELb0EfNS0_19identity_decomposerEEEEE10hipError_tT0_T1_T2_jT3_P12ihipStream_tbPNSt15iterator_traitsISI_E10value_typeEPNSO_ISJ_E10value_typeEPSK_NS1_7vsmem_tEENKUlT_SI_SJ_SK_E_clIPfSD_S10_SD_EESH_SX_SI_SJ_SK_EUlSX_E1_NS1_11comp_targetILNS1_3genE5ELNS1_11target_archE942ELNS1_3gpuE9ELNS1_3repE0EEENS1_36merge_oddeven_config_static_selectorELNS0_4arch9wavefront6targetE1EEEvSJ_,comdat
	.protected	_ZN7rocprim17ROCPRIM_400000_NS6detail17trampoline_kernelINS0_14default_configENS1_38merge_sort_block_merge_config_selectorIffEEZZNS1_27merge_sort_block_merge_implIS3_N6thrust23THRUST_200600_302600_NS6detail15normal_iteratorINS8_10device_ptrIfEEEESD_jNS1_19radix_merge_compareILb0ELb0EfNS0_19identity_decomposerEEEEE10hipError_tT0_T1_T2_jT3_P12ihipStream_tbPNSt15iterator_traitsISI_E10value_typeEPNSO_ISJ_E10value_typeEPSK_NS1_7vsmem_tEENKUlT_SI_SJ_SK_E_clIPfSD_S10_SD_EESH_SX_SI_SJ_SK_EUlSX_E1_NS1_11comp_targetILNS1_3genE5ELNS1_11target_archE942ELNS1_3gpuE9ELNS1_3repE0EEENS1_36merge_oddeven_config_static_selectorELNS0_4arch9wavefront6targetE1EEEvSJ_ ; -- Begin function _ZN7rocprim17ROCPRIM_400000_NS6detail17trampoline_kernelINS0_14default_configENS1_38merge_sort_block_merge_config_selectorIffEEZZNS1_27merge_sort_block_merge_implIS3_N6thrust23THRUST_200600_302600_NS6detail15normal_iteratorINS8_10device_ptrIfEEEESD_jNS1_19radix_merge_compareILb0ELb0EfNS0_19identity_decomposerEEEEE10hipError_tT0_T1_T2_jT3_P12ihipStream_tbPNSt15iterator_traitsISI_E10value_typeEPNSO_ISJ_E10value_typeEPSK_NS1_7vsmem_tEENKUlT_SI_SJ_SK_E_clIPfSD_S10_SD_EESH_SX_SI_SJ_SK_EUlSX_E1_NS1_11comp_targetILNS1_3genE5ELNS1_11target_archE942ELNS1_3gpuE9ELNS1_3repE0EEENS1_36merge_oddeven_config_static_selectorELNS0_4arch9wavefront6targetE1EEEvSJ_
	.globl	_ZN7rocprim17ROCPRIM_400000_NS6detail17trampoline_kernelINS0_14default_configENS1_38merge_sort_block_merge_config_selectorIffEEZZNS1_27merge_sort_block_merge_implIS3_N6thrust23THRUST_200600_302600_NS6detail15normal_iteratorINS8_10device_ptrIfEEEESD_jNS1_19radix_merge_compareILb0ELb0EfNS0_19identity_decomposerEEEEE10hipError_tT0_T1_T2_jT3_P12ihipStream_tbPNSt15iterator_traitsISI_E10value_typeEPNSO_ISJ_E10value_typeEPSK_NS1_7vsmem_tEENKUlT_SI_SJ_SK_E_clIPfSD_S10_SD_EESH_SX_SI_SJ_SK_EUlSX_E1_NS1_11comp_targetILNS1_3genE5ELNS1_11target_archE942ELNS1_3gpuE9ELNS1_3repE0EEENS1_36merge_oddeven_config_static_selectorELNS0_4arch9wavefront6targetE1EEEvSJ_
	.p2align	8
	.type	_ZN7rocprim17ROCPRIM_400000_NS6detail17trampoline_kernelINS0_14default_configENS1_38merge_sort_block_merge_config_selectorIffEEZZNS1_27merge_sort_block_merge_implIS3_N6thrust23THRUST_200600_302600_NS6detail15normal_iteratorINS8_10device_ptrIfEEEESD_jNS1_19radix_merge_compareILb0ELb0EfNS0_19identity_decomposerEEEEE10hipError_tT0_T1_T2_jT3_P12ihipStream_tbPNSt15iterator_traitsISI_E10value_typeEPNSO_ISJ_E10value_typeEPSK_NS1_7vsmem_tEENKUlT_SI_SJ_SK_E_clIPfSD_S10_SD_EESH_SX_SI_SJ_SK_EUlSX_E1_NS1_11comp_targetILNS1_3genE5ELNS1_11target_archE942ELNS1_3gpuE9ELNS1_3repE0EEENS1_36merge_oddeven_config_static_selectorELNS0_4arch9wavefront6targetE1EEEvSJ_,@function
_ZN7rocprim17ROCPRIM_400000_NS6detail17trampoline_kernelINS0_14default_configENS1_38merge_sort_block_merge_config_selectorIffEEZZNS1_27merge_sort_block_merge_implIS3_N6thrust23THRUST_200600_302600_NS6detail15normal_iteratorINS8_10device_ptrIfEEEESD_jNS1_19radix_merge_compareILb0ELb0EfNS0_19identity_decomposerEEEEE10hipError_tT0_T1_T2_jT3_P12ihipStream_tbPNSt15iterator_traitsISI_E10value_typeEPNSO_ISJ_E10value_typeEPSK_NS1_7vsmem_tEENKUlT_SI_SJ_SK_E_clIPfSD_S10_SD_EESH_SX_SI_SJ_SK_EUlSX_E1_NS1_11comp_targetILNS1_3genE5ELNS1_11target_archE942ELNS1_3gpuE9ELNS1_3repE0EEENS1_36merge_oddeven_config_static_selectorELNS0_4arch9wavefront6targetE1EEEvSJ_: ; @_ZN7rocprim17ROCPRIM_400000_NS6detail17trampoline_kernelINS0_14default_configENS1_38merge_sort_block_merge_config_selectorIffEEZZNS1_27merge_sort_block_merge_implIS3_N6thrust23THRUST_200600_302600_NS6detail15normal_iteratorINS8_10device_ptrIfEEEESD_jNS1_19radix_merge_compareILb0ELb0EfNS0_19identity_decomposerEEEEE10hipError_tT0_T1_T2_jT3_P12ihipStream_tbPNSt15iterator_traitsISI_E10value_typeEPNSO_ISJ_E10value_typeEPSK_NS1_7vsmem_tEENKUlT_SI_SJ_SK_E_clIPfSD_S10_SD_EESH_SX_SI_SJ_SK_EUlSX_E1_NS1_11comp_targetILNS1_3genE5ELNS1_11target_archE942ELNS1_3gpuE9ELNS1_3repE0EEENS1_36merge_oddeven_config_static_selectorELNS0_4arch9wavefront6targetE1EEEvSJ_
; %bb.0:
	.section	.rodata,"a",@progbits
	.p2align	6, 0x0
	.amdhsa_kernel _ZN7rocprim17ROCPRIM_400000_NS6detail17trampoline_kernelINS0_14default_configENS1_38merge_sort_block_merge_config_selectorIffEEZZNS1_27merge_sort_block_merge_implIS3_N6thrust23THRUST_200600_302600_NS6detail15normal_iteratorINS8_10device_ptrIfEEEESD_jNS1_19radix_merge_compareILb0ELb0EfNS0_19identity_decomposerEEEEE10hipError_tT0_T1_T2_jT3_P12ihipStream_tbPNSt15iterator_traitsISI_E10value_typeEPNSO_ISJ_E10value_typeEPSK_NS1_7vsmem_tEENKUlT_SI_SJ_SK_E_clIPfSD_S10_SD_EESH_SX_SI_SJ_SK_EUlSX_E1_NS1_11comp_targetILNS1_3genE5ELNS1_11target_archE942ELNS1_3gpuE9ELNS1_3repE0EEENS1_36merge_oddeven_config_static_selectorELNS0_4arch9wavefront6targetE1EEEvSJ_
		.amdhsa_group_segment_fixed_size 0
		.amdhsa_private_segment_fixed_size 0
		.amdhsa_kernarg_size 48
		.amdhsa_user_sgpr_count 2
		.amdhsa_user_sgpr_dispatch_ptr 0
		.amdhsa_user_sgpr_queue_ptr 0
		.amdhsa_user_sgpr_kernarg_segment_ptr 1
		.amdhsa_user_sgpr_dispatch_id 0
		.amdhsa_user_sgpr_kernarg_preload_length 0
		.amdhsa_user_sgpr_kernarg_preload_offset 0
		.amdhsa_user_sgpr_private_segment_size 0
		.amdhsa_uses_dynamic_stack 0
		.amdhsa_enable_private_segment 0
		.amdhsa_system_sgpr_workgroup_id_x 1
		.amdhsa_system_sgpr_workgroup_id_y 0
		.amdhsa_system_sgpr_workgroup_id_z 0
		.amdhsa_system_sgpr_workgroup_info 0
		.amdhsa_system_vgpr_workitem_id 0
		.amdhsa_next_free_vgpr 1
		.amdhsa_next_free_sgpr 0
		.amdhsa_accum_offset 4
		.amdhsa_reserve_vcc 0
		.amdhsa_float_round_mode_32 0
		.amdhsa_float_round_mode_16_64 0
		.amdhsa_float_denorm_mode_32 3
		.amdhsa_float_denorm_mode_16_64 3
		.amdhsa_dx10_clamp 1
		.amdhsa_ieee_mode 1
		.amdhsa_fp16_overflow 0
		.amdhsa_tg_split 0
		.amdhsa_exception_fp_ieee_invalid_op 0
		.amdhsa_exception_fp_denorm_src 0
		.amdhsa_exception_fp_ieee_div_zero 0
		.amdhsa_exception_fp_ieee_overflow 0
		.amdhsa_exception_fp_ieee_underflow 0
		.amdhsa_exception_fp_ieee_inexact 0
		.amdhsa_exception_int_div_zero 0
	.end_amdhsa_kernel
	.section	.text._ZN7rocprim17ROCPRIM_400000_NS6detail17trampoline_kernelINS0_14default_configENS1_38merge_sort_block_merge_config_selectorIffEEZZNS1_27merge_sort_block_merge_implIS3_N6thrust23THRUST_200600_302600_NS6detail15normal_iteratorINS8_10device_ptrIfEEEESD_jNS1_19radix_merge_compareILb0ELb0EfNS0_19identity_decomposerEEEEE10hipError_tT0_T1_T2_jT3_P12ihipStream_tbPNSt15iterator_traitsISI_E10value_typeEPNSO_ISJ_E10value_typeEPSK_NS1_7vsmem_tEENKUlT_SI_SJ_SK_E_clIPfSD_S10_SD_EESH_SX_SI_SJ_SK_EUlSX_E1_NS1_11comp_targetILNS1_3genE5ELNS1_11target_archE942ELNS1_3gpuE9ELNS1_3repE0EEENS1_36merge_oddeven_config_static_selectorELNS0_4arch9wavefront6targetE1EEEvSJ_,"axG",@progbits,_ZN7rocprim17ROCPRIM_400000_NS6detail17trampoline_kernelINS0_14default_configENS1_38merge_sort_block_merge_config_selectorIffEEZZNS1_27merge_sort_block_merge_implIS3_N6thrust23THRUST_200600_302600_NS6detail15normal_iteratorINS8_10device_ptrIfEEEESD_jNS1_19radix_merge_compareILb0ELb0EfNS0_19identity_decomposerEEEEE10hipError_tT0_T1_T2_jT3_P12ihipStream_tbPNSt15iterator_traitsISI_E10value_typeEPNSO_ISJ_E10value_typeEPSK_NS1_7vsmem_tEENKUlT_SI_SJ_SK_E_clIPfSD_S10_SD_EESH_SX_SI_SJ_SK_EUlSX_E1_NS1_11comp_targetILNS1_3genE5ELNS1_11target_archE942ELNS1_3gpuE9ELNS1_3repE0EEENS1_36merge_oddeven_config_static_selectorELNS0_4arch9wavefront6targetE1EEEvSJ_,comdat
.Lfunc_end239:
	.size	_ZN7rocprim17ROCPRIM_400000_NS6detail17trampoline_kernelINS0_14default_configENS1_38merge_sort_block_merge_config_selectorIffEEZZNS1_27merge_sort_block_merge_implIS3_N6thrust23THRUST_200600_302600_NS6detail15normal_iteratorINS8_10device_ptrIfEEEESD_jNS1_19radix_merge_compareILb0ELb0EfNS0_19identity_decomposerEEEEE10hipError_tT0_T1_T2_jT3_P12ihipStream_tbPNSt15iterator_traitsISI_E10value_typeEPNSO_ISJ_E10value_typeEPSK_NS1_7vsmem_tEENKUlT_SI_SJ_SK_E_clIPfSD_S10_SD_EESH_SX_SI_SJ_SK_EUlSX_E1_NS1_11comp_targetILNS1_3genE5ELNS1_11target_archE942ELNS1_3gpuE9ELNS1_3repE0EEENS1_36merge_oddeven_config_static_selectorELNS0_4arch9wavefront6targetE1EEEvSJ_, .Lfunc_end239-_ZN7rocprim17ROCPRIM_400000_NS6detail17trampoline_kernelINS0_14default_configENS1_38merge_sort_block_merge_config_selectorIffEEZZNS1_27merge_sort_block_merge_implIS3_N6thrust23THRUST_200600_302600_NS6detail15normal_iteratorINS8_10device_ptrIfEEEESD_jNS1_19radix_merge_compareILb0ELb0EfNS0_19identity_decomposerEEEEE10hipError_tT0_T1_T2_jT3_P12ihipStream_tbPNSt15iterator_traitsISI_E10value_typeEPNSO_ISJ_E10value_typeEPSK_NS1_7vsmem_tEENKUlT_SI_SJ_SK_E_clIPfSD_S10_SD_EESH_SX_SI_SJ_SK_EUlSX_E1_NS1_11comp_targetILNS1_3genE5ELNS1_11target_archE942ELNS1_3gpuE9ELNS1_3repE0EEENS1_36merge_oddeven_config_static_selectorELNS0_4arch9wavefront6targetE1EEEvSJ_
                                        ; -- End function
	.set _ZN7rocprim17ROCPRIM_400000_NS6detail17trampoline_kernelINS0_14default_configENS1_38merge_sort_block_merge_config_selectorIffEEZZNS1_27merge_sort_block_merge_implIS3_N6thrust23THRUST_200600_302600_NS6detail15normal_iteratorINS8_10device_ptrIfEEEESD_jNS1_19radix_merge_compareILb0ELb0EfNS0_19identity_decomposerEEEEE10hipError_tT0_T1_T2_jT3_P12ihipStream_tbPNSt15iterator_traitsISI_E10value_typeEPNSO_ISJ_E10value_typeEPSK_NS1_7vsmem_tEENKUlT_SI_SJ_SK_E_clIPfSD_S10_SD_EESH_SX_SI_SJ_SK_EUlSX_E1_NS1_11comp_targetILNS1_3genE5ELNS1_11target_archE942ELNS1_3gpuE9ELNS1_3repE0EEENS1_36merge_oddeven_config_static_selectorELNS0_4arch9wavefront6targetE1EEEvSJ_.num_vgpr, 0
	.set _ZN7rocprim17ROCPRIM_400000_NS6detail17trampoline_kernelINS0_14default_configENS1_38merge_sort_block_merge_config_selectorIffEEZZNS1_27merge_sort_block_merge_implIS3_N6thrust23THRUST_200600_302600_NS6detail15normal_iteratorINS8_10device_ptrIfEEEESD_jNS1_19radix_merge_compareILb0ELb0EfNS0_19identity_decomposerEEEEE10hipError_tT0_T1_T2_jT3_P12ihipStream_tbPNSt15iterator_traitsISI_E10value_typeEPNSO_ISJ_E10value_typeEPSK_NS1_7vsmem_tEENKUlT_SI_SJ_SK_E_clIPfSD_S10_SD_EESH_SX_SI_SJ_SK_EUlSX_E1_NS1_11comp_targetILNS1_3genE5ELNS1_11target_archE942ELNS1_3gpuE9ELNS1_3repE0EEENS1_36merge_oddeven_config_static_selectorELNS0_4arch9wavefront6targetE1EEEvSJ_.num_agpr, 0
	.set _ZN7rocprim17ROCPRIM_400000_NS6detail17trampoline_kernelINS0_14default_configENS1_38merge_sort_block_merge_config_selectorIffEEZZNS1_27merge_sort_block_merge_implIS3_N6thrust23THRUST_200600_302600_NS6detail15normal_iteratorINS8_10device_ptrIfEEEESD_jNS1_19radix_merge_compareILb0ELb0EfNS0_19identity_decomposerEEEEE10hipError_tT0_T1_T2_jT3_P12ihipStream_tbPNSt15iterator_traitsISI_E10value_typeEPNSO_ISJ_E10value_typeEPSK_NS1_7vsmem_tEENKUlT_SI_SJ_SK_E_clIPfSD_S10_SD_EESH_SX_SI_SJ_SK_EUlSX_E1_NS1_11comp_targetILNS1_3genE5ELNS1_11target_archE942ELNS1_3gpuE9ELNS1_3repE0EEENS1_36merge_oddeven_config_static_selectorELNS0_4arch9wavefront6targetE1EEEvSJ_.numbered_sgpr, 0
	.set _ZN7rocprim17ROCPRIM_400000_NS6detail17trampoline_kernelINS0_14default_configENS1_38merge_sort_block_merge_config_selectorIffEEZZNS1_27merge_sort_block_merge_implIS3_N6thrust23THRUST_200600_302600_NS6detail15normal_iteratorINS8_10device_ptrIfEEEESD_jNS1_19radix_merge_compareILb0ELb0EfNS0_19identity_decomposerEEEEE10hipError_tT0_T1_T2_jT3_P12ihipStream_tbPNSt15iterator_traitsISI_E10value_typeEPNSO_ISJ_E10value_typeEPSK_NS1_7vsmem_tEENKUlT_SI_SJ_SK_E_clIPfSD_S10_SD_EESH_SX_SI_SJ_SK_EUlSX_E1_NS1_11comp_targetILNS1_3genE5ELNS1_11target_archE942ELNS1_3gpuE9ELNS1_3repE0EEENS1_36merge_oddeven_config_static_selectorELNS0_4arch9wavefront6targetE1EEEvSJ_.num_named_barrier, 0
	.set _ZN7rocprim17ROCPRIM_400000_NS6detail17trampoline_kernelINS0_14default_configENS1_38merge_sort_block_merge_config_selectorIffEEZZNS1_27merge_sort_block_merge_implIS3_N6thrust23THRUST_200600_302600_NS6detail15normal_iteratorINS8_10device_ptrIfEEEESD_jNS1_19radix_merge_compareILb0ELb0EfNS0_19identity_decomposerEEEEE10hipError_tT0_T1_T2_jT3_P12ihipStream_tbPNSt15iterator_traitsISI_E10value_typeEPNSO_ISJ_E10value_typeEPSK_NS1_7vsmem_tEENKUlT_SI_SJ_SK_E_clIPfSD_S10_SD_EESH_SX_SI_SJ_SK_EUlSX_E1_NS1_11comp_targetILNS1_3genE5ELNS1_11target_archE942ELNS1_3gpuE9ELNS1_3repE0EEENS1_36merge_oddeven_config_static_selectorELNS0_4arch9wavefront6targetE1EEEvSJ_.private_seg_size, 0
	.set _ZN7rocprim17ROCPRIM_400000_NS6detail17trampoline_kernelINS0_14default_configENS1_38merge_sort_block_merge_config_selectorIffEEZZNS1_27merge_sort_block_merge_implIS3_N6thrust23THRUST_200600_302600_NS6detail15normal_iteratorINS8_10device_ptrIfEEEESD_jNS1_19radix_merge_compareILb0ELb0EfNS0_19identity_decomposerEEEEE10hipError_tT0_T1_T2_jT3_P12ihipStream_tbPNSt15iterator_traitsISI_E10value_typeEPNSO_ISJ_E10value_typeEPSK_NS1_7vsmem_tEENKUlT_SI_SJ_SK_E_clIPfSD_S10_SD_EESH_SX_SI_SJ_SK_EUlSX_E1_NS1_11comp_targetILNS1_3genE5ELNS1_11target_archE942ELNS1_3gpuE9ELNS1_3repE0EEENS1_36merge_oddeven_config_static_selectorELNS0_4arch9wavefront6targetE1EEEvSJ_.uses_vcc, 0
	.set _ZN7rocprim17ROCPRIM_400000_NS6detail17trampoline_kernelINS0_14default_configENS1_38merge_sort_block_merge_config_selectorIffEEZZNS1_27merge_sort_block_merge_implIS3_N6thrust23THRUST_200600_302600_NS6detail15normal_iteratorINS8_10device_ptrIfEEEESD_jNS1_19radix_merge_compareILb0ELb0EfNS0_19identity_decomposerEEEEE10hipError_tT0_T1_T2_jT3_P12ihipStream_tbPNSt15iterator_traitsISI_E10value_typeEPNSO_ISJ_E10value_typeEPSK_NS1_7vsmem_tEENKUlT_SI_SJ_SK_E_clIPfSD_S10_SD_EESH_SX_SI_SJ_SK_EUlSX_E1_NS1_11comp_targetILNS1_3genE5ELNS1_11target_archE942ELNS1_3gpuE9ELNS1_3repE0EEENS1_36merge_oddeven_config_static_selectorELNS0_4arch9wavefront6targetE1EEEvSJ_.uses_flat_scratch, 0
	.set _ZN7rocprim17ROCPRIM_400000_NS6detail17trampoline_kernelINS0_14default_configENS1_38merge_sort_block_merge_config_selectorIffEEZZNS1_27merge_sort_block_merge_implIS3_N6thrust23THRUST_200600_302600_NS6detail15normal_iteratorINS8_10device_ptrIfEEEESD_jNS1_19radix_merge_compareILb0ELb0EfNS0_19identity_decomposerEEEEE10hipError_tT0_T1_T2_jT3_P12ihipStream_tbPNSt15iterator_traitsISI_E10value_typeEPNSO_ISJ_E10value_typeEPSK_NS1_7vsmem_tEENKUlT_SI_SJ_SK_E_clIPfSD_S10_SD_EESH_SX_SI_SJ_SK_EUlSX_E1_NS1_11comp_targetILNS1_3genE5ELNS1_11target_archE942ELNS1_3gpuE9ELNS1_3repE0EEENS1_36merge_oddeven_config_static_selectorELNS0_4arch9wavefront6targetE1EEEvSJ_.has_dyn_sized_stack, 0
	.set _ZN7rocprim17ROCPRIM_400000_NS6detail17trampoline_kernelINS0_14default_configENS1_38merge_sort_block_merge_config_selectorIffEEZZNS1_27merge_sort_block_merge_implIS3_N6thrust23THRUST_200600_302600_NS6detail15normal_iteratorINS8_10device_ptrIfEEEESD_jNS1_19radix_merge_compareILb0ELb0EfNS0_19identity_decomposerEEEEE10hipError_tT0_T1_T2_jT3_P12ihipStream_tbPNSt15iterator_traitsISI_E10value_typeEPNSO_ISJ_E10value_typeEPSK_NS1_7vsmem_tEENKUlT_SI_SJ_SK_E_clIPfSD_S10_SD_EESH_SX_SI_SJ_SK_EUlSX_E1_NS1_11comp_targetILNS1_3genE5ELNS1_11target_archE942ELNS1_3gpuE9ELNS1_3repE0EEENS1_36merge_oddeven_config_static_selectorELNS0_4arch9wavefront6targetE1EEEvSJ_.has_recursion, 0
	.set _ZN7rocprim17ROCPRIM_400000_NS6detail17trampoline_kernelINS0_14default_configENS1_38merge_sort_block_merge_config_selectorIffEEZZNS1_27merge_sort_block_merge_implIS3_N6thrust23THRUST_200600_302600_NS6detail15normal_iteratorINS8_10device_ptrIfEEEESD_jNS1_19radix_merge_compareILb0ELb0EfNS0_19identity_decomposerEEEEE10hipError_tT0_T1_T2_jT3_P12ihipStream_tbPNSt15iterator_traitsISI_E10value_typeEPNSO_ISJ_E10value_typeEPSK_NS1_7vsmem_tEENKUlT_SI_SJ_SK_E_clIPfSD_S10_SD_EESH_SX_SI_SJ_SK_EUlSX_E1_NS1_11comp_targetILNS1_3genE5ELNS1_11target_archE942ELNS1_3gpuE9ELNS1_3repE0EEENS1_36merge_oddeven_config_static_selectorELNS0_4arch9wavefront6targetE1EEEvSJ_.has_indirect_call, 0
	.section	.AMDGPU.csdata,"",@progbits
; Kernel info:
; codeLenInByte = 0
; TotalNumSgprs: 6
; NumVgprs: 0
; NumAgprs: 0
; TotalNumVgprs: 0
; ScratchSize: 0
; MemoryBound: 0
; FloatMode: 240
; IeeeMode: 1
; LDSByteSize: 0 bytes/workgroup (compile time only)
; SGPRBlocks: 0
; VGPRBlocks: 0
; NumSGPRsForWavesPerEU: 6
; NumVGPRsForWavesPerEU: 1
; AccumOffset: 4
; Occupancy: 8
; WaveLimiterHint : 0
; COMPUTE_PGM_RSRC2:SCRATCH_EN: 0
; COMPUTE_PGM_RSRC2:USER_SGPR: 2
; COMPUTE_PGM_RSRC2:TRAP_HANDLER: 0
; COMPUTE_PGM_RSRC2:TGID_X_EN: 1
; COMPUTE_PGM_RSRC2:TGID_Y_EN: 0
; COMPUTE_PGM_RSRC2:TGID_Z_EN: 0
; COMPUTE_PGM_RSRC2:TIDIG_COMP_CNT: 0
; COMPUTE_PGM_RSRC3_GFX90A:ACCUM_OFFSET: 0
; COMPUTE_PGM_RSRC3_GFX90A:TG_SPLIT: 0
	.section	.text._ZN7rocprim17ROCPRIM_400000_NS6detail17trampoline_kernelINS0_14default_configENS1_38merge_sort_block_merge_config_selectorIffEEZZNS1_27merge_sort_block_merge_implIS3_N6thrust23THRUST_200600_302600_NS6detail15normal_iteratorINS8_10device_ptrIfEEEESD_jNS1_19radix_merge_compareILb0ELb0EfNS0_19identity_decomposerEEEEE10hipError_tT0_T1_T2_jT3_P12ihipStream_tbPNSt15iterator_traitsISI_E10value_typeEPNSO_ISJ_E10value_typeEPSK_NS1_7vsmem_tEENKUlT_SI_SJ_SK_E_clIPfSD_S10_SD_EESH_SX_SI_SJ_SK_EUlSX_E1_NS1_11comp_targetILNS1_3genE4ELNS1_11target_archE910ELNS1_3gpuE8ELNS1_3repE0EEENS1_36merge_oddeven_config_static_selectorELNS0_4arch9wavefront6targetE1EEEvSJ_,"axG",@progbits,_ZN7rocprim17ROCPRIM_400000_NS6detail17trampoline_kernelINS0_14default_configENS1_38merge_sort_block_merge_config_selectorIffEEZZNS1_27merge_sort_block_merge_implIS3_N6thrust23THRUST_200600_302600_NS6detail15normal_iteratorINS8_10device_ptrIfEEEESD_jNS1_19radix_merge_compareILb0ELb0EfNS0_19identity_decomposerEEEEE10hipError_tT0_T1_T2_jT3_P12ihipStream_tbPNSt15iterator_traitsISI_E10value_typeEPNSO_ISJ_E10value_typeEPSK_NS1_7vsmem_tEENKUlT_SI_SJ_SK_E_clIPfSD_S10_SD_EESH_SX_SI_SJ_SK_EUlSX_E1_NS1_11comp_targetILNS1_3genE4ELNS1_11target_archE910ELNS1_3gpuE8ELNS1_3repE0EEENS1_36merge_oddeven_config_static_selectorELNS0_4arch9wavefront6targetE1EEEvSJ_,comdat
	.protected	_ZN7rocprim17ROCPRIM_400000_NS6detail17trampoline_kernelINS0_14default_configENS1_38merge_sort_block_merge_config_selectorIffEEZZNS1_27merge_sort_block_merge_implIS3_N6thrust23THRUST_200600_302600_NS6detail15normal_iteratorINS8_10device_ptrIfEEEESD_jNS1_19radix_merge_compareILb0ELb0EfNS0_19identity_decomposerEEEEE10hipError_tT0_T1_T2_jT3_P12ihipStream_tbPNSt15iterator_traitsISI_E10value_typeEPNSO_ISJ_E10value_typeEPSK_NS1_7vsmem_tEENKUlT_SI_SJ_SK_E_clIPfSD_S10_SD_EESH_SX_SI_SJ_SK_EUlSX_E1_NS1_11comp_targetILNS1_3genE4ELNS1_11target_archE910ELNS1_3gpuE8ELNS1_3repE0EEENS1_36merge_oddeven_config_static_selectorELNS0_4arch9wavefront6targetE1EEEvSJ_ ; -- Begin function _ZN7rocprim17ROCPRIM_400000_NS6detail17trampoline_kernelINS0_14default_configENS1_38merge_sort_block_merge_config_selectorIffEEZZNS1_27merge_sort_block_merge_implIS3_N6thrust23THRUST_200600_302600_NS6detail15normal_iteratorINS8_10device_ptrIfEEEESD_jNS1_19radix_merge_compareILb0ELb0EfNS0_19identity_decomposerEEEEE10hipError_tT0_T1_T2_jT3_P12ihipStream_tbPNSt15iterator_traitsISI_E10value_typeEPNSO_ISJ_E10value_typeEPSK_NS1_7vsmem_tEENKUlT_SI_SJ_SK_E_clIPfSD_S10_SD_EESH_SX_SI_SJ_SK_EUlSX_E1_NS1_11comp_targetILNS1_3genE4ELNS1_11target_archE910ELNS1_3gpuE8ELNS1_3repE0EEENS1_36merge_oddeven_config_static_selectorELNS0_4arch9wavefront6targetE1EEEvSJ_
	.globl	_ZN7rocprim17ROCPRIM_400000_NS6detail17trampoline_kernelINS0_14default_configENS1_38merge_sort_block_merge_config_selectorIffEEZZNS1_27merge_sort_block_merge_implIS3_N6thrust23THRUST_200600_302600_NS6detail15normal_iteratorINS8_10device_ptrIfEEEESD_jNS1_19radix_merge_compareILb0ELb0EfNS0_19identity_decomposerEEEEE10hipError_tT0_T1_T2_jT3_P12ihipStream_tbPNSt15iterator_traitsISI_E10value_typeEPNSO_ISJ_E10value_typeEPSK_NS1_7vsmem_tEENKUlT_SI_SJ_SK_E_clIPfSD_S10_SD_EESH_SX_SI_SJ_SK_EUlSX_E1_NS1_11comp_targetILNS1_3genE4ELNS1_11target_archE910ELNS1_3gpuE8ELNS1_3repE0EEENS1_36merge_oddeven_config_static_selectorELNS0_4arch9wavefront6targetE1EEEvSJ_
	.p2align	8
	.type	_ZN7rocprim17ROCPRIM_400000_NS6detail17trampoline_kernelINS0_14default_configENS1_38merge_sort_block_merge_config_selectorIffEEZZNS1_27merge_sort_block_merge_implIS3_N6thrust23THRUST_200600_302600_NS6detail15normal_iteratorINS8_10device_ptrIfEEEESD_jNS1_19radix_merge_compareILb0ELb0EfNS0_19identity_decomposerEEEEE10hipError_tT0_T1_T2_jT3_P12ihipStream_tbPNSt15iterator_traitsISI_E10value_typeEPNSO_ISJ_E10value_typeEPSK_NS1_7vsmem_tEENKUlT_SI_SJ_SK_E_clIPfSD_S10_SD_EESH_SX_SI_SJ_SK_EUlSX_E1_NS1_11comp_targetILNS1_3genE4ELNS1_11target_archE910ELNS1_3gpuE8ELNS1_3repE0EEENS1_36merge_oddeven_config_static_selectorELNS0_4arch9wavefront6targetE1EEEvSJ_,@function
_ZN7rocprim17ROCPRIM_400000_NS6detail17trampoline_kernelINS0_14default_configENS1_38merge_sort_block_merge_config_selectorIffEEZZNS1_27merge_sort_block_merge_implIS3_N6thrust23THRUST_200600_302600_NS6detail15normal_iteratorINS8_10device_ptrIfEEEESD_jNS1_19radix_merge_compareILb0ELb0EfNS0_19identity_decomposerEEEEE10hipError_tT0_T1_T2_jT3_P12ihipStream_tbPNSt15iterator_traitsISI_E10value_typeEPNSO_ISJ_E10value_typeEPSK_NS1_7vsmem_tEENKUlT_SI_SJ_SK_E_clIPfSD_S10_SD_EESH_SX_SI_SJ_SK_EUlSX_E1_NS1_11comp_targetILNS1_3genE4ELNS1_11target_archE910ELNS1_3gpuE8ELNS1_3repE0EEENS1_36merge_oddeven_config_static_selectorELNS0_4arch9wavefront6targetE1EEEvSJ_: ; @_ZN7rocprim17ROCPRIM_400000_NS6detail17trampoline_kernelINS0_14default_configENS1_38merge_sort_block_merge_config_selectorIffEEZZNS1_27merge_sort_block_merge_implIS3_N6thrust23THRUST_200600_302600_NS6detail15normal_iteratorINS8_10device_ptrIfEEEESD_jNS1_19radix_merge_compareILb0ELb0EfNS0_19identity_decomposerEEEEE10hipError_tT0_T1_T2_jT3_P12ihipStream_tbPNSt15iterator_traitsISI_E10value_typeEPNSO_ISJ_E10value_typeEPSK_NS1_7vsmem_tEENKUlT_SI_SJ_SK_E_clIPfSD_S10_SD_EESH_SX_SI_SJ_SK_EUlSX_E1_NS1_11comp_targetILNS1_3genE4ELNS1_11target_archE910ELNS1_3gpuE8ELNS1_3repE0EEENS1_36merge_oddeven_config_static_selectorELNS0_4arch9wavefront6targetE1EEEvSJ_
; %bb.0:
	.section	.rodata,"a",@progbits
	.p2align	6, 0x0
	.amdhsa_kernel _ZN7rocprim17ROCPRIM_400000_NS6detail17trampoline_kernelINS0_14default_configENS1_38merge_sort_block_merge_config_selectorIffEEZZNS1_27merge_sort_block_merge_implIS3_N6thrust23THRUST_200600_302600_NS6detail15normal_iteratorINS8_10device_ptrIfEEEESD_jNS1_19radix_merge_compareILb0ELb0EfNS0_19identity_decomposerEEEEE10hipError_tT0_T1_T2_jT3_P12ihipStream_tbPNSt15iterator_traitsISI_E10value_typeEPNSO_ISJ_E10value_typeEPSK_NS1_7vsmem_tEENKUlT_SI_SJ_SK_E_clIPfSD_S10_SD_EESH_SX_SI_SJ_SK_EUlSX_E1_NS1_11comp_targetILNS1_3genE4ELNS1_11target_archE910ELNS1_3gpuE8ELNS1_3repE0EEENS1_36merge_oddeven_config_static_selectorELNS0_4arch9wavefront6targetE1EEEvSJ_
		.amdhsa_group_segment_fixed_size 0
		.amdhsa_private_segment_fixed_size 0
		.amdhsa_kernarg_size 48
		.amdhsa_user_sgpr_count 2
		.amdhsa_user_sgpr_dispatch_ptr 0
		.amdhsa_user_sgpr_queue_ptr 0
		.amdhsa_user_sgpr_kernarg_segment_ptr 1
		.amdhsa_user_sgpr_dispatch_id 0
		.amdhsa_user_sgpr_kernarg_preload_length 0
		.amdhsa_user_sgpr_kernarg_preload_offset 0
		.amdhsa_user_sgpr_private_segment_size 0
		.amdhsa_uses_dynamic_stack 0
		.amdhsa_enable_private_segment 0
		.amdhsa_system_sgpr_workgroup_id_x 1
		.amdhsa_system_sgpr_workgroup_id_y 0
		.amdhsa_system_sgpr_workgroup_id_z 0
		.amdhsa_system_sgpr_workgroup_info 0
		.amdhsa_system_vgpr_workitem_id 0
		.amdhsa_next_free_vgpr 1
		.amdhsa_next_free_sgpr 0
		.amdhsa_accum_offset 4
		.amdhsa_reserve_vcc 0
		.amdhsa_float_round_mode_32 0
		.amdhsa_float_round_mode_16_64 0
		.amdhsa_float_denorm_mode_32 3
		.amdhsa_float_denorm_mode_16_64 3
		.amdhsa_dx10_clamp 1
		.amdhsa_ieee_mode 1
		.amdhsa_fp16_overflow 0
		.amdhsa_tg_split 0
		.amdhsa_exception_fp_ieee_invalid_op 0
		.amdhsa_exception_fp_denorm_src 0
		.amdhsa_exception_fp_ieee_div_zero 0
		.amdhsa_exception_fp_ieee_overflow 0
		.amdhsa_exception_fp_ieee_underflow 0
		.amdhsa_exception_fp_ieee_inexact 0
		.amdhsa_exception_int_div_zero 0
	.end_amdhsa_kernel
	.section	.text._ZN7rocprim17ROCPRIM_400000_NS6detail17trampoline_kernelINS0_14default_configENS1_38merge_sort_block_merge_config_selectorIffEEZZNS1_27merge_sort_block_merge_implIS3_N6thrust23THRUST_200600_302600_NS6detail15normal_iteratorINS8_10device_ptrIfEEEESD_jNS1_19radix_merge_compareILb0ELb0EfNS0_19identity_decomposerEEEEE10hipError_tT0_T1_T2_jT3_P12ihipStream_tbPNSt15iterator_traitsISI_E10value_typeEPNSO_ISJ_E10value_typeEPSK_NS1_7vsmem_tEENKUlT_SI_SJ_SK_E_clIPfSD_S10_SD_EESH_SX_SI_SJ_SK_EUlSX_E1_NS1_11comp_targetILNS1_3genE4ELNS1_11target_archE910ELNS1_3gpuE8ELNS1_3repE0EEENS1_36merge_oddeven_config_static_selectorELNS0_4arch9wavefront6targetE1EEEvSJ_,"axG",@progbits,_ZN7rocprim17ROCPRIM_400000_NS6detail17trampoline_kernelINS0_14default_configENS1_38merge_sort_block_merge_config_selectorIffEEZZNS1_27merge_sort_block_merge_implIS3_N6thrust23THRUST_200600_302600_NS6detail15normal_iteratorINS8_10device_ptrIfEEEESD_jNS1_19radix_merge_compareILb0ELb0EfNS0_19identity_decomposerEEEEE10hipError_tT0_T1_T2_jT3_P12ihipStream_tbPNSt15iterator_traitsISI_E10value_typeEPNSO_ISJ_E10value_typeEPSK_NS1_7vsmem_tEENKUlT_SI_SJ_SK_E_clIPfSD_S10_SD_EESH_SX_SI_SJ_SK_EUlSX_E1_NS1_11comp_targetILNS1_3genE4ELNS1_11target_archE910ELNS1_3gpuE8ELNS1_3repE0EEENS1_36merge_oddeven_config_static_selectorELNS0_4arch9wavefront6targetE1EEEvSJ_,comdat
.Lfunc_end240:
	.size	_ZN7rocprim17ROCPRIM_400000_NS6detail17trampoline_kernelINS0_14default_configENS1_38merge_sort_block_merge_config_selectorIffEEZZNS1_27merge_sort_block_merge_implIS3_N6thrust23THRUST_200600_302600_NS6detail15normal_iteratorINS8_10device_ptrIfEEEESD_jNS1_19radix_merge_compareILb0ELb0EfNS0_19identity_decomposerEEEEE10hipError_tT0_T1_T2_jT3_P12ihipStream_tbPNSt15iterator_traitsISI_E10value_typeEPNSO_ISJ_E10value_typeEPSK_NS1_7vsmem_tEENKUlT_SI_SJ_SK_E_clIPfSD_S10_SD_EESH_SX_SI_SJ_SK_EUlSX_E1_NS1_11comp_targetILNS1_3genE4ELNS1_11target_archE910ELNS1_3gpuE8ELNS1_3repE0EEENS1_36merge_oddeven_config_static_selectorELNS0_4arch9wavefront6targetE1EEEvSJ_, .Lfunc_end240-_ZN7rocprim17ROCPRIM_400000_NS6detail17trampoline_kernelINS0_14default_configENS1_38merge_sort_block_merge_config_selectorIffEEZZNS1_27merge_sort_block_merge_implIS3_N6thrust23THRUST_200600_302600_NS6detail15normal_iteratorINS8_10device_ptrIfEEEESD_jNS1_19radix_merge_compareILb0ELb0EfNS0_19identity_decomposerEEEEE10hipError_tT0_T1_T2_jT3_P12ihipStream_tbPNSt15iterator_traitsISI_E10value_typeEPNSO_ISJ_E10value_typeEPSK_NS1_7vsmem_tEENKUlT_SI_SJ_SK_E_clIPfSD_S10_SD_EESH_SX_SI_SJ_SK_EUlSX_E1_NS1_11comp_targetILNS1_3genE4ELNS1_11target_archE910ELNS1_3gpuE8ELNS1_3repE0EEENS1_36merge_oddeven_config_static_selectorELNS0_4arch9wavefront6targetE1EEEvSJ_
                                        ; -- End function
	.set _ZN7rocprim17ROCPRIM_400000_NS6detail17trampoline_kernelINS0_14default_configENS1_38merge_sort_block_merge_config_selectorIffEEZZNS1_27merge_sort_block_merge_implIS3_N6thrust23THRUST_200600_302600_NS6detail15normal_iteratorINS8_10device_ptrIfEEEESD_jNS1_19radix_merge_compareILb0ELb0EfNS0_19identity_decomposerEEEEE10hipError_tT0_T1_T2_jT3_P12ihipStream_tbPNSt15iterator_traitsISI_E10value_typeEPNSO_ISJ_E10value_typeEPSK_NS1_7vsmem_tEENKUlT_SI_SJ_SK_E_clIPfSD_S10_SD_EESH_SX_SI_SJ_SK_EUlSX_E1_NS1_11comp_targetILNS1_3genE4ELNS1_11target_archE910ELNS1_3gpuE8ELNS1_3repE0EEENS1_36merge_oddeven_config_static_selectorELNS0_4arch9wavefront6targetE1EEEvSJ_.num_vgpr, 0
	.set _ZN7rocprim17ROCPRIM_400000_NS6detail17trampoline_kernelINS0_14default_configENS1_38merge_sort_block_merge_config_selectorIffEEZZNS1_27merge_sort_block_merge_implIS3_N6thrust23THRUST_200600_302600_NS6detail15normal_iteratorINS8_10device_ptrIfEEEESD_jNS1_19radix_merge_compareILb0ELb0EfNS0_19identity_decomposerEEEEE10hipError_tT0_T1_T2_jT3_P12ihipStream_tbPNSt15iterator_traitsISI_E10value_typeEPNSO_ISJ_E10value_typeEPSK_NS1_7vsmem_tEENKUlT_SI_SJ_SK_E_clIPfSD_S10_SD_EESH_SX_SI_SJ_SK_EUlSX_E1_NS1_11comp_targetILNS1_3genE4ELNS1_11target_archE910ELNS1_3gpuE8ELNS1_3repE0EEENS1_36merge_oddeven_config_static_selectorELNS0_4arch9wavefront6targetE1EEEvSJ_.num_agpr, 0
	.set _ZN7rocprim17ROCPRIM_400000_NS6detail17trampoline_kernelINS0_14default_configENS1_38merge_sort_block_merge_config_selectorIffEEZZNS1_27merge_sort_block_merge_implIS3_N6thrust23THRUST_200600_302600_NS6detail15normal_iteratorINS8_10device_ptrIfEEEESD_jNS1_19radix_merge_compareILb0ELb0EfNS0_19identity_decomposerEEEEE10hipError_tT0_T1_T2_jT3_P12ihipStream_tbPNSt15iterator_traitsISI_E10value_typeEPNSO_ISJ_E10value_typeEPSK_NS1_7vsmem_tEENKUlT_SI_SJ_SK_E_clIPfSD_S10_SD_EESH_SX_SI_SJ_SK_EUlSX_E1_NS1_11comp_targetILNS1_3genE4ELNS1_11target_archE910ELNS1_3gpuE8ELNS1_3repE0EEENS1_36merge_oddeven_config_static_selectorELNS0_4arch9wavefront6targetE1EEEvSJ_.numbered_sgpr, 0
	.set _ZN7rocprim17ROCPRIM_400000_NS6detail17trampoline_kernelINS0_14default_configENS1_38merge_sort_block_merge_config_selectorIffEEZZNS1_27merge_sort_block_merge_implIS3_N6thrust23THRUST_200600_302600_NS6detail15normal_iteratorINS8_10device_ptrIfEEEESD_jNS1_19radix_merge_compareILb0ELb0EfNS0_19identity_decomposerEEEEE10hipError_tT0_T1_T2_jT3_P12ihipStream_tbPNSt15iterator_traitsISI_E10value_typeEPNSO_ISJ_E10value_typeEPSK_NS1_7vsmem_tEENKUlT_SI_SJ_SK_E_clIPfSD_S10_SD_EESH_SX_SI_SJ_SK_EUlSX_E1_NS1_11comp_targetILNS1_3genE4ELNS1_11target_archE910ELNS1_3gpuE8ELNS1_3repE0EEENS1_36merge_oddeven_config_static_selectorELNS0_4arch9wavefront6targetE1EEEvSJ_.num_named_barrier, 0
	.set _ZN7rocprim17ROCPRIM_400000_NS6detail17trampoline_kernelINS0_14default_configENS1_38merge_sort_block_merge_config_selectorIffEEZZNS1_27merge_sort_block_merge_implIS3_N6thrust23THRUST_200600_302600_NS6detail15normal_iteratorINS8_10device_ptrIfEEEESD_jNS1_19radix_merge_compareILb0ELb0EfNS0_19identity_decomposerEEEEE10hipError_tT0_T1_T2_jT3_P12ihipStream_tbPNSt15iterator_traitsISI_E10value_typeEPNSO_ISJ_E10value_typeEPSK_NS1_7vsmem_tEENKUlT_SI_SJ_SK_E_clIPfSD_S10_SD_EESH_SX_SI_SJ_SK_EUlSX_E1_NS1_11comp_targetILNS1_3genE4ELNS1_11target_archE910ELNS1_3gpuE8ELNS1_3repE0EEENS1_36merge_oddeven_config_static_selectorELNS0_4arch9wavefront6targetE1EEEvSJ_.private_seg_size, 0
	.set _ZN7rocprim17ROCPRIM_400000_NS6detail17trampoline_kernelINS0_14default_configENS1_38merge_sort_block_merge_config_selectorIffEEZZNS1_27merge_sort_block_merge_implIS3_N6thrust23THRUST_200600_302600_NS6detail15normal_iteratorINS8_10device_ptrIfEEEESD_jNS1_19radix_merge_compareILb0ELb0EfNS0_19identity_decomposerEEEEE10hipError_tT0_T1_T2_jT3_P12ihipStream_tbPNSt15iterator_traitsISI_E10value_typeEPNSO_ISJ_E10value_typeEPSK_NS1_7vsmem_tEENKUlT_SI_SJ_SK_E_clIPfSD_S10_SD_EESH_SX_SI_SJ_SK_EUlSX_E1_NS1_11comp_targetILNS1_3genE4ELNS1_11target_archE910ELNS1_3gpuE8ELNS1_3repE0EEENS1_36merge_oddeven_config_static_selectorELNS0_4arch9wavefront6targetE1EEEvSJ_.uses_vcc, 0
	.set _ZN7rocprim17ROCPRIM_400000_NS6detail17trampoline_kernelINS0_14default_configENS1_38merge_sort_block_merge_config_selectorIffEEZZNS1_27merge_sort_block_merge_implIS3_N6thrust23THRUST_200600_302600_NS6detail15normal_iteratorINS8_10device_ptrIfEEEESD_jNS1_19radix_merge_compareILb0ELb0EfNS0_19identity_decomposerEEEEE10hipError_tT0_T1_T2_jT3_P12ihipStream_tbPNSt15iterator_traitsISI_E10value_typeEPNSO_ISJ_E10value_typeEPSK_NS1_7vsmem_tEENKUlT_SI_SJ_SK_E_clIPfSD_S10_SD_EESH_SX_SI_SJ_SK_EUlSX_E1_NS1_11comp_targetILNS1_3genE4ELNS1_11target_archE910ELNS1_3gpuE8ELNS1_3repE0EEENS1_36merge_oddeven_config_static_selectorELNS0_4arch9wavefront6targetE1EEEvSJ_.uses_flat_scratch, 0
	.set _ZN7rocprim17ROCPRIM_400000_NS6detail17trampoline_kernelINS0_14default_configENS1_38merge_sort_block_merge_config_selectorIffEEZZNS1_27merge_sort_block_merge_implIS3_N6thrust23THRUST_200600_302600_NS6detail15normal_iteratorINS8_10device_ptrIfEEEESD_jNS1_19radix_merge_compareILb0ELb0EfNS0_19identity_decomposerEEEEE10hipError_tT0_T1_T2_jT3_P12ihipStream_tbPNSt15iterator_traitsISI_E10value_typeEPNSO_ISJ_E10value_typeEPSK_NS1_7vsmem_tEENKUlT_SI_SJ_SK_E_clIPfSD_S10_SD_EESH_SX_SI_SJ_SK_EUlSX_E1_NS1_11comp_targetILNS1_3genE4ELNS1_11target_archE910ELNS1_3gpuE8ELNS1_3repE0EEENS1_36merge_oddeven_config_static_selectorELNS0_4arch9wavefront6targetE1EEEvSJ_.has_dyn_sized_stack, 0
	.set _ZN7rocprim17ROCPRIM_400000_NS6detail17trampoline_kernelINS0_14default_configENS1_38merge_sort_block_merge_config_selectorIffEEZZNS1_27merge_sort_block_merge_implIS3_N6thrust23THRUST_200600_302600_NS6detail15normal_iteratorINS8_10device_ptrIfEEEESD_jNS1_19radix_merge_compareILb0ELb0EfNS0_19identity_decomposerEEEEE10hipError_tT0_T1_T2_jT3_P12ihipStream_tbPNSt15iterator_traitsISI_E10value_typeEPNSO_ISJ_E10value_typeEPSK_NS1_7vsmem_tEENKUlT_SI_SJ_SK_E_clIPfSD_S10_SD_EESH_SX_SI_SJ_SK_EUlSX_E1_NS1_11comp_targetILNS1_3genE4ELNS1_11target_archE910ELNS1_3gpuE8ELNS1_3repE0EEENS1_36merge_oddeven_config_static_selectorELNS0_4arch9wavefront6targetE1EEEvSJ_.has_recursion, 0
	.set _ZN7rocprim17ROCPRIM_400000_NS6detail17trampoline_kernelINS0_14default_configENS1_38merge_sort_block_merge_config_selectorIffEEZZNS1_27merge_sort_block_merge_implIS3_N6thrust23THRUST_200600_302600_NS6detail15normal_iteratorINS8_10device_ptrIfEEEESD_jNS1_19radix_merge_compareILb0ELb0EfNS0_19identity_decomposerEEEEE10hipError_tT0_T1_T2_jT3_P12ihipStream_tbPNSt15iterator_traitsISI_E10value_typeEPNSO_ISJ_E10value_typeEPSK_NS1_7vsmem_tEENKUlT_SI_SJ_SK_E_clIPfSD_S10_SD_EESH_SX_SI_SJ_SK_EUlSX_E1_NS1_11comp_targetILNS1_3genE4ELNS1_11target_archE910ELNS1_3gpuE8ELNS1_3repE0EEENS1_36merge_oddeven_config_static_selectorELNS0_4arch9wavefront6targetE1EEEvSJ_.has_indirect_call, 0
	.section	.AMDGPU.csdata,"",@progbits
; Kernel info:
; codeLenInByte = 0
; TotalNumSgprs: 6
; NumVgprs: 0
; NumAgprs: 0
; TotalNumVgprs: 0
; ScratchSize: 0
; MemoryBound: 0
; FloatMode: 240
; IeeeMode: 1
; LDSByteSize: 0 bytes/workgroup (compile time only)
; SGPRBlocks: 0
; VGPRBlocks: 0
; NumSGPRsForWavesPerEU: 6
; NumVGPRsForWavesPerEU: 1
; AccumOffset: 4
; Occupancy: 8
; WaveLimiterHint : 0
; COMPUTE_PGM_RSRC2:SCRATCH_EN: 0
; COMPUTE_PGM_RSRC2:USER_SGPR: 2
; COMPUTE_PGM_RSRC2:TRAP_HANDLER: 0
; COMPUTE_PGM_RSRC2:TGID_X_EN: 1
; COMPUTE_PGM_RSRC2:TGID_Y_EN: 0
; COMPUTE_PGM_RSRC2:TGID_Z_EN: 0
; COMPUTE_PGM_RSRC2:TIDIG_COMP_CNT: 0
; COMPUTE_PGM_RSRC3_GFX90A:ACCUM_OFFSET: 0
; COMPUTE_PGM_RSRC3_GFX90A:TG_SPLIT: 0
	.section	.text._ZN7rocprim17ROCPRIM_400000_NS6detail17trampoline_kernelINS0_14default_configENS1_38merge_sort_block_merge_config_selectorIffEEZZNS1_27merge_sort_block_merge_implIS3_N6thrust23THRUST_200600_302600_NS6detail15normal_iteratorINS8_10device_ptrIfEEEESD_jNS1_19radix_merge_compareILb0ELb0EfNS0_19identity_decomposerEEEEE10hipError_tT0_T1_T2_jT3_P12ihipStream_tbPNSt15iterator_traitsISI_E10value_typeEPNSO_ISJ_E10value_typeEPSK_NS1_7vsmem_tEENKUlT_SI_SJ_SK_E_clIPfSD_S10_SD_EESH_SX_SI_SJ_SK_EUlSX_E1_NS1_11comp_targetILNS1_3genE3ELNS1_11target_archE908ELNS1_3gpuE7ELNS1_3repE0EEENS1_36merge_oddeven_config_static_selectorELNS0_4arch9wavefront6targetE1EEEvSJ_,"axG",@progbits,_ZN7rocprim17ROCPRIM_400000_NS6detail17trampoline_kernelINS0_14default_configENS1_38merge_sort_block_merge_config_selectorIffEEZZNS1_27merge_sort_block_merge_implIS3_N6thrust23THRUST_200600_302600_NS6detail15normal_iteratorINS8_10device_ptrIfEEEESD_jNS1_19radix_merge_compareILb0ELb0EfNS0_19identity_decomposerEEEEE10hipError_tT0_T1_T2_jT3_P12ihipStream_tbPNSt15iterator_traitsISI_E10value_typeEPNSO_ISJ_E10value_typeEPSK_NS1_7vsmem_tEENKUlT_SI_SJ_SK_E_clIPfSD_S10_SD_EESH_SX_SI_SJ_SK_EUlSX_E1_NS1_11comp_targetILNS1_3genE3ELNS1_11target_archE908ELNS1_3gpuE7ELNS1_3repE0EEENS1_36merge_oddeven_config_static_selectorELNS0_4arch9wavefront6targetE1EEEvSJ_,comdat
	.protected	_ZN7rocprim17ROCPRIM_400000_NS6detail17trampoline_kernelINS0_14default_configENS1_38merge_sort_block_merge_config_selectorIffEEZZNS1_27merge_sort_block_merge_implIS3_N6thrust23THRUST_200600_302600_NS6detail15normal_iteratorINS8_10device_ptrIfEEEESD_jNS1_19radix_merge_compareILb0ELb0EfNS0_19identity_decomposerEEEEE10hipError_tT0_T1_T2_jT3_P12ihipStream_tbPNSt15iterator_traitsISI_E10value_typeEPNSO_ISJ_E10value_typeEPSK_NS1_7vsmem_tEENKUlT_SI_SJ_SK_E_clIPfSD_S10_SD_EESH_SX_SI_SJ_SK_EUlSX_E1_NS1_11comp_targetILNS1_3genE3ELNS1_11target_archE908ELNS1_3gpuE7ELNS1_3repE0EEENS1_36merge_oddeven_config_static_selectorELNS0_4arch9wavefront6targetE1EEEvSJ_ ; -- Begin function _ZN7rocprim17ROCPRIM_400000_NS6detail17trampoline_kernelINS0_14default_configENS1_38merge_sort_block_merge_config_selectorIffEEZZNS1_27merge_sort_block_merge_implIS3_N6thrust23THRUST_200600_302600_NS6detail15normal_iteratorINS8_10device_ptrIfEEEESD_jNS1_19radix_merge_compareILb0ELb0EfNS0_19identity_decomposerEEEEE10hipError_tT0_T1_T2_jT3_P12ihipStream_tbPNSt15iterator_traitsISI_E10value_typeEPNSO_ISJ_E10value_typeEPSK_NS1_7vsmem_tEENKUlT_SI_SJ_SK_E_clIPfSD_S10_SD_EESH_SX_SI_SJ_SK_EUlSX_E1_NS1_11comp_targetILNS1_3genE3ELNS1_11target_archE908ELNS1_3gpuE7ELNS1_3repE0EEENS1_36merge_oddeven_config_static_selectorELNS0_4arch9wavefront6targetE1EEEvSJ_
	.globl	_ZN7rocprim17ROCPRIM_400000_NS6detail17trampoline_kernelINS0_14default_configENS1_38merge_sort_block_merge_config_selectorIffEEZZNS1_27merge_sort_block_merge_implIS3_N6thrust23THRUST_200600_302600_NS6detail15normal_iteratorINS8_10device_ptrIfEEEESD_jNS1_19radix_merge_compareILb0ELb0EfNS0_19identity_decomposerEEEEE10hipError_tT0_T1_T2_jT3_P12ihipStream_tbPNSt15iterator_traitsISI_E10value_typeEPNSO_ISJ_E10value_typeEPSK_NS1_7vsmem_tEENKUlT_SI_SJ_SK_E_clIPfSD_S10_SD_EESH_SX_SI_SJ_SK_EUlSX_E1_NS1_11comp_targetILNS1_3genE3ELNS1_11target_archE908ELNS1_3gpuE7ELNS1_3repE0EEENS1_36merge_oddeven_config_static_selectorELNS0_4arch9wavefront6targetE1EEEvSJ_
	.p2align	8
	.type	_ZN7rocprim17ROCPRIM_400000_NS6detail17trampoline_kernelINS0_14default_configENS1_38merge_sort_block_merge_config_selectorIffEEZZNS1_27merge_sort_block_merge_implIS3_N6thrust23THRUST_200600_302600_NS6detail15normal_iteratorINS8_10device_ptrIfEEEESD_jNS1_19radix_merge_compareILb0ELb0EfNS0_19identity_decomposerEEEEE10hipError_tT0_T1_T2_jT3_P12ihipStream_tbPNSt15iterator_traitsISI_E10value_typeEPNSO_ISJ_E10value_typeEPSK_NS1_7vsmem_tEENKUlT_SI_SJ_SK_E_clIPfSD_S10_SD_EESH_SX_SI_SJ_SK_EUlSX_E1_NS1_11comp_targetILNS1_3genE3ELNS1_11target_archE908ELNS1_3gpuE7ELNS1_3repE0EEENS1_36merge_oddeven_config_static_selectorELNS0_4arch9wavefront6targetE1EEEvSJ_,@function
_ZN7rocprim17ROCPRIM_400000_NS6detail17trampoline_kernelINS0_14default_configENS1_38merge_sort_block_merge_config_selectorIffEEZZNS1_27merge_sort_block_merge_implIS3_N6thrust23THRUST_200600_302600_NS6detail15normal_iteratorINS8_10device_ptrIfEEEESD_jNS1_19radix_merge_compareILb0ELb0EfNS0_19identity_decomposerEEEEE10hipError_tT0_T1_T2_jT3_P12ihipStream_tbPNSt15iterator_traitsISI_E10value_typeEPNSO_ISJ_E10value_typeEPSK_NS1_7vsmem_tEENKUlT_SI_SJ_SK_E_clIPfSD_S10_SD_EESH_SX_SI_SJ_SK_EUlSX_E1_NS1_11comp_targetILNS1_3genE3ELNS1_11target_archE908ELNS1_3gpuE7ELNS1_3repE0EEENS1_36merge_oddeven_config_static_selectorELNS0_4arch9wavefront6targetE1EEEvSJ_: ; @_ZN7rocprim17ROCPRIM_400000_NS6detail17trampoline_kernelINS0_14default_configENS1_38merge_sort_block_merge_config_selectorIffEEZZNS1_27merge_sort_block_merge_implIS3_N6thrust23THRUST_200600_302600_NS6detail15normal_iteratorINS8_10device_ptrIfEEEESD_jNS1_19radix_merge_compareILb0ELb0EfNS0_19identity_decomposerEEEEE10hipError_tT0_T1_T2_jT3_P12ihipStream_tbPNSt15iterator_traitsISI_E10value_typeEPNSO_ISJ_E10value_typeEPSK_NS1_7vsmem_tEENKUlT_SI_SJ_SK_E_clIPfSD_S10_SD_EESH_SX_SI_SJ_SK_EUlSX_E1_NS1_11comp_targetILNS1_3genE3ELNS1_11target_archE908ELNS1_3gpuE7ELNS1_3repE0EEENS1_36merge_oddeven_config_static_selectorELNS0_4arch9wavefront6targetE1EEEvSJ_
; %bb.0:
	.section	.rodata,"a",@progbits
	.p2align	6, 0x0
	.amdhsa_kernel _ZN7rocprim17ROCPRIM_400000_NS6detail17trampoline_kernelINS0_14default_configENS1_38merge_sort_block_merge_config_selectorIffEEZZNS1_27merge_sort_block_merge_implIS3_N6thrust23THRUST_200600_302600_NS6detail15normal_iteratorINS8_10device_ptrIfEEEESD_jNS1_19radix_merge_compareILb0ELb0EfNS0_19identity_decomposerEEEEE10hipError_tT0_T1_T2_jT3_P12ihipStream_tbPNSt15iterator_traitsISI_E10value_typeEPNSO_ISJ_E10value_typeEPSK_NS1_7vsmem_tEENKUlT_SI_SJ_SK_E_clIPfSD_S10_SD_EESH_SX_SI_SJ_SK_EUlSX_E1_NS1_11comp_targetILNS1_3genE3ELNS1_11target_archE908ELNS1_3gpuE7ELNS1_3repE0EEENS1_36merge_oddeven_config_static_selectorELNS0_4arch9wavefront6targetE1EEEvSJ_
		.amdhsa_group_segment_fixed_size 0
		.amdhsa_private_segment_fixed_size 0
		.amdhsa_kernarg_size 48
		.amdhsa_user_sgpr_count 2
		.amdhsa_user_sgpr_dispatch_ptr 0
		.amdhsa_user_sgpr_queue_ptr 0
		.amdhsa_user_sgpr_kernarg_segment_ptr 1
		.amdhsa_user_sgpr_dispatch_id 0
		.amdhsa_user_sgpr_kernarg_preload_length 0
		.amdhsa_user_sgpr_kernarg_preload_offset 0
		.amdhsa_user_sgpr_private_segment_size 0
		.amdhsa_uses_dynamic_stack 0
		.amdhsa_enable_private_segment 0
		.amdhsa_system_sgpr_workgroup_id_x 1
		.amdhsa_system_sgpr_workgroup_id_y 0
		.amdhsa_system_sgpr_workgroup_id_z 0
		.amdhsa_system_sgpr_workgroup_info 0
		.amdhsa_system_vgpr_workitem_id 0
		.amdhsa_next_free_vgpr 1
		.amdhsa_next_free_sgpr 0
		.amdhsa_accum_offset 4
		.amdhsa_reserve_vcc 0
		.amdhsa_float_round_mode_32 0
		.amdhsa_float_round_mode_16_64 0
		.amdhsa_float_denorm_mode_32 3
		.amdhsa_float_denorm_mode_16_64 3
		.amdhsa_dx10_clamp 1
		.amdhsa_ieee_mode 1
		.amdhsa_fp16_overflow 0
		.amdhsa_tg_split 0
		.amdhsa_exception_fp_ieee_invalid_op 0
		.amdhsa_exception_fp_denorm_src 0
		.amdhsa_exception_fp_ieee_div_zero 0
		.amdhsa_exception_fp_ieee_overflow 0
		.amdhsa_exception_fp_ieee_underflow 0
		.amdhsa_exception_fp_ieee_inexact 0
		.amdhsa_exception_int_div_zero 0
	.end_amdhsa_kernel
	.section	.text._ZN7rocprim17ROCPRIM_400000_NS6detail17trampoline_kernelINS0_14default_configENS1_38merge_sort_block_merge_config_selectorIffEEZZNS1_27merge_sort_block_merge_implIS3_N6thrust23THRUST_200600_302600_NS6detail15normal_iteratorINS8_10device_ptrIfEEEESD_jNS1_19radix_merge_compareILb0ELb0EfNS0_19identity_decomposerEEEEE10hipError_tT0_T1_T2_jT3_P12ihipStream_tbPNSt15iterator_traitsISI_E10value_typeEPNSO_ISJ_E10value_typeEPSK_NS1_7vsmem_tEENKUlT_SI_SJ_SK_E_clIPfSD_S10_SD_EESH_SX_SI_SJ_SK_EUlSX_E1_NS1_11comp_targetILNS1_3genE3ELNS1_11target_archE908ELNS1_3gpuE7ELNS1_3repE0EEENS1_36merge_oddeven_config_static_selectorELNS0_4arch9wavefront6targetE1EEEvSJ_,"axG",@progbits,_ZN7rocprim17ROCPRIM_400000_NS6detail17trampoline_kernelINS0_14default_configENS1_38merge_sort_block_merge_config_selectorIffEEZZNS1_27merge_sort_block_merge_implIS3_N6thrust23THRUST_200600_302600_NS6detail15normal_iteratorINS8_10device_ptrIfEEEESD_jNS1_19radix_merge_compareILb0ELb0EfNS0_19identity_decomposerEEEEE10hipError_tT0_T1_T2_jT3_P12ihipStream_tbPNSt15iterator_traitsISI_E10value_typeEPNSO_ISJ_E10value_typeEPSK_NS1_7vsmem_tEENKUlT_SI_SJ_SK_E_clIPfSD_S10_SD_EESH_SX_SI_SJ_SK_EUlSX_E1_NS1_11comp_targetILNS1_3genE3ELNS1_11target_archE908ELNS1_3gpuE7ELNS1_3repE0EEENS1_36merge_oddeven_config_static_selectorELNS0_4arch9wavefront6targetE1EEEvSJ_,comdat
.Lfunc_end241:
	.size	_ZN7rocprim17ROCPRIM_400000_NS6detail17trampoline_kernelINS0_14default_configENS1_38merge_sort_block_merge_config_selectorIffEEZZNS1_27merge_sort_block_merge_implIS3_N6thrust23THRUST_200600_302600_NS6detail15normal_iteratorINS8_10device_ptrIfEEEESD_jNS1_19radix_merge_compareILb0ELb0EfNS0_19identity_decomposerEEEEE10hipError_tT0_T1_T2_jT3_P12ihipStream_tbPNSt15iterator_traitsISI_E10value_typeEPNSO_ISJ_E10value_typeEPSK_NS1_7vsmem_tEENKUlT_SI_SJ_SK_E_clIPfSD_S10_SD_EESH_SX_SI_SJ_SK_EUlSX_E1_NS1_11comp_targetILNS1_3genE3ELNS1_11target_archE908ELNS1_3gpuE7ELNS1_3repE0EEENS1_36merge_oddeven_config_static_selectorELNS0_4arch9wavefront6targetE1EEEvSJ_, .Lfunc_end241-_ZN7rocprim17ROCPRIM_400000_NS6detail17trampoline_kernelINS0_14default_configENS1_38merge_sort_block_merge_config_selectorIffEEZZNS1_27merge_sort_block_merge_implIS3_N6thrust23THRUST_200600_302600_NS6detail15normal_iteratorINS8_10device_ptrIfEEEESD_jNS1_19radix_merge_compareILb0ELb0EfNS0_19identity_decomposerEEEEE10hipError_tT0_T1_T2_jT3_P12ihipStream_tbPNSt15iterator_traitsISI_E10value_typeEPNSO_ISJ_E10value_typeEPSK_NS1_7vsmem_tEENKUlT_SI_SJ_SK_E_clIPfSD_S10_SD_EESH_SX_SI_SJ_SK_EUlSX_E1_NS1_11comp_targetILNS1_3genE3ELNS1_11target_archE908ELNS1_3gpuE7ELNS1_3repE0EEENS1_36merge_oddeven_config_static_selectorELNS0_4arch9wavefront6targetE1EEEvSJ_
                                        ; -- End function
	.set _ZN7rocprim17ROCPRIM_400000_NS6detail17trampoline_kernelINS0_14default_configENS1_38merge_sort_block_merge_config_selectorIffEEZZNS1_27merge_sort_block_merge_implIS3_N6thrust23THRUST_200600_302600_NS6detail15normal_iteratorINS8_10device_ptrIfEEEESD_jNS1_19radix_merge_compareILb0ELb0EfNS0_19identity_decomposerEEEEE10hipError_tT0_T1_T2_jT3_P12ihipStream_tbPNSt15iterator_traitsISI_E10value_typeEPNSO_ISJ_E10value_typeEPSK_NS1_7vsmem_tEENKUlT_SI_SJ_SK_E_clIPfSD_S10_SD_EESH_SX_SI_SJ_SK_EUlSX_E1_NS1_11comp_targetILNS1_3genE3ELNS1_11target_archE908ELNS1_3gpuE7ELNS1_3repE0EEENS1_36merge_oddeven_config_static_selectorELNS0_4arch9wavefront6targetE1EEEvSJ_.num_vgpr, 0
	.set _ZN7rocprim17ROCPRIM_400000_NS6detail17trampoline_kernelINS0_14default_configENS1_38merge_sort_block_merge_config_selectorIffEEZZNS1_27merge_sort_block_merge_implIS3_N6thrust23THRUST_200600_302600_NS6detail15normal_iteratorINS8_10device_ptrIfEEEESD_jNS1_19radix_merge_compareILb0ELb0EfNS0_19identity_decomposerEEEEE10hipError_tT0_T1_T2_jT3_P12ihipStream_tbPNSt15iterator_traitsISI_E10value_typeEPNSO_ISJ_E10value_typeEPSK_NS1_7vsmem_tEENKUlT_SI_SJ_SK_E_clIPfSD_S10_SD_EESH_SX_SI_SJ_SK_EUlSX_E1_NS1_11comp_targetILNS1_3genE3ELNS1_11target_archE908ELNS1_3gpuE7ELNS1_3repE0EEENS1_36merge_oddeven_config_static_selectorELNS0_4arch9wavefront6targetE1EEEvSJ_.num_agpr, 0
	.set _ZN7rocprim17ROCPRIM_400000_NS6detail17trampoline_kernelINS0_14default_configENS1_38merge_sort_block_merge_config_selectorIffEEZZNS1_27merge_sort_block_merge_implIS3_N6thrust23THRUST_200600_302600_NS6detail15normal_iteratorINS8_10device_ptrIfEEEESD_jNS1_19radix_merge_compareILb0ELb0EfNS0_19identity_decomposerEEEEE10hipError_tT0_T1_T2_jT3_P12ihipStream_tbPNSt15iterator_traitsISI_E10value_typeEPNSO_ISJ_E10value_typeEPSK_NS1_7vsmem_tEENKUlT_SI_SJ_SK_E_clIPfSD_S10_SD_EESH_SX_SI_SJ_SK_EUlSX_E1_NS1_11comp_targetILNS1_3genE3ELNS1_11target_archE908ELNS1_3gpuE7ELNS1_3repE0EEENS1_36merge_oddeven_config_static_selectorELNS0_4arch9wavefront6targetE1EEEvSJ_.numbered_sgpr, 0
	.set _ZN7rocprim17ROCPRIM_400000_NS6detail17trampoline_kernelINS0_14default_configENS1_38merge_sort_block_merge_config_selectorIffEEZZNS1_27merge_sort_block_merge_implIS3_N6thrust23THRUST_200600_302600_NS6detail15normal_iteratorINS8_10device_ptrIfEEEESD_jNS1_19radix_merge_compareILb0ELb0EfNS0_19identity_decomposerEEEEE10hipError_tT0_T1_T2_jT3_P12ihipStream_tbPNSt15iterator_traitsISI_E10value_typeEPNSO_ISJ_E10value_typeEPSK_NS1_7vsmem_tEENKUlT_SI_SJ_SK_E_clIPfSD_S10_SD_EESH_SX_SI_SJ_SK_EUlSX_E1_NS1_11comp_targetILNS1_3genE3ELNS1_11target_archE908ELNS1_3gpuE7ELNS1_3repE0EEENS1_36merge_oddeven_config_static_selectorELNS0_4arch9wavefront6targetE1EEEvSJ_.num_named_barrier, 0
	.set _ZN7rocprim17ROCPRIM_400000_NS6detail17trampoline_kernelINS0_14default_configENS1_38merge_sort_block_merge_config_selectorIffEEZZNS1_27merge_sort_block_merge_implIS3_N6thrust23THRUST_200600_302600_NS6detail15normal_iteratorINS8_10device_ptrIfEEEESD_jNS1_19radix_merge_compareILb0ELb0EfNS0_19identity_decomposerEEEEE10hipError_tT0_T1_T2_jT3_P12ihipStream_tbPNSt15iterator_traitsISI_E10value_typeEPNSO_ISJ_E10value_typeEPSK_NS1_7vsmem_tEENKUlT_SI_SJ_SK_E_clIPfSD_S10_SD_EESH_SX_SI_SJ_SK_EUlSX_E1_NS1_11comp_targetILNS1_3genE3ELNS1_11target_archE908ELNS1_3gpuE7ELNS1_3repE0EEENS1_36merge_oddeven_config_static_selectorELNS0_4arch9wavefront6targetE1EEEvSJ_.private_seg_size, 0
	.set _ZN7rocprim17ROCPRIM_400000_NS6detail17trampoline_kernelINS0_14default_configENS1_38merge_sort_block_merge_config_selectorIffEEZZNS1_27merge_sort_block_merge_implIS3_N6thrust23THRUST_200600_302600_NS6detail15normal_iteratorINS8_10device_ptrIfEEEESD_jNS1_19radix_merge_compareILb0ELb0EfNS0_19identity_decomposerEEEEE10hipError_tT0_T1_T2_jT3_P12ihipStream_tbPNSt15iterator_traitsISI_E10value_typeEPNSO_ISJ_E10value_typeEPSK_NS1_7vsmem_tEENKUlT_SI_SJ_SK_E_clIPfSD_S10_SD_EESH_SX_SI_SJ_SK_EUlSX_E1_NS1_11comp_targetILNS1_3genE3ELNS1_11target_archE908ELNS1_3gpuE7ELNS1_3repE0EEENS1_36merge_oddeven_config_static_selectorELNS0_4arch9wavefront6targetE1EEEvSJ_.uses_vcc, 0
	.set _ZN7rocprim17ROCPRIM_400000_NS6detail17trampoline_kernelINS0_14default_configENS1_38merge_sort_block_merge_config_selectorIffEEZZNS1_27merge_sort_block_merge_implIS3_N6thrust23THRUST_200600_302600_NS6detail15normal_iteratorINS8_10device_ptrIfEEEESD_jNS1_19radix_merge_compareILb0ELb0EfNS0_19identity_decomposerEEEEE10hipError_tT0_T1_T2_jT3_P12ihipStream_tbPNSt15iterator_traitsISI_E10value_typeEPNSO_ISJ_E10value_typeEPSK_NS1_7vsmem_tEENKUlT_SI_SJ_SK_E_clIPfSD_S10_SD_EESH_SX_SI_SJ_SK_EUlSX_E1_NS1_11comp_targetILNS1_3genE3ELNS1_11target_archE908ELNS1_3gpuE7ELNS1_3repE0EEENS1_36merge_oddeven_config_static_selectorELNS0_4arch9wavefront6targetE1EEEvSJ_.uses_flat_scratch, 0
	.set _ZN7rocprim17ROCPRIM_400000_NS6detail17trampoline_kernelINS0_14default_configENS1_38merge_sort_block_merge_config_selectorIffEEZZNS1_27merge_sort_block_merge_implIS3_N6thrust23THRUST_200600_302600_NS6detail15normal_iteratorINS8_10device_ptrIfEEEESD_jNS1_19radix_merge_compareILb0ELb0EfNS0_19identity_decomposerEEEEE10hipError_tT0_T1_T2_jT3_P12ihipStream_tbPNSt15iterator_traitsISI_E10value_typeEPNSO_ISJ_E10value_typeEPSK_NS1_7vsmem_tEENKUlT_SI_SJ_SK_E_clIPfSD_S10_SD_EESH_SX_SI_SJ_SK_EUlSX_E1_NS1_11comp_targetILNS1_3genE3ELNS1_11target_archE908ELNS1_3gpuE7ELNS1_3repE0EEENS1_36merge_oddeven_config_static_selectorELNS0_4arch9wavefront6targetE1EEEvSJ_.has_dyn_sized_stack, 0
	.set _ZN7rocprim17ROCPRIM_400000_NS6detail17trampoline_kernelINS0_14default_configENS1_38merge_sort_block_merge_config_selectorIffEEZZNS1_27merge_sort_block_merge_implIS3_N6thrust23THRUST_200600_302600_NS6detail15normal_iteratorINS8_10device_ptrIfEEEESD_jNS1_19radix_merge_compareILb0ELb0EfNS0_19identity_decomposerEEEEE10hipError_tT0_T1_T2_jT3_P12ihipStream_tbPNSt15iterator_traitsISI_E10value_typeEPNSO_ISJ_E10value_typeEPSK_NS1_7vsmem_tEENKUlT_SI_SJ_SK_E_clIPfSD_S10_SD_EESH_SX_SI_SJ_SK_EUlSX_E1_NS1_11comp_targetILNS1_3genE3ELNS1_11target_archE908ELNS1_3gpuE7ELNS1_3repE0EEENS1_36merge_oddeven_config_static_selectorELNS0_4arch9wavefront6targetE1EEEvSJ_.has_recursion, 0
	.set _ZN7rocprim17ROCPRIM_400000_NS6detail17trampoline_kernelINS0_14default_configENS1_38merge_sort_block_merge_config_selectorIffEEZZNS1_27merge_sort_block_merge_implIS3_N6thrust23THRUST_200600_302600_NS6detail15normal_iteratorINS8_10device_ptrIfEEEESD_jNS1_19radix_merge_compareILb0ELb0EfNS0_19identity_decomposerEEEEE10hipError_tT0_T1_T2_jT3_P12ihipStream_tbPNSt15iterator_traitsISI_E10value_typeEPNSO_ISJ_E10value_typeEPSK_NS1_7vsmem_tEENKUlT_SI_SJ_SK_E_clIPfSD_S10_SD_EESH_SX_SI_SJ_SK_EUlSX_E1_NS1_11comp_targetILNS1_3genE3ELNS1_11target_archE908ELNS1_3gpuE7ELNS1_3repE0EEENS1_36merge_oddeven_config_static_selectorELNS0_4arch9wavefront6targetE1EEEvSJ_.has_indirect_call, 0
	.section	.AMDGPU.csdata,"",@progbits
; Kernel info:
; codeLenInByte = 0
; TotalNumSgprs: 6
; NumVgprs: 0
; NumAgprs: 0
; TotalNumVgprs: 0
; ScratchSize: 0
; MemoryBound: 0
; FloatMode: 240
; IeeeMode: 1
; LDSByteSize: 0 bytes/workgroup (compile time only)
; SGPRBlocks: 0
; VGPRBlocks: 0
; NumSGPRsForWavesPerEU: 6
; NumVGPRsForWavesPerEU: 1
; AccumOffset: 4
; Occupancy: 8
; WaveLimiterHint : 0
; COMPUTE_PGM_RSRC2:SCRATCH_EN: 0
; COMPUTE_PGM_RSRC2:USER_SGPR: 2
; COMPUTE_PGM_RSRC2:TRAP_HANDLER: 0
; COMPUTE_PGM_RSRC2:TGID_X_EN: 1
; COMPUTE_PGM_RSRC2:TGID_Y_EN: 0
; COMPUTE_PGM_RSRC2:TGID_Z_EN: 0
; COMPUTE_PGM_RSRC2:TIDIG_COMP_CNT: 0
; COMPUTE_PGM_RSRC3_GFX90A:ACCUM_OFFSET: 0
; COMPUTE_PGM_RSRC3_GFX90A:TG_SPLIT: 0
	.section	.text._ZN7rocprim17ROCPRIM_400000_NS6detail17trampoline_kernelINS0_14default_configENS1_38merge_sort_block_merge_config_selectorIffEEZZNS1_27merge_sort_block_merge_implIS3_N6thrust23THRUST_200600_302600_NS6detail15normal_iteratorINS8_10device_ptrIfEEEESD_jNS1_19radix_merge_compareILb0ELb0EfNS0_19identity_decomposerEEEEE10hipError_tT0_T1_T2_jT3_P12ihipStream_tbPNSt15iterator_traitsISI_E10value_typeEPNSO_ISJ_E10value_typeEPSK_NS1_7vsmem_tEENKUlT_SI_SJ_SK_E_clIPfSD_S10_SD_EESH_SX_SI_SJ_SK_EUlSX_E1_NS1_11comp_targetILNS1_3genE2ELNS1_11target_archE906ELNS1_3gpuE6ELNS1_3repE0EEENS1_36merge_oddeven_config_static_selectorELNS0_4arch9wavefront6targetE1EEEvSJ_,"axG",@progbits,_ZN7rocprim17ROCPRIM_400000_NS6detail17trampoline_kernelINS0_14default_configENS1_38merge_sort_block_merge_config_selectorIffEEZZNS1_27merge_sort_block_merge_implIS3_N6thrust23THRUST_200600_302600_NS6detail15normal_iteratorINS8_10device_ptrIfEEEESD_jNS1_19radix_merge_compareILb0ELb0EfNS0_19identity_decomposerEEEEE10hipError_tT0_T1_T2_jT3_P12ihipStream_tbPNSt15iterator_traitsISI_E10value_typeEPNSO_ISJ_E10value_typeEPSK_NS1_7vsmem_tEENKUlT_SI_SJ_SK_E_clIPfSD_S10_SD_EESH_SX_SI_SJ_SK_EUlSX_E1_NS1_11comp_targetILNS1_3genE2ELNS1_11target_archE906ELNS1_3gpuE6ELNS1_3repE0EEENS1_36merge_oddeven_config_static_selectorELNS0_4arch9wavefront6targetE1EEEvSJ_,comdat
	.protected	_ZN7rocprim17ROCPRIM_400000_NS6detail17trampoline_kernelINS0_14default_configENS1_38merge_sort_block_merge_config_selectorIffEEZZNS1_27merge_sort_block_merge_implIS3_N6thrust23THRUST_200600_302600_NS6detail15normal_iteratorINS8_10device_ptrIfEEEESD_jNS1_19radix_merge_compareILb0ELb0EfNS0_19identity_decomposerEEEEE10hipError_tT0_T1_T2_jT3_P12ihipStream_tbPNSt15iterator_traitsISI_E10value_typeEPNSO_ISJ_E10value_typeEPSK_NS1_7vsmem_tEENKUlT_SI_SJ_SK_E_clIPfSD_S10_SD_EESH_SX_SI_SJ_SK_EUlSX_E1_NS1_11comp_targetILNS1_3genE2ELNS1_11target_archE906ELNS1_3gpuE6ELNS1_3repE0EEENS1_36merge_oddeven_config_static_selectorELNS0_4arch9wavefront6targetE1EEEvSJ_ ; -- Begin function _ZN7rocprim17ROCPRIM_400000_NS6detail17trampoline_kernelINS0_14default_configENS1_38merge_sort_block_merge_config_selectorIffEEZZNS1_27merge_sort_block_merge_implIS3_N6thrust23THRUST_200600_302600_NS6detail15normal_iteratorINS8_10device_ptrIfEEEESD_jNS1_19radix_merge_compareILb0ELb0EfNS0_19identity_decomposerEEEEE10hipError_tT0_T1_T2_jT3_P12ihipStream_tbPNSt15iterator_traitsISI_E10value_typeEPNSO_ISJ_E10value_typeEPSK_NS1_7vsmem_tEENKUlT_SI_SJ_SK_E_clIPfSD_S10_SD_EESH_SX_SI_SJ_SK_EUlSX_E1_NS1_11comp_targetILNS1_3genE2ELNS1_11target_archE906ELNS1_3gpuE6ELNS1_3repE0EEENS1_36merge_oddeven_config_static_selectorELNS0_4arch9wavefront6targetE1EEEvSJ_
	.globl	_ZN7rocprim17ROCPRIM_400000_NS6detail17trampoline_kernelINS0_14default_configENS1_38merge_sort_block_merge_config_selectorIffEEZZNS1_27merge_sort_block_merge_implIS3_N6thrust23THRUST_200600_302600_NS6detail15normal_iteratorINS8_10device_ptrIfEEEESD_jNS1_19radix_merge_compareILb0ELb0EfNS0_19identity_decomposerEEEEE10hipError_tT0_T1_T2_jT3_P12ihipStream_tbPNSt15iterator_traitsISI_E10value_typeEPNSO_ISJ_E10value_typeEPSK_NS1_7vsmem_tEENKUlT_SI_SJ_SK_E_clIPfSD_S10_SD_EESH_SX_SI_SJ_SK_EUlSX_E1_NS1_11comp_targetILNS1_3genE2ELNS1_11target_archE906ELNS1_3gpuE6ELNS1_3repE0EEENS1_36merge_oddeven_config_static_selectorELNS0_4arch9wavefront6targetE1EEEvSJ_
	.p2align	8
	.type	_ZN7rocprim17ROCPRIM_400000_NS6detail17trampoline_kernelINS0_14default_configENS1_38merge_sort_block_merge_config_selectorIffEEZZNS1_27merge_sort_block_merge_implIS3_N6thrust23THRUST_200600_302600_NS6detail15normal_iteratorINS8_10device_ptrIfEEEESD_jNS1_19radix_merge_compareILb0ELb0EfNS0_19identity_decomposerEEEEE10hipError_tT0_T1_T2_jT3_P12ihipStream_tbPNSt15iterator_traitsISI_E10value_typeEPNSO_ISJ_E10value_typeEPSK_NS1_7vsmem_tEENKUlT_SI_SJ_SK_E_clIPfSD_S10_SD_EESH_SX_SI_SJ_SK_EUlSX_E1_NS1_11comp_targetILNS1_3genE2ELNS1_11target_archE906ELNS1_3gpuE6ELNS1_3repE0EEENS1_36merge_oddeven_config_static_selectorELNS0_4arch9wavefront6targetE1EEEvSJ_,@function
_ZN7rocprim17ROCPRIM_400000_NS6detail17trampoline_kernelINS0_14default_configENS1_38merge_sort_block_merge_config_selectorIffEEZZNS1_27merge_sort_block_merge_implIS3_N6thrust23THRUST_200600_302600_NS6detail15normal_iteratorINS8_10device_ptrIfEEEESD_jNS1_19radix_merge_compareILb0ELb0EfNS0_19identity_decomposerEEEEE10hipError_tT0_T1_T2_jT3_P12ihipStream_tbPNSt15iterator_traitsISI_E10value_typeEPNSO_ISJ_E10value_typeEPSK_NS1_7vsmem_tEENKUlT_SI_SJ_SK_E_clIPfSD_S10_SD_EESH_SX_SI_SJ_SK_EUlSX_E1_NS1_11comp_targetILNS1_3genE2ELNS1_11target_archE906ELNS1_3gpuE6ELNS1_3repE0EEENS1_36merge_oddeven_config_static_selectorELNS0_4arch9wavefront6targetE1EEEvSJ_: ; @_ZN7rocprim17ROCPRIM_400000_NS6detail17trampoline_kernelINS0_14default_configENS1_38merge_sort_block_merge_config_selectorIffEEZZNS1_27merge_sort_block_merge_implIS3_N6thrust23THRUST_200600_302600_NS6detail15normal_iteratorINS8_10device_ptrIfEEEESD_jNS1_19radix_merge_compareILb0ELb0EfNS0_19identity_decomposerEEEEE10hipError_tT0_T1_T2_jT3_P12ihipStream_tbPNSt15iterator_traitsISI_E10value_typeEPNSO_ISJ_E10value_typeEPSK_NS1_7vsmem_tEENKUlT_SI_SJ_SK_E_clIPfSD_S10_SD_EESH_SX_SI_SJ_SK_EUlSX_E1_NS1_11comp_targetILNS1_3genE2ELNS1_11target_archE906ELNS1_3gpuE6ELNS1_3repE0EEENS1_36merge_oddeven_config_static_selectorELNS0_4arch9wavefront6targetE1EEEvSJ_
; %bb.0:
	.section	.rodata,"a",@progbits
	.p2align	6, 0x0
	.amdhsa_kernel _ZN7rocprim17ROCPRIM_400000_NS6detail17trampoline_kernelINS0_14default_configENS1_38merge_sort_block_merge_config_selectorIffEEZZNS1_27merge_sort_block_merge_implIS3_N6thrust23THRUST_200600_302600_NS6detail15normal_iteratorINS8_10device_ptrIfEEEESD_jNS1_19radix_merge_compareILb0ELb0EfNS0_19identity_decomposerEEEEE10hipError_tT0_T1_T2_jT3_P12ihipStream_tbPNSt15iterator_traitsISI_E10value_typeEPNSO_ISJ_E10value_typeEPSK_NS1_7vsmem_tEENKUlT_SI_SJ_SK_E_clIPfSD_S10_SD_EESH_SX_SI_SJ_SK_EUlSX_E1_NS1_11comp_targetILNS1_3genE2ELNS1_11target_archE906ELNS1_3gpuE6ELNS1_3repE0EEENS1_36merge_oddeven_config_static_selectorELNS0_4arch9wavefront6targetE1EEEvSJ_
		.amdhsa_group_segment_fixed_size 0
		.amdhsa_private_segment_fixed_size 0
		.amdhsa_kernarg_size 48
		.amdhsa_user_sgpr_count 2
		.amdhsa_user_sgpr_dispatch_ptr 0
		.amdhsa_user_sgpr_queue_ptr 0
		.amdhsa_user_sgpr_kernarg_segment_ptr 1
		.amdhsa_user_sgpr_dispatch_id 0
		.amdhsa_user_sgpr_kernarg_preload_length 0
		.amdhsa_user_sgpr_kernarg_preload_offset 0
		.amdhsa_user_sgpr_private_segment_size 0
		.amdhsa_uses_dynamic_stack 0
		.amdhsa_enable_private_segment 0
		.amdhsa_system_sgpr_workgroup_id_x 1
		.amdhsa_system_sgpr_workgroup_id_y 0
		.amdhsa_system_sgpr_workgroup_id_z 0
		.amdhsa_system_sgpr_workgroup_info 0
		.amdhsa_system_vgpr_workitem_id 0
		.amdhsa_next_free_vgpr 1
		.amdhsa_next_free_sgpr 0
		.amdhsa_accum_offset 4
		.amdhsa_reserve_vcc 0
		.amdhsa_float_round_mode_32 0
		.amdhsa_float_round_mode_16_64 0
		.amdhsa_float_denorm_mode_32 3
		.amdhsa_float_denorm_mode_16_64 3
		.amdhsa_dx10_clamp 1
		.amdhsa_ieee_mode 1
		.amdhsa_fp16_overflow 0
		.amdhsa_tg_split 0
		.amdhsa_exception_fp_ieee_invalid_op 0
		.amdhsa_exception_fp_denorm_src 0
		.amdhsa_exception_fp_ieee_div_zero 0
		.amdhsa_exception_fp_ieee_overflow 0
		.amdhsa_exception_fp_ieee_underflow 0
		.amdhsa_exception_fp_ieee_inexact 0
		.amdhsa_exception_int_div_zero 0
	.end_amdhsa_kernel
	.section	.text._ZN7rocprim17ROCPRIM_400000_NS6detail17trampoline_kernelINS0_14default_configENS1_38merge_sort_block_merge_config_selectorIffEEZZNS1_27merge_sort_block_merge_implIS3_N6thrust23THRUST_200600_302600_NS6detail15normal_iteratorINS8_10device_ptrIfEEEESD_jNS1_19radix_merge_compareILb0ELb0EfNS0_19identity_decomposerEEEEE10hipError_tT0_T1_T2_jT3_P12ihipStream_tbPNSt15iterator_traitsISI_E10value_typeEPNSO_ISJ_E10value_typeEPSK_NS1_7vsmem_tEENKUlT_SI_SJ_SK_E_clIPfSD_S10_SD_EESH_SX_SI_SJ_SK_EUlSX_E1_NS1_11comp_targetILNS1_3genE2ELNS1_11target_archE906ELNS1_3gpuE6ELNS1_3repE0EEENS1_36merge_oddeven_config_static_selectorELNS0_4arch9wavefront6targetE1EEEvSJ_,"axG",@progbits,_ZN7rocprim17ROCPRIM_400000_NS6detail17trampoline_kernelINS0_14default_configENS1_38merge_sort_block_merge_config_selectorIffEEZZNS1_27merge_sort_block_merge_implIS3_N6thrust23THRUST_200600_302600_NS6detail15normal_iteratorINS8_10device_ptrIfEEEESD_jNS1_19radix_merge_compareILb0ELb0EfNS0_19identity_decomposerEEEEE10hipError_tT0_T1_T2_jT3_P12ihipStream_tbPNSt15iterator_traitsISI_E10value_typeEPNSO_ISJ_E10value_typeEPSK_NS1_7vsmem_tEENKUlT_SI_SJ_SK_E_clIPfSD_S10_SD_EESH_SX_SI_SJ_SK_EUlSX_E1_NS1_11comp_targetILNS1_3genE2ELNS1_11target_archE906ELNS1_3gpuE6ELNS1_3repE0EEENS1_36merge_oddeven_config_static_selectorELNS0_4arch9wavefront6targetE1EEEvSJ_,comdat
.Lfunc_end242:
	.size	_ZN7rocprim17ROCPRIM_400000_NS6detail17trampoline_kernelINS0_14default_configENS1_38merge_sort_block_merge_config_selectorIffEEZZNS1_27merge_sort_block_merge_implIS3_N6thrust23THRUST_200600_302600_NS6detail15normal_iteratorINS8_10device_ptrIfEEEESD_jNS1_19radix_merge_compareILb0ELb0EfNS0_19identity_decomposerEEEEE10hipError_tT0_T1_T2_jT3_P12ihipStream_tbPNSt15iterator_traitsISI_E10value_typeEPNSO_ISJ_E10value_typeEPSK_NS1_7vsmem_tEENKUlT_SI_SJ_SK_E_clIPfSD_S10_SD_EESH_SX_SI_SJ_SK_EUlSX_E1_NS1_11comp_targetILNS1_3genE2ELNS1_11target_archE906ELNS1_3gpuE6ELNS1_3repE0EEENS1_36merge_oddeven_config_static_selectorELNS0_4arch9wavefront6targetE1EEEvSJ_, .Lfunc_end242-_ZN7rocprim17ROCPRIM_400000_NS6detail17trampoline_kernelINS0_14default_configENS1_38merge_sort_block_merge_config_selectorIffEEZZNS1_27merge_sort_block_merge_implIS3_N6thrust23THRUST_200600_302600_NS6detail15normal_iteratorINS8_10device_ptrIfEEEESD_jNS1_19radix_merge_compareILb0ELb0EfNS0_19identity_decomposerEEEEE10hipError_tT0_T1_T2_jT3_P12ihipStream_tbPNSt15iterator_traitsISI_E10value_typeEPNSO_ISJ_E10value_typeEPSK_NS1_7vsmem_tEENKUlT_SI_SJ_SK_E_clIPfSD_S10_SD_EESH_SX_SI_SJ_SK_EUlSX_E1_NS1_11comp_targetILNS1_3genE2ELNS1_11target_archE906ELNS1_3gpuE6ELNS1_3repE0EEENS1_36merge_oddeven_config_static_selectorELNS0_4arch9wavefront6targetE1EEEvSJ_
                                        ; -- End function
	.set _ZN7rocprim17ROCPRIM_400000_NS6detail17trampoline_kernelINS0_14default_configENS1_38merge_sort_block_merge_config_selectorIffEEZZNS1_27merge_sort_block_merge_implIS3_N6thrust23THRUST_200600_302600_NS6detail15normal_iteratorINS8_10device_ptrIfEEEESD_jNS1_19radix_merge_compareILb0ELb0EfNS0_19identity_decomposerEEEEE10hipError_tT0_T1_T2_jT3_P12ihipStream_tbPNSt15iterator_traitsISI_E10value_typeEPNSO_ISJ_E10value_typeEPSK_NS1_7vsmem_tEENKUlT_SI_SJ_SK_E_clIPfSD_S10_SD_EESH_SX_SI_SJ_SK_EUlSX_E1_NS1_11comp_targetILNS1_3genE2ELNS1_11target_archE906ELNS1_3gpuE6ELNS1_3repE0EEENS1_36merge_oddeven_config_static_selectorELNS0_4arch9wavefront6targetE1EEEvSJ_.num_vgpr, 0
	.set _ZN7rocprim17ROCPRIM_400000_NS6detail17trampoline_kernelINS0_14default_configENS1_38merge_sort_block_merge_config_selectorIffEEZZNS1_27merge_sort_block_merge_implIS3_N6thrust23THRUST_200600_302600_NS6detail15normal_iteratorINS8_10device_ptrIfEEEESD_jNS1_19radix_merge_compareILb0ELb0EfNS0_19identity_decomposerEEEEE10hipError_tT0_T1_T2_jT3_P12ihipStream_tbPNSt15iterator_traitsISI_E10value_typeEPNSO_ISJ_E10value_typeEPSK_NS1_7vsmem_tEENKUlT_SI_SJ_SK_E_clIPfSD_S10_SD_EESH_SX_SI_SJ_SK_EUlSX_E1_NS1_11comp_targetILNS1_3genE2ELNS1_11target_archE906ELNS1_3gpuE6ELNS1_3repE0EEENS1_36merge_oddeven_config_static_selectorELNS0_4arch9wavefront6targetE1EEEvSJ_.num_agpr, 0
	.set _ZN7rocprim17ROCPRIM_400000_NS6detail17trampoline_kernelINS0_14default_configENS1_38merge_sort_block_merge_config_selectorIffEEZZNS1_27merge_sort_block_merge_implIS3_N6thrust23THRUST_200600_302600_NS6detail15normal_iteratorINS8_10device_ptrIfEEEESD_jNS1_19radix_merge_compareILb0ELb0EfNS0_19identity_decomposerEEEEE10hipError_tT0_T1_T2_jT3_P12ihipStream_tbPNSt15iterator_traitsISI_E10value_typeEPNSO_ISJ_E10value_typeEPSK_NS1_7vsmem_tEENKUlT_SI_SJ_SK_E_clIPfSD_S10_SD_EESH_SX_SI_SJ_SK_EUlSX_E1_NS1_11comp_targetILNS1_3genE2ELNS1_11target_archE906ELNS1_3gpuE6ELNS1_3repE0EEENS1_36merge_oddeven_config_static_selectorELNS0_4arch9wavefront6targetE1EEEvSJ_.numbered_sgpr, 0
	.set _ZN7rocprim17ROCPRIM_400000_NS6detail17trampoline_kernelINS0_14default_configENS1_38merge_sort_block_merge_config_selectorIffEEZZNS1_27merge_sort_block_merge_implIS3_N6thrust23THRUST_200600_302600_NS6detail15normal_iteratorINS8_10device_ptrIfEEEESD_jNS1_19radix_merge_compareILb0ELb0EfNS0_19identity_decomposerEEEEE10hipError_tT0_T1_T2_jT3_P12ihipStream_tbPNSt15iterator_traitsISI_E10value_typeEPNSO_ISJ_E10value_typeEPSK_NS1_7vsmem_tEENKUlT_SI_SJ_SK_E_clIPfSD_S10_SD_EESH_SX_SI_SJ_SK_EUlSX_E1_NS1_11comp_targetILNS1_3genE2ELNS1_11target_archE906ELNS1_3gpuE6ELNS1_3repE0EEENS1_36merge_oddeven_config_static_selectorELNS0_4arch9wavefront6targetE1EEEvSJ_.num_named_barrier, 0
	.set _ZN7rocprim17ROCPRIM_400000_NS6detail17trampoline_kernelINS0_14default_configENS1_38merge_sort_block_merge_config_selectorIffEEZZNS1_27merge_sort_block_merge_implIS3_N6thrust23THRUST_200600_302600_NS6detail15normal_iteratorINS8_10device_ptrIfEEEESD_jNS1_19radix_merge_compareILb0ELb0EfNS0_19identity_decomposerEEEEE10hipError_tT0_T1_T2_jT3_P12ihipStream_tbPNSt15iterator_traitsISI_E10value_typeEPNSO_ISJ_E10value_typeEPSK_NS1_7vsmem_tEENKUlT_SI_SJ_SK_E_clIPfSD_S10_SD_EESH_SX_SI_SJ_SK_EUlSX_E1_NS1_11comp_targetILNS1_3genE2ELNS1_11target_archE906ELNS1_3gpuE6ELNS1_3repE0EEENS1_36merge_oddeven_config_static_selectorELNS0_4arch9wavefront6targetE1EEEvSJ_.private_seg_size, 0
	.set _ZN7rocprim17ROCPRIM_400000_NS6detail17trampoline_kernelINS0_14default_configENS1_38merge_sort_block_merge_config_selectorIffEEZZNS1_27merge_sort_block_merge_implIS3_N6thrust23THRUST_200600_302600_NS6detail15normal_iteratorINS8_10device_ptrIfEEEESD_jNS1_19radix_merge_compareILb0ELb0EfNS0_19identity_decomposerEEEEE10hipError_tT0_T1_T2_jT3_P12ihipStream_tbPNSt15iterator_traitsISI_E10value_typeEPNSO_ISJ_E10value_typeEPSK_NS1_7vsmem_tEENKUlT_SI_SJ_SK_E_clIPfSD_S10_SD_EESH_SX_SI_SJ_SK_EUlSX_E1_NS1_11comp_targetILNS1_3genE2ELNS1_11target_archE906ELNS1_3gpuE6ELNS1_3repE0EEENS1_36merge_oddeven_config_static_selectorELNS0_4arch9wavefront6targetE1EEEvSJ_.uses_vcc, 0
	.set _ZN7rocprim17ROCPRIM_400000_NS6detail17trampoline_kernelINS0_14default_configENS1_38merge_sort_block_merge_config_selectorIffEEZZNS1_27merge_sort_block_merge_implIS3_N6thrust23THRUST_200600_302600_NS6detail15normal_iteratorINS8_10device_ptrIfEEEESD_jNS1_19radix_merge_compareILb0ELb0EfNS0_19identity_decomposerEEEEE10hipError_tT0_T1_T2_jT3_P12ihipStream_tbPNSt15iterator_traitsISI_E10value_typeEPNSO_ISJ_E10value_typeEPSK_NS1_7vsmem_tEENKUlT_SI_SJ_SK_E_clIPfSD_S10_SD_EESH_SX_SI_SJ_SK_EUlSX_E1_NS1_11comp_targetILNS1_3genE2ELNS1_11target_archE906ELNS1_3gpuE6ELNS1_3repE0EEENS1_36merge_oddeven_config_static_selectorELNS0_4arch9wavefront6targetE1EEEvSJ_.uses_flat_scratch, 0
	.set _ZN7rocprim17ROCPRIM_400000_NS6detail17trampoline_kernelINS0_14default_configENS1_38merge_sort_block_merge_config_selectorIffEEZZNS1_27merge_sort_block_merge_implIS3_N6thrust23THRUST_200600_302600_NS6detail15normal_iteratorINS8_10device_ptrIfEEEESD_jNS1_19radix_merge_compareILb0ELb0EfNS0_19identity_decomposerEEEEE10hipError_tT0_T1_T2_jT3_P12ihipStream_tbPNSt15iterator_traitsISI_E10value_typeEPNSO_ISJ_E10value_typeEPSK_NS1_7vsmem_tEENKUlT_SI_SJ_SK_E_clIPfSD_S10_SD_EESH_SX_SI_SJ_SK_EUlSX_E1_NS1_11comp_targetILNS1_3genE2ELNS1_11target_archE906ELNS1_3gpuE6ELNS1_3repE0EEENS1_36merge_oddeven_config_static_selectorELNS0_4arch9wavefront6targetE1EEEvSJ_.has_dyn_sized_stack, 0
	.set _ZN7rocprim17ROCPRIM_400000_NS6detail17trampoline_kernelINS0_14default_configENS1_38merge_sort_block_merge_config_selectorIffEEZZNS1_27merge_sort_block_merge_implIS3_N6thrust23THRUST_200600_302600_NS6detail15normal_iteratorINS8_10device_ptrIfEEEESD_jNS1_19radix_merge_compareILb0ELb0EfNS0_19identity_decomposerEEEEE10hipError_tT0_T1_T2_jT3_P12ihipStream_tbPNSt15iterator_traitsISI_E10value_typeEPNSO_ISJ_E10value_typeEPSK_NS1_7vsmem_tEENKUlT_SI_SJ_SK_E_clIPfSD_S10_SD_EESH_SX_SI_SJ_SK_EUlSX_E1_NS1_11comp_targetILNS1_3genE2ELNS1_11target_archE906ELNS1_3gpuE6ELNS1_3repE0EEENS1_36merge_oddeven_config_static_selectorELNS0_4arch9wavefront6targetE1EEEvSJ_.has_recursion, 0
	.set _ZN7rocprim17ROCPRIM_400000_NS6detail17trampoline_kernelINS0_14default_configENS1_38merge_sort_block_merge_config_selectorIffEEZZNS1_27merge_sort_block_merge_implIS3_N6thrust23THRUST_200600_302600_NS6detail15normal_iteratorINS8_10device_ptrIfEEEESD_jNS1_19radix_merge_compareILb0ELb0EfNS0_19identity_decomposerEEEEE10hipError_tT0_T1_T2_jT3_P12ihipStream_tbPNSt15iterator_traitsISI_E10value_typeEPNSO_ISJ_E10value_typeEPSK_NS1_7vsmem_tEENKUlT_SI_SJ_SK_E_clIPfSD_S10_SD_EESH_SX_SI_SJ_SK_EUlSX_E1_NS1_11comp_targetILNS1_3genE2ELNS1_11target_archE906ELNS1_3gpuE6ELNS1_3repE0EEENS1_36merge_oddeven_config_static_selectorELNS0_4arch9wavefront6targetE1EEEvSJ_.has_indirect_call, 0
	.section	.AMDGPU.csdata,"",@progbits
; Kernel info:
; codeLenInByte = 0
; TotalNumSgprs: 6
; NumVgprs: 0
; NumAgprs: 0
; TotalNumVgprs: 0
; ScratchSize: 0
; MemoryBound: 0
; FloatMode: 240
; IeeeMode: 1
; LDSByteSize: 0 bytes/workgroup (compile time only)
; SGPRBlocks: 0
; VGPRBlocks: 0
; NumSGPRsForWavesPerEU: 6
; NumVGPRsForWavesPerEU: 1
; AccumOffset: 4
; Occupancy: 8
; WaveLimiterHint : 0
; COMPUTE_PGM_RSRC2:SCRATCH_EN: 0
; COMPUTE_PGM_RSRC2:USER_SGPR: 2
; COMPUTE_PGM_RSRC2:TRAP_HANDLER: 0
; COMPUTE_PGM_RSRC2:TGID_X_EN: 1
; COMPUTE_PGM_RSRC2:TGID_Y_EN: 0
; COMPUTE_PGM_RSRC2:TGID_Z_EN: 0
; COMPUTE_PGM_RSRC2:TIDIG_COMP_CNT: 0
; COMPUTE_PGM_RSRC3_GFX90A:ACCUM_OFFSET: 0
; COMPUTE_PGM_RSRC3_GFX90A:TG_SPLIT: 0
	.section	.text._ZN7rocprim17ROCPRIM_400000_NS6detail17trampoline_kernelINS0_14default_configENS1_38merge_sort_block_merge_config_selectorIffEEZZNS1_27merge_sort_block_merge_implIS3_N6thrust23THRUST_200600_302600_NS6detail15normal_iteratorINS8_10device_ptrIfEEEESD_jNS1_19radix_merge_compareILb0ELb0EfNS0_19identity_decomposerEEEEE10hipError_tT0_T1_T2_jT3_P12ihipStream_tbPNSt15iterator_traitsISI_E10value_typeEPNSO_ISJ_E10value_typeEPSK_NS1_7vsmem_tEENKUlT_SI_SJ_SK_E_clIPfSD_S10_SD_EESH_SX_SI_SJ_SK_EUlSX_E1_NS1_11comp_targetILNS1_3genE9ELNS1_11target_archE1100ELNS1_3gpuE3ELNS1_3repE0EEENS1_36merge_oddeven_config_static_selectorELNS0_4arch9wavefront6targetE1EEEvSJ_,"axG",@progbits,_ZN7rocprim17ROCPRIM_400000_NS6detail17trampoline_kernelINS0_14default_configENS1_38merge_sort_block_merge_config_selectorIffEEZZNS1_27merge_sort_block_merge_implIS3_N6thrust23THRUST_200600_302600_NS6detail15normal_iteratorINS8_10device_ptrIfEEEESD_jNS1_19radix_merge_compareILb0ELb0EfNS0_19identity_decomposerEEEEE10hipError_tT0_T1_T2_jT3_P12ihipStream_tbPNSt15iterator_traitsISI_E10value_typeEPNSO_ISJ_E10value_typeEPSK_NS1_7vsmem_tEENKUlT_SI_SJ_SK_E_clIPfSD_S10_SD_EESH_SX_SI_SJ_SK_EUlSX_E1_NS1_11comp_targetILNS1_3genE9ELNS1_11target_archE1100ELNS1_3gpuE3ELNS1_3repE0EEENS1_36merge_oddeven_config_static_selectorELNS0_4arch9wavefront6targetE1EEEvSJ_,comdat
	.protected	_ZN7rocprim17ROCPRIM_400000_NS6detail17trampoline_kernelINS0_14default_configENS1_38merge_sort_block_merge_config_selectorIffEEZZNS1_27merge_sort_block_merge_implIS3_N6thrust23THRUST_200600_302600_NS6detail15normal_iteratorINS8_10device_ptrIfEEEESD_jNS1_19radix_merge_compareILb0ELb0EfNS0_19identity_decomposerEEEEE10hipError_tT0_T1_T2_jT3_P12ihipStream_tbPNSt15iterator_traitsISI_E10value_typeEPNSO_ISJ_E10value_typeEPSK_NS1_7vsmem_tEENKUlT_SI_SJ_SK_E_clIPfSD_S10_SD_EESH_SX_SI_SJ_SK_EUlSX_E1_NS1_11comp_targetILNS1_3genE9ELNS1_11target_archE1100ELNS1_3gpuE3ELNS1_3repE0EEENS1_36merge_oddeven_config_static_selectorELNS0_4arch9wavefront6targetE1EEEvSJ_ ; -- Begin function _ZN7rocprim17ROCPRIM_400000_NS6detail17trampoline_kernelINS0_14default_configENS1_38merge_sort_block_merge_config_selectorIffEEZZNS1_27merge_sort_block_merge_implIS3_N6thrust23THRUST_200600_302600_NS6detail15normal_iteratorINS8_10device_ptrIfEEEESD_jNS1_19radix_merge_compareILb0ELb0EfNS0_19identity_decomposerEEEEE10hipError_tT0_T1_T2_jT3_P12ihipStream_tbPNSt15iterator_traitsISI_E10value_typeEPNSO_ISJ_E10value_typeEPSK_NS1_7vsmem_tEENKUlT_SI_SJ_SK_E_clIPfSD_S10_SD_EESH_SX_SI_SJ_SK_EUlSX_E1_NS1_11comp_targetILNS1_3genE9ELNS1_11target_archE1100ELNS1_3gpuE3ELNS1_3repE0EEENS1_36merge_oddeven_config_static_selectorELNS0_4arch9wavefront6targetE1EEEvSJ_
	.globl	_ZN7rocprim17ROCPRIM_400000_NS6detail17trampoline_kernelINS0_14default_configENS1_38merge_sort_block_merge_config_selectorIffEEZZNS1_27merge_sort_block_merge_implIS3_N6thrust23THRUST_200600_302600_NS6detail15normal_iteratorINS8_10device_ptrIfEEEESD_jNS1_19radix_merge_compareILb0ELb0EfNS0_19identity_decomposerEEEEE10hipError_tT0_T1_T2_jT3_P12ihipStream_tbPNSt15iterator_traitsISI_E10value_typeEPNSO_ISJ_E10value_typeEPSK_NS1_7vsmem_tEENKUlT_SI_SJ_SK_E_clIPfSD_S10_SD_EESH_SX_SI_SJ_SK_EUlSX_E1_NS1_11comp_targetILNS1_3genE9ELNS1_11target_archE1100ELNS1_3gpuE3ELNS1_3repE0EEENS1_36merge_oddeven_config_static_selectorELNS0_4arch9wavefront6targetE1EEEvSJ_
	.p2align	8
	.type	_ZN7rocprim17ROCPRIM_400000_NS6detail17trampoline_kernelINS0_14default_configENS1_38merge_sort_block_merge_config_selectorIffEEZZNS1_27merge_sort_block_merge_implIS3_N6thrust23THRUST_200600_302600_NS6detail15normal_iteratorINS8_10device_ptrIfEEEESD_jNS1_19radix_merge_compareILb0ELb0EfNS0_19identity_decomposerEEEEE10hipError_tT0_T1_T2_jT3_P12ihipStream_tbPNSt15iterator_traitsISI_E10value_typeEPNSO_ISJ_E10value_typeEPSK_NS1_7vsmem_tEENKUlT_SI_SJ_SK_E_clIPfSD_S10_SD_EESH_SX_SI_SJ_SK_EUlSX_E1_NS1_11comp_targetILNS1_3genE9ELNS1_11target_archE1100ELNS1_3gpuE3ELNS1_3repE0EEENS1_36merge_oddeven_config_static_selectorELNS0_4arch9wavefront6targetE1EEEvSJ_,@function
_ZN7rocprim17ROCPRIM_400000_NS6detail17trampoline_kernelINS0_14default_configENS1_38merge_sort_block_merge_config_selectorIffEEZZNS1_27merge_sort_block_merge_implIS3_N6thrust23THRUST_200600_302600_NS6detail15normal_iteratorINS8_10device_ptrIfEEEESD_jNS1_19radix_merge_compareILb0ELb0EfNS0_19identity_decomposerEEEEE10hipError_tT0_T1_T2_jT3_P12ihipStream_tbPNSt15iterator_traitsISI_E10value_typeEPNSO_ISJ_E10value_typeEPSK_NS1_7vsmem_tEENKUlT_SI_SJ_SK_E_clIPfSD_S10_SD_EESH_SX_SI_SJ_SK_EUlSX_E1_NS1_11comp_targetILNS1_3genE9ELNS1_11target_archE1100ELNS1_3gpuE3ELNS1_3repE0EEENS1_36merge_oddeven_config_static_selectorELNS0_4arch9wavefront6targetE1EEEvSJ_: ; @_ZN7rocprim17ROCPRIM_400000_NS6detail17trampoline_kernelINS0_14default_configENS1_38merge_sort_block_merge_config_selectorIffEEZZNS1_27merge_sort_block_merge_implIS3_N6thrust23THRUST_200600_302600_NS6detail15normal_iteratorINS8_10device_ptrIfEEEESD_jNS1_19radix_merge_compareILb0ELb0EfNS0_19identity_decomposerEEEEE10hipError_tT0_T1_T2_jT3_P12ihipStream_tbPNSt15iterator_traitsISI_E10value_typeEPNSO_ISJ_E10value_typeEPSK_NS1_7vsmem_tEENKUlT_SI_SJ_SK_E_clIPfSD_S10_SD_EESH_SX_SI_SJ_SK_EUlSX_E1_NS1_11comp_targetILNS1_3genE9ELNS1_11target_archE1100ELNS1_3gpuE3ELNS1_3repE0EEENS1_36merge_oddeven_config_static_selectorELNS0_4arch9wavefront6targetE1EEEvSJ_
; %bb.0:
	.section	.rodata,"a",@progbits
	.p2align	6, 0x0
	.amdhsa_kernel _ZN7rocprim17ROCPRIM_400000_NS6detail17trampoline_kernelINS0_14default_configENS1_38merge_sort_block_merge_config_selectorIffEEZZNS1_27merge_sort_block_merge_implIS3_N6thrust23THRUST_200600_302600_NS6detail15normal_iteratorINS8_10device_ptrIfEEEESD_jNS1_19radix_merge_compareILb0ELb0EfNS0_19identity_decomposerEEEEE10hipError_tT0_T1_T2_jT3_P12ihipStream_tbPNSt15iterator_traitsISI_E10value_typeEPNSO_ISJ_E10value_typeEPSK_NS1_7vsmem_tEENKUlT_SI_SJ_SK_E_clIPfSD_S10_SD_EESH_SX_SI_SJ_SK_EUlSX_E1_NS1_11comp_targetILNS1_3genE9ELNS1_11target_archE1100ELNS1_3gpuE3ELNS1_3repE0EEENS1_36merge_oddeven_config_static_selectorELNS0_4arch9wavefront6targetE1EEEvSJ_
		.amdhsa_group_segment_fixed_size 0
		.amdhsa_private_segment_fixed_size 0
		.amdhsa_kernarg_size 48
		.amdhsa_user_sgpr_count 2
		.amdhsa_user_sgpr_dispatch_ptr 0
		.amdhsa_user_sgpr_queue_ptr 0
		.amdhsa_user_sgpr_kernarg_segment_ptr 1
		.amdhsa_user_sgpr_dispatch_id 0
		.amdhsa_user_sgpr_kernarg_preload_length 0
		.amdhsa_user_sgpr_kernarg_preload_offset 0
		.amdhsa_user_sgpr_private_segment_size 0
		.amdhsa_uses_dynamic_stack 0
		.amdhsa_enable_private_segment 0
		.amdhsa_system_sgpr_workgroup_id_x 1
		.amdhsa_system_sgpr_workgroup_id_y 0
		.amdhsa_system_sgpr_workgroup_id_z 0
		.amdhsa_system_sgpr_workgroup_info 0
		.amdhsa_system_vgpr_workitem_id 0
		.amdhsa_next_free_vgpr 1
		.amdhsa_next_free_sgpr 0
		.amdhsa_accum_offset 4
		.amdhsa_reserve_vcc 0
		.amdhsa_float_round_mode_32 0
		.amdhsa_float_round_mode_16_64 0
		.amdhsa_float_denorm_mode_32 3
		.amdhsa_float_denorm_mode_16_64 3
		.amdhsa_dx10_clamp 1
		.amdhsa_ieee_mode 1
		.amdhsa_fp16_overflow 0
		.amdhsa_tg_split 0
		.amdhsa_exception_fp_ieee_invalid_op 0
		.amdhsa_exception_fp_denorm_src 0
		.amdhsa_exception_fp_ieee_div_zero 0
		.amdhsa_exception_fp_ieee_overflow 0
		.amdhsa_exception_fp_ieee_underflow 0
		.amdhsa_exception_fp_ieee_inexact 0
		.amdhsa_exception_int_div_zero 0
	.end_amdhsa_kernel
	.section	.text._ZN7rocprim17ROCPRIM_400000_NS6detail17trampoline_kernelINS0_14default_configENS1_38merge_sort_block_merge_config_selectorIffEEZZNS1_27merge_sort_block_merge_implIS3_N6thrust23THRUST_200600_302600_NS6detail15normal_iteratorINS8_10device_ptrIfEEEESD_jNS1_19radix_merge_compareILb0ELb0EfNS0_19identity_decomposerEEEEE10hipError_tT0_T1_T2_jT3_P12ihipStream_tbPNSt15iterator_traitsISI_E10value_typeEPNSO_ISJ_E10value_typeEPSK_NS1_7vsmem_tEENKUlT_SI_SJ_SK_E_clIPfSD_S10_SD_EESH_SX_SI_SJ_SK_EUlSX_E1_NS1_11comp_targetILNS1_3genE9ELNS1_11target_archE1100ELNS1_3gpuE3ELNS1_3repE0EEENS1_36merge_oddeven_config_static_selectorELNS0_4arch9wavefront6targetE1EEEvSJ_,"axG",@progbits,_ZN7rocprim17ROCPRIM_400000_NS6detail17trampoline_kernelINS0_14default_configENS1_38merge_sort_block_merge_config_selectorIffEEZZNS1_27merge_sort_block_merge_implIS3_N6thrust23THRUST_200600_302600_NS6detail15normal_iteratorINS8_10device_ptrIfEEEESD_jNS1_19radix_merge_compareILb0ELb0EfNS0_19identity_decomposerEEEEE10hipError_tT0_T1_T2_jT3_P12ihipStream_tbPNSt15iterator_traitsISI_E10value_typeEPNSO_ISJ_E10value_typeEPSK_NS1_7vsmem_tEENKUlT_SI_SJ_SK_E_clIPfSD_S10_SD_EESH_SX_SI_SJ_SK_EUlSX_E1_NS1_11comp_targetILNS1_3genE9ELNS1_11target_archE1100ELNS1_3gpuE3ELNS1_3repE0EEENS1_36merge_oddeven_config_static_selectorELNS0_4arch9wavefront6targetE1EEEvSJ_,comdat
.Lfunc_end243:
	.size	_ZN7rocprim17ROCPRIM_400000_NS6detail17trampoline_kernelINS0_14default_configENS1_38merge_sort_block_merge_config_selectorIffEEZZNS1_27merge_sort_block_merge_implIS3_N6thrust23THRUST_200600_302600_NS6detail15normal_iteratorINS8_10device_ptrIfEEEESD_jNS1_19radix_merge_compareILb0ELb0EfNS0_19identity_decomposerEEEEE10hipError_tT0_T1_T2_jT3_P12ihipStream_tbPNSt15iterator_traitsISI_E10value_typeEPNSO_ISJ_E10value_typeEPSK_NS1_7vsmem_tEENKUlT_SI_SJ_SK_E_clIPfSD_S10_SD_EESH_SX_SI_SJ_SK_EUlSX_E1_NS1_11comp_targetILNS1_3genE9ELNS1_11target_archE1100ELNS1_3gpuE3ELNS1_3repE0EEENS1_36merge_oddeven_config_static_selectorELNS0_4arch9wavefront6targetE1EEEvSJ_, .Lfunc_end243-_ZN7rocprim17ROCPRIM_400000_NS6detail17trampoline_kernelINS0_14default_configENS1_38merge_sort_block_merge_config_selectorIffEEZZNS1_27merge_sort_block_merge_implIS3_N6thrust23THRUST_200600_302600_NS6detail15normal_iteratorINS8_10device_ptrIfEEEESD_jNS1_19radix_merge_compareILb0ELb0EfNS0_19identity_decomposerEEEEE10hipError_tT0_T1_T2_jT3_P12ihipStream_tbPNSt15iterator_traitsISI_E10value_typeEPNSO_ISJ_E10value_typeEPSK_NS1_7vsmem_tEENKUlT_SI_SJ_SK_E_clIPfSD_S10_SD_EESH_SX_SI_SJ_SK_EUlSX_E1_NS1_11comp_targetILNS1_3genE9ELNS1_11target_archE1100ELNS1_3gpuE3ELNS1_3repE0EEENS1_36merge_oddeven_config_static_selectorELNS0_4arch9wavefront6targetE1EEEvSJ_
                                        ; -- End function
	.set _ZN7rocprim17ROCPRIM_400000_NS6detail17trampoline_kernelINS0_14default_configENS1_38merge_sort_block_merge_config_selectorIffEEZZNS1_27merge_sort_block_merge_implIS3_N6thrust23THRUST_200600_302600_NS6detail15normal_iteratorINS8_10device_ptrIfEEEESD_jNS1_19radix_merge_compareILb0ELb0EfNS0_19identity_decomposerEEEEE10hipError_tT0_T1_T2_jT3_P12ihipStream_tbPNSt15iterator_traitsISI_E10value_typeEPNSO_ISJ_E10value_typeEPSK_NS1_7vsmem_tEENKUlT_SI_SJ_SK_E_clIPfSD_S10_SD_EESH_SX_SI_SJ_SK_EUlSX_E1_NS1_11comp_targetILNS1_3genE9ELNS1_11target_archE1100ELNS1_3gpuE3ELNS1_3repE0EEENS1_36merge_oddeven_config_static_selectorELNS0_4arch9wavefront6targetE1EEEvSJ_.num_vgpr, 0
	.set _ZN7rocprim17ROCPRIM_400000_NS6detail17trampoline_kernelINS0_14default_configENS1_38merge_sort_block_merge_config_selectorIffEEZZNS1_27merge_sort_block_merge_implIS3_N6thrust23THRUST_200600_302600_NS6detail15normal_iteratorINS8_10device_ptrIfEEEESD_jNS1_19radix_merge_compareILb0ELb0EfNS0_19identity_decomposerEEEEE10hipError_tT0_T1_T2_jT3_P12ihipStream_tbPNSt15iterator_traitsISI_E10value_typeEPNSO_ISJ_E10value_typeEPSK_NS1_7vsmem_tEENKUlT_SI_SJ_SK_E_clIPfSD_S10_SD_EESH_SX_SI_SJ_SK_EUlSX_E1_NS1_11comp_targetILNS1_3genE9ELNS1_11target_archE1100ELNS1_3gpuE3ELNS1_3repE0EEENS1_36merge_oddeven_config_static_selectorELNS0_4arch9wavefront6targetE1EEEvSJ_.num_agpr, 0
	.set _ZN7rocprim17ROCPRIM_400000_NS6detail17trampoline_kernelINS0_14default_configENS1_38merge_sort_block_merge_config_selectorIffEEZZNS1_27merge_sort_block_merge_implIS3_N6thrust23THRUST_200600_302600_NS6detail15normal_iteratorINS8_10device_ptrIfEEEESD_jNS1_19radix_merge_compareILb0ELb0EfNS0_19identity_decomposerEEEEE10hipError_tT0_T1_T2_jT3_P12ihipStream_tbPNSt15iterator_traitsISI_E10value_typeEPNSO_ISJ_E10value_typeEPSK_NS1_7vsmem_tEENKUlT_SI_SJ_SK_E_clIPfSD_S10_SD_EESH_SX_SI_SJ_SK_EUlSX_E1_NS1_11comp_targetILNS1_3genE9ELNS1_11target_archE1100ELNS1_3gpuE3ELNS1_3repE0EEENS1_36merge_oddeven_config_static_selectorELNS0_4arch9wavefront6targetE1EEEvSJ_.numbered_sgpr, 0
	.set _ZN7rocprim17ROCPRIM_400000_NS6detail17trampoline_kernelINS0_14default_configENS1_38merge_sort_block_merge_config_selectorIffEEZZNS1_27merge_sort_block_merge_implIS3_N6thrust23THRUST_200600_302600_NS6detail15normal_iteratorINS8_10device_ptrIfEEEESD_jNS1_19radix_merge_compareILb0ELb0EfNS0_19identity_decomposerEEEEE10hipError_tT0_T1_T2_jT3_P12ihipStream_tbPNSt15iterator_traitsISI_E10value_typeEPNSO_ISJ_E10value_typeEPSK_NS1_7vsmem_tEENKUlT_SI_SJ_SK_E_clIPfSD_S10_SD_EESH_SX_SI_SJ_SK_EUlSX_E1_NS1_11comp_targetILNS1_3genE9ELNS1_11target_archE1100ELNS1_3gpuE3ELNS1_3repE0EEENS1_36merge_oddeven_config_static_selectorELNS0_4arch9wavefront6targetE1EEEvSJ_.num_named_barrier, 0
	.set _ZN7rocprim17ROCPRIM_400000_NS6detail17trampoline_kernelINS0_14default_configENS1_38merge_sort_block_merge_config_selectorIffEEZZNS1_27merge_sort_block_merge_implIS3_N6thrust23THRUST_200600_302600_NS6detail15normal_iteratorINS8_10device_ptrIfEEEESD_jNS1_19radix_merge_compareILb0ELb0EfNS0_19identity_decomposerEEEEE10hipError_tT0_T1_T2_jT3_P12ihipStream_tbPNSt15iterator_traitsISI_E10value_typeEPNSO_ISJ_E10value_typeEPSK_NS1_7vsmem_tEENKUlT_SI_SJ_SK_E_clIPfSD_S10_SD_EESH_SX_SI_SJ_SK_EUlSX_E1_NS1_11comp_targetILNS1_3genE9ELNS1_11target_archE1100ELNS1_3gpuE3ELNS1_3repE0EEENS1_36merge_oddeven_config_static_selectorELNS0_4arch9wavefront6targetE1EEEvSJ_.private_seg_size, 0
	.set _ZN7rocprim17ROCPRIM_400000_NS6detail17trampoline_kernelINS0_14default_configENS1_38merge_sort_block_merge_config_selectorIffEEZZNS1_27merge_sort_block_merge_implIS3_N6thrust23THRUST_200600_302600_NS6detail15normal_iteratorINS8_10device_ptrIfEEEESD_jNS1_19radix_merge_compareILb0ELb0EfNS0_19identity_decomposerEEEEE10hipError_tT0_T1_T2_jT3_P12ihipStream_tbPNSt15iterator_traitsISI_E10value_typeEPNSO_ISJ_E10value_typeEPSK_NS1_7vsmem_tEENKUlT_SI_SJ_SK_E_clIPfSD_S10_SD_EESH_SX_SI_SJ_SK_EUlSX_E1_NS1_11comp_targetILNS1_3genE9ELNS1_11target_archE1100ELNS1_3gpuE3ELNS1_3repE0EEENS1_36merge_oddeven_config_static_selectorELNS0_4arch9wavefront6targetE1EEEvSJ_.uses_vcc, 0
	.set _ZN7rocprim17ROCPRIM_400000_NS6detail17trampoline_kernelINS0_14default_configENS1_38merge_sort_block_merge_config_selectorIffEEZZNS1_27merge_sort_block_merge_implIS3_N6thrust23THRUST_200600_302600_NS6detail15normal_iteratorINS8_10device_ptrIfEEEESD_jNS1_19radix_merge_compareILb0ELb0EfNS0_19identity_decomposerEEEEE10hipError_tT0_T1_T2_jT3_P12ihipStream_tbPNSt15iterator_traitsISI_E10value_typeEPNSO_ISJ_E10value_typeEPSK_NS1_7vsmem_tEENKUlT_SI_SJ_SK_E_clIPfSD_S10_SD_EESH_SX_SI_SJ_SK_EUlSX_E1_NS1_11comp_targetILNS1_3genE9ELNS1_11target_archE1100ELNS1_3gpuE3ELNS1_3repE0EEENS1_36merge_oddeven_config_static_selectorELNS0_4arch9wavefront6targetE1EEEvSJ_.uses_flat_scratch, 0
	.set _ZN7rocprim17ROCPRIM_400000_NS6detail17trampoline_kernelINS0_14default_configENS1_38merge_sort_block_merge_config_selectorIffEEZZNS1_27merge_sort_block_merge_implIS3_N6thrust23THRUST_200600_302600_NS6detail15normal_iteratorINS8_10device_ptrIfEEEESD_jNS1_19radix_merge_compareILb0ELb0EfNS0_19identity_decomposerEEEEE10hipError_tT0_T1_T2_jT3_P12ihipStream_tbPNSt15iterator_traitsISI_E10value_typeEPNSO_ISJ_E10value_typeEPSK_NS1_7vsmem_tEENKUlT_SI_SJ_SK_E_clIPfSD_S10_SD_EESH_SX_SI_SJ_SK_EUlSX_E1_NS1_11comp_targetILNS1_3genE9ELNS1_11target_archE1100ELNS1_3gpuE3ELNS1_3repE0EEENS1_36merge_oddeven_config_static_selectorELNS0_4arch9wavefront6targetE1EEEvSJ_.has_dyn_sized_stack, 0
	.set _ZN7rocprim17ROCPRIM_400000_NS6detail17trampoline_kernelINS0_14default_configENS1_38merge_sort_block_merge_config_selectorIffEEZZNS1_27merge_sort_block_merge_implIS3_N6thrust23THRUST_200600_302600_NS6detail15normal_iteratorINS8_10device_ptrIfEEEESD_jNS1_19radix_merge_compareILb0ELb0EfNS0_19identity_decomposerEEEEE10hipError_tT0_T1_T2_jT3_P12ihipStream_tbPNSt15iterator_traitsISI_E10value_typeEPNSO_ISJ_E10value_typeEPSK_NS1_7vsmem_tEENKUlT_SI_SJ_SK_E_clIPfSD_S10_SD_EESH_SX_SI_SJ_SK_EUlSX_E1_NS1_11comp_targetILNS1_3genE9ELNS1_11target_archE1100ELNS1_3gpuE3ELNS1_3repE0EEENS1_36merge_oddeven_config_static_selectorELNS0_4arch9wavefront6targetE1EEEvSJ_.has_recursion, 0
	.set _ZN7rocprim17ROCPRIM_400000_NS6detail17trampoline_kernelINS0_14default_configENS1_38merge_sort_block_merge_config_selectorIffEEZZNS1_27merge_sort_block_merge_implIS3_N6thrust23THRUST_200600_302600_NS6detail15normal_iteratorINS8_10device_ptrIfEEEESD_jNS1_19radix_merge_compareILb0ELb0EfNS0_19identity_decomposerEEEEE10hipError_tT0_T1_T2_jT3_P12ihipStream_tbPNSt15iterator_traitsISI_E10value_typeEPNSO_ISJ_E10value_typeEPSK_NS1_7vsmem_tEENKUlT_SI_SJ_SK_E_clIPfSD_S10_SD_EESH_SX_SI_SJ_SK_EUlSX_E1_NS1_11comp_targetILNS1_3genE9ELNS1_11target_archE1100ELNS1_3gpuE3ELNS1_3repE0EEENS1_36merge_oddeven_config_static_selectorELNS0_4arch9wavefront6targetE1EEEvSJ_.has_indirect_call, 0
	.section	.AMDGPU.csdata,"",@progbits
; Kernel info:
; codeLenInByte = 0
; TotalNumSgprs: 6
; NumVgprs: 0
; NumAgprs: 0
; TotalNumVgprs: 0
; ScratchSize: 0
; MemoryBound: 0
; FloatMode: 240
; IeeeMode: 1
; LDSByteSize: 0 bytes/workgroup (compile time only)
; SGPRBlocks: 0
; VGPRBlocks: 0
; NumSGPRsForWavesPerEU: 6
; NumVGPRsForWavesPerEU: 1
; AccumOffset: 4
; Occupancy: 8
; WaveLimiterHint : 0
; COMPUTE_PGM_RSRC2:SCRATCH_EN: 0
; COMPUTE_PGM_RSRC2:USER_SGPR: 2
; COMPUTE_PGM_RSRC2:TRAP_HANDLER: 0
; COMPUTE_PGM_RSRC2:TGID_X_EN: 1
; COMPUTE_PGM_RSRC2:TGID_Y_EN: 0
; COMPUTE_PGM_RSRC2:TGID_Z_EN: 0
; COMPUTE_PGM_RSRC2:TIDIG_COMP_CNT: 0
; COMPUTE_PGM_RSRC3_GFX90A:ACCUM_OFFSET: 0
; COMPUTE_PGM_RSRC3_GFX90A:TG_SPLIT: 0
	.section	.text._ZN7rocprim17ROCPRIM_400000_NS6detail17trampoline_kernelINS0_14default_configENS1_38merge_sort_block_merge_config_selectorIffEEZZNS1_27merge_sort_block_merge_implIS3_N6thrust23THRUST_200600_302600_NS6detail15normal_iteratorINS8_10device_ptrIfEEEESD_jNS1_19radix_merge_compareILb0ELb0EfNS0_19identity_decomposerEEEEE10hipError_tT0_T1_T2_jT3_P12ihipStream_tbPNSt15iterator_traitsISI_E10value_typeEPNSO_ISJ_E10value_typeEPSK_NS1_7vsmem_tEENKUlT_SI_SJ_SK_E_clIPfSD_S10_SD_EESH_SX_SI_SJ_SK_EUlSX_E1_NS1_11comp_targetILNS1_3genE8ELNS1_11target_archE1030ELNS1_3gpuE2ELNS1_3repE0EEENS1_36merge_oddeven_config_static_selectorELNS0_4arch9wavefront6targetE1EEEvSJ_,"axG",@progbits,_ZN7rocprim17ROCPRIM_400000_NS6detail17trampoline_kernelINS0_14default_configENS1_38merge_sort_block_merge_config_selectorIffEEZZNS1_27merge_sort_block_merge_implIS3_N6thrust23THRUST_200600_302600_NS6detail15normal_iteratorINS8_10device_ptrIfEEEESD_jNS1_19radix_merge_compareILb0ELb0EfNS0_19identity_decomposerEEEEE10hipError_tT0_T1_T2_jT3_P12ihipStream_tbPNSt15iterator_traitsISI_E10value_typeEPNSO_ISJ_E10value_typeEPSK_NS1_7vsmem_tEENKUlT_SI_SJ_SK_E_clIPfSD_S10_SD_EESH_SX_SI_SJ_SK_EUlSX_E1_NS1_11comp_targetILNS1_3genE8ELNS1_11target_archE1030ELNS1_3gpuE2ELNS1_3repE0EEENS1_36merge_oddeven_config_static_selectorELNS0_4arch9wavefront6targetE1EEEvSJ_,comdat
	.protected	_ZN7rocprim17ROCPRIM_400000_NS6detail17trampoline_kernelINS0_14default_configENS1_38merge_sort_block_merge_config_selectorIffEEZZNS1_27merge_sort_block_merge_implIS3_N6thrust23THRUST_200600_302600_NS6detail15normal_iteratorINS8_10device_ptrIfEEEESD_jNS1_19radix_merge_compareILb0ELb0EfNS0_19identity_decomposerEEEEE10hipError_tT0_T1_T2_jT3_P12ihipStream_tbPNSt15iterator_traitsISI_E10value_typeEPNSO_ISJ_E10value_typeEPSK_NS1_7vsmem_tEENKUlT_SI_SJ_SK_E_clIPfSD_S10_SD_EESH_SX_SI_SJ_SK_EUlSX_E1_NS1_11comp_targetILNS1_3genE8ELNS1_11target_archE1030ELNS1_3gpuE2ELNS1_3repE0EEENS1_36merge_oddeven_config_static_selectorELNS0_4arch9wavefront6targetE1EEEvSJ_ ; -- Begin function _ZN7rocprim17ROCPRIM_400000_NS6detail17trampoline_kernelINS0_14default_configENS1_38merge_sort_block_merge_config_selectorIffEEZZNS1_27merge_sort_block_merge_implIS3_N6thrust23THRUST_200600_302600_NS6detail15normal_iteratorINS8_10device_ptrIfEEEESD_jNS1_19radix_merge_compareILb0ELb0EfNS0_19identity_decomposerEEEEE10hipError_tT0_T1_T2_jT3_P12ihipStream_tbPNSt15iterator_traitsISI_E10value_typeEPNSO_ISJ_E10value_typeEPSK_NS1_7vsmem_tEENKUlT_SI_SJ_SK_E_clIPfSD_S10_SD_EESH_SX_SI_SJ_SK_EUlSX_E1_NS1_11comp_targetILNS1_3genE8ELNS1_11target_archE1030ELNS1_3gpuE2ELNS1_3repE0EEENS1_36merge_oddeven_config_static_selectorELNS0_4arch9wavefront6targetE1EEEvSJ_
	.globl	_ZN7rocprim17ROCPRIM_400000_NS6detail17trampoline_kernelINS0_14default_configENS1_38merge_sort_block_merge_config_selectorIffEEZZNS1_27merge_sort_block_merge_implIS3_N6thrust23THRUST_200600_302600_NS6detail15normal_iteratorINS8_10device_ptrIfEEEESD_jNS1_19radix_merge_compareILb0ELb0EfNS0_19identity_decomposerEEEEE10hipError_tT0_T1_T2_jT3_P12ihipStream_tbPNSt15iterator_traitsISI_E10value_typeEPNSO_ISJ_E10value_typeEPSK_NS1_7vsmem_tEENKUlT_SI_SJ_SK_E_clIPfSD_S10_SD_EESH_SX_SI_SJ_SK_EUlSX_E1_NS1_11comp_targetILNS1_3genE8ELNS1_11target_archE1030ELNS1_3gpuE2ELNS1_3repE0EEENS1_36merge_oddeven_config_static_selectorELNS0_4arch9wavefront6targetE1EEEvSJ_
	.p2align	8
	.type	_ZN7rocprim17ROCPRIM_400000_NS6detail17trampoline_kernelINS0_14default_configENS1_38merge_sort_block_merge_config_selectorIffEEZZNS1_27merge_sort_block_merge_implIS3_N6thrust23THRUST_200600_302600_NS6detail15normal_iteratorINS8_10device_ptrIfEEEESD_jNS1_19radix_merge_compareILb0ELb0EfNS0_19identity_decomposerEEEEE10hipError_tT0_T1_T2_jT3_P12ihipStream_tbPNSt15iterator_traitsISI_E10value_typeEPNSO_ISJ_E10value_typeEPSK_NS1_7vsmem_tEENKUlT_SI_SJ_SK_E_clIPfSD_S10_SD_EESH_SX_SI_SJ_SK_EUlSX_E1_NS1_11comp_targetILNS1_3genE8ELNS1_11target_archE1030ELNS1_3gpuE2ELNS1_3repE0EEENS1_36merge_oddeven_config_static_selectorELNS0_4arch9wavefront6targetE1EEEvSJ_,@function
_ZN7rocprim17ROCPRIM_400000_NS6detail17trampoline_kernelINS0_14default_configENS1_38merge_sort_block_merge_config_selectorIffEEZZNS1_27merge_sort_block_merge_implIS3_N6thrust23THRUST_200600_302600_NS6detail15normal_iteratorINS8_10device_ptrIfEEEESD_jNS1_19radix_merge_compareILb0ELb0EfNS0_19identity_decomposerEEEEE10hipError_tT0_T1_T2_jT3_P12ihipStream_tbPNSt15iterator_traitsISI_E10value_typeEPNSO_ISJ_E10value_typeEPSK_NS1_7vsmem_tEENKUlT_SI_SJ_SK_E_clIPfSD_S10_SD_EESH_SX_SI_SJ_SK_EUlSX_E1_NS1_11comp_targetILNS1_3genE8ELNS1_11target_archE1030ELNS1_3gpuE2ELNS1_3repE0EEENS1_36merge_oddeven_config_static_selectorELNS0_4arch9wavefront6targetE1EEEvSJ_: ; @_ZN7rocprim17ROCPRIM_400000_NS6detail17trampoline_kernelINS0_14default_configENS1_38merge_sort_block_merge_config_selectorIffEEZZNS1_27merge_sort_block_merge_implIS3_N6thrust23THRUST_200600_302600_NS6detail15normal_iteratorINS8_10device_ptrIfEEEESD_jNS1_19radix_merge_compareILb0ELb0EfNS0_19identity_decomposerEEEEE10hipError_tT0_T1_T2_jT3_P12ihipStream_tbPNSt15iterator_traitsISI_E10value_typeEPNSO_ISJ_E10value_typeEPSK_NS1_7vsmem_tEENKUlT_SI_SJ_SK_E_clIPfSD_S10_SD_EESH_SX_SI_SJ_SK_EUlSX_E1_NS1_11comp_targetILNS1_3genE8ELNS1_11target_archE1030ELNS1_3gpuE2ELNS1_3repE0EEENS1_36merge_oddeven_config_static_selectorELNS0_4arch9wavefront6targetE1EEEvSJ_
; %bb.0:
	.section	.rodata,"a",@progbits
	.p2align	6, 0x0
	.amdhsa_kernel _ZN7rocprim17ROCPRIM_400000_NS6detail17trampoline_kernelINS0_14default_configENS1_38merge_sort_block_merge_config_selectorIffEEZZNS1_27merge_sort_block_merge_implIS3_N6thrust23THRUST_200600_302600_NS6detail15normal_iteratorINS8_10device_ptrIfEEEESD_jNS1_19radix_merge_compareILb0ELb0EfNS0_19identity_decomposerEEEEE10hipError_tT0_T1_T2_jT3_P12ihipStream_tbPNSt15iterator_traitsISI_E10value_typeEPNSO_ISJ_E10value_typeEPSK_NS1_7vsmem_tEENKUlT_SI_SJ_SK_E_clIPfSD_S10_SD_EESH_SX_SI_SJ_SK_EUlSX_E1_NS1_11comp_targetILNS1_3genE8ELNS1_11target_archE1030ELNS1_3gpuE2ELNS1_3repE0EEENS1_36merge_oddeven_config_static_selectorELNS0_4arch9wavefront6targetE1EEEvSJ_
		.amdhsa_group_segment_fixed_size 0
		.amdhsa_private_segment_fixed_size 0
		.amdhsa_kernarg_size 48
		.amdhsa_user_sgpr_count 2
		.amdhsa_user_sgpr_dispatch_ptr 0
		.amdhsa_user_sgpr_queue_ptr 0
		.amdhsa_user_sgpr_kernarg_segment_ptr 1
		.amdhsa_user_sgpr_dispatch_id 0
		.amdhsa_user_sgpr_kernarg_preload_length 0
		.amdhsa_user_sgpr_kernarg_preload_offset 0
		.amdhsa_user_sgpr_private_segment_size 0
		.amdhsa_uses_dynamic_stack 0
		.amdhsa_enable_private_segment 0
		.amdhsa_system_sgpr_workgroup_id_x 1
		.amdhsa_system_sgpr_workgroup_id_y 0
		.amdhsa_system_sgpr_workgroup_id_z 0
		.amdhsa_system_sgpr_workgroup_info 0
		.amdhsa_system_vgpr_workitem_id 0
		.amdhsa_next_free_vgpr 1
		.amdhsa_next_free_sgpr 0
		.amdhsa_accum_offset 4
		.amdhsa_reserve_vcc 0
		.amdhsa_float_round_mode_32 0
		.amdhsa_float_round_mode_16_64 0
		.amdhsa_float_denorm_mode_32 3
		.amdhsa_float_denorm_mode_16_64 3
		.amdhsa_dx10_clamp 1
		.amdhsa_ieee_mode 1
		.amdhsa_fp16_overflow 0
		.amdhsa_tg_split 0
		.amdhsa_exception_fp_ieee_invalid_op 0
		.amdhsa_exception_fp_denorm_src 0
		.amdhsa_exception_fp_ieee_div_zero 0
		.amdhsa_exception_fp_ieee_overflow 0
		.amdhsa_exception_fp_ieee_underflow 0
		.amdhsa_exception_fp_ieee_inexact 0
		.amdhsa_exception_int_div_zero 0
	.end_amdhsa_kernel
	.section	.text._ZN7rocprim17ROCPRIM_400000_NS6detail17trampoline_kernelINS0_14default_configENS1_38merge_sort_block_merge_config_selectorIffEEZZNS1_27merge_sort_block_merge_implIS3_N6thrust23THRUST_200600_302600_NS6detail15normal_iteratorINS8_10device_ptrIfEEEESD_jNS1_19radix_merge_compareILb0ELb0EfNS0_19identity_decomposerEEEEE10hipError_tT0_T1_T2_jT3_P12ihipStream_tbPNSt15iterator_traitsISI_E10value_typeEPNSO_ISJ_E10value_typeEPSK_NS1_7vsmem_tEENKUlT_SI_SJ_SK_E_clIPfSD_S10_SD_EESH_SX_SI_SJ_SK_EUlSX_E1_NS1_11comp_targetILNS1_3genE8ELNS1_11target_archE1030ELNS1_3gpuE2ELNS1_3repE0EEENS1_36merge_oddeven_config_static_selectorELNS0_4arch9wavefront6targetE1EEEvSJ_,"axG",@progbits,_ZN7rocprim17ROCPRIM_400000_NS6detail17trampoline_kernelINS0_14default_configENS1_38merge_sort_block_merge_config_selectorIffEEZZNS1_27merge_sort_block_merge_implIS3_N6thrust23THRUST_200600_302600_NS6detail15normal_iteratorINS8_10device_ptrIfEEEESD_jNS1_19radix_merge_compareILb0ELb0EfNS0_19identity_decomposerEEEEE10hipError_tT0_T1_T2_jT3_P12ihipStream_tbPNSt15iterator_traitsISI_E10value_typeEPNSO_ISJ_E10value_typeEPSK_NS1_7vsmem_tEENKUlT_SI_SJ_SK_E_clIPfSD_S10_SD_EESH_SX_SI_SJ_SK_EUlSX_E1_NS1_11comp_targetILNS1_3genE8ELNS1_11target_archE1030ELNS1_3gpuE2ELNS1_3repE0EEENS1_36merge_oddeven_config_static_selectorELNS0_4arch9wavefront6targetE1EEEvSJ_,comdat
.Lfunc_end244:
	.size	_ZN7rocprim17ROCPRIM_400000_NS6detail17trampoline_kernelINS0_14default_configENS1_38merge_sort_block_merge_config_selectorIffEEZZNS1_27merge_sort_block_merge_implIS3_N6thrust23THRUST_200600_302600_NS6detail15normal_iteratorINS8_10device_ptrIfEEEESD_jNS1_19radix_merge_compareILb0ELb0EfNS0_19identity_decomposerEEEEE10hipError_tT0_T1_T2_jT3_P12ihipStream_tbPNSt15iterator_traitsISI_E10value_typeEPNSO_ISJ_E10value_typeEPSK_NS1_7vsmem_tEENKUlT_SI_SJ_SK_E_clIPfSD_S10_SD_EESH_SX_SI_SJ_SK_EUlSX_E1_NS1_11comp_targetILNS1_3genE8ELNS1_11target_archE1030ELNS1_3gpuE2ELNS1_3repE0EEENS1_36merge_oddeven_config_static_selectorELNS0_4arch9wavefront6targetE1EEEvSJ_, .Lfunc_end244-_ZN7rocprim17ROCPRIM_400000_NS6detail17trampoline_kernelINS0_14default_configENS1_38merge_sort_block_merge_config_selectorIffEEZZNS1_27merge_sort_block_merge_implIS3_N6thrust23THRUST_200600_302600_NS6detail15normal_iteratorINS8_10device_ptrIfEEEESD_jNS1_19radix_merge_compareILb0ELb0EfNS0_19identity_decomposerEEEEE10hipError_tT0_T1_T2_jT3_P12ihipStream_tbPNSt15iterator_traitsISI_E10value_typeEPNSO_ISJ_E10value_typeEPSK_NS1_7vsmem_tEENKUlT_SI_SJ_SK_E_clIPfSD_S10_SD_EESH_SX_SI_SJ_SK_EUlSX_E1_NS1_11comp_targetILNS1_3genE8ELNS1_11target_archE1030ELNS1_3gpuE2ELNS1_3repE0EEENS1_36merge_oddeven_config_static_selectorELNS0_4arch9wavefront6targetE1EEEvSJ_
                                        ; -- End function
	.set _ZN7rocprim17ROCPRIM_400000_NS6detail17trampoline_kernelINS0_14default_configENS1_38merge_sort_block_merge_config_selectorIffEEZZNS1_27merge_sort_block_merge_implIS3_N6thrust23THRUST_200600_302600_NS6detail15normal_iteratorINS8_10device_ptrIfEEEESD_jNS1_19radix_merge_compareILb0ELb0EfNS0_19identity_decomposerEEEEE10hipError_tT0_T1_T2_jT3_P12ihipStream_tbPNSt15iterator_traitsISI_E10value_typeEPNSO_ISJ_E10value_typeEPSK_NS1_7vsmem_tEENKUlT_SI_SJ_SK_E_clIPfSD_S10_SD_EESH_SX_SI_SJ_SK_EUlSX_E1_NS1_11comp_targetILNS1_3genE8ELNS1_11target_archE1030ELNS1_3gpuE2ELNS1_3repE0EEENS1_36merge_oddeven_config_static_selectorELNS0_4arch9wavefront6targetE1EEEvSJ_.num_vgpr, 0
	.set _ZN7rocprim17ROCPRIM_400000_NS6detail17trampoline_kernelINS0_14default_configENS1_38merge_sort_block_merge_config_selectorIffEEZZNS1_27merge_sort_block_merge_implIS3_N6thrust23THRUST_200600_302600_NS6detail15normal_iteratorINS8_10device_ptrIfEEEESD_jNS1_19radix_merge_compareILb0ELb0EfNS0_19identity_decomposerEEEEE10hipError_tT0_T1_T2_jT3_P12ihipStream_tbPNSt15iterator_traitsISI_E10value_typeEPNSO_ISJ_E10value_typeEPSK_NS1_7vsmem_tEENKUlT_SI_SJ_SK_E_clIPfSD_S10_SD_EESH_SX_SI_SJ_SK_EUlSX_E1_NS1_11comp_targetILNS1_3genE8ELNS1_11target_archE1030ELNS1_3gpuE2ELNS1_3repE0EEENS1_36merge_oddeven_config_static_selectorELNS0_4arch9wavefront6targetE1EEEvSJ_.num_agpr, 0
	.set _ZN7rocprim17ROCPRIM_400000_NS6detail17trampoline_kernelINS0_14default_configENS1_38merge_sort_block_merge_config_selectorIffEEZZNS1_27merge_sort_block_merge_implIS3_N6thrust23THRUST_200600_302600_NS6detail15normal_iteratorINS8_10device_ptrIfEEEESD_jNS1_19radix_merge_compareILb0ELb0EfNS0_19identity_decomposerEEEEE10hipError_tT0_T1_T2_jT3_P12ihipStream_tbPNSt15iterator_traitsISI_E10value_typeEPNSO_ISJ_E10value_typeEPSK_NS1_7vsmem_tEENKUlT_SI_SJ_SK_E_clIPfSD_S10_SD_EESH_SX_SI_SJ_SK_EUlSX_E1_NS1_11comp_targetILNS1_3genE8ELNS1_11target_archE1030ELNS1_3gpuE2ELNS1_3repE0EEENS1_36merge_oddeven_config_static_selectorELNS0_4arch9wavefront6targetE1EEEvSJ_.numbered_sgpr, 0
	.set _ZN7rocprim17ROCPRIM_400000_NS6detail17trampoline_kernelINS0_14default_configENS1_38merge_sort_block_merge_config_selectorIffEEZZNS1_27merge_sort_block_merge_implIS3_N6thrust23THRUST_200600_302600_NS6detail15normal_iteratorINS8_10device_ptrIfEEEESD_jNS1_19radix_merge_compareILb0ELb0EfNS0_19identity_decomposerEEEEE10hipError_tT0_T1_T2_jT3_P12ihipStream_tbPNSt15iterator_traitsISI_E10value_typeEPNSO_ISJ_E10value_typeEPSK_NS1_7vsmem_tEENKUlT_SI_SJ_SK_E_clIPfSD_S10_SD_EESH_SX_SI_SJ_SK_EUlSX_E1_NS1_11comp_targetILNS1_3genE8ELNS1_11target_archE1030ELNS1_3gpuE2ELNS1_3repE0EEENS1_36merge_oddeven_config_static_selectorELNS0_4arch9wavefront6targetE1EEEvSJ_.num_named_barrier, 0
	.set _ZN7rocprim17ROCPRIM_400000_NS6detail17trampoline_kernelINS0_14default_configENS1_38merge_sort_block_merge_config_selectorIffEEZZNS1_27merge_sort_block_merge_implIS3_N6thrust23THRUST_200600_302600_NS6detail15normal_iteratorINS8_10device_ptrIfEEEESD_jNS1_19radix_merge_compareILb0ELb0EfNS0_19identity_decomposerEEEEE10hipError_tT0_T1_T2_jT3_P12ihipStream_tbPNSt15iterator_traitsISI_E10value_typeEPNSO_ISJ_E10value_typeEPSK_NS1_7vsmem_tEENKUlT_SI_SJ_SK_E_clIPfSD_S10_SD_EESH_SX_SI_SJ_SK_EUlSX_E1_NS1_11comp_targetILNS1_3genE8ELNS1_11target_archE1030ELNS1_3gpuE2ELNS1_3repE0EEENS1_36merge_oddeven_config_static_selectorELNS0_4arch9wavefront6targetE1EEEvSJ_.private_seg_size, 0
	.set _ZN7rocprim17ROCPRIM_400000_NS6detail17trampoline_kernelINS0_14default_configENS1_38merge_sort_block_merge_config_selectorIffEEZZNS1_27merge_sort_block_merge_implIS3_N6thrust23THRUST_200600_302600_NS6detail15normal_iteratorINS8_10device_ptrIfEEEESD_jNS1_19radix_merge_compareILb0ELb0EfNS0_19identity_decomposerEEEEE10hipError_tT0_T1_T2_jT3_P12ihipStream_tbPNSt15iterator_traitsISI_E10value_typeEPNSO_ISJ_E10value_typeEPSK_NS1_7vsmem_tEENKUlT_SI_SJ_SK_E_clIPfSD_S10_SD_EESH_SX_SI_SJ_SK_EUlSX_E1_NS1_11comp_targetILNS1_3genE8ELNS1_11target_archE1030ELNS1_3gpuE2ELNS1_3repE0EEENS1_36merge_oddeven_config_static_selectorELNS0_4arch9wavefront6targetE1EEEvSJ_.uses_vcc, 0
	.set _ZN7rocprim17ROCPRIM_400000_NS6detail17trampoline_kernelINS0_14default_configENS1_38merge_sort_block_merge_config_selectorIffEEZZNS1_27merge_sort_block_merge_implIS3_N6thrust23THRUST_200600_302600_NS6detail15normal_iteratorINS8_10device_ptrIfEEEESD_jNS1_19radix_merge_compareILb0ELb0EfNS0_19identity_decomposerEEEEE10hipError_tT0_T1_T2_jT3_P12ihipStream_tbPNSt15iterator_traitsISI_E10value_typeEPNSO_ISJ_E10value_typeEPSK_NS1_7vsmem_tEENKUlT_SI_SJ_SK_E_clIPfSD_S10_SD_EESH_SX_SI_SJ_SK_EUlSX_E1_NS1_11comp_targetILNS1_3genE8ELNS1_11target_archE1030ELNS1_3gpuE2ELNS1_3repE0EEENS1_36merge_oddeven_config_static_selectorELNS0_4arch9wavefront6targetE1EEEvSJ_.uses_flat_scratch, 0
	.set _ZN7rocprim17ROCPRIM_400000_NS6detail17trampoline_kernelINS0_14default_configENS1_38merge_sort_block_merge_config_selectorIffEEZZNS1_27merge_sort_block_merge_implIS3_N6thrust23THRUST_200600_302600_NS6detail15normal_iteratorINS8_10device_ptrIfEEEESD_jNS1_19radix_merge_compareILb0ELb0EfNS0_19identity_decomposerEEEEE10hipError_tT0_T1_T2_jT3_P12ihipStream_tbPNSt15iterator_traitsISI_E10value_typeEPNSO_ISJ_E10value_typeEPSK_NS1_7vsmem_tEENKUlT_SI_SJ_SK_E_clIPfSD_S10_SD_EESH_SX_SI_SJ_SK_EUlSX_E1_NS1_11comp_targetILNS1_3genE8ELNS1_11target_archE1030ELNS1_3gpuE2ELNS1_3repE0EEENS1_36merge_oddeven_config_static_selectorELNS0_4arch9wavefront6targetE1EEEvSJ_.has_dyn_sized_stack, 0
	.set _ZN7rocprim17ROCPRIM_400000_NS6detail17trampoline_kernelINS0_14default_configENS1_38merge_sort_block_merge_config_selectorIffEEZZNS1_27merge_sort_block_merge_implIS3_N6thrust23THRUST_200600_302600_NS6detail15normal_iteratorINS8_10device_ptrIfEEEESD_jNS1_19radix_merge_compareILb0ELb0EfNS0_19identity_decomposerEEEEE10hipError_tT0_T1_T2_jT3_P12ihipStream_tbPNSt15iterator_traitsISI_E10value_typeEPNSO_ISJ_E10value_typeEPSK_NS1_7vsmem_tEENKUlT_SI_SJ_SK_E_clIPfSD_S10_SD_EESH_SX_SI_SJ_SK_EUlSX_E1_NS1_11comp_targetILNS1_3genE8ELNS1_11target_archE1030ELNS1_3gpuE2ELNS1_3repE0EEENS1_36merge_oddeven_config_static_selectorELNS0_4arch9wavefront6targetE1EEEvSJ_.has_recursion, 0
	.set _ZN7rocprim17ROCPRIM_400000_NS6detail17trampoline_kernelINS0_14default_configENS1_38merge_sort_block_merge_config_selectorIffEEZZNS1_27merge_sort_block_merge_implIS3_N6thrust23THRUST_200600_302600_NS6detail15normal_iteratorINS8_10device_ptrIfEEEESD_jNS1_19radix_merge_compareILb0ELb0EfNS0_19identity_decomposerEEEEE10hipError_tT0_T1_T2_jT3_P12ihipStream_tbPNSt15iterator_traitsISI_E10value_typeEPNSO_ISJ_E10value_typeEPSK_NS1_7vsmem_tEENKUlT_SI_SJ_SK_E_clIPfSD_S10_SD_EESH_SX_SI_SJ_SK_EUlSX_E1_NS1_11comp_targetILNS1_3genE8ELNS1_11target_archE1030ELNS1_3gpuE2ELNS1_3repE0EEENS1_36merge_oddeven_config_static_selectorELNS0_4arch9wavefront6targetE1EEEvSJ_.has_indirect_call, 0
	.section	.AMDGPU.csdata,"",@progbits
; Kernel info:
; codeLenInByte = 0
; TotalNumSgprs: 6
; NumVgprs: 0
; NumAgprs: 0
; TotalNumVgprs: 0
; ScratchSize: 0
; MemoryBound: 0
; FloatMode: 240
; IeeeMode: 1
; LDSByteSize: 0 bytes/workgroup (compile time only)
; SGPRBlocks: 0
; VGPRBlocks: 0
; NumSGPRsForWavesPerEU: 6
; NumVGPRsForWavesPerEU: 1
; AccumOffset: 4
; Occupancy: 8
; WaveLimiterHint : 0
; COMPUTE_PGM_RSRC2:SCRATCH_EN: 0
; COMPUTE_PGM_RSRC2:USER_SGPR: 2
; COMPUTE_PGM_RSRC2:TRAP_HANDLER: 0
; COMPUTE_PGM_RSRC2:TGID_X_EN: 1
; COMPUTE_PGM_RSRC2:TGID_Y_EN: 0
; COMPUTE_PGM_RSRC2:TGID_Z_EN: 0
; COMPUTE_PGM_RSRC2:TIDIG_COMP_CNT: 0
; COMPUTE_PGM_RSRC3_GFX90A:ACCUM_OFFSET: 0
; COMPUTE_PGM_RSRC3_GFX90A:TG_SPLIT: 0
	.section	.text._ZN7rocprim17ROCPRIM_400000_NS6detail17trampoline_kernelINS0_14default_configENS1_38merge_sort_block_merge_config_selectorIffEEZZNS1_27merge_sort_block_merge_implIS3_N6thrust23THRUST_200600_302600_NS6detail15normal_iteratorINS8_10device_ptrIfEEEESD_jNS1_19radix_merge_compareILb0ELb0EfNS0_19identity_decomposerEEEEE10hipError_tT0_T1_T2_jT3_P12ihipStream_tbPNSt15iterator_traitsISI_E10value_typeEPNSO_ISJ_E10value_typeEPSK_NS1_7vsmem_tEENKUlT_SI_SJ_SK_E_clISD_PfSD_S10_EESH_SX_SI_SJ_SK_EUlSX_E_NS1_11comp_targetILNS1_3genE0ELNS1_11target_archE4294967295ELNS1_3gpuE0ELNS1_3repE0EEENS1_48merge_mergepath_partition_config_static_selectorELNS0_4arch9wavefront6targetE1EEEvSJ_,"axG",@progbits,_ZN7rocprim17ROCPRIM_400000_NS6detail17trampoline_kernelINS0_14default_configENS1_38merge_sort_block_merge_config_selectorIffEEZZNS1_27merge_sort_block_merge_implIS3_N6thrust23THRUST_200600_302600_NS6detail15normal_iteratorINS8_10device_ptrIfEEEESD_jNS1_19radix_merge_compareILb0ELb0EfNS0_19identity_decomposerEEEEE10hipError_tT0_T1_T2_jT3_P12ihipStream_tbPNSt15iterator_traitsISI_E10value_typeEPNSO_ISJ_E10value_typeEPSK_NS1_7vsmem_tEENKUlT_SI_SJ_SK_E_clISD_PfSD_S10_EESH_SX_SI_SJ_SK_EUlSX_E_NS1_11comp_targetILNS1_3genE0ELNS1_11target_archE4294967295ELNS1_3gpuE0ELNS1_3repE0EEENS1_48merge_mergepath_partition_config_static_selectorELNS0_4arch9wavefront6targetE1EEEvSJ_,comdat
	.protected	_ZN7rocprim17ROCPRIM_400000_NS6detail17trampoline_kernelINS0_14default_configENS1_38merge_sort_block_merge_config_selectorIffEEZZNS1_27merge_sort_block_merge_implIS3_N6thrust23THRUST_200600_302600_NS6detail15normal_iteratorINS8_10device_ptrIfEEEESD_jNS1_19radix_merge_compareILb0ELb0EfNS0_19identity_decomposerEEEEE10hipError_tT0_T1_T2_jT3_P12ihipStream_tbPNSt15iterator_traitsISI_E10value_typeEPNSO_ISJ_E10value_typeEPSK_NS1_7vsmem_tEENKUlT_SI_SJ_SK_E_clISD_PfSD_S10_EESH_SX_SI_SJ_SK_EUlSX_E_NS1_11comp_targetILNS1_3genE0ELNS1_11target_archE4294967295ELNS1_3gpuE0ELNS1_3repE0EEENS1_48merge_mergepath_partition_config_static_selectorELNS0_4arch9wavefront6targetE1EEEvSJ_ ; -- Begin function _ZN7rocprim17ROCPRIM_400000_NS6detail17trampoline_kernelINS0_14default_configENS1_38merge_sort_block_merge_config_selectorIffEEZZNS1_27merge_sort_block_merge_implIS3_N6thrust23THRUST_200600_302600_NS6detail15normal_iteratorINS8_10device_ptrIfEEEESD_jNS1_19radix_merge_compareILb0ELb0EfNS0_19identity_decomposerEEEEE10hipError_tT0_T1_T2_jT3_P12ihipStream_tbPNSt15iterator_traitsISI_E10value_typeEPNSO_ISJ_E10value_typeEPSK_NS1_7vsmem_tEENKUlT_SI_SJ_SK_E_clISD_PfSD_S10_EESH_SX_SI_SJ_SK_EUlSX_E_NS1_11comp_targetILNS1_3genE0ELNS1_11target_archE4294967295ELNS1_3gpuE0ELNS1_3repE0EEENS1_48merge_mergepath_partition_config_static_selectorELNS0_4arch9wavefront6targetE1EEEvSJ_
	.globl	_ZN7rocprim17ROCPRIM_400000_NS6detail17trampoline_kernelINS0_14default_configENS1_38merge_sort_block_merge_config_selectorIffEEZZNS1_27merge_sort_block_merge_implIS3_N6thrust23THRUST_200600_302600_NS6detail15normal_iteratorINS8_10device_ptrIfEEEESD_jNS1_19radix_merge_compareILb0ELb0EfNS0_19identity_decomposerEEEEE10hipError_tT0_T1_T2_jT3_P12ihipStream_tbPNSt15iterator_traitsISI_E10value_typeEPNSO_ISJ_E10value_typeEPSK_NS1_7vsmem_tEENKUlT_SI_SJ_SK_E_clISD_PfSD_S10_EESH_SX_SI_SJ_SK_EUlSX_E_NS1_11comp_targetILNS1_3genE0ELNS1_11target_archE4294967295ELNS1_3gpuE0ELNS1_3repE0EEENS1_48merge_mergepath_partition_config_static_selectorELNS0_4arch9wavefront6targetE1EEEvSJ_
	.p2align	8
	.type	_ZN7rocprim17ROCPRIM_400000_NS6detail17trampoline_kernelINS0_14default_configENS1_38merge_sort_block_merge_config_selectorIffEEZZNS1_27merge_sort_block_merge_implIS3_N6thrust23THRUST_200600_302600_NS6detail15normal_iteratorINS8_10device_ptrIfEEEESD_jNS1_19radix_merge_compareILb0ELb0EfNS0_19identity_decomposerEEEEE10hipError_tT0_T1_T2_jT3_P12ihipStream_tbPNSt15iterator_traitsISI_E10value_typeEPNSO_ISJ_E10value_typeEPSK_NS1_7vsmem_tEENKUlT_SI_SJ_SK_E_clISD_PfSD_S10_EESH_SX_SI_SJ_SK_EUlSX_E_NS1_11comp_targetILNS1_3genE0ELNS1_11target_archE4294967295ELNS1_3gpuE0ELNS1_3repE0EEENS1_48merge_mergepath_partition_config_static_selectorELNS0_4arch9wavefront6targetE1EEEvSJ_,@function
_ZN7rocprim17ROCPRIM_400000_NS6detail17trampoline_kernelINS0_14default_configENS1_38merge_sort_block_merge_config_selectorIffEEZZNS1_27merge_sort_block_merge_implIS3_N6thrust23THRUST_200600_302600_NS6detail15normal_iteratorINS8_10device_ptrIfEEEESD_jNS1_19radix_merge_compareILb0ELb0EfNS0_19identity_decomposerEEEEE10hipError_tT0_T1_T2_jT3_P12ihipStream_tbPNSt15iterator_traitsISI_E10value_typeEPNSO_ISJ_E10value_typeEPSK_NS1_7vsmem_tEENKUlT_SI_SJ_SK_E_clISD_PfSD_S10_EESH_SX_SI_SJ_SK_EUlSX_E_NS1_11comp_targetILNS1_3genE0ELNS1_11target_archE4294967295ELNS1_3gpuE0ELNS1_3repE0EEENS1_48merge_mergepath_partition_config_static_selectorELNS0_4arch9wavefront6targetE1EEEvSJ_: ; @_ZN7rocprim17ROCPRIM_400000_NS6detail17trampoline_kernelINS0_14default_configENS1_38merge_sort_block_merge_config_selectorIffEEZZNS1_27merge_sort_block_merge_implIS3_N6thrust23THRUST_200600_302600_NS6detail15normal_iteratorINS8_10device_ptrIfEEEESD_jNS1_19radix_merge_compareILb0ELb0EfNS0_19identity_decomposerEEEEE10hipError_tT0_T1_T2_jT3_P12ihipStream_tbPNSt15iterator_traitsISI_E10value_typeEPNSO_ISJ_E10value_typeEPSK_NS1_7vsmem_tEENKUlT_SI_SJ_SK_E_clISD_PfSD_S10_EESH_SX_SI_SJ_SK_EUlSX_E_NS1_11comp_targetILNS1_3genE0ELNS1_11target_archE4294967295ELNS1_3gpuE0ELNS1_3repE0EEENS1_48merge_mergepath_partition_config_static_selectorELNS0_4arch9wavefront6targetE1EEEvSJ_
; %bb.0:
	s_load_dword s3, s[0:1], 0x0
	v_lshl_or_b32 v0, s2, 7, v0
	s_waitcnt lgkmcnt(0)
	v_cmp_gt_u32_e32 vcc, s3, v0
	s_and_saveexec_b64 s[2:3], vcc
	s_cbranch_execz .LBB245_6
; %bb.1:
	s_load_dwordx2 s[4:5], s[0:1], 0x4
	s_load_dwordx2 s[2:3], s[0:1], 0x20
	s_waitcnt lgkmcnt(0)
	s_lshr_b32 s6, s4, 9
	s_and_b32 s6, s6, 0x7ffffe
	s_add_i32 s7, s6, -1
	s_sub_i32 s6, 0, s6
	v_and_b32_e32 v1, s6, v0
	v_lshlrev_b32_e32 v1, 10, v1
	v_min_u32_e32 v2, s5, v1
	v_add_u32_e32 v1, s4, v1
	v_min_u32_e32 v4, s5, v1
	v_add_u32_e32 v1, s4, v4
	v_and_b32_e32 v3, s7, v0
	v_min_u32_e32 v1, s5, v1
	v_sub_u32_e32 v5, v1, v2
	v_lshlrev_b32_e32 v3, 10, v3
	v_min_u32_e32 v10, v5, v3
	v_sub_u32_e32 v3, v4, v2
	v_sub_u32_e32 v1, v1, v4
	v_sub_u32_e64 v1, v10, v1 clamp
	v_min_u32_e32 v11, v10, v3
	v_cmp_lt_u32_e32 vcc, v1, v11
	s_and_saveexec_b64 s[4:5], vcc
	s_cbranch_execz .LBB245_5
; %bb.2:
	s_load_dwordx2 s[0:1], s[0:1], 0x10
	v_mov_b32_e32 v5, 0
	v_mov_b32_e32 v3, v5
	s_waitcnt lgkmcnt(0)
	v_lshl_add_u64 v[6:7], v[2:3], 2, s[0:1]
	v_lshl_add_u64 v[8:9], v[4:5], 2, s[0:1]
	s_mov_b64 s[0:1], 0
.LBB245_3:                              ; =>This Inner Loop Header: Depth=1
	v_add_u32_e32 v3, v11, v1
	v_lshrrev_b32_e32 v4, 1, v3
	v_mov_b32_e32 v13, v5
	v_xad_u32 v12, v4, -1, v10
	v_lshl_add_u64 v[14:15], v[4:5], 2, v[6:7]
	v_lshl_add_u64 v[12:13], v[12:13], 2, v[8:9]
	flat_load_dword v16, v[14:15]
	flat_load_dword v17, v[12:13]
	v_add_u32_e32 v3, 1, v4
	s_waitcnt vmcnt(0) lgkmcnt(0)
	v_pk_add_f32 v[12:13], v[16:17], 0 op_sel_hi:[1,0]
	s_nop 0
	v_ashrrev_i32_e32 v14, 31, v13
	v_ashrrev_i32_e32 v15, 31, v12
	v_or_b32_e32 v14, 0x80000000, v14
	v_or_b32_e32 v15, 0x80000000, v15
	v_xor_b32_e32 v13, v14, v13
	v_xor_b32_e32 v12, v15, v12
	v_cmp_gt_u32_e32 vcc, v12, v13
	s_nop 1
	v_cndmask_b32_e32 v11, v11, v4, vcc
	v_cndmask_b32_e32 v1, v3, v1, vcc
	v_cmp_ge_u32_e32 vcc, v1, v11
	s_or_b64 s[0:1], vcc, s[0:1]
	s_andn2_b64 exec, exec, s[0:1]
	s_cbranch_execnz .LBB245_3
; %bb.4:
	s_or_b64 exec, exec, s[0:1]
.LBB245_5:
	s_or_b64 exec, exec, s[4:5]
	v_add_u32_e32 v2, v1, v2
	v_mov_b32_e32 v1, 0
	v_lshl_add_u64 v[0:1], v[0:1], 2, s[2:3]
	global_store_dword v[0:1], v2, off
.LBB245_6:
	s_endpgm
	.section	.rodata,"a",@progbits
	.p2align	6, 0x0
	.amdhsa_kernel _ZN7rocprim17ROCPRIM_400000_NS6detail17trampoline_kernelINS0_14default_configENS1_38merge_sort_block_merge_config_selectorIffEEZZNS1_27merge_sort_block_merge_implIS3_N6thrust23THRUST_200600_302600_NS6detail15normal_iteratorINS8_10device_ptrIfEEEESD_jNS1_19radix_merge_compareILb0ELb0EfNS0_19identity_decomposerEEEEE10hipError_tT0_T1_T2_jT3_P12ihipStream_tbPNSt15iterator_traitsISI_E10value_typeEPNSO_ISJ_E10value_typeEPSK_NS1_7vsmem_tEENKUlT_SI_SJ_SK_E_clISD_PfSD_S10_EESH_SX_SI_SJ_SK_EUlSX_E_NS1_11comp_targetILNS1_3genE0ELNS1_11target_archE4294967295ELNS1_3gpuE0ELNS1_3repE0EEENS1_48merge_mergepath_partition_config_static_selectorELNS0_4arch9wavefront6targetE1EEEvSJ_
		.amdhsa_group_segment_fixed_size 0
		.amdhsa_private_segment_fixed_size 0
		.amdhsa_kernarg_size 40
		.amdhsa_user_sgpr_count 2
		.amdhsa_user_sgpr_dispatch_ptr 0
		.amdhsa_user_sgpr_queue_ptr 0
		.amdhsa_user_sgpr_kernarg_segment_ptr 1
		.amdhsa_user_sgpr_dispatch_id 0
		.amdhsa_user_sgpr_kernarg_preload_length 0
		.amdhsa_user_sgpr_kernarg_preload_offset 0
		.amdhsa_user_sgpr_private_segment_size 0
		.amdhsa_uses_dynamic_stack 0
		.amdhsa_enable_private_segment 0
		.amdhsa_system_sgpr_workgroup_id_x 1
		.amdhsa_system_sgpr_workgroup_id_y 0
		.amdhsa_system_sgpr_workgroup_id_z 0
		.amdhsa_system_sgpr_workgroup_info 0
		.amdhsa_system_vgpr_workitem_id 0
		.amdhsa_next_free_vgpr 18
		.amdhsa_next_free_sgpr 8
		.amdhsa_accum_offset 20
		.amdhsa_reserve_vcc 1
		.amdhsa_float_round_mode_32 0
		.amdhsa_float_round_mode_16_64 0
		.amdhsa_float_denorm_mode_32 3
		.amdhsa_float_denorm_mode_16_64 3
		.amdhsa_dx10_clamp 1
		.amdhsa_ieee_mode 1
		.amdhsa_fp16_overflow 0
		.amdhsa_tg_split 0
		.amdhsa_exception_fp_ieee_invalid_op 0
		.amdhsa_exception_fp_denorm_src 0
		.amdhsa_exception_fp_ieee_div_zero 0
		.amdhsa_exception_fp_ieee_overflow 0
		.amdhsa_exception_fp_ieee_underflow 0
		.amdhsa_exception_fp_ieee_inexact 0
		.amdhsa_exception_int_div_zero 0
	.end_amdhsa_kernel
	.section	.text._ZN7rocprim17ROCPRIM_400000_NS6detail17trampoline_kernelINS0_14default_configENS1_38merge_sort_block_merge_config_selectorIffEEZZNS1_27merge_sort_block_merge_implIS3_N6thrust23THRUST_200600_302600_NS6detail15normal_iteratorINS8_10device_ptrIfEEEESD_jNS1_19radix_merge_compareILb0ELb0EfNS0_19identity_decomposerEEEEE10hipError_tT0_T1_T2_jT3_P12ihipStream_tbPNSt15iterator_traitsISI_E10value_typeEPNSO_ISJ_E10value_typeEPSK_NS1_7vsmem_tEENKUlT_SI_SJ_SK_E_clISD_PfSD_S10_EESH_SX_SI_SJ_SK_EUlSX_E_NS1_11comp_targetILNS1_3genE0ELNS1_11target_archE4294967295ELNS1_3gpuE0ELNS1_3repE0EEENS1_48merge_mergepath_partition_config_static_selectorELNS0_4arch9wavefront6targetE1EEEvSJ_,"axG",@progbits,_ZN7rocprim17ROCPRIM_400000_NS6detail17trampoline_kernelINS0_14default_configENS1_38merge_sort_block_merge_config_selectorIffEEZZNS1_27merge_sort_block_merge_implIS3_N6thrust23THRUST_200600_302600_NS6detail15normal_iteratorINS8_10device_ptrIfEEEESD_jNS1_19radix_merge_compareILb0ELb0EfNS0_19identity_decomposerEEEEE10hipError_tT0_T1_T2_jT3_P12ihipStream_tbPNSt15iterator_traitsISI_E10value_typeEPNSO_ISJ_E10value_typeEPSK_NS1_7vsmem_tEENKUlT_SI_SJ_SK_E_clISD_PfSD_S10_EESH_SX_SI_SJ_SK_EUlSX_E_NS1_11comp_targetILNS1_3genE0ELNS1_11target_archE4294967295ELNS1_3gpuE0ELNS1_3repE0EEENS1_48merge_mergepath_partition_config_static_selectorELNS0_4arch9wavefront6targetE1EEEvSJ_,comdat
.Lfunc_end245:
	.size	_ZN7rocprim17ROCPRIM_400000_NS6detail17trampoline_kernelINS0_14default_configENS1_38merge_sort_block_merge_config_selectorIffEEZZNS1_27merge_sort_block_merge_implIS3_N6thrust23THRUST_200600_302600_NS6detail15normal_iteratorINS8_10device_ptrIfEEEESD_jNS1_19radix_merge_compareILb0ELb0EfNS0_19identity_decomposerEEEEE10hipError_tT0_T1_T2_jT3_P12ihipStream_tbPNSt15iterator_traitsISI_E10value_typeEPNSO_ISJ_E10value_typeEPSK_NS1_7vsmem_tEENKUlT_SI_SJ_SK_E_clISD_PfSD_S10_EESH_SX_SI_SJ_SK_EUlSX_E_NS1_11comp_targetILNS1_3genE0ELNS1_11target_archE4294967295ELNS1_3gpuE0ELNS1_3repE0EEENS1_48merge_mergepath_partition_config_static_selectorELNS0_4arch9wavefront6targetE1EEEvSJ_, .Lfunc_end245-_ZN7rocprim17ROCPRIM_400000_NS6detail17trampoline_kernelINS0_14default_configENS1_38merge_sort_block_merge_config_selectorIffEEZZNS1_27merge_sort_block_merge_implIS3_N6thrust23THRUST_200600_302600_NS6detail15normal_iteratorINS8_10device_ptrIfEEEESD_jNS1_19radix_merge_compareILb0ELb0EfNS0_19identity_decomposerEEEEE10hipError_tT0_T1_T2_jT3_P12ihipStream_tbPNSt15iterator_traitsISI_E10value_typeEPNSO_ISJ_E10value_typeEPSK_NS1_7vsmem_tEENKUlT_SI_SJ_SK_E_clISD_PfSD_S10_EESH_SX_SI_SJ_SK_EUlSX_E_NS1_11comp_targetILNS1_3genE0ELNS1_11target_archE4294967295ELNS1_3gpuE0ELNS1_3repE0EEENS1_48merge_mergepath_partition_config_static_selectorELNS0_4arch9wavefront6targetE1EEEvSJ_
                                        ; -- End function
	.set _ZN7rocprim17ROCPRIM_400000_NS6detail17trampoline_kernelINS0_14default_configENS1_38merge_sort_block_merge_config_selectorIffEEZZNS1_27merge_sort_block_merge_implIS3_N6thrust23THRUST_200600_302600_NS6detail15normal_iteratorINS8_10device_ptrIfEEEESD_jNS1_19radix_merge_compareILb0ELb0EfNS0_19identity_decomposerEEEEE10hipError_tT0_T1_T2_jT3_P12ihipStream_tbPNSt15iterator_traitsISI_E10value_typeEPNSO_ISJ_E10value_typeEPSK_NS1_7vsmem_tEENKUlT_SI_SJ_SK_E_clISD_PfSD_S10_EESH_SX_SI_SJ_SK_EUlSX_E_NS1_11comp_targetILNS1_3genE0ELNS1_11target_archE4294967295ELNS1_3gpuE0ELNS1_3repE0EEENS1_48merge_mergepath_partition_config_static_selectorELNS0_4arch9wavefront6targetE1EEEvSJ_.num_vgpr, 18
	.set _ZN7rocprim17ROCPRIM_400000_NS6detail17trampoline_kernelINS0_14default_configENS1_38merge_sort_block_merge_config_selectorIffEEZZNS1_27merge_sort_block_merge_implIS3_N6thrust23THRUST_200600_302600_NS6detail15normal_iteratorINS8_10device_ptrIfEEEESD_jNS1_19radix_merge_compareILb0ELb0EfNS0_19identity_decomposerEEEEE10hipError_tT0_T1_T2_jT3_P12ihipStream_tbPNSt15iterator_traitsISI_E10value_typeEPNSO_ISJ_E10value_typeEPSK_NS1_7vsmem_tEENKUlT_SI_SJ_SK_E_clISD_PfSD_S10_EESH_SX_SI_SJ_SK_EUlSX_E_NS1_11comp_targetILNS1_3genE0ELNS1_11target_archE4294967295ELNS1_3gpuE0ELNS1_3repE0EEENS1_48merge_mergepath_partition_config_static_selectorELNS0_4arch9wavefront6targetE1EEEvSJ_.num_agpr, 0
	.set _ZN7rocprim17ROCPRIM_400000_NS6detail17trampoline_kernelINS0_14default_configENS1_38merge_sort_block_merge_config_selectorIffEEZZNS1_27merge_sort_block_merge_implIS3_N6thrust23THRUST_200600_302600_NS6detail15normal_iteratorINS8_10device_ptrIfEEEESD_jNS1_19radix_merge_compareILb0ELb0EfNS0_19identity_decomposerEEEEE10hipError_tT0_T1_T2_jT3_P12ihipStream_tbPNSt15iterator_traitsISI_E10value_typeEPNSO_ISJ_E10value_typeEPSK_NS1_7vsmem_tEENKUlT_SI_SJ_SK_E_clISD_PfSD_S10_EESH_SX_SI_SJ_SK_EUlSX_E_NS1_11comp_targetILNS1_3genE0ELNS1_11target_archE4294967295ELNS1_3gpuE0ELNS1_3repE0EEENS1_48merge_mergepath_partition_config_static_selectorELNS0_4arch9wavefront6targetE1EEEvSJ_.numbered_sgpr, 8
	.set _ZN7rocprim17ROCPRIM_400000_NS6detail17trampoline_kernelINS0_14default_configENS1_38merge_sort_block_merge_config_selectorIffEEZZNS1_27merge_sort_block_merge_implIS3_N6thrust23THRUST_200600_302600_NS6detail15normal_iteratorINS8_10device_ptrIfEEEESD_jNS1_19radix_merge_compareILb0ELb0EfNS0_19identity_decomposerEEEEE10hipError_tT0_T1_T2_jT3_P12ihipStream_tbPNSt15iterator_traitsISI_E10value_typeEPNSO_ISJ_E10value_typeEPSK_NS1_7vsmem_tEENKUlT_SI_SJ_SK_E_clISD_PfSD_S10_EESH_SX_SI_SJ_SK_EUlSX_E_NS1_11comp_targetILNS1_3genE0ELNS1_11target_archE4294967295ELNS1_3gpuE0ELNS1_3repE0EEENS1_48merge_mergepath_partition_config_static_selectorELNS0_4arch9wavefront6targetE1EEEvSJ_.num_named_barrier, 0
	.set _ZN7rocprim17ROCPRIM_400000_NS6detail17trampoline_kernelINS0_14default_configENS1_38merge_sort_block_merge_config_selectorIffEEZZNS1_27merge_sort_block_merge_implIS3_N6thrust23THRUST_200600_302600_NS6detail15normal_iteratorINS8_10device_ptrIfEEEESD_jNS1_19radix_merge_compareILb0ELb0EfNS0_19identity_decomposerEEEEE10hipError_tT0_T1_T2_jT3_P12ihipStream_tbPNSt15iterator_traitsISI_E10value_typeEPNSO_ISJ_E10value_typeEPSK_NS1_7vsmem_tEENKUlT_SI_SJ_SK_E_clISD_PfSD_S10_EESH_SX_SI_SJ_SK_EUlSX_E_NS1_11comp_targetILNS1_3genE0ELNS1_11target_archE4294967295ELNS1_3gpuE0ELNS1_3repE0EEENS1_48merge_mergepath_partition_config_static_selectorELNS0_4arch9wavefront6targetE1EEEvSJ_.private_seg_size, 0
	.set _ZN7rocprim17ROCPRIM_400000_NS6detail17trampoline_kernelINS0_14default_configENS1_38merge_sort_block_merge_config_selectorIffEEZZNS1_27merge_sort_block_merge_implIS3_N6thrust23THRUST_200600_302600_NS6detail15normal_iteratorINS8_10device_ptrIfEEEESD_jNS1_19radix_merge_compareILb0ELb0EfNS0_19identity_decomposerEEEEE10hipError_tT0_T1_T2_jT3_P12ihipStream_tbPNSt15iterator_traitsISI_E10value_typeEPNSO_ISJ_E10value_typeEPSK_NS1_7vsmem_tEENKUlT_SI_SJ_SK_E_clISD_PfSD_S10_EESH_SX_SI_SJ_SK_EUlSX_E_NS1_11comp_targetILNS1_3genE0ELNS1_11target_archE4294967295ELNS1_3gpuE0ELNS1_3repE0EEENS1_48merge_mergepath_partition_config_static_selectorELNS0_4arch9wavefront6targetE1EEEvSJ_.uses_vcc, 1
	.set _ZN7rocprim17ROCPRIM_400000_NS6detail17trampoline_kernelINS0_14default_configENS1_38merge_sort_block_merge_config_selectorIffEEZZNS1_27merge_sort_block_merge_implIS3_N6thrust23THRUST_200600_302600_NS6detail15normal_iteratorINS8_10device_ptrIfEEEESD_jNS1_19radix_merge_compareILb0ELb0EfNS0_19identity_decomposerEEEEE10hipError_tT0_T1_T2_jT3_P12ihipStream_tbPNSt15iterator_traitsISI_E10value_typeEPNSO_ISJ_E10value_typeEPSK_NS1_7vsmem_tEENKUlT_SI_SJ_SK_E_clISD_PfSD_S10_EESH_SX_SI_SJ_SK_EUlSX_E_NS1_11comp_targetILNS1_3genE0ELNS1_11target_archE4294967295ELNS1_3gpuE0ELNS1_3repE0EEENS1_48merge_mergepath_partition_config_static_selectorELNS0_4arch9wavefront6targetE1EEEvSJ_.uses_flat_scratch, 0
	.set _ZN7rocprim17ROCPRIM_400000_NS6detail17trampoline_kernelINS0_14default_configENS1_38merge_sort_block_merge_config_selectorIffEEZZNS1_27merge_sort_block_merge_implIS3_N6thrust23THRUST_200600_302600_NS6detail15normal_iteratorINS8_10device_ptrIfEEEESD_jNS1_19radix_merge_compareILb0ELb0EfNS0_19identity_decomposerEEEEE10hipError_tT0_T1_T2_jT3_P12ihipStream_tbPNSt15iterator_traitsISI_E10value_typeEPNSO_ISJ_E10value_typeEPSK_NS1_7vsmem_tEENKUlT_SI_SJ_SK_E_clISD_PfSD_S10_EESH_SX_SI_SJ_SK_EUlSX_E_NS1_11comp_targetILNS1_3genE0ELNS1_11target_archE4294967295ELNS1_3gpuE0ELNS1_3repE0EEENS1_48merge_mergepath_partition_config_static_selectorELNS0_4arch9wavefront6targetE1EEEvSJ_.has_dyn_sized_stack, 0
	.set _ZN7rocprim17ROCPRIM_400000_NS6detail17trampoline_kernelINS0_14default_configENS1_38merge_sort_block_merge_config_selectorIffEEZZNS1_27merge_sort_block_merge_implIS3_N6thrust23THRUST_200600_302600_NS6detail15normal_iteratorINS8_10device_ptrIfEEEESD_jNS1_19radix_merge_compareILb0ELb0EfNS0_19identity_decomposerEEEEE10hipError_tT0_T1_T2_jT3_P12ihipStream_tbPNSt15iterator_traitsISI_E10value_typeEPNSO_ISJ_E10value_typeEPSK_NS1_7vsmem_tEENKUlT_SI_SJ_SK_E_clISD_PfSD_S10_EESH_SX_SI_SJ_SK_EUlSX_E_NS1_11comp_targetILNS1_3genE0ELNS1_11target_archE4294967295ELNS1_3gpuE0ELNS1_3repE0EEENS1_48merge_mergepath_partition_config_static_selectorELNS0_4arch9wavefront6targetE1EEEvSJ_.has_recursion, 0
	.set _ZN7rocprim17ROCPRIM_400000_NS6detail17trampoline_kernelINS0_14default_configENS1_38merge_sort_block_merge_config_selectorIffEEZZNS1_27merge_sort_block_merge_implIS3_N6thrust23THRUST_200600_302600_NS6detail15normal_iteratorINS8_10device_ptrIfEEEESD_jNS1_19radix_merge_compareILb0ELb0EfNS0_19identity_decomposerEEEEE10hipError_tT0_T1_T2_jT3_P12ihipStream_tbPNSt15iterator_traitsISI_E10value_typeEPNSO_ISJ_E10value_typeEPSK_NS1_7vsmem_tEENKUlT_SI_SJ_SK_E_clISD_PfSD_S10_EESH_SX_SI_SJ_SK_EUlSX_E_NS1_11comp_targetILNS1_3genE0ELNS1_11target_archE4294967295ELNS1_3gpuE0ELNS1_3repE0EEENS1_48merge_mergepath_partition_config_static_selectorELNS0_4arch9wavefront6targetE1EEEvSJ_.has_indirect_call, 0
	.section	.AMDGPU.csdata,"",@progbits
; Kernel info:
; codeLenInByte = 360
; TotalNumSgprs: 14
; NumVgprs: 18
; NumAgprs: 0
; TotalNumVgprs: 18
; ScratchSize: 0
; MemoryBound: 0
; FloatMode: 240
; IeeeMode: 1
; LDSByteSize: 0 bytes/workgroup (compile time only)
; SGPRBlocks: 1
; VGPRBlocks: 2
; NumSGPRsForWavesPerEU: 14
; NumVGPRsForWavesPerEU: 18
; AccumOffset: 20
; Occupancy: 8
; WaveLimiterHint : 0
; COMPUTE_PGM_RSRC2:SCRATCH_EN: 0
; COMPUTE_PGM_RSRC2:USER_SGPR: 2
; COMPUTE_PGM_RSRC2:TRAP_HANDLER: 0
; COMPUTE_PGM_RSRC2:TGID_X_EN: 1
; COMPUTE_PGM_RSRC2:TGID_Y_EN: 0
; COMPUTE_PGM_RSRC2:TGID_Z_EN: 0
; COMPUTE_PGM_RSRC2:TIDIG_COMP_CNT: 0
; COMPUTE_PGM_RSRC3_GFX90A:ACCUM_OFFSET: 4
; COMPUTE_PGM_RSRC3_GFX90A:TG_SPLIT: 0
	.section	.text._ZN7rocprim17ROCPRIM_400000_NS6detail17trampoline_kernelINS0_14default_configENS1_38merge_sort_block_merge_config_selectorIffEEZZNS1_27merge_sort_block_merge_implIS3_N6thrust23THRUST_200600_302600_NS6detail15normal_iteratorINS8_10device_ptrIfEEEESD_jNS1_19radix_merge_compareILb0ELb0EfNS0_19identity_decomposerEEEEE10hipError_tT0_T1_T2_jT3_P12ihipStream_tbPNSt15iterator_traitsISI_E10value_typeEPNSO_ISJ_E10value_typeEPSK_NS1_7vsmem_tEENKUlT_SI_SJ_SK_E_clISD_PfSD_S10_EESH_SX_SI_SJ_SK_EUlSX_E_NS1_11comp_targetILNS1_3genE10ELNS1_11target_archE1201ELNS1_3gpuE5ELNS1_3repE0EEENS1_48merge_mergepath_partition_config_static_selectorELNS0_4arch9wavefront6targetE1EEEvSJ_,"axG",@progbits,_ZN7rocprim17ROCPRIM_400000_NS6detail17trampoline_kernelINS0_14default_configENS1_38merge_sort_block_merge_config_selectorIffEEZZNS1_27merge_sort_block_merge_implIS3_N6thrust23THRUST_200600_302600_NS6detail15normal_iteratorINS8_10device_ptrIfEEEESD_jNS1_19radix_merge_compareILb0ELb0EfNS0_19identity_decomposerEEEEE10hipError_tT0_T1_T2_jT3_P12ihipStream_tbPNSt15iterator_traitsISI_E10value_typeEPNSO_ISJ_E10value_typeEPSK_NS1_7vsmem_tEENKUlT_SI_SJ_SK_E_clISD_PfSD_S10_EESH_SX_SI_SJ_SK_EUlSX_E_NS1_11comp_targetILNS1_3genE10ELNS1_11target_archE1201ELNS1_3gpuE5ELNS1_3repE0EEENS1_48merge_mergepath_partition_config_static_selectorELNS0_4arch9wavefront6targetE1EEEvSJ_,comdat
	.protected	_ZN7rocprim17ROCPRIM_400000_NS6detail17trampoline_kernelINS0_14default_configENS1_38merge_sort_block_merge_config_selectorIffEEZZNS1_27merge_sort_block_merge_implIS3_N6thrust23THRUST_200600_302600_NS6detail15normal_iteratorINS8_10device_ptrIfEEEESD_jNS1_19radix_merge_compareILb0ELb0EfNS0_19identity_decomposerEEEEE10hipError_tT0_T1_T2_jT3_P12ihipStream_tbPNSt15iterator_traitsISI_E10value_typeEPNSO_ISJ_E10value_typeEPSK_NS1_7vsmem_tEENKUlT_SI_SJ_SK_E_clISD_PfSD_S10_EESH_SX_SI_SJ_SK_EUlSX_E_NS1_11comp_targetILNS1_3genE10ELNS1_11target_archE1201ELNS1_3gpuE5ELNS1_3repE0EEENS1_48merge_mergepath_partition_config_static_selectorELNS0_4arch9wavefront6targetE1EEEvSJ_ ; -- Begin function _ZN7rocprim17ROCPRIM_400000_NS6detail17trampoline_kernelINS0_14default_configENS1_38merge_sort_block_merge_config_selectorIffEEZZNS1_27merge_sort_block_merge_implIS3_N6thrust23THRUST_200600_302600_NS6detail15normal_iteratorINS8_10device_ptrIfEEEESD_jNS1_19radix_merge_compareILb0ELb0EfNS0_19identity_decomposerEEEEE10hipError_tT0_T1_T2_jT3_P12ihipStream_tbPNSt15iterator_traitsISI_E10value_typeEPNSO_ISJ_E10value_typeEPSK_NS1_7vsmem_tEENKUlT_SI_SJ_SK_E_clISD_PfSD_S10_EESH_SX_SI_SJ_SK_EUlSX_E_NS1_11comp_targetILNS1_3genE10ELNS1_11target_archE1201ELNS1_3gpuE5ELNS1_3repE0EEENS1_48merge_mergepath_partition_config_static_selectorELNS0_4arch9wavefront6targetE1EEEvSJ_
	.globl	_ZN7rocprim17ROCPRIM_400000_NS6detail17trampoline_kernelINS0_14default_configENS1_38merge_sort_block_merge_config_selectorIffEEZZNS1_27merge_sort_block_merge_implIS3_N6thrust23THRUST_200600_302600_NS6detail15normal_iteratorINS8_10device_ptrIfEEEESD_jNS1_19radix_merge_compareILb0ELb0EfNS0_19identity_decomposerEEEEE10hipError_tT0_T1_T2_jT3_P12ihipStream_tbPNSt15iterator_traitsISI_E10value_typeEPNSO_ISJ_E10value_typeEPSK_NS1_7vsmem_tEENKUlT_SI_SJ_SK_E_clISD_PfSD_S10_EESH_SX_SI_SJ_SK_EUlSX_E_NS1_11comp_targetILNS1_3genE10ELNS1_11target_archE1201ELNS1_3gpuE5ELNS1_3repE0EEENS1_48merge_mergepath_partition_config_static_selectorELNS0_4arch9wavefront6targetE1EEEvSJ_
	.p2align	8
	.type	_ZN7rocprim17ROCPRIM_400000_NS6detail17trampoline_kernelINS0_14default_configENS1_38merge_sort_block_merge_config_selectorIffEEZZNS1_27merge_sort_block_merge_implIS3_N6thrust23THRUST_200600_302600_NS6detail15normal_iteratorINS8_10device_ptrIfEEEESD_jNS1_19radix_merge_compareILb0ELb0EfNS0_19identity_decomposerEEEEE10hipError_tT0_T1_T2_jT3_P12ihipStream_tbPNSt15iterator_traitsISI_E10value_typeEPNSO_ISJ_E10value_typeEPSK_NS1_7vsmem_tEENKUlT_SI_SJ_SK_E_clISD_PfSD_S10_EESH_SX_SI_SJ_SK_EUlSX_E_NS1_11comp_targetILNS1_3genE10ELNS1_11target_archE1201ELNS1_3gpuE5ELNS1_3repE0EEENS1_48merge_mergepath_partition_config_static_selectorELNS0_4arch9wavefront6targetE1EEEvSJ_,@function
_ZN7rocprim17ROCPRIM_400000_NS6detail17trampoline_kernelINS0_14default_configENS1_38merge_sort_block_merge_config_selectorIffEEZZNS1_27merge_sort_block_merge_implIS3_N6thrust23THRUST_200600_302600_NS6detail15normal_iteratorINS8_10device_ptrIfEEEESD_jNS1_19radix_merge_compareILb0ELb0EfNS0_19identity_decomposerEEEEE10hipError_tT0_T1_T2_jT3_P12ihipStream_tbPNSt15iterator_traitsISI_E10value_typeEPNSO_ISJ_E10value_typeEPSK_NS1_7vsmem_tEENKUlT_SI_SJ_SK_E_clISD_PfSD_S10_EESH_SX_SI_SJ_SK_EUlSX_E_NS1_11comp_targetILNS1_3genE10ELNS1_11target_archE1201ELNS1_3gpuE5ELNS1_3repE0EEENS1_48merge_mergepath_partition_config_static_selectorELNS0_4arch9wavefront6targetE1EEEvSJ_: ; @_ZN7rocprim17ROCPRIM_400000_NS6detail17trampoline_kernelINS0_14default_configENS1_38merge_sort_block_merge_config_selectorIffEEZZNS1_27merge_sort_block_merge_implIS3_N6thrust23THRUST_200600_302600_NS6detail15normal_iteratorINS8_10device_ptrIfEEEESD_jNS1_19radix_merge_compareILb0ELb0EfNS0_19identity_decomposerEEEEE10hipError_tT0_T1_T2_jT3_P12ihipStream_tbPNSt15iterator_traitsISI_E10value_typeEPNSO_ISJ_E10value_typeEPSK_NS1_7vsmem_tEENKUlT_SI_SJ_SK_E_clISD_PfSD_S10_EESH_SX_SI_SJ_SK_EUlSX_E_NS1_11comp_targetILNS1_3genE10ELNS1_11target_archE1201ELNS1_3gpuE5ELNS1_3repE0EEENS1_48merge_mergepath_partition_config_static_selectorELNS0_4arch9wavefront6targetE1EEEvSJ_
; %bb.0:
	.section	.rodata,"a",@progbits
	.p2align	6, 0x0
	.amdhsa_kernel _ZN7rocprim17ROCPRIM_400000_NS6detail17trampoline_kernelINS0_14default_configENS1_38merge_sort_block_merge_config_selectorIffEEZZNS1_27merge_sort_block_merge_implIS3_N6thrust23THRUST_200600_302600_NS6detail15normal_iteratorINS8_10device_ptrIfEEEESD_jNS1_19radix_merge_compareILb0ELb0EfNS0_19identity_decomposerEEEEE10hipError_tT0_T1_T2_jT3_P12ihipStream_tbPNSt15iterator_traitsISI_E10value_typeEPNSO_ISJ_E10value_typeEPSK_NS1_7vsmem_tEENKUlT_SI_SJ_SK_E_clISD_PfSD_S10_EESH_SX_SI_SJ_SK_EUlSX_E_NS1_11comp_targetILNS1_3genE10ELNS1_11target_archE1201ELNS1_3gpuE5ELNS1_3repE0EEENS1_48merge_mergepath_partition_config_static_selectorELNS0_4arch9wavefront6targetE1EEEvSJ_
		.amdhsa_group_segment_fixed_size 0
		.amdhsa_private_segment_fixed_size 0
		.amdhsa_kernarg_size 40
		.amdhsa_user_sgpr_count 2
		.amdhsa_user_sgpr_dispatch_ptr 0
		.amdhsa_user_sgpr_queue_ptr 0
		.amdhsa_user_sgpr_kernarg_segment_ptr 1
		.amdhsa_user_sgpr_dispatch_id 0
		.amdhsa_user_sgpr_kernarg_preload_length 0
		.amdhsa_user_sgpr_kernarg_preload_offset 0
		.amdhsa_user_sgpr_private_segment_size 0
		.amdhsa_uses_dynamic_stack 0
		.amdhsa_enable_private_segment 0
		.amdhsa_system_sgpr_workgroup_id_x 1
		.amdhsa_system_sgpr_workgroup_id_y 0
		.amdhsa_system_sgpr_workgroup_id_z 0
		.amdhsa_system_sgpr_workgroup_info 0
		.amdhsa_system_vgpr_workitem_id 0
		.amdhsa_next_free_vgpr 1
		.amdhsa_next_free_sgpr 0
		.amdhsa_accum_offset 4
		.amdhsa_reserve_vcc 0
		.amdhsa_float_round_mode_32 0
		.amdhsa_float_round_mode_16_64 0
		.amdhsa_float_denorm_mode_32 3
		.amdhsa_float_denorm_mode_16_64 3
		.amdhsa_dx10_clamp 1
		.amdhsa_ieee_mode 1
		.amdhsa_fp16_overflow 0
		.amdhsa_tg_split 0
		.amdhsa_exception_fp_ieee_invalid_op 0
		.amdhsa_exception_fp_denorm_src 0
		.amdhsa_exception_fp_ieee_div_zero 0
		.amdhsa_exception_fp_ieee_overflow 0
		.amdhsa_exception_fp_ieee_underflow 0
		.amdhsa_exception_fp_ieee_inexact 0
		.amdhsa_exception_int_div_zero 0
	.end_amdhsa_kernel
	.section	.text._ZN7rocprim17ROCPRIM_400000_NS6detail17trampoline_kernelINS0_14default_configENS1_38merge_sort_block_merge_config_selectorIffEEZZNS1_27merge_sort_block_merge_implIS3_N6thrust23THRUST_200600_302600_NS6detail15normal_iteratorINS8_10device_ptrIfEEEESD_jNS1_19radix_merge_compareILb0ELb0EfNS0_19identity_decomposerEEEEE10hipError_tT0_T1_T2_jT3_P12ihipStream_tbPNSt15iterator_traitsISI_E10value_typeEPNSO_ISJ_E10value_typeEPSK_NS1_7vsmem_tEENKUlT_SI_SJ_SK_E_clISD_PfSD_S10_EESH_SX_SI_SJ_SK_EUlSX_E_NS1_11comp_targetILNS1_3genE10ELNS1_11target_archE1201ELNS1_3gpuE5ELNS1_3repE0EEENS1_48merge_mergepath_partition_config_static_selectorELNS0_4arch9wavefront6targetE1EEEvSJ_,"axG",@progbits,_ZN7rocprim17ROCPRIM_400000_NS6detail17trampoline_kernelINS0_14default_configENS1_38merge_sort_block_merge_config_selectorIffEEZZNS1_27merge_sort_block_merge_implIS3_N6thrust23THRUST_200600_302600_NS6detail15normal_iteratorINS8_10device_ptrIfEEEESD_jNS1_19radix_merge_compareILb0ELb0EfNS0_19identity_decomposerEEEEE10hipError_tT0_T1_T2_jT3_P12ihipStream_tbPNSt15iterator_traitsISI_E10value_typeEPNSO_ISJ_E10value_typeEPSK_NS1_7vsmem_tEENKUlT_SI_SJ_SK_E_clISD_PfSD_S10_EESH_SX_SI_SJ_SK_EUlSX_E_NS1_11comp_targetILNS1_3genE10ELNS1_11target_archE1201ELNS1_3gpuE5ELNS1_3repE0EEENS1_48merge_mergepath_partition_config_static_selectorELNS0_4arch9wavefront6targetE1EEEvSJ_,comdat
.Lfunc_end246:
	.size	_ZN7rocprim17ROCPRIM_400000_NS6detail17trampoline_kernelINS0_14default_configENS1_38merge_sort_block_merge_config_selectorIffEEZZNS1_27merge_sort_block_merge_implIS3_N6thrust23THRUST_200600_302600_NS6detail15normal_iteratorINS8_10device_ptrIfEEEESD_jNS1_19radix_merge_compareILb0ELb0EfNS0_19identity_decomposerEEEEE10hipError_tT0_T1_T2_jT3_P12ihipStream_tbPNSt15iterator_traitsISI_E10value_typeEPNSO_ISJ_E10value_typeEPSK_NS1_7vsmem_tEENKUlT_SI_SJ_SK_E_clISD_PfSD_S10_EESH_SX_SI_SJ_SK_EUlSX_E_NS1_11comp_targetILNS1_3genE10ELNS1_11target_archE1201ELNS1_3gpuE5ELNS1_3repE0EEENS1_48merge_mergepath_partition_config_static_selectorELNS0_4arch9wavefront6targetE1EEEvSJ_, .Lfunc_end246-_ZN7rocprim17ROCPRIM_400000_NS6detail17trampoline_kernelINS0_14default_configENS1_38merge_sort_block_merge_config_selectorIffEEZZNS1_27merge_sort_block_merge_implIS3_N6thrust23THRUST_200600_302600_NS6detail15normal_iteratorINS8_10device_ptrIfEEEESD_jNS1_19radix_merge_compareILb0ELb0EfNS0_19identity_decomposerEEEEE10hipError_tT0_T1_T2_jT3_P12ihipStream_tbPNSt15iterator_traitsISI_E10value_typeEPNSO_ISJ_E10value_typeEPSK_NS1_7vsmem_tEENKUlT_SI_SJ_SK_E_clISD_PfSD_S10_EESH_SX_SI_SJ_SK_EUlSX_E_NS1_11comp_targetILNS1_3genE10ELNS1_11target_archE1201ELNS1_3gpuE5ELNS1_3repE0EEENS1_48merge_mergepath_partition_config_static_selectorELNS0_4arch9wavefront6targetE1EEEvSJ_
                                        ; -- End function
	.set _ZN7rocprim17ROCPRIM_400000_NS6detail17trampoline_kernelINS0_14default_configENS1_38merge_sort_block_merge_config_selectorIffEEZZNS1_27merge_sort_block_merge_implIS3_N6thrust23THRUST_200600_302600_NS6detail15normal_iteratorINS8_10device_ptrIfEEEESD_jNS1_19radix_merge_compareILb0ELb0EfNS0_19identity_decomposerEEEEE10hipError_tT0_T1_T2_jT3_P12ihipStream_tbPNSt15iterator_traitsISI_E10value_typeEPNSO_ISJ_E10value_typeEPSK_NS1_7vsmem_tEENKUlT_SI_SJ_SK_E_clISD_PfSD_S10_EESH_SX_SI_SJ_SK_EUlSX_E_NS1_11comp_targetILNS1_3genE10ELNS1_11target_archE1201ELNS1_3gpuE5ELNS1_3repE0EEENS1_48merge_mergepath_partition_config_static_selectorELNS0_4arch9wavefront6targetE1EEEvSJ_.num_vgpr, 0
	.set _ZN7rocprim17ROCPRIM_400000_NS6detail17trampoline_kernelINS0_14default_configENS1_38merge_sort_block_merge_config_selectorIffEEZZNS1_27merge_sort_block_merge_implIS3_N6thrust23THRUST_200600_302600_NS6detail15normal_iteratorINS8_10device_ptrIfEEEESD_jNS1_19radix_merge_compareILb0ELb0EfNS0_19identity_decomposerEEEEE10hipError_tT0_T1_T2_jT3_P12ihipStream_tbPNSt15iterator_traitsISI_E10value_typeEPNSO_ISJ_E10value_typeEPSK_NS1_7vsmem_tEENKUlT_SI_SJ_SK_E_clISD_PfSD_S10_EESH_SX_SI_SJ_SK_EUlSX_E_NS1_11comp_targetILNS1_3genE10ELNS1_11target_archE1201ELNS1_3gpuE5ELNS1_3repE0EEENS1_48merge_mergepath_partition_config_static_selectorELNS0_4arch9wavefront6targetE1EEEvSJ_.num_agpr, 0
	.set _ZN7rocprim17ROCPRIM_400000_NS6detail17trampoline_kernelINS0_14default_configENS1_38merge_sort_block_merge_config_selectorIffEEZZNS1_27merge_sort_block_merge_implIS3_N6thrust23THRUST_200600_302600_NS6detail15normal_iteratorINS8_10device_ptrIfEEEESD_jNS1_19radix_merge_compareILb0ELb0EfNS0_19identity_decomposerEEEEE10hipError_tT0_T1_T2_jT3_P12ihipStream_tbPNSt15iterator_traitsISI_E10value_typeEPNSO_ISJ_E10value_typeEPSK_NS1_7vsmem_tEENKUlT_SI_SJ_SK_E_clISD_PfSD_S10_EESH_SX_SI_SJ_SK_EUlSX_E_NS1_11comp_targetILNS1_3genE10ELNS1_11target_archE1201ELNS1_3gpuE5ELNS1_3repE0EEENS1_48merge_mergepath_partition_config_static_selectorELNS0_4arch9wavefront6targetE1EEEvSJ_.numbered_sgpr, 0
	.set _ZN7rocprim17ROCPRIM_400000_NS6detail17trampoline_kernelINS0_14default_configENS1_38merge_sort_block_merge_config_selectorIffEEZZNS1_27merge_sort_block_merge_implIS3_N6thrust23THRUST_200600_302600_NS6detail15normal_iteratorINS8_10device_ptrIfEEEESD_jNS1_19radix_merge_compareILb0ELb0EfNS0_19identity_decomposerEEEEE10hipError_tT0_T1_T2_jT3_P12ihipStream_tbPNSt15iterator_traitsISI_E10value_typeEPNSO_ISJ_E10value_typeEPSK_NS1_7vsmem_tEENKUlT_SI_SJ_SK_E_clISD_PfSD_S10_EESH_SX_SI_SJ_SK_EUlSX_E_NS1_11comp_targetILNS1_3genE10ELNS1_11target_archE1201ELNS1_3gpuE5ELNS1_3repE0EEENS1_48merge_mergepath_partition_config_static_selectorELNS0_4arch9wavefront6targetE1EEEvSJ_.num_named_barrier, 0
	.set _ZN7rocprim17ROCPRIM_400000_NS6detail17trampoline_kernelINS0_14default_configENS1_38merge_sort_block_merge_config_selectorIffEEZZNS1_27merge_sort_block_merge_implIS3_N6thrust23THRUST_200600_302600_NS6detail15normal_iteratorINS8_10device_ptrIfEEEESD_jNS1_19radix_merge_compareILb0ELb0EfNS0_19identity_decomposerEEEEE10hipError_tT0_T1_T2_jT3_P12ihipStream_tbPNSt15iterator_traitsISI_E10value_typeEPNSO_ISJ_E10value_typeEPSK_NS1_7vsmem_tEENKUlT_SI_SJ_SK_E_clISD_PfSD_S10_EESH_SX_SI_SJ_SK_EUlSX_E_NS1_11comp_targetILNS1_3genE10ELNS1_11target_archE1201ELNS1_3gpuE5ELNS1_3repE0EEENS1_48merge_mergepath_partition_config_static_selectorELNS0_4arch9wavefront6targetE1EEEvSJ_.private_seg_size, 0
	.set _ZN7rocprim17ROCPRIM_400000_NS6detail17trampoline_kernelINS0_14default_configENS1_38merge_sort_block_merge_config_selectorIffEEZZNS1_27merge_sort_block_merge_implIS3_N6thrust23THRUST_200600_302600_NS6detail15normal_iteratorINS8_10device_ptrIfEEEESD_jNS1_19radix_merge_compareILb0ELb0EfNS0_19identity_decomposerEEEEE10hipError_tT0_T1_T2_jT3_P12ihipStream_tbPNSt15iterator_traitsISI_E10value_typeEPNSO_ISJ_E10value_typeEPSK_NS1_7vsmem_tEENKUlT_SI_SJ_SK_E_clISD_PfSD_S10_EESH_SX_SI_SJ_SK_EUlSX_E_NS1_11comp_targetILNS1_3genE10ELNS1_11target_archE1201ELNS1_3gpuE5ELNS1_3repE0EEENS1_48merge_mergepath_partition_config_static_selectorELNS0_4arch9wavefront6targetE1EEEvSJ_.uses_vcc, 0
	.set _ZN7rocprim17ROCPRIM_400000_NS6detail17trampoline_kernelINS0_14default_configENS1_38merge_sort_block_merge_config_selectorIffEEZZNS1_27merge_sort_block_merge_implIS3_N6thrust23THRUST_200600_302600_NS6detail15normal_iteratorINS8_10device_ptrIfEEEESD_jNS1_19radix_merge_compareILb0ELb0EfNS0_19identity_decomposerEEEEE10hipError_tT0_T1_T2_jT3_P12ihipStream_tbPNSt15iterator_traitsISI_E10value_typeEPNSO_ISJ_E10value_typeEPSK_NS1_7vsmem_tEENKUlT_SI_SJ_SK_E_clISD_PfSD_S10_EESH_SX_SI_SJ_SK_EUlSX_E_NS1_11comp_targetILNS1_3genE10ELNS1_11target_archE1201ELNS1_3gpuE5ELNS1_3repE0EEENS1_48merge_mergepath_partition_config_static_selectorELNS0_4arch9wavefront6targetE1EEEvSJ_.uses_flat_scratch, 0
	.set _ZN7rocprim17ROCPRIM_400000_NS6detail17trampoline_kernelINS0_14default_configENS1_38merge_sort_block_merge_config_selectorIffEEZZNS1_27merge_sort_block_merge_implIS3_N6thrust23THRUST_200600_302600_NS6detail15normal_iteratorINS8_10device_ptrIfEEEESD_jNS1_19radix_merge_compareILb0ELb0EfNS0_19identity_decomposerEEEEE10hipError_tT0_T1_T2_jT3_P12ihipStream_tbPNSt15iterator_traitsISI_E10value_typeEPNSO_ISJ_E10value_typeEPSK_NS1_7vsmem_tEENKUlT_SI_SJ_SK_E_clISD_PfSD_S10_EESH_SX_SI_SJ_SK_EUlSX_E_NS1_11comp_targetILNS1_3genE10ELNS1_11target_archE1201ELNS1_3gpuE5ELNS1_3repE0EEENS1_48merge_mergepath_partition_config_static_selectorELNS0_4arch9wavefront6targetE1EEEvSJ_.has_dyn_sized_stack, 0
	.set _ZN7rocprim17ROCPRIM_400000_NS6detail17trampoline_kernelINS0_14default_configENS1_38merge_sort_block_merge_config_selectorIffEEZZNS1_27merge_sort_block_merge_implIS3_N6thrust23THRUST_200600_302600_NS6detail15normal_iteratorINS8_10device_ptrIfEEEESD_jNS1_19radix_merge_compareILb0ELb0EfNS0_19identity_decomposerEEEEE10hipError_tT0_T1_T2_jT3_P12ihipStream_tbPNSt15iterator_traitsISI_E10value_typeEPNSO_ISJ_E10value_typeEPSK_NS1_7vsmem_tEENKUlT_SI_SJ_SK_E_clISD_PfSD_S10_EESH_SX_SI_SJ_SK_EUlSX_E_NS1_11comp_targetILNS1_3genE10ELNS1_11target_archE1201ELNS1_3gpuE5ELNS1_3repE0EEENS1_48merge_mergepath_partition_config_static_selectorELNS0_4arch9wavefront6targetE1EEEvSJ_.has_recursion, 0
	.set _ZN7rocprim17ROCPRIM_400000_NS6detail17trampoline_kernelINS0_14default_configENS1_38merge_sort_block_merge_config_selectorIffEEZZNS1_27merge_sort_block_merge_implIS3_N6thrust23THRUST_200600_302600_NS6detail15normal_iteratorINS8_10device_ptrIfEEEESD_jNS1_19radix_merge_compareILb0ELb0EfNS0_19identity_decomposerEEEEE10hipError_tT0_T1_T2_jT3_P12ihipStream_tbPNSt15iterator_traitsISI_E10value_typeEPNSO_ISJ_E10value_typeEPSK_NS1_7vsmem_tEENKUlT_SI_SJ_SK_E_clISD_PfSD_S10_EESH_SX_SI_SJ_SK_EUlSX_E_NS1_11comp_targetILNS1_3genE10ELNS1_11target_archE1201ELNS1_3gpuE5ELNS1_3repE0EEENS1_48merge_mergepath_partition_config_static_selectorELNS0_4arch9wavefront6targetE1EEEvSJ_.has_indirect_call, 0
	.section	.AMDGPU.csdata,"",@progbits
; Kernel info:
; codeLenInByte = 0
; TotalNumSgprs: 6
; NumVgprs: 0
; NumAgprs: 0
; TotalNumVgprs: 0
; ScratchSize: 0
; MemoryBound: 0
; FloatMode: 240
; IeeeMode: 1
; LDSByteSize: 0 bytes/workgroup (compile time only)
; SGPRBlocks: 0
; VGPRBlocks: 0
; NumSGPRsForWavesPerEU: 6
; NumVGPRsForWavesPerEU: 1
; AccumOffset: 4
; Occupancy: 8
; WaveLimiterHint : 0
; COMPUTE_PGM_RSRC2:SCRATCH_EN: 0
; COMPUTE_PGM_RSRC2:USER_SGPR: 2
; COMPUTE_PGM_RSRC2:TRAP_HANDLER: 0
; COMPUTE_PGM_RSRC2:TGID_X_EN: 1
; COMPUTE_PGM_RSRC2:TGID_Y_EN: 0
; COMPUTE_PGM_RSRC2:TGID_Z_EN: 0
; COMPUTE_PGM_RSRC2:TIDIG_COMP_CNT: 0
; COMPUTE_PGM_RSRC3_GFX90A:ACCUM_OFFSET: 0
; COMPUTE_PGM_RSRC3_GFX90A:TG_SPLIT: 0
	.section	.text._ZN7rocprim17ROCPRIM_400000_NS6detail17trampoline_kernelINS0_14default_configENS1_38merge_sort_block_merge_config_selectorIffEEZZNS1_27merge_sort_block_merge_implIS3_N6thrust23THRUST_200600_302600_NS6detail15normal_iteratorINS8_10device_ptrIfEEEESD_jNS1_19radix_merge_compareILb0ELb0EfNS0_19identity_decomposerEEEEE10hipError_tT0_T1_T2_jT3_P12ihipStream_tbPNSt15iterator_traitsISI_E10value_typeEPNSO_ISJ_E10value_typeEPSK_NS1_7vsmem_tEENKUlT_SI_SJ_SK_E_clISD_PfSD_S10_EESH_SX_SI_SJ_SK_EUlSX_E_NS1_11comp_targetILNS1_3genE5ELNS1_11target_archE942ELNS1_3gpuE9ELNS1_3repE0EEENS1_48merge_mergepath_partition_config_static_selectorELNS0_4arch9wavefront6targetE1EEEvSJ_,"axG",@progbits,_ZN7rocprim17ROCPRIM_400000_NS6detail17trampoline_kernelINS0_14default_configENS1_38merge_sort_block_merge_config_selectorIffEEZZNS1_27merge_sort_block_merge_implIS3_N6thrust23THRUST_200600_302600_NS6detail15normal_iteratorINS8_10device_ptrIfEEEESD_jNS1_19radix_merge_compareILb0ELb0EfNS0_19identity_decomposerEEEEE10hipError_tT0_T1_T2_jT3_P12ihipStream_tbPNSt15iterator_traitsISI_E10value_typeEPNSO_ISJ_E10value_typeEPSK_NS1_7vsmem_tEENKUlT_SI_SJ_SK_E_clISD_PfSD_S10_EESH_SX_SI_SJ_SK_EUlSX_E_NS1_11comp_targetILNS1_3genE5ELNS1_11target_archE942ELNS1_3gpuE9ELNS1_3repE0EEENS1_48merge_mergepath_partition_config_static_selectorELNS0_4arch9wavefront6targetE1EEEvSJ_,comdat
	.protected	_ZN7rocprim17ROCPRIM_400000_NS6detail17trampoline_kernelINS0_14default_configENS1_38merge_sort_block_merge_config_selectorIffEEZZNS1_27merge_sort_block_merge_implIS3_N6thrust23THRUST_200600_302600_NS6detail15normal_iteratorINS8_10device_ptrIfEEEESD_jNS1_19radix_merge_compareILb0ELb0EfNS0_19identity_decomposerEEEEE10hipError_tT0_T1_T2_jT3_P12ihipStream_tbPNSt15iterator_traitsISI_E10value_typeEPNSO_ISJ_E10value_typeEPSK_NS1_7vsmem_tEENKUlT_SI_SJ_SK_E_clISD_PfSD_S10_EESH_SX_SI_SJ_SK_EUlSX_E_NS1_11comp_targetILNS1_3genE5ELNS1_11target_archE942ELNS1_3gpuE9ELNS1_3repE0EEENS1_48merge_mergepath_partition_config_static_selectorELNS0_4arch9wavefront6targetE1EEEvSJ_ ; -- Begin function _ZN7rocprim17ROCPRIM_400000_NS6detail17trampoline_kernelINS0_14default_configENS1_38merge_sort_block_merge_config_selectorIffEEZZNS1_27merge_sort_block_merge_implIS3_N6thrust23THRUST_200600_302600_NS6detail15normal_iteratorINS8_10device_ptrIfEEEESD_jNS1_19radix_merge_compareILb0ELb0EfNS0_19identity_decomposerEEEEE10hipError_tT0_T1_T2_jT3_P12ihipStream_tbPNSt15iterator_traitsISI_E10value_typeEPNSO_ISJ_E10value_typeEPSK_NS1_7vsmem_tEENKUlT_SI_SJ_SK_E_clISD_PfSD_S10_EESH_SX_SI_SJ_SK_EUlSX_E_NS1_11comp_targetILNS1_3genE5ELNS1_11target_archE942ELNS1_3gpuE9ELNS1_3repE0EEENS1_48merge_mergepath_partition_config_static_selectorELNS0_4arch9wavefront6targetE1EEEvSJ_
	.globl	_ZN7rocprim17ROCPRIM_400000_NS6detail17trampoline_kernelINS0_14default_configENS1_38merge_sort_block_merge_config_selectorIffEEZZNS1_27merge_sort_block_merge_implIS3_N6thrust23THRUST_200600_302600_NS6detail15normal_iteratorINS8_10device_ptrIfEEEESD_jNS1_19radix_merge_compareILb0ELb0EfNS0_19identity_decomposerEEEEE10hipError_tT0_T1_T2_jT3_P12ihipStream_tbPNSt15iterator_traitsISI_E10value_typeEPNSO_ISJ_E10value_typeEPSK_NS1_7vsmem_tEENKUlT_SI_SJ_SK_E_clISD_PfSD_S10_EESH_SX_SI_SJ_SK_EUlSX_E_NS1_11comp_targetILNS1_3genE5ELNS1_11target_archE942ELNS1_3gpuE9ELNS1_3repE0EEENS1_48merge_mergepath_partition_config_static_selectorELNS0_4arch9wavefront6targetE1EEEvSJ_
	.p2align	8
	.type	_ZN7rocprim17ROCPRIM_400000_NS6detail17trampoline_kernelINS0_14default_configENS1_38merge_sort_block_merge_config_selectorIffEEZZNS1_27merge_sort_block_merge_implIS3_N6thrust23THRUST_200600_302600_NS6detail15normal_iteratorINS8_10device_ptrIfEEEESD_jNS1_19radix_merge_compareILb0ELb0EfNS0_19identity_decomposerEEEEE10hipError_tT0_T1_T2_jT3_P12ihipStream_tbPNSt15iterator_traitsISI_E10value_typeEPNSO_ISJ_E10value_typeEPSK_NS1_7vsmem_tEENKUlT_SI_SJ_SK_E_clISD_PfSD_S10_EESH_SX_SI_SJ_SK_EUlSX_E_NS1_11comp_targetILNS1_3genE5ELNS1_11target_archE942ELNS1_3gpuE9ELNS1_3repE0EEENS1_48merge_mergepath_partition_config_static_selectorELNS0_4arch9wavefront6targetE1EEEvSJ_,@function
_ZN7rocprim17ROCPRIM_400000_NS6detail17trampoline_kernelINS0_14default_configENS1_38merge_sort_block_merge_config_selectorIffEEZZNS1_27merge_sort_block_merge_implIS3_N6thrust23THRUST_200600_302600_NS6detail15normal_iteratorINS8_10device_ptrIfEEEESD_jNS1_19radix_merge_compareILb0ELb0EfNS0_19identity_decomposerEEEEE10hipError_tT0_T1_T2_jT3_P12ihipStream_tbPNSt15iterator_traitsISI_E10value_typeEPNSO_ISJ_E10value_typeEPSK_NS1_7vsmem_tEENKUlT_SI_SJ_SK_E_clISD_PfSD_S10_EESH_SX_SI_SJ_SK_EUlSX_E_NS1_11comp_targetILNS1_3genE5ELNS1_11target_archE942ELNS1_3gpuE9ELNS1_3repE0EEENS1_48merge_mergepath_partition_config_static_selectorELNS0_4arch9wavefront6targetE1EEEvSJ_: ; @_ZN7rocprim17ROCPRIM_400000_NS6detail17trampoline_kernelINS0_14default_configENS1_38merge_sort_block_merge_config_selectorIffEEZZNS1_27merge_sort_block_merge_implIS3_N6thrust23THRUST_200600_302600_NS6detail15normal_iteratorINS8_10device_ptrIfEEEESD_jNS1_19radix_merge_compareILb0ELb0EfNS0_19identity_decomposerEEEEE10hipError_tT0_T1_T2_jT3_P12ihipStream_tbPNSt15iterator_traitsISI_E10value_typeEPNSO_ISJ_E10value_typeEPSK_NS1_7vsmem_tEENKUlT_SI_SJ_SK_E_clISD_PfSD_S10_EESH_SX_SI_SJ_SK_EUlSX_E_NS1_11comp_targetILNS1_3genE5ELNS1_11target_archE942ELNS1_3gpuE9ELNS1_3repE0EEENS1_48merge_mergepath_partition_config_static_selectorELNS0_4arch9wavefront6targetE1EEEvSJ_
; %bb.0:
	.section	.rodata,"a",@progbits
	.p2align	6, 0x0
	.amdhsa_kernel _ZN7rocprim17ROCPRIM_400000_NS6detail17trampoline_kernelINS0_14default_configENS1_38merge_sort_block_merge_config_selectorIffEEZZNS1_27merge_sort_block_merge_implIS3_N6thrust23THRUST_200600_302600_NS6detail15normal_iteratorINS8_10device_ptrIfEEEESD_jNS1_19radix_merge_compareILb0ELb0EfNS0_19identity_decomposerEEEEE10hipError_tT0_T1_T2_jT3_P12ihipStream_tbPNSt15iterator_traitsISI_E10value_typeEPNSO_ISJ_E10value_typeEPSK_NS1_7vsmem_tEENKUlT_SI_SJ_SK_E_clISD_PfSD_S10_EESH_SX_SI_SJ_SK_EUlSX_E_NS1_11comp_targetILNS1_3genE5ELNS1_11target_archE942ELNS1_3gpuE9ELNS1_3repE0EEENS1_48merge_mergepath_partition_config_static_selectorELNS0_4arch9wavefront6targetE1EEEvSJ_
		.amdhsa_group_segment_fixed_size 0
		.amdhsa_private_segment_fixed_size 0
		.amdhsa_kernarg_size 40
		.amdhsa_user_sgpr_count 2
		.amdhsa_user_sgpr_dispatch_ptr 0
		.amdhsa_user_sgpr_queue_ptr 0
		.amdhsa_user_sgpr_kernarg_segment_ptr 1
		.amdhsa_user_sgpr_dispatch_id 0
		.amdhsa_user_sgpr_kernarg_preload_length 0
		.amdhsa_user_sgpr_kernarg_preload_offset 0
		.amdhsa_user_sgpr_private_segment_size 0
		.amdhsa_uses_dynamic_stack 0
		.amdhsa_enable_private_segment 0
		.amdhsa_system_sgpr_workgroup_id_x 1
		.amdhsa_system_sgpr_workgroup_id_y 0
		.amdhsa_system_sgpr_workgroup_id_z 0
		.amdhsa_system_sgpr_workgroup_info 0
		.amdhsa_system_vgpr_workitem_id 0
		.amdhsa_next_free_vgpr 1
		.amdhsa_next_free_sgpr 0
		.amdhsa_accum_offset 4
		.amdhsa_reserve_vcc 0
		.amdhsa_float_round_mode_32 0
		.amdhsa_float_round_mode_16_64 0
		.amdhsa_float_denorm_mode_32 3
		.amdhsa_float_denorm_mode_16_64 3
		.amdhsa_dx10_clamp 1
		.amdhsa_ieee_mode 1
		.amdhsa_fp16_overflow 0
		.amdhsa_tg_split 0
		.amdhsa_exception_fp_ieee_invalid_op 0
		.amdhsa_exception_fp_denorm_src 0
		.amdhsa_exception_fp_ieee_div_zero 0
		.amdhsa_exception_fp_ieee_overflow 0
		.amdhsa_exception_fp_ieee_underflow 0
		.amdhsa_exception_fp_ieee_inexact 0
		.amdhsa_exception_int_div_zero 0
	.end_amdhsa_kernel
	.section	.text._ZN7rocprim17ROCPRIM_400000_NS6detail17trampoline_kernelINS0_14default_configENS1_38merge_sort_block_merge_config_selectorIffEEZZNS1_27merge_sort_block_merge_implIS3_N6thrust23THRUST_200600_302600_NS6detail15normal_iteratorINS8_10device_ptrIfEEEESD_jNS1_19radix_merge_compareILb0ELb0EfNS0_19identity_decomposerEEEEE10hipError_tT0_T1_T2_jT3_P12ihipStream_tbPNSt15iterator_traitsISI_E10value_typeEPNSO_ISJ_E10value_typeEPSK_NS1_7vsmem_tEENKUlT_SI_SJ_SK_E_clISD_PfSD_S10_EESH_SX_SI_SJ_SK_EUlSX_E_NS1_11comp_targetILNS1_3genE5ELNS1_11target_archE942ELNS1_3gpuE9ELNS1_3repE0EEENS1_48merge_mergepath_partition_config_static_selectorELNS0_4arch9wavefront6targetE1EEEvSJ_,"axG",@progbits,_ZN7rocprim17ROCPRIM_400000_NS6detail17trampoline_kernelINS0_14default_configENS1_38merge_sort_block_merge_config_selectorIffEEZZNS1_27merge_sort_block_merge_implIS3_N6thrust23THRUST_200600_302600_NS6detail15normal_iteratorINS8_10device_ptrIfEEEESD_jNS1_19radix_merge_compareILb0ELb0EfNS0_19identity_decomposerEEEEE10hipError_tT0_T1_T2_jT3_P12ihipStream_tbPNSt15iterator_traitsISI_E10value_typeEPNSO_ISJ_E10value_typeEPSK_NS1_7vsmem_tEENKUlT_SI_SJ_SK_E_clISD_PfSD_S10_EESH_SX_SI_SJ_SK_EUlSX_E_NS1_11comp_targetILNS1_3genE5ELNS1_11target_archE942ELNS1_3gpuE9ELNS1_3repE0EEENS1_48merge_mergepath_partition_config_static_selectorELNS0_4arch9wavefront6targetE1EEEvSJ_,comdat
.Lfunc_end247:
	.size	_ZN7rocprim17ROCPRIM_400000_NS6detail17trampoline_kernelINS0_14default_configENS1_38merge_sort_block_merge_config_selectorIffEEZZNS1_27merge_sort_block_merge_implIS3_N6thrust23THRUST_200600_302600_NS6detail15normal_iteratorINS8_10device_ptrIfEEEESD_jNS1_19radix_merge_compareILb0ELb0EfNS0_19identity_decomposerEEEEE10hipError_tT0_T1_T2_jT3_P12ihipStream_tbPNSt15iterator_traitsISI_E10value_typeEPNSO_ISJ_E10value_typeEPSK_NS1_7vsmem_tEENKUlT_SI_SJ_SK_E_clISD_PfSD_S10_EESH_SX_SI_SJ_SK_EUlSX_E_NS1_11comp_targetILNS1_3genE5ELNS1_11target_archE942ELNS1_3gpuE9ELNS1_3repE0EEENS1_48merge_mergepath_partition_config_static_selectorELNS0_4arch9wavefront6targetE1EEEvSJ_, .Lfunc_end247-_ZN7rocprim17ROCPRIM_400000_NS6detail17trampoline_kernelINS0_14default_configENS1_38merge_sort_block_merge_config_selectorIffEEZZNS1_27merge_sort_block_merge_implIS3_N6thrust23THRUST_200600_302600_NS6detail15normal_iteratorINS8_10device_ptrIfEEEESD_jNS1_19radix_merge_compareILb0ELb0EfNS0_19identity_decomposerEEEEE10hipError_tT0_T1_T2_jT3_P12ihipStream_tbPNSt15iterator_traitsISI_E10value_typeEPNSO_ISJ_E10value_typeEPSK_NS1_7vsmem_tEENKUlT_SI_SJ_SK_E_clISD_PfSD_S10_EESH_SX_SI_SJ_SK_EUlSX_E_NS1_11comp_targetILNS1_3genE5ELNS1_11target_archE942ELNS1_3gpuE9ELNS1_3repE0EEENS1_48merge_mergepath_partition_config_static_selectorELNS0_4arch9wavefront6targetE1EEEvSJ_
                                        ; -- End function
	.set _ZN7rocprim17ROCPRIM_400000_NS6detail17trampoline_kernelINS0_14default_configENS1_38merge_sort_block_merge_config_selectorIffEEZZNS1_27merge_sort_block_merge_implIS3_N6thrust23THRUST_200600_302600_NS6detail15normal_iteratorINS8_10device_ptrIfEEEESD_jNS1_19radix_merge_compareILb0ELb0EfNS0_19identity_decomposerEEEEE10hipError_tT0_T1_T2_jT3_P12ihipStream_tbPNSt15iterator_traitsISI_E10value_typeEPNSO_ISJ_E10value_typeEPSK_NS1_7vsmem_tEENKUlT_SI_SJ_SK_E_clISD_PfSD_S10_EESH_SX_SI_SJ_SK_EUlSX_E_NS1_11comp_targetILNS1_3genE5ELNS1_11target_archE942ELNS1_3gpuE9ELNS1_3repE0EEENS1_48merge_mergepath_partition_config_static_selectorELNS0_4arch9wavefront6targetE1EEEvSJ_.num_vgpr, 0
	.set _ZN7rocprim17ROCPRIM_400000_NS6detail17trampoline_kernelINS0_14default_configENS1_38merge_sort_block_merge_config_selectorIffEEZZNS1_27merge_sort_block_merge_implIS3_N6thrust23THRUST_200600_302600_NS6detail15normal_iteratorINS8_10device_ptrIfEEEESD_jNS1_19radix_merge_compareILb0ELb0EfNS0_19identity_decomposerEEEEE10hipError_tT0_T1_T2_jT3_P12ihipStream_tbPNSt15iterator_traitsISI_E10value_typeEPNSO_ISJ_E10value_typeEPSK_NS1_7vsmem_tEENKUlT_SI_SJ_SK_E_clISD_PfSD_S10_EESH_SX_SI_SJ_SK_EUlSX_E_NS1_11comp_targetILNS1_3genE5ELNS1_11target_archE942ELNS1_3gpuE9ELNS1_3repE0EEENS1_48merge_mergepath_partition_config_static_selectorELNS0_4arch9wavefront6targetE1EEEvSJ_.num_agpr, 0
	.set _ZN7rocprim17ROCPRIM_400000_NS6detail17trampoline_kernelINS0_14default_configENS1_38merge_sort_block_merge_config_selectorIffEEZZNS1_27merge_sort_block_merge_implIS3_N6thrust23THRUST_200600_302600_NS6detail15normal_iteratorINS8_10device_ptrIfEEEESD_jNS1_19radix_merge_compareILb0ELb0EfNS0_19identity_decomposerEEEEE10hipError_tT0_T1_T2_jT3_P12ihipStream_tbPNSt15iterator_traitsISI_E10value_typeEPNSO_ISJ_E10value_typeEPSK_NS1_7vsmem_tEENKUlT_SI_SJ_SK_E_clISD_PfSD_S10_EESH_SX_SI_SJ_SK_EUlSX_E_NS1_11comp_targetILNS1_3genE5ELNS1_11target_archE942ELNS1_3gpuE9ELNS1_3repE0EEENS1_48merge_mergepath_partition_config_static_selectorELNS0_4arch9wavefront6targetE1EEEvSJ_.numbered_sgpr, 0
	.set _ZN7rocprim17ROCPRIM_400000_NS6detail17trampoline_kernelINS0_14default_configENS1_38merge_sort_block_merge_config_selectorIffEEZZNS1_27merge_sort_block_merge_implIS3_N6thrust23THRUST_200600_302600_NS6detail15normal_iteratorINS8_10device_ptrIfEEEESD_jNS1_19radix_merge_compareILb0ELb0EfNS0_19identity_decomposerEEEEE10hipError_tT0_T1_T2_jT3_P12ihipStream_tbPNSt15iterator_traitsISI_E10value_typeEPNSO_ISJ_E10value_typeEPSK_NS1_7vsmem_tEENKUlT_SI_SJ_SK_E_clISD_PfSD_S10_EESH_SX_SI_SJ_SK_EUlSX_E_NS1_11comp_targetILNS1_3genE5ELNS1_11target_archE942ELNS1_3gpuE9ELNS1_3repE0EEENS1_48merge_mergepath_partition_config_static_selectorELNS0_4arch9wavefront6targetE1EEEvSJ_.num_named_barrier, 0
	.set _ZN7rocprim17ROCPRIM_400000_NS6detail17trampoline_kernelINS0_14default_configENS1_38merge_sort_block_merge_config_selectorIffEEZZNS1_27merge_sort_block_merge_implIS3_N6thrust23THRUST_200600_302600_NS6detail15normal_iteratorINS8_10device_ptrIfEEEESD_jNS1_19radix_merge_compareILb0ELb0EfNS0_19identity_decomposerEEEEE10hipError_tT0_T1_T2_jT3_P12ihipStream_tbPNSt15iterator_traitsISI_E10value_typeEPNSO_ISJ_E10value_typeEPSK_NS1_7vsmem_tEENKUlT_SI_SJ_SK_E_clISD_PfSD_S10_EESH_SX_SI_SJ_SK_EUlSX_E_NS1_11comp_targetILNS1_3genE5ELNS1_11target_archE942ELNS1_3gpuE9ELNS1_3repE0EEENS1_48merge_mergepath_partition_config_static_selectorELNS0_4arch9wavefront6targetE1EEEvSJ_.private_seg_size, 0
	.set _ZN7rocprim17ROCPRIM_400000_NS6detail17trampoline_kernelINS0_14default_configENS1_38merge_sort_block_merge_config_selectorIffEEZZNS1_27merge_sort_block_merge_implIS3_N6thrust23THRUST_200600_302600_NS6detail15normal_iteratorINS8_10device_ptrIfEEEESD_jNS1_19radix_merge_compareILb0ELb0EfNS0_19identity_decomposerEEEEE10hipError_tT0_T1_T2_jT3_P12ihipStream_tbPNSt15iterator_traitsISI_E10value_typeEPNSO_ISJ_E10value_typeEPSK_NS1_7vsmem_tEENKUlT_SI_SJ_SK_E_clISD_PfSD_S10_EESH_SX_SI_SJ_SK_EUlSX_E_NS1_11comp_targetILNS1_3genE5ELNS1_11target_archE942ELNS1_3gpuE9ELNS1_3repE0EEENS1_48merge_mergepath_partition_config_static_selectorELNS0_4arch9wavefront6targetE1EEEvSJ_.uses_vcc, 0
	.set _ZN7rocprim17ROCPRIM_400000_NS6detail17trampoline_kernelINS0_14default_configENS1_38merge_sort_block_merge_config_selectorIffEEZZNS1_27merge_sort_block_merge_implIS3_N6thrust23THRUST_200600_302600_NS6detail15normal_iteratorINS8_10device_ptrIfEEEESD_jNS1_19radix_merge_compareILb0ELb0EfNS0_19identity_decomposerEEEEE10hipError_tT0_T1_T2_jT3_P12ihipStream_tbPNSt15iterator_traitsISI_E10value_typeEPNSO_ISJ_E10value_typeEPSK_NS1_7vsmem_tEENKUlT_SI_SJ_SK_E_clISD_PfSD_S10_EESH_SX_SI_SJ_SK_EUlSX_E_NS1_11comp_targetILNS1_3genE5ELNS1_11target_archE942ELNS1_3gpuE9ELNS1_3repE0EEENS1_48merge_mergepath_partition_config_static_selectorELNS0_4arch9wavefront6targetE1EEEvSJ_.uses_flat_scratch, 0
	.set _ZN7rocprim17ROCPRIM_400000_NS6detail17trampoline_kernelINS0_14default_configENS1_38merge_sort_block_merge_config_selectorIffEEZZNS1_27merge_sort_block_merge_implIS3_N6thrust23THRUST_200600_302600_NS6detail15normal_iteratorINS8_10device_ptrIfEEEESD_jNS1_19radix_merge_compareILb0ELb0EfNS0_19identity_decomposerEEEEE10hipError_tT0_T1_T2_jT3_P12ihipStream_tbPNSt15iterator_traitsISI_E10value_typeEPNSO_ISJ_E10value_typeEPSK_NS1_7vsmem_tEENKUlT_SI_SJ_SK_E_clISD_PfSD_S10_EESH_SX_SI_SJ_SK_EUlSX_E_NS1_11comp_targetILNS1_3genE5ELNS1_11target_archE942ELNS1_3gpuE9ELNS1_3repE0EEENS1_48merge_mergepath_partition_config_static_selectorELNS0_4arch9wavefront6targetE1EEEvSJ_.has_dyn_sized_stack, 0
	.set _ZN7rocprim17ROCPRIM_400000_NS6detail17trampoline_kernelINS0_14default_configENS1_38merge_sort_block_merge_config_selectorIffEEZZNS1_27merge_sort_block_merge_implIS3_N6thrust23THRUST_200600_302600_NS6detail15normal_iteratorINS8_10device_ptrIfEEEESD_jNS1_19radix_merge_compareILb0ELb0EfNS0_19identity_decomposerEEEEE10hipError_tT0_T1_T2_jT3_P12ihipStream_tbPNSt15iterator_traitsISI_E10value_typeEPNSO_ISJ_E10value_typeEPSK_NS1_7vsmem_tEENKUlT_SI_SJ_SK_E_clISD_PfSD_S10_EESH_SX_SI_SJ_SK_EUlSX_E_NS1_11comp_targetILNS1_3genE5ELNS1_11target_archE942ELNS1_3gpuE9ELNS1_3repE0EEENS1_48merge_mergepath_partition_config_static_selectorELNS0_4arch9wavefront6targetE1EEEvSJ_.has_recursion, 0
	.set _ZN7rocprim17ROCPRIM_400000_NS6detail17trampoline_kernelINS0_14default_configENS1_38merge_sort_block_merge_config_selectorIffEEZZNS1_27merge_sort_block_merge_implIS3_N6thrust23THRUST_200600_302600_NS6detail15normal_iteratorINS8_10device_ptrIfEEEESD_jNS1_19radix_merge_compareILb0ELb0EfNS0_19identity_decomposerEEEEE10hipError_tT0_T1_T2_jT3_P12ihipStream_tbPNSt15iterator_traitsISI_E10value_typeEPNSO_ISJ_E10value_typeEPSK_NS1_7vsmem_tEENKUlT_SI_SJ_SK_E_clISD_PfSD_S10_EESH_SX_SI_SJ_SK_EUlSX_E_NS1_11comp_targetILNS1_3genE5ELNS1_11target_archE942ELNS1_3gpuE9ELNS1_3repE0EEENS1_48merge_mergepath_partition_config_static_selectorELNS0_4arch9wavefront6targetE1EEEvSJ_.has_indirect_call, 0
	.section	.AMDGPU.csdata,"",@progbits
; Kernel info:
; codeLenInByte = 0
; TotalNumSgprs: 6
; NumVgprs: 0
; NumAgprs: 0
; TotalNumVgprs: 0
; ScratchSize: 0
; MemoryBound: 0
; FloatMode: 240
; IeeeMode: 1
; LDSByteSize: 0 bytes/workgroup (compile time only)
; SGPRBlocks: 0
; VGPRBlocks: 0
; NumSGPRsForWavesPerEU: 6
; NumVGPRsForWavesPerEU: 1
; AccumOffset: 4
; Occupancy: 8
; WaveLimiterHint : 0
; COMPUTE_PGM_RSRC2:SCRATCH_EN: 0
; COMPUTE_PGM_RSRC2:USER_SGPR: 2
; COMPUTE_PGM_RSRC2:TRAP_HANDLER: 0
; COMPUTE_PGM_RSRC2:TGID_X_EN: 1
; COMPUTE_PGM_RSRC2:TGID_Y_EN: 0
; COMPUTE_PGM_RSRC2:TGID_Z_EN: 0
; COMPUTE_PGM_RSRC2:TIDIG_COMP_CNT: 0
; COMPUTE_PGM_RSRC3_GFX90A:ACCUM_OFFSET: 0
; COMPUTE_PGM_RSRC3_GFX90A:TG_SPLIT: 0
	.section	.text._ZN7rocprim17ROCPRIM_400000_NS6detail17trampoline_kernelINS0_14default_configENS1_38merge_sort_block_merge_config_selectorIffEEZZNS1_27merge_sort_block_merge_implIS3_N6thrust23THRUST_200600_302600_NS6detail15normal_iteratorINS8_10device_ptrIfEEEESD_jNS1_19radix_merge_compareILb0ELb0EfNS0_19identity_decomposerEEEEE10hipError_tT0_T1_T2_jT3_P12ihipStream_tbPNSt15iterator_traitsISI_E10value_typeEPNSO_ISJ_E10value_typeEPSK_NS1_7vsmem_tEENKUlT_SI_SJ_SK_E_clISD_PfSD_S10_EESH_SX_SI_SJ_SK_EUlSX_E_NS1_11comp_targetILNS1_3genE4ELNS1_11target_archE910ELNS1_3gpuE8ELNS1_3repE0EEENS1_48merge_mergepath_partition_config_static_selectorELNS0_4arch9wavefront6targetE1EEEvSJ_,"axG",@progbits,_ZN7rocprim17ROCPRIM_400000_NS6detail17trampoline_kernelINS0_14default_configENS1_38merge_sort_block_merge_config_selectorIffEEZZNS1_27merge_sort_block_merge_implIS3_N6thrust23THRUST_200600_302600_NS6detail15normal_iteratorINS8_10device_ptrIfEEEESD_jNS1_19radix_merge_compareILb0ELb0EfNS0_19identity_decomposerEEEEE10hipError_tT0_T1_T2_jT3_P12ihipStream_tbPNSt15iterator_traitsISI_E10value_typeEPNSO_ISJ_E10value_typeEPSK_NS1_7vsmem_tEENKUlT_SI_SJ_SK_E_clISD_PfSD_S10_EESH_SX_SI_SJ_SK_EUlSX_E_NS1_11comp_targetILNS1_3genE4ELNS1_11target_archE910ELNS1_3gpuE8ELNS1_3repE0EEENS1_48merge_mergepath_partition_config_static_selectorELNS0_4arch9wavefront6targetE1EEEvSJ_,comdat
	.protected	_ZN7rocprim17ROCPRIM_400000_NS6detail17trampoline_kernelINS0_14default_configENS1_38merge_sort_block_merge_config_selectorIffEEZZNS1_27merge_sort_block_merge_implIS3_N6thrust23THRUST_200600_302600_NS6detail15normal_iteratorINS8_10device_ptrIfEEEESD_jNS1_19radix_merge_compareILb0ELb0EfNS0_19identity_decomposerEEEEE10hipError_tT0_T1_T2_jT3_P12ihipStream_tbPNSt15iterator_traitsISI_E10value_typeEPNSO_ISJ_E10value_typeEPSK_NS1_7vsmem_tEENKUlT_SI_SJ_SK_E_clISD_PfSD_S10_EESH_SX_SI_SJ_SK_EUlSX_E_NS1_11comp_targetILNS1_3genE4ELNS1_11target_archE910ELNS1_3gpuE8ELNS1_3repE0EEENS1_48merge_mergepath_partition_config_static_selectorELNS0_4arch9wavefront6targetE1EEEvSJ_ ; -- Begin function _ZN7rocprim17ROCPRIM_400000_NS6detail17trampoline_kernelINS0_14default_configENS1_38merge_sort_block_merge_config_selectorIffEEZZNS1_27merge_sort_block_merge_implIS3_N6thrust23THRUST_200600_302600_NS6detail15normal_iteratorINS8_10device_ptrIfEEEESD_jNS1_19radix_merge_compareILb0ELb0EfNS0_19identity_decomposerEEEEE10hipError_tT0_T1_T2_jT3_P12ihipStream_tbPNSt15iterator_traitsISI_E10value_typeEPNSO_ISJ_E10value_typeEPSK_NS1_7vsmem_tEENKUlT_SI_SJ_SK_E_clISD_PfSD_S10_EESH_SX_SI_SJ_SK_EUlSX_E_NS1_11comp_targetILNS1_3genE4ELNS1_11target_archE910ELNS1_3gpuE8ELNS1_3repE0EEENS1_48merge_mergepath_partition_config_static_selectorELNS0_4arch9wavefront6targetE1EEEvSJ_
	.globl	_ZN7rocprim17ROCPRIM_400000_NS6detail17trampoline_kernelINS0_14default_configENS1_38merge_sort_block_merge_config_selectorIffEEZZNS1_27merge_sort_block_merge_implIS3_N6thrust23THRUST_200600_302600_NS6detail15normal_iteratorINS8_10device_ptrIfEEEESD_jNS1_19radix_merge_compareILb0ELb0EfNS0_19identity_decomposerEEEEE10hipError_tT0_T1_T2_jT3_P12ihipStream_tbPNSt15iterator_traitsISI_E10value_typeEPNSO_ISJ_E10value_typeEPSK_NS1_7vsmem_tEENKUlT_SI_SJ_SK_E_clISD_PfSD_S10_EESH_SX_SI_SJ_SK_EUlSX_E_NS1_11comp_targetILNS1_3genE4ELNS1_11target_archE910ELNS1_3gpuE8ELNS1_3repE0EEENS1_48merge_mergepath_partition_config_static_selectorELNS0_4arch9wavefront6targetE1EEEvSJ_
	.p2align	8
	.type	_ZN7rocprim17ROCPRIM_400000_NS6detail17trampoline_kernelINS0_14default_configENS1_38merge_sort_block_merge_config_selectorIffEEZZNS1_27merge_sort_block_merge_implIS3_N6thrust23THRUST_200600_302600_NS6detail15normal_iteratorINS8_10device_ptrIfEEEESD_jNS1_19radix_merge_compareILb0ELb0EfNS0_19identity_decomposerEEEEE10hipError_tT0_T1_T2_jT3_P12ihipStream_tbPNSt15iterator_traitsISI_E10value_typeEPNSO_ISJ_E10value_typeEPSK_NS1_7vsmem_tEENKUlT_SI_SJ_SK_E_clISD_PfSD_S10_EESH_SX_SI_SJ_SK_EUlSX_E_NS1_11comp_targetILNS1_3genE4ELNS1_11target_archE910ELNS1_3gpuE8ELNS1_3repE0EEENS1_48merge_mergepath_partition_config_static_selectorELNS0_4arch9wavefront6targetE1EEEvSJ_,@function
_ZN7rocprim17ROCPRIM_400000_NS6detail17trampoline_kernelINS0_14default_configENS1_38merge_sort_block_merge_config_selectorIffEEZZNS1_27merge_sort_block_merge_implIS3_N6thrust23THRUST_200600_302600_NS6detail15normal_iteratorINS8_10device_ptrIfEEEESD_jNS1_19radix_merge_compareILb0ELb0EfNS0_19identity_decomposerEEEEE10hipError_tT0_T1_T2_jT3_P12ihipStream_tbPNSt15iterator_traitsISI_E10value_typeEPNSO_ISJ_E10value_typeEPSK_NS1_7vsmem_tEENKUlT_SI_SJ_SK_E_clISD_PfSD_S10_EESH_SX_SI_SJ_SK_EUlSX_E_NS1_11comp_targetILNS1_3genE4ELNS1_11target_archE910ELNS1_3gpuE8ELNS1_3repE0EEENS1_48merge_mergepath_partition_config_static_selectorELNS0_4arch9wavefront6targetE1EEEvSJ_: ; @_ZN7rocprim17ROCPRIM_400000_NS6detail17trampoline_kernelINS0_14default_configENS1_38merge_sort_block_merge_config_selectorIffEEZZNS1_27merge_sort_block_merge_implIS3_N6thrust23THRUST_200600_302600_NS6detail15normal_iteratorINS8_10device_ptrIfEEEESD_jNS1_19radix_merge_compareILb0ELb0EfNS0_19identity_decomposerEEEEE10hipError_tT0_T1_T2_jT3_P12ihipStream_tbPNSt15iterator_traitsISI_E10value_typeEPNSO_ISJ_E10value_typeEPSK_NS1_7vsmem_tEENKUlT_SI_SJ_SK_E_clISD_PfSD_S10_EESH_SX_SI_SJ_SK_EUlSX_E_NS1_11comp_targetILNS1_3genE4ELNS1_11target_archE910ELNS1_3gpuE8ELNS1_3repE0EEENS1_48merge_mergepath_partition_config_static_selectorELNS0_4arch9wavefront6targetE1EEEvSJ_
; %bb.0:
	.section	.rodata,"a",@progbits
	.p2align	6, 0x0
	.amdhsa_kernel _ZN7rocprim17ROCPRIM_400000_NS6detail17trampoline_kernelINS0_14default_configENS1_38merge_sort_block_merge_config_selectorIffEEZZNS1_27merge_sort_block_merge_implIS3_N6thrust23THRUST_200600_302600_NS6detail15normal_iteratorINS8_10device_ptrIfEEEESD_jNS1_19radix_merge_compareILb0ELb0EfNS0_19identity_decomposerEEEEE10hipError_tT0_T1_T2_jT3_P12ihipStream_tbPNSt15iterator_traitsISI_E10value_typeEPNSO_ISJ_E10value_typeEPSK_NS1_7vsmem_tEENKUlT_SI_SJ_SK_E_clISD_PfSD_S10_EESH_SX_SI_SJ_SK_EUlSX_E_NS1_11comp_targetILNS1_3genE4ELNS1_11target_archE910ELNS1_3gpuE8ELNS1_3repE0EEENS1_48merge_mergepath_partition_config_static_selectorELNS0_4arch9wavefront6targetE1EEEvSJ_
		.amdhsa_group_segment_fixed_size 0
		.amdhsa_private_segment_fixed_size 0
		.amdhsa_kernarg_size 40
		.amdhsa_user_sgpr_count 2
		.amdhsa_user_sgpr_dispatch_ptr 0
		.amdhsa_user_sgpr_queue_ptr 0
		.amdhsa_user_sgpr_kernarg_segment_ptr 1
		.amdhsa_user_sgpr_dispatch_id 0
		.amdhsa_user_sgpr_kernarg_preload_length 0
		.amdhsa_user_sgpr_kernarg_preload_offset 0
		.amdhsa_user_sgpr_private_segment_size 0
		.amdhsa_uses_dynamic_stack 0
		.amdhsa_enable_private_segment 0
		.amdhsa_system_sgpr_workgroup_id_x 1
		.amdhsa_system_sgpr_workgroup_id_y 0
		.amdhsa_system_sgpr_workgroup_id_z 0
		.amdhsa_system_sgpr_workgroup_info 0
		.amdhsa_system_vgpr_workitem_id 0
		.amdhsa_next_free_vgpr 1
		.amdhsa_next_free_sgpr 0
		.amdhsa_accum_offset 4
		.amdhsa_reserve_vcc 0
		.amdhsa_float_round_mode_32 0
		.amdhsa_float_round_mode_16_64 0
		.amdhsa_float_denorm_mode_32 3
		.amdhsa_float_denorm_mode_16_64 3
		.amdhsa_dx10_clamp 1
		.amdhsa_ieee_mode 1
		.amdhsa_fp16_overflow 0
		.amdhsa_tg_split 0
		.amdhsa_exception_fp_ieee_invalid_op 0
		.amdhsa_exception_fp_denorm_src 0
		.amdhsa_exception_fp_ieee_div_zero 0
		.amdhsa_exception_fp_ieee_overflow 0
		.amdhsa_exception_fp_ieee_underflow 0
		.amdhsa_exception_fp_ieee_inexact 0
		.amdhsa_exception_int_div_zero 0
	.end_amdhsa_kernel
	.section	.text._ZN7rocprim17ROCPRIM_400000_NS6detail17trampoline_kernelINS0_14default_configENS1_38merge_sort_block_merge_config_selectorIffEEZZNS1_27merge_sort_block_merge_implIS3_N6thrust23THRUST_200600_302600_NS6detail15normal_iteratorINS8_10device_ptrIfEEEESD_jNS1_19radix_merge_compareILb0ELb0EfNS0_19identity_decomposerEEEEE10hipError_tT0_T1_T2_jT3_P12ihipStream_tbPNSt15iterator_traitsISI_E10value_typeEPNSO_ISJ_E10value_typeEPSK_NS1_7vsmem_tEENKUlT_SI_SJ_SK_E_clISD_PfSD_S10_EESH_SX_SI_SJ_SK_EUlSX_E_NS1_11comp_targetILNS1_3genE4ELNS1_11target_archE910ELNS1_3gpuE8ELNS1_3repE0EEENS1_48merge_mergepath_partition_config_static_selectorELNS0_4arch9wavefront6targetE1EEEvSJ_,"axG",@progbits,_ZN7rocprim17ROCPRIM_400000_NS6detail17trampoline_kernelINS0_14default_configENS1_38merge_sort_block_merge_config_selectorIffEEZZNS1_27merge_sort_block_merge_implIS3_N6thrust23THRUST_200600_302600_NS6detail15normal_iteratorINS8_10device_ptrIfEEEESD_jNS1_19radix_merge_compareILb0ELb0EfNS0_19identity_decomposerEEEEE10hipError_tT0_T1_T2_jT3_P12ihipStream_tbPNSt15iterator_traitsISI_E10value_typeEPNSO_ISJ_E10value_typeEPSK_NS1_7vsmem_tEENKUlT_SI_SJ_SK_E_clISD_PfSD_S10_EESH_SX_SI_SJ_SK_EUlSX_E_NS1_11comp_targetILNS1_3genE4ELNS1_11target_archE910ELNS1_3gpuE8ELNS1_3repE0EEENS1_48merge_mergepath_partition_config_static_selectorELNS0_4arch9wavefront6targetE1EEEvSJ_,comdat
.Lfunc_end248:
	.size	_ZN7rocprim17ROCPRIM_400000_NS6detail17trampoline_kernelINS0_14default_configENS1_38merge_sort_block_merge_config_selectorIffEEZZNS1_27merge_sort_block_merge_implIS3_N6thrust23THRUST_200600_302600_NS6detail15normal_iteratorINS8_10device_ptrIfEEEESD_jNS1_19radix_merge_compareILb0ELb0EfNS0_19identity_decomposerEEEEE10hipError_tT0_T1_T2_jT3_P12ihipStream_tbPNSt15iterator_traitsISI_E10value_typeEPNSO_ISJ_E10value_typeEPSK_NS1_7vsmem_tEENKUlT_SI_SJ_SK_E_clISD_PfSD_S10_EESH_SX_SI_SJ_SK_EUlSX_E_NS1_11comp_targetILNS1_3genE4ELNS1_11target_archE910ELNS1_3gpuE8ELNS1_3repE0EEENS1_48merge_mergepath_partition_config_static_selectorELNS0_4arch9wavefront6targetE1EEEvSJ_, .Lfunc_end248-_ZN7rocprim17ROCPRIM_400000_NS6detail17trampoline_kernelINS0_14default_configENS1_38merge_sort_block_merge_config_selectorIffEEZZNS1_27merge_sort_block_merge_implIS3_N6thrust23THRUST_200600_302600_NS6detail15normal_iteratorINS8_10device_ptrIfEEEESD_jNS1_19radix_merge_compareILb0ELb0EfNS0_19identity_decomposerEEEEE10hipError_tT0_T1_T2_jT3_P12ihipStream_tbPNSt15iterator_traitsISI_E10value_typeEPNSO_ISJ_E10value_typeEPSK_NS1_7vsmem_tEENKUlT_SI_SJ_SK_E_clISD_PfSD_S10_EESH_SX_SI_SJ_SK_EUlSX_E_NS1_11comp_targetILNS1_3genE4ELNS1_11target_archE910ELNS1_3gpuE8ELNS1_3repE0EEENS1_48merge_mergepath_partition_config_static_selectorELNS0_4arch9wavefront6targetE1EEEvSJ_
                                        ; -- End function
	.set _ZN7rocprim17ROCPRIM_400000_NS6detail17trampoline_kernelINS0_14default_configENS1_38merge_sort_block_merge_config_selectorIffEEZZNS1_27merge_sort_block_merge_implIS3_N6thrust23THRUST_200600_302600_NS6detail15normal_iteratorINS8_10device_ptrIfEEEESD_jNS1_19radix_merge_compareILb0ELb0EfNS0_19identity_decomposerEEEEE10hipError_tT0_T1_T2_jT3_P12ihipStream_tbPNSt15iterator_traitsISI_E10value_typeEPNSO_ISJ_E10value_typeEPSK_NS1_7vsmem_tEENKUlT_SI_SJ_SK_E_clISD_PfSD_S10_EESH_SX_SI_SJ_SK_EUlSX_E_NS1_11comp_targetILNS1_3genE4ELNS1_11target_archE910ELNS1_3gpuE8ELNS1_3repE0EEENS1_48merge_mergepath_partition_config_static_selectorELNS0_4arch9wavefront6targetE1EEEvSJ_.num_vgpr, 0
	.set _ZN7rocprim17ROCPRIM_400000_NS6detail17trampoline_kernelINS0_14default_configENS1_38merge_sort_block_merge_config_selectorIffEEZZNS1_27merge_sort_block_merge_implIS3_N6thrust23THRUST_200600_302600_NS6detail15normal_iteratorINS8_10device_ptrIfEEEESD_jNS1_19radix_merge_compareILb0ELb0EfNS0_19identity_decomposerEEEEE10hipError_tT0_T1_T2_jT3_P12ihipStream_tbPNSt15iterator_traitsISI_E10value_typeEPNSO_ISJ_E10value_typeEPSK_NS1_7vsmem_tEENKUlT_SI_SJ_SK_E_clISD_PfSD_S10_EESH_SX_SI_SJ_SK_EUlSX_E_NS1_11comp_targetILNS1_3genE4ELNS1_11target_archE910ELNS1_3gpuE8ELNS1_3repE0EEENS1_48merge_mergepath_partition_config_static_selectorELNS0_4arch9wavefront6targetE1EEEvSJ_.num_agpr, 0
	.set _ZN7rocprim17ROCPRIM_400000_NS6detail17trampoline_kernelINS0_14default_configENS1_38merge_sort_block_merge_config_selectorIffEEZZNS1_27merge_sort_block_merge_implIS3_N6thrust23THRUST_200600_302600_NS6detail15normal_iteratorINS8_10device_ptrIfEEEESD_jNS1_19radix_merge_compareILb0ELb0EfNS0_19identity_decomposerEEEEE10hipError_tT0_T1_T2_jT3_P12ihipStream_tbPNSt15iterator_traitsISI_E10value_typeEPNSO_ISJ_E10value_typeEPSK_NS1_7vsmem_tEENKUlT_SI_SJ_SK_E_clISD_PfSD_S10_EESH_SX_SI_SJ_SK_EUlSX_E_NS1_11comp_targetILNS1_3genE4ELNS1_11target_archE910ELNS1_3gpuE8ELNS1_3repE0EEENS1_48merge_mergepath_partition_config_static_selectorELNS0_4arch9wavefront6targetE1EEEvSJ_.numbered_sgpr, 0
	.set _ZN7rocprim17ROCPRIM_400000_NS6detail17trampoline_kernelINS0_14default_configENS1_38merge_sort_block_merge_config_selectorIffEEZZNS1_27merge_sort_block_merge_implIS3_N6thrust23THRUST_200600_302600_NS6detail15normal_iteratorINS8_10device_ptrIfEEEESD_jNS1_19radix_merge_compareILb0ELb0EfNS0_19identity_decomposerEEEEE10hipError_tT0_T1_T2_jT3_P12ihipStream_tbPNSt15iterator_traitsISI_E10value_typeEPNSO_ISJ_E10value_typeEPSK_NS1_7vsmem_tEENKUlT_SI_SJ_SK_E_clISD_PfSD_S10_EESH_SX_SI_SJ_SK_EUlSX_E_NS1_11comp_targetILNS1_3genE4ELNS1_11target_archE910ELNS1_3gpuE8ELNS1_3repE0EEENS1_48merge_mergepath_partition_config_static_selectorELNS0_4arch9wavefront6targetE1EEEvSJ_.num_named_barrier, 0
	.set _ZN7rocprim17ROCPRIM_400000_NS6detail17trampoline_kernelINS0_14default_configENS1_38merge_sort_block_merge_config_selectorIffEEZZNS1_27merge_sort_block_merge_implIS3_N6thrust23THRUST_200600_302600_NS6detail15normal_iteratorINS8_10device_ptrIfEEEESD_jNS1_19radix_merge_compareILb0ELb0EfNS0_19identity_decomposerEEEEE10hipError_tT0_T1_T2_jT3_P12ihipStream_tbPNSt15iterator_traitsISI_E10value_typeEPNSO_ISJ_E10value_typeEPSK_NS1_7vsmem_tEENKUlT_SI_SJ_SK_E_clISD_PfSD_S10_EESH_SX_SI_SJ_SK_EUlSX_E_NS1_11comp_targetILNS1_3genE4ELNS1_11target_archE910ELNS1_3gpuE8ELNS1_3repE0EEENS1_48merge_mergepath_partition_config_static_selectorELNS0_4arch9wavefront6targetE1EEEvSJ_.private_seg_size, 0
	.set _ZN7rocprim17ROCPRIM_400000_NS6detail17trampoline_kernelINS0_14default_configENS1_38merge_sort_block_merge_config_selectorIffEEZZNS1_27merge_sort_block_merge_implIS3_N6thrust23THRUST_200600_302600_NS6detail15normal_iteratorINS8_10device_ptrIfEEEESD_jNS1_19radix_merge_compareILb0ELb0EfNS0_19identity_decomposerEEEEE10hipError_tT0_T1_T2_jT3_P12ihipStream_tbPNSt15iterator_traitsISI_E10value_typeEPNSO_ISJ_E10value_typeEPSK_NS1_7vsmem_tEENKUlT_SI_SJ_SK_E_clISD_PfSD_S10_EESH_SX_SI_SJ_SK_EUlSX_E_NS1_11comp_targetILNS1_3genE4ELNS1_11target_archE910ELNS1_3gpuE8ELNS1_3repE0EEENS1_48merge_mergepath_partition_config_static_selectorELNS0_4arch9wavefront6targetE1EEEvSJ_.uses_vcc, 0
	.set _ZN7rocprim17ROCPRIM_400000_NS6detail17trampoline_kernelINS0_14default_configENS1_38merge_sort_block_merge_config_selectorIffEEZZNS1_27merge_sort_block_merge_implIS3_N6thrust23THRUST_200600_302600_NS6detail15normal_iteratorINS8_10device_ptrIfEEEESD_jNS1_19radix_merge_compareILb0ELb0EfNS0_19identity_decomposerEEEEE10hipError_tT0_T1_T2_jT3_P12ihipStream_tbPNSt15iterator_traitsISI_E10value_typeEPNSO_ISJ_E10value_typeEPSK_NS1_7vsmem_tEENKUlT_SI_SJ_SK_E_clISD_PfSD_S10_EESH_SX_SI_SJ_SK_EUlSX_E_NS1_11comp_targetILNS1_3genE4ELNS1_11target_archE910ELNS1_3gpuE8ELNS1_3repE0EEENS1_48merge_mergepath_partition_config_static_selectorELNS0_4arch9wavefront6targetE1EEEvSJ_.uses_flat_scratch, 0
	.set _ZN7rocprim17ROCPRIM_400000_NS6detail17trampoline_kernelINS0_14default_configENS1_38merge_sort_block_merge_config_selectorIffEEZZNS1_27merge_sort_block_merge_implIS3_N6thrust23THRUST_200600_302600_NS6detail15normal_iteratorINS8_10device_ptrIfEEEESD_jNS1_19radix_merge_compareILb0ELb0EfNS0_19identity_decomposerEEEEE10hipError_tT0_T1_T2_jT3_P12ihipStream_tbPNSt15iterator_traitsISI_E10value_typeEPNSO_ISJ_E10value_typeEPSK_NS1_7vsmem_tEENKUlT_SI_SJ_SK_E_clISD_PfSD_S10_EESH_SX_SI_SJ_SK_EUlSX_E_NS1_11comp_targetILNS1_3genE4ELNS1_11target_archE910ELNS1_3gpuE8ELNS1_3repE0EEENS1_48merge_mergepath_partition_config_static_selectorELNS0_4arch9wavefront6targetE1EEEvSJ_.has_dyn_sized_stack, 0
	.set _ZN7rocprim17ROCPRIM_400000_NS6detail17trampoline_kernelINS0_14default_configENS1_38merge_sort_block_merge_config_selectorIffEEZZNS1_27merge_sort_block_merge_implIS3_N6thrust23THRUST_200600_302600_NS6detail15normal_iteratorINS8_10device_ptrIfEEEESD_jNS1_19radix_merge_compareILb0ELb0EfNS0_19identity_decomposerEEEEE10hipError_tT0_T1_T2_jT3_P12ihipStream_tbPNSt15iterator_traitsISI_E10value_typeEPNSO_ISJ_E10value_typeEPSK_NS1_7vsmem_tEENKUlT_SI_SJ_SK_E_clISD_PfSD_S10_EESH_SX_SI_SJ_SK_EUlSX_E_NS1_11comp_targetILNS1_3genE4ELNS1_11target_archE910ELNS1_3gpuE8ELNS1_3repE0EEENS1_48merge_mergepath_partition_config_static_selectorELNS0_4arch9wavefront6targetE1EEEvSJ_.has_recursion, 0
	.set _ZN7rocprim17ROCPRIM_400000_NS6detail17trampoline_kernelINS0_14default_configENS1_38merge_sort_block_merge_config_selectorIffEEZZNS1_27merge_sort_block_merge_implIS3_N6thrust23THRUST_200600_302600_NS6detail15normal_iteratorINS8_10device_ptrIfEEEESD_jNS1_19radix_merge_compareILb0ELb0EfNS0_19identity_decomposerEEEEE10hipError_tT0_T1_T2_jT3_P12ihipStream_tbPNSt15iterator_traitsISI_E10value_typeEPNSO_ISJ_E10value_typeEPSK_NS1_7vsmem_tEENKUlT_SI_SJ_SK_E_clISD_PfSD_S10_EESH_SX_SI_SJ_SK_EUlSX_E_NS1_11comp_targetILNS1_3genE4ELNS1_11target_archE910ELNS1_3gpuE8ELNS1_3repE0EEENS1_48merge_mergepath_partition_config_static_selectorELNS0_4arch9wavefront6targetE1EEEvSJ_.has_indirect_call, 0
	.section	.AMDGPU.csdata,"",@progbits
; Kernel info:
; codeLenInByte = 0
; TotalNumSgprs: 6
; NumVgprs: 0
; NumAgprs: 0
; TotalNumVgprs: 0
; ScratchSize: 0
; MemoryBound: 0
; FloatMode: 240
; IeeeMode: 1
; LDSByteSize: 0 bytes/workgroup (compile time only)
; SGPRBlocks: 0
; VGPRBlocks: 0
; NumSGPRsForWavesPerEU: 6
; NumVGPRsForWavesPerEU: 1
; AccumOffset: 4
; Occupancy: 8
; WaveLimiterHint : 0
; COMPUTE_PGM_RSRC2:SCRATCH_EN: 0
; COMPUTE_PGM_RSRC2:USER_SGPR: 2
; COMPUTE_PGM_RSRC2:TRAP_HANDLER: 0
; COMPUTE_PGM_RSRC2:TGID_X_EN: 1
; COMPUTE_PGM_RSRC2:TGID_Y_EN: 0
; COMPUTE_PGM_RSRC2:TGID_Z_EN: 0
; COMPUTE_PGM_RSRC2:TIDIG_COMP_CNT: 0
; COMPUTE_PGM_RSRC3_GFX90A:ACCUM_OFFSET: 0
; COMPUTE_PGM_RSRC3_GFX90A:TG_SPLIT: 0
	.section	.text._ZN7rocprim17ROCPRIM_400000_NS6detail17trampoline_kernelINS0_14default_configENS1_38merge_sort_block_merge_config_selectorIffEEZZNS1_27merge_sort_block_merge_implIS3_N6thrust23THRUST_200600_302600_NS6detail15normal_iteratorINS8_10device_ptrIfEEEESD_jNS1_19radix_merge_compareILb0ELb0EfNS0_19identity_decomposerEEEEE10hipError_tT0_T1_T2_jT3_P12ihipStream_tbPNSt15iterator_traitsISI_E10value_typeEPNSO_ISJ_E10value_typeEPSK_NS1_7vsmem_tEENKUlT_SI_SJ_SK_E_clISD_PfSD_S10_EESH_SX_SI_SJ_SK_EUlSX_E_NS1_11comp_targetILNS1_3genE3ELNS1_11target_archE908ELNS1_3gpuE7ELNS1_3repE0EEENS1_48merge_mergepath_partition_config_static_selectorELNS0_4arch9wavefront6targetE1EEEvSJ_,"axG",@progbits,_ZN7rocprim17ROCPRIM_400000_NS6detail17trampoline_kernelINS0_14default_configENS1_38merge_sort_block_merge_config_selectorIffEEZZNS1_27merge_sort_block_merge_implIS3_N6thrust23THRUST_200600_302600_NS6detail15normal_iteratorINS8_10device_ptrIfEEEESD_jNS1_19radix_merge_compareILb0ELb0EfNS0_19identity_decomposerEEEEE10hipError_tT0_T1_T2_jT3_P12ihipStream_tbPNSt15iterator_traitsISI_E10value_typeEPNSO_ISJ_E10value_typeEPSK_NS1_7vsmem_tEENKUlT_SI_SJ_SK_E_clISD_PfSD_S10_EESH_SX_SI_SJ_SK_EUlSX_E_NS1_11comp_targetILNS1_3genE3ELNS1_11target_archE908ELNS1_3gpuE7ELNS1_3repE0EEENS1_48merge_mergepath_partition_config_static_selectorELNS0_4arch9wavefront6targetE1EEEvSJ_,comdat
	.protected	_ZN7rocprim17ROCPRIM_400000_NS6detail17trampoline_kernelINS0_14default_configENS1_38merge_sort_block_merge_config_selectorIffEEZZNS1_27merge_sort_block_merge_implIS3_N6thrust23THRUST_200600_302600_NS6detail15normal_iteratorINS8_10device_ptrIfEEEESD_jNS1_19radix_merge_compareILb0ELb0EfNS0_19identity_decomposerEEEEE10hipError_tT0_T1_T2_jT3_P12ihipStream_tbPNSt15iterator_traitsISI_E10value_typeEPNSO_ISJ_E10value_typeEPSK_NS1_7vsmem_tEENKUlT_SI_SJ_SK_E_clISD_PfSD_S10_EESH_SX_SI_SJ_SK_EUlSX_E_NS1_11comp_targetILNS1_3genE3ELNS1_11target_archE908ELNS1_3gpuE7ELNS1_3repE0EEENS1_48merge_mergepath_partition_config_static_selectorELNS0_4arch9wavefront6targetE1EEEvSJ_ ; -- Begin function _ZN7rocprim17ROCPRIM_400000_NS6detail17trampoline_kernelINS0_14default_configENS1_38merge_sort_block_merge_config_selectorIffEEZZNS1_27merge_sort_block_merge_implIS3_N6thrust23THRUST_200600_302600_NS6detail15normal_iteratorINS8_10device_ptrIfEEEESD_jNS1_19radix_merge_compareILb0ELb0EfNS0_19identity_decomposerEEEEE10hipError_tT0_T1_T2_jT3_P12ihipStream_tbPNSt15iterator_traitsISI_E10value_typeEPNSO_ISJ_E10value_typeEPSK_NS1_7vsmem_tEENKUlT_SI_SJ_SK_E_clISD_PfSD_S10_EESH_SX_SI_SJ_SK_EUlSX_E_NS1_11comp_targetILNS1_3genE3ELNS1_11target_archE908ELNS1_3gpuE7ELNS1_3repE0EEENS1_48merge_mergepath_partition_config_static_selectorELNS0_4arch9wavefront6targetE1EEEvSJ_
	.globl	_ZN7rocprim17ROCPRIM_400000_NS6detail17trampoline_kernelINS0_14default_configENS1_38merge_sort_block_merge_config_selectorIffEEZZNS1_27merge_sort_block_merge_implIS3_N6thrust23THRUST_200600_302600_NS6detail15normal_iteratorINS8_10device_ptrIfEEEESD_jNS1_19radix_merge_compareILb0ELb0EfNS0_19identity_decomposerEEEEE10hipError_tT0_T1_T2_jT3_P12ihipStream_tbPNSt15iterator_traitsISI_E10value_typeEPNSO_ISJ_E10value_typeEPSK_NS1_7vsmem_tEENKUlT_SI_SJ_SK_E_clISD_PfSD_S10_EESH_SX_SI_SJ_SK_EUlSX_E_NS1_11comp_targetILNS1_3genE3ELNS1_11target_archE908ELNS1_3gpuE7ELNS1_3repE0EEENS1_48merge_mergepath_partition_config_static_selectorELNS0_4arch9wavefront6targetE1EEEvSJ_
	.p2align	8
	.type	_ZN7rocprim17ROCPRIM_400000_NS6detail17trampoline_kernelINS0_14default_configENS1_38merge_sort_block_merge_config_selectorIffEEZZNS1_27merge_sort_block_merge_implIS3_N6thrust23THRUST_200600_302600_NS6detail15normal_iteratorINS8_10device_ptrIfEEEESD_jNS1_19radix_merge_compareILb0ELb0EfNS0_19identity_decomposerEEEEE10hipError_tT0_T1_T2_jT3_P12ihipStream_tbPNSt15iterator_traitsISI_E10value_typeEPNSO_ISJ_E10value_typeEPSK_NS1_7vsmem_tEENKUlT_SI_SJ_SK_E_clISD_PfSD_S10_EESH_SX_SI_SJ_SK_EUlSX_E_NS1_11comp_targetILNS1_3genE3ELNS1_11target_archE908ELNS1_3gpuE7ELNS1_3repE0EEENS1_48merge_mergepath_partition_config_static_selectorELNS0_4arch9wavefront6targetE1EEEvSJ_,@function
_ZN7rocprim17ROCPRIM_400000_NS6detail17trampoline_kernelINS0_14default_configENS1_38merge_sort_block_merge_config_selectorIffEEZZNS1_27merge_sort_block_merge_implIS3_N6thrust23THRUST_200600_302600_NS6detail15normal_iteratorINS8_10device_ptrIfEEEESD_jNS1_19radix_merge_compareILb0ELb0EfNS0_19identity_decomposerEEEEE10hipError_tT0_T1_T2_jT3_P12ihipStream_tbPNSt15iterator_traitsISI_E10value_typeEPNSO_ISJ_E10value_typeEPSK_NS1_7vsmem_tEENKUlT_SI_SJ_SK_E_clISD_PfSD_S10_EESH_SX_SI_SJ_SK_EUlSX_E_NS1_11comp_targetILNS1_3genE3ELNS1_11target_archE908ELNS1_3gpuE7ELNS1_3repE0EEENS1_48merge_mergepath_partition_config_static_selectorELNS0_4arch9wavefront6targetE1EEEvSJ_: ; @_ZN7rocprim17ROCPRIM_400000_NS6detail17trampoline_kernelINS0_14default_configENS1_38merge_sort_block_merge_config_selectorIffEEZZNS1_27merge_sort_block_merge_implIS3_N6thrust23THRUST_200600_302600_NS6detail15normal_iteratorINS8_10device_ptrIfEEEESD_jNS1_19radix_merge_compareILb0ELb0EfNS0_19identity_decomposerEEEEE10hipError_tT0_T1_T2_jT3_P12ihipStream_tbPNSt15iterator_traitsISI_E10value_typeEPNSO_ISJ_E10value_typeEPSK_NS1_7vsmem_tEENKUlT_SI_SJ_SK_E_clISD_PfSD_S10_EESH_SX_SI_SJ_SK_EUlSX_E_NS1_11comp_targetILNS1_3genE3ELNS1_11target_archE908ELNS1_3gpuE7ELNS1_3repE0EEENS1_48merge_mergepath_partition_config_static_selectorELNS0_4arch9wavefront6targetE1EEEvSJ_
; %bb.0:
	.section	.rodata,"a",@progbits
	.p2align	6, 0x0
	.amdhsa_kernel _ZN7rocprim17ROCPRIM_400000_NS6detail17trampoline_kernelINS0_14default_configENS1_38merge_sort_block_merge_config_selectorIffEEZZNS1_27merge_sort_block_merge_implIS3_N6thrust23THRUST_200600_302600_NS6detail15normal_iteratorINS8_10device_ptrIfEEEESD_jNS1_19radix_merge_compareILb0ELb0EfNS0_19identity_decomposerEEEEE10hipError_tT0_T1_T2_jT3_P12ihipStream_tbPNSt15iterator_traitsISI_E10value_typeEPNSO_ISJ_E10value_typeEPSK_NS1_7vsmem_tEENKUlT_SI_SJ_SK_E_clISD_PfSD_S10_EESH_SX_SI_SJ_SK_EUlSX_E_NS1_11comp_targetILNS1_3genE3ELNS1_11target_archE908ELNS1_3gpuE7ELNS1_3repE0EEENS1_48merge_mergepath_partition_config_static_selectorELNS0_4arch9wavefront6targetE1EEEvSJ_
		.amdhsa_group_segment_fixed_size 0
		.amdhsa_private_segment_fixed_size 0
		.amdhsa_kernarg_size 40
		.amdhsa_user_sgpr_count 2
		.amdhsa_user_sgpr_dispatch_ptr 0
		.amdhsa_user_sgpr_queue_ptr 0
		.amdhsa_user_sgpr_kernarg_segment_ptr 1
		.amdhsa_user_sgpr_dispatch_id 0
		.amdhsa_user_sgpr_kernarg_preload_length 0
		.amdhsa_user_sgpr_kernarg_preload_offset 0
		.amdhsa_user_sgpr_private_segment_size 0
		.amdhsa_uses_dynamic_stack 0
		.amdhsa_enable_private_segment 0
		.amdhsa_system_sgpr_workgroup_id_x 1
		.amdhsa_system_sgpr_workgroup_id_y 0
		.amdhsa_system_sgpr_workgroup_id_z 0
		.amdhsa_system_sgpr_workgroup_info 0
		.amdhsa_system_vgpr_workitem_id 0
		.amdhsa_next_free_vgpr 1
		.amdhsa_next_free_sgpr 0
		.amdhsa_accum_offset 4
		.amdhsa_reserve_vcc 0
		.amdhsa_float_round_mode_32 0
		.amdhsa_float_round_mode_16_64 0
		.amdhsa_float_denorm_mode_32 3
		.amdhsa_float_denorm_mode_16_64 3
		.amdhsa_dx10_clamp 1
		.amdhsa_ieee_mode 1
		.amdhsa_fp16_overflow 0
		.amdhsa_tg_split 0
		.amdhsa_exception_fp_ieee_invalid_op 0
		.amdhsa_exception_fp_denorm_src 0
		.amdhsa_exception_fp_ieee_div_zero 0
		.amdhsa_exception_fp_ieee_overflow 0
		.amdhsa_exception_fp_ieee_underflow 0
		.amdhsa_exception_fp_ieee_inexact 0
		.amdhsa_exception_int_div_zero 0
	.end_amdhsa_kernel
	.section	.text._ZN7rocprim17ROCPRIM_400000_NS6detail17trampoline_kernelINS0_14default_configENS1_38merge_sort_block_merge_config_selectorIffEEZZNS1_27merge_sort_block_merge_implIS3_N6thrust23THRUST_200600_302600_NS6detail15normal_iteratorINS8_10device_ptrIfEEEESD_jNS1_19radix_merge_compareILb0ELb0EfNS0_19identity_decomposerEEEEE10hipError_tT0_T1_T2_jT3_P12ihipStream_tbPNSt15iterator_traitsISI_E10value_typeEPNSO_ISJ_E10value_typeEPSK_NS1_7vsmem_tEENKUlT_SI_SJ_SK_E_clISD_PfSD_S10_EESH_SX_SI_SJ_SK_EUlSX_E_NS1_11comp_targetILNS1_3genE3ELNS1_11target_archE908ELNS1_3gpuE7ELNS1_3repE0EEENS1_48merge_mergepath_partition_config_static_selectorELNS0_4arch9wavefront6targetE1EEEvSJ_,"axG",@progbits,_ZN7rocprim17ROCPRIM_400000_NS6detail17trampoline_kernelINS0_14default_configENS1_38merge_sort_block_merge_config_selectorIffEEZZNS1_27merge_sort_block_merge_implIS3_N6thrust23THRUST_200600_302600_NS6detail15normal_iteratorINS8_10device_ptrIfEEEESD_jNS1_19radix_merge_compareILb0ELb0EfNS0_19identity_decomposerEEEEE10hipError_tT0_T1_T2_jT3_P12ihipStream_tbPNSt15iterator_traitsISI_E10value_typeEPNSO_ISJ_E10value_typeEPSK_NS1_7vsmem_tEENKUlT_SI_SJ_SK_E_clISD_PfSD_S10_EESH_SX_SI_SJ_SK_EUlSX_E_NS1_11comp_targetILNS1_3genE3ELNS1_11target_archE908ELNS1_3gpuE7ELNS1_3repE0EEENS1_48merge_mergepath_partition_config_static_selectorELNS0_4arch9wavefront6targetE1EEEvSJ_,comdat
.Lfunc_end249:
	.size	_ZN7rocprim17ROCPRIM_400000_NS6detail17trampoline_kernelINS0_14default_configENS1_38merge_sort_block_merge_config_selectorIffEEZZNS1_27merge_sort_block_merge_implIS3_N6thrust23THRUST_200600_302600_NS6detail15normal_iteratorINS8_10device_ptrIfEEEESD_jNS1_19radix_merge_compareILb0ELb0EfNS0_19identity_decomposerEEEEE10hipError_tT0_T1_T2_jT3_P12ihipStream_tbPNSt15iterator_traitsISI_E10value_typeEPNSO_ISJ_E10value_typeEPSK_NS1_7vsmem_tEENKUlT_SI_SJ_SK_E_clISD_PfSD_S10_EESH_SX_SI_SJ_SK_EUlSX_E_NS1_11comp_targetILNS1_3genE3ELNS1_11target_archE908ELNS1_3gpuE7ELNS1_3repE0EEENS1_48merge_mergepath_partition_config_static_selectorELNS0_4arch9wavefront6targetE1EEEvSJ_, .Lfunc_end249-_ZN7rocprim17ROCPRIM_400000_NS6detail17trampoline_kernelINS0_14default_configENS1_38merge_sort_block_merge_config_selectorIffEEZZNS1_27merge_sort_block_merge_implIS3_N6thrust23THRUST_200600_302600_NS6detail15normal_iteratorINS8_10device_ptrIfEEEESD_jNS1_19radix_merge_compareILb0ELb0EfNS0_19identity_decomposerEEEEE10hipError_tT0_T1_T2_jT3_P12ihipStream_tbPNSt15iterator_traitsISI_E10value_typeEPNSO_ISJ_E10value_typeEPSK_NS1_7vsmem_tEENKUlT_SI_SJ_SK_E_clISD_PfSD_S10_EESH_SX_SI_SJ_SK_EUlSX_E_NS1_11comp_targetILNS1_3genE3ELNS1_11target_archE908ELNS1_3gpuE7ELNS1_3repE0EEENS1_48merge_mergepath_partition_config_static_selectorELNS0_4arch9wavefront6targetE1EEEvSJ_
                                        ; -- End function
	.set _ZN7rocprim17ROCPRIM_400000_NS6detail17trampoline_kernelINS0_14default_configENS1_38merge_sort_block_merge_config_selectorIffEEZZNS1_27merge_sort_block_merge_implIS3_N6thrust23THRUST_200600_302600_NS6detail15normal_iteratorINS8_10device_ptrIfEEEESD_jNS1_19radix_merge_compareILb0ELb0EfNS0_19identity_decomposerEEEEE10hipError_tT0_T1_T2_jT3_P12ihipStream_tbPNSt15iterator_traitsISI_E10value_typeEPNSO_ISJ_E10value_typeEPSK_NS1_7vsmem_tEENKUlT_SI_SJ_SK_E_clISD_PfSD_S10_EESH_SX_SI_SJ_SK_EUlSX_E_NS1_11comp_targetILNS1_3genE3ELNS1_11target_archE908ELNS1_3gpuE7ELNS1_3repE0EEENS1_48merge_mergepath_partition_config_static_selectorELNS0_4arch9wavefront6targetE1EEEvSJ_.num_vgpr, 0
	.set _ZN7rocprim17ROCPRIM_400000_NS6detail17trampoline_kernelINS0_14default_configENS1_38merge_sort_block_merge_config_selectorIffEEZZNS1_27merge_sort_block_merge_implIS3_N6thrust23THRUST_200600_302600_NS6detail15normal_iteratorINS8_10device_ptrIfEEEESD_jNS1_19radix_merge_compareILb0ELb0EfNS0_19identity_decomposerEEEEE10hipError_tT0_T1_T2_jT3_P12ihipStream_tbPNSt15iterator_traitsISI_E10value_typeEPNSO_ISJ_E10value_typeEPSK_NS1_7vsmem_tEENKUlT_SI_SJ_SK_E_clISD_PfSD_S10_EESH_SX_SI_SJ_SK_EUlSX_E_NS1_11comp_targetILNS1_3genE3ELNS1_11target_archE908ELNS1_3gpuE7ELNS1_3repE0EEENS1_48merge_mergepath_partition_config_static_selectorELNS0_4arch9wavefront6targetE1EEEvSJ_.num_agpr, 0
	.set _ZN7rocprim17ROCPRIM_400000_NS6detail17trampoline_kernelINS0_14default_configENS1_38merge_sort_block_merge_config_selectorIffEEZZNS1_27merge_sort_block_merge_implIS3_N6thrust23THRUST_200600_302600_NS6detail15normal_iteratorINS8_10device_ptrIfEEEESD_jNS1_19radix_merge_compareILb0ELb0EfNS0_19identity_decomposerEEEEE10hipError_tT0_T1_T2_jT3_P12ihipStream_tbPNSt15iterator_traitsISI_E10value_typeEPNSO_ISJ_E10value_typeEPSK_NS1_7vsmem_tEENKUlT_SI_SJ_SK_E_clISD_PfSD_S10_EESH_SX_SI_SJ_SK_EUlSX_E_NS1_11comp_targetILNS1_3genE3ELNS1_11target_archE908ELNS1_3gpuE7ELNS1_3repE0EEENS1_48merge_mergepath_partition_config_static_selectorELNS0_4arch9wavefront6targetE1EEEvSJ_.numbered_sgpr, 0
	.set _ZN7rocprim17ROCPRIM_400000_NS6detail17trampoline_kernelINS0_14default_configENS1_38merge_sort_block_merge_config_selectorIffEEZZNS1_27merge_sort_block_merge_implIS3_N6thrust23THRUST_200600_302600_NS6detail15normal_iteratorINS8_10device_ptrIfEEEESD_jNS1_19radix_merge_compareILb0ELb0EfNS0_19identity_decomposerEEEEE10hipError_tT0_T1_T2_jT3_P12ihipStream_tbPNSt15iterator_traitsISI_E10value_typeEPNSO_ISJ_E10value_typeEPSK_NS1_7vsmem_tEENKUlT_SI_SJ_SK_E_clISD_PfSD_S10_EESH_SX_SI_SJ_SK_EUlSX_E_NS1_11comp_targetILNS1_3genE3ELNS1_11target_archE908ELNS1_3gpuE7ELNS1_3repE0EEENS1_48merge_mergepath_partition_config_static_selectorELNS0_4arch9wavefront6targetE1EEEvSJ_.num_named_barrier, 0
	.set _ZN7rocprim17ROCPRIM_400000_NS6detail17trampoline_kernelINS0_14default_configENS1_38merge_sort_block_merge_config_selectorIffEEZZNS1_27merge_sort_block_merge_implIS3_N6thrust23THRUST_200600_302600_NS6detail15normal_iteratorINS8_10device_ptrIfEEEESD_jNS1_19radix_merge_compareILb0ELb0EfNS0_19identity_decomposerEEEEE10hipError_tT0_T1_T2_jT3_P12ihipStream_tbPNSt15iterator_traitsISI_E10value_typeEPNSO_ISJ_E10value_typeEPSK_NS1_7vsmem_tEENKUlT_SI_SJ_SK_E_clISD_PfSD_S10_EESH_SX_SI_SJ_SK_EUlSX_E_NS1_11comp_targetILNS1_3genE3ELNS1_11target_archE908ELNS1_3gpuE7ELNS1_3repE0EEENS1_48merge_mergepath_partition_config_static_selectorELNS0_4arch9wavefront6targetE1EEEvSJ_.private_seg_size, 0
	.set _ZN7rocprim17ROCPRIM_400000_NS6detail17trampoline_kernelINS0_14default_configENS1_38merge_sort_block_merge_config_selectorIffEEZZNS1_27merge_sort_block_merge_implIS3_N6thrust23THRUST_200600_302600_NS6detail15normal_iteratorINS8_10device_ptrIfEEEESD_jNS1_19radix_merge_compareILb0ELb0EfNS0_19identity_decomposerEEEEE10hipError_tT0_T1_T2_jT3_P12ihipStream_tbPNSt15iterator_traitsISI_E10value_typeEPNSO_ISJ_E10value_typeEPSK_NS1_7vsmem_tEENKUlT_SI_SJ_SK_E_clISD_PfSD_S10_EESH_SX_SI_SJ_SK_EUlSX_E_NS1_11comp_targetILNS1_3genE3ELNS1_11target_archE908ELNS1_3gpuE7ELNS1_3repE0EEENS1_48merge_mergepath_partition_config_static_selectorELNS0_4arch9wavefront6targetE1EEEvSJ_.uses_vcc, 0
	.set _ZN7rocprim17ROCPRIM_400000_NS6detail17trampoline_kernelINS0_14default_configENS1_38merge_sort_block_merge_config_selectorIffEEZZNS1_27merge_sort_block_merge_implIS3_N6thrust23THRUST_200600_302600_NS6detail15normal_iteratorINS8_10device_ptrIfEEEESD_jNS1_19radix_merge_compareILb0ELb0EfNS0_19identity_decomposerEEEEE10hipError_tT0_T1_T2_jT3_P12ihipStream_tbPNSt15iterator_traitsISI_E10value_typeEPNSO_ISJ_E10value_typeEPSK_NS1_7vsmem_tEENKUlT_SI_SJ_SK_E_clISD_PfSD_S10_EESH_SX_SI_SJ_SK_EUlSX_E_NS1_11comp_targetILNS1_3genE3ELNS1_11target_archE908ELNS1_3gpuE7ELNS1_3repE0EEENS1_48merge_mergepath_partition_config_static_selectorELNS0_4arch9wavefront6targetE1EEEvSJ_.uses_flat_scratch, 0
	.set _ZN7rocprim17ROCPRIM_400000_NS6detail17trampoline_kernelINS0_14default_configENS1_38merge_sort_block_merge_config_selectorIffEEZZNS1_27merge_sort_block_merge_implIS3_N6thrust23THRUST_200600_302600_NS6detail15normal_iteratorINS8_10device_ptrIfEEEESD_jNS1_19radix_merge_compareILb0ELb0EfNS0_19identity_decomposerEEEEE10hipError_tT0_T1_T2_jT3_P12ihipStream_tbPNSt15iterator_traitsISI_E10value_typeEPNSO_ISJ_E10value_typeEPSK_NS1_7vsmem_tEENKUlT_SI_SJ_SK_E_clISD_PfSD_S10_EESH_SX_SI_SJ_SK_EUlSX_E_NS1_11comp_targetILNS1_3genE3ELNS1_11target_archE908ELNS1_3gpuE7ELNS1_3repE0EEENS1_48merge_mergepath_partition_config_static_selectorELNS0_4arch9wavefront6targetE1EEEvSJ_.has_dyn_sized_stack, 0
	.set _ZN7rocprim17ROCPRIM_400000_NS6detail17trampoline_kernelINS0_14default_configENS1_38merge_sort_block_merge_config_selectorIffEEZZNS1_27merge_sort_block_merge_implIS3_N6thrust23THRUST_200600_302600_NS6detail15normal_iteratorINS8_10device_ptrIfEEEESD_jNS1_19radix_merge_compareILb0ELb0EfNS0_19identity_decomposerEEEEE10hipError_tT0_T1_T2_jT3_P12ihipStream_tbPNSt15iterator_traitsISI_E10value_typeEPNSO_ISJ_E10value_typeEPSK_NS1_7vsmem_tEENKUlT_SI_SJ_SK_E_clISD_PfSD_S10_EESH_SX_SI_SJ_SK_EUlSX_E_NS1_11comp_targetILNS1_3genE3ELNS1_11target_archE908ELNS1_3gpuE7ELNS1_3repE0EEENS1_48merge_mergepath_partition_config_static_selectorELNS0_4arch9wavefront6targetE1EEEvSJ_.has_recursion, 0
	.set _ZN7rocprim17ROCPRIM_400000_NS6detail17trampoline_kernelINS0_14default_configENS1_38merge_sort_block_merge_config_selectorIffEEZZNS1_27merge_sort_block_merge_implIS3_N6thrust23THRUST_200600_302600_NS6detail15normal_iteratorINS8_10device_ptrIfEEEESD_jNS1_19radix_merge_compareILb0ELb0EfNS0_19identity_decomposerEEEEE10hipError_tT0_T1_T2_jT3_P12ihipStream_tbPNSt15iterator_traitsISI_E10value_typeEPNSO_ISJ_E10value_typeEPSK_NS1_7vsmem_tEENKUlT_SI_SJ_SK_E_clISD_PfSD_S10_EESH_SX_SI_SJ_SK_EUlSX_E_NS1_11comp_targetILNS1_3genE3ELNS1_11target_archE908ELNS1_3gpuE7ELNS1_3repE0EEENS1_48merge_mergepath_partition_config_static_selectorELNS0_4arch9wavefront6targetE1EEEvSJ_.has_indirect_call, 0
	.section	.AMDGPU.csdata,"",@progbits
; Kernel info:
; codeLenInByte = 0
; TotalNumSgprs: 6
; NumVgprs: 0
; NumAgprs: 0
; TotalNumVgprs: 0
; ScratchSize: 0
; MemoryBound: 0
; FloatMode: 240
; IeeeMode: 1
; LDSByteSize: 0 bytes/workgroup (compile time only)
; SGPRBlocks: 0
; VGPRBlocks: 0
; NumSGPRsForWavesPerEU: 6
; NumVGPRsForWavesPerEU: 1
; AccumOffset: 4
; Occupancy: 8
; WaveLimiterHint : 0
; COMPUTE_PGM_RSRC2:SCRATCH_EN: 0
; COMPUTE_PGM_RSRC2:USER_SGPR: 2
; COMPUTE_PGM_RSRC2:TRAP_HANDLER: 0
; COMPUTE_PGM_RSRC2:TGID_X_EN: 1
; COMPUTE_PGM_RSRC2:TGID_Y_EN: 0
; COMPUTE_PGM_RSRC2:TGID_Z_EN: 0
; COMPUTE_PGM_RSRC2:TIDIG_COMP_CNT: 0
; COMPUTE_PGM_RSRC3_GFX90A:ACCUM_OFFSET: 0
; COMPUTE_PGM_RSRC3_GFX90A:TG_SPLIT: 0
	.section	.text._ZN7rocprim17ROCPRIM_400000_NS6detail17trampoline_kernelINS0_14default_configENS1_38merge_sort_block_merge_config_selectorIffEEZZNS1_27merge_sort_block_merge_implIS3_N6thrust23THRUST_200600_302600_NS6detail15normal_iteratorINS8_10device_ptrIfEEEESD_jNS1_19radix_merge_compareILb0ELb0EfNS0_19identity_decomposerEEEEE10hipError_tT0_T1_T2_jT3_P12ihipStream_tbPNSt15iterator_traitsISI_E10value_typeEPNSO_ISJ_E10value_typeEPSK_NS1_7vsmem_tEENKUlT_SI_SJ_SK_E_clISD_PfSD_S10_EESH_SX_SI_SJ_SK_EUlSX_E_NS1_11comp_targetILNS1_3genE2ELNS1_11target_archE906ELNS1_3gpuE6ELNS1_3repE0EEENS1_48merge_mergepath_partition_config_static_selectorELNS0_4arch9wavefront6targetE1EEEvSJ_,"axG",@progbits,_ZN7rocprim17ROCPRIM_400000_NS6detail17trampoline_kernelINS0_14default_configENS1_38merge_sort_block_merge_config_selectorIffEEZZNS1_27merge_sort_block_merge_implIS3_N6thrust23THRUST_200600_302600_NS6detail15normal_iteratorINS8_10device_ptrIfEEEESD_jNS1_19radix_merge_compareILb0ELb0EfNS0_19identity_decomposerEEEEE10hipError_tT0_T1_T2_jT3_P12ihipStream_tbPNSt15iterator_traitsISI_E10value_typeEPNSO_ISJ_E10value_typeEPSK_NS1_7vsmem_tEENKUlT_SI_SJ_SK_E_clISD_PfSD_S10_EESH_SX_SI_SJ_SK_EUlSX_E_NS1_11comp_targetILNS1_3genE2ELNS1_11target_archE906ELNS1_3gpuE6ELNS1_3repE0EEENS1_48merge_mergepath_partition_config_static_selectorELNS0_4arch9wavefront6targetE1EEEvSJ_,comdat
	.protected	_ZN7rocprim17ROCPRIM_400000_NS6detail17trampoline_kernelINS0_14default_configENS1_38merge_sort_block_merge_config_selectorIffEEZZNS1_27merge_sort_block_merge_implIS3_N6thrust23THRUST_200600_302600_NS6detail15normal_iteratorINS8_10device_ptrIfEEEESD_jNS1_19radix_merge_compareILb0ELb0EfNS0_19identity_decomposerEEEEE10hipError_tT0_T1_T2_jT3_P12ihipStream_tbPNSt15iterator_traitsISI_E10value_typeEPNSO_ISJ_E10value_typeEPSK_NS1_7vsmem_tEENKUlT_SI_SJ_SK_E_clISD_PfSD_S10_EESH_SX_SI_SJ_SK_EUlSX_E_NS1_11comp_targetILNS1_3genE2ELNS1_11target_archE906ELNS1_3gpuE6ELNS1_3repE0EEENS1_48merge_mergepath_partition_config_static_selectorELNS0_4arch9wavefront6targetE1EEEvSJ_ ; -- Begin function _ZN7rocprim17ROCPRIM_400000_NS6detail17trampoline_kernelINS0_14default_configENS1_38merge_sort_block_merge_config_selectorIffEEZZNS1_27merge_sort_block_merge_implIS3_N6thrust23THRUST_200600_302600_NS6detail15normal_iteratorINS8_10device_ptrIfEEEESD_jNS1_19radix_merge_compareILb0ELb0EfNS0_19identity_decomposerEEEEE10hipError_tT0_T1_T2_jT3_P12ihipStream_tbPNSt15iterator_traitsISI_E10value_typeEPNSO_ISJ_E10value_typeEPSK_NS1_7vsmem_tEENKUlT_SI_SJ_SK_E_clISD_PfSD_S10_EESH_SX_SI_SJ_SK_EUlSX_E_NS1_11comp_targetILNS1_3genE2ELNS1_11target_archE906ELNS1_3gpuE6ELNS1_3repE0EEENS1_48merge_mergepath_partition_config_static_selectorELNS0_4arch9wavefront6targetE1EEEvSJ_
	.globl	_ZN7rocprim17ROCPRIM_400000_NS6detail17trampoline_kernelINS0_14default_configENS1_38merge_sort_block_merge_config_selectorIffEEZZNS1_27merge_sort_block_merge_implIS3_N6thrust23THRUST_200600_302600_NS6detail15normal_iteratorINS8_10device_ptrIfEEEESD_jNS1_19radix_merge_compareILb0ELb0EfNS0_19identity_decomposerEEEEE10hipError_tT0_T1_T2_jT3_P12ihipStream_tbPNSt15iterator_traitsISI_E10value_typeEPNSO_ISJ_E10value_typeEPSK_NS1_7vsmem_tEENKUlT_SI_SJ_SK_E_clISD_PfSD_S10_EESH_SX_SI_SJ_SK_EUlSX_E_NS1_11comp_targetILNS1_3genE2ELNS1_11target_archE906ELNS1_3gpuE6ELNS1_3repE0EEENS1_48merge_mergepath_partition_config_static_selectorELNS0_4arch9wavefront6targetE1EEEvSJ_
	.p2align	8
	.type	_ZN7rocprim17ROCPRIM_400000_NS6detail17trampoline_kernelINS0_14default_configENS1_38merge_sort_block_merge_config_selectorIffEEZZNS1_27merge_sort_block_merge_implIS3_N6thrust23THRUST_200600_302600_NS6detail15normal_iteratorINS8_10device_ptrIfEEEESD_jNS1_19radix_merge_compareILb0ELb0EfNS0_19identity_decomposerEEEEE10hipError_tT0_T1_T2_jT3_P12ihipStream_tbPNSt15iterator_traitsISI_E10value_typeEPNSO_ISJ_E10value_typeEPSK_NS1_7vsmem_tEENKUlT_SI_SJ_SK_E_clISD_PfSD_S10_EESH_SX_SI_SJ_SK_EUlSX_E_NS1_11comp_targetILNS1_3genE2ELNS1_11target_archE906ELNS1_3gpuE6ELNS1_3repE0EEENS1_48merge_mergepath_partition_config_static_selectorELNS0_4arch9wavefront6targetE1EEEvSJ_,@function
_ZN7rocprim17ROCPRIM_400000_NS6detail17trampoline_kernelINS0_14default_configENS1_38merge_sort_block_merge_config_selectorIffEEZZNS1_27merge_sort_block_merge_implIS3_N6thrust23THRUST_200600_302600_NS6detail15normal_iteratorINS8_10device_ptrIfEEEESD_jNS1_19radix_merge_compareILb0ELb0EfNS0_19identity_decomposerEEEEE10hipError_tT0_T1_T2_jT3_P12ihipStream_tbPNSt15iterator_traitsISI_E10value_typeEPNSO_ISJ_E10value_typeEPSK_NS1_7vsmem_tEENKUlT_SI_SJ_SK_E_clISD_PfSD_S10_EESH_SX_SI_SJ_SK_EUlSX_E_NS1_11comp_targetILNS1_3genE2ELNS1_11target_archE906ELNS1_3gpuE6ELNS1_3repE0EEENS1_48merge_mergepath_partition_config_static_selectorELNS0_4arch9wavefront6targetE1EEEvSJ_: ; @_ZN7rocprim17ROCPRIM_400000_NS6detail17trampoline_kernelINS0_14default_configENS1_38merge_sort_block_merge_config_selectorIffEEZZNS1_27merge_sort_block_merge_implIS3_N6thrust23THRUST_200600_302600_NS6detail15normal_iteratorINS8_10device_ptrIfEEEESD_jNS1_19radix_merge_compareILb0ELb0EfNS0_19identity_decomposerEEEEE10hipError_tT0_T1_T2_jT3_P12ihipStream_tbPNSt15iterator_traitsISI_E10value_typeEPNSO_ISJ_E10value_typeEPSK_NS1_7vsmem_tEENKUlT_SI_SJ_SK_E_clISD_PfSD_S10_EESH_SX_SI_SJ_SK_EUlSX_E_NS1_11comp_targetILNS1_3genE2ELNS1_11target_archE906ELNS1_3gpuE6ELNS1_3repE0EEENS1_48merge_mergepath_partition_config_static_selectorELNS0_4arch9wavefront6targetE1EEEvSJ_
; %bb.0:
	.section	.rodata,"a",@progbits
	.p2align	6, 0x0
	.amdhsa_kernel _ZN7rocprim17ROCPRIM_400000_NS6detail17trampoline_kernelINS0_14default_configENS1_38merge_sort_block_merge_config_selectorIffEEZZNS1_27merge_sort_block_merge_implIS3_N6thrust23THRUST_200600_302600_NS6detail15normal_iteratorINS8_10device_ptrIfEEEESD_jNS1_19radix_merge_compareILb0ELb0EfNS0_19identity_decomposerEEEEE10hipError_tT0_T1_T2_jT3_P12ihipStream_tbPNSt15iterator_traitsISI_E10value_typeEPNSO_ISJ_E10value_typeEPSK_NS1_7vsmem_tEENKUlT_SI_SJ_SK_E_clISD_PfSD_S10_EESH_SX_SI_SJ_SK_EUlSX_E_NS1_11comp_targetILNS1_3genE2ELNS1_11target_archE906ELNS1_3gpuE6ELNS1_3repE0EEENS1_48merge_mergepath_partition_config_static_selectorELNS0_4arch9wavefront6targetE1EEEvSJ_
		.amdhsa_group_segment_fixed_size 0
		.amdhsa_private_segment_fixed_size 0
		.amdhsa_kernarg_size 40
		.amdhsa_user_sgpr_count 2
		.amdhsa_user_sgpr_dispatch_ptr 0
		.amdhsa_user_sgpr_queue_ptr 0
		.amdhsa_user_sgpr_kernarg_segment_ptr 1
		.amdhsa_user_sgpr_dispatch_id 0
		.amdhsa_user_sgpr_kernarg_preload_length 0
		.amdhsa_user_sgpr_kernarg_preload_offset 0
		.amdhsa_user_sgpr_private_segment_size 0
		.amdhsa_uses_dynamic_stack 0
		.amdhsa_enable_private_segment 0
		.amdhsa_system_sgpr_workgroup_id_x 1
		.amdhsa_system_sgpr_workgroup_id_y 0
		.amdhsa_system_sgpr_workgroup_id_z 0
		.amdhsa_system_sgpr_workgroup_info 0
		.amdhsa_system_vgpr_workitem_id 0
		.amdhsa_next_free_vgpr 1
		.amdhsa_next_free_sgpr 0
		.amdhsa_accum_offset 4
		.amdhsa_reserve_vcc 0
		.amdhsa_float_round_mode_32 0
		.amdhsa_float_round_mode_16_64 0
		.amdhsa_float_denorm_mode_32 3
		.amdhsa_float_denorm_mode_16_64 3
		.amdhsa_dx10_clamp 1
		.amdhsa_ieee_mode 1
		.amdhsa_fp16_overflow 0
		.amdhsa_tg_split 0
		.amdhsa_exception_fp_ieee_invalid_op 0
		.amdhsa_exception_fp_denorm_src 0
		.amdhsa_exception_fp_ieee_div_zero 0
		.amdhsa_exception_fp_ieee_overflow 0
		.amdhsa_exception_fp_ieee_underflow 0
		.amdhsa_exception_fp_ieee_inexact 0
		.amdhsa_exception_int_div_zero 0
	.end_amdhsa_kernel
	.section	.text._ZN7rocprim17ROCPRIM_400000_NS6detail17trampoline_kernelINS0_14default_configENS1_38merge_sort_block_merge_config_selectorIffEEZZNS1_27merge_sort_block_merge_implIS3_N6thrust23THRUST_200600_302600_NS6detail15normal_iteratorINS8_10device_ptrIfEEEESD_jNS1_19radix_merge_compareILb0ELb0EfNS0_19identity_decomposerEEEEE10hipError_tT0_T1_T2_jT3_P12ihipStream_tbPNSt15iterator_traitsISI_E10value_typeEPNSO_ISJ_E10value_typeEPSK_NS1_7vsmem_tEENKUlT_SI_SJ_SK_E_clISD_PfSD_S10_EESH_SX_SI_SJ_SK_EUlSX_E_NS1_11comp_targetILNS1_3genE2ELNS1_11target_archE906ELNS1_3gpuE6ELNS1_3repE0EEENS1_48merge_mergepath_partition_config_static_selectorELNS0_4arch9wavefront6targetE1EEEvSJ_,"axG",@progbits,_ZN7rocprim17ROCPRIM_400000_NS6detail17trampoline_kernelINS0_14default_configENS1_38merge_sort_block_merge_config_selectorIffEEZZNS1_27merge_sort_block_merge_implIS3_N6thrust23THRUST_200600_302600_NS6detail15normal_iteratorINS8_10device_ptrIfEEEESD_jNS1_19radix_merge_compareILb0ELb0EfNS0_19identity_decomposerEEEEE10hipError_tT0_T1_T2_jT3_P12ihipStream_tbPNSt15iterator_traitsISI_E10value_typeEPNSO_ISJ_E10value_typeEPSK_NS1_7vsmem_tEENKUlT_SI_SJ_SK_E_clISD_PfSD_S10_EESH_SX_SI_SJ_SK_EUlSX_E_NS1_11comp_targetILNS1_3genE2ELNS1_11target_archE906ELNS1_3gpuE6ELNS1_3repE0EEENS1_48merge_mergepath_partition_config_static_selectorELNS0_4arch9wavefront6targetE1EEEvSJ_,comdat
.Lfunc_end250:
	.size	_ZN7rocprim17ROCPRIM_400000_NS6detail17trampoline_kernelINS0_14default_configENS1_38merge_sort_block_merge_config_selectorIffEEZZNS1_27merge_sort_block_merge_implIS3_N6thrust23THRUST_200600_302600_NS6detail15normal_iteratorINS8_10device_ptrIfEEEESD_jNS1_19radix_merge_compareILb0ELb0EfNS0_19identity_decomposerEEEEE10hipError_tT0_T1_T2_jT3_P12ihipStream_tbPNSt15iterator_traitsISI_E10value_typeEPNSO_ISJ_E10value_typeEPSK_NS1_7vsmem_tEENKUlT_SI_SJ_SK_E_clISD_PfSD_S10_EESH_SX_SI_SJ_SK_EUlSX_E_NS1_11comp_targetILNS1_3genE2ELNS1_11target_archE906ELNS1_3gpuE6ELNS1_3repE0EEENS1_48merge_mergepath_partition_config_static_selectorELNS0_4arch9wavefront6targetE1EEEvSJ_, .Lfunc_end250-_ZN7rocprim17ROCPRIM_400000_NS6detail17trampoline_kernelINS0_14default_configENS1_38merge_sort_block_merge_config_selectorIffEEZZNS1_27merge_sort_block_merge_implIS3_N6thrust23THRUST_200600_302600_NS6detail15normal_iteratorINS8_10device_ptrIfEEEESD_jNS1_19radix_merge_compareILb0ELb0EfNS0_19identity_decomposerEEEEE10hipError_tT0_T1_T2_jT3_P12ihipStream_tbPNSt15iterator_traitsISI_E10value_typeEPNSO_ISJ_E10value_typeEPSK_NS1_7vsmem_tEENKUlT_SI_SJ_SK_E_clISD_PfSD_S10_EESH_SX_SI_SJ_SK_EUlSX_E_NS1_11comp_targetILNS1_3genE2ELNS1_11target_archE906ELNS1_3gpuE6ELNS1_3repE0EEENS1_48merge_mergepath_partition_config_static_selectorELNS0_4arch9wavefront6targetE1EEEvSJ_
                                        ; -- End function
	.set _ZN7rocprim17ROCPRIM_400000_NS6detail17trampoline_kernelINS0_14default_configENS1_38merge_sort_block_merge_config_selectorIffEEZZNS1_27merge_sort_block_merge_implIS3_N6thrust23THRUST_200600_302600_NS6detail15normal_iteratorINS8_10device_ptrIfEEEESD_jNS1_19radix_merge_compareILb0ELb0EfNS0_19identity_decomposerEEEEE10hipError_tT0_T1_T2_jT3_P12ihipStream_tbPNSt15iterator_traitsISI_E10value_typeEPNSO_ISJ_E10value_typeEPSK_NS1_7vsmem_tEENKUlT_SI_SJ_SK_E_clISD_PfSD_S10_EESH_SX_SI_SJ_SK_EUlSX_E_NS1_11comp_targetILNS1_3genE2ELNS1_11target_archE906ELNS1_3gpuE6ELNS1_3repE0EEENS1_48merge_mergepath_partition_config_static_selectorELNS0_4arch9wavefront6targetE1EEEvSJ_.num_vgpr, 0
	.set _ZN7rocprim17ROCPRIM_400000_NS6detail17trampoline_kernelINS0_14default_configENS1_38merge_sort_block_merge_config_selectorIffEEZZNS1_27merge_sort_block_merge_implIS3_N6thrust23THRUST_200600_302600_NS6detail15normal_iteratorINS8_10device_ptrIfEEEESD_jNS1_19radix_merge_compareILb0ELb0EfNS0_19identity_decomposerEEEEE10hipError_tT0_T1_T2_jT3_P12ihipStream_tbPNSt15iterator_traitsISI_E10value_typeEPNSO_ISJ_E10value_typeEPSK_NS1_7vsmem_tEENKUlT_SI_SJ_SK_E_clISD_PfSD_S10_EESH_SX_SI_SJ_SK_EUlSX_E_NS1_11comp_targetILNS1_3genE2ELNS1_11target_archE906ELNS1_3gpuE6ELNS1_3repE0EEENS1_48merge_mergepath_partition_config_static_selectorELNS0_4arch9wavefront6targetE1EEEvSJ_.num_agpr, 0
	.set _ZN7rocprim17ROCPRIM_400000_NS6detail17trampoline_kernelINS0_14default_configENS1_38merge_sort_block_merge_config_selectorIffEEZZNS1_27merge_sort_block_merge_implIS3_N6thrust23THRUST_200600_302600_NS6detail15normal_iteratorINS8_10device_ptrIfEEEESD_jNS1_19radix_merge_compareILb0ELb0EfNS0_19identity_decomposerEEEEE10hipError_tT0_T1_T2_jT3_P12ihipStream_tbPNSt15iterator_traitsISI_E10value_typeEPNSO_ISJ_E10value_typeEPSK_NS1_7vsmem_tEENKUlT_SI_SJ_SK_E_clISD_PfSD_S10_EESH_SX_SI_SJ_SK_EUlSX_E_NS1_11comp_targetILNS1_3genE2ELNS1_11target_archE906ELNS1_3gpuE6ELNS1_3repE0EEENS1_48merge_mergepath_partition_config_static_selectorELNS0_4arch9wavefront6targetE1EEEvSJ_.numbered_sgpr, 0
	.set _ZN7rocprim17ROCPRIM_400000_NS6detail17trampoline_kernelINS0_14default_configENS1_38merge_sort_block_merge_config_selectorIffEEZZNS1_27merge_sort_block_merge_implIS3_N6thrust23THRUST_200600_302600_NS6detail15normal_iteratorINS8_10device_ptrIfEEEESD_jNS1_19radix_merge_compareILb0ELb0EfNS0_19identity_decomposerEEEEE10hipError_tT0_T1_T2_jT3_P12ihipStream_tbPNSt15iterator_traitsISI_E10value_typeEPNSO_ISJ_E10value_typeEPSK_NS1_7vsmem_tEENKUlT_SI_SJ_SK_E_clISD_PfSD_S10_EESH_SX_SI_SJ_SK_EUlSX_E_NS1_11comp_targetILNS1_3genE2ELNS1_11target_archE906ELNS1_3gpuE6ELNS1_3repE0EEENS1_48merge_mergepath_partition_config_static_selectorELNS0_4arch9wavefront6targetE1EEEvSJ_.num_named_barrier, 0
	.set _ZN7rocprim17ROCPRIM_400000_NS6detail17trampoline_kernelINS0_14default_configENS1_38merge_sort_block_merge_config_selectorIffEEZZNS1_27merge_sort_block_merge_implIS3_N6thrust23THRUST_200600_302600_NS6detail15normal_iteratorINS8_10device_ptrIfEEEESD_jNS1_19radix_merge_compareILb0ELb0EfNS0_19identity_decomposerEEEEE10hipError_tT0_T1_T2_jT3_P12ihipStream_tbPNSt15iterator_traitsISI_E10value_typeEPNSO_ISJ_E10value_typeEPSK_NS1_7vsmem_tEENKUlT_SI_SJ_SK_E_clISD_PfSD_S10_EESH_SX_SI_SJ_SK_EUlSX_E_NS1_11comp_targetILNS1_3genE2ELNS1_11target_archE906ELNS1_3gpuE6ELNS1_3repE0EEENS1_48merge_mergepath_partition_config_static_selectorELNS0_4arch9wavefront6targetE1EEEvSJ_.private_seg_size, 0
	.set _ZN7rocprim17ROCPRIM_400000_NS6detail17trampoline_kernelINS0_14default_configENS1_38merge_sort_block_merge_config_selectorIffEEZZNS1_27merge_sort_block_merge_implIS3_N6thrust23THRUST_200600_302600_NS6detail15normal_iteratorINS8_10device_ptrIfEEEESD_jNS1_19radix_merge_compareILb0ELb0EfNS0_19identity_decomposerEEEEE10hipError_tT0_T1_T2_jT3_P12ihipStream_tbPNSt15iterator_traitsISI_E10value_typeEPNSO_ISJ_E10value_typeEPSK_NS1_7vsmem_tEENKUlT_SI_SJ_SK_E_clISD_PfSD_S10_EESH_SX_SI_SJ_SK_EUlSX_E_NS1_11comp_targetILNS1_3genE2ELNS1_11target_archE906ELNS1_3gpuE6ELNS1_3repE0EEENS1_48merge_mergepath_partition_config_static_selectorELNS0_4arch9wavefront6targetE1EEEvSJ_.uses_vcc, 0
	.set _ZN7rocprim17ROCPRIM_400000_NS6detail17trampoline_kernelINS0_14default_configENS1_38merge_sort_block_merge_config_selectorIffEEZZNS1_27merge_sort_block_merge_implIS3_N6thrust23THRUST_200600_302600_NS6detail15normal_iteratorINS8_10device_ptrIfEEEESD_jNS1_19radix_merge_compareILb0ELb0EfNS0_19identity_decomposerEEEEE10hipError_tT0_T1_T2_jT3_P12ihipStream_tbPNSt15iterator_traitsISI_E10value_typeEPNSO_ISJ_E10value_typeEPSK_NS1_7vsmem_tEENKUlT_SI_SJ_SK_E_clISD_PfSD_S10_EESH_SX_SI_SJ_SK_EUlSX_E_NS1_11comp_targetILNS1_3genE2ELNS1_11target_archE906ELNS1_3gpuE6ELNS1_3repE0EEENS1_48merge_mergepath_partition_config_static_selectorELNS0_4arch9wavefront6targetE1EEEvSJ_.uses_flat_scratch, 0
	.set _ZN7rocprim17ROCPRIM_400000_NS6detail17trampoline_kernelINS0_14default_configENS1_38merge_sort_block_merge_config_selectorIffEEZZNS1_27merge_sort_block_merge_implIS3_N6thrust23THRUST_200600_302600_NS6detail15normal_iteratorINS8_10device_ptrIfEEEESD_jNS1_19radix_merge_compareILb0ELb0EfNS0_19identity_decomposerEEEEE10hipError_tT0_T1_T2_jT3_P12ihipStream_tbPNSt15iterator_traitsISI_E10value_typeEPNSO_ISJ_E10value_typeEPSK_NS1_7vsmem_tEENKUlT_SI_SJ_SK_E_clISD_PfSD_S10_EESH_SX_SI_SJ_SK_EUlSX_E_NS1_11comp_targetILNS1_3genE2ELNS1_11target_archE906ELNS1_3gpuE6ELNS1_3repE0EEENS1_48merge_mergepath_partition_config_static_selectorELNS0_4arch9wavefront6targetE1EEEvSJ_.has_dyn_sized_stack, 0
	.set _ZN7rocprim17ROCPRIM_400000_NS6detail17trampoline_kernelINS0_14default_configENS1_38merge_sort_block_merge_config_selectorIffEEZZNS1_27merge_sort_block_merge_implIS3_N6thrust23THRUST_200600_302600_NS6detail15normal_iteratorINS8_10device_ptrIfEEEESD_jNS1_19radix_merge_compareILb0ELb0EfNS0_19identity_decomposerEEEEE10hipError_tT0_T1_T2_jT3_P12ihipStream_tbPNSt15iterator_traitsISI_E10value_typeEPNSO_ISJ_E10value_typeEPSK_NS1_7vsmem_tEENKUlT_SI_SJ_SK_E_clISD_PfSD_S10_EESH_SX_SI_SJ_SK_EUlSX_E_NS1_11comp_targetILNS1_3genE2ELNS1_11target_archE906ELNS1_3gpuE6ELNS1_3repE0EEENS1_48merge_mergepath_partition_config_static_selectorELNS0_4arch9wavefront6targetE1EEEvSJ_.has_recursion, 0
	.set _ZN7rocprim17ROCPRIM_400000_NS6detail17trampoline_kernelINS0_14default_configENS1_38merge_sort_block_merge_config_selectorIffEEZZNS1_27merge_sort_block_merge_implIS3_N6thrust23THRUST_200600_302600_NS6detail15normal_iteratorINS8_10device_ptrIfEEEESD_jNS1_19radix_merge_compareILb0ELb0EfNS0_19identity_decomposerEEEEE10hipError_tT0_T1_T2_jT3_P12ihipStream_tbPNSt15iterator_traitsISI_E10value_typeEPNSO_ISJ_E10value_typeEPSK_NS1_7vsmem_tEENKUlT_SI_SJ_SK_E_clISD_PfSD_S10_EESH_SX_SI_SJ_SK_EUlSX_E_NS1_11comp_targetILNS1_3genE2ELNS1_11target_archE906ELNS1_3gpuE6ELNS1_3repE0EEENS1_48merge_mergepath_partition_config_static_selectorELNS0_4arch9wavefront6targetE1EEEvSJ_.has_indirect_call, 0
	.section	.AMDGPU.csdata,"",@progbits
; Kernel info:
; codeLenInByte = 0
; TotalNumSgprs: 6
; NumVgprs: 0
; NumAgprs: 0
; TotalNumVgprs: 0
; ScratchSize: 0
; MemoryBound: 0
; FloatMode: 240
; IeeeMode: 1
; LDSByteSize: 0 bytes/workgroup (compile time only)
; SGPRBlocks: 0
; VGPRBlocks: 0
; NumSGPRsForWavesPerEU: 6
; NumVGPRsForWavesPerEU: 1
; AccumOffset: 4
; Occupancy: 8
; WaveLimiterHint : 0
; COMPUTE_PGM_RSRC2:SCRATCH_EN: 0
; COMPUTE_PGM_RSRC2:USER_SGPR: 2
; COMPUTE_PGM_RSRC2:TRAP_HANDLER: 0
; COMPUTE_PGM_RSRC2:TGID_X_EN: 1
; COMPUTE_PGM_RSRC2:TGID_Y_EN: 0
; COMPUTE_PGM_RSRC2:TGID_Z_EN: 0
; COMPUTE_PGM_RSRC2:TIDIG_COMP_CNT: 0
; COMPUTE_PGM_RSRC3_GFX90A:ACCUM_OFFSET: 0
; COMPUTE_PGM_RSRC3_GFX90A:TG_SPLIT: 0
	.section	.text._ZN7rocprim17ROCPRIM_400000_NS6detail17trampoline_kernelINS0_14default_configENS1_38merge_sort_block_merge_config_selectorIffEEZZNS1_27merge_sort_block_merge_implIS3_N6thrust23THRUST_200600_302600_NS6detail15normal_iteratorINS8_10device_ptrIfEEEESD_jNS1_19radix_merge_compareILb0ELb0EfNS0_19identity_decomposerEEEEE10hipError_tT0_T1_T2_jT3_P12ihipStream_tbPNSt15iterator_traitsISI_E10value_typeEPNSO_ISJ_E10value_typeEPSK_NS1_7vsmem_tEENKUlT_SI_SJ_SK_E_clISD_PfSD_S10_EESH_SX_SI_SJ_SK_EUlSX_E_NS1_11comp_targetILNS1_3genE9ELNS1_11target_archE1100ELNS1_3gpuE3ELNS1_3repE0EEENS1_48merge_mergepath_partition_config_static_selectorELNS0_4arch9wavefront6targetE1EEEvSJ_,"axG",@progbits,_ZN7rocprim17ROCPRIM_400000_NS6detail17trampoline_kernelINS0_14default_configENS1_38merge_sort_block_merge_config_selectorIffEEZZNS1_27merge_sort_block_merge_implIS3_N6thrust23THRUST_200600_302600_NS6detail15normal_iteratorINS8_10device_ptrIfEEEESD_jNS1_19radix_merge_compareILb0ELb0EfNS0_19identity_decomposerEEEEE10hipError_tT0_T1_T2_jT3_P12ihipStream_tbPNSt15iterator_traitsISI_E10value_typeEPNSO_ISJ_E10value_typeEPSK_NS1_7vsmem_tEENKUlT_SI_SJ_SK_E_clISD_PfSD_S10_EESH_SX_SI_SJ_SK_EUlSX_E_NS1_11comp_targetILNS1_3genE9ELNS1_11target_archE1100ELNS1_3gpuE3ELNS1_3repE0EEENS1_48merge_mergepath_partition_config_static_selectorELNS0_4arch9wavefront6targetE1EEEvSJ_,comdat
	.protected	_ZN7rocprim17ROCPRIM_400000_NS6detail17trampoline_kernelINS0_14default_configENS1_38merge_sort_block_merge_config_selectorIffEEZZNS1_27merge_sort_block_merge_implIS3_N6thrust23THRUST_200600_302600_NS6detail15normal_iteratorINS8_10device_ptrIfEEEESD_jNS1_19radix_merge_compareILb0ELb0EfNS0_19identity_decomposerEEEEE10hipError_tT0_T1_T2_jT3_P12ihipStream_tbPNSt15iterator_traitsISI_E10value_typeEPNSO_ISJ_E10value_typeEPSK_NS1_7vsmem_tEENKUlT_SI_SJ_SK_E_clISD_PfSD_S10_EESH_SX_SI_SJ_SK_EUlSX_E_NS1_11comp_targetILNS1_3genE9ELNS1_11target_archE1100ELNS1_3gpuE3ELNS1_3repE0EEENS1_48merge_mergepath_partition_config_static_selectorELNS0_4arch9wavefront6targetE1EEEvSJ_ ; -- Begin function _ZN7rocprim17ROCPRIM_400000_NS6detail17trampoline_kernelINS0_14default_configENS1_38merge_sort_block_merge_config_selectorIffEEZZNS1_27merge_sort_block_merge_implIS3_N6thrust23THRUST_200600_302600_NS6detail15normal_iteratorINS8_10device_ptrIfEEEESD_jNS1_19radix_merge_compareILb0ELb0EfNS0_19identity_decomposerEEEEE10hipError_tT0_T1_T2_jT3_P12ihipStream_tbPNSt15iterator_traitsISI_E10value_typeEPNSO_ISJ_E10value_typeEPSK_NS1_7vsmem_tEENKUlT_SI_SJ_SK_E_clISD_PfSD_S10_EESH_SX_SI_SJ_SK_EUlSX_E_NS1_11comp_targetILNS1_3genE9ELNS1_11target_archE1100ELNS1_3gpuE3ELNS1_3repE0EEENS1_48merge_mergepath_partition_config_static_selectorELNS0_4arch9wavefront6targetE1EEEvSJ_
	.globl	_ZN7rocprim17ROCPRIM_400000_NS6detail17trampoline_kernelINS0_14default_configENS1_38merge_sort_block_merge_config_selectorIffEEZZNS1_27merge_sort_block_merge_implIS3_N6thrust23THRUST_200600_302600_NS6detail15normal_iteratorINS8_10device_ptrIfEEEESD_jNS1_19radix_merge_compareILb0ELb0EfNS0_19identity_decomposerEEEEE10hipError_tT0_T1_T2_jT3_P12ihipStream_tbPNSt15iterator_traitsISI_E10value_typeEPNSO_ISJ_E10value_typeEPSK_NS1_7vsmem_tEENKUlT_SI_SJ_SK_E_clISD_PfSD_S10_EESH_SX_SI_SJ_SK_EUlSX_E_NS1_11comp_targetILNS1_3genE9ELNS1_11target_archE1100ELNS1_3gpuE3ELNS1_3repE0EEENS1_48merge_mergepath_partition_config_static_selectorELNS0_4arch9wavefront6targetE1EEEvSJ_
	.p2align	8
	.type	_ZN7rocprim17ROCPRIM_400000_NS6detail17trampoline_kernelINS0_14default_configENS1_38merge_sort_block_merge_config_selectorIffEEZZNS1_27merge_sort_block_merge_implIS3_N6thrust23THRUST_200600_302600_NS6detail15normal_iteratorINS8_10device_ptrIfEEEESD_jNS1_19radix_merge_compareILb0ELb0EfNS0_19identity_decomposerEEEEE10hipError_tT0_T1_T2_jT3_P12ihipStream_tbPNSt15iterator_traitsISI_E10value_typeEPNSO_ISJ_E10value_typeEPSK_NS1_7vsmem_tEENKUlT_SI_SJ_SK_E_clISD_PfSD_S10_EESH_SX_SI_SJ_SK_EUlSX_E_NS1_11comp_targetILNS1_3genE9ELNS1_11target_archE1100ELNS1_3gpuE3ELNS1_3repE0EEENS1_48merge_mergepath_partition_config_static_selectorELNS0_4arch9wavefront6targetE1EEEvSJ_,@function
_ZN7rocprim17ROCPRIM_400000_NS6detail17trampoline_kernelINS0_14default_configENS1_38merge_sort_block_merge_config_selectorIffEEZZNS1_27merge_sort_block_merge_implIS3_N6thrust23THRUST_200600_302600_NS6detail15normal_iteratorINS8_10device_ptrIfEEEESD_jNS1_19radix_merge_compareILb0ELb0EfNS0_19identity_decomposerEEEEE10hipError_tT0_T1_T2_jT3_P12ihipStream_tbPNSt15iterator_traitsISI_E10value_typeEPNSO_ISJ_E10value_typeEPSK_NS1_7vsmem_tEENKUlT_SI_SJ_SK_E_clISD_PfSD_S10_EESH_SX_SI_SJ_SK_EUlSX_E_NS1_11comp_targetILNS1_3genE9ELNS1_11target_archE1100ELNS1_3gpuE3ELNS1_3repE0EEENS1_48merge_mergepath_partition_config_static_selectorELNS0_4arch9wavefront6targetE1EEEvSJ_: ; @_ZN7rocprim17ROCPRIM_400000_NS6detail17trampoline_kernelINS0_14default_configENS1_38merge_sort_block_merge_config_selectorIffEEZZNS1_27merge_sort_block_merge_implIS3_N6thrust23THRUST_200600_302600_NS6detail15normal_iteratorINS8_10device_ptrIfEEEESD_jNS1_19radix_merge_compareILb0ELb0EfNS0_19identity_decomposerEEEEE10hipError_tT0_T1_T2_jT3_P12ihipStream_tbPNSt15iterator_traitsISI_E10value_typeEPNSO_ISJ_E10value_typeEPSK_NS1_7vsmem_tEENKUlT_SI_SJ_SK_E_clISD_PfSD_S10_EESH_SX_SI_SJ_SK_EUlSX_E_NS1_11comp_targetILNS1_3genE9ELNS1_11target_archE1100ELNS1_3gpuE3ELNS1_3repE0EEENS1_48merge_mergepath_partition_config_static_selectorELNS0_4arch9wavefront6targetE1EEEvSJ_
; %bb.0:
	.section	.rodata,"a",@progbits
	.p2align	6, 0x0
	.amdhsa_kernel _ZN7rocprim17ROCPRIM_400000_NS6detail17trampoline_kernelINS0_14default_configENS1_38merge_sort_block_merge_config_selectorIffEEZZNS1_27merge_sort_block_merge_implIS3_N6thrust23THRUST_200600_302600_NS6detail15normal_iteratorINS8_10device_ptrIfEEEESD_jNS1_19radix_merge_compareILb0ELb0EfNS0_19identity_decomposerEEEEE10hipError_tT0_T1_T2_jT3_P12ihipStream_tbPNSt15iterator_traitsISI_E10value_typeEPNSO_ISJ_E10value_typeEPSK_NS1_7vsmem_tEENKUlT_SI_SJ_SK_E_clISD_PfSD_S10_EESH_SX_SI_SJ_SK_EUlSX_E_NS1_11comp_targetILNS1_3genE9ELNS1_11target_archE1100ELNS1_3gpuE3ELNS1_3repE0EEENS1_48merge_mergepath_partition_config_static_selectorELNS0_4arch9wavefront6targetE1EEEvSJ_
		.amdhsa_group_segment_fixed_size 0
		.amdhsa_private_segment_fixed_size 0
		.amdhsa_kernarg_size 40
		.amdhsa_user_sgpr_count 2
		.amdhsa_user_sgpr_dispatch_ptr 0
		.amdhsa_user_sgpr_queue_ptr 0
		.amdhsa_user_sgpr_kernarg_segment_ptr 1
		.amdhsa_user_sgpr_dispatch_id 0
		.amdhsa_user_sgpr_kernarg_preload_length 0
		.amdhsa_user_sgpr_kernarg_preload_offset 0
		.amdhsa_user_sgpr_private_segment_size 0
		.amdhsa_uses_dynamic_stack 0
		.amdhsa_enable_private_segment 0
		.amdhsa_system_sgpr_workgroup_id_x 1
		.amdhsa_system_sgpr_workgroup_id_y 0
		.amdhsa_system_sgpr_workgroup_id_z 0
		.amdhsa_system_sgpr_workgroup_info 0
		.amdhsa_system_vgpr_workitem_id 0
		.amdhsa_next_free_vgpr 1
		.amdhsa_next_free_sgpr 0
		.amdhsa_accum_offset 4
		.amdhsa_reserve_vcc 0
		.amdhsa_float_round_mode_32 0
		.amdhsa_float_round_mode_16_64 0
		.amdhsa_float_denorm_mode_32 3
		.amdhsa_float_denorm_mode_16_64 3
		.amdhsa_dx10_clamp 1
		.amdhsa_ieee_mode 1
		.amdhsa_fp16_overflow 0
		.amdhsa_tg_split 0
		.amdhsa_exception_fp_ieee_invalid_op 0
		.amdhsa_exception_fp_denorm_src 0
		.amdhsa_exception_fp_ieee_div_zero 0
		.amdhsa_exception_fp_ieee_overflow 0
		.amdhsa_exception_fp_ieee_underflow 0
		.amdhsa_exception_fp_ieee_inexact 0
		.amdhsa_exception_int_div_zero 0
	.end_amdhsa_kernel
	.section	.text._ZN7rocprim17ROCPRIM_400000_NS6detail17trampoline_kernelINS0_14default_configENS1_38merge_sort_block_merge_config_selectorIffEEZZNS1_27merge_sort_block_merge_implIS3_N6thrust23THRUST_200600_302600_NS6detail15normal_iteratorINS8_10device_ptrIfEEEESD_jNS1_19radix_merge_compareILb0ELb0EfNS0_19identity_decomposerEEEEE10hipError_tT0_T1_T2_jT3_P12ihipStream_tbPNSt15iterator_traitsISI_E10value_typeEPNSO_ISJ_E10value_typeEPSK_NS1_7vsmem_tEENKUlT_SI_SJ_SK_E_clISD_PfSD_S10_EESH_SX_SI_SJ_SK_EUlSX_E_NS1_11comp_targetILNS1_3genE9ELNS1_11target_archE1100ELNS1_3gpuE3ELNS1_3repE0EEENS1_48merge_mergepath_partition_config_static_selectorELNS0_4arch9wavefront6targetE1EEEvSJ_,"axG",@progbits,_ZN7rocprim17ROCPRIM_400000_NS6detail17trampoline_kernelINS0_14default_configENS1_38merge_sort_block_merge_config_selectorIffEEZZNS1_27merge_sort_block_merge_implIS3_N6thrust23THRUST_200600_302600_NS6detail15normal_iteratorINS8_10device_ptrIfEEEESD_jNS1_19radix_merge_compareILb0ELb0EfNS0_19identity_decomposerEEEEE10hipError_tT0_T1_T2_jT3_P12ihipStream_tbPNSt15iterator_traitsISI_E10value_typeEPNSO_ISJ_E10value_typeEPSK_NS1_7vsmem_tEENKUlT_SI_SJ_SK_E_clISD_PfSD_S10_EESH_SX_SI_SJ_SK_EUlSX_E_NS1_11comp_targetILNS1_3genE9ELNS1_11target_archE1100ELNS1_3gpuE3ELNS1_3repE0EEENS1_48merge_mergepath_partition_config_static_selectorELNS0_4arch9wavefront6targetE1EEEvSJ_,comdat
.Lfunc_end251:
	.size	_ZN7rocprim17ROCPRIM_400000_NS6detail17trampoline_kernelINS0_14default_configENS1_38merge_sort_block_merge_config_selectorIffEEZZNS1_27merge_sort_block_merge_implIS3_N6thrust23THRUST_200600_302600_NS6detail15normal_iteratorINS8_10device_ptrIfEEEESD_jNS1_19radix_merge_compareILb0ELb0EfNS0_19identity_decomposerEEEEE10hipError_tT0_T1_T2_jT3_P12ihipStream_tbPNSt15iterator_traitsISI_E10value_typeEPNSO_ISJ_E10value_typeEPSK_NS1_7vsmem_tEENKUlT_SI_SJ_SK_E_clISD_PfSD_S10_EESH_SX_SI_SJ_SK_EUlSX_E_NS1_11comp_targetILNS1_3genE9ELNS1_11target_archE1100ELNS1_3gpuE3ELNS1_3repE0EEENS1_48merge_mergepath_partition_config_static_selectorELNS0_4arch9wavefront6targetE1EEEvSJ_, .Lfunc_end251-_ZN7rocprim17ROCPRIM_400000_NS6detail17trampoline_kernelINS0_14default_configENS1_38merge_sort_block_merge_config_selectorIffEEZZNS1_27merge_sort_block_merge_implIS3_N6thrust23THRUST_200600_302600_NS6detail15normal_iteratorINS8_10device_ptrIfEEEESD_jNS1_19radix_merge_compareILb0ELb0EfNS0_19identity_decomposerEEEEE10hipError_tT0_T1_T2_jT3_P12ihipStream_tbPNSt15iterator_traitsISI_E10value_typeEPNSO_ISJ_E10value_typeEPSK_NS1_7vsmem_tEENKUlT_SI_SJ_SK_E_clISD_PfSD_S10_EESH_SX_SI_SJ_SK_EUlSX_E_NS1_11comp_targetILNS1_3genE9ELNS1_11target_archE1100ELNS1_3gpuE3ELNS1_3repE0EEENS1_48merge_mergepath_partition_config_static_selectorELNS0_4arch9wavefront6targetE1EEEvSJ_
                                        ; -- End function
	.set _ZN7rocprim17ROCPRIM_400000_NS6detail17trampoline_kernelINS0_14default_configENS1_38merge_sort_block_merge_config_selectorIffEEZZNS1_27merge_sort_block_merge_implIS3_N6thrust23THRUST_200600_302600_NS6detail15normal_iteratorINS8_10device_ptrIfEEEESD_jNS1_19radix_merge_compareILb0ELb0EfNS0_19identity_decomposerEEEEE10hipError_tT0_T1_T2_jT3_P12ihipStream_tbPNSt15iterator_traitsISI_E10value_typeEPNSO_ISJ_E10value_typeEPSK_NS1_7vsmem_tEENKUlT_SI_SJ_SK_E_clISD_PfSD_S10_EESH_SX_SI_SJ_SK_EUlSX_E_NS1_11comp_targetILNS1_3genE9ELNS1_11target_archE1100ELNS1_3gpuE3ELNS1_3repE0EEENS1_48merge_mergepath_partition_config_static_selectorELNS0_4arch9wavefront6targetE1EEEvSJ_.num_vgpr, 0
	.set _ZN7rocprim17ROCPRIM_400000_NS6detail17trampoline_kernelINS0_14default_configENS1_38merge_sort_block_merge_config_selectorIffEEZZNS1_27merge_sort_block_merge_implIS3_N6thrust23THRUST_200600_302600_NS6detail15normal_iteratorINS8_10device_ptrIfEEEESD_jNS1_19radix_merge_compareILb0ELb0EfNS0_19identity_decomposerEEEEE10hipError_tT0_T1_T2_jT3_P12ihipStream_tbPNSt15iterator_traitsISI_E10value_typeEPNSO_ISJ_E10value_typeEPSK_NS1_7vsmem_tEENKUlT_SI_SJ_SK_E_clISD_PfSD_S10_EESH_SX_SI_SJ_SK_EUlSX_E_NS1_11comp_targetILNS1_3genE9ELNS1_11target_archE1100ELNS1_3gpuE3ELNS1_3repE0EEENS1_48merge_mergepath_partition_config_static_selectorELNS0_4arch9wavefront6targetE1EEEvSJ_.num_agpr, 0
	.set _ZN7rocprim17ROCPRIM_400000_NS6detail17trampoline_kernelINS0_14default_configENS1_38merge_sort_block_merge_config_selectorIffEEZZNS1_27merge_sort_block_merge_implIS3_N6thrust23THRUST_200600_302600_NS6detail15normal_iteratorINS8_10device_ptrIfEEEESD_jNS1_19radix_merge_compareILb0ELb0EfNS0_19identity_decomposerEEEEE10hipError_tT0_T1_T2_jT3_P12ihipStream_tbPNSt15iterator_traitsISI_E10value_typeEPNSO_ISJ_E10value_typeEPSK_NS1_7vsmem_tEENKUlT_SI_SJ_SK_E_clISD_PfSD_S10_EESH_SX_SI_SJ_SK_EUlSX_E_NS1_11comp_targetILNS1_3genE9ELNS1_11target_archE1100ELNS1_3gpuE3ELNS1_3repE0EEENS1_48merge_mergepath_partition_config_static_selectorELNS0_4arch9wavefront6targetE1EEEvSJ_.numbered_sgpr, 0
	.set _ZN7rocprim17ROCPRIM_400000_NS6detail17trampoline_kernelINS0_14default_configENS1_38merge_sort_block_merge_config_selectorIffEEZZNS1_27merge_sort_block_merge_implIS3_N6thrust23THRUST_200600_302600_NS6detail15normal_iteratorINS8_10device_ptrIfEEEESD_jNS1_19radix_merge_compareILb0ELb0EfNS0_19identity_decomposerEEEEE10hipError_tT0_T1_T2_jT3_P12ihipStream_tbPNSt15iterator_traitsISI_E10value_typeEPNSO_ISJ_E10value_typeEPSK_NS1_7vsmem_tEENKUlT_SI_SJ_SK_E_clISD_PfSD_S10_EESH_SX_SI_SJ_SK_EUlSX_E_NS1_11comp_targetILNS1_3genE9ELNS1_11target_archE1100ELNS1_3gpuE3ELNS1_3repE0EEENS1_48merge_mergepath_partition_config_static_selectorELNS0_4arch9wavefront6targetE1EEEvSJ_.num_named_barrier, 0
	.set _ZN7rocprim17ROCPRIM_400000_NS6detail17trampoline_kernelINS0_14default_configENS1_38merge_sort_block_merge_config_selectorIffEEZZNS1_27merge_sort_block_merge_implIS3_N6thrust23THRUST_200600_302600_NS6detail15normal_iteratorINS8_10device_ptrIfEEEESD_jNS1_19radix_merge_compareILb0ELb0EfNS0_19identity_decomposerEEEEE10hipError_tT0_T1_T2_jT3_P12ihipStream_tbPNSt15iterator_traitsISI_E10value_typeEPNSO_ISJ_E10value_typeEPSK_NS1_7vsmem_tEENKUlT_SI_SJ_SK_E_clISD_PfSD_S10_EESH_SX_SI_SJ_SK_EUlSX_E_NS1_11comp_targetILNS1_3genE9ELNS1_11target_archE1100ELNS1_3gpuE3ELNS1_3repE0EEENS1_48merge_mergepath_partition_config_static_selectorELNS0_4arch9wavefront6targetE1EEEvSJ_.private_seg_size, 0
	.set _ZN7rocprim17ROCPRIM_400000_NS6detail17trampoline_kernelINS0_14default_configENS1_38merge_sort_block_merge_config_selectorIffEEZZNS1_27merge_sort_block_merge_implIS3_N6thrust23THRUST_200600_302600_NS6detail15normal_iteratorINS8_10device_ptrIfEEEESD_jNS1_19radix_merge_compareILb0ELb0EfNS0_19identity_decomposerEEEEE10hipError_tT0_T1_T2_jT3_P12ihipStream_tbPNSt15iterator_traitsISI_E10value_typeEPNSO_ISJ_E10value_typeEPSK_NS1_7vsmem_tEENKUlT_SI_SJ_SK_E_clISD_PfSD_S10_EESH_SX_SI_SJ_SK_EUlSX_E_NS1_11comp_targetILNS1_3genE9ELNS1_11target_archE1100ELNS1_3gpuE3ELNS1_3repE0EEENS1_48merge_mergepath_partition_config_static_selectorELNS0_4arch9wavefront6targetE1EEEvSJ_.uses_vcc, 0
	.set _ZN7rocprim17ROCPRIM_400000_NS6detail17trampoline_kernelINS0_14default_configENS1_38merge_sort_block_merge_config_selectorIffEEZZNS1_27merge_sort_block_merge_implIS3_N6thrust23THRUST_200600_302600_NS6detail15normal_iteratorINS8_10device_ptrIfEEEESD_jNS1_19radix_merge_compareILb0ELb0EfNS0_19identity_decomposerEEEEE10hipError_tT0_T1_T2_jT3_P12ihipStream_tbPNSt15iterator_traitsISI_E10value_typeEPNSO_ISJ_E10value_typeEPSK_NS1_7vsmem_tEENKUlT_SI_SJ_SK_E_clISD_PfSD_S10_EESH_SX_SI_SJ_SK_EUlSX_E_NS1_11comp_targetILNS1_3genE9ELNS1_11target_archE1100ELNS1_3gpuE3ELNS1_3repE0EEENS1_48merge_mergepath_partition_config_static_selectorELNS0_4arch9wavefront6targetE1EEEvSJ_.uses_flat_scratch, 0
	.set _ZN7rocprim17ROCPRIM_400000_NS6detail17trampoline_kernelINS0_14default_configENS1_38merge_sort_block_merge_config_selectorIffEEZZNS1_27merge_sort_block_merge_implIS3_N6thrust23THRUST_200600_302600_NS6detail15normal_iteratorINS8_10device_ptrIfEEEESD_jNS1_19radix_merge_compareILb0ELb0EfNS0_19identity_decomposerEEEEE10hipError_tT0_T1_T2_jT3_P12ihipStream_tbPNSt15iterator_traitsISI_E10value_typeEPNSO_ISJ_E10value_typeEPSK_NS1_7vsmem_tEENKUlT_SI_SJ_SK_E_clISD_PfSD_S10_EESH_SX_SI_SJ_SK_EUlSX_E_NS1_11comp_targetILNS1_3genE9ELNS1_11target_archE1100ELNS1_3gpuE3ELNS1_3repE0EEENS1_48merge_mergepath_partition_config_static_selectorELNS0_4arch9wavefront6targetE1EEEvSJ_.has_dyn_sized_stack, 0
	.set _ZN7rocprim17ROCPRIM_400000_NS6detail17trampoline_kernelINS0_14default_configENS1_38merge_sort_block_merge_config_selectorIffEEZZNS1_27merge_sort_block_merge_implIS3_N6thrust23THRUST_200600_302600_NS6detail15normal_iteratorINS8_10device_ptrIfEEEESD_jNS1_19radix_merge_compareILb0ELb0EfNS0_19identity_decomposerEEEEE10hipError_tT0_T1_T2_jT3_P12ihipStream_tbPNSt15iterator_traitsISI_E10value_typeEPNSO_ISJ_E10value_typeEPSK_NS1_7vsmem_tEENKUlT_SI_SJ_SK_E_clISD_PfSD_S10_EESH_SX_SI_SJ_SK_EUlSX_E_NS1_11comp_targetILNS1_3genE9ELNS1_11target_archE1100ELNS1_3gpuE3ELNS1_3repE0EEENS1_48merge_mergepath_partition_config_static_selectorELNS0_4arch9wavefront6targetE1EEEvSJ_.has_recursion, 0
	.set _ZN7rocprim17ROCPRIM_400000_NS6detail17trampoline_kernelINS0_14default_configENS1_38merge_sort_block_merge_config_selectorIffEEZZNS1_27merge_sort_block_merge_implIS3_N6thrust23THRUST_200600_302600_NS6detail15normal_iteratorINS8_10device_ptrIfEEEESD_jNS1_19radix_merge_compareILb0ELb0EfNS0_19identity_decomposerEEEEE10hipError_tT0_T1_T2_jT3_P12ihipStream_tbPNSt15iterator_traitsISI_E10value_typeEPNSO_ISJ_E10value_typeEPSK_NS1_7vsmem_tEENKUlT_SI_SJ_SK_E_clISD_PfSD_S10_EESH_SX_SI_SJ_SK_EUlSX_E_NS1_11comp_targetILNS1_3genE9ELNS1_11target_archE1100ELNS1_3gpuE3ELNS1_3repE0EEENS1_48merge_mergepath_partition_config_static_selectorELNS0_4arch9wavefront6targetE1EEEvSJ_.has_indirect_call, 0
	.section	.AMDGPU.csdata,"",@progbits
; Kernel info:
; codeLenInByte = 0
; TotalNumSgprs: 6
; NumVgprs: 0
; NumAgprs: 0
; TotalNumVgprs: 0
; ScratchSize: 0
; MemoryBound: 0
; FloatMode: 240
; IeeeMode: 1
; LDSByteSize: 0 bytes/workgroup (compile time only)
; SGPRBlocks: 0
; VGPRBlocks: 0
; NumSGPRsForWavesPerEU: 6
; NumVGPRsForWavesPerEU: 1
; AccumOffset: 4
; Occupancy: 8
; WaveLimiterHint : 0
; COMPUTE_PGM_RSRC2:SCRATCH_EN: 0
; COMPUTE_PGM_RSRC2:USER_SGPR: 2
; COMPUTE_PGM_RSRC2:TRAP_HANDLER: 0
; COMPUTE_PGM_RSRC2:TGID_X_EN: 1
; COMPUTE_PGM_RSRC2:TGID_Y_EN: 0
; COMPUTE_PGM_RSRC2:TGID_Z_EN: 0
; COMPUTE_PGM_RSRC2:TIDIG_COMP_CNT: 0
; COMPUTE_PGM_RSRC3_GFX90A:ACCUM_OFFSET: 0
; COMPUTE_PGM_RSRC3_GFX90A:TG_SPLIT: 0
	.section	.text._ZN7rocprim17ROCPRIM_400000_NS6detail17trampoline_kernelINS0_14default_configENS1_38merge_sort_block_merge_config_selectorIffEEZZNS1_27merge_sort_block_merge_implIS3_N6thrust23THRUST_200600_302600_NS6detail15normal_iteratorINS8_10device_ptrIfEEEESD_jNS1_19radix_merge_compareILb0ELb0EfNS0_19identity_decomposerEEEEE10hipError_tT0_T1_T2_jT3_P12ihipStream_tbPNSt15iterator_traitsISI_E10value_typeEPNSO_ISJ_E10value_typeEPSK_NS1_7vsmem_tEENKUlT_SI_SJ_SK_E_clISD_PfSD_S10_EESH_SX_SI_SJ_SK_EUlSX_E_NS1_11comp_targetILNS1_3genE8ELNS1_11target_archE1030ELNS1_3gpuE2ELNS1_3repE0EEENS1_48merge_mergepath_partition_config_static_selectorELNS0_4arch9wavefront6targetE1EEEvSJ_,"axG",@progbits,_ZN7rocprim17ROCPRIM_400000_NS6detail17trampoline_kernelINS0_14default_configENS1_38merge_sort_block_merge_config_selectorIffEEZZNS1_27merge_sort_block_merge_implIS3_N6thrust23THRUST_200600_302600_NS6detail15normal_iteratorINS8_10device_ptrIfEEEESD_jNS1_19radix_merge_compareILb0ELb0EfNS0_19identity_decomposerEEEEE10hipError_tT0_T1_T2_jT3_P12ihipStream_tbPNSt15iterator_traitsISI_E10value_typeEPNSO_ISJ_E10value_typeEPSK_NS1_7vsmem_tEENKUlT_SI_SJ_SK_E_clISD_PfSD_S10_EESH_SX_SI_SJ_SK_EUlSX_E_NS1_11comp_targetILNS1_3genE8ELNS1_11target_archE1030ELNS1_3gpuE2ELNS1_3repE0EEENS1_48merge_mergepath_partition_config_static_selectorELNS0_4arch9wavefront6targetE1EEEvSJ_,comdat
	.protected	_ZN7rocprim17ROCPRIM_400000_NS6detail17trampoline_kernelINS0_14default_configENS1_38merge_sort_block_merge_config_selectorIffEEZZNS1_27merge_sort_block_merge_implIS3_N6thrust23THRUST_200600_302600_NS6detail15normal_iteratorINS8_10device_ptrIfEEEESD_jNS1_19radix_merge_compareILb0ELb0EfNS0_19identity_decomposerEEEEE10hipError_tT0_T1_T2_jT3_P12ihipStream_tbPNSt15iterator_traitsISI_E10value_typeEPNSO_ISJ_E10value_typeEPSK_NS1_7vsmem_tEENKUlT_SI_SJ_SK_E_clISD_PfSD_S10_EESH_SX_SI_SJ_SK_EUlSX_E_NS1_11comp_targetILNS1_3genE8ELNS1_11target_archE1030ELNS1_3gpuE2ELNS1_3repE0EEENS1_48merge_mergepath_partition_config_static_selectorELNS0_4arch9wavefront6targetE1EEEvSJ_ ; -- Begin function _ZN7rocprim17ROCPRIM_400000_NS6detail17trampoline_kernelINS0_14default_configENS1_38merge_sort_block_merge_config_selectorIffEEZZNS1_27merge_sort_block_merge_implIS3_N6thrust23THRUST_200600_302600_NS6detail15normal_iteratorINS8_10device_ptrIfEEEESD_jNS1_19radix_merge_compareILb0ELb0EfNS0_19identity_decomposerEEEEE10hipError_tT0_T1_T2_jT3_P12ihipStream_tbPNSt15iterator_traitsISI_E10value_typeEPNSO_ISJ_E10value_typeEPSK_NS1_7vsmem_tEENKUlT_SI_SJ_SK_E_clISD_PfSD_S10_EESH_SX_SI_SJ_SK_EUlSX_E_NS1_11comp_targetILNS1_3genE8ELNS1_11target_archE1030ELNS1_3gpuE2ELNS1_3repE0EEENS1_48merge_mergepath_partition_config_static_selectorELNS0_4arch9wavefront6targetE1EEEvSJ_
	.globl	_ZN7rocprim17ROCPRIM_400000_NS6detail17trampoline_kernelINS0_14default_configENS1_38merge_sort_block_merge_config_selectorIffEEZZNS1_27merge_sort_block_merge_implIS3_N6thrust23THRUST_200600_302600_NS6detail15normal_iteratorINS8_10device_ptrIfEEEESD_jNS1_19radix_merge_compareILb0ELb0EfNS0_19identity_decomposerEEEEE10hipError_tT0_T1_T2_jT3_P12ihipStream_tbPNSt15iterator_traitsISI_E10value_typeEPNSO_ISJ_E10value_typeEPSK_NS1_7vsmem_tEENKUlT_SI_SJ_SK_E_clISD_PfSD_S10_EESH_SX_SI_SJ_SK_EUlSX_E_NS1_11comp_targetILNS1_3genE8ELNS1_11target_archE1030ELNS1_3gpuE2ELNS1_3repE0EEENS1_48merge_mergepath_partition_config_static_selectorELNS0_4arch9wavefront6targetE1EEEvSJ_
	.p2align	8
	.type	_ZN7rocprim17ROCPRIM_400000_NS6detail17trampoline_kernelINS0_14default_configENS1_38merge_sort_block_merge_config_selectorIffEEZZNS1_27merge_sort_block_merge_implIS3_N6thrust23THRUST_200600_302600_NS6detail15normal_iteratorINS8_10device_ptrIfEEEESD_jNS1_19radix_merge_compareILb0ELb0EfNS0_19identity_decomposerEEEEE10hipError_tT0_T1_T2_jT3_P12ihipStream_tbPNSt15iterator_traitsISI_E10value_typeEPNSO_ISJ_E10value_typeEPSK_NS1_7vsmem_tEENKUlT_SI_SJ_SK_E_clISD_PfSD_S10_EESH_SX_SI_SJ_SK_EUlSX_E_NS1_11comp_targetILNS1_3genE8ELNS1_11target_archE1030ELNS1_3gpuE2ELNS1_3repE0EEENS1_48merge_mergepath_partition_config_static_selectorELNS0_4arch9wavefront6targetE1EEEvSJ_,@function
_ZN7rocprim17ROCPRIM_400000_NS6detail17trampoline_kernelINS0_14default_configENS1_38merge_sort_block_merge_config_selectorIffEEZZNS1_27merge_sort_block_merge_implIS3_N6thrust23THRUST_200600_302600_NS6detail15normal_iteratorINS8_10device_ptrIfEEEESD_jNS1_19radix_merge_compareILb0ELb0EfNS0_19identity_decomposerEEEEE10hipError_tT0_T1_T2_jT3_P12ihipStream_tbPNSt15iterator_traitsISI_E10value_typeEPNSO_ISJ_E10value_typeEPSK_NS1_7vsmem_tEENKUlT_SI_SJ_SK_E_clISD_PfSD_S10_EESH_SX_SI_SJ_SK_EUlSX_E_NS1_11comp_targetILNS1_3genE8ELNS1_11target_archE1030ELNS1_3gpuE2ELNS1_3repE0EEENS1_48merge_mergepath_partition_config_static_selectorELNS0_4arch9wavefront6targetE1EEEvSJ_: ; @_ZN7rocprim17ROCPRIM_400000_NS6detail17trampoline_kernelINS0_14default_configENS1_38merge_sort_block_merge_config_selectorIffEEZZNS1_27merge_sort_block_merge_implIS3_N6thrust23THRUST_200600_302600_NS6detail15normal_iteratorINS8_10device_ptrIfEEEESD_jNS1_19radix_merge_compareILb0ELb0EfNS0_19identity_decomposerEEEEE10hipError_tT0_T1_T2_jT3_P12ihipStream_tbPNSt15iterator_traitsISI_E10value_typeEPNSO_ISJ_E10value_typeEPSK_NS1_7vsmem_tEENKUlT_SI_SJ_SK_E_clISD_PfSD_S10_EESH_SX_SI_SJ_SK_EUlSX_E_NS1_11comp_targetILNS1_3genE8ELNS1_11target_archE1030ELNS1_3gpuE2ELNS1_3repE0EEENS1_48merge_mergepath_partition_config_static_selectorELNS0_4arch9wavefront6targetE1EEEvSJ_
; %bb.0:
	.section	.rodata,"a",@progbits
	.p2align	6, 0x0
	.amdhsa_kernel _ZN7rocprim17ROCPRIM_400000_NS6detail17trampoline_kernelINS0_14default_configENS1_38merge_sort_block_merge_config_selectorIffEEZZNS1_27merge_sort_block_merge_implIS3_N6thrust23THRUST_200600_302600_NS6detail15normal_iteratorINS8_10device_ptrIfEEEESD_jNS1_19radix_merge_compareILb0ELb0EfNS0_19identity_decomposerEEEEE10hipError_tT0_T1_T2_jT3_P12ihipStream_tbPNSt15iterator_traitsISI_E10value_typeEPNSO_ISJ_E10value_typeEPSK_NS1_7vsmem_tEENKUlT_SI_SJ_SK_E_clISD_PfSD_S10_EESH_SX_SI_SJ_SK_EUlSX_E_NS1_11comp_targetILNS1_3genE8ELNS1_11target_archE1030ELNS1_3gpuE2ELNS1_3repE0EEENS1_48merge_mergepath_partition_config_static_selectorELNS0_4arch9wavefront6targetE1EEEvSJ_
		.amdhsa_group_segment_fixed_size 0
		.amdhsa_private_segment_fixed_size 0
		.amdhsa_kernarg_size 40
		.amdhsa_user_sgpr_count 2
		.amdhsa_user_sgpr_dispatch_ptr 0
		.amdhsa_user_sgpr_queue_ptr 0
		.amdhsa_user_sgpr_kernarg_segment_ptr 1
		.amdhsa_user_sgpr_dispatch_id 0
		.amdhsa_user_sgpr_kernarg_preload_length 0
		.amdhsa_user_sgpr_kernarg_preload_offset 0
		.amdhsa_user_sgpr_private_segment_size 0
		.amdhsa_uses_dynamic_stack 0
		.amdhsa_enable_private_segment 0
		.amdhsa_system_sgpr_workgroup_id_x 1
		.amdhsa_system_sgpr_workgroup_id_y 0
		.amdhsa_system_sgpr_workgroup_id_z 0
		.amdhsa_system_sgpr_workgroup_info 0
		.amdhsa_system_vgpr_workitem_id 0
		.amdhsa_next_free_vgpr 1
		.amdhsa_next_free_sgpr 0
		.amdhsa_accum_offset 4
		.amdhsa_reserve_vcc 0
		.amdhsa_float_round_mode_32 0
		.amdhsa_float_round_mode_16_64 0
		.amdhsa_float_denorm_mode_32 3
		.amdhsa_float_denorm_mode_16_64 3
		.amdhsa_dx10_clamp 1
		.amdhsa_ieee_mode 1
		.amdhsa_fp16_overflow 0
		.amdhsa_tg_split 0
		.amdhsa_exception_fp_ieee_invalid_op 0
		.amdhsa_exception_fp_denorm_src 0
		.amdhsa_exception_fp_ieee_div_zero 0
		.amdhsa_exception_fp_ieee_overflow 0
		.amdhsa_exception_fp_ieee_underflow 0
		.amdhsa_exception_fp_ieee_inexact 0
		.amdhsa_exception_int_div_zero 0
	.end_amdhsa_kernel
	.section	.text._ZN7rocprim17ROCPRIM_400000_NS6detail17trampoline_kernelINS0_14default_configENS1_38merge_sort_block_merge_config_selectorIffEEZZNS1_27merge_sort_block_merge_implIS3_N6thrust23THRUST_200600_302600_NS6detail15normal_iteratorINS8_10device_ptrIfEEEESD_jNS1_19radix_merge_compareILb0ELb0EfNS0_19identity_decomposerEEEEE10hipError_tT0_T1_T2_jT3_P12ihipStream_tbPNSt15iterator_traitsISI_E10value_typeEPNSO_ISJ_E10value_typeEPSK_NS1_7vsmem_tEENKUlT_SI_SJ_SK_E_clISD_PfSD_S10_EESH_SX_SI_SJ_SK_EUlSX_E_NS1_11comp_targetILNS1_3genE8ELNS1_11target_archE1030ELNS1_3gpuE2ELNS1_3repE0EEENS1_48merge_mergepath_partition_config_static_selectorELNS0_4arch9wavefront6targetE1EEEvSJ_,"axG",@progbits,_ZN7rocprim17ROCPRIM_400000_NS6detail17trampoline_kernelINS0_14default_configENS1_38merge_sort_block_merge_config_selectorIffEEZZNS1_27merge_sort_block_merge_implIS3_N6thrust23THRUST_200600_302600_NS6detail15normal_iteratorINS8_10device_ptrIfEEEESD_jNS1_19radix_merge_compareILb0ELb0EfNS0_19identity_decomposerEEEEE10hipError_tT0_T1_T2_jT3_P12ihipStream_tbPNSt15iterator_traitsISI_E10value_typeEPNSO_ISJ_E10value_typeEPSK_NS1_7vsmem_tEENKUlT_SI_SJ_SK_E_clISD_PfSD_S10_EESH_SX_SI_SJ_SK_EUlSX_E_NS1_11comp_targetILNS1_3genE8ELNS1_11target_archE1030ELNS1_3gpuE2ELNS1_3repE0EEENS1_48merge_mergepath_partition_config_static_selectorELNS0_4arch9wavefront6targetE1EEEvSJ_,comdat
.Lfunc_end252:
	.size	_ZN7rocprim17ROCPRIM_400000_NS6detail17trampoline_kernelINS0_14default_configENS1_38merge_sort_block_merge_config_selectorIffEEZZNS1_27merge_sort_block_merge_implIS3_N6thrust23THRUST_200600_302600_NS6detail15normal_iteratorINS8_10device_ptrIfEEEESD_jNS1_19radix_merge_compareILb0ELb0EfNS0_19identity_decomposerEEEEE10hipError_tT0_T1_T2_jT3_P12ihipStream_tbPNSt15iterator_traitsISI_E10value_typeEPNSO_ISJ_E10value_typeEPSK_NS1_7vsmem_tEENKUlT_SI_SJ_SK_E_clISD_PfSD_S10_EESH_SX_SI_SJ_SK_EUlSX_E_NS1_11comp_targetILNS1_3genE8ELNS1_11target_archE1030ELNS1_3gpuE2ELNS1_3repE0EEENS1_48merge_mergepath_partition_config_static_selectorELNS0_4arch9wavefront6targetE1EEEvSJ_, .Lfunc_end252-_ZN7rocprim17ROCPRIM_400000_NS6detail17trampoline_kernelINS0_14default_configENS1_38merge_sort_block_merge_config_selectorIffEEZZNS1_27merge_sort_block_merge_implIS3_N6thrust23THRUST_200600_302600_NS6detail15normal_iteratorINS8_10device_ptrIfEEEESD_jNS1_19radix_merge_compareILb0ELb0EfNS0_19identity_decomposerEEEEE10hipError_tT0_T1_T2_jT3_P12ihipStream_tbPNSt15iterator_traitsISI_E10value_typeEPNSO_ISJ_E10value_typeEPSK_NS1_7vsmem_tEENKUlT_SI_SJ_SK_E_clISD_PfSD_S10_EESH_SX_SI_SJ_SK_EUlSX_E_NS1_11comp_targetILNS1_3genE8ELNS1_11target_archE1030ELNS1_3gpuE2ELNS1_3repE0EEENS1_48merge_mergepath_partition_config_static_selectorELNS0_4arch9wavefront6targetE1EEEvSJ_
                                        ; -- End function
	.set _ZN7rocprim17ROCPRIM_400000_NS6detail17trampoline_kernelINS0_14default_configENS1_38merge_sort_block_merge_config_selectorIffEEZZNS1_27merge_sort_block_merge_implIS3_N6thrust23THRUST_200600_302600_NS6detail15normal_iteratorINS8_10device_ptrIfEEEESD_jNS1_19radix_merge_compareILb0ELb0EfNS0_19identity_decomposerEEEEE10hipError_tT0_T1_T2_jT3_P12ihipStream_tbPNSt15iterator_traitsISI_E10value_typeEPNSO_ISJ_E10value_typeEPSK_NS1_7vsmem_tEENKUlT_SI_SJ_SK_E_clISD_PfSD_S10_EESH_SX_SI_SJ_SK_EUlSX_E_NS1_11comp_targetILNS1_3genE8ELNS1_11target_archE1030ELNS1_3gpuE2ELNS1_3repE0EEENS1_48merge_mergepath_partition_config_static_selectorELNS0_4arch9wavefront6targetE1EEEvSJ_.num_vgpr, 0
	.set _ZN7rocprim17ROCPRIM_400000_NS6detail17trampoline_kernelINS0_14default_configENS1_38merge_sort_block_merge_config_selectorIffEEZZNS1_27merge_sort_block_merge_implIS3_N6thrust23THRUST_200600_302600_NS6detail15normal_iteratorINS8_10device_ptrIfEEEESD_jNS1_19radix_merge_compareILb0ELb0EfNS0_19identity_decomposerEEEEE10hipError_tT0_T1_T2_jT3_P12ihipStream_tbPNSt15iterator_traitsISI_E10value_typeEPNSO_ISJ_E10value_typeEPSK_NS1_7vsmem_tEENKUlT_SI_SJ_SK_E_clISD_PfSD_S10_EESH_SX_SI_SJ_SK_EUlSX_E_NS1_11comp_targetILNS1_3genE8ELNS1_11target_archE1030ELNS1_3gpuE2ELNS1_3repE0EEENS1_48merge_mergepath_partition_config_static_selectorELNS0_4arch9wavefront6targetE1EEEvSJ_.num_agpr, 0
	.set _ZN7rocprim17ROCPRIM_400000_NS6detail17trampoline_kernelINS0_14default_configENS1_38merge_sort_block_merge_config_selectorIffEEZZNS1_27merge_sort_block_merge_implIS3_N6thrust23THRUST_200600_302600_NS6detail15normal_iteratorINS8_10device_ptrIfEEEESD_jNS1_19radix_merge_compareILb0ELb0EfNS0_19identity_decomposerEEEEE10hipError_tT0_T1_T2_jT3_P12ihipStream_tbPNSt15iterator_traitsISI_E10value_typeEPNSO_ISJ_E10value_typeEPSK_NS1_7vsmem_tEENKUlT_SI_SJ_SK_E_clISD_PfSD_S10_EESH_SX_SI_SJ_SK_EUlSX_E_NS1_11comp_targetILNS1_3genE8ELNS1_11target_archE1030ELNS1_3gpuE2ELNS1_3repE0EEENS1_48merge_mergepath_partition_config_static_selectorELNS0_4arch9wavefront6targetE1EEEvSJ_.numbered_sgpr, 0
	.set _ZN7rocprim17ROCPRIM_400000_NS6detail17trampoline_kernelINS0_14default_configENS1_38merge_sort_block_merge_config_selectorIffEEZZNS1_27merge_sort_block_merge_implIS3_N6thrust23THRUST_200600_302600_NS6detail15normal_iteratorINS8_10device_ptrIfEEEESD_jNS1_19radix_merge_compareILb0ELb0EfNS0_19identity_decomposerEEEEE10hipError_tT0_T1_T2_jT3_P12ihipStream_tbPNSt15iterator_traitsISI_E10value_typeEPNSO_ISJ_E10value_typeEPSK_NS1_7vsmem_tEENKUlT_SI_SJ_SK_E_clISD_PfSD_S10_EESH_SX_SI_SJ_SK_EUlSX_E_NS1_11comp_targetILNS1_3genE8ELNS1_11target_archE1030ELNS1_3gpuE2ELNS1_3repE0EEENS1_48merge_mergepath_partition_config_static_selectorELNS0_4arch9wavefront6targetE1EEEvSJ_.num_named_barrier, 0
	.set _ZN7rocprim17ROCPRIM_400000_NS6detail17trampoline_kernelINS0_14default_configENS1_38merge_sort_block_merge_config_selectorIffEEZZNS1_27merge_sort_block_merge_implIS3_N6thrust23THRUST_200600_302600_NS6detail15normal_iteratorINS8_10device_ptrIfEEEESD_jNS1_19radix_merge_compareILb0ELb0EfNS0_19identity_decomposerEEEEE10hipError_tT0_T1_T2_jT3_P12ihipStream_tbPNSt15iterator_traitsISI_E10value_typeEPNSO_ISJ_E10value_typeEPSK_NS1_7vsmem_tEENKUlT_SI_SJ_SK_E_clISD_PfSD_S10_EESH_SX_SI_SJ_SK_EUlSX_E_NS1_11comp_targetILNS1_3genE8ELNS1_11target_archE1030ELNS1_3gpuE2ELNS1_3repE0EEENS1_48merge_mergepath_partition_config_static_selectorELNS0_4arch9wavefront6targetE1EEEvSJ_.private_seg_size, 0
	.set _ZN7rocprim17ROCPRIM_400000_NS6detail17trampoline_kernelINS0_14default_configENS1_38merge_sort_block_merge_config_selectorIffEEZZNS1_27merge_sort_block_merge_implIS3_N6thrust23THRUST_200600_302600_NS6detail15normal_iteratorINS8_10device_ptrIfEEEESD_jNS1_19radix_merge_compareILb0ELb0EfNS0_19identity_decomposerEEEEE10hipError_tT0_T1_T2_jT3_P12ihipStream_tbPNSt15iterator_traitsISI_E10value_typeEPNSO_ISJ_E10value_typeEPSK_NS1_7vsmem_tEENKUlT_SI_SJ_SK_E_clISD_PfSD_S10_EESH_SX_SI_SJ_SK_EUlSX_E_NS1_11comp_targetILNS1_3genE8ELNS1_11target_archE1030ELNS1_3gpuE2ELNS1_3repE0EEENS1_48merge_mergepath_partition_config_static_selectorELNS0_4arch9wavefront6targetE1EEEvSJ_.uses_vcc, 0
	.set _ZN7rocprim17ROCPRIM_400000_NS6detail17trampoline_kernelINS0_14default_configENS1_38merge_sort_block_merge_config_selectorIffEEZZNS1_27merge_sort_block_merge_implIS3_N6thrust23THRUST_200600_302600_NS6detail15normal_iteratorINS8_10device_ptrIfEEEESD_jNS1_19radix_merge_compareILb0ELb0EfNS0_19identity_decomposerEEEEE10hipError_tT0_T1_T2_jT3_P12ihipStream_tbPNSt15iterator_traitsISI_E10value_typeEPNSO_ISJ_E10value_typeEPSK_NS1_7vsmem_tEENKUlT_SI_SJ_SK_E_clISD_PfSD_S10_EESH_SX_SI_SJ_SK_EUlSX_E_NS1_11comp_targetILNS1_3genE8ELNS1_11target_archE1030ELNS1_3gpuE2ELNS1_3repE0EEENS1_48merge_mergepath_partition_config_static_selectorELNS0_4arch9wavefront6targetE1EEEvSJ_.uses_flat_scratch, 0
	.set _ZN7rocprim17ROCPRIM_400000_NS6detail17trampoline_kernelINS0_14default_configENS1_38merge_sort_block_merge_config_selectorIffEEZZNS1_27merge_sort_block_merge_implIS3_N6thrust23THRUST_200600_302600_NS6detail15normal_iteratorINS8_10device_ptrIfEEEESD_jNS1_19radix_merge_compareILb0ELb0EfNS0_19identity_decomposerEEEEE10hipError_tT0_T1_T2_jT3_P12ihipStream_tbPNSt15iterator_traitsISI_E10value_typeEPNSO_ISJ_E10value_typeEPSK_NS1_7vsmem_tEENKUlT_SI_SJ_SK_E_clISD_PfSD_S10_EESH_SX_SI_SJ_SK_EUlSX_E_NS1_11comp_targetILNS1_3genE8ELNS1_11target_archE1030ELNS1_3gpuE2ELNS1_3repE0EEENS1_48merge_mergepath_partition_config_static_selectorELNS0_4arch9wavefront6targetE1EEEvSJ_.has_dyn_sized_stack, 0
	.set _ZN7rocprim17ROCPRIM_400000_NS6detail17trampoline_kernelINS0_14default_configENS1_38merge_sort_block_merge_config_selectorIffEEZZNS1_27merge_sort_block_merge_implIS3_N6thrust23THRUST_200600_302600_NS6detail15normal_iteratorINS8_10device_ptrIfEEEESD_jNS1_19radix_merge_compareILb0ELb0EfNS0_19identity_decomposerEEEEE10hipError_tT0_T1_T2_jT3_P12ihipStream_tbPNSt15iterator_traitsISI_E10value_typeEPNSO_ISJ_E10value_typeEPSK_NS1_7vsmem_tEENKUlT_SI_SJ_SK_E_clISD_PfSD_S10_EESH_SX_SI_SJ_SK_EUlSX_E_NS1_11comp_targetILNS1_3genE8ELNS1_11target_archE1030ELNS1_3gpuE2ELNS1_3repE0EEENS1_48merge_mergepath_partition_config_static_selectorELNS0_4arch9wavefront6targetE1EEEvSJ_.has_recursion, 0
	.set _ZN7rocprim17ROCPRIM_400000_NS6detail17trampoline_kernelINS0_14default_configENS1_38merge_sort_block_merge_config_selectorIffEEZZNS1_27merge_sort_block_merge_implIS3_N6thrust23THRUST_200600_302600_NS6detail15normal_iteratorINS8_10device_ptrIfEEEESD_jNS1_19radix_merge_compareILb0ELb0EfNS0_19identity_decomposerEEEEE10hipError_tT0_T1_T2_jT3_P12ihipStream_tbPNSt15iterator_traitsISI_E10value_typeEPNSO_ISJ_E10value_typeEPSK_NS1_7vsmem_tEENKUlT_SI_SJ_SK_E_clISD_PfSD_S10_EESH_SX_SI_SJ_SK_EUlSX_E_NS1_11comp_targetILNS1_3genE8ELNS1_11target_archE1030ELNS1_3gpuE2ELNS1_3repE0EEENS1_48merge_mergepath_partition_config_static_selectorELNS0_4arch9wavefront6targetE1EEEvSJ_.has_indirect_call, 0
	.section	.AMDGPU.csdata,"",@progbits
; Kernel info:
; codeLenInByte = 0
; TotalNumSgprs: 6
; NumVgprs: 0
; NumAgprs: 0
; TotalNumVgprs: 0
; ScratchSize: 0
; MemoryBound: 0
; FloatMode: 240
; IeeeMode: 1
; LDSByteSize: 0 bytes/workgroup (compile time only)
; SGPRBlocks: 0
; VGPRBlocks: 0
; NumSGPRsForWavesPerEU: 6
; NumVGPRsForWavesPerEU: 1
; AccumOffset: 4
; Occupancy: 8
; WaveLimiterHint : 0
; COMPUTE_PGM_RSRC2:SCRATCH_EN: 0
; COMPUTE_PGM_RSRC2:USER_SGPR: 2
; COMPUTE_PGM_RSRC2:TRAP_HANDLER: 0
; COMPUTE_PGM_RSRC2:TGID_X_EN: 1
; COMPUTE_PGM_RSRC2:TGID_Y_EN: 0
; COMPUTE_PGM_RSRC2:TGID_Z_EN: 0
; COMPUTE_PGM_RSRC2:TIDIG_COMP_CNT: 0
; COMPUTE_PGM_RSRC3_GFX90A:ACCUM_OFFSET: 0
; COMPUTE_PGM_RSRC3_GFX90A:TG_SPLIT: 0
	.section	.text._ZN7rocprim17ROCPRIM_400000_NS6detail17trampoline_kernelINS0_14default_configENS1_38merge_sort_block_merge_config_selectorIffEEZZNS1_27merge_sort_block_merge_implIS3_N6thrust23THRUST_200600_302600_NS6detail15normal_iteratorINS8_10device_ptrIfEEEESD_jNS1_19radix_merge_compareILb0ELb0EfNS0_19identity_decomposerEEEEE10hipError_tT0_T1_T2_jT3_P12ihipStream_tbPNSt15iterator_traitsISI_E10value_typeEPNSO_ISJ_E10value_typeEPSK_NS1_7vsmem_tEENKUlT_SI_SJ_SK_E_clISD_PfSD_S10_EESH_SX_SI_SJ_SK_EUlSX_E0_NS1_11comp_targetILNS1_3genE0ELNS1_11target_archE4294967295ELNS1_3gpuE0ELNS1_3repE0EEENS1_38merge_mergepath_config_static_selectorELNS0_4arch9wavefront6targetE1EEEvSJ_,"axG",@progbits,_ZN7rocprim17ROCPRIM_400000_NS6detail17trampoline_kernelINS0_14default_configENS1_38merge_sort_block_merge_config_selectorIffEEZZNS1_27merge_sort_block_merge_implIS3_N6thrust23THRUST_200600_302600_NS6detail15normal_iteratorINS8_10device_ptrIfEEEESD_jNS1_19radix_merge_compareILb0ELb0EfNS0_19identity_decomposerEEEEE10hipError_tT0_T1_T2_jT3_P12ihipStream_tbPNSt15iterator_traitsISI_E10value_typeEPNSO_ISJ_E10value_typeEPSK_NS1_7vsmem_tEENKUlT_SI_SJ_SK_E_clISD_PfSD_S10_EESH_SX_SI_SJ_SK_EUlSX_E0_NS1_11comp_targetILNS1_3genE0ELNS1_11target_archE4294967295ELNS1_3gpuE0ELNS1_3repE0EEENS1_38merge_mergepath_config_static_selectorELNS0_4arch9wavefront6targetE1EEEvSJ_,comdat
	.protected	_ZN7rocprim17ROCPRIM_400000_NS6detail17trampoline_kernelINS0_14default_configENS1_38merge_sort_block_merge_config_selectorIffEEZZNS1_27merge_sort_block_merge_implIS3_N6thrust23THRUST_200600_302600_NS6detail15normal_iteratorINS8_10device_ptrIfEEEESD_jNS1_19radix_merge_compareILb0ELb0EfNS0_19identity_decomposerEEEEE10hipError_tT0_T1_T2_jT3_P12ihipStream_tbPNSt15iterator_traitsISI_E10value_typeEPNSO_ISJ_E10value_typeEPSK_NS1_7vsmem_tEENKUlT_SI_SJ_SK_E_clISD_PfSD_S10_EESH_SX_SI_SJ_SK_EUlSX_E0_NS1_11comp_targetILNS1_3genE0ELNS1_11target_archE4294967295ELNS1_3gpuE0ELNS1_3repE0EEENS1_38merge_mergepath_config_static_selectorELNS0_4arch9wavefront6targetE1EEEvSJ_ ; -- Begin function _ZN7rocprim17ROCPRIM_400000_NS6detail17trampoline_kernelINS0_14default_configENS1_38merge_sort_block_merge_config_selectorIffEEZZNS1_27merge_sort_block_merge_implIS3_N6thrust23THRUST_200600_302600_NS6detail15normal_iteratorINS8_10device_ptrIfEEEESD_jNS1_19radix_merge_compareILb0ELb0EfNS0_19identity_decomposerEEEEE10hipError_tT0_T1_T2_jT3_P12ihipStream_tbPNSt15iterator_traitsISI_E10value_typeEPNSO_ISJ_E10value_typeEPSK_NS1_7vsmem_tEENKUlT_SI_SJ_SK_E_clISD_PfSD_S10_EESH_SX_SI_SJ_SK_EUlSX_E0_NS1_11comp_targetILNS1_3genE0ELNS1_11target_archE4294967295ELNS1_3gpuE0ELNS1_3repE0EEENS1_38merge_mergepath_config_static_selectorELNS0_4arch9wavefront6targetE1EEEvSJ_
	.globl	_ZN7rocprim17ROCPRIM_400000_NS6detail17trampoline_kernelINS0_14default_configENS1_38merge_sort_block_merge_config_selectorIffEEZZNS1_27merge_sort_block_merge_implIS3_N6thrust23THRUST_200600_302600_NS6detail15normal_iteratorINS8_10device_ptrIfEEEESD_jNS1_19radix_merge_compareILb0ELb0EfNS0_19identity_decomposerEEEEE10hipError_tT0_T1_T2_jT3_P12ihipStream_tbPNSt15iterator_traitsISI_E10value_typeEPNSO_ISJ_E10value_typeEPSK_NS1_7vsmem_tEENKUlT_SI_SJ_SK_E_clISD_PfSD_S10_EESH_SX_SI_SJ_SK_EUlSX_E0_NS1_11comp_targetILNS1_3genE0ELNS1_11target_archE4294967295ELNS1_3gpuE0ELNS1_3repE0EEENS1_38merge_mergepath_config_static_selectorELNS0_4arch9wavefront6targetE1EEEvSJ_
	.p2align	8
	.type	_ZN7rocprim17ROCPRIM_400000_NS6detail17trampoline_kernelINS0_14default_configENS1_38merge_sort_block_merge_config_selectorIffEEZZNS1_27merge_sort_block_merge_implIS3_N6thrust23THRUST_200600_302600_NS6detail15normal_iteratorINS8_10device_ptrIfEEEESD_jNS1_19radix_merge_compareILb0ELb0EfNS0_19identity_decomposerEEEEE10hipError_tT0_T1_T2_jT3_P12ihipStream_tbPNSt15iterator_traitsISI_E10value_typeEPNSO_ISJ_E10value_typeEPSK_NS1_7vsmem_tEENKUlT_SI_SJ_SK_E_clISD_PfSD_S10_EESH_SX_SI_SJ_SK_EUlSX_E0_NS1_11comp_targetILNS1_3genE0ELNS1_11target_archE4294967295ELNS1_3gpuE0ELNS1_3repE0EEENS1_38merge_mergepath_config_static_selectorELNS0_4arch9wavefront6targetE1EEEvSJ_,@function
_ZN7rocprim17ROCPRIM_400000_NS6detail17trampoline_kernelINS0_14default_configENS1_38merge_sort_block_merge_config_selectorIffEEZZNS1_27merge_sort_block_merge_implIS3_N6thrust23THRUST_200600_302600_NS6detail15normal_iteratorINS8_10device_ptrIfEEEESD_jNS1_19radix_merge_compareILb0ELb0EfNS0_19identity_decomposerEEEEE10hipError_tT0_T1_T2_jT3_P12ihipStream_tbPNSt15iterator_traitsISI_E10value_typeEPNSO_ISJ_E10value_typeEPSK_NS1_7vsmem_tEENKUlT_SI_SJ_SK_E_clISD_PfSD_S10_EESH_SX_SI_SJ_SK_EUlSX_E0_NS1_11comp_targetILNS1_3genE0ELNS1_11target_archE4294967295ELNS1_3gpuE0ELNS1_3repE0EEENS1_38merge_mergepath_config_static_selectorELNS0_4arch9wavefront6targetE1EEEvSJ_: ; @_ZN7rocprim17ROCPRIM_400000_NS6detail17trampoline_kernelINS0_14default_configENS1_38merge_sort_block_merge_config_selectorIffEEZZNS1_27merge_sort_block_merge_implIS3_N6thrust23THRUST_200600_302600_NS6detail15normal_iteratorINS8_10device_ptrIfEEEESD_jNS1_19radix_merge_compareILb0ELb0EfNS0_19identity_decomposerEEEEE10hipError_tT0_T1_T2_jT3_P12ihipStream_tbPNSt15iterator_traitsISI_E10value_typeEPNSO_ISJ_E10value_typeEPSK_NS1_7vsmem_tEENKUlT_SI_SJ_SK_E_clISD_PfSD_S10_EESH_SX_SI_SJ_SK_EUlSX_E0_NS1_11comp_targetILNS1_3genE0ELNS1_11target_archE4294967295ELNS1_3gpuE0ELNS1_3repE0EEENS1_38merge_mergepath_config_static_selectorELNS0_4arch9wavefront6targetE1EEEvSJ_
; %bb.0:
	s_load_dwordx2 s[28:29], s[0:1], 0x40
	s_load_dword s5, s[0:1], 0x30
	s_add_u32 s24, s0, 64
	s_addc_u32 s25, s1, 0
	s_waitcnt lgkmcnt(0)
	s_mul_i32 s4, s29, s4
	s_add_i32 s3, s4, s3
	s_mul_i32 s3, s3, s28
	s_add_i32 s26, s3, s2
	s_cmp_ge_u32 s26, s5
	s_cbranch_scc1 .LBB253_102
; %bb.1:
	s_load_dwordx8 s[8:15], s[0:1], 0x10
	s_load_dwordx2 s[20:21], s[0:1], 0x8
	s_load_dwordx2 s[4:5], s[0:1], 0x38
	s_mov_b32 s27, 0
	s_mov_b32 s23, s27
	s_waitcnt lgkmcnt(0)
	s_lshr_b32 s29, s14, 10
	s_cmp_lg_u32 s26, s29
	s_cselect_b64 s[6:7], -1, 0
	s_lshl_b64 s[0:1], s[26:27], 2
	s_add_u32 s0, s4, s0
	s_addc_u32 s1, s5, s1
	s_load_dwordx2 s[16:17], s[0:1], 0x0
	s_lshr_b32 s0, s15, 9
	s_and_b32 s0, s0, 0x7ffffe
	s_sub_i32 s0, 0, s0
	s_and_b32 s1, s26, s0
	s_lshl_b32 s3, s1, 10
	s_lshl_b32 s4, s26, 10
	;; [unrolled: 1-line block ×3, first 2 shown]
	s_sub_i32 s5, s4, s3
	s_add_i32 s1, s1, s15
	s_add_i32 s5, s1, s5
	s_waitcnt lgkmcnt(0)
	s_sub_i32 s18, s5, s16
	s_sub_i32 s5, s5, s17
	;; [unrolled: 1-line block ×3, first 2 shown]
	s_min_u32 s22, s14, s18
	s_addk_i32 s5, 0x400
	s_or_b32 s0, s26, s0
	s_min_u32 s3, s14, s1
	s_add_i32 s1, s1, s15
	s_cmp_eq_u32 s0, -1
	s_cselect_b32 s0, s1, s5
	s_cselect_b32 s1, s3, s17
	s_mov_b32 s17, s27
	s_min_u32 s15, s0, s14
	s_sub_i32 s5, s1, s16
	s_lshl_b64 s[0:1], s[16:17], 2
	s_add_u32 s18, s20, s0
	s_addc_u32 s19, s21, s1
	s_lshl_b64 s[16:17], s[22:23], 2
	s_add_u32 s20, s20, s16
	s_addc_u32 s21, s21, s17
	s_cmp_lt_u32 s2, s28
	v_mov_b32_e32 v9, 0
	s_cselect_b32 s2, 12, 18
	global_load_dword v1, v9, s[24:25] offset:14
	s_add_u32 s2, s24, s2
	s_addc_u32 s3, s25, 0
	global_load_ushort v2, v9, s[2:3]
	s_cmp_eq_u32 s26, s29
	v_lshlrev_b32_e32 v18, 2, v0
	s_waitcnt vmcnt(1)
	v_lshrrev_b32_e32 v3, 16, v1
	v_and_b32_e32 v1, 0xffff, v1
	v_mul_lo_u32 v1, v1, v3
	s_waitcnt vmcnt(0)
	v_mul_lo_u32 v1, v1, v2
	v_add_u32_e32 v22, v1, v0
	v_add_u32_e32 v20, v22, v1
	s_cbranch_scc1 .LBB253_3
; %bb.2:
	v_mov_b32_e32 v19, v9
	v_subrev_co_u32_e32 v8, vcc, s5, v0
	v_lshl_add_u64 v[2:3], s[18:19], 0, v[18:19]
	v_lshl_add_u64 v[4:5], v[8:9], 2, s[20:21]
	v_cndmask_b32_e32 v3, v5, v3, vcc
	v_cndmask_b32_e32 v2, v4, v2, vcc
	v_mov_b32_e32 v23, v9
	v_subrev_co_u32_e32 v8, vcc, s5, v22
	v_lshl_add_u64 v[4:5], v[22:23], 2, s[18:19]
	v_lshl_add_u64 v[6:7], v[8:9], 2, s[20:21]
	v_cndmask_b32_e32 v5, v7, v5, vcc
	v_cndmask_b32_e32 v4, v6, v4, vcc
	v_mov_b32_e32 v21, v9
	v_subrev_co_u32_e32 v8, vcc, s5, v20
	global_load_dword v2, v[2:3], off
	v_lshl_add_u64 v[6:7], v[8:9], 2, s[20:21]
	global_load_dword v3, v[4:5], off
	v_lshl_add_u64 v[4:5], v[20:21], 2, s[18:19]
	v_cndmask_b32_e32 v4, v6, v4, vcc
	v_add_u32_e32 v6, v20, v1
	v_cndmask_b32_e32 v5, v7, v5, vcc
	v_mov_b32_e32 v7, v9
	v_subrev_co_u32_e32 v8, vcc, s5, v6
	v_lshl_add_u64 v[10:11], v[6:7], 2, s[18:19]
	v_lshl_add_u64 v[12:13], v[8:9], 2, s[20:21]
	v_cndmask_b32_e32 v11, v13, v11, vcc
	v_cndmask_b32_e32 v10, v12, v10, vcc
	global_load_dword v4, v[4:5], off
	s_nop 0
	global_load_dword v5, v[10:11], off
	v_add_u32_e32 v10, v6, v1
	v_mov_b32_e32 v11, v9
	v_subrev_co_u32_e32 v8, vcc, s5, v10
	v_lshl_add_u64 v[6:7], v[10:11], 2, s[18:19]
	v_lshl_add_u64 v[12:13], v[8:9], 2, s[20:21]
	v_add_u32_e32 v10, v10, v1
	v_cndmask_b32_e32 v7, v13, v7, vcc
	v_cndmask_b32_e32 v6, v12, v6, vcc
	v_subrev_co_u32_e32 v8, vcc, s5, v10
	v_lshl_add_u64 v[12:13], v[10:11], 2, s[18:19]
	v_lshl_add_u64 v[14:15], v[8:9], 2, s[20:21]
	v_add_u32_e32 v10, v10, v1
	v_cndmask_b32_e32 v13, v15, v13, vcc
	v_cndmask_b32_e32 v12, v14, v12, vcc
	v_subrev_co_u32_e32 v8, vcc, s5, v10
	global_load_dword v6, v[6:7], off
	v_lshl_add_u64 v[14:15], v[8:9], 2, s[20:21]
	global_load_dword v7, v[12:13], off
	v_lshl_add_u64 v[12:13], v[10:11], 2, s[18:19]
	v_cndmask_b32_e32 v13, v15, v13, vcc
	v_cndmask_b32_e32 v12, v14, v12, vcc
	global_load_dword v8, v[12:13], off
	v_add_u32_e32 v10, v10, v1
	s_mov_b64 s[2:3], -1
	s_sub_i32 s15, s15, s22
	s_cbranch_execz .LBB253_4
	s_branch .LBB253_17
.LBB253_3:
	s_mov_b64 s[2:3], 0
                                        ; implicit-def: $vgpr10
                                        ; implicit-def: $vgpr2_vgpr3_vgpr4_vgpr5_vgpr6_vgpr7_vgpr8_vgpr9
	s_sub_i32 s15, s15, s22
.LBB253_4:
	s_add_i32 s22, s15, s5
	s_waitcnt vmcnt(6)
	v_mov_b32_e32 v2, 0
	v_cmp_gt_u32_e32 vcc, s22, v0
	s_waitcnt vmcnt(5)
	v_mov_b32_e32 v3, v2
	s_waitcnt vmcnt(4)
	v_mov_b32_e32 v4, v2
	;; [unrolled: 2-line block ×6, first 2 shown]
	v_mov_b32_e32 v9, v2
	s_and_saveexec_b64 s[2:3], vcc
	s_cbranch_execnz .LBB253_103
; %bb.5:
	s_or_b64 exec, exec, s[2:3]
	v_cmp_gt_u32_e32 vcc, s22, v22
	s_and_saveexec_b64 s[2:3], vcc
	s_cbranch_execnz .LBB253_104
.LBB253_6:
	s_or_b64 exec, exec, s[2:3]
	v_cmp_gt_u32_e32 vcc, s22, v20
	s_and_saveexec_b64 s[2:3], vcc
	s_cbranch_execz .LBB253_8
.LBB253_7:
	v_mov_b32_e32 v21, 0
	v_subrev_co_u32_e32 v12, vcc, s5, v20
	v_mov_b32_e32 v13, v21
	v_lshl_add_u64 v[10:11], v[20:21], 2, s[18:19]
	v_lshl_add_u64 v[12:13], v[12:13], 2, s[20:21]
	v_cndmask_b32_e32 v11, v13, v11, vcc
	v_cndmask_b32_e32 v10, v12, v10, vcc
	global_load_dword v4, v[10:11], off
.LBB253_8:
	s_or_b64 exec, exec, s[2:3]
	v_add_u32_e32 v10, v20, v1
	v_cmp_gt_u32_e32 vcc, s22, v10
	s_and_saveexec_b64 s[2:3], vcc
	s_cbranch_execz .LBB253_10
; %bb.9:
	v_mov_b32_e32 v11, 0
	v_subrev_co_u32_e32 v14, vcc, s5, v10
	v_mov_b32_e32 v15, v11
	v_lshl_add_u64 v[12:13], v[10:11], 2, s[18:19]
	v_lshl_add_u64 v[14:15], v[14:15], 2, s[20:21]
	v_cndmask_b32_e32 v13, v15, v13, vcc
	v_cndmask_b32_e32 v12, v14, v12, vcc
	global_load_dword v5, v[12:13], off
.LBB253_10:
	s_or_b64 exec, exec, s[2:3]
	v_add_u32_e32 v10, v10, v1
	v_cmp_gt_u32_e32 vcc, s22, v10
	s_and_saveexec_b64 s[2:3], vcc
	s_cbranch_execz .LBB253_12
; %bb.11:
	v_mov_b32_e32 v11, 0
	v_subrev_co_u32_e32 v14, vcc, s5, v10
	v_mov_b32_e32 v15, v11
	v_lshl_add_u64 v[12:13], v[10:11], 2, s[18:19]
	v_lshl_add_u64 v[14:15], v[14:15], 2, s[20:21]
	v_cndmask_b32_e32 v13, v15, v13, vcc
	v_cndmask_b32_e32 v12, v14, v12, vcc
	global_load_dword v6, v[12:13], off
.LBB253_12:
	;; [unrolled: 15-line block ×4, first 2 shown]
	s_or_b64 exec, exec, s[2:3]
	v_add_u32_e32 v10, v10, v1
	v_cmp_gt_u32_e64 s[2:3], s22, v10
.LBB253_17:
	s_and_saveexec_b64 s[22:23], s[2:3]
	s_cbranch_execz .LBB253_19
; %bb.18:
	v_mov_b32_e32 v13, 0
	v_mov_b32_e32 v11, v13
	v_subrev_co_u32_e32 v12, vcc, s5, v10
	v_lshl_add_u64 v[14:15], v[10:11], 2, s[18:19]
	v_lshl_add_u64 v[10:11], v[12:13], 2, s[20:21]
	v_cndmask_b32_e32 v11, v11, v15, vcc
	v_cndmask_b32_e32 v10, v10, v14, vcc
	global_load_dword v9, v[10:11], off
.LBB253_19:
	s_or_b64 exec, exec, s[22:23]
	s_add_u32 s0, s10, s0
	s_addc_u32 s1, s11, s1
	s_add_u32 s2, s10, s16
	v_mov_b32_e32 v17, 0
	s_addc_u32 s3, s11, s17
	s_andn2_b64 vcc, exec, s[6:7]
	s_waitcnt vmcnt(0)
	ds_write2st64_b32 v18, v2, v3 offset1:2
	ds_write2st64_b32 v18, v4, v5 offset0:4 offset1:6
	ds_write2st64_b32 v18, v6, v7 offset0:8 offset1:10
	;; [unrolled: 1-line block ×3, first 2 shown]
	s_cbranch_vccnz .LBB253_21
; %bb.20:
	v_mov_b32_e32 v19, v17
	v_subrev_co_u32_e32 v16, vcc, s5, v0
	v_lshl_add_u64 v[10:11], s[0:1], 0, v[18:19]
	v_lshl_add_u64 v[12:13], v[16:17], 2, s[2:3]
	v_cndmask_b32_e32 v11, v13, v11, vcc
	v_cndmask_b32_e32 v10, v12, v10, vcc
	v_mov_b32_e32 v23, v17
	v_subrev_co_u32_e32 v16, vcc, s5, v22
	v_lshl_add_u64 v[12:13], v[22:23], 2, s[0:1]
	v_lshl_add_u64 v[14:15], v[16:17], 2, s[2:3]
	v_cndmask_b32_e32 v13, v15, v13, vcc
	v_cndmask_b32_e32 v12, v14, v12, vcc
	v_mov_b32_e32 v21, v17
	v_subrev_co_u32_e32 v16, vcc, s5, v20
	global_load_dword v10, v[10:11], off
	v_lshl_add_u64 v[14:15], v[16:17], 2, s[2:3]
	global_load_dword v11, v[12:13], off
	v_lshl_add_u64 v[12:13], v[20:21], 2, s[0:1]
	v_cndmask_b32_e32 v12, v14, v12, vcc
	v_add_u32_e32 v14, v20, v1
	v_cndmask_b32_e32 v13, v15, v13, vcc
	v_mov_b32_e32 v15, v17
	v_subrev_co_u32_e32 v16, vcc, s5, v14
	v_lshl_add_u64 v[24:25], v[14:15], 2, s[0:1]
	v_lshl_add_u64 v[26:27], v[16:17], 2, s[2:3]
	v_cndmask_b32_e32 v25, v27, v25, vcc
	v_cndmask_b32_e32 v24, v26, v24, vcc
	global_load_dword v12, v[12:13], off
	s_add_i32 s18, s15, s5
	global_load_dword v13, v[24:25], off
	v_add_u32_e32 v24, v14, v1
	v_mov_b32_e32 v25, v17
	v_subrev_co_u32_e32 v16, vcc, s5, v24
	v_lshl_add_u64 v[14:15], v[24:25], 2, s[0:1]
	v_lshl_add_u64 v[26:27], v[16:17], 2, s[2:3]
	v_add_u32_e32 v24, v24, v1
	v_cndmask_b32_e32 v15, v27, v15, vcc
	v_cndmask_b32_e32 v14, v26, v14, vcc
	v_subrev_co_u32_e32 v16, vcc, s5, v24
	v_lshl_add_u64 v[26:27], v[24:25], 2, s[0:1]
	v_lshl_add_u64 v[28:29], v[16:17], 2, s[2:3]
	v_add_u32_e32 v24, v24, v1
	v_cndmask_b32_e32 v27, v29, v27, vcc
	v_cndmask_b32_e32 v26, v28, v26, vcc
	v_subrev_co_u32_e32 v16, vcc, s5, v24
	global_load_dword v14, v[14:15], off
	v_lshl_add_u64 v[28:29], v[16:17], 2, s[2:3]
	global_load_dword v15, v[26:27], off
	v_lshl_add_u64 v[26:27], v[24:25], 2, s[0:1]
	v_cndmask_b32_e32 v27, v29, v27, vcc
	v_cndmask_b32_e32 v26, v28, v26, vcc
	global_load_dword v16, v[26:27], off
	v_add_u32_e32 v24, v24, v1
	s_mov_b64 s[10:11], -1
	v_mov_b32_e32 v19, s18
	s_cbranch_execz .LBB253_22
	s_branch .LBB253_35
.LBB253_21:
	s_mov_b64 s[10:11], 0
                                        ; implicit-def: $vgpr24
                                        ; implicit-def: $vgpr10_vgpr11_vgpr12_vgpr13_vgpr14_vgpr15_vgpr16_vgpr17
                                        ; implicit-def: $vgpr19
.LBB253_22:
	s_add_i32 s16, s15, s5
	s_waitcnt vmcnt(6)
	v_mov_b32_e32 v10, 0
	v_cmp_gt_u32_e32 vcc, s16, v0
	s_waitcnt vmcnt(5)
	v_mov_b32_e32 v11, v10
	s_waitcnt vmcnt(4)
	v_mov_b32_e32 v12, v10
	;; [unrolled: 2-line block ×6, first 2 shown]
	v_mov_b32_e32 v17, v10
	s_and_saveexec_b64 s[10:11], vcc
	s_cbranch_execnz .LBB253_105
; %bb.23:
	s_or_b64 exec, exec, s[10:11]
	v_cmp_gt_u32_e32 vcc, s16, v22
	s_and_saveexec_b64 s[10:11], vcc
	s_cbranch_execnz .LBB253_106
.LBB253_24:
	s_or_b64 exec, exec, s[10:11]
	v_cmp_gt_u32_e32 vcc, s16, v20
	s_and_saveexec_b64 s[10:11], vcc
	s_cbranch_execz .LBB253_26
.LBB253_25:
	v_mov_b32_e32 v21, 0
	v_subrev_co_u32_e32 v24, vcc, s5, v20
	v_mov_b32_e32 v25, v21
	v_lshl_add_u64 v[22:23], v[20:21], 2, s[0:1]
	v_lshl_add_u64 v[24:25], v[24:25], 2, s[2:3]
	v_cndmask_b32_e32 v23, v25, v23, vcc
	v_cndmask_b32_e32 v22, v24, v22, vcc
	global_load_dword v12, v[22:23], off
.LBB253_26:
	s_or_b64 exec, exec, s[10:11]
	v_add_u32_e32 v20, v20, v1
	v_cmp_gt_u32_e32 vcc, s16, v20
	s_and_saveexec_b64 s[10:11], vcc
	s_cbranch_execz .LBB253_28
; %bb.27:
	v_mov_b32_e32 v21, 0
	v_subrev_co_u32_e32 v24, vcc, s5, v20
	v_mov_b32_e32 v25, v21
	v_lshl_add_u64 v[22:23], v[20:21], 2, s[0:1]
	v_lshl_add_u64 v[24:25], v[24:25], 2, s[2:3]
	v_cndmask_b32_e32 v23, v25, v23, vcc
	v_cndmask_b32_e32 v22, v24, v22, vcc
	global_load_dword v13, v[22:23], off
.LBB253_28:
	s_or_b64 exec, exec, s[10:11]
	v_add_u32_e32 v20, v20, v1
	v_cmp_gt_u32_e32 vcc, s16, v20
	s_and_saveexec_b64 s[10:11], vcc
	s_cbranch_execz .LBB253_30
; %bb.29:
	v_mov_b32_e32 v21, 0
	v_subrev_co_u32_e32 v24, vcc, s5, v20
	v_mov_b32_e32 v25, v21
	v_lshl_add_u64 v[22:23], v[20:21], 2, s[0:1]
	v_lshl_add_u64 v[24:25], v[24:25], 2, s[2:3]
	v_cndmask_b32_e32 v23, v25, v23, vcc
	v_cndmask_b32_e32 v22, v24, v22, vcc
	global_load_dword v14, v[22:23], off
.LBB253_30:
	;; [unrolled: 15-line block ×4, first 2 shown]
	s_or_b64 exec, exec, s[10:11]
	v_add_u32_e32 v24, v20, v1
	v_cmp_gt_u32_e64 s[10:11], s16, v24
	v_mov_b32_e32 v19, s16
.LBB253_35:
	s_and_saveexec_b64 s[16:17], s[10:11]
	s_cbranch_execz .LBB253_37
; %bb.36:
	v_mov_b32_e32 v21, 0
	v_mov_b32_e32 v25, v21
	v_subrev_co_u32_e32 v20, vcc, s5, v24
	v_lshl_add_u64 v[22:23], v[24:25], 2, s[0:1]
	v_lshl_add_u64 v[20:21], v[20:21], 2, s[2:3]
	v_cndmask_b32_e32 v21, v21, v23, vcc
	v_cndmask_b32_e32 v20, v20, v22, vcc
	global_load_dword v17, v[20:21], off
.LBB253_37:
	s_or_b64 exec, exec, s[16:17]
	v_lshlrev_b32_e32 v1, 3, v0
	v_min_u32_e32 v20, v19, v1
	v_sub_u32_e64 v27, v20, s15 clamp
	v_min_u32_e32 v21, s5, v20
	v_cmp_lt_u32_e32 vcc, v27, v21
	s_waitcnt lgkmcnt(0)
	s_barrier
	s_and_saveexec_b64 s[0:1], vcc
	s_cbranch_execz .LBB253_41
; %bb.38:
	v_lshlrev_b32_e32 v22, 2, v20
	v_lshl_add_u32 v22, s5, 2, v22
	s_mov_b64 s[2:3], 0
.LBB253_39:                             ; =>This Inner Loop Header: Depth=1
	v_add_u32_e32 v23, v21, v27
	v_lshrrev_b32_e32 v23, 1, v23
	v_not_b32_e32 v24, v23
	v_lshlrev_b32_e32 v25, 2, v23
	v_lshl_add_u32 v28, v24, 2, v22
	ds_read_b32 v24, v25
	ds_read_b32 v25, v28
	v_add_u32_e32 v26, 1, v23
	s_waitcnt lgkmcnt(0)
	v_pk_add_f32 v[24:25], v[24:25], 0 op_sel_hi:[1,0]
	s_nop 0
	v_ashrrev_i32_e32 v28, 31, v25
	v_ashrrev_i32_e32 v29, 31, v24
	v_or_b32_e32 v28, 0x80000000, v28
	v_or_b32_e32 v29, 0x80000000, v29
	v_xor_b32_e32 v25, v28, v25
	v_xor_b32_e32 v24, v29, v24
	v_cmp_gt_u32_e32 vcc, v24, v25
	s_nop 1
	v_cndmask_b32_e32 v21, v21, v23, vcc
	v_cndmask_b32_e32 v27, v26, v27, vcc
	v_cmp_ge_u32_e32 vcc, v27, v21
	s_or_b64 s[2:3], vcc, s[2:3]
	s_andn2_b64 exec, exec, s[2:3]
	s_cbranch_execnz .LBB253_39
; %bb.40:
	s_or_b64 exec, exec, s[2:3]
.LBB253_41:
	s_or_b64 exec, exec, s[0:1]
	v_sub_u32_e32 v20, v20, v27
	v_add_u32_e32 v29, s5, v20
	v_cmp_ge_u32_e32 vcc, s5, v27
	v_cmp_le_u32_e64 s[0:1], v29, v19
	s_or_b64 s[0:1], vcc, s[0:1]
                                        ; implicit-def: $vgpr20
                                        ; implicit-def: $vgpr30
                                        ; implicit-def: $vgpr28
                                        ; implicit-def: $vgpr26
                                        ; implicit-def: $vgpr25
                                        ; implicit-def: $vgpr24
                                        ; implicit-def: $vgpr23
                                        ; implicit-def: $vgpr22
	s_and_saveexec_b64 s[2:3], s[0:1]
	s_xor_b64 s[2:3], exec, s[2:3]
	s_cbranch_execz .LBB253_77
; %bb.42:
	v_cmp_le_u32_e32 vcc, s5, v27
	v_cmp_gt_u32_e64 s[0:1], s5, v27
                                        ; implicit-def: $vgpr20
	s_and_saveexec_b64 s[10:11], s[0:1]
; %bb.43:
	v_lshlrev_b32_e32 v2, 2, v27
	ds_read_b32 v20, v2
; %bb.44:
	s_or_b64 exec, exec, s[10:11]
	v_cmp_ge_u32_e64 s[10:11], v29, v19
	v_cmp_lt_u32_e64 s[0:1], v29, v19
	s_and_saveexec_b64 s[16:17], s[0:1]
; %bb.45:
	v_lshlrev_b32_e32 v2, 2, v29
	ds_read_b32 v21, v2
; %bb.46:
	s_or_b64 exec, exec, s[16:17]
	s_nor_b64 s[16:17], vcc, s[10:11]
	s_and_saveexec_b64 s[0:1], s[16:17]
	s_cbranch_execz .LBB253_48
; %bb.47:
	s_waitcnt lgkmcnt(0)
	v_pk_add_f32 v[2:3], v[20:21], 0 op_sel_hi:[1,0]
	s_andn2_b64 s[10:11], s[10:11], exec
	v_ashrrev_i32_e32 v4, 31, v3
	v_ashrrev_i32_e32 v5, 31, v2
	v_or_b32_e32 v4, 0x80000000, v4
	v_or_b32_e32 v5, 0x80000000, v5
	v_xor_b32_e32 v3, v4, v3
	v_xor_b32_e32 v2, v5, v2
	v_cmp_le_u32_e32 vcc, v2, v3
	s_and_b64 s[16:17], vcc, exec
	s_or_b64 s[10:11], s[10:11], s[16:17]
.LBB253_48:
	s_or_b64 exec, exec, s[0:1]
	v_mov_b32_e32 v2, s5
	v_cndmask_b32_e64 v22, v29, v27, s[10:11]
	v_cndmask_b32_e64 v2, v19, v2, s[10:11]
	v_add_u32_e32 v5, 1, v22
	v_add_u32_e32 v2, -1, v2
	v_min_u32_e32 v2, v5, v2
	v_lshlrev_b32_e32 v2, 2, v2
	ds_read_b32 v3, v2
	v_cndmask_b32_e64 v4, v5, v29, s[10:11]
	v_cndmask_b32_e64 v5, v27, v5, s[10:11]
	v_cmp_lt_u32_e32 vcc, v4, v19
	s_mov_b64 s[16:17], -1
	s_waitcnt lgkmcnt(0)
	v_cndmask_b32_e64 v2, v3, v21, s[10:11]
	v_cndmask_b32_e64 v3, v20, v3, s[10:11]
	s_mov_b64 s[0:1], -1
	s_and_saveexec_b64 s[18:19], vcc
	s_cbranch_execz .LBB253_52
; %bb.49:
	v_cmp_gt_u32_e32 vcc, s5, v5
	s_mov_b64 s[20:21], 0
	s_and_saveexec_b64 s[0:1], vcc
; %bb.50:
	v_add_f32_e32 v6, 0, v3
	v_add_f32_e32 v7, 0, v2
	v_ashrrev_i32_e32 v8, 31, v6
	s_brev_b32 s15, 1
	v_bitop3_b32 v6, v8, v6, s15 bitop3:0x36
	v_ashrrev_i32_e32 v8, 31, v7
	v_bitop3_b32 v7, v8, v7, s15 bitop3:0x36
	v_cmp_le_u32_e32 vcc, v6, v7
	s_and_b64 s[20:21], vcc, exec
; %bb.51:
	s_or_b64 exec, exec, s[0:1]
	s_orn2_b64 s[0:1], s[20:21], exec
.LBB253_52:
	s_or_b64 exec, exec, s[18:19]
	v_mov_b32_e32 v6, s5
	v_cndmask_b32_e64 v23, v4, v5, s[0:1]
	v_cndmask_b32_e64 v6, v19, v6, s[0:1]
	v_add_u32_e32 v7, 1, v23
	v_add_u32_e32 v6, -1, v6
	v_min_u32_e32 v6, v7, v6
	v_lshlrev_b32_e32 v6, 2, v6
	ds_read_b32 v8, v6
	v_cndmask_b32_e64 v6, v7, v4, s[0:1]
	v_cndmask_b32_e64 v7, v5, v7, s[0:1]
	v_cmp_lt_u32_e32 vcc, v6, v19
	s_waitcnt lgkmcnt(0)
	v_cndmask_b32_e64 v4, v8, v2, s[0:1]
	v_cndmask_b32_e64 v9, v3, v8, s[0:1]
	s_and_saveexec_b64 s[18:19], vcc
	s_cbranch_execz .LBB253_56
; %bb.53:
	v_cmp_gt_u32_e32 vcc, s5, v7
	s_mov_b64 s[20:21], 0
	s_and_saveexec_b64 s[16:17], vcc
; %bb.54:
	v_add_f32_e32 v5, 0, v9
	v_add_f32_e32 v8, 0, v4
	v_ashrrev_i32_e32 v24, 31, v5
	s_brev_b32 s15, 1
	v_bitop3_b32 v5, v24, v5, s15 bitop3:0x36
	v_ashrrev_i32_e32 v24, 31, v8
	v_bitop3_b32 v8, v24, v8, s15 bitop3:0x36
	v_cmp_le_u32_e32 vcc, v5, v8
	s_and_b64 s[20:21], vcc, exec
; %bb.55:
	s_or_b64 exec, exec, s[16:17]
	s_orn2_b64 s[16:17], s[20:21], exec
.LBB253_56:
	s_or_b64 exec, exec, s[18:19]
	v_mov_b32_e32 v5, s5
	v_cndmask_b32_e64 v24, v6, v7, s[16:17]
	v_cndmask_b32_e64 v5, v19, v5, s[16:17]
	v_add_u32_e32 v8, 1, v24
	v_add_u32_e32 v5, -1, v5
	v_min_u32_e32 v5, v8, v5
	v_lshlrev_b32_e32 v5, 2, v5
	ds_read_b32 v25, v5
	v_cndmask_b32_e64 v6, v8, v6, s[16:17]
	v_cndmask_b32_e64 v7, v7, v8, s[16:17]
	v_cmp_lt_u32_e32 vcc, v6, v19
	s_mov_b64 s[20:21], -1
	s_waitcnt lgkmcnt(0)
	v_cndmask_b32_e64 v5, v25, v4, s[16:17]
	v_cndmask_b32_e64 v27, v9, v25, s[16:17]
	s_mov_b64 s[18:19], -1
	s_and_saveexec_b64 s[22:23], vcc
	s_cbranch_execz .LBB253_60
; %bb.57:
	v_cmp_gt_u32_e32 vcc, s5, v7
	s_mov_b64 s[24:25], 0
	s_and_saveexec_b64 s[18:19], vcc
; %bb.58:
	v_add_f32_e32 v8, 0, v27
	v_add_f32_e32 v25, 0, v5
	v_ashrrev_i32_e32 v26, 31, v8
	s_brev_b32 s15, 1
	v_bitop3_b32 v8, v26, v8, s15 bitop3:0x36
	v_ashrrev_i32_e32 v26, 31, v25
	v_bitop3_b32 v25, v26, v25, s15 bitop3:0x36
	v_cmp_le_u32_e32 vcc, v8, v25
	s_and_b64 s[24:25], vcc, exec
; %bb.59:
	s_or_b64 exec, exec, s[18:19]
	s_orn2_b64 s[18:19], s[24:25], exec
.LBB253_60:
	s_or_b64 exec, exec, s[22:23]
	v_mov_b32_e32 v8, s5
	v_cndmask_b32_e64 v25, v6, v7, s[18:19]
	v_cndmask_b32_e64 v8, v19, v8, s[18:19]
	v_add_u32_e32 v26, 1, v25
	v_add_u32_e32 v8, -1, v8
	v_min_u32_e32 v8, v26, v8
	v_lshlrev_b32_e32 v8, 2, v8
	ds_read_b32 v28, v8
	v_cndmask_b32_e64 v8, v26, v6, s[18:19]
	v_cmp_lt_u32_e32 vcc, v8, v19
	s_waitcnt lgkmcnt(0)
	v_cndmask_b32_e64 v6, v28, v5, s[18:19]
	v_cndmask_b32_e64 v29, v27, v28, s[18:19]
	;; [unrolled: 1-line block ×3, first 2 shown]
	s_and_saveexec_b64 s[22:23], vcc
	s_cbranch_execz .LBB253_64
; %bb.61:
	v_cmp_gt_u32_e32 vcc, s5, v28
	s_mov_b64 s[24:25], 0
	s_and_saveexec_b64 s[20:21], vcc
; %bb.62:
	v_add_f32_e32 v7, 0, v29
	v_add_f32_e32 v26, 0, v6
	v_ashrrev_i32_e32 v30, 31, v7
	s_brev_b32 s15, 1
	v_bitop3_b32 v7, v30, v7, s15 bitop3:0x36
	v_ashrrev_i32_e32 v30, 31, v26
	v_bitop3_b32 v26, v30, v26, s15 bitop3:0x36
	v_cmp_le_u32_e32 vcc, v7, v26
	s_and_b64 s[24:25], vcc, exec
; %bb.63:
	s_or_b64 exec, exec, s[20:21]
	s_orn2_b64 s[20:21], s[24:25], exec
.LBB253_64:
	s_or_b64 exec, exec, s[22:23]
	v_mov_b32_e32 v7, s5
	v_cndmask_b32_e64 v26, v8, v28, s[20:21]
	v_cndmask_b32_e64 v7, v19, v7, s[20:21]
	v_add_u32_e32 v30, 1, v26
	v_add_u32_e32 v7, -1, v7
	v_min_u32_e32 v7, v30, v7
	v_lshlrev_b32_e32 v7, 2, v7
	ds_read_b32 v31, v7
	v_cndmask_b32_e64 v8, v30, v8, s[20:21]
	v_cndmask_b32_e64 v30, v28, v30, s[20:21]
	v_cmp_lt_u32_e32 vcc, v8, v19
	s_mov_b64 s[24:25], -1
	s_waitcnt lgkmcnt(0)
	v_cndmask_b32_e64 v7, v31, v6, s[20:21]
	v_cndmask_b32_e64 v31, v29, v31, s[20:21]
	s_mov_b64 s[22:23], -1
	s_and_saveexec_b64 s[26:27], vcc
	s_cbranch_execz .LBB253_68
; %bb.65:
	v_cmp_gt_u32_e32 vcc, s5, v30
	s_mov_b64 s[28:29], 0
	s_and_saveexec_b64 s[22:23], vcc
; %bb.66:
	v_add_f32_e32 v28, 0, v31
	v_add_f32_e32 v32, 0, v7
	v_ashrrev_i32_e32 v33, 31, v28
	s_brev_b32 s15, 1
	v_bitop3_b32 v28, v33, v28, s15 bitop3:0x36
	v_ashrrev_i32_e32 v33, 31, v32
	v_bitop3_b32 v32, v33, v32, s15 bitop3:0x36
	v_cmp_le_u32_e32 vcc, v28, v32
	s_and_b64 s[28:29], vcc, exec
; %bb.67:
	s_or_b64 exec, exec, s[22:23]
	s_orn2_b64 s[22:23], s[28:29], exec
.LBB253_68:
	s_or_b64 exec, exec, s[26:27]
	v_mov_b32_e32 v32, s5
	v_cndmask_b32_e64 v28, v8, v30, s[22:23]
	v_cndmask_b32_e64 v32, v19, v32, s[22:23]
	v_add_u32_e32 v34, 1, v28
	v_add_u32_e32 v32, -1, v32
	v_min_u32_e32 v32, v34, v32
	v_lshlrev_b32_e32 v32, 2, v32
	ds_read_b32 v32, v32
	v_cndmask_b32_e64 v33, v34, v8, s[22:23]
	v_cndmask_b32_e64 v34, v30, v34, s[22:23]
	v_cmp_lt_u32_e32 vcc, v33, v19
	s_waitcnt lgkmcnt(0)
	v_cndmask_b32_e64 v8, v32, v7, s[22:23]
	v_cndmask_b32_e64 v32, v31, v32, s[22:23]
	s_and_saveexec_b64 s[26:27], vcc
	s_cbranch_execz .LBB253_72
; %bb.69:
	v_cmp_gt_u32_e32 vcc, s5, v34
	s_mov_b64 s[28:29], 0
	s_and_saveexec_b64 s[24:25], vcc
; %bb.70:
	v_add_f32_e32 v30, 0, v32
	v_add_f32_e32 v35, 0, v8
	v_ashrrev_i32_e32 v36, 31, v30
	s_brev_b32 s15, 1
	v_bitop3_b32 v30, v36, v30, s15 bitop3:0x36
	v_ashrrev_i32_e32 v36, 31, v35
	v_bitop3_b32 v35, v36, v35, s15 bitop3:0x36
	v_cmp_le_u32_e32 vcc, v30, v35
	s_and_b64 s[28:29], vcc, exec
; %bb.71:
	s_or_b64 exec, exec, s[24:25]
	s_orn2_b64 s[24:25], s[28:29], exec
.LBB253_72:
	s_or_b64 exec, exec, s[26:27]
	v_mov_b32_e32 v35, s5
	v_cndmask_b32_e64 v30, v33, v34, s[24:25]
	v_cndmask_b32_e64 v35, v19, v35, s[24:25]
	v_add_u32_e32 v37, 1, v30
	v_add_u32_e32 v35, -1, v35
	v_min_u32_e32 v35, v37, v35
	v_lshlrev_b32_e32 v35, 2, v35
	ds_read_b32 v36, v35
	v_cndmask_b32_e64 v35, v37, v33, s[24:25]
	v_cndmask_b32_e64 v34, v34, v37, s[24:25]
	v_cmp_lt_u32_e32 vcc, v35, v19
	s_mov_b64 s[28:29], -1
	s_waitcnt lgkmcnt(0)
	v_cndmask_b32_e64 v33, v36, v8, s[24:25]
	v_cndmask_b32_e64 v36, v32, v36, s[24:25]
	s_and_saveexec_b64 s[26:27], vcc
	s_cbranch_execz .LBB253_76
; %bb.73:
	v_cmp_gt_u32_e32 vcc, s5, v34
	s_mov_b64 s[30:31], 0
	s_and_saveexec_b64 s[28:29], vcc
; %bb.74:
	v_add_f32_e32 v19, 0, v36
	v_add_f32_e32 v37, 0, v33
	v_ashrrev_i32_e32 v38, 31, v19
	s_brev_b32 s5, 1
	v_bitop3_b32 v19, v38, v19, s5 bitop3:0x36
	v_ashrrev_i32_e32 v38, 31, v37
	v_bitop3_b32 v37, v38, v37, s5 bitop3:0x36
	v_cmp_le_u32_e32 vcc, v19, v37
	s_and_b64 s[30:31], vcc, exec
; %bb.75:
	s_or_b64 exec, exec, s[28:29]
	s_orn2_b64 s[28:29], s[30:31], exec
.LBB253_76:
	s_or_b64 exec, exec, s[26:27]
	v_cndmask_b32_e64 v8, v8, v32, s[24:25]
	v_cndmask_b32_e64 v7, v7, v31, s[22:23]
	;; [unrolled: 1-line block ×9, first 2 shown]
.LBB253_77:
	s_andn2_saveexec_b64 s[0:1], s[2:3]
; %bb.78:
	v_mov_b32_e32 v22, 0
	v_mov_b32_e32 v23, 0
	;; [unrolled: 1-line block ×8, first 2 shown]
; %bb.79:
	s_or_b64 exec, exec, s[0:1]
	v_and_b32_e32 v19, 0x7c, v0
	s_barrier
	s_waitcnt vmcnt(0)
	ds_write2st64_b32 v18, v10, v11 offset1:2
	ds_write2st64_b32 v18, v12, v13 offset0:4 offset1:6
	ds_write2st64_b32 v18, v14, v15 offset0:8 offset1:10
	;; [unrolled: 1-line block ×3, first 2 shown]
	v_lshlrev_b32_e32 v10, 2, v22
	v_lshlrev_b32_e32 v11, 2, v23
	;; [unrolled: 1-line block ×8, first 2 shown]
	v_lshl_add_u32 v1, v1, 2, v19
	s_waitcnt lgkmcnt(0)
	s_barrier
	ds_read_b32 v10, v10
	ds_read_b32 v11, v11
	;; [unrolled: 1-line block ×8, first 2 shown]
	s_waitcnt lgkmcnt(0)
	s_barrier
	s_barrier
	ds_write2_b32 v1, v2, v3 offset1:1
	ds_write2_b32 v1, v4, v5 offset0:2 offset1:3
	ds_write2_b32 v1, v6, v7 offset0:4 offset1:5
	ds_write2_b32 v1, v8, v9 offset0:6 offset1:7
	v_lshrrev_b32_e32 v2, 3, v0
	v_and_b32_e32 v2, 12, v2
	v_or_b32_e32 v28, 0x80, v0
	v_add_u32_e32 v4, v2, v18
	v_lshrrev_b32_e32 v2, 3, v28
	v_and_b32_e32 v2, 28, v2
	v_or_b32_e32 v27, 0x100, v0
	v_add_u32_e32 v5, v2, v18
	;; [unrolled: 4-line block ×5, first 2 shown]
	v_lshrrev_b32_e32 v2, 3, v24
	v_and_b32_e32 v2, 0x5c, v2
	v_or_b32_e32 v23, 0x300, v0
	s_mov_b32 s5, 0
	v_add_u32_e32 v9, v2, v18
	v_lshrrev_b32_e32 v2, 3, v23
	s_lshl_b64 s[16:17], s[4:5], 2
	v_and_b32_e32 v2, 0x6c, v2
	v_or_b32_e32 v22, 0x380, v0
	s_add_u32 s0, s8, s16
	v_add_u32_e32 v20, v2, v18
	v_lshrrev_b32_e32 v2, 3, v22
	s_addc_u32 s1, s9, s17
	v_and_b32_e32 v2, 0x7c, v2
	v_mov_b32_e32 v19, 0
	v_add_u32_e32 v21, v2, v18
	v_lshl_add_u64 v[2:3], s[0:1], 0, v[18:19]
	s_and_b64 vcc, exec, s[6:7]
	s_waitcnt lgkmcnt(0)
	s_cbranch_vccz .LBB253_81
; %bb.80:
	s_barrier
	ds_read_b32 v19, v4
	ds_read_b32 v29, v5 offset:512
	ds_read_b32 v30, v6 offset:1024
	;; [unrolled: 1-line block ×7, first 2 shown]
	s_add_u32 s0, s12, s16
	s_addc_u32 s1, s13, s17
	s_waitcnt lgkmcnt(7)
	global_store_dword v[2:3], v19, off
	s_waitcnt lgkmcnt(6)
	global_store_dword v[2:3], v29, off offset:512
	s_waitcnt lgkmcnt(5)
	global_store_dword v[2:3], v30, off offset:1024
	;; [unrolled: 2-line block ×7, first 2 shown]
	s_barrier
	ds_write2_b32 v1, v10, v11 offset1:1
	ds_write2_b32 v1, v12, v13 offset0:2 offset1:3
	ds_write2_b32 v1, v14, v15 offset0:4 offset1:5
	;; [unrolled: 1-line block ×3, first 2 shown]
	s_waitcnt lgkmcnt(0)
	s_barrier
	ds_read_b32 v19, v4
	ds_read_b32 v30, v5 offset:512
	ds_read_b32 v31, v6 offset:1024
	;; [unrolled: 1-line block ×7, first 2 shown]
	s_waitcnt lgkmcnt(7)
	global_store_dword v18, v19, s[0:1]
	s_waitcnt lgkmcnt(6)
	global_store_dword v18, v30, s[0:1] offset:512
	s_waitcnt lgkmcnt(5)
	global_store_dword v18, v31, s[0:1] offset:1024
	;; [unrolled: 2-line block ×6, first 2 shown]
	s_mov_b64 s[18:19], -1
	s_cbranch_execz .LBB253_82
	s_branch .LBB253_100
.LBB253_81:
	s_mov_b64 s[18:19], 0
                                        ; implicit-def: $vgpr29
.LBB253_82:
	s_barrier
	s_waitcnt lgkmcnt(0)
	ds_read_b32 v34, v5 offset:512
	ds_read_b32 v33, v6 offset:1024
	;; [unrolled: 1-line block ×7, first 2 shown]
	s_sub_i32 s18, s14, s4
	v_cmp_gt_u32_e32 vcc, s18, v0
	s_and_saveexec_b64 s[0:1], vcc
	s_cbranch_execnz .LBB253_107
; %bb.83:
	s_or_b64 exec, exec, s[0:1]
	v_cmp_gt_u32_e64 s[0:1], s18, v28
	s_and_saveexec_b64 s[2:3], s[0:1]
	s_cbranch_execnz .LBB253_108
.LBB253_84:
	s_or_b64 exec, exec, s[2:3]
	v_cmp_gt_u32_e64 s[2:3], s18, v27
	s_and_saveexec_b64 s[4:5], s[2:3]
	s_cbranch_execnz .LBB253_109
.LBB253_85:
	s_or_b64 exec, exec, s[4:5]
	v_cmp_gt_u32_e64 s[4:5], s18, v26
	s_and_saveexec_b64 s[6:7], s[4:5]
	s_cbranch_execnz .LBB253_110
.LBB253_86:
	s_or_b64 exec, exec, s[6:7]
	v_cmp_gt_u32_e64 s[6:7], s18, v25
	s_and_saveexec_b64 s[8:9], s[6:7]
	s_cbranch_execnz .LBB253_111
.LBB253_87:
	s_or_b64 exec, exec, s[8:9]
	v_cmp_gt_u32_e64 s[8:9], s18, v24
	s_and_saveexec_b64 s[10:11], s[8:9]
	s_cbranch_execnz .LBB253_112
.LBB253_88:
	s_or_b64 exec, exec, s[10:11]
	v_cmp_gt_u32_e64 s[10:11], s18, v23
	s_and_saveexec_b64 s[14:15], s[10:11]
	s_cbranch_execnz .LBB253_113
.LBB253_89:
	s_or_b64 exec, exec, s[14:15]
	v_cmp_gt_u32_e64 s[18:19], s18, v22
	s_and_saveexec_b64 s[14:15], s[18:19]
	s_cbranch_execz .LBB253_91
.LBB253_90:
	s_waitcnt lgkmcnt(0)
	global_store_dword v[2:3], v19, off offset:3584
.LBB253_91:
	s_or_b64 exec, exec, s[14:15]
	s_waitcnt lgkmcnt(0)
	s_barrier
	ds_write2_b32 v1, v10, v11 offset1:1
	ds_write2_b32 v1, v12, v13 offset0:2 offset1:3
	ds_write2_b32 v1, v14, v15 offset0:4 offset1:5
	;; [unrolled: 1-line block ×3, first 2 shown]
	s_waitcnt lgkmcnt(0)
	s_barrier
	ds_read_b32 v11, v5 offset:512
	ds_read_b32 v10, v6 offset:1024
	;; [unrolled: 1-line block ×7, first 2 shown]
	s_add_u32 s14, s12, s16
	s_addc_u32 s15, s13, s17
	v_mov_b32_e32 v19, 0
	v_lshl_add_u64 v[0:1], s[14:15], 0, v[18:19]
	s_and_saveexec_b64 s[14:15], vcc
	s_cbranch_execnz .LBB253_114
; %bb.92:
	s_or_b64 exec, exec, s[14:15]
	s_and_saveexec_b64 s[14:15], s[0:1]
	s_cbranch_execnz .LBB253_115
.LBB253_93:
	s_or_b64 exec, exec, s[14:15]
	s_and_saveexec_b64 s[0:1], s[2:3]
	s_cbranch_execnz .LBB253_116
.LBB253_94:
	s_or_b64 exec, exec, s[0:1]
	s_and_saveexec_b64 s[0:1], s[4:5]
	s_cbranch_execnz .LBB253_117
.LBB253_95:
	s_or_b64 exec, exec, s[0:1]
	s_and_saveexec_b64 s[0:1], s[6:7]
	s_cbranch_execnz .LBB253_118
.LBB253_96:
	s_or_b64 exec, exec, s[0:1]
	s_and_saveexec_b64 s[0:1], s[8:9]
	s_cbranch_execnz .LBB253_119
.LBB253_97:
	s_or_b64 exec, exec, s[0:1]
	s_and_saveexec_b64 s[0:1], s[10:11]
	s_cbranch_execz .LBB253_99
.LBB253_98:
	s_waitcnt lgkmcnt(1)
	global_store_dword v[0:1], v2, off offset:3072
.LBB253_99:
	s_or_b64 exec, exec, s[0:1]
.LBB253_100:
	s_and_saveexec_b64 s[0:1], s[18:19]
	s_cbranch_execz .LBB253_102
; %bb.101:
	s_add_u32 s0, s12, s16
	s_addc_u32 s1, s13, s17
	s_waitcnt lgkmcnt(0)
	global_store_dword v18, v29, s[0:1] offset:3584
.LBB253_102:
	s_endpgm
.LBB253_103:
	v_mov_b32_e32 v19, v2
	v_subrev_co_u32_e32 v6, vcc, s5, v0
	v_mov_b32_e32 v7, v2
	v_lshl_add_u64 v[4:5], s[18:19], 0, v[18:19]
	v_lshl_add_u64 v[6:7], v[6:7], 2, s[20:21]
	v_cndmask_b32_e32 v5, v7, v5, vcc
	v_cndmask_b32_e32 v4, v6, v4, vcc
	global_load_dword v4, v[4:5], off
	v_mov_b32_e32 v5, v2
	v_mov_b32_e32 v6, v2
	;; [unrolled: 1-line block ×7, first 2 shown]
	s_waitcnt vmcnt(0)
	v_mov_b64_e32 v[2:3], v[4:5]
	v_mov_b64_e32 v[4:5], v[6:7]
	;; [unrolled: 1-line block ×4, first 2 shown]
	s_or_b64 exec, exec, s[2:3]
	v_cmp_gt_u32_e32 vcc, s22, v22
	s_and_saveexec_b64 s[2:3], vcc
	s_cbranch_execz .LBB253_6
.LBB253_104:
	v_mov_b32_e32 v23, 0
	v_subrev_co_u32_e32 v12, vcc, s5, v22
	v_mov_b32_e32 v13, v23
	v_lshl_add_u64 v[10:11], v[22:23], 2, s[18:19]
	v_lshl_add_u64 v[12:13], v[12:13], 2, s[20:21]
	v_cndmask_b32_e32 v11, v13, v11, vcc
	v_cndmask_b32_e32 v10, v12, v10, vcc
	global_load_dword v3, v[10:11], off
	s_or_b64 exec, exec, s[2:3]
	v_cmp_gt_u32_e32 vcc, s22, v20
	s_and_saveexec_b64 s[2:3], vcc
	s_cbranch_execnz .LBB253_7
	s_branch .LBB253_8
.LBB253_105:
	v_mov_b32_e32 v19, v10
	v_subrev_co_u32_e32 v14, vcc, s5, v0
	v_mov_b32_e32 v15, v10
	v_lshl_add_u64 v[12:13], s[0:1], 0, v[18:19]
	v_lshl_add_u64 v[14:15], v[14:15], 2, s[2:3]
	v_cndmask_b32_e32 v13, v15, v13, vcc
	v_cndmask_b32_e32 v12, v14, v12, vcc
	global_load_dword v24, v[12:13], off
	v_mov_b32_e32 v25, v10
	v_mov_b32_e32 v26, v10
	;; [unrolled: 1-line block ×7, first 2 shown]
	s_waitcnt vmcnt(0)
	v_mov_b64_e32 v[10:11], v[24:25]
	v_mov_b64_e32 v[12:13], v[26:27]
	;; [unrolled: 1-line block ×4, first 2 shown]
	s_or_b64 exec, exec, s[10:11]
	v_cmp_gt_u32_e32 vcc, s16, v22
	s_and_saveexec_b64 s[10:11], vcc
	s_cbranch_execz .LBB253_24
.LBB253_106:
	v_mov_b32_e32 v23, 0
	v_lshl_add_u64 v[24:25], v[22:23], 2, s[0:1]
	v_subrev_co_u32_e32 v22, vcc, s5, v22
	v_lshl_add_u64 v[22:23], v[22:23], 2, s[2:3]
	s_nop 0
	v_cndmask_b32_e32 v23, v23, v25, vcc
	v_cndmask_b32_e32 v22, v22, v24, vcc
	global_load_dword v11, v[22:23], off
	s_or_b64 exec, exec, s[10:11]
	v_cmp_gt_u32_e32 vcc, s16, v20
	s_and_saveexec_b64 s[10:11], vcc
	s_cbranch_execnz .LBB253_25
	s_branch .LBB253_26
.LBB253_107:
	ds_read_b32 v0, v4
	s_waitcnt lgkmcnt(0)
	global_store_dword v[2:3], v0, off
	s_or_b64 exec, exec, s[0:1]
	v_cmp_gt_u32_e64 s[0:1], s18, v28
	s_and_saveexec_b64 s[2:3], s[0:1]
	s_cbranch_execz .LBB253_84
.LBB253_108:
	s_waitcnt lgkmcnt(6)
	global_store_dword v[2:3], v34, off offset:512
	s_or_b64 exec, exec, s[2:3]
	v_cmp_gt_u32_e64 s[2:3], s18, v27
	s_and_saveexec_b64 s[4:5], s[2:3]
	s_cbranch_execz .LBB253_85
.LBB253_109:
	s_waitcnt lgkmcnt(5)
	global_store_dword v[2:3], v33, off offset:1024
	s_or_b64 exec, exec, s[4:5]
	v_cmp_gt_u32_e64 s[4:5], s18, v26
	s_and_saveexec_b64 s[6:7], s[4:5]
	s_cbranch_execz .LBB253_86
.LBB253_110:
	s_waitcnt lgkmcnt(4)
	global_store_dword v[2:3], v32, off offset:1536
	s_or_b64 exec, exec, s[6:7]
	v_cmp_gt_u32_e64 s[6:7], s18, v25
	s_and_saveexec_b64 s[8:9], s[6:7]
	s_cbranch_execz .LBB253_87
.LBB253_111:
	s_waitcnt lgkmcnt(3)
	global_store_dword v[2:3], v31, off offset:2048
	s_or_b64 exec, exec, s[8:9]
	v_cmp_gt_u32_e64 s[8:9], s18, v24
	s_and_saveexec_b64 s[10:11], s[8:9]
	s_cbranch_execz .LBB253_88
.LBB253_112:
	s_waitcnt lgkmcnt(2)
	global_store_dword v[2:3], v30, off offset:2560
	s_or_b64 exec, exec, s[10:11]
	v_cmp_gt_u32_e64 s[10:11], s18, v23
	s_and_saveexec_b64 s[14:15], s[10:11]
	s_cbranch_execz .LBB253_89
.LBB253_113:
	s_waitcnt lgkmcnt(1)
	global_store_dword v[2:3], v29, off offset:3072
	s_or_b64 exec, exec, s[14:15]
	v_cmp_gt_u32_e64 s[18:19], s18, v22
	s_and_saveexec_b64 s[14:15], s[18:19]
	s_cbranch_execnz .LBB253_90
	s_branch .LBB253_91
.LBB253_114:
	ds_read_b32 v4, v4
	s_waitcnt lgkmcnt(0)
	global_store_dword v[0:1], v4, off
	s_or_b64 exec, exec, s[14:15]
	s_and_saveexec_b64 s[14:15], s[0:1]
	s_cbranch_execz .LBB253_93
.LBB253_115:
	s_waitcnt lgkmcnt(6)
	global_store_dword v[0:1], v11, off offset:512
	s_or_b64 exec, exec, s[14:15]
	s_and_saveexec_b64 s[0:1], s[2:3]
	s_cbranch_execz .LBB253_94
.LBB253_116:
	s_waitcnt lgkmcnt(5)
	global_store_dword v[0:1], v10, off offset:1024
	s_or_b64 exec, exec, s[0:1]
	s_and_saveexec_b64 s[0:1], s[4:5]
	s_cbranch_execz .LBB253_95
.LBB253_117:
	s_waitcnt lgkmcnt(4)
	global_store_dword v[0:1], v6, off offset:1536
	s_or_b64 exec, exec, s[0:1]
	s_and_saveexec_b64 s[0:1], s[6:7]
	s_cbranch_execz .LBB253_96
.LBB253_118:
	s_waitcnt lgkmcnt(3)
	global_store_dword v[0:1], v5, off offset:2048
	s_or_b64 exec, exec, s[0:1]
	s_and_saveexec_b64 s[0:1], s[8:9]
	s_cbranch_execz .LBB253_97
.LBB253_119:
	s_waitcnt lgkmcnt(2)
	global_store_dword v[0:1], v3, off offset:2560
	s_or_b64 exec, exec, s[0:1]
	s_and_saveexec_b64 s[0:1], s[10:11]
	s_cbranch_execnz .LBB253_98
	s_branch .LBB253_99
	.section	.rodata,"a",@progbits
	.p2align	6, 0x0
	.amdhsa_kernel _ZN7rocprim17ROCPRIM_400000_NS6detail17trampoline_kernelINS0_14default_configENS1_38merge_sort_block_merge_config_selectorIffEEZZNS1_27merge_sort_block_merge_implIS3_N6thrust23THRUST_200600_302600_NS6detail15normal_iteratorINS8_10device_ptrIfEEEESD_jNS1_19radix_merge_compareILb0ELb0EfNS0_19identity_decomposerEEEEE10hipError_tT0_T1_T2_jT3_P12ihipStream_tbPNSt15iterator_traitsISI_E10value_typeEPNSO_ISJ_E10value_typeEPSK_NS1_7vsmem_tEENKUlT_SI_SJ_SK_E_clISD_PfSD_S10_EESH_SX_SI_SJ_SK_EUlSX_E0_NS1_11comp_targetILNS1_3genE0ELNS1_11target_archE4294967295ELNS1_3gpuE0ELNS1_3repE0EEENS1_38merge_mergepath_config_static_selectorELNS0_4arch9wavefront6targetE1EEEvSJ_
		.amdhsa_group_segment_fixed_size 4224
		.amdhsa_private_segment_fixed_size 0
		.amdhsa_kernarg_size 320
		.amdhsa_user_sgpr_count 2
		.amdhsa_user_sgpr_dispatch_ptr 0
		.amdhsa_user_sgpr_queue_ptr 0
		.amdhsa_user_sgpr_kernarg_segment_ptr 1
		.amdhsa_user_sgpr_dispatch_id 0
		.amdhsa_user_sgpr_kernarg_preload_length 0
		.amdhsa_user_sgpr_kernarg_preload_offset 0
		.amdhsa_user_sgpr_private_segment_size 0
		.amdhsa_uses_dynamic_stack 0
		.amdhsa_enable_private_segment 0
		.amdhsa_system_sgpr_workgroup_id_x 1
		.amdhsa_system_sgpr_workgroup_id_y 1
		.amdhsa_system_sgpr_workgroup_id_z 1
		.amdhsa_system_sgpr_workgroup_info 0
		.amdhsa_system_vgpr_workitem_id 0
		.amdhsa_next_free_vgpr 39
		.amdhsa_next_free_sgpr 32
		.amdhsa_accum_offset 40
		.amdhsa_reserve_vcc 1
		.amdhsa_float_round_mode_32 0
		.amdhsa_float_round_mode_16_64 0
		.amdhsa_float_denorm_mode_32 3
		.amdhsa_float_denorm_mode_16_64 3
		.amdhsa_dx10_clamp 1
		.amdhsa_ieee_mode 1
		.amdhsa_fp16_overflow 0
		.amdhsa_tg_split 0
		.amdhsa_exception_fp_ieee_invalid_op 0
		.amdhsa_exception_fp_denorm_src 0
		.amdhsa_exception_fp_ieee_div_zero 0
		.amdhsa_exception_fp_ieee_overflow 0
		.amdhsa_exception_fp_ieee_underflow 0
		.amdhsa_exception_fp_ieee_inexact 0
		.amdhsa_exception_int_div_zero 0
	.end_amdhsa_kernel
	.section	.text._ZN7rocprim17ROCPRIM_400000_NS6detail17trampoline_kernelINS0_14default_configENS1_38merge_sort_block_merge_config_selectorIffEEZZNS1_27merge_sort_block_merge_implIS3_N6thrust23THRUST_200600_302600_NS6detail15normal_iteratorINS8_10device_ptrIfEEEESD_jNS1_19radix_merge_compareILb0ELb0EfNS0_19identity_decomposerEEEEE10hipError_tT0_T1_T2_jT3_P12ihipStream_tbPNSt15iterator_traitsISI_E10value_typeEPNSO_ISJ_E10value_typeEPSK_NS1_7vsmem_tEENKUlT_SI_SJ_SK_E_clISD_PfSD_S10_EESH_SX_SI_SJ_SK_EUlSX_E0_NS1_11comp_targetILNS1_3genE0ELNS1_11target_archE4294967295ELNS1_3gpuE0ELNS1_3repE0EEENS1_38merge_mergepath_config_static_selectorELNS0_4arch9wavefront6targetE1EEEvSJ_,"axG",@progbits,_ZN7rocprim17ROCPRIM_400000_NS6detail17trampoline_kernelINS0_14default_configENS1_38merge_sort_block_merge_config_selectorIffEEZZNS1_27merge_sort_block_merge_implIS3_N6thrust23THRUST_200600_302600_NS6detail15normal_iteratorINS8_10device_ptrIfEEEESD_jNS1_19radix_merge_compareILb0ELb0EfNS0_19identity_decomposerEEEEE10hipError_tT0_T1_T2_jT3_P12ihipStream_tbPNSt15iterator_traitsISI_E10value_typeEPNSO_ISJ_E10value_typeEPSK_NS1_7vsmem_tEENKUlT_SI_SJ_SK_E_clISD_PfSD_S10_EESH_SX_SI_SJ_SK_EUlSX_E0_NS1_11comp_targetILNS1_3genE0ELNS1_11target_archE4294967295ELNS1_3gpuE0ELNS1_3repE0EEENS1_38merge_mergepath_config_static_selectorELNS0_4arch9wavefront6targetE1EEEvSJ_,comdat
.Lfunc_end253:
	.size	_ZN7rocprim17ROCPRIM_400000_NS6detail17trampoline_kernelINS0_14default_configENS1_38merge_sort_block_merge_config_selectorIffEEZZNS1_27merge_sort_block_merge_implIS3_N6thrust23THRUST_200600_302600_NS6detail15normal_iteratorINS8_10device_ptrIfEEEESD_jNS1_19radix_merge_compareILb0ELb0EfNS0_19identity_decomposerEEEEE10hipError_tT0_T1_T2_jT3_P12ihipStream_tbPNSt15iterator_traitsISI_E10value_typeEPNSO_ISJ_E10value_typeEPSK_NS1_7vsmem_tEENKUlT_SI_SJ_SK_E_clISD_PfSD_S10_EESH_SX_SI_SJ_SK_EUlSX_E0_NS1_11comp_targetILNS1_3genE0ELNS1_11target_archE4294967295ELNS1_3gpuE0ELNS1_3repE0EEENS1_38merge_mergepath_config_static_selectorELNS0_4arch9wavefront6targetE1EEEvSJ_, .Lfunc_end253-_ZN7rocprim17ROCPRIM_400000_NS6detail17trampoline_kernelINS0_14default_configENS1_38merge_sort_block_merge_config_selectorIffEEZZNS1_27merge_sort_block_merge_implIS3_N6thrust23THRUST_200600_302600_NS6detail15normal_iteratorINS8_10device_ptrIfEEEESD_jNS1_19radix_merge_compareILb0ELb0EfNS0_19identity_decomposerEEEEE10hipError_tT0_T1_T2_jT3_P12ihipStream_tbPNSt15iterator_traitsISI_E10value_typeEPNSO_ISJ_E10value_typeEPSK_NS1_7vsmem_tEENKUlT_SI_SJ_SK_E_clISD_PfSD_S10_EESH_SX_SI_SJ_SK_EUlSX_E0_NS1_11comp_targetILNS1_3genE0ELNS1_11target_archE4294967295ELNS1_3gpuE0ELNS1_3repE0EEENS1_38merge_mergepath_config_static_selectorELNS0_4arch9wavefront6targetE1EEEvSJ_
                                        ; -- End function
	.set _ZN7rocprim17ROCPRIM_400000_NS6detail17trampoline_kernelINS0_14default_configENS1_38merge_sort_block_merge_config_selectorIffEEZZNS1_27merge_sort_block_merge_implIS3_N6thrust23THRUST_200600_302600_NS6detail15normal_iteratorINS8_10device_ptrIfEEEESD_jNS1_19radix_merge_compareILb0ELb0EfNS0_19identity_decomposerEEEEE10hipError_tT0_T1_T2_jT3_P12ihipStream_tbPNSt15iterator_traitsISI_E10value_typeEPNSO_ISJ_E10value_typeEPSK_NS1_7vsmem_tEENKUlT_SI_SJ_SK_E_clISD_PfSD_S10_EESH_SX_SI_SJ_SK_EUlSX_E0_NS1_11comp_targetILNS1_3genE0ELNS1_11target_archE4294967295ELNS1_3gpuE0ELNS1_3repE0EEENS1_38merge_mergepath_config_static_selectorELNS0_4arch9wavefront6targetE1EEEvSJ_.num_vgpr, 39
	.set _ZN7rocprim17ROCPRIM_400000_NS6detail17trampoline_kernelINS0_14default_configENS1_38merge_sort_block_merge_config_selectorIffEEZZNS1_27merge_sort_block_merge_implIS3_N6thrust23THRUST_200600_302600_NS6detail15normal_iteratorINS8_10device_ptrIfEEEESD_jNS1_19radix_merge_compareILb0ELb0EfNS0_19identity_decomposerEEEEE10hipError_tT0_T1_T2_jT3_P12ihipStream_tbPNSt15iterator_traitsISI_E10value_typeEPNSO_ISJ_E10value_typeEPSK_NS1_7vsmem_tEENKUlT_SI_SJ_SK_E_clISD_PfSD_S10_EESH_SX_SI_SJ_SK_EUlSX_E0_NS1_11comp_targetILNS1_3genE0ELNS1_11target_archE4294967295ELNS1_3gpuE0ELNS1_3repE0EEENS1_38merge_mergepath_config_static_selectorELNS0_4arch9wavefront6targetE1EEEvSJ_.num_agpr, 0
	.set _ZN7rocprim17ROCPRIM_400000_NS6detail17trampoline_kernelINS0_14default_configENS1_38merge_sort_block_merge_config_selectorIffEEZZNS1_27merge_sort_block_merge_implIS3_N6thrust23THRUST_200600_302600_NS6detail15normal_iteratorINS8_10device_ptrIfEEEESD_jNS1_19radix_merge_compareILb0ELb0EfNS0_19identity_decomposerEEEEE10hipError_tT0_T1_T2_jT3_P12ihipStream_tbPNSt15iterator_traitsISI_E10value_typeEPNSO_ISJ_E10value_typeEPSK_NS1_7vsmem_tEENKUlT_SI_SJ_SK_E_clISD_PfSD_S10_EESH_SX_SI_SJ_SK_EUlSX_E0_NS1_11comp_targetILNS1_3genE0ELNS1_11target_archE4294967295ELNS1_3gpuE0ELNS1_3repE0EEENS1_38merge_mergepath_config_static_selectorELNS0_4arch9wavefront6targetE1EEEvSJ_.numbered_sgpr, 32
	.set _ZN7rocprim17ROCPRIM_400000_NS6detail17trampoline_kernelINS0_14default_configENS1_38merge_sort_block_merge_config_selectorIffEEZZNS1_27merge_sort_block_merge_implIS3_N6thrust23THRUST_200600_302600_NS6detail15normal_iteratorINS8_10device_ptrIfEEEESD_jNS1_19radix_merge_compareILb0ELb0EfNS0_19identity_decomposerEEEEE10hipError_tT0_T1_T2_jT3_P12ihipStream_tbPNSt15iterator_traitsISI_E10value_typeEPNSO_ISJ_E10value_typeEPSK_NS1_7vsmem_tEENKUlT_SI_SJ_SK_E_clISD_PfSD_S10_EESH_SX_SI_SJ_SK_EUlSX_E0_NS1_11comp_targetILNS1_3genE0ELNS1_11target_archE4294967295ELNS1_3gpuE0ELNS1_3repE0EEENS1_38merge_mergepath_config_static_selectorELNS0_4arch9wavefront6targetE1EEEvSJ_.num_named_barrier, 0
	.set _ZN7rocprim17ROCPRIM_400000_NS6detail17trampoline_kernelINS0_14default_configENS1_38merge_sort_block_merge_config_selectorIffEEZZNS1_27merge_sort_block_merge_implIS3_N6thrust23THRUST_200600_302600_NS6detail15normal_iteratorINS8_10device_ptrIfEEEESD_jNS1_19radix_merge_compareILb0ELb0EfNS0_19identity_decomposerEEEEE10hipError_tT0_T1_T2_jT3_P12ihipStream_tbPNSt15iterator_traitsISI_E10value_typeEPNSO_ISJ_E10value_typeEPSK_NS1_7vsmem_tEENKUlT_SI_SJ_SK_E_clISD_PfSD_S10_EESH_SX_SI_SJ_SK_EUlSX_E0_NS1_11comp_targetILNS1_3genE0ELNS1_11target_archE4294967295ELNS1_3gpuE0ELNS1_3repE0EEENS1_38merge_mergepath_config_static_selectorELNS0_4arch9wavefront6targetE1EEEvSJ_.private_seg_size, 0
	.set _ZN7rocprim17ROCPRIM_400000_NS6detail17trampoline_kernelINS0_14default_configENS1_38merge_sort_block_merge_config_selectorIffEEZZNS1_27merge_sort_block_merge_implIS3_N6thrust23THRUST_200600_302600_NS6detail15normal_iteratorINS8_10device_ptrIfEEEESD_jNS1_19radix_merge_compareILb0ELb0EfNS0_19identity_decomposerEEEEE10hipError_tT0_T1_T2_jT3_P12ihipStream_tbPNSt15iterator_traitsISI_E10value_typeEPNSO_ISJ_E10value_typeEPSK_NS1_7vsmem_tEENKUlT_SI_SJ_SK_E_clISD_PfSD_S10_EESH_SX_SI_SJ_SK_EUlSX_E0_NS1_11comp_targetILNS1_3genE0ELNS1_11target_archE4294967295ELNS1_3gpuE0ELNS1_3repE0EEENS1_38merge_mergepath_config_static_selectorELNS0_4arch9wavefront6targetE1EEEvSJ_.uses_vcc, 1
	.set _ZN7rocprim17ROCPRIM_400000_NS6detail17trampoline_kernelINS0_14default_configENS1_38merge_sort_block_merge_config_selectorIffEEZZNS1_27merge_sort_block_merge_implIS3_N6thrust23THRUST_200600_302600_NS6detail15normal_iteratorINS8_10device_ptrIfEEEESD_jNS1_19radix_merge_compareILb0ELb0EfNS0_19identity_decomposerEEEEE10hipError_tT0_T1_T2_jT3_P12ihipStream_tbPNSt15iterator_traitsISI_E10value_typeEPNSO_ISJ_E10value_typeEPSK_NS1_7vsmem_tEENKUlT_SI_SJ_SK_E_clISD_PfSD_S10_EESH_SX_SI_SJ_SK_EUlSX_E0_NS1_11comp_targetILNS1_3genE0ELNS1_11target_archE4294967295ELNS1_3gpuE0ELNS1_3repE0EEENS1_38merge_mergepath_config_static_selectorELNS0_4arch9wavefront6targetE1EEEvSJ_.uses_flat_scratch, 0
	.set _ZN7rocprim17ROCPRIM_400000_NS6detail17trampoline_kernelINS0_14default_configENS1_38merge_sort_block_merge_config_selectorIffEEZZNS1_27merge_sort_block_merge_implIS3_N6thrust23THRUST_200600_302600_NS6detail15normal_iteratorINS8_10device_ptrIfEEEESD_jNS1_19radix_merge_compareILb0ELb0EfNS0_19identity_decomposerEEEEE10hipError_tT0_T1_T2_jT3_P12ihipStream_tbPNSt15iterator_traitsISI_E10value_typeEPNSO_ISJ_E10value_typeEPSK_NS1_7vsmem_tEENKUlT_SI_SJ_SK_E_clISD_PfSD_S10_EESH_SX_SI_SJ_SK_EUlSX_E0_NS1_11comp_targetILNS1_3genE0ELNS1_11target_archE4294967295ELNS1_3gpuE0ELNS1_3repE0EEENS1_38merge_mergepath_config_static_selectorELNS0_4arch9wavefront6targetE1EEEvSJ_.has_dyn_sized_stack, 0
	.set _ZN7rocprim17ROCPRIM_400000_NS6detail17trampoline_kernelINS0_14default_configENS1_38merge_sort_block_merge_config_selectorIffEEZZNS1_27merge_sort_block_merge_implIS3_N6thrust23THRUST_200600_302600_NS6detail15normal_iteratorINS8_10device_ptrIfEEEESD_jNS1_19radix_merge_compareILb0ELb0EfNS0_19identity_decomposerEEEEE10hipError_tT0_T1_T2_jT3_P12ihipStream_tbPNSt15iterator_traitsISI_E10value_typeEPNSO_ISJ_E10value_typeEPSK_NS1_7vsmem_tEENKUlT_SI_SJ_SK_E_clISD_PfSD_S10_EESH_SX_SI_SJ_SK_EUlSX_E0_NS1_11comp_targetILNS1_3genE0ELNS1_11target_archE4294967295ELNS1_3gpuE0ELNS1_3repE0EEENS1_38merge_mergepath_config_static_selectorELNS0_4arch9wavefront6targetE1EEEvSJ_.has_recursion, 0
	.set _ZN7rocprim17ROCPRIM_400000_NS6detail17trampoline_kernelINS0_14default_configENS1_38merge_sort_block_merge_config_selectorIffEEZZNS1_27merge_sort_block_merge_implIS3_N6thrust23THRUST_200600_302600_NS6detail15normal_iteratorINS8_10device_ptrIfEEEESD_jNS1_19radix_merge_compareILb0ELb0EfNS0_19identity_decomposerEEEEE10hipError_tT0_T1_T2_jT3_P12ihipStream_tbPNSt15iterator_traitsISI_E10value_typeEPNSO_ISJ_E10value_typeEPSK_NS1_7vsmem_tEENKUlT_SI_SJ_SK_E_clISD_PfSD_S10_EESH_SX_SI_SJ_SK_EUlSX_E0_NS1_11comp_targetILNS1_3genE0ELNS1_11target_archE4294967295ELNS1_3gpuE0ELNS1_3repE0EEENS1_38merge_mergepath_config_static_selectorELNS0_4arch9wavefront6targetE1EEEvSJ_.has_indirect_call, 0
	.section	.AMDGPU.csdata,"",@progbits
; Kernel info:
; codeLenInByte = 5648
; TotalNumSgprs: 38
; NumVgprs: 39
; NumAgprs: 0
; TotalNumVgprs: 39
; ScratchSize: 0
; MemoryBound: 0
; FloatMode: 240
; IeeeMode: 1
; LDSByteSize: 4224 bytes/workgroup (compile time only)
; SGPRBlocks: 4
; VGPRBlocks: 4
; NumSGPRsForWavesPerEU: 38
; NumVGPRsForWavesPerEU: 39
; AccumOffset: 40
; Occupancy: 8
; WaveLimiterHint : 1
; COMPUTE_PGM_RSRC2:SCRATCH_EN: 0
; COMPUTE_PGM_RSRC2:USER_SGPR: 2
; COMPUTE_PGM_RSRC2:TRAP_HANDLER: 0
; COMPUTE_PGM_RSRC2:TGID_X_EN: 1
; COMPUTE_PGM_RSRC2:TGID_Y_EN: 1
; COMPUTE_PGM_RSRC2:TGID_Z_EN: 1
; COMPUTE_PGM_RSRC2:TIDIG_COMP_CNT: 0
; COMPUTE_PGM_RSRC3_GFX90A:ACCUM_OFFSET: 9
; COMPUTE_PGM_RSRC3_GFX90A:TG_SPLIT: 0
	.section	.text._ZN7rocprim17ROCPRIM_400000_NS6detail17trampoline_kernelINS0_14default_configENS1_38merge_sort_block_merge_config_selectorIffEEZZNS1_27merge_sort_block_merge_implIS3_N6thrust23THRUST_200600_302600_NS6detail15normal_iteratorINS8_10device_ptrIfEEEESD_jNS1_19radix_merge_compareILb0ELb0EfNS0_19identity_decomposerEEEEE10hipError_tT0_T1_T2_jT3_P12ihipStream_tbPNSt15iterator_traitsISI_E10value_typeEPNSO_ISJ_E10value_typeEPSK_NS1_7vsmem_tEENKUlT_SI_SJ_SK_E_clISD_PfSD_S10_EESH_SX_SI_SJ_SK_EUlSX_E0_NS1_11comp_targetILNS1_3genE10ELNS1_11target_archE1201ELNS1_3gpuE5ELNS1_3repE0EEENS1_38merge_mergepath_config_static_selectorELNS0_4arch9wavefront6targetE1EEEvSJ_,"axG",@progbits,_ZN7rocprim17ROCPRIM_400000_NS6detail17trampoline_kernelINS0_14default_configENS1_38merge_sort_block_merge_config_selectorIffEEZZNS1_27merge_sort_block_merge_implIS3_N6thrust23THRUST_200600_302600_NS6detail15normal_iteratorINS8_10device_ptrIfEEEESD_jNS1_19radix_merge_compareILb0ELb0EfNS0_19identity_decomposerEEEEE10hipError_tT0_T1_T2_jT3_P12ihipStream_tbPNSt15iterator_traitsISI_E10value_typeEPNSO_ISJ_E10value_typeEPSK_NS1_7vsmem_tEENKUlT_SI_SJ_SK_E_clISD_PfSD_S10_EESH_SX_SI_SJ_SK_EUlSX_E0_NS1_11comp_targetILNS1_3genE10ELNS1_11target_archE1201ELNS1_3gpuE5ELNS1_3repE0EEENS1_38merge_mergepath_config_static_selectorELNS0_4arch9wavefront6targetE1EEEvSJ_,comdat
	.protected	_ZN7rocprim17ROCPRIM_400000_NS6detail17trampoline_kernelINS0_14default_configENS1_38merge_sort_block_merge_config_selectorIffEEZZNS1_27merge_sort_block_merge_implIS3_N6thrust23THRUST_200600_302600_NS6detail15normal_iteratorINS8_10device_ptrIfEEEESD_jNS1_19radix_merge_compareILb0ELb0EfNS0_19identity_decomposerEEEEE10hipError_tT0_T1_T2_jT3_P12ihipStream_tbPNSt15iterator_traitsISI_E10value_typeEPNSO_ISJ_E10value_typeEPSK_NS1_7vsmem_tEENKUlT_SI_SJ_SK_E_clISD_PfSD_S10_EESH_SX_SI_SJ_SK_EUlSX_E0_NS1_11comp_targetILNS1_3genE10ELNS1_11target_archE1201ELNS1_3gpuE5ELNS1_3repE0EEENS1_38merge_mergepath_config_static_selectorELNS0_4arch9wavefront6targetE1EEEvSJ_ ; -- Begin function _ZN7rocprim17ROCPRIM_400000_NS6detail17trampoline_kernelINS0_14default_configENS1_38merge_sort_block_merge_config_selectorIffEEZZNS1_27merge_sort_block_merge_implIS3_N6thrust23THRUST_200600_302600_NS6detail15normal_iteratorINS8_10device_ptrIfEEEESD_jNS1_19radix_merge_compareILb0ELb0EfNS0_19identity_decomposerEEEEE10hipError_tT0_T1_T2_jT3_P12ihipStream_tbPNSt15iterator_traitsISI_E10value_typeEPNSO_ISJ_E10value_typeEPSK_NS1_7vsmem_tEENKUlT_SI_SJ_SK_E_clISD_PfSD_S10_EESH_SX_SI_SJ_SK_EUlSX_E0_NS1_11comp_targetILNS1_3genE10ELNS1_11target_archE1201ELNS1_3gpuE5ELNS1_3repE0EEENS1_38merge_mergepath_config_static_selectorELNS0_4arch9wavefront6targetE1EEEvSJ_
	.globl	_ZN7rocprim17ROCPRIM_400000_NS6detail17trampoline_kernelINS0_14default_configENS1_38merge_sort_block_merge_config_selectorIffEEZZNS1_27merge_sort_block_merge_implIS3_N6thrust23THRUST_200600_302600_NS6detail15normal_iteratorINS8_10device_ptrIfEEEESD_jNS1_19radix_merge_compareILb0ELb0EfNS0_19identity_decomposerEEEEE10hipError_tT0_T1_T2_jT3_P12ihipStream_tbPNSt15iterator_traitsISI_E10value_typeEPNSO_ISJ_E10value_typeEPSK_NS1_7vsmem_tEENKUlT_SI_SJ_SK_E_clISD_PfSD_S10_EESH_SX_SI_SJ_SK_EUlSX_E0_NS1_11comp_targetILNS1_3genE10ELNS1_11target_archE1201ELNS1_3gpuE5ELNS1_3repE0EEENS1_38merge_mergepath_config_static_selectorELNS0_4arch9wavefront6targetE1EEEvSJ_
	.p2align	8
	.type	_ZN7rocprim17ROCPRIM_400000_NS6detail17trampoline_kernelINS0_14default_configENS1_38merge_sort_block_merge_config_selectorIffEEZZNS1_27merge_sort_block_merge_implIS3_N6thrust23THRUST_200600_302600_NS6detail15normal_iteratorINS8_10device_ptrIfEEEESD_jNS1_19radix_merge_compareILb0ELb0EfNS0_19identity_decomposerEEEEE10hipError_tT0_T1_T2_jT3_P12ihipStream_tbPNSt15iterator_traitsISI_E10value_typeEPNSO_ISJ_E10value_typeEPSK_NS1_7vsmem_tEENKUlT_SI_SJ_SK_E_clISD_PfSD_S10_EESH_SX_SI_SJ_SK_EUlSX_E0_NS1_11comp_targetILNS1_3genE10ELNS1_11target_archE1201ELNS1_3gpuE5ELNS1_3repE0EEENS1_38merge_mergepath_config_static_selectorELNS0_4arch9wavefront6targetE1EEEvSJ_,@function
_ZN7rocprim17ROCPRIM_400000_NS6detail17trampoline_kernelINS0_14default_configENS1_38merge_sort_block_merge_config_selectorIffEEZZNS1_27merge_sort_block_merge_implIS3_N6thrust23THRUST_200600_302600_NS6detail15normal_iteratorINS8_10device_ptrIfEEEESD_jNS1_19radix_merge_compareILb0ELb0EfNS0_19identity_decomposerEEEEE10hipError_tT0_T1_T2_jT3_P12ihipStream_tbPNSt15iterator_traitsISI_E10value_typeEPNSO_ISJ_E10value_typeEPSK_NS1_7vsmem_tEENKUlT_SI_SJ_SK_E_clISD_PfSD_S10_EESH_SX_SI_SJ_SK_EUlSX_E0_NS1_11comp_targetILNS1_3genE10ELNS1_11target_archE1201ELNS1_3gpuE5ELNS1_3repE0EEENS1_38merge_mergepath_config_static_selectorELNS0_4arch9wavefront6targetE1EEEvSJ_: ; @_ZN7rocprim17ROCPRIM_400000_NS6detail17trampoline_kernelINS0_14default_configENS1_38merge_sort_block_merge_config_selectorIffEEZZNS1_27merge_sort_block_merge_implIS3_N6thrust23THRUST_200600_302600_NS6detail15normal_iteratorINS8_10device_ptrIfEEEESD_jNS1_19radix_merge_compareILb0ELb0EfNS0_19identity_decomposerEEEEE10hipError_tT0_T1_T2_jT3_P12ihipStream_tbPNSt15iterator_traitsISI_E10value_typeEPNSO_ISJ_E10value_typeEPSK_NS1_7vsmem_tEENKUlT_SI_SJ_SK_E_clISD_PfSD_S10_EESH_SX_SI_SJ_SK_EUlSX_E0_NS1_11comp_targetILNS1_3genE10ELNS1_11target_archE1201ELNS1_3gpuE5ELNS1_3repE0EEENS1_38merge_mergepath_config_static_selectorELNS0_4arch9wavefront6targetE1EEEvSJ_
; %bb.0:
	.section	.rodata,"a",@progbits
	.p2align	6, 0x0
	.amdhsa_kernel _ZN7rocprim17ROCPRIM_400000_NS6detail17trampoline_kernelINS0_14default_configENS1_38merge_sort_block_merge_config_selectorIffEEZZNS1_27merge_sort_block_merge_implIS3_N6thrust23THRUST_200600_302600_NS6detail15normal_iteratorINS8_10device_ptrIfEEEESD_jNS1_19radix_merge_compareILb0ELb0EfNS0_19identity_decomposerEEEEE10hipError_tT0_T1_T2_jT3_P12ihipStream_tbPNSt15iterator_traitsISI_E10value_typeEPNSO_ISJ_E10value_typeEPSK_NS1_7vsmem_tEENKUlT_SI_SJ_SK_E_clISD_PfSD_S10_EESH_SX_SI_SJ_SK_EUlSX_E0_NS1_11comp_targetILNS1_3genE10ELNS1_11target_archE1201ELNS1_3gpuE5ELNS1_3repE0EEENS1_38merge_mergepath_config_static_selectorELNS0_4arch9wavefront6targetE1EEEvSJ_
		.amdhsa_group_segment_fixed_size 0
		.amdhsa_private_segment_fixed_size 0
		.amdhsa_kernarg_size 64
		.amdhsa_user_sgpr_count 2
		.amdhsa_user_sgpr_dispatch_ptr 0
		.amdhsa_user_sgpr_queue_ptr 0
		.amdhsa_user_sgpr_kernarg_segment_ptr 1
		.amdhsa_user_sgpr_dispatch_id 0
		.amdhsa_user_sgpr_kernarg_preload_length 0
		.amdhsa_user_sgpr_kernarg_preload_offset 0
		.amdhsa_user_sgpr_private_segment_size 0
		.amdhsa_uses_dynamic_stack 0
		.amdhsa_enable_private_segment 0
		.amdhsa_system_sgpr_workgroup_id_x 1
		.amdhsa_system_sgpr_workgroup_id_y 0
		.amdhsa_system_sgpr_workgroup_id_z 0
		.amdhsa_system_sgpr_workgroup_info 0
		.amdhsa_system_vgpr_workitem_id 0
		.amdhsa_next_free_vgpr 1
		.amdhsa_next_free_sgpr 0
		.amdhsa_accum_offset 4
		.amdhsa_reserve_vcc 0
		.amdhsa_float_round_mode_32 0
		.amdhsa_float_round_mode_16_64 0
		.amdhsa_float_denorm_mode_32 3
		.amdhsa_float_denorm_mode_16_64 3
		.amdhsa_dx10_clamp 1
		.amdhsa_ieee_mode 1
		.amdhsa_fp16_overflow 0
		.amdhsa_tg_split 0
		.amdhsa_exception_fp_ieee_invalid_op 0
		.amdhsa_exception_fp_denorm_src 0
		.amdhsa_exception_fp_ieee_div_zero 0
		.amdhsa_exception_fp_ieee_overflow 0
		.amdhsa_exception_fp_ieee_underflow 0
		.amdhsa_exception_fp_ieee_inexact 0
		.amdhsa_exception_int_div_zero 0
	.end_amdhsa_kernel
	.section	.text._ZN7rocprim17ROCPRIM_400000_NS6detail17trampoline_kernelINS0_14default_configENS1_38merge_sort_block_merge_config_selectorIffEEZZNS1_27merge_sort_block_merge_implIS3_N6thrust23THRUST_200600_302600_NS6detail15normal_iteratorINS8_10device_ptrIfEEEESD_jNS1_19radix_merge_compareILb0ELb0EfNS0_19identity_decomposerEEEEE10hipError_tT0_T1_T2_jT3_P12ihipStream_tbPNSt15iterator_traitsISI_E10value_typeEPNSO_ISJ_E10value_typeEPSK_NS1_7vsmem_tEENKUlT_SI_SJ_SK_E_clISD_PfSD_S10_EESH_SX_SI_SJ_SK_EUlSX_E0_NS1_11comp_targetILNS1_3genE10ELNS1_11target_archE1201ELNS1_3gpuE5ELNS1_3repE0EEENS1_38merge_mergepath_config_static_selectorELNS0_4arch9wavefront6targetE1EEEvSJ_,"axG",@progbits,_ZN7rocprim17ROCPRIM_400000_NS6detail17trampoline_kernelINS0_14default_configENS1_38merge_sort_block_merge_config_selectorIffEEZZNS1_27merge_sort_block_merge_implIS3_N6thrust23THRUST_200600_302600_NS6detail15normal_iteratorINS8_10device_ptrIfEEEESD_jNS1_19radix_merge_compareILb0ELb0EfNS0_19identity_decomposerEEEEE10hipError_tT0_T1_T2_jT3_P12ihipStream_tbPNSt15iterator_traitsISI_E10value_typeEPNSO_ISJ_E10value_typeEPSK_NS1_7vsmem_tEENKUlT_SI_SJ_SK_E_clISD_PfSD_S10_EESH_SX_SI_SJ_SK_EUlSX_E0_NS1_11comp_targetILNS1_3genE10ELNS1_11target_archE1201ELNS1_3gpuE5ELNS1_3repE0EEENS1_38merge_mergepath_config_static_selectorELNS0_4arch9wavefront6targetE1EEEvSJ_,comdat
.Lfunc_end254:
	.size	_ZN7rocprim17ROCPRIM_400000_NS6detail17trampoline_kernelINS0_14default_configENS1_38merge_sort_block_merge_config_selectorIffEEZZNS1_27merge_sort_block_merge_implIS3_N6thrust23THRUST_200600_302600_NS6detail15normal_iteratorINS8_10device_ptrIfEEEESD_jNS1_19radix_merge_compareILb0ELb0EfNS0_19identity_decomposerEEEEE10hipError_tT0_T1_T2_jT3_P12ihipStream_tbPNSt15iterator_traitsISI_E10value_typeEPNSO_ISJ_E10value_typeEPSK_NS1_7vsmem_tEENKUlT_SI_SJ_SK_E_clISD_PfSD_S10_EESH_SX_SI_SJ_SK_EUlSX_E0_NS1_11comp_targetILNS1_3genE10ELNS1_11target_archE1201ELNS1_3gpuE5ELNS1_3repE0EEENS1_38merge_mergepath_config_static_selectorELNS0_4arch9wavefront6targetE1EEEvSJ_, .Lfunc_end254-_ZN7rocprim17ROCPRIM_400000_NS6detail17trampoline_kernelINS0_14default_configENS1_38merge_sort_block_merge_config_selectorIffEEZZNS1_27merge_sort_block_merge_implIS3_N6thrust23THRUST_200600_302600_NS6detail15normal_iteratorINS8_10device_ptrIfEEEESD_jNS1_19radix_merge_compareILb0ELb0EfNS0_19identity_decomposerEEEEE10hipError_tT0_T1_T2_jT3_P12ihipStream_tbPNSt15iterator_traitsISI_E10value_typeEPNSO_ISJ_E10value_typeEPSK_NS1_7vsmem_tEENKUlT_SI_SJ_SK_E_clISD_PfSD_S10_EESH_SX_SI_SJ_SK_EUlSX_E0_NS1_11comp_targetILNS1_3genE10ELNS1_11target_archE1201ELNS1_3gpuE5ELNS1_3repE0EEENS1_38merge_mergepath_config_static_selectorELNS0_4arch9wavefront6targetE1EEEvSJ_
                                        ; -- End function
	.set _ZN7rocprim17ROCPRIM_400000_NS6detail17trampoline_kernelINS0_14default_configENS1_38merge_sort_block_merge_config_selectorIffEEZZNS1_27merge_sort_block_merge_implIS3_N6thrust23THRUST_200600_302600_NS6detail15normal_iteratorINS8_10device_ptrIfEEEESD_jNS1_19radix_merge_compareILb0ELb0EfNS0_19identity_decomposerEEEEE10hipError_tT0_T1_T2_jT3_P12ihipStream_tbPNSt15iterator_traitsISI_E10value_typeEPNSO_ISJ_E10value_typeEPSK_NS1_7vsmem_tEENKUlT_SI_SJ_SK_E_clISD_PfSD_S10_EESH_SX_SI_SJ_SK_EUlSX_E0_NS1_11comp_targetILNS1_3genE10ELNS1_11target_archE1201ELNS1_3gpuE5ELNS1_3repE0EEENS1_38merge_mergepath_config_static_selectorELNS0_4arch9wavefront6targetE1EEEvSJ_.num_vgpr, 0
	.set _ZN7rocprim17ROCPRIM_400000_NS6detail17trampoline_kernelINS0_14default_configENS1_38merge_sort_block_merge_config_selectorIffEEZZNS1_27merge_sort_block_merge_implIS3_N6thrust23THRUST_200600_302600_NS6detail15normal_iteratorINS8_10device_ptrIfEEEESD_jNS1_19radix_merge_compareILb0ELb0EfNS0_19identity_decomposerEEEEE10hipError_tT0_T1_T2_jT3_P12ihipStream_tbPNSt15iterator_traitsISI_E10value_typeEPNSO_ISJ_E10value_typeEPSK_NS1_7vsmem_tEENKUlT_SI_SJ_SK_E_clISD_PfSD_S10_EESH_SX_SI_SJ_SK_EUlSX_E0_NS1_11comp_targetILNS1_3genE10ELNS1_11target_archE1201ELNS1_3gpuE5ELNS1_3repE0EEENS1_38merge_mergepath_config_static_selectorELNS0_4arch9wavefront6targetE1EEEvSJ_.num_agpr, 0
	.set _ZN7rocprim17ROCPRIM_400000_NS6detail17trampoline_kernelINS0_14default_configENS1_38merge_sort_block_merge_config_selectorIffEEZZNS1_27merge_sort_block_merge_implIS3_N6thrust23THRUST_200600_302600_NS6detail15normal_iteratorINS8_10device_ptrIfEEEESD_jNS1_19radix_merge_compareILb0ELb0EfNS0_19identity_decomposerEEEEE10hipError_tT0_T1_T2_jT3_P12ihipStream_tbPNSt15iterator_traitsISI_E10value_typeEPNSO_ISJ_E10value_typeEPSK_NS1_7vsmem_tEENKUlT_SI_SJ_SK_E_clISD_PfSD_S10_EESH_SX_SI_SJ_SK_EUlSX_E0_NS1_11comp_targetILNS1_3genE10ELNS1_11target_archE1201ELNS1_3gpuE5ELNS1_3repE0EEENS1_38merge_mergepath_config_static_selectorELNS0_4arch9wavefront6targetE1EEEvSJ_.numbered_sgpr, 0
	.set _ZN7rocprim17ROCPRIM_400000_NS6detail17trampoline_kernelINS0_14default_configENS1_38merge_sort_block_merge_config_selectorIffEEZZNS1_27merge_sort_block_merge_implIS3_N6thrust23THRUST_200600_302600_NS6detail15normal_iteratorINS8_10device_ptrIfEEEESD_jNS1_19radix_merge_compareILb0ELb0EfNS0_19identity_decomposerEEEEE10hipError_tT0_T1_T2_jT3_P12ihipStream_tbPNSt15iterator_traitsISI_E10value_typeEPNSO_ISJ_E10value_typeEPSK_NS1_7vsmem_tEENKUlT_SI_SJ_SK_E_clISD_PfSD_S10_EESH_SX_SI_SJ_SK_EUlSX_E0_NS1_11comp_targetILNS1_3genE10ELNS1_11target_archE1201ELNS1_3gpuE5ELNS1_3repE0EEENS1_38merge_mergepath_config_static_selectorELNS0_4arch9wavefront6targetE1EEEvSJ_.num_named_barrier, 0
	.set _ZN7rocprim17ROCPRIM_400000_NS6detail17trampoline_kernelINS0_14default_configENS1_38merge_sort_block_merge_config_selectorIffEEZZNS1_27merge_sort_block_merge_implIS3_N6thrust23THRUST_200600_302600_NS6detail15normal_iteratorINS8_10device_ptrIfEEEESD_jNS1_19radix_merge_compareILb0ELb0EfNS0_19identity_decomposerEEEEE10hipError_tT0_T1_T2_jT3_P12ihipStream_tbPNSt15iterator_traitsISI_E10value_typeEPNSO_ISJ_E10value_typeEPSK_NS1_7vsmem_tEENKUlT_SI_SJ_SK_E_clISD_PfSD_S10_EESH_SX_SI_SJ_SK_EUlSX_E0_NS1_11comp_targetILNS1_3genE10ELNS1_11target_archE1201ELNS1_3gpuE5ELNS1_3repE0EEENS1_38merge_mergepath_config_static_selectorELNS0_4arch9wavefront6targetE1EEEvSJ_.private_seg_size, 0
	.set _ZN7rocprim17ROCPRIM_400000_NS6detail17trampoline_kernelINS0_14default_configENS1_38merge_sort_block_merge_config_selectorIffEEZZNS1_27merge_sort_block_merge_implIS3_N6thrust23THRUST_200600_302600_NS6detail15normal_iteratorINS8_10device_ptrIfEEEESD_jNS1_19radix_merge_compareILb0ELb0EfNS0_19identity_decomposerEEEEE10hipError_tT0_T1_T2_jT3_P12ihipStream_tbPNSt15iterator_traitsISI_E10value_typeEPNSO_ISJ_E10value_typeEPSK_NS1_7vsmem_tEENKUlT_SI_SJ_SK_E_clISD_PfSD_S10_EESH_SX_SI_SJ_SK_EUlSX_E0_NS1_11comp_targetILNS1_3genE10ELNS1_11target_archE1201ELNS1_3gpuE5ELNS1_3repE0EEENS1_38merge_mergepath_config_static_selectorELNS0_4arch9wavefront6targetE1EEEvSJ_.uses_vcc, 0
	.set _ZN7rocprim17ROCPRIM_400000_NS6detail17trampoline_kernelINS0_14default_configENS1_38merge_sort_block_merge_config_selectorIffEEZZNS1_27merge_sort_block_merge_implIS3_N6thrust23THRUST_200600_302600_NS6detail15normal_iteratorINS8_10device_ptrIfEEEESD_jNS1_19radix_merge_compareILb0ELb0EfNS0_19identity_decomposerEEEEE10hipError_tT0_T1_T2_jT3_P12ihipStream_tbPNSt15iterator_traitsISI_E10value_typeEPNSO_ISJ_E10value_typeEPSK_NS1_7vsmem_tEENKUlT_SI_SJ_SK_E_clISD_PfSD_S10_EESH_SX_SI_SJ_SK_EUlSX_E0_NS1_11comp_targetILNS1_3genE10ELNS1_11target_archE1201ELNS1_3gpuE5ELNS1_3repE0EEENS1_38merge_mergepath_config_static_selectorELNS0_4arch9wavefront6targetE1EEEvSJ_.uses_flat_scratch, 0
	.set _ZN7rocprim17ROCPRIM_400000_NS6detail17trampoline_kernelINS0_14default_configENS1_38merge_sort_block_merge_config_selectorIffEEZZNS1_27merge_sort_block_merge_implIS3_N6thrust23THRUST_200600_302600_NS6detail15normal_iteratorINS8_10device_ptrIfEEEESD_jNS1_19radix_merge_compareILb0ELb0EfNS0_19identity_decomposerEEEEE10hipError_tT0_T1_T2_jT3_P12ihipStream_tbPNSt15iterator_traitsISI_E10value_typeEPNSO_ISJ_E10value_typeEPSK_NS1_7vsmem_tEENKUlT_SI_SJ_SK_E_clISD_PfSD_S10_EESH_SX_SI_SJ_SK_EUlSX_E0_NS1_11comp_targetILNS1_3genE10ELNS1_11target_archE1201ELNS1_3gpuE5ELNS1_3repE0EEENS1_38merge_mergepath_config_static_selectorELNS0_4arch9wavefront6targetE1EEEvSJ_.has_dyn_sized_stack, 0
	.set _ZN7rocprim17ROCPRIM_400000_NS6detail17trampoline_kernelINS0_14default_configENS1_38merge_sort_block_merge_config_selectorIffEEZZNS1_27merge_sort_block_merge_implIS3_N6thrust23THRUST_200600_302600_NS6detail15normal_iteratorINS8_10device_ptrIfEEEESD_jNS1_19radix_merge_compareILb0ELb0EfNS0_19identity_decomposerEEEEE10hipError_tT0_T1_T2_jT3_P12ihipStream_tbPNSt15iterator_traitsISI_E10value_typeEPNSO_ISJ_E10value_typeEPSK_NS1_7vsmem_tEENKUlT_SI_SJ_SK_E_clISD_PfSD_S10_EESH_SX_SI_SJ_SK_EUlSX_E0_NS1_11comp_targetILNS1_3genE10ELNS1_11target_archE1201ELNS1_3gpuE5ELNS1_3repE0EEENS1_38merge_mergepath_config_static_selectorELNS0_4arch9wavefront6targetE1EEEvSJ_.has_recursion, 0
	.set _ZN7rocprim17ROCPRIM_400000_NS6detail17trampoline_kernelINS0_14default_configENS1_38merge_sort_block_merge_config_selectorIffEEZZNS1_27merge_sort_block_merge_implIS3_N6thrust23THRUST_200600_302600_NS6detail15normal_iteratorINS8_10device_ptrIfEEEESD_jNS1_19radix_merge_compareILb0ELb0EfNS0_19identity_decomposerEEEEE10hipError_tT0_T1_T2_jT3_P12ihipStream_tbPNSt15iterator_traitsISI_E10value_typeEPNSO_ISJ_E10value_typeEPSK_NS1_7vsmem_tEENKUlT_SI_SJ_SK_E_clISD_PfSD_S10_EESH_SX_SI_SJ_SK_EUlSX_E0_NS1_11comp_targetILNS1_3genE10ELNS1_11target_archE1201ELNS1_3gpuE5ELNS1_3repE0EEENS1_38merge_mergepath_config_static_selectorELNS0_4arch9wavefront6targetE1EEEvSJ_.has_indirect_call, 0
	.section	.AMDGPU.csdata,"",@progbits
; Kernel info:
; codeLenInByte = 0
; TotalNumSgprs: 6
; NumVgprs: 0
; NumAgprs: 0
; TotalNumVgprs: 0
; ScratchSize: 0
; MemoryBound: 0
; FloatMode: 240
; IeeeMode: 1
; LDSByteSize: 0 bytes/workgroup (compile time only)
; SGPRBlocks: 0
; VGPRBlocks: 0
; NumSGPRsForWavesPerEU: 6
; NumVGPRsForWavesPerEU: 1
; AccumOffset: 4
; Occupancy: 8
; WaveLimiterHint : 0
; COMPUTE_PGM_RSRC2:SCRATCH_EN: 0
; COMPUTE_PGM_RSRC2:USER_SGPR: 2
; COMPUTE_PGM_RSRC2:TRAP_HANDLER: 0
; COMPUTE_PGM_RSRC2:TGID_X_EN: 1
; COMPUTE_PGM_RSRC2:TGID_Y_EN: 0
; COMPUTE_PGM_RSRC2:TGID_Z_EN: 0
; COMPUTE_PGM_RSRC2:TIDIG_COMP_CNT: 0
; COMPUTE_PGM_RSRC3_GFX90A:ACCUM_OFFSET: 0
; COMPUTE_PGM_RSRC3_GFX90A:TG_SPLIT: 0
	.section	.text._ZN7rocprim17ROCPRIM_400000_NS6detail17trampoline_kernelINS0_14default_configENS1_38merge_sort_block_merge_config_selectorIffEEZZNS1_27merge_sort_block_merge_implIS3_N6thrust23THRUST_200600_302600_NS6detail15normal_iteratorINS8_10device_ptrIfEEEESD_jNS1_19radix_merge_compareILb0ELb0EfNS0_19identity_decomposerEEEEE10hipError_tT0_T1_T2_jT3_P12ihipStream_tbPNSt15iterator_traitsISI_E10value_typeEPNSO_ISJ_E10value_typeEPSK_NS1_7vsmem_tEENKUlT_SI_SJ_SK_E_clISD_PfSD_S10_EESH_SX_SI_SJ_SK_EUlSX_E0_NS1_11comp_targetILNS1_3genE5ELNS1_11target_archE942ELNS1_3gpuE9ELNS1_3repE0EEENS1_38merge_mergepath_config_static_selectorELNS0_4arch9wavefront6targetE1EEEvSJ_,"axG",@progbits,_ZN7rocprim17ROCPRIM_400000_NS6detail17trampoline_kernelINS0_14default_configENS1_38merge_sort_block_merge_config_selectorIffEEZZNS1_27merge_sort_block_merge_implIS3_N6thrust23THRUST_200600_302600_NS6detail15normal_iteratorINS8_10device_ptrIfEEEESD_jNS1_19radix_merge_compareILb0ELb0EfNS0_19identity_decomposerEEEEE10hipError_tT0_T1_T2_jT3_P12ihipStream_tbPNSt15iterator_traitsISI_E10value_typeEPNSO_ISJ_E10value_typeEPSK_NS1_7vsmem_tEENKUlT_SI_SJ_SK_E_clISD_PfSD_S10_EESH_SX_SI_SJ_SK_EUlSX_E0_NS1_11comp_targetILNS1_3genE5ELNS1_11target_archE942ELNS1_3gpuE9ELNS1_3repE0EEENS1_38merge_mergepath_config_static_selectorELNS0_4arch9wavefront6targetE1EEEvSJ_,comdat
	.protected	_ZN7rocprim17ROCPRIM_400000_NS6detail17trampoline_kernelINS0_14default_configENS1_38merge_sort_block_merge_config_selectorIffEEZZNS1_27merge_sort_block_merge_implIS3_N6thrust23THRUST_200600_302600_NS6detail15normal_iteratorINS8_10device_ptrIfEEEESD_jNS1_19radix_merge_compareILb0ELb0EfNS0_19identity_decomposerEEEEE10hipError_tT0_T1_T2_jT3_P12ihipStream_tbPNSt15iterator_traitsISI_E10value_typeEPNSO_ISJ_E10value_typeEPSK_NS1_7vsmem_tEENKUlT_SI_SJ_SK_E_clISD_PfSD_S10_EESH_SX_SI_SJ_SK_EUlSX_E0_NS1_11comp_targetILNS1_3genE5ELNS1_11target_archE942ELNS1_3gpuE9ELNS1_3repE0EEENS1_38merge_mergepath_config_static_selectorELNS0_4arch9wavefront6targetE1EEEvSJ_ ; -- Begin function _ZN7rocprim17ROCPRIM_400000_NS6detail17trampoline_kernelINS0_14default_configENS1_38merge_sort_block_merge_config_selectorIffEEZZNS1_27merge_sort_block_merge_implIS3_N6thrust23THRUST_200600_302600_NS6detail15normal_iteratorINS8_10device_ptrIfEEEESD_jNS1_19radix_merge_compareILb0ELb0EfNS0_19identity_decomposerEEEEE10hipError_tT0_T1_T2_jT3_P12ihipStream_tbPNSt15iterator_traitsISI_E10value_typeEPNSO_ISJ_E10value_typeEPSK_NS1_7vsmem_tEENKUlT_SI_SJ_SK_E_clISD_PfSD_S10_EESH_SX_SI_SJ_SK_EUlSX_E0_NS1_11comp_targetILNS1_3genE5ELNS1_11target_archE942ELNS1_3gpuE9ELNS1_3repE0EEENS1_38merge_mergepath_config_static_selectorELNS0_4arch9wavefront6targetE1EEEvSJ_
	.globl	_ZN7rocprim17ROCPRIM_400000_NS6detail17trampoline_kernelINS0_14default_configENS1_38merge_sort_block_merge_config_selectorIffEEZZNS1_27merge_sort_block_merge_implIS3_N6thrust23THRUST_200600_302600_NS6detail15normal_iteratorINS8_10device_ptrIfEEEESD_jNS1_19radix_merge_compareILb0ELb0EfNS0_19identity_decomposerEEEEE10hipError_tT0_T1_T2_jT3_P12ihipStream_tbPNSt15iterator_traitsISI_E10value_typeEPNSO_ISJ_E10value_typeEPSK_NS1_7vsmem_tEENKUlT_SI_SJ_SK_E_clISD_PfSD_S10_EESH_SX_SI_SJ_SK_EUlSX_E0_NS1_11comp_targetILNS1_3genE5ELNS1_11target_archE942ELNS1_3gpuE9ELNS1_3repE0EEENS1_38merge_mergepath_config_static_selectorELNS0_4arch9wavefront6targetE1EEEvSJ_
	.p2align	8
	.type	_ZN7rocprim17ROCPRIM_400000_NS6detail17trampoline_kernelINS0_14default_configENS1_38merge_sort_block_merge_config_selectorIffEEZZNS1_27merge_sort_block_merge_implIS3_N6thrust23THRUST_200600_302600_NS6detail15normal_iteratorINS8_10device_ptrIfEEEESD_jNS1_19radix_merge_compareILb0ELb0EfNS0_19identity_decomposerEEEEE10hipError_tT0_T1_T2_jT3_P12ihipStream_tbPNSt15iterator_traitsISI_E10value_typeEPNSO_ISJ_E10value_typeEPSK_NS1_7vsmem_tEENKUlT_SI_SJ_SK_E_clISD_PfSD_S10_EESH_SX_SI_SJ_SK_EUlSX_E0_NS1_11comp_targetILNS1_3genE5ELNS1_11target_archE942ELNS1_3gpuE9ELNS1_3repE0EEENS1_38merge_mergepath_config_static_selectorELNS0_4arch9wavefront6targetE1EEEvSJ_,@function
_ZN7rocprim17ROCPRIM_400000_NS6detail17trampoline_kernelINS0_14default_configENS1_38merge_sort_block_merge_config_selectorIffEEZZNS1_27merge_sort_block_merge_implIS3_N6thrust23THRUST_200600_302600_NS6detail15normal_iteratorINS8_10device_ptrIfEEEESD_jNS1_19radix_merge_compareILb0ELb0EfNS0_19identity_decomposerEEEEE10hipError_tT0_T1_T2_jT3_P12ihipStream_tbPNSt15iterator_traitsISI_E10value_typeEPNSO_ISJ_E10value_typeEPSK_NS1_7vsmem_tEENKUlT_SI_SJ_SK_E_clISD_PfSD_S10_EESH_SX_SI_SJ_SK_EUlSX_E0_NS1_11comp_targetILNS1_3genE5ELNS1_11target_archE942ELNS1_3gpuE9ELNS1_3repE0EEENS1_38merge_mergepath_config_static_selectorELNS0_4arch9wavefront6targetE1EEEvSJ_: ; @_ZN7rocprim17ROCPRIM_400000_NS6detail17trampoline_kernelINS0_14default_configENS1_38merge_sort_block_merge_config_selectorIffEEZZNS1_27merge_sort_block_merge_implIS3_N6thrust23THRUST_200600_302600_NS6detail15normal_iteratorINS8_10device_ptrIfEEEESD_jNS1_19radix_merge_compareILb0ELb0EfNS0_19identity_decomposerEEEEE10hipError_tT0_T1_T2_jT3_P12ihipStream_tbPNSt15iterator_traitsISI_E10value_typeEPNSO_ISJ_E10value_typeEPSK_NS1_7vsmem_tEENKUlT_SI_SJ_SK_E_clISD_PfSD_S10_EESH_SX_SI_SJ_SK_EUlSX_E0_NS1_11comp_targetILNS1_3genE5ELNS1_11target_archE942ELNS1_3gpuE9ELNS1_3repE0EEENS1_38merge_mergepath_config_static_selectorELNS0_4arch9wavefront6targetE1EEEvSJ_
; %bb.0:
	.section	.rodata,"a",@progbits
	.p2align	6, 0x0
	.amdhsa_kernel _ZN7rocprim17ROCPRIM_400000_NS6detail17trampoline_kernelINS0_14default_configENS1_38merge_sort_block_merge_config_selectorIffEEZZNS1_27merge_sort_block_merge_implIS3_N6thrust23THRUST_200600_302600_NS6detail15normal_iteratorINS8_10device_ptrIfEEEESD_jNS1_19radix_merge_compareILb0ELb0EfNS0_19identity_decomposerEEEEE10hipError_tT0_T1_T2_jT3_P12ihipStream_tbPNSt15iterator_traitsISI_E10value_typeEPNSO_ISJ_E10value_typeEPSK_NS1_7vsmem_tEENKUlT_SI_SJ_SK_E_clISD_PfSD_S10_EESH_SX_SI_SJ_SK_EUlSX_E0_NS1_11comp_targetILNS1_3genE5ELNS1_11target_archE942ELNS1_3gpuE9ELNS1_3repE0EEENS1_38merge_mergepath_config_static_selectorELNS0_4arch9wavefront6targetE1EEEvSJ_
		.amdhsa_group_segment_fixed_size 0
		.amdhsa_private_segment_fixed_size 0
		.amdhsa_kernarg_size 64
		.amdhsa_user_sgpr_count 2
		.amdhsa_user_sgpr_dispatch_ptr 0
		.amdhsa_user_sgpr_queue_ptr 0
		.amdhsa_user_sgpr_kernarg_segment_ptr 1
		.amdhsa_user_sgpr_dispatch_id 0
		.amdhsa_user_sgpr_kernarg_preload_length 0
		.amdhsa_user_sgpr_kernarg_preload_offset 0
		.amdhsa_user_sgpr_private_segment_size 0
		.amdhsa_uses_dynamic_stack 0
		.amdhsa_enable_private_segment 0
		.amdhsa_system_sgpr_workgroup_id_x 1
		.amdhsa_system_sgpr_workgroup_id_y 0
		.amdhsa_system_sgpr_workgroup_id_z 0
		.amdhsa_system_sgpr_workgroup_info 0
		.amdhsa_system_vgpr_workitem_id 0
		.amdhsa_next_free_vgpr 1
		.amdhsa_next_free_sgpr 0
		.amdhsa_accum_offset 4
		.amdhsa_reserve_vcc 0
		.amdhsa_float_round_mode_32 0
		.amdhsa_float_round_mode_16_64 0
		.amdhsa_float_denorm_mode_32 3
		.amdhsa_float_denorm_mode_16_64 3
		.amdhsa_dx10_clamp 1
		.amdhsa_ieee_mode 1
		.amdhsa_fp16_overflow 0
		.amdhsa_tg_split 0
		.amdhsa_exception_fp_ieee_invalid_op 0
		.amdhsa_exception_fp_denorm_src 0
		.amdhsa_exception_fp_ieee_div_zero 0
		.amdhsa_exception_fp_ieee_overflow 0
		.amdhsa_exception_fp_ieee_underflow 0
		.amdhsa_exception_fp_ieee_inexact 0
		.amdhsa_exception_int_div_zero 0
	.end_amdhsa_kernel
	.section	.text._ZN7rocprim17ROCPRIM_400000_NS6detail17trampoline_kernelINS0_14default_configENS1_38merge_sort_block_merge_config_selectorIffEEZZNS1_27merge_sort_block_merge_implIS3_N6thrust23THRUST_200600_302600_NS6detail15normal_iteratorINS8_10device_ptrIfEEEESD_jNS1_19radix_merge_compareILb0ELb0EfNS0_19identity_decomposerEEEEE10hipError_tT0_T1_T2_jT3_P12ihipStream_tbPNSt15iterator_traitsISI_E10value_typeEPNSO_ISJ_E10value_typeEPSK_NS1_7vsmem_tEENKUlT_SI_SJ_SK_E_clISD_PfSD_S10_EESH_SX_SI_SJ_SK_EUlSX_E0_NS1_11comp_targetILNS1_3genE5ELNS1_11target_archE942ELNS1_3gpuE9ELNS1_3repE0EEENS1_38merge_mergepath_config_static_selectorELNS0_4arch9wavefront6targetE1EEEvSJ_,"axG",@progbits,_ZN7rocprim17ROCPRIM_400000_NS6detail17trampoline_kernelINS0_14default_configENS1_38merge_sort_block_merge_config_selectorIffEEZZNS1_27merge_sort_block_merge_implIS3_N6thrust23THRUST_200600_302600_NS6detail15normal_iteratorINS8_10device_ptrIfEEEESD_jNS1_19radix_merge_compareILb0ELb0EfNS0_19identity_decomposerEEEEE10hipError_tT0_T1_T2_jT3_P12ihipStream_tbPNSt15iterator_traitsISI_E10value_typeEPNSO_ISJ_E10value_typeEPSK_NS1_7vsmem_tEENKUlT_SI_SJ_SK_E_clISD_PfSD_S10_EESH_SX_SI_SJ_SK_EUlSX_E0_NS1_11comp_targetILNS1_3genE5ELNS1_11target_archE942ELNS1_3gpuE9ELNS1_3repE0EEENS1_38merge_mergepath_config_static_selectorELNS0_4arch9wavefront6targetE1EEEvSJ_,comdat
.Lfunc_end255:
	.size	_ZN7rocprim17ROCPRIM_400000_NS6detail17trampoline_kernelINS0_14default_configENS1_38merge_sort_block_merge_config_selectorIffEEZZNS1_27merge_sort_block_merge_implIS3_N6thrust23THRUST_200600_302600_NS6detail15normal_iteratorINS8_10device_ptrIfEEEESD_jNS1_19radix_merge_compareILb0ELb0EfNS0_19identity_decomposerEEEEE10hipError_tT0_T1_T2_jT3_P12ihipStream_tbPNSt15iterator_traitsISI_E10value_typeEPNSO_ISJ_E10value_typeEPSK_NS1_7vsmem_tEENKUlT_SI_SJ_SK_E_clISD_PfSD_S10_EESH_SX_SI_SJ_SK_EUlSX_E0_NS1_11comp_targetILNS1_3genE5ELNS1_11target_archE942ELNS1_3gpuE9ELNS1_3repE0EEENS1_38merge_mergepath_config_static_selectorELNS0_4arch9wavefront6targetE1EEEvSJ_, .Lfunc_end255-_ZN7rocprim17ROCPRIM_400000_NS6detail17trampoline_kernelINS0_14default_configENS1_38merge_sort_block_merge_config_selectorIffEEZZNS1_27merge_sort_block_merge_implIS3_N6thrust23THRUST_200600_302600_NS6detail15normal_iteratorINS8_10device_ptrIfEEEESD_jNS1_19radix_merge_compareILb0ELb0EfNS0_19identity_decomposerEEEEE10hipError_tT0_T1_T2_jT3_P12ihipStream_tbPNSt15iterator_traitsISI_E10value_typeEPNSO_ISJ_E10value_typeEPSK_NS1_7vsmem_tEENKUlT_SI_SJ_SK_E_clISD_PfSD_S10_EESH_SX_SI_SJ_SK_EUlSX_E0_NS1_11comp_targetILNS1_3genE5ELNS1_11target_archE942ELNS1_3gpuE9ELNS1_3repE0EEENS1_38merge_mergepath_config_static_selectorELNS0_4arch9wavefront6targetE1EEEvSJ_
                                        ; -- End function
	.set _ZN7rocprim17ROCPRIM_400000_NS6detail17trampoline_kernelINS0_14default_configENS1_38merge_sort_block_merge_config_selectorIffEEZZNS1_27merge_sort_block_merge_implIS3_N6thrust23THRUST_200600_302600_NS6detail15normal_iteratorINS8_10device_ptrIfEEEESD_jNS1_19radix_merge_compareILb0ELb0EfNS0_19identity_decomposerEEEEE10hipError_tT0_T1_T2_jT3_P12ihipStream_tbPNSt15iterator_traitsISI_E10value_typeEPNSO_ISJ_E10value_typeEPSK_NS1_7vsmem_tEENKUlT_SI_SJ_SK_E_clISD_PfSD_S10_EESH_SX_SI_SJ_SK_EUlSX_E0_NS1_11comp_targetILNS1_3genE5ELNS1_11target_archE942ELNS1_3gpuE9ELNS1_3repE0EEENS1_38merge_mergepath_config_static_selectorELNS0_4arch9wavefront6targetE1EEEvSJ_.num_vgpr, 0
	.set _ZN7rocprim17ROCPRIM_400000_NS6detail17trampoline_kernelINS0_14default_configENS1_38merge_sort_block_merge_config_selectorIffEEZZNS1_27merge_sort_block_merge_implIS3_N6thrust23THRUST_200600_302600_NS6detail15normal_iteratorINS8_10device_ptrIfEEEESD_jNS1_19radix_merge_compareILb0ELb0EfNS0_19identity_decomposerEEEEE10hipError_tT0_T1_T2_jT3_P12ihipStream_tbPNSt15iterator_traitsISI_E10value_typeEPNSO_ISJ_E10value_typeEPSK_NS1_7vsmem_tEENKUlT_SI_SJ_SK_E_clISD_PfSD_S10_EESH_SX_SI_SJ_SK_EUlSX_E0_NS1_11comp_targetILNS1_3genE5ELNS1_11target_archE942ELNS1_3gpuE9ELNS1_3repE0EEENS1_38merge_mergepath_config_static_selectorELNS0_4arch9wavefront6targetE1EEEvSJ_.num_agpr, 0
	.set _ZN7rocprim17ROCPRIM_400000_NS6detail17trampoline_kernelINS0_14default_configENS1_38merge_sort_block_merge_config_selectorIffEEZZNS1_27merge_sort_block_merge_implIS3_N6thrust23THRUST_200600_302600_NS6detail15normal_iteratorINS8_10device_ptrIfEEEESD_jNS1_19radix_merge_compareILb0ELb0EfNS0_19identity_decomposerEEEEE10hipError_tT0_T1_T2_jT3_P12ihipStream_tbPNSt15iterator_traitsISI_E10value_typeEPNSO_ISJ_E10value_typeEPSK_NS1_7vsmem_tEENKUlT_SI_SJ_SK_E_clISD_PfSD_S10_EESH_SX_SI_SJ_SK_EUlSX_E0_NS1_11comp_targetILNS1_3genE5ELNS1_11target_archE942ELNS1_3gpuE9ELNS1_3repE0EEENS1_38merge_mergepath_config_static_selectorELNS0_4arch9wavefront6targetE1EEEvSJ_.numbered_sgpr, 0
	.set _ZN7rocprim17ROCPRIM_400000_NS6detail17trampoline_kernelINS0_14default_configENS1_38merge_sort_block_merge_config_selectorIffEEZZNS1_27merge_sort_block_merge_implIS3_N6thrust23THRUST_200600_302600_NS6detail15normal_iteratorINS8_10device_ptrIfEEEESD_jNS1_19radix_merge_compareILb0ELb0EfNS0_19identity_decomposerEEEEE10hipError_tT0_T1_T2_jT3_P12ihipStream_tbPNSt15iterator_traitsISI_E10value_typeEPNSO_ISJ_E10value_typeEPSK_NS1_7vsmem_tEENKUlT_SI_SJ_SK_E_clISD_PfSD_S10_EESH_SX_SI_SJ_SK_EUlSX_E0_NS1_11comp_targetILNS1_3genE5ELNS1_11target_archE942ELNS1_3gpuE9ELNS1_3repE0EEENS1_38merge_mergepath_config_static_selectorELNS0_4arch9wavefront6targetE1EEEvSJ_.num_named_barrier, 0
	.set _ZN7rocprim17ROCPRIM_400000_NS6detail17trampoline_kernelINS0_14default_configENS1_38merge_sort_block_merge_config_selectorIffEEZZNS1_27merge_sort_block_merge_implIS3_N6thrust23THRUST_200600_302600_NS6detail15normal_iteratorINS8_10device_ptrIfEEEESD_jNS1_19radix_merge_compareILb0ELb0EfNS0_19identity_decomposerEEEEE10hipError_tT0_T1_T2_jT3_P12ihipStream_tbPNSt15iterator_traitsISI_E10value_typeEPNSO_ISJ_E10value_typeEPSK_NS1_7vsmem_tEENKUlT_SI_SJ_SK_E_clISD_PfSD_S10_EESH_SX_SI_SJ_SK_EUlSX_E0_NS1_11comp_targetILNS1_3genE5ELNS1_11target_archE942ELNS1_3gpuE9ELNS1_3repE0EEENS1_38merge_mergepath_config_static_selectorELNS0_4arch9wavefront6targetE1EEEvSJ_.private_seg_size, 0
	.set _ZN7rocprim17ROCPRIM_400000_NS6detail17trampoline_kernelINS0_14default_configENS1_38merge_sort_block_merge_config_selectorIffEEZZNS1_27merge_sort_block_merge_implIS3_N6thrust23THRUST_200600_302600_NS6detail15normal_iteratorINS8_10device_ptrIfEEEESD_jNS1_19radix_merge_compareILb0ELb0EfNS0_19identity_decomposerEEEEE10hipError_tT0_T1_T2_jT3_P12ihipStream_tbPNSt15iterator_traitsISI_E10value_typeEPNSO_ISJ_E10value_typeEPSK_NS1_7vsmem_tEENKUlT_SI_SJ_SK_E_clISD_PfSD_S10_EESH_SX_SI_SJ_SK_EUlSX_E0_NS1_11comp_targetILNS1_3genE5ELNS1_11target_archE942ELNS1_3gpuE9ELNS1_3repE0EEENS1_38merge_mergepath_config_static_selectorELNS0_4arch9wavefront6targetE1EEEvSJ_.uses_vcc, 0
	.set _ZN7rocprim17ROCPRIM_400000_NS6detail17trampoline_kernelINS0_14default_configENS1_38merge_sort_block_merge_config_selectorIffEEZZNS1_27merge_sort_block_merge_implIS3_N6thrust23THRUST_200600_302600_NS6detail15normal_iteratorINS8_10device_ptrIfEEEESD_jNS1_19radix_merge_compareILb0ELb0EfNS0_19identity_decomposerEEEEE10hipError_tT0_T1_T2_jT3_P12ihipStream_tbPNSt15iterator_traitsISI_E10value_typeEPNSO_ISJ_E10value_typeEPSK_NS1_7vsmem_tEENKUlT_SI_SJ_SK_E_clISD_PfSD_S10_EESH_SX_SI_SJ_SK_EUlSX_E0_NS1_11comp_targetILNS1_3genE5ELNS1_11target_archE942ELNS1_3gpuE9ELNS1_3repE0EEENS1_38merge_mergepath_config_static_selectorELNS0_4arch9wavefront6targetE1EEEvSJ_.uses_flat_scratch, 0
	.set _ZN7rocprim17ROCPRIM_400000_NS6detail17trampoline_kernelINS0_14default_configENS1_38merge_sort_block_merge_config_selectorIffEEZZNS1_27merge_sort_block_merge_implIS3_N6thrust23THRUST_200600_302600_NS6detail15normal_iteratorINS8_10device_ptrIfEEEESD_jNS1_19radix_merge_compareILb0ELb0EfNS0_19identity_decomposerEEEEE10hipError_tT0_T1_T2_jT3_P12ihipStream_tbPNSt15iterator_traitsISI_E10value_typeEPNSO_ISJ_E10value_typeEPSK_NS1_7vsmem_tEENKUlT_SI_SJ_SK_E_clISD_PfSD_S10_EESH_SX_SI_SJ_SK_EUlSX_E0_NS1_11comp_targetILNS1_3genE5ELNS1_11target_archE942ELNS1_3gpuE9ELNS1_3repE0EEENS1_38merge_mergepath_config_static_selectorELNS0_4arch9wavefront6targetE1EEEvSJ_.has_dyn_sized_stack, 0
	.set _ZN7rocprim17ROCPRIM_400000_NS6detail17trampoline_kernelINS0_14default_configENS1_38merge_sort_block_merge_config_selectorIffEEZZNS1_27merge_sort_block_merge_implIS3_N6thrust23THRUST_200600_302600_NS6detail15normal_iteratorINS8_10device_ptrIfEEEESD_jNS1_19radix_merge_compareILb0ELb0EfNS0_19identity_decomposerEEEEE10hipError_tT0_T1_T2_jT3_P12ihipStream_tbPNSt15iterator_traitsISI_E10value_typeEPNSO_ISJ_E10value_typeEPSK_NS1_7vsmem_tEENKUlT_SI_SJ_SK_E_clISD_PfSD_S10_EESH_SX_SI_SJ_SK_EUlSX_E0_NS1_11comp_targetILNS1_3genE5ELNS1_11target_archE942ELNS1_3gpuE9ELNS1_3repE0EEENS1_38merge_mergepath_config_static_selectorELNS0_4arch9wavefront6targetE1EEEvSJ_.has_recursion, 0
	.set _ZN7rocprim17ROCPRIM_400000_NS6detail17trampoline_kernelINS0_14default_configENS1_38merge_sort_block_merge_config_selectorIffEEZZNS1_27merge_sort_block_merge_implIS3_N6thrust23THRUST_200600_302600_NS6detail15normal_iteratorINS8_10device_ptrIfEEEESD_jNS1_19radix_merge_compareILb0ELb0EfNS0_19identity_decomposerEEEEE10hipError_tT0_T1_T2_jT3_P12ihipStream_tbPNSt15iterator_traitsISI_E10value_typeEPNSO_ISJ_E10value_typeEPSK_NS1_7vsmem_tEENKUlT_SI_SJ_SK_E_clISD_PfSD_S10_EESH_SX_SI_SJ_SK_EUlSX_E0_NS1_11comp_targetILNS1_3genE5ELNS1_11target_archE942ELNS1_3gpuE9ELNS1_3repE0EEENS1_38merge_mergepath_config_static_selectorELNS0_4arch9wavefront6targetE1EEEvSJ_.has_indirect_call, 0
	.section	.AMDGPU.csdata,"",@progbits
; Kernel info:
; codeLenInByte = 0
; TotalNumSgprs: 6
; NumVgprs: 0
; NumAgprs: 0
; TotalNumVgprs: 0
; ScratchSize: 0
; MemoryBound: 0
; FloatMode: 240
; IeeeMode: 1
; LDSByteSize: 0 bytes/workgroup (compile time only)
; SGPRBlocks: 0
; VGPRBlocks: 0
; NumSGPRsForWavesPerEU: 6
; NumVGPRsForWavesPerEU: 1
; AccumOffset: 4
; Occupancy: 8
; WaveLimiterHint : 0
; COMPUTE_PGM_RSRC2:SCRATCH_EN: 0
; COMPUTE_PGM_RSRC2:USER_SGPR: 2
; COMPUTE_PGM_RSRC2:TRAP_HANDLER: 0
; COMPUTE_PGM_RSRC2:TGID_X_EN: 1
; COMPUTE_PGM_RSRC2:TGID_Y_EN: 0
; COMPUTE_PGM_RSRC2:TGID_Z_EN: 0
; COMPUTE_PGM_RSRC2:TIDIG_COMP_CNT: 0
; COMPUTE_PGM_RSRC3_GFX90A:ACCUM_OFFSET: 0
; COMPUTE_PGM_RSRC3_GFX90A:TG_SPLIT: 0
	.section	.text._ZN7rocprim17ROCPRIM_400000_NS6detail17trampoline_kernelINS0_14default_configENS1_38merge_sort_block_merge_config_selectorIffEEZZNS1_27merge_sort_block_merge_implIS3_N6thrust23THRUST_200600_302600_NS6detail15normal_iteratorINS8_10device_ptrIfEEEESD_jNS1_19radix_merge_compareILb0ELb0EfNS0_19identity_decomposerEEEEE10hipError_tT0_T1_T2_jT3_P12ihipStream_tbPNSt15iterator_traitsISI_E10value_typeEPNSO_ISJ_E10value_typeEPSK_NS1_7vsmem_tEENKUlT_SI_SJ_SK_E_clISD_PfSD_S10_EESH_SX_SI_SJ_SK_EUlSX_E0_NS1_11comp_targetILNS1_3genE4ELNS1_11target_archE910ELNS1_3gpuE8ELNS1_3repE0EEENS1_38merge_mergepath_config_static_selectorELNS0_4arch9wavefront6targetE1EEEvSJ_,"axG",@progbits,_ZN7rocprim17ROCPRIM_400000_NS6detail17trampoline_kernelINS0_14default_configENS1_38merge_sort_block_merge_config_selectorIffEEZZNS1_27merge_sort_block_merge_implIS3_N6thrust23THRUST_200600_302600_NS6detail15normal_iteratorINS8_10device_ptrIfEEEESD_jNS1_19radix_merge_compareILb0ELb0EfNS0_19identity_decomposerEEEEE10hipError_tT0_T1_T2_jT3_P12ihipStream_tbPNSt15iterator_traitsISI_E10value_typeEPNSO_ISJ_E10value_typeEPSK_NS1_7vsmem_tEENKUlT_SI_SJ_SK_E_clISD_PfSD_S10_EESH_SX_SI_SJ_SK_EUlSX_E0_NS1_11comp_targetILNS1_3genE4ELNS1_11target_archE910ELNS1_3gpuE8ELNS1_3repE0EEENS1_38merge_mergepath_config_static_selectorELNS0_4arch9wavefront6targetE1EEEvSJ_,comdat
	.protected	_ZN7rocprim17ROCPRIM_400000_NS6detail17trampoline_kernelINS0_14default_configENS1_38merge_sort_block_merge_config_selectorIffEEZZNS1_27merge_sort_block_merge_implIS3_N6thrust23THRUST_200600_302600_NS6detail15normal_iteratorINS8_10device_ptrIfEEEESD_jNS1_19radix_merge_compareILb0ELb0EfNS0_19identity_decomposerEEEEE10hipError_tT0_T1_T2_jT3_P12ihipStream_tbPNSt15iterator_traitsISI_E10value_typeEPNSO_ISJ_E10value_typeEPSK_NS1_7vsmem_tEENKUlT_SI_SJ_SK_E_clISD_PfSD_S10_EESH_SX_SI_SJ_SK_EUlSX_E0_NS1_11comp_targetILNS1_3genE4ELNS1_11target_archE910ELNS1_3gpuE8ELNS1_3repE0EEENS1_38merge_mergepath_config_static_selectorELNS0_4arch9wavefront6targetE1EEEvSJ_ ; -- Begin function _ZN7rocprim17ROCPRIM_400000_NS6detail17trampoline_kernelINS0_14default_configENS1_38merge_sort_block_merge_config_selectorIffEEZZNS1_27merge_sort_block_merge_implIS3_N6thrust23THRUST_200600_302600_NS6detail15normal_iteratorINS8_10device_ptrIfEEEESD_jNS1_19radix_merge_compareILb0ELb0EfNS0_19identity_decomposerEEEEE10hipError_tT0_T1_T2_jT3_P12ihipStream_tbPNSt15iterator_traitsISI_E10value_typeEPNSO_ISJ_E10value_typeEPSK_NS1_7vsmem_tEENKUlT_SI_SJ_SK_E_clISD_PfSD_S10_EESH_SX_SI_SJ_SK_EUlSX_E0_NS1_11comp_targetILNS1_3genE4ELNS1_11target_archE910ELNS1_3gpuE8ELNS1_3repE0EEENS1_38merge_mergepath_config_static_selectorELNS0_4arch9wavefront6targetE1EEEvSJ_
	.globl	_ZN7rocprim17ROCPRIM_400000_NS6detail17trampoline_kernelINS0_14default_configENS1_38merge_sort_block_merge_config_selectorIffEEZZNS1_27merge_sort_block_merge_implIS3_N6thrust23THRUST_200600_302600_NS6detail15normal_iteratorINS8_10device_ptrIfEEEESD_jNS1_19radix_merge_compareILb0ELb0EfNS0_19identity_decomposerEEEEE10hipError_tT0_T1_T2_jT3_P12ihipStream_tbPNSt15iterator_traitsISI_E10value_typeEPNSO_ISJ_E10value_typeEPSK_NS1_7vsmem_tEENKUlT_SI_SJ_SK_E_clISD_PfSD_S10_EESH_SX_SI_SJ_SK_EUlSX_E0_NS1_11comp_targetILNS1_3genE4ELNS1_11target_archE910ELNS1_3gpuE8ELNS1_3repE0EEENS1_38merge_mergepath_config_static_selectorELNS0_4arch9wavefront6targetE1EEEvSJ_
	.p2align	8
	.type	_ZN7rocprim17ROCPRIM_400000_NS6detail17trampoline_kernelINS0_14default_configENS1_38merge_sort_block_merge_config_selectorIffEEZZNS1_27merge_sort_block_merge_implIS3_N6thrust23THRUST_200600_302600_NS6detail15normal_iteratorINS8_10device_ptrIfEEEESD_jNS1_19radix_merge_compareILb0ELb0EfNS0_19identity_decomposerEEEEE10hipError_tT0_T1_T2_jT3_P12ihipStream_tbPNSt15iterator_traitsISI_E10value_typeEPNSO_ISJ_E10value_typeEPSK_NS1_7vsmem_tEENKUlT_SI_SJ_SK_E_clISD_PfSD_S10_EESH_SX_SI_SJ_SK_EUlSX_E0_NS1_11comp_targetILNS1_3genE4ELNS1_11target_archE910ELNS1_3gpuE8ELNS1_3repE0EEENS1_38merge_mergepath_config_static_selectorELNS0_4arch9wavefront6targetE1EEEvSJ_,@function
_ZN7rocprim17ROCPRIM_400000_NS6detail17trampoline_kernelINS0_14default_configENS1_38merge_sort_block_merge_config_selectorIffEEZZNS1_27merge_sort_block_merge_implIS3_N6thrust23THRUST_200600_302600_NS6detail15normal_iteratorINS8_10device_ptrIfEEEESD_jNS1_19radix_merge_compareILb0ELb0EfNS0_19identity_decomposerEEEEE10hipError_tT0_T1_T2_jT3_P12ihipStream_tbPNSt15iterator_traitsISI_E10value_typeEPNSO_ISJ_E10value_typeEPSK_NS1_7vsmem_tEENKUlT_SI_SJ_SK_E_clISD_PfSD_S10_EESH_SX_SI_SJ_SK_EUlSX_E0_NS1_11comp_targetILNS1_3genE4ELNS1_11target_archE910ELNS1_3gpuE8ELNS1_3repE0EEENS1_38merge_mergepath_config_static_selectorELNS0_4arch9wavefront6targetE1EEEvSJ_: ; @_ZN7rocprim17ROCPRIM_400000_NS6detail17trampoline_kernelINS0_14default_configENS1_38merge_sort_block_merge_config_selectorIffEEZZNS1_27merge_sort_block_merge_implIS3_N6thrust23THRUST_200600_302600_NS6detail15normal_iteratorINS8_10device_ptrIfEEEESD_jNS1_19radix_merge_compareILb0ELb0EfNS0_19identity_decomposerEEEEE10hipError_tT0_T1_T2_jT3_P12ihipStream_tbPNSt15iterator_traitsISI_E10value_typeEPNSO_ISJ_E10value_typeEPSK_NS1_7vsmem_tEENKUlT_SI_SJ_SK_E_clISD_PfSD_S10_EESH_SX_SI_SJ_SK_EUlSX_E0_NS1_11comp_targetILNS1_3genE4ELNS1_11target_archE910ELNS1_3gpuE8ELNS1_3repE0EEENS1_38merge_mergepath_config_static_selectorELNS0_4arch9wavefront6targetE1EEEvSJ_
; %bb.0:
	.section	.rodata,"a",@progbits
	.p2align	6, 0x0
	.amdhsa_kernel _ZN7rocprim17ROCPRIM_400000_NS6detail17trampoline_kernelINS0_14default_configENS1_38merge_sort_block_merge_config_selectorIffEEZZNS1_27merge_sort_block_merge_implIS3_N6thrust23THRUST_200600_302600_NS6detail15normal_iteratorINS8_10device_ptrIfEEEESD_jNS1_19radix_merge_compareILb0ELb0EfNS0_19identity_decomposerEEEEE10hipError_tT0_T1_T2_jT3_P12ihipStream_tbPNSt15iterator_traitsISI_E10value_typeEPNSO_ISJ_E10value_typeEPSK_NS1_7vsmem_tEENKUlT_SI_SJ_SK_E_clISD_PfSD_S10_EESH_SX_SI_SJ_SK_EUlSX_E0_NS1_11comp_targetILNS1_3genE4ELNS1_11target_archE910ELNS1_3gpuE8ELNS1_3repE0EEENS1_38merge_mergepath_config_static_selectorELNS0_4arch9wavefront6targetE1EEEvSJ_
		.amdhsa_group_segment_fixed_size 0
		.amdhsa_private_segment_fixed_size 0
		.amdhsa_kernarg_size 64
		.amdhsa_user_sgpr_count 2
		.amdhsa_user_sgpr_dispatch_ptr 0
		.amdhsa_user_sgpr_queue_ptr 0
		.amdhsa_user_sgpr_kernarg_segment_ptr 1
		.amdhsa_user_sgpr_dispatch_id 0
		.amdhsa_user_sgpr_kernarg_preload_length 0
		.amdhsa_user_sgpr_kernarg_preload_offset 0
		.amdhsa_user_sgpr_private_segment_size 0
		.amdhsa_uses_dynamic_stack 0
		.amdhsa_enable_private_segment 0
		.amdhsa_system_sgpr_workgroup_id_x 1
		.amdhsa_system_sgpr_workgroup_id_y 0
		.amdhsa_system_sgpr_workgroup_id_z 0
		.amdhsa_system_sgpr_workgroup_info 0
		.amdhsa_system_vgpr_workitem_id 0
		.amdhsa_next_free_vgpr 1
		.amdhsa_next_free_sgpr 0
		.amdhsa_accum_offset 4
		.amdhsa_reserve_vcc 0
		.amdhsa_float_round_mode_32 0
		.amdhsa_float_round_mode_16_64 0
		.amdhsa_float_denorm_mode_32 3
		.amdhsa_float_denorm_mode_16_64 3
		.amdhsa_dx10_clamp 1
		.amdhsa_ieee_mode 1
		.amdhsa_fp16_overflow 0
		.amdhsa_tg_split 0
		.amdhsa_exception_fp_ieee_invalid_op 0
		.amdhsa_exception_fp_denorm_src 0
		.amdhsa_exception_fp_ieee_div_zero 0
		.amdhsa_exception_fp_ieee_overflow 0
		.amdhsa_exception_fp_ieee_underflow 0
		.amdhsa_exception_fp_ieee_inexact 0
		.amdhsa_exception_int_div_zero 0
	.end_amdhsa_kernel
	.section	.text._ZN7rocprim17ROCPRIM_400000_NS6detail17trampoline_kernelINS0_14default_configENS1_38merge_sort_block_merge_config_selectorIffEEZZNS1_27merge_sort_block_merge_implIS3_N6thrust23THRUST_200600_302600_NS6detail15normal_iteratorINS8_10device_ptrIfEEEESD_jNS1_19radix_merge_compareILb0ELb0EfNS0_19identity_decomposerEEEEE10hipError_tT0_T1_T2_jT3_P12ihipStream_tbPNSt15iterator_traitsISI_E10value_typeEPNSO_ISJ_E10value_typeEPSK_NS1_7vsmem_tEENKUlT_SI_SJ_SK_E_clISD_PfSD_S10_EESH_SX_SI_SJ_SK_EUlSX_E0_NS1_11comp_targetILNS1_3genE4ELNS1_11target_archE910ELNS1_3gpuE8ELNS1_3repE0EEENS1_38merge_mergepath_config_static_selectorELNS0_4arch9wavefront6targetE1EEEvSJ_,"axG",@progbits,_ZN7rocprim17ROCPRIM_400000_NS6detail17trampoline_kernelINS0_14default_configENS1_38merge_sort_block_merge_config_selectorIffEEZZNS1_27merge_sort_block_merge_implIS3_N6thrust23THRUST_200600_302600_NS6detail15normal_iteratorINS8_10device_ptrIfEEEESD_jNS1_19radix_merge_compareILb0ELb0EfNS0_19identity_decomposerEEEEE10hipError_tT0_T1_T2_jT3_P12ihipStream_tbPNSt15iterator_traitsISI_E10value_typeEPNSO_ISJ_E10value_typeEPSK_NS1_7vsmem_tEENKUlT_SI_SJ_SK_E_clISD_PfSD_S10_EESH_SX_SI_SJ_SK_EUlSX_E0_NS1_11comp_targetILNS1_3genE4ELNS1_11target_archE910ELNS1_3gpuE8ELNS1_3repE0EEENS1_38merge_mergepath_config_static_selectorELNS0_4arch9wavefront6targetE1EEEvSJ_,comdat
.Lfunc_end256:
	.size	_ZN7rocprim17ROCPRIM_400000_NS6detail17trampoline_kernelINS0_14default_configENS1_38merge_sort_block_merge_config_selectorIffEEZZNS1_27merge_sort_block_merge_implIS3_N6thrust23THRUST_200600_302600_NS6detail15normal_iteratorINS8_10device_ptrIfEEEESD_jNS1_19radix_merge_compareILb0ELb0EfNS0_19identity_decomposerEEEEE10hipError_tT0_T1_T2_jT3_P12ihipStream_tbPNSt15iterator_traitsISI_E10value_typeEPNSO_ISJ_E10value_typeEPSK_NS1_7vsmem_tEENKUlT_SI_SJ_SK_E_clISD_PfSD_S10_EESH_SX_SI_SJ_SK_EUlSX_E0_NS1_11comp_targetILNS1_3genE4ELNS1_11target_archE910ELNS1_3gpuE8ELNS1_3repE0EEENS1_38merge_mergepath_config_static_selectorELNS0_4arch9wavefront6targetE1EEEvSJ_, .Lfunc_end256-_ZN7rocprim17ROCPRIM_400000_NS6detail17trampoline_kernelINS0_14default_configENS1_38merge_sort_block_merge_config_selectorIffEEZZNS1_27merge_sort_block_merge_implIS3_N6thrust23THRUST_200600_302600_NS6detail15normal_iteratorINS8_10device_ptrIfEEEESD_jNS1_19radix_merge_compareILb0ELb0EfNS0_19identity_decomposerEEEEE10hipError_tT0_T1_T2_jT3_P12ihipStream_tbPNSt15iterator_traitsISI_E10value_typeEPNSO_ISJ_E10value_typeEPSK_NS1_7vsmem_tEENKUlT_SI_SJ_SK_E_clISD_PfSD_S10_EESH_SX_SI_SJ_SK_EUlSX_E0_NS1_11comp_targetILNS1_3genE4ELNS1_11target_archE910ELNS1_3gpuE8ELNS1_3repE0EEENS1_38merge_mergepath_config_static_selectorELNS0_4arch9wavefront6targetE1EEEvSJ_
                                        ; -- End function
	.set _ZN7rocprim17ROCPRIM_400000_NS6detail17trampoline_kernelINS0_14default_configENS1_38merge_sort_block_merge_config_selectorIffEEZZNS1_27merge_sort_block_merge_implIS3_N6thrust23THRUST_200600_302600_NS6detail15normal_iteratorINS8_10device_ptrIfEEEESD_jNS1_19radix_merge_compareILb0ELb0EfNS0_19identity_decomposerEEEEE10hipError_tT0_T1_T2_jT3_P12ihipStream_tbPNSt15iterator_traitsISI_E10value_typeEPNSO_ISJ_E10value_typeEPSK_NS1_7vsmem_tEENKUlT_SI_SJ_SK_E_clISD_PfSD_S10_EESH_SX_SI_SJ_SK_EUlSX_E0_NS1_11comp_targetILNS1_3genE4ELNS1_11target_archE910ELNS1_3gpuE8ELNS1_3repE0EEENS1_38merge_mergepath_config_static_selectorELNS0_4arch9wavefront6targetE1EEEvSJ_.num_vgpr, 0
	.set _ZN7rocprim17ROCPRIM_400000_NS6detail17trampoline_kernelINS0_14default_configENS1_38merge_sort_block_merge_config_selectorIffEEZZNS1_27merge_sort_block_merge_implIS3_N6thrust23THRUST_200600_302600_NS6detail15normal_iteratorINS8_10device_ptrIfEEEESD_jNS1_19radix_merge_compareILb0ELb0EfNS0_19identity_decomposerEEEEE10hipError_tT0_T1_T2_jT3_P12ihipStream_tbPNSt15iterator_traitsISI_E10value_typeEPNSO_ISJ_E10value_typeEPSK_NS1_7vsmem_tEENKUlT_SI_SJ_SK_E_clISD_PfSD_S10_EESH_SX_SI_SJ_SK_EUlSX_E0_NS1_11comp_targetILNS1_3genE4ELNS1_11target_archE910ELNS1_3gpuE8ELNS1_3repE0EEENS1_38merge_mergepath_config_static_selectorELNS0_4arch9wavefront6targetE1EEEvSJ_.num_agpr, 0
	.set _ZN7rocprim17ROCPRIM_400000_NS6detail17trampoline_kernelINS0_14default_configENS1_38merge_sort_block_merge_config_selectorIffEEZZNS1_27merge_sort_block_merge_implIS3_N6thrust23THRUST_200600_302600_NS6detail15normal_iteratorINS8_10device_ptrIfEEEESD_jNS1_19radix_merge_compareILb0ELb0EfNS0_19identity_decomposerEEEEE10hipError_tT0_T1_T2_jT3_P12ihipStream_tbPNSt15iterator_traitsISI_E10value_typeEPNSO_ISJ_E10value_typeEPSK_NS1_7vsmem_tEENKUlT_SI_SJ_SK_E_clISD_PfSD_S10_EESH_SX_SI_SJ_SK_EUlSX_E0_NS1_11comp_targetILNS1_3genE4ELNS1_11target_archE910ELNS1_3gpuE8ELNS1_3repE0EEENS1_38merge_mergepath_config_static_selectorELNS0_4arch9wavefront6targetE1EEEvSJ_.numbered_sgpr, 0
	.set _ZN7rocprim17ROCPRIM_400000_NS6detail17trampoline_kernelINS0_14default_configENS1_38merge_sort_block_merge_config_selectorIffEEZZNS1_27merge_sort_block_merge_implIS3_N6thrust23THRUST_200600_302600_NS6detail15normal_iteratorINS8_10device_ptrIfEEEESD_jNS1_19radix_merge_compareILb0ELb0EfNS0_19identity_decomposerEEEEE10hipError_tT0_T1_T2_jT3_P12ihipStream_tbPNSt15iterator_traitsISI_E10value_typeEPNSO_ISJ_E10value_typeEPSK_NS1_7vsmem_tEENKUlT_SI_SJ_SK_E_clISD_PfSD_S10_EESH_SX_SI_SJ_SK_EUlSX_E0_NS1_11comp_targetILNS1_3genE4ELNS1_11target_archE910ELNS1_3gpuE8ELNS1_3repE0EEENS1_38merge_mergepath_config_static_selectorELNS0_4arch9wavefront6targetE1EEEvSJ_.num_named_barrier, 0
	.set _ZN7rocprim17ROCPRIM_400000_NS6detail17trampoline_kernelINS0_14default_configENS1_38merge_sort_block_merge_config_selectorIffEEZZNS1_27merge_sort_block_merge_implIS3_N6thrust23THRUST_200600_302600_NS6detail15normal_iteratorINS8_10device_ptrIfEEEESD_jNS1_19radix_merge_compareILb0ELb0EfNS0_19identity_decomposerEEEEE10hipError_tT0_T1_T2_jT3_P12ihipStream_tbPNSt15iterator_traitsISI_E10value_typeEPNSO_ISJ_E10value_typeEPSK_NS1_7vsmem_tEENKUlT_SI_SJ_SK_E_clISD_PfSD_S10_EESH_SX_SI_SJ_SK_EUlSX_E0_NS1_11comp_targetILNS1_3genE4ELNS1_11target_archE910ELNS1_3gpuE8ELNS1_3repE0EEENS1_38merge_mergepath_config_static_selectorELNS0_4arch9wavefront6targetE1EEEvSJ_.private_seg_size, 0
	.set _ZN7rocprim17ROCPRIM_400000_NS6detail17trampoline_kernelINS0_14default_configENS1_38merge_sort_block_merge_config_selectorIffEEZZNS1_27merge_sort_block_merge_implIS3_N6thrust23THRUST_200600_302600_NS6detail15normal_iteratorINS8_10device_ptrIfEEEESD_jNS1_19radix_merge_compareILb0ELb0EfNS0_19identity_decomposerEEEEE10hipError_tT0_T1_T2_jT3_P12ihipStream_tbPNSt15iterator_traitsISI_E10value_typeEPNSO_ISJ_E10value_typeEPSK_NS1_7vsmem_tEENKUlT_SI_SJ_SK_E_clISD_PfSD_S10_EESH_SX_SI_SJ_SK_EUlSX_E0_NS1_11comp_targetILNS1_3genE4ELNS1_11target_archE910ELNS1_3gpuE8ELNS1_3repE0EEENS1_38merge_mergepath_config_static_selectorELNS0_4arch9wavefront6targetE1EEEvSJ_.uses_vcc, 0
	.set _ZN7rocprim17ROCPRIM_400000_NS6detail17trampoline_kernelINS0_14default_configENS1_38merge_sort_block_merge_config_selectorIffEEZZNS1_27merge_sort_block_merge_implIS3_N6thrust23THRUST_200600_302600_NS6detail15normal_iteratorINS8_10device_ptrIfEEEESD_jNS1_19radix_merge_compareILb0ELb0EfNS0_19identity_decomposerEEEEE10hipError_tT0_T1_T2_jT3_P12ihipStream_tbPNSt15iterator_traitsISI_E10value_typeEPNSO_ISJ_E10value_typeEPSK_NS1_7vsmem_tEENKUlT_SI_SJ_SK_E_clISD_PfSD_S10_EESH_SX_SI_SJ_SK_EUlSX_E0_NS1_11comp_targetILNS1_3genE4ELNS1_11target_archE910ELNS1_3gpuE8ELNS1_3repE0EEENS1_38merge_mergepath_config_static_selectorELNS0_4arch9wavefront6targetE1EEEvSJ_.uses_flat_scratch, 0
	.set _ZN7rocprim17ROCPRIM_400000_NS6detail17trampoline_kernelINS0_14default_configENS1_38merge_sort_block_merge_config_selectorIffEEZZNS1_27merge_sort_block_merge_implIS3_N6thrust23THRUST_200600_302600_NS6detail15normal_iteratorINS8_10device_ptrIfEEEESD_jNS1_19radix_merge_compareILb0ELb0EfNS0_19identity_decomposerEEEEE10hipError_tT0_T1_T2_jT3_P12ihipStream_tbPNSt15iterator_traitsISI_E10value_typeEPNSO_ISJ_E10value_typeEPSK_NS1_7vsmem_tEENKUlT_SI_SJ_SK_E_clISD_PfSD_S10_EESH_SX_SI_SJ_SK_EUlSX_E0_NS1_11comp_targetILNS1_3genE4ELNS1_11target_archE910ELNS1_3gpuE8ELNS1_3repE0EEENS1_38merge_mergepath_config_static_selectorELNS0_4arch9wavefront6targetE1EEEvSJ_.has_dyn_sized_stack, 0
	.set _ZN7rocprim17ROCPRIM_400000_NS6detail17trampoline_kernelINS0_14default_configENS1_38merge_sort_block_merge_config_selectorIffEEZZNS1_27merge_sort_block_merge_implIS3_N6thrust23THRUST_200600_302600_NS6detail15normal_iteratorINS8_10device_ptrIfEEEESD_jNS1_19radix_merge_compareILb0ELb0EfNS0_19identity_decomposerEEEEE10hipError_tT0_T1_T2_jT3_P12ihipStream_tbPNSt15iterator_traitsISI_E10value_typeEPNSO_ISJ_E10value_typeEPSK_NS1_7vsmem_tEENKUlT_SI_SJ_SK_E_clISD_PfSD_S10_EESH_SX_SI_SJ_SK_EUlSX_E0_NS1_11comp_targetILNS1_3genE4ELNS1_11target_archE910ELNS1_3gpuE8ELNS1_3repE0EEENS1_38merge_mergepath_config_static_selectorELNS0_4arch9wavefront6targetE1EEEvSJ_.has_recursion, 0
	.set _ZN7rocprim17ROCPRIM_400000_NS6detail17trampoline_kernelINS0_14default_configENS1_38merge_sort_block_merge_config_selectorIffEEZZNS1_27merge_sort_block_merge_implIS3_N6thrust23THRUST_200600_302600_NS6detail15normal_iteratorINS8_10device_ptrIfEEEESD_jNS1_19radix_merge_compareILb0ELb0EfNS0_19identity_decomposerEEEEE10hipError_tT0_T1_T2_jT3_P12ihipStream_tbPNSt15iterator_traitsISI_E10value_typeEPNSO_ISJ_E10value_typeEPSK_NS1_7vsmem_tEENKUlT_SI_SJ_SK_E_clISD_PfSD_S10_EESH_SX_SI_SJ_SK_EUlSX_E0_NS1_11comp_targetILNS1_3genE4ELNS1_11target_archE910ELNS1_3gpuE8ELNS1_3repE0EEENS1_38merge_mergepath_config_static_selectorELNS0_4arch9wavefront6targetE1EEEvSJ_.has_indirect_call, 0
	.section	.AMDGPU.csdata,"",@progbits
; Kernel info:
; codeLenInByte = 0
; TotalNumSgprs: 6
; NumVgprs: 0
; NumAgprs: 0
; TotalNumVgprs: 0
; ScratchSize: 0
; MemoryBound: 0
; FloatMode: 240
; IeeeMode: 1
; LDSByteSize: 0 bytes/workgroup (compile time only)
; SGPRBlocks: 0
; VGPRBlocks: 0
; NumSGPRsForWavesPerEU: 6
; NumVGPRsForWavesPerEU: 1
; AccumOffset: 4
; Occupancy: 8
; WaveLimiterHint : 0
; COMPUTE_PGM_RSRC2:SCRATCH_EN: 0
; COMPUTE_PGM_RSRC2:USER_SGPR: 2
; COMPUTE_PGM_RSRC2:TRAP_HANDLER: 0
; COMPUTE_PGM_RSRC2:TGID_X_EN: 1
; COMPUTE_PGM_RSRC2:TGID_Y_EN: 0
; COMPUTE_PGM_RSRC2:TGID_Z_EN: 0
; COMPUTE_PGM_RSRC2:TIDIG_COMP_CNT: 0
; COMPUTE_PGM_RSRC3_GFX90A:ACCUM_OFFSET: 0
; COMPUTE_PGM_RSRC3_GFX90A:TG_SPLIT: 0
	.section	.text._ZN7rocprim17ROCPRIM_400000_NS6detail17trampoline_kernelINS0_14default_configENS1_38merge_sort_block_merge_config_selectorIffEEZZNS1_27merge_sort_block_merge_implIS3_N6thrust23THRUST_200600_302600_NS6detail15normal_iteratorINS8_10device_ptrIfEEEESD_jNS1_19radix_merge_compareILb0ELb0EfNS0_19identity_decomposerEEEEE10hipError_tT0_T1_T2_jT3_P12ihipStream_tbPNSt15iterator_traitsISI_E10value_typeEPNSO_ISJ_E10value_typeEPSK_NS1_7vsmem_tEENKUlT_SI_SJ_SK_E_clISD_PfSD_S10_EESH_SX_SI_SJ_SK_EUlSX_E0_NS1_11comp_targetILNS1_3genE3ELNS1_11target_archE908ELNS1_3gpuE7ELNS1_3repE0EEENS1_38merge_mergepath_config_static_selectorELNS0_4arch9wavefront6targetE1EEEvSJ_,"axG",@progbits,_ZN7rocprim17ROCPRIM_400000_NS6detail17trampoline_kernelINS0_14default_configENS1_38merge_sort_block_merge_config_selectorIffEEZZNS1_27merge_sort_block_merge_implIS3_N6thrust23THRUST_200600_302600_NS6detail15normal_iteratorINS8_10device_ptrIfEEEESD_jNS1_19radix_merge_compareILb0ELb0EfNS0_19identity_decomposerEEEEE10hipError_tT0_T1_T2_jT3_P12ihipStream_tbPNSt15iterator_traitsISI_E10value_typeEPNSO_ISJ_E10value_typeEPSK_NS1_7vsmem_tEENKUlT_SI_SJ_SK_E_clISD_PfSD_S10_EESH_SX_SI_SJ_SK_EUlSX_E0_NS1_11comp_targetILNS1_3genE3ELNS1_11target_archE908ELNS1_3gpuE7ELNS1_3repE0EEENS1_38merge_mergepath_config_static_selectorELNS0_4arch9wavefront6targetE1EEEvSJ_,comdat
	.protected	_ZN7rocprim17ROCPRIM_400000_NS6detail17trampoline_kernelINS0_14default_configENS1_38merge_sort_block_merge_config_selectorIffEEZZNS1_27merge_sort_block_merge_implIS3_N6thrust23THRUST_200600_302600_NS6detail15normal_iteratorINS8_10device_ptrIfEEEESD_jNS1_19radix_merge_compareILb0ELb0EfNS0_19identity_decomposerEEEEE10hipError_tT0_T1_T2_jT3_P12ihipStream_tbPNSt15iterator_traitsISI_E10value_typeEPNSO_ISJ_E10value_typeEPSK_NS1_7vsmem_tEENKUlT_SI_SJ_SK_E_clISD_PfSD_S10_EESH_SX_SI_SJ_SK_EUlSX_E0_NS1_11comp_targetILNS1_3genE3ELNS1_11target_archE908ELNS1_3gpuE7ELNS1_3repE0EEENS1_38merge_mergepath_config_static_selectorELNS0_4arch9wavefront6targetE1EEEvSJ_ ; -- Begin function _ZN7rocprim17ROCPRIM_400000_NS6detail17trampoline_kernelINS0_14default_configENS1_38merge_sort_block_merge_config_selectorIffEEZZNS1_27merge_sort_block_merge_implIS3_N6thrust23THRUST_200600_302600_NS6detail15normal_iteratorINS8_10device_ptrIfEEEESD_jNS1_19radix_merge_compareILb0ELb0EfNS0_19identity_decomposerEEEEE10hipError_tT0_T1_T2_jT3_P12ihipStream_tbPNSt15iterator_traitsISI_E10value_typeEPNSO_ISJ_E10value_typeEPSK_NS1_7vsmem_tEENKUlT_SI_SJ_SK_E_clISD_PfSD_S10_EESH_SX_SI_SJ_SK_EUlSX_E0_NS1_11comp_targetILNS1_3genE3ELNS1_11target_archE908ELNS1_3gpuE7ELNS1_3repE0EEENS1_38merge_mergepath_config_static_selectorELNS0_4arch9wavefront6targetE1EEEvSJ_
	.globl	_ZN7rocprim17ROCPRIM_400000_NS6detail17trampoline_kernelINS0_14default_configENS1_38merge_sort_block_merge_config_selectorIffEEZZNS1_27merge_sort_block_merge_implIS3_N6thrust23THRUST_200600_302600_NS6detail15normal_iteratorINS8_10device_ptrIfEEEESD_jNS1_19radix_merge_compareILb0ELb0EfNS0_19identity_decomposerEEEEE10hipError_tT0_T1_T2_jT3_P12ihipStream_tbPNSt15iterator_traitsISI_E10value_typeEPNSO_ISJ_E10value_typeEPSK_NS1_7vsmem_tEENKUlT_SI_SJ_SK_E_clISD_PfSD_S10_EESH_SX_SI_SJ_SK_EUlSX_E0_NS1_11comp_targetILNS1_3genE3ELNS1_11target_archE908ELNS1_3gpuE7ELNS1_3repE0EEENS1_38merge_mergepath_config_static_selectorELNS0_4arch9wavefront6targetE1EEEvSJ_
	.p2align	8
	.type	_ZN7rocprim17ROCPRIM_400000_NS6detail17trampoline_kernelINS0_14default_configENS1_38merge_sort_block_merge_config_selectorIffEEZZNS1_27merge_sort_block_merge_implIS3_N6thrust23THRUST_200600_302600_NS6detail15normal_iteratorINS8_10device_ptrIfEEEESD_jNS1_19radix_merge_compareILb0ELb0EfNS0_19identity_decomposerEEEEE10hipError_tT0_T1_T2_jT3_P12ihipStream_tbPNSt15iterator_traitsISI_E10value_typeEPNSO_ISJ_E10value_typeEPSK_NS1_7vsmem_tEENKUlT_SI_SJ_SK_E_clISD_PfSD_S10_EESH_SX_SI_SJ_SK_EUlSX_E0_NS1_11comp_targetILNS1_3genE3ELNS1_11target_archE908ELNS1_3gpuE7ELNS1_3repE0EEENS1_38merge_mergepath_config_static_selectorELNS0_4arch9wavefront6targetE1EEEvSJ_,@function
_ZN7rocprim17ROCPRIM_400000_NS6detail17trampoline_kernelINS0_14default_configENS1_38merge_sort_block_merge_config_selectorIffEEZZNS1_27merge_sort_block_merge_implIS3_N6thrust23THRUST_200600_302600_NS6detail15normal_iteratorINS8_10device_ptrIfEEEESD_jNS1_19radix_merge_compareILb0ELb0EfNS0_19identity_decomposerEEEEE10hipError_tT0_T1_T2_jT3_P12ihipStream_tbPNSt15iterator_traitsISI_E10value_typeEPNSO_ISJ_E10value_typeEPSK_NS1_7vsmem_tEENKUlT_SI_SJ_SK_E_clISD_PfSD_S10_EESH_SX_SI_SJ_SK_EUlSX_E0_NS1_11comp_targetILNS1_3genE3ELNS1_11target_archE908ELNS1_3gpuE7ELNS1_3repE0EEENS1_38merge_mergepath_config_static_selectorELNS0_4arch9wavefront6targetE1EEEvSJ_: ; @_ZN7rocprim17ROCPRIM_400000_NS6detail17trampoline_kernelINS0_14default_configENS1_38merge_sort_block_merge_config_selectorIffEEZZNS1_27merge_sort_block_merge_implIS3_N6thrust23THRUST_200600_302600_NS6detail15normal_iteratorINS8_10device_ptrIfEEEESD_jNS1_19radix_merge_compareILb0ELb0EfNS0_19identity_decomposerEEEEE10hipError_tT0_T1_T2_jT3_P12ihipStream_tbPNSt15iterator_traitsISI_E10value_typeEPNSO_ISJ_E10value_typeEPSK_NS1_7vsmem_tEENKUlT_SI_SJ_SK_E_clISD_PfSD_S10_EESH_SX_SI_SJ_SK_EUlSX_E0_NS1_11comp_targetILNS1_3genE3ELNS1_11target_archE908ELNS1_3gpuE7ELNS1_3repE0EEENS1_38merge_mergepath_config_static_selectorELNS0_4arch9wavefront6targetE1EEEvSJ_
; %bb.0:
	.section	.rodata,"a",@progbits
	.p2align	6, 0x0
	.amdhsa_kernel _ZN7rocprim17ROCPRIM_400000_NS6detail17trampoline_kernelINS0_14default_configENS1_38merge_sort_block_merge_config_selectorIffEEZZNS1_27merge_sort_block_merge_implIS3_N6thrust23THRUST_200600_302600_NS6detail15normal_iteratorINS8_10device_ptrIfEEEESD_jNS1_19radix_merge_compareILb0ELb0EfNS0_19identity_decomposerEEEEE10hipError_tT0_T1_T2_jT3_P12ihipStream_tbPNSt15iterator_traitsISI_E10value_typeEPNSO_ISJ_E10value_typeEPSK_NS1_7vsmem_tEENKUlT_SI_SJ_SK_E_clISD_PfSD_S10_EESH_SX_SI_SJ_SK_EUlSX_E0_NS1_11comp_targetILNS1_3genE3ELNS1_11target_archE908ELNS1_3gpuE7ELNS1_3repE0EEENS1_38merge_mergepath_config_static_selectorELNS0_4arch9wavefront6targetE1EEEvSJ_
		.amdhsa_group_segment_fixed_size 0
		.amdhsa_private_segment_fixed_size 0
		.amdhsa_kernarg_size 64
		.amdhsa_user_sgpr_count 2
		.amdhsa_user_sgpr_dispatch_ptr 0
		.amdhsa_user_sgpr_queue_ptr 0
		.amdhsa_user_sgpr_kernarg_segment_ptr 1
		.amdhsa_user_sgpr_dispatch_id 0
		.amdhsa_user_sgpr_kernarg_preload_length 0
		.amdhsa_user_sgpr_kernarg_preload_offset 0
		.amdhsa_user_sgpr_private_segment_size 0
		.amdhsa_uses_dynamic_stack 0
		.amdhsa_enable_private_segment 0
		.amdhsa_system_sgpr_workgroup_id_x 1
		.amdhsa_system_sgpr_workgroup_id_y 0
		.amdhsa_system_sgpr_workgroup_id_z 0
		.amdhsa_system_sgpr_workgroup_info 0
		.amdhsa_system_vgpr_workitem_id 0
		.amdhsa_next_free_vgpr 1
		.amdhsa_next_free_sgpr 0
		.amdhsa_accum_offset 4
		.amdhsa_reserve_vcc 0
		.amdhsa_float_round_mode_32 0
		.amdhsa_float_round_mode_16_64 0
		.amdhsa_float_denorm_mode_32 3
		.amdhsa_float_denorm_mode_16_64 3
		.amdhsa_dx10_clamp 1
		.amdhsa_ieee_mode 1
		.amdhsa_fp16_overflow 0
		.amdhsa_tg_split 0
		.amdhsa_exception_fp_ieee_invalid_op 0
		.amdhsa_exception_fp_denorm_src 0
		.amdhsa_exception_fp_ieee_div_zero 0
		.amdhsa_exception_fp_ieee_overflow 0
		.amdhsa_exception_fp_ieee_underflow 0
		.amdhsa_exception_fp_ieee_inexact 0
		.amdhsa_exception_int_div_zero 0
	.end_amdhsa_kernel
	.section	.text._ZN7rocprim17ROCPRIM_400000_NS6detail17trampoline_kernelINS0_14default_configENS1_38merge_sort_block_merge_config_selectorIffEEZZNS1_27merge_sort_block_merge_implIS3_N6thrust23THRUST_200600_302600_NS6detail15normal_iteratorINS8_10device_ptrIfEEEESD_jNS1_19radix_merge_compareILb0ELb0EfNS0_19identity_decomposerEEEEE10hipError_tT0_T1_T2_jT3_P12ihipStream_tbPNSt15iterator_traitsISI_E10value_typeEPNSO_ISJ_E10value_typeEPSK_NS1_7vsmem_tEENKUlT_SI_SJ_SK_E_clISD_PfSD_S10_EESH_SX_SI_SJ_SK_EUlSX_E0_NS1_11comp_targetILNS1_3genE3ELNS1_11target_archE908ELNS1_3gpuE7ELNS1_3repE0EEENS1_38merge_mergepath_config_static_selectorELNS0_4arch9wavefront6targetE1EEEvSJ_,"axG",@progbits,_ZN7rocprim17ROCPRIM_400000_NS6detail17trampoline_kernelINS0_14default_configENS1_38merge_sort_block_merge_config_selectorIffEEZZNS1_27merge_sort_block_merge_implIS3_N6thrust23THRUST_200600_302600_NS6detail15normal_iteratorINS8_10device_ptrIfEEEESD_jNS1_19radix_merge_compareILb0ELb0EfNS0_19identity_decomposerEEEEE10hipError_tT0_T1_T2_jT3_P12ihipStream_tbPNSt15iterator_traitsISI_E10value_typeEPNSO_ISJ_E10value_typeEPSK_NS1_7vsmem_tEENKUlT_SI_SJ_SK_E_clISD_PfSD_S10_EESH_SX_SI_SJ_SK_EUlSX_E0_NS1_11comp_targetILNS1_3genE3ELNS1_11target_archE908ELNS1_3gpuE7ELNS1_3repE0EEENS1_38merge_mergepath_config_static_selectorELNS0_4arch9wavefront6targetE1EEEvSJ_,comdat
.Lfunc_end257:
	.size	_ZN7rocprim17ROCPRIM_400000_NS6detail17trampoline_kernelINS0_14default_configENS1_38merge_sort_block_merge_config_selectorIffEEZZNS1_27merge_sort_block_merge_implIS3_N6thrust23THRUST_200600_302600_NS6detail15normal_iteratorINS8_10device_ptrIfEEEESD_jNS1_19radix_merge_compareILb0ELb0EfNS0_19identity_decomposerEEEEE10hipError_tT0_T1_T2_jT3_P12ihipStream_tbPNSt15iterator_traitsISI_E10value_typeEPNSO_ISJ_E10value_typeEPSK_NS1_7vsmem_tEENKUlT_SI_SJ_SK_E_clISD_PfSD_S10_EESH_SX_SI_SJ_SK_EUlSX_E0_NS1_11comp_targetILNS1_3genE3ELNS1_11target_archE908ELNS1_3gpuE7ELNS1_3repE0EEENS1_38merge_mergepath_config_static_selectorELNS0_4arch9wavefront6targetE1EEEvSJ_, .Lfunc_end257-_ZN7rocprim17ROCPRIM_400000_NS6detail17trampoline_kernelINS0_14default_configENS1_38merge_sort_block_merge_config_selectorIffEEZZNS1_27merge_sort_block_merge_implIS3_N6thrust23THRUST_200600_302600_NS6detail15normal_iteratorINS8_10device_ptrIfEEEESD_jNS1_19radix_merge_compareILb0ELb0EfNS0_19identity_decomposerEEEEE10hipError_tT0_T1_T2_jT3_P12ihipStream_tbPNSt15iterator_traitsISI_E10value_typeEPNSO_ISJ_E10value_typeEPSK_NS1_7vsmem_tEENKUlT_SI_SJ_SK_E_clISD_PfSD_S10_EESH_SX_SI_SJ_SK_EUlSX_E0_NS1_11comp_targetILNS1_3genE3ELNS1_11target_archE908ELNS1_3gpuE7ELNS1_3repE0EEENS1_38merge_mergepath_config_static_selectorELNS0_4arch9wavefront6targetE1EEEvSJ_
                                        ; -- End function
	.set _ZN7rocprim17ROCPRIM_400000_NS6detail17trampoline_kernelINS0_14default_configENS1_38merge_sort_block_merge_config_selectorIffEEZZNS1_27merge_sort_block_merge_implIS3_N6thrust23THRUST_200600_302600_NS6detail15normal_iteratorINS8_10device_ptrIfEEEESD_jNS1_19radix_merge_compareILb0ELb0EfNS0_19identity_decomposerEEEEE10hipError_tT0_T1_T2_jT3_P12ihipStream_tbPNSt15iterator_traitsISI_E10value_typeEPNSO_ISJ_E10value_typeEPSK_NS1_7vsmem_tEENKUlT_SI_SJ_SK_E_clISD_PfSD_S10_EESH_SX_SI_SJ_SK_EUlSX_E0_NS1_11comp_targetILNS1_3genE3ELNS1_11target_archE908ELNS1_3gpuE7ELNS1_3repE0EEENS1_38merge_mergepath_config_static_selectorELNS0_4arch9wavefront6targetE1EEEvSJ_.num_vgpr, 0
	.set _ZN7rocprim17ROCPRIM_400000_NS6detail17trampoline_kernelINS0_14default_configENS1_38merge_sort_block_merge_config_selectorIffEEZZNS1_27merge_sort_block_merge_implIS3_N6thrust23THRUST_200600_302600_NS6detail15normal_iteratorINS8_10device_ptrIfEEEESD_jNS1_19radix_merge_compareILb0ELb0EfNS0_19identity_decomposerEEEEE10hipError_tT0_T1_T2_jT3_P12ihipStream_tbPNSt15iterator_traitsISI_E10value_typeEPNSO_ISJ_E10value_typeEPSK_NS1_7vsmem_tEENKUlT_SI_SJ_SK_E_clISD_PfSD_S10_EESH_SX_SI_SJ_SK_EUlSX_E0_NS1_11comp_targetILNS1_3genE3ELNS1_11target_archE908ELNS1_3gpuE7ELNS1_3repE0EEENS1_38merge_mergepath_config_static_selectorELNS0_4arch9wavefront6targetE1EEEvSJ_.num_agpr, 0
	.set _ZN7rocprim17ROCPRIM_400000_NS6detail17trampoline_kernelINS0_14default_configENS1_38merge_sort_block_merge_config_selectorIffEEZZNS1_27merge_sort_block_merge_implIS3_N6thrust23THRUST_200600_302600_NS6detail15normal_iteratorINS8_10device_ptrIfEEEESD_jNS1_19radix_merge_compareILb0ELb0EfNS0_19identity_decomposerEEEEE10hipError_tT0_T1_T2_jT3_P12ihipStream_tbPNSt15iterator_traitsISI_E10value_typeEPNSO_ISJ_E10value_typeEPSK_NS1_7vsmem_tEENKUlT_SI_SJ_SK_E_clISD_PfSD_S10_EESH_SX_SI_SJ_SK_EUlSX_E0_NS1_11comp_targetILNS1_3genE3ELNS1_11target_archE908ELNS1_3gpuE7ELNS1_3repE0EEENS1_38merge_mergepath_config_static_selectorELNS0_4arch9wavefront6targetE1EEEvSJ_.numbered_sgpr, 0
	.set _ZN7rocprim17ROCPRIM_400000_NS6detail17trampoline_kernelINS0_14default_configENS1_38merge_sort_block_merge_config_selectorIffEEZZNS1_27merge_sort_block_merge_implIS3_N6thrust23THRUST_200600_302600_NS6detail15normal_iteratorINS8_10device_ptrIfEEEESD_jNS1_19radix_merge_compareILb0ELb0EfNS0_19identity_decomposerEEEEE10hipError_tT0_T1_T2_jT3_P12ihipStream_tbPNSt15iterator_traitsISI_E10value_typeEPNSO_ISJ_E10value_typeEPSK_NS1_7vsmem_tEENKUlT_SI_SJ_SK_E_clISD_PfSD_S10_EESH_SX_SI_SJ_SK_EUlSX_E0_NS1_11comp_targetILNS1_3genE3ELNS1_11target_archE908ELNS1_3gpuE7ELNS1_3repE0EEENS1_38merge_mergepath_config_static_selectorELNS0_4arch9wavefront6targetE1EEEvSJ_.num_named_barrier, 0
	.set _ZN7rocprim17ROCPRIM_400000_NS6detail17trampoline_kernelINS0_14default_configENS1_38merge_sort_block_merge_config_selectorIffEEZZNS1_27merge_sort_block_merge_implIS3_N6thrust23THRUST_200600_302600_NS6detail15normal_iteratorINS8_10device_ptrIfEEEESD_jNS1_19radix_merge_compareILb0ELb0EfNS0_19identity_decomposerEEEEE10hipError_tT0_T1_T2_jT3_P12ihipStream_tbPNSt15iterator_traitsISI_E10value_typeEPNSO_ISJ_E10value_typeEPSK_NS1_7vsmem_tEENKUlT_SI_SJ_SK_E_clISD_PfSD_S10_EESH_SX_SI_SJ_SK_EUlSX_E0_NS1_11comp_targetILNS1_3genE3ELNS1_11target_archE908ELNS1_3gpuE7ELNS1_3repE0EEENS1_38merge_mergepath_config_static_selectorELNS0_4arch9wavefront6targetE1EEEvSJ_.private_seg_size, 0
	.set _ZN7rocprim17ROCPRIM_400000_NS6detail17trampoline_kernelINS0_14default_configENS1_38merge_sort_block_merge_config_selectorIffEEZZNS1_27merge_sort_block_merge_implIS3_N6thrust23THRUST_200600_302600_NS6detail15normal_iteratorINS8_10device_ptrIfEEEESD_jNS1_19radix_merge_compareILb0ELb0EfNS0_19identity_decomposerEEEEE10hipError_tT0_T1_T2_jT3_P12ihipStream_tbPNSt15iterator_traitsISI_E10value_typeEPNSO_ISJ_E10value_typeEPSK_NS1_7vsmem_tEENKUlT_SI_SJ_SK_E_clISD_PfSD_S10_EESH_SX_SI_SJ_SK_EUlSX_E0_NS1_11comp_targetILNS1_3genE3ELNS1_11target_archE908ELNS1_3gpuE7ELNS1_3repE0EEENS1_38merge_mergepath_config_static_selectorELNS0_4arch9wavefront6targetE1EEEvSJ_.uses_vcc, 0
	.set _ZN7rocprim17ROCPRIM_400000_NS6detail17trampoline_kernelINS0_14default_configENS1_38merge_sort_block_merge_config_selectorIffEEZZNS1_27merge_sort_block_merge_implIS3_N6thrust23THRUST_200600_302600_NS6detail15normal_iteratorINS8_10device_ptrIfEEEESD_jNS1_19radix_merge_compareILb0ELb0EfNS0_19identity_decomposerEEEEE10hipError_tT0_T1_T2_jT3_P12ihipStream_tbPNSt15iterator_traitsISI_E10value_typeEPNSO_ISJ_E10value_typeEPSK_NS1_7vsmem_tEENKUlT_SI_SJ_SK_E_clISD_PfSD_S10_EESH_SX_SI_SJ_SK_EUlSX_E0_NS1_11comp_targetILNS1_3genE3ELNS1_11target_archE908ELNS1_3gpuE7ELNS1_3repE0EEENS1_38merge_mergepath_config_static_selectorELNS0_4arch9wavefront6targetE1EEEvSJ_.uses_flat_scratch, 0
	.set _ZN7rocprim17ROCPRIM_400000_NS6detail17trampoline_kernelINS0_14default_configENS1_38merge_sort_block_merge_config_selectorIffEEZZNS1_27merge_sort_block_merge_implIS3_N6thrust23THRUST_200600_302600_NS6detail15normal_iteratorINS8_10device_ptrIfEEEESD_jNS1_19radix_merge_compareILb0ELb0EfNS0_19identity_decomposerEEEEE10hipError_tT0_T1_T2_jT3_P12ihipStream_tbPNSt15iterator_traitsISI_E10value_typeEPNSO_ISJ_E10value_typeEPSK_NS1_7vsmem_tEENKUlT_SI_SJ_SK_E_clISD_PfSD_S10_EESH_SX_SI_SJ_SK_EUlSX_E0_NS1_11comp_targetILNS1_3genE3ELNS1_11target_archE908ELNS1_3gpuE7ELNS1_3repE0EEENS1_38merge_mergepath_config_static_selectorELNS0_4arch9wavefront6targetE1EEEvSJ_.has_dyn_sized_stack, 0
	.set _ZN7rocprim17ROCPRIM_400000_NS6detail17trampoline_kernelINS0_14default_configENS1_38merge_sort_block_merge_config_selectorIffEEZZNS1_27merge_sort_block_merge_implIS3_N6thrust23THRUST_200600_302600_NS6detail15normal_iteratorINS8_10device_ptrIfEEEESD_jNS1_19radix_merge_compareILb0ELb0EfNS0_19identity_decomposerEEEEE10hipError_tT0_T1_T2_jT3_P12ihipStream_tbPNSt15iterator_traitsISI_E10value_typeEPNSO_ISJ_E10value_typeEPSK_NS1_7vsmem_tEENKUlT_SI_SJ_SK_E_clISD_PfSD_S10_EESH_SX_SI_SJ_SK_EUlSX_E0_NS1_11comp_targetILNS1_3genE3ELNS1_11target_archE908ELNS1_3gpuE7ELNS1_3repE0EEENS1_38merge_mergepath_config_static_selectorELNS0_4arch9wavefront6targetE1EEEvSJ_.has_recursion, 0
	.set _ZN7rocprim17ROCPRIM_400000_NS6detail17trampoline_kernelINS0_14default_configENS1_38merge_sort_block_merge_config_selectorIffEEZZNS1_27merge_sort_block_merge_implIS3_N6thrust23THRUST_200600_302600_NS6detail15normal_iteratorINS8_10device_ptrIfEEEESD_jNS1_19radix_merge_compareILb0ELb0EfNS0_19identity_decomposerEEEEE10hipError_tT0_T1_T2_jT3_P12ihipStream_tbPNSt15iterator_traitsISI_E10value_typeEPNSO_ISJ_E10value_typeEPSK_NS1_7vsmem_tEENKUlT_SI_SJ_SK_E_clISD_PfSD_S10_EESH_SX_SI_SJ_SK_EUlSX_E0_NS1_11comp_targetILNS1_3genE3ELNS1_11target_archE908ELNS1_3gpuE7ELNS1_3repE0EEENS1_38merge_mergepath_config_static_selectorELNS0_4arch9wavefront6targetE1EEEvSJ_.has_indirect_call, 0
	.section	.AMDGPU.csdata,"",@progbits
; Kernel info:
; codeLenInByte = 0
; TotalNumSgprs: 6
; NumVgprs: 0
; NumAgprs: 0
; TotalNumVgprs: 0
; ScratchSize: 0
; MemoryBound: 0
; FloatMode: 240
; IeeeMode: 1
; LDSByteSize: 0 bytes/workgroup (compile time only)
; SGPRBlocks: 0
; VGPRBlocks: 0
; NumSGPRsForWavesPerEU: 6
; NumVGPRsForWavesPerEU: 1
; AccumOffset: 4
; Occupancy: 8
; WaveLimiterHint : 0
; COMPUTE_PGM_RSRC2:SCRATCH_EN: 0
; COMPUTE_PGM_RSRC2:USER_SGPR: 2
; COMPUTE_PGM_RSRC2:TRAP_HANDLER: 0
; COMPUTE_PGM_RSRC2:TGID_X_EN: 1
; COMPUTE_PGM_RSRC2:TGID_Y_EN: 0
; COMPUTE_PGM_RSRC2:TGID_Z_EN: 0
; COMPUTE_PGM_RSRC2:TIDIG_COMP_CNT: 0
; COMPUTE_PGM_RSRC3_GFX90A:ACCUM_OFFSET: 0
; COMPUTE_PGM_RSRC3_GFX90A:TG_SPLIT: 0
	.section	.text._ZN7rocprim17ROCPRIM_400000_NS6detail17trampoline_kernelINS0_14default_configENS1_38merge_sort_block_merge_config_selectorIffEEZZNS1_27merge_sort_block_merge_implIS3_N6thrust23THRUST_200600_302600_NS6detail15normal_iteratorINS8_10device_ptrIfEEEESD_jNS1_19radix_merge_compareILb0ELb0EfNS0_19identity_decomposerEEEEE10hipError_tT0_T1_T2_jT3_P12ihipStream_tbPNSt15iterator_traitsISI_E10value_typeEPNSO_ISJ_E10value_typeEPSK_NS1_7vsmem_tEENKUlT_SI_SJ_SK_E_clISD_PfSD_S10_EESH_SX_SI_SJ_SK_EUlSX_E0_NS1_11comp_targetILNS1_3genE2ELNS1_11target_archE906ELNS1_3gpuE6ELNS1_3repE0EEENS1_38merge_mergepath_config_static_selectorELNS0_4arch9wavefront6targetE1EEEvSJ_,"axG",@progbits,_ZN7rocprim17ROCPRIM_400000_NS6detail17trampoline_kernelINS0_14default_configENS1_38merge_sort_block_merge_config_selectorIffEEZZNS1_27merge_sort_block_merge_implIS3_N6thrust23THRUST_200600_302600_NS6detail15normal_iteratorINS8_10device_ptrIfEEEESD_jNS1_19radix_merge_compareILb0ELb0EfNS0_19identity_decomposerEEEEE10hipError_tT0_T1_T2_jT3_P12ihipStream_tbPNSt15iterator_traitsISI_E10value_typeEPNSO_ISJ_E10value_typeEPSK_NS1_7vsmem_tEENKUlT_SI_SJ_SK_E_clISD_PfSD_S10_EESH_SX_SI_SJ_SK_EUlSX_E0_NS1_11comp_targetILNS1_3genE2ELNS1_11target_archE906ELNS1_3gpuE6ELNS1_3repE0EEENS1_38merge_mergepath_config_static_selectorELNS0_4arch9wavefront6targetE1EEEvSJ_,comdat
	.protected	_ZN7rocprim17ROCPRIM_400000_NS6detail17trampoline_kernelINS0_14default_configENS1_38merge_sort_block_merge_config_selectorIffEEZZNS1_27merge_sort_block_merge_implIS3_N6thrust23THRUST_200600_302600_NS6detail15normal_iteratorINS8_10device_ptrIfEEEESD_jNS1_19radix_merge_compareILb0ELb0EfNS0_19identity_decomposerEEEEE10hipError_tT0_T1_T2_jT3_P12ihipStream_tbPNSt15iterator_traitsISI_E10value_typeEPNSO_ISJ_E10value_typeEPSK_NS1_7vsmem_tEENKUlT_SI_SJ_SK_E_clISD_PfSD_S10_EESH_SX_SI_SJ_SK_EUlSX_E0_NS1_11comp_targetILNS1_3genE2ELNS1_11target_archE906ELNS1_3gpuE6ELNS1_3repE0EEENS1_38merge_mergepath_config_static_selectorELNS0_4arch9wavefront6targetE1EEEvSJ_ ; -- Begin function _ZN7rocprim17ROCPRIM_400000_NS6detail17trampoline_kernelINS0_14default_configENS1_38merge_sort_block_merge_config_selectorIffEEZZNS1_27merge_sort_block_merge_implIS3_N6thrust23THRUST_200600_302600_NS6detail15normal_iteratorINS8_10device_ptrIfEEEESD_jNS1_19radix_merge_compareILb0ELb0EfNS0_19identity_decomposerEEEEE10hipError_tT0_T1_T2_jT3_P12ihipStream_tbPNSt15iterator_traitsISI_E10value_typeEPNSO_ISJ_E10value_typeEPSK_NS1_7vsmem_tEENKUlT_SI_SJ_SK_E_clISD_PfSD_S10_EESH_SX_SI_SJ_SK_EUlSX_E0_NS1_11comp_targetILNS1_3genE2ELNS1_11target_archE906ELNS1_3gpuE6ELNS1_3repE0EEENS1_38merge_mergepath_config_static_selectorELNS0_4arch9wavefront6targetE1EEEvSJ_
	.globl	_ZN7rocprim17ROCPRIM_400000_NS6detail17trampoline_kernelINS0_14default_configENS1_38merge_sort_block_merge_config_selectorIffEEZZNS1_27merge_sort_block_merge_implIS3_N6thrust23THRUST_200600_302600_NS6detail15normal_iteratorINS8_10device_ptrIfEEEESD_jNS1_19radix_merge_compareILb0ELb0EfNS0_19identity_decomposerEEEEE10hipError_tT0_T1_T2_jT3_P12ihipStream_tbPNSt15iterator_traitsISI_E10value_typeEPNSO_ISJ_E10value_typeEPSK_NS1_7vsmem_tEENKUlT_SI_SJ_SK_E_clISD_PfSD_S10_EESH_SX_SI_SJ_SK_EUlSX_E0_NS1_11comp_targetILNS1_3genE2ELNS1_11target_archE906ELNS1_3gpuE6ELNS1_3repE0EEENS1_38merge_mergepath_config_static_selectorELNS0_4arch9wavefront6targetE1EEEvSJ_
	.p2align	8
	.type	_ZN7rocprim17ROCPRIM_400000_NS6detail17trampoline_kernelINS0_14default_configENS1_38merge_sort_block_merge_config_selectorIffEEZZNS1_27merge_sort_block_merge_implIS3_N6thrust23THRUST_200600_302600_NS6detail15normal_iteratorINS8_10device_ptrIfEEEESD_jNS1_19radix_merge_compareILb0ELb0EfNS0_19identity_decomposerEEEEE10hipError_tT0_T1_T2_jT3_P12ihipStream_tbPNSt15iterator_traitsISI_E10value_typeEPNSO_ISJ_E10value_typeEPSK_NS1_7vsmem_tEENKUlT_SI_SJ_SK_E_clISD_PfSD_S10_EESH_SX_SI_SJ_SK_EUlSX_E0_NS1_11comp_targetILNS1_3genE2ELNS1_11target_archE906ELNS1_3gpuE6ELNS1_3repE0EEENS1_38merge_mergepath_config_static_selectorELNS0_4arch9wavefront6targetE1EEEvSJ_,@function
_ZN7rocprim17ROCPRIM_400000_NS6detail17trampoline_kernelINS0_14default_configENS1_38merge_sort_block_merge_config_selectorIffEEZZNS1_27merge_sort_block_merge_implIS3_N6thrust23THRUST_200600_302600_NS6detail15normal_iteratorINS8_10device_ptrIfEEEESD_jNS1_19radix_merge_compareILb0ELb0EfNS0_19identity_decomposerEEEEE10hipError_tT0_T1_T2_jT3_P12ihipStream_tbPNSt15iterator_traitsISI_E10value_typeEPNSO_ISJ_E10value_typeEPSK_NS1_7vsmem_tEENKUlT_SI_SJ_SK_E_clISD_PfSD_S10_EESH_SX_SI_SJ_SK_EUlSX_E0_NS1_11comp_targetILNS1_3genE2ELNS1_11target_archE906ELNS1_3gpuE6ELNS1_3repE0EEENS1_38merge_mergepath_config_static_selectorELNS0_4arch9wavefront6targetE1EEEvSJ_: ; @_ZN7rocprim17ROCPRIM_400000_NS6detail17trampoline_kernelINS0_14default_configENS1_38merge_sort_block_merge_config_selectorIffEEZZNS1_27merge_sort_block_merge_implIS3_N6thrust23THRUST_200600_302600_NS6detail15normal_iteratorINS8_10device_ptrIfEEEESD_jNS1_19radix_merge_compareILb0ELb0EfNS0_19identity_decomposerEEEEE10hipError_tT0_T1_T2_jT3_P12ihipStream_tbPNSt15iterator_traitsISI_E10value_typeEPNSO_ISJ_E10value_typeEPSK_NS1_7vsmem_tEENKUlT_SI_SJ_SK_E_clISD_PfSD_S10_EESH_SX_SI_SJ_SK_EUlSX_E0_NS1_11comp_targetILNS1_3genE2ELNS1_11target_archE906ELNS1_3gpuE6ELNS1_3repE0EEENS1_38merge_mergepath_config_static_selectorELNS0_4arch9wavefront6targetE1EEEvSJ_
; %bb.0:
	.section	.rodata,"a",@progbits
	.p2align	6, 0x0
	.amdhsa_kernel _ZN7rocprim17ROCPRIM_400000_NS6detail17trampoline_kernelINS0_14default_configENS1_38merge_sort_block_merge_config_selectorIffEEZZNS1_27merge_sort_block_merge_implIS3_N6thrust23THRUST_200600_302600_NS6detail15normal_iteratorINS8_10device_ptrIfEEEESD_jNS1_19radix_merge_compareILb0ELb0EfNS0_19identity_decomposerEEEEE10hipError_tT0_T1_T2_jT3_P12ihipStream_tbPNSt15iterator_traitsISI_E10value_typeEPNSO_ISJ_E10value_typeEPSK_NS1_7vsmem_tEENKUlT_SI_SJ_SK_E_clISD_PfSD_S10_EESH_SX_SI_SJ_SK_EUlSX_E0_NS1_11comp_targetILNS1_3genE2ELNS1_11target_archE906ELNS1_3gpuE6ELNS1_3repE0EEENS1_38merge_mergepath_config_static_selectorELNS0_4arch9wavefront6targetE1EEEvSJ_
		.amdhsa_group_segment_fixed_size 0
		.amdhsa_private_segment_fixed_size 0
		.amdhsa_kernarg_size 64
		.amdhsa_user_sgpr_count 2
		.amdhsa_user_sgpr_dispatch_ptr 0
		.amdhsa_user_sgpr_queue_ptr 0
		.amdhsa_user_sgpr_kernarg_segment_ptr 1
		.amdhsa_user_sgpr_dispatch_id 0
		.amdhsa_user_sgpr_kernarg_preload_length 0
		.amdhsa_user_sgpr_kernarg_preload_offset 0
		.amdhsa_user_sgpr_private_segment_size 0
		.amdhsa_uses_dynamic_stack 0
		.amdhsa_enable_private_segment 0
		.amdhsa_system_sgpr_workgroup_id_x 1
		.amdhsa_system_sgpr_workgroup_id_y 0
		.amdhsa_system_sgpr_workgroup_id_z 0
		.amdhsa_system_sgpr_workgroup_info 0
		.amdhsa_system_vgpr_workitem_id 0
		.amdhsa_next_free_vgpr 1
		.amdhsa_next_free_sgpr 0
		.amdhsa_accum_offset 4
		.amdhsa_reserve_vcc 0
		.amdhsa_float_round_mode_32 0
		.amdhsa_float_round_mode_16_64 0
		.amdhsa_float_denorm_mode_32 3
		.amdhsa_float_denorm_mode_16_64 3
		.amdhsa_dx10_clamp 1
		.amdhsa_ieee_mode 1
		.amdhsa_fp16_overflow 0
		.amdhsa_tg_split 0
		.amdhsa_exception_fp_ieee_invalid_op 0
		.amdhsa_exception_fp_denorm_src 0
		.amdhsa_exception_fp_ieee_div_zero 0
		.amdhsa_exception_fp_ieee_overflow 0
		.amdhsa_exception_fp_ieee_underflow 0
		.amdhsa_exception_fp_ieee_inexact 0
		.amdhsa_exception_int_div_zero 0
	.end_amdhsa_kernel
	.section	.text._ZN7rocprim17ROCPRIM_400000_NS6detail17trampoline_kernelINS0_14default_configENS1_38merge_sort_block_merge_config_selectorIffEEZZNS1_27merge_sort_block_merge_implIS3_N6thrust23THRUST_200600_302600_NS6detail15normal_iteratorINS8_10device_ptrIfEEEESD_jNS1_19radix_merge_compareILb0ELb0EfNS0_19identity_decomposerEEEEE10hipError_tT0_T1_T2_jT3_P12ihipStream_tbPNSt15iterator_traitsISI_E10value_typeEPNSO_ISJ_E10value_typeEPSK_NS1_7vsmem_tEENKUlT_SI_SJ_SK_E_clISD_PfSD_S10_EESH_SX_SI_SJ_SK_EUlSX_E0_NS1_11comp_targetILNS1_3genE2ELNS1_11target_archE906ELNS1_3gpuE6ELNS1_3repE0EEENS1_38merge_mergepath_config_static_selectorELNS0_4arch9wavefront6targetE1EEEvSJ_,"axG",@progbits,_ZN7rocprim17ROCPRIM_400000_NS6detail17trampoline_kernelINS0_14default_configENS1_38merge_sort_block_merge_config_selectorIffEEZZNS1_27merge_sort_block_merge_implIS3_N6thrust23THRUST_200600_302600_NS6detail15normal_iteratorINS8_10device_ptrIfEEEESD_jNS1_19radix_merge_compareILb0ELb0EfNS0_19identity_decomposerEEEEE10hipError_tT0_T1_T2_jT3_P12ihipStream_tbPNSt15iterator_traitsISI_E10value_typeEPNSO_ISJ_E10value_typeEPSK_NS1_7vsmem_tEENKUlT_SI_SJ_SK_E_clISD_PfSD_S10_EESH_SX_SI_SJ_SK_EUlSX_E0_NS1_11comp_targetILNS1_3genE2ELNS1_11target_archE906ELNS1_3gpuE6ELNS1_3repE0EEENS1_38merge_mergepath_config_static_selectorELNS0_4arch9wavefront6targetE1EEEvSJ_,comdat
.Lfunc_end258:
	.size	_ZN7rocprim17ROCPRIM_400000_NS6detail17trampoline_kernelINS0_14default_configENS1_38merge_sort_block_merge_config_selectorIffEEZZNS1_27merge_sort_block_merge_implIS3_N6thrust23THRUST_200600_302600_NS6detail15normal_iteratorINS8_10device_ptrIfEEEESD_jNS1_19radix_merge_compareILb0ELb0EfNS0_19identity_decomposerEEEEE10hipError_tT0_T1_T2_jT3_P12ihipStream_tbPNSt15iterator_traitsISI_E10value_typeEPNSO_ISJ_E10value_typeEPSK_NS1_7vsmem_tEENKUlT_SI_SJ_SK_E_clISD_PfSD_S10_EESH_SX_SI_SJ_SK_EUlSX_E0_NS1_11comp_targetILNS1_3genE2ELNS1_11target_archE906ELNS1_3gpuE6ELNS1_3repE0EEENS1_38merge_mergepath_config_static_selectorELNS0_4arch9wavefront6targetE1EEEvSJ_, .Lfunc_end258-_ZN7rocprim17ROCPRIM_400000_NS6detail17trampoline_kernelINS0_14default_configENS1_38merge_sort_block_merge_config_selectorIffEEZZNS1_27merge_sort_block_merge_implIS3_N6thrust23THRUST_200600_302600_NS6detail15normal_iteratorINS8_10device_ptrIfEEEESD_jNS1_19radix_merge_compareILb0ELb0EfNS0_19identity_decomposerEEEEE10hipError_tT0_T1_T2_jT3_P12ihipStream_tbPNSt15iterator_traitsISI_E10value_typeEPNSO_ISJ_E10value_typeEPSK_NS1_7vsmem_tEENKUlT_SI_SJ_SK_E_clISD_PfSD_S10_EESH_SX_SI_SJ_SK_EUlSX_E0_NS1_11comp_targetILNS1_3genE2ELNS1_11target_archE906ELNS1_3gpuE6ELNS1_3repE0EEENS1_38merge_mergepath_config_static_selectorELNS0_4arch9wavefront6targetE1EEEvSJ_
                                        ; -- End function
	.set _ZN7rocprim17ROCPRIM_400000_NS6detail17trampoline_kernelINS0_14default_configENS1_38merge_sort_block_merge_config_selectorIffEEZZNS1_27merge_sort_block_merge_implIS3_N6thrust23THRUST_200600_302600_NS6detail15normal_iteratorINS8_10device_ptrIfEEEESD_jNS1_19radix_merge_compareILb0ELb0EfNS0_19identity_decomposerEEEEE10hipError_tT0_T1_T2_jT3_P12ihipStream_tbPNSt15iterator_traitsISI_E10value_typeEPNSO_ISJ_E10value_typeEPSK_NS1_7vsmem_tEENKUlT_SI_SJ_SK_E_clISD_PfSD_S10_EESH_SX_SI_SJ_SK_EUlSX_E0_NS1_11comp_targetILNS1_3genE2ELNS1_11target_archE906ELNS1_3gpuE6ELNS1_3repE0EEENS1_38merge_mergepath_config_static_selectorELNS0_4arch9wavefront6targetE1EEEvSJ_.num_vgpr, 0
	.set _ZN7rocprim17ROCPRIM_400000_NS6detail17trampoline_kernelINS0_14default_configENS1_38merge_sort_block_merge_config_selectorIffEEZZNS1_27merge_sort_block_merge_implIS3_N6thrust23THRUST_200600_302600_NS6detail15normal_iteratorINS8_10device_ptrIfEEEESD_jNS1_19radix_merge_compareILb0ELb0EfNS0_19identity_decomposerEEEEE10hipError_tT0_T1_T2_jT3_P12ihipStream_tbPNSt15iterator_traitsISI_E10value_typeEPNSO_ISJ_E10value_typeEPSK_NS1_7vsmem_tEENKUlT_SI_SJ_SK_E_clISD_PfSD_S10_EESH_SX_SI_SJ_SK_EUlSX_E0_NS1_11comp_targetILNS1_3genE2ELNS1_11target_archE906ELNS1_3gpuE6ELNS1_3repE0EEENS1_38merge_mergepath_config_static_selectorELNS0_4arch9wavefront6targetE1EEEvSJ_.num_agpr, 0
	.set _ZN7rocprim17ROCPRIM_400000_NS6detail17trampoline_kernelINS0_14default_configENS1_38merge_sort_block_merge_config_selectorIffEEZZNS1_27merge_sort_block_merge_implIS3_N6thrust23THRUST_200600_302600_NS6detail15normal_iteratorINS8_10device_ptrIfEEEESD_jNS1_19radix_merge_compareILb0ELb0EfNS0_19identity_decomposerEEEEE10hipError_tT0_T1_T2_jT3_P12ihipStream_tbPNSt15iterator_traitsISI_E10value_typeEPNSO_ISJ_E10value_typeEPSK_NS1_7vsmem_tEENKUlT_SI_SJ_SK_E_clISD_PfSD_S10_EESH_SX_SI_SJ_SK_EUlSX_E0_NS1_11comp_targetILNS1_3genE2ELNS1_11target_archE906ELNS1_3gpuE6ELNS1_3repE0EEENS1_38merge_mergepath_config_static_selectorELNS0_4arch9wavefront6targetE1EEEvSJ_.numbered_sgpr, 0
	.set _ZN7rocprim17ROCPRIM_400000_NS6detail17trampoline_kernelINS0_14default_configENS1_38merge_sort_block_merge_config_selectorIffEEZZNS1_27merge_sort_block_merge_implIS3_N6thrust23THRUST_200600_302600_NS6detail15normal_iteratorINS8_10device_ptrIfEEEESD_jNS1_19radix_merge_compareILb0ELb0EfNS0_19identity_decomposerEEEEE10hipError_tT0_T1_T2_jT3_P12ihipStream_tbPNSt15iterator_traitsISI_E10value_typeEPNSO_ISJ_E10value_typeEPSK_NS1_7vsmem_tEENKUlT_SI_SJ_SK_E_clISD_PfSD_S10_EESH_SX_SI_SJ_SK_EUlSX_E0_NS1_11comp_targetILNS1_3genE2ELNS1_11target_archE906ELNS1_3gpuE6ELNS1_3repE0EEENS1_38merge_mergepath_config_static_selectorELNS0_4arch9wavefront6targetE1EEEvSJ_.num_named_barrier, 0
	.set _ZN7rocprim17ROCPRIM_400000_NS6detail17trampoline_kernelINS0_14default_configENS1_38merge_sort_block_merge_config_selectorIffEEZZNS1_27merge_sort_block_merge_implIS3_N6thrust23THRUST_200600_302600_NS6detail15normal_iteratorINS8_10device_ptrIfEEEESD_jNS1_19radix_merge_compareILb0ELb0EfNS0_19identity_decomposerEEEEE10hipError_tT0_T1_T2_jT3_P12ihipStream_tbPNSt15iterator_traitsISI_E10value_typeEPNSO_ISJ_E10value_typeEPSK_NS1_7vsmem_tEENKUlT_SI_SJ_SK_E_clISD_PfSD_S10_EESH_SX_SI_SJ_SK_EUlSX_E0_NS1_11comp_targetILNS1_3genE2ELNS1_11target_archE906ELNS1_3gpuE6ELNS1_3repE0EEENS1_38merge_mergepath_config_static_selectorELNS0_4arch9wavefront6targetE1EEEvSJ_.private_seg_size, 0
	.set _ZN7rocprim17ROCPRIM_400000_NS6detail17trampoline_kernelINS0_14default_configENS1_38merge_sort_block_merge_config_selectorIffEEZZNS1_27merge_sort_block_merge_implIS3_N6thrust23THRUST_200600_302600_NS6detail15normal_iteratorINS8_10device_ptrIfEEEESD_jNS1_19radix_merge_compareILb0ELb0EfNS0_19identity_decomposerEEEEE10hipError_tT0_T1_T2_jT3_P12ihipStream_tbPNSt15iterator_traitsISI_E10value_typeEPNSO_ISJ_E10value_typeEPSK_NS1_7vsmem_tEENKUlT_SI_SJ_SK_E_clISD_PfSD_S10_EESH_SX_SI_SJ_SK_EUlSX_E0_NS1_11comp_targetILNS1_3genE2ELNS1_11target_archE906ELNS1_3gpuE6ELNS1_3repE0EEENS1_38merge_mergepath_config_static_selectorELNS0_4arch9wavefront6targetE1EEEvSJ_.uses_vcc, 0
	.set _ZN7rocprim17ROCPRIM_400000_NS6detail17trampoline_kernelINS0_14default_configENS1_38merge_sort_block_merge_config_selectorIffEEZZNS1_27merge_sort_block_merge_implIS3_N6thrust23THRUST_200600_302600_NS6detail15normal_iteratorINS8_10device_ptrIfEEEESD_jNS1_19radix_merge_compareILb0ELb0EfNS0_19identity_decomposerEEEEE10hipError_tT0_T1_T2_jT3_P12ihipStream_tbPNSt15iterator_traitsISI_E10value_typeEPNSO_ISJ_E10value_typeEPSK_NS1_7vsmem_tEENKUlT_SI_SJ_SK_E_clISD_PfSD_S10_EESH_SX_SI_SJ_SK_EUlSX_E0_NS1_11comp_targetILNS1_3genE2ELNS1_11target_archE906ELNS1_3gpuE6ELNS1_3repE0EEENS1_38merge_mergepath_config_static_selectorELNS0_4arch9wavefront6targetE1EEEvSJ_.uses_flat_scratch, 0
	.set _ZN7rocprim17ROCPRIM_400000_NS6detail17trampoline_kernelINS0_14default_configENS1_38merge_sort_block_merge_config_selectorIffEEZZNS1_27merge_sort_block_merge_implIS3_N6thrust23THRUST_200600_302600_NS6detail15normal_iteratorINS8_10device_ptrIfEEEESD_jNS1_19radix_merge_compareILb0ELb0EfNS0_19identity_decomposerEEEEE10hipError_tT0_T1_T2_jT3_P12ihipStream_tbPNSt15iterator_traitsISI_E10value_typeEPNSO_ISJ_E10value_typeEPSK_NS1_7vsmem_tEENKUlT_SI_SJ_SK_E_clISD_PfSD_S10_EESH_SX_SI_SJ_SK_EUlSX_E0_NS1_11comp_targetILNS1_3genE2ELNS1_11target_archE906ELNS1_3gpuE6ELNS1_3repE0EEENS1_38merge_mergepath_config_static_selectorELNS0_4arch9wavefront6targetE1EEEvSJ_.has_dyn_sized_stack, 0
	.set _ZN7rocprim17ROCPRIM_400000_NS6detail17trampoline_kernelINS0_14default_configENS1_38merge_sort_block_merge_config_selectorIffEEZZNS1_27merge_sort_block_merge_implIS3_N6thrust23THRUST_200600_302600_NS6detail15normal_iteratorINS8_10device_ptrIfEEEESD_jNS1_19radix_merge_compareILb0ELb0EfNS0_19identity_decomposerEEEEE10hipError_tT0_T1_T2_jT3_P12ihipStream_tbPNSt15iterator_traitsISI_E10value_typeEPNSO_ISJ_E10value_typeEPSK_NS1_7vsmem_tEENKUlT_SI_SJ_SK_E_clISD_PfSD_S10_EESH_SX_SI_SJ_SK_EUlSX_E0_NS1_11comp_targetILNS1_3genE2ELNS1_11target_archE906ELNS1_3gpuE6ELNS1_3repE0EEENS1_38merge_mergepath_config_static_selectorELNS0_4arch9wavefront6targetE1EEEvSJ_.has_recursion, 0
	.set _ZN7rocprim17ROCPRIM_400000_NS6detail17trampoline_kernelINS0_14default_configENS1_38merge_sort_block_merge_config_selectorIffEEZZNS1_27merge_sort_block_merge_implIS3_N6thrust23THRUST_200600_302600_NS6detail15normal_iteratorINS8_10device_ptrIfEEEESD_jNS1_19radix_merge_compareILb0ELb0EfNS0_19identity_decomposerEEEEE10hipError_tT0_T1_T2_jT3_P12ihipStream_tbPNSt15iterator_traitsISI_E10value_typeEPNSO_ISJ_E10value_typeEPSK_NS1_7vsmem_tEENKUlT_SI_SJ_SK_E_clISD_PfSD_S10_EESH_SX_SI_SJ_SK_EUlSX_E0_NS1_11comp_targetILNS1_3genE2ELNS1_11target_archE906ELNS1_3gpuE6ELNS1_3repE0EEENS1_38merge_mergepath_config_static_selectorELNS0_4arch9wavefront6targetE1EEEvSJ_.has_indirect_call, 0
	.section	.AMDGPU.csdata,"",@progbits
; Kernel info:
; codeLenInByte = 0
; TotalNumSgprs: 6
; NumVgprs: 0
; NumAgprs: 0
; TotalNumVgprs: 0
; ScratchSize: 0
; MemoryBound: 0
; FloatMode: 240
; IeeeMode: 1
; LDSByteSize: 0 bytes/workgroup (compile time only)
; SGPRBlocks: 0
; VGPRBlocks: 0
; NumSGPRsForWavesPerEU: 6
; NumVGPRsForWavesPerEU: 1
; AccumOffset: 4
; Occupancy: 8
; WaveLimiterHint : 0
; COMPUTE_PGM_RSRC2:SCRATCH_EN: 0
; COMPUTE_PGM_RSRC2:USER_SGPR: 2
; COMPUTE_PGM_RSRC2:TRAP_HANDLER: 0
; COMPUTE_PGM_RSRC2:TGID_X_EN: 1
; COMPUTE_PGM_RSRC2:TGID_Y_EN: 0
; COMPUTE_PGM_RSRC2:TGID_Z_EN: 0
; COMPUTE_PGM_RSRC2:TIDIG_COMP_CNT: 0
; COMPUTE_PGM_RSRC3_GFX90A:ACCUM_OFFSET: 0
; COMPUTE_PGM_RSRC3_GFX90A:TG_SPLIT: 0
	.section	.text._ZN7rocprim17ROCPRIM_400000_NS6detail17trampoline_kernelINS0_14default_configENS1_38merge_sort_block_merge_config_selectorIffEEZZNS1_27merge_sort_block_merge_implIS3_N6thrust23THRUST_200600_302600_NS6detail15normal_iteratorINS8_10device_ptrIfEEEESD_jNS1_19radix_merge_compareILb0ELb0EfNS0_19identity_decomposerEEEEE10hipError_tT0_T1_T2_jT3_P12ihipStream_tbPNSt15iterator_traitsISI_E10value_typeEPNSO_ISJ_E10value_typeEPSK_NS1_7vsmem_tEENKUlT_SI_SJ_SK_E_clISD_PfSD_S10_EESH_SX_SI_SJ_SK_EUlSX_E0_NS1_11comp_targetILNS1_3genE9ELNS1_11target_archE1100ELNS1_3gpuE3ELNS1_3repE0EEENS1_38merge_mergepath_config_static_selectorELNS0_4arch9wavefront6targetE1EEEvSJ_,"axG",@progbits,_ZN7rocprim17ROCPRIM_400000_NS6detail17trampoline_kernelINS0_14default_configENS1_38merge_sort_block_merge_config_selectorIffEEZZNS1_27merge_sort_block_merge_implIS3_N6thrust23THRUST_200600_302600_NS6detail15normal_iteratorINS8_10device_ptrIfEEEESD_jNS1_19radix_merge_compareILb0ELb0EfNS0_19identity_decomposerEEEEE10hipError_tT0_T1_T2_jT3_P12ihipStream_tbPNSt15iterator_traitsISI_E10value_typeEPNSO_ISJ_E10value_typeEPSK_NS1_7vsmem_tEENKUlT_SI_SJ_SK_E_clISD_PfSD_S10_EESH_SX_SI_SJ_SK_EUlSX_E0_NS1_11comp_targetILNS1_3genE9ELNS1_11target_archE1100ELNS1_3gpuE3ELNS1_3repE0EEENS1_38merge_mergepath_config_static_selectorELNS0_4arch9wavefront6targetE1EEEvSJ_,comdat
	.protected	_ZN7rocprim17ROCPRIM_400000_NS6detail17trampoline_kernelINS0_14default_configENS1_38merge_sort_block_merge_config_selectorIffEEZZNS1_27merge_sort_block_merge_implIS3_N6thrust23THRUST_200600_302600_NS6detail15normal_iteratorINS8_10device_ptrIfEEEESD_jNS1_19radix_merge_compareILb0ELb0EfNS0_19identity_decomposerEEEEE10hipError_tT0_T1_T2_jT3_P12ihipStream_tbPNSt15iterator_traitsISI_E10value_typeEPNSO_ISJ_E10value_typeEPSK_NS1_7vsmem_tEENKUlT_SI_SJ_SK_E_clISD_PfSD_S10_EESH_SX_SI_SJ_SK_EUlSX_E0_NS1_11comp_targetILNS1_3genE9ELNS1_11target_archE1100ELNS1_3gpuE3ELNS1_3repE0EEENS1_38merge_mergepath_config_static_selectorELNS0_4arch9wavefront6targetE1EEEvSJ_ ; -- Begin function _ZN7rocprim17ROCPRIM_400000_NS6detail17trampoline_kernelINS0_14default_configENS1_38merge_sort_block_merge_config_selectorIffEEZZNS1_27merge_sort_block_merge_implIS3_N6thrust23THRUST_200600_302600_NS6detail15normal_iteratorINS8_10device_ptrIfEEEESD_jNS1_19radix_merge_compareILb0ELb0EfNS0_19identity_decomposerEEEEE10hipError_tT0_T1_T2_jT3_P12ihipStream_tbPNSt15iterator_traitsISI_E10value_typeEPNSO_ISJ_E10value_typeEPSK_NS1_7vsmem_tEENKUlT_SI_SJ_SK_E_clISD_PfSD_S10_EESH_SX_SI_SJ_SK_EUlSX_E0_NS1_11comp_targetILNS1_3genE9ELNS1_11target_archE1100ELNS1_3gpuE3ELNS1_3repE0EEENS1_38merge_mergepath_config_static_selectorELNS0_4arch9wavefront6targetE1EEEvSJ_
	.globl	_ZN7rocprim17ROCPRIM_400000_NS6detail17trampoline_kernelINS0_14default_configENS1_38merge_sort_block_merge_config_selectorIffEEZZNS1_27merge_sort_block_merge_implIS3_N6thrust23THRUST_200600_302600_NS6detail15normal_iteratorINS8_10device_ptrIfEEEESD_jNS1_19radix_merge_compareILb0ELb0EfNS0_19identity_decomposerEEEEE10hipError_tT0_T1_T2_jT3_P12ihipStream_tbPNSt15iterator_traitsISI_E10value_typeEPNSO_ISJ_E10value_typeEPSK_NS1_7vsmem_tEENKUlT_SI_SJ_SK_E_clISD_PfSD_S10_EESH_SX_SI_SJ_SK_EUlSX_E0_NS1_11comp_targetILNS1_3genE9ELNS1_11target_archE1100ELNS1_3gpuE3ELNS1_3repE0EEENS1_38merge_mergepath_config_static_selectorELNS0_4arch9wavefront6targetE1EEEvSJ_
	.p2align	8
	.type	_ZN7rocprim17ROCPRIM_400000_NS6detail17trampoline_kernelINS0_14default_configENS1_38merge_sort_block_merge_config_selectorIffEEZZNS1_27merge_sort_block_merge_implIS3_N6thrust23THRUST_200600_302600_NS6detail15normal_iteratorINS8_10device_ptrIfEEEESD_jNS1_19radix_merge_compareILb0ELb0EfNS0_19identity_decomposerEEEEE10hipError_tT0_T1_T2_jT3_P12ihipStream_tbPNSt15iterator_traitsISI_E10value_typeEPNSO_ISJ_E10value_typeEPSK_NS1_7vsmem_tEENKUlT_SI_SJ_SK_E_clISD_PfSD_S10_EESH_SX_SI_SJ_SK_EUlSX_E0_NS1_11comp_targetILNS1_3genE9ELNS1_11target_archE1100ELNS1_3gpuE3ELNS1_3repE0EEENS1_38merge_mergepath_config_static_selectorELNS0_4arch9wavefront6targetE1EEEvSJ_,@function
_ZN7rocprim17ROCPRIM_400000_NS6detail17trampoline_kernelINS0_14default_configENS1_38merge_sort_block_merge_config_selectorIffEEZZNS1_27merge_sort_block_merge_implIS3_N6thrust23THRUST_200600_302600_NS6detail15normal_iteratorINS8_10device_ptrIfEEEESD_jNS1_19radix_merge_compareILb0ELb0EfNS0_19identity_decomposerEEEEE10hipError_tT0_T1_T2_jT3_P12ihipStream_tbPNSt15iterator_traitsISI_E10value_typeEPNSO_ISJ_E10value_typeEPSK_NS1_7vsmem_tEENKUlT_SI_SJ_SK_E_clISD_PfSD_S10_EESH_SX_SI_SJ_SK_EUlSX_E0_NS1_11comp_targetILNS1_3genE9ELNS1_11target_archE1100ELNS1_3gpuE3ELNS1_3repE0EEENS1_38merge_mergepath_config_static_selectorELNS0_4arch9wavefront6targetE1EEEvSJ_: ; @_ZN7rocprim17ROCPRIM_400000_NS6detail17trampoline_kernelINS0_14default_configENS1_38merge_sort_block_merge_config_selectorIffEEZZNS1_27merge_sort_block_merge_implIS3_N6thrust23THRUST_200600_302600_NS6detail15normal_iteratorINS8_10device_ptrIfEEEESD_jNS1_19radix_merge_compareILb0ELb0EfNS0_19identity_decomposerEEEEE10hipError_tT0_T1_T2_jT3_P12ihipStream_tbPNSt15iterator_traitsISI_E10value_typeEPNSO_ISJ_E10value_typeEPSK_NS1_7vsmem_tEENKUlT_SI_SJ_SK_E_clISD_PfSD_S10_EESH_SX_SI_SJ_SK_EUlSX_E0_NS1_11comp_targetILNS1_3genE9ELNS1_11target_archE1100ELNS1_3gpuE3ELNS1_3repE0EEENS1_38merge_mergepath_config_static_selectorELNS0_4arch9wavefront6targetE1EEEvSJ_
; %bb.0:
	.section	.rodata,"a",@progbits
	.p2align	6, 0x0
	.amdhsa_kernel _ZN7rocprim17ROCPRIM_400000_NS6detail17trampoline_kernelINS0_14default_configENS1_38merge_sort_block_merge_config_selectorIffEEZZNS1_27merge_sort_block_merge_implIS3_N6thrust23THRUST_200600_302600_NS6detail15normal_iteratorINS8_10device_ptrIfEEEESD_jNS1_19radix_merge_compareILb0ELb0EfNS0_19identity_decomposerEEEEE10hipError_tT0_T1_T2_jT3_P12ihipStream_tbPNSt15iterator_traitsISI_E10value_typeEPNSO_ISJ_E10value_typeEPSK_NS1_7vsmem_tEENKUlT_SI_SJ_SK_E_clISD_PfSD_S10_EESH_SX_SI_SJ_SK_EUlSX_E0_NS1_11comp_targetILNS1_3genE9ELNS1_11target_archE1100ELNS1_3gpuE3ELNS1_3repE0EEENS1_38merge_mergepath_config_static_selectorELNS0_4arch9wavefront6targetE1EEEvSJ_
		.amdhsa_group_segment_fixed_size 0
		.amdhsa_private_segment_fixed_size 0
		.amdhsa_kernarg_size 64
		.amdhsa_user_sgpr_count 2
		.amdhsa_user_sgpr_dispatch_ptr 0
		.amdhsa_user_sgpr_queue_ptr 0
		.amdhsa_user_sgpr_kernarg_segment_ptr 1
		.amdhsa_user_sgpr_dispatch_id 0
		.amdhsa_user_sgpr_kernarg_preload_length 0
		.amdhsa_user_sgpr_kernarg_preload_offset 0
		.amdhsa_user_sgpr_private_segment_size 0
		.amdhsa_uses_dynamic_stack 0
		.amdhsa_enable_private_segment 0
		.amdhsa_system_sgpr_workgroup_id_x 1
		.amdhsa_system_sgpr_workgroup_id_y 0
		.amdhsa_system_sgpr_workgroup_id_z 0
		.amdhsa_system_sgpr_workgroup_info 0
		.amdhsa_system_vgpr_workitem_id 0
		.amdhsa_next_free_vgpr 1
		.amdhsa_next_free_sgpr 0
		.amdhsa_accum_offset 4
		.amdhsa_reserve_vcc 0
		.amdhsa_float_round_mode_32 0
		.amdhsa_float_round_mode_16_64 0
		.amdhsa_float_denorm_mode_32 3
		.amdhsa_float_denorm_mode_16_64 3
		.amdhsa_dx10_clamp 1
		.amdhsa_ieee_mode 1
		.amdhsa_fp16_overflow 0
		.amdhsa_tg_split 0
		.amdhsa_exception_fp_ieee_invalid_op 0
		.amdhsa_exception_fp_denorm_src 0
		.amdhsa_exception_fp_ieee_div_zero 0
		.amdhsa_exception_fp_ieee_overflow 0
		.amdhsa_exception_fp_ieee_underflow 0
		.amdhsa_exception_fp_ieee_inexact 0
		.amdhsa_exception_int_div_zero 0
	.end_amdhsa_kernel
	.section	.text._ZN7rocprim17ROCPRIM_400000_NS6detail17trampoline_kernelINS0_14default_configENS1_38merge_sort_block_merge_config_selectorIffEEZZNS1_27merge_sort_block_merge_implIS3_N6thrust23THRUST_200600_302600_NS6detail15normal_iteratorINS8_10device_ptrIfEEEESD_jNS1_19radix_merge_compareILb0ELb0EfNS0_19identity_decomposerEEEEE10hipError_tT0_T1_T2_jT3_P12ihipStream_tbPNSt15iterator_traitsISI_E10value_typeEPNSO_ISJ_E10value_typeEPSK_NS1_7vsmem_tEENKUlT_SI_SJ_SK_E_clISD_PfSD_S10_EESH_SX_SI_SJ_SK_EUlSX_E0_NS1_11comp_targetILNS1_3genE9ELNS1_11target_archE1100ELNS1_3gpuE3ELNS1_3repE0EEENS1_38merge_mergepath_config_static_selectorELNS0_4arch9wavefront6targetE1EEEvSJ_,"axG",@progbits,_ZN7rocprim17ROCPRIM_400000_NS6detail17trampoline_kernelINS0_14default_configENS1_38merge_sort_block_merge_config_selectorIffEEZZNS1_27merge_sort_block_merge_implIS3_N6thrust23THRUST_200600_302600_NS6detail15normal_iteratorINS8_10device_ptrIfEEEESD_jNS1_19radix_merge_compareILb0ELb0EfNS0_19identity_decomposerEEEEE10hipError_tT0_T1_T2_jT3_P12ihipStream_tbPNSt15iterator_traitsISI_E10value_typeEPNSO_ISJ_E10value_typeEPSK_NS1_7vsmem_tEENKUlT_SI_SJ_SK_E_clISD_PfSD_S10_EESH_SX_SI_SJ_SK_EUlSX_E0_NS1_11comp_targetILNS1_3genE9ELNS1_11target_archE1100ELNS1_3gpuE3ELNS1_3repE0EEENS1_38merge_mergepath_config_static_selectorELNS0_4arch9wavefront6targetE1EEEvSJ_,comdat
.Lfunc_end259:
	.size	_ZN7rocprim17ROCPRIM_400000_NS6detail17trampoline_kernelINS0_14default_configENS1_38merge_sort_block_merge_config_selectorIffEEZZNS1_27merge_sort_block_merge_implIS3_N6thrust23THRUST_200600_302600_NS6detail15normal_iteratorINS8_10device_ptrIfEEEESD_jNS1_19radix_merge_compareILb0ELb0EfNS0_19identity_decomposerEEEEE10hipError_tT0_T1_T2_jT3_P12ihipStream_tbPNSt15iterator_traitsISI_E10value_typeEPNSO_ISJ_E10value_typeEPSK_NS1_7vsmem_tEENKUlT_SI_SJ_SK_E_clISD_PfSD_S10_EESH_SX_SI_SJ_SK_EUlSX_E0_NS1_11comp_targetILNS1_3genE9ELNS1_11target_archE1100ELNS1_3gpuE3ELNS1_3repE0EEENS1_38merge_mergepath_config_static_selectorELNS0_4arch9wavefront6targetE1EEEvSJ_, .Lfunc_end259-_ZN7rocprim17ROCPRIM_400000_NS6detail17trampoline_kernelINS0_14default_configENS1_38merge_sort_block_merge_config_selectorIffEEZZNS1_27merge_sort_block_merge_implIS3_N6thrust23THRUST_200600_302600_NS6detail15normal_iteratorINS8_10device_ptrIfEEEESD_jNS1_19radix_merge_compareILb0ELb0EfNS0_19identity_decomposerEEEEE10hipError_tT0_T1_T2_jT3_P12ihipStream_tbPNSt15iterator_traitsISI_E10value_typeEPNSO_ISJ_E10value_typeEPSK_NS1_7vsmem_tEENKUlT_SI_SJ_SK_E_clISD_PfSD_S10_EESH_SX_SI_SJ_SK_EUlSX_E0_NS1_11comp_targetILNS1_3genE9ELNS1_11target_archE1100ELNS1_3gpuE3ELNS1_3repE0EEENS1_38merge_mergepath_config_static_selectorELNS0_4arch9wavefront6targetE1EEEvSJ_
                                        ; -- End function
	.set _ZN7rocprim17ROCPRIM_400000_NS6detail17trampoline_kernelINS0_14default_configENS1_38merge_sort_block_merge_config_selectorIffEEZZNS1_27merge_sort_block_merge_implIS3_N6thrust23THRUST_200600_302600_NS6detail15normal_iteratorINS8_10device_ptrIfEEEESD_jNS1_19radix_merge_compareILb0ELb0EfNS0_19identity_decomposerEEEEE10hipError_tT0_T1_T2_jT3_P12ihipStream_tbPNSt15iterator_traitsISI_E10value_typeEPNSO_ISJ_E10value_typeEPSK_NS1_7vsmem_tEENKUlT_SI_SJ_SK_E_clISD_PfSD_S10_EESH_SX_SI_SJ_SK_EUlSX_E0_NS1_11comp_targetILNS1_3genE9ELNS1_11target_archE1100ELNS1_3gpuE3ELNS1_3repE0EEENS1_38merge_mergepath_config_static_selectorELNS0_4arch9wavefront6targetE1EEEvSJ_.num_vgpr, 0
	.set _ZN7rocprim17ROCPRIM_400000_NS6detail17trampoline_kernelINS0_14default_configENS1_38merge_sort_block_merge_config_selectorIffEEZZNS1_27merge_sort_block_merge_implIS3_N6thrust23THRUST_200600_302600_NS6detail15normal_iteratorINS8_10device_ptrIfEEEESD_jNS1_19radix_merge_compareILb0ELb0EfNS0_19identity_decomposerEEEEE10hipError_tT0_T1_T2_jT3_P12ihipStream_tbPNSt15iterator_traitsISI_E10value_typeEPNSO_ISJ_E10value_typeEPSK_NS1_7vsmem_tEENKUlT_SI_SJ_SK_E_clISD_PfSD_S10_EESH_SX_SI_SJ_SK_EUlSX_E0_NS1_11comp_targetILNS1_3genE9ELNS1_11target_archE1100ELNS1_3gpuE3ELNS1_3repE0EEENS1_38merge_mergepath_config_static_selectorELNS0_4arch9wavefront6targetE1EEEvSJ_.num_agpr, 0
	.set _ZN7rocprim17ROCPRIM_400000_NS6detail17trampoline_kernelINS0_14default_configENS1_38merge_sort_block_merge_config_selectorIffEEZZNS1_27merge_sort_block_merge_implIS3_N6thrust23THRUST_200600_302600_NS6detail15normal_iteratorINS8_10device_ptrIfEEEESD_jNS1_19radix_merge_compareILb0ELb0EfNS0_19identity_decomposerEEEEE10hipError_tT0_T1_T2_jT3_P12ihipStream_tbPNSt15iterator_traitsISI_E10value_typeEPNSO_ISJ_E10value_typeEPSK_NS1_7vsmem_tEENKUlT_SI_SJ_SK_E_clISD_PfSD_S10_EESH_SX_SI_SJ_SK_EUlSX_E0_NS1_11comp_targetILNS1_3genE9ELNS1_11target_archE1100ELNS1_3gpuE3ELNS1_3repE0EEENS1_38merge_mergepath_config_static_selectorELNS0_4arch9wavefront6targetE1EEEvSJ_.numbered_sgpr, 0
	.set _ZN7rocprim17ROCPRIM_400000_NS6detail17trampoline_kernelINS0_14default_configENS1_38merge_sort_block_merge_config_selectorIffEEZZNS1_27merge_sort_block_merge_implIS3_N6thrust23THRUST_200600_302600_NS6detail15normal_iteratorINS8_10device_ptrIfEEEESD_jNS1_19radix_merge_compareILb0ELb0EfNS0_19identity_decomposerEEEEE10hipError_tT0_T1_T2_jT3_P12ihipStream_tbPNSt15iterator_traitsISI_E10value_typeEPNSO_ISJ_E10value_typeEPSK_NS1_7vsmem_tEENKUlT_SI_SJ_SK_E_clISD_PfSD_S10_EESH_SX_SI_SJ_SK_EUlSX_E0_NS1_11comp_targetILNS1_3genE9ELNS1_11target_archE1100ELNS1_3gpuE3ELNS1_3repE0EEENS1_38merge_mergepath_config_static_selectorELNS0_4arch9wavefront6targetE1EEEvSJ_.num_named_barrier, 0
	.set _ZN7rocprim17ROCPRIM_400000_NS6detail17trampoline_kernelINS0_14default_configENS1_38merge_sort_block_merge_config_selectorIffEEZZNS1_27merge_sort_block_merge_implIS3_N6thrust23THRUST_200600_302600_NS6detail15normal_iteratorINS8_10device_ptrIfEEEESD_jNS1_19radix_merge_compareILb0ELb0EfNS0_19identity_decomposerEEEEE10hipError_tT0_T1_T2_jT3_P12ihipStream_tbPNSt15iterator_traitsISI_E10value_typeEPNSO_ISJ_E10value_typeEPSK_NS1_7vsmem_tEENKUlT_SI_SJ_SK_E_clISD_PfSD_S10_EESH_SX_SI_SJ_SK_EUlSX_E0_NS1_11comp_targetILNS1_3genE9ELNS1_11target_archE1100ELNS1_3gpuE3ELNS1_3repE0EEENS1_38merge_mergepath_config_static_selectorELNS0_4arch9wavefront6targetE1EEEvSJ_.private_seg_size, 0
	.set _ZN7rocprim17ROCPRIM_400000_NS6detail17trampoline_kernelINS0_14default_configENS1_38merge_sort_block_merge_config_selectorIffEEZZNS1_27merge_sort_block_merge_implIS3_N6thrust23THRUST_200600_302600_NS6detail15normal_iteratorINS8_10device_ptrIfEEEESD_jNS1_19radix_merge_compareILb0ELb0EfNS0_19identity_decomposerEEEEE10hipError_tT0_T1_T2_jT3_P12ihipStream_tbPNSt15iterator_traitsISI_E10value_typeEPNSO_ISJ_E10value_typeEPSK_NS1_7vsmem_tEENKUlT_SI_SJ_SK_E_clISD_PfSD_S10_EESH_SX_SI_SJ_SK_EUlSX_E0_NS1_11comp_targetILNS1_3genE9ELNS1_11target_archE1100ELNS1_3gpuE3ELNS1_3repE0EEENS1_38merge_mergepath_config_static_selectorELNS0_4arch9wavefront6targetE1EEEvSJ_.uses_vcc, 0
	.set _ZN7rocprim17ROCPRIM_400000_NS6detail17trampoline_kernelINS0_14default_configENS1_38merge_sort_block_merge_config_selectorIffEEZZNS1_27merge_sort_block_merge_implIS3_N6thrust23THRUST_200600_302600_NS6detail15normal_iteratorINS8_10device_ptrIfEEEESD_jNS1_19radix_merge_compareILb0ELb0EfNS0_19identity_decomposerEEEEE10hipError_tT0_T1_T2_jT3_P12ihipStream_tbPNSt15iterator_traitsISI_E10value_typeEPNSO_ISJ_E10value_typeEPSK_NS1_7vsmem_tEENKUlT_SI_SJ_SK_E_clISD_PfSD_S10_EESH_SX_SI_SJ_SK_EUlSX_E0_NS1_11comp_targetILNS1_3genE9ELNS1_11target_archE1100ELNS1_3gpuE3ELNS1_3repE0EEENS1_38merge_mergepath_config_static_selectorELNS0_4arch9wavefront6targetE1EEEvSJ_.uses_flat_scratch, 0
	.set _ZN7rocprim17ROCPRIM_400000_NS6detail17trampoline_kernelINS0_14default_configENS1_38merge_sort_block_merge_config_selectorIffEEZZNS1_27merge_sort_block_merge_implIS3_N6thrust23THRUST_200600_302600_NS6detail15normal_iteratorINS8_10device_ptrIfEEEESD_jNS1_19radix_merge_compareILb0ELb0EfNS0_19identity_decomposerEEEEE10hipError_tT0_T1_T2_jT3_P12ihipStream_tbPNSt15iterator_traitsISI_E10value_typeEPNSO_ISJ_E10value_typeEPSK_NS1_7vsmem_tEENKUlT_SI_SJ_SK_E_clISD_PfSD_S10_EESH_SX_SI_SJ_SK_EUlSX_E0_NS1_11comp_targetILNS1_3genE9ELNS1_11target_archE1100ELNS1_3gpuE3ELNS1_3repE0EEENS1_38merge_mergepath_config_static_selectorELNS0_4arch9wavefront6targetE1EEEvSJ_.has_dyn_sized_stack, 0
	.set _ZN7rocprim17ROCPRIM_400000_NS6detail17trampoline_kernelINS0_14default_configENS1_38merge_sort_block_merge_config_selectorIffEEZZNS1_27merge_sort_block_merge_implIS3_N6thrust23THRUST_200600_302600_NS6detail15normal_iteratorINS8_10device_ptrIfEEEESD_jNS1_19radix_merge_compareILb0ELb0EfNS0_19identity_decomposerEEEEE10hipError_tT0_T1_T2_jT3_P12ihipStream_tbPNSt15iterator_traitsISI_E10value_typeEPNSO_ISJ_E10value_typeEPSK_NS1_7vsmem_tEENKUlT_SI_SJ_SK_E_clISD_PfSD_S10_EESH_SX_SI_SJ_SK_EUlSX_E0_NS1_11comp_targetILNS1_3genE9ELNS1_11target_archE1100ELNS1_3gpuE3ELNS1_3repE0EEENS1_38merge_mergepath_config_static_selectorELNS0_4arch9wavefront6targetE1EEEvSJ_.has_recursion, 0
	.set _ZN7rocprim17ROCPRIM_400000_NS6detail17trampoline_kernelINS0_14default_configENS1_38merge_sort_block_merge_config_selectorIffEEZZNS1_27merge_sort_block_merge_implIS3_N6thrust23THRUST_200600_302600_NS6detail15normal_iteratorINS8_10device_ptrIfEEEESD_jNS1_19radix_merge_compareILb0ELb0EfNS0_19identity_decomposerEEEEE10hipError_tT0_T1_T2_jT3_P12ihipStream_tbPNSt15iterator_traitsISI_E10value_typeEPNSO_ISJ_E10value_typeEPSK_NS1_7vsmem_tEENKUlT_SI_SJ_SK_E_clISD_PfSD_S10_EESH_SX_SI_SJ_SK_EUlSX_E0_NS1_11comp_targetILNS1_3genE9ELNS1_11target_archE1100ELNS1_3gpuE3ELNS1_3repE0EEENS1_38merge_mergepath_config_static_selectorELNS0_4arch9wavefront6targetE1EEEvSJ_.has_indirect_call, 0
	.section	.AMDGPU.csdata,"",@progbits
; Kernel info:
; codeLenInByte = 0
; TotalNumSgprs: 6
; NumVgprs: 0
; NumAgprs: 0
; TotalNumVgprs: 0
; ScratchSize: 0
; MemoryBound: 0
; FloatMode: 240
; IeeeMode: 1
; LDSByteSize: 0 bytes/workgroup (compile time only)
; SGPRBlocks: 0
; VGPRBlocks: 0
; NumSGPRsForWavesPerEU: 6
; NumVGPRsForWavesPerEU: 1
; AccumOffset: 4
; Occupancy: 8
; WaveLimiterHint : 0
; COMPUTE_PGM_RSRC2:SCRATCH_EN: 0
; COMPUTE_PGM_RSRC2:USER_SGPR: 2
; COMPUTE_PGM_RSRC2:TRAP_HANDLER: 0
; COMPUTE_PGM_RSRC2:TGID_X_EN: 1
; COMPUTE_PGM_RSRC2:TGID_Y_EN: 0
; COMPUTE_PGM_RSRC2:TGID_Z_EN: 0
; COMPUTE_PGM_RSRC2:TIDIG_COMP_CNT: 0
; COMPUTE_PGM_RSRC3_GFX90A:ACCUM_OFFSET: 0
; COMPUTE_PGM_RSRC3_GFX90A:TG_SPLIT: 0
	.section	.text._ZN7rocprim17ROCPRIM_400000_NS6detail17trampoline_kernelINS0_14default_configENS1_38merge_sort_block_merge_config_selectorIffEEZZNS1_27merge_sort_block_merge_implIS3_N6thrust23THRUST_200600_302600_NS6detail15normal_iteratorINS8_10device_ptrIfEEEESD_jNS1_19radix_merge_compareILb0ELb0EfNS0_19identity_decomposerEEEEE10hipError_tT0_T1_T2_jT3_P12ihipStream_tbPNSt15iterator_traitsISI_E10value_typeEPNSO_ISJ_E10value_typeEPSK_NS1_7vsmem_tEENKUlT_SI_SJ_SK_E_clISD_PfSD_S10_EESH_SX_SI_SJ_SK_EUlSX_E0_NS1_11comp_targetILNS1_3genE8ELNS1_11target_archE1030ELNS1_3gpuE2ELNS1_3repE0EEENS1_38merge_mergepath_config_static_selectorELNS0_4arch9wavefront6targetE1EEEvSJ_,"axG",@progbits,_ZN7rocprim17ROCPRIM_400000_NS6detail17trampoline_kernelINS0_14default_configENS1_38merge_sort_block_merge_config_selectorIffEEZZNS1_27merge_sort_block_merge_implIS3_N6thrust23THRUST_200600_302600_NS6detail15normal_iteratorINS8_10device_ptrIfEEEESD_jNS1_19radix_merge_compareILb0ELb0EfNS0_19identity_decomposerEEEEE10hipError_tT0_T1_T2_jT3_P12ihipStream_tbPNSt15iterator_traitsISI_E10value_typeEPNSO_ISJ_E10value_typeEPSK_NS1_7vsmem_tEENKUlT_SI_SJ_SK_E_clISD_PfSD_S10_EESH_SX_SI_SJ_SK_EUlSX_E0_NS1_11comp_targetILNS1_3genE8ELNS1_11target_archE1030ELNS1_3gpuE2ELNS1_3repE0EEENS1_38merge_mergepath_config_static_selectorELNS0_4arch9wavefront6targetE1EEEvSJ_,comdat
	.protected	_ZN7rocprim17ROCPRIM_400000_NS6detail17trampoline_kernelINS0_14default_configENS1_38merge_sort_block_merge_config_selectorIffEEZZNS1_27merge_sort_block_merge_implIS3_N6thrust23THRUST_200600_302600_NS6detail15normal_iteratorINS8_10device_ptrIfEEEESD_jNS1_19radix_merge_compareILb0ELb0EfNS0_19identity_decomposerEEEEE10hipError_tT0_T1_T2_jT3_P12ihipStream_tbPNSt15iterator_traitsISI_E10value_typeEPNSO_ISJ_E10value_typeEPSK_NS1_7vsmem_tEENKUlT_SI_SJ_SK_E_clISD_PfSD_S10_EESH_SX_SI_SJ_SK_EUlSX_E0_NS1_11comp_targetILNS1_3genE8ELNS1_11target_archE1030ELNS1_3gpuE2ELNS1_3repE0EEENS1_38merge_mergepath_config_static_selectorELNS0_4arch9wavefront6targetE1EEEvSJ_ ; -- Begin function _ZN7rocprim17ROCPRIM_400000_NS6detail17trampoline_kernelINS0_14default_configENS1_38merge_sort_block_merge_config_selectorIffEEZZNS1_27merge_sort_block_merge_implIS3_N6thrust23THRUST_200600_302600_NS6detail15normal_iteratorINS8_10device_ptrIfEEEESD_jNS1_19radix_merge_compareILb0ELb0EfNS0_19identity_decomposerEEEEE10hipError_tT0_T1_T2_jT3_P12ihipStream_tbPNSt15iterator_traitsISI_E10value_typeEPNSO_ISJ_E10value_typeEPSK_NS1_7vsmem_tEENKUlT_SI_SJ_SK_E_clISD_PfSD_S10_EESH_SX_SI_SJ_SK_EUlSX_E0_NS1_11comp_targetILNS1_3genE8ELNS1_11target_archE1030ELNS1_3gpuE2ELNS1_3repE0EEENS1_38merge_mergepath_config_static_selectorELNS0_4arch9wavefront6targetE1EEEvSJ_
	.globl	_ZN7rocprim17ROCPRIM_400000_NS6detail17trampoline_kernelINS0_14default_configENS1_38merge_sort_block_merge_config_selectorIffEEZZNS1_27merge_sort_block_merge_implIS3_N6thrust23THRUST_200600_302600_NS6detail15normal_iteratorINS8_10device_ptrIfEEEESD_jNS1_19radix_merge_compareILb0ELb0EfNS0_19identity_decomposerEEEEE10hipError_tT0_T1_T2_jT3_P12ihipStream_tbPNSt15iterator_traitsISI_E10value_typeEPNSO_ISJ_E10value_typeEPSK_NS1_7vsmem_tEENKUlT_SI_SJ_SK_E_clISD_PfSD_S10_EESH_SX_SI_SJ_SK_EUlSX_E0_NS1_11comp_targetILNS1_3genE8ELNS1_11target_archE1030ELNS1_3gpuE2ELNS1_3repE0EEENS1_38merge_mergepath_config_static_selectorELNS0_4arch9wavefront6targetE1EEEvSJ_
	.p2align	8
	.type	_ZN7rocprim17ROCPRIM_400000_NS6detail17trampoline_kernelINS0_14default_configENS1_38merge_sort_block_merge_config_selectorIffEEZZNS1_27merge_sort_block_merge_implIS3_N6thrust23THRUST_200600_302600_NS6detail15normal_iteratorINS8_10device_ptrIfEEEESD_jNS1_19radix_merge_compareILb0ELb0EfNS0_19identity_decomposerEEEEE10hipError_tT0_T1_T2_jT3_P12ihipStream_tbPNSt15iterator_traitsISI_E10value_typeEPNSO_ISJ_E10value_typeEPSK_NS1_7vsmem_tEENKUlT_SI_SJ_SK_E_clISD_PfSD_S10_EESH_SX_SI_SJ_SK_EUlSX_E0_NS1_11comp_targetILNS1_3genE8ELNS1_11target_archE1030ELNS1_3gpuE2ELNS1_3repE0EEENS1_38merge_mergepath_config_static_selectorELNS0_4arch9wavefront6targetE1EEEvSJ_,@function
_ZN7rocprim17ROCPRIM_400000_NS6detail17trampoline_kernelINS0_14default_configENS1_38merge_sort_block_merge_config_selectorIffEEZZNS1_27merge_sort_block_merge_implIS3_N6thrust23THRUST_200600_302600_NS6detail15normal_iteratorINS8_10device_ptrIfEEEESD_jNS1_19radix_merge_compareILb0ELb0EfNS0_19identity_decomposerEEEEE10hipError_tT0_T1_T2_jT3_P12ihipStream_tbPNSt15iterator_traitsISI_E10value_typeEPNSO_ISJ_E10value_typeEPSK_NS1_7vsmem_tEENKUlT_SI_SJ_SK_E_clISD_PfSD_S10_EESH_SX_SI_SJ_SK_EUlSX_E0_NS1_11comp_targetILNS1_3genE8ELNS1_11target_archE1030ELNS1_3gpuE2ELNS1_3repE0EEENS1_38merge_mergepath_config_static_selectorELNS0_4arch9wavefront6targetE1EEEvSJ_: ; @_ZN7rocprim17ROCPRIM_400000_NS6detail17trampoline_kernelINS0_14default_configENS1_38merge_sort_block_merge_config_selectorIffEEZZNS1_27merge_sort_block_merge_implIS3_N6thrust23THRUST_200600_302600_NS6detail15normal_iteratorINS8_10device_ptrIfEEEESD_jNS1_19radix_merge_compareILb0ELb0EfNS0_19identity_decomposerEEEEE10hipError_tT0_T1_T2_jT3_P12ihipStream_tbPNSt15iterator_traitsISI_E10value_typeEPNSO_ISJ_E10value_typeEPSK_NS1_7vsmem_tEENKUlT_SI_SJ_SK_E_clISD_PfSD_S10_EESH_SX_SI_SJ_SK_EUlSX_E0_NS1_11comp_targetILNS1_3genE8ELNS1_11target_archE1030ELNS1_3gpuE2ELNS1_3repE0EEENS1_38merge_mergepath_config_static_selectorELNS0_4arch9wavefront6targetE1EEEvSJ_
; %bb.0:
	.section	.rodata,"a",@progbits
	.p2align	6, 0x0
	.amdhsa_kernel _ZN7rocprim17ROCPRIM_400000_NS6detail17trampoline_kernelINS0_14default_configENS1_38merge_sort_block_merge_config_selectorIffEEZZNS1_27merge_sort_block_merge_implIS3_N6thrust23THRUST_200600_302600_NS6detail15normal_iteratorINS8_10device_ptrIfEEEESD_jNS1_19radix_merge_compareILb0ELb0EfNS0_19identity_decomposerEEEEE10hipError_tT0_T1_T2_jT3_P12ihipStream_tbPNSt15iterator_traitsISI_E10value_typeEPNSO_ISJ_E10value_typeEPSK_NS1_7vsmem_tEENKUlT_SI_SJ_SK_E_clISD_PfSD_S10_EESH_SX_SI_SJ_SK_EUlSX_E0_NS1_11comp_targetILNS1_3genE8ELNS1_11target_archE1030ELNS1_3gpuE2ELNS1_3repE0EEENS1_38merge_mergepath_config_static_selectorELNS0_4arch9wavefront6targetE1EEEvSJ_
		.amdhsa_group_segment_fixed_size 0
		.amdhsa_private_segment_fixed_size 0
		.amdhsa_kernarg_size 64
		.amdhsa_user_sgpr_count 2
		.amdhsa_user_sgpr_dispatch_ptr 0
		.amdhsa_user_sgpr_queue_ptr 0
		.amdhsa_user_sgpr_kernarg_segment_ptr 1
		.amdhsa_user_sgpr_dispatch_id 0
		.amdhsa_user_sgpr_kernarg_preload_length 0
		.amdhsa_user_sgpr_kernarg_preload_offset 0
		.amdhsa_user_sgpr_private_segment_size 0
		.amdhsa_uses_dynamic_stack 0
		.amdhsa_enable_private_segment 0
		.amdhsa_system_sgpr_workgroup_id_x 1
		.amdhsa_system_sgpr_workgroup_id_y 0
		.amdhsa_system_sgpr_workgroup_id_z 0
		.amdhsa_system_sgpr_workgroup_info 0
		.amdhsa_system_vgpr_workitem_id 0
		.amdhsa_next_free_vgpr 1
		.amdhsa_next_free_sgpr 0
		.amdhsa_accum_offset 4
		.amdhsa_reserve_vcc 0
		.amdhsa_float_round_mode_32 0
		.amdhsa_float_round_mode_16_64 0
		.amdhsa_float_denorm_mode_32 3
		.amdhsa_float_denorm_mode_16_64 3
		.amdhsa_dx10_clamp 1
		.amdhsa_ieee_mode 1
		.amdhsa_fp16_overflow 0
		.amdhsa_tg_split 0
		.amdhsa_exception_fp_ieee_invalid_op 0
		.amdhsa_exception_fp_denorm_src 0
		.amdhsa_exception_fp_ieee_div_zero 0
		.amdhsa_exception_fp_ieee_overflow 0
		.amdhsa_exception_fp_ieee_underflow 0
		.amdhsa_exception_fp_ieee_inexact 0
		.amdhsa_exception_int_div_zero 0
	.end_amdhsa_kernel
	.section	.text._ZN7rocprim17ROCPRIM_400000_NS6detail17trampoline_kernelINS0_14default_configENS1_38merge_sort_block_merge_config_selectorIffEEZZNS1_27merge_sort_block_merge_implIS3_N6thrust23THRUST_200600_302600_NS6detail15normal_iteratorINS8_10device_ptrIfEEEESD_jNS1_19radix_merge_compareILb0ELb0EfNS0_19identity_decomposerEEEEE10hipError_tT0_T1_T2_jT3_P12ihipStream_tbPNSt15iterator_traitsISI_E10value_typeEPNSO_ISJ_E10value_typeEPSK_NS1_7vsmem_tEENKUlT_SI_SJ_SK_E_clISD_PfSD_S10_EESH_SX_SI_SJ_SK_EUlSX_E0_NS1_11comp_targetILNS1_3genE8ELNS1_11target_archE1030ELNS1_3gpuE2ELNS1_3repE0EEENS1_38merge_mergepath_config_static_selectorELNS0_4arch9wavefront6targetE1EEEvSJ_,"axG",@progbits,_ZN7rocprim17ROCPRIM_400000_NS6detail17trampoline_kernelINS0_14default_configENS1_38merge_sort_block_merge_config_selectorIffEEZZNS1_27merge_sort_block_merge_implIS3_N6thrust23THRUST_200600_302600_NS6detail15normal_iteratorINS8_10device_ptrIfEEEESD_jNS1_19radix_merge_compareILb0ELb0EfNS0_19identity_decomposerEEEEE10hipError_tT0_T1_T2_jT3_P12ihipStream_tbPNSt15iterator_traitsISI_E10value_typeEPNSO_ISJ_E10value_typeEPSK_NS1_7vsmem_tEENKUlT_SI_SJ_SK_E_clISD_PfSD_S10_EESH_SX_SI_SJ_SK_EUlSX_E0_NS1_11comp_targetILNS1_3genE8ELNS1_11target_archE1030ELNS1_3gpuE2ELNS1_3repE0EEENS1_38merge_mergepath_config_static_selectorELNS0_4arch9wavefront6targetE1EEEvSJ_,comdat
.Lfunc_end260:
	.size	_ZN7rocprim17ROCPRIM_400000_NS6detail17trampoline_kernelINS0_14default_configENS1_38merge_sort_block_merge_config_selectorIffEEZZNS1_27merge_sort_block_merge_implIS3_N6thrust23THRUST_200600_302600_NS6detail15normal_iteratorINS8_10device_ptrIfEEEESD_jNS1_19radix_merge_compareILb0ELb0EfNS0_19identity_decomposerEEEEE10hipError_tT0_T1_T2_jT3_P12ihipStream_tbPNSt15iterator_traitsISI_E10value_typeEPNSO_ISJ_E10value_typeEPSK_NS1_7vsmem_tEENKUlT_SI_SJ_SK_E_clISD_PfSD_S10_EESH_SX_SI_SJ_SK_EUlSX_E0_NS1_11comp_targetILNS1_3genE8ELNS1_11target_archE1030ELNS1_3gpuE2ELNS1_3repE0EEENS1_38merge_mergepath_config_static_selectorELNS0_4arch9wavefront6targetE1EEEvSJ_, .Lfunc_end260-_ZN7rocprim17ROCPRIM_400000_NS6detail17trampoline_kernelINS0_14default_configENS1_38merge_sort_block_merge_config_selectorIffEEZZNS1_27merge_sort_block_merge_implIS3_N6thrust23THRUST_200600_302600_NS6detail15normal_iteratorINS8_10device_ptrIfEEEESD_jNS1_19radix_merge_compareILb0ELb0EfNS0_19identity_decomposerEEEEE10hipError_tT0_T1_T2_jT3_P12ihipStream_tbPNSt15iterator_traitsISI_E10value_typeEPNSO_ISJ_E10value_typeEPSK_NS1_7vsmem_tEENKUlT_SI_SJ_SK_E_clISD_PfSD_S10_EESH_SX_SI_SJ_SK_EUlSX_E0_NS1_11comp_targetILNS1_3genE8ELNS1_11target_archE1030ELNS1_3gpuE2ELNS1_3repE0EEENS1_38merge_mergepath_config_static_selectorELNS0_4arch9wavefront6targetE1EEEvSJ_
                                        ; -- End function
	.set _ZN7rocprim17ROCPRIM_400000_NS6detail17trampoline_kernelINS0_14default_configENS1_38merge_sort_block_merge_config_selectorIffEEZZNS1_27merge_sort_block_merge_implIS3_N6thrust23THRUST_200600_302600_NS6detail15normal_iteratorINS8_10device_ptrIfEEEESD_jNS1_19radix_merge_compareILb0ELb0EfNS0_19identity_decomposerEEEEE10hipError_tT0_T1_T2_jT3_P12ihipStream_tbPNSt15iterator_traitsISI_E10value_typeEPNSO_ISJ_E10value_typeEPSK_NS1_7vsmem_tEENKUlT_SI_SJ_SK_E_clISD_PfSD_S10_EESH_SX_SI_SJ_SK_EUlSX_E0_NS1_11comp_targetILNS1_3genE8ELNS1_11target_archE1030ELNS1_3gpuE2ELNS1_3repE0EEENS1_38merge_mergepath_config_static_selectorELNS0_4arch9wavefront6targetE1EEEvSJ_.num_vgpr, 0
	.set _ZN7rocprim17ROCPRIM_400000_NS6detail17trampoline_kernelINS0_14default_configENS1_38merge_sort_block_merge_config_selectorIffEEZZNS1_27merge_sort_block_merge_implIS3_N6thrust23THRUST_200600_302600_NS6detail15normal_iteratorINS8_10device_ptrIfEEEESD_jNS1_19radix_merge_compareILb0ELb0EfNS0_19identity_decomposerEEEEE10hipError_tT0_T1_T2_jT3_P12ihipStream_tbPNSt15iterator_traitsISI_E10value_typeEPNSO_ISJ_E10value_typeEPSK_NS1_7vsmem_tEENKUlT_SI_SJ_SK_E_clISD_PfSD_S10_EESH_SX_SI_SJ_SK_EUlSX_E0_NS1_11comp_targetILNS1_3genE8ELNS1_11target_archE1030ELNS1_3gpuE2ELNS1_3repE0EEENS1_38merge_mergepath_config_static_selectorELNS0_4arch9wavefront6targetE1EEEvSJ_.num_agpr, 0
	.set _ZN7rocprim17ROCPRIM_400000_NS6detail17trampoline_kernelINS0_14default_configENS1_38merge_sort_block_merge_config_selectorIffEEZZNS1_27merge_sort_block_merge_implIS3_N6thrust23THRUST_200600_302600_NS6detail15normal_iteratorINS8_10device_ptrIfEEEESD_jNS1_19radix_merge_compareILb0ELb0EfNS0_19identity_decomposerEEEEE10hipError_tT0_T1_T2_jT3_P12ihipStream_tbPNSt15iterator_traitsISI_E10value_typeEPNSO_ISJ_E10value_typeEPSK_NS1_7vsmem_tEENKUlT_SI_SJ_SK_E_clISD_PfSD_S10_EESH_SX_SI_SJ_SK_EUlSX_E0_NS1_11comp_targetILNS1_3genE8ELNS1_11target_archE1030ELNS1_3gpuE2ELNS1_3repE0EEENS1_38merge_mergepath_config_static_selectorELNS0_4arch9wavefront6targetE1EEEvSJ_.numbered_sgpr, 0
	.set _ZN7rocprim17ROCPRIM_400000_NS6detail17trampoline_kernelINS0_14default_configENS1_38merge_sort_block_merge_config_selectorIffEEZZNS1_27merge_sort_block_merge_implIS3_N6thrust23THRUST_200600_302600_NS6detail15normal_iteratorINS8_10device_ptrIfEEEESD_jNS1_19radix_merge_compareILb0ELb0EfNS0_19identity_decomposerEEEEE10hipError_tT0_T1_T2_jT3_P12ihipStream_tbPNSt15iterator_traitsISI_E10value_typeEPNSO_ISJ_E10value_typeEPSK_NS1_7vsmem_tEENKUlT_SI_SJ_SK_E_clISD_PfSD_S10_EESH_SX_SI_SJ_SK_EUlSX_E0_NS1_11comp_targetILNS1_3genE8ELNS1_11target_archE1030ELNS1_3gpuE2ELNS1_3repE0EEENS1_38merge_mergepath_config_static_selectorELNS0_4arch9wavefront6targetE1EEEvSJ_.num_named_barrier, 0
	.set _ZN7rocprim17ROCPRIM_400000_NS6detail17trampoline_kernelINS0_14default_configENS1_38merge_sort_block_merge_config_selectorIffEEZZNS1_27merge_sort_block_merge_implIS3_N6thrust23THRUST_200600_302600_NS6detail15normal_iteratorINS8_10device_ptrIfEEEESD_jNS1_19radix_merge_compareILb0ELb0EfNS0_19identity_decomposerEEEEE10hipError_tT0_T1_T2_jT3_P12ihipStream_tbPNSt15iterator_traitsISI_E10value_typeEPNSO_ISJ_E10value_typeEPSK_NS1_7vsmem_tEENKUlT_SI_SJ_SK_E_clISD_PfSD_S10_EESH_SX_SI_SJ_SK_EUlSX_E0_NS1_11comp_targetILNS1_3genE8ELNS1_11target_archE1030ELNS1_3gpuE2ELNS1_3repE0EEENS1_38merge_mergepath_config_static_selectorELNS0_4arch9wavefront6targetE1EEEvSJ_.private_seg_size, 0
	.set _ZN7rocprim17ROCPRIM_400000_NS6detail17trampoline_kernelINS0_14default_configENS1_38merge_sort_block_merge_config_selectorIffEEZZNS1_27merge_sort_block_merge_implIS3_N6thrust23THRUST_200600_302600_NS6detail15normal_iteratorINS8_10device_ptrIfEEEESD_jNS1_19radix_merge_compareILb0ELb0EfNS0_19identity_decomposerEEEEE10hipError_tT0_T1_T2_jT3_P12ihipStream_tbPNSt15iterator_traitsISI_E10value_typeEPNSO_ISJ_E10value_typeEPSK_NS1_7vsmem_tEENKUlT_SI_SJ_SK_E_clISD_PfSD_S10_EESH_SX_SI_SJ_SK_EUlSX_E0_NS1_11comp_targetILNS1_3genE8ELNS1_11target_archE1030ELNS1_3gpuE2ELNS1_3repE0EEENS1_38merge_mergepath_config_static_selectorELNS0_4arch9wavefront6targetE1EEEvSJ_.uses_vcc, 0
	.set _ZN7rocprim17ROCPRIM_400000_NS6detail17trampoline_kernelINS0_14default_configENS1_38merge_sort_block_merge_config_selectorIffEEZZNS1_27merge_sort_block_merge_implIS3_N6thrust23THRUST_200600_302600_NS6detail15normal_iteratorINS8_10device_ptrIfEEEESD_jNS1_19radix_merge_compareILb0ELb0EfNS0_19identity_decomposerEEEEE10hipError_tT0_T1_T2_jT3_P12ihipStream_tbPNSt15iterator_traitsISI_E10value_typeEPNSO_ISJ_E10value_typeEPSK_NS1_7vsmem_tEENKUlT_SI_SJ_SK_E_clISD_PfSD_S10_EESH_SX_SI_SJ_SK_EUlSX_E0_NS1_11comp_targetILNS1_3genE8ELNS1_11target_archE1030ELNS1_3gpuE2ELNS1_3repE0EEENS1_38merge_mergepath_config_static_selectorELNS0_4arch9wavefront6targetE1EEEvSJ_.uses_flat_scratch, 0
	.set _ZN7rocprim17ROCPRIM_400000_NS6detail17trampoline_kernelINS0_14default_configENS1_38merge_sort_block_merge_config_selectorIffEEZZNS1_27merge_sort_block_merge_implIS3_N6thrust23THRUST_200600_302600_NS6detail15normal_iteratorINS8_10device_ptrIfEEEESD_jNS1_19radix_merge_compareILb0ELb0EfNS0_19identity_decomposerEEEEE10hipError_tT0_T1_T2_jT3_P12ihipStream_tbPNSt15iterator_traitsISI_E10value_typeEPNSO_ISJ_E10value_typeEPSK_NS1_7vsmem_tEENKUlT_SI_SJ_SK_E_clISD_PfSD_S10_EESH_SX_SI_SJ_SK_EUlSX_E0_NS1_11comp_targetILNS1_3genE8ELNS1_11target_archE1030ELNS1_3gpuE2ELNS1_3repE0EEENS1_38merge_mergepath_config_static_selectorELNS0_4arch9wavefront6targetE1EEEvSJ_.has_dyn_sized_stack, 0
	.set _ZN7rocprim17ROCPRIM_400000_NS6detail17trampoline_kernelINS0_14default_configENS1_38merge_sort_block_merge_config_selectorIffEEZZNS1_27merge_sort_block_merge_implIS3_N6thrust23THRUST_200600_302600_NS6detail15normal_iteratorINS8_10device_ptrIfEEEESD_jNS1_19radix_merge_compareILb0ELb0EfNS0_19identity_decomposerEEEEE10hipError_tT0_T1_T2_jT3_P12ihipStream_tbPNSt15iterator_traitsISI_E10value_typeEPNSO_ISJ_E10value_typeEPSK_NS1_7vsmem_tEENKUlT_SI_SJ_SK_E_clISD_PfSD_S10_EESH_SX_SI_SJ_SK_EUlSX_E0_NS1_11comp_targetILNS1_3genE8ELNS1_11target_archE1030ELNS1_3gpuE2ELNS1_3repE0EEENS1_38merge_mergepath_config_static_selectorELNS0_4arch9wavefront6targetE1EEEvSJ_.has_recursion, 0
	.set _ZN7rocprim17ROCPRIM_400000_NS6detail17trampoline_kernelINS0_14default_configENS1_38merge_sort_block_merge_config_selectorIffEEZZNS1_27merge_sort_block_merge_implIS3_N6thrust23THRUST_200600_302600_NS6detail15normal_iteratorINS8_10device_ptrIfEEEESD_jNS1_19radix_merge_compareILb0ELb0EfNS0_19identity_decomposerEEEEE10hipError_tT0_T1_T2_jT3_P12ihipStream_tbPNSt15iterator_traitsISI_E10value_typeEPNSO_ISJ_E10value_typeEPSK_NS1_7vsmem_tEENKUlT_SI_SJ_SK_E_clISD_PfSD_S10_EESH_SX_SI_SJ_SK_EUlSX_E0_NS1_11comp_targetILNS1_3genE8ELNS1_11target_archE1030ELNS1_3gpuE2ELNS1_3repE0EEENS1_38merge_mergepath_config_static_selectorELNS0_4arch9wavefront6targetE1EEEvSJ_.has_indirect_call, 0
	.section	.AMDGPU.csdata,"",@progbits
; Kernel info:
; codeLenInByte = 0
; TotalNumSgprs: 6
; NumVgprs: 0
; NumAgprs: 0
; TotalNumVgprs: 0
; ScratchSize: 0
; MemoryBound: 0
; FloatMode: 240
; IeeeMode: 1
; LDSByteSize: 0 bytes/workgroup (compile time only)
; SGPRBlocks: 0
; VGPRBlocks: 0
; NumSGPRsForWavesPerEU: 6
; NumVGPRsForWavesPerEU: 1
; AccumOffset: 4
; Occupancy: 8
; WaveLimiterHint : 0
; COMPUTE_PGM_RSRC2:SCRATCH_EN: 0
; COMPUTE_PGM_RSRC2:USER_SGPR: 2
; COMPUTE_PGM_RSRC2:TRAP_HANDLER: 0
; COMPUTE_PGM_RSRC2:TGID_X_EN: 1
; COMPUTE_PGM_RSRC2:TGID_Y_EN: 0
; COMPUTE_PGM_RSRC2:TGID_Z_EN: 0
; COMPUTE_PGM_RSRC2:TIDIG_COMP_CNT: 0
; COMPUTE_PGM_RSRC3_GFX90A:ACCUM_OFFSET: 0
; COMPUTE_PGM_RSRC3_GFX90A:TG_SPLIT: 0
	.section	.text._ZN7rocprim17ROCPRIM_400000_NS6detail17trampoline_kernelINS0_14default_configENS1_38merge_sort_block_merge_config_selectorIffEEZZNS1_27merge_sort_block_merge_implIS3_N6thrust23THRUST_200600_302600_NS6detail15normal_iteratorINS8_10device_ptrIfEEEESD_jNS1_19radix_merge_compareILb0ELb0EfNS0_19identity_decomposerEEEEE10hipError_tT0_T1_T2_jT3_P12ihipStream_tbPNSt15iterator_traitsISI_E10value_typeEPNSO_ISJ_E10value_typeEPSK_NS1_7vsmem_tEENKUlT_SI_SJ_SK_E_clISD_PfSD_S10_EESH_SX_SI_SJ_SK_EUlSX_E1_NS1_11comp_targetILNS1_3genE0ELNS1_11target_archE4294967295ELNS1_3gpuE0ELNS1_3repE0EEENS1_36merge_oddeven_config_static_selectorELNS0_4arch9wavefront6targetE1EEEvSJ_,"axG",@progbits,_ZN7rocprim17ROCPRIM_400000_NS6detail17trampoline_kernelINS0_14default_configENS1_38merge_sort_block_merge_config_selectorIffEEZZNS1_27merge_sort_block_merge_implIS3_N6thrust23THRUST_200600_302600_NS6detail15normal_iteratorINS8_10device_ptrIfEEEESD_jNS1_19radix_merge_compareILb0ELb0EfNS0_19identity_decomposerEEEEE10hipError_tT0_T1_T2_jT3_P12ihipStream_tbPNSt15iterator_traitsISI_E10value_typeEPNSO_ISJ_E10value_typeEPSK_NS1_7vsmem_tEENKUlT_SI_SJ_SK_E_clISD_PfSD_S10_EESH_SX_SI_SJ_SK_EUlSX_E1_NS1_11comp_targetILNS1_3genE0ELNS1_11target_archE4294967295ELNS1_3gpuE0ELNS1_3repE0EEENS1_36merge_oddeven_config_static_selectorELNS0_4arch9wavefront6targetE1EEEvSJ_,comdat
	.protected	_ZN7rocprim17ROCPRIM_400000_NS6detail17trampoline_kernelINS0_14default_configENS1_38merge_sort_block_merge_config_selectorIffEEZZNS1_27merge_sort_block_merge_implIS3_N6thrust23THRUST_200600_302600_NS6detail15normal_iteratorINS8_10device_ptrIfEEEESD_jNS1_19radix_merge_compareILb0ELb0EfNS0_19identity_decomposerEEEEE10hipError_tT0_T1_T2_jT3_P12ihipStream_tbPNSt15iterator_traitsISI_E10value_typeEPNSO_ISJ_E10value_typeEPSK_NS1_7vsmem_tEENKUlT_SI_SJ_SK_E_clISD_PfSD_S10_EESH_SX_SI_SJ_SK_EUlSX_E1_NS1_11comp_targetILNS1_3genE0ELNS1_11target_archE4294967295ELNS1_3gpuE0ELNS1_3repE0EEENS1_36merge_oddeven_config_static_selectorELNS0_4arch9wavefront6targetE1EEEvSJ_ ; -- Begin function _ZN7rocprim17ROCPRIM_400000_NS6detail17trampoline_kernelINS0_14default_configENS1_38merge_sort_block_merge_config_selectorIffEEZZNS1_27merge_sort_block_merge_implIS3_N6thrust23THRUST_200600_302600_NS6detail15normal_iteratorINS8_10device_ptrIfEEEESD_jNS1_19radix_merge_compareILb0ELb0EfNS0_19identity_decomposerEEEEE10hipError_tT0_T1_T2_jT3_P12ihipStream_tbPNSt15iterator_traitsISI_E10value_typeEPNSO_ISJ_E10value_typeEPSK_NS1_7vsmem_tEENKUlT_SI_SJ_SK_E_clISD_PfSD_S10_EESH_SX_SI_SJ_SK_EUlSX_E1_NS1_11comp_targetILNS1_3genE0ELNS1_11target_archE4294967295ELNS1_3gpuE0ELNS1_3repE0EEENS1_36merge_oddeven_config_static_selectorELNS0_4arch9wavefront6targetE1EEEvSJ_
	.globl	_ZN7rocprim17ROCPRIM_400000_NS6detail17trampoline_kernelINS0_14default_configENS1_38merge_sort_block_merge_config_selectorIffEEZZNS1_27merge_sort_block_merge_implIS3_N6thrust23THRUST_200600_302600_NS6detail15normal_iteratorINS8_10device_ptrIfEEEESD_jNS1_19radix_merge_compareILb0ELb0EfNS0_19identity_decomposerEEEEE10hipError_tT0_T1_T2_jT3_P12ihipStream_tbPNSt15iterator_traitsISI_E10value_typeEPNSO_ISJ_E10value_typeEPSK_NS1_7vsmem_tEENKUlT_SI_SJ_SK_E_clISD_PfSD_S10_EESH_SX_SI_SJ_SK_EUlSX_E1_NS1_11comp_targetILNS1_3genE0ELNS1_11target_archE4294967295ELNS1_3gpuE0ELNS1_3repE0EEENS1_36merge_oddeven_config_static_selectorELNS0_4arch9wavefront6targetE1EEEvSJ_
	.p2align	8
	.type	_ZN7rocprim17ROCPRIM_400000_NS6detail17trampoline_kernelINS0_14default_configENS1_38merge_sort_block_merge_config_selectorIffEEZZNS1_27merge_sort_block_merge_implIS3_N6thrust23THRUST_200600_302600_NS6detail15normal_iteratorINS8_10device_ptrIfEEEESD_jNS1_19radix_merge_compareILb0ELb0EfNS0_19identity_decomposerEEEEE10hipError_tT0_T1_T2_jT3_P12ihipStream_tbPNSt15iterator_traitsISI_E10value_typeEPNSO_ISJ_E10value_typeEPSK_NS1_7vsmem_tEENKUlT_SI_SJ_SK_E_clISD_PfSD_S10_EESH_SX_SI_SJ_SK_EUlSX_E1_NS1_11comp_targetILNS1_3genE0ELNS1_11target_archE4294967295ELNS1_3gpuE0ELNS1_3repE0EEENS1_36merge_oddeven_config_static_selectorELNS0_4arch9wavefront6targetE1EEEvSJ_,@function
_ZN7rocprim17ROCPRIM_400000_NS6detail17trampoline_kernelINS0_14default_configENS1_38merge_sort_block_merge_config_selectorIffEEZZNS1_27merge_sort_block_merge_implIS3_N6thrust23THRUST_200600_302600_NS6detail15normal_iteratorINS8_10device_ptrIfEEEESD_jNS1_19radix_merge_compareILb0ELb0EfNS0_19identity_decomposerEEEEE10hipError_tT0_T1_T2_jT3_P12ihipStream_tbPNSt15iterator_traitsISI_E10value_typeEPNSO_ISJ_E10value_typeEPSK_NS1_7vsmem_tEENKUlT_SI_SJ_SK_E_clISD_PfSD_S10_EESH_SX_SI_SJ_SK_EUlSX_E1_NS1_11comp_targetILNS1_3genE0ELNS1_11target_archE4294967295ELNS1_3gpuE0ELNS1_3repE0EEENS1_36merge_oddeven_config_static_selectorELNS0_4arch9wavefront6targetE1EEEvSJ_: ; @_ZN7rocprim17ROCPRIM_400000_NS6detail17trampoline_kernelINS0_14default_configENS1_38merge_sort_block_merge_config_selectorIffEEZZNS1_27merge_sort_block_merge_implIS3_N6thrust23THRUST_200600_302600_NS6detail15normal_iteratorINS8_10device_ptrIfEEEESD_jNS1_19radix_merge_compareILb0ELb0EfNS0_19identity_decomposerEEEEE10hipError_tT0_T1_T2_jT3_P12ihipStream_tbPNSt15iterator_traitsISI_E10value_typeEPNSO_ISJ_E10value_typeEPSK_NS1_7vsmem_tEENKUlT_SI_SJ_SK_E_clISD_PfSD_S10_EESH_SX_SI_SJ_SK_EUlSX_E1_NS1_11comp_targetILNS1_3genE0ELNS1_11target_archE4294967295ELNS1_3gpuE0ELNS1_3repE0EEENS1_36merge_oddeven_config_static_selectorELNS0_4arch9wavefront6targetE1EEEvSJ_
; %bb.0:
	s_load_dword s18, s[0:1], 0x20
	s_waitcnt lgkmcnt(0)
	s_lshr_b32 s3, s18, 8
	s_cmp_eq_u32 s2, s3
	s_cselect_b64 s[6:7], -1, 0
	s_cmp_lg_u32 s2, s3
	s_cselect_b64 s[8:9], -1, 0
	s_lshl_b32 s16, s2, 8
	s_sub_i32 s3, s18, s16
	v_cmp_gt_u32_e64 s[4:5], s3, v0
	s_or_b64 s[8:9], s[8:9], s[4:5]
	s_and_saveexec_b64 s[10:11], s[8:9]
	s_cbranch_execz .LBB261_24
; %bb.1:
	s_load_dwordx8 s[8:15], s[0:1], 0x0
	s_mov_b32 s17, 0
	s_lshl_b64 s[20:21], s[16:17], 2
	v_lshlrev_b32_e32 v1, 2, v0
	s_load_dword s17, s[0:1], 0x24
	s_waitcnt lgkmcnt(0)
	s_add_u32 s22, s8, s20
	s_addc_u32 s23, s9, s21
	s_add_u32 s12, s12, s20
	s_addc_u32 s13, s13, s21
	global_load_dword v2, v1, s[12:13]
	global_load_dword v3, v1, s[22:23]
	s_lshr_b32 s0, s17, 8
	s_sub_i32 s1, 0, s0
	s_and_b32 s1, s2, s1
	s_and_b32 s0, s1, s0
	s_lshl_b32 s19, s1, 8
	s_sub_i32 s12, 0, s17
	s_cmp_eq_u32 s0, 0
	s_cselect_b64 s[0:1], -1, 0
	s_and_b64 s[2:3], s[0:1], exec
	s_cselect_b32 s12, s17, s12
	s_add_i32 s12, s12, s19
	s_mov_b64 s[2:3], -1
	s_cmp_gt_u32 s18, s12
	v_add_u32_e32 v0, s16, v0
	s_cbranch_scc1 .LBB261_9
; %bb.2:
	s_and_b64 vcc, exec, s[6:7]
	s_cbranch_vccz .LBB261_6
; %bb.3:
	v_cmp_gt_u32_e32 vcc, s18, v0
	s_and_saveexec_b64 s[2:3], vcc
	s_cbranch_execz .LBB261_5
; %bb.4:
	v_mov_b32_e32 v1, 0
	v_lshlrev_b64 v[4:5], 2, v[0:1]
	v_lshl_add_u64 v[6:7], s[10:11], 0, v[4:5]
	v_lshl_add_u64 v[4:5], s[14:15], 0, v[4:5]
	s_waitcnt vmcnt(0)
	global_store_dword v[6:7], v3, off
	global_store_dword v[4:5], v2, off
.LBB261_5:
	s_or_b64 exec, exec, s[2:3]
	s_mov_b64 s[2:3], 0
.LBB261_6:
	s_andn2_b64 vcc, exec, s[2:3]
	s_cbranch_vccnz .LBB261_8
; %bb.7:
	v_mov_b32_e32 v1, 0
	v_lshlrev_b64 v[4:5], 2, v[0:1]
	v_lshl_add_u64 v[6:7], s[10:11], 0, v[4:5]
	v_lshl_add_u64 v[4:5], s[14:15], 0, v[4:5]
	s_waitcnt vmcnt(0)
	global_store_dword v[6:7], v3, off
	global_store_dword v[4:5], v2, off
.LBB261_8:
	s_mov_b64 s[2:3], 0
.LBB261_9:
	s_andn2_b64 vcc, exec, s[2:3]
	s_cbranch_vccnz .LBB261_24
; %bb.10:
	s_min_u32 s13, s12, s18
	s_add_i32 s2, s13, s17
	s_min_u32 s16, s2, s18
	s_min_u32 s2, s19, s13
	s_add_i32 s19, s19, s13
	v_subrev_u32_e32 v0, s19, v0
	v_add_u32_e32 v4, s2, v0
	s_waitcnt vmcnt(0)
	v_add_f32_e32 v0, 0, v3
	v_ashrrev_i32_e32 v1, 31, v0
	s_brev_b32 s2, 1
	v_bitop3_b32 v5, v1, v0, s2 bitop3:0x36
	s_mov_b64 s[2:3], -1
	s_and_b64 vcc, exec, s[6:7]
	s_cbranch_vccz .LBB261_18
; %bb.11:
	s_and_saveexec_b64 s[2:3], s[4:5]
	s_cbranch_execz .LBB261_17
; %bb.12:
	s_cmp_ge_u32 s12, s16
	v_mov_b32_e32 v6, s13
	s_cbranch_scc1 .LBB261_16
; %bb.13:
	s_mov_b64 s[4:5], 0
	v_mov_b32_e32 v7, s16
	v_mov_b32_e32 v6, s13
	;; [unrolled: 1-line block ×3, first 2 shown]
	s_brev_b32 s6, 1
.LBB261_14:                             ; =>This Inner Loop Header: Depth=1
	v_add_u32_e32 v0, v6, v7
	v_lshrrev_b32_e32 v0, 1, v0
	v_lshl_add_u64 v[8:9], v[0:1], 2, s[8:9]
	global_load_dword v8, v[8:9], off
	v_add_u32_e32 v9, 1, v0
	s_waitcnt vmcnt(0)
	v_add_f32_e32 v8, 0, v8
	v_ashrrev_i32_e32 v10, 31, v8
	v_bitop3_b32 v8, v10, v8, s6 bitop3:0x36
	v_cmp_gt_u32_e32 vcc, v5, v8
	s_nop 1
	v_cndmask_b32_e64 v10, 0, 1, vcc
	v_cmp_le_u32_e32 vcc, v8, v5
	s_nop 1
	v_cndmask_b32_e64 v8, 0, 1, vcc
	v_cndmask_b32_e64 v8, v8, v10, s[0:1]
	v_and_b32_e32 v8, 1, v8
	v_cmp_eq_u32_e32 vcc, 1, v8
	s_nop 1
	v_cndmask_b32_e32 v7, v0, v7, vcc
	v_cndmask_b32_e32 v6, v6, v9, vcc
	v_cmp_ge_u32_e32 vcc, v6, v7
	s_or_b64 s[4:5], vcc, s[4:5]
	s_andn2_b64 exec, exec, s[4:5]
	s_cbranch_execnz .LBB261_14
; %bb.15:
	s_or_b64 exec, exec, s[4:5]
.LBB261_16:
	v_add_u32_e32 v0, v6, v4
	v_mov_b32_e32 v1, 0
	v_lshlrev_b64 v[0:1], 2, v[0:1]
	v_lshl_add_u64 v[6:7], s[10:11], 0, v[0:1]
	v_lshl_add_u64 v[0:1], s[14:15], 0, v[0:1]
	global_store_dword v[6:7], v3, off
	global_store_dword v[0:1], v2, off
.LBB261_17:
	s_or_b64 exec, exec, s[2:3]
	s_mov_b64 s[2:3], 0
.LBB261_18:
	s_andn2_b64 vcc, exec, s[2:3]
	s_cbranch_vccnz .LBB261_24
; %bb.19:
	s_cmp_ge_u32 s12, s16
	v_mov_b32_e32 v6, s13
	s_cbranch_scc1 .LBB261_23
; %bb.20:
	s_mov_b64 s[2:3], 0
	v_mov_b32_e32 v7, s16
	v_mov_b32_e32 v6, s13
	;; [unrolled: 1-line block ×3, first 2 shown]
	s_brev_b32 s4, 1
.LBB261_21:                             ; =>This Inner Loop Header: Depth=1
	v_add_u32_e32 v0, v6, v7
	v_lshrrev_b32_e32 v0, 1, v0
	v_lshl_add_u64 v[8:9], v[0:1], 2, s[8:9]
	global_load_dword v8, v[8:9], off
	v_add_u32_e32 v9, 1, v0
	s_waitcnt vmcnt(0)
	v_add_f32_e32 v8, 0, v8
	v_ashrrev_i32_e32 v10, 31, v8
	v_bitop3_b32 v8, v10, v8, s4 bitop3:0x36
	v_cmp_gt_u32_e32 vcc, v5, v8
	s_nop 1
	v_cndmask_b32_e64 v10, 0, 1, vcc
	v_cmp_le_u32_e32 vcc, v8, v5
	s_nop 1
	v_cndmask_b32_e64 v8, 0, 1, vcc
	v_cndmask_b32_e64 v8, v8, v10, s[0:1]
	v_and_b32_e32 v8, 1, v8
	v_cmp_eq_u32_e32 vcc, 1, v8
	s_nop 1
	v_cndmask_b32_e32 v7, v0, v7, vcc
	v_cndmask_b32_e32 v6, v6, v9, vcc
	v_cmp_ge_u32_e32 vcc, v6, v7
	s_or_b64 s[2:3], vcc, s[2:3]
	s_andn2_b64 exec, exec, s[2:3]
	s_cbranch_execnz .LBB261_21
; %bb.22:
	s_or_b64 exec, exec, s[2:3]
.LBB261_23:
	v_add_u32_e32 v0, v6, v4
	v_mov_b32_e32 v1, 0
	v_lshlrev_b64 v[0:1], 2, v[0:1]
	v_lshl_add_u64 v[4:5], s[10:11], 0, v[0:1]
	v_lshl_add_u64 v[0:1], s[14:15], 0, v[0:1]
	global_store_dword v[4:5], v3, off
	global_store_dword v[0:1], v2, off
.LBB261_24:
	s_endpgm
	.section	.rodata,"a",@progbits
	.p2align	6, 0x0
	.amdhsa_kernel _ZN7rocprim17ROCPRIM_400000_NS6detail17trampoline_kernelINS0_14default_configENS1_38merge_sort_block_merge_config_selectorIffEEZZNS1_27merge_sort_block_merge_implIS3_N6thrust23THRUST_200600_302600_NS6detail15normal_iteratorINS8_10device_ptrIfEEEESD_jNS1_19radix_merge_compareILb0ELb0EfNS0_19identity_decomposerEEEEE10hipError_tT0_T1_T2_jT3_P12ihipStream_tbPNSt15iterator_traitsISI_E10value_typeEPNSO_ISJ_E10value_typeEPSK_NS1_7vsmem_tEENKUlT_SI_SJ_SK_E_clISD_PfSD_S10_EESH_SX_SI_SJ_SK_EUlSX_E1_NS1_11comp_targetILNS1_3genE0ELNS1_11target_archE4294967295ELNS1_3gpuE0ELNS1_3repE0EEENS1_36merge_oddeven_config_static_selectorELNS0_4arch9wavefront6targetE1EEEvSJ_
		.amdhsa_group_segment_fixed_size 0
		.amdhsa_private_segment_fixed_size 0
		.amdhsa_kernarg_size 48
		.amdhsa_user_sgpr_count 2
		.amdhsa_user_sgpr_dispatch_ptr 0
		.amdhsa_user_sgpr_queue_ptr 0
		.amdhsa_user_sgpr_kernarg_segment_ptr 1
		.amdhsa_user_sgpr_dispatch_id 0
		.amdhsa_user_sgpr_kernarg_preload_length 0
		.amdhsa_user_sgpr_kernarg_preload_offset 0
		.amdhsa_user_sgpr_private_segment_size 0
		.amdhsa_uses_dynamic_stack 0
		.amdhsa_enable_private_segment 0
		.amdhsa_system_sgpr_workgroup_id_x 1
		.amdhsa_system_sgpr_workgroup_id_y 0
		.amdhsa_system_sgpr_workgroup_id_z 0
		.amdhsa_system_sgpr_workgroup_info 0
		.amdhsa_system_vgpr_workitem_id 0
		.amdhsa_next_free_vgpr 11
		.amdhsa_next_free_sgpr 24
		.amdhsa_accum_offset 12
		.amdhsa_reserve_vcc 1
		.amdhsa_float_round_mode_32 0
		.amdhsa_float_round_mode_16_64 0
		.amdhsa_float_denorm_mode_32 3
		.amdhsa_float_denorm_mode_16_64 3
		.amdhsa_dx10_clamp 1
		.amdhsa_ieee_mode 1
		.amdhsa_fp16_overflow 0
		.amdhsa_tg_split 0
		.amdhsa_exception_fp_ieee_invalid_op 0
		.amdhsa_exception_fp_denorm_src 0
		.amdhsa_exception_fp_ieee_div_zero 0
		.amdhsa_exception_fp_ieee_overflow 0
		.amdhsa_exception_fp_ieee_underflow 0
		.amdhsa_exception_fp_ieee_inexact 0
		.amdhsa_exception_int_div_zero 0
	.end_amdhsa_kernel
	.section	.text._ZN7rocprim17ROCPRIM_400000_NS6detail17trampoline_kernelINS0_14default_configENS1_38merge_sort_block_merge_config_selectorIffEEZZNS1_27merge_sort_block_merge_implIS3_N6thrust23THRUST_200600_302600_NS6detail15normal_iteratorINS8_10device_ptrIfEEEESD_jNS1_19radix_merge_compareILb0ELb0EfNS0_19identity_decomposerEEEEE10hipError_tT0_T1_T2_jT3_P12ihipStream_tbPNSt15iterator_traitsISI_E10value_typeEPNSO_ISJ_E10value_typeEPSK_NS1_7vsmem_tEENKUlT_SI_SJ_SK_E_clISD_PfSD_S10_EESH_SX_SI_SJ_SK_EUlSX_E1_NS1_11comp_targetILNS1_3genE0ELNS1_11target_archE4294967295ELNS1_3gpuE0ELNS1_3repE0EEENS1_36merge_oddeven_config_static_selectorELNS0_4arch9wavefront6targetE1EEEvSJ_,"axG",@progbits,_ZN7rocprim17ROCPRIM_400000_NS6detail17trampoline_kernelINS0_14default_configENS1_38merge_sort_block_merge_config_selectorIffEEZZNS1_27merge_sort_block_merge_implIS3_N6thrust23THRUST_200600_302600_NS6detail15normal_iteratorINS8_10device_ptrIfEEEESD_jNS1_19radix_merge_compareILb0ELb0EfNS0_19identity_decomposerEEEEE10hipError_tT0_T1_T2_jT3_P12ihipStream_tbPNSt15iterator_traitsISI_E10value_typeEPNSO_ISJ_E10value_typeEPSK_NS1_7vsmem_tEENKUlT_SI_SJ_SK_E_clISD_PfSD_S10_EESH_SX_SI_SJ_SK_EUlSX_E1_NS1_11comp_targetILNS1_3genE0ELNS1_11target_archE4294967295ELNS1_3gpuE0ELNS1_3repE0EEENS1_36merge_oddeven_config_static_selectorELNS0_4arch9wavefront6targetE1EEEvSJ_,comdat
.Lfunc_end261:
	.size	_ZN7rocprim17ROCPRIM_400000_NS6detail17trampoline_kernelINS0_14default_configENS1_38merge_sort_block_merge_config_selectorIffEEZZNS1_27merge_sort_block_merge_implIS3_N6thrust23THRUST_200600_302600_NS6detail15normal_iteratorINS8_10device_ptrIfEEEESD_jNS1_19radix_merge_compareILb0ELb0EfNS0_19identity_decomposerEEEEE10hipError_tT0_T1_T2_jT3_P12ihipStream_tbPNSt15iterator_traitsISI_E10value_typeEPNSO_ISJ_E10value_typeEPSK_NS1_7vsmem_tEENKUlT_SI_SJ_SK_E_clISD_PfSD_S10_EESH_SX_SI_SJ_SK_EUlSX_E1_NS1_11comp_targetILNS1_3genE0ELNS1_11target_archE4294967295ELNS1_3gpuE0ELNS1_3repE0EEENS1_36merge_oddeven_config_static_selectorELNS0_4arch9wavefront6targetE1EEEvSJ_, .Lfunc_end261-_ZN7rocprim17ROCPRIM_400000_NS6detail17trampoline_kernelINS0_14default_configENS1_38merge_sort_block_merge_config_selectorIffEEZZNS1_27merge_sort_block_merge_implIS3_N6thrust23THRUST_200600_302600_NS6detail15normal_iteratorINS8_10device_ptrIfEEEESD_jNS1_19radix_merge_compareILb0ELb0EfNS0_19identity_decomposerEEEEE10hipError_tT0_T1_T2_jT3_P12ihipStream_tbPNSt15iterator_traitsISI_E10value_typeEPNSO_ISJ_E10value_typeEPSK_NS1_7vsmem_tEENKUlT_SI_SJ_SK_E_clISD_PfSD_S10_EESH_SX_SI_SJ_SK_EUlSX_E1_NS1_11comp_targetILNS1_3genE0ELNS1_11target_archE4294967295ELNS1_3gpuE0ELNS1_3repE0EEENS1_36merge_oddeven_config_static_selectorELNS0_4arch9wavefront6targetE1EEEvSJ_
                                        ; -- End function
	.set _ZN7rocprim17ROCPRIM_400000_NS6detail17trampoline_kernelINS0_14default_configENS1_38merge_sort_block_merge_config_selectorIffEEZZNS1_27merge_sort_block_merge_implIS3_N6thrust23THRUST_200600_302600_NS6detail15normal_iteratorINS8_10device_ptrIfEEEESD_jNS1_19radix_merge_compareILb0ELb0EfNS0_19identity_decomposerEEEEE10hipError_tT0_T1_T2_jT3_P12ihipStream_tbPNSt15iterator_traitsISI_E10value_typeEPNSO_ISJ_E10value_typeEPSK_NS1_7vsmem_tEENKUlT_SI_SJ_SK_E_clISD_PfSD_S10_EESH_SX_SI_SJ_SK_EUlSX_E1_NS1_11comp_targetILNS1_3genE0ELNS1_11target_archE4294967295ELNS1_3gpuE0ELNS1_3repE0EEENS1_36merge_oddeven_config_static_selectorELNS0_4arch9wavefront6targetE1EEEvSJ_.num_vgpr, 11
	.set _ZN7rocprim17ROCPRIM_400000_NS6detail17trampoline_kernelINS0_14default_configENS1_38merge_sort_block_merge_config_selectorIffEEZZNS1_27merge_sort_block_merge_implIS3_N6thrust23THRUST_200600_302600_NS6detail15normal_iteratorINS8_10device_ptrIfEEEESD_jNS1_19radix_merge_compareILb0ELb0EfNS0_19identity_decomposerEEEEE10hipError_tT0_T1_T2_jT3_P12ihipStream_tbPNSt15iterator_traitsISI_E10value_typeEPNSO_ISJ_E10value_typeEPSK_NS1_7vsmem_tEENKUlT_SI_SJ_SK_E_clISD_PfSD_S10_EESH_SX_SI_SJ_SK_EUlSX_E1_NS1_11comp_targetILNS1_3genE0ELNS1_11target_archE4294967295ELNS1_3gpuE0ELNS1_3repE0EEENS1_36merge_oddeven_config_static_selectorELNS0_4arch9wavefront6targetE1EEEvSJ_.num_agpr, 0
	.set _ZN7rocprim17ROCPRIM_400000_NS6detail17trampoline_kernelINS0_14default_configENS1_38merge_sort_block_merge_config_selectorIffEEZZNS1_27merge_sort_block_merge_implIS3_N6thrust23THRUST_200600_302600_NS6detail15normal_iteratorINS8_10device_ptrIfEEEESD_jNS1_19radix_merge_compareILb0ELb0EfNS0_19identity_decomposerEEEEE10hipError_tT0_T1_T2_jT3_P12ihipStream_tbPNSt15iterator_traitsISI_E10value_typeEPNSO_ISJ_E10value_typeEPSK_NS1_7vsmem_tEENKUlT_SI_SJ_SK_E_clISD_PfSD_S10_EESH_SX_SI_SJ_SK_EUlSX_E1_NS1_11comp_targetILNS1_3genE0ELNS1_11target_archE4294967295ELNS1_3gpuE0ELNS1_3repE0EEENS1_36merge_oddeven_config_static_selectorELNS0_4arch9wavefront6targetE1EEEvSJ_.numbered_sgpr, 24
	.set _ZN7rocprim17ROCPRIM_400000_NS6detail17trampoline_kernelINS0_14default_configENS1_38merge_sort_block_merge_config_selectorIffEEZZNS1_27merge_sort_block_merge_implIS3_N6thrust23THRUST_200600_302600_NS6detail15normal_iteratorINS8_10device_ptrIfEEEESD_jNS1_19radix_merge_compareILb0ELb0EfNS0_19identity_decomposerEEEEE10hipError_tT0_T1_T2_jT3_P12ihipStream_tbPNSt15iterator_traitsISI_E10value_typeEPNSO_ISJ_E10value_typeEPSK_NS1_7vsmem_tEENKUlT_SI_SJ_SK_E_clISD_PfSD_S10_EESH_SX_SI_SJ_SK_EUlSX_E1_NS1_11comp_targetILNS1_3genE0ELNS1_11target_archE4294967295ELNS1_3gpuE0ELNS1_3repE0EEENS1_36merge_oddeven_config_static_selectorELNS0_4arch9wavefront6targetE1EEEvSJ_.num_named_barrier, 0
	.set _ZN7rocprim17ROCPRIM_400000_NS6detail17trampoline_kernelINS0_14default_configENS1_38merge_sort_block_merge_config_selectorIffEEZZNS1_27merge_sort_block_merge_implIS3_N6thrust23THRUST_200600_302600_NS6detail15normal_iteratorINS8_10device_ptrIfEEEESD_jNS1_19radix_merge_compareILb0ELb0EfNS0_19identity_decomposerEEEEE10hipError_tT0_T1_T2_jT3_P12ihipStream_tbPNSt15iterator_traitsISI_E10value_typeEPNSO_ISJ_E10value_typeEPSK_NS1_7vsmem_tEENKUlT_SI_SJ_SK_E_clISD_PfSD_S10_EESH_SX_SI_SJ_SK_EUlSX_E1_NS1_11comp_targetILNS1_3genE0ELNS1_11target_archE4294967295ELNS1_3gpuE0ELNS1_3repE0EEENS1_36merge_oddeven_config_static_selectorELNS0_4arch9wavefront6targetE1EEEvSJ_.private_seg_size, 0
	.set _ZN7rocprim17ROCPRIM_400000_NS6detail17trampoline_kernelINS0_14default_configENS1_38merge_sort_block_merge_config_selectorIffEEZZNS1_27merge_sort_block_merge_implIS3_N6thrust23THRUST_200600_302600_NS6detail15normal_iteratorINS8_10device_ptrIfEEEESD_jNS1_19radix_merge_compareILb0ELb0EfNS0_19identity_decomposerEEEEE10hipError_tT0_T1_T2_jT3_P12ihipStream_tbPNSt15iterator_traitsISI_E10value_typeEPNSO_ISJ_E10value_typeEPSK_NS1_7vsmem_tEENKUlT_SI_SJ_SK_E_clISD_PfSD_S10_EESH_SX_SI_SJ_SK_EUlSX_E1_NS1_11comp_targetILNS1_3genE0ELNS1_11target_archE4294967295ELNS1_3gpuE0ELNS1_3repE0EEENS1_36merge_oddeven_config_static_selectorELNS0_4arch9wavefront6targetE1EEEvSJ_.uses_vcc, 1
	.set _ZN7rocprim17ROCPRIM_400000_NS6detail17trampoline_kernelINS0_14default_configENS1_38merge_sort_block_merge_config_selectorIffEEZZNS1_27merge_sort_block_merge_implIS3_N6thrust23THRUST_200600_302600_NS6detail15normal_iteratorINS8_10device_ptrIfEEEESD_jNS1_19radix_merge_compareILb0ELb0EfNS0_19identity_decomposerEEEEE10hipError_tT0_T1_T2_jT3_P12ihipStream_tbPNSt15iterator_traitsISI_E10value_typeEPNSO_ISJ_E10value_typeEPSK_NS1_7vsmem_tEENKUlT_SI_SJ_SK_E_clISD_PfSD_S10_EESH_SX_SI_SJ_SK_EUlSX_E1_NS1_11comp_targetILNS1_3genE0ELNS1_11target_archE4294967295ELNS1_3gpuE0ELNS1_3repE0EEENS1_36merge_oddeven_config_static_selectorELNS0_4arch9wavefront6targetE1EEEvSJ_.uses_flat_scratch, 0
	.set _ZN7rocprim17ROCPRIM_400000_NS6detail17trampoline_kernelINS0_14default_configENS1_38merge_sort_block_merge_config_selectorIffEEZZNS1_27merge_sort_block_merge_implIS3_N6thrust23THRUST_200600_302600_NS6detail15normal_iteratorINS8_10device_ptrIfEEEESD_jNS1_19radix_merge_compareILb0ELb0EfNS0_19identity_decomposerEEEEE10hipError_tT0_T1_T2_jT3_P12ihipStream_tbPNSt15iterator_traitsISI_E10value_typeEPNSO_ISJ_E10value_typeEPSK_NS1_7vsmem_tEENKUlT_SI_SJ_SK_E_clISD_PfSD_S10_EESH_SX_SI_SJ_SK_EUlSX_E1_NS1_11comp_targetILNS1_3genE0ELNS1_11target_archE4294967295ELNS1_3gpuE0ELNS1_3repE0EEENS1_36merge_oddeven_config_static_selectorELNS0_4arch9wavefront6targetE1EEEvSJ_.has_dyn_sized_stack, 0
	.set _ZN7rocprim17ROCPRIM_400000_NS6detail17trampoline_kernelINS0_14default_configENS1_38merge_sort_block_merge_config_selectorIffEEZZNS1_27merge_sort_block_merge_implIS3_N6thrust23THRUST_200600_302600_NS6detail15normal_iteratorINS8_10device_ptrIfEEEESD_jNS1_19radix_merge_compareILb0ELb0EfNS0_19identity_decomposerEEEEE10hipError_tT0_T1_T2_jT3_P12ihipStream_tbPNSt15iterator_traitsISI_E10value_typeEPNSO_ISJ_E10value_typeEPSK_NS1_7vsmem_tEENKUlT_SI_SJ_SK_E_clISD_PfSD_S10_EESH_SX_SI_SJ_SK_EUlSX_E1_NS1_11comp_targetILNS1_3genE0ELNS1_11target_archE4294967295ELNS1_3gpuE0ELNS1_3repE0EEENS1_36merge_oddeven_config_static_selectorELNS0_4arch9wavefront6targetE1EEEvSJ_.has_recursion, 0
	.set _ZN7rocprim17ROCPRIM_400000_NS6detail17trampoline_kernelINS0_14default_configENS1_38merge_sort_block_merge_config_selectorIffEEZZNS1_27merge_sort_block_merge_implIS3_N6thrust23THRUST_200600_302600_NS6detail15normal_iteratorINS8_10device_ptrIfEEEESD_jNS1_19radix_merge_compareILb0ELb0EfNS0_19identity_decomposerEEEEE10hipError_tT0_T1_T2_jT3_P12ihipStream_tbPNSt15iterator_traitsISI_E10value_typeEPNSO_ISJ_E10value_typeEPSK_NS1_7vsmem_tEENKUlT_SI_SJ_SK_E_clISD_PfSD_S10_EESH_SX_SI_SJ_SK_EUlSX_E1_NS1_11comp_targetILNS1_3genE0ELNS1_11target_archE4294967295ELNS1_3gpuE0ELNS1_3repE0EEENS1_36merge_oddeven_config_static_selectorELNS0_4arch9wavefront6targetE1EEEvSJ_.has_indirect_call, 0
	.section	.AMDGPU.csdata,"",@progbits
; Kernel info:
; codeLenInByte = 836
; TotalNumSgprs: 30
; NumVgprs: 11
; NumAgprs: 0
; TotalNumVgprs: 11
; ScratchSize: 0
; MemoryBound: 0
; FloatMode: 240
; IeeeMode: 1
; LDSByteSize: 0 bytes/workgroup (compile time only)
; SGPRBlocks: 3
; VGPRBlocks: 1
; NumSGPRsForWavesPerEU: 30
; NumVGPRsForWavesPerEU: 11
; AccumOffset: 12
; Occupancy: 8
; WaveLimiterHint : 0
; COMPUTE_PGM_RSRC2:SCRATCH_EN: 0
; COMPUTE_PGM_RSRC2:USER_SGPR: 2
; COMPUTE_PGM_RSRC2:TRAP_HANDLER: 0
; COMPUTE_PGM_RSRC2:TGID_X_EN: 1
; COMPUTE_PGM_RSRC2:TGID_Y_EN: 0
; COMPUTE_PGM_RSRC2:TGID_Z_EN: 0
; COMPUTE_PGM_RSRC2:TIDIG_COMP_CNT: 0
; COMPUTE_PGM_RSRC3_GFX90A:ACCUM_OFFSET: 2
; COMPUTE_PGM_RSRC3_GFX90A:TG_SPLIT: 0
	.section	.text._ZN7rocprim17ROCPRIM_400000_NS6detail17trampoline_kernelINS0_14default_configENS1_38merge_sort_block_merge_config_selectorIffEEZZNS1_27merge_sort_block_merge_implIS3_N6thrust23THRUST_200600_302600_NS6detail15normal_iteratorINS8_10device_ptrIfEEEESD_jNS1_19radix_merge_compareILb0ELb0EfNS0_19identity_decomposerEEEEE10hipError_tT0_T1_T2_jT3_P12ihipStream_tbPNSt15iterator_traitsISI_E10value_typeEPNSO_ISJ_E10value_typeEPSK_NS1_7vsmem_tEENKUlT_SI_SJ_SK_E_clISD_PfSD_S10_EESH_SX_SI_SJ_SK_EUlSX_E1_NS1_11comp_targetILNS1_3genE10ELNS1_11target_archE1201ELNS1_3gpuE5ELNS1_3repE0EEENS1_36merge_oddeven_config_static_selectorELNS0_4arch9wavefront6targetE1EEEvSJ_,"axG",@progbits,_ZN7rocprim17ROCPRIM_400000_NS6detail17trampoline_kernelINS0_14default_configENS1_38merge_sort_block_merge_config_selectorIffEEZZNS1_27merge_sort_block_merge_implIS3_N6thrust23THRUST_200600_302600_NS6detail15normal_iteratorINS8_10device_ptrIfEEEESD_jNS1_19radix_merge_compareILb0ELb0EfNS0_19identity_decomposerEEEEE10hipError_tT0_T1_T2_jT3_P12ihipStream_tbPNSt15iterator_traitsISI_E10value_typeEPNSO_ISJ_E10value_typeEPSK_NS1_7vsmem_tEENKUlT_SI_SJ_SK_E_clISD_PfSD_S10_EESH_SX_SI_SJ_SK_EUlSX_E1_NS1_11comp_targetILNS1_3genE10ELNS1_11target_archE1201ELNS1_3gpuE5ELNS1_3repE0EEENS1_36merge_oddeven_config_static_selectorELNS0_4arch9wavefront6targetE1EEEvSJ_,comdat
	.protected	_ZN7rocprim17ROCPRIM_400000_NS6detail17trampoline_kernelINS0_14default_configENS1_38merge_sort_block_merge_config_selectorIffEEZZNS1_27merge_sort_block_merge_implIS3_N6thrust23THRUST_200600_302600_NS6detail15normal_iteratorINS8_10device_ptrIfEEEESD_jNS1_19radix_merge_compareILb0ELb0EfNS0_19identity_decomposerEEEEE10hipError_tT0_T1_T2_jT3_P12ihipStream_tbPNSt15iterator_traitsISI_E10value_typeEPNSO_ISJ_E10value_typeEPSK_NS1_7vsmem_tEENKUlT_SI_SJ_SK_E_clISD_PfSD_S10_EESH_SX_SI_SJ_SK_EUlSX_E1_NS1_11comp_targetILNS1_3genE10ELNS1_11target_archE1201ELNS1_3gpuE5ELNS1_3repE0EEENS1_36merge_oddeven_config_static_selectorELNS0_4arch9wavefront6targetE1EEEvSJ_ ; -- Begin function _ZN7rocprim17ROCPRIM_400000_NS6detail17trampoline_kernelINS0_14default_configENS1_38merge_sort_block_merge_config_selectorIffEEZZNS1_27merge_sort_block_merge_implIS3_N6thrust23THRUST_200600_302600_NS6detail15normal_iteratorINS8_10device_ptrIfEEEESD_jNS1_19radix_merge_compareILb0ELb0EfNS0_19identity_decomposerEEEEE10hipError_tT0_T1_T2_jT3_P12ihipStream_tbPNSt15iterator_traitsISI_E10value_typeEPNSO_ISJ_E10value_typeEPSK_NS1_7vsmem_tEENKUlT_SI_SJ_SK_E_clISD_PfSD_S10_EESH_SX_SI_SJ_SK_EUlSX_E1_NS1_11comp_targetILNS1_3genE10ELNS1_11target_archE1201ELNS1_3gpuE5ELNS1_3repE0EEENS1_36merge_oddeven_config_static_selectorELNS0_4arch9wavefront6targetE1EEEvSJ_
	.globl	_ZN7rocprim17ROCPRIM_400000_NS6detail17trampoline_kernelINS0_14default_configENS1_38merge_sort_block_merge_config_selectorIffEEZZNS1_27merge_sort_block_merge_implIS3_N6thrust23THRUST_200600_302600_NS6detail15normal_iteratorINS8_10device_ptrIfEEEESD_jNS1_19radix_merge_compareILb0ELb0EfNS0_19identity_decomposerEEEEE10hipError_tT0_T1_T2_jT3_P12ihipStream_tbPNSt15iterator_traitsISI_E10value_typeEPNSO_ISJ_E10value_typeEPSK_NS1_7vsmem_tEENKUlT_SI_SJ_SK_E_clISD_PfSD_S10_EESH_SX_SI_SJ_SK_EUlSX_E1_NS1_11comp_targetILNS1_3genE10ELNS1_11target_archE1201ELNS1_3gpuE5ELNS1_3repE0EEENS1_36merge_oddeven_config_static_selectorELNS0_4arch9wavefront6targetE1EEEvSJ_
	.p2align	8
	.type	_ZN7rocprim17ROCPRIM_400000_NS6detail17trampoline_kernelINS0_14default_configENS1_38merge_sort_block_merge_config_selectorIffEEZZNS1_27merge_sort_block_merge_implIS3_N6thrust23THRUST_200600_302600_NS6detail15normal_iteratorINS8_10device_ptrIfEEEESD_jNS1_19radix_merge_compareILb0ELb0EfNS0_19identity_decomposerEEEEE10hipError_tT0_T1_T2_jT3_P12ihipStream_tbPNSt15iterator_traitsISI_E10value_typeEPNSO_ISJ_E10value_typeEPSK_NS1_7vsmem_tEENKUlT_SI_SJ_SK_E_clISD_PfSD_S10_EESH_SX_SI_SJ_SK_EUlSX_E1_NS1_11comp_targetILNS1_3genE10ELNS1_11target_archE1201ELNS1_3gpuE5ELNS1_3repE0EEENS1_36merge_oddeven_config_static_selectorELNS0_4arch9wavefront6targetE1EEEvSJ_,@function
_ZN7rocprim17ROCPRIM_400000_NS6detail17trampoline_kernelINS0_14default_configENS1_38merge_sort_block_merge_config_selectorIffEEZZNS1_27merge_sort_block_merge_implIS3_N6thrust23THRUST_200600_302600_NS6detail15normal_iteratorINS8_10device_ptrIfEEEESD_jNS1_19radix_merge_compareILb0ELb0EfNS0_19identity_decomposerEEEEE10hipError_tT0_T1_T2_jT3_P12ihipStream_tbPNSt15iterator_traitsISI_E10value_typeEPNSO_ISJ_E10value_typeEPSK_NS1_7vsmem_tEENKUlT_SI_SJ_SK_E_clISD_PfSD_S10_EESH_SX_SI_SJ_SK_EUlSX_E1_NS1_11comp_targetILNS1_3genE10ELNS1_11target_archE1201ELNS1_3gpuE5ELNS1_3repE0EEENS1_36merge_oddeven_config_static_selectorELNS0_4arch9wavefront6targetE1EEEvSJ_: ; @_ZN7rocprim17ROCPRIM_400000_NS6detail17trampoline_kernelINS0_14default_configENS1_38merge_sort_block_merge_config_selectorIffEEZZNS1_27merge_sort_block_merge_implIS3_N6thrust23THRUST_200600_302600_NS6detail15normal_iteratorINS8_10device_ptrIfEEEESD_jNS1_19radix_merge_compareILb0ELb0EfNS0_19identity_decomposerEEEEE10hipError_tT0_T1_T2_jT3_P12ihipStream_tbPNSt15iterator_traitsISI_E10value_typeEPNSO_ISJ_E10value_typeEPSK_NS1_7vsmem_tEENKUlT_SI_SJ_SK_E_clISD_PfSD_S10_EESH_SX_SI_SJ_SK_EUlSX_E1_NS1_11comp_targetILNS1_3genE10ELNS1_11target_archE1201ELNS1_3gpuE5ELNS1_3repE0EEENS1_36merge_oddeven_config_static_selectorELNS0_4arch9wavefront6targetE1EEEvSJ_
; %bb.0:
	.section	.rodata,"a",@progbits
	.p2align	6, 0x0
	.amdhsa_kernel _ZN7rocprim17ROCPRIM_400000_NS6detail17trampoline_kernelINS0_14default_configENS1_38merge_sort_block_merge_config_selectorIffEEZZNS1_27merge_sort_block_merge_implIS3_N6thrust23THRUST_200600_302600_NS6detail15normal_iteratorINS8_10device_ptrIfEEEESD_jNS1_19radix_merge_compareILb0ELb0EfNS0_19identity_decomposerEEEEE10hipError_tT0_T1_T2_jT3_P12ihipStream_tbPNSt15iterator_traitsISI_E10value_typeEPNSO_ISJ_E10value_typeEPSK_NS1_7vsmem_tEENKUlT_SI_SJ_SK_E_clISD_PfSD_S10_EESH_SX_SI_SJ_SK_EUlSX_E1_NS1_11comp_targetILNS1_3genE10ELNS1_11target_archE1201ELNS1_3gpuE5ELNS1_3repE0EEENS1_36merge_oddeven_config_static_selectorELNS0_4arch9wavefront6targetE1EEEvSJ_
		.amdhsa_group_segment_fixed_size 0
		.amdhsa_private_segment_fixed_size 0
		.amdhsa_kernarg_size 48
		.amdhsa_user_sgpr_count 2
		.amdhsa_user_sgpr_dispatch_ptr 0
		.amdhsa_user_sgpr_queue_ptr 0
		.amdhsa_user_sgpr_kernarg_segment_ptr 1
		.amdhsa_user_sgpr_dispatch_id 0
		.amdhsa_user_sgpr_kernarg_preload_length 0
		.amdhsa_user_sgpr_kernarg_preload_offset 0
		.amdhsa_user_sgpr_private_segment_size 0
		.amdhsa_uses_dynamic_stack 0
		.amdhsa_enable_private_segment 0
		.amdhsa_system_sgpr_workgroup_id_x 1
		.amdhsa_system_sgpr_workgroup_id_y 0
		.amdhsa_system_sgpr_workgroup_id_z 0
		.amdhsa_system_sgpr_workgroup_info 0
		.amdhsa_system_vgpr_workitem_id 0
		.amdhsa_next_free_vgpr 1
		.amdhsa_next_free_sgpr 0
		.amdhsa_accum_offset 4
		.amdhsa_reserve_vcc 0
		.amdhsa_float_round_mode_32 0
		.amdhsa_float_round_mode_16_64 0
		.amdhsa_float_denorm_mode_32 3
		.amdhsa_float_denorm_mode_16_64 3
		.amdhsa_dx10_clamp 1
		.amdhsa_ieee_mode 1
		.amdhsa_fp16_overflow 0
		.amdhsa_tg_split 0
		.amdhsa_exception_fp_ieee_invalid_op 0
		.amdhsa_exception_fp_denorm_src 0
		.amdhsa_exception_fp_ieee_div_zero 0
		.amdhsa_exception_fp_ieee_overflow 0
		.amdhsa_exception_fp_ieee_underflow 0
		.amdhsa_exception_fp_ieee_inexact 0
		.amdhsa_exception_int_div_zero 0
	.end_amdhsa_kernel
	.section	.text._ZN7rocprim17ROCPRIM_400000_NS6detail17trampoline_kernelINS0_14default_configENS1_38merge_sort_block_merge_config_selectorIffEEZZNS1_27merge_sort_block_merge_implIS3_N6thrust23THRUST_200600_302600_NS6detail15normal_iteratorINS8_10device_ptrIfEEEESD_jNS1_19radix_merge_compareILb0ELb0EfNS0_19identity_decomposerEEEEE10hipError_tT0_T1_T2_jT3_P12ihipStream_tbPNSt15iterator_traitsISI_E10value_typeEPNSO_ISJ_E10value_typeEPSK_NS1_7vsmem_tEENKUlT_SI_SJ_SK_E_clISD_PfSD_S10_EESH_SX_SI_SJ_SK_EUlSX_E1_NS1_11comp_targetILNS1_3genE10ELNS1_11target_archE1201ELNS1_3gpuE5ELNS1_3repE0EEENS1_36merge_oddeven_config_static_selectorELNS0_4arch9wavefront6targetE1EEEvSJ_,"axG",@progbits,_ZN7rocprim17ROCPRIM_400000_NS6detail17trampoline_kernelINS0_14default_configENS1_38merge_sort_block_merge_config_selectorIffEEZZNS1_27merge_sort_block_merge_implIS3_N6thrust23THRUST_200600_302600_NS6detail15normal_iteratorINS8_10device_ptrIfEEEESD_jNS1_19radix_merge_compareILb0ELb0EfNS0_19identity_decomposerEEEEE10hipError_tT0_T1_T2_jT3_P12ihipStream_tbPNSt15iterator_traitsISI_E10value_typeEPNSO_ISJ_E10value_typeEPSK_NS1_7vsmem_tEENKUlT_SI_SJ_SK_E_clISD_PfSD_S10_EESH_SX_SI_SJ_SK_EUlSX_E1_NS1_11comp_targetILNS1_3genE10ELNS1_11target_archE1201ELNS1_3gpuE5ELNS1_3repE0EEENS1_36merge_oddeven_config_static_selectorELNS0_4arch9wavefront6targetE1EEEvSJ_,comdat
.Lfunc_end262:
	.size	_ZN7rocprim17ROCPRIM_400000_NS6detail17trampoline_kernelINS0_14default_configENS1_38merge_sort_block_merge_config_selectorIffEEZZNS1_27merge_sort_block_merge_implIS3_N6thrust23THRUST_200600_302600_NS6detail15normal_iteratorINS8_10device_ptrIfEEEESD_jNS1_19radix_merge_compareILb0ELb0EfNS0_19identity_decomposerEEEEE10hipError_tT0_T1_T2_jT3_P12ihipStream_tbPNSt15iterator_traitsISI_E10value_typeEPNSO_ISJ_E10value_typeEPSK_NS1_7vsmem_tEENKUlT_SI_SJ_SK_E_clISD_PfSD_S10_EESH_SX_SI_SJ_SK_EUlSX_E1_NS1_11comp_targetILNS1_3genE10ELNS1_11target_archE1201ELNS1_3gpuE5ELNS1_3repE0EEENS1_36merge_oddeven_config_static_selectorELNS0_4arch9wavefront6targetE1EEEvSJ_, .Lfunc_end262-_ZN7rocprim17ROCPRIM_400000_NS6detail17trampoline_kernelINS0_14default_configENS1_38merge_sort_block_merge_config_selectorIffEEZZNS1_27merge_sort_block_merge_implIS3_N6thrust23THRUST_200600_302600_NS6detail15normal_iteratorINS8_10device_ptrIfEEEESD_jNS1_19radix_merge_compareILb0ELb0EfNS0_19identity_decomposerEEEEE10hipError_tT0_T1_T2_jT3_P12ihipStream_tbPNSt15iterator_traitsISI_E10value_typeEPNSO_ISJ_E10value_typeEPSK_NS1_7vsmem_tEENKUlT_SI_SJ_SK_E_clISD_PfSD_S10_EESH_SX_SI_SJ_SK_EUlSX_E1_NS1_11comp_targetILNS1_3genE10ELNS1_11target_archE1201ELNS1_3gpuE5ELNS1_3repE0EEENS1_36merge_oddeven_config_static_selectorELNS0_4arch9wavefront6targetE1EEEvSJ_
                                        ; -- End function
	.set _ZN7rocprim17ROCPRIM_400000_NS6detail17trampoline_kernelINS0_14default_configENS1_38merge_sort_block_merge_config_selectorIffEEZZNS1_27merge_sort_block_merge_implIS3_N6thrust23THRUST_200600_302600_NS6detail15normal_iteratorINS8_10device_ptrIfEEEESD_jNS1_19radix_merge_compareILb0ELb0EfNS0_19identity_decomposerEEEEE10hipError_tT0_T1_T2_jT3_P12ihipStream_tbPNSt15iterator_traitsISI_E10value_typeEPNSO_ISJ_E10value_typeEPSK_NS1_7vsmem_tEENKUlT_SI_SJ_SK_E_clISD_PfSD_S10_EESH_SX_SI_SJ_SK_EUlSX_E1_NS1_11comp_targetILNS1_3genE10ELNS1_11target_archE1201ELNS1_3gpuE5ELNS1_3repE0EEENS1_36merge_oddeven_config_static_selectorELNS0_4arch9wavefront6targetE1EEEvSJ_.num_vgpr, 0
	.set _ZN7rocprim17ROCPRIM_400000_NS6detail17trampoline_kernelINS0_14default_configENS1_38merge_sort_block_merge_config_selectorIffEEZZNS1_27merge_sort_block_merge_implIS3_N6thrust23THRUST_200600_302600_NS6detail15normal_iteratorINS8_10device_ptrIfEEEESD_jNS1_19radix_merge_compareILb0ELb0EfNS0_19identity_decomposerEEEEE10hipError_tT0_T1_T2_jT3_P12ihipStream_tbPNSt15iterator_traitsISI_E10value_typeEPNSO_ISJ_E10value_typeEPSK_NS1_7vsmem_tEENKUlT_SI_SJ_SK_E_clISD_PfSD_S10_EESH_SX_SI_SJ_SK_EUlSX_E1_NS1_11comp_targetILNS1_3genE10ELNS1_11target_archE1201ELNS1_3gpuE5ELNS1_3repE0EEENS1_36merge_oddeven_config_static_selectorELNS0_4arch9wavefront6targetE1EEEvSJ_.num_agpr, 0
	.set _ZN7rocprim17ROCPRIM_400000_NS6detail17trampoline_kernelINS0_14default_configENS1_38merge_sort_block_merge_config_selectorIffEEZZNS1_27merge_sort_block_merge_implIS3_N6thrust23THRUST_200600_302600_NS6detail15normal_iteratorINS8_10device_ptrIfEEEESD_jNS1_19radix_merge_compareILb0ELb0EfNS0_19identity_decomposerEEEEE10hipError_tT0_T1_T2_jT3_P12ihipStream_tbPNSt15iterator_traitsISI_E10value_typeEPNSO_ISJ_E10value_typeEPSK_NS1_7vsmem_tEENKUlT_SI_SJ_SK_E_clISD_PfSD_S10_EESH_SX_SI_SJ_SK_EUlSX_E1_NS1_11comp_targetILNS1_3genE10ELNS1_11target_archE1201ELNS1_3gpuE5ELNS1_3repE0EEENS1_36merge_oddeven_config_static_selectorELNS0_4arch9wavefront6targetE1EEEvSJ_.numbered_sgpr, 0
	.set _ZN7rocprim17ROCPRIM_400000_NS6detail17trampoline_kernelINS0_14default_configENS1_38merge_sort_block_merge_config_selectorIffEEZZNS1_27merge_sort_block_merge_implIS3_N6thrust23THRUST_200600_302600_NS6detail15normal_iteratorINS8_10device_ptrIfEEEESD_jNS1_19radix_merge_compareILb0ELb0EfNS0_19identity_decomposerEEEEE10hipError_tT0_T1_T2_jT3_P12ihipStream_tbPNSt15iterator_traitsISI_E10value_typeEPNSO_ISJ_E10value_typeEPSK_NS1_7vsmem_tEENKUlT_SI_SJ_SK_E_clISD_PfSD_S10_EESH_SX_SI_SJ_SK_EUlSX_E1_NS1_11comp_targetILNS1_3genE10ELNS1_11target_archE1201ELNS1_3gpuE5ELNS1_3repE0EEENS1_36merge_oddeven_config_static_selectorELNS0_4arch9wavefront6targetE1EEEvSJ_.num_named_barrier, 0
	.set _ZN7rocprim17ROCPRIM_400000_NS6detail17trampoline_kernelINS0_14default_configENS1_38merge_sort_block_merge_config_selectorIffEEZZNS1_27merge_sort_block_merge_implIS3_N6thrust23THRUST_200600_302600_NS6detail15normal_iteratorINS8_10device_ptrIfEEEESD_jNS1_19radix_merge_compareILb0ELb0EfNS0_19identity_decomposerEEEEE10hipError_tT0_T1_T2_jT3_P12ihipStream_tbPNSt15iterator_traitsISI_E10value_typeEPNSO_ISJ_E10value_typeEPSK_NS1_7vsmem_tEENKUlT_SI_SJ_SK_E_clISD_PfSD_S10_EESH_SX_SI_SJ_SK_EUlSX_E1_NS1_11comp_targetILNS1_3genE10ELNS1_11target_archE1201ELNS1_3gpuE5ELNS1_3repE0EEENS1_36merge_oddeven_config_static_selectorELNS0_4arch9wavefront6targetE1EEEvSJ_.private_seg_size, 0
	.set _ZN7rocprim17ROCPRIM_400000_NS6detail17trampoline_kernelINS0_14default_configENS1_38merge_sort_block_merge_config_selectorIffEEZZNS1_27merge_sort_block_merge_implIS3_N6thrust23THRUST_200600_302600_NS6detail15normal_iteratorINS8_10device_ptrIfEEEESD_jNS1_19radix_merge_compareILb0ELb0EfNS0_19identity_decomposerEEEEE10hipError_tT0_T1_T2_jT3_P12ihipStream_tbPNSt15iterator_traitsISI_E10value_typeEPNSO_ISJ_E10value_typeEPSK_NS1_7vsmem_tEENKUlT_SI_SJ_SK_E_clISD_PfSD_S10_EESH_SX_SI_SJ_SK_EUlSX_E1_NS1_11comp_targetILNS1_3genE10ELNS1_11target_archE1201ELNS1_3gpuE5ELNS1_3repE0EEENS1_36merge_oddeven_config_static_selectorELNS0_4arch9wavefront6targetE1EEEvSJ_.uses_vcc, 0
	.set _ZN7rocprim17ROCPRIM_400000_NS6detail17trampoline_kernelINS0_14default_configENS1_38merge_sort_block_merge_config_selectorIffEEZZNS1_27merge_sort_block_merge_implIS3_N6thrust23THRUST_200600_302600_NS6detail15normal_iteratorINS8_10device_ptrIfEEEESD_jNS1_19radix_merge_compareILb0ELb0EfNS0_19identity_decomposerEEEEE10hipError_tT0_T1_T2_jT3_P12ihipStream_tbPNSt15iterator_traitsISI_E10value_typeEPNSO_ISJ_E10value_typeEPSK_NS1_7vsmem_tEENKUlT_SI_SJ_SK_E_clISD_PfSD_S10_EESH_SX_SI_SJ_SK_EUlSX_E1_NS1_11comp_targetILNS1_3genE10ELNS1_11target_archE1201ELNS1_3gpuE5ELNS1_3repE0EEENS1_36merge_oddeven_config_static_selectorELNS0_4arch9wavefront6targetE1EEEvSJ_.uses_flat_scratch, 0
	.set _ZN7rocprim17ROCPRIM_400000_NS6detail17trampoline_kernelINS0_14default_configENS1_38merge_sort_block_merge_config_selectorIffEEZZNS1_27merge_sort_block_merge_implIS3_N6thrust23THRUST_200600_302600_NS6detail15normal_iteratorINS8_10device_ptrIfEEEESD_jNS1_19radix_merge_compareILb0ELb0EfNS0_19identity_decomposerEEEEE10hipError_tT0_T1_T2_jT3_P12ihipStream_tbPNSt15iterator_traitsISI_E10value_typeEPNSO_ISJ_E10value_typeEPSK_NS1_7vsmem_tEENKUlT_SI_SJ_SK_E_clISD_PfSD_S10_EESH_SX_SI_SJ_SK_EUlSX_E1_NS1_11comp_targetILNS1_3genE10ELNS1_11target_archE1201ELNS1_3gpuE5ELNS1_3repE0EEENS1_36merge_oddeven_config_static_selectorELNS0_4arch9wavefront6targetE1EEEvSJ_.has_dyn_sized_stack, 0
	.set _ZN7rocprim17ROCPRIM_400000_NS6detail17trampoline_kernelINS0_14default_configENS1_38merge_sort_block_merge_config_selectorIffEEZZNS1_27merge_sort_block_merge_implIS3_N6thrust23THRUST_200600_302600_NS6detail15normal_iteratorINS8_10device_ptrIfEEEESD_jNS1_19radix_merge_compareILb0ELb0EfNS0_19identity_decomposerEEEEE10hipError_tT0_T1_T2_jT3_P12ihipStream_tbPNSt15iterator_traitsISI_E10value_typeEPNSO_ISJ_E10value_typeEPSK_NS1_7vsmem_tEENKUlT_SI_SJ_SK_E_clISD_PfSD_S10_EESH_SX_SI_SJ_SK_EUlSX_E1_NS1_11comp_targetILNS1_3genE10ELNS1_11target_archE1201ELNS1_3gpuE5ELNS1_3repE0EEENS1_36merge_oddeven_config_static_selectorELNS0_4arch9wavefront6targetE1EEEvSJ_.has_recursion, 0
	.set _ZN7rocprim17ROCPRIM_400000_NS6detail17trampoline_kernelINS0_14default_configENS1_38merge_sort_block_merge_config_selectorIffEEZZNS1_27merge_sort_block_merge_implIS3_N6thrust23THRUST_200600_302600_NS6detail15normal_iteratorINS8_10device_ptrIfEEEESD_jNS1_19radix_merge_compareILb0ELb0EfNS0_19identity_decomposerEEEEE10hipError_tT0_T1_T2_jT3_P12ihipStream_tbPNSt15iterator_traitsISI_E10value_typeEPNSO_ISJ_E10value_typeEPSK_NS1_7vsmem_tEENKUlT_SI_SJ_SK_E_clISD_PfSD_S10_EESH_SX_SI_SJ_SK_EUlSX_E1_NS1_11comp_targetILNS1_3genE10ELNS1_11target_archE1201ELNS1_3gpuE5ELNS1_3repE0EEENS1_36merge_oddeven_config_static_selectorELNS0_4arch9wavefront6targetE1EEEvSJ_.has_indirect_call, 0
	.section	.AMDGPU.csdata,"",@progbits
; Kernel info:
; codeLenInByte = 0
; TotalNumSgprs: 6
; NumVgprs: 0
; NumAgprs: 0
; TotalNumVgprs: 0
; ScratchSize: 0
; MemoryBound: 0
; FloatMode: 240
; IeeeMode: 1
; LDSByteSize: 0 bytes/workgroup (compile time only)
; SGPRBlocks: 0
; VGPRBlocks: 0
; NumSGPRsForWavesPerEU: 6
; NumVGPRsForWavesPerEU: 1
; AccumOffset: 4
; Occupancy: 8
; WaveLimiterHint : 0
; COMPUTE_PGM_RSRC2:SCRATCH_EN: 0
; COMPUTE_PGM_RSRC2:USER_SGPR: 2
; COMPUTE_PGM_RSRC2:TRAP_HANDLER: 0
; COMPUTE_PGM_RSRC2:TGID_X_EN: 1
; COMPUTE_PGM_RSRC2:TGID_Y_EN: 0
; COMPUTE_PGM_RSRC2:TGID_Z_EN: 0
; COMPUTE_PGM_RSRC2:TIDIG_COMP_CNT: 0
; COMPUTE_PGM_RSRC3_GFX90A:ACCUM_OFFSET: 0
; COMPUTE_PGM_RSRC3_GFX90A:TG_SPLIT: 0
	.section	.text._ZN7rocprim17ROCPRIM_400000_NS6detail17trampoline_kernelINS0_14default_configENS1_38merge_sort_block_merge_config_selectorIffEEZZNS1_27merge_sort_block_merge_implIS3_N6thrust23THRUST_200600_302600_NS6detail15normal_iteratorINS8_10device_ptrIfEEEESD_jNS1_19radix_merge_compareILb0ELb0EfNS0_19identity_decomposerEEEEE10hipError_tT0_T1_T2_jT3_P12ihipStream_tbPNSt15iterator_traitsISI_E10value_typeEPNSO_ISJ_E10value_typeEPSK_NS1_7vsmem_tEENKUlT_SI_SJ_SK_E_clISD_PfSD_S10_EESH_SX_SI_SJ_SK_EUlSX_E1_NS1_11comp_targetILNS1_3genE5ELNS1_11target_archE942ELNS1_3gpuE9ELNS1_3repE0EEENS1_36merge_oddeven_config_static_selectorELNS0_4arch9wavefront6targetE1EEEvSJ_,"axG",@progbits,_ZN7rocprim17ROCPRIM_400000_NS6detail17trampoline_kernelINS0_14default_configENS1_38merge_sort_block_merge_config_selectorIffEEZZNS1_27merge_sort_block_merge_implIS3_N6thrust23THRUST_200600_302600_NS6detail15normal_iteratorINS8_10device_ptrIfEEEESD_jNS1_19radix_merge_compareILb0ELb0EfNS0_19identity_decomposerEEEEE10hipError_tT0_T1_T2_jT3_P12ihipStream_tbPNSt15iterator_traitsISI_E10value_typeEPNSO_ISJ_E10value_typeEPSK_NS1_7vsmem_tEENKUlT_SI_SJ_SK_E_clISD_PfSD_S10_EESH_SX_SI_SJ_SK_EUlSX_E1_NS1_11comp_targetILNS1_3genE5ELNS1_11target_archE942ELNS1_3gpuE9ELNS1_3repE0EEENS1_36merge_oddeven_config_static_selectorELNS0_4arch9wavefront6targetE1EEEvSJ_,comdat
	.protected	_ZN7rocprim17ROCPRIM_400000_NS6detail17trampoline_kernelINS0_14default_configENS1_38merge_sort_block_merge_config_selectorIffEEZZNS1_27merge_sort_block_merge_implIS3_N6thrust23THRUST_200600_302600_NS6detail15normal_iteratorINS8_10device_ptrIfEEEESD_jNS1_19radix_merge_compareILb0ELb0EfNS0_19identity_decomposerEEEEE10hipError_tT0_T1_T2_jT3_P12ihipStream_tbPNSt15iterator_traitsISI_E10value_typeEPNSO_ISJ_E10value_typeEPSK_NS1_7vsmem_tEENKUlT_SI_SJ_SK_E_clISD_PfSD_S10_EESH_SX_SI_SJ_SK_EUlSX_E1_NS1_11comp_targetILNS1_3genE5ELNS1_11target_archE942ELNS1_3gpuE9ELNS1_3repE0EEENS1_36merge_oddeven_config_static_selectorELNS0_4arch9wavefront6targetE1EEEvSJ_ ; -- Begin function _ZN7rocprim17ROCPRIM_400000_NS6detail17trampoline_kernelINS0_14default_configENS1_38merge_sort_block_merge_config_selectorIffEEZZNS1_27merge_sort_block_merge_implIS3_N6thrust23THRUST_200600_302600_NS6detail15normal_iteratorINS8_10device_ptrIfEEEESD_jNS1_19radix_merge_compareILb0ELb0EfNS0_19identity_decomposerEEEEE10hipError_tT0_T1_T2_jT3_P12ihipStream_tbPNSt15iterator_traitsISI_E10value_typeEPNSO_ISJ_E10value_typeEPSK_NS1_7vsmem_tEENKUlT_SI_SJ_SK_E_clISD_PfSD_S10_EESH_SX_SI_SJ_SK_EUlSX_E1_NS1_11comp_targetILNS1_3genE5ELNS1_11target_archE942ELNS1_3gpuE9ELNS1_3repE0EEENS1_36merge_oddeven_config_static_selectorELNS0_4arch9wavefront6targetE1EEEvSJ_
	.globl	_ZN7rocprim17ROCPRIM_400000_NS6detail17trampoline_kernelINS0_14default_configENS1_38merge_sort_block_merge_config_selectorIffEEZZNS1_27merge_sort_block_merge_implIS3_N6thrust23THRUST_200600_302600_NS6detail15normal_iteratorINS8_10device_ptrIfEEEESD_jNS1_19radix_merge_compareILb0ELb0EfNS0_19identity_decomposerEEEEE10hipError_tT0_T1_T2_jT3_P12ihipStream_tbPNSt15iterator_traitsISI_E10value_typeEPNSO_ISJ_E10value_typeEPSK_NS1_7vsmem_tEENKUlT_SI_SJ_SK_E_clISD_PfSD_S10_EESH_SX_SI_SJ_SK_EUlSX_E1_NS1_11comp_targetILNS1_3genE5ELNS1_11target_archE942ELNS1_3gpuE9ELNS1_3repE0EEENS1_36merge_oddeven_config_static_selectorELNS0_4arch9wavefront6targetE1EEEvSJ_
	.p2align	8
	.type	_ZN7rocprim17ROCPRIM_400000_NS6detail17trampoline_kernelINS0_14default_configENS1_38merge_sort_block_merge_config_selectorIffEEZZNS1_27merge_sort_block_merge_implIS3_N6thrust23THRUST_200600_302600_NS6detail15normal_iteratorINS8_10device_ptrIfEEEESD_jNS1_19radix_merge_compareILb0ELb0EfNS0_19identity_decomposerEEEEE10hipError_tT0_T1_T2_jT3_P12ihipStream_tbPNSt15iterator_traitsISI_E10value_typeEPNSO_ISJ_E10value_typeEPSK_NS1_7vsmem_tEENKUlT_SI_SJ_SK_E_clISD_PfSD_S10_EESH_SX_SI_SJ_SK_EUlSX_E1_NS1_11comp_targetILNS1_3genE5ELNS1_11target_archE942ELNS1_3gpuE9ELNS1_3repE0EEENS1_36merge_oddeven_config_static_selectorELNS0_4arch9wavefront6targetE1EEEvSJ_,@function
_ZN7rocprim17ROCPRIM_400000_NS6detail17trampoline_kernelINS0_14default_configENS1_38merge_sort_block_merge_config_selectorIffEEZZNS1_27merge_sort_block_merge_implIS3_N6thrust23THRUST_200600_302600_NS6detail15normal_iteratorINS8_10device_ptrIfEEEESD_jNS1_19radix_merge_compareILb0ELb0EfNS0_19identity_decomposerEEEEE10hipError_tT0_T1_T2_jT3_P12ihipStream_tbPNSt15iterator_traitsISI_E10value_typeEPNSO_ISJ_E10value_typeEPSK_NS1_7vsmem_tEENKUlT_SI_SJ_SK_E_clISD_PfSD_S10_EESH_SX_SI_SJ_SK_EUlSX_E1_NS1_11comp_targetILNS1_3genE5ELNS1_11target_archE942ELNS1_3gpuE9ELNS1_3repE0EEENS1_36merge_oddeven_config_static_selectorELNS0_4arch9wavefront6targetE1EEEvSJ_: ; @_ZN7rocprim17ROCPRIM_400000_NS6detail17trampoline_kernelINS0_14default_configENS1_38merge_sort_block_merge_config_selectorIffEEZZNS1_27merge_sort_block_merge_implIS3_N6thrust23THRUST_200600_302600_NS6detail15normal_iteratorINS8_10device_ptrIfEEEESD_jNS1_19radix_merge_compareILb0ELb0EfNS0_19identity_decomposerEEEEE10hipError_tT0_T1_T2_jT3_P12ihipStream_tbPNSt15iterator_traitsISI_E10value_typeEPNSO_ISJ_E10value_typeEPSK_NS1_7vsmem_tEENKUlT_SI_SJ_SK_E_clISD_PfSD_S10_EESH_SX_SI_SJ_SK_EUlSX_E1_NS1_11comp_targetILNS1_3genE5ELNS1_11target_archE942ELNS1_3gpuE9ELNS1_3repE0EEENS1_36merge_oddeven_config_static_selectorELNS0_4arch9wavefront6targetE1EEEvSJ_
; %bb.0:
	.section	.rodata,"a",@progbits
	.p2align	6, 0x0
	.amdhsa_kernel _ZN7rocprim17ROCPRIM_400000_NS6detail17trampoline_kernelINS0_14default_configENS1_38merge_sort_block_merge_config_selectorIffEEZZNS1_27merge_sort_block_merge_implIS3_N6thrust23THRUST_200600_302600_NS6detail15normal_iteratorINS8_10device_ptrIfEEEESD_jNS1_19radix_merge_compareILb0ELb0EfNS0_19identity_decomposerEEEEE10hipError_tT0_T1_T2_jT3_P12ihipStream_tbPNSt15iterator_traitsISI_E10value_typeEPNSO_ISJ_E10value_typeEPSK_NS1_7vsmem_tEENKUlT_SI_SJ_SK_E_clISD_PfSD_S10_EESH_SX_SI_SJ_SK_EUlSX_E1_NS1_11comp_targetILNS1_3genE5ELNS1_11target_archE942ELNS1_3gpuE9ELNS1_3repE0EEENS1_36merge_oddeven_config_static_selectorELNS0_4arch9wavefront6targetE1EEEvSJ_
		.amdhsa_group_segment_fixed_size 0
		.amdhsa_private_segment_fixed_size 0
		.amdhsa_kernarg_size 48
		.amdhsa_user_sgpr_count 2
		.amdhsa_user_sgpr_dispatch_ptr 0
		.amdhsa_user_sgpr_queue_ptr 0
		.amdhsa_user_sgpr_kernarg_segment_ptr 1
		.amdhsa_user_sgpr_dispatch_id 0
		.amdhsa_user_sgpr_kernarg_preload_length 0
		.amdhsa_user_sgpr_kernarg_preload_offset 0
		.amdhsa_user_sgpr_private_segment_size 0
		.amdhsa_uses_dynamic_stack 0
		.amdhsa_enable_private_segment 0
		.amdhsa_system_sgpr_workgroup_id_x 1
		.amdhsa_system_sgpr_workgroup_id_y 0
		.amdhsa_system_sgpr_workgroup_id_z 0
		.amdhsa_system_sgpr_workgroup_info 0
		.amdhsa_system_vgpr_workitem_id 0
		.amdhsa_next_free_vgpr 1
		.amdhsa_next_free_sgpr 0
		.amdhsa_accum_offset 4
		.amdhsa_reserve_vcc 0
		.amdhsa_float_round_mode_32 0
		.amdhsa_float_round_mode_16_64 0
		.amdhsa_float_denorm_mode_32 3
		.amdhsa_float_denorm_mode_16_64 3
		.amdhsa_dx10_clamp 1
		.amdhsa_ieee_mode 1
		.amdhsa_fp16_overflow 0
		.amdhsa_tg_split 0
		.amdhsa_exception_fp_ieee_invalid_op 0
		.amdhsa_exception_fp_denorm_src 0
		.amdhsa_exception_fp_ieee_div_zero 0
		.amdhsa_exception_fp_ieee_overflow 0
		.amdhsa_exception_fp_ieee_underflow 0
		.amdhsa_exception_fp_ieee_inexact 0
		.amdhsa_exception_int_div_zero 0
	.end_amdhsa_kernel
	.section	.text._ZN7rocprim17ROCPRIM_400000_NS6detail17trampoline_kernelINS0_14default_configENS1_38merge_sort_block_merge_config_selectorIffEEZZNS1_27merge_sort_block_merge_implIS3_N6thrust23THRUST_200600_302600_NS6detail15normal_iteratorINS8_10device_ptrIfEEEESD_jNS1_19radix_merge_compareILb0ELb0EfNS0_19identity_decomposerEEEEE10hipError_tT0_T1_T2_jT3_P12ihipStream_tbPNSt15iterator_traitsISI_E10value_typeEPNSO_ISJ_E10value_typeEPSK_NS1_7vsmem_tEENKUlT_SI_SJ_SK_E_clISD_PfSD_S10_EESH_SX_SI_SJ_SK_EUlSX_E1_NS1_11comp_targetILNS1_3genE5ELNS1_11target_archE942ELNS1_3gpuE9ELNS1_3repE0EEENS1_36merge_oddeven_config_static_selectorELNS0_4arch9wavefront6targetE1EEEvSJ_,"axG",@progbits,_ZN7rocprim17ROCPRIM_400000_NS6detail17trampoline_kernelINS0_14default_configENS1_38merge_sort_block_merge_config_selectorIffEEZZNS1_27merge_sort_block_merge_implIS3_N6thrust23THRUST_200600_302600_NS6detail15normal_iteratorINS8_10device_ptrIfEEEESD_jNS1_19radix_merge_compareILb0ELb0EfNS0_19identity_decomposerEEEEE10hipError_tT0_T1_T2_jT3_P12ihipStream_tbPNSt15iterator_traitsISI_E10value_typeEPNSO_ISJ_E10value_typeEPSK_NS1_7vsmem_tEENKUlT_SI_SJ_SK_E_clISD_PfSD_S10_EESH_SX_SI_SJ_SK_EUlSX_E1_NS1_11comp_targetILNS1_3genE5ELNS1_11target_archE942ELNS1_3gpuE9ELNS1_3repE0EEENS1_36merge_oddeven_config_static_selectorELNS0_4arch9wavefront6targetE1EEEvSJ_,comdat
.Lfunc_end263:
	.size	_ZN7rocprim17ROCPRIM_400000_NS6detail17trampoline_kernelINS0_14default_configENS1_38merge_sort_block_merge_config_selectorIffEEZZNS1_27merge_sort_block_merge_implIS3_N6thrust23THRUST_200600_302600_NS6detail15normal_iteratorINS8_10device_ptrIfEEEESD_jNS1_19radix_merge_compareILb0ELb0EfNS0_19identity_decomposerEEEEE10hipError_tT0_T1_T2_jT3_P12ihipStream_tbPNSt15iterator_traitsISI_E10value_typeEPNSO_ISJ_E10value_typeEPSK_NS1_7vsmem_tEENKUlT_SI_SJ_SK_E_clISD_PfSD_S10_EESH_SX_SI_SJ_SK_EUlSX_E1_NS1_11comp_targetILNS1_3genE5ELNS1_11target_archE942ELNS1_3gpuE9ELNS1_3repE0EEENS1_36merge_oddeven_config_static_selectorELNS0_4arch9wavefront6targetE1EEEvSJ_, .Lfunc_end263-_ZN7rocprim17ROCPRIM_400000_NS6detail17trampoline_kernelINS0_14default_configENS1_38merge_sort_block_merge_config_selectorIffEEZZNS1_27merge_sort_block_merge_implIS3_N6thrust23THRUST_200600_302600_NS6detail15normal_iteratorINS8_10device_ptrIfEEEESD_jNS1_19radix_merge_compareILb0ELb0EfNS0_19identity_decomposerEEEEE10hipError_tT0_T1_T2_jT3_P12ihipStream_tbPNSt15iterator_traitsISI_E10value_typeEPNSO_ISJ_E10value_typeEPSK_NS1_7vsmem_tEENKUlT_SI_SJ_SK_E_clISD_PfSD_S10_EESH_SX_SI_SJ_SK_EUlSX_E1_NS1_11comp_targetILNS1_3genE5ELNS1_11target_archE942ELNS1_3gpuE9ELNS1_3repE0EEENS1_36merge_oddeven_config_static_selectorELNS0_4arch9wavefront6targetE1EEEvSJ_
                                        ; -- End function
	.set _ZN7rocprim17ROCPRIM_400000_NS6detail17trampoline_kernelINS0_14default_configENS1_38merge_sort_block_merge_config_selectorIffEEZZNS1_27merge_sort_block_merge_implIS3_N6thrust23THRUST_200600_302600_NS6detail15normal_iteratorINS8_10device_ptrIfEEEESD_jNS1_19radix_merge_compareILb0ELb0EfNS0_19identity_decomposerEEEEE10hipError_tT0_T1_T2_jT3_P12ihipStream_tbPNSt15iterator_traitsISI_E10value_typeEPNSO_ISJ_E10value_typeEPSK_NS1_7vsmem_tEENKUlT_SI_SJ_SK_E_clISD_PfSD_S10_EESH_SX_SI_SJ_SK_EUlSX_E1_NS1_11comp_targetILNS1_3genE5ELNS1_11target_archE942ELNS1_3gpuE9ELNS1_3repE0EEENS1_36merge_oddeven_config_static_selectorELNS0_4arch9wavefront6targetE1EEEvSJ_.num_vgpr, 0
	.set _ZN7rocprim17ROCPRIM_400000_NS6detail17trampoline_kernelINS0_14default_configENS1_38merge_sort_block_merge_config_selectorIffEEZZNS1_27merge_sort_block_merge_implIS3_N6thrust23THRUST_200600_302600_NS6detail15normal_iteratorINS8_10device_ptrIfEEEESD_jNS1_19radix_merge_compareILb0ELb0EfNS0_19identity_decomposerEEEEE10hipError_tT0_T1_T2_jT3_P12ihipStream_tbPNSt15iterator_traitsISI_E10value_typeEPNSO_ISJ_E10value_typeEPSK_NS1_7vsmem_tEENKUlT_SI_SJ_SK_E_clISD_PfSD_S10_EESH_SX_SI_SJ_SK_EUlSX_E1_NS1_11comp_targetILNS1_3genE5ELNS1_11target_archE942ELNS1_3gpuE9ELNS1_3repE0EEENS1_36merge_oddeven_config_static_selectorELNS0_4arch9wavefront6targetE1EEEvSJ_.num_agpr, 0
	.set _ZN7rocprim17ROCPRIM_400000_NS6detail17trampoline_kernelINS0_14default_configENS1_38merge_sort_block_merge_config_selectorIffEEZZNS1_27merge_sort_block_merge_implIS3_N6thrust23THRUST_200600_302600_NS6detail15normal_iteratorINS8_10device_ptrIfEEEESD_jNS1_19radix_merge_compareILb0ELb0EfNS0_19identity_decomposerEEEEE10hipError_tT0_T1_T2_jT3_P12ihipStream_tbPNSt15iterator_traitsISI_E10value_typeEPNSO_ISJ_E10value_typeEPSK_NS1_7vsmem_tEENKUlT_SI_SJ_SK_E_clISD_PfSD_S10_EESH_SX_SI_SJ_SK_EUlSX_E1_NS1_11comp_targetILNS1_3genE5ELNS1_11target_archE942ELNS1_3gpuE9ELNS1_3repE0EEENS1_36merge_oddeven_config_static_selectorELNS0_4arch9wavefront6targetE1EEEvSJ_.numbered_sgpr, 0
	.set _ZN7rocprim17ROCPRIM_400000_NS6detail17trampoline_kernelINS0_14default_configENS1_38merge_sort_block_merge_config_selectorIffEEZZNS1_27merge_sort_block_merge_implIS3_N6thrust23THRUST_200600_302600_NS6detail15normal_iteratorINS8_10device_ptrIfEEEESD_jNS1_19radix_merge_compareILb0ELb0EfNS0_19identity_decomposerEEEEE10hipError_tT0_T1_T2_jT3_P12ihipStream_tbPNSt15iterator_traitsISI_E10value_typeEPNSO_ISJ_E10value_typeEPSK_NS1_7vsmem_tEENKUlT_SI_SJ_SK_E_clISD_PfSD_S10_EESH_SX_SI_SJ_SK_EUlSX_E1_NS1_11comp_targetILNS1_3genE5ELNS1_11target_archE942ELNS1_3gpuE9ELNS1_3repE0EEENS1_36merge_oddeven_config_static_selectorELNS0_4arch9wavefront6targetE1EEEvSJ_.num_named_barrier, 0
	.set _ZN7rocprim17ROCPRIM_400000_NS6detail17trampoline_kernelINS0_14default_configENS1_38merge_sort_block_merge_config_selectorIffEEZZNS1_27merge_sort_block_merge_implIS3_N6thrust23THRUST_200600_302600_NS6detail15normal_iteratorINS8_10device_ptrIfEEEESD_jNS1_19radix_merge_compareILb0ELb0EfNS0_19identity_decomposerEEEEE10hipError_tT0_T1_T2_jT3_P12ihipStream_tbPNSt15iterator_traitsISI_E10value_typeEPNSO_ISJ_E10value_typeEPSK_NS1_7vsmem_tEENKUlT_SI_SJ_SK_E_clISD_PfSD_S10_EESH_SX_SI_SJ_SK_EUlSX_E1_NS1_11comp_targetILNS1_3genE5ELNS1_11target_archE942ELNS1_3gpuE9ELNS1_3repE0EEENS1_36merge_oddeven_config_static_selectorELNS0_4arch9wavefront6targetE1EEEvSJ_.private_seg_size, 0
	.set _ZN7rocprim17ROCPRIM_400000_NS6detail17trampoline_kernelINS0_14default_configENS1_38merge_sort_block_merge_config_selectorIffEEZZNS1_27merge_sort_block_merge_implIS3_N6thrust23THRUST_200600_302600_NS6detail15normal_iteratorINS8_10device_ptrIfEEEESD_jNS1_19radix_merge_compareILb0ELb0EfNS0_19identity_decomposerEEEEE10hipError_tT0_T1_T2_jT3_P12ihipStream_tbPNSt15iterator_traitsISI_E10value_typeEPNSO_ISJ_E10value_typeEPSK_NS1_7vsmem_tEENKUlT_SI_SJ_SK_E_clISD_PfSD_S10_EESH_SX_SI_SJ_SK_EUlSX_E1_NS1_11comp_targetILNS1_3genE5ELNS1_11target_archE942ELNS1_3gpuE9ELNS1_3repE0EEENS1_36merge_oddeven_config_static_selectorELNS0_4arch9wavefront6targetE1EEEvSJ_.uses_vcc, 0
	.set _ZN7rocprim17ROCPRIM_400000_NS6detail17trampoline_kernelINS0_14default_configENS1_38merge_sort_block_merge_config_selectorIffEEZZNS1_27merge_sort_block_merge_implIS3_N6thrust23THRUST_200600_302600_NS6detail15normal_iteratorINS8_10device_ptrIfEEEESD_jNS1_19radix_merge_compareILb0ELb0EfNS0_19identity_decomposerEEEEE10hipError_tT0_T1_T2_jT3_P12ihipStream_tbPNSt15iterator_traitsISI_E10value_typeEPNSO_ISJ_E10value_typeEPSK_NS1_7vsmem_tEENKUlT_SI_SJ_SK_E_clISD_PfSD_S10_EESH_SX_SI_SJ_SK_EUlSX_E1_NS1_11comp_targetILNS1_3genE5ELNS1_11target_archE942ELNS1_3gpuE9ELNS1_3repE0EEENS1_36merge_oddeven_config_static_selectorELNS0_4arch9wavefront6targetE1EEEvSJ_.uses_flat_scratch, 0
	.set _ZN7rocprim17ROCPRIM_400000_NS6detail17trampoline_kernelINS0_14default_configENS1_38merge_sort_block_merge_config_selectorIffEEZZNS1_27merge_sort_block_merge_implIS3_N6thrust23THRUST_200600_302600_NS6detail15normal_iteratorINS8_10device_ptrIfEEEESD_jNS1_19radix_merge_compareILb0ELb0EfNS0_19identity_decomposerEEEEE10hipError_tT0_T1_T2_jT3_P12ihipStream_tbPNSt15iterator_traitsISI_E10value_typeEPNSO_ISJ_E10value_typeEPSK_NS1_7vsmem_tEENKUlT_SI_SJ_SK_E_clISD_PfSD_S10_EESH_SX_SI_SJ_SK_EUlSX_E1_NS1_11comp_targetILNS1_3genE5ELNS1_11target_archE942ELNS1_3gpuE9ELNS1_3repE0EEENS1_36merge_oddeven_config_static_selectorELNS0_4arch9wavefront6targetE1EEEvSJ_.has_dyn_sized_stack, 0
	.set _ZN7rocprim17ROCPRIM_400000_NS6detail17trampoline_kernelINS0_14default_configENS1_38merge_sort_block_merge_config_selectorIffEEZZNS1_27merge_sort_block_merge_implIS3_N6thrust23THRUST_200600_302600_NS6detail15normal_iteratorINS8_10device_ptrIfEEEESD_jNS1_19radix_merge_compareILb0ELb0EfNS0_19identity_decomposerEEEEE10hipError_tT0_T1_T2_jT3_P12ihipStream_tbPNSt15iterator_traitsISI_E10value_typeEPNSO_ISJ_E10value_typeEPSK_NS1_7vsmem_tEENKUlT_SI_SJ_SK_E_clISD_PfSD_S10_EESH_SX_SI_SJ_SK_EUlSX_E1_NS1_11comp_targetILNS1_3genE5ELNS1_11target_archE942ELNS1_3gpuE9ELNS1_3repE0EEENS1_36merge_oddeven_config_static_selectorELNS0_4arch9wavefront6targetE1EEEvSJ_.has_recursion, 0
	.set _ZN7rocprim17ROCPRIM_400000_NS6detail17trampoline_kernelINS0_14default_configENS1_38merge_sort_block_merge_config_selectorIffEEZZNS1_27merge_sort_block_merge_implIS3_N6thrust23THRUST_200600_302600_NS6detail15normal_iteratorINS8_10device_ptrIfEEEESD_jNS1_19radix_merge_compareILb0ELb0EfNS0_19identity_decomposerEEEEE10hipError_tT0_T1_T2_jT3_P12ihipStream_tbPNSt15iterator_traitsISI_E10value_typeEPNSO_ISJ_E10value_typeEPSK_NS1_7vsmem_tEENKUlT_SI_SJ_SK_E_clISD_PfSD_S10_EESH_SX_SI_SJ_SK_EUlSX_E1_NS1_11comp_targetILNS1_3genE5ELNS1_11target_archE942ELNS1_3gpuE9ELNS1_3repE0EEENS1_36merge_oddeven_config_static_selectorELNS0_4arch9wavefront6targetE1EEEvSJ_.has_indirect_call, 0
	.section	.AMDGPU.csdata,"",@progbits
; Kernel info:
; codeLenInByte = 0
; TotalNumSgprs: 6
; NumVgprs: 0
; NumAgprs: 0
; TotalNumVgprs: 0
; ScratchSize: 0
; MemoryBound: 0
; FloatMode: 240
; IeeeMode: 1
; LDSByteSize: 0 bytes/workgroup (compile time only)
; SGPRBlocks: 0
; VGPRBlocks: 0
; NumSGPRsForWavesPerEU: 6
; NumVGPRsForWavesPerEU: 1
; AccumOffset: 4
; Occupancy: 8
; WaveLimiterHint : 0
; COMPUTE_PGM_RSRC2:SCRATCH_EN: 0
; COMPUTE_PGM_RSRC2:USER_SGPR: 2
; COMPUTE_PGM_RSRC2:TRAP_HANDLER: 0
; COMPUTE_PGM_RSRC2:TGID_X_EN: 1
; COMPUTE_PGM_RSRC2:TGID_Y_EN: 0
; COMPUTE_PGM_RSRC2:TGID_Z_EN: 0
; COMPUTE_PGM_RSRC2:TIDIG_COMP_CNT: 0
; COMPUTE_PGM_RSRC3_GFX90A:ACCUM_OFFSET: 0
; COMPUTE_PGM_RSRC3_GFX90A:TG_SPLIT: 0
	.section	.text._ZN7rocprim17ROCPRIM_400000_NS6detail17trampoline_kernelINS0_14default_configENS1_38merge_sort_block_merge_config_selectorIffEEZZNS1_27merge_sort_block_merge_implIS3_N6thrust23THRUST_200600_302600_NS6detail15normal_iteratorINS8_10device_ptrIfEEEESD_jNS1_19radix_merge_compareILb0ELb0EfNS0_19identity_decomposerEEEEE10hipError_tT0_T1_T2_jT3_P12ihipStream_tbPNSt15iterator_traitsISI_E10value_typeEPNSO_ISJ_E10value_typeEPSK_NS1_7vsmem_tEENKUlT_SI_SJ_SK_E_clISD_PfSD_S10_EESH_SX_SI_SJ_SK_EUlSX_E1_NS1_11comp_targetILNS1_3genE4ELNS1_11target_archE910ELNS1_3gpuE8ELNS1_3repE0EEENS1_36merge_oddeven_config_static_selectorELNS0_4arch9wavefront6targetE1EEEvSJ_,"axG",@progbits,_ZN7rocprim17ROCPRIM_400000_NS6detail17trampoline_kernelINS0_14default_configENS1_38merge_sort_block_merge_config_selectorIffEEZZNS1_27merge_sort_block_merge_implIS3_N6thrust23THRUST_200600_302600_NS6detail15normal_iteratorINS8_10device_ptrIfEEEESD_jNS1_19radix_merge_compareILb0ELb0EfNS0_19identity_decomposerEEEEE10hipError_tT0_T1_T2_jT3_P12ihipStream_tbPNSt15iterator_traitsISI_E10value_typeEPNSO_ISJ_E10value_typeEPSK_NS1_7vsmem_tEENKUlT_SI_SJ_SK_E_clISD_PfSD_S10_EESH_SX_SI_SJ_SK_EUlSX_E1_NS1_11comp_targetILNS1_3genE4ELNS1_11target_archE910ELNS1_3gpuE8ELNS1_3repE0EEENS1_36merge_oddeven_config_static_selectorELNS0_4arch9wavefront6targetE1EEEvSJ_,comdat
	.protected	_ZN7rocprim17ROCPRIM_400000_NS6detail17trampoline_kernelINS0_14default_configENS1_38merge_sort_block_merge_config_selectorIffEEZZNS1_27merge_sort_block_merge_implIS3_N6thrust23THRUST_200600_302600_NS6detail15normal_iteratorINS8_10device_ptrIfEEEESD_jNS1_19radix_merge_compareILb0ELb0EfNS0_19identity_decomposerEEEEE10hipError_tT0_T1_T2_jT3_P12ihipStream_tbPNSt15iterator_traitsISI_E10value_typeEPNSO_ISJ_E10value_typeEPSK_NS1_7vsmem_tEENKUlT_SI_SJ_SK_E_clISD_PfSD_S10_EESH_SX_SI_SJ_SK_EUlSX_E1_NS1_11comp_targetILNS1_3genE4ELNS1_11target_archE910ELNS1_3gpuE8ELNS1_3repE0EEENS1_36merge_oddeven_config_static_selectorELNS0_4arch9wavefront6targetE1EEEvSJ_ ; -- Begin function _ZN7rocprim17ROCPRIM_400000_NS6detail17trampoline_kernelINS0_14default_configENS1_38merge_sort_block_merge_config_selectorIffEEZZNS1_27merge_sort_block_merge_implIS3_N6thrust23THRUST_200600_302600_NS6detail15normal_iteratorINS8_10device_ptrIfEEEESD_jNS1_19radix_merge_compareILb0ELb0EfNS0_19identity_decomposerEEEEE10hipError_tT0_T1_T2_jT3_P12ihipStream_tbPNSt15iterator_traitsISI_E10value_typeEPNSO_ISJ_E10value_typeEPSK_NS1_7vsmem_tEENKUlT_SI_SJ_SK_E_clISD_PfSD_S10_EESH_SX_SI_SJ_SK_EUlSX_E1_NS1_11comp_targetILNS1_3genE4ELNS1_11target_archE910ELNS1_3gpuE8ELNS1_3repE0EEENS1_36merge_oddeven_config_static_selectorELNS0_4arch9wavefront6targetE1EEEvSJ_
	.globl	_ZN7rocprim17ROCPRIM_400000_NS6detail17trampoline_kernelINS0_14default_configENS1_38merge_sort_block_merge_config_selectorIffEEZZNS1_27merge_sort_block_merge_implIS3_N6thrust23THRUST_200600_302600_NS6detail15normal_iteratorINS8_10device_ptrIfEEEESD_jNS1_19radix_merge_compareILb0ELb0EfNS0_19identity_decomposerEEEEE10hipError_tT0_T1_T2_jT3_P12ihipStream_tbPNSt15iterator_traitsISI_E10value_typeEPNSO_ISJ_E10value_typeEPSK_NS1_7vsmem_tEENKUlT_SI_SJ_SK_E_clISD_PfSD_S10_EESH_SX_SI_SJ_SK_EUlSX_E1_NS1_11comp_targetILNS1_3genE4ELNS1_11target_archE910ELNS1_3gpuE8ELNS1_3repE0EEENS1_36merge_oddeven_config_static_selectorELNS0_4arch9wavefront6targetE1EEEvSJ_
	.p2align	8
	.type	_ZN7rocprim17ROCPRIM_400000_NS6detail17trampoline_kernelINS0_14default_configENS1_38merge_sort_block_merge_config_selectorIffEEZZNS1_27merge_sort_block_merge_implIS3_N6thrust23THRUST_200600_302600_NS6detail15normal_iteratorINS8_10device_ptrIfEEEESD_jNS1_19radix_merge_compareILb0ELb0EfNS0_19identity_decomposerEEEEE10hipError_tT0_T1_T2_jT3_P12ihipStream_tbPNSt15iterator_traitsISI_E10value_typeEPNSO_ISJ_E10value_typeEPSK_NS1_7vsmem_tEENKUlT_SI_SJ_SK_E_clISD_PfSD_S10_EESH_SX_SI_SJ_SK_EUlSX_E1_NS1_11comp_targetILNS1_3genE4ELNS1_11target_archE910ELNS1_3gpuE8ELNS1_3repE0EEENS1_36merge_oddeven_config_static_selectorELNS0_4arch9wavefront6targetE1EEEvSJ_,@function
_ZN7rocprim17ROCPRIM_400000_NS6detail17trampoline_kernelINS0_14default_configENS1_38merge_sort_block_merge_config_selectorIffEEZZNS1_27merge_sort_block_merge_implIS3_N6thrust23THRUST_200600_302600_NS6detail15normal_iteratorINS8_10device_ptrIfEEEESD_jNS1_19radix_merge_compareILb0ELb0EfNS0_19identity_decomposerEEEEE10hipError_tT0_T1_T2_jT3_P12ihipStream_tbPNSt15iterator_traitsISI_E10value_typeEPNSO_ISJ_E10value_typeEPSK_NS1_7vsmem_tEENKUlT_SI_SJ_SK_E_clISD_PfSD_S10_EESH_SX_SI_SJ_SK_EUlSX_E1_NS1_11comp_targetILNS1_3genE4ELNS1_11target_archE910ELNS1_3gpuE8ELNS1_3repE0EEENS1_36merge_oddeven_config_static_selectorELNS0_4arch9wavefront6targetE1EEEvSJ_: ; @_ZN7rocprim17ROCPRIM_400000_NS6detail17trampoline_kernelINS0_14default_configENS1_38merge_sort_block_merge_config_selectorIffEEZZNS1_27merge_sort_block_merge_implIS3_N6thrust23THRUST_200600_302600_NS6detail15normal_iteratorINS8_10device_ptrIfEEEESD_jNS1_19radix_merge_compareILb0ELb0EfNS0_19identity_decomposerEEEEE10hipError_tT0_T1_T2_jT3_P12ihipStream_tbPNSt15iterator_traitsISI_E10value_typeEPNSO_ISJ_E10value_typeEPSK_NS1_7vsmem_tEENKUlT_SI_SJ_SK_E_clISD_PfSD_S10_EESH_SX_SI_SJ_SK_EUlSX_E1_NS1_11comp_targetILNS1_3genE4ELNS1_11target_archE910ELNS1_3gpuE8ELNS1_3repE0EEENS1_36merge_oddeven_config_static_selectorELNS0_4arch9wavefront6targetE1EEEvSJ_
; %bb.0:
	.section	.rodata,"a",@progbits
	.p2align	6, 0x0
	.amdhsa_kernel _ZN7rocprim17ROCPRIM_400000_NS6detail17trampoline_kernelINS0_14default_configENS1_38merge_sort_block_merge_config_selectorIffEEZZNS1_27merge_sort_block_merge_implIS3_N6thrust23THRUST_200600_302600_NS6detail15normal_iteratorINS8_10device_ptrIfEEEESD_jNS1_19radix_merge_compareILb0ELb0EfNS0_19identity_decomposerEEEEE10hipError_tT0_T1_T2_jT3_P12ihipStream_tbPNSt15iterator_traitsISI_E10value_typeEPNSO_ISJ_E10value_typeEPSK_NS1_7vsmem_tEENKUlT_SI_SJ_SK_E_clISD_PfSD_S10_EESH_SX_SI_SJ_SK_EUlSX_E1_NS1_11comp_targetILNS1_3genE4ELNS1_11target_archE910ELNS1_3gpuE8ELNS1_3repE0EEENS1_36merge_oddeven_config_static_selectorELNS0_4arch9wavefront6targetE1EEEvSJ_
		.amdhsa_group_segment_fixed_size 0
		.amdhsa_private_segment_fixed_size 0
		.amdhsa_kernarg_size 48
		.amdhsa_user_sgpr_count 2
		.amdhsa_user_sgpr_dispatch_ptr 0
		.amdhsa_user_sgpr_queue_ptr 0
		.amdhsa_user_sgpr_kernarg_segment_ptr 1
		.amdhsa_user_sgpr_dispatch_id 0
		.amdhsa_user_sgpr_kernarg_preload_length 0
		.amdhsa_user_sgpr_kernarg_preload_offset 0
		.amdhsa_user_sgpr_private_segment_size 0
		.amdhsa_uses_dynamic_stack 0
		.amdhsa_enable_private_segment 0
		.amdhsa_system_sgpr_workgroup_id_x 1
		.amdhsa_system_sgpr_workgroup_id_y 0
		.amdhsa_system_sgpr_workgroup_id_z 0
		.amdhsa_system_sgpr_workgroup_info 0
		.amdhsa_system_vgpr_workitem_id 0
		.amdhsa_next_free_vgpr 1
		.amdhsa_next_free_sgpr 0
		.amdhsa_accum_offset 4
		.amdhsa_reserve_vcc 0
		.amdhsa_float_round_mode_32 0
		.amdhsa_float_round_mode_16_64 0
		.amdhsa_float_denorm_mode_32 3
		.amdhsa_float_denorm_mode_16_64 3
		.amdhsa_dx10_clamp 1
		.amdhsa_ieee_mode 1
		.amdhsa_fp16_overflow 0
		.amdhsa_tg_split 0
		.amdhsa_exception_fp_ieee_invalid_op 0
		.amdhsa_exception_fp_denorm_src 0
		.amdhsa_exception_fp_ieee_div_zero 0
		.amdhsa_exception_fp_ieee_overflow 0
		.amdhsa_exception_fp_ieee_underflow 0
		.amdhsa_exception_fp_ieee_inexact 0
		.amdhsa_exception_int_div_zero 0
	.end_amdhsa_kernel
	.section	.text._ZN7rocprim17ROCPRIM_400000_NS6detail17trampoline_kernelINS0_14default_configENS1_38merge_sort_block_merge_config_selectorIffEEZZNS1_27merge_sort_block_merge_implIS3_N6thrust23THRUST_200600_302600_NS6detail15normal_iteratorINS8_10device_ptrIfEEEESD_jNS1_19radix_merge_compareILb0ELb0EfNS0_19identity_decomposerEEEEE10hipError_tT0_T1_T2_jT3_P12ihipStream_tbPNSt15iterator_traitsISI_E10value_typeEPNSO_ISJ_E10value_typeEPSK_NS1_7vsmem_tEENKUlT_SI_SJ_SK_E_clISD_PfSD_S10_EESH_SX_SI_SJ_SK_EUlSX_E1_NS1_11comp_targetILNS1_3genE4ELNS1_11target_archE910ELNS1_3gpuE8ELNS1_3repE0EEENS1_36merge_oddeven_config_static_selectorELNS0_4arch9wavefront6targetE1EEEvSJ_,"axG",@progbits,_ZN7rocprim17ROCPRIM_400000_NS6detail17trampoline_kernelINS0_14default_configENS1_38merge_sort_block_merge_config_selectorIffEEZZNS1_27merge_sort_block_merge_implIS3_N6thrust23THRUST_200600_302600_NS6detail15normal_iteratorINS8_10device_ptrIfEEEESD_jNS1_19radix_merge_compareILb0ELb0EfNS0_19identity_decomposerEEEEE10hipError_tT0_T1_T2_jT3_P12ihipStream_tbPNSt15iterator_traitsISI_E10value_typeEPNSO_ISJ_E10value_typeEPSK_NS1_7vsmem_tEENKUlT_SI_SJ_SK_E_clISD_PfSD_S10_EESH_SX_SI_SJ_SK_EUlSX_E1_NS1_11comp_targetILNS1_3genE4ELNS1_11target_archE910ELNS1_3gpuE8ELNS1_3repE0EEENS1_36merge_oddeven_config_static_selectorELNS0_4arch9wavefront6targetE1EEEvSJ_,comdat
.Lfunc_end264:
	.size	_ZN7rocprim17ROCPRIM_400000_NS6detail17trampoline_kernelINS0_14default_configENS1_38merge_sort_block_merge_config_selectorIffEEZZNS1_27merge_sort_block_merge_implIS3_N6thrust23THRUST_200600_302600_NS6detail15normal_iteratorINS8_10device_ptrIfEEEESD_jNS1_19radix_merge_compareILb0ELb0EfNS0_19identity_decomposerEEEEE10hipError_tT0_T1_T2_jT3_P12ihipStream_tbPNSt15iterator_traitsISI_E10value_typeEPNSO_ISJ_E10value_typeEPSK_NS1_7vsmem_tEENKUlT_SI_SJ_SK_E_clISD_PfSD_S10_EESH_SX_SI_SJ_SK_EUlSX_E1_NS1_11comp_targetILNS1_3genE4ELNS1_11target_archE910ELNS1_3gpuE8ELNS1_3repE0EEENS1_36merge_oddeven_config_static_selectorELNS0_4arch9wavefront6targetE1EEEvSJ_, .Lfunc_end264-_ZN7rocprim17ROCPRIM_400000_NS6detail17trampoline_kernelINS0_14default_configENS1_38merge_sort_block_merge_config_selectorIffEEZZNS1_27merge_sort_block_merge_implIS3_N6thrust23THRUST_200600_302600_NS6detail15normal_iteratorINS8_10device_ptrIfEEEESD_jNS1_19radix_merge_compareILb0ELb0EfNS0_19identity_decomposerEEEEE10hipError_tT0_T1_T2_jT3_P12ihipStream_tbPNSt15iterator_traitsISI_E10value_typeEPNSO_ISJ_E10value_typeEPSK_NS1_7vsmem_tEENKUlT_SI_SJ_SK_E_clISD_PfSD_S10_EESH_SX_SI_SJ_SK_EUlSX_E1_NS1_11comp_targetILNS1_3genE4ELNS1_11target_archE910ELNS1_3gpuE8ELNS1_3repE0EEENS1_36merge_oddeven_config_static_selectorELNS0_4arch9wavefront6targetE1EEEvSJ_
                                        ; -- End function
	.set _ZN7rocprim17ROCPRIM_400000_NS6detail17trampoline_kernelINS0_14default_configENS1_38merge_sort_block_merge_config_selectorIffEEZZNS1_27merge_sort_block_merge_implIS3_N6thrust23THRUST_200600_302600_NS6detail15normal_iteratorINS8_10device_ptrIfEEEESD_jNS1_19radix_merge_compareILb0ELb0EfNS0_19identity_decomposerEEEEE10hipError_tT0_T1_T2_jT3_P12ihipStream_tbPNSt15iterator_traitsISI_E10value_typeEPNSO_ISJ_E10value_typeEPSK_NS1_7vsmem_tEENKUlT_SI_SJ_SK_E_clISD_PfSD_S10_EESH_SX_SI_SJ_SK_EUlSX_E1_NS1_11comp_targetILNS1_3genE4ELNS1_11target_archE910ELNS1_3gpuE8ELNS1_3repE0EEENS1_36merge_oddeven_config_static_selectorELNS0_4arch9wavefront6targetE1EEEvSJ_.num_vgpr, 0
	.set _ZN7rocprim17ROCPRIM_400000_NS6detail17trampoline_kernelINS0_14default_configENS1_38merge_sort_block_merge_config_selectorIffEEZZNS1_27merge_sort_block_merge_implIS3_N6thrust23THRUST_200600_302600_NS6detail15normal_iteratorINS8_10device_ptrIfEEEESD_jNS1_19radix_merge_compareILb0ELb0EfNS0_19identity_decomposerEEEEE10hipError_tT0_T1_T2_jT3_P12ihipStream_tbPNSt15iterator_traitsISI_E10value_typeEPNSO_ISJ_E10value_typeEPSK_NS1_7vsmem_tEENKUlT_SI_SJ_SK_E_clISD_PfSD_S10_EESH_SX_SI_SJ_SK_EUlSX_E1_NS1_11comp_targetILNS1_3genE4ELNS1_11target_archE910ELNS1_3gpuE8ELNS1_3repE0EEENS1_36merge_oddeven_config_static_selectorELNS0_4arch9wavefront6targetE1EEEvSJ_.num_agpr, 0
	.set _ZN7rocprim17ROCPRIM_400000_NS6detail17trampoline_kernelINS0_14default_configENS1_38merge_sort_block_merge_config_selectorIffEEZZNS1_27merge_sort_block_merge_implIS3_N6thrust23THRUST_200600_302600_NS6detail15normal_iteratorINS8_10device_ptrIfEEEESD_jNS1_19radix_merge_compareILb0ELb0EfNS0_19identity_decomposerEEEEE10hipError_tT0_T1_T2_jT3_P12ihipStream_tbPNSt15iterator_traitsISI_E10value_typeEPNSO_ISJ_E10value_typeEPSK_NS1_7vsmem_tEENKUlT_SI_SJ_SK_E_clISD_PfSD_S10_EESH_SX_SI_SJ_SK_EUlSX_E1_NS1_11comp_targetILNS1_3genE4ELNS1_11target_archE910ELNS1_3gpuE8ELNS1_3repE0EEENS1_36merge_oddeven_config_static_selectorELNS0_4arch9wavefront6targetE1EEEvSJ_.numbered_sgpr, 0
	.set _ZN7rocprim17ROCPRIM_400000_NS6detail17trampoline_kernelINS0_14default_configENS1_38merge_sort_block_merge_config_selectorIffEEZZNS1_27merge_sort_block_merge_implIS3_N6thrust23THRUST_200600_302600_NS6detail15normal_iteratorINS8_10device_ptrIfEEEESD_jNS1_19radix_merge_compareILb0ELb0EfNS0_19identity_decomposerEEEEE10hipError_tT0_T1_T2_jT3_P12ihipStream_tbPNSt15iterator_traitsISI_E10value_typeEPNSO_ISJ_E10value_typeEPSK_NS1_7vsmem_tEENKUlT_SI_SJ_SK_E_clISD_PfSD_S10_EESH_SX_SI_SJ_SK_EUlSX_E1_NS1_11comp_targetILNS1_3genE4ELNS1_11target_archE910ELNS1_3gpuE8ELNS1_3repE0EEENS1_36merge_oddeven_config_static_selectorELNS0_4arch9wavefront6targetE1EEEvSJ_.num_named_barrier, 0
	.set _ZN7rocprim17ROCPRIM_400000_NS6detail17trampoline_kernelINS0_14default_configENS1_38merge_sort_block_merge_config_selectorIffEEZZNS1_27merge_sort_block_merge_implIS3_N6thrust23THRUST_200600_302600_NS6detail15normal_iteratorINS8_10device_ptrIfEEEESD_jNS1_19radix_merge_compareILb0ELb0EfNS0_19identity_decomposerEEEEE10hipError_tT0_T1_T2_jT3_P12ihipStream_tbPNSt15iterator_traitsISI_E10value_typeEPNSO_ISJ_E10value_typeEPSK_NS1_7vsmem_tEENKUlT_SI_SJ_SK_E_clISD_PfSD_S10_EESH_SX_SI_SJ_SK_EUlSX_E1_NS1_11comp_targetILNS1_3genE4ELNS1_11target_archE910ELNS1_3gpuE8ELNS1_3repE0EEENS1_36merge_oddeven_config_static_selectorELNS0_4arch9wavefront6targetE1EEEvSJ_.private_seg_size, 0
	.set _ZN7rocprim17ROCPRIM_400000_NS6detail17trampoline_kernelINS0_14default_configENS1_38merge_sort_block_merge_config_selectorIffEEZZNS1_27merge_sort_block_merge_implIS3_N6thrust23THRUST_200600_302600_NS6detail15normal_iteratorINS8_10device_ptrIfEEEESD_jNS1_19radix_merge_compareILb0ELb0EfNS0_19identity_decomposerEEEEE10hipError_tT0_T1_T2_jT3_P12ihipStream_tbPNSt15iterator_traitsISI_E10value_typeEPNSO_ISJ_E10value_typeEPSK_NS1_7vsmem_tEENKUlT_SI_SJ_SK_E_clISD_PfSD_S10_EESH_SX_SI_SJ_SK_EUlSX_E1_NS1_11comp_targetILNS1_3genE4ELNS1_11target_archE910ELNS1_3gpuE8ELNS1_3repE0EEENS1_36merge_oddeven_config_static_selectorELNS0_4arch9wavefront6targetE1EEEvSJ_.uses_vcc, 0
	.set _ZN7rocprim17ROCPRIM_400000_NS6detail17trampoline_kernelINS0_14default_configENS1_38merge_sort_block_merge_config_selectorIffEEZZNS1_27merge_sort_block_merge_implIS3_N6thrust23THRUST_200600_302600_NS6detail15normal_iteratorINS8_10device_ptrIfEEEESD_jNS1_19radix_merge_compareILb0ELb0EfNS0_19identity_decomposerEEEEE10hipError_tT0_T1_T2_jT3_P12ihipStream_tbPNSt15iterator_traitsISI_E10value_typeEPNSO_ISJ_E10value_typeEPSK_NS1_7vsmem_tEENKUlT_SI_SJ_SK_E_clISD_PfSD_S10_EESH_SX_SI_SJ_SK_EUlSX_E1_NS1_11comp_targetILNS1_3genE4ELNS1_11target_archE910ELNS1_3gpuE8ELNS1_3repE0EEENS1_36merge_oddeven_config_static_selectorELNS0_4arch9wavefront6targetE1EEEvSJ_.uses_flat_scratch, 0
	.set _ZN7rocprim17ROCPRIM_400000_NS6detail17trampoline_kernelINS0_14default_configENS1_38merge_sort_block_merge_config_selectorIffEEZZNS1_27merge_sort_block_merge_implIS3_N6thrust23THRUST_200600_302600_NS6detail15normal_iteratorINS8_10device_ptrIfEEEESD_jNS1_19radix_merge_compareILb0ELb0EfNS0_19identity_decomposerEEEEE10hipError_tT0_T1_T2_jT3_P12ihipStream_tbPNSt15iterator_traitsISI_E10value_typeEPNSO_ISJ_E10value_typeEPSK_NS1_7vsmem_tEENKUlT_SI_SJ_SK_E_clISD_PfSD_S10_EESH_SX_SI_SJ_SK_EUlSX_E1_NS1_11comp_targetILNS1_3genE4ELNS1_11target_archE910ELNS1_3gpuE8ELNS1_3repE0EEENS1_36merge_oddeven_config_static_selectorELNS0_4arch9wavefront6targetE1EEEvSJ_.has_dyn_sized_stack, 0
	.set _ZN7rocprim17ROCPRIM_400000_NS6detail17trampoline_kernelINS0_14default_configENS1_38merge_sort_block_merge_config_selectorIffEEZZNS1_27merge_sort_block_merge_implIS3_N6thrust23THRUST_200600_302600_NS6detail15normal_iteratorINS8_10device_ptrIfEEEESD_jNS1_19radix_merge_compareILb0ELb0EfNS0_19identity_decomposerEEEEE10hipError_tT0_T1_T2_jT3_P12ihipStream_tbPNSt15iterator_traitsISI_E10value_typeEPNSO_ISJ_E10value_typeEPSK_NS1_7vsmem_tEENKUlT_SI_SJ_SK_E_clISD_PfSD_S10_EESH_SX_SI_SJ_SK_EUlSX_E1_NS1_11comp_targetILNS1_3genE4ELNS1_11target_archE910ELNS1_3gpuE8ELNS1_3repE0EEENS1_36merge_oddeven_config_static_selectorELNS0_4arch9wavefront6targetE1EEEvSJ_.has_recursion, 0
	.set _ZN7rocprim17ROCPRIM_400000_NS6detail17trampoline_kernelINS0_14default_configENS1_38merge_sort_block_merge_config_selectorIffEEZZNS1_27merge_sort_block_merge_implIS3_N6thrust23THRUST_200600_302600_NS6detail15normal_iteratorINS8_10device_ptrIfEEEESD_jNS1_19radix_merge_compareILb0ELb0EfNS0_19identity_decomposerEEEEE10hipError_tT0_T1_T2_jT3_P12ihipStream_tbPNSt15iterator_traitsISI_E10value_typeEPNSO_ISJ_E10value_typeEPSK_NS1_7vsmem_tEENKUlT_SI_SJ_SK_E_clISD_PfSD_S10_EESH_SX_SI_SJ_SK_EUlSX_E1_NS1_11comp_targetILNS1_3genE4ELNS1_11target_archE910ELNS1_3gpuE8ELNS1_3repE0EEENS1_36merge_oddeven_config_static_selectorELNS0_4arch9wavefront6targetE1EEEvSJ_.has_indirect_call, 0
	.section	.AMDGPU.csdata,"",@progbits
; Kernel info:
; codeLenInByte = 0
; TotalNumSgprs: 6
; NumVgprs: 0
; NumAgprs: 0
; TotalNumVgprs: 0
; ScratchSize: 0
; MemoryBound: 0
; FloatMode: 240
; IeeeMode: 1
; LDSByteSize: 0 bytes/workgroup (compile time only)
; SGPRBlocks: 0
; VGPRBlocks: 0
; NumSGPRsForWavesPerEU: 6
; NumVGPRsForWavesPerEU: 1
; AccumOffset: 4
; Occupancy: 8
; WaveLimiterHint : 0
; COMPUTE_PGM_RSRC2:SCRATCH_EN: 0
; COMPUTE_PGM_RSRC2:USER_SGPR: 2
; COMPUTE_PGM_RSRC2:TRAP_HANDLER: 0
; COMPUTE_PGM_RSRC2:TGID_X_EN: 1
; COMPUTE_PGM_RSRC2:TGID_Y_EN: 0
; COMPUTE_PGM_RSRC2:TGID_Z_EN: 0
; COMPUTE_PGM_RSRC2:TIDIG_COMP_CNT: 0
; COMPUTE_PGM_RSRC3_GFX90A:ACCUM_OFFSET: 0
; COMPUTE_PGM_RSRC3_GFX90A:TG_SPLIT: 0
	.section	.text._ZN7rocprim17ROCPRIM_400000_NS6detail17trampoline_kernelINS0_14default_configENS1_38merge_sort_block_merge_config_selectorIffEEZZNS1_27merge_sort_block_merge_implIS3_N6thrust23THRUST_200600_302600_NS6detail15normal_iteratorINS8_10device_ptrIfEEEESD_jNS1_19radix_merge_compareILb0ELb0EfNS0_19identity_decomposerEEEEE10hipError_tT0_T1_T2_jT3_P12ihipStream_tbPNSt15iterator_traitsISI_E10value_typeEPNSO_ISJ_E10value_typeEPSK_NS1_7vsmem_tEENKUlT_SI_SJ_SK_E_clISD_PfSD_S10_EESH_SX_SI_SJ_SK_EUlSX_E1_NS1_11comp_targetILNS1_3genE3ELNS1_11target_archE908ELNS1_3gpuE7ELNS1_3repE0EEENS1_36merge_oddeven_config_static_selectorELNS0_4arch9wavefront6targetE1EEEvSJ_,"axG",@progbits,_ZN7rocprim17ROCPRIM_400000_NS6detail17trampoline_kernelINS0_14default_configENS1_38merge_sort_block_merge_config_selectorIffEEZZNS1_27merge_sort_block_merge_implIS3_N6thrust23THRUST_200600_302600_NS6detail15normal_iteratorINS8_10device_ptrIfEEEESD_jNS1_19radix_merge_compareILb0ELb0EfNS0_19identity_decomposerEEEEE10hipError_tT0_T1_T2_jT3_P12ihipStream_tbPNSt15iterator_traitsISI_E10value_typeEPNSO_ISJ_E10value_typeEPSK_NS1_7vsmem_tEENKUlT_SI_SJ_SK_E_clISD_PfSD_S10_EESH_SX_SI_SJ_SK_EUlSX_E1_NS1_11comp_targetILNS1_3genE3ELNS1_11target_archE908ELNS1_3gpuE7ELNS1_3repE0EEENS1_36merge_oddeven_config_static_selectorELNS0_4arch9wavefront6targetE1EEEvSJ_,comdat
	.protected	_ZN7rocprim17ROCPRIM_400000_NS6detail17trampoline_kernelINS0_14default_configENS1_38merge_sort_block_merge_config_selectorIffEEZZNS1_27merge_sort_block_merge_implIS3_N6thrust23THRUST_200600_302600_NS6detail15normal_iteratorINS8_10device_ptrIfEEEESD_jNS1_19radix_merge_compareILb0ELb0EfNS0_19identity_decomposerEEEEE10hipError_tT0_T1_T2_jT3_P12ihipStream_tbPNSt15iterator_traitsISI_E10value_typeEPNSO_ISJ_E10value_typeEPSK_NS1_7vsmem_tEENKUlT_SI_SJ_SK_E_clISD_PfSD_S10_EESH_SX_SI_SJ_SK_EUlSX_E1_NS1_11comp_targetILNS1_3genE3ELNS1_11target_archE908ELNS1_3gpuE7ELNS1_3repE0EEENS1_36merge_oddeven_config_static_selectorELNS0_4arch9wavefront6targetE1EEEvSJ_ ; -- Begin function _ZN7rocprim17ROCPRIM_400000_NS6detail17trampoline_kernelINS0_14default_configENS1_38merge_sort_block_merge_config_selectorIffEEZZNS1_27merge_sort_block_merge_implIS3_N6thrust23THRUST_200600_302600_NS6detail15normal_iteratorINS8_10device_ptrIfEEEESD_jNS1_19radix_merge_compareILb0ELb0EfNS0_19identity_decomposerEEEEE10hipError_tT0_T1_T2_jT3_P12ihipStream_tbPNSt15iterator_traitsISI_E10value_typeEPNSO_ISJ_E10value_typeEPSK_NS1_7vsmem_tEENKUlT_SI_SJ_SK_E_clISD_PfSD_S10_EESH_SX_SI_SJ_SK_EUlSX_E1_NS1_11comp_targetILNS1_3genE3ELNS1_11target_archE908ELNS1_3gpuE7ELNS1_3repE0EEENS1_36merge_oddeven_config_static_selectorELNS0_4arch9wavefront6targetE1EEEvSJ_
	.globl	_ZN7rocprim17ROCPRIM_400000_NS6detail17trampoline_kernelINS0_14default_configENS1_38merge_sort_block_merge_config_selectorIffEEZZNS1_27merge_sort_block_merge_implIS3_N6thrust23THRUST_200600_302600_NS6detail15normal_iteratorINS8_10device_ptrIfEEEESD_jNS1_19radix_merge_compareILb0ELb0EfNS0_19identity_decomposerEEEEE10hipError_tT0_T1_T2_jT3_P12ihipStream_tbPNSt15iterator_traitsISI_E10value_typeEPNSO_ISJ_E10value_typeEPSK_NS1_7vsmem_tEENKUlT_SI_SJ_SK_E_clISD_PfSD_S10_EESH_SX_SI_SJ_SK_EUlSX_E1_NS1_11comp_targetILNS1_3genE3ELNS1_11target_archE908ELNS1_3gpuE7ELNS1_3repE0EEENS1_36merge_oddeven_config_static_selectorELNS0_4arch9wavefront6targetE1EEEvSJ_
	.p2align	8
	.type	_ZN7rocprim17ROCPRIM_400000_NS6detail17trampoline_kernelINS0_14default_configENS1_38merge_sort_block_merge_config_selectorIffEEZZNS1_27merge_sort_block_merge_implIS3_N6thrust23THRUST_200600_302600_NS6detail15normal_iteratorINS8_10device_ptrIfEEEESD_jNS1_19radix_merge_compareILb0ELb0EfNS0_19identity_decomposerEEEEE10hipError_tT0_T1_T2_jT3_P12ihipStream_tbPNSt15iterator_traitsISI_E10value_typeEPNSO_ISJ_E10value_typeEPSK_NS1_7vsmem_tEENKUlT_SI_SJ_SK_E_clISD_PfSD_S10_EESH_SX_SI_SJ_SK_EUlSX_E1_NS1_11comp_targetILNS1_3genE3ELNS1_11target_archE908ELNS1_3gpuE7ELNS1_3repE0EEENS1_36merge_oddeven_config_static_selectorELNS0_4arch9wavefront6targetE1EEEvSJ_,@function
_ZN7rocprim17ROCPRIM_400000_NS6detail17trampoline_kernelINS0_14default_configENS1_38merge_sort_block_merge_config_selectorIffEEZZNS1_27merge_sort_block_merge_implIS3_N6thrust23THRUST_200600_302600_NS6detail15normal_iteratorINS8_10device_ptrIfEEEESD_jNS1_19radix_merge_compareILb0ELb0EfNS0_19identity_decomposerEEEEE10hipError_tT0_T1_T2_jT3_P12ihipStream_tbPNSt15iterator_traitsISI_E10value_typeEPNSO_ISJ_E10value_typeEPSK_NS1_7vsmem_tEENKUlT_SI_SJ_SK_E_clISD_PfSD_S10_EESH_SX_SI_SJ_SK_EUlSX_E1_NS1_11comp_targetILNS1_3genE3ELNS1_11target_archE908ELNS1_3gpuE7ELNS1_3repE0EEENS1_36merge_oddeven_config_static_selectorELNS0_4arch9wavefront6targetE1EEEvSJ_: ; @_ZN7rocprim17ROCPRIM_400000_NS6detail17trampoline_kernelINS0_14default_configENS1_38merge_sort_block_merge_config_selectorIffEEZZNS1_27merge_sort_block_merge_implIS3_N6thrust23THRUST_200600_302600_NS6detail15normal_iteratorINS8_10device_ptrIfEEEESD_jNS1_19radix_merge_compareILb0ELb0EfNS0_19identity_decomposerEEEEE10hipError_tT0_T1_T2_jT3_P12ihipStream_tbPNSt15iterator_traitsISI_E10value_typeEPNSO_ISJ_E10value_typeEPSK_NS1_7vsmem_tEENKUlT_SI_SJ_SK_E_clISD_PfSD_S10_EESH_SX_SI_SJ_SK_EUlSX_E1_NS1_11comp_targetILNS1_3genE3ELNS1_11target_archE908ELNS1_3gpuE7ELNS1_3repE0EEENS1_36merge_oddeven_config_static_selectorELNS0_4arch9wavefront6targetE1EEEvSJ_
; %bb.0:
	.section	.rodata,"a",@progbits
	.p2align	6, 0x0
	.amdhsa_kernel _ZN7rocprim17ROCPRIM_400000_NS6detail17trampoline_kernelINS0_14default_configENS1_38merge_sort_block_merge_config_selectorIffEEZZNS1_27merge_sort_block_merge_implIS3_N6thrust23THRUST_200600_302600_NS6detail15normal_iteratorINS8_10device_ptrIfEEEESD_jNS1_19radix_merge_compareILb0ELb0EfNS0_19identity_decomposerEEEEE10hipError_tT0_T1_T2_jT3_P12ihipStream_tbPNSt15iterator_traitsISI_E10value_typeEPNSO_ISJ_E10value_typeEPSK_NS1_7vsmem_tEENKUlT_SI_SJ_SK_E_clISD_PfSD_S10_EESH_SX_SI_SJ_SK_EUlSX_E1_NS1_11comp_targetILNS1_3genE3ELNS1_11target_archE908ELNS1_3gpuE7ELNS1_3repE0EEENS1_36merge_oddeven_config_static_selectorELNS0_4arch9wavefront6targetE1EEEvSJ_
		.amdhsa_group_segment_fixed_size 0
		.amdhsa_private_segment_fixed_size 0
		.amdhsa_kernarg_size 48
		.amdhsa_user_sgpr_count 2
		.amdhsa_user_sgpr_dispatch_ptr 0
		.amdhsa_user_sgpr_queue_ptr 0
		.amdhsa_user_sgpr_kernarg_segment_ptr 1
		.amdhsa_user_sgpr_dispatch_id 0
		.amdhsa_user_sgpr_kernarg_preload_length 0
		.amdhsa_user_sgpr_kernarg_preload_offset 0
		.amdhsa_user_sgpr_private_segment_size 0
		.amdhsa_uses_dynamic_stack 0
		.amdhsa_enable_private_segment 0
		.amdhsa_system_sgpr_workgroup_id_x 1
		.amdhsa_system_sgpr_workgroup_id_y 0
		.amdhsa_system_sgpr_workgroup_id_z 0
		.amdhsa_system_sgpr_workgroup_info 0
		.amdhsa_system_vgpr_workitem_id 0
		.amdhsa_next_free_vgpr 1
		.amdhsa_next_free_sgpr 0
		.amdhsa_accum_offset 4
		.amdhsa_reserve_vcc 0
		.amdhsa_float_round_mode_32 0
		.amdhsa_float_round_mode_16_64 0
		.amdhsa_float_denorm_mode_32 3
		.amdhsa_float_denorm_mode_16_64 3
		.amdhsa_dx10_clamp 1
		.amdhsa_ieee_mode 1
		.amdhsa_fp16_overflow 0
		.amdhsa_tg_split 0
		.amdhsa_exception_fp_ieee_invalid_op 0
		.amdhsa_exception_fp_denorm_src 0
		.amdhsa_exception_fp_ieee_div_zero 0
		.amdhsa_exception_fp_ieee_overflow 0
		.amdhsa_exception_fp_ieee_underflow 0
		.amdhsa_exception_fp_ieee_inexact 0
		.amdhsa_exception_int_div_zero 0
	.end_amdhsa_kernel
	.section	.text._ZN7rocprim17ROCPRIM_400000_NS6detail17trampoline_kernelINS0_14default_configENS1_38merge_sort_block_merge_config_selectorIffEEZZNS1_27merge_sort_block_merge_implIS3_N6thrust23THRUST_200600_302600_NS6detail15normal_iteratorINS8_10device_ptrIfEEEESD_jNS1_19radix_merge_compareILb0ELb0EfNS0_19identity_decomposerEEEEE10hipError_tT0_T1_T2_jT3_P12ihipStream_tbPNSt15iterator_traitsISI_E10value_typeEPNSO_ISJ_E10value_typeEPSK_NS1_7vsmem_tEENKUlT_SI_SJ_SK_E_clISD_PfSD_S10_EESH_SX_SI_SJ_SK_EUlSX_E1_NS1_11comp_targetILNS1_3genE3ELNS1_11target_archE908ELNS1_3gpuE7ELNS1_3repE0EEENS1_36merge_oddeven_config_static_selectorELNS0_4arch9wavefront6targetE1EEEvSJ_,"axG",@progbits,_ZN7rocprim17ROCPRIM_400000_NS6detail17trampoline_kernelINS0_14default_configENS1_38merge_sort_block_merge_config_selectorIffEEZZNS1_27merge_sort_block_merge_implIS3_N6thrust23THRUST_200600_302600_NS6detail15normal_iteratorINS8_10device_ptrIfEEEESD_jNS1_19radix_merge_compareILb0ELb0EfNS0_19identity_decomposerEEEEE10hipError_tT0_T1_T2_jT3_P12ihipStream_tbPNSt15iterator_traitsISI_E10value_typeEPNSO_ISJ_E10value_typeEPSK_NS1_7vsmem_tEENKUlT_SI_SJ_SK_E_clISD_PfSD_S10_EESH_SX_SI_SJ_SK_EUlSX_E1_NS1_11comp_targetILNS1_3genE3ELNS1_11target_archE908ELNS1_3gpuE7ELNS1_3repE0EEENS1_36merge_oddeven_config_static_selectorELNS0_4arch9wavefront6targetE1EEEvSJ_,comdat
.Lfunc_end265:
	.size	_ZN7rocprim17ROCPRIM_400000_NS6detail17trampoline_kernelINS0_14default_configENS1_38merge_sort_block_merge_config_selectorIffEEZZNS1_27merge_sort_block_merge_implIS3_N6thrust23THRUST_200600_302600_NS6detail15normal_iteratorINS8_10device_ptrIfEEEESD_jNS1_19radix_merge_compareILb0ELb0EfNS0_19identity_decomposerEEEEE10hipError_tT0_T1_T2_jT3_P12ihipStream_tbPNSt15iterator_traitsISI_E10value_typeEPNSO_ISJ_E10value_typeEPSK_NS1_7vsmem_tEENKUlT_SI_SJ_SK_E_clISD_PfSD_S10_EESH_SX_SI_SJ_SK_EUlSX_E1_NS1_11comp_targetILNS1_3genE3ELNS1_11target_archE908ELNS1_3gpuE7ELNS1_3repE0EEENS1_36merge_oddeven_config_static_selectorELNS0_4arch9wavefront6targetE1EEEvSJ_, .Lfunc_end265-_ZN7rocprim17ROCPRIM_400000_NS6detail17trampoline_kernelINS0_14default_configENS1_38merge_sort_block_merge_config_selectorIffEEZZNS1_27merge_sort_block_merge_implIS3_N6thrust23THRUST_200600_302600_NS6detail15normal_iteratorINS8_10device_ptrIfEEEESD_jNS1_19radix_merge_compareILb0ELb0EfNS0_19identity_decomposerEEEEE10hipError_tT0_T1_T2_jT3_P12ihipStream_tbPNSt15iterator_traitsISI_E10value_typeEPNSO_ISJ_E10value_typeEPSK_NS1_7vsmem_tEENKUlT_SI_SJ_SK_E_clISD_PfSD_S10_EESH_SX_SI_SJ_SK_EUlSX_E1_NS1_11comp_targetILNS1_3genE3ELNS1_11target_archE908ELNS1_3gpuE7ELNS1_3repE0EEENS1_36merge_oddeven_config_static_selectorELNS0_4arch9wavefront6targetE1EEEvSJ_
                                        ; -- End function
	.set _ZN7rocprim17ROCPRIM_400000_NS6detail17trampoline_kernelINS0_14default_configENS1_38merge_sort_block_merge_config_selectorIffEEZZNS1_27merge_sort_block_merge_implIS3_N6thrust23THRUST_200600_302600_NS6detail15normal_iteratorINS8_10device_ptrIfEEEESD_jNS1_19radix_merge_compareILb0ELb0EfNS0_19identity_decomposerEEEEE10hipError_tT0_T1_T2_jT3_P12ihipStream_tbPNSt15iterator_traitsISI_E10value_typeEPNSO_ISJ_E10value_typeEPSK_NS1_7vsmem_tEENKUlT_SI_SJ_SK_E_clISD_PfSD_S10_EESH_SX_SI_SJ_SK_EUlSX_E1_NS1_11comp_targetILNS1_3genE3ELNS1_11target_archE908ELNS1_3gpuE7ELNS1_3repE0EEENS1_36merge_oddeven_config_static_selectorELNS0_4arch9wavefront6targetE1EEEvSJ_.num_vgpr, 0
	.set _ZN7rocprim17ROCPRIM_400000_NS6detail17trampoline_kernelINS0_14default_configENS1_38merge_sort_block_merge_config_selectorIffEEZZNS1_27merge_sort_block_merge_implIS3_N6thrust23THRUST_200600_302600_NS6detail15normal_iteratorINS8_10device_ptrIfEEEESD_jNS1_19radix_merge_compareILb0ELb0EfNS0_19identity_decomposerEEEEE10hipError_tT0_T1_T2_jT3_P12ihipStream_tbPNSt15iterator_traitsISI_E10value_typeEPNSO_ISJ_E10value_typeEPSK_NS1_7vsmem_tEENKUlT_SI_SJ_SK_E_clISD_PfSD_S10_EESH_SX_SI_SJ_SK_EUlSX_E1_NS1_11comp_targetILNS1_3genE3ELNS1_11target_archE908ELNS1_3gpuE7ELNS1_3repE0EEENS1_36merge_oddeven_config_static_selectorELNS0_4arch9wavefront6targetE1EEEvSJ_.num_agpr, 0
	.set _ZN7rocprim17ROCPRIM_400000_NS6detail17trampoline_kernelINS0_14default_configENS1_38merge_sort_block_merge_config_selectorIffEEZZNS1_27merge_sort_block_merge_implIS3_N6thrust23THRUST_200600_302600_NS6detail15normal_iteratorINS8_10device_ptrIfEEEESD_jNS1_19radix_merge_compareILb0ELb0EfNS0_19identity_decomposerEEEEE10hipError_tT0_T1_T2_jT3_P12ihipStream_tbPNSt15iterator_traitsISI_E10value_typeEPNSO_ISJ_E10value_typeEPSK_NS1_7vsmem_tEENKUlT_SI_SJ_SK_E_clISD_PfSD_S10_EESH_SX_SI_SJ_SK_EUlSX_E1_NS1_11comp_targetILNS1_3genE3ELNS1_11target_archE908ELNS1_3gpuE7ELNS1_3repE0EEENS1_36merge_oddeven_config_static_selectorELNS0_4arch9wavefront6targetE1EEEvSJ_.numbered_sgpr, 0
	.set _ZN7rocprim17ROCPRIM_400000_NS6detail17trampoline_kernelINS0_14default_configENS1_38merge_sort_block_merge_config_selectorIffEEZZNS1_27merge_sort_block_merge_implIS3_N6thrust23THRUST_200600_302600_NS6detail15normal_iteratorINS8_10device_ptrIfEEEESD_jNS1_19radix_merge_compareILb0ELb0EfNS0_19identity_decomposerEEEEE10hipError_tT0_T1_T2_jT3_P12ihipStream_tbPNSt15iterator_traitsISI_E10value_typeEPNSO_ISJ_E10value_typeEPSK_NS1_7vsmem_tEENKUlT_SI_SJ_SK_E_clISD_PfSD_S10_EESH_SX_SI_SJ_SK_EUlSX_E1_NS1_11comp_targetILNS1_3genE3ELNS1_11target_archE908ELNS1_3gpuE7ELNS1_3repE0EEENS1_36merge_oddeven_config_static_selectorELNS0_4arch9wavefront6targetE1EEEvSJ_.num_named_barrier, 0
	.set _ZN7rocprim17ROCPRIM_400000_NS6detail17trampoline_kernelINS0_14default_configENS1_38merge_sort_block_merge_config_selectorIffEEZZNS1_27merge_sort_block_merge_implIS3_N6thrust23THRUST_200600_302600_NS6detail15normal_iteratorINS8_10device_ptrIfEEEESD_jNS1_19radix_merge_compareILb0ELb0EfNS0_19identity_decomposerEEEEE10hipError_tT0_T1_T2_jT3_P12ihipStream_tbPNSt15iterator_traitsISI_E10value_typeEPNSO_ISJ_E10value_typeEPSK_NS1_7vsmem_tEENKUlT_SI_SJ_SK_E_clISD_PfSD_S10_EESH_SX_SI_SJ_SK_EUlSX_E1_NS1_11comp_targetILNS1_3genE3ELNS1_11target_archE908ELNS1_3gpuE7ELNS1_3repE0EEENS1_36merge_oddeven_config_static_selectorELNS0_4arch9wavefront6targetE1EEEvSJ_.private_seg_size, 0
	.set _ZN7rocprim17ROCPRIM_400000_NS6detail17trampoline_kernelINS0_14default_configENS1_38merge_sort_block_merge_config_selectorIffEEZZNS1_27merge_sort_block_merge_implIS3_N6thrust23THRUST_200600_302600_NS6detail15normal_iteratorINS8_10device_ptrIfEEEESD_jNS1_19radix_merge_compareILb0ELb0EfNS0_19identity_decomposerEEEEE10hipError_tT0_T1_T2_jT3_P12ihipStream_tbPNSt15iterator_traitsISI_E10value_typeEPNSO_ISJ_E10value_typeEPSK_NS1_7vsmem_tEENKUlT_SI_SJ_SK_E_clISD_PfSD_S10_EESH_SX_SI_SJ_SK_EUlSX_E1_NS1_11comp_targetILNS1_3genE3ELNS1_11target_archE908ELNS1_3gpuE7ELNS1_3repE0EEENS1_36merge_oddeven_config_static_selectorELNS0_4arch9wavefront6targetE1EEEvSJ_.uses_vcc, 0
	.set _ZN7rocprim17ROCPRIM_400000_NS6detail17trampoline_kernelINS0_14default_configENS1_38merge_sort_block_merge_config_selectorIffEEZZNS1_27merge_sort_block_merge_implIS3_N6thrust23THRUST_200600_302600_NS6detail15normal_iteratorINS8_10device_ptrIfEEEESD_jNS1_19radix_merge_compareILb0ELb0EfNS0_19identity_decomposerEEEEE10hipError_tT0_T1_T2_jT3_P12ihipStream_tbPNSt15iterator_traitsISI_E10value_typeEPNSO_ISJ_E10value_typeEPSK_NS1_7vsmem_tEENKUlT_SI_SJ_SK_E_clISD_PfSD_S10_EESH_SX_SI_SJ_SK_EUlSX_E1_NS1_11comp_targetILNS1_3genE3ELNS1_11target_archE908ELNS1_3gpuE7ELNS1_3repE0EEENS1_36merge_oddeven_config_static_selectorELNS0_4arch9wavefront6targetE1EEEvSJ_.uses_flat_scratch, 0
	.set _ZN7rocprim17ROCPRIM_400000_NS6detail17trampoline_kernelINS0_14default_configENS1_38merge_sort_block_merge_config_selectorIffEEZZNS1_27merge_sort_block_merge_implIS3_N6thrust23THRUST_200600_302600_NS6detail15normal_iteratorINS8_10device_ptrIfEEEESD_jNS1_19radix_merge_compareILb0ELb0EfNS0_19identity_decomposerEEEEE10hipError_tT0_T1_T2_jT3_P12ihipStream_tbPNSt15iterator_traitsISI_E10value_typeEPNSO_ISJ_E10value_typeEPSK_NS1_7vsmem_tEENKUlT_SI_SJ_SK_E_clISD_PfSD_S10_EESH_SX_SI_SJ_SK_EUlSX_E1_NS1_11comp_targetILNS1_3genE3ELNS1_11target_archE908ELNS1_3gpuE7ELNS1_3repE0EEENS1_36merge_oddeven_config_static_selectorELNS0_4arch9wavefront6targetE1EEEvSJ_.has_dyn_sized_stack, 0
	.set _ZN7rocprim17ROCPRIM_400000_NS6detail17trampoline_kernelINS0_14default_configENS1_38merge_sort_block_merge_config_selectorIffEEZZNS1_27merge_sort_block_merge_implIS3_N6thrust23THRUST_200600_302600_NS6detail15normal_iteratorINS8_10device_ptrIfEEEESD_jNS1_19radix_merge_compareILb0ELb0EfNS0_19identity_decomposerEEEEE10hipError_tT0_T1_T2_jT3_P12ihipStream_tbPNSt15iterator_traitsISI_E10value_typeEPNSO_ISJ_E10value_typeEPSK_NS1_7vsmem_tEENKUlT_SI_SJ_SK_E_clISD_PfSD_S10_EESH_SX_SI_SJ_SK_EUlSX_E1_NS1_11comp_targetILNS1_3genE3ELNS1_11target_archE908ELNS1_3gpuE7ELNS1_3repE0EEENS1_36merge_oddeven_config_static_selectorELNS0_4arch9wavefront6targetE1EEEvSJ_.has_recursion, 0
	.set _ZN7rocprim17ROCPRIM_400000_NS6detail17trampoline_kernelINS0_14default_configENS1_38merge_sort_block_merge_config_selectorIffEEZZNS1_27merge_sort_block_merge_implIS3_N6thrust23THRUST_200600_302600_NS6detail15normal_iteratorINS8_10device_ptrIfEEEESD_jNS1_19radix_merge_compareILb0ELb0EfNS0_19identity_decomposerEEEEE10hipError_tT0_T1_T2_jT3_P12ihipStream_tbPNSt15iterator_traitsISI_E10value_typeEPNSO_ISJ_E10value_typeEPSK_NS1_7vsmem_tEENKUlT_SI_SJ_SK_E_clISD_PfSD_S10_EESH_SX_SI_SJ_SK_EUlSX_E1_NS1_11comp_targetILNS1_3genE3ELNS1_11target_archE908ELNS1_3gpuE7ELNS1_3repE0EEENS1_36merge_oddeven_config_static_selectorELNS0_4arch9wavefront6targetE1EEEvSJ_.has_indirect_call, 0
	.section	.AMDGPU.csdata,"",@progbits
; Kernel info:
; codeLenInByte = 0
; TotalNumSgprs: 6
; NumVgprs: 0
; NumAgprs: 0
; TotalNumVgprs: 0
; ScratchSize: 0
; MemoryBound: 0
; FloatMode: 240
; IeeeMode: 1
; LDSByteSize: 0 bytes/workgroup (compile time only)
; SGPRBlocks: 0
; VGPRBlocks: 0
; NumSGPRsForWavesPerEU: 6
; NumVGPRsForWavesPerEU: 1
; AccumOffset: 4
; Occupancy: 8
; WaveLimiterHint : 0
; COMPUTE_PGM_RSRC2:SCRATCH_EN: 0
; COMPUTE_PGM_RSRC2:USER_SGPR: 2
; COMPUTE_PGM_RSRC2:TRAP_HANDLER: 0
; COMPUTE_PGM_RSRC2:TGID_X_EN: 1
; COMPUTE_PGM_RSRC2:TGID_Y_EN: 0
; COMPUTE_PGM_RSRC2:TGID_Z_EN: 0
; COMPUTE_PGM_RSRC2:TIDIG_COMP_CNT: 0
; COMPUTE_PGM_RSRC3_GFX90A:ACCUM_OFFSET: 0
; COMPUTE_PGM_RSRC3_GFX90A:TG_SPLIT: 0
	.section	.text._ZN7rocprim17ROCPRIM_400000_NS6detail17trampoline_kernelINS0_14default_configENS1_38merge_sort_block_merge_config_selectorIffEEZZNS1_27merge_sort_block_merge_implIS3_N6thrust23THRUST_200600_302600_NS6detail15normal_iteratorINS8_10device_ptrIfEEEESD_jNS1_19radix_merge_compareILb0ELb0EfNS0_19identity_decomposerEEEEE10hipError_tT0_T1_T2_jT3_P12ihipStream_tbPNSt15iterator_traitsISI_E10value_typeEPNSO_ISJ_E10value_typeEPSK_NS1_7vsmem_tEENKUlT_SI_SJ_SK_E_clISD_PfSD_S10_EESH_SX_SI_SJ_SK_EUlSX_E1_NS1_11comp_targetILNS1_3genE2ELNS1_11target_archE906ELNS1_3gpuE6ELNS1_3repE0EEENS1_36merge_oddeven_config_static_selectorELNS0_4arch9wavefront6targetE1EEEvSJ_,"axG",@progbits,_ZN7rocprim17ROCPRIM_400000_NS6detail17trampoline_kernelINS0_14default_configENS1_38merge_sort_block_merge_config_selectorIffEEZZNS1_27merge_sort_block_merge_implIS3_N6thrust23THRUST_200600_302600_NS6detail15normal_iteratorINS8_10device_ptrIfEEEESD_jNS1_19radix_merge_compareILb0ELb0EfNS0_19identity_decomposerEEEEE10hipError_tT0_T1_T2_jT3_P12ihipStream_tbPNSt15iterator_traitsISI_E10value_typeEPNSO_ISJ_E10value_typeEPSK_NS1_7vsmem_tEENKUlT_SI_SJ_SK_E_clISD_PfSD_S10_EESH_SX_SI_SJ_SK_EUlSX_E1_NS1_11comp_targetILNS1_3genE2ELNS1_11target_archE906ELNS1_3gpuE6ELNS1_3repE0EEENS1_36merge_oddeven_config_static_selectorELNS0_4arch9wavefront6targetE1EEEvSJ_,comdat
	.protected	_ZN7rocprim17ROCPRIM_400000_NS6detail17trampoline_kernelINS0_14default_configENS1_38merge_sort_block_merge_config_selectorIffEEZZNS1_27merge_sort_block_merge_implIS3_N6thrust23THRUST_200600_302600_NS6detail15normal_iteratorINS8_10device_ptrIfEEEESD_jNS1_19radix_merge_compareILb0ELb0EfNS0_19identity_decomposerEEEEE10hipError_tT0_T1_T2_jT3_P12ihipStream_tbPNSt15iterator_traitsISI_E10value_typeEPNSO_ISJ_E10value_typeEPSK_NS1_7vsmem_tEENKUlT_SI_SJ_SK_E_clISD_PfSD_S10_EESH_SX_SI_SJ_SK_EUlSX_E1_NS1_11comp_targetILNS1_3genE2ELNS1_11target_archE906ELNS1_3gpuE6ELNS1_3repE0EEENS1_36merge_oddeven_config_static_selectorELNS0_4arch9wavefront6targetE1EEEvSJ_ ; -- Begin function _ZN7rocprim17ROCPRIM_400000_NS6detail17trampoline_kernelINS0_14default_configENS1_38merge_sort_block_merge_config_selectorIffEEZZNS1_27merge_sort_block_merge_implIS3_N6thrust23THRUST_200600_302600_NS6detail15normal_iteratorINS8_10device_ptrIfEEEESD_jNS1_19radix_merge_compareILb0ELb0EfNS0_19identity_decomposerEEEEE10hipError_tT0_T1_T2_jT3_P12ihipStream_tbPNSt15iterator_traitsISI_E10value_typeEPNSO_ISJ_E10value_typeEPSK_NS1_7vsmem_tEENKUlT_SI_SJ_SK_E_clISD_PfSD_S10_EESH_SX_SI_SJ_SK_EUlSX_E1_NS1_11comp_targetILNS1_3genE2ELNS1_11target_archE906ELNS1_3gpuE6ELNS1_3repE0EEENS1_36merge_oddeven_config_static_selectorELNS0_4arch9wavefront6targetE1EEEvSJ_
	.globl	_ZN7rocprim17ROCPRIM_400000_NS6detail17trampoline_kernelINS0_14default_configENS1_38merge_sort_block_merge_config_selectorIffEEZZNS1_27merge_sort_block_merge_implIS3_N6thrust23THRUST_200600_302600_NS6detail15normal_iteratorINS8_10device_ptrIfEEEESD_jNS1_19radix_merge_compareILb0ELb0EfNS0_19identity_decomposerEEEEE10hipError_tT0_T1_T2_jT3_P12ihipStream_tbPNSt15iterator_traitsISI_E10value_typeEPNSO_ISJ_E10value_typeEPSK_NS1_7vsmem_tEENKUlT_SI_SJ_SK_E_clISD_PfSD_S10_EESH_SX_SI_SJ_SK_EUlSX_E1_NS1_11comp_targetILNS1_3genE2ELNS1_11target_archE906ELNS1_3gpuE6ELNS1_3repE0EEENS1_36merge_oddeven_config_static_selectorELNS0_4arch9wavefront6targetE1EEEvSJ_
	.p2align	8
	.type	_ZN7rocprim17ROCPRIM_400000_NS6detail17trampoline_kernelINS0_14default_configENS1_38merge_sort_block_merge_config_selectorIffEEZZNS1_27merge_sort_block_merge_implIS3_N6thrust23THRUST_200600_302600_NS6detail15normal_iteratorINS8_10device_ptrIfEEEESD_jNS1_19radix_merge_compareILb0ELb0EfNS0_19identity_decomposerEEEEE10hipError_tT0_T1_T2_jT3_P12ihipStream_tbPNSt15iterator_traitsISI_E10value_typeEPNSO_ISJ_E10value_typeEPSK_NS1_7vsmem_tEENKUlT_SI_SJ_SK_E_clISD_PfSD_S10_EESH_SX_SI_SJ_SK_EUlSX_E1_NS1_11comp_targetILNS1_3genE2ELNS1_11target_archE906ELNS1_3gpuE6ELNS1_3repE0EEENS1_36merge_oddeven_config_static_selectorELNS0_4arch9wavefront6targetE1EEEvSJ_,@function
_ZN7rocprim17ROCPRIM_400000_NS6detail17trampoline_kernelINS0_14default_configENS1_38merge_sort_block_merge_config_selectorIffEEZZNS1_27merge_sort_block_merge_implIS3_N6thrust23THRUST_200600_302600_NS6detail15normal_iteratorINS8_10device_ptrIfEEEESD_jNS1_19radix_merge_compareILb0ELb0EfNS0_19identity_decomposerEEEEE10hipError_tT0_T1_T2_jT3_P12ihipStream_tbPNSt15iterator_traitsISI_E10value_typeEPNSO_ISJ_E10value_typeEPSK_NS1_7vsmem_tEENKUlT_SI_SJ_SK_E_clISD_PfSD_S10_EESH_SX_SI_SJ_SK_EUlSX_E1_NS1_11comp_targetILNS1_3genE2ELNS1_11target_archE906ELNS1_3gpuE6ELNS1_3repE0EEENS1_36merge_oddeven_config_static_selectorELNS0_4arch9wavefront6targetE1EEEvSJ_: ; @_ZN7rocprim17ROCPRIM_400000_NS6detail17trampoline_kernelINS0_14default_configENS1_38merge_sort_block_merge_config_selectorIffEEZZNS1_27merge_sort_block_merge_implIS3_N6thrust23THRUST_200600_302600_NS6detail15normal_iteratorINS8_10device_ptrIfEEEESD_jNS1_19radix_merge_compareILb0ELb0EfNS0_19identity_decomposerEEEEE10hipError_tT0_T1_T2_jT3_P12ihipStream_tbPNSt15iterator_traitsISI_E10value_typeEPNSO_ISJ_E10value_typeEPSK_NS1_7vsmem_tEENKUlT_SI_SJ_SK_E_clISD_PfSD_S10_EESH_SX_SI_SJ_SK_EUlSX_E1_NS1_11comp_targetILNS1_3genE2ELNS1_11target_archE906ELNS1_3gpuE6ELNS1_3repE0EEENS1_36merge_oddeven_config_static_selectorELNS0_4arch9wavefront6targetE1EEEvSJ_
; %bb.0:
	.section	.rodata,"a",@progbits
	.p2align	6, 0x0
	.amdhsa_kernel _ZN7rocprim17ROCPRIM_400000_NS6detail17trampoline_kernelINS0_14default_configENS1_38merge_sort_block_merge_config_selectorIffEEZZNS1_27merge_sort_block_merge_implIS3_N6thrust23THRUST_200600_302600_NS6detail15normal_iteratorINS8_10device_ptrIfEEEESD_jNS1_19radix_merge_compareILb0ELb0EfNS0_19identity_decomposerEEEEE10hipError_tT0_T1_T2_jT3_P12ihipStream_tbPNSt15iterator_traitsISI_E10value_typeEPNSO_ISJ_E10value_typeEPSK_NS1_7vsmem_tEENKUlT_SI_SJ_SK_E_clISD_PfSD_S10_EESH_SX_SI_SJ_SK_EUlSX_E1_NS1_11comp_targetILNS1_3genE2ELNS1_11target_archE906ELNS1_3gpuE6ELNS1_3repE0EEENS1_36merge_oddeven_config_static_selectorELNS0_4arch9wavefront6targetE1EEEvSJ_
		.amdhsa_group_segment_fixed_size 0
		.amdhsa_private_segment_fixed_size 0
		.amdhsa_kernarg_size 48
		.amdhsa_user_sgpr_count 2
		.amdhsa_user_sgpr_dispatch_ptr 0
		.amdhsa_user_sgpr_queue_ptr 0
		.amdhsa_user_sgpr_kernarg_segment_ptr 1
		.amdhsa_user_sgpr_dispatch_id 0
		.amdhsa_user_sgpr_kernarg_preload_length 0
		.amdhsa_user_sgpr_kernarg_preload_offset 0
		.amdhsa_user_sgpr_private_segment_size 0
		.amdhsa_uses_dynamic_stack 0
		.amdhsa_enable_private_segment 0
		.amdhsa_system_sgpr_workgroup_id_x 1
		.amdhsa_system_sgpr_workgroup_id_y 0
		.amdhsa_system_sgpr_workgroup_id_z 0
		.amdhsa_system_sgpr_workgroup_info 0
		.amdhsa_system_vgpr_workitem_id 0
		.amdhsa_next_free_vgpr 1
		.amdhsa_next_free_sgpr 0
		.amdhsa_accum_offset 4
		.amdhsa_reserve_vcc 0
		.amdhsa_float_round_mode_32 0
		.amdhsa_float_round_mode_16_64 0
		.amdhsa_float_denorm_mode_32 3
		.amdhsa_float_denorm_mode_16_64 3
		.amdhsa_dx10_clamp 1
		.amdhsa_ieee_mode 1
		.amdhsa_fp16_overflow 0
		.amdhsa_tg_split 0
		.amdhsa_exception_fp_ieee_invalid_op 0
		.amdhsa_exception_fp_denorm_src 0
		.amdhsa_exception_fp_ieee_div_zero 0
		.amdhsa_exception_fp_ieee_overflow 0
		.amdhsa_exception_fp_ieee_underflow 0
		.amdhsa_exception_fp_ieee_inexact 0
		.amdhsa_exception_int_div_zero 0
	.end_amdhsa_kernel
	.section	.text._ZN7rocprim17ROCPRIM_400000_NS6detail17trampoline_kernelINS0_14default_configENS1_38merge_sort_block_merge_config_selectorIffEEZZNS1_27merge_sort_block_merge_implIS3_N6thrust23THRUST_200600_302600_NS6detail15normal_iteratorINS8_10device_ptrIfEEEESD_jNS1_19radix_merge_compareILb0ELb0EfNS0_19identity_decomposerEEEEE10hipError_tT0_T1_T2_jT3_P12ihipStream_tbPNSt15iterator_traitsISI_E10value_typeEPNSO_ISJ_E10value_typeEPSK_NS1_7vsmem_tEENKUlT_SI_SJ_SK_E_clISD_PfSD_S10_EESH_SX_SI_SJ_SK_EUlSX_E1_NS1_11comp_targetILNS1_3genE2ELNS1_11target_archE906ELNS1_3gpuE6ELNS1_3repE0EEENS1_36merge_oddeven_config_static_selectorELNS0_4arch9wavefront6targetE1EEEvSJ_,"axG",@progbits,_ZN7rocprim17ROCPRIM_400000_NS6detail17trampoline_kernelINS0_14default_configENS1_38merge_sort_block_merge_config_selectorIffEEZZNS1_27merge_sort_block_merge_implIS3_N6thrust23THRUST_200600_302600_NS6detail15normal_iteratorINS8_10device_ptrIfEEEESD_jNS1_19radix_merge_compareILb0ELb0EfNS0_19identity_decomposerEEEEE10hipError_tT0_T1_T2_jT3_P12ihipStream_tbPNSt15iterator_traitsISI_E10value_typeEPNSO_ISJ_E10value_typeEPSK_NS1_7vsmem_tEENKUlT_SI_SJ_SK_E_clISD_PfSD_S10_EESH_SX_SI_SJ_SK_EUlSX_E1_NS1_11comp_targetILNS1_3genE2ELNS1_11target_archE906ELNS1_3gpuE6ELNS1_3repE0EEENS1_36merge_oddeven_config_static_selectorELNS0_4arch9wavefront6targetE1EEEvSJ_,comdat
.Lfunc_end266:
	.size	_ZN7rocprim17ROCPRIM_400000_NS6detail17trampoline_kernelINS0_14default_configENS1_38merge_sort_block_merge_config_selectorIffEEZZNS1_27merge_sort_block_merge_implIS3_N6thrust23THRUST_200600_302600_NS6detail15normal_iteratorINS8_10device_ptrIfEEEESD_jNS1_19radix_merge_compareILb0ELb0EfNS0_19identity_decomposerEEEEE10hipError_tT0_T1_T2_jT3_P12ihipStream_tbPNSt15iterator_traitsISI_E10value_typeEPNSO_ISJ_E10value_typeEPSK_NS1_7vsmem_tEENKUlT_SI_SJ_SK_E_clISD_PfSD_S10_EESH_SX_SI_SJ_SK_EUlSX_E1_NS1_11comp_targetILNS1_3genE2ELNS1_11target_archE906ELNS1_3gpuE6ELNS1_3repE0EEENS1_36merge_oddeven_config_static_selectorELNS0_4arch9wavefront6targetE1EEEvSJ_, .Lfunc_end266-_ZN7rocprim17ROCPRIM_400000_NS6detail17trampoline_kernelINS0_14default_configENS1_38merge_sort_block_merge_config_selectorIffEEZZNS1_27merge_sort_block_merge_implIS3_N6thrust23THRUST_200600_302600_NS6detail15normal_iteratorINS8_10device_ptrIfEEEESD_jNS1_19radix_merge_compareILb0ELb0EfNS0_19identity_decomposerEEEEE10hipError_tT0_T1_T2_jT3_P12ihipStream_tbPNSt15iterator_traitsISI_E10value_typeEPNSO_ISJ_E10value_typeEPSK_NS1_7vsmem_tEENKUlT_SI_SJ_SK_E_clISD_PfSD_S10_EESH_SX_SI_SJ_SK_EUlSX_E1_NS1_11comp_targetILNS1_3genE2ELNS1_11target_archE906ELNS1_3gpuE6ELNS1_3repE0EEENS1_36merge_oddeven_config_static_selectorELNS0_4arch9wavefront6targetE1EEEvSJ_
                                        ; -- End function
	.set _ZN7rocprim17ROCPRIM_400000_NS6detail17trampoline_kernelINS0_14default_configENS1_38merge_sort_block_merge_config_selectorIffEEZZNS1_27merge_sort_block_merge_implIS3_N6thrust23THRUST_200600_302600_NS6detail15normal_iteratorINS8_10device_ptrIfEEEESD_jNS1_19radix_merge_compareILb0ELb0EfNS0_19identity_decomposerEEEEE10hipError_tT0_T1_T2_jT3_P12ihipStream_tbPNSt15iterator_traitsISI_E10value_typeEPNSO_ISJ_E10value_typeEPSK_NS1_7vsmem_tEENKUlT_SI_SJ_SK_E_clISD_PfSD_S10_EESH_SX_SI_SJ_SK_EUlSX_E1_NS1_11comp_targetILNS1_3genE2ELNS1_11target_archE906ELNS1_3gpuE6ELNS1_3repE0EEENS1_36merge_oddeven_config_static_selectorELNS0_4arch9wavefront6targetE1EEEvSJ_.num_vgpr, 0
	.set _ZN7rocprim17ROCPRIM_400000_NS6detail17trampoline_kernelINS0_14default_configENS1_38merge_sort_block_merge_config_selectorIffEEZZNS1_27merge_sort_block_merge_implIS3_N6thrust23THRUST_200600_302600_NS6detail15normal_iteratorINS8_10device_ptrIfEEEESD_jNS1_19radix_merge_compareILb0ELb0EfNS0_19identity_decomposerEEEEE10hipError_tT0_T1_T2_jT3_P12ihipStream_tbPNSt15iterator_traitsISI_E10value_typeEPNSO_ISJ_E10value_typeEPSK_NS1_7vsmem_tEENKUlT_SI_SJ_SK_E_clISD_PfSD_S10_EESH_SX_SI_SJ_SK_EUlSX_E1_NS1_11comp_targetILNS1_3genE2ELNS1_11target_archE906ELNS1_3gpuE6ELNS1_3repE0EEENS1_36merge_oddeven_config_static_selectorELNS0_4arch9wavefront6targetE1EEEvSJ_.num_agpr, 0
	.set _ZN7rocprim17ROCPRIM_400000_NS6detail17trampoline_kernelINS0_14default_configENS1_38merge_sort_block_merge_config_selectorIffEEZZNS1_27merge_sort_block_merge_implIS3_N6thrust23THRUST_200600_302600_NS6detail15normal_iteratorINS8_10device_ptrIfEEEESD_jNS1_19radix_merge_compareILb0ELb0EfNS0_19identity_decomposerEEEEE10hipError_tT0_T1_T2_jT3_P12ihipStream_tbPNSt15iterator_traitsISI_E10value_typeEPNSO_ISJ_E10value_typeEPSK_NS1_7vsmem_tEENKUlT_SI_SJ_SK_E_clISD_PfSD_S10_EESH_SX_SI_SJ_SK_EUlSX_E1_NS1_11comp_targetILNS1_3genE2ELNS1_11target_archE906ELNS1_3gpuE6ELNS1_3repE0EEENS1_36merge_oddeven_config_static_selectorELNS0_4arch9wavefront6targetE1EEEvSJ_.numbered_sgpr, 0
	.set _ZN7rocprim17ROCPRIM_400000_NS6detail17trampoline_kernelINS0_14default_configENS1_38merge_sort_block_merge_config_selectorIffEEZZNS1_27merge_sort_block_merge_implIS3_N6thrust23THRUST_200600_302600_NS6detail15normal_iteratorINS8_10device_ptrIfEEEESD_jNS1_19radix_merge_compareILb0ELb0EfNS0_19identity_decomposerEEEEE10hipError_tT0_T1_T2_jT3_P12ihipStream_tbPNSt15iterator_traitsISI_E10value_typeEPNSO_ISJ_E10value_typeEPSK_NS1_7vsmem_tEENKUlT_SI_SJ_SK_E_clISD_PfSD_S10_EESH_SX_SI_SJ_SK_EUlSX_E1_NS1_11comp_targetILNS1_3genE2ELNS1_11target_archE906ELNS1_3gpuE6ELNS1_3repE0EEENS1_36merge_oddeven_config_static_selectorELNS0_4arch9wavefront6targetE1EEEvSJ_.num_named_barrier, 0
	.set _ZN7rocprim17ROCPRIM_400000_NS6detail17trampoline_kernelINS0_14default_configENS1_38merge_sort_block_merge_config_selectorIffEEZZNS1_27merge_sort_block_merge_implIS3_N6thrust23THRUST_200600_302600_NS6detail15normal_iteratorINS8_10device_ptrIfEEEESD_jNS1_19radix_merge_compareILb0ELb0EfNS0_19identity_decomposerEEEEE10hipError_tT0_T1_T2_jT3_P12ihipStream_tbPNSt15iterator_traitsISI_E10value_typeEPNSO_ISJ_E10value_typeEPSK_NS1_7vsmem_tEENKUlT_SI_SJ_SK_E_clISD_PfSD_S10_EESH_SX_SI_SJ_SK_EUlSX_E1_NS1_11comp_targetILNS1_3genE2ELNS1_11target_archE906ELNS1_3gpuE6ELNS1_3repE0EEENS1_36merge_oddeven_config_static_selectorELNS0_4arch9wavefront6targetE1EEEvSJ_.private_seg_size, 0
	.set _ZN7rocprim17ROCPRIM_400000_NS6detail17trampoline_kernelINS0_14default_configENS1_38merge_sort_block_merge_config_selectorIffEEZZNS1_27merge_sort_block_merge_implIS3_N6thrust23THRUST_200600_302600_NS6detail15normal_iteratorINS8_10device_ptrIfEEEESD_jNS1_19radix_merge_compareILb0ELb0EfNS0_19identity_decomposerEEEEE10hipError_tT0_T1_T2_jT3_P12ihipStream_tbPNSt15iterator_traitsISI_E10value_typeEPNSO_ISJ_E10value_typeEPSK_NS1_7vsmem_tEENKUlT_SI_SJ_SK_E_clISD_PfSD_S10_EESH_SX_SI_SJ_SK_EUlSX_E1_NS1_11comp_targetILNS1_3genE2ELNS1_11target_archE906ELNS1_3gpuE6ELNS1_3repE0EEENS1_36merge_oddeven_config_static_selectorELNS0_4arch9wavefront6targetE1EEEvSJ_.uses_vcc, 0
	.set _ZN7rocprim17ROCPRIM_400000_NS6detail17trampoline_kernelINS0_14default_configENS1_38merge_sort_block_merge_config_selectorIffEEZZNS1_27merge_sort_block_merge_implIS3_N6thrust23THRUST_200600_302600_NS6detail15normal_iteratorINS8_10device_ptrIfEEEESD_jNS1_19radix_merge_compareILb0ELb0EfNS0_19identity_decomposerEEEEE10hipError_tT0_T1_T2_jT3_P12ihipStream_tbPNSt15iterator_traitsISI_E10value_typeEPNSO_ISJ_E10value_typeEPSK_NS1_7vsmem_tEENKUlT_SI_SJ_SK_E_clISD_PfSD_S10_EESH_SX_SI_SJ_SK_EUlSX_E1_NS1_11comp_targetILNS1_3genE2ELNS1_11target_archE906ELNS1_3gpuE6ELNS1_3repE0EEENS1_36merge_oddeven_config_static_selectorELNS0_4arch9wavefront6targetE1EEEvSJ_.uses_flat_scratch, 0
	.set _ZN7rocprim17ROCPRIM_400000_NS6detail17trampoline_kernelINS0_14default_configENS1_38merge_sort_block_merge_config_selectorIffEEZZNS1_27merge_sort_block_merge_implIS3_N6thrust23THRUST_200600_302600_NS6detail15normal_iteratorINS8_10device_ptrIfEEEESD_jNS1_19radix_merge_compareILb0ELb0EfNS0_19identity_decomposerEEEEE10hipError_tT0_T1_T2_jT3_P12ihipStream_tbPNSt15iterator_traitsISI_E10value_typeEPNSO_ISJ_E10value_typeEPSK_NS1_7vsmem_tEENKUlT_SI_SJ_SK_E_clISD_PfSD_S10_EESH_SX_SI_SJ_SK_EUlSX_E1_NS1_11comp_targetILNS1_3genE2ELNS1_11target_archE906ELNS1_3gpuE6ELNS1_3repE0EEENS1_36merge_oddeven_config_static_selectorELNS0_4arch9wavefront6targetE1EEEvSJ_.has_dyn_sized_stack, 0
	.set _ZN7rocprim17ROCPRIM_400000_NS6detail17trampoline_kernelINS0_14default_configENS1_38merge_sort_block_merge_config_selectorIffEEZZNS1_27merge_sort_block_merge_implIS3_N6thrust23THRUST_200600_302600_NS6detail15normal_iteratorINS8_10device_ptrIfEEEESD_jNS1_19radix_merge_compareILb0ELb0EfNS0_19identity_decomposerEEEEE10hipError_tT0_T1_T2_jT3_P12ihipStream_tbPNSt15iterator_traitsISI_E10value_typeEPNSO_ISJ_E10value_typeEPSK_NS1_7vsmem_tEENKUlT_SI_SJ_SK_E_clISD_PfSD_S10_EESH_SX_SI_SJ_SK_EUlSX_E1_NS1_11comp_targetILNS1_3genE2ELNS1_11target_archE906ELNS1_3gpuE6ELNS1_3repE0EEENS1_36merge_oddeven_config_static_selectorELNS0_4arch9wavefront6targetE1EEEvSJ_.has_recursion, 0
	.set _ZN7rocprim17ROCPRIM_400000_NS6detail17trampoline_kernelINS0_14default_configENS1_38merge_sort_block_merge_config_selectorIffEEZZNS1_27merge_sort_block_merge_implIS3_N6thrust23THRUST_200600_302600_NS6detail15normal_iteratorINS8_10device_ptrIfEEEESD_jNS1_19radix_merge_compareILb0ELb0EfNS0_19identity_decomposerEEEEE10hipError_tT0_T1_T2_jT3_P12ihipStream_tbPNSt15iterator_traitsISI_E10value_typeEPNSO_ISJ_E10value_typeEPSK_NS1_7vsmem_tEENKUlT_SI_SJ_SK_E_clISD_PfSD_S10_EESH_SX_SI_SJ_SK_EUlSX_E1_NS1_11comp_targetILNS1_3genE2ELNS1_11target_archE906ELNS1_3gpuE6ELNS1_3repE0EEENS1_36merge_oddeven_config_static_selectorELNS0_4arch9wavefront6targetE1EEEvSJ_.has_indirect_call, 0
	.section	.AMDGPU.csdata,"",@progbits
; Kernel info:
; codeLenInByte = 0
; TotalNumSgprs: 6
; NumVgprs: 0
; NumAgprs: 0
; TotalNumVgprs: 0
; ScratchSize: 0
; MemoryBound: 0
; FloatMode: 240
; IeeeMode: 1
; LDSByteSize: 0 bytes/workgroup (compile time only)
; SGPRBlocks: 0
; VGPRBlocks: 0
; NumSGPRsForWavesPerEU: 6
; NumVGPRsForWavesPerEU: 1
; AccumOffset: 4
; Occupancy: 8
; WaveLimiterHint : 0
; COMPUTE_PGM_RSRC2:SCRATCH_EN: 0
; COMPUTE_PGM_RSRC2:USER_SGPR: 2
; COMPUTE_PGM_RSRC2:TRAP_HANDLER: 0
; COMPUTE_PGM_RSRC2:TGID_X_EN: 1
; COMPUTE_PGM_RSRC2:TGID_Y_EN: 0
; COMPUTE_PGM_RSRC2:TGID_Z_EN: 0
; COMPUTE_PGM_RSRC2:TIDIG_COMP_CNT: 0
; COMPUTE_PGM_RSRC3_GFX90A:ACCUM_OFFSET: 0
; COMPUTE_PGM_RSRC3_GFX90A:TG_SPLIT: 0
	.section	.text._ZN7rocprim17ROCPRIM_400000_NS6detail17trampoline_kernelINS0_14default_configENS1_38merge_sort_block_merge_config_selectorIffEEZZNS1_27merge_sort_block_merge_implIS3_N6thrust23THRUST_200600_302600_NS6detail15normal_iteratorINS8_10device_ptrIfEEEESD_jNS1_19radix_merge_compareILb0ELb0EfNS0_19identity_decomposerEEEEE10hipError_tT0_T1_T2_jT3_P12ihipStream_tbPNSt15iterator_traitsISI_E10value_typeEPNSO_ISJ_E10value_typeEPSK_NS1_7vsmem_tEENKUlT_SI_SJ_SK_E_clISD_PfSD_S10_EESH_SX_SI_SJ_SK_EUlSX_E1_NS1_11comp_targetILNS1_3genE9ELNS1_11target_archE1100ELNS1_3gpuE3ELNS1_3repE0EEENS1_36merge_oddeven_config_static_selectorELNS0_4arch9wavefront6targetE1EEEvSJ_,"axG",@progbits,_ZN7rocprim17ROCPRIM_400000_NS6detail17trampoline_kernelINS0_14default_configENS1_38merge_sort_block_merge_config_selectorIffEEZZNS1_27merge_sort_block_merge_implIS3_N6thrust23THRUST_200600_302600_NS6detail15normal_iteratorINS8_10device_ptrIfEEEESD_jNS1_19radix_merge_compareILb0ELb0EfNS0_19identity_decomposerEEEEE10hipError_tT0_T1_T2_jT3_P12ihipStream_tbPNSt15iterator_traitsISI_E10value_typeEPNSO_ISJ_E10value_typeEPSK_NS1_7vsmem_tEENKUlT_SI_SJ_SK_E_clISD_PfSD_S10_EESH_SX_SI_SJ_SK_EUlSX_E1_NS1_11comp_targetILNS1_3genE9ELNS1_11target_archE1100ELNS1_3gpuE3ELNS1_3repE0EEENS1_36merge_oddeven_config_static_selectorELNS0_4arch9wavefront6targetE1EEEvSJ_,comdat
	.protected	_ZN7rocprim17ROCPRIM_400000_NS6detail17trampoline_kernelINS0_14default_configENS1_38merge_sort_block_merge_config_selectorIffEEZZNS1_27merge_sort_block_merge_implIS3_N6thrust23THRUST_200600_302600_NS6detail15normal_iteratorINS8_10device_ptrIfEEEESD_jNS1_19radix_merge_compareILb0ELb0EfNS0_19identity_decomposerEEEEE10hipError_tT0_T1_T2_jT3_P12ihipStream_tbPNSt15iterator_traitsISI_E10value_typeEPNSO_ISJ_E10value_typeEPSK_NS1_7vsmem_tEENKUlT_SI_SJ_SK_E_clISD_PfSD_S10_EESH_SX_SI_SJ_SK_EUlSX_E1_NS1_11comp_targetILNS1_3genE9ELNS1_11target_archE1100ELNS1_3gpuE3ELNS1_3repE0EEENS1_36merge_oddeven_config_static_selectorELNS0_4arch9wavefront6targetE1EEEvSJ_ ; -- Begin function _ZN7rocprim17ROCPRIM_400000_NS6detail17trampoline_kernelINS0_14default_configENS1_38merge_sort_block_merge_config_selectorIffEEZZNS1_27merge_sort_block_merge_implIS3_N6thrust23THRUST_200600_302600_NS6detail15normal_iteratorINS8_10device_ptrIfEEEESD_jNS1_19radix_merge_compareILb0ELb0EfNS0_19identity_decomposerEEEEE10hipError_tT0_T1_T2_jT3_P12ihipStream_tbPNSt15iterator_traitsISI_E10value_typeEPNSO_ISJ_E10value_typeEPSK_NS1_7vsmem_tEENKUlT_SI_SJ_SK_E_clISD_PfSD_S10_EESH_SX_SI_SJ_SK_EUlSX_E1_NS1_11comp_targetILNS1_3genE9ELNS1_11target_archE1100ELNS1_3gpuE3ELNS1_3repE0EEENS1_36merge_oddeven_config_static_selectorELNS0_4arch9wavefront6targetE1EEEvSJ_
	.globl	_ZN7rocprim17ROCPRIM_400000_NS6detail17trampoline_kernelINS0_14default_configENS1_38merge_sort_block_merge_config_selectorIffEEZZNS1_27merge_sort_block_merge_implIS3_N6thrust23THRUST_200600_302600_NS6detail15normal_iteratorINS8_10device_ptrIfEEEESD_jNS1_19radix_merge_compareILb0ELb0EfNS0_19identity_decomposerEEEEE10hipError_tT0_T1_T2_jT3_P12ihipStream_tbPNSt15iterator_traitsISI_E10value_typeEPNSO_ISJ_E10value_typeEPSK_NS1_7vsmem_tEENKUlT_SI_SJ_SK_E_clISD_PfSD_S10_EESH_SX_SI_SJ_SK_EUlSX_E1_NS1_11comp_targetILNS1_3genE9ELNS1_11target_archE1100ELNS1_3gpuE3ELNS1_3repE0EEENS1_36merge_oddeven_config_static_selectorELNS0_4arch9wavefront6targetE1EEEvSJ_
	.p2align	8
	.type	_ZN7rocprim17ROCPRIM_400000_NS6detail17trampoline_kernelINS0_14default_configENS1_38merge_sort_block_merge_config_selectorIffEEZZNS1_27merge_sort_block_merge_implIS3_N6thrust23THRUST_200600_302600_NS6detail15normal_iteratorINS8_10device_ptrIfEEEESD_jNS1_19radix_merge_compareILb0ELb0EfNS0_19identity_decomposerEEEEE10hipError_tT0_T1_T2_jT3_P12ihipStream_tbPNSt15iterator_traitsISI_E10value_typeEPNSO_ISJ_E10value_typeEPSK_NS1_7vsmem_tEENKUlT_SI_SJ_SK_E_clISD_PfSD_S10_EESH_SX_SI_SJ_SK_EUlSX_E1_NS1_11comp_targetILNS1_3genE9ELNS1_11target_archE1100ELNS1_3gpuE3ELNS1_3repE0EEENS1_36merge_oddeven_config_static_selectorELNS0_4arch9wavefront6targetE1EEEvSJ_,@function
_ZN7rocprim17ROCPRIM_400000_NS6detail17trampoline_kernelINS0_14default_configENS1_38merge_sort_block_merge_config_selectorIffEEZZNS1_27merge_sort_block_merge_implIS3_N6thrust23THRUST_200600_302600_NS6detail15normal_iteratorINS8_10device_ptrIfEEEESD_jNS1_19radix_merge_compareILb0ELb0EfNS0_19identity_decomposerEEEEE10hipError_tT0_T1_T2_jT3_P12ihipStream_tbPNSt15iterator_traitsISI_E10value_typeEPNSO_ISJ_E10value_typeEPSK_NS1_7vsmem_tEENKUlT_SI_SJ_SK_E_clISD_PfSD_S10_EESH_SX_SI_SJ_SK_EUlSX_E1_NS1_11comp_targetILNS1_3genE9ELNS1_11target_archE1100ELNS1_3gpuE3ELNS1_3repE0EEENS1_36merge_oddeven_config_static_selectorELNS0_4arch9wavefront6targetE1EEEvSJ_: ; @_ZN7rocprim17ROCPRIM_400000_NS6detail17trampoline_kernelINS0_14default_configENS1_38merge_sort_block_merge_config_selectorIffEEZZNS1_27merge_sort_block_merge_implIS3_N6thrust23THRUST_200600_302600_NS6detail15normal_iteratorINS8_10device_ptrIfEEEESD_jNS1_19radix_merge_compareILb0ELb0EfNS0_19identity_decomposerEEEEE10hipError_tT0_T1_T2_jT3_P12ihipStream_tbPNSt15iterator_traitsISI_E10value_typeEPNSO_ISJ_E10value_typeEPSK_NS1_7vsmem_tEENKUlT_SI_SJ_SK_E_clISD_PfSD_S10_EESH_SX_SI_SJ_SK_EUlSX_E1_NS1_11comp_targetILNS1_3genE9ELNS1_11target_archE1100ELNS1_3gpuE3ELNS1_3repE0EEENS1_36merge_oddeven_config_static_selectorELNS0_4arch9wavefront6targetE1EEEvSJ_
; %bb.0:
	.section	.rodata,"a",@progbits
	.p2align	6, 0x0
	.amdhsa_kernel _ZN7rocprim17ROCPRIM_400000_NS6detail17trampoline_kernelINS0_14default_configENS1_38merge_sort_block_merge_config_selectorIffEEZZNS1_27merge_sort_block_merge_implIS3_N6thrust23THRUST_200600_302600_NS6detail15normal_iteratorINS8_10device_ptrIfEEEESD_jNS1_19radix_merge_compareILb0ELb0EfNS0_19identity_decomposerEEEEE10hipError_tT0_T1_T2_jT3_P12ihipStream_tbPNSt15iterator_traitsISI_E10value_typeEPNSO_ISJ_E10value_typeEPSK_NS1_7vsmem_tEENKUlT_SI_SJ_SK_E_clISD_PfSD_S10_EESH_SX_SI_SJ_SK_EUlSX_E1_NS1_11comp_targetILNS1_3genE9ELNS1_11target_archE1100ELNS1_3gpuE3ELNS1_3repE0EEENS1_36merge_oddeven_config_static_selectorELNS0_4arch9wavefront6targetE1EEEvSJ_
		.amdhsa_group_segment_fixed_size 0
		.amdhsa_private_segment_fixed_size 0
		.amdhsa_kernarg_size 48
		.amdhsa_user_sgpr_count 2
		.amdhsa_user_sgpr_dispatch_ptr 0
		.amdhsa_user_sgpr_queue_ptr 0
		.amdhsa_user_sgpr_kernarg_segment_ptr 1
		.amdhsa_user_sgpr_dispatch_id 0
		.amdhsa_user_sgpr_kernarg_preload_length 0
		.amdhsa_user_sgpr_kernarg_preload_offset 0
		.amdhsa_user_sgpr_private_segment_size 0
		.amdhsa_uses_dynamic_stack 0
		.amdhsa_enable_private_segment 0
		.amdhsa_system_sgpr_workgroup_id_x 1
		.amdhsa_system_sgpr_workgroup_id_y 0
		.amdhsa_system_sgpr_workgroup_id_z 0
		.amdhsa_system_sgpr_workgroup_info 0
		.amdhsa_system_vgpr_workitem_id 0
		.amdhsa_next_free_vgpr 1
		.amdhsa_next_free_sgpr 0
		.amdhsa_accum_offset 4
		.amdhsa_reserve_vcc 0
		.amdhsa_float_round_mode_32 0
		.amdhsa_float_round_mode_16_64 0
		.amdhsa_float_denorm_mode_32 3
		.amdhsa_float_denorm_mode_16_64 3
		.amdhsa_dx10_clamp 1
		.amdhsa_ieee_mode 1
		.amdhsa_fp16_overflow 0
		.amdhsa_tg_split 0
		.amdhsa_exception_fp_ieee_invalid_op 0
		.amdhsa_exception_fp_denorm_src 0
		.amdhsa_exception_fp_ieee_div_zero 0
		.amdhsa_exception_fp_ieee_overflow 0
		.amdhsa_exception_fp_ieee_underflow 0
		.amdhsa_exception_fp_ieee_inexact 0
		.amdhsa_exception_int_div_zero 0
	.end_amdhsa_kernel
	.section	.text._ZN7rocprim17ROCPRIM_400000_NS6detail17trampoline_kernelINS0_14default_configENS1_38merge_sort_block_merge_config_selectorIffEEZZNS1_27merge_sort_block_merge_implIS3_N6thrust23THRUST_200600_302600_NS6detail15normal_iteratorINS8_10device_ptrIfEEEESD_jNS1_19radix_merge_compareILb0ELb0EfNS0_19identity_decomposerEEEEE10hipError_tT0_T1_T2_jT3_P12ihipStream_tbPNSt15iterator_traitsISI_E10value_typeEPNSO_ISJ_E10value_typeEPSK_NS1_7vsmem_tEENKUlT_SI_SJ_SK_E_clISD_PfSD_S10_EESH_SX_SI_SJ_SK_EUlSX_E1_NS1_11comp_targetILNS1_3genE9ELNS1_11target_archE1100ELNS1_3gpuE3ELNS1_3repE0EEENS1_36merge_oddeven_config_static_selectorELNS0_4arch9wavefront6targetE1EEEvSJ_,"axG",@progbits,_ZN7rocprim17ROCPRIM_400000_NS6detail17trampoline_kernelINS0_14default_configENS1_38merge_sort_block_merge_config_selectorIffEEZZNS1_27merge_sort_block_merge_implIS3_N6thrust23THRUST_200600_302600_NS6detail15normal_iteratorINS8_10device_ptrIfEEEESD_jNS1_19radix_merge_compareILb0ELb0EfNS0_19identity_decomposerEEEEE10hipError_tT0_T1_T2_jT3_P12ihipStream_tbPNSt15iterator_traitsISI_E10value_typeEPNSO_ISJ_E10value_typeEPSK_NS1_7vsmem_tEENKUlT_SI_SJ_SK_E_clISD_PfSD_S10_EESH_SX_SI_SJ_SK_EUlSX_E1_NS1_11comp_targetILNS1_3genE9ELNS1_11target_archE1100ELNS1_3gpuE3ELNS1_3repE0EEENS1_36merge_oddeven_config_static_selectorELNS0_4arch9wavefront6targetE1EEEvSJ_,comdat
.Lfunc_end267:
	.size	_ZN7rocprim17ROCPRIM_400000_NS6detail17trampoline_kernelINS0_14default_configENS1_38merge_sort_block_merge_config_selectorIffEEZZNS1_27merge_sort_block_merge_implIS3_N6thrust23THRUST_200600_302600_NS6detail15normal_iteratorINS8_10device_ptrIfEEEESD_jNS1_19radix_merge_compareILb0ELb0EfNS0_19identity_decomposerEEEEE10hipError_tT0_T1_T2_jT3_P12ihipStream_tbPNSt15iterator_traitsISI_E10value_typeEPNSO_ISJ_E10value_typeEPSK_NS1_7vsmem_tEENKUlT_SI_SJ_SK_E_clISD_PfSD_S10_EESH_SX_SI_SJ_SK_EUlSX_E1_NS1_11comp_targetILNS1_3genE9ELNS1_11target_archE1100ELNS1_3gpuE3ELNS1_3repE0EEENS1_36merge_oddeven_config_static_selectorELNS0_4arch9wavefront6targetE1EEEvSJ_, .Lfunc_end267-_ZN7rocprim17ROCPRIM_400000_NS6detail17trampoline_kernelINS0_14default_configENS1_38merge_sort_block_merge_config_selectorIffEEZZNS1_27merge_sort_block_merge_implIS3_N6thrust23THRUST_200600_302600_NS6detail15normal_iteratorINS8_10device_ptrIfEEEESD_jNS1_19radix_merge_compareILb0ELb0EfNS0_19identity_decomposerEEEEE10hipError_tT0_T1_T2_jT3_P12ihipStream_tbPNSt15iterator_traitsISI_E10value_typeEPNSO_ISJ_E10value_typeEPSK_NS1_7vsmem_tEENKUlT_SI_SJ_SK_E_clISD_PfSD_S10_EESH_SX_SI_SJ_SK_EUlSX_E1_NS1_11comp_targetILNS1_3genE9ELNS1_11target_archE1100ELNS1_3gpuE3ELNS1_3repE0EEENS1_36merge_oddeven_config_static_selectorELNS0_4arch9wavefront6targetE1EEEvSJ_
                                        ; -- End function
	.set _ZN7rocprim17ROCPRIM_400000_NS6detail17trampoline_kernelINS0_14default_configENS1_38merge_sort_block_merge_config_selectorIffEEZZNS1_27merge_sort_block_merge_implIS3_N6thrust23THRUST_200600_302600_NS6detail15normal_iteratorINS8_10device_ptrIfEEEESD_jNS1_19radix_merge_compareILb0ELb0EfNS0_19identity_decomposerEEEEE10hipError_tT0_T1_T2_jT3_P12ihipStream_tbPNSt15iterator_traitsISI_E10value_typeEPNSO_ISJ_E10value_typeEPSK_NS1_7vsmem_tEENKUlT_SI_SJ_SK_E_clISD_PfSD_S10_EESH_SX_SI_SJ_SK_EUlSX_E1_NS1_11comp_targetILNS1_3genE9ELNS1_11target_archE1100ELNS1_3gpuE3ELNS1_3repE0EEENS1_36merge_oddeven_config_static_selectorELNS0_4arch9wavefront6targetE1EEEvSJ_.num_vgpr, 0
	.set _ZN7rocprim17ROCPRIM_400000_NS6detail17trampoline_kernelINS0_14default_configENS1_38merge_sort_block_merge_config_selectorIffEEZZNS1_27merge_sort_block_merge_implIS3_N6thrust23THRUST_200600_302600_NS6detail15normal_iteratorINS8_10device_ptrIfEEEESD_jNS1_19radix_merge_compareILb0ELb0EfNS0_19identity_decomposerEEEEE10hipError_tT0_T1_T2_jT3_P12ihipStream_tbPNSt15iterator_traitsISI_E10value_typeEPNSO_ISJ_E10value_typeEPSK_NS1_7vsmem_tEENKUlT_SI_SJ_SK_E_clISD_PfSD_S10_EESH_SX_SI_SJ_SK_EUlSX_E1_NS1_11comp_targetILNS1_3genE9ELNS1_11target_archE1100ELNS1_3gpuE3ELNS1_3repE0EEENS1_36merge_oddeven_config_static_selectorELNS0_4arch9wavefront6targetE1EEEvSJ_.num_agpr, 0
	.set _ZN7rocprim17ROCPRIM_400000_NS6detail17trampoline_kernelINS0_14default_configENS1_38merge_sort_block_merge_config_selectorIffEEZZNS1_27merge_sort_block_merge_implIS3_N6thrust23THRUST_200600_302600_NS6detail15normal_iteratorINS8_10device_ptrIfEEEESD_jNS1_19radix_merge_compareILb0ELb0EfNS0_19identity_decomposerEEEEE10hipError_tT0_T1_T2_jT3_P12ihipStream_tbPNSt15iterator_traitsISI_E10value_typeEPNSO_ISJ_E10value_typeEPSK_NS1_7vsmem_tEENKUlT_SI_SJ_SK_E_clISD_PfSD_S10_EESH_SX_SI_SJ_SK_EUlSX_E1_NS1_11comp_targetILNS1_3genE9ELNS1_11target_archE1100ELNS1_3gpuE3ELNS1_3repE0EEENS1_36merge_oddeven_config_static_selectorELNS0_4arch9wavefront6targetE1EEEvSJ_.numbered_sgpr, 0
	.set _ZN7rocprim17ROCPRIM_400000_NS6detail17trampoline_kernelINS0_14default_configENS1_38merge_sort_block_merge_config_selectorIffEEZZNS1_27merge_sort_block_merge_implIS3_N6thrust23THRUST_200600_302600_NS6detail15normal_iteratorINS8_10device_ptrIfEEEESD_jNS1_19radix_merge_compareILb0ELb0EfNS0_19identity_decomposerEEEEE10hipError_tT0_T1_T2_jT3_P12ihipStream_tbPNSt15iterator_traitsISI_E10value_typeEPNSO_ISJ_E10value_typeEPSK_NS1_7vsmem_tEENKUlT_SI_SJ_SK_E_clISD_PfSD_S10_EESH_SX_SI_SJ_SK_EUlSX_E1_NS1_11comp_targetILNS1_3genE9ELNS1_11target_archE1100ELNS1_3gpuE3ELNS1_3repE0EEENS1_36merge_oddeven_config_static_selectorELNS0_4arch9wavefront6targetE1EEEvSJ_.num_named_barrier, 0
	.set _ZN7rocprim17ROCPRIM_400000_NS6detail17trampoline_kernelINS0_14default_configENS1_38merge_sort_block_merge_config_selectorIffEEZZNS1_27merge_sort_block_merge_implIS3_N6thrust23THRUST_200600_302600_NS6detail15normal_iteratorINS8_10device_ptrIfEEEESD_jNS1_19radix_merge_compareILb0ELb0EfNS0_19identity_decomposerEEEEE10hipError_tT0_T1_T2_jT3_P12ihipStream_tbPNSt15iterator_traitsISI_E10value_typeEPNSO_ISJ_E10value_typeEPSK_NS1_7vsmem_tEENKUlT_SI_SJ_SK_E_clISD_PfSD_S10_EESH_SX_SI_SJ_SK_EUlSX_E1_NS1_11comp_targetILNS1_3genE9ELNS1_11target_archE1100ELNS1_3gpuE3ELNS1_3repE0EEENS1_36merge_oddeven_config_static_selectorELNS0_4arch9wavefront6targetE1EEEvSJ_.private_seg_size, 0
	.set _ZN7rocprim17ROCPRIM_400000_NS6detail17trampoline_kernelINS0_14default_configENS1_38merge_sort_block_merge_config_selectorIffEEZZNS1_27merge_sort_block_merge_implIS3_N6thrust23THRUST_200600_302600_NS6detail15normal_iteratorINS8_10device_ptrIfEEEESD_jNS1_19radix_merge_compareILb0ELb0EfNS0_19identity_decomposerEEEEE10hipError_tT0_T1_T2_jT3_P12ihipStream_tbPNSt15iterator_traitsISI_E10value_typeEPNSO_ISJ_E10value_typeEPSK_NS1_7vsmem_tEENKUlT_SI_SJ_SK_E_clISD_PfSD_S10_EESH_SX_SI_SJ_SK_EUlSX_E1_NS1_11comp_targetILNS1_3genE9ELNS1_11target_archE1100ELNS1_3gpuE3ELNS1_3repE0EEENS1_36merge_oddeven_config_static_selectorELNS0_4arch9wavefront6targetE1EEEvSJ_.uses_vcc, 0
	.set _ZN7rocprim17ROCPRIM_400000_NS6detail17trampoline_kernelINS0_14default_configENS1_38merge_sort_block_merge_config_selectorIffEEZZNS1_27merge_sort_block_merge_implIS3_N6thrust23THRUST_200600_302600_NS6detail15normal_iteratorINS8_10device_ptrIfEEEESD_jNS1_19radix_merge_compareILb0ELb0EfNS0_19identity_decomposerEEEEE10hipError_tT0_T1_T2_jT3_P12ihipStream_tbPNSt15iterator_traitsISI_E10value_typeEPNSO_ISJ_E10value_typeEPSK_NS1_7vsmem_tEENKUlT_SI_SJ_SK_E_clISD_PfSD_S10_EESH_SX_SI_SJ_SK_EUlSX_E1_NS1_11comp_targetILNS1_3genE9ELNS1_11target_archE1100ELNS1_3gpuE3ELNS1_3repE0EEENS1_36merge_oddeven_config_static_selectorELNS0_4arch9wavefront6targetE1EEEvSJ_.uses_flat_scratch, 0
	.set _ZN7rocprim17ROCPRIM_400000_NS6detail17trampoline_kernelINS0_14default_configENS1_38merge_sort_block_merge_config_selectorIffEEZZNS1_27merge_sort_block_merge_implIS3_N6thrust23THRUST_200600_302600_NS6detail15normal_iteratorINS8_10device_ptrIfEEEESD_jNS1_19radix_merge_compareILb0ELb0EfNS0_19identity_decomposerEEEEE10hipError_tT0_T1_T2_jT3_P12ihipStream_tbPNSt15iterator_traitsISI_E10value_typeEPNSO_ISJ_E10value_typeEPSK_NS1_7vsmem_tEENKUlT_SI_SJ_SK_E_clISD_PfSD_S10_EESH_SX_SI_SJ_SK_EUlSX_E1_NS1_11comp_targetILNS1_3genE9ELNS1_11target_archE1100ELNS1_3gpuE3ELNS1_3repE0EEENS1_36merge_oddeven_config_static_selectorELNS0_4arch9wavefront6targetE1EEEvSJ_.has_dyn_sized_stack, 0
	.set _ZN7rocprim17ROCPRIM_400000_NS6detail17trampoline_kernelINS0_14default_configENS1_38merge_sort_block_merge_config_selectorIffEEZZNS1_27merge_sort_block_merge_implIS3_N6thrust23THRUST_200600_302600_NS6detail15normal_iteratorINS8_10device_ptrIfEEEESD_jNS1_19radix_merge_compareILb0ELb0EfNS0_19identity_decomposerEEEEE10hipError_tT0_T1_T2_jT3_P12ihipStream_tbPNSt15iterator_traitsISI_E10value_typeEPNSO_ISJ_E10value_typeEPSK_NS1_7vsmem_tEENKUlT_SI_SJ_SK_E_clISD_PfSD_S10_EESH_SX_SI_SJ_SK_EUlSX_E1_NS1_11comp_targetILNS1_3genE9ELNS1_11target_archE1100ELNS1_3gpuE3ELNS1_3repE0EEENS1_36merge_oddeven_config_static_selectorELNS0_4arch9wavefront6targetE1EEEvSJ_.has_recursion, 0
	.set _ZN7rocprim17ROCPRIM_400000_NS6detail17trampoline_kernelINS0_14default_configENS1_38merge_sort_block_merge_config_selectorIffEEZZNS1_27merge_sort_block_merge_implIS3_N6thrust23THRUST_200600_302600_NS6detail15normal_iteratorINS8_10device_ptrIfEEEESD_jNS1_19radix_merge_compareILb0ELb0EfNS0_19identity_decomposerEEEEE10hipError_tT0_T1_T2_jT3_P12ihipStream_tbPNSt15iterator_traitsISI_E10value_typeEPNSO_ISJ_E10value_typeEPSK_NS1_7vsmem_tEENKUlT_SI_SJ_SK_E_clISD_PfSD_S10_EESH_SX_SI_SJ_SK_EUlSX_E1_NS1_11comp_targetILNS1_3genE9ELNS1_11target_archE1100ELNS1_3gpuE3ELNS1_3repE0EEENS1_36merge_oddeven_config_static_selectorELNS0_4arch9wavefront6targetE1EEEvSJ_.has_indirect_call, 0
	.section	.AMDGPU.csdata,"",@progbits
; Kernel info:
; codeLenInByte = 0
; TotalNumSgprs: 6
; NumVgprs: 0
; NumAgprs: 0
; TotalNumVgprs: 0
; ScratchSize: 0
; MemoryBound: 0
; FloatMode: 240
; IeeeMode: 1
; LDSByteSize: 0 bytes/workgroup (compile time only)
; SGPRBlocks: 0
; VGPRBlocks: 0
; NumSGPRsForWavesPerEU: 6
; NumVGPRsForWavesPerEU: 1
; AccumOffset: 4
; Occupancy: 8
; WaveLimiterHint : 0
; COMPUTE_PGM_RSRC2:SCRATCH_EN: 0
; COMPUTE_PGM_RSRC2:USER_SGPR: 2
; COMPUTE_PGM_RSRC2:TRAP_HANDLER: 0
; COMPUTE_PGM_RSRC2:TGID_X_EN: 1
; COMPUTE_PGM_RSRC2:TGID_Y_EN: 0
; COMPUTE_PGM_RSRC2:TGID_Z_EN: 0
; COMPUTE_PGM_RSRC2:TIDIG_COMP_CNT: 0
; COMPUTE_PGM_RSRC3_GFX90A:ACCUM_OFFSET: 0
; COMPUTE_PGM_RSRC3_GFX90A:TG_SPLIT: 0
	.section	.text._ZN7rocprim17ROCPRIM_400000_NS6detail17trampoline_kernelINS0_14default_configENS1_38merge_sort_block_merge_config_selectorIffEEZZNS1_27merge_sort_block_merge_implIS3_N6thrust23THRUST_200600_302600_NS6detail15normal_iteratorINS8_10device_ptrIfEEEESD_jNS1_19radix_merge_compareILb0ELb0EfNS0_19identity_decomposerEEEEE10hipError_tT0_T1_T2_jT3_P12ihipStream_tbPNSt15iterator_traitsISI_E10value_typeEPNSO_ISJ_E10value_typeEPSK_NS1_7vsmem_tEENKUlT_SI_SJ_SK_E_clISD_PfSD_S10_EESH_SX_SI_SJ_SK_EUlSX_E1_NS1_11comp_targetILNS1_3genE8ELNS1_11target_archE1030ELNS1_3gpuE2ELNS1_3repE0EEENS1_36merge_oddeven_config_static_selectorELNS0_4arch9wavefront6targetE1EEEvSJ_,"axG",@progbits,_ZN7rocprim17ROCPRIM_400000_NS6detail17trampoline_kernelINS0_14default_configENS1_38merge_sort_block_merge_config_selectorIffEEZZNS1_27merge_sort_block_merge_implIS3_N6thrust23THRUST_200600_302600_NS6detail15normal_iteratorINS8_10device_ptrIfEEEESD_jNS1_19radix_merge_compareILb0ELb0EfNS0_19identity_decomposerEEEEE10hipError_tT0_T1_T2_jT3_P12ihipStream_tbPNSt15iterator_traitsISI_E10value_typeEPNSO_ISJ_E10value_typeEPSK_NS1_7vsmem_tEENKUlT_SI_SJ_SK_E_clISD_PfSD_S10_EESH_SX_SI_SJ_SK_EUlSX_E1_NS1_11comp_targetILNS1_3genE8ELNS1_11target_archE1030ELNS1_3gpuE2ELNS1_3repE0EEENS1_36merge_oddeven_config_static_selectorELNS0_4arch9wavefront6targetE1EEEvSJ_,comdat
	.protected	_ZN7rocprim17ROCPRIM_400000_NS6detail17trampoline_kernelINS0_14default_configENS1_38merge_sort_block_merge_config_selectorIffEEZZNS1_27merge_sort_block_merge_implIS3_N6thrust23THRUST_200600_302600_NS6detail15normal_iteratorINS8_10device_ptrIfEEEESD_jNS1_19radix_merge_compareILb0ELb0EfNS0_19identity_decomposerEEEEE10hipError_tT0_T1_T2_jT3_P12ihipStream_tbPNSt15iterator_traitsISI_E10value_typeEPNSO_ISJ_E10value_typeEPSK_NS1_7vsmem_tEENKUlT_SI_SJ_SK_E_clISD_PfSD_S10_EESH_SX_SI_SJ_SK_EUlSX_E1_NS1_11comp_targetILNS1_3genE8ELNS1_11target_archE1030ELNS1_3gpuE2ELNS1_3repE0EEENS1_36merge_oddeven_config_static_selectorELNS0_4arch9wavefront6targetE1EEEvSJ_ ; -- Begin function _ZN7rocprim17ROCPRIM_400000_NS6detail17trampoline_kernelINS0_14default_configENS1_38merge_sort_block_merge_config_selectorIffEEZZNS1_27merge_sort_block_merge_implIS3_N6thrust23THRUST_200600_302600_NS6detail15normal_iteratorINS8_10device_ptrIfEEEESD_jNS1_19radix_merge_compareILb0ELb0EfNS0_19identity_decomposerEEEEE10hipError_tT0_T1_T2_jT3_P12ihipStream_tbPNSt15iterator_traitsISI_E10value_typeEPNSO_ISJ_E10value_typeEPSK_NS1_7vsmem_tEENKUlT_SI_SJ_SK_E_clISD_PfSD_S10_EESH_SX_SI_SJ_SK_EUlSX_E1_NS1_11comp_targetILNS1_3genE8ELNS1_11target_archE1030ELNS1_3gpuE2ELNS1_3repE0EEENS1_36merge_oddeven_config_static_selectorELNS0_4arch9wavefront6targetE1EEEvSJ_
	.globl	_ZN7rocprim17ROCPRIM_400000_NS6detail17trampoline_kernelINS0_14default_configENS1_38merge_sort_block_merge_config_selectorIffEEZZNS1_27merge_sort_block_merge_implIS3_N6thrust23THRUST_200600_302600_NS6detail15normal_iteratorINS8_10device_ptrIfEEEESD_jNS1_19radix_merge_compareILb0ELb0EfNS0_19identity_decomposerEEEEE10hipError_tT0_T1_T2_jT3_P12ihipStream_tbPNSt15iterator_traitsISI_E10value_typeEPNSO_ISJ_E10value_typeEPSK_NS1_7vsmem_tEENKUlT_SI_SJ_SK_E_clISD_PfSD_S10_EESH_SX_SI_SJ_SK_EUlSX_E1_NS1_11comp_targetILNS1_3genE8ELNS1_11target_archE1030ELNS1_3gpuE2ELNS1_3repE0EEENS1_36merge_oddeven_config_static_selectorELNS0_4arch9wavefront6targetE1EEEvSJ_
	.p2align	8
	.type	_ZN7rocprim17ROCPRIM_400000_NS6detail17trampoline_kernelINS0_14default_configENS1_38merge_sort_block_merge_config_selectorIffEEZZNS1_27merge_sort_block_merge_implIS3_N6thrust23THRUST_200600_302600_NS6detail15normal_iteratorINS8_10device_ptrIfEEEESD_jNS1_19radix_merge_compareILb0ELb0EfNS0_19identity_decomposerEEEEE10hipError_tT0_T1_T2_jT3_P12ihipStream_tbPNSt15iterator_traitsISI_E10value_typeEPNSO_ISJ_E10value_typeEPSK_NS1_7vsmem_tEENKUlT_SI_SJ_SK_E_clISD_PfSD_S10_EESH_SX_SI_SJ_SK_EUlSX_E1_NS1_11comp_targetILNS1_3genE8ELNS1_11target_archE1030ELNS1_3gpuE2ELNS1_3repE0EEENS1_36merge_oddeven_config_static_selectorELNS0_4arch9wavefront6targetE1EEEvSJ_,@function
_ZN7rocprim17ROCPRIM_400000_NS6detail17trampoline_kernelINS0_14default_configENS1_38merge_sort_block_merge_config_selectorIffEEZZNS1_27merge_sort_block_merge_implIS3_N6thrust23THRUST_200600_302600_NS6detail15normal_iteratorINS8_10device_ptrIfEEEESD_jNS1_19radix_merge_compareILb0ELb0EfNS0_19identity_decomposerEEEEE10hipError_tT0_T1_T2_jT3_P12ihipStream_tbPNSt15iterator_traitsISI_E10value_typeEPNSO_ISJ_E10value_typeEPSK_NS1_7vsmem_tEENKUlT_SI_SJ_SK_E_clISD_PfSD_S10_EESH_SX_SI_SJ_SK_EUlSX_E1_NS1_11comp_targetILNS1_3genE8ELNS1_11target_archE1030ELNS1_3gpuE2ELNS1_3repE0EEENS1_36merge_oddeven_config_static_selectorELNS0_4arch9wavefront6targetE1EEEvSJ_: ; @_ZN7rocprim17ROCPRIM_400000_NS6detail17trampoline_kernelINS0_14default_configENS1_38merge_sort_block_merge_config_selectorIffEEZZNS1_27merge_sort_block_merge_implIS3_N6thrust23THRUST_200600_302600_NS6detail15normal_iteratorINS8_10device_ptrIfEEEESD_jNS1_19radix_merge_compareILb0ELb0EfNS0_19identity_decomposerEEEEE10hipError_tT0_T1_T2_jT3_P12ihipStream_tbPNSt15iterator_traitsISI_E10value_typeEPNSO_ISJ_E10value_typeEPSK_NS1_7vsmem_tEENKUlT_SI_SJ_SK_E_clISD_PfSD_S10_EESH_SX_SI_SJ_SK_EUlSX_E1_NS1_11comp_targetILNS1_3genE8ELNS1_11target_archE1030ELNS1_3gpuE2ELNS1_3repE0EEENS1_36merge_oddeven_config_static_selectorELNS0_4arch9wavefront6targetE1EEEvSJ_
; %bb.0:
	.section	.rodata,"a",@progbits
	.p2align	6, 0x0
	.amdhsa_kernel _ZN7rocprim17ROCPRIM_400000_NS6detail17trampoline_kernelINS0_14default_configENS1_38merge_sort_block_merge_config_selectorIffEEZZNS1_27merge_sort_block_merge_implIS3_N6thrust23THRUST_200600_302600_NS6detail15normal_iteratorINS8_10device_ptrIfEEEESD_jNS1_19radix_merge_compareILb0ELb0EfNS0_19identity_decomposerEEEEE10hipError_tT0_T1_T2_jT3_P12ihipStream_tbPNSt15iterator_traitsISI_E10value_typeEPNSO_ISJ_E10value_typeEPSK_NS1_7vsmem_tEENKUlT_SI_SJ_SK_E_clISD_PfSD_S10_EESH_SX_SI_SJ_SK_EUlSX_E1_NS1_11comp_targetILNS1_3genE8ELNS1_11target_archE1030ELNS1_3gpuE2ELNS1_3repE0EEENS1_36merge_oddeven_config_static_selectorELNS0_4arch9wavefront6targetE1EEEvSJ_
		.amdhsa_group_segment_fixed_size 0
		.amdhsa_private_segment_fixed_size 0
		.amdhsa_kernarg_size 48
		.amdhsa_user_sgpr_count 2
		.amdhsa_user_sgpr_dispatch_ptr 0
		.amdhsa_user_sgpr_queue_ptr 0
		.amdhsa_user_sgpr_kernarg_segment_ptr 1
		.amdhsa_user_sgpr_dispatch_id 0
		.amdhsa_user_sgpr_kernarg_preload_length 0
		.amdhsa_user_sgpr_kernarg_preload_offset 0
		.amdhsa_user_sgpr_private_segment_size 0
		.amdhsa_uses_dynamic_stack 0
		.amdhsa_enable_private_segment 0
		.amdhsa_system_sgpr_workgroup_id_x 1
		.amdhsa_system_sgpr_workgroup_id_y 0
		.amdhsa_system_sgpr_workgroup_id_z 0
		.amdhsa_system_sgpr_workgroup_info 0
		.amdhsa_system_vgpr_workitem_id 0
		.amdhsa_next_free_vgpr 1
		.amdhsa_next_free_sgpr 0
		.amdhsa_accum_offset 4
		.amdhsa_reserve_vcc 0
		.amdhsa_float_round_mode_32 0
		.amdhsa_float_round_mode_16_64 0
		.amdhsa_float_denorm_mode_32 3
		.amdhsa_float_denorm_mode_16_64 3
		.amdhsa_dx10_clamp 1
		.amdhsa_ieee_mode 1
		.amdhsa_fp16_overflow 0
		.amdhsa_tg_split 0
		.amdhsa_exception_fp_ieee_invalid_op 0
		.amdhsa_exception_fp_denorm_src 0
		.amdhsa_exception_fp_ieee_div_zero 0
		.amdhsa_exception_fp_ieee_overflow 0
		.amdhsa_exception_fp_ieee_underflow 0
		.amdhsa_exception_fp_ieee_inexact 0
		.amdhsa_exception_int_div_zero 0
	.end_amdhsa_kernel
	.section	.text._ZN7rocprim17ROCPRIM_400000_NS6detail17trampoline_kernelINS0_14default_configENS1_38merge_sort_block_merge_config_selectorIffEEZZNS1_27merge_sort_block_merge_implIS3_N6thrust23THRUST_200600_302600_NS6detail15normal_iteratorINS8_10device_ptrIfEEEESD_jNS1_19radix_merge_compareILb0ELb0EfNS0_19identity_decomposerEEEEE10hipError_tT0_T1_T2_jT3_P12ihipStream_tbPNSt15iterator_traitsISI_E10value_typeEPNSO_ISJ_E10value_typeEPSK_NS1_7vsmem_tEENKUlT_SI_SJ_SK_E_clISD_PfSD_S10_EESH_SX_SI_SJ_SK_EUlSX_E1_NS1_11comp_targetILNS1_3genE8ELNS1_11target_archE1030ELNS1_3gpuE2ELNS1_3repE0EEENS1_36merge_oddeven_config_static_selectorELNS0_4arch9wavefront6targetE1EEEvSJ_,"axG",@progbits,_ZN7rocprim17ROCPRIM_400000_NS6detail17trampoline_kernelINS0_14default_configENS1_38merge_sort_block_merge_config_selectorIffEEZZNS1_27merge_sort_block_merge_implIS3_N6thrust23THRUST_200600_302600_NS6detail15normal_iteratorINS8_10device_ptrIfEEEESD_jNS1_19radix_merge_compareILb0ELb0EfNS0_19identity_decomposerEEEEE10hipError_tT0_T1_T2_jT3_P12ihipStream_tbPNSt15iterator_traitsISI_E10value_typeEPNSO_ISJ_E10value_typeEPSK_NS1_7vsmem_tEENKUlT_SI_SJ_SK_E_clISD_PfSD_S10_EESH_SX_SI_SJ_SK_EUlSX_E1_NS1_11comp_targetILNS1_3genE8ELNS1_11target_archE1030ELNS1_3gpuE2ELNS1_3repE0EEENS1_36merge_oddeven_config_static_selectorELNS0_4arch9wavefront6targetE1EEEvSJ_,comdat
.Lfunc_end268:
	.size	_ZN7rocprim17ROCPRIM_400000_NS6detail17trampoline_kernelINS0_14default_configENS1_38merge_sort_block_merge_config_selectorIffEEZZNS1_27merge_sort_block_merge_implIS3_N6thrust23THRUST_200600_302600_NS6detail15normal_iteratorINS8_10device_ptrIfEEEESD_jNS1_19radix_merge_compareILb0ELb0EfNS0_19identity_decomposerEEEEE10hipError_tT0_T1_T2_jT3_P12ihipStream_tbPNSt15iterator_traitsISI_E10value_typeEPNSO_ISJ_E10value_typeEPSK_NS1_7vsmem_tEENKUlT_SI_SJ_SK_E_clISD_PfSD_S10_EESH_SX_SI_SJ_SK_EUlSX_E1_NS1_11comp_targetILNS1_3genE8ELNS1_11target_archE1030ELNS1_3gpuE2ELNS1_3repE0EEENS1_36merge_oddeven_config_static_selectorELNS0_4arch9wavefront6targetE1EEEvSJ_, .Lfunc_end268-_ZN7rocprim17ROCPRIM_400000_NS6detail17trampoline_kernelINS0_14default_configENS1_38merge_sort_block_merge_config_selectorIffEEZZNS1_27merge_sort_block_merge_implIS3_N6thrust23THRUST_200600_302600_NS6detail15normal_iteratorINS8_10device_ptrIfEEEESD_jNS1_19radix_merge_compareILb0ELb0EfNS0_19identity_decomposerEEEEE10hipError_tT0_T1_T2_jT3_P12ihipStream_tbPNSt15iterator_traitsISI_E10value_typeEPNSO_ISJ_E10value_typeEPSK_NS1_7vsmem_tEENKUlT_SI_SJ_SK_E_clISD_PfSD_S10_EESH_SX_SI_SJ_SK_EUlSX_E1_NS1_11comp_targetILNS1_3genE8ELNS1_11target_archE1030ELNS1_3gpuE2ELNS1_3repE0EEENS1_36merge_oddeven_config_static_selectorELNS0_4arch9wavefront6targetE1EEEvSJ_
                                        ; -- End function
	.set _ZN7rocprim17ROCPRIM_400000_NS6detail17trampoline_kernelINS0_14default_configENS1_38merge_sort_block_merge_config_selectorIffEEZZNS1_27merge_sort_block_merge_implIS3_N6thrust23THRUST_200600_302600_NS6detail15normal_iteratorINS8_10device_ptrIfEEEESD_jNS1_19radix_merge_compareILb0ELb0EfNS0_19identity_decomposerEEEEE10hipError_tT0_T1_T2_jT3_P12ihipStream_tbPNSt15iterator_traitsISI_E10value_typeEPNSO_ISJ_E10value_typeEPSK_NS1_7vsmem_tEENKUlT_SI_SJ_SK_E_clISD_PfSD_S10_EESH_SX_SI_SJ_SK_EUlSX_E1_NS1_11comp_targetILNS1_3genE8ELNS1_11target_archE1030ELNS1_3gpuE2ELNS1_3repE0EEENS1_36merge_oddeven_config_static_selectorELNS0_4arch9wavefront6targetE1EEEvSJ_.num_vgpr, 0
	.set _ZN7rocprim17ROCPRIM_400000_NS6detail17trampoline_kernelINS0_14default_configENS1_38merge_sort_block_merge_config_selectorIffEEZZNS1_27merge_sort_block_merge_implIS3_N6thrust23THRUST_200600_302600_NS6detail15normal_iteratorINS8_10device_ptrIfEEEESD_jNS1_19radix_merge_compareILb0ELb0EfNS0_19identity_decomposerEEEEE10hipError_tT0_T1_T2_jT3_P12ihipStream_tbPNSt15iterator_traitsISI_E10value_typeEPNSO_ISJ_E10value_typeEPSK_NS1_7vsmem_tEENKUlT_SI_SJ_SK_E_clISD_PfSD_S10_EESH_SX_SI_SJ_SK_EUlSX_E1_NS1_11comp_targetILNS1_3genE8ELNS1_11target_archE1030ELNS1_3gpuE2ELNS1_3repE0EEENS1_36merge_oddeven_config_static_selectorELNS0_4arch9wavefront6targetE1EEEvSJ_.num_agpr, 0
	.set _ZN7rocprim17ROCPRIM_400000_NS6detail17trampoline_kernelINS0_14default_configENS1_38merge_sort_block_merge_config_selectorIffEEZZNS1_27merge_sort_block_merge_implIS3_N6thrust23THRUST_200600_302600_NS6detail15normal_iteratorINS8_10device_ptrIfEEEESD_jNS1_19radix_merge_compareILb0ELb0EfNS0_19identity_decomposerEEEEE10hipError_tT0_T1_T2_jT3_P12ihipStream_tbPNSt15iterator_traitsISI_E10value_typeEPNSO_ISJ_E10value_typeEPSK_NS1_7vsmem_tEENKUlT_SI_SJ_SK_E_clISD_PfSD_S10_EESH_SX_SI_SJ_SK_EUlSX_E1_NS1_11comp_targetILNS1_3genE8ELNS1_11target_archE1030ELNS1_3gpuE2ELNS1_3repE0EEENS1_36merge_oddeven_config_static_selectorELNS0_4arch9wavefront6targetE1EEEvSJ_.numbered_sgpr, 0
	.set _ZN7rocprim17ROCPRIM_400000_NS6detail17trampoline_kernelINS0_14default_configENS1_38merge_sort_block_merge_config_selectorIffEEZZNS1_27merge_sort_block_merge_implIS3_N6thrust23THRUST_200600_302600_NS6detail15normal_iteratorINS8_10device_ptrIfEEEESD_jNS1_19radix_merge_compareILb0ELb0EfNS0_19identity_decomposerEEEEE10hipError_tT0_T1_T2_jT3_P12ihipStream_tbPNSt15iterator_traitsISI_E10value_typeEPNSO_ISJ_E10value_typeEPSK_NS1_7vsmem_tEENKUlT_SI_SJ_SK_E_clISD_PfSD_S10_EESH_SX_SI_SJ_SK_EUlSX_E1_NS1_11comp_targetILNS1_3genE8ELNS1_11target_archE1030ELNS1_3gpuE2ELNS1_3repE0EEENS1_36merge_oddeven_config_static_selectorELNS0_4arch9wavefront6targetE1EEEvSJ_.num_named_barrier, 0
	.set _ZN7rocprim17ROCPRIM_400000_NS6detail17trampoline_kernelINS0_14default_configENS1_38merge_sort_block_merge_config_selectorIffEEZZNS1_27merge_sort_block_merge_implIS3_N6thrust23THRUST_200600_302600_NS6detail15normal_iteratorINS8_10device_ptrIfEEEESD_jNS1_19radix_merge_compareILb0ELb0EfNS0_19identity_decomposerEEEEE10hipError_tT0_T1_T2_jT3_P12ihipStream_tbPNSt15iterator_traitsISI_E10value_typeEPNSO_ISJ_E10value_typeEPSK_NS1_7vsmem_tEENKUlT_SI_SJ_SK_E_clISD_PfSD_S10_EESH_SX_SI_SJ_SK_EUlSX_E1_NS1_11comp_targetILNS1_3genE8ELNS1_11target_archE1030ELNS1_3gpuE2ELNS1_3repE0EEENS1_36merge_oddeven_config_static_selectorELNS0_4arch9wavefront6targetE1EEEvSJ_.private_seg_size, 0
	.set _ZN7rocprim17ROCPRIM_400000_NS6detail17trampoline_kernelINS0_14default_configENS1_38merge_sort_block_merge_config_selectorIffEEZZNS1_27merge_sort_block_merge_implIS3_N6thrust23THRUST_200600_302600_NS6detail15normal_iteratorINS8_10device_ptrIfEEEESD_jNS1_19radix_merge_compareILb0ELb0EfNS0_19identity_decomposerEEEEE10hipError_tT0_T1_T2_jT3_P12ihipStream_tbPNSt15iterator_traitsISI_E10value_typeEPNSO_ISJ_E10value_typeEPSK_NS1_7vsmem_tEENKUlT_SI_SJ_SK_E_clISD_PfSD_S10_EESH_SX_SI_SJ_SK_EUlSX_E1_NS1_11comp_targetILNS1_3genE8ELNS1_11target_archE1030ELNS1_3gpuE2ELNS1_3repE0EEENS1_36merge_oddeven_config_static_selectorELNS0_4arch9wavefront6targetE1EEEvSJ_.uses_vcc, 0
	.set _ZN7rocprim17ROCPRIM_400000_NS6detail17trampoline_kernelINS0_14default_configENS1_38merge_sort_block_merge_config_selectorIffEEZZNS1_27merge_sort_block_merge_implIS3_N6thrust23THRUST_200600_302600_NS6detail15normal_iteratorINS8_10device_ptrIfEEEESD_jNS1_19radix_merge_compareILb0ELb0EfNS0_19identity_decomposerEEEEE10hipError_tT0_T1_T2_jT3_P12ihipStream_tbPNSt15iterator_traitsISI_E10value_typeEPNSO_ISJ_E10value_typeEPSK_NS1_7vsmem_tEENKUlT_SI_SJ_SK_E_clISD_PfSD_S10_EESH_SX_SI_SJ_SK_EUlSX_E1_NS1_11comp_targetILNS1_3genE8ELNS1_11target_archE1030ELNS1_3gpuE2ELNS1_3repE0EEENS1_36merge_oddeven_config_static_selectorELNS0_4arch9wavefront6targetE1EEEvSJ_.uses_flat_scratch, 0
	.set _ZN7rocprim17ROCPRIM_400000_NS6detail17trampoline_kernelINS0_14default_configENS1_38merge_sort_block_merge_config_selectorIffEEZZNS1_27merge_sort_block_merge_implIS3_N6thrust23THRUST_200600_302600_NS6detail15normal_iteratorINS8_10device_ptrIfEEEESD_jNS1_19radix_merge_compareILb0ELb0EfNS0_19identity_decomposerEEEEE10hipError_tT0_T1_T2_jT3_P12ihipStream_tbPNSt15iterator_traitsISI_E10value_typeEPNSO_ISJ_E10value_typeEPSK_NS1_7vsmem_tEENKUlT_SI_SJ_SK_E_clISD_PfSD_S10_EESH_SX_SI_SJ_SK_EUlSX_E1_NS1_11comp_targetILNS1_3genE8ELNS1_11target_archE1030ELNS1_3gpuE2ELNS1_3repE0EEENS1_36merge_oddeven_config_static_selectorELNS0_4arch9wavefront6targetE1EEEvSJ_.has_dyn_sized_stack, 0
	.set _ZN7rocprim17ROCPRIM_400000_NS6detail17trampoline_kernelINS0_14default_configENS1_38merge_sort_block_merge_config_selectorIffEEZZNS1_27merge_sort_block_merge_implIS3_N6thrust23THRUST_200600_302600_NS6detail15normal_iteratorINS8_10device_ptrIfEEEESD_jNS1_19radix_merge_compareILb0ELb0EfNS0_19identity_decomposerEEEEE10hipError_tT0_T1_T2_jT3_P12ihipStream_tbPNSt15iterator_traitsISI_E10value_typeEPNSO_ISJ_E10value_typeEPSK_NS1_7vsmem_tEENKUlT_SI_SJ_SK_E_clISD_PfSD_S10_EESH_SX_SI_SJ_SK_EUlSX_E1_NS1_11comp_targetILNS1_3genE8ELNS1_11target_archE1030ELNS1_3gpuE2ELNS1_3repE0EEENS1_36merge_oddeven_config_static_selectorELNS0_4arch9wavefront6targetE1EEEvSJ_.has_recursion, 0
	.set _ZN7rocprim17ROCPRIM_400000_NS6detail17trampoline_kernelINS0_14default_configENS1_38merge_sort_block_merge_config_selectorIffEEZZNS1_27merge_sort_block_merge_implIS3_N6thrust23THRUST_200600_302600_NS6detail15normal_iteratorINS8_10device_ptrIfEEEESD_jNS1_19radix_merge_compareILb0ELb0EfNS0_19identity_decomposerEEEEE10hipError_tT0_T1_T2_jT3_P12ihipStream_tbPNSt15iterator_traitsISI_E10value_typeEPNSO_ISJ_E10value_typeEPSK_NS1_7vsmem_tEENKUlT_SI_SJ_SK_E_clISD_PfSD_S10_EESH_SX_SI_SJ_SK_EUlSX_E1_NS1_11comp_targetILNS1_3genE8ELNS1_11target_archE1030ELNS1_3gpuE2ELNS1_3repE0EEENS1_36merge_oddeven_config_static_selectorELNS0_4arch9wavefront6targetE1EEEvSJ_.has_indirect_call, 0
	.section	.AMDGPU.csdata,"",@progbits
; Kernel info:
; codeLenInByte = 0
; TotalNumSgprs: 6
; NumVgprs: 0
; NumAgprs: 0
; TotalNumVgprs: 0
; ScratchSize: 0
; MemoryBound: 0
; FloatMode: 240
; IeeeMode: 1
; LDSByteSize: 0 bytes/workgroup (compile time only)
; SGPRBlocks: 0
; VGPRBlocks: 0
; NumSGPRsForWavesPerEU: 6
; NumVGPRsForWavesPerEU: 1
; AccumOffset: 4
; Occupancy: 8
; WaveLimiterHint : 0
; COMPUTE_PGM_RSRC2:SCRATCH_EN: 0
; COMPUTE_PGM_RSRC2:USER_SGPR: 2
; COMPUTE_PGM_RSRC2:TRAP_HANDLER: 0
; COMPUTE_PGM_RSRC2:TGID_X_EN: 1
; COMPUTE_PGM_RSRC2:TGID_Y_EN: 0
; COMPUTE_PGM_RSRC2:TGID_Z_EN: 0
; COMPUTE_PGM_RSRC2:TIDIG_COMP_CNT: 0
; COMPUTE_PGM_RSRC3_GFX90A:ACCUM_OFFSET: 0
; COMPUTE_PGM_RSRC3_GFX90A:TG_SPLIT: 0
	.section	.text._ZN7rocprim17ROCPRIM_400000_NS6detail17trampoline_kernelINS0_14default_configENS1_25transform_config_selectorIfLb0EEEZNS1_14transform_implILb0ES3_S5_PfN6thrust23THRUST_200600_302600_NS6detail15normal_iteratorINS9_10device_ptrIfEEEENS0_8identityIfEEEE10hipError_tT2_T3_mT4_P12ihipStream_tbEUlT_E_NS1_11comp_targetILNS1_3genE0ELNS1_11target_archE4294967295ELNS1_3gpuE0ELNS1_3repE0EEENS1_30default_config_static_selectorELNS0_4arch9wavefront6targetE1EEEvT1_,"axG",@progbits,_ZN7rocprim17ROCPRIM_400000_NS6detail17trampoline_kernelINS0_14default_configENS1_25transform_config_selectorIfLb0EEEZNS1_14transform_implILb0ES3_S5_PfN6thrust23THRUST_200600_302600_NS6detail15normal_iteratorINS9_10device_ptrIfEEEENS0_8identityIfEEEE10hipError_tT2_T3_mT4_P12ihipStream_tbEUlT_E_NS1_11comp_targetILNS1_3genE0ELNS1_11target_archE4294967295ELNS1_3gpuE0ELNS1_3repE0EEENS1_30default_config_static_selectorELNS0_4arch9wavefront6targetE1EEEvT1_,comdat
	.protected	_ZN7rocprim17ROCPRIM_400000_NS6detail17trampoline_kernelINS0_14default_configENS1_25transform_config_selectorIfLb0EEEZNS1_14transform_implILb0ES3_S5_PfN6thrust23THRUST_200600_302600_NS6detail15normal_iteratorINS9_10device_ptrIfEEEENS0_8identityIfEEEE10hipError_tT2_T3_mT4_P12ihipStream_tbEUlT_E_NS1_11comp_targetILNS1_3genE0ELNS1_11target_archE4294967295ELNS1_3gpuE0ELNS1_3repE0EEENS1_30default_config_static_selectorELNS0_4arch9wavefront6targetE1EEEvT1_ ; -- Begin function _ZN7rocprim17ROCPRIM_400000_NS6detail17trampoline_kernelINS0_14default_configENS1_25transform_config_selectorIfLb0EEEZNS1_14transform_implILb0ES3_S5_PfN6thrust23THRUST_200600_302600_NS6detail15normal_iteratorINS9_10device_ptrIfEEEENS0_8identityIfEEEE10hipError_tT2_T3_mT4_P12ihipStream_tbEUlT_E_NS1_11comp_targetILNS1_3genE0ELNS1_11target_archE4294967295ELNS1_3gpuE0ELNS1_3repE0EEENS1_30default_config_static_selectorELNS0_4arch9wavefront6targetE1EEEvT1_
	.globl	_ZN7rocprim17ROCPRIM_400000_NS6detail17trampoline_kernelINS0_14default_configENS1_25transform_config_selectorIfLb0EEEZNS1_14transform_implILb0ES3_S5_PfN6thrust23THRUST_200600_302600_NS6detail15normal_iteratorINS9_10device_ptrIfEEEENS0_8identityIfEEEE10hipError_tT2_T3_mT4_P12ihipStream_tbEUlT_E_NS1_11comp_targetILNS1_3genE0ELNS1_11target_archE4294967295ELNS1_3gpuE0ELNS1_3repE0EEENS1_30default_config_static_selectorELNS0_4arch9wavefront6targetE1EEEvT1_
	.p2align	8
	.type	_ZN7rocprim17ROCPRIM_400000_NS6detail17trampoline_kernelINS0_14default_configENS1_25transform_config_selectorIfLb0EEEZNS1_14transform_implILb0ES3_S5_PfN6thrust23THRUST_200600_302600_NS6detail15normal_iteratorINS9_10device_ptrIfEEEENS0_8identityIfEEEE10hipError_tT2_T3_mT4_P12ihipStream_tbEUlT_E_NS1_11comp_targetILNS1_3genE0ELNS1_11target_archE4294967295ELNS1_3gpuE0ELNS1_3repE0EEENS1_30default_config_static_selectorELNS0_4arch9wavefront6targetE1EEEvT1_,@function
_ZN7rocprim17ROCPRIM_400000_NS6detail17trampoline_kernelINS0_14default_configENS1_25transform_config_selectorIfLb0EEEZNS1_14transform_implILb0ES3_S5_PfN6thrust23THRUST_200600_302600_NS6detail15normal_iteratorINS9_10device_ptrIfEEEENS0_8identityIfEEEE10hipError_tT2_T3_mT4_P12ihipStream_tbEUlT_E_NS1_11comp_targetILNS1_3genE0ELNS1_11target_archE4294967295ELNS1_3gpuE0ELNS1_3repE0EEENS1_30default_config_static_selectorELNS0_4arch9wavefront6targetE1EEEvT1_: ; @_ZN7rocprim17ROCPRIM_400000_NS6detail17trampoline_kernelINS0_14default_configENS1_25transform_config_selectorIfLb0EEEZNS1_14transform_implILb0ES3_S5_PfN6thrust23THRUST_200600_302600_NS6detail15normal_iteratorINS9_10device_ptrIfEEEENS0_8identityIfEEEE10hipError_tT2_T3_mT4_P12ihipStream_tbEUlT_E_NS1_11comp_targetILNS1_3genE0ELNS1_11target_archE4294967295ELNS1_3gpuE0ELNS1_3repE0EEENS1_30default_config_static_selectorELNS0_4arch9wavefront6targetE1EEEvT1_
; %bb.0:
	s_load_dwordx8 s[4:11], s[0:1], 0x0
	s_load_dword s3, s[0:1], 0x28
	s_waitcnt lgkmcnt(0)
	s_lshl_b64 s[0:1], s[6:7], 2
	s_add_u32 s4, s4, s0
	s_addc_u32 s5, s5, s1
	s_add_u32 s9, s10, s0
	s_addc_u32 s12, s11, s1
	s_lshl_b32 s0, s2, 8
	s_mov_b32 s1, 0
	s_add_i32 s3, s3, -1
	s_lshl_b64 s[6:7], s[0:1], 2
	s_add_u32 s10, s4, s6
	s_addc_u32 s11, s5, s7
	s_cmp_lg_u32 s2, s3
	s_cbranch_scc0 .LBB269_2
; %bb.1:
	v_lshlrev_b32_e32 v2, 2, v0
	global_load_dword v6, v2, s[10:11]
	global_load_dword v1, v2, s[10:11] offset:512
	s_add_u32 s4, s9, s6
	v_mov_b32_e32 v3, 0
	s_addc_u32 s5, s12, s7
	v_lshl_add_u64 v[4:5], s[4:5], 0, v[2:3]
	s_mov_b64 s[4:5], -1
	s_waitcnt vmcnt(1)
	flat_store_dword v[4:5], v6
	s_cbranch_execz .LBB269_3
	s_branch .LBB269_12
.LBB269_2:
	s_mov_b64 s[4:5], 0
                                        ; implicit-def: $vgpr1
                                        ; implicit-def: $vgpr4_vgpr5
.LBB269_3:
	s_sub_i32 s2, s8, s0
	v_mov_b32_e32 v2, 0
	v_cmp_gt_u32_e32 vcc, s2, v0
	v_mov_b32_e32 v3, v2
	s_and_saveexec_b64 s[0:1], vcc
	s_cbranch_execz .LBB269_5
; %bb.4:
	s_waitcnt vmcnt(0)
	v_lshlrev_b32_e32 v1, 2, v0
	global_load_dword v4, v1, s[10:11]
	v_mov_b32_e32 v5, v2
	s_waitcnt vmcnt(0)
	v_mov_b64_e32 v[2:3], v[4:5]
.LBB269_5:
	s_or_b64 exec, exec, s[0:1]
	s_waitcnt vmcnt(0)
	v_or_b32_e32 v1, 0x80, v0
	v_cmp_gt_u32_e64 s[0:1], s2, v1
	v_cmp_le_u32_e64 s[2:3], s2, v1
	s_and_saveexec_b64 s[14:15], s[2:3]
	s_xor_b64 s[2:3], exec, s[14:15]
	s_andn2_saveexec_b64 s[2:3], s[2:3]
	s_cbranch_execz .LBB269_7
; %bb.6:
	v_lshlrev_b32_e32 v1, 2, v0
	global_load_dword v3, v1, s[10:11] offset:512
.LBB269_7:
	s_or_b64 exec, exec, s[2:3]
	s_add_u32 s2, s9, s6
	v_mov_b32_e32 v5, 0
	s_addc_u32 s3, s12, s7
	v_lshlrev_b32_e32 v4, 2, v0
	v_cndmask_b32_e32 v1, 0, v2, vcc
	v_lshl_add_u64 v[4:5], s[2:3], 0, v[4:5]
	s_and_saveexec_b64 s[2:3], vcc
	s_cbranch_execz .LBB269_9
; %bb.8:
	flat_store_dword v[4:5], v1
.LBB269_9:
	s_or_b64 exec, exec, s[2:3]
                                        ; implicit-def: $vgpr1
	s_and_saveexec_b64 s[2:3], s[0:1]
	s_cbranch_execz .LBB269_11
; %bb.10:
	s_waitcnt vmcnt(0)
	v_cndmask_b32_e64 v1, 0, v3, s[0:1]
	s_or_b64 s[4:5], s[4:5], exec
.LBB269_11:
	s_or_b64 exec, exec, s[2:3]
.LBB269_12:
	s_and_saveexec_b64 s[0:1], s[4:5]
	s_cbranch_execnz .LBB269_14
; %bb.13:
	s_endpgm
.LBB269_14:
	s_waitcnt vmcnt(0)
	flat_store_dword v[4:5], v1 offset:512
	s_endpgm
	.section	.rodata,"a",@progbits
	.p2align	6, 0x0
	.amdhsa_kernel _ZN7rocprim17ROCPRIM_400000_NS6detail17trampoline_kernelINS0_14default_configENS1_25transform_config_selectorIfLb0EEEZNS1_14transform_implILb0ES3_S5_PfN6thrust23THRUST_200600_302600_NS6detail15normal_iteratorINS9_10device_ptrIfEEEENS0_8identityIfEEEE10hipError_tT2_T3_mT4_P12ihipStream_tbEUlT_E_NS1_11comp_targetILNS1_3genE0ELNS1_11target_archE4294967295ELNS1_3gpuE0ELNS1_3repE0EEENS1_30default_config_static_selectorELNS0_4arch9wavefront6targetE1EEEvT1_
		.amdhsa_group_segment_fixed_size 0
		.amdhsa_private_segment_fixed_size 0
		.amdhsa_kernarg_size 296
		.amdhsa_user_sgpr_count 2
		.amdhsa_user_sgpr_dispatch_ptr 0
		.amdhsa_user_sgpr_queue_ptr 0
		.amdhsa_user_sgpr_kernarg_segment_ptr 1
		.amdhsa_user_sgpr_dispatch_id 0
		.amdhsa_user_sgpr_kernarg_preload_length 0
		.amdhsa_user_sgpr_kernarg_preload_offset 0
		.amdhsa_user_sgpr_private_segment_size 0
		.amdhsa_uses_dynamic_stack 0
		.amdhsa_enable_private_segment 0
		.amdhsa_system_sgpr_workgroup_id_x 1
		.amdhsa_system_sgpr_workgroup_id_y 0
		.amdhsa_system_sgpr_workgroup_id_z 0
		.amdhsa_system_sgpr_workgroup_info 0
		.amdhsa_system_vgpr_workitem_id 0
		.amdhsa_next_free_vgpr 7
		.amdhsa_next_free_sgpr 16
		.amdhsa_accum_offset 8
		.amdhsa_reserve_vcc 1
		.amdhsa_float_round_mode_32 0
		.amdhsa_float_round_mode_16_64 0
		.amdhsa_float_denorm_mode_32 3
		.amdhsa_float_denorm_mode_16_64 3
		.amdhsa_dx10_clamp 1
		.amdhsa_ieee_mode 1
		.amdhsa_fp16_overflow 0
		.amdhsa_tg_split 0
		.amdhsa_exception_fp_ieee_invalid_op 0
		.amdhsa_exception_fp_denorm_src 0
		.amdhsa_exception_fp_ieee_div_zero 0
		.amdhsa_exception_fp_ieee_overflow 0
		.amdhsa_exception_fp_ieee_underflow 0
		.amdhsa_exception_fp_ieee_inexact 0
		.amdhsa_exception_int_div_zero 0
	.end_amdhsa_kernel
	.section	.text._ZN7rocprim17ROCPRIM_400000_NS6detail17trampoline_kernelINS0_14default_configENS1_25transform_config_selectorIfLb0EEEZNS1_14transform_implILb0ES3_S5_PfN6thrust23THRUST_200600_302600_NS6detail15normal_iteratorINS9_10device_ptrIfEEEENS0_8identityIfEEEE10hipError_tT2_T3_mT4_P12ihipStream_tbEUlT_E_NS1_11comp_targetILNS1_3genE0ELNS1_11target_archE4294967295ELNS1_3gpuE0ELNS1_3repE0EEENS1_30default_config_static_selectorELNS0_4arch9wavefront6targetE1EEEvT1_,"axG",@progbits,_ZN7rocprim17ROCPRIM_400000_NS6detail17trampoline_kernelINS0_14default_configENS1_25transform_config_selectorIfLb0EEEZNS1_14transform_implILb0ES3_S5_PfN6thrust23THRUST_200600_302600_NS6detail15normal_iteratorINS9_10device_ptrIfEEEENS0_8identityIfEEEE10hipError_tT2_T3_mT4_P12ihipStream_tbEUlT_E_NS1_11comp_targetILNS1_3genE0ELNS1_11target_archE4294967295ELNS1_3gpuE0ELNS1_3repE0EEENS1_30default_config_static_selectorELNS0_4arch9wavefront6targetE1EEEvT1_,comdat
.Lfunc_end269:
	.size	_ZN7rocprim17ROCPRIM_400000_NS6detail17trampoline_kernelINS0_14default_configENS1_25transform_config_selectorIfLb0EEEZNS1_14transform_implILb0ES3_S5_PfN6thrust23THRUST_200600_302600_NS6detail15normal_iteratorINS9_10device_ptrIfEEEENS0_8identityIfEEEE10hipError_tT2_T3_mT4_P12ihipStream_tbEUlT_E_NS1_11comp_targetILNS1_3genE0ELNS1_11target_archE4294967295ELNS1_3gpuE0ELNS1_3repE0EEENS1_30default_config_static_selectorELNS0_4arch9wavefront6targetE1EEEvT1_, .Lfunc_end269-_ZN7rocprim17ROCPRIM_400000_NS6detail17trampoline_kernelINS0_14default_configENS1_25transform_config_selectorIfLb0EEEZNS1_14transform_implILb0ES3_S5_PfN6thrust23THRUST_200600_302600_NS6detail15normal_iteratorINS9_10device_ptrIfEEEENS0_8identityIfEEEE10hipError_tT2_T3_mT4_P12ihipStream_tbEUlT_E_NS1_11comp_targetILNS1_3genE0ELNS1_11target_archE4294967295ELNS1_3gpuE0ELNS1_3repE0EEENS1_30default_config_static_selectorELNS0_4arch9wavefront6targetE1EEEvT1_
                                        ; -- End function
	.set _ZN7rocprim17ROCPRIM_400000_NS6detail17trampoline_kernelINS0_14default_configENS1_25transform_config_selectorIfLb0EEEZNS1_14transform_implILb0ES3_S5_PfN6thrust23THRUST_200600_302600_NS6detail15normal_iteratorINS9_10device_ptrIfEEEENS0_8identityIfEEEE10hipError_tT2_T3_mT4_P12ihipStream_tbEUlT_E_NS1_11comp_targetILNS1_3genE0ELNS1_11target_archE4294967295ELNS1_3gpuE0ELNS1_3repE0EEENS1_30default_config_static_selectorELNS0_4arch9wavefront6targetE1EEEvT1_.num_vgpr, 7
	.set _ZN7rocprim17ROCPRIM_400000_NS6detail17trampoline_kernelINS0_14default_configENS1_25transform_config_selectorIfLb0EEEZNS1_14transform_implILb0ES3_S5_PfN6thrust23THRUST_200600_302600_NS6detail15normal_iteratorINS9_10device_ptrIfEEEENS0_8identityIfEEEE10hipError_tT2_T3_mT4_P12ihipStream_tbEUlT_E_NS1_11comp_targetILNS1_3genE0ELNS1_11target_archE4294967295ELNS1_3gpuE0ELNS1_3repE0EEENS1_30default_config_static_selectorELNS0_4arch9wavefront6targetE1EEEvT1_.num_agpr, 0
	.set _ZN7rocprim17ROCPRIM_400000_NS6detail17trampoline_kernelINS0_14default_configENS1_25transform_config_selectorIfLb0EEEZNS1_14transform_implILb0ES3_S5_PfN6thrust23THRUST_200600_302600_NS6detail15normal_iteratorINS9_10device_ptrIfEEEENS0_8identityIfEEEE10hipError_tT2_T3_mT4_P12ihipStream_tbEUlT_E_NS1_11comp_targetILNS1_3genE0ELNS1_11target_archE4294967295ELNS1_3gpuE0ELNS1_3repE0EEENS1_30default_config_static_selectorELNS0_4arch9wavefront6targetE1EEEvT1_.numbered_sgpr, 16
	.set _ZN7rocprim17ROCPRIM_400000_NS6detail17trampoline_kernelINS0_14default_configENS1_25transform_config_selectorIfLb0EEEZNS1_14transform_implILb0ES3_S5_PfN6thrust23THRUST_200600_302600_NS6detail15normal_iteratorINS9_10device_ptrIfEEEENS0_8identityIfEEEE10hipError_tT2_T3_mT4_P12ihipStream_tbEUlT_E_NS1_11comp_targetILNS1_3genE0ELNS1_11target_archE4294967295ELNS1_3gpuE0ELNS1_3repE0EEENS1_30default_config_static_selectorELNS0_4arch9wavefront6targetE1EEEvT1_.num_named_barrier, 0
	.set _ZN7rocprim17ROCPRIM_400000_NS6detail17trampoline_kernelINS0_14default_configENS1_25transform_config_selectorIfLb0EEEZNS1_14transform_implILb0ES3_S5_PfN6thrust23THRUST_200600_302600_NS6detail15normal_iteratorINS9_10device_ptrIfEEEENS0_8identityIfEEEE10hipError_tT2_T3_mT4_P12ihipStream_tbEUlT_E_NS1_11comp_targetILNS1_3genE0ELNS1_11target_archE4294967295ELNS1_3gpuE0ELNS1_3repE0EEENS1_30default_config_static_selectorELNS0_4arch9wavefront6targetE1EEEvT1_.private_seg_size, 0
	.set _ZN7rocprim17ROCPRIM_400000_NS6detail17trampoline_kernelINS0_14default_configENS1_25transform_config_selectorIfLb0EEEZNS1_14transform_implILb0ES3_S5_PfN6thrust23THRUST_200600_302600_NS6detail15normal_iteratorINS9_10device_ptrIfEEEENS0_8identityIfEEEE10hipError_tT2_T3_mT4_P12ihipStream_tbEUlT_E_NS1_11comp_targetILNS1_3genE0ELNS1_11target_archE4294967295ELNS1_3gpuE0ELNS1_3repE0EEENS1_30default_config_static_selectorELNS0_4arch9wavefront6targetE1EEEvT1_.uses_vcc, 1
	.set _ZN7rocprim17ROCPRIM_400000_NS6detail17trampoline_kernelINS0_14default_configENS1_25transform_config_selectorIfLb0EEEZNS1_14transform_implILb0ES3_S5_PfN6thrust23THRUST_200600_302600_NS6detail15normal_iteratorINS9_10device_ptrIfEEEENS0_8identityIfEEEE10hipError_tT2_T3_mT4_P12ihipStream_tbEUlT_E_NS1_11comp_targetILNS1_3genE0ELNS1_11target_archE4294967295ELNS1_3gpuE0ELNS1_3repE0EEENS1_30default_config_static_selectorELNS0_4arch9wavefront6targetE1EEEvT1_.uses_flat_scratch, 0
	.set _ZN7rocprim17ROCPRIM_400000_NS6detail17trampoline_kernelINS0_14default_configENS1_25transform_config_selectorIfLb0EEEZNS1_14transform_implILb0ES3_S5_PfN6thrust23THRUST_200600_302600_NS6detail15normal_iteratorINS9_10device_ptrIfEEEENS0_8identityIfEEEE10hipError_tT2_T3_mT4_P12ihipStream_tbEUlT_E_NS1_11comp_targetILNS1_3genE0ELNS1_11target_archE4294967295ELNS1_3gpuE0ELNS1_3repE0EEENS1_30default_config_static_selectorELNS0_4arch9wavefront6targetE1EEEvT1_.has_dyn_sized_stack, 0
	.set _ZN7rocprim17ROCPRIM_400000_NS6detail17trampoline_kernelINS0_14default_configENS1_25transform_config_selectorIfLb0EEEZNS1_14transform_implILb0ES3_S5_PfN6thrust23THRUST_200600_302600_NS6detail15normal_iteratorINS9_10device_ptrIfEEEENS0_8identityIfEEEE10hipError_tT2_T3_mT4_P12ihipStream_tbEUlT_E_NS1_11comp_targetILNS1_3genE0ELNS1_11target_archE4294967295ELNS1_3gpuE0ELNS1_3repE0EEENS1_30default_config_static_selectorELNS0_4arch9wavefront6targetE1EEEvT1_.has_recursion, 0
	.set _ZN7rocprim17ROCPRIM_400000_NS6detail17trampoline_kernelINS0_14default_configENS1_25transform_config_selectorIfLb0EEEZNS1_14transform_implILb0ES3_S5_PfN6thrust23THRUST_200600_302600_NS6detail15normal_iteratorINS9_10device_ptrIfEEEENS0_8identityIfEEEE10hipError_tT2_T3_mT4_P12ihipStream_tbEUlT_E_NS1_11comp_targetILNS1_3genE0ELNS1_11target_archE4294967295ELNS1_3gpuE0ELNS1_3repE0EEENS1_30default_config_static_selectorELNS0_4arch9wavefront6targetE1EEEvT1_.has_indirect_call, 0
	.section	.AMDGPU.csdata,"",@progbits
; Kernel info:
; codeLenInByte = 360
; TotalNumSgprs: 22
; NumVgprs: 7
; NumAgprs: 0
; TotalNumVgprs: 7
; ScratchSize: 0
; MemoryBound: 0
; FloatMode: 240
; IeeeMode: 1
; LDSByteSize: 0 bytes/workgroup (compile time only)
; SGPRBlocks: 2
; VGPRBlocks: 0
; NumSGPRsForWavesPerEU: 22
; NumVGPRsForWavesPerEU: 7
; AccumOffset: 8
; Occupancy: 8
; WaveLimiterHint : 1
; COMPUTE_PGM_RSRC2:SCRATCH_EN: 0
; COMPUTE_PGM_RSRC2:USER_SGPR: 2
; COMPUTE_PGM_RSRC2:TRAP_HANDLER: 0
; COMPUTE_PGM_RSRC2:TGID_X_EN: 1
; COMPUTE_PGM_RSRC2:TGID_Y_EN: 0
; COMPUTE_PGM_RSRC2:TGID_Z_EN: 0
; COMPUTE_PGM_RSRC2:TIDIG_COMP_CNT: 0
; COMPUTE_PGM_RSRC3_GFX90A:ACCUM_OFFSET: 1
; COMPUTE_PGM_RSRC3_GFX90A:TG_SPLIT: 0
	.section	.text._ZN7rocprim17ROCPRIM_400000_NS6detail17trampoline_kernelINS0_14default_configENS1_25transform_config_selectorIfLb0EEEZNS1_14transform_implILb0ES3_S5_PfN6thrust23THRUST_200600_302600_NS6detail15normal_iteratorINS9_10device_ptrIfEEEENS0_8identityIfEEEE10hipError_tT2_T3_mT4_P12ihipStream_tbEUlT_E_NS1_11comp_targetILNS1_3genE5ELNS1_11target_archE942ELNS1_3gpuE9ELNS1_3repE0EEENS1_30default_config_static_selectorELNS0_4arch9wavefront6targetE1EEEvT1_,"axG",@progbits,_ZN7rocprim17ROCPRIM_400000_NS6detail17trampoline_kernelINS0_14default_configENS1_25transform_config_selectorIfLb0EEEZNS1_14transform_implILb0ES3_S5_PfN6thrust23THRUST_200600_302600_NS6detail15normal_iteratorINS9_10device_ptrIfEEEENS0_8identityIfEEEE10hipError_tT2_T3_mT4_P12ihipStream_tbEUlT_E_NS1_11comp_targetILNS1_3genE5ELNS1_11target_archE942ELNS1_3gpuE9ELNS1_3repE0EEENS1_30default_config_static_selectorELNS0_4arch9wavefront6targetE1EEEvT1_,comdat
	.protected	_ZN7rocprim17ROCPRIM_400000_NS6detail17trampoline_kernelINS0_14default_configENS1_25transform_config_selectorIfLb0EEEZNS1_14transform_implILb0ES3_S5_PfN6thrust23THRUST_200600_302600_NS6detail15normal_iteratorINS9_10device_ptrIfEEEENS0_8identityIfEEEE10hipError_tT2_T3_mT4_P12ihipStream_tbEUlT_E_NS1_11comp_targetILNS1_3genE5ELNS1_11target_archE942ELNS1_3gpuE9ELNS1_3repE0EEENS1_30default_config_static_selectorELNS0_4arch9wavefront6targetE1EEEvT1_ ; -- Begin function _ZN7rocprim17ROCPRIM_400000_NS6detail17trampoline_kernelINS0_14default_configENS1_25transform_config_selectorIfLb0EEEZNS1_14transform_implILb0ES3_S5_PfN6thrust23THRUST_200600_302600_NS6detail15normal_iteratorINS9_10device_ptrIfEEEENS0_8identityIfEEEE10hipError_tT2_T3_mT4_P12ihipStream_tbEUlT_E_NS1_11comp_targetILNS1_3genE5ELNS1_11target_archE942ELNS1_3gpuE9ELNS1_3repE0EEENS1_30default_config_static_selectorELNS0_4arch9wavefront6targetE1EEEvT1_
	.globl	_ZN7rocprim17ROCPRIM_400000_NS6detail17trampoline_kernelINS0_14default_configENS1_25transform_config_selectorIfLb0EEEZNS1_14transform_implILb0ES3_S5_PfN6thrust23THRUST_200600_302600_NS6detail15normal_iteratorINS9_10device_ptrIfEEEENS0_8identityIfEEEE10hipError_tT2_T3_mT4_P12ihipStream_tbEUlT_E_NS1_11comp_targetILNS1_3genE5ELNS1_11target_archE942ELNS1_3gpuE9ELNS1_3repE0EEENS1_30default_config_static_selectorELNS0_4arch9wavefront6targetE1EEEvT1_
	.p2align	8
	.type	_ZN7rocprim17ROCPRIM_400000_NS6detail17trampoline_kernelINS0_14default_configENS1_25transform_config_selectorIfLb0EEEZNS1_14transform_implILb0ES3_S5_PfN6thrust23THRUST_200600_302600_NS6detail15normal_iteratorINS9_10device_ptrIfEEEENS0_8identityIfEEEE10hipError_tT2_T3_mT4_P12ihipStream_tbEUlT_E_NS1_11comp_targetILNS1_3genE5ELNS1_11target_archE942ELNS1_3gpuE9ELNS1_3repE0EEENS1_30default_config_static_selectorELNS0_4arch9wavefront6targetE1EEEvT1_,@function
_ZN7rocprim17ROCPRIM_400000_NS6detail17trampoline_kernelINS0_14default_configENS1_25transform_config_selectorIfLb0EEEZNS1_14transform_implILb0ES3_S5_PfN6thrust23THRUST_200600_302600_NS6detail15normal_iteratorINS9_10device_ptrIfEEEENS0_8identityIfEEEE10hipError_tT2_T3_mT4_P12ihipStream_tbEUlT_E_NS1_11comp_targetILNS1_3genE5ELNS1_11target_archE942ELNS1_3gpuE9ELNS1_3repE0EEENS1_30default_config_static_selectorELNS0_4arch9wavefront6targetE1EEEvT1_: ; @_ZN7rocprim17ROCPRIM_400000_NS6detail17trampoline_kernelINS0_14default_configENS1_25transform_config_selectorIfLb0EEEZNS1_14transform_implILb0ES3_S5_PfN6thrust23THRUST_200600_302600_NS6detail15normal_iteratorINS9_10device_ptrIfEEEENS0_8identityIfEEEE10hipError_tT2_T3_mT4_P12ihipStream_tbEUlT_E_NS1_11comp_targetILNS1_3genE5ELNS1_11target_archE942ELNS1_3gpuE9ELNS1_3repE0EEENS1_30default_config_static_selectorELNS0_4arch9wavefront6targetE1EEEvT1_
; %bb.0:
	.section	.rodata,"a",@progbits
	.p2align	6, 0x0
	.amdhsa_kernel _ZN7rocprim17ROCPRIM_400000_NS6detail17trampoline_kernelINS0_14default_configENS1_25transform_config_selectorIfLb0EEEZNS1_14transform_implILb0ES3_S5_PfN6thrust23THRUST_200600_302600_NS6detail15normal_iteratorINS9_10device_ptrIfEEEENS0_8identityIfEEEE10hipError_tT2_T3_mT4_P12ihipStream_tbEUlT_E_NS1_11comp_targetILNS1_3genE5ELNS1_11target_archE942ELNS1_3gpuE9ELNS1_3repE0EEENS1_30default_config_static_selectorELNS0_4arch9wavefront6targetE1EEEvT1_
		.amdhsa_group_segment_fixed_size 0
		.amdhsa_private_segment_fixed_size 0
		.amdhsa_kernarg_size 40
		.amdhsa_user_sgpr_count 2
		.amdhsa_user_sgpr_dispatch_ptr 0
		.amdhsa_user_sgpr_queue_ptr 0
		.amdhsa_user_sgpr_kernarg_segment_ptr 1
		.amdhsa_user_sgpr_dispatch_id 0
		.amdhsa_user_sgpr_kernarg_preload_length 0
		.amdhsa_user_sgpr_kernarg_preload_offset 0
		.amdhsa_user_sgpr_private_segment_size 0
		.amdhsa_uses_dynamic_stack 0
		.amdhsa_enable_private_segment 0
		.amdhsa_system_sgpr_workgroup_id_x 1
		.amdhsa_system_sgpr_workgroup_id_y 0
		.amdhsa_system_sgpr_workgroup_id_z 0
		.amdhsa_system_sgpr_workgroup_info 0
		.amdhsa_system_vgpr_workitem_id 0
		.amdhsa_next_free_vgpr 1
		.amdhsa_next_free_sgpr 0
		.amdhsa_accum_offset 4
		.amdhsa_reserve_vcc 0
		.amdhsa_float_round_mode_32 0
		.amdhsa_float_round_mode_16_64 0
		.amdhsa_float_denorm_mode_32 3
		.amdhsa_float_denorm_mode_16_64 3
		.amdhsa_dx10_clamp 1
		.amdhsa_ieee_mode 1
		.amdhsa_fp16_overflow 0
		.amdhsa_tg_split 0
		.amdhsa_exception_fp_ieee_invalid_op 0
		.amdhsa_exception_fp_denorm_src 0
		.amdhsa_exception_fp_ieee_div_zero 0
		.amdhsa_exception_fp_ieee_overflow 0
		.amdhsa_exception_fp_ieee_underflow 0
		.amdhsa_exception_fp_ieee_inexact 0
		.amdhsa_exception_int_div_zero 0
	.end_amdhsa_kernel
	.section	.text._ZN7rocprim17ROCPRIM_400000_NS6detail17trampoline_kernelINS0_14default_configENS1_25transform_config_selectorIfLb0EEEZNS1_14transform_implILb0ES3_S5_PfN6thrust23THRUST_200600_302600_NS6detail15normal_iteratorINS9_10device_ptrIfEEEENS0_8identityIfEEEE10hipError_tT2_T3_mT4_P12ihipStream_tbEUlT_E_NS1_11comp_targetILNS1_3genE5ELNS1_11target_archE942ELNS1_3gpuE9ELNS1_3repE0EEENS1_30default_config_static_selectorELNS0_4arch9wavefront6targetE1EEEvT1_,"axG",@progbits,_ZN7rocprim17ROCPRIM_400000_NS6detail17trampoline_kernelINS0_14default_configENS1_25transform_config_selectorIfLb0EEEZNS1_14transform_implILb0ES3_S5_PfN6thrust23THRUST_200600_302600_NS6detail15normal_iteratorINS9_10device_ptrIfEEEENS0_8identityIfEEEE10hipError_tT2_T3_mT4_P12ihipStream_tbEUlT_E_NS1_11comp_targetILNS1_3genE5ELNS1_11target_archE942ELNS1_3gpuE9ELNS1_3repE0EEENS1_30default_config_static_selectorELNS0_4arch9wavefront6targetE1EEEvT1_,comdat
.Lfunc_end270:
	.size	_ZN7rocprim17ROCPRIM_400000_NS6detail17trampoline_kernelINS0_14default_configENS1_25transform_config_selectorIfLb0EEEZNS1_14transform_implILb0ES3_S5_PfN6thrust23THRUST_200600_302600_NS6detail15normal_iteratorINS9_10device_ptrIfEEEENS0_8identityIfEEEE10hipError_tT2_T3_mT4_P12ihipStream_tbEUlT_E_NS1_11comp_targetILNS1_3genE5ELNS1_11target_archE942ELNS1_3gpuE9ELNS1_3repE0EEENS1_30default_config_static_selectorELNS0_4arch9wavefront6targetE1EEEvT1_, .Lfunc_end270-_ZN7rocprim17ROCPRIM_400000_NS6detail17trampoline_kernelINS0_14default_configENS1_25transform_config_selectorIfLb0EEEZNS1_14transform_implILb0ES3_S5_PfN6thrust23THRUST_200600_302600_NS6detail15normal_iteratorINS9_10device_ptrIfEEEENS0_8identityIfEEEE10hipError_tT2_T3_mT4_P12ihipStream_tbEUlT_E_NS1_11comp_targetILNS1_3genE5ELNS1_11target_archE942ELNS1_3gpuE9ELNS1_3repE0EEENS1_30default_config_static_selectorELNS0_4arch9wavefront6targetE1EEEvT1_
                                        ; -- End function
	.set _ZN7rocprim17ROCPRIM_400000_NS6detail17trampoline_kernelINS0_14default_configENS1_25transform_config_selectorIfLb0EEEZNS1_14transform_implILb0ES3_S5_PfN6thrust23THRUST_200600_302600_NS6detail15normal_iteratorINS9_10device_ptrIfEEEENS0_8identityIfEEEE10hipError_tT2_T3_mT4_P12ihipStream_tbEUlT_E_NS1_11comp_targetILNS1_3genE5ELNS1_11target_archE942ELNS1_3gpuE9ELNS1_3repE0EEENS1_30default_config_static_selectorELNS0_4arch9wavefront6targetE1EEEvT1_.num_vgpr, 0
	.set _ZN7rocprim17ROCPRIM_400000_NS6detail17trampoline_kernelINS0_14default_configENS1_25transform_config_selectorIfLb0EEEZNS1_14transform_implILb0ES3_S5_PfN6thrust23THRUST_200600_302600_NS6detail15normal_iteratorINS9_10device_ptrIfEEEENS0_8identityIfEEEE10hipError_tT2_T3_mT4_P12ihipStream_tbEUlT_E_NS1_11comp_targetILNS1_3genE5ELNS1_11target_archE942ELNS1_3gpuE9ELNS1_3repE0EEENS1_30default_config_static_selectorELNS0_4arch9wavefront6targetE1EEEvT1_.num_agpr, 0
	.set _ZN7rocprim17ROCPRIM_400000_NS6detail17trampoline_kernelINS0_14default_configENS1_25transform_config_selectorIfLb0EEEZNS1_14transform_implILb0ES3_S5_PfN6thrust23THRUST_200600_302600_NS6detail15normal_iteratorINS9_10device_ptrIfEEEENS0_8identityIfEEEE10hipError_tT2_T3_mT4_P12ihipStream_tbEUlT_E_NS1_11comp_targetILNS1_3genE5ELNS1_11target_archE942ELNS1_3gpuE9ELNS1_3repE0EEENS1_30default_config_static_selectorELNS0_4arch9wavefront6targetE1EEEvT1_.numbered_sgpr, 0
	.set _ZN7rocprim17ROCPRIM_400000_NS6detail17trampoline_kernelINS0_14default_configENS1_25transform_config_selectorIfLb0EEEZNS1_14transform_implILb0ES3_S5_PfN6thrust23THRUST_200600_302600_NS6detail15normal_iteratorINS9_10device_ptrIfEEEENS0_8identityIfEEEE10hipError_tT2_T3_mT4_P12ihipStream_tbEUlT_E_NS1_11comp_targetILNS1_3genE5ELNS1_11target_archE942ELNS1_3gpuE9ELNS1_3repE0EEENS1_30default_config_static_selectorELNS0_4arch9wavefront6targetE1EEEvT1_.num_named_barrier, 0
	.set _ZN7rocprim17ROCPRIM_400000_NS6detail17trampoline_kernelINS0_14default_configENS1_25transform_config_selectorIfLb0EEEZNS1_14transform_implILb0ES3_S5_PfN6thrust23THRUST_200600_302600_NS6detail15normal_iteratorINS9_10device_ptrIfEEEENS0_8identityIfEEEE10hipError_tT2_T3_mT4_P12ihipStream_tbEUlT_E_NS1_11comp_targetILNS1_3genE5ELNS1_11target_archE942ELNS1_3gpuE9ELNS1_3repE0EEENS1_30default_config_static_selectorELNS0_4arch9wavefront6targetE1EEEvT1_.private_seg_size, 0
	.set _ZN7rocprim17ROCPRIM_400000_NS6detail17trampoline_kernelINS0_14default_configENS1_25transform_config_selectorIfLb0EEEZNS1_14transform_implILb0ES3_S5_PfN6thrust23THRUST_200600_302600_NS6detail15normal_iteratorINS9_10device_ptrIfEEEENS0_8identityIfEEEE10hipError_tT2_T3_mT4_P12ihipStream_tbEUlT_E_NS1_11comp_targetILNS1_3genE5ELNS1_11target_archE942ELNS1_3gpuE9ELNS1_3repE0EEENS1_30default_config_static_selectorELNS0_4arch9wavefront6targetE1EEEvT1_.uses_vcc, 0
	.set _ZN7rocprim17ROCPRIM_400000_NS6detail17trampoline_kernelINS0_14default_configENS1_25transform_config_selectorIfLb0EEEZNS1_14transform_implILb0ES3_S5_PfN6thrust23THRUST_200600_302600_NS6detail15normal_iteratorINS9_10device_ptrIfEEEENS0_8identityIfEEEE10hipError_tT2_T3_mT4_P12ihipStream_tbEUlT_E_NS1_11comp_targetILNS1_3genE5ELNS1_11target_archE942ELNS1_3gpuE9ELNS1_3repE0EEENS1_30default_config_static_selectorELNS0_4arch9wavefront6targetE1EEEvT1_.uses_flat_scratch, 0
	.set _ZN7rocprim17ROCPRIM_400000_NS6detail17trampoline_kernelINS0_14default_configENS1_25transform_config_selectorIfLb0EEEZNS1_14transform_implILb0ES3_S5_PfN6thrust23THRUST_200600_302600_NS6detail15normal_iteratorINS9_10device_ptrIfEEEENS0_8identityIfEEEE10hipError_tT2_T3_mT4_P12ihipStream_tbEUlT_E_NS1_11comp_targetILNS1_3genE5ELNS1_11target_archE942ELNS1_3gpuE9ELNS1_3repE0EEENS1_30default_config_static_selectorELNS0_4arch9wavefront6targetE1EEEvT1_.has_dyn_sized_stack, 0
	.set _ZN7rocprim17ROCPRIM_400000_NS6detail17trampoline_kernelINS0_14default_configENS1_25transform_config_selectorIfLb0EEEZNS1_14transform_implILb0ES3_S5_PfN6thrust23THRUST_200600_302600_NS6detail15normal_iteratorINS9_10device_ptrIfEEEENS0_8identityIfEEEE10hipError_tT2_T3_mT4_P12ihipStream_tbEUlT_E_NS1_11comp_targetILNS1_3genE5ELNS1_11target_archE942ELNS1_3gpuE9ELNS1_3repE0EEENS1_30default_config_static_selectorELNS0_4arch9wavefront6targetE1EEEvT1_.has_recursion, 0
	.set _ZN7rocprim17ROCPRIM_400000_NS6detail17trampoline_kernelINS0_14default_configENS1_25transform_config_selectorIfLb0EEEZNS1_14transform_implILb0ES3_S5_PfN6thrust23THRUST_200600_302600_NS6detail15normal_iteratorINS9_10device_ptrIfEEEENS0_8identityIfEEEE10hipError_tT2_T3_mT4_P12ihipStream_tbEUlT_E_NS1_11comp_targetILNS1_3genE5ELNS1_11target_archE942ELNS1_3gpuE9ELNS1_3repE0EEENS1_30default_config_static_selectorELNS0_4arch9wavefront6targetE1EEEvT1_.has_indirect_call, 0
	.section	.AMDGPU.csdata,"",@progbits
; Kernel info:
; codeLenInByte = 0
; TotalNumSgprs: 6
; NumVgprs: 0
; NumAgprs: 0
; TotalNumVgprs: 0
; ScratchSize: 0
; MemoryBound: 0
; FloatMode: 240
; IeeeMode: 1
; LDSByteSize: 0 bytes/workgroup (compile time only)
; SGPRBlocks: 0
; VGPRBlocks: 0
; NumSGPRsForWavesPerEU: 6
; NumVGPRsForWavesPerEU: 1
; AccumOffset: 4
; Occupancy: 8
; WaveLimiterHint : 0
; COMPUTE_PGM_RSRC2:SCRATCH_EN: 0
; COMPUTE_PGM_RSRC2:USER_SGPR: 2
; COMPUTE_PGM_RSRC2:TRAP_HANDLER: 0
; COMPUTE_PGM_RSRC2:TGID_X_EN: 1
; COMPUTE_PGM_RSRC2:TGID_Y_EN: 0
; COMPUTE_PGM_RSRC2:TGID_Z_EN: 0
; COMPUTE_PGM_RSRC2:TIDIG_COMP_CNT: 0
; COMPUTE_PGM_RSRC3_GFX90A:ACCUM_OFFSET: 0
; COMPUTE_PGM_RSRC3_GFX90A:TG_SPLIT: 0
	.section	.text._ZN7rocprim17ROCPRIM_400000_NS6detail17trampoline_kernelINS0_14default_configENS1_25transform_config_selectorIfLb0EEEZNS1_14transform_implILb0ES3_S5_PfN6thrust23THRUST_200600_302600_NS6detail15normal_iteratorINS9_10device_ptrIfEEEENS0_8identityIfEEEE10hipError_tT2_T3_mT4_P12ihipStream_tbEUlT_E_NS1_11comp_targetILNS1_3genE4ELNS1_11target_archE910ELNS1_3gpuE8ELNS1_3repE0EEENS1_30default_config_static_selectorELNS0_4arch9wavefront6targetE1EEEvT1_,"axG",@progbits,_ZN7rocprim17ROCPRIM_400000_NS6detail17trampoline_kernelINS0_14default_configENS1_25transform_config_selectorIfLb0EEEZNS1_14transform_implILb0ES3_S5_PfN6thrust23THRUST_200600_302600_NS6detail15normal_iteratorINS9_10device_ptrIfEEEENS0_8identityIfEEEE10hipError_tT2_T3_mT4_P12ihipStream_tbEUlT_E_NS1_11comp_targetILNS1_3genE4ELNS1_11target_archE910ELNS1_3gpuE8ELNS1_3repE0EEENS1_30default_config_static_selectorELNS0_4arch9wavefront6targetE1EEEvT1_,comdat
	.protected	_ZN7rocprim17ROCPRIM_400000_NS6detail17trampoline_kernelINS0_14default_configENS1_25transform_config_selectorIfLb0EEEZNS1_14transform_implILb0ES3_S5_PfN6thrust23THRUST_200600_302600_NS6detail15normal_iteratorINS9_10device_ptrIfEEEENS0_8identityIfEEEE10hipError_tT2_T3_mT4_P12ihipStream_tbEUlT_E_NS1_11comp_targetILNS1_3genE4ELNS1_11target_archE910ELNS1_3gpuE8ELNS1_3repE0EEENS1_30default_config_static_selectorELNS0_4arch9wavefront6targetE1EEEvT1_ ; -- Begin function _ZN7rocprim17ROCPRIM_400000_NS6detail17trampoline_kernelINS0_14default_configENS1_25transform_config_selectorIfLb0EEEZNS1_14transform_implILb0ES3_S5_PfN6thrust23THRUST_200600_302600_NS6detail15normal_iteratorINS9_10device_ptrIfEEEENS0_8identityIfEEEE10hipError_tT2_T3_mT4_P12ihipStream_tbEUlT_E_NS1_11comp_targetILNS1_3genE4ELNS1_11target_archE910ELNS1_3gpuE8ELNS1_3repE0EEENS1_30default_config_static_selectorELNS0_4arch9wavefront6targetE1EEEvT1_
	.globl	_ZN7rocprim17ROCPRIM_400000_NS6detail17trampoline_kernelINS0_14default_configENS1_25transform_config_selectorIfLb0EEEZNS1_14transform_implILb0ES3_S5_PfN6thrust23THRUST_200600_302600_NS6detail15normal_iteratorINS9_10device_ptrIfEEEENS0_8identityIfEEEE10hipError_tT2_T3_mT4_P12ihipStream_tbEUlT_E_NS1_11comp_targetILNS1_3genE4ELNS1_11target_archE910ELNS1_3gpuE8ELNS1_3repE0EEENS1_30default_config_static_selectorELNS0_4arch9wavefront6targetE1EEEvT1_
	.p2align	8
	.type	_ZN7rocprim17ROCPRIM_400000_NS6detail17trampoline_kernelINS0_14default_configENS1_25transform_config_selectorIfLb0EEEZNS1_14transform_implILb0ES3_S5_PfN6thrust23THRUST_200600_302600_NS6detail15normal_iteratorINS9_10device_ptrIfEEEENS0_8identityIfEEEE10hipError_tT2_T3_mT4_P12ihipStream_tbEUlT_E_NS1_11comp_targetILNS1_3genE4ELNS1_11target_archE910ELNS1_3gpuE8ELNS1_3repE0EEENS1_30default_config_static_selectorELNS0_4arch9wavefront6targetE1EEEvT1_,@function
_ZN7rocprim17ROCPRIM_400000_NS6detail17trampoline_kernelINS0_14default_configENS1_25transform_config_selectorIfLb0EEEZNS1_14transform_implILb0ES3_S5_PfN6thrust23THRUST_200600_302600_NS6detail15normal_iteratorINS9_10device_ptrIfEEEENS0_8identityIfEEEE10hipError_tT2_T3_mT4_P12ihipStream_tbEUlT_E_NS1_11comp_targetILNS1_3genE4ELNS1_11target_archE910ELNS1_3gpuE8ELNS1_3repE0EEENS1_30default_config_static_selectorELNS0_4arch9wavefront6targetE1EEEvT1_: ; @_ZN7rocprim17ROCPRIM_400000_NS6detail17trampoline_kernelINS0_14default_configENS1_25transform_config_selectorIfLb0EEEZNS1_14transform_implILb0ES3_S5_PfN6thrust23THRUST_200600_302600_NS6detail15normal_iteratorINS9_10device_ptrIfEEEENS0_8identityIfEEEE10hipError_tT2_T3_mT4_P12ihipStream_tbEUlT_E_NS1_11comp_targetILNS1_3genE4ELNS1_11target_archE910ELNS1_3gpuE8ELNS1_3repE0EEENS1_30default_config_static_selectorELNS0_4arch9wavefront6targetE1EEEvT1_
; %bb.0:
	.section	.rodata,"a",@progbits
	.p2align	6, 0x0
	.amdhsa_kernel _ZN7rocprim17ROCPRIM_400000_NS6detail17trampoline_kernelINS0_14default_configENS1_25transform_config_selectorIfLb0EEEZNS1_14transform_implILb0ES3_S5_PfN6thrust23THRUST_200600_302600_NS6detail15normal_iteratorINS9_10device_ptrIfEEEENS0_8identityIfEEEE10hipError_tT2_T3_mT4_P12ihipStream_tbEUlT_E_NS1_11comp_targetILNS1_3genE4ELNS1_11target_archE910ELNS1_3gpuE8ELNS1_3repE0EEENS1_30default_config_static_selectorELNS0_4arch9wavefront6targetE1EEEvT1_
		.amdhsa_group_segment_fixed_size 0
		.amdhsa_private_segment_fixed_size 0
		.amdhsa_kernarg_size 40
		.amdhsa_user_sgpr_count 2
		.amdhsa_user_sgpr_dispatch_ptr 0
		.amdhsa_user_sgpr_queue_ptr 0
		.amdhsa_user_sgpr_kernarg_segment_ptr 1
		.amdhsa_user_sgpr_dispatch_id 0
		.amdhsa_user_sgpr_kernarg_preload_length 0
		.amdhsa_user_sgpr_kernarg_preload_offset 0
		.amdhsa_user_sgpr_private_segment_size 0
		.amdhsa_uses_dynamic_stack 0
		.amdhsa_enable_private_segment 0
		.amdhsa_system_sgpr_workgroup_id_x 1
		.amdhsa_system_sgpr_workgroup_id_y 0
		.amdhsa_system_sgpr_workgroup_id_z 0
		.amdhsa_system_sgpr_workgroup_info 0
		.amdhsa_system_vgpr_workitem_id 0
		.amdhsa_next_free_vgpr 1
		.amdhsa_next_free_sgpr 0
		.amdhsa_accum_offset 4
		.amdhsa_reserve_vcc 0
		.amdhsa_float_round_mode_32 0
		.amdhsa_float_round_mode_16_64 0
		.amdhsa_float_denorm_mode_32 3
		.amdhsa_float_denorm_mode_16_64 3
		.amdhsa_dx10_clamp 1
		.amdhsa_ieee_mode 1
		.amdhsa_fp16_overflow 0
		.amdhsa_tg_split 0
		.amdhsa_exception_fp_ieee_invalid_op 0
		.amdhsa_exception_fp_denorm_src 0
		.amdhsa_exception_fp_ieee_div_zero 0
		.amdhsa_exception_fp_ieee_overflow 0
		.amdhsa_exception_fp_ieee_underflow 0
		.amdhsa_exception_fp_ieee_inexact 0
		.amdhsa_exception_int_div_zero 0
	.end_amdhsa_kernel
	.section	.text._ZN7rocprim17ROCPRIM_400000_NS6detail17trampoline_kernelINS0_14default_configENS1_25transform_config_selectorIfLb0EEEZNS1_14transform_implILb0ES3_S5_PfN6thrust23THRUST_200600_302600_NS6detail15normal_iteratorINS9_10device_ptrIfEEEENS0_8identityIfEEEE10hipError_tT2_T3_mT4_P12ihipStream_tbEUlT_E_NS1_11comp_targetILNS1_3genE4ELNS1_11target_archE910ELNS1_3gpuE8ELNS1_3repE0EEENS1_30default_config_static_selectorELNS0_4arch9wavefront6targetE1EEEvT1_,"axG",@progbits,_ZN7rocprim17ROCPRIM_400000_NS6detail17trampoline_kernelINS0_14default_configENS1_25transform_config_selectorIfLb0EEEZNS1_14transform_implILb0ES3_S5_PfN6thrust23THRUST_200600_302600_NS6detail15normal_iteratorINS9_10device_ptrIfEEEENS0_8identityIfEEEE10hipError_tT2_T3_mT4_P12ihipStream_tbEUlT_E_NS1_11comp_targetILNS1_3genE4ELNS1_11target_archE910ELNS1_3gpuE8ELNS1_3repE0EEENS1_30default_config_static_selectorELNS0_4arch9wavefront6targetE1EEEvT1_,comdat
.Lfunc_end271:
	.size	_ZN7rocprim17ROCPRIM_400000_NS6detail17trampoline_kernelINS0_14default_configENS1_25transform_config_selectorIfLb0EEEZNS1_14transform_implILb0ES3_S5_PfN6thrust23THRUST_200600_302600_NS6detail15normal_iteratorINS9_10device_ptrIfEEEENS0_8identityIfEEEE10hipError_tT2_T3_mT4_P12ihipStream_tbEUlT_E_NS1_11comp_targetILNS1_3genE4ELNS1_11target_archE910ELNS1_3gpuE8ELNS1_3repE0EEENS1_30default_config_static_selectorELNS0_4arch9wavefront6targetE1EEEvT1_, .Lfunc_end271-_ZN7rocprim17ROCPRIM_400000_NS6detail17trampoline_kernelINS0_14default_configENS1_25transform_config_selectorIfLb0EEEZNS1_14transform_implILb0ES3_S5_PfN6thrust23THRUST_200600_302600_NS6detail15normal_iteratorINS9_10device_ptrIfEEEENS0_8identityIfEEEE10hipError_tT2_T3_mT4_P12ihipStream_tbEUlT_E_NS1_11comp_targetILNS1_3genE4ELNS1_11target_archE910ELNS1_3gpuE8ELNS1_3repE0EEENS1_30default_config_static_selectorELNS0_4arch9wavefront6targetE1EEEvT1_
                                        ; -- End function
	.set _ZN7rocprim17ROCPRIM_400000_NS6detail17trampoline_kernelINS0_14default_configENS1_25transform_config_selectorIfLb0EEEZNS1_14transform_implILb0ES3_S5_PfN6thrust23THRUST_200600_302600_NS6detail15normal_iteratorINS9_10device_ptrIfEEEENS0_8identityIfEEEE10hipError_tT2_T3_mT4_P12ihipStream_tbEUlT_E_NS1_11comp_targetILNS1_3genE4ELNS1_11target_archE910ELNS1_3gpuE8ELNS1_3repE0EEENS1_30default_config_static_selectorELNS0_4arch9wavefront6targetE1EEEvT1_.num_vgpr, 0
	.set _ZN7rocprim17ROCPRIM_400000_NS6detail17trampoline_kernelINS0_14default_configENS1_25transform_config_selectorIfLb0EEEZNS1_14transform_implILb0ES3_S5_PfN6thrust23THRUST_200600_302600_NS6detail15normal_iteratorINS9_10device_ptrIfEEEENS0_8identityIfEEEE10hipError_tT2_T3_mT4_P12ihipStream_tbEUlT_E_NS1_11comp_targetILNS1_3genE4ELNS1_11target_archE910ELNS1_3gpuE8ELNS1_3repE0EEENS1_30default_config_static_selectorELNS0_4arch9wavefront6targetE1EEEvT1_.num_agpr, 0
	.set _ZN7rocprim17ROCPRIM_400000_NS6detail17trampoline_kernelINS0_14default_configENS1_25transform_config_selectorIfLb0EEEZNS1_14transform_implILb0ES3_S5_PfN6thrust23THRUST_200600_302600_NS6detail15normal_iteratorINS9_10device_ptrIfEEEENS0_8identityIfEEEE10hipError_tT2_T3_mT4_P12ihipStream_tbEUlT_E_NS1_11comp_targetILNS1_3genE4ELNS1_11target_archE910ELNS1_3gpuE8ELNS1_3repE0EEENS1_30default_config_static_selectorELNS0_4arch9wavefront6targetE1EEEvT1_.numbered_sgpr, 0
	.set _ZN7rocprim17ROCPRIM_400000_NS6detail17trampoline_kernelINS0_14default_configENS1_25transform_config_selectorIfLb0EEEZNS1_14transform_implILb0ES3_S5_PfN6thrust23THRUST_200600_302600_NS6detail15normal_iteratorINS9_10device_ptrIfEEEENS0_8identityIfEEEE10hipError_tT2_T3_mT4_P12ihipStream_tbEUlT_E_NS1_11comp_targetILNS1_3genE4ELNS1_11target_archE910ELNS1_3gpuE8ELNS1_3repE0EEENS1_30default_config_static_selectorELNS0_4arch9wavefront6targetE1EEEvT1_.num_named_barrier, 0
	.set _ZN7rocprim17ROCPRIM_400000_NS6detail17trampoline_kernelINS0_14default_configENS1_25transform_config_selectorIfLb0EEEZNS1_14transform_implILb0ES3_S5_PfN6thrust23THRUST_200600_302600_NS6detail15normal_iteratorINS9_10device_ptrIfEEEENS0_8identityIfEEEE10hipError_tT2_T3_mT4_P12ihipStream_tbEUlT_E_NS1_11comp_targetILNS1_3genE4ELNS1_11target_archE910ELNS1_3gpuE8ELNS1_3repE0EEENS1_30default_config_static_selectorELNS0_4arch9wavefront6targetE1EEEvT1_.private_seg_size, 0
	.set _ZN7rocprim17ROCPRIM_400000_NS6detail17trampoline_kernelINS0_14default_configENS1_25transform_config_selectorIfLb0EEEZNS1_14transform_implILb0ES3_S5_PfN6thrust23THRUST_200600_302600_NS6detail15normal_iteratorINS9_10device_ptrIfEEEENS0_8identityIfEEEE10hipError_tT2_T3_mT4_P12ihipStream_tbEUlT_E_NS1_11comp_targetILNS1_3genE4ELNS1_11target_archE910ELNS1_3gpuE8ELNS1_3repE0EEENS1_30default_config_static_selectorELNS0_4arch9wavefront6targetE1EEEvT1_.uses_vcc, 0
	.set _ZN7rocprim17ROCPRIM_400000_NS6detail17trampoline_kernelINS0_14default_configENS1_25transform_config_selectorIfLb0EEEZNS1_14transform_implILb0ES3_S5_PfN6thrust23THRUST_200600_302600_NS6detail15normal_iteratorINS9_10device_ptrIfEEEENS0_8identityIfEEEE10hipError_tT2_T3_mT4_P12ihipStream_tbEUlT_E_NS1_11comp_targetILNS1_3genE4ELNS1_11target_archE910ELNS1_3gpuE8ELNS1_3repE0EEENS1_30default_config_static_selectorELNS0_4arch9wavefront6targetE1EEEvT1_.uses_flat_scratch, 0
	.set _ZN7rocprim17ROCPRIM_400000_NS6detail17trampoline_kernelINS0_14default_configENS1_25transform_config_selectorIfLb0EEEZNS1_14transform_implILb0ES3_S5_PfN6thrust23THRUST_200600_302600_NS6detail15normal_iteratorINS9_10device_ptrIfEEEENS0_8identityIfEEEE10hipError_tT2_T3_mT4_P12ihipStream_tbEUlT_E_NS1_11comp_targetILNS1_3genE4ELNS1_11target_archE910ELNS1_3gpuE8ELNS1_3repE0EEENS1_30default_config_static_selectorELNS0_4arch9wavefront6targetE1EEEvT1_.has_dyn_sized_stack, 0
	.set _ZN7rocprim17ROCPRIM_400000_NS6detail17trampoline_kernelINS0_14default_configENS1_25transform_config_selectorIfLb0EEEZNS1_14transform_implILb0ES3_S5_PfN6thrust23THRUST_200600_302600_NS6detail15normal_iteratorINS9_10device_ptrIfEEEENS0_8identityIfEEEE10hipError_tT2_T3_mT4_P12ihipStream_tbEUlT_E_NS1_11comp_targetILNS1_3genE4ELNS1_11target_archE910ELNS1_3gpuE8ELNS1_3repE0EEENS1_30default_config_static_selectorELNS0_4arch9wavefront6targetE1EEEvT1_.has_recursion, 0
	.set _ZN7rocprim17ROCPRIM_400000_NS6detail17trampoline_kernelINS0_14default_configENS1_25transform_config_selectorIfLb0EEEZNS1_14transform_implILb0ES3_S5_PfN6thrust23THRUST_200600_302600_NS6detail15normal_iteratorINS9_10device_ptrIfEEEENS0_8identityIfEEEE10hipError_tT2_T3_mT4_P12ihipStream_tbEUlT_E_NS1_11comp_targetILNS1_3genE4ELNS1_11target_archE910ELNS1_3gpuE8ELNS1_3repE0EEENS1_30default_config_static_selectorELNS0_4arch9wavefront6targetE1EEEvT1_.has_indirect_call, 0
	.section	.AMDGPU.csdata,"",@progbits
; Kernel info:
; codeLenInByte = 0
; TotalNumSgprs: 6
; NumVgprs: 0
; NumAgprs: 0
; TotalNumVgprs: 0
; ScratchSize: 0
; MemoryBound: 0
; FloatMode: 240
; IeeeMode: 1
; LDSByteSize: 0 bytes/workgroup (compile time only)
; SGPRBlocks: 0
; VGPRBlocks: 0
; NumSGPRsForWavesPerEU: 6
; NumVGPRsForWavesPerEU: 1
; AccumOffset: 4
; Occupancy: 8
; WaveLimiterHint : 0
; COMPUTE_PGM_RSRC2:SCRATCH_EN: 0
; COMPUTE_PGM_RSRC2:USER_SGPR: 2
; COMPUTE_PGM_RSRC2:TRAP_HANDLER: 0
; COMPUTE_PGM_RSRC2:TGID_X_EN: 1
; COMPUTE_PGM_RSRC2:TGID_Y_EN: 0
; COMPUTE_PGM_RSRC2:TGID_Z_EN: 0
; COMPUTE_PGM_RSRC2:TIDIG_COMP_CNT: 0
; COMPUTE_PGM_RSRC3_GFX90A:ACCUM_OFFSET: 0
; COMPUTE_PGM_RSRC3_GFX90A:TG_SPLIT: 0
	.section	.text._ZN7rocprim17ROCPRIM_400000_NS6detail17trampoline_kernelINS0_14default_configENS1_25transform_config_selectorIfLb0EEEZNS1_14transform_implILb0ES3_S5_PfN6thrust23THRUST_200600_302600_NS6detail15normal_iteratorINS9_10device_ptrIfEEEENS0_8identityIfEEEE10hipError_tT2_T3_mT4_P12ihipStream_tbEUlT_E_NS1_11comp_targetILNS1_3genE3ELNS1_11target_archE908ELNS1_3gpuE7ELNS1_3repE0EEENS1_30default_config_static_selectorELNS0_4arch9wavefront6targetE1EEEvT1_,"axG",@progbits,_ZN7rocprim17ROCPRIM_400000_NS6detail17trampoline_kernelINS0_14default_configENS1_25transform_config_selectorIfLb0EEEZNS1_14transform_implILb0ES3_S5_PfN6thrust23THRUST_200600_302600_NS6detail15normal_iteratorINS9_10device_ptrIfEEEENS0_8identityIfEEEE10hipError_tT2_T3_mT4_P12ihipStream_tbEUlT_E_NS1_11comp_targetILNS1_3genE3ELNS1_11target_archE908ELNS1_3gpuE7ELNS1_3repE0EEENS1_30default_config_static_selectorELNS0_4arch9wavefront6targetE1EEEvT1_,comdat
	.protected	_ZN7rocprim17ROCPRIM_400000_NS6detail17trampoline_kernelINS0_14default_configENS1_25transform_config_selectorIfLb0EEEZNS1_14transform_implILb0ES3_S5_PfN6thrust23THRUST_200600_302600_NS6detail15normal_iteratorINS9_10device_ptrIfEEEENS0_8identityIfEEEE10hipError_tT2_T3_mT4_P12ihipStream_tbEUlT_E_NS1_11comp_targetILNS1_3genE3ELNS1_11target_archE908ELNS1_3gpuE7ELNS1_3repE0EEENS1_30default_config_static_selectorELNS0_4arch9wavefront6targetE1EEEvT1_ ; -- Begin function _ZN7rocprim17ROCPRIM_400000_NS6detail17trampoline_kernelINS0_14default_configENS1_25transform_config_selectorIfLb0EEEZNS1_14transform_implILb0ES3_S5_PfN6thrust23THRUST_200600_302600_NS6detail15normal_iteratorINS9_10device_ptrIfEEEENS0_8identityIfEEEE10hipError_tT2_T3_mT4_P12ihipStream_tbEUlT_E_NS1_11comp_targetILNS1_3genE3ELNS1_11target_archE908ELNS1_3gpuE7ELNS1_3repE0EEENS1_30default_config_static_selectorELNS0_4arch9wavefront6targetE1EEEvT1_
	.globl	_ZN7rocprim17ROCPRIM_400000_NS6detail17trampoline_kernelINS0_14default_configENS1_25transform_config_selectorIfLb0EEEZNS1_14transform_implILb0ES3_S5_PfN6thrust23THRUST_200600_302600_NS6detail15normal_iteratorINS9_10device_ptrIfEEEENS0_8identityIfEEEE10hipError_tT2_T3_mT4_P12ihipStream_tbEUlT_E_NS1_11comp_targetILNS1_3genE3ELNS1_11target_archE908ELNS1_3gpuE7ELNS1_3repE0EEENS1_30default_config_static_selectorELNS0_4arch9wavefront6targetE1EEEvT1_
	.p2align	8
	.type	_ZN7rocprim17ROCPRIM_400000_NS6detail17trampoline_kernelINS0_14default_configENS1_25transform_config_selectorIfLb0EEEZNS1_14transform_implILb0ES3_S5_PfN6thrust23THRUST_200600_302600_NS6detail15normal_iteratorINS9_10device_ptrIfEEEENS0_8identityIfEEEE10hipError_tT2_T3_mT4_P12ihipStream_tbEUlT_E_NS1_11comp_targetILNS1_3genE3ELNS1_11target_archE908ELNS1_3gpuE7ELNS1_3repE0EEENS1_30default_config_static_selectorELNS0_4arch9wavefront6targetE1EEEvT1_,@function
_ZN7rocprim17ROCPRIM_400000_NS6detail17trampoline_kernelINS0_14default_configENS1_25transform_config_selectorIfLb0EEEZNS1_14transform_implILb0ES3_S5_PfN6thrust23THRUST_200600_302600_NS6detail15normal_iteratorINS9_10device_ptrIfEEEENS0_8identityIfEEEE10hipError_tT2_T3_mT4_P12ihipStream_tbEUlT_E_NS1_11comp_targetILNS1_3genE3ELNS1_11target_archE908ELNS1_3gpuE7ELNS1_3repE0EEENS1_30default_config_static_selectorELNS0_4arch9wavefront6targetE1EEEvT1_: ; @_ZN7rocprim17ROCPRIM_400000_NS6detail17trampoline_kernelINS0_14default_configENS1_25transform_config_selectorIfLb0EEEZNS1_14transform_implILb0ES3_S5_PfN6thrust23THRUST_200600_302600_NS6detail15normal_iteratorINS9_10device_ptrIfEEEENS0_8identityIfEEEE10hipError_tT2_T3_mT4_P12ihipStream_tbEUlT_E_NS1_11comp_targetILNS1_3genE3ELNS1_11target_archE908ELNS1_3gpuE7ELNS1_3repE0EEENS1_30default_config_static_selectorELNS0_4arch9wavefront6targetE1EEEvT1_
; %bb.0:
	.section	.rodata,"a",@progbits
	.p2align	6, 0x0
	.amdhsa_kernel _ZN7rocprim17ROCPRIM_400000_NS6detail17trampoline_kernelINS0_14default_configENS1_25transform_config_selectorIfLb0EEEZNS1_14transform_implILb0ES3_S5_PfN6thrust23THRUST_200600_302600_NS6detail15normal_iteratorINS9_10device_ptrIfEEEENS0_8identityIfEEEE10hipError_tT2_T3_mT4_P12ihipStream_tbEUlT_E_NS1_11comp_targetILNS1_3genE3ELNS1_11target_archE908ELNS1_3gpuE7ELNS1_3repE0EEENS1_30default_config_static_selectorELNS0_4arch9wavefront6targetE1EEEvT1_
		.amdhsa_group_segment_fixed_size 0
		.amdhsa_private_segment_fixed_size 0
		.amdhsa_kernarg_size 40
		.amdhsa_user_sgpr_count 2
		.amdhsa_user_sgpr_dispatch_ptr 0
		.amdhsa_user_sgpr_queue_ptr 0
		.amdhsa_user_sgpr_kernarg_segment_ptr 1
		.amdhsa_user_sgpr_dispatch_id 0
		.amdhsa_user_sgpr_kernarg_preload_length 0
		.amdhsa_user_sgpr_kernarg_preload_offset 0
		.amdhsa_user_sgpr_private_segment_size 0
		.amdhsa_uses_dynamic_stack 0
		.amdhsa_enable_private_segment 0
		.amdhsa_system_sgpr_workgroup_id_x 1
		.amdhsa_system_sgpr_workgroup_id_y 0
		.amdhsa_system_sgpr_workgroup_id_z 0
		.amdhsa_system_sgpr_workgroup_info 0
		.amdhsa_system_vgpr_workitem_id 0
		.amdhsa_next_free_vgpr 1
		.amdhsa_next_free_sgpr 0
		.amdhsa_accum_offset 4
		.amdhsa_reserve_vcc 0
		.amdhsa_float_round_mode_32 0
		.amdhsa_float_round_mode_16_64 0
		.amdhsa_float_denorm_mode_32 3
		.amdhsa_float_denorm_mode_16_64 3
		.amdhsa_dx10_clamp 1
		.amdhsa_ieee_mode 1
		.amdhsa_fp16_overflow 0
		.amdhsa_tg_split 0
		.amdhsa_exception_fp_ieee_invalid_op 0
		.amdhsa_exception_fp_denorm_src 0
		.amdhsa_exception_fp_ieee_div_zero 0
		.amdhsa_exception_fp_ieee_overflow 0
		.amdhsa_exception_fp_ieee_underflow 0
		.amdhsa_exception_fp_ieee_inexact 0
		.amdhsa_exception_int_div_zero 0
	.end_amdhsa_kernel
	.section	.text._ZN7rocprim17ROCPRIM_400000_NS6detail17trampoline_kernelINS0_14default_configENS1_25transform_config_selectorIfLb0EEEZNS1_14transform_implILb0ES3_S5_PfN6thrust23THRUST_200600_302600_NS6detail15normal_iteratorINS9_10device_ptrIfEEEENS0_8identityIfEEEE10hipError_tT2_T3_mT4_P12ihipStream_tbEUlT_E_NS1_11comp_targetILNS1_3genE3ELNS1_11target_archE908ELNS1_3gpuE7ELNS1_3repE0EEENS1_30default_config_static_selectorELNS0_4arch9wavefront6targetE1EEEvT1_,"axG",@progbits,_ZN7rocprim17ROCPRIM_400000_NS6detail17trampoline_kernelINS0_14default_configENS1_25transform_config_selectorIfLb0EEEZNS1_14transform_implILb0ES3_S5_PfN6thrust23THRUST_200600_302600_NS6detail15normal_iteratorINS9_10device_ptrIfEEEENS0_8identityIfEEEE10hipError_tT2_T3_mT4_P12ihipStream_tbEUlT_E_NS1_11comp_targetILNS1_3genE3ELNS1_11target_archE908ELNS1_3gpuE7ELNS1_3repE0EEENS1_30default_config_static_selectorELNS0_4arch9wavefront6targetE1EEEvT1_,comdat
.Lfunc_end272:
	.size	_ZN7rocprim17ROCPRIM_400000_NS6detail17trampoline_kernelINS0_14default_configENS1_25transform_config_selectorIfLb0EEEZNS1_14transform_implILb0ES3_S5_PfN6thrust23THRUST_200600_302600_NS6detail15normal_iteratorINS9_10device_ptrIfEEEENS0_8identityIfEEEE10hipError_tT2_T3_mT4_P12ihipStream_tbEUlT_E_NS1_11comp_targetILNS1_3genE3ELNS1_11target_archE908ELNS1_3gpuE7ELNS1_3repE0EEENS1_30default_config_static_selectorELNS0_4arch9wavefront6targetE1EEEvT1_, .Lfunc_end272-_ZN7rocprim17ROCPRIM_400000_NS6detail17trampoline_kernelINS0_14default_configENS1_25transform_config_selectorIfLb0EEEZNS1_14transform_implILb0ES3_S5_PfN6thrust23THRUST_200600_302600_NS6detail15normal_iteratorINS9_10device_ptrIfEEEENS0_8identityIfEEEE10hipError_tT2_T3_mT4_P12ihipStream_tbEUlT_E_NS1_11comp_targetILNS1_3genE3ELNS1_11target_archE908ELNS1_3gpuE7ELNS1_3repE0EEENS1_30default_config_static_selectorELNS0_4arch9wavefront6targetE1EEEvT1_
                                        ; -- End function
	.set _ZN7rocprim17ROCPRIM_400000_NS6detail17trampoline_kernelINS0_14default_configENS1_25transform_config_selectorIfLb0EEEZNS1_14transform_implILb0ES3_S5_PfN6thrust23THRUST_200600_302600_NS6detail15normal_iteratorINS9_10device_ptrIfEEEENS0_8identityIfEEEE10hipError_tT2_T3_mT4_P12ihipStream_tbEUlT_E_NS1_11comp_targetILNS1_3genE3ELNS1_11target_archE908ELNS1_3gpuE7ELNS1_3repE0EEENS1_30default_config_static_selectorELNS0_4arch9wavefront6targetE1EEEvT1_.num_vgpr, 0
	.set _ZN7rocprim17ROCPRIM_400000_NS6detail17trampoline_kernelINS0_14default_configENS1_25transform_config_selectorIfLb0EEEZNS1_14transform_implILb0ES3_S5_PfN6thrust23THRUST_200600_302600_NS6detail15normal_iteratorINS9_10device_ptrIfEEEENS0_8identityIfEEEE10hipError_tT2_T3_mT4_P12ihipStream_tbEUlT_E_NS1_11comp_targetILNS1_3genE3ELNS1_11target_archE908ELNS1_3gpuE7ELNS1_3repE0EEENS1_30default_config_static_selectorELNS0_4arch9wavefront6targetE1EEEvT1_.num_agpr, 0
	.set _ZN7rocprim17ROCPRIM_400000_NS6detail17trampoline_kernelINS0_14default_configENS1_25transform_config_selectorIfLb0EEEZNS1_14transform_implILb0ES3_S5_PfN6thrust23THRUST_200600_302600_NS6detail15normal_iteratorINS9_10device_ptrIfEEEENS0_8identityIfEEEE10hipError_tT2_T3_mT4_P12ihipStream_tbEUlT_E_NS1_11comp_targetILNS1_3genE3ELNS1_11target_archE908ELNS1_3gpuE7ELNS1_3repE0EEENS1_30default_config_static_selectorELNS0_4arch9wavefront6targetE1EEEvT1_.numbered_sgpr, 0
	.set _ZN7rocprim17ROCPRIM_400000_NS6detail17trampoline_kernelINS0_14default_configENS1_25transform_config_selectorIfLb0EEEZNS1_14transform_implILb0ES3_S5_PfN6thrust23THRUST_200600_302600_NS6detail15normal_iteratorINS9_10device_ptrIfEEEENS0_8identityIfEEEE10hipError_tT2_T3_mT4_P12ihipStream_tbEUlT_E_NS1_11comp_targetILNS1_3genE3ELNS1_11target_archE908ELNS1_3gpuE7ELNS1_3repE0EEENS1_30default_config_static_selectorELNS0_4arch9wavefront6targetE1EEEvT1_.num_named_barrier, 0
	.set _ZN7rocprim17ROCPRIM_400000_NS6detail17trampoline_kernelINS0_14default_configENS1_25transform_config_selectorIfLb0EEEZNS1_14transform_implILb0ES3_S5_PfN6thrust23THRUST_200600_302600_NS6detail15normal_iteratorINS9_10device_ptrIfEEEENS0_8identityIfEEEE10hipError_tT2_T3_mT4_P12ihipStream_tbEUlT_E_NS1_11comp_targetILNS1_3genE3ELNS1_11target_archE908ELNS1_3gpuE7ELNS1_3repE0EEENS1_30default_config_static_selectorELNS0_4arch9wavefront6targetE1EEEvT1_.private_seg_size, 0
	.set _ZN7rocprim17ROCPRIM_400000_NS6detail17trampoline_kernelINS0_14default_configENS1_25transform_config_selectorIfLb0EEEZNS1_14transform_implILb0ES3_S5_PfN6thrust23THRUST_200600_302600_NS6detail15normal_iteratorINS9_10device_ptrIfEEEENS0_8identityIfEEEE10hipError_tT2_T3_mT4_P12ihipStream_tbEUlT_E_NS1_11comp_targetILNS1_3genE3ELNS1_11target_archE908ELNS1_3gpuE7ELNS1_3repE0EEENS1_30default_config_static_selectorELNS0_4arch9wavefront6targetE1EEEvT1_.uses_vcc, 0
	.set _ZN7rocprim17ROCPRIM_400000_NS6detail17trampoline_kernelINS0_14default_configENS1_25transform_config_selectorIfLb0EEEZNS1_14transform_implILb0ES3_S5_PfN6thrust23THRUST_200600_302600_NS6detail15normal_iteratorINS9_10device_ptrIfEEEENS0_8identityIfEEEE10hipError_tT2_T3_mT4_P12ihipStream_tbEUlT_E_NS1_11comp_targetILNS1_3genE3ELNS1_11target_archE908ELNS1_3gpuE7ELNS1_3repE0EEENS1_30default_config_static_selectorELNS0_4arch9wavefront6targetE1EEEvT1_.uses_flat_scratch, 0
	.set _ZN7rocprim17ROCPRIM_400000_NS6detail17trampoline_kernelINS0_14default_configENS1_25transform_config_selectorIfLb0EEEZNS1_14transform_implILb0ES3_S5_PfN6thrust23THRUST_200600_302600_NS6detail15normal_iteratorINS9_10device_ptrIfEEEENS0_8identityIfEEEE10hipError_tT2_T3_mT4_P12ihipStream_tbEUlT_E_NS1_11comp_targetILNS1_3genE3ELNS1_11target_archE908ELNS1_3gpuE7ELNS1_3repE0EEENS1_30default_config_static_selectorELNS0_4arch9wavefront6targetE1EEEvT1_.has_dyn_sized_stack, 0
	.set _ZN7rocprim17ROCPRIM_400000_NS6detail17trampoline_kernelINS0_14default_configENS1_25transform_config_selectorIfLb0EEEZNS1_14transform_implILb0ES3_S5_PfN6thrust23THRUST_200600_302600_NS6detail15normal_iteratorINS9_10device_ptrIfEEEENS0_8identityIfEEEE10hipError_tT2_T3_mT4_P12ihipStream_tbEUlT_E_NS1_11comp_targetILNS1_3genE3ELNS1_11target_archE908ELNS1_3gpuE7ELNS1_3repE0EEENS1_30default_config_static_selectorELNS0_4arch9wavefront6targetE1EEEvT1_.has_recursion, 0
	.set _ZN7rocprim17ROCPRIM_400000_NS6detail17trampoline_kernelINS0_14default_configENS1_25transform_config_selectorIfLb0EEEZNS1_14transform_implILb0ES3_S5_PfN6thrust23THRUST_200600_302600_NS6detail15normal_iteratorINS9_10device_ptrIfEEEENS0_8identityIfEEEE10hipError_tT2_T3_mT4_P12ihipStream_tbEUlT_E_NS1_11comp_targetILNS1_3genE3ELNS1_11target_archE908ELNS1_3gpuE7ELNS1_3repE0EEENS1_30default_config_static_selectorELNS0_4arch9wavefront6targetE1EEEvT1_.has_indirect_call, 0
	.section	.AMDGPU.csdata,"",@progbits
; Kernel info:
; codeLenInByte = 0
; TotalNumSgprs: 6
; NumVgprs: 0
; NumAgprs: 0
; TotalNumVgprs: 0
; ScratchSize: 0
; MemoryBound: 0
; FloatMode: 240
; IeeeMode: 1
; LDSByteSize: 0 bytes/workgroup (compile time only)
; SGPRBlocks: 0
; VGPRBlocks: 0
; NumSGPRsForWavesPerEU: 6
; NumVGPRsForWavesPerEU: 1
; AccumOffset: 4
; Occupancy: 8
; WaveLimiterHint : 0
; COMPUTE_PGM_RSRC2:SCRATCH_EN: 0
; COMPUTE_PGM_RSRC2:USER_SGPR: 2
; COMPUTE_PGM_RSRC2:TRAP_HANDLER: 0
; COMPUTE_PGM_RSRC2:TGID_X_EN: 1
; COMPUTE_PGM_RSRC2:TGID_Y_EN: 0
; COMPUTE_PGM_RSRC2:TGID_Z_EN: 0
; COMPUTE_PGM_RSRC2:TIDIG_COMP_CNT: 0
; COMPUTE_PGM_RSRC3_GFX90A:ACCUM_OFFSET: 0
; COMPUTE_PGM_RSRC3_GFX90A:TG_SPLIT: 0
	.section	.text._ZN7rocprim17ROCPRIM_400000_NS6detail17trampoline_kernelINS0_14default_configENS1_25transform_config_selectorIfLb0EEEZNS1_14transform_implILb0ES3_S5_PfN6thrust23THRUST_200600_302600_NS6detail15normal_iteratorINS9_10device_ptrIfEEEENS0_8identityIfEEEE10hipError_tT2_T3_mT4_P12ihipStream_tbEUlT_E_NS1_11comp_targetILNS1_3genE2ELNS1_11target_archE906ELNS1_3gpuE6ELNS1_3repE0EEENS1_30default_config_static_selectorELNS0_4arch9wavefront6targetE1EEEvT1_,"axG",@progbits,_ZN7rocprim17ROCPRIM_400000_NS6detail17trampoline_kernelINS0_14default_configENS1_25transform_config_selectorIfLb0EEEZNS1_14transform_implILb0ES3_S5_PfN6thrust23THRUST_200600_302600_NS6detail15normal_iteratorINS9_10device_ptrIfEEEENS0_8identityIfEEEE10hipError_tT2_T3_mT4_P12ihipStream_tbEUlT_E_NS1_11comp_targetILNS1_3genE2ELNS1_11target_archE906ELNS1_3gpuE6ELNS1_3repE0EEENS1_30default_config_static_selectorELNS0_4arch9wavefront6targetE1EEEvT1_,comdat
	.protected	_ZN7rocprim17ROCPRIM_400000_NS6detail17trampoline_kernelINS0_14default_configENS1_25transform_config_selectorIfLb0EEEZNS1_14transform_implILb0ES3_S5_PfN6thrust23THRUST_200600_302600_NS6detail15normal_iteratorINS9_10device_ptrIfEEEENS0_8identityIfEEEE10hipError_tT2_T3_mT4_P12ihipStream_tbEUlT_E_NS1_11comp_targetILNS1_3genE2ELNS1_11target_archE906ELNS1_3gpuE6ELNS1_3repE0EEENS1_30default_config_static_selectorELNS0_4arch9wavefront6targetE1EEEvT1_ ; -- Begin function _ZN7rocprim17ROCPRIM_400000_NS6detail17trampoline_kernelINS0_14default_configENS1_25transform_config_selectorIfLb0EEEZNS1_14transform_implILb0ES3_S5_PfN6thrust23THRUST_200600_302600_NS6detail15normal_iteratorINS9_10device_ptrIfEEEENS0_8identityIfEEEE10hipError_tT2_T3_mT4_P12ihipStream_tbEUlT_E_NS1_11comp_targetILNS1_3genE2ELNS1_11target_archE906ELNS1_3gpuE6ELNS1_3repE0EEENS1_30default_config_static_selectorELNS0_4arch9wavefront6targetE1EEEvT1_
	.globl	_ZN7rocprim17ROCPRIM_400000_NS6detail17trampoline_kernelINS0_14default_configENS1_25transform_config_selectorIfLb0EEEZNS1_14transform_implILb0ES3_S5_PfN6thrust23THRUST_200600_302600_NS6detail15normal_iteratorINS9_10device_ptrIfEEEENS0_8identityIfEEEE10hipError_tT2_T3_mT4_P12ihipStream_tbEUlT_E_NS1_11comp_targetILNS1_3genE2ELNS1_11target_archE906ELNS1_3gpuE6ELNS1_3repE0EEENS1_30default_config_static_selectorELNS0_4arch9wavefront6targetE1EEEvT1_
	.p2align	8
	.type	_ZN7rocprim17ROCPRIM_400000_NS6detail17trampoline_kernelINS0_14default_configENS1_25transform_config_selectorIfLb0EEEZNS1_14transform_implILb0ES3_S5_PfN6thrust23THRUST_200600_302600_NS6detail15normal_iteratorINS9_10device_ptrIfEEEENS0_8identityIfEEEE10hipError_tT2_T3_mT4_P12ihipStream_tbEUlT_E_NS1_11comp_targetILNS1_3genE2ELNS1_11target_archE906ELNS1_3gpuE6ELNS1_3repE0EEENS1_30default_config_static_selectorELNS0_4arch9wavefront6targetE1EEEvT1_,@function
_ZN7rocprim17ROCPRIM_400000_NS6detail17trampoline_kernelINS0_14default_configENS1_25transform_config_selectorIfLb0EEEZNS1_14transform_implILb0ES3_S5_PfN6thrust23THRUST_200600_302600_NS6detail15normal_iteratorINS9_10device_ptrIfEEEENS0_8identityIfEEEE10hipError_tT2_T3_mT4_P12ihipStream_tbEUlT_E_NS1_11comp_targetILNS1_3genE2ELNS1_11target_archE906ELNS1_3gpuE6ELNS1_3repE0EEENS1_30default_config_static_selectorELNS0_4arch9wavefront6targetE1EEEvT1_: ; @_ZN7rocprim17ROCPRIM_400000_NS6detail17trampoline_kernelINS0_14default_configENS1_25transform_config_selectorIfLb0EEEZNS1_14transform_implILb0ES3_S5_PfN6thrust23THRUST_200600_302600_NS6detail15normal_iteratorINS9_10device_ptrIfEEEENS0_8identityIfEEEE10hipError_tT2_T3_mT4_P12ihipStream_tbEUlT_E_NS1_11comp_targetILNS1_3genE2ELNS1_11target_archE906ELNS1_3gpuE6ELNS1_3repE0EEENS1_30default_config_static_selectorELNS0_4arch9wavefront6targetE1EEEvT1_
; %bb.0:
	.section	.rodata,"a",@progbits
	.p2align	6, 0x0
	.amdhsa_kernel _ZN7rocprim17ROCPRIM_400000_NS6detail17trampoline_kernelINS0_14default_configENS1_25transform_config_selectorIfLb0EEEZNS1_14transform_implILb0ES3_S5_PfN6thrust23THRUST_200600_302600_NS6detail15normal_iteratorINS9_10device_ptrIfEEEENS0_8identityIfEEEE10hipError_tT2_T3_mT4_P12ihipStream_tbEUlT_E_NS1_11comp_targetILNS1_3genE2ELNS1_11target_archE906ELNS1_3gpuE6ELNS1_3repE0EEENS1_30default_config_static_selectorELNS0_4arch9wavefront6targetE1EEEvT1_
		.amdhsa_group_segment_fixed_size 0
		.amdhsa_private_segment_fixed_size 0
		.amdhsa_kernarg_size 40
		.amdhsa_user_sgpr_count 2
		.amdhsa_user_sgpr_dispatch_ptr 0
		.amdhsa_user_sgpr_queue_ptr 0
		.amdhsa_user_sgpr_kernarg_segment_ptr 1
		.amdhsa_user_sgpr_dispatch_id 0
		.amdhsa_user_sgpr_kernarg_preload_length 0
		.amdhsa_user_sgpr_kernarg_preload_offset 0
		.amdhsa_user_sgpr_private_segment_size 0
		.amdhsa_uses_dynamic_stack 0
		.amdhsa_enable_private_segment 0
		.amdhsa_system_sgpr_workgroup_id_x 1
		.amdhsa_system_sgpr_workgroup_id_y 0
		.amdhsa_system_sgpr_workgroup_id_z 0
		.amdhsa_system_sgpr_workgroup_info 0
		.amdhsa_system_vgpr_workitem_id 0
		.amdhsa_next_free_vgpr 1
		.amdhsa_next_free_sgpr 0
		.amdhsa_accum_offset 4
		.amdhsa_reserve_vcc 0
		.amdhsa_float_round_mode_32 0
		.amdhsa_float_round_mode_16_64 0
		.amdhsa_float_denorm_mode_32 3
		.amdhsa_float_denorm_mode_16_64 3
		.amdhsa_dx10_clamp 1
		.amdhsa_ieee_mode 1
		.amdhsa_fp16_overflow 0
		.amdhsa_tg_split 0
		.amdhsa_exception_fp_ieee_invalid_op 0
		.amdhsa_exception_fp_denorm_src 0
		.amdhsa_exception_fp_ieee_div_zero 0
		.amdhsa_exception_fp_ieee_overflow 0
		.amdhsa_exception_fp_ieee_underflow 0
		.amdhsa_exception_fp_ieee_inexact 0
		.amdhsa_exception_int_div_zero 0
	.end_amdhsa_kernel
	.section	.text._ZN7rocprim17ROCPRIM_400000_NS6detail17trampoline_kernelINS0_14default_configENS1_25transform_config_selectorIfLb0EEEZNS1_14transform_implILb0ES3_S5_PfN6thrust23THRUST_200600_302600_NS6detail15normal_iteratorINS9_10device_ptrIfEEEENS0_8identityIfEEEE10hipError_tT2_T3_mT4_P12ihipStream_tbEUlT_E_NS1_11comp_targetILNS1_3genE2ELNS1_11target_archE906ELNS1_3gpuE6ELNS1_3repE0EEENS1_30default_config_static_selectorELNS0_4arch9wavefront6targetE1EEEvT1_,"axG",@progbits,_ZN7rocprim17ROCPRIM_400000_NS6detail17trampoline_kernelINS0_14default_configENS1_25transform_config_selectorIfLb0EEEZNS1_14transform_implILb0ES3_S5_PfN6thrust23THRUST_200600_302600_NS6detail15normal_iteratorINS9_10device_ptrIfEEEENS0_8identityIfEEEE10hipError_tT2_T3_mT4_P12ihipStream_tbEUlT_E_NS1_11comp_targetILNS1_3genE2ELNS1_11target_archE906ELNS1_3gpuE6ELNS1_3repE0EEENS1_30default_config_static_selectorELNS0_4arch9wavefront6targetE1EEEvT1_,comdat
.Lfunc_end273:
	.size	_ZN7rocprim17ROCPRIM_400000_NS6detail17trampoline_kernelINS0_14default_configENS1_25transform_config_selectorIfLb0EEEZNS1_14transform_implILb0ES3_S5_PfN6thrust23THRUST_200600_302600_NS6detail15normal_iteratorINS9_10device_ptrIfEEEENS0_8identityIfEEEE10hipError_tT2_T3_mT4_P12ihipStream_tbEUlT_E_NS1_11comp_targetILNS1_3genE2ELNS1_11target_archE906ELNS1_3gpuE6ELNS1_3repE0EEENS1_30default_config_static_selectorELNS0_4arch9wavefront6targetE1EEEvT1_, .Lfunc_end273-_ZN7rocprim17ROCPRIM_400000_NS6detail17trampoline_kernelINS0_14default_configENS1_25transform_config_selectorIfLb0EEEZNS1_14transform_implILb0ES3_S5_PfN6thrust23THRUST_200600_302600_NS6detail15normal_iteratorINS9_10device_ptrIfEEEENS0_8identityIfEEEE10hipError_tT2_T3_mT4_P12ihipStream_tbEUlT_E_NS1_11comp_targetILNS1_3genE2ELNS1_11target_archE906ELNS1_3gpuE6ELNS1_3repE0EEENS1_30default_config_static_selectorELNS0_4arch9wavefront6targetE1EEEvT1_
                                        ; -- End function
	.set _ZN7rocprim17ROCPRIM_400000_NS6detail17trampoline_kernelINS0_14default_configENS1_25transform_config_selectorIfLb0EEEZNS1_14transform_implILb0ES3_S5_PfN6thrust23THRUST_200600_302600_NS6detail15normal_iteratorINS9_10device_ptrIfEEEENS0_8identityIfEEEE10hipError_tT2_T3_mT4_P12ihipStream_tbEUlT_E_NS1_11comp_targetILNS1_3genE2ELNS1_11target_archE906ELNS1_3gpuE6ELNS1_3repE0EEENS1_30default_config_static_selectorELNS0_4arch9wavefront6targetE1EEEvT1_.num_vgpr, 0
	.set _ZN7rocprim17ROCPRIM_400000_NS6detail17trampoline_kernelINS0_14default_configENS1_25transform_config_selectorIfLb0EEEZNS1_14transform_implILb0ES3_S5_PfN6thrust23THRUST_200600_302600_NS6detail15normal_iteratorINS9_10device_ptrIfEEEENS0_8identityIfEEEE10hipError_tT2_T3_mT4_P12ihipStream_tbEUlT_E_NS1_11comp_targetILNS1_3genE2ELNS1_11target_archE906ELNS1_3gpuE6ELNS1_3repE0EEENS1_30default_config_static_selectorELNS0_4arch9wavefront6targetE1EEEvT1_.num_agpr, 0
	.set _ZN7rocprim17ROCPRIM_400000_NS6detail17trampoline_kernelINS0_14default_configENS1_25transform_config_selectorIfLb0EEEZNS1_14transform_implILb0ES3_S5_PfN6thrust23THRUST_200600_302600_NS6detail15normal_iteratorINS9_10device_ptrIfEEEENS0_8identityIfEEEE10hipError_tT2_T3_mT4_P12ihipStream_tbEUlT_E_NS1_11comp_targetILNS1_3genE2ELNS1_11target_archE906ELNS1_3gpuE6ELNS1_3repE0EEENS1_30default_config_static_selectorELNS0_4arch9wavefront6targetE1EEEvT1_.numbered_sgpr, 0
	.set _ZN7rocprim17ROCPRIM_400000_NS6detail17trampoline_kernelINS0_14default_configENS1_25transform_config_selectorIfLb0EEEZNS1_14transform_implILb0ES3_S5_PfN6thrust23THRUST_200600_302600_NS6detail15normal_iteratorINS9_10device_ptrIfEEEENS0_8identityIfEEEE10hipError_tT2_T3_mT4_P12ihipStream_tbEUlT_E_NS1_11comp_targetILNS1_3genE2ELNS1_11target_archE906ELNS1_3gpuE6ELNS1_3repE0EEENS1_30default_config_static_selectorELNS0_4arch9wavefront6targetE1EEEvT1_.num_named_barrier, 0
	.set _ZN7rocprim17ROCPRIM_400000_NS6detail17trampoline_kernelINS0_14default_configENS1_25transform_config_selectorIfLb0EEEZNS1_14transform_implILb0ES3_S5_PfN6thrust23THRUST_200600_302600_NS6detail15normal_iteratorINS9_10device_ptrIfEEEENS0_8identityIfEEEE10hipError_tT2_T3_mT4_P12ihipStream_tbEUlT_E_NS1_11comp_targetILNS1_3genE2ELNS1_11target_archE906ELNS1_3gpuE6ELNS1_3repE0EEENS1_30default_config_static_selectorELNS0_4arch9wavefront6targetE1EEEvT1_.private_seg_size, 0
	.set _ZN7rocprim17ROCPRIM_400000_NS6detail17trampoline_kernelINS0_14default_configENS1_25transform_config_selectorIfLb0EEEZNS1_14transform_implILb0ES3_S5_PfN6thrust23THRUST_200600_302600_NS6detail15normal_iteratorINS9_10device_ptrIfEEEENS0_8identityIfEEEE10hipError_tT2_T3_mT4_P12ihipStream_tbEUlT_E_NS1_11comp_targetILNS1_3genE2ELNS1_11target_archE906ELNS1_3gpuE6ELNS1_3repE0EEENS1_30default_config_static_selectorELNS0_4arch9wavefront6targetE1EEEvT1_.uses_vcc, 0
	.set _ZN7rocprim17ROCPRIM_400000_NS6detail17trampoline_kernelINS0_14default_configENS1_25transform_config_selectorIfLb0EEEZNS1_14transform_implILb0ES3_S5_PfN6thrust23THRUST_200600_302600_NS6detail15normal_iteratorINS9_10device_ptrIfEEEENS0_8identityIfEEEE10hipError_tT2_T3_mT4_P12ihipStream_tbEUlT_E_NS1_11comp_targetILNS1_3genE2ELNS1_11target_archE906ELNS1_3gpuE6ELNS1_3repE0EEENS1_30default_config_static_selectorELNS0_4arch9wavefront6targetE1EEEvT1_.uses_flat_scratch, 0
	.set _ZN7rocprim17ROCPRIM_400000_NS6detail17trampoline_kernelINS0_14default_configENS1_25transform_config_selectorIfLb0EEEZNS1_14transform_implILb0ES3_S5_PfN6thrust23THRUST_200600_302600_NS6detail15normal_iteratorINS9_10device_ptrIfEEEENS0_8identityIfEEEE10hipError_tT2_T3_mT4_P12ihipStream_tbEUlT_E_NS1_11comp_targetILNS1_3genE2ELNS1_11target_archE906ELNS1_3gpuE6ELNS1_3repE0EEENS1_30default_config_static_selectorELNS0_4arch9wavefront6targetE1EEEvT1_.has_dyn_sized_stack, 0
	.set _ZN7rocprim17ROCPRIM_400000_NS6detail17trampoline_kernelINS0_14default_configENS1_25transform_config_selectorIfLb0EEEZNS1_14transform_implILb0ES3_S5_PfN6thrust23THRUST_200600_302600_NS6detail15normal_iteratorINS9_10device_ptrIfEEEENS0_8identityIfEEEE10hipError_tT2_T3_mT4_P12ihipStream_tbEUlT_E_NS1_11comp_targetILNS1_3genE2ELNS1_11target_archE906ELNS1_3gpuE6ELNS1_3repE0EEENS1_30default_config_static_selectorELNS0_4arch9wavefront6targetE1EEEvT1_.has_recursion, 0
	.set _ZN7rocprim17ROCPRIM_400000_NS6detail17trampoline_kernelINS0_14default_configENS1_25transform_config_selectorIfLb0EEEZNS1_14transform_implILb0ES3_S5_PfN6thrust23THRUST_200600_302600_NS6detail15normal_iteratorINS9_10device_ptrIfEEEENS0_8identityIfEEEE10hipError_tT2_T3_mT4_P12ihipStream_tbEUlT_E_NS1_11comp_targetILNS1_3genE2ELNS1_11target_archE906ELNS1_3gpuE6ELNS1_3repE0EEENS1_30default_config_static_selectorELNS0_4arch9wavefront6targetE1EEEvT1_.has_indirect_call, 0
	.section	.AMDGPU.csdata,"",@progbits
; Kernel info:
; codeLenInByte = 0
; TotalNumSgprs: 6
; NumVgprs: 0
; NumAgprs: 0
; TotalNumVgprs: 0
; ScratchSize: 0
; MemoryBound: 0
; FloatMode: 240
; IeeeMode: 1
; LDSByteSize: 0 bytes/workgroup (compile time only)
; SGPRBlocks: 0
; VGPRBlocks: 0
; NumSGPRsForWavesPerEU: 6
; NumVGPRsForWavesPerEU: 1
; AccumOffset: 4
; Occupancy: 8
; WaveLimiterHint : 0
; COMPUTE_PGM_RSRC2:SCRATCH_EN: 0
; COMPUTE_PGM_RSRC2:USER_SGPR: 2
; COMPUTE_PGM_RSRC2:TRAP_HANDLER: 0
; COMPUTE_PGM_RSRC2:TGID_X_EN: 1
; COMPUTE_PGM_RSRC2:TGID_Y_EN: 0
; COMPUTE_PGM_RSRC2:TGID_Z_EN: 0
; COMPUTE_PGM_RSRC2:TIDIG_COMP_CNT: 0
; COMPUTE_PGM_RSRC3_GFX90A:ACCUM_OFFSET: 0
; COMPUTE_PGM_RSRC3_GFX90A:TG_SPLIT: 0
	.section	.text._ZN7rocprim17ROCPRIM_400000_NS6detail17trampoline_kernelINS0_14default_configENS1_25transform_config_selectorIfLb0EEEZNS1_14transform_implILb0ES3_S5_PfN6thrust23THRUST_200600_302600_NS6detail15normal_iteratorINS9_10device_ptrIfEEEENS0_8identityIfEEEE10hipError_tT2_T3_mT4_P12ihipStream_tbEUlT_E_NS1_11comp_targetILNS1_3genE10ELNS1_11target_archE1201ELNS1_3gpuE5ELNS1_3repE0EEENS1_30default_config_static_selectorELNS0_4arch9wavefront6targetE1EEEvT1_,"axG",@progbits,_ZN7rocprim17ROCPRIM_400000_NS6detail17trampoline_kernelINS0_14default_configENS1_25transform_config_selectorIfLb0EEEZNS1_14transform_implILb0ES3_S5_PfN6thrust23THRUST_200600_302600_NS6detail15normal_iteratorINS9_10device_ptrIfEEEENS0_8identityIfEEEE10hipError_tT2_T3_mT4_P12ihipStream_tbEUlT_E_NS1_11comp_targetILNS1_3genE10ELNS1_11target_archE1201ELNS1_3gpuE5ELNS1_3repE0EEENS1_30default_config_static_selectorELNS0_4arch9wavefront6targetE1EEEvT1_,comdat
	.protected	_ZN7rocprim17ROCPRIM_400000_NS6detail17trampoline_kernelINS0_14default_configENS1_25transform_config_selectorIfLb0EEEZNS1_14transform_implILb0ES3_S5_PfN6thrust23THRUST_200600_302600_NS6detail15normal_iteratorINS9_10device_ptrIfEEEENS0_8identityIfEEEE10hipError_tT2_T3_mT4_P12ihipStream_tbEUlT_E_NS1_11comp_targetILNS1_3genE10ELNS1_11target_archE1201ELNS1_3gpuE5ELNS1_3repE0EEENS1_30default_config_static_selectorELNS0_4arch9wavefront6targetE1EEEvT1_ ; -- Begin function _ZN7rocprim17ROCPRIM_400000_NS6detail17trampoline_kernelINS0_14default_configENS1_25transform_config_selectorIfLb0EEEZNS1_14transform_implILb0ES3_S5_PfN6thrust23THRUST_200600_302600_NS6detail15normal_iteratorINS9_10device_ptrIfEEEENS0_8identityIfEEEE10hipError_tT2_T3_mT4_P12ihipStream_tbEUlT_E_NS1_11comp_targetILNS1_3genE10ELNS1_11target_archE1201ELNS1_3gpuE5ELNS1_3repE0EEENS1_30default_config_static_selectorELNS0_4arch9wavefront6targetE1EEEvT1_
	.globl	_ZN7rocprim17ROCPRIM_400000_NS6detail17trampoline_kernelINS0_14default_configENS1_25transform_config_selectorIfLb0EEEZNS1_14transform_implILb0ES3_S5_PfN6thrust23THRUST_200600_302600_NS6detail15normal_iteratorINS9_10device_ptrIfEEEENS0_8identityIfEEEE10hipError_tT2_T3_mT4_P12ihipStream_tbEUlT_E_NS1_11comp_targetILNS1_3genE10ELNS1_11target_archE1201ELNS1_3gpuE5ELNS1_3repE0EEENS1_30default_config_static_selectorELNS0_4arch9wavefront6targetE1EEEvT1_
	.p2align	8
	.type	_ZN7rocprim17ROCPRIM_400000_NS6detail17trampoline_kernelINS0_14default_configENS1_25transform_config_selectorIfLb0EEEZNS1_14transform_implILb0ES3_S5_PfN6thrust23THRUST_200600_302600_NS6detail15normal_iteratorINS9_10device_ptrIfEEEENS0_8identityIfEEEE10hipError_tT2_T3_mT4_P12ihipStream_tbEUlT_E_NS1_11comp_targetILNS1_3genE10ELNS1_11target_archE1201ELNS1_3gpuE5ELNS1_3repE0EEENS1_30default_config_static_selectorELNS0_4arch9wavefront6targetE1EEEvT1_,@function
_ZN7rocprim17ROCPRIM_400000_NS6detail17trampoline_kernelINS0_14default_configENS1_25transform_config_selectorIfLb0EEEZNS1_14transform_implILb0ES3_S5_PfN6thrust23THRUST_200600_302600_NS6detail15normal_iteratorINS9_10device_ptrIfEEEENS0_8identityIfEEEE10hipError_tT2_T3_mT4_P12ihipStream_tbEUlT_E_NS1_11comp_targetILNS1_3genE10ELNS1_11target_archE1201ELNS1_3gpuE5ELNS1_3repE0EEENS1_30default_config_static_selectorELNS0_4arch9wavefront6targetE1EEEvT1_: ; @_ZN7rocprim17ROCPRIM_400000_NS6detail17trampoline_kernelINS0_14default_configENS1_25transform_config_selectorIfLb0EEEZNS1_14transform_implILb0ES3_S5_PfN6thrust23THRUST_200600_302600_NS6detail15normal_iteratorINS9_10device_ptrIfEEEENS0_8identityIfEEEE10hipError_tT2_T3_mT4_P12ihipStream_tbEUlT_E_NS1_11comp_targetILNS1_3genE10ELNS1_11target_archE1201ELNS1_3gpuE5ELNS1_3repE0EEENS1_30default_config_static_selectorELNS0_4arch9wavefront6targetE1EEEvT1_
; %bb.0:
	.section	.rodata,"a",@progbits
	.p2align	6, 0x0
	.amdhsa_kernel _ZN7rocprim17ROCPRIM_400000_NS6detail17trampoline_kernelINS0_14default_configENS1_25transform_config_selectorIfLb0EEEZNS1_14transform_implILb0ES3_S5_PfN6thrust23THRUST_200600_302600_NS6detail15normal_iteratorINS9_10device_ptrIfEEEENS0_8identityIfEEEE10hipError_tT2_T3_mT4_P12ihipStream_tbEUlT_E_NS1_11comp_targetILNS1_3genE10ELNS1_11target_archE1201ELNS1_3gpuE5ELNS1_3repE0EEENS1_30default_config_static_selectorELNS0_4arch9wavefront6targetE1EEEvT1_
		.amdhsa_group_segment_fixed_size 0
		.amdhsa_private_segment_fixed_size 0
		.amdhsa_kernarg_size 40
		.amdhsa_user_sgpr_count 2
		.amdhsa_user_sgpr_dispatch_ptr 0
		.amdhsa_user_sgpr_queue_ptr 0
		.amdhsa_user_sgpr_kernarg_segment_ptr 1
		.amdhsa_user_sgpr_dispatch_id 0
		.amdhsa_user_sgpr_kernarg_preload_length 0
		.amdhsa_user_sgpr_kernarg_preload_offset 0
		.amdhsa_user_sgpr_private_segment_size 0
		.amdhsa_uses_dynamic_stack 0
		.amdhsa_enable_private_segment 0
		.amdhsa_system_sgpr_workgroup_id_x 1
		.amdhsa_system_sgpr_workgroup_id_y 0
		.amdhsa_system_sgpr_workgroup_id_z 0
		.amdhsa_system_sgpr_workgroup_info 0
		.amdhsa_system_vgpr_workitem_id 0
		.amdhsa_next_free_vgpr 1
		.amdhsa_next_free_sgpr 0
		.amdhsa_accum_offset 4
		.amdhsa_reserve_vcc 0
		.amdhsa_float_round_mode_32 0
		.amdhsa_float_round_mode_16_64 0
		.amdhsa_float_denorm_mode_32 3
		.amdhsa_float_denorm_mode_16_64 3
		.amdhsa_dx10_clamp 1
		.amdhsa_ieee_mode 1
		.amdhsa_fp16_overflow 0
		.amdhsa_tg_split 0
		.amdhsa_exception_fp_ieee_invalid_op 0
		.amdhsa_exception_fp_denorm_src 0
		.amdhsa_exception_fp_ieee_div_zero 0
		.amdhsa_exception_fp_ieee_overflow 0
		.amdhsa_exception_fp_ieee_underflow 0
		.amdhsa_exception_fp_ieee_inexact 0
		.amdhsa_exception_int_div_zero 0
	.end_amdhsa_kernel
	.section	.text._ZN7rocprim17ROCPRIM_400000_NS6detail17trampoline_kernelINS0_14default_configENS1_25transform_config_selectorIfLb0EEEZNS1_14transform_implILb0ES3_S5_PfN6thrust23THRUST_200600_302600_NS6detail15normal_iteratorINS9_10device_ptrIfEEEENS0_8identityIfEEEE10hipError_tT2_T3_mT4_P12ihipStream_tbEUlT_E_NS1_11comp_targetILNS1_3genE10ELNS1_11target_archE1201ELNS1_3gpuE5ELNS1_3repE0EEENS1_30default_config_static_selectorELNS0_4arch9wavefront6targetE1EEEvT1_,"axG",@progbits,_ZN7rocprim17ROCPRIM_400000_NS6detail17trampoline_kernelINS0_14default_configENS1_25transform_config_selectorIfLb0EEEZNS1_14transform_implILb0ES3_S5_PfN6thrust23THRUST_200600_302600_NS6detail15normal_iteratorINS9_10device_ptrIfEEEENS0_8identityIfEEEE10hipError_tT2_T3_mT4_P12ihipStream_tbEUlT_E_NS1_11comp_targetILNS1_3genE10ELNS1_11target_archE1201ELNS1_3gpuE5ELNS1_3repE0EEENS1_30default_config_static_selectorELNS0_4arch9wavefront6targetE1EEEvT1_,comdat
.Lfunc_end274:
	.size	_ZN7rocprim17ROCPRIM_400000_NS6detail17trampoline_kernelINS0_14default_configENS1_25transform_config_selectorIfLb0EEEZNS1_14transform_implILb0ES3_S5_PfN6thrust23THRUST_200600_302600_NS6detail15normal_iteratorINS9_10device_ptrIfEEEENS0_8identityIfEEEE10hipError_tT2_T3_mT4_P12ihipStream_tbEUlT_E_NS1_11comp_targetILNS1_3genE10ELNS1_11target_archE1201ELNS1_3gpuE5ELNS1_3repE0EEENS1_30default_config_static_selectorELNS0_4arch9wavefront6targetE1EEEvT1_, .Lfunc_end274-_ZN7rocprim17ROCPRIM_400000_NS6detail17trampoline_kernelINS0_14default_configENS1_25transform_config_selectorIfLb0EEEZNS1_14transform_implILb0ES3_S5_PfN6thrust23THRUST_200600_302600_NS6detail15normal_iteratorINS9_10device_ptrIfEEEENS0_8identityIfEEEE10hipError_tT2_T3_mT4_P12ihipStream_tbEUlT_E_NS1_11comp_targetILNS1_3genE10ELNS1_11target_archE1201ELNS1_3gpuE5ELNS1_3repE0EEENS1_30default_config_static_selectorELNS0_4arch9wavefront6targetE1EEEvT1_
                                        ; -- End function
	.set _ZN7rocprim17ROCPRIM_400000_NS6detail17trampoline_kernelINS0_14default_configENS1_25transform_config_selectorIfLb0EEEZNS1_14transform_implILb0ES3_S5_PfN6thrust23THRUST_200600_302600_NS6detail15normal_iteratorINS9_10device_ptrIfEEEENS0_8identityIfEEEE10hipError_tT2_T3_mT4_P12ihipStream_tbEUlT_E_NS1_11comp_targetILNS1_3genE10ELNS1_11target_archE1201ELNS1_3gpuE5ELNS1_3repE0EEENS1_30default_config_static_selectorELNS0_4arch9wavefront6targetE1EEEvT1_.num_vgpr, 0
	.set _ZN7rocprim17ROCPRIM_400000_NS6detail17trampoline_kernelINS0_14default_configENS1_25transform_config_selectorIfLb0EEEZNS1_14transform_implILb0ES3_S5_PfN6thrust23THRUST_200600_302600_NS6detail15normal_iteratorINS9_10device_ptrIfEEEENS0_8identityIfEEEE10hipError_tT2_T3_mT4_P12ihipStream_tbEUlT_E_NS1_11comp_targetILNS1_3genE10ELNS1_11target_archE1201ELNS1_3gpuE5ELNS1_3repE0EEENS1_30default_config_static_selectorELNS0_4arch9wavefront6targetE1EEEvT1_.num_agpr, 0
	.set _ZN7rocprim17ROCPRIM_400000_NS6detail17trampoline_kernelINS0_14default_configENS1_25transform_config_selectorIfLb0EEEZNS1_14transform_implILb0ES3_S5_PfN6thrust23THRUST_200600_302600_NS6detail15normal_iteratorINS9_10device_ptrIfEEEENS0_8identityIfEEEE10hipError_tT2_T3_mT4_P12ihipStream_tbEUlT_E_NS1_11comp_targetILNS1_3genE10ELNS1_11target_archE1201ELNS1_3gpuE5ELNS1_3repE0EEENS1_30default_config_static_selectorELNS0_4arch9wavefront6targetE1EEEvT1_.numbered_sgpr, 0
	.set _ZN7rocprim17ROCPRIM_400000_NS6detail17trampoline_kernelINS0_14default_configENS1_25transform_config_selectorIfLb0EEEZNS1_14transform_implILb0ES3_S5_PfN6thrust23THRUST_200600_302600_NS6detail15normal_iteratorINS9_10device_ptrIfEEEENS0_8identityIfEEEE10hipError_tT2_T3_mT4_P12ihipStream_tbEUlT_E_NS1_11comp_targetILNS1_3genE10ELNS1_11target_archE1201ELNS1_3gpuE5ELNS1_3repE0EEENS1_30default_config_static_selectorELNS0_4arch9wavefront6targetE1EEEvT1_.num_named_barrier, 0
	.set _ZN7rocprim17ROCPRIM_400000_NS6detail17trampoline_kernelINS0_14default_configENS1_25transform_config_selectorIfLb0EEEZNS1_14transform_implILb0ES3_S5_PfN6thrust23THRUST_200600_302600_NS6detail15normal_iteratorINS9_10device_ptrIfEEEENS0_8identityIfEEEE10hipError_tT2_T3_mT4_P12ihipStream_tbEUlT_E_NS1_11comp_targetILNS1_3genE10ELNS1_11target_archE1201ELNS1_3gpuE5ELNS1_3repE0EEENS1_30default_config_static_selectorELNS0_4arch9wavefront6targetE1EEEvT1_.private_seg_size, 0
	.set _ZN7rocprim17ROCPRIM_400000_NS6detail17trampoline_kernelINS0_14default_configENS1_25transform_config_selectorIfLb0EEEZNS1_14transform_implILb0ES3_S5_PfN6thrust23THRUST_200600_302600_NS6detail15normal_iteratorINS9_10device_ptrIfEEEENS0_8identityIfEEEE10hipError_tT2_T3_mT4_P12ihipStream_tbEUlT_E_NS1_11comp_targetILNS1_3genE10ELNS1_11target_archE1201ELNS1_3gpuE5ELNS1_3repE0EEENS1_30default_config_static_selectorELNS0_4arch9wavefront6targetE1EEEvT1_.uses_vcc, 0
	.set _ZN7rocprim17ROCPRIM_400000_NS6detail17trampoline_kernelINS0_14default_configENS1_25transform_config_selectorIfLb0EEEZNS1_14transform_implILb0ES3_S5_PfN6thrust23THRUST_200600_302600_NS6detail15normal_iteratorINS9_10device_ptrIfEEEENS0_8identityIfEEEE10hipError_tT2_T3_mT4_P12ihipStream_tbEUlT_E_NS1_11comp_targetILNS1_3genE10ELNS1_11target_archE1201ELNS1_3gpuE5ELNS1_3repE0EEENS1_30default_config_static_selectorELNS0_4arch9wavefront6targetE1EEEvT1_.uses_flat_scratch, 0
	.set _ZN7rocprim17ROCPRIM_400000_NS6detail17trampoline_kernelINS0_14default_configENS1_25transform_config_selectorIfLb0EEEZNS1_14transform_implILb0ES3_S5_PfN6thrust23THRUST_200600_302600_NS6detail15normal_iteratorINS9_10device_ptrIfEEEENS0_8identityIfEEEE10hipError_tT2_T3_mT4_P12ihipStream_tbEUlT_E_NS1_11comp_targetILNS1_3genE10ELNS1_11target_archE1201ELNS1_3gpuE5ELNS1_3repE0EEENS1_30default_config_static_selectorELNS0_4arch9wavefront6targetE1EEEvT1_.has_dyn_sized_stack, 0
	.set _ZN7rocprim17ROCPRIM_400000_NS6detail17trampoline_kernelINS0_14default_configENS1_25transform_config_selectorIfLb0EEEZNS1_14transform_implILb0ES3_S5_PfN6thrust23THRUST_200600_302600_NS6detail15normal_iteratorINS9_10device_ptrIfEEEENS0_8identityIfEEEE10hipError_tT2_T3_mT4_P12ihipStream_tbEUlT_E_NS1_11comp_targetILNS1_3genE10ELNS1_11target_archE1201ELNS1_3gpuE5ELNS1_3repE0EEENS1_30default_config_static_selectorELNS0_4arch9wavefront6targetE1EEEvT1_.has_recursion, 0
	.set _ZN7rocprim17ROCPRIM_400000_NS6detail17trampoline_kernelINS0_14default_configENS1_25transform_config_selectorIfLb0EEEZNS1_14transform_implILb0ES3_S5_PfN6thrust23THRUST_200600_302600_NS6detail15normal_iteratorINS9_10device_ptrIfEEEENS0_8identityIfEEEE10hipError_tT2_T3_mT4_P12ihipStream_tbEUlT_E_NS1_11comp_targetILNS1_3genE10ELNS1_11target_archE1201ELNS1_3gpuE5ELNS1_3repE0EEENS1_30default_config_static_selectorELNS0_4arch9wavefront6targetE1EEEvT1_.has_indirect_call, 0
	.section	.AMDGPU.csdata,"",@progbits
; Kernel info:
; codeLenInByte = 0
; TotalNumSgprs: 6
; NumVgprs: 0
; NumAgprs: 0
; TotalNumVgprs: 0
; ScratchSize: 0
; MemoryBound: 0
; FloatMode: 240
; IeeeMode: 1
; LDSByteSize: 0 bytes/workgroup (compile time only)
; SGPRBlocks: 0
; VGPRBlocks: 0
; NumSGPRsForWavesPerEU: 6
; NumVGPRsForWavesPerEU: 1
; AccumOffset: 4
; Occupancy: 8
; WaveLimiterHint : 0
; COMPUTE_PGM_RSRC2:SCRATCH_EN: 0
; COMPUTE_PGM_RSRC2:USER_SGPR: 2
; COMPUTE_PGM_RSRC2:TRAP_HANDLER: 0
; COMPUTE_PGM_RSRC2:TGID_X_EN: 1
; COMPUTE_PGM_RSRC2:TGID_Y_EN: 0
; COMPUTE_PGM_RSRC2:TGID_Z_EN: 0
; COMPUTE_PGM_RSRC2:TIDIG_COMP_CNT: 0
; COMPUTE_PGM_RSRC3_GFX90A:ACCUM_OFFSET: 0
; COMPUTE_PGM_RSRC3_GFX90A:TG_SPLIT: 0
	.section	.text._ZN7rocprim17ROCPRIM_400000_NS6detail17trampoline_kernelINS0_14default_configENS1_25transform_config_selectorIfLb0EEEZNS1_14transform_implILb0ES3_S5_PfN6thrust23THRUST_200600_302600_NS6detail15normal_iteratorINS9_10device_ptrIfEEEENS0_8identityIfEEEE10hipError_tT2_T3_mT4_P12ihipStream_tbEUlT_E_NS1_11comp_targetILNS1_3genE10ELNS1_11target_archE1200ELNS1_3gpuE4ELNS1_3repE0EEENS1_30default_config_static_selectorELNS0_4arch9wavefront6targetE1EEEvT1_,"axG",@progbits,_ZN7rocprim17ROCPRIM_400000_NS6detail17trampoline_kernelINS0_14default_configENS1_25transform_config_selectorIfLb0EEEZNS1_14transform_implILb0ES3_S5_PfN6thrust23THRUST_200600_302600_NS6detail15normal_iteratorINS9_10device_ptrIfEEEENS0_8identityIfEEEE10hipError_tT2_T3_mT4_P12ihipStream_tbEUlT_E_NS1_11comp_targetILNS1_3genE10ELNS1_11target_archE1200ELNS1_3gpuE4ELNS1_3repE0EEENS1_30default_config_static_selectorELNS0_4arch9wavefront6targetE1EEEvT1_,comdat
	.protected	_ZN7rocprim17ROCPRIM_400000_NS6detail17trampoline_kernelINS0_14default_configENS1_25transform_config_selectorIfLb0EEEZNS1_14transform_implILb0ES3_S5_PfN6thrust23THRUST_200600_302600_NS6detail15normal_iteratorINS9_10device_ptrIfEEEENS0_8identityIfEEEE10hipError_tT2_T3_mT4_P12ihipStream_tbEUlT_E_NS1_11comp_targetILNS1_3genE10ELNS1_11target_archE1200ELNS1_3gpuE4ELNS1_3repE0EEENS1_30default_config_static_selectorELNS0_4arch9wavefront6targetE1EEEvT1_ ; -- Begin function _ZN7rocprim17ROCPRIM_400000_NS6detail17trampoline_kernelINS0_14default_configENS1_25transform_config_selectorIfLb0EEEZNS1_14transform_implILb0ES3_S5_PfN6thrust23THRUST_200600_302600_NS6detail15normal_iteratorINS9_10device_ptrIfEEEENS0_8identityIfEEEE10hipError_tT2_T3_mT4_P12ihipStream_tbEUlT_E_NS1_11comp_targetILNS1_3genE10ELNS1_11target_archE1200ELNS1_3gpuE4ELNS1_3repE0EEENS1_30default_config_static_selectorELNS0_4arch9wavefront6targetE1EEEvT1_
	.globl	_ZN7rocprim17ROCPRIM_400000_NS6detail17trampoline_kernelINS0_14default_configENS1_25transform_config_selectorIfLb0EEEZNS1_14transform_implILb0ES3_S5_PfN6thrust23THRUST_200600_302600_NS6detail15normal_iteratorINS9_10device_ptrIfEEEENS0_8identityIfEEEE10hipError_tT2_T3_mT4_P12ihipStream_tbEUlT_E_NS1_11comp_targetILNS1_3genE10ELNS1_11target_archE1200ELNS1_3gpuE4ELNS1_3repE0EEENS1_30default_config_static_selectorELNS0_4arch9wavefront6targetE1EEEvT1_
	.p2align	8
	.type	_ZN7rocprim17ROCPRIM_400000_NS6detail17trampoline_kernelINS0_14default_configENS1_25transform_config_selectorIfLb0EEEZNS1_14transform_implILb0ES3_S5_PfN6thrust23THRUST_200600_302600_NS6detail15normal_iteratorINS9_10device_ptrIfEEEENS0_8identityIfEEEE10hipError_tT2_T3_mT4_P12ihipStream_tbEUlT_E_NS1_11comp_targetILNS1_3genE10ELNS1_11target_archE1200ELNS1_3gpuE4ELNS1_3repE0EEENS1_30default_config_static_selectorELNS0_4arch9wavefront6targetE1EEEvT1_,@function
_ZN7rocprim17ROCPRIM_400000_NS6detail17trampoline_kernelINS0_14default_configENS1_25transform_config_selectorIfLb0EEEZNS1_14transform_implILb0ES3_S5_PfN6thrust23THRUST_200600_302600_NS6detail15normal_iteratorINS9_10device_ptrIfEEEENS0_8identityIfEEEE10hipError_tT2_T3_mT4_P12ihipStream_tbEUlT_E_NS1_11comp_targetILNS1_3genE10ELNS1_11target_archE1200ELNS1_3gpuE4ELNS1_3repE0EEENS1_30default_config_static_selectorELNS0_4arch9wavefront6targetE1EEEvT1_: ; @_ZN7rocprim17ROCPRIM_400000_NS6detail17trampoline_kernelINS0_14default_configENS1_25transform_config_selectorIfLb0EEEZNS1_14transform_implILb0ES3_S5_PfN6thrust23THRUST_200600_302600_NS6detail15normal_iteratorINS9_10device_ptrIfEEEENS0_8identityIfEEEE10hipError_tT2_T3_mT4_P12ihipStream_tbEUlT_E_NS1_11comp_targetILNS1_3genE10ELNS1_11target_archE1200ELNS1_3gpuE4ELNS1_3repE0EEENS1_30default_config_static_selectorELNS0_4arch9wavefront6targetE1EEEvT1_
; %bb.0:
	.section	.rodata,"a",@progbits
	.p2align	6, 0x0
	.amdhsa_kernel _ZN7rocprim17ROCPRIM_400000_NS6detail17trampoline_kernelINS0_14default_configENS1_25transform_config_selectorIfLb0EEEZNS1_14transform_implILb0ES3_S5_PfN6thrust23THRUST_200600_302600_NS6detail15normal_iteratorINS9_10device_ptrIfEEEENS0_8identityIfEEEE10hipError_tT2_T3_mT4_P12ihipStream_tbEUlT_E_NS1_11comp_targetILNS1_3genE10ELNS1_11target_archE1200ELNS1_3gpuE4ELNS1_3repE0EEENS1_30default_config_static_selectorELNS0_4arch9wavefront6targetE1EEEvT1_
		.amdhsa_group_segment_fixed_size 0
		.amdhsa_private_segment_fixed_size 0
		.amdhsa_kernarg_size 40
		.amdhsa_user_sgpr_count 2
		.amdhsa_user_sgpr_dispatch_ptr 0
		.amdhsa_user_sgpr_queue_ptr 0
		.amdhsa_user_sgpr_kernarg_segment_ptr 1
		.amdhsa_user_sgpr_dispatch_id 0
		.amdhsa_user_sgpr_kernarg_preload_length 0
		.amdhsa_user_sgpr_kernarg_preload_offset 0
		.amdhsa_user_sgpr_private_segment_size 0
		.amdhsa_uses_dynamic_stack 0
		.amdhsa_enable_private_segment 0
		.amdhsa_system_sgpr_workgroup_id_x 1
		.amdhsa_system_sgpr_workgroup_id_y 0
		.amdhsa_system_sgpr_workgroup_id_z 0
		.amdhsa_system_sgpr_workgroup_info 0
		.amdhsa_system_vgpr_workitem_id 0
		.amdhsa_next_free_vgpr 1
		.amdhsa_next_free_sgpr 0
		.amdhsa_accum_offset 4
		.amdhsa_reserve_vcc 0
		.amdhsa_float_round_mode_32 0
		.amdhsa_float_round_mode_16_64 0
		.amdhsa_float_denorm_mode_32 3
		.amdhsa_float_denorm_mode_16_64 3
		.amdhsa_dx10_clamp 1
		.amdhsa_ieee_mode 1
		.amdhsa_fp16_overflow 0
		.amdhsa_tg_split 0
		.amdhsa_exception_fp_ieee_invalid_op 0
		.amdhsa_exception_fp_denorm_src 0
		.amdhsa_exception_fp_ieee_div_zero 0
		.amdhsa_exception_fp_ieee_overflow 0
		.amdhsa_exception_fp_ieee_underflow 0
		.amdhsa_exception_fp_ieee_inexact 0
		.amdhsa_exception_int_div_zero 0
	.end_amdhsa_kernel
	.section	.text._ZN7rocprim17ROCPRIM_400000_NS6detail17trampoline_kernelINS0_14default_configENS1_25transform_config_selectorIfLb0EEEZNS1_14transform_implILb0ES3_S5_PfN6thrust23THRUST_200600_302600_NS6detail15normal_iteratorINS9_10device_ptrIfEEEENS0_8identityIfEEEE10hipError_tT2_T3_mT4_P12ihipStream_tbEUlT_E_NS1_11comp_targetILNS1_3genE10ELNS1_11target_archE1200ELNS1_3gpuE4ELNS1_3repE0EEENS1_30default_config_static_selectorELNS0_4arch9wavefront6targetE1EEEvT1_,"axG",@progbits,_ZN7rocprim17ROCPRIM_400000_NS6detail17trampoline_kernelINS0_14default_configENS1_25transform_config_selectorIfLb0EEEZNS1_14transform_implILb0ES3_S5_PfN6thrust23THRUST_200600_302600_NS6detail15normal_iteratorINS9_10device_ptrIfEEEENS0_8identityIfEEEE10hipError_tT2_T3_mT4_P12ihipStream_tbEUlT_E_NS1_11comp_targetILNS1_3genE10ELNS1_11target_archE1200ELNS1_3gpuE4ELNS1_3repE0EEENS1_30default_config_static_selectorELNS0_4arch9wavefront6targetE1EEEvT1_,comdat
.Lfunc_end275:
	.size	_ZN7rocprim17ROCPRIM_400000_NS6detail17trampoline_kernelINS0_14default_configENS1_25transform_config_selectorIfLb0EEEZNS1_14transform_implILb0ES3_S5_PfN6thrust23THRUST_200600_302600_NS6detail15normal_iteratorINS9_10device_ptrIfEEEENS0_8identityIfEEEE10hipError_tT2_T3_mT4_P12ihipStream_tbEUlT_E_NS1_11comp_targetILNS1_3genE10ELNS1_11target_archE1200ELNS1_3gpuE4ELNS1_3repE0EEENS1_30default_config_static_selectorELNS0_4arch9wavefront6targetE1EEEvT1_, .Lfunc_end275-_ZN7rocprim17ROCPRIM_400000_NS6detail17trampoline_kernelINS0_14default_configENS1_25transform_config_selectorIfLb0EEEZNS1_14transform_implILb0ES3_S5_PfN6thrust23THRUST_200600_302600_NS6detail15normal_iteratorINS9_10device_ptrIfEEEENS0_8identityIfEEEE10hipError_tT2_T3_mT4_P12ihipStream_tbEUlT_E_NS1_11comp_targetILNS1_3genE10ELNS1_11target_archE1200ELNS1_3gpuE4ELNS1_3repE0EEENS1_30default_config_static_selectorELNS0_4arch9wavefront6targetE1EEEvT1_
                                        ; -- End function
	.set _ZN7rocprim17ROCPRIM_400000_NS6detail17trampoline_kernelINS0_14default_configENS1_25transform_config_selectorIfLb0EEEZNS1_14transform_implILb0ES3_S5_PfN6thrust23THRUST_200600_302600_NS6detail15normal_iteratorINS9_10device_ptrIfEEEENS0_8identityIfEEEE10hipError_tT2_T3_mT4_P12ihipStream_tbEUlT_E_NS1_11comp_targetILNS1_3genE10ELNS1_11target_archE1200ELNS1_3gpuE4ELNS1_3repE0EEENS1_30default_config_static_selectorELNS0_4arch9wavefront6targetE1EEEvT1_.num_vgpr, 0
	.set _ZN7rocprim17ROCPRIM_400000_NS6detail17trampoline_kernelINS0_14default_configENS1_25transform_config_selectorIfLb0EEEZNS1_14transform_implILb0ES3_S5_PfN6thrust23THRUST_200600_302600_NS6detail15normal_iteratorINS9_10device_ptrIfEEEENS0_8identityIfEEEE10hipError_tT2_T3_mT4_P12ihipStream_tbEUlT_E_NS1_11comp_targetILNS1_3genE10ELNS1_11target_archE1200ELNS1_3gpuE4ELNS1_3repE0EEENS1_30default_config_static_selectorELNS0_4arch9wavefront6targetE1EEEvT1_.num_agpr, 0
	.set _ZN7rocprim17ROCPRIM_400000_NS6detail17trampoline_kernelINS0_14default_configENS1_25transform_config_selectorIfLb0EEEZNS1_14transform_implILb0ES3_S5_PfN6thrust23THRUST_200600_302600_NS6detail15normal_iteratorINS9_10device_ptrIfEEEENS0_8identityIfEEEE10hipError_tT2_T3_mT4_P12ihipStream_tbEUlT_E_NS1_11comp_targetILNS1_3genE10ELNS1_11target_archE1200ELNS1_3gpuE4ELNS1_3repE0EEENS1_30default_config_static_selectorELNS0_4arch9wavefront6targetE1EEEvT1_.numbered_sgpr, 0
	.set _ZN7rocprim17ROCPRIM_400000_NS6detail17trampoline_kernelINS0_14default_configENS1_25transform_config_selectorIfLb0EEEZNS1_14transform_implILb0ES3_S5_PfN6thrust23THRUST_200600_302600_NS6detail15normal_iteratorINS9_10device_ptrIfEEEENS0_8identityIfEEEE10hipError_tT2_T3_mT4_P12ihipStream_tbEUlT_E_NS1_11comp_targetILNS1_3genE10ELNS1_11target_archE1200ELNS1_3gpuE4ELNS1_3repE0EEENS1_30default_config_static_selectorELNS0_4arch9wavefront6targetE1EEEvT1_.num_named_barrier, 0
	.set _ZN7rocprim17ROCPRIM_400000_NS6detail17trampoline_kernelINS0_14default_configENS1_25transform_config_selectorIfLb0EEEZNS1_14transform_implILb0ES3_S5_PfN6thrust23THRUST_200600_302600_NS6detail15normal_iteratorINS9_10device_ptrIfEEEENS0_8identityIfEEEE10hipError_tT2_T3_mT4_P12ihipStream_tbEUlT_E_NS1_11comp_targetILNS1_3genE10ELNS1_11target_archE1200ELNS1_3gpuE4ELNS1_3repE0EEENS1_30default_config_static_selectorELNS0_4arch9wavefront6targetE1EEEvT1_.private_seg_size, 0
	.set _ZN7rocprim17ROCPRIM_400000_NS6detail17trampoline_kernelINS0_14default_configENS1_25transform_config_selectorIfLb0EEEZNS1_14transform_implILb0ES3_S5_PfN6thrust23THRUST_200600_302600_NS6detail15normal_iteratorINS9_10device_ptrIfEEEENS0_8identityIfEEEE10hipError_tT2_T3_mT4_P12ihipStream_tbEUlT_E_NS1_11comp_targetILNS1_3genE10ELNS1_11target_archE1200ELNS1_3gpuE4ELNS1_3repE0EEENS1_30default_config_static_selectorELNS0_4arch9wavefront6targetE1EEEvT1_.uses_vcc, 0
	.set _ZN7rocprim17ROCPRIM_400000_NS6detail17trampoline_kernelINS0_14default_configENS1_25transform_config_selectorIfLb0EEEZNS1_14transform_implILb0ES3_S5_PfN6thrust23THRUST_200600_302600_NS6detail15normal_iteratorINS9_10device_ptrIfEEEENS0_8identityIfEEEE10hipError_tT2_T3_mT4_P12ihipStream_tbEUlT_E_NS1_11comp_targetILNS1_3genE10ELNS1_11target_archE1200ELNS1_3gpuE4ELNS1_3repE0EEENS1_30default_config_static_selectorELNS0_4arch9wavefront6targetE1EEEvT1_.uses_flat_scratch, 0
	.set _ZN7rocprim17ROCPRIM_400000_NS6detail17trampoline_kernelINS0_14default_configENS1_25transform_config_selectorIfLb0EEEZNS1_14transform_implILb0ES3_S5_PfN6thrust23THRUST_200600_302600_NS6detail15normal_iteratorINS9_10device_ptrIfEEEENS0_8identityIfEEEE10hipError_tT2_T3_mT4_P12ihipStream_tbEUlT_E_NS1_11comp_targetILNS1_3genE10ELNS1_11target_archE1200ELNS1_3gpuE4ELNS1_3repE0EEENS1_30default_config_static_selectorELNS0_4arch9wavefront6targetE1EEEvT1_.has_dyn_sized_stack, 0
	.set _ZN7rocprim17ROCPRIM_400000_NS6detail17trampoline_kernelINS0_14default_configENS1_25transform_config_selectorIfLb0EEEZNS1_14transform_implILb0ES3_S5_PfN6thrust23THRUST_200600_302600_NS6detail15normal_iteratorINS9_10device_ptrIfEEEENS0_8identityIfEEEE10hipError_tT2_T3_mT4_P12ihipStream_tbEUlT_E_NS1_11comp_targetILNS1_3genE10ELNS1_11target_archE1200ELNS1_3gpuE4ELNS1_3repE0EEENS1_30default_config_static_selectorELNS0_4arch9wavefront6targetE1EEEvT1_.has_recursion, 0
	.set _ZN7rocprim17ROCPRIM_400000_NS6detail17trampoline_kernelINS0_14default_configENS1_25transform_config_selectorIfLb0EEEZNS1_14transform_implILb0ES3_S5_PfN6thrust23THRUST_200600_302600_NS6detail15normal_iteratorINS9_10device_ptrIfEEEENS0_8identityIfEEEE10hipError_tT2_T3_mT4_P12ihipStream_tbEUlT_E_NS1_11comp_targetILNS1_3genE10ELNS1_11target_archE1200ELNS1_3gpuE4ELNS1_3repE0EEENS1_30default_config_static_selectorELNS0_4arch9wavefront6targetE1EEEvT1_.has_indirect_call, 0
	.section	.AMDGPU.csdata,"",@progbits
; Kernel info:
; codeLenInByte = 0
; TotalNumSgprs: 6
; NumVgprs: 0
; NumAgprs: 0
; TotalNumVgprs: 0
; ScratchSize: 0
; MemoryBound: 0
; FloatMode: 240
; IeeeMode: 1
; LDSByteSize: 0 bytes/workgroup (compile time only)
; SGPRBlocks: 0
; VGPRBlocks: 0
; NumSGPRsForWavesPerEU: 6
; NumVGPRsForWavesPerEU: 1
; AccumOffset: 4
; Occupancy: 8
; WaveLimiterHint : 0
; COMPUTE_PGM_RSRC2:SCRATCH_EN: 0
; COMPUTE_PGM_RSRC2:USER_SGPR: 2
; COMPUTE_PGM_RSRC2:TRAP_HANDLER: 0
; COMPUTE_PGM_RSRC2:TGID_X_EN: 1
; COMPUTE_PGM_RSRC2:TGID_Y_EN: 0
; COMPUTE_PGM_RSRC2:TGID_Z_EN: 0
; COMPUTE_PGM_RSRC2:TIDIG_COMP_CNT: 0
; COMPUTE_PGM_RSRC3_GFX90A:ACCUM_OFFSET: 0
; COMPUTE_PGM_RSRC3_GFX90A:TG_SPLIT: 0
	.section	.text._ZN7rocprim17ROCPRIM_400000_NS6detail17trampoline_kernelINS0_14default_configENS1_25transform_config_selectorIfLb0EEEZNS1_14transform_implILb0ES3_S5_PfN6thrust23THRUST_200600_302600_NS6detail15normal_iteratorINS9_10device_ptrIfEEEENS0_8identityIfEEEE10hipError_tT2_T3_mT4_P12ihipStream_tbEUlT_E_NS1_11comp_targetILNS1_3genE9ELNS1_11target_archE1100ELNS1_3gpuE3ELNS1_3repE0EEENS1_30default_config_static_selectorELNS0_4arch9wavefront6targetE1EEEvT1_,"axG",@progbits,_ZN7rocprim17ROCPRIM_400000_NS6detail17trampoline_kernelINS0_14default_configENS1_25transform_config_selectorIfLb0EEEZNS1_14transform_implILb0ES3_S5_PfN6thrust23THRUST_200600_302600_NS6detail15normal_iteratorINS9_10device_ptrIfEEEENS0_8identityIfEEEE10hipError_tT2_T3_mT4_P12ihipStream_tbEUlT_E_NS1_11comp_targetILNS1_3genE9ELNS1_11target_archE1100ELNS1_3gpuE3ELNS1_3repE0EEENS1_30default_config_static_selectorELNS0_4arch9wavefront6targetE1EEEvT1_,comdat
	.protected	_ZN7rocprim17ROCPRIM_400000_NS6detail17trampoline_kernelINS0_14default_configENS1_25transform_config_selectorIfLb0EEEZNS1_14transform_implILb0ES3_S5_PfN6thrust23THRUST_200600_302600_NS6detail15normal_iteratorINS9_10device_ptrIfEEEENS0_8identityIfEEEE10hipError_tT2_T3_mT4_P12ihipStream_tbEUlT_E_NS1_11comp_targetILNS1_3genE9ELNS1_11target_archE1100ELNS1_3gpuE3ELNS1_3repE0EEENS1_30default_config_static_selectorELNS0_4arch9wavefront6targetE1EEEvT1_ ; -- Begin function _ZN7rocprim17ROCPRIM_400000_NS6detail17trampoline_kernelINS0_14default_configENS1_25transform_config_selectorIfLb0EEEZNS1_14transform_implILb0ES3_S5_PfN6thrust23THRUST_200600_302600_NS6detail15normal_iteratorINS9_10device_ptrIfEEEENS0_8identityIfEEEE10hipError_tT2_T3_mT4_P12ihipStream_tbEUlT_E_NS1_11comp_targetILNS1_3genE9ELNS1_11target_archE1100ELNS1_3gpuE3ELNS1_3repE0EEENS1_30default_config_static_selectorELNS0_4arch9wavefront6targetE1EEEvT1_
	.globl	_ZN7rocprim17ROCPRIM_400000_NS6detail17trampoline_kernelINS0_14default_configENS1_25transform_config_selectorIfLb0EEEZNS1_14transform_implILb0ES3_S5_PfN6thrust23THRUST_200600_302600_NS6detail15normal_iteratorINS9_10device_ptrIfEEEENS0_8identityIfEEEE10hipError_tT2_T3_mT4_P12ihipStream_tbEUlT_E_NS1_11comp_targetILNS1_3genE9ELNS1_11target_archE1100ELNS1_3gpuE3ELNS1_3repE0EEENS1_30default_config_static_selectorELNS0_4arch9wavefront6targetE1EEEvT1_
	.p2align	8
	.type	_ZN7rocprim17ROCPRIM_400000_NS6detail17trampoline_kernelINS0_14default_configENS1_25transform_config_selectorIfLb0EEEZNS1_14transform_implILb0ES3_S5_PfN6thrust23THRUST_200600_302600_NS6detail15normal_iteratorINS9_10device_ptrIfEEEENS0_8identityIfEEEE10hipError_tT2_T3_mT4_P12ihipStream_tbEUlT_E_NS1_11comp_targetILNS1_3genE9ELNS1_11target_archE1100ELNS1_3gpuE3ELNS1_3repE0EEENS1_30default_config_static_selectorELNS0_4arch9wavefront6targetE1EEEvT1_,@function
_ZN7rocprim17ROCPRIM_400000_NS6detail17trampoline_kernelINS0_14default_configENS1_25transform_config_selectorIfLb0EEEZNS1_14transform_implILb0ES3_S5_PfN6thrust23THRUST_200600_302600_NS6detail15normal_iteratorINS9_10device_ptrIfEEEENS0_8identityIfEEEE10hipError_tT2_T3_mT4_P12ihipStream_tbEUlT_E_NS1_11comp_targetILNS1_3genE9ELNS1_11target_archE1100ELNS1_3gpuE3ELNS1_3repE0EEENS1_30default_config_static_selectorELNS0_4arch9wavefront6targetE1EEEvT1_: ; @_ZN7rocprim17ROCPRIM_400000_NS6detail17trampoline_kernelINS0_14default_configENS1_25transform_config_selectorIfLb0EEEZNS1_14transform_implILb0ES3_S5_PfN6thrust23THRUST_200600_302600_NS6detail15normal_iteratorINS9_10device_ptrIfEEEENS0_8identityIfEEEE10hipError_tT2_T3_mT4_P12ihipStream_tbEUlT_E_NS1_11comp_targetILNS1_3genE9ELNS1_11target_archE1100ELNS1_3gpuE3ELNS1_3repE0EEENS1_30default_config_static_selectorELNS0_4arch9wavefront6targetE1EEEvT1_
; %bb.0:
	.section	.rodata,"a",@progbits
	.p2align	6, 0x0
	.amdhsa_kernel _ZN7rocprim17ROCPRIM_400000_NS6detail17trampoline_kernelINS0_14default_configENS1_25transform_config_selectorIfLb0EEEZNS1_14transform_implILb0ES3_S5_PfN6thrust23THRUST_200600_302600_NS6detail15normal_iteratorINS9_10device_ptrIfEEEENS0_8identityIfEEEE10hipError_tT2_T3_mT4_P12ihipStream_tbEUlT_E_NS1_11comp_targetILNS1_3genE9ELNS1_11target_archE1100ELNS1_3gpuE3ELNS1_3repE0EEENS1_30default_config_static_selectorELNS0_4arch9wavefront6targetE1EEEvT1_
		.amdhsa_group_segment_fixed_size 0
		.amdhsa_private_segment_fixed_size 0
		.amdhsa_kernarg_size 40
		.amdhsa_user_sgpr_count 2
		.amdhsa_user_sgpr_dispatch_ptr 0
		.amdhsa_user_sgpr_queue_ptr 0
		.amdhsa_user_sgpr_kernarg_segment_ptr 1
		.amdhsa_user_sgpr_dispatch_id 0
		.amdhsa_user_sgpr_kernarg_preload_length 0
		.amdhsa_user_sgpr_kernarg_preload_offset 0
		.amdhsa_user_sgpr_private_segment_size 0
		.amdhsa_uses_dynamic_stack 0
		.amdhsa_enable_private_segment 0
		.amdhsa_system_sgpr_workgroup_id_x 1
		.amdhsa_system_sgpr_workgroup_id_y 0
		.amdhsa_system_sgpr_workgroup_id_z 0
		.amdhsa_system_sgpr_workgroup_info 0
		.amdhsa_system_vgpr_workitem_id 0
		.amdhsa_next_free_vgpr 1
		.amdhsa_next_free_sgpr 0
		.amdhsa_accum_offset 4
		.amdhsa_reserve_vcc 0
		.amdhsa_float_round_mode_32 0
		.amdhsa_float_round_mode_16_64 0
		.amdhsa_float_denorm_mode_32 3
		.amdhsa_float_denorm_mode_16_64 3
		.amdhsa_dx10_clamp 1
		.amdhsa_ieee_mode 1
		.amdhsa_fp16_overflow 0
		.amdhsa_tg_split 0
		.amdhsa_exception_fp_ieee_invalid_op 0
		.amdhsa_exception_fp_denorm_src 0
		.amdhsa_exception_fp_ieee_div_zero 0
		.amdhsa_exception_fp_ieee_overflow 0
		.amdhsa_exception_fp_ieee_underflow 0
		.amdhsa_exception_fp_ieee_inexact 0
		.amdhsa_exception_int_div_zero 0
	.end_amdhsa_kernel
	.section	.text._ZN7rocprim17ROCPRIM_400000_NS6detail17trampoline_kernelINS0_14default_configENS1_25transform_config_selectorIfLb0EEEZNS1_14transform_implILb0ES3_S5_PfN6thrust23THRUST_200600_302600_NS6detail15normal_iteratorINS9_10device_ptrIfEEEENS0_8identityIfEEEE10hipError_tT2_T3_mT4_P12ihipStream_tbEUlT_E_NS1_11comp_targetILNS1_3genE9ELNS1_11target_archE1100ELNS1_3gpuE3ELNS1_3repE0EEENS1_30default_config_static_selectorELNS0_4arch9wavefront6targetE1EEEvT1_,"axG",@progbits,_ZN7rocprim17ROCPRIM_400000_NS6detail17trampoline_kernelINS0_14default_configENS1_25transform_config_selectorIfLb0EEEZNS1_14transform_implILb0ES3_S5_PfN6thrust23THRUST_200600_302600_NS6detail15normal_iteratorINS9_10device_ptrIfEEEENS0_8identityIfEEEE10hipError_tT2_T3_mT4_P12ihipStream_tbEUlT_E_NS1_11comp_targetILNS1_3genE9ELNS1_11target_archE1100ELNS1_3gpuE3ELNS1_3repE0EEENS1_30default_config_static_selectorELNS0_4arch9wavefront6targetE1EEEvT1_,comdat
.Lfunc_end276:
	.size	_ZN7rocprim17ROCPRIM_400000_NS6detail17trampoline_kernelINS0_14default_configENS1_25transform_config_selectorIfLb0EEEZNS1_14transform_implILb0ES3_S5_PfN6thrust23THRUST_200600_302600_NS6detail15normal_iteratorINS9_10device_ptrIfEEEENS0_8identityIfEEEE10hipError_tT2_T3_mT4_P12ihipStream_tbEUlT_E_NS1_11comp_targetILNS1_3genE9ELNS1_11target_archE1100ELNS1_3gpuE3ELNS1_3repE0EEENS1_30default_config_static_selectorELNS0_4arch9wavefront6targetE1EEEvT1_, .Lfunc_end276-_ZN7rocprim17ROCPRIM_400000_NS6detail17trampoline_kernelINS0_14default_configENS1_25transform_config_selectorIfLb0EEEZNS1_14transform_implILb0ES3_S5_PfN6thrust23THRUST_200600_302600_NS6detail15normal_iteratorINS9_10device_ptrIfEEEENS0_8identityIfEEEE10hipError_tT2_T3_mT4_P12ihipStream_tbEUlT_E_NS1_11comp_targetILNS1_3genE9ELNS1_11target_archE1100ELNS1_3gpuE3ELNS1_3repE0EEENS1_30default_config_static_selectorELNS0_4arch9wavefront6targetE1EEEvT1_
                                        ; -- End function
	.set _ZN7rocprim17ROCPRIM_400000_NS6detail17trampoline_kernelINS0_14default_configENS1_25transform_config_selectorIfLb0EEEZNS1_14transform_implILb0ES3_S5_PfN6thrust23THRUST_200600_302600_NS6detail15normal_iteratorINS9_10device_ptrIfEEEENS0_8identityIfEEEE10hipError_tT2_T3_mT4_P12ihipStream_tbEUlT_E_NS1_11comp_targetILNS1_3genE9ELNS1_11target_archE1100ELNS1_3gpuE3ELNS1_3repE0EEENS1_30default_config_static_selectorELNS0_4arch9wavefront6targetE1EEEvT1_.num_vgpr, 0
	.set _ZN7rocprim17ROCPRIM_400000_NS6detail17trampoline_kernelINS0_14default_configENS1_25transform_config_selectorIfLb0EEEZNS1_14transform_implILb0ES3_S5_PfN6thrust23THRUST_200600_302600_NS6detail15normal_iteratorINS9_10device_ptrIfEEEENS0_8identityIfEEEE10hipError_tT2_T3_mT4_P12ihipStream_tbEUlT_E_NS1_11comp_targetILNS1_3genE9ELNS1_11target_archE1100ELNS1_3gpuE3ELNS1_3repE0EEENS1_30default_config_static_selectorELNS0_4arch9wavefront6targetE1EEEvT1_.num_agpr, 0
	.set _ZN7rocprim17ROCPRIM_400000_NS6detail17trampoline_kernelINS0_14default_configENS1_25transform_config_selectorIfLb0EEEZNS1_14transform_implILb0ES3_S5_PfN6thrust23THRUST_200600_302600_NS6detail15normal_iteratorINS9_10device_ptrIfEEEENS0_8identityIfEEEE10hipError_tT2_T3_mT4_P12ihipStream_tbEUlT_E_NS1_11comp_targetILNS1_3genE9ELNS1_11target_archE1100ELNS1_3gpuE3ELNS1_3repE0EEENS1_30default_config_static_selectorELNS0_4arch9wavefront6targetE1EEEvT1_.numbered_sgpr, 0
	.set _ZN7rocprim17ROCPRIM_400000_NS6detail17trampoline_kernelINS0_14default_configENS1_25transform_config_selectorIfLb0EEEZNS1_14transform_implILb0ES3_S5_PfN6thrust23THRUST_200600_302600_NS6detail15normal_iteratorINS9_10device_ptrIfEEEENS0_8identityIfEEEE10hipError_tT2_T3_mT4_P12ihipStream_tbEUlT_E_NS1_11comp_targetILNS1_3genE9ELNS1_11target_archE1100ELNS1_3gpuE3ELNS1_3repE0EEENS1_30default_config_static_selectorELNS0_4arch9wavefront6targetE1EEEvT1_.num_named_barrier, 0
	.set _ZN7rocprim17ROCPRIM_400000_NS6detail17trampoline_kernelINS0_14default_configENS1_25transform_config_selectorIfLb0EEEZNS1_14transform_implILb0ES3_S5_PfN6thrust23THRUST_200600_302600_NS6detail15normal_iteratorINS9_10device_ptrIfEEEENS0_8identityIfEEEE10hipError_tT2_T3_mT4_P12ihipStream_tbEUlT_E_NS1_11comp_targetILNS1_3genE9ELNS1_11target_archE1100ELNS1_3gpuE3ELNS1_3repE0EEENS1_30default_config_static_selectorELNS0_4arch9wavefront6targetE1EEEvT1_.private_seg_size, 0
	.set _ZN7rocprim17ROCPRIM_400000_NS6detail17trampoline_kernelINS0_14default_configENS1_25transform_config_selectorIfLb0EEEZNS1_14transform_implILb0ES3_S5_PfN6thrust23THRUST_200600_302600_NS6detail15normal_iteratorINS9_10device_ptrIfEEEENS0_8identityIfEEEE10hipError_tT2_T3_mT4_P12ihipStream_tbEUlT_E_NS1_11comp_targetILNS1_3genE9ELNS1_11target_archE1100ELNS1_3gpuE3ELNS1_3repE0EEENS1_30default_config_static_selectorELNS0_4arch9wavefront6targetE1EEEvT1_.uses_vcc, 0
	.set _ZN7rocprim17ROCPRIM_400000_NS6detail17trampoline_kernelINS0_14default_configENS1_25transform_config_selectorIfLb0EEEZNS1_14transform_implILb0ES3_S5_PfN6thrust23THRUST_200600_302600_NS6detail15normal_iteratorINS9_10device_ptrIfEEEENS0_8identityIfEEEE10hipError_tT2_T3_mT4_P12ihipStream_tbEUlT_E_NS1_11comp_targetILNS1_3genE9ELNS1_11target_archE1100ELNS1_3gpuE3ELNS1_3repE0EEENS1_30default_config_static_selectorELNS0_4arch9wavefront6targetE1EEEvT1_.uses_flat_scratch, 0
	.set _ZN7rocprim17ROCPRIM_400000_NS6detail17trampoline_kernelINS0_14default_configENS1_25transform_config_selectorIfLb0EEEZNS1_14transform_implILb0ES3_S5_PfN6thrust23THRUST_200600_302600_NS6detail15normal_iteratorINS9_10device_ptrIfEEEENS0_8identityIfEEEE10hipError_tT2_T3_mT4_P12ihipStream_tbEUlT_E_NS1_11comp_targetILNS1_3genE9ELNS1_11target_archE1100ELNS1_3gpuE3ELNS1_3repE0EEENS1_30default_config_static_selectorELNS0_4arch9wavefront6targetE1EEEvT1_.has_dyn_sized_stack, 0
	.set _ZN7rocprim17ROCPRIM_400000_NS6detail17trampoline_kernelINS0_14default_configENS1_25transform_config_selectorIfLb0EEEZNS1_14transform_implILb0ES3_S5_PfN6thrust23THRUST_200600_302600_NS6detail15normal_iteratorINS9_10device_ptrIfEEEENS0_8identityIfEEEE10hipError_tT2_T3_mT4_P12ihipStream_tbEUlT_E_NS1_11comp_targetILNS1_3genE9ELNS1_11target_archE1100ELNS1_3gpuE3ELNS1_3repE0EEENS1_30default_config_static_selectorELNS0_4arch9wavefront6targetE1EEEvT1_.has_recursion, 0
	.set _ZN7rocprim17ROCPRIM_400000_NS6detail17trampoline_kernelINS0_14default_configENS1_25transform_config_selectorIfLb0EEEZNS1_14transform_implILb0ES3_S5_PfN6thrust23THRUST_200600_302600_NS6detail15normal_iteratorINS9_10device_ptrIfEEEENS0_8identityIfEEEE10hipError_tT2_T3_mT4_P12ihipStream_tbEUlT_E_NS1_11comp_targetILNS1_3genE9ELNS1_11target_archE1100ELNS1_3gpuE3ELNS1_3repE0EEENS1_30default_config_static_selectorELNS0_4arch9wavefront6targetE1EEEvT1_.has_indirect_call, 0
	.section	.AMDGPU.csdata,"",@progbits
; Kernel info:
; codeLenInByte = 0
; TotalNumSgprs: 6
; NumVgprs: 0
; NumAgprs: 0
; TotalNumVgprs: 0
; ScratchSize: 0
; MemoryBound: 0
; FloatMode: 240
; IeeeMode: 1
; LDSByteSize: 0 bytes/workgroup (compile time only)
; SGPRBlocks: 0
; VGPRBlocks: 0
; NumSGPRsForWavesPerEU: 6
; NumVGPRsForWavesPerEU: 1
; AccumOffset: 4
; Occupancy: 8
; WaveLimiterHint : 0
; COMPUTE_PGM_RSRC2:SCRATCH_EN: 0
; COMPUTE_PGM_RSRC2:USER_SGPR: 2
; COMPUTE_PGM_RSRC2:TRAP_HANDLER: 0
; COMPUTE_PGM_RSRC2:TGID_X_EN: 1
; COMPUTE_PGM_RSRC2:TGID_Y_EN: 0
; COMPUTE_PGM_RSRC2:TGID_Z_EN: 0
; COMPUTE_PGM_RSRC2:TIDIG_COMP_CNT: 0
; COMPUTE_PGM_RSRC3_GFX90A:ACCUM_OFFSET: 0
; COMPUTE_PGM_RSRC3_GFX90A:TG_SPLIT: 0
	.section	.text._ZN7rocprim17ROCPRIM_400000_NS6detail17trampoline_kernelINS0_14default_configENS1_25transform_config_selectorIfLb0EEEZNS1_14transform_implILb0ES3_S5_PfN6thrust23THRUST_200600_302600_NS6detail15normal_iteratorINS9_10device_ptrIfEEEENS0_8identityIfEEEE10hipError_tT2_T3_mT4_P12ihipStream_tbEUlT_E_NS1_11comp_targetILNS1_3genE8ELNS1_11target_archE1030ELNS1_3gpuE2ELNS1_3repE0EEENS1_30default_config_static_selectorELNS0_4arch9wavefront6targetE1EEEvT1_,"axG",@progbits,_ZN7rocprim17ROCPRIM_400000_NS6detail17trampoline_kernelINS0_14default_configENS1_25transform_config_selectorIfLb0EEEZNS1_14transform_implILb0ES3_S5_PfN6thrust23THRUST_200600_302600_NS6detail15normal_iteratorINS9_10device_ptrIfEEEENS0_8identityIfEEEE10hipError_tT2_T3_mT4_P12ihipStream_tbEUlT_E_NS1_11comp_targetILNS1_3genE8ELNS1_11target_archE1030ELNS1_3gpuE2ELNS1_3repE0EEENS1_30default_config_static_selectorELNS0_4arch9wavefront6targetE1EEEvT1_,comdat
	.protected	_ZN7rocprim17ROCPRIM_400000_NS6detail17trampoline_kernelINS0_14default_configENS1_25transform_config_selectorIfLb0EEEZNS1_14transform_implILb0ES3_S5_PfN6thrust23THRUST_200600_302600_NS6detail15normal_iteratorINS9_10device_ptrIfEEEENS0_8identityIfEEEE10hipError_tT2_T3_mT4_P12ihipStream_tbEUlT_E_NS1_11comp_targetILNS1_3genE8ELNS1_11target_archE1030ELNS1_3gpuE2ELNS1_3repE0EEENS1_30default_config_static_selectorELNS0_4arch9wavefront6targetE1EEEvT1_ ; -- Begin function _ZN7rocprim17ROCPRIM_400000_NS6detail17trampoline_kernelINS0_14default_configENS1_25transform_config_selectorIfLb0EEEZNS1_14transform_implILb0ES3_S5_PfN6thrust23THRUST_200600_302600_NS6detail15normal_iteratorINS9_10device_ptrIfEEEENS0_8identityIfEEEE10hipError_tT2_T3_mT4_P12ihipStream_tbEUlT_E_NS1_11comp_targetILNS1_3genE8ELNS1_11target_archE1030ELNS1_3gpuE2ELNS1_3repE0EEENS1_30default_config_static_selectorELNS0_4arch9wavefront6targetE1EEEvT1_
	.globl	_ZN7rocprim17ROCPRIM_400000_NS6detail17trampoline_kernelINS0_14default_configENS1_25transform_config_selectorIfLb0EEEZNS1_14transform_implILb0ES3_S5_PfN6thrust23THRUST_200600_302600_NS6detail15normal_iteratorINS9_10device_ptrIfEEEENS0_8identityIfEEEE10hipError_tT2_T3_mT4_P12ihipStream_tbEUlT_E_NS1_11comp_targetILNS1_3genE8ELNS1_11target_archE1030ELNS1_3gpuE2ELNS1_3repE0EEENS1_30default_config_static_selectorELNS0_4arch9wavefront6targetE1EEEvT1_
	.p2align	8
	.type	_ZN7rocprim17ROCPRIM_400000_NS6detail17trampoline_kernelINS0_14default_configENS1_25transform_config_selectorIfLb0EEEZNS1_14transform_implILb0ES3_S5_PfN6thrust23THRUST_200600_302600_NS6detail15normal_iteratorINS9_10device_ptrIfEEEENS0_8identityIfEEEE10hipError_tT2_T3_mT4_P12ihipStream_tbEUlT_E_NS1_11comp_targetILNS1_3genE8ELNS1_11target_archE1030ELNS1_3gpuE2ELNS1_3repE0EEENS1_30default_config_static_selectorELNS0_4arch9wavefront6targetE1EEEvT1_,@function
_ZN7rocprim17ROCPRIM_400000_NS6detail17trampoline_kernelINS0_14default_configENS1_25transform_config_selectorIfLb0EEEZNS1_14transform_implILb0ES3_S5_PfN6thrust23THRUST_200600_302600_NS6detail15normal_iteratorINS9_10device_ptrIfEEEENS0_8identityIfEEEE10hipError_tT2_T3_mT4_P12ihipStream_tbEUlT_E_NS1_11comp_targetILNS1_3genE8ELNS1_11target_archE1030ELNS1_3gpuE2ELNS1_3repE0EEENS1_30default_config_static_selectorELNS0_4arch9wavefront6targetE1EEEvT1_: ; @_ZN7rocprim17ROCPRIM_400000_NS6detail17trampoline_kernelINS0_14default_configENS1_25transform_config_selectorIfLb0EEEZNS1_14transform_implILb0ES3_S5_PfN6thrust23THRUST_200600_302600_NS6detail15normal_iteratorINS9_10device_ptrIfEEEENS0_8identityIfEEEE10hipError_tT2_T3_mT4_P12ihipStream_tbEUlT_E_NS1_11comp_targetILNS1_3genE8ELNS1_11target_archE1030ELNS1_3gpuE2ELNS1_3repE0EEENS1_30default_config_static_selectorELNS0_4arch9wavefront6targetE1EEEvT1_
; %bb.0:
	.section	.rodata,"a",@progbits
	.p2align	6, 0x0
	.amdhsa_kernel _ZN7rocprim17ROCPRIM_400000_NS6detail17trampoline_kernelINS0_14default_configENS1_25transform_config_selectorIfLb0EEEZNS1_14transform_implILb0ES3_S5_PfN6thrust23THRUST_200600_302600_NS6detail15normal_iteratorINS9_10device_ptrIfEEEENS0_8identityIfEEEE10hipError_tT2_T3_mT4_P12ihipStream_tbEUlT_E_NS1_11comp_targetILNS1_3genE8ELNS1_11target_archE1030ELNS1_3gpuE2ELNS1_3repE0EEENS1_30default_config_static_selectorELNS0_4arch9wavefront6targetE1EEEvT1_
		.amdhsa_group_segment_fixed_size 0
		.amdhsa_private_segment_fixed_size 0
		.amdhsa_kernarg_size 40
		.amdhsa_user_sgpr_count 2
		.amdhsa_user_sgpr_dispatch_ptr 0
		.amdhsa_user_sgpr_queue_ptr 0
		.amdhsa_user_sgpr_kernarg_segment_ptr 1
		.amdhsa_user_sgpr_dispatch_id 0
		.amdhsa_user_sgpr_kernarg_preload_length 0
		.amdhsa_user_sgpr_kernarg_preload_offset 0
		.amdhsa_user_sgpr_private_segment_size 0
		.amdhsa_uses_dynamic_stack 0
		.amdhsa_enable_private_segment 0
		.amdhsa_system_sgpr_workgroup_id_x 1
		.amdhsa_system_sgpr_workgroup_id_y 0
		.amdhsa_system_sgpr_workgroup_id_z 0
		.amdhsa_system_sgpr_workgroup_info 0
		.amdhsa_system_vgpr_workitem_id 0
		.amdhsa_next_free_vgpr 1
		.amdhsa_next_free_sgpr 0
		.amdhsa_accum_offset 4
		.amdhsa_reserve_vcc 0
		.amdhsa_float_round_mode_32 0
		.amdhsa_float_round_mode_16_64 0
		.amdhsa_float_denorm_mode_32 3
		.amdhsa_float_denorm_mode_16_64 3
		.amdhsa_dx10_clamp 1
		.amdhsa_ieee_mode 1
		.amdhsa_fp16_overflow 0
		.amdhsa_tg_split 0
		.amdhsa_exception_fp_ieee_invalid_op 0
		.amdhsa_exception_fp_denorm_src 0
		.amdhsa_exception_fp_ieee_div_zero 0
		.amdhsa_exception_fp_ieee_overflow 0
		.amdhsa_exception_fp_ieee_underflow 0
		.amdhsa_exception_fp_ieee_inexact 0
		.amdhsa_exception_int_div_zero 0
	.end_amdhsa_kernel
	.section	.text._ZN7rocprim17ROCPRIM_400000_NS6detail17trampoline_kernelINS0_14default_configENS1_25transform_config_selectorIfLb0EEEZNS1_14transform_implILb0ES3_S5_PfN6thrust23THRUST_200600_302600_NS6detail15normal_iteratorINS9_10device_ptrIfEEEENS0_8identityIfEEEE10hipError_tT2_T3_mT4_P12ihipStream_tbEUlT_E_NS1_11comp_targetILNS1_3genE8ELNS1_11target_archE1030ELNS1_3gpuE2ELNS1_3repE0EEENS1_30default_config_static_selectorELNS0_4arch9wavefront6targetE1EEEvT1_,"axG",@progbits,_ZN7rocprim17ROCPRIM_400000_NS6detail17trampoline_kernelINS0_14default_configENS1_25transform_config_selectorIfLb0EEEZNS1_14transform_implILb0ES3_S5_PfN6thrust23THRUST_200600_302600_NS6detail15normal_iteratorINS9_10device_ptrIfEEEENS0_8identityIfEEEE10hipError_tT2_T3_mT4_P12ihipStream_tbEUlT_E_NS1_11comp_targetILNS1_3genE8ELNS1_11target_archE1030ELNS1_3gpuE2ELNS1_3repE0EEENS1_30default_config_static_selectorELNS0_4arch9wavefront6targetE1EEEvT1_,comdat
.Lfunc_end277:
	.size	_ZN7rocprim17ROCPRIM_400000_NS6detail17trampoline_kernelINS0_14default_configENS1_25transform_config_selectorIfLb0EEEZNS1_14transform_implILb0ES3_S5_PfN6thrust23THRUST_200600_302600_NS6detail15normal_iteratorINS9_10device_ptrIfEEEENS0_8identityIfEEEE10hipError_tT2_T3_mT4_P12ihipStream_tbEUlT_E_NS1_11comp_targetILNS1_3genE8ELNS1_11target_archE1030ELNS1_3gpuE2ELNS1_3repE0EEENS1_30default_config_static_selectorELNS0_4arch9wavefront6targetE1EEEvT1_, .Lfunc_end277-_ZN7rocprim17ROCPRIM_400000_NS6detail17trampoline_kernelINS0_14default_configENS1_25transform_config_selectorIfLb0EEEZNS1_14transform_implILb0ES3_S5_PfN6thrust23THRUST_200600_302600_NS6detail15normal_iteratorINS9_10device_ptrIfEEEENS0_8identityIfEEEE10hipError_tT2_T3_mT4_P12ihipStream_tbEUlT_E_NS1_11comp_targetILNS1_3genE8ELNS1_11target_archE1030ELNS1_3gpuE2ELNS1_3repE0EEENS1_30default_config_static_selectorELNS0_4arch9wavefront6targetE1EEEvT1_
                                        ; -- End function
	.set _ZN7rocprim17ROCPRIM_400000_NS6detail17trampoline_kernelINS0_14default_configENS1_25transform_config_selectorIfLb0EEEZNS1_14transform_implILb0ES3_S5_PfN6thrust23THRUST_200600_302600_NS6detail15normal_iteratorINS9_10device_ptrIfEEEENS0_8identityIfEEEE10hipError_tT2_T3_mT4_P12ihipStream_tbEUlT_E_NS1_11comp_targetILNS1_3genE8ELNS1_11target_archE1030ELNS1_3gpuE2ELNS1_3repE0EEENS1_30default_config_static_selectorELNS0_4arch9wavefront6targetE1EEEvT1_.num_vgpr, 0
	.set _ZN7rocprim17ROCPRIM_400000_NS6detail17trampoline_kernelINS0_14default_configENS1_25transform_config_selectorIfLb0EEEZNS1_14transform_implILb0ES3_S5_PfN6thrust23THRUST_200600_302600_NS6detail15normal_iteratorINS9_10device_ptrIfEEEENS0_8identityIfEEEE10hipError_tT2_T3_mT4_P12ihipStream_tbEUlT_E_NS1_11comp_targetILNS1_3genE8ELNS1_11target_archE1030ELNS1_3gpuE2ELNS1_3repE0EEENS1_30default_config_static_selectorELNS0_4arch9wavefront6targetE1EEEvT1_.num_agpr, 0
	.set _ZN7rocprim17ROCPRIM_400000_NS6detail17trampoline_kernelINS0_14default_configENS1_25transform_config_selectorIfLb0EEEZNS1_14transform_implILb0ES3_S5_PfN6thrust23THRUST_200600_302600_NS6detail15normal_iteratorINS9_10device_ptrIfEEEENS0_8identityIfEEEE10hipError_tT2_T3_mT4_P12ihipStream_tbEUlT_E_NS1_11comp_targetILNS1_3genE8ELNS1_11target_archE1030ELNS1_3gpuE2ELNS1_3repE0EEENS1_30default_config_static_selectorELNS0_4arch9wavefront6targetE1EEEvT1_.numbered_sgpr, 0
	.set _ZN7rocprim17ROCPRIM_400000_NS6detail17trampoline_kernelINS0_14default_configENS1_25transform_config_selectorIfLb0EEEZNS1_14transform_implILb0ES3_S5_PfN6thrust23THRUST_200600_302600_NS6detail15normal_iteratorINS9_10device_ptrIfEEEENS0_8identityIfEEEE10hipError_tT2_T3_mT4_P12ihipStream_tbEUlT_E_NS1_11comp_targetILNS1_3genE8ELNS1_11target_archE1030ELNS1_3gpuE2ELNS1_3repE0EEENS1_30default_config_static_selectorELNS0_4arch9wavefront6targetE1EEEvT1_.num_named_barrier, 0
	.set _ZN7rocprim17ROCPRIM_400000_NS6detail17trampoline_kernelINS0_14default_configENS1_25transform_config_selectorIfLb0EEEZNS1_14transform_implILb0ES3_S5_PfN6thrust23THRUST_200600_302600_NS6detail15normal_iteratorINS9_10device_ptrIfEEEENS0_8identityIfEEEE10hipError_tT2_T3_mT4_P12ihipStream_tbEUlT_E_NS1_11comp_targetILNS1_3genE8ELNS1_11target_archE1030ELNS1_3gpuE2ELNS1_3repE0EEENS1_30default_config_static_selectorELNS0_4arch9wavefront6targetE1EEEvT1_.private_seg_size, 0
	.set _ZN7rocprim17ROCPRIM_400000_NS6detail17trampoline_kernelINS0_14default_configENS1_25transform_config_selectorIfLb0EEEZNS1_14transform_implILb0ES3_S5_PfN6thrust23THRUST_200600_302600_NS6detail15normal_iteratorINS9_10device_ptrIfEEEENS0_8identityIfEEEE10hipError_tT2_T3_mT4_P12ihipStream_tbEUlT_E_NS1_11comp_targetILNS1_3genE8ELNS1_11target_archE1030ELNS1_3gpuE2ELNS1_3repE0EEENS1_30default_config_static_selectorELNS0_4arch9wavefront6targetE1EEEvT1_.uses_vcc, 0
	.set _ZN7rocprim17ROCPRIM_400000_NS6detail17trampoline_kernelINS0_14default_configENS1_25transform_config_selectorIfLb0EEEZNS1_14transform_implILb0ES3_S5_PfN6thrust23THRUST_200600_302600_NS6detail15normal_iteratorINS9_10device_ptrIfEEEENS0_8identityIfEEEE10hipError_tT2_T3_mT4_P12ihipStream_tbEUlT_E_NS1_11comp_targetILNS1_3genE8ELNS1_11target_archE1030ELNS1_3gpuE2ELNS1_3repE0EEENS1_30default_config_static_selectorELNS0_4arch9wavefront6targetE1EEEvT1_.uses_flat_scratch, 0
	.set _ZN7rocprim17ROCPRIM_400000_NS6detail17trampoline_kernelINS0_14default_configENS1_25transform_config_selectorIfLb0EEEZNS1_14transform_implILb0ES3_S5_PfN6thrust23THRUST_200600_302600_NS6detail15normal_iteratorINS9_10device_ptrIfEEEENS0_8identityIfEEEE10hipError_tT2_T3_mT4_P12ihipStream_tbEUlT_E_NS1_11comp_targetILNS1_3genE8ELNS1_11target_archE1030ELNS1_3gpuE2ELNS1_3repE0EEENS1_30default_config_static_selectorELNS0_4arch9wavefront6targetE1EEEvT1_.has_dyn_sized_stack, 0
	.set _ZN7rocprim17ROCPRIM_400000_NS6detail17trampoline_kernelINS0_14default_configENS1_25transform_config_selectorIfLb0EEEZNS1_14transform_implILb0ES3_S5_PfN6thrust23THRUST_200600_302600_NS6detail15normal_iteratorINS9_10device_ptrIfEEEENS0_8identityIfEEEE10hipError_tT2_T3_mT4_P12ihipStream_tbEUlT_E_NS1_11comp_targetILNS1_3genE8ELNS1_11target_archE1030ELNS1_3gpuE2ELNS1_3repE0EEENS1_30default_config_static_selectorELNS0_4arch9wavefront6targetE1EEEvT1_.has_recursion, 0
	.set _ZN7rocprim17ROCPRIM_400000_NS6detail17trampoline_kernelINS0_14default_configENS1_25transform_config_selectorIfLb0EEEZNS1_14transform_implILb0ES3_S5_PfN6thrust23THRUST_200600_302600_NS6detail15normal_iteratorINS9_10device_ptrIfEEEENS0_8identityIfEEEE10hipError_tT2_T3_mT4_P12ihipStream_tbEUlT_E_NS1_11comp_targetILNS1_3genE8ELNS1_11target_archE1030ELNS1_3gpuE2ELNS1_3repE0EEENS1_30default_config_static_selectorELNS0_4arch9wavefront6targetE1EEEvT1_.has_indirect_call, 0
	.section	.AMDGPU.csdata,"",@progbits
; Kernel info:
; codeLenInByte = 0
; TotalNumSgprs: 6
; NumVgprs: 0
; NumAgprs: 0
; TotalNumVgprs: 0
; ScratchSize: 0
; MemoryBound: 0
; FloatMode: 240
; IeeeMode: 1
; LDSByteSize: 0 bytes/workgroup (compile time only)
; SGPRBlocks: 0
; VGPRBlocks: 0
; NumSGPRsForWavesPerEU: 6
; NumVGPRsForWavesPerEU: 1
; AccumOffset: 4
; Occupancy: 8
; WaveLimiterHint : 0
; COMPUTE_PGM_RSRC2:SCRATCH_EN: 0
; COMPUTE_PGM_RSRC2:USER_SGPR: 2
; COMPUTE_PGM_RSRC2:TRAP_HANDLER: 0
; COMPUTE_PGM_RSRC2:TGID_X_EN: 1
; COMPUTE_PGM_RSRC2:TGID_Y_EN: 0
; COMPUTE_PGM_RSRC2:TGID_Z_EN: 0
; COMPUTE_PGM_RSRC2:TIDIG_COMP_CNT: 0
; COMPUTE_PGM_RSRC3_GFX90A:ACCUM_OFFSET: 0
; COMPUTE_PGM_RSRC3_GFX90A:TG_SPLIT: 0
	.section	.text._ZN7rocprim17ROCPRIM_400000_NS6detail17trampoline_kernelINS0_14default_configENS1_35radix_sort_onesweep_config_selectorIffEEZNS1_34radix_sort_onesweep_global_offsetsIS3_Lb0EN6thrust23THRUST_200600_302600_NS6detail15normal_iteratorINS8_10device_ptrIfEEEESD_jNS0_19identity_decomposerEEE10hipError_tT1_T2_PT3_SI_jT4_jjP12ihipStream_tbEUlT_E_NS1_11comp_targetILNS1_3genE0ELNS1_11target_archE4294967295ELNS1_3gpuE0ELNS1_3repE0EEENS1_52radix_sort_onesweep_histogram_config_static_selectorELNS0_4arch9wavefront6targetE1EEEvSG_,"axG",@progbits,_ZN7rocprim17ROCPRIM_400000_NS6detail17trampoline_kernelINS0_14default_configENS1_35radix_sort_onesweep_config_selectorIffEEZNS1_34radix_sort_onesweep_global_offsetsIS3_Lb0EN6thrust23THRUST_200600_302600_NS6detail15normal_iteratorINS8_10device_ptrIfEEEESD_jNS0_19identity_decomposerEEE10hipError_tT1_T2_PT3_SI_jT4_jjP12ihipStream_tbEUlT_E_NS1_11comp_targetILNS1_3genE0ELNS1_11target_archE4294967295ELNS1_3gpuE0ELNS1_3repE0EEENS1_52radix_sort_onesweep_histogram_config_static_selectorELNS0_4arch9wavefront6targetE1EEEvSG_,comdat
	.protected	_ZN7rocprim17ROCPRIM_400000_NS6detail17trampoline_kernelINS0_14default_configENS1_35radix_sort_onesweep_config_selectorIffEEZNS1_34radix_sort_onesweep_global_offsetsIS3_Lb0EN6thrust23THRUST_200600_302600_NS6detail15normal_iteratorINS8_10device_ptrIfEEEESD_jNS0_19identity_decomposerEEE10hipError_tT1_T2_PT3_SI_jT4_jjP12ihipStream_tbEUlT_E_NS1_11comp_targetILNS1_3genE0ELNS1_11target_archE4294967295ELNS1_3gpuE0ELNS1_3repE0EEENS1_52radix_sort_onesweep_histogram_config_static_selectorELNS0_4arch9wavefront6targetE1EEEvSG_ ; -- Begin function _ZN7rocprim17ROCPRIM_400000_NS6detail17trampoline_kernelINS0_14default_configENS1_35radix_sort_onesweep_config_selectorIffEEZNS1_34radix_sort_onesweep_global_offsetsIS3_Lb0EN6thrust23THRUST_200600_302600_NS6detail15normal_iteratorINS8_10device_ptrIfEEEESD_jNS0_19identity_decomposerEEE10hipError_tT1_T2_PT3_SI_jT4_jjP12ihipStream_tbEUlT_E_NS1_11comp_targetILNS1_3genE0ELNS1_11target_archE4294967295ELNS1_3gpuE0ELNS1_3repE0EEENS1_52radix_sort_onesweep_histogram_config_static_selectorELNS0_4arch9wavefront6targetE1EEEvSG_
	.globl	_ZN7rocprim17ROCPRIM_400000_NS6detail17trampoline_kernelINS0_14default_configENS1_35radix_sort_onesweep_config_selectorIffEEZNS1_34radix_sort_onesweep_global_offsetsIS3_Lb0EN6thrust23THRUST_200600_302600_NS6detail15normal_iteratorINS8_10device_ptrIfEEEESD_jNS0_19identity_decomposerEEE10hipError_tT1_T2_PT3_SI_jT4_jjP12ihipStream_tbEUlT_E_NS1_11comp_targetILNS1_3genE0ELNS1_11target_archE4294967295ELNS1_3gpuE0ELNS1_3repE0EEENS1_52radix_sort_onesweep_histogram_config_static_selectorELNS0_4arch9wavefront6targetE1EEEvSG_
	.p2align	8
	.type	_ZN7rocprim17ROCPRIM_400000_NS6detail17trampoline_kernelINS0_14default_configENS1_35radix_sort_onesweep_config_selectorIffEEZNS1_34radix_sort_onesweep_global_offsetsIS3_Lb0EN6thrust23THRUST_200600_302600_NS6detail15normal_iteratorINS8_10device_ptrIfEEEESD_jNS0_19identity_decomposerEEE10hipError_tT1_T2_PT3_SI_jT4_jjP12ihipStream_tbEUlT_E_NS1_11comp_targetILNS1_3genE0ELNS1_11target_archE4294967295ELNS1_3gpuE0ELNS1_3repE0EEENS1_52radix_sort_onesweep_histogram_config_static_selectorELNS0_4arch9wavefront6targetE1EEEvSG_,@function
_ZN7rocprim17ROCPRIM_400000_NS6detail17trampoline_kernelINS0_14default_configENS1_35radix_sort_onesweep_config_selectorIffEEZNS1_34radix_sort_onesweep_global_offsetsIS3_Lb0EN6thrust23THRUST_200600_302600_NS6detail15normal_iteratorINS8_10device_ptrIfEEEESD_jNS0_19identity_decomposerEEE10hipError_tT1_T2_PT3_SI_jT4_jjP12ihipStream_tbEUlT_E_NS1_11comp_targetILNS1_3genE0ELNS1_11target_archE4294967295ELNS1_3gpuE0ELNS1_3repE0EEENS1_52radix_sort_onesweep_histogram_config_static_selectorELNS0_4arch9wavefront6targetE1EEEvSG_: ; @_ZN7rocprim17ROCPRIM_400000_NS6detail17trampoline_kernelINS0_14default_configENS1_35radix_sort_onesweep_config_selectorIffEEZNS1_34radix_sort_onesweep_global_offsetsIS3_Lb0EN6thrust23THRUST_200600_302600_NS6detail15normal_iteratorINS8_10device_ptrIfEEEESD_jNS0_19identity_decomposerEEE10hipError_tT1_T2_PT3_SI_jT4_jjP12ihipStream_tbEUlT_E_NS1_11comp_targetILNS1_3genE0ELNS1_11target_archE4294967295ELNS1_3gpuE0ELNS1_3repE0EEENS1_52radix_sort_onesweep_histogram_config_static_selectorELNS0_4arch9wavefront6targetE1EEEvSG_
; %bb.0:
	.section	.rodata,"a",@progbits
	.p2align	6, 0x0
	.amdhsa_kernel _ZN7rocprim17ROCPRIM_400000_NS6detail17trampoline_kernelINS0_14default_configENS1_35radix_sort_onesweep_config_selectorIffEEZNS1_34radix_sort_onesweep_global_offsetsIS3_Lb0EN6thrust23THRUST_200600_302600_NS6detail15normal_iteratorINS8_10device_ptrIfEEEESD_jNS0_19identity_decomposerEEE10hipError_tT1_T2_PT3_SI_jT4_jjP12ihipStream_tbEUlT_E_NS1_11comp_targetILNS1_3genE0ELNS1_11target_archE4294967295ELNS1_3gpuE0ELNS1_3repE0EEENS1_52radix_sort_onesweep_histogram_config_static_selectorELNS0_4arch9wavefront6targetE1EEEvSG_
		.amdhsa_group_segment_fixed_size 0
		.amdhsa_private_segment_fixed_size 0
		.amdhsa_kernarg_size 40
		.amdhsa_user_sgpr_count 2
		.amdhsa_user_sgpr_dispatch_ptr 0
		.amdhsa_user_sgpr_queue_ptr 0
		.amdhsa_user_sgpr_kernarg_segment_ptr 1
		.amdhsa_user_sgpr_dispatch_id 0
		.amdhsa_user_sgpr_kernarg_preload_length 0
		.amdhsa_user_sgpr_kernarg_preload_offset 0
		.amdhsa_user_sgpr_private_segment_size 0
		.amdhsa_uses_dynamic_stack 0
		.amdhsa_enable_private_segment 0
		.amdhsa_system_sgpr_workgroup_id_x 1
		.amdhsa_system_sgpr_workgroup_id_y 0
		.amdhsa_system_sgpr_workgroup_id_z 0
		.amdhsa_system_sgpr_workgroup_info 0
		.amdhsa_system_vgpr_workitem_id 0
		.amdhsa_next_free_vgpr 1
		.amdhsa_next_free_sgpr 0
		.amdhsa_accum_offset 4
		.amdhsa_reserve_vcc 0
		.amdhsa_float_round_mode_32 0
		.amdhsa_float_round_mode_16_64 0
		.amdhsa_float_denorm_mode_32 3
		.amdhsa_float_denorm_mode_16_64 3
		.amdhsa_dx10_clamp 1
		.amdhsa_ieee_mode 1
		.amdhsa_fp16_overflow 0
		.amdhsa_tg_split 0
		.amdhsa_exception_fp_ieee_invalid_op 0
		.amdhsa_exception_fp_denorm_src 0
		.amdhsa_exception_fp_ieee_div_zero 0
		.amdhsa_exception_fp_ieee_overflow 0
		.amdhsa_exception_fp_ieee_underflow 0
		.amdhsa_exception_fp_ieee_inexact 0
		.amdhsa_exception_int_div_zero 0
	.end_amdhsa_kernel
	.section	.text._ZN7rocprim17ROCPRIM_400000_NS6detail17trampoline_kernelINS0_14default_configENS1_35radix_sort_onesweep_config_selectorIffEEZNS1_34radix_sort_onesweep_global_offsetsIS3_Lb0EN6thrust23THRUST_200600_302600_NS6detail15normal_iteratorINS8_10device_ptrIfEEEESD_jNS0_19identity_decomposerEEE10hipError_tT1_T2_PT3_SI_jT4_jjP12ihipStream_tbEUlT_E_NS1_11comp_targetILNS1_3genE0ELNS1_11target_archE4294967295ELNS1_3gpuE0ELNS1_3repE0EEENS1_52radix_sort_onesweep_histogram_config_static_selectorELNS0_4arch9wavefront6targetE1EEEvSG_,"axG",@progbits,_ZN7rocprim17ROCPRIM_400000_NS6detail17trampoline_kernelINS0_14default_configENS1_35radix_sort_onesweep_config_selectorIffEEZNS1_34radix_sort_onesweep_global_offsetsIS3_Lb0EN6thrust23THRUST_200600_302600_NS6detail15normal_iteratorINS8_10device_ptrIfEEEESD_jNS0_19identity_decomposerEEE10hipError_tT1_T2_PT3_SI_jT4_jjP12ihipStream_tbEUlT_E_NS1_11comp_targetILNS1_3genE0ELNS1_11target_archE4294967295ELNS1_3gpuE0ELNS1_3repE0EEENS1_52radix_sort_onesweep_histogram_config_static_selectorELNS0_4arch9wavefront6targetE1EEEvSG_,comdat
.Lfunc_end278:
	.size	_ZN7rocprim17ROCPRIM_400000_NS6detail17trampoline_kernelINS0_14default_configENS1_35radix_sort_onesweep_config_selectorIffEEZNS1_34radix_sort_onesweep_global_offsetsIS3_Lb0EN6thrust23THRUST_200600_302600_NS6detail15normal_iteratorINS8_10device_ptrIfEEEESD_jNS0_19identity_decomposerEEE10hipError_tT1_T2_PT3_SI_jT4_jjP12ihipStream_tbEUlT_E_NS1_11comp_targetILNS1_3genE0ELNS1_11target_archE4294967295ELNS1_3gpuE0ELNS1_3repE0EEENS1_52radix_sort_onesweep_histogram_config_static_selectorELNS0_4arch9wavefront6targetE1EEEvSG_, .Lfunc_end278-_ZN7rocprim17ROCPRIM_400000_NS6detail17trampoline_kernelINS0_14default_configENS1_35radix_sort_onesweep_config_selectorIffEEZNS1_34radix_sort_onesweep_global_offsetsIS3_Lb0EN6thrust23THRUST_200600_302600_NS6detail15normal_iteratorINS8_10device_ptrIfEEEESD_jNS0_19identity_decomposerEEE10hipError_tT1_T2_PT3_SI_jT4_jjP12ihipStream_tbEUlT_E_NS1_11comp_targetILNS1_3genE0ELNS1_11target_archE4294967295ELNS1_3gpuE0ELNS1_3repE0EEENS1_52radix_sort_onesweep_histogram_config_static_selectorELNS0_4arch9wavefront6targetE1EEEvSG_
                                        ; -- End function
	.set _ZN7rocprim17ROCPRIM_400000_NS6detail17trampoline_kernelINS0_14default_configENS1_35radix_sort_onesweep_config_selectorIffEEZNS1_34radix_sort_onesweep_global_offsetsIS3_Lb0EN6thrust23THRUST_200600_302600_NS6detail15normal_iteratorINS8_10device_ptrIfEEEESD_jNS0_19identity_decomposerEEE10hipError_tT1_T2_PT3_SI_jT4_jjP12ihipStream_tbEUlT_E_NS1_11comp_targetILNS1_3genE0ELNS1_11target_archE4294967295ELNS1_3gpuE0ELNS1_3repE0EEENS1_52radix_sort_onesweep_histogram_config_static_selectorELNS0_4arch9wavefront6targetE1EEEvSG_.num_vgpr, 0
	.set _ZN7rocprim17ROCPRIM_400000_NS6detail17trampoline_kernelINS0_14default_configENS1_35radix_sort_onesweep_config_selectorIffEEZNS1_34radix_sort_onesweep_global_offsetsIS3_Lb0EN6thrust23THRUST_200600_302600_NS6detail15normal_iteratorINS8_10device_ptrIfEEEESD_jNS0_19identity_decomposerEEE10hipError_tT1_T2_PT3_SI_jT4_jjP12ihipStream_tbEUlT_E_NS1_11comp_targetILNS1_3genE0ELNS1_11target_archE4294967295ELNS1_3gpuE0ELNS1_3repE0EEENS1_52radix_sort_onesweep_histogram_config_static_selectorELNS0_4arch9wavefront6targetE1EEEvSG_.num_agpr, 0
	.set _ZN7rocprim17ROCPRIM_400000_NS6detail17trampoline_kernelINS0_14default_configENS1_35radix_sort_onesweep_config_selectorIffEEZNS1_34radix_sort_onesweep_global_offsetsIS3_Lb0EN6thrust23THRUST_200600_302600_NS6detail15normal_iteratorINS8_10device_ptrIfEEEESD_jNS0_19identity_decomposerEEE10hipError_tT1_T2_PT3_SI_jT4_jjP12ihipStream_tbEUlT_E_NS1_11comp_targetILNS1_3genE0ELNS1_11target_archE4294967295ELNS1_3gpuE0ELNS1_3repE0EEENS1_52radix_sort_onesweep_histogram_config_static_selectorELNS0_4arch9wavefront6targetE1EEEvSG_.numbered_sgpr, 0
	.set _ZN7rocprim17ROCPRIM_400000_NS6detail17trampoline_kernelINS0_14default_configENS1_35radix_sort_onesweep_config_selectorIffEEZNS1_34radix_sort_onesweep_global_offsetsIS3_Lb0EN6thrust23THRUST_200600_302600_NS6detail15normal_iteratorINS8_10device_ptrIfEEEESD_jNS0_19identity_decomposerEEE10hipError_tT1_T2_PT3_SI_jT4_jjP12ihipStream_tbEUlT_E_NS1_11comp_targetILNS1_3genE0ELNS1_11target_archE4294967295ELNS1_3gpuE0ELNS1_3repE0EEENS1_52radix_sort_onesweep_histogram_config_static_selectorELNS0_4arch9wavefront6targetE1EEEvSG_.num_named_barrier, 0
	.set _ZN7rocprim17ROCPRIM_400000_NS6detail17trampoline_kernelINS0_14default_configENS1_35radix_sort_onesweep_config_selectorIffEEZNS1_34radix_sort_onesweep_global_offsetsIS3_Lb0EN6thrust23THRUST_200600_302600_NS6detail15normal_iteratorINS8_10device_ptrIfEEEESD_jNS0_19identity_decomposerEEE10hipError_tT1_T2_PT3_SI_jT4_jjP12ihipStream_tbEUlT_E_NS1_11comp_targetILNS1_3genE0ELNS1_11target_archE4294967295ELNS1_3gpuE0ELNS1_3repE0EEENS1_52radix_sort_onesweep_histogram_config_static_selectorELNS0_4arch9wavefront6targetE1EEEvSG_.private_seg_size, 0
	.set _ZN7rocprim17ROCPRIM_400000_NS6detail17trampoline_kernelINS0_14default_configENS1_35radix_sort_onesweep_config_selectorIffEEZNS1_34radix_sort_onesweep_global_offsetsIS3_Lb0EN6thrust23THRUST_200600_302600_NS6detail15normal_iteratorINS8_10device_ptrIfEEEESD_jNS0_19identity_decomposerEEE10hipError_tT1_T2_PT3_SI_jT4_jjP12ihipStream_tbEUlT_E_NS1_11comp_targetILNS1_3genE0ELNS1_11target_archE4294967295ELNS1_3gpuE0ELNS1_3repE0EEENS1_52radix_sort_onesweep_histogram_config_static_selectorELNS0_4arch9wavefront6targetE1EEEvSG_.uses_vcc, 0
	.set _ZN7rocprim17ROCPRIM_400000_NS6detail17trampoline_kernelINS0_14default_configENS1_35radix_sort_onesweep_config_selectorIffEEZNS1_34radix_sort_onesweep_global_offsetsIS3_Lb0EN6thrust23THRUST_200600_302600_NS6detail15normal_iteratorINS8_10device_ptrIfEEEESD_jNS0_19identity_decomposerEEE10hipError_tT1_T2_PT3_SI_jT4_jjP12ihipStream_tbEUlT_E_NS1_11comp_targetILNS1_3genE0ELNS1_11target_archE4294967295ELNS1_3gpuE0ELNS1_3repE0EEENS1_52radix_sort_onesweep_histogram_config_static_selectorELNS0_4arch9wavefront6targetE1EEEvSG_.uses_flat_scratch, 0
	.set _ZN7rocprim17ROCPRIM_400000_NS6detail17trampoline_kernelINS0_14default_configENS1_35radix_sort_onesweep_config_selectorIffEEZNS1_34radix_sort_onesweep_global_offsetsIS3_Lb0EN6thrust23THRUST_200600_302600_NS6detail15normal_iteratorINS8_10device_ptrIfEEEESD_jNS0_19identity_decomposerEEE10hipError_tT1_T2_PT3_SI_jT4_jjP12ihipStream_tbEUlT_E_NS1_11comp_targetILNS1_3genE0ELNS1_11target_archE4294967295ELNS1_3gpuE0ELNS1_3repE0EEENS1_52radix_sort_onesweep_histogram_config_static_selectorELNS0_4arch9wavefront6targetE1EEEvSG_.has_dyn_sized_stack, 0
	.set _ZN7rocprim17ROCPRIM_400000_NS6detail17trampoline_kernelINS0_14default_configENS1_35radix_sort_onesweep_config_selectorIffEEZNS1_34radix_sort_onesweep_global_offsetsIS3_Lb0EN6thrust23THRUST_200600_302600_NS6detail15normal_iteratorINS8_10device_ptrIfEEEESD_jNS0_19identity_decomposerEEE10hipError_tT1_T2_PT3_SI_jT4_jjP12ihipStream_tbEUlT_E_NS1_11comp_targetILNS1_3genE0ELNS1_11target_archE4294967295ELNS1_3gpuE0ELNS1_3repE0EEENS1_52radix_sort_onesweep_histogram_config_static_selectorELNS0_4arch9wavefront6targetE1EEEvSG_.has_recursion, 0
	.set _ZN7rocprim17ROCPRIM_400000_NS6detail17trampoline_kernelINS0_14default_configENS1_35radix_sort_onesweep_config_selectorIffEEZNS1_34radix_sort_onesweep_global_offsetsIS3_Lb0EN6thrust23THRUST_200600_302600_NS6detail15normal_iteratorINS8_10device_ptrIfEEEESD_jNS0_19identity_decomposerEEE10hipError_tT1_T2_PT3_SI_jT4_jjP12ihipStream_tbEUlT_E_NS1_11comp_targetILNS1_3genE0ELNS1_11target_archE4294967295ELNS1_3gpuE0ELNS1_3repE0EEENS1_52radix_sort_onesweep_histogram_config_static_selectorELNS0_4arch9wavefront6targetE1EEEvSG_.has_indirect_call, 0
	.section	.AMDGPU.csdata,"",@progbits
; Kernel info:
; codeLenInByte = 0
; TotalNumSgprs: 6
; NumVgprs: 0
; NumAgprs: 0
; TotalNumVgprs: 0
; ScratchSize: 0
; MemoryBound: 0
; FloatMode: 240
; IeeeMode: 1
; LDSByteSize: 0 bytes/workgroup (compile time only)
; SGPRBlocks: 0
; VGPRBlocks: 0
; NumSGPRsForWavesPerEU: 6
; NumVGPRsForWavesPerEU: 1
; AccumOffset: 4
; Occupancy: 8
; WaveLimiterHint : 0
; COMPUTE_PGM_RSRC2:SCRATCH_EN: 0
; COMPUTE_PGM_RSRC2:USER_SGPR: 2
; COMPUTE_PGM_RSRC2:TRAP_HANDLER: 0
; COMPUTE_PGM_RSRC2:TGID_X_EN: 1
; COMPUTE_PGM_RSRC2:TGID_Y_EN: 0
; COMPUTE_PGM_RSRC2:TGID_Z_EN: 0
; COMPUTE_PGM_RSRC2:TIDIG_COMP_CNT: 0
; COMPUTE_PGM_RSRC3_GFX90A:ACCUM_OFFSET: 0
; COMPUTE_PGM_RSRC3_GFX90A:TG_SPLIT: 0
	.section	.text._ZN7rocprim17ROCPRIM_400000_NS6detail17trampoline_kernelINS0_14default_configENS1_35radix_sort_onesweep_config_selectorIffEEZNS1_34radix_sort_onesweep_global_offsetsIS3_Lb0EN6thrust23THRUST_200600_302600_NS6detail15normal_iteratorINS8_10device_ptrIfEEEESD_jNS0_19identity_decomposerEEE10hipError_tT1_T2_PT3_SI_jT4_jjP12ihipStream_tbEUlT_E_NS1_11comp_targetILNS1_3genE6ELNS1_11target_archE950ELNS1_3gpuE13ELNS1_3repE0EEENS1_52radix_sort_onesweep_histogram_config_static_selectorELNS0_4arch9wavefront6targetE1EEEvSG_,"axG",@progbits,_ZN7rocprim17ROCPRIM_400000_NS6detail17trampoline_kernelINS0_14default_configENS1_35radix_sort_onesweep_config_selectorIffEEZNS1_34radix_sort_onesweep_global_offsetsIS3_Lb0EN6thrust23THRUST_200600_302600_NS6detail15normal_iteratorINS8_10device_ptrIfEEEESD_jNS0_19identity_decomposerEEE10hipError_tT1_T2_PT3_SI_jT4_jjP12ihipStream_tbEUlT_E_NS1_11comp_targetILNS1_3genE6ELNS1_11target_archE950ELNS1_3gpuE13ELNS1_3repE0EEENS1_52radix_sort_onesweep_histogram_config_static_selectorELNS0_4arch9wavefront6targetE1EEEvSG_,comdat
	.protected	_ZN7rocprim17ROCPRIM_400000_NS6detail17trampoline_kernelINS0_14default_configENS1_35radix_sort_onesweep_config_selectorIffEEZNS1_34radix_sort_onesweep_global_offsetsIS3_Lb0EN6thrust23THRUST_200600_302600_NS6detail15normal_iteratorINS8_10device_ptrIfEEEESD_jNS0_19identity_decomposerEEE10hipError_tT1_T2_PT3_SI_jT4_jjP12ihipStream_tbEUlT_E_NS1_11comp_targetILNS1_3genE6ELNS1_11target_archE950ELNS1_3gpuE13ELNS1_3repE0EEENS1_52radix_sort_onesweep_histogram_config_static_selectorELNS0_4arch9wavefront6targetE1EEEvSG_ ; -- Begin function _ZN7rocprim17ROCPRIM_400000_NS6detail17trampoline_kernelINS0_14default_configENS1_35radix_sort_onesweep_config_selectorIffEEZNS1_34radix_sort_onesweep_global_offsetsIS3_Lb0EN6thrust23THRUST_200600_302600_NS6detail15normal_iteratorINS8_10device_ptrIfEEEESD_jNS0_19identity_decomposerEEE10hipError_tT1_T2_PT3_SI_jT4_jjP12ihipStream_tbEUlT_E_NS1_11comp_targetILNS1_3genE6ELNS1_11target_archE950ELNS1_3gpuE13ELNS1_3repE0EEENS1_52radix_sort_onesweep_histogram_config_static_selectorELNS0_4arch9wavefront6targetE1EEEvSG_
	.globl	_ZN7rocprim17ROCPRIM_400000_NS6detail17trampoline_kernelINS0_14default_configENS1_35radix_sort_onesweep_config_selectorIffEEZNS1_34radix_sort_onesweep_global_offsetsIS3_Lb0EN6thrust23THRUST_200600_302600_NS6detail15normal_iteratorINS8_10device_ptrIfEEEESD_jNS0_19identity_decomposerEEE10hipError_tT1_T2_PT3_SI_jT4_jjP12ihipStream_tbEUlT_E_NS1_11comp_targetILNS1_3genE6ELNS1_11target_archE950ELNS1_3gpuE13ELNS1_3repE0EEENS1_52radix_sort_onesweep_histogram_config_static_selectorELNS0_4arch9wavefront6targetE1EEEvSG_
	.p2align	8
	.type	_ZN7rocprim17ROCPRIM_400000_NS6detail17trampoline_kernelINS0_14default_configENS1_35radix_sort_onesweep_config_selectorIffEEZNS1_34radix_sort_onesweep_global_offsetsIS3_Lb0EN6thrust23THRUST_200600_302600_NS6detail15normal_iteratorINS8_10device_ptrIfEEEESD_jNS0_19identity_decomposerEEE10hipError_tT1_T2_PT3_SI_jT4_jjP12ihipStream_tbEUlT_E_NS1_11comp_targetILNS1_3genE6ELNS1_11target_archE950ELNS1_3gpuE13ELNS1_3repE0EEENS1_52radix_sort_onesweep_histogram_config_static_selectorELNS0_4arch9wavefront6targetE1EEEvSG_,@function
_ZN7rocprim17ROCPRIM_400000_NS6detail17trampoline_kernelINS0_14default_configENS1_35radix_sort_onesweep_config_selectorIffEEZNS1_34radix_sort_onesweep_global_offsetsIS3_Lb0EN6thrust23THRUST_200600_302600_NS6detail15normal_iteratorINS8_10device_ptrIfEEEESD_jNS0_19identity_decomposerEEE10hipError_tT1_T2_PT3_SI_jT4_jjP12ihipStream_tbEUlT_E_NS1_11comp_targetILNS1_3genE6ELNS1_11target_archE950ELNS1_3gpuE13ELNS1_3repE0EEENS1_52radix_sort_onesweep_histogram_config_static_selectorELNS0_4arch9wavefront6targetE1EEEvSG_: ; @_ZN7rocprim17ROCPRIM_400000_NS6detail17trampoline_kernelINS0_14default_configENS1_35radix_sort_onesweep_config_selectorIffEEZNS1_34radix_sort_onesweep_global_offsetsIS3_Lb0EN6thrust23THRUST_200600_302600_NS6detail15normal_iteratorINS8_10device_ptrIfEEEESD_jNS0_19identity_decomposerEEE10hipError_tT1_T2_PT3_SI_jT4_jjP12ihipStream_tbEUlT_E_NS1_11comp_targetILNS1_3genE6ELNS1_11target_archE950ELNS1_3gpuE13ELNS1_3repE0EEENS1_52radix_sort_onesweep_histogram_config_static_selectorELNS0_4arch9wavefront6targetE1EEEvSG_
; %bb.0:
	s_load_dword s11, s[0:1], 0x14
	s_load_dwordx4 s[4:7], s[0:1], 0x0
	s_load_dwordx2 s[8:9], s[0:1], 0x1c
	s_lshl_b32 s10, s2, 13
	s_waitcnt lgkmcnt(0)
	s_cmp_ge_u32 s2, s11
	s_mov_b64 s[2:3], -1
	s_cbranch_scc0 .LBB279_159
; %bb.1:
	s_load_dword s2, s[0:1], 0x10
	s_lshl_b32 s3, s11, 13
	s_mov_b32 s11, 0
	s_lshl_b64 s[0:1], s[10:11], 2
	v_mov_b32_e32 v2, 0
	s_waitcnt lgkmcnt(0)
	s_sub_i32 s11, s2, s3
	s_add_u32 s0, s4, s0
	v_cmp_gt_u32_e32 vcc, s11, v0
	s_addc_u32 s1, s5, s1
	v_mov_b32_e32 v3, v2
	v_mov_b32_e32 v4, v2
	;; [unrolled: 1-line block ×7, first 2 shown]
	s_and_saveexec_b64 s[2:3], vcc
	s_cbranch_execz .LBB279_3
; %bb.2:
	v_lshlrev_b32_e32 v1, 2, v0
	global_load_dword v4, v1, s[0:1]
	v_mov_b32_e32 v5, v2
	v_mov_b32_e32 v6, v2
	;; [unrolled: 1-line block ×7, first 2 shown]
	s_waitcnt vmcnt(0)
	v_mov_b64_e32 v[2:3], v[4:5]
	v_mov_b64_e32 v[4:5], v[6:7]
	;; [unrolled: 1-line block ×4, first 2 shown]
.LBB279_3:
	s_or_b64 exec, exec, s[2:3]
	v_or_b32_e32 v17, 0x400, v0
	v_cmp_gt_u32_e32 vcc, s11, v17
	s_and_saveexec_b64 s[2:3], vcc
	s_cbranch_execz .LBB279_5
; %bb.4:
	v_lshlrev_b32_e32 v1, 2, v17
	global_load_dword v3, v1, s[0:1]
.LBB279_5:
	s_or_b64 exec, exec, s[2:3]
	v_or_b32_e32 v16, 0x800, v0
	v_cmp_gt_u32_e32 vcc, s11, v16
	s_and_saveexec_b64 s[2:3], vcc
	s_cbranch_execz .LBB279_7
; %bb.6:
	v_lshlrev_b32_e32 v1, 2, v16
	global_load_dword v4, v1, s[0:1]
.LBB279_7:
	;; [unrolled: 9-line block ×7, first 2 shown]
	s_or_b64 exec, exec, s[2:3]
	v_lshlrev_b32_e32 v1, 2, v0
	v_mov_b32_e32 v18, 0
	ds_write2st64_b32 v1, v18, v18 offset1:16
	ds_write2st64_b32 v1, v18, v18 offset0:32 offset1:48
	v_bfrev_b32_e32 v18, 1
	v_cmp_lt_i32_e32 vcc, -1, v2
	s_brev_b32 s0, -2
	s_cmp_le_u32 s9, s8
	v_cndmask_b32_e32 v19, -1, v18, vcc
	v_xor_b32_e32 v2, v19, v2
	v_cmp_ne_u32_e64 s[0:1], s0, v2
	s_cselect_b64 s[2:3], -1, 0
	v_cmp_le_u32_e32 vcc, s11, v0
	v_cndmask_b32_e64 v2, v18, v2, s[0:1]
	s_and_b64 s[0:1], s[2:3], exec
	s_cselect_b32 s18, 8, 10
	v_and_b32_e32 v10, 3, v0
	s_nor_b64 s[12:13], s[2:3], vcc
	v_mov_b32_e32 v18, s18
	s_waitcnt lgkmcnt(0)
	s_barrier
	s_and_saveexec_b64 s[0:1], s[12:13]
	s_cbranch_execz .LBB279_19
; %bb.18:
	s_sub_i32 s12, s9, s8
	s_min_u32 s12, s12, 8
	v_lshrrev_b32_e32 v18, s8, v2
	v_bfe_u32 v18, v18, 0, s12
	v_lshlrev_b32_e32 v19, 2, v10
	v_lshl_or_b32 v18, v18, 4, v19
	v_mov_b32_e32 v19, 1
	ds_add_u32 v18, v19
	v_mov_b32_e32 v18, 0
.LBB279_19:
	s_or_b64 exec, exec, s[0:1]
	v_cmp_gt_i32_e64 s[0:1], 10, v18
	s_mov_b64 s[14:15], -1
	s_and_saveexec_b64 s[12:13], s[0:1]
; %bb.20:
	v_cmp_eq_u32_e64 s[0:1], 0, v18
	s_orn2_b64 s[14:15], s[0:1], exec
; %bb.21:
	s_or_b64 exec, exec, s[12:13]
	s_and_saveexec_b64 s[12:13], s[14:15]
	s_cbranch_execz .LBB279_34
; %bb.22:
	s_add_i32 s14, s8, 8
	s_cmp_le_u32 s9, s14
	s_cselect_b64 s[0:1], -1, 0
	s_and_b64 s[16:17], s[0:1], exec
	s_cselect_b32 s15, 8, 10
	s_nor_b64 s[16:17], s[0:1], vcc
	v_mov_b32_e32 v18, s15
	s_and_saveexec_b64 s[0:1], s[16:17]
	s_cbranch_execz .LBB279_24
; %bb.23:
	s_sub_i32 s15, s9, s14
	s_min_u32 s15, s15, 8
	v_lshrrev_b32_e32 v18, s14, v2
	v_bfe_u32 v18, v18, 0, s15
	v_lshlrev_b32_e32 v19, 2, v10
	v_lshl_or_b32 v18, v18, 4, v19
	v_mov_b32_e32 v19, 1
	ds_add_u32 v18, v19 offset:4096
	v_mov_b32_e32 v18, 0
.LBB279_24:
	s_or_b64 exec, exec, s[0:1]
	v_cmp_gt_i32_e64 s[0:1], 10, v18
	s_mov_b64 s[14:15], -1
	s_and_saveexec_b64 s[16:17], s[0:1]
; %bb.25:
	v_cmp_eq_u32_e64 s[0:1], 0, v18
	s_orn2_b64 s[14:15], s[0:1], exec
; %bb.26:
	s_or_b64 exec, exec, s[16:17]
	s_and_b64 exec, exec, s[14:15]
	s_cbranch_execz .LBB279_34
; %bb.27:
	s_add_i32 s14, s8, 16
	s_cmp_le_u32 s9, s14
	s_cselect_b64 s[0:1], -1, 0
	s_and_b64 s[16:17], s[0:1], exec
	s_cselect_b32 s15, 8, 10
	s_nor_b64 s[16:17], s[0:1], vcc
	v_mov_b32_e32 v18, s15
	s_and_saveexec_b64 s[0:1], s[16:17]
	s_cbranch_execz .LBB279_29
; %bb.28:
	s_sub_i32 s15, s9, s14
	s_min_u32 s15, s15, 8
	v_lshrrev_b32_e32 v18, s14, v2
	v_bfe_u32 v18, v18, 0, s15
	v_lshlrev_b32_e32 v19, 2, v10
	v_lshl_or_b32 v18, v18, 4, v19
	v_mov_b32_e32 v19, 1
	ds_add_u32 v18, v19 offset:8192
	v_mov_b32_e32 v18, 0
.LBB279_29:
	s_or_b64 exec, exec, s[0:1]
	v_cmp_gt_i32_e64 s[0:1], 10, v18
	s_mov_b64 s[14:15], -1
	s_and_saveexec_b64 s[16:17], s[0:1]
; %bb.30:
	v_cmp_eq_u32_e64 s[0:1], 0, v18
	s_orn2_b64 s[14:15], s[0:1], exec
; %bb.31:
	s_or_b64 exec, exec, s[16:17]
	s_and_b64 exec, exec, s[14:15]
	s_cbranch_execz .LBB279_34
; %bb.32:
	s_add_i32 s0, s8, 24
	s_cmp_gt_u32 s9, s0
	s_cselect_b64 s[14:15], -1, 0
	s_xor_b64 s[16:17], vcc, -1
	s_and_b64 s[14:15], s[14:15], s[16:17]
	s_and_b64 exec, exec, s[14:15]
	s_cbranch_execz .LBB279_34
; %bb.33:
	s_sub_i32 s1, s9, s0
	s_min_u32 s1, s1, 8
	v_lshrrev_b32_e32 v2, s0, v2
	v_bfe_u32 v2, v2, 0, s1
	v_lshlrev_b32_e32 v18, 2, v10
	v_lshl_or_b32 v2, v2, 4, v18
	v_mov_b32_e32 v18, 1
	ds_add_u32 v2, v18 offset:12288
.LBB279_34:
	s_or_b64 exec, exec, s[12:13]
	v_bfrev_b32_e32 v2, 1
	s_waitcnt vmcnt(0)
	v_cmp_lt_i32_e32 vcc, -1, v3
	s_brev_b32 s0, -2
	s_nop 0
	v_cndmask_b32_e32 v18, -1, v2, vcc
	v_xor_b32_e32 v3, v18, v3
	v_cmp_le_u32_e32 vcc, s11, v17
	v_cmp_ne_u32_e64 s[0:1], s0, v3
	s_nor_b64 s[12:13], s[2:3], vcc
	s_nop 0
	v_cndmask_b32_e64 v2, v2, v3, s[0:1]
	v_mov_b32_e32 v3, s18
	s_and_saveexec_b64 s[0:1], s[12:13]
	s_cbranch_execz .LBB279_36
; %bb.35:
	s_sub_i32 s12, s9, s8
	s_min_u32 s12, s12, 8
	v_lshrrev_b32_e32 v3, s8, v2
	v_bfe_u32 v3, v3, 0, s12
	v_lshlrev_b32_e32 v17, 2, v10
	v_lshl_or_b32 v3, v3, 4, v17
	v_mov_b32_e32 v17, 1
	ds_add_u32 v3, v17
	v_mov_b32_e32 v3, 0
.LBB279_36:
	s_or_b64 exec, exec, s[0:1]
	v_cmp_gt_i32_e64 s[0:1], 10, v3
	s_mov_b64 s[14:15], -1
	s_and_saveexec_b64 s[12:13], s[0:1]
; %bb.37:
	v_cmp_eq_u32_e64 s[0:1], 0, v3
	s_orn2_b64 s[14:15], s[0:1], exec
; %bb.38:
	s_or_b64 exec, exec, s[12:13]
	s_and_saveexec_b64 s[12:13], s[14:15]
	s_cbranch_execz .LBB279_51
; %bb.39:
	s_add_i32 s14, s8, 8
	s_cmp_le_u32 s9, s14
	s_cselect_b64 s[0:1], -1, 0
	s_and_b64 s[16:17], s[0:1], exec
	s_cselect_b32 s15, 8, 10
	s_nor_b64 s[16:17], s[0:1], vcc
	v_mov_b32_e32 v3, s15
	s_and_saveexec_b64 s[0:1], s[16:17]
	s_cbranch_execz .LBB279_41
; %bb.40:
	s_sub_i32 s15, s9, s14
	s_min_u32 s15, s15, 8
	v_lshrrev_b32_e32 v3, s14, v2
	v_bfe_u32 v3, v3, 0, s15
	v_lshlrev_b32_e32 v17, 2, v10
	v_lshl_or_b32 v3, v3, 4, v17
	v_mov_b32_e32 v17, 1
	ds_add_u32 v3, v17 offset:4096
	v_mov_b32_e32 v3, 0
.LBB279_41:
	s_or_b64 exec, exec, s[0:1]
	v_cmp_gt_i32_e64 s[0:1], 10, v3
	s_mov_b64 s[14:15], -1
	s_and_saveexec_b64 s[16:17], s[0:1]
; %bb.42:
	v_cmp_eq_u32_e64 s[0:1], 0, v3
	s_orn2_b64 s[14:15], s[0:1], exec
; %bb.43:
	s_or_b64 exec, exec, s[16:17]
	s_and_b64 exec, exec, s[14:15]
	s_cbranch_execz .LBB279_51
; %bb.44:
	s_add_i32 s14, s8, 16
	s_cmp_le_u32 s9, s14
	s_cselect_b64 s[0:1], -1, 0
	s_and_b64 s[16:17], s[0:1], exec
	s_cselect_b32 s15, 8, 10
	s_nor_b64 s[16:17], s[0:1], vcc
	v_mov_b32_e32 v3, s15
	s_and_saveexec_b64 s[0:1], s[16:17]
	s_cbranch_execz .LBB279_46
; %bb.45:
	s_sub_i32 s15, s9, s14
	s_min_u32 s15, s15, 8
	v_lshrrev_b32_e32 v3, s14, v2
	v_bfe_u32 v3, v3, 0, s15
	v_lshlrev_b32_e32 v17, 2, v10
	v_lshl_or_b32 v3, v3, 4, v17
	v_mov_b32_e32 v17, 1
	ds_add_u32 v3, v17 offset:8192
	v_mov_b32_e32 v3, 0
.LBB279_46:
	s_or_b64 exec, exec, s[0:1]
	v_cmp_gt_i32_e64 s[0:1], 10, v3
	s_mov_b64 s[14:15], -1
	s_and_saveexec_b64 s[16:17], s[0:1]
; %bb.47:
	v_cmp_eq_u32_e64 s[0:1], 0, v3
	s_orn2_b64 s[14:15], s[0:1], exec
; %bb.48:
	s_or_b64 exec, exec, s[16:17]
	s_and_b64 exec, exec, s[14:15]
	s_cbranch_execz .LBB279_51
; %bb.49:
	s_add_i32 s0, s8, 24
	s_cmp_gt_u32 s9, s0
	s_cselect_b64 s[14:15], -1, 0
	s_xor_b64 s[16:17], vcc, -1
	s_and_b64 s[14:15], s[14:15], s[16:17]
	s_and_b64 exec, exec, s[14:15]
	s_cbranch_execz .LBB279_51
; %bb.50:
	s_sub_i32 s1, s9, s0
	s_min_u32 s1, s1, 8
	v_lshrrev_b32_e32 v2, s0, v2
	v_bfe_u32 v2, v2, 0, s1
	v_lshlrev_b32_e32 v3, 2, v10
	v_lshl_or_b32 v2, v2, 4, v3
	v_mov_b32_e32 v3, 1
	ds_add_u32 v2, v3 offset:12288
.LBB279_51:
	s_or_b64 exec, exec, s[12:13]
	v_bfrev_b32_e32 v2, 1
	v_cmp_lt_i32_e32 vcc, -1, v4
	s_brev_b32 s0, -2
	s_nop 0
	v_cndmask_b32_e32 v3, -1, v2, vcc
	v_xor_b32_e32 v3, v3, v4
	v_cmp_le_u32_e32 vcc, s11, v16
	v_cmp_ne_u32_e64 s[0:1], s0, v3
	s_nor_b64 s[12:13], s[2:3], vcc
	s_nop 0
	v_cndmask_b32_e64 v2, v2, v3, s[0:1]
	v_mov_b32_e32 v3, s18
	s_and_saveexec_b64 s[0:1], s[12:13]
	s_cbranch_execz .LBB279_53
; %bb.52:
	s_sub_i32 s12, s9, s8
	s_min_u32 s12, s12, 8
	v_lshrrev_b32_e32 v3, s8, v2
	v_bfe_u32 v3, v3, 0, s12
	v_lshlrev_b32_e32 v4, 2, v10
	v_lshl_or_b32 v3, v3, 4, v4
	v_mov_b32_e32 v4, 1
	ds_add_u32 v3, v4
	v_mov_b32_e32 v3, 0
.LBB279_53:
	s_or_b64 exec, exec, s[0:1]
	v_cmp_gt_i32_e64 s[0:1], 10, v3
	s_mov_b64 s[14:15], -1
	s_and_saveexec_b64 s[12:13], s[0:1]
; %bb.54:
	v_cmp_eq_u32_e64 s[0:1], 0, v3
	s_orn2_b64 s[14:15], s[0:1], exec
; %bb.55:
	s_or_b64 exec, exec, s[12:13]
	s_and_saveexec_b64 s[12:13], s[14:15]
	s_cbranch_execz .LBB279_68
; %bb.56:
	s_add_i32 s14, s8, 8
	s_cmp_le_u32 s9, s14
	s_cselect_b64 s[0:1], -1, 0
	s_and_b64 s[16:17], s[0:1], exec
	s_cselect_b32 s15, 8, 10
	s_nor_b64 s[16:17], s[0:1], vcc
	v_mov_b32_e32 v3, s15
	s_and_saveexec_b64 s[0:1], s[16:17]
	s_cbranch_execz .LBB279_58
; %bb.57:
	s_sub_i32 s15, s9, s14
	s_min_u32 s15, s15, 8
	v_lshrrev_b32_e32 v3, s14, v2
	v_bfe_u32 v3, v3, 0, s15
	v_lshlrev_b32_e32 v4, 2, v10
	v_lshl_or_b32 v3, v3, 4, v4
	v_mov_b32_e32 v4, 1
	ds_add_u32 v3, v4 offset:4096
	v_mov_b32_e32 v3, 0
.LBB279_58:
	s_or_b64 exec, exec, s[0:1]
	v_cmp_gt_i32_e64 s[0:1], 10, v3
	s_mov_b64 s[14:15], -1
	s_and_saveexec_b64 s[16:17], s[0:1]
; %bb.59:
	v_cmp_eq_u32_e64 s[0:1], 0, v3
	s_orn2_b64 s[14:15], s[0:1], exec
; %bb.60:
	s_or_b64 exec, exec, s[16:17]
	s_and_b64 exec, exec, s[14:15]
	s_cbranch_execz .LBB279_68
; %bb.61:
	s_add_i32 s14, s8, 16
	s_cmp_le_u32 s9, s14
	s_cselect_b64 s[0:1], -1, 0
	s_and_b64 s[16:17], s[0:1], exec
	s_cselect_b32 s15, 8, 10
	s_nor_b64 s[16:17], s[0:1], vcc
	v_mov_b32_e32 v3, s15
	s_and_saveexec_b64 s[0:1], s[16:17]
	s_cbranch_execz .LBB279_63
; %bb.62:
	s_sub_i32 s15, s9, s14
	s_min_u32 s15, s15, 8
	v_lshrrev_b32_e32 v3, s14, v2
	v_bfe_u32 v3, v3, 0, s15
	v_lshlrev_b32_e32 v4, 2, v10
	v_lshl_or_b32 v3, v3, 4, v4
	v_mov_b32_e32 v4, 1
	ds_add_u32 v3, v4 offset:8192
	v_mov_b32_e32 v3, 0
.LBB279_63:
	s_or_b64 exec, exec, s[0:1]
	v_cmp_gt_i32_e64 s[0:1], 10, v3
	s_mov_b64 s[14:15], -1
	s_and_saveexec_b64 s[16:17], s[0:1]
; %bb.64:
	v_cmp_eq_u32_e64 s[0:1], 0, v3
	s_orn2_b64 s[14:15], s[0:1], exec
; %bb.65:
	s_or_b64 exec, exec, s[16:17]
	s_and_b64 exec, exec, s[14:15]
	s_cbranch_execz .LBB279_68
; %bb.66:
	s_add_i32 s0, s8, 24
	s_cmp_gt_u32 s9, s0
	s_cselect_b64 s[14:15], -1, 0
	s_xor_b64 s[16:17], vcc, -1
	s_and_b64 s[14:15], s[14:15], s[16:17]
	s_and_b64 exec, exec, s[14:15]
	s_cbranch_execz .LBB279_68
; %bb.67:
	s_sub_i32 s1, s9, s0
	s_min_u32 s1, s1, 8
	v_lshrrev_b32_e32 v2, s0, v2
	v_bfe_u32 v2, v2, 0, s1
	v_lshlrev_b32_e32 v3, 2, v10
	v_lshl_or_b32 v2, v2, 4, v3
	v_mov_b32_e32 v3, 1
	ds_add_u32 v2, v3 offset:12288
.LBB279_68:
	s_or_b64 exec, exec, s[12:13]
	v_bfrev_b32_e32 v2, 1
	v_cmp_lt_i32_e32 vcc, -1, v5
	s_brev_b32 s0, -2
	s_nop 0
	v_cndmask_b32_e32 v3, -1, v2, vcc
	v_xor_b32_e32 v3, v3, v5
	v_cmp_le_u32_e32 vcc, s11, v15
	v_cmp_ne_u32_e64 s[0:1], s0, v3
	s_nor_b64 s[12:13], s[2:3], vcc
	s_nop 0
	v_cndmask_b32_e64 v2, v2, v3, s[0:1]
	v_mov_b32_e32 v3, s18
	s_and_saveexec_b64 s[0:1], s[12:13]
	s_cbranch_execz .LBB279_70
; %bb.69:
	s_sub_i32 s12, s9, s8
	s_min_u32 s12, s12, 8
	v_lshrrev_b32_e32 v3, s8, v2
	v_bfe_u32 v3, v3, 0, s12
	v_lshlrev_b32_e32 v4, 2, v10
	v_lshl_or_b32 v3, v3, 4, v4
	v_mov_b32_e32 v4, 1
	ds_add_u32 v3, v4
	v_mov_b32_e32 v3, 0
.LBB279_70:
	s_or_b64 exec, exec, s[0:1]
	v_cmp_gt_i32_e64 s[0:1], 10, v3
	s_mov_b64 s[14:15], -1
	s_and_saveexec_b64 s[12:13], s[0:1]
; %bb.71:
	v_cmp_eq_u32_e64 s[0:1], 0, v3
	s_orn2_b64 s[14:15], s[0:1], exec
; %bb.72:
	s_or_b64 exec, exec, s[12:13]
	s_and_saveexec_b64 s[12:13], s[14:15]
	s_cbranch_execz .LBB279_85
; %bb.73:
	s_add_i32 s14, s8, 8
	s_cmp_le_u32 s9, s14
	s_cselect_b64 s[0:1], -1, 0
	s_and_b64 s[16:17], s[0:1], exec
	s_cselect_b32 s15, 8, 10
	s_nor_b64 s[16:17], s[0:1], vcc
	v_mov_b32_e32 v3, s15
	s_and_saveexec_b64 s[0:1], s[16:17]
	s_cbranch_execz .LBB279_75
; %bb.74:
	s_sub_i32 s15, s9, s14
	s_min_u32 s15, s15, 8
	v_lshrrev_b32_e32 v3, s14, v2
	v_bfe_u32 v3, v3, 0, s15
	v_lshlrev_b32_e32 v4, 2, v10
	v_lshl_or_b32 v3, v3, 4, v4
	v_mov_b32_e32 v4, 1
	ds_add_u32 v3, v4 offset:4096
	v_mov_b32_e32 v3, 0
.LBB279_75:
	s_or_b64 exec, exec, s[0:1]
	v_cmp_gt_i32_e64 s[0:1], 10, v3
	s_mov_b64 s[14:15], -1
	s_and_saveexec_b64 s[16:17], s[0:1]
; %bb.76:
	v_cmp_eq_u32_e64 s[0:1], 0, v3
	s_orn2_b64 s[14:15], s[0:1], exec
; %bb.77:
	s_or_b64 exec, exec, s[16:17]
	s_and_b64 exec, exec, s[14:15]
	s_cbranch_execz .LBB279_85
; %bb.78:
	s_add_i32 s14, s8, 16
	s_cmp_le_u32 s9, s14
	s_cselect_b64 s[0:1], -1, 0
	s_and_b64 s[16:17], s[0:1], exec
	s_cselect_b32 s15, 8, 10
	s_nor_b64 s[16:17], s[0:1], vcc
	v_mov_b32_e32 v3, s15
	s_and_saveexec_b64 s[0:1], s[16:17]
	s_cbranch_execz .LBB279_80
; %bb.79:
	s_sub_i32 s15, s9, s14
	s_min_u32 s15, s15, 8
	v_lshrrev_b32_e32 v3, s14, v2
	v_bfe_u32 v3, v3, 0, s15
	v_lshlrev_b32_e32 v4, 2, v10
	v_lshl_or_b32 v3, v3, 4, v4
	v_mov_b32_e32 v4, 1
	ds_add_u32 v3, v4 offset:8192
	v_mov_b32_e32 v3, 0
.LBB279_80:
	s_or_b64 exec, exec, s[0:1]
	v_cmp_gt_i32_e64 s[0:1], 10, v3
	s_mov_b64 s[14:15], -1
	s_and_saveexec_b64 s[16:17], s[0:1]
; %bb.81:
	v_cmp_eq_u32_e64 s[0:1], 0, v3
	s_orn2_b64 s[14:15], s[0:1], exec
; %bb.82:
	s_or_b64 exec, exec, s[16:17]
	s_and_b64 exec, exec, s[14:15]
	s_cbranch_execz .LBB279_85
; %bb.83:
	s_add_i32 s0, s8, 24
	s_cmp_gt_u32 s9, s0
	s_cselect_b64 s[14:15], -1, 0
	s_xor_b64 s[16:17], vcc, -1
	s_and_b64 s[14:15], s[14:15], s[16:17]
	s_and_b64 exec, exec, s[14:15]
	s_cbranch_execz .LBB279_85
; %bb.84:
	s_sub_i32 s1, s9, s0
	s_min_u32 s1, s1, 8
	v_lshrrev_b32_e32 v2, s0, v2
	v_bfe_u32 v2, v2, 0, s1
	v_lshlrev_b32_e32 v3, 2, v10
	v_lshl_or_b32 v2, v2, 4, v3
	v_mov_b32_e32 v3, 1
	ds_add_u32 v2, v3 offset:12288
.LBB279_85:
	s_or_b64 exec, exec, s[12:13]
	v_bfrev_b32_e32 v2, 1
	v_cmp_lt_i32_e32 vcc, -1, v6
	s_brev_b32 s0, -2
	s_nop 0
	v_cndmask_b32_e32 v3, -1, v2, vcc
	v_xor_b32_e32 v3, v3, v6
	v_cmp_le_u32_e32 vcc, s11, v14
	v_cmp_ne_u32_e64 s[0:1], s0, v3
	s_nor_b64 s[12:13], s[2:3], vcc
	s_nop 0
	v_cndmask_b32_e64 v2, v2, v3, s[0:1]
	v_mov_b32_e32 v3, s18
	s_and_saveexec_b64 s[0:1], s[12:13]
	s_cbranch_execz .LBB279_87
; %bb.86:
	s_sub_i32 s12, s9, s8
	s_min_u32 s12, s12, 8
	v_lshrrev_b32_e32 v3, s8, v2
	v_bfe_u32 v3, v3, 0, s12
	v_lshlrev_b32_e32 v4, 2, v10
	v_lshl_or_b32 v3, v3, 4, v4
	v_mov_b32_e32 v4, 1
	ds_add_u32 v3, v4
	v_mov_b32_e32 v3, 0
.LBB279_87:
	s_or_b64 exec, exec, s[0:1]
	v_cmp_gt_i32_e64 s[0:1], 10, v3
	s_mov_b64 s[14:15], -1
	s_and_saveexec_b64 s[12:13], s[0:1]
; %bb.88:
	v_cmp_eq_u32_e64 s[0:1], 0, v3
	s_orn2_b64 s[14:15], s[0:1], exec
; %bb.89:
	s_or_b64 exec, exec, s[12:13]
	s_and_saveexec_b64 s[12:13], s[14:15]
	s_cbranch_execz .LBB279_102
; %bb.90:
	s_add_i32 s14, s8, 8
	s_cmp_le_u32 s9, s14
	s_cselect_b64 s[0:1], -1, 0
	s_and_b64 s[16:17], s[0:1], exec
	s_cselect_b32 s15, 8, 10
	s_nor_b64 s[16:17], s[0:1], vcc
	v_mov_b32_e32 v3, s15
	s_and_saveexec_b64 s[0:1], s[16:17]
	s_cbranch_execz .LBB279_92
; %bb.91:
	s_sub_i32 s15, s9, s14
	s_min_u32 s15, s15, 8
	v_lshrrev_b32_e32 v3, s14, v2
	v_bfe_u32 v3, v3, 0, s15
	v_lshlrev_b32_e32 v4, 2, v10
	v_lshl_or_b32 v3, v3, 4, v4
	v_mov_b32_e32 v4, 1
	ds_add_u32 v3, v4 offset:4096
	v_mov_b32_e32 v3, 0
.LBB279_92:
	s_or_b64 exec, exec, s[0:1]
	v_cmp_gt_i32_e64 s[0:1], 10, v3
	s_mov_b64 s[14:15], -1
	s_and_saveexec_b64 s[16:17], s[0:1]
; %bb.93:
	v_cmp_eq_u32_e64 s[0:1], 0, v3
	s_orn2_b64 s[14:15], s[0:1], exec
; %bb.94:
	s_or_b64 exec, exec, s[16:17]
	s_and_b64 exec, exec, s[14:15]
	s_cbranch_execz .LBB279_102
; %bb.95:
	s_add_i32 s14, s8, 16
	s_cmp_le_u32 s9, s14
	s_cselect_b64 s[0:1], -1, 0
	s_and_b64 s[16:17], s[0:1], exec
	s_cselect_b32 s15, 8, 10
	s_nor_b64 s[16:17], s[0:1], vcc
	v_mov_b32_e32 v3, s15
	s_and_saveexec_b64 s[0:1], s[16:17]
	s_cbranch_execz .LBB279_97
; %bb.96:
	s_sub_i32 s15, s9, s14
	s_min_u32 s15, s15, 8
	v_lshrrev_b32_e32 v3, s14, v2
	v_bfe_u32 v3, v3, 0, s15
	v_lshlrev_b32_e32 v4, 2, v10
	v_lshl_or_b32 v3, v3, 4, v4
	v_mov_b32_e32 v4, 1
	ds_add_u32 v3, v4 offset:8192
	v_mov_b32_e32 v3, 0
.LBB279_97:
	s_or_b64 exec, exec, s[0:1]
	v_cmp_gt_i32_e64 s[0:1], 10, v3
	s_mov_b64 s[14:15], -1
	s_and_saveexec_b64 s[16:17], s[0:1]
; %bb.98:
	v_cmp_eq_u32_e64 s[0:1], 0, v3
	s_orn2_b64 s[14:15], s[0:1], exec
; %bb.99:
	s_or_b64 exec, exec, s[16:17]
	s_and_b64 exec, exec, s[14:15]
	s_cbranch_execz .LBB279_102
; %bb.100:
	s_add_i32 s0, s8, 24
	s_cmp_gt_u32 s9, s0
	s_cselect_b64 s[14:15], -1, 0
	s_xor_b64 s[16:17], vcc, -1
	s_and_b64 s[14:15], s[14:15], s[16:17]
	s_and_b64 exec, exec, s[14:15]
	s_cbranch_execz .LBB279_102
; %bb.101:
	s_sub_i32 s1, s9, s0
	s_min_u32 s1, s1, 8
	v_lshrrev_b32_e32 v2, s0, v2
	v_bfe_u32 v2, v2, 0, s1
	v_lshlrev_b32_e32 v3, 2, v10
	v_lshl_or_b32 v2, v2, 4, v3
	v_mov_b32_e32 v3, 1
	ds_add_u32 v2, v3 offset:12288
.LBB279_102:
	s_or_b64 exec, exec, s[12:13]
	v_bfrev_b32_e32 v2, 1
	v_cmp_lt_i32_e32 vcc, -1, v7
	s_brev_b32 s0, -2
	s_nop 0
	v_cndmask_b32_e32 v3, -1, v2, vcc
	v_xor_b32_e32 v3, v3, v7
	v_cmp_le_u32_e32 vcc, s11, v13
	v_cmp_ne_u32_e64 s[0:1], s0, v3
	s_nor_b64 s[12:13], s[2:3], vcc
	s_nop 0
	v_cndmask_b32_e64 v2, v2, v3, s[0:1]
	v_mov_b32_e32 v3, s18
	s_and_saveexec_b64 s[0:1], s[12:13]
	s_cbranch_execz .LBB279_104
; %bb.103:
	s_sub_i32 s12, s9, s8
	s_min_u32 s12, s12, 8
	v_lshrrev_b32_e32 v3, s8, v2
	v_bfe_u32 v3, v3, 0, s12
	v_lshlrev_b32_e32 v4, 2, v10
	v_lshl_or_b32 v3, v3, 4, v4
	v_mov_b32_e32 v4, 1
	ds_add_u32 v3, v4
	v_mov_b32_e32 v3, 0
.LBB279_104:
	s_or_b64 exec, exec, s[0:1]
	v_cmp_gt_i32_e64 s[0:1], 10, v3
	s_mov_b64 s[14:15], -1
	s_and_saveexec_b64 s[12:13], s[0:1]
; %bb.105:
	v_cmp_eq_u32_e64 s[0:1], 0, v3
	s_orn2_b64 s[14:15], s[0:1], exec
; %bb.106:
	s_or_b64 exec, exec, s[12:13]
	s_and_saveexec_b64 s[12:13], s[14:15]
	s_cbranch_execz .LBB279_119
; %bb.107:
	s_add_i32 s14, s8, 8
	s_cmp_le_u32 s9, s14
	s_cselect_b64 s[0:1], -1, 0
	s_and_b64 s[16:17], s[0:1], exec
	s_cselect_b32 s15, 8, 10
	s_nor_b64 s[16:17], s[0:1], vcc
	v_mov_b32_e32 v3, s15
	s_and_saveexec_b64 s[0:1], s[16:17]
	s_cbranch_execz .LBB279_109
; %bb.108:
	s_sub_i32 s15, s9, s14
	s_min_u32 s15, s15, 8
	v_lshrrev_b32_e32 v3, s14, v2
	v_bfe_u32 v3, v3, 0, s15
	v_lshlrev_b32_e32 v4, 2, v10
	v_lshl_or_b32 v3, v3, 4, v4
	v_mov_b32_e32 v4, 1
	ds_add_u32 v3, v4 offset:4096
	v_mov_b32_e32 v3, 0
.LBB279_109:
	s_or_b64 exec, exec, s[0:1]
	v_cmp_gt_i32_e64 s[0:1], 10, v3
	s_mov_b64 s[14:15], -1
	s_and_saveexec_b64 s[16:17], s[0:1]
; %bb.110:
	v_cmp_eq_u32_e64 s[0:1], 0, v3
	s_orn2_b64 s[14:15], s[0:1], exec
; %bb.111:
	s_or_b64 exec, exec, s[16:17]
	s_and_b64 exec, exec, s[14:15]
	s_cbranch_execz .LBB279_119
; %bb.112:
	s_add_i32 s14, s8, 16
	s_cmp_le_u32 s9, s14
	s_cselect_b64 s[0:1], -1, 0
	s_and_b64 s[16:17], s[0:1], exec
	s_cselect_b32 s15, 8, 10
	s_nor_b64 s[16:17], s[0:1], vcc
	v_mov_b32_e32 v3, s15
	s_and_saveexec_b64 s[0:1], s[16:17]
	s_cbranch_execz .LBB279_114
; %bb.113:
	s_sub_i32 s15, s9, s14
	s_min_u32 s15, s15, 8
	v_lshrrev_b32_e32 v3, s14, v2
	v_bfe_u32 v3, v3, 0, s15
	v_lshlrev_b32_e32 v4, 2, v10
	v_lshl_or_b32 v3, v3, 4, v4
	v_mov_b32_e32 v4, 1
	ds_add_u32 v3, v4 offset:8192
	v_mov_b32_e32 v3, 0
.LBB279_114:
	s_or_b64 exec, exec, s[0:1]
	v_cmp_gt_i32_e64 s[0:1], 10, v3
	s_mov_b64 s[14:15], -1
	s_and_saveexec_b64 s[16:17], s[0:1]
; %bb.115:
	v_cmp_eq_u32_e64 s[0:1], 0, v3
	s_orn2_b64 s[14:15], s[0:1], exec
; %bb.116:
	s_or_b64 exec, exec, s[16:17]
	s_and_b64 exec, exec, s[14:15]
	s_cbranch_execz .LBB279_119
; %bb.117:
	s_add_i32 s0, s8, 24
	s_cmp_gt_u32 s9, s0
	s_cselect_b64 s[14:15], -1, 0
	s_xor_b64 s[16:17], vcc, -1
	s_and_b64 s[14:15], s[14:15], s[16:17]
	s_and_b64 exec, exec, s[14:15]
	s_cbranch_execz .LBB279_119
; %bb.118:
	s_sub_i32 s1, s9, s0
	s_min_u32 s1, s1, 8
	v_lshrrev_b32_e32 v2, s0, v2
	v_bfe_u32 v2, v2, 0, s1
	v_lshlrev_b32_e32 v3, 2, v10
	v_lshl_or_b32 v2, v2, 4, v3
	v_mov_b32_e32 v3, 1
	ds_add_u32 v2, v3 offset:12288
.LBB279_119:
	s_or_b64 exec, exec, s[12:13]
	v_bfrev_b32_e32 v2, 1
	v_cmp_lt_i32_e32 vcc, -1, v8
	s_brev_b32 s0, -2
	s_nop 0
	v_cndmask_b32_e32 v3, -1, v2, vcc
	v_xor_b32_e32 v3, v3, v8
	v_cmp_le_u32_e32 vcc, s11, v12
	v_cmp_ne_u32_e64 s[0:1], s0, v3
	s_nor_b64 s[12:13], s[2:3], vcc
	s_nop 0
	v_cndmask_b32_e64 v2, v2, v3, s[0:1]
	v_mov_b32_e32 v3, s18
	s_and_saveexec_b64 s[0:1], s[12:13]
	s_cbranch_execz .LBB279_121
; %bb.120:
	s_sub_i32 s12, s9, s8
	s_min_u32 s12, s12, 8
	v_lshrrev_b32_e32 v3, s8, v2
	v_bfe_u32 v3, v3, 0, s12
	v_lshlrev_b32_e32 v4, 2, v10
	v_lshl_or_b32 v3, v3, 4, v4
	v_mov_b32_e32 v4, 1
	ds_add_u32 v3, v4
	v_mov_b32_e32 v3, 0
.LBB279_121:
	s_or_b64 exec, exec, s[0:1]
	v_cmp_gt_i32_e64 s[0:1], 10, v3
	s_mov_b64 s[14:15], -1
	s_and_saveexec_b64 s[12:13], s[0:1]
; %bb.122:
	v_cmp_eq_u32_e64 s[0:1], 0, v3
	s_orn2_b64 s[14:15], s[0:1], exec
; %bb.123:
	s_or_b64 exec, exec, s[12:13]
	s_and_saveexec_b64 s[12:13], s[14:15]
	s_cbranch_execz .LBB279_136
; %bb.124:
	s_add_i32 s14, s8, 8
	s_cmp_le_u32 s9, s14
	s_cselect_b64 s[0:1], -1, 0
	s_and_b64 s[16:17], s[0:1], exec
	s_cselect_b32 s15, 8, 10
	s_nor_b64 s[16:17], s[0:1], vcc
	v_mov_b32_e32 v3, s15
	s_and_saveexec_b64 s[0:1], s[16:17]
	s_cbranch_execz .LBB279_126
; %bb.125:
	s_sub_i32 s15, s9, s14
	s_min_u32 s15, s15, 8
	v_lshrrev_b32_e32 v3, s14, v2
	v_bfe_u32 v3, v3, 0, s15
	v_lshlrev_b32_e32 v4, 2, v10
	v_lshl_or_b32 v3, v3, 4, v4
	v_mov_b32_e32 v4, 1
	ds_add_u32 v3, v4 offset:4096
	v_mov_b32_e32 v3, 0
.LBB279_126:
	s_or_b64 exec, exec, s[0:1]
	v_cmp_gt_i32_e64 s[0:1], 10, v3
	s_mov_b64 s[14:15], -1
	s_and_saveexec_b64 s[16:17], s[0:1]
; %bb.127:
	v_cmp_eq_u32_e64 s[0:1], 0, v3
	s_orn2_b64 s[14:15], s[0:1], exec
; %bb.128:
	s_or_b64 exec, exec, s[16:17]
	s_and_b64 exec, exec, s[14:15]
	s_cbranch_execz .LBB279_136
; %bb.129:
	s_add_i32 s14, s8, 16
	s_cmp_le_u32 s9, s14
	s_cselect_b64 s[0:1], -1, 0
	s_and_b64 s[16:17], s[0:1], exec
	s_cselect_b32 s15, 8, 10
	s_nor_b64 s[16:17], s[0:1], vcc
	v_mov_b32_e32 v3, s15
	s_and_saveexec_b64 s[0:1], s[16:17]
	s_cbranch_execz .LBB279_131
; %bb.130:
	s_sub_i32 s15, s9, s14
	s_min_u32 s15, s15, 8
	v_lshrrev_b32_e32 v3, s14, v2
	v_bfe_u32 v3, v3, 0, s15
	v_lshlrev_b32_e32 v4, 2, v10
	v_lshl_or_b32 v3, v3, 4, v4
	v_mov_b32_e32 v4, 1
	ds_add_u32 v3, v4 offset:8192
	v_mov_b32_e32 v3, 0
.LBB279_131:
	s_or_b64 exec, exec, s[0:1]
	v_cmp_gt_i32_e64 s[0:1], 10, v3
	s_mov_b64 s[14:15], -1
	s_and_saveexec_b64 s[16:17], s[0:1]
; %bb.132:
	v_cmp_eq_u32_e64 s[0:1], 0, v3
	s_orn2_b64 s[14:15], s[0:1], exec
; %bb.133:
	s_or_b64 exec, exec, s[16:17]
	s_and_b64 exec, exec, s[14:15]
	s_cbranch_execz .LBB279_136
; %bb.134:
	s_add_i32 s0, s8, 24
	s_cmp_gt_u32 s9, s0
	s_cselect_b64 s[14:15], -1, 0
	s_xor_b64 s[16:17], vcc, -1
	s_and_b64 s[14:15], s[14:15], s[16:17]
	s_and_b64 exec, exec, s[14:15]
	s_cbranch_execz .LBB279_136
; %bb.135:
	s_sub_i32 s1, s9, s0
	s_min_u32 s1, s1, 8
	v_lshrrev_b32_e32 v2, s0, v2
	v_bfe_u32 v2, v2, 0, s1
	v_lshlrev_b32_e32 v3, 2, v10
	v_lshl_or_b32 v2, v2, 4, v3
	v_mov_b32_e32 v3, 1
	ds_add_u32 v2, v3 offset:12288
.LBB279_136:
	s_or_b64 exec, exec, s[12:13]
	v_bfrev_b32_e32 v2, 1
	v_cmp_lt_i32_e32 vcc, -1, v9
	s_brev_b32 s0, -2
	s_nop 0
	v_cndmask_b32_e32 v3, -1, v2, vcc
	v_xor_b32_e32 v3, v3, v9
	v_cmp_le_u32_e32 vcc, s11, v11
	v_cmp_ne_u32_e64 s[0:1], s0, v3
	s_nor_b64 s[2:3], s[2:3], vcc
	s_nop 0
	v_cndmask_b32_e64 v2, v2, v3, s[0:1]
	v_mov_b32_e32 v3, s18
	s_and_saveexec_b64 s[0:1], s[2:3]
	s_cbranch_execz .LBB279_138
; %bb.137:
	s_sub_i32 s2, s9, s8
	s_min_u32 s2, s2, 8
	v_lshrrev_b32_e32 v3, s8, v2
	v_bfe_u32 v3, v3, 0, s2
	v_lshlrev_b32_e32 v4, 2, v10
	v_lshl_or_b32 v3, v3, 4, v4
	v_mov_b32_e32 v4, 1
	ds_add_u32 v3, v4
	v_mov_b32_e32 v3, 0
.LBB279_138:
	s_or_b64 exec, exec, s[0:1]
	v_cmp_gt_i32_e64 s[0:1], 10, v3
	s_mov_b64 s[12:13], -1
	s_and_saveexec_b64 s[2:3], s[0:1]
; %bb.139:
	v_cmp_eq_u32_e64 s[0:1], 0, v3
	s_orn2_b64 s[12:13], s[0:1], exec
; %bb.140:
	s_or_b64 exec, exec, s[2:3]
	s_and_saveexec_b64 s[2:3], s[12:13]
	s_cbranch_execz .LBB279_153
; %bb.141:
	s_add_i32 s11, s8, 8
	s_cmp_le_u32 s9, s11
	s_cselect_b64 s[0:1], -1, 0
	s_and_b64 s[12:13], s[0:1], exec
	s_cselect_b32 s14, 8, 10
	s_nor_b64 s[12:13], s[0:1], vcc
	v_mov_b32_e32 v3, s14
	s_and_saveexec_b64 s[0:1], s[12:13]
	s_cbranch_execz .LBB279_143
; %bb.142:
	s_sub_i32 s12, s9, s11
	s_min_u32 s12, s12, 8
	v_lshrrev_b32_e32 v3, s11, v2
	v_bfe_u32 v3, v3, 0, s12
	v_lshlrev_b32_e32 v4, 2, v10
	v_lshl_or_b32 v3, v3, 4, v4
	v_mov_b32_e32 v4, 1
	ds_add_u32 v3, v4 offset:4096
	v_mov_b32_e32 v3, 0
.LBB279_143:
	s_or_b64 exec, exec, s[0:1]
	v_cmp_gt_i32_e64 s[0:1], 10, v3
	s_mov_b64 s[12:13], -1
	s_and_saveexec_b64 s[14:15], s[0:1]
; %bb.144:
	v_cmp_eq_u32_e64 s[0:1], 0, v3
	s_orn2_b64 s[12:13], s[0:1], exec
; %bb.145:
	s_or_b64 exec, exec, s[14:15]
	s_and_b64 exec, exec, s[12:13]
	s_cbranch_execz .LBB279_153
; %bb.146:
	s_add_i32 s11, s8, 16
	s_cmp_le_u32 s9, s11
	s_cselect_b64 s[0:1], -1, 0
	s_and_b64 s[12:13], s[0:1], exec
	s_cselect_b32 s14, 8, 10
	s_nor_b64 s[12:13], s[0:1], vcc
	v_mov_b32_e32 v3, s14
	s_and_saveexec_b64 s[0:1], s[12:13]
	s_cbranch_execz .LBB279_148
; %bb.147:
	s_sub_i32 s12, s9, s11
	s_min_u32 s12, s12, 8
	v_lshrrev_b32_e32 v3, s11, v2
	v_bfe_u32 v3, v3, 0, s12
	v_lshlrev_b32_e32 v4, 2, v10
	v_lshl_or_b32 v3, v3, 4, v4
	v_mov_b32_e32 v4, 1
	ds_add_u32 v3, v4 offset:8192
	v_mov_b32_e32 v3, 0
.LBB279_148:
	s_or_b64 exec, exec, s[0:1]
	v_cmp_gt_i32_e64 s[0:1], 10, v3
	s_mov_b64 s[12:13], -1
	s_and_saveexec_b64 s[14:15], s[0:1]
; %bb.149:
	v_cmp_eq_u32_e64 s[0:1], 0, v3
	s_orn2_b64 s[12:13], s[0:1], exec
; %bb.150:
	s_or_b64 exec, exec, s[14:15]
	s_and_b64 exec, exec, s[12:13]
	s_cbranch_execz .LBB279_153
; %bb.151:
	s_add_i32 s0, s8, 24
	s_cmp_gt_u32 s9, s0
	s_cselect_b64 s[12:13], -1, 0
	s_xor_b64 s[14:15], vcc, -1
	s_and_b64 s[12:13], s[12:13], s[14:15]
	s_and_b64 exec, exec, s[12:13]
	s_cbranch_execz .LBB279_153
; %bb.152:
	s_sub_i32 s1, s9, s0
	s_min_u32 s1, s1, 8
	v_lshrrev_b32_e32 v2, s0, v2
	v_bfe_u32 v2, v2, 0, s1
	v_lshlrev_b32_e32 v3, 2, v10
	v_lshl_or_b32 v2, v2, 4, v3
	v_mov_b32_e32 v3, 1
	ds_add_u32 v2, v3 offset:12288
.LBB279_153:
	s_or_b64 exec, exec, s[2:3]
	s_cmp_gt_u32 s9, s8
	s_waitcnt lgkmcnt(0)
	s_barrier
	s_cbranch_scc0 .LBB279_158
; %bb.154:
	s_movk_i32 s0, 0x100
	v_cmp_gt_u32_e32 vcc, s0, v0
	v_mad_u32_u24 v1, v0, 12, v1
	v_mov_b32_e32 v3, 0
	v_mov_b32_e32 v2, v0
	s_mov_b32 s2, s8
	s_branch .LBB279_156
.LBB279_155:                            ;   in Loop: Header=BB279_156 Depth=1
	s_or_b64 exec, exec, s[0:1]
	s_add_i32 s2, s2, 8
	v_add_u32_e32 v2, 0x100, v2
	s_cmp_lt_u32 s2, s9
	v_add_u32_e32 v1, 0x1000, v1
	s_cbranch_scc0 .LBB279_158
.LBB279_156:                            ; =>This Inner Loop Header: Depth=1
	s_and_saveexec_b64 s[0:1], vcc
	s_cbranch_execz .LBB279_155
; %bb.157:                              ;   in Loop: Header=BB279_156 Depth=1
	ds_read2_b32 v[4:5], v1 offset1:1
	ds_read2_b32 v[6:7], v1 offset0:2 offset1:3
	s_waitcnt lgkmcnt(1)
	v_add_u32_e32 v4, v5, v4
	s_waitcnt lgkmcnt(0)
	v_add3_u32 v6, v4, v6, v7
	v_lshl_add_u64 v[4:5], v[2:3], 2, s[6:7]
	global_atomic_add v[4:5], v6, off
	s_branch .LBB279_155
.LBB279_158:
	s_mov_b64 s[2:3], 0
.LBB279_159:
	s_and_b64 vcc, exec, s[2:3]
	s_cbranch_vccz .LBB279_219
; %bb.160:
	s_cmp_eq_u32 s8, 0
	s_cselect_b64 s[0:1], -1, 0
	s_cmp_eq_u32 s9, 32
	s_mov_b32 s11, 0
	s_cselect_b64 s[2:3], -1, 0
	s_and_b64 s[2:3], s[0:1], s[2:3]
	s_lshl_b64 s[0:1], s[10:11], 2
	s_add_u32 s0, s4, s0
	s_addc_u32 s1, s5, s1
	v_mov_b32_e32 v3, 0
	v_lshlrev_b32_e32 v2, 2, v0
	v_lshl_add_u64 v[4:5], s[0:1], 0, v[2:3]
	s_movk_i32 s4, 0x2000
	v_add_co_u32_e32 v14, vcc, s4, v4
	s_movk_i32 s4, 0x4000
	s_nop 0
	v_addc_co_u32_e32 v15, vcc, 0, v5, vcc
	v_add_co_u32_e32 v16, vcc, s4, v4
	s_movk_i32 s4, 0x5000
	s_nop 0
	v_addc_co_u32_e32 v17, vcc, 0, v5, vcc
	v_add_co_u32_e32 v18, vcc, s4, v4
	s_nop 1
	v_addc_co_u32_e32 v19, vcc, 0, v5, vcc
	v_add_co_u32_e32 v20, vcc, 0x6000, v4
	;; [unrolled: 3-line block ×3, first 2 shown]
	s_nop 1
	v_addc_co_u32_e32 v5, vcc, 0, v5, vcc
	global_load_dword v12, v2, s[0:1]
	global_load_dword v11, v[14:15], off offset:-4096
	global_load_dword v10, v[14:15], off
	global_load_dword v9, v[16:17], off offset:-4096
	global_load_dword v8, v[16:17], off
	global_load_dword v7, v[18:19], off
	;; [unrolled: 1-line block ×4, first 2 shown]
	s_mov_b64 s[0:1], -1
	s_and_b64 vcc, exec, s[2:3]
	s_cbranch_vccnz .LBB279_216
; %bb.161:
	s_cmp_gt_u32 s9, s8
	s_cselect_b64 s[0:1], -1, 0
	s_and_b64 vcc, exec, s[0:1]
	ds_write2st64_b32 v2, v3, v3 offset1:16
	ds_write2st64_b32 v2, v3, v3 offset0:32 offset1:48
	s_waitcnt lgkmcnt(0)
	s_barrier
	s_cbranch_vccz .LBB279_210
; %bb.162:
	v_bfrev_b32_e32 v14, 1
	s_waitcnt vmcnt(7)
	v_cmp_lt_i32_e32 vcc, -1, v12
	s_brev_b32 s4, -2
	s_sub_i32 s2, s9, s8
	v_cndmask_b32_e32 v3, -1, v14, vcc
	v_xor_b32_e32 v4, v3, v12
	s_waitcnt vmcnt(6)
	v_cmp_lt_i32_e32 vcc, -1, v11
	s_min_u32 s2, s2, 8
	s_lshl_b32 s2, -1, s2
	v_cndmask_b32_e32 v3, -1, v14, vcc
	v_cmp_ne_u32_e32 vcc, s4, v4
	v_xor_b32_e32 v5, v3, v11
	v_and_b32_e32 v3, 3, v0
	v_cndmask_b32_e32 v13, v14, v4, vcc
	v_lshrrev_b32_e32 v4, s8, v13
	v_bitop3_b32 v15, v4, s2, v4 bitop3:0x30
	v_lshlrev_b32_e32 v4, 2, v3
	v_lshl_or_b32 v15, v15, 4, v4
	v_mov_b32_e32 v16, 1
	s_not_b32 s12, s2
	ds_add_u32 v15, v16
	s_add_i32 s13, s8, 8
	s_cmp_le_u32 s9, s13
	s_cselect_b64 s[2:3], -1, 0
	s_and_b64 vcc, exec, s[2:3]
	s_cbranch_vccz .LBB279_164
; %bb.163:
	v_cmp_ne_u32_e32 vcc, s4, v5
	s_mov_b64 s[4:5], -1
	s_nop 0
	v_cndmask_b32_e32 v14, v14, v5, vcc
	v_lshrrev_b32_e32 v14, s8, v14
	v_and_b32_e32 v14, s12, v14
	v_lshlrev_b32_e32 v14, 4, v14
	s_cbranch_execz .LBB279_165
	s_branch .LBB279_172
.LBB279_164:
	s_mov_b64 s[4:5], 0
                                        ; implicit-def: $vgpr14
.LBB279_165:
	s_sub_i32 s10, s9, s13
	s_min_u32 s10, s10, 8
	s_lshl_b32 s10, -1, s10
	v_lshrrev_b32_e32 v14, s13, v13
	v_bitop3_b32 v14, v14, s10, v14 bitop3:0x30
	v_lshl_or_b32 v15, v14, 4, v4
	v_mov_b32_e32 v14, 1
	ds_add_u32 v15, v14 offset:4096
	s_not_b32 s15, s10
	s_add_i32 s14, s8, 16
	s_cmp_gt_u32 s9, s14
	s_cselect_b64 s[10:11], -1, 0
	s_cmp_le_u32 s9, s14
	s_cbranch_scc1 .LBB279_168
; %bb.166:
	s_sub_i32 s16, s9, s14
	s_min_u32 s16, s16, 8
	v_lshrrev_b32_e32 v15, s14, v13
	v_bfe_u32 v15, v15, 0, s16
	v_lshl_or_b32 v15, v15, 4, v4
	ds_add_u32 v15, v14 offset:8192
	s_add_i32 s16, s8, 24
	s_cmp_le_u32 s9, s16
	s_cbranch_scc1 .LBB279_168
; %bb.167:
	s_sub_i32 s17, s9, s16
	s_min_u32 s17, s17, 8
	v_lshrrev_b32_e32 v13, s16, v13
	v_bfe_u32 v13, v13, 0, s17
	v_lshl_or_b32 v13, v13, 4, v4
	v_mov_b32_e32 v15, 1
	ds_add_u32 v13, v15 offset:12288
.LBB279_168:
	s_brev_b32 s16, -2
	v_bfrev_b32_e32 v13, 1
	v_cmp_ne_u32_e32 vcc, s16, v5
	s_nop 1
	v_cndmask_b32_e32 v5, v13, v5, vcc
	v_lshrrev_b32_e32 v13, s8, v5
	v_and_b32_e32 v13, s12, v13
	v_lshl_or_b32 v13, v13, 4, v4
	ds_add_u32 v13, v14
	v_lshrrev_b32_e32 v13, s13, v5
	v_and_b32_e32 v13, s15, v13
	v_lshl_or_b32 v13, v13, 4, v4
	ds_add_u32 v13, v14 offset:4096
	s_andn2_b64 vcc, exec, s[10:11]
	s_cbranch_vccnz .LBB279_171
; %bb.169:
	s_sub_i32 s10, s9, s14
	s_min_u32 s10, s10, 8
	v_lshrrev_b32_e32 v13, s14, v5
	v_bfe_u32 v13, v13, 0, s10
	v_lshl_or_b32 v13, v13, 4, v4
	v_mov_b32_e32 v14, 1
	ds_add_u32 v13, v14 offset:8192
	s_add_i32 s10, s8, 24
	s_cmp_gt_u32 s9, s10
                                        ; implicit-def: $vgpr14
	s_cbranch_scc0 .LBB279_172
; %bb.170:
	s_sub_i32 s4, s9, s10
	s_min_u32 s4, s4, 8
	v_lshrrev_b32_e32 v5, s10, v5
	v_bfe_u32 v5, v5, 0, s4
	v_mov_b32_e32 v13, 0x3000
	v_lshl_add_u32 v14, v5, 4, v13
	s_mov_b64 s[4:5], -1
	s_branch .LBB279_172
.LBB279_171:
                                        ; implicit-def: $vgpr14
.LBB279_172:
	s_and_b64 vcc, exec, s[4:5]
	s_cbranch_vccz .LBB279_174
; %bb.173:
	v_lshl_add_u32 v5, v3, 2, v14
	v_mov_b32_e32 v13, 1
	ds_add_u32 v5, v13
.LBB279_174:
	v_bfrev_b32_e32 v14, 1
	s_waitcnt vmcnt(5)
	v_cmp_lt_i32_e32 vcc, -1, v10
	s_brev_b32 s4, -2
	v_mov_b32_e32 v16, 1
	v_cndmask_b32_e32 v5, -1, v14, vcc
	v_xor_b32_e32 v5, v5, v10
	s_waitcnt vmcnt(4)
	v_cmp_lt_i32_e32 vcc, -1, v9
	s_nop 1
	v_cndmask_b32_e32 v15, -1, v14, vcc
	v_cmp_ne_u32_e32 vcc, s4, v5
	s_nop 1
	v_cndmask_b32_e32 v13, v14, v5, vcc
	v_lshrrev_b32_e32 v5, s8, v13
	v_and_b32_e32 v5, s12, v5
	v_lshl_or_b32 v5, v5, 4, v4
	ds_add_u32 v5, v16
	v_xor_b32_e32 v5, v15, v9
	s_and_b64 vcc, exec, s[2:3]
	s_cbranch_vccz .LBB279_176
; %bb.175:
	v_cmp_ne_u32_e32 vcc, s4, v5
	s_mov_b64 s[4:5], -1
	s_nop 0
	v_cndmask_b32_e32 v14, v14, v5, vcc
	v_lshrrev_b32_e32 v14, s8, v14
	v_and_b32_e32 v14, s12, v14
	v_lshlrev_b32_e32 v14, 4, v14
	s_cbranch_execz .LBB279_177
	s_branch .LBB279_184
.LBB279_176:
	s_mov_b64 s[4:5], 0
                                        ; implicit-def: $vgpr14
.LBB279_177:
	s_sub_i32 s10, s9, s13
	s_min_u32 s10, s10, 8
	s_lshl_b32 s10, -1, s10
	v_lshrrev_b32_e32 v14, s13, v13
	v_bitop3_b32 v14, v14, s10, v14 bitop3:0x30
	v_lshl_or_b32 v15, v14, 4, v4
	v_mov_b32_e32 v14, 1
	ds_add_u32 v15, v14 offset:4096
	s_not_b32 s15, s10
	s_add_i32 s14, s8, 16
	s_cmp_gt_u32 s9, s14
	s_cselect_b64 s[10:11], -1, 0
	s_cmp_le_u32 s9, s14
	s_cbranch_scc1 .LBB279_180
; %bb.178:
	s_sub_i32 s16, s9, s14
	s_min_u32 s16, s16, 8
	v_lshrrev_b32_e32 v15, s14, v13
	v_bfe_u32 v15, v15, 0, s16
	v_lshl_or_b32 v15, v15, 4, v4
	ds_add_u32 v15, v14 offset:8192
	s_add_i32 s16, s8, 24
	s_cmp_le_u32 s9, s16
	s_cbranch_scc1 .LBB279_180
; %bb.179:
	s_sub_i32 s17, s9, s16
	s_min_u32 s17, s17, 8
	v_lshrrev_b32_e32 v13, s16, v13
	v_bfe_u32 v13, v13, 0, s17
	v_lshl_or_b32 v13, v13, 4, v4
	v_mov_b32_e32 v15, 1
	ds_add_u32 v13, v15 offset:12288
.LBB279_180:
	s_brev_b32 s16, -2
	v_bfrev_b32_e32 v13, 1
	v_cmp_ne_u32_e32 vcc, s16, v5
	s_nop 1
	v_cndmask_b32_e32 v5, v13, v5, vcc
	v_lshrrev_b32_e32 v13, s8, v5
	v_and_b32_e32 v13, s12, v13
	v_lshl_or_b32 v13, v13, 4, v4
	ds_add_u32 v13, v14
	v_lshrrev_b32_e32 v13, s13, v5
	v_and_b32_e32 v13, s15, v13
	v_lshl_or_b32 v13, v13, 4, v4
	ds_add_u32 v13, v14 offset:4096
	s_andn2_b64 vcc, exec, s[10:11]
	s_cbranch_vccnz .LBB279_183
; %bb.181:
	s_sub_i32 s10, s9, s14
	s_min_u32 s10, s10, 8
	v_lshrrev_b32_e32 v13, s14, v5
	v_bfe_u32 v13, v13, 0, s10
	v_lshl_or_b32 v13, v13, 4, v4
	v_mov_b32_e32 v14, 1
	ds_add_u32 v13, v14 offset:8192
	s_add_i32 s10, s8, 24
	s_cmp_gt_u32 s9, s10
                                        ; implicit-def: $vgpr14
	s_cbranch_scc0 .LBB279_184
; %bb.182:
	s_sub_i32 s4, s9, s10
	s_min_u32 s4, s4, 8
	v_lshrrev_b32_e32 v5, s10, v5
	v_bfe_u32 v5, v5, 0, s4
	v_mov_b32_e32 v13, 0x3000
	v_lshl_add_u32 v14, v5, 4, v13
	s_mov_b64 s[4:5], -1
	s_branch .LBB279_184
.LBB279_183:
                                        ; implicit-def: $vgpr14
.LBB279_184:
	s_and_b64 vcc, exec, s[4:5]
	s_cbranch_vccz .LBB279_186
; %bb.185:
	v_lshl_add_u32 v5, v3, 2, v14
	v_mov_b32_e32 v13, 1
	ds_add_u32 v5, v13
.LBB279_186:
	v_bfrev_b32_e32 v14, 1
	s_waitcnt vmcnt(3)
	v_cmp_lt_i32_e32 vcc, -1, v8
	s_brev_b32 s4, -2
	v_mov_b32_e32 v16, 1
	v_cndmask_b32_e32 v5, -1, v14, vcc
	v_xor_b32_e32 v5, v5, v8
	s_waitcnt vmcnt(2)
	v_cmp_lt_i32_e32 vcc, -1, v7
	s_nop 1
	v_cndmask_b32_e32 v15, -1, v14, vcc
	v_cmp_ne_u32_e32 vcc, s4, v5
	s_nop 1
	v_cndmask_b32_e32 v13, v14, v5, vcc
	v_lshrrev_b32_e32 v5, s8, v13
	v_and_b32_e32 v5, s12, v5
	v_lshl_or_b32 v5, v5, 4, v4
	ds_add_u32 v5, v16
	v_xor_b32_e32 v5, v15, v7
	s_and_b64 vcc, exec, s[2:3]
	s_cbranch_vccz .LBB279_188
; %bb.187:
	v_cmp_ne_u32_e32 vcc, s4, v5
	s_mov_b64 s[4:5], -1
	s_nop 0
	v_cndmask_b32_e32 v14, v14, v5, vcc
	v_lshrrev_b32_e32 v14, s8, v14
	v_and_b32_e32 v14, s12, v14
	v_lshlrev_b32_e32 v14, 4, v14
	s_cbranch_execz .LBB279_189
	s_branch .LBB279_196
.LBB279_188:
	s_mov_b64 s[4:5], 0
                                        ; implicit-def: $vgpr14
.LBB279_189:
	s_sub_i32 s10, s9, s13
	s_min_u32 s10, s10, 8
	s_lshl_b32 s10, -1, s10
	v_lshrrev_b32_e32 v14, s13, v13
	v_bitop3_b32 v14, v14, s10, v14 bitop3:0x30
	v_lshl_or_b32 v15, v14, 4, v4
	v_mov_b32_e32 v14, 1
	ds_add_u32 v15, v14 offset:4096
	s_not_b32 s15, s10
	s_add_i32 s14, s8, 16
	s_cmp_gt_u32 s9, s14
	s_cselect_b64 s[10:11], -1, 0
	s_cmp_le_u32 s9, s14
	s_cbranch_scc1 .LBB279_192
; %bb.190:
	s_sub_i32 s16, s9, s14
	s_min_u32 s16, s16, 8
	v_lshrrev_b32_e32 v15, s14, v13
	v_bfe_u32 v15, v15, 0, s16
	v_lshl_or_b32 v15, v15, 4, v4
	ds_add_u32 v15, v14 offset:8192
	s_add_i32 s16, s8, 24
	s_cmp_le_u32 s9, s16
	s_cbranch_scc1 .LBB279_192
; %bb.191:
	s_sub_i32 s17, s9, s16
	s_min_u32 s17, s17, 8
	v_lshrrev_b32_e32 v13, s16, v13
	v_bfe_u32 v13, v13, 0, s17
	v_lshl_or_b32 v13, v13, 4, v4
	v_mov_b32_e32 v15, 1
	ds_add_u32 v13, v15 offset:12288
.LBB279_192:
	s_brev_b32 s16, -2
	v_bfrev_b32_e32 v13, 1
	v_cmp_ne_u32_e32 vcc, s16, v5
	s_nop 1
	v_cndmask_b32_e32 v5, v13, v5, vcc
	v_lshrrev_b32_e32 v13, s8, v5
	v_and_b32_e32 v13, s12, v13
	v_lshl_or_b32 v13, v13, 4, v4
	ds_add_u32 v13, v14
	v_lshrrev_b32_e32 v13, s13, v5
	v_and_b32_e32 v13, s15, v13
	v_lshl_or_b32 v13, v13, 4, v4
	ds_add_u32 v13, v14 offset:4096
	s_andn2_b64 vcc, exec, s[10:11]
	s_cbranch_vccnz .LBB279_195
; %bb.193:
	s_sub_i32 s10, s9, s14
	s_min_u32 s10, s10, 8
	v_lshrrev_b32_e32 v13, s14, v5
	v_bfe_u32 v13, v13, 0, s10
	v_lshl_or_b32 v13, v13, 4, v4
	v_mov_b32_e32 v14, 1
	ds_add_u32 v13, v14 offset:8192
	s_add_i32 s10, s8, 24
	s_cmp_gt_u32 s9, s10
                                        ; implicit-def: $vgpr14
	s_cbranch_scc0 .LBB279_196
; %bb.194:
	s_sub_i32 s4, s9, s10
	s_min_u32 s4, s4, 8
	v_lshrrev_b32_e32 v5, s10, v5
	v_bfe_u32 v5, v5, 0, s4
	v_mov_b32_e32 v13, 0x3000
	v_lshl_add_u32 v14, v5, 4, v13
	s_mov_b64 s[4:5], -1
	s_branch .LBB279_196
.LBB279_195:
                                        ; implicit-def: $vgpr14
.LBB279_196:
	s_and_b64 vcc, exec, s[4:5]
	s_cbranch_vccz .LBB279_198
; %bb.197:
	v_lshl_add_u32 v5, v3, 2, v14
	v_mov_b32_e32 v13, 1
	ds_add_u32 v5, v13
.LBB279_198:
	v_bfrev_b32_e32 v14, 1
	s_waitcnt vmcnt(1)
	v_cmp_lt_i32_e32 vcc, -1, v1
	s_brev_b32 s4, -2
	v_mov_b32_e32 v16, 1
	v_cndmask_b32_e32 v5, -1, v14, vcc
	v_xor_b32_e32 v5, v5, v1
	s_waitcnt vmcnt(0)
	v_cmp_lt_i32_e32 vcc, -1, v6
	s_nop 1
	v_cndmask_b32_e32 v15, -1, v14, vcc
	v_cmp_ne_u32_e32 vcc, s4, v5
	s_nop 1
	v_cndmask_b32_e32 v13, v14, v5, vcc
	v_lshrrev_b32_e32 v5, s8, v13
	v_and_b32_e32 v5, s12, v5
	v_lshl_or_b32 v5, v5, 4, v4
	ds_add_u32 v5, v16
	v_xor_b32_e32 v5, v15, v6
	s_and_b64 vcc, exec, s[2:3]
	s_cbranch_vccz .LBB279_200
; %bb.199:
	v_cmp_ne_u32_e32 vcc, s4, v5
	s_mov_b64 s[2:3], -1
	s_nop 0
	v_cndmask_b32_e32 v14, v14, v5, vcc
	v_lshrrev_b32_e32 v14, s8, v14
	v_and_b32_e32 v14, s12, v14
	v_lshlrev_b32_e32 v14, 4, v14
	s_cbranch_execz .LBB279_201
	s_branch .LBB279_208
.LBB279_200:
	s_mov_b64 s[2:3], 0
                                        ; implicit-def: $vgpr14
.LBB279_201:
	s_sub_i32 s4, s9, s13
	s_min_u32 s4, s4, 8
	s_lshl_b32 s4, -1, s4
	v_lshrrev_b32_e32 v14, s13, v13
	v_bitop3_b32 v14, v14, s4, v14 bitop3:0x30
	v_lshl_or_b32 v15, v14, 4, v4
	v_mov_b32_e32 v14, 1
	ds_add_u32 v15, v14 offset:4096
	s_not_b32 s11, s4
	s_add_i32 s10, s8, 16
	s_cmp_gt_u32 s9, s10
	s_cselect_b64 s[4:5], -1, 0
	s_cmp_le_u32 s9, s10
	s_cbranch_scc1 .LBB279_204
; %bb.202:
	s_sub_i32 s14, s9, s10
	s_min_u32 s14, s14, 8
	v_lshrrev_b32_e32 v15, s10, v13
	v_bfe_u32 v15, v15, 0, s14
	v_lshl_or_b32 v15, v15, 4, v4
	ds_add_u32 v15, v14 offset:8192
	s_add_i32 s14, s8, 24
	s_cmp_le_u32 s9, s14
	s_cbranch_scc1 .LBB279_204
; %bb.203:
	s_sub_i32 s15, s9, s14
	s_min_u32 s15, s15, 8
	v_lshrrev_b32_e32 v13, s14, v13
	v_bfe_u32 v13, v13, 0, s15
	v_lshl_or_b32 v13, v13, 4, v4
	v_mov_b32_e32 v15, 1
	ds_add_u32 v13, v15 offset:12288
.LBB279_204:
	s_brev_b32 s14, -2
	v_bfrev_b32_e32 v13, 1
	v_cmp_ne_u32_e32 vcc, s14, v5
	s_nop 1
	v_cndmask_b32_e32 v5, v13, v5, vcc
	v_lshrrev_b32_e32 v13, s8, v5
	v_and_b32_e32 v13, s12, v13
	v_lshl_or_b32 v13, v13, 4, v4
	ds_add_u32 v13, v14
	v_lshrrev_b32_e32 v13, s13, v5
	v_and_b32_e32 v13, s11, v13
	v_lshl_or_b32 v13, v13, 4, v4
	ds_add_u32 v13, v14 offset:4096
	s_andn2_b64 vcc, exec, s[4:5]
	s_cbranch_vccnz .LBB279_207
; %bb.205:
	s_sub_i32 s4, s9, s10
	s_min_u32 s4, s4, 8
	v_lshrrev_b32_e32 v13, s10, v5
	v_bfe_u32 v13, v13, 0, s4
	v_lshl_or_b32 v4, v13, 4, v4
	v_mov_b32_e32 v13, 1
	ds_add_u32 v4, v13 offset:8192
	s_add_i32 s4, s8, 24
	s_cmp_gt_u32 s9, s4
                                        ; implicit-def: $vgpr14
	s_cbranch_scc0 .LBB279_208
; %bb.206:
	s_sub_i32 s2, s9, s4
	s_min_u32 s2, s2, 8
	v_lshrrev_b32_e32 v4, s4, v5
	v_bfe_u32 v4, v4, 0, s2
	v_mov_b32_e32 v5, 0x3000
	v_lshl_add_u32 v14, v4, 4, v5
	s_mov_b64 s[2:3], -1
	s_branch .LBB279_208
.LBB279_207:
                                        ; implicit-def: $vgpr14
.LBB279_208:
	s_and_b64 vcc, exec, s[2:3]
	s_cbranch_vccz .LBB279_210
; %bb.209:
	v_lshl_add_u32 v3, v3, 2, v14
	v_mov_b32_e32 v4, 1
	ds_add_u32 v3, v4
.LBB279_210:
	s_and_b64 vcc, exec, s[0:1]
	s_waitcnt lgkmcnt(0)
	s_barrier
	s_cbranch_vccz .LBB279_215
; %bb.211:
	s_movk_i32 s0, 0x100
	v_cmp_gt_u32_e32 vcc, s0, v0
	v_lshlrev_b32_e32 v3, 4, v0
	v_mov_b32_e32 v5, 0
	v_mov_b32_e32 v4, v0
	s_branch .LBB279_213
.LBB279_212:                            ;   in Loop: Header=BB279_213 Depth=1
	s_or_b64 exec, exec, s[0:1]
	s_add_i32 s8, s8, 8
	v_add_u32_e32 v4, 0x100, v4
	s_cmp_ge_u32 s8, s9
	v_add_u32_e32 v3, 0x1000, v3
	s_cbranch_scc1 .LBB279_215
.LBB279_213:                            ; =>This Inner Loop Header: Depth=1
	s_and_saveexec_b64 s[0:1], vcc
	s_cbranch_execz .LBB279_212
; %bb.214:                              ;   in Loop: Header=BB279_213 Depth=1
	ds_read2_b32 v[14:15], v3 offset1:1
	ds_read2_b32 v[16:17], v3 offset0:2 offset1:3
	s_waitcnt lgkmcnt(1)
	v_add_u32_e32 v13, v15, v14
	s_waitcnt lgkmcnt(0)
	v_add3_u32 v13, v13, v16, v17
	v_lshl_add_u64 v[14:15], v[4:5], 2, s[6:7]
	global_atomic_add v[14:15], v13, off
	s_branch .LBB279_212
.LBB279_215:
	s_mov_b64 s[0:1], 0
.LBB279_216:
	s_and_b64 vcc, exec, s[0:1]
	s_cbranch_vccz .LBB279_219
; %bb.217:
	v_mov_b32_e32 v3, 0
	ds_write2st64_b32 v2, v3, v3 offset1:16
	ds_write2st64_b32 v2, v3, v3 offset0:32 offset1:48
	v_bfrev_b32_e32 v3, 1
	s_waitcnt vmcnt(7)
	v_cmp_lt_i32_e32 vcc, -1, v12
	s_brev_b32 s0, -2
	s_movk_i32 s1, 0xff0
	v_cndmask_b32_e32 v4, -1, v3, vcc
	s_waitcnt vmcnt(6)
	v_cmp_lt_i32_e32 vcc, -1, v11
	v_xor_b32_e32 v4, v4, v12
	v_mov_b32_e32 v13, 1
	v_cndmask_b32_e32 v5, -1, v3, vcc
	s_waitcnt vmcnt(5)
	v_cmp_lt_i32_e32 vcc, -1, v10
	v_xor_b32_e32 v5, v5, v11
	s_waitcnt lgkmcnt(0)
	v_cndmask_b32_e32 v11, -1, v3, vcc
	s_waitcnt vmcnt(4)
	v_cmp_lt_i32_e32 vcc, -1, v9
	v_xor_b32_e32 v10, v11, v10
	s_barrier
	v_cndmask_b32_e32 v11, -1, v3, vcc
	s_waitcnt vmcnt(3)
	v_cmp_lt_i32_e32 vcc, -1, v8
	v_xor_b32_e32 v9, v11, v9
	s_nop 0
	v_cndmask_b32_e32 v11, -1, v3, vcc
	s_waitcnt vmcnt(2)
	v_cmp_lt_i32_e32 vcc, -1, v7
	v_xor_b32_e32 v8, v11, v8
	s_nop 0
	;; [unrolled: 5-line block ×4, first 2 shown]
	v_cndmask_b32_e32 v11, -1, v3, vcc
	v_cmp_ne_u32_e32 vcc, s0, v4
	v_xor_b32_e32 v6, v11, v6
	v_and_b32_e32 v11, 3, v0
	v_cndmask_b32_e32 v4, v3, v4, vcc
	v_lshlrev_b32_e32 v12, 4, v4
	v_lshlrev_b32_e32 v11, 2, v11
	v_and_or_b32 v12, v12, s1, v11
	ds_add_u32 v12, v13
	v_bfe_u32 v12, v4, 8, 8
	v_lshl_or_b32 v12, v12, 4, v11
	ds_add_u32 v12, v13 offset:4096
	v_bfe_u32 v12, v4, 16, 8
	v_lshl_or_b32 v12, v12, 4, v11
	v_lshrrev_b32_e32 v4, 24, v4
	ds_add_u32 v12, v13 offset:8192
	v_lshl_or_b32 v4, v4, 4, v11
	v_cmp_ne_u32_e32 vcc, s0, v5
	ds_add_u32 v4, v13 offset:12288
	s_nop 0
	v_cndmask_b32_e32 v4, v3, v5, vcc
	v_lshlrev_b32_e32 v5, 4, v4
	v_and_or_b32 v5, v5, s1, v11
	ds_add_u32 v5, v13
	v_bfe_u32 v5, v4, 8, 8
	v_lshl_or_b32 v5, v5, 4, v11
	ds_add_u32 v5, v13 offset:4096
	v_bfe_u32 v5, v4, 16, 8
	v_lshl_or_b32 v5, v5, 4, v11
	v_lshrrev_b32_e32 v4, 24, v4
	ds_add_u32 v5, v13 offset:8192
	v_lshl_or_b32 v4, v4, 4, v11
	v_cmp_ne_u32_e32 vcc, s0, v10
	ds_add_u32 v4, v13 offset:12288
	s_nop 0
	v_cndmask_b32_e32 v4, v3, v10, vcc
	;; [unrolled: 15-line block ×5, first 2 shown]
	v_lshlrev_b32_e32 v5, 4, v4
	v_and_or_b32 v5, v5, s1, v11
	ds_add_u32 v5, v13
	v_bfe_u32 v5, v4, 8, 8
	v_lshl_or_b32 v5, v5, 4, v11
	ds_add_u32 v5, v13 offset:4096
	v_bfe_u32 v5, v4, 16, 8
	v_lshl_or_b32 v5, v5, 4, v11
	v_lshrrev_b32_e32 v4, 24, v4
	v_cmp_ne_u32_e32 vcc, s0, v1
	ds_add_u32 v5, v13 offset:8192
	v_lshl_or_b32 v4, v4, 4, v11
	v_cndmask_b32_e32 v1, v3, v1, vcc
	ds_add_u32 v4, v13 offset:12288
	v_lshlrev_b32_e32 v4, 4, v1
	v_and_or_b32 v4, v4, s1, v11
	ds_add_u32 v4, v13
	v_bfe_u32 v4, v1, 8, 8
	v_lshl_or_b32 v4, v4, 4, v11
	ds_add_u32 v4, v13 offset:4096
	v_bfe_u32 v4, v1, 16, 8
	v_lshl_or_b32 v4, v4, 4, v11
	v_lshrrev_b32_e32 v1, 24, v1
	ds_add_u32 v4, v13 offset:8192
	v_lshl_or_b32 v1, v1, 4, v11
	v_cmp_ne_u32_e32 vcc, s0, v6
	ds_add_u32 v1, v13 offset:12288
	s_movk_i32 s0, 0x100
	v_cndmask_b32_e32 v1, v3, v6, vcc
	v_lshlrev_b32_e32 v3, 4, v1
	v_and_or_b32 v3, v3, s1, v11
	ds_add_u32 v3, v13
	v_bfe_u32 v3, v1, 8, 8
	v_lshl_or_b32 v3, v3, 4, v11
	ds_add_u32 v3, v13 offset:4096
	v_bfe_u32 v3, v1, 16, 8
	v_lshl_or_b32 v3, v3, 4, v11
	v_lshrrev_b32_e32 v1, 24, v1
	ds_add_u32 v3, v13 offset:8192
	v_lshl_or_b32 v1, v1, 4, v11
	ds_add_u32 v1, v13 offset:12288
	v_cmp_gt_u32_e32 vcc, s0, v0
	s_waitcnt lgkmcnt(0)
	s_barrier
	s_and_saveexec_b64 s[0:1], vcc
	s_cbranch_execz .LBB279_219
; %bb.218:
	v_lshlrev_b32_e32 v3, 4, v0
	ds_read2_b32 v[0:1], v3 offset1:1
	ds_read2_b32 v[4:5], v3 offset0:2 offset1:3
	v_add_u32_e32 v6, 0x1000, v3
	v_add_u32_e32 v7, 0x1008, v3
	s_waitcnt lgkmcnt(1)
	v_add_u32_e32 v0, v1, v0
	s_waitcnt lgkmcnt(0)
	v_add3_u32 v0, v0, v4, v5
	global_atomic_add v2, v0, s[6:7]
	ds_read2_b32 v[0:1], v6 offset1:1
	ds_read2_b32 v[4:5], v7 offset1:1
	v_add_u32_e32 v6, 0x2000, v3
	v_add_u32_e32 v7, 0x2008, v3
	s_waitcnt lgkmcnt(1)
	v_add_u32_e32 v0, v1, v0
	s_waitcnt lgkmcnt(0)
	v_add3_u32 v0, v0, v4, v5
	global_atomic_add v2, v0, s[6:7] offset:1024
	ds_read2_b32 v[0:1], v6 offset1:1
	ds_read2_b32 v[4:5], v7 offset1:1
	v_add_u32_e32 v6, 0x3000, v3
	v_add_u32_e32 v3, 0x3008, v3
	s_waitcnt lgkmcnt(1)
	v_add_u32_e32 v0, v1, v0
	s_waitcnt lgkmcnt(0)
	v_add3_u32 v0, v0, v4, v5
	global_atomic_add v2, v0, s[6:7] offset:2048
	ds_read2_b32 v[0:1], v6 offset1:1
	ds_read2_b32 v[4:5], v3 offset1:1
	s_waitcnt lgkmcnt(1)
	v_add_u32_e32 v0, v1, v0
	s_waitcnt lgkmcnt(0)
	v_add3_u32 v0, v0, v4, v5
	global_atomic_add v2, v0, s[6:7] offset:3072
.LBB279_219:
	s_endpgm
	.section	.rodata,"a",@progbits
	.p2align	6, 0x0
	.amdhsa_kernel _ZN7rocprim17ROCPRIM_400000_NS6detail17trampoline_kernelINS0_14default_configENS1_35radix_sort_onesweep_config_selectorIffEEZNS1_34radix_sort_onesweep_global_offsetsIS3_Lb0EN6thrust23THRUST_200600_302600_NS6detail15normal_iteratorINS8_10device_ptrIfEEEESD_jNS0_19identity_decomposerEEE10hipError_tT1_T2_PT3_SI_jT4_jjP12ihipStream_tbEUlT_E_NS1_11comp_targetILNS1_3genE6ELNS1_11target_archE950ELNS1_3gpuE13ELNS1_3repE0EEENS1_52radix_sort_onesweep_histogram_config_static_selectorELNS0_4arch9wavefront6targetE1EEEvSG_
		.amdhsa_group_segment_fixed_size 16384
		.amdhsa_private_segment_fixed_size 0
		.amdhsa_kernarg_size 40
		.amdhsa_user_sgpr_count 2
		.amdhsa_user_sgpr_dispatch_ptr 0
		.amdhsa_user_sgpr_queue_ptr 0
		.amdhsa_user_sgpr_kernarg_segment_ptr 1
		.amdhsa_user_sgpr_dispatch_id 0
		.amdhsa_user_sgpr_kernarg_preload_length 0
		.amdhsa_user_sgpr_kernarg_preload_offset 0
		.amdhsa_user_sgpr_private_segment_size 0
		.amdhsa_uses_dynamic_stack 0
		.amdhsa_enable_private_segment 0
		.amdhsa_system_sgpr_workgroup_id_x 1
		.amdhsa_system_sgpr_workgroup_id_y 0
		.amdhsa_system_sgpr_workgroup_id_z 0
		.amdhsa_system_sgpr_workgroup_info 0
		.amdhsa_system_vgpr_workitem_id 0
		.amdhsa_next_free_vgpr 22
		.amdhsa_next_free_sgpr 19
		.amdhsa_accum_offset 24
		.amdhsa_reserve_vcc 1
		.amdhsa_float_round_mode_32 0
		.amdhsa_float_round_mode_16_64 0
		.amdhsa_float_denorm_mode_32 3
		.amdhsa_float_denorm_mode_16_64 3
		.amdhsa_dx10_clamp 1
		.amdhsa_ieee_mode 1
		.amdhsa_fp16_overflow 0
		.amdhsa_tg_split 0
		.amdhsa_exception_fp_ieee_invalid_op 0
		.amdhsa_exception_fp_denorm_src 0
		.amdhsa_exception_fp_ieee_div_zero 0
		.amdhsa_exception_fp_ieee_overflow 0
		.amdhsa_exception_fp_ieee_underflow 0
		.amdhsa_exception_fp_ieee_inexact 0
		.amdhsa_exception_int_div_zero 0
	.end_amdhsa_kernel
	.section	.text._ZN7rocprim17ROCPRIM_400000_NS6detail17trampoline_kernelINS0_14default_configENS1_35radix_sort_onesweep_config_selectorIffEEZNS1_34radix_sort_onesweep_global_offsetsIS3_Lb0EN6thrust23THRUST_200600_302600_NS6detail15normal_iteratorINS8_10device_ptrIfEEEESD_jNS0_19identity_decomposerEEE10hipError_tT1_T2_PT3_SI_jT4_jjP12ihipStream_tbEUlT_E_NS1_11comp_targetILNS1_3genE6ELNS1_11target_archE950ELNS1_3gpuE13ELNS1_3repE0EEENS1_52radix_sort_onesweep_histogram_config_static_selectorELNS0_4arch9wavefront6targetE1EEEvSG_,"axG",@progbits,_ZN7rocprim17ROCPRIM_400000_NS6detail17trampoline_kernelINS0_14default_configENS1_35radix_sort_onesweep_config_selectorIffEEZNS1_34radix_sort_onesweep_global_offsetsIS3_Lb0EN6thrust23THRUST_200600_302600_NS6detail15normal_iteratorINS8_10device_ptrIfEEEESD_jNS0_19identity_decomposerEEE10hipError_tT1_T2_PT3_SI_jT4_jjP12ihipStream_tbEUlT_E_NS1_11comp_targetILNS1_3genE6ELNS1_11target_archE950ELNS1_3gpuE13ELNS1_3repE0EEENS1_52radix_sort_onesweep_histogram_config_static_selectorELNS0_4arch9wavefront6targetE1EEEvSG_,comdat
.Lfunc_end279:
	.size	_ZN7rocprim17ROCPRIM_400000_NS6detail17trampoline_kernelINS0_14default_configENS1_35radix_sort_onesweep_config_selectorIffEEZNS1_34radix_sort_onesweep_global_offsetsIS3_Lb0EN6thrust23THRUST_200600_302600_NS6detail15normal_iteratorINS8_10device_ptrIfEEEESD_jNS0_19identity_decomposerEEE10hipError_tT1_T2_PT3_SI_jT4_jjP12ihipStream_tbEUlT_E_NS1_11comp_targetILNS1_3genE6ELNS1_11target_archE950ELNS1_3gpuE13ELNS1_3repE0EEENS1_52radix_sort_onesweep_histogram_config_static_selectorELNS0_4arch9wavefront6targetE1EEEvSG_, .Lfunc_end279-_ZN7rocprim17ROCPRIM_400000_NS6detail17trampoline_kernelINS0_14default_configENS1_35radix_sort_onesweep_config_selectorIffEEZNS1_34radix_sort_onesweep_global_offsetsIS3_Lb0EN6thrust23THRUST_200600_302600_NS6detail15normal_iteratorINS8_10device_ptrIfEEEESD_jNS0_19identity_decomposerEEE10hipError_tT1_T2_PT3_SI_jT4_jjP12ihipStream_tbEUlT_E_NS1_11comp_targetILNS1_3genE6ELNS1_11target_archE950ELNS1_3gpuE13ELNS1_3repE0EEENS1_52radix_sort_onesweep_histogram_config_static_selectorELNS0_4arch9wavefront6targetE1EEEvSG_
                                        ; -- End function
	.set _ZN7rocprim17ROCPRIM_400000_NS6detail17trampoline_kernelINS0_14default_configENS1_35radix_sort_onesweep_config_selectorIffEEZNS1_34radix_sort_onesweep_global_offsetsIS3_Lb0EN6thrust23THRUST_200600_302600_NS6detail15normal_iteratorINS8_10device_ptrIfEEEESD_jNS0_19identity_decomposerEEE10hipError_tT1_T2_PT3_SI_jT4_jjP12ihipStream_tbEUlT_E_NS1_11comp_targetILNS1_3genE6ELNS1_11target_archE950ELNS1_3gpuE13ELNS1_3repE0EEENS1_52radix_sort_onesweep_histogram_config_static_selectorELNS0_4arch9wavefront6targetE1EEEvSG_.num_vgpr, 22
	.set _ZN7rocprim17ROCPRIM_400000_NS6detail17trampoline_kernelINS0_14default_configENS1_35radix_sort_onesweep_config_selectorIffEEZNS1_34radix_sort_onesweep_global_offsetsIS3_Lb0EN6thrust23THRUST_200600_302600_NS6detail15normal_iteratorINS8_10device_ptrIfEEEESD_jNS0_19identity_decomposerEEE10hipError_tT1_T2_PT3_SI_jT4_jjP12ihipStream_tbEUlT_E_NS1_11comp_targetILNS1_3genE6ELNS1_11target_archE950ELNS1_3gpuE13ELNS1_3repE0EEENS1_52radix_sort_onesweep_histogram_config_static_selectorELNS0_4arch9wavefront6targetE1EEEvSG_.num_agpr, 0
	.set _ZN7rocprim17ROCPRIM_400000_NS6detail17trampoline_kernelINS0_14default_configENS1_35radix_sort_onesweep_config_selectorIffEEZNS1_34radix_sort_onesweep_global_offsetsIS3_Lb0EN6thrust23THRUST_200600_302600_NS6detail15normal_iteratorINS8_10device_ptrIfEEEESD_jNS0_19identity_decomposerEEE10hipError_tT1_T2_PT3_SI_jT4_jjP12ihipStream_tbEUlT_E_NS1_11comp_targetILNS1_3genE6ELNS1_11target_archE950ELNS1_3gpuE13ELNS1_3repE0EEENS1_52radix_sort_onesweep_histogram_config_static_selectorELNS0_4arch9wavefront6targetE1EEEvSG_.numbered_sgpr, 19
	.set _ZN7rocprim17ROCPRIM_400000_NS6detail17trampoline_kernelINS0_14default_configENS1_35radix_sort_onesweep_config_selectorIffEEZNS1_34radix_sort_onesweep_global_offsetsIS3_Lb0EN6thrust23THRUST_200600_302600_NS6detail15normal_iteratorINS8_10device_ptrIfEEEESD_jNS0_19identity_decomposerEEE10hipError_tT1_T2_PT3_SI_jT4_jjP12ihipStream_tbEUlT_E_NS1_11comp_targetILNS1_3genE6ELNS1_11target_archE950ELNS1_3gpuE13ELNS1_3repE0EEENS1_52radix_sort_onesweep_histogram_config_static_selectorELNS0_4arch9wavefront6targetE1EEEvSG_.num_named_barrier, 0
	.set _ZN7rocprim17ROCPRIM_400000_NS6detail17trampoline_kernelINS0_14default_configENS1_35radix_sort_onesweep_config_selectorIffEEZNS1_34radix_sort_onesweep_global_offsetsIS3_Lb0EN6thrust23THRUST_200600_302600_NS6detail15normal_iteratorINS8_10device_ptrIfEEEESD_jNS0_19identity_decomposerEEE10hipError_tT1_T2_PT3_SI_jT4_jjP12ihipStream_tbEUlT_E_NS1_11comp_targetILNS1_3genE6ELNS1_11target_archE950ELNS1_3gpuE13ELNS1_3repE0EEENS1_52radix_sort_onesweep_histogram_config_static_selectorELNS0_4arch9wavefront6targetE1EEEvSG_.private_seg_size, 0
	.set _ZN7rocprim17ROCPRIM_400000_NS6detail17trampoline_kernelINS0_14default_configENS1_35radix_sort_onesweep_config_selectorIffEEZNS1_34radix_sort_onesweep_global_offsetsIS3_Lb0EN6thrust23THRUST_200600_302600_NS6detail15normal_iteratorINS8_10device_ptrIfEEEESD_jNS0_19identity_decomposerEEE10hipError_tT1_T2_PT3_SI_jT4_jjP12ihipStream_tbEUlT_E_NS1_11comp_targetILNS1_3genE6ELNS1_11target_archE950ELNS1_3gpuE13ELNS1_3repE0EEENS1_52radix_sort_onesweep_histogram_config_static_selectorELNS0_4arch9wavefront6targetE1EEEvSG_.uses_vcc, 1
	.set _ZN7rocprim17ROCPRIM_400000_NS6detail17trampoline_kernelINS0_14default_configENS1_35radix_sort_onesweep_config_selectorIffEEZNS1_34radix_sort_onesweep_global_offsetsIS3_Lb0EN6thrust23THRUST_200600_302600_NS6detail15normal_iteratorINS8_10device_ptrIfEEEESD_jNS0_19identity_decomposerEEE10hipError_tT1_T2_PT3_SI_jT4_jjP12ihipStream_tbEUlT_E_NS1_11comp_targetILNS1_3genE6ELNS1_11target_archE950ELNS1_3gpuE13ELNS1_3repE0EEENS1_52radix_sort_onesweep_histogram_config_static_selectorELNS0_4arch9wavefront6targetE1EEEvSG_.uses_flat_scratch, 0
	.set _ZN7rocprim17ROCPRIM_400000_NS6detail17trampoline_kernelINS0_14default_configENS1_35radix_sort_onesweep_config_selectorIffEEZNS1_34radix_sort_onesweep_global_offsetsIS3_Lb0EN6thrust23THRUST_200600_302600_NS6detail15normal_iteratorINS8_10device_ptrIfEEEESD_jNS0_19identity_decomposerEEE10hipError_tT1_T2_PT3_SI_jT4_jjP12ihipStream_tbEUlT_E_NS1_11comp_targetILNS1_3genE6ELNS1_11target_archE950ELNS1_3gpuE13ELNS1_3repE0EEENS1_52radix_sort_onesweep_histogram_config_static_selectorELNS0_4arch9wavefront6targetE1EEEvSG_.has_dyn_sized_stack, 0
	.set _ZN7rocprim17ROCPRIM_400000_NS6detail17trampoline_kernelINS0_14default_configENS1_35radix_sort_onesweep_config_selectorIffEEZNS1_34radix_sort_onesweep_global_offsetsIS3_Lb0EN6thrust23THRUST_200600_302600_NS6detail15normal_iteratorINS8_10device_ptrIfEEEESD_jNS0_19identity_decomposerEEE10hipError_tT1_T2_PT3_SI_jT4_jjP12ihipStream_tbEUlT_E_NS1_11comp_targetILNS1_3genE6ELNS1_11target_archE950ELNS1_3gpuE13ELNS1_3repE0EEENS1_52radix_sort_onesweep_histogram_config_static_selectorELNS0_4arch9wavefront6targetE1EEEvSG_.has_recursion, 0
	.set _ZN7rocprim17ROCPRIM_400000_NS6detail17trampoline_kernelINS0_14default_configENS1_35radix_sort_onesweep_config_selectorIffEEZNS1_34radix_sort_onesweep_global_offsetsIS3_Lb0EN6thrust23THRUST_200600_302600_NS6detail15normal_iteratorINS8_10device_ptrIfEEEESD_jNS0_19identity_decomposerEEE10hipError_tT1_T2_PT3_SI_jT4_jjP12ihipStream_tbEUlT_E_NS1_11comp_targetILNS1_3genE6ELNS1_11target_archE950ELNS1_3gpuE13ELNS1_3repE0EEENS1_52radix_sort_onesweep_histogram_config_static_selectorELNS0_4arch9wavefront6targetE1EEEvSG_.has_indirect_call, 0
	.section	.AMDGPU.csdata,"",@progbits
; Kernel info:
; codeLenInByte = 8168
; TotalNumSgprs: 25
; NumVgprs: 22
; NumAgprs: 0
; TotalNumVgprs: 22
; ScratchSize: 0
; MemoryBound: 0
; FloatMode: 240
; IeeeMode: 1
; LDSByteSize: 16384 bytes/workgroup (compile time only)
; SGPRBlocks: 3
; VGPRBlocks: 2
; NumSGPRsForWavesPerEU: 25
; NumVGPRsForWavesPerEU: 22
; AccumOffset: 24
; Occupancy: 8
; WaveLimiterHint : 1
; COMPUTE_PGM_RSRC2:SCRATCH_EN: 0
; COMPUTE_PGM_RSRC2:USER_SGPR: 2
; COMPUTE_PGM_RSRC2:TRAP_HANDLER: 0
; COMPUTE_PGM_RSRC2:TGID_X_EN: 1
; COMPUTE_PGM_RSRC2:TGID_Y_EN: 0
; COMPUTE_PGM_RSRC2:TGID_Z_EN: 0
; COMPUTE_PGM_RSRC2:TIDIG_COMP_CNT: 0
; COMPUTE_PGM_RSRC3_GFX90A:ACCUM_OFFSET: 5
; COMPUTE_PGM_RSRC3_GFX90A:TG_SPLIT: 0
	.section	.text._ZN7rocprim17ROCPRIM_400000_NS6detail17trampoline_kernelINS0_14default_configENS1_35radix_sort_onesweep_config_selectorIffEEZNS1_34radix_sort_onesweep_global_offsetsIS3_Lb0EN6thrust23THRUST_200600_302600_NS6detail15normal_iteratorINS8_10device_ptrIfEEEESD_jNS0_19identity_decomposerEEE10hipError_tT1_T2_PT3_SI_jT4_jjP12ihipStream_tbEUlT_E_NS1_11comp_targetILNS1_3genE5ELNS1_11target_archE942ELNS1_3gpuE9ELNS1_3repE0EEENS1_52radix_sort_onesweep_histogram_config_static_selectorELNS0_4arch9wavefront6targetE1EEEvSG_,"axG",@progbits,_ZN7rocprim17ROCPRIM_400000_NS6detail17trampoline_kernelINS0_14default_configENS1_35radix_sort_onesweep_config_selectorIffEEZNS1_34radix_sort_onesweep_global_offsetsIS3_Lb0EN6thrust23THRUST_200600_302600_NS6detail15normal_iteratorINS8_10device_ptrIfEEEESD_jNS0_19identity_decomposerEEE10hipError_tT1_T2_PT3_SI_jT4_jjP12ihipStream_tbEUlT_E_NS1_11comp_targetILNS1_3genE5ELNS1_11target_archE942ELNS1_3gpuE9ELNS1_3repE0EEENS1_52radix_sort_onesweep_histogram_config_static_selectorELNS0_4arch9wavefront6targetE1EEEvSG_,comdat
	.protected	_ZN7rocprim17ROCPRIM_400000_NS6detail17trampoline_kernelINS0_14default_configENS1_35radix_sort_onesweep_config_selectorIffEEZNS1_34radix_sort_onesweep_global_offsetsIS3_Lb0EN6thrust23THRUST_200600_302600_NS6detail15normal_iteratorINS8_10device_ptrIfEEEESD_jNS0_19identity_decomposerEEE10hipError_tT1_T2_PT3_SI_jT4_jjP12ihipStream_tbEUlT_E_NS1_11comp_targetILNS1_3genE5ELNS1_11target_archE942ELNS1_3gpuE9ELNS1_3repE0EEENS1_52radix_sort_onesweep_histogram_config_static_selectorELNS0_4arch9wavefront6targetE1EEEvSG_ ; -- Begin function _ZN7rocprim17ROCPRIM_400000_NS6detail17trampoline_kernelINS0_14default_configENS1_35radix_sort_onesweep_config_selectorIffEEZNS1_34radix_sort_onesweep_global_offsetsIS3_Lb0EN6thrust23THRUST_200600_302600_NS6detail15normal_iteratorINS8_10device_ptrIfEEEESD_jNS0_19identity_decomposerEEE10hipError_tT1_T2_PT3_SI_jT4_jjP12ihipStream_tbEUlT_E_NS1_11comp_targetILNS1_3genE5ELNS1_11target_archE942ELNS1_3gpuE9ELNS1_3repE0EEENS1_52radix_sort_onesweep_histogram_config_static_selectorELNS0_4arch9wavefront6targetE1EEEvSG_
	.globl	_ZN7rocprim17ROCPRIM_400000_NS6detail17trampoline_kernelINS0_14default_configENS1_35radix_sort_onesweep_config_selectorIffEEZNS1_34radix_sort_onesweep_global_offsetsIS3_Lb0EN6thrust23THRUST_200600_302600_NS6detail15normal_iteratorINS8_10device_ptrIfEEEESD_jNS0_19identity_decomposerEEE10hipError_tT1_T2_PT3_SI_jT4_jjP12ihipStream_tbEUlT_E_NS1_11comp_targetILNS1_3genE5ELNS1_11target_archE942ELNS1_3gpuE9ELNS1_3repE0EEENS1_52radix_sort_onesweep_histogram_config_static_selectorELNS0_4arch9wavefront6targetE1EEEvSG_
	.p2align	8
	.type	_ZN7rocprim17ROCPRIM_400000_NS6detail17trampoline_kernelINS0_14default_configENS1_35radix_sort_onesweep_config_selectorIffEEZNS1_34radix_sort_onesweep_global_offsetsIS3_Lb0EN6thrust23THRUST_200600_302600_NS6detail15normal_iteratorINS8_10device_ptrIfEEEESD_jNS0_19identity_decomposerEEE10hipError_tT1_T2_PT3_SI_jT4_jjP12ihipStream_tbEUlT_E_NS1_11comp_targetILNS1_3genE5ELNS1_11target_archE942ELNS1_3gpuE9ELNS1_3repE0EEENS1_52radix_sort_onesweep_histogram_config_static_selectorELNS0_4arch9wavefront6targetE1EEEvSG_,@function
_ZN7rocprim17ROCPRIM_400000_NS6detail17trampoline_kernelINS0_14default_configENS1_35radix_sort_onesweep_config_selectorIffEEZNS1_34radix_sort_onesweep_global_offsetsIS3_Lb0EN6thrust23THRUST_200600_302600_NS6detail15normal_iteratorINS8_10device_ptrIfEEEESD_jNS0_19identity_decomposerEEE10hipError_tT1_T2_PT3_SI_jT4_jjP12ihipStream_tbEUlT_E_NS1_11comp_targetILNS1_3genE5ELNS1_11target_archE942ELNS1_3gpuE9ELNS1_3repE0EEENS1_52radix_sort_onesweep_histogram_config_static_selectorELNS0_4arch9wavefront6targetE1EEEvSG_: ; @_ZN7rocprim17ROCPRIM_400000_NS6detail17trampoline_kernelINS0_14default_configENS1_35radix_sort_onesweep_config_selectorIffEEZNS1_34radix_sort_onesweep_global_offsetsIS3_Lb0EN6thrust23THRUST_200600_302600_NS6detail15normal_iteratorINS8_10device_ptrIfEEEESD_jNS0_19identity_decomposerEEE10hipError_tT1_T2_PT3_SI_jT4_jjP12ihipStream_tbEUlT_E_NS1_11comp_targetILNS1_3genE5ELNS1_11target_archE942ELNS1_3gpuE9ELNS1_3repE0EEENS1_52radix_sort_onesweep_histogram_config_static_selectorELNS0_4arch9wavefront6targetE1EEEvSG_
; %bb.0:
	.section	.rodata,"a",@progbits
	.p2align	6, 0x0
	.amdhsa_kernel _ZN7rocprim17ROCPRIM_400000_NS6detail17trampoline_kernelINS0_14default_configENS1_35radix_sort_onesweep_config_selectorIffEEZNS1_34radix_sort_onesweep_global_offsetsIS3_Lb0EN6thrust23THRUST_200600_302600_NS6detail15normal_iteratorINS8_10device_ptrIfEEEESD_jNS0_19identity_decomposerEEE10hipError_tT1_T2_PT3_SI_jT4_jjP12ihipStream_tbEUlT_E_NS1_11comp_targetILNS1_3genE5ELNS1_11target_archE942ELNS1_3gpuE9ELNS1_3repE0EEENS1_52radix_sort_onesweep_histogram_config_static_selectorELNS0_4arch9wavefront6targetE1EEEvSG_
		.amdhsa_group_segment_fixed_size 0
		.amdhsa_private_segment_fixed_size 0
		.amdhsa_kernarg_size 40
		.amdhsa_user_sgpr_count 2
		.amdhsa_user_sgpr_dispatch_ptr 0
		.amdhsa_user_sgpr_queue_ptr 0
		.amdhsa_user_sgpr_kernarg_segment_ptr 1
		.amdhsa_user_sgpr_dispatch_id 0
		.amdhsa_user_sgpr_kernarg_preload_length 0
		.amdhsa_user_sgpr_kernarg_preload_offset 0
		.amdhsa_user_sgpr_private_segment_size 0
		.amdhsa_uses_dynamic_stack 0
		.amdhsa_enable_private_segment 0
		.amdhsa_system_sgpr_workgroup_id_x 1
		.amdhsa_system_sgpr_workgroup_id_y 0
		.amdhsa_system_sgpr_workgroup_id_z 0
		.amdhsa_system_sgpr_workgroup_info 0
		.amdhsa_system_vgpr_workitem_id 0
		.amdhsa_next_free_vgpr 1
		.amdhsa_next_free_sgpr 0
		.amdhsa_accum_offset 4
		.amdhsa_reserve_vcc 0
		.amdhsa_float_round_mode_32 0
		.amdhsa_float_round_mode_16_64 0
		.amdhsa_float_denorm_mode_32 3
		.amdhsa_float_denorm_mode_16_64 3
		.amdhsa_dx10_clamp 1
		.amdhsa_ieee_mode 1
		.amdhsa_fp16_overflow 0
		.amdhsa_tg_split 0
		.amdhsa_exception_fp_ieee_invalid_op 0
		.amdhsa_exception_fp_denorm_src 0
		.amdhsa_exception_fp_ieee_div_zero 0
		.amdhsa_exception_fp_ieee_overflow 0
		.amdhsa_exception_fp_ieee_underflow 0
		.amdhsa_exception_fp_ieee_inexact 0
		.amdhsa_exception_int_div_zero 0
	.end_amdhsa_kernel
	.section	.text._ZN7rocprim17ROCPRIM_400000_NS6detail17trampoline_kernelINS0_14default_configENS1_35radix_sort_onesweep_config_selectorIffEEZNS1_34radix_sort_onesweep_global_offsetsIS3_Lb0EN6thrust23THRUST_200600_302600_NS6detail15normal_iteratorINS8_10device_ptrIfEEEESD_jNS0_19identity_decomposerEEE10hipError_tT1_T2_PT3_SI_jT4_jjP12ihipStream_tbEUlT_E_NS1_11comp_targetILNS1_3genE5ELNS1_11target_archE942ELNS1_3gpuE9ELNS1_3repE0EEENS1_52radix_sort_onesweep_histogram_config_static_selectorELNS0_4arch9wavefront6targetE1EEEvSG_,"axG",@progbits,_ZN7rocprim17ROCPRIM_400000_NS6detail17trampoline_kernelINS0_14default_configENS1_35radix_sort_onesweep_config_selectorIffEEZNS1_34radix_sort_onesweep_global_offsetsIS3_Lb0EN6thrust23THRUST_200600_302600_NS6detail15normal_iteratorINS8_10device_ptrIfEEEESD_jNS0_19identity_decomposerEEE10hipError_tT1_T2_PT3_SI_jT4_jjP12ihipStream_tbEUlT_E_NS1_11comp_targetILNS1_3genE5ELNS1_11target_archE942ELNS1_3gpuE9ELNS1_3repE0EEENS1_52radix_sort_onesweep_histogram_config_static_selectorELNS0_4arch9wavefront6targetE1EEEvSG_,comdat
.Lfunc_end280:
	.size	_ZN7rocprim17ROCPRIM_400000_NS6detail17trampoline_kernelINS0_14default_configENS1_35radix_sort_onesweep_config_selectorIffEEZNS1_34radix_sort_onesweep_global_offsetsIS3_Lb0EN6thrust23THRUST_200600_302600_NS6detail15normal_iteratorINS8_10device_ptrIfEEEESD_jNS0_19identity_decomposerEEE10hipError_tT1_T2_PT3_SI_jT4_jjP12ihipStream_tbEUlT_E_NS1_11comp_targetILNS1_3genE5ELNS1_11target_archE942ELNS1_3gpuE9ELNS1_3repE0EEENS1_52radix_sort_onesweep_histogram_config_static_selectorELNS0_4arch9wavefront6targetE1EEEvSG_, .Lfunc_end280-_ZN7rocprim17ROCPRIM_400000_NS6detail17trampoline_kernelINS0_14default_configENS1_35radix_sort_onesweep_config_selectorIffEEZNS1_34radix_sort_onesweep_global_offsetsIS3_Lb0EN6thrust23THRUST_200600_302600_NS6detail15normal_iteratorINS8_10device_ptrIfEEEESD_jNS0_19identity_decomposerEEE10hipError_tT1_T2_PT3_SI_jT4_jjP12ihipStream_tbEUlT_E_NS1_11comp_targetILNS1_3genE5ELNS1_11target_archE942ELNS1_3gpuE9ELNS1_3repE0EEENS1_52radix_sort_onesweep_histogram_config_static_selectorELNS0_4arch9wavefront6targetE1EEEvSG_
                                        ; -- End function
	.set _ZN7rocprim17ROCPRIM_400000_NS6detail17trampoline_kernelINS0_14default_configENS1_35radix_sort_onesweep_config_selectorIffEEZNS1_34radix_sort_onesweep_global_offsetsIS3_Lb0EN6thrust23THRUST_200600_302600_NS6detail15normal_iteratorINS8_10device_ptrIfEEEESD_jNS0_19identity_decomposerEEE10hipError_tT1_T2_PT3_SI_jT4_jjP12ihipStream_tbEUlT_E_NS1_11comp_targetILNS1_3genE5ELNS1_11target_archE942ELNS1_3gpuE9ELNS1_3repE0EEENS1_52radix_sort_onesweep_histogram_config_static_selectorELNS0_4arch9wavefront6targetE1EEEvSG_.num_vgpr, 0
	.set _ZN7rocprim17ROCPRIM_400000_NS6detail17trampoline_kernelINS0_14default_configENS1_35radix_sort_onesweep_config_selectorIffEEZNS1_34radix_sort_onesweep_global_offsetsIS3_Lb0EN6thrust23THRUST_200600_302600_NS6detail15normal_iteratorINS8_10device_ptrIfEEEESD_jNS0_19identity_decomposerEEE10hipError_tT1_T2_PT3_SI_jT4_jjP12ihipStream_tbEUlT_E_NS1_11comp_targetILNS1_3genE5ELNS1_11target_archE942ELNS1_3gpuE9ELNS1_3repE0EEENS1_52radix_sort_onesweep_histogram_config_static_selectorELNS0_4arch9wavefront6targetE1EEEvSG_.num_agpr, 0
	.set _ZN7rocprim17ROCPRIM_400000_NS6detail17trampoline_kernelINS0_14default_configENS1_35radix_sort_onesweep_config_selectorIffEEZNS1_34radix_sort_onesweep_global_offsetsIS3_Lb0EN6thrust23THRUST_200600_302600_NS6detail15normal_iteratorINS8_10device_ptrIfEEEESD_jNS0_19identity_decomposerEEE10hipError_tT1_T2_PT3_SI_jT4_jjP12ihipStream_tbEUlT_E_NS1_11comp_targetILNS1_3genE5ELNS1_11target_archE942ELNS1_3gpuE9ELNS1_3repE0EEENS1_52radix_sort_onesweep_histogram_config_static_selectorELNS0_4arch9wavefront6targetE1EEEvSG_.numbered_sgpr, 0
	.set _ZN7rocprim17ROCPRIM_400000_NS6detail17trampoline_kernelINS0_14default_configENS1_35radix_sort_onesweep_config_selectorIffEEZNS1_34radix_sort_onesweep_global_offsetsIS3_Lb0EN6thrust23THRUST_200600_302600_NS6detail15normal_iteratorINS8_10device_ptrIfEEEESD_jNS0_19identity_decomposerEEE10hipError_tT1_T2_PT3_SI_jT4_jjP12ihipStream_tbEUlT_E_NS1_11comp_targetILNS1_3genE5ELNS1_11target_archE942ELNS1_3gpuE9ELNS1_3repE0EEENS1_52radix_sort_onesweep_histogram_config_static_selectorELNS0_4arch9wavefront6targetE1EEEvSG_.num_named_barrier, 0
	.set _ZN7rocprim17ROCPRIM_400000_NS6detail17trampoline_kernelINS0_14default_configENS1_35radix_sort_onesweep_config_selectorIffEEZNS1_34radix_sort_onesweep_global_offsetsIS3_Lb0EN6thrust23THRUST_200600_302600_NS6detail15normal_iteratorINS8_10device_ptrIfEEEESD_jNS0_19identity_decomposerEEE10hipError_tT1_T2_PT3_SI_jT4_jjP12ihipStream_tbEUlT_E_NS1_11comp_targetILNS1_3genE5ELNS1_11target_archE942ELNS1_3gpuE9ELNS1_3repE0EEENS1_52radix_sort_onesweep_histogram_config_static_selectorELNS0_4arch9wavefront6targetE1EEEvSG_.private_seg_size, 0
	.set _ZN7rocprim17ROCPRIM_400000_NS6detail17trampoline_kernelINS0_14default_configENS1_35radix_sort_onesweep_config_selectorIffEEZNS1_34radix_sort_onesweep_global_offsetsIS3_Lb0EN6thrust23THRUST_200600_302600_NS6detail15normal_iteratorINS8_10device_ptrIfEEEESD_jNS0_19identity_decomposerEEE10hipError_tT1_T2_PT3_SI_jT4_jjP12ihipStream_tbEUlT_E_NS1_11comp_targetILNS1_3genE5ELNS1_11target_archE942ELNS1_3gpuE9ELNS1_3repE0EEENS1_52radix_sort_onesweep_histogram_config_static_selectorELNS0_4arch9wavefront6targetE1EEEvSG_.uses_vcc, 0
	.set _ZN7rocprim17ROCPRIM_400000_NS6detail17trampoline_kernelINS0_14default_configENS1_35radix_sort_onesweep_config_selectorIffEEZNS1_34radix_sort_onesweep_global_offsetsIS3_Lb0EN6thrust23THRUST_200600_302600_NS6detail15normal_iteratorINS8_10device_ptrIfEEEESD_jNS0_19identity_decomposerEEE10hipError_tT1_T2_PT3_SI_jT4_jjP12ihipStream_tbEUlT_E_NS1_11comp_targetILNS1_3genE5ELNS1_11target_archE942ELNS1_3gpuE9ELNS1_3repE0EEENS1_52radix_sort_onesweep_histogram_config_static_selectorELNS0_4arch9wavefront6targetE1EEEvSG_.uses_flat_scratch, 0
	.set _ZN7rocprim17ROCPRIM_400000_NS6detail17trampoline_kernelINS0_14default_configENS1_35radix_sort_onesweep_config_selectorIffEEZNS1_34radix_sort_onesweep_global_offsetsIS3_Lb0EN6thrust23THRUST_200600_302600_NS6detail15normal_iteratorINS8_10device_ptrIfEEEESD_jNS0_19identity_decomposerEEE10hipError_tT1_T2_PT3_SI_jT4_jjP12ihipStream_tbEUlT_E_NS1_11comp_targetILNS1_3genE5ELNS1_11target_archE942ELNS1_3gpuE9ELNS1_3repE0EEENS1_52radix_sort_onesweep_histogram_config_static_selectorELNS0_4arch9wavefront6targetE1EEEvSG_.has_dyn_sized_stack, 0
	.set _ZN7rocprim17ROCPRIM_400000_NS6detail17trampoline_kernelINS0_14default_configENS1_35radix_sort_onesweep_config_selectorIffEEZNS1_34radix_sort_onesweep_global_offsetsIS3_Lb0EN6thrust23THRUST_200600_302600_NS6detail15normal_iteratorINS8_10device_ptrIfEEEESD_jNS0_19identity_decomposerEEE10hipError_tT1_T2_PT3_SI_jT4_jjP12ihipStream_tbEUlT_E_NS1_11comp_targetILNS1_3genE5ELNS1_11target_archE942ELNS1_3gpuE9ELNS1_3repE0EEENS1_52radix_sort_onesweep_histogram_config_static_selectorELNS0_4arch9wavefront6targetE1EEEvSG_.has_recursion, 0
	.set _ZN7rocprim17ROCPRIM_400000_NS6detail17trampoline_kernelINS0_14default_configENS1_35radix_sort_onesweep_config_selectorIffEEZNS1_34radix_sort_onesweep_global_offsetsIS3_Lb0EN6thrust23THRUST_200600_302600_NS6detail15normal_iteratorINS8_10device_ptrIfEEEESD_jNS0_19identity_decomposerEEE10hipError_tT1_T2_PT3_SI_jT4_jjP12ihipStream_tbEUlT_E_NS1_11comp_targetILNS1_3genE5ELNS1_11target_archE942ELNS1_3gpuE9ELNS1_3repE0EEENS1_52radix_sort_onesweep_histogram_config_static_selectorELNS0_4arch9wavefront6targetE1EEEvSG_.has_indirect_call, 0
	.section	.AMDGPU.csdata,"",@progbits
; Kernel info:
; codeLenInByte = 0
; TotalNumSgprs: 6
; NumVgprs: 0
; NumAgprs: 0
; TotalNumVgprs: 0
; ScratchSize: 0
; MemoryBound: 0
; FloatMode: 240
; IeeeMode: 1
; LDSByteSize: 0 bytes/workgroup (compile time only)
; SGPRBlocks: 0
; VGPRBlocks: 0
; NumSGPRsForWavesPerEU: 6
; NumVGPRsForWavesPerEU: 1
; AccumOffset: 4
; Occupancy: 8
; WaveLimiterHint : 0
; COMPUTE_PGM_RSRC2:SCRATCH_EN: 0
; COMPUTE_PGM_RSRC2:USER_SGPR: 2
; COMPUTE_PGM_RSRC2:TRAP_HANDLER: 0
; COMPUTE_PGM_RSRC2:TGID_X_EN: 1
; COMPUTE_PGM_RSRC2:TGID_Y_EN: 0
; COMPUTE_PGM_RSRC2:TGID_Z_EN: 0
; COMPUTE_PGM_RSRC2:TIDIG_COMP_CNT: 0
; COMPUTE_PGM_RSRC3_GFX90A:ACCUM_OFFSET: 0
; COMPUTE_PGM_RSRC3_GFX90A:TG_SPLIT: 0
	.section	.text._ZN7rocprim17ROCPRIM_400000_NS6detail17trampoline_kernelINS0_14default_configENS1_35radix_sort_onesweep_config_selectorIffEEZNS1_34radix_sort_onesweep_global_offsetsIS3_Lb0EN6thrust23THRUST_200600_302600_NS6detail15normal_iteratorINS8_10device_ptrIfEEEESD_jNS0_19identity_decomposerEEE10hipError_tT1_T2_PT3_SI_jT4_jjP12ihipStream_tbEUlT_E_NS1_11comp_targetILNS1_3genE2ELNS1_11target_archE906ELNS1_3gpuE6ELNS1_3repE0EEENS1_52radix_sort_onesweep_histogram_config_static_selectorELNS0_4arch9wavefront6targetE1EEEvSG_,"axG",@progbits,_ZN7rocprim17ROCPRIM_400000_NS6detail17trampoline_kernelINS0_14default_configENS1_35radix_sort_onesweep_config_selectorIffEEZNS1_34radix_sort_onesweep_global_offsetsIS3_Lb0EN6thrust23THRUST_200600_302600_NS6detail15normal_iteratorINS8_10device_ptrIfEEEESD_jNS0_19identity_decomposerEEE10hipError_tT1_T2_PT3_SI_jT4_jjP12ihipStream_tbEUlT_E_NS1_11comp_targetILNS1_3genE2ELNS1_11target_archE906ELNS1_3gpuE6ELNS1_3repE0EEENS1_52radix_sort_onesweep_histogram_config_static_selectorELNS0_4arch9wavefront6targetE1EEEvSG_,comdat
	.protected	_ZN7rocprim17ROCPRIM_400000_NS6detail17trampoline_kernelINS0_14default_configENS1_35radix_sort_onesweep_config_selectorIffEEZNS1_34radix_sort_onesweep_global_offsetsIS3_Lb0EN6thrust23THRUST_200600_302600_NS6detail15normal_iteratorINS8_10device_ptrIfEEEESD_jNS0_19identity_decomposerEEE10hipError_tT1_T2_PT3_SI_jT4_jjP12ihipStream_tbEUlT_E_NS1_11comp_targetILNS1_3genE2ELNS1_11target_archE906ELNS1_3gpuE6ELNS1_3repE0EEENS1_52radix_sort_onesweep_histogram_config_static_selectorELNS0_4arch9wavefront6targetE1EEEvSG_ ; -- Begin function _ZN7rocprim17ROCPRIM_400000_NS6detail17trampoline_kernelINS0_14default_configENS1_35radix_sort_onesweep_config_selectorIffEEZNS1_34radix_sort_onesweep_global_offsetsIS3_Lb0EN6thrust23THRUST_200600_302600_NS6detail15normal_iteratorINS8_10device_ptrIfEEEESD_jNS0_19identity_decomposerEEE10hipError_tT1_T2_PT3_SI_jT4_jjP12ihipStream_tbEUlT_E_NS1_11comp_targetILNS1_3genE2ELNS1_11target_archE906ELNS1_3gpuE6ELNS1_3repE0EEENS1_52radix_sort_onesweep_histogram_config_static_selectorELNS0_4arch9wavefront6targetE1EEEvSG_
	.globl	_ZN7rocprim17ROCPRIM_400000_NS6detail17trampoline_kernelINS0_14default_configENS1_35radix_sort_onesweep_config_selectorIffEEZNS1_34radix_sort_onesweep_global_offsetsIS3_Lb0EN6thrust23THRUST_200600_302600_NS6detail15normal_iteratorINS8_10device_ptrIfEEEESD_jNS0_19identity_decomposerEEE10hipError_tT1_T2_PT3_SI_jT4_jjP12ihipStream_tbEUlT_E_NS1_11comp_targetILNS1_3genE2ELNS1_11target_archE906ELNS1_3gpuE6ELNS1_3repE0EEENS1_52radix_sort_onesweep_histogram_config_static_selectorELNS0_4arch9wavefront6targetE1EEEvSG_
	.p2align	8
	.type	_ZN7rocprim17ROCPRIM_400000_NS6detail17trampoline_kernelINS0_14default_configENS1_35radix_sort_onesweep_config_selectorIffEEZNS1_34radix_sort_onesweep_global_offsetsIS3_Lb0EN6thrust23THRUST_200600_302600_NS6detail15normal_iteratorINS8_10device_ptrIfEEEESD_jNS0_19identity_decomposerEEE10hipError_tT1_T2_PT3_SI_jT4_jjP12ihipStream_tbEUlT_E_NS1_11comp_targetILNS1_3genE2ELNS1_11target_archE906ELNS1_3gpuE6ELNS1_3repE0EEENS1_52radix_sort_onesweep_histogram_config_static_selectorELNS0_4arch9wavefront6targetE1EEEvSG_,@function
_ZN7rocprim17ROCPRIM_400000_NS6detail17trampoline_kernelINS0_14default_configENS1_35radix_sort_onesweep_config_selectorIffEEZNS1_34radix_sort_onesweep_global_offsetsIS3_Lb0EN6thrust23THRUST_200600_302600_NS6detail15normal_iteratorINS8_10device_ptrIfEEEESD_jNS0_19identity_decomposerEEE10hipError_tT1_T2_PT3_SI_jT4_jjP12ihipStream_tbEUlT_E_NS1_11comp_targetILNS1_3genE2ELNS1_11target_archE906ELNS1_3gpuE6ELNS1_3repE0EEENS1_52radix_sort_onesweep_histogram_config_static_selectorELNS0_4arch9wavefront6targetE1EEEvSG_: ; @_ZN7rocprim17ROCPRIM_400000_NS6detail17trampoline_kernelINS0_14default_configENS1_35radix_sort_onesweep_config_selectorIffEEZNS1_34radix_sort_onesweep_global_offsetsIS3_Lb0EN6thrust23THRUST_200600_302600_NS6detail15normal_iteratorINS8_10device_ptrIfEEEESD_jNS0_19identity_decomposerEEE10hipError_tT1_T2_PT3_SI_jT4_jjP12ihipStream_tbEUlT_E_NS1_11comp_targetILNS1_3genE2ELNS1_11target_archE906ELNS1_3gpuE6ELNS1_3repE0EEENS1_52radix_sort_onesweep_histogram_config_static_selectorELNS0_4arch9wavefront6targetE1EEEvSG_
; %bb.0:
	.section	.rodata,"a",@progbits
	.p2align	6, 0x0
	.amdhsa_kernel _ZN7rocprim17ROCPRIM_400000_NS6detail17trampoline_kernelINS0_14default_configENS1_35radix_sort_onesweep_config_selectorIffEEZNS1_34radix_sort_onesweep_global_offsetsIS3_Lb0EN6thrust23THRUST_200600_302600_NS6detail15normal_iteratorINS8_10device_ptrIfEEEESD_jNS0_19identity_decomposerEEE10hipError_tT1_T2_PT3_SI_jT4_jjP12ihipStream_tbEUlT_E_NS1_11comp_targetILNS1_3genE2ELNS1_11target_archE906ELNS1_3gpuE6ELNS1_3repE0EEENS1_52radix_sort_onesweep_histogram_config_static_selectorELNS0_4arch9wavefront6targetE1EEEvSG_
		.amdhsa_group_segment_fixed_size 0
		.amdhsa_private_segment_fixed_size 0
		.amdhsa_kernarg_size 40
		.amdhsa_user_sgpr_count 2
		.amdhsa_user_sgpr_dispatch_ptr 0
		.amdhsa_user_sgpr_queue_ptr 0
		.amdhsa_user_sgpr_kernarg_segment_ptr 1
		.amdhsa_user_sgpr_dispatch_id 0
		.amdhsa_user_sgpr_kernarg_preload_length 0
		.amdhsa_user_sgpr_kernarg_preload_offset 0
		.amdhsa_user_sgpr_private_segment_size 0
		.amdhsa_uses_dynamic_stack 0
		.amdhsa_enable_private_segment 0
		.amdhsa_system_sgpr_workgroup_id_x 1
		.amdhsa_system_sgpr_workgroup_id_y 0
		.amdhsa_system_sgpr_workgroup_id_z 0
		.amdhsa_system_sgpr_workgroup_info 0
		.amdhsa_system_vgpr_workitem_id 0
		.amdhsa_next_free_vgpr 1
		.amdhsa_next_free_sgpr 0
		.amdhsa_accum_offset 4
		.amdhsa_reserve_vcc 0
		.amdhsa_float_round_mode_32 0
		.amdhsa_float_round_mode_16_64 0
		.amdhsa_float_denorm_mode_32 3
		.amdhsa_float_denorm_mode_16_64 3
		.amdhsa_dx10_clamp 1
		.amdhsa_ieee_mode 1
		.amdhsa_fp16_overflow 0
		.amdhsa_tg_split 0
		.amdhsa_exception_fp_ieee_invalid_op 0
		.amdhsa_exception_fp_denorm_src 0
		.amdhsa_exception_fp_ieee_div_zero 0
		.amdhsa_exception_fp_ieee_overflow 0
		.amdhsa_exception_fp_ieee_underflow 0
		.amdhsa_exception_fp_ieee_inexact 0
		.amdhsa_exception_int_div_zero 0
	.end_amdhsa_kernel
	.section	.text._ZN7rocprim17ROCPRIM_400000_NS6detail17trampoline_kernelINS0_14default_configENS1_35radix_sort_onesweep_config_selectorIffEEZNS1_34radix_sort_onesweep_global_offsetsIS3_Lb0EN6thrust23THRUST_200600_302600_NS6detail15normal_iteratorINS8_10device_ptrIfEEEESD_jNS0_19identity_decomposerEEE10hipError_tT1_T2_PT3_SI_jT4_jjP12ihipStream_tbEUlT_E_NS1_11comp_targetILNS1_3genE2ELNS1_11target_archE906ELNS1_3gpuE6ELNS1_3repE0EEENS1_52radix_sort_onesweep_histogram_config_static_selectorELNS0_4arch9wavefront6targetE1EEEvSG_,"axG",@progbits,_ZN7rocprim17ROCPRIM_400000_NS6detail17trampoline_kernelINS0_14default_configENS1_35radix_sort_onesweep_config_selectorIffEEZNS1_34radix_sort_onesweep_global_offsetsIS3_Lb0EN6thrust23THRUST_200600_302600_NS6detail15normal_iteratorINS8_10device_ptrIfEEEESD_jNS0_19identity_decomposerEEE10hipError_tT1_T2_PT3_SI_jT4_jjP12ihipStream_tbEUlT_E_NS1_11comp_targetILNS1_3genE2ELNS1_11target_archE906ELNS1_3gpuE6ELNS1_3repE0EEENS1_52radix_sort_onesweep_histogram_config_static_selectorELNS0_4arch9wavefront6targetE1EEEvSG_,comdat
.Lfunc_end281:
	.size	_ZN7rocprim17ROCPRIM_400000_NS6detail17trampoline_kernelINS0_14default_configENS1_35radix_sort_onesweep_config_selectorIffEEZNS1_34radix_sort_onesweep_global_offsetsIS3_Lb0EN6thrust23THRUST_200600_302600_NS6detail15normal_iteratorINS8_10device_ptrIfEEEESD_jNS0_19identity_decomposerEEE10hipError_tT1_T2_PT3_SI_jT4_jjP12ihipStream_tbEUlT_E_NS1_11comp_targetILNS1_3genE2ELNS1_11target_archE906ELNS1_3gpuE6ELNS1_3repE0EEENS1_52radix_sort_onesweep_histogram_config_static_selectorELNS0_4arch9wavefront6targetE1EEEvSG_, .Lfunc_end281-_ZN7rocprim17ROCPRIM_400000_NS6detail17trampoline_kernelINS0_14default_configENS1_35radix_sort_onesweep_config_selectorIffEEZNS1_34radix_sort_onesweep_global_offsetsIS3_Lb0EN6thrust23THRUST_200600_302600_NS6detail15normal_iteratorINS8_10device_ptrIfEEEESD_jNS0_19identity_decomposerEEE10hipError_tT1_T2_PT3_SI_jT4_jjP12ihipStream_tbEUlT_E_NS1_11comp_targetILNS1_3genE2ELNS1_11target_archE906ELNS1_3gpuE6ELNS1_3repE0EEENS1_52radix_sort_onesweep_histogram_config_static_selectorELNS0_4arch9wavefront6targetE1EEEvSG_
                                        ; -- End function
	.set _ZN7rocprim17ROCPRIM_400000_NS6detail17trampoline_kernelINS0_14default_configENS1_35radix_sort_onesweep_config_selectorIffEEZNS1_34radix_sort_onesweep_global_offsetsIS3_Lb0EN6thrust23THRUST_200600_302600_NS6detail15normal_iteratorINS8_10device_ptrIfEEEESD_jNS0_19identity_decomposerEEE10hipError_tT1_T2_PT3_SI_jT4_jjP12ihipStream_tbEUlT_E_NS1_11comp_targetILNS1_3genE2ELNS1_11target_archE906ELNS1_3gpuE6ELNS1_3repE0EEENS1_52radix_sort_onesweep_histogram_config_static_selectorELNS0_4arch9wavefront6targetE1EEEvSG_.num_vgpr, 0
	.set _ZN7rocprim17ROCPRIM_400000_NS6detail17trampoline_kernelINS0_14default_configENS1_35radix_sort_onesweep_config_selectorIffEEZNS1_34radix_sort_onesweep_global_offsetsIS3_Lb0EN6thrust23THRUST_200600_302600_NS6detail15normal_iteratorINS8_10device_ptrIfEEEESD_jNS0_19identity_decomposerEEE10hipError_tT1_T2_PT3_SI_jT4_jjP12ihipStream_tbEUlT_E_NS1_11comp_targetILNS1_3genE2ELNS1_11target_archE906ELNS1_3gpuE6ELNS1_3repE0EEENS1_52radix_sort_onesweep_histogram_config_static_selectorELNS0_4arch9wavefront6targetE1EEEvSG_.num_agpr, 0
	.set _ZN7rocprim17ROCPRIM_400000_NS6detail17trampoline_kernelINS0_14default_configENS1_35radix_sort_onesweep_config_selectorIffEEZNS1_34radix_sort_onesweep_global_offsetsIS3_Lb0EN6thrust23THRUST_200600_302600_NS6detail15normal_iteratorINS8_10device_ptrIfEEEESD_jNS0_19identity_decomposerEEE10hipError_tT1_T2_PT3_SI_jT4_jjP12ihipStream_tbEUlT_E_NS1_11comp_targetILNS1_3genE2ELNS1_11target_archE906ELNS1_3gpuE6ELNS1_3repE0EEENS1_52radix_sort_onesweep_histogram_config_static_selectorELNS0_4arch9wavefront6targetE1EEEvSG_.numbered_sgpr, 0
	.set _ZN7rocprim17ROCPRIM_400000_NS6detail17trampoline_kernelINS0_14default_configENS1_35radix_sort_onesweep_config_selectorIffEEZNS1_34radix_sort_onesweep_global_offsetsIS3_Lb0EN6thrust23THRUST_200600_302600_NS6detail15normal_iteratorINS8_10device_ptrIfEEEESD_jNS0_19identity_decomposerEEE10hipError_tT1_T2_PT3_SI_jT4_jjP12ihipStream_tbEUlT_E_NS1_11comp_targetILNS1_3genE2ELNS1_11target_archE906ELNS1_3gpuE6ELNS1_3repE0EEENS1_52radix_sort_onesweep_histogram_config_static_selectorELNS0_4arch9wavefront6targetE1EEEvSG_.num_named_barrier, 0
	.set _ZN7rocprim17ROCPRIM_400000_NS6detail17trampoline_kernelINS0_14default_configENS1_35radix_sort_onesweep_config_selectorIffEEZNS1_34radix_sort_onesweep_global_offsetsIS3_Lb0EN6thrust23THRUST_200600_302600_NS6detail15normal_iteratorINS8_10device_ptrIfEEEESD_jNS0_19identity_decomposerEEE10hipError_tT1_T2_PT3_SI_jT4_jjP12ihipStream_tbEUlT_E_NS1_11comp_targetILNS1_3genE2ELNS1_11target_archE906ELNS1_3gpuE6ELNS1_3repE0EEENS1_52radix_sort_onesweep_histogram_config_static_selectorELNS0_4arch9wavefront6targetE1EEEvSG_.private_seg_size, 0
	.set _ZN7rocprim17ROCPRIM_400000_NS6detail17trampoline_kernelINS0_14default_configENS1_35radix_sort_onesweep_config_selectorIffEEZNS1_34radix_sort_onesweep_global_offsetsIS3_Lb0EN6thrust23THRUST_200600_302600_NS6detail15normal_iteratorINS8_10device_ptrIfEEEESD_jNS0_19identity_decomposerEEE10hipError_tT1_T2_PT3_SI_jT4_jjP12ihipStream_tbEUlT_E_NS1_11comp_targetILNS1_3genE2ELNS1_11target_archE906ELNS1_3gpuE6ELNS1_3repE0EEENS1_52radix_sort_onesweep_histogram_config_static_selectorELNS0_4arch9wavefront6targetE1EEEvSG_.uses_vcc, 0
	.set _ZN7rocprim17ROCPRIM_400000_NS6detail17trampoline_kernelINS0_14default_configENS1_35radix_sort_onesweep_config_selectorIffEEZNS1_34radix_sort_onesweep_global_offsetsIS3_Lb0EN6thrust23THRUST_200600_302600_NS6detail15normal_iteratorINS8_10device_ptrIfEEEESD_jNS0_19identity_decomposerEEE10hipError_tT1_T2_PT3_SI_jT4_jjP12ihipStream_tbEUlT_E_NS1_11comp_targetILNS1_3genE2ELNS1_11target_archE906ELNS1_3gpuE6ELNS1_3repE0EEENS1_52radix_sort_onesweep_histogram_config_static_selectorELNS0_4arch9wavefront6targetE1EEEvSG_.uses_flat_scratch, 0
	.set _ZN7rocprim17ROCPRIM_400000_NS6detail17trampoline_kernelINS0_14default_configENS1_35radix_sort_onesweep_config_selectorIffEEZNS1_34radix_sort_onesweep_global_offsetsIS3_Lb0EN6thrust23THRUST_200600_302600_NS6detail15normal_iteratorINS8_10device_ptrIfEEEESD_jNS0_19identity_decomposerEEE10hipError_tT1_T2_PT3_SI_jT4_jjP12ihipStream_tbEUlT_E_NS1_11comp_targetILNS1_3genE2ELNS1_11target_archE906ELNS1_3gpuE6ELNS1_3repE0EEENS1_52radix_sort_onesweep_histogram_config_static_selectorELNS0_4arch9wavefront6targetE1EEEvSG_.has_dyn_sized_stack, 0
	.set _ZN7rocprim17ROCPRIM_400000_NS6detail17trampoline_kernelINS0_14default_configENS1_35radix_sort_onesweep_config_selectorIffEEZNS1_34radix_sort_onesweep_global_offsetsIS3_Lb0EN6thrust23THRUST_200600_302600_NS6detail15normal_iteratorINS8_10device_ptrIfEEEESD_jNS0_19identity_decomposerEEE10hipError_tT1_T2_PT3_SI_jT4_jjP12ihipStream_tbEUlT_E_NS1_11comp_targetILNS1_3genE2ELNS1_11target_archE906ELNS1_3gpuE6ELNS1_3repE0EEENS1_52radix_sort_onesweep_histogram_config_static_selectorELNS0_4arch9wavefront6targetE1EEEvSG_.has_recursion, 0
	.set _ZN7rocprim17ROCPRIM_400000_NS6detail17trampoline_kernelINS0_14default_configENS1_35radix_sort_onesweep_config_selectorIffEEZNS1_34radix_sort_onesweep_global_offsetsIS3_Lb0EN6thrust23THRUST_200600_302600_NS6detail15normal_iteratorINS8_10device_ptrIfEEEESD_jNS0_19identity_decomposerEEE10hipError_tT1_T2_PT3_SI_jT4_jjP12ihipStream_tbEUlT_E_NS1_11comp_targetILNS1_3genE2ELNS1_11target_archE906ELNS1_3gpuE6ELNS1_3repE0EEENS1_52radix_sort_onesweep_histogram_config_static_selectorELNS0_4arch9wavefront6targetE1EEEvSG_.has_indirect_call, 0
	.section	.AMDGPU.csdata,"",@progbits
; Kernel info:
; codeLenInByte = 0
; TotalNumSgprs: 6
; NumVgprs: 0
; NumAgprs: 0
; TotalNumVgprs: 0
; ScratchSize: 0
; MemoryBound: 0
; FloatMode: 240
; IeeeMode: 1
; LDSByteSize: 0 bytes/workgroup (compile time only)
; SGPRBlocks: 0
; VGPRBlocks: 0
; NumSGPRsForWavesPerEU: 6
; NumVGPRsForWavesPerEU: 1
; AccumOffset: 4
; Occupancy: 8
; WaveLimiterHint : 0
; COMPUTE_PGM_RSRC2:SCRATCH_EN: 0
; COMPUTE_PGM_RSRC2:USER_SGPR: 2
; COMPUTE_PGM_RSRC2:TRAP_HANDLER: 0
; COMPUTE_PGM_RSRC2:TGID_X_EN: 1
; COMPUTE_PGM_RSRC2:TGID_Y_EN: 0
; COMPUTE_PGM_RSRC2:TGID_Z_EN: 0
; COMPUTE_PGM_RSRC2:TIDIG_COMP_CNT: 0
; COMPUTE_PGM_RSRC3_GFX90A:ACCUM_OFFSET: 0
; COMPUTE_PGM_RSRC3_GFX90A:TG_SPLIT: 0
	.section	.text._ZN7rocprim17ROCPRIM_400000_NS6detail17trampoline_kernelINS0_14default_configENS1_35radix_sort_onesweep_config_selectorIffEEZNS1_34radix_sort_onesweep_global_offsetsIS3_Lb0EN6thrust23THRUST_200600_302600_NS6detail15normal_iteratorINS8_10device_ptrIfEEEESD_jNS0_19identity_decomposerEEE10hipError_tT1_T2_PT3_SI_jT4_jjP12ihipStream_tbEUlT_E_NS1_11comp_targetILNS1_3genE4ELNS1_11target_archE910ELNS1_3gpuE8ELNS1_3repE0EEENS1_52radix_sort_onesweep_histogram_config_static_selectorELNS0_4arch9wavefront6targetE1EEEvSG_,"axG",@progbits,_ZN7rocprim17ROCPRIM_400000_NS6detail17trampoline_kernelINS0_14default_configENS1_35radix_sort_onesweep_config_selectorIffEEZNS1_34radix_sort_onesweep_global_offsetsIS3_Lb0EN6thrust23THRUST_200600_302600_NS6detail15normal_iteratorINS8_10device_ptrIfEEEESD_jNS0_19identity_decomposerEEE10hipError_tT1_T2_PT3_SI_jT4_jjP12ihipStream_tbEUlT_E_NS1_11comp_targetILNS1_3genE4ELNS1_11target_archE910ELNS1_3gpuE8ELNS1_3repE0EEENS1_52radix_sort_onesweep_histogram_config_static_selectorELNS0_4arch9wavefront6targetE1EEEvSG_,comdat
	.protected	_ZN7rocprim17ROCPRIM_400000_NS6detail17trampoline_kernelINS0_14default_configENS1_35radix_sort_onesweep_config_selectorIffEEZNS1_34radix_sort_onesweep_global_offsetsIS3_Lb0EN6thrust23THRUST_200600_302600_NS6detail15normal_iteratorINS8_10device_ptrIfEEEESD_jNS0_19identity_decomposerEEE10hipError_tT1_T2_PT3_SI_jT4_jjP12ihipStream_tbEUlT_E_NS1_11comp_targetILNS1_3genE4ELNS1_11target_archE910ELNS1_3gpuE8ELNS1_3repE0EEENS1_52radix_sort_onesweep_histogram_config_static_selectorELNS0_4arch9wavefront6targetE1EEEvSG_ ; -- Begin function _ZN7rocprim17ROCPRIM_400000_NS6detail17trampoline_kernelINS0_14default_configENS1_35radix_sort_onesweep_config_selectorIffEEZNS1_34radix_sort_onesweep_global_offsetsIS3_Lb0EN6thrust23THRUST_200600_302600_NS6detail15normal_iteratorINS8_10device_ptrIfEEEESD_jNS0_19identity_decomposerEEE10hipError_tT1_T2_PT3_SI_jT4_jjP12ihipStream_tbEUlT_E_NS1_11comp_targetILNS1_3genE4ELNS1_11target_archE910ELNS1_3gpuE8ELNS1_3repE0EEENS1_52radix_sort_onesweep_histogram_config_static_selectorELNS0_4arch9wavefront6targetE1EEEvSG_
	.globl	_ZN7rocprim17ROCPRIM_400000_NS6detail17trampoline_kernelINS0_14default_configENS1_35radix_sort_onesweep_config_selectorIffEEZNS1_34radix_sort_onesweep_global_offsetsIS3_Lb0EN6thrust23THRUST_200600_302600_NS6detail15normal_iteratorINS8_10device_ptrIfEEEESD_jNS0_19identity_decomposerEEE10hipError_tT1_T2_PT3_SI_jT4_jjP12ihipStream_tbEUlT_E_NS1_11comp_targetILNS1_3genE4ELNS1_11target_archE910ELNS1_3gpuE8ELNS1_3repE0EEENS1_52radix_sort_onesweep_histogram_config_static_selectorELNS0_4arch9wavefront6targetE1EEEvSG_
	.p2align	8
	.type	_ZN7rocprim17ROCPRIM_400000_NS6detail17trampoline_kernelINS0_14default_configENS1_35radix_sort_onesweep_config_selectorIffEEZNS1_34radix_sort_onesweep_global_offsetsIS3_Lb0EN6thrust23THRUST_200600_302600_NS6detail15normal_iteratorINS8_10device_ptrIfEEEESD_jNS0_19identity_decomposerEEE10hipError_tT1_T2_PT3_SI_jT4_jjP12ihipStream_tbEUlT_E_NS1_11comp_targetILNS1_3genE4ELNS1_11target_archE910ELNS1_3gpuE8ELNS1_3repE0EEENS1_52radix_sort_onesweep_histogram_config_static_selectorELNS0_4arch9wavefront6targetE1EEEvSG_,@function
_ZN7rocprim17ROCPRIM_400000_NS6detail17trampoline_kernelINS0_14default_configENS1_35radix_sort_onesweep_config_selectorIffEEZNS1_34radix_sort_onesweep_global_offsetsIS3_Lb0EN6thrust23THRUST_200600_302600_NS6detail15normal_iteratorINS8_10device_ptrIfEEEESD_jNS0_19identity_decomposerEEE10hipError_tT1_T2_PT3_SI_jT4_jjP12ihipStream_tbEUlT_E_NS1_11comp_targetILNS1_3genE4ELNS1_11target_archE910ELNS1_3gpuE8ELNS1_3repE0EEENS1_52radix_sort_onesweep_histogram_config_static_selectorELNS0_4arch9wavefront6targetE1EEEvSG_: ; @_ZN7rocprim17ROCPRIM_400000_NS6detail17trampoline_kernelINS0_14default_configENS1_35radix_sort_onesweep_config_selectorIffEEZNS1_34radix_sort_onesweep_global_offsetsIS3_Lb0EN6thrust23THRUST_200600_302600_NS6detail15normal_iteratorINS8_10device_ptrIfEEEESD_jNS0_19identity_decomposerEEE10hipError_tT1_T2_PT3_SI_jT4_jjP12ihipStream_tbEUlT_E_NS1_11comp_targetILNS1_3genE4ELNS1_11target_archE910ELNS1_3gpuE8ELNS1_3repE0EEENS1_52radix_sort_onesweep_histogram_config_static_selectorELNS0_4arch9wavefront6targetE1EEEvSG_
; %bb.0:
	.section	.rodata,"a",@progbits
	.p2align	6, 0x0
	.amdhsa_kernel _ZN7rocprim17ROCPRIM_400000_NS6detail17trampoline_kernelINS0_14default_configENS1_35radix_sort_onesweep_config_selectorIffEEZNS1_34radix_sort_onesweep_global_offsetsIS3_Lb0EN6thrust23THRUST_200600_302600_NS6detail15normal_iteratorINS8_10device_ptrIfEEEESD_jNS0_19identity_decomposerEEE10hipError_tT1_T2_PT3_SI_jT4_jjP12ihipStream_tbEUlT_E_NS1_11comp_targetILNS1_3genE4ELNS1_11target_archE910ELNS1_3gpuE8ELNS1_3repE0EEENS1_52radix_sort_onesweep_histogram_config_static_selectorELNS0_4arch9wavefront6targetE1EEEvSG_
		.amdhsa_group_segment_fixed_size 0
		.amdhsa_private_segment_fixed_size 0
		.amdhsa_kernarg_size 40
		.amdhsa_user_sgpr_count 2
		.amdhsa_user_sgpr_dispatch_ptr 0
		.amdhsa_user_sgpr_queue_ptr 0
		.amdhsa_user_sgpr_kernarg_segment_ptr 1
		.amdhsa_user_sgpr_dispatch_id 0
		.amdhsa_user_sgpr_kernarg_preload_length 0
		.amdhsa_user_sgpr_kernarg_preload_offset 0
		.amdhsa_user_sgpr_private_segment_size 0
		.amdhsa_uses_dynamic_stack 0
		.amdhsa_enable_private_segment 0
		.amdhsa_system_sgpr_workgroup_id_x 1
		.amdhsa_system_sgpr_workgroup_id_y 0
		.amdhsa_system_sgpr_workgroup_id_z 0
		.amdhsa_system_sgpr_workgroup_info 0
		.amdhsa_system_vgpr_workitem_id 0
		.amdhsa_next_free_vgpr 1
		.amdhsa_next_free_sgpr 0
		.amdhsa_accum_offset 4
		.amdhsa_reserve_vcc 0
		.amdhsa_float_round_mode_32 0
		.amdhsa_float_round_mode_16_64 0
		.amdhsa_float_denorm_mode_32 3
		.amdhsa_float_denorm_mode_16_64 3
		.amdhsa_dx10_clamp 1
		.amdhsa_ieee_mode 1
		.amdhsa_fp16_overflow 0
		.amdhsa_tg_split 0
		.amdhsa_exception_fp_ieee_invalid_op 0
		.amdhsa_exception_fp_denorm_src 0
		.amdhsa_exception_fp_ieee_div_zero 0
		.amdhsa_exception_fp_ieee_overflow 0
		.amdhsa_exception_fp_ieee_underflow 0
		.amdhsa_exception_fp_ieee_inexact 0
		.amdhsa_exception_int_div_zero 0
	.end_amdhsa_kernel
	.section	.text._ZN7rocprim17ROCPRIM_400000_NS6detail17trampoline_kernelINS0_14default_configENS1_35radix_sort_onesweep_config_selectorIffEEZNS1_34radix_sort_onesweep_global_offsetsIS3_Lb0EN6thrust23THRUST_200600_302600_NS6detail15normal_iteratorINS8_10device_ptrIfEEEESD_jNS0_19identity_decomposerEEE10hipError_tT1_T2_PT3_SI_jT4_jjP12ihipStream_tbEUlT_E_NS1_11comp_targetILNS1_3genE4ELNS1_11target_archE910ELNS1_3gpuE8ELNS1_3repE0EEENS1_52radix_sort_onesweep_histogram_config_static_selectorELNS0_4arch9wavefront6targetE1EEEvSG_,"axG",@progbits,_ZN7rocprim17ROCPRIM_400000_NS6detail17trampoline_kernelINS0_14default_configENS1_35radix_sort_onesweep_config_selectorIffEEZNS1_34radix_sort_onesweep_global_offsetsIS3_Lb0EN6thrust23THRUST_200600_302600_NS6detail15normal_iteratorINS8_10device_ptrIfEEEESD_jNS0_19identity_decomposerEEE10hipError_tT1_T2_PT3_SI_jT4_jjP12ihipStream_tbEUlT_E_NS1_11comp_targetILNS1_3genE4ELNS1_11target_archE910ELNS1_3gpuE8ELNS1_3repE0EEENS1_52radix_sort_onesweep_histogram_config_static_selectorELNS0_4arch9wavefront6targetE1EEEvSG_,comdat
.Lfunc_end282:
	.size	_ZN7rocprim17ROCPRIM_400000_NS6detail17trampoline_kernelINS0_14default_configENS1_35radix_sort_onesweep_config_selectorIffEEZNS1_34radix_sort_onesweep_global_offsetsIS3_Lb0EN6thrust23THRUST_200600_302600_NS6detail15normal_iteratorINS8_10device_ptrIfEEEESD_jNS0_19identity_decomposerEEE10hipError_tT1_T2_PT3_SI_jT4_jjP12ihipStream_tbEUlT_E_NS1_11comp_targetILNS1_3genE4ELNS1_11target_archE910ELNS1_3gpuE8ELNS1_3repE0EEENS1_52radix_sort_onesweep_histogram_config_static_selectorELNS0_4arch9wavefront6targetE1EEEvSG_, .Lfunc_end282-_ZN7rocprim17ROCPRIM_400000_NS6detail17trampoline_kernelINS0_14default_configENS1_35radix_sort_onesweep_config_selectorIffEEZNS1_34radix_sort_onesweep_global_offsetsIS3_Lb0EN6thrust23THRUST_200600_302600_NS6detail15normal_iteratorINS8_10device_ptrIfEEEESD_jNS0_19identity_decomposerEEE10hipError_tT1_T2_PT3_SI_jT4_jjP12ihipStream_tbEUlT_E_NS1_11comp_targetILNS1_3genE4ELNS1_11target_archE910ELNS1_3gpuE8ELNS1_3repE0EEENS1_52radix_sort_onesweep_histogram_config_static_selectorELNS0_4arch9wavefront6targetE1EEEvSG_
                                        ; -- End function
	.set _ZN7rocprim17ROCPRIM_400000_NS6detail17trampoline_kernelINS0_14default_configENS1_35radix_sort_onesweep_config_selectorIffEEZNS1_34radix_sort_onesweep_global_offsetsIS3_Lb0EN6thrust23THRUST_200600_302600_NS6detail15normal_iteratorINS8_10device_ptrIfEEEESD_jNS0_19identity_decomposerEEE10hipError_tT1_T2_PT3_SI_jT4_jjP12ihipStream_tbEUlT_E_NS1_11comp_targetILNS1_3genE4ELNS1_11target_archE910ELNS1_3gpuE8ELNS1_3repE0EEENS1_52radix_sort_onesweep_histogram_config_static_selectorELNS0_4arch9wavefront6targetE1EEEvSG_.num_vgpr, 0
	.set _ZN7rocprim17ROCPRIM_400000_NS6detail17trampoline_kernelINS0_14default_configENS1_35radix_sort_onesweep_config_selectorIffEEZNS1_34radix_sort_onesweep_global_offsetsIS3_Lb0EN6thrust23THRUST_200600_302600_NS6detail15normal_iteratorINS8_10device_ptrIfEEEESD_jNS0_19identity_decomposerEEE10hipError_tT1_T2_PT3_SI_jT4_jjP12ihipStream_tbEUlT_E_NS1_11comp_targetILNS1_3genE4ELNS1_11target_archE910ELNS1_3gpuE8ELNS1_3repE0EEENS1_52radix_sort_onesweep_histogram_config_static_selectorELNS0_4arch9wavefront6targetE1EEEvSG_.num_agpr, 0
	.set _ZN7rocprim17ROCPRIM_400000_NS6detail17trampoline_kernelINS0_14default_configENS1_35radix_sort_onesweep_config_selectorIffEEZNS1_34radix_sort_onesweep_global_offsetsIS3_Lb0EN6thrust23THRUST_200600_302600_NS6detail15normal_iteratorINS8_10device_ptrIfEEEESD_jNS0_19identity_decomposerEEE10hipError_tT1_T2_PT3_SI_jT4_jjP12ihipStream_tbEUlT_E_NS1_11comp_targetILNS1_3genE4ELNS1_11target_archE910ELNS1_3gpuE8ELNS1_3repE0EEENS1_52radix_sort_onesweep_histogram_config_static_selectorELNS0_4arch9wavefront6targetE1EEEvSG_.numbered_sgpr, 0
	.set _ZN7rocprim17ROCPRIM_400000_NS6detail17trampoline_kernelINS0_14default_configENS1_35radix_sort_onesweep_config_selectorIffEEZNS1_34radix_sort_onesweep_global_offsetsIS3_Lb0EN6thrust23THRUST_200600_302600_NS6detail15normal_iteratorINS8_10device_ptrIfEEEESD_jNS0_19identity_decomposerEEE10hipError_tT1_T2_PT3_SI_jT4_jjP12ihipStream_tbEUlT_E_NS1_11comp_targetILNS1_3genE4ELNS1_11target_archE910ELNS1_3gpuE8ELNS1_3repE0EEENS1_52radix_sort_onesweep_histogram_config_static_selectorELNS0_4arch9wavefront6targetE1EEEvSG_.num_named_barrier, 0
	.set _ZN7rocprim17ROCPRIM_400000_NS6detail17trampoline_kernelINS0_14default_configENS1_35radix_sort_onesweep_config_selectorIffEEZNS1_34radix_sort_onesweep_global_offsetsIS3_Lb0EN6thrust23THRUST_200600_302600_NS6detail15normal_iteratorINS8_10device_ptrIfEEEESD_jNS0_19identity_decomposerEEE10hipError_tT1_T2_PT3_SI_jT4_jjP12ihipStream_tbEUlT_E_NS1_11comp_targetILNS1_3genE4ELNS1_11target_archE910ELNS1_3gpuE8ELNS1_3repE0EEENS1_52radix_sort_onesweep_histogram_config_static_selectorELNS0_4arch9wavefront6targetE1EEEvSG_.private_seg_size, 0
	.set _ZN7rocprim17ROCPRIM_400000_NS6detail17trampoline_kernelINS0_14default_configENS1_35radix_sort_onesweep_config_selectorIffEEZNS1_34radix_sort_onesweep_global_offsetsIS3_Lb0EN6thrust23THRUST_200600_302600_NS6detail15normal_iteratorINS8_10device_ptrIfEEEESD_jNS0_19identity_decomposerEEE10hipError_tT1_T2_PT3_SI_jT4_jjP12ihipStream_tbEUlT_E_NS1_11comp_targetILNS1_3genE4ELNS1_11target_archE910ELNS1_3gpuE8ELNS1_3repE0EEENS1_52radix_sort_onesweep_histogram_config_static_selectorELNS0_4arch9wavefront6targetE1EEEvSG_.uses_vcc, 0
	.set _ZN7rocprim17ROCPRIM_400000_NS6detail17trampoline_kernelINS0_14default_configENS1_35radix_sort_onesweep_config_selectorIffEEZNS1_34radix_sort_onesweep_global_offsetsIS3_Lb0EN6thrust23THRUST_200600_302600_NS6detail15normal_iteratorINS8_10device_ptrIfEEEESD_jNS0_19identity_decomposerEEE10hipError_tT1_T2_PT3_SI_jT4_jjP12ihipStream_tbEUlT_E_NS1_11comp_targetILNS1_3genE4ELNS1_11target_archE910ELNS1_3gpuE8ELNS1_3repE0EEENS1_52radix_sort_onesweep_histogram_config_static_selectorELNS0_4arch9wavefront6targetE1EEEvSG_.uses_flat_scratch, 0
	.set _ZN7rocprim17ROCPRIM_400000_NS6detail17trampoline_kernelINS0_14default_configENS1_35radix_sort_onesweep_config_selectorIffEEZNS1_34radix_sort_onesweep_global_offsetsIS3_Lb0EN6thrust23THRUST_200600_302600_NS6detail15normal_iteratorINS8_10device_ptrIfEEEESD_jNS0_19identity_decomposerEEE10hipError_tT1_T2_PT3_SI_jT4_jjP12ihipStream_tbEUlT_E_NS1_11comp_targetILNS1_3genE4ELNS1_11target_archE910ELNS1_3gpuE8ELNS1_3repE0EEENS1_52radix_sort_onesweep_histogram_config_static_selectorELNS0_4arch9wavefront6targetE1EEEvSG_.has_dyn_sized_stack, 0
	.set _ZN7rocprim17ROCPRIM_400000_NS6detail17trampoline_kernelINS0_14default_configENS1_35radix_sort_onesweep_config_selectorIffEEZNS1_34radix_sort_onesweep_global_offsetsIS3_Lb0EN6thrust23THRUST_200600_302600_NS6detail15normal_iteratorINS8_10device_ptrIfEEEESD_jNS0_19identity_decomposerEEE10hipError_tT1_T2_PT3_SI_jT4_jjP12ihipStream_tbEUlT_E_NS1_11comp_targetILNS1_3genE4ELNS1_11target_archE910ELNS1_3gpuE8ELNS1_3repE0EEENS1_52radix_sort_onesweep_histogram_config_static_selectorELNS0_4arch9wavefront6targetE1EEEvSG_.has_recursion, 0
	.set _ZN7rocprim17ROCPRIM_400000_NS6detail17trampoline_kernelINS0_14default_configENS1_35radix_sort_onesweep_config_selectorIffEEZNS1_34radix_sort_onesweep_global_offsetsIS3_Lb0EN6thrust23THRUST_200600_302600_NS6detail15normal_iteratorINS8_10device_ptrIfEEEESD_jNS0_19identity_decomposerEEE10hipError_tT1_T2_PT3_SI_jT4_jjP12ihipStream_tbEUlT_E_NS1_11comp_targetILNS1_3genE4ELNS1_11target_archE910ELNS1_3gpuE8ELNS1_3repE0EEENS1_52radix_sort_onesweep_histogram_config_static_selectorELNS0_4arch9wavefront6targetE1EEEvSG_.has_indirect_call, 0
	.section	.AMDGPU.csdata,"",@progbits
; Kernel info:
; codeLenInByte = 0
; TotalNumSgprs: 6
; NumVgprs: 0
; NumAgprs: 0
; TotalNumVgprs: 0
; ScratchSize: 0
; MemoryBound: 0
; FloatMode: 240
; IeeeMode: 1
; LDSByteSize: 0 bytes/workgroup (compile time only)
; SGPRBlocks: 0
; VGPRBlocks: 0
; NumSGPRsForWavesPerEU: 6
; NumVGPRsForWavesPerEU: 1
; AccumOffset: 4
; Occupancy: 8
; WaveLimiterHint : 0
; COMPUTE_PGM_RSRC2:SCRATCH_EN: 0
; COMPUTE_PGM_RSRC2:USER_SGPR: 2
; COMPUTE_PGM_RSRC2:TRAP_HANDLER: 0
; COMPUTE_PGM_RSRC2:TGID_X_EN: 1
; COMPUTE_PGM_RSRC2:TGID_Y_EN: 0
; COMPUTE_PGM_RSRC2:TGID_Z_EN: 0
; COMPUTE_PGM_RSRC2:TIDIG_COMP_CNT: 0
; COMPUTE_PGM_RSRC3_GFX90A:ACCUM_OFFSET: 0
; COMPUTE_PGM_RSRC3_GFX90A:TG_SPLIT: 0
	.section	.text._ZN7rocprim17ROCPRIM_400000_NS6detail17trampoline_kernelINS0_14default_configENS1_35radix_sort_onesweep_config_selectorIffEEZNS1_34radix_sort_onesweep_global_offsetsIS3_Lb0EN6thrust23THRUST_200600_302600_NS6detail15normal_iteratorINS8_10device_ptrIfEEEESD_jNS0_19identity_decomposerEEE10hipError_tT1_T2_PT3_SI_jT4_jjP12ihipStream_tbEUlT_E_NS1_11comp_targetILNS1_3genE3ELNS1_11target_archE908ELNS1_3gpuE7ELNS1_3repE0EEENS1_52radix_sort_onesweep_histogram_config_static_selectorELNS0_4arch9wavefront6targetE1EEEvSG_,"axG",@progbits,_ZN7rocprim17ROCPRIM_400000_NS6detail17trampoline_kernelINS0_14default_configENS1_35radix_sort_onesweep_config_selectorIffEEZNS1_34radix_sort_onesweep_global_offsetsIS3_Lb0EN6thrust23THRUST_200600_302600_NS6detail15normal_iteratorINS8_10device_ptrIfEEEESD_jNS0_19identity_decomposerEEE10hipError_tT1_T2_PT3_SI_jT4_jjP12ihipStream_tbEUlT_E_NS1_11comp_targetILNS1_3genE3ELNS1_11target_archE908ELNS1_3gpuE7ELNS1_3repE0EEENS1_52radix_sort_onesweep_histogram_config_static_selectorELNS0_4arch9wavefront6targetE1EEEvSG_,comdat
	.protected	_ZN7rocprim17ROCPRIM_400000_NS6detail17trampoline_kernelINS0_14default_configENS1_35radix_sort_onesweep_config_selectorIffEEZNS1_34radix_sort_onesweep_global_offsetsIS3_Lb0EN6thrust23THRUST_200600_302600_NS6detail15normal_iteratorINS8_10device_ptrIfEEEESD_jNS0_19identity_decomposerEEE10hipError_tT1_T2_PT3_SI_jT4_jjP12ihipStream_tbEUlT_E_NS1_11comp_targetILNS1_3genE3ELNS1_11target_archE908ELNS1_3gpuE7ELNS1_3repE0EEENS1_52radix_sort_onesweep_histogram_config_static_selectorELNS0_4arch9wavefront6targetE1EEEvSG_ ; -- Begin function _ZN7rocprim17ROCPRIM_400000_NS6detail17trampoline_kernelINS0_14default_configENS1_35radix_sort_onesweep_config_selectorIffEEZNS1_34radix_sort_onesweep_global_offsetsIS3_Lb0EN6thrust23THRUST_200600_302600_NS6detail15normal_iteratorINS8_10device_ptrIfEEEESD_jNS0_19identity_decomposerEEE10hipError_tT1_T2_PT3_SI_jT4_jjP12ihipStream_tbEUlT_E_NS1_11comp_targetILNS1_3genE3ELNS1_11target_archE908ELNS1_3gpuE7ELNS1_3repE0EEENS1_52radix_sort_onesweep_histogram_config_static_selectorELNS0_4arch9wavefront6targetE1EEEvSG_
	.globl	_ZN7rocprim17ROCPRIM_400000_NS6detail17trampoline_kernelINS0_14default_configENS1_35radix_sort_onesweep_config_selectorIffEEZNS1_34radix_sort_onesweep_global_offsetsIS3_Lb0EN6thrust23THRUST_200600_302600_NS6detail15normal_iteratorINS8_10device_ptrIfEEEESD_jNS0_19identity_decomposerEEE10hipError_tT1_T2_PT3_SI_jT4_jjP12ihipStream_tbEUlT_E_NS1_11comp_targetILNS1_3genE3ELNS1_11target_archE908ELNS1_3gpuE7ELNS1_3repE0EEENS1_52radix_sort_onesweep_histogram_config_static_selectorELNS0_4arch9wavefront6targetE1EEEvSG_
	.p2align	8
	.type	_ZN7rocprim17ROCPRIM_400000_NS6detail17trampoline_kernelINS0_14default_configENS1_35radix_sort_onesweep_config_selectorIffEEZNS1_34radix_sort_onesweep_global_offsetsIS3_Lb0EN6thrust23THRUST_200600_302600_NS6detail15normal_iteratorINS8_10device_ptrIfEEEESD_jNS0_19identity_decomposerEEE10hipError_tT1_T2_PT3_SI_jT4_jjP12ihipStream_tbEUlT_E_NS1_11comp_targetILNS1_3genE3ELNS1_11target_archE908ELNS1_3gpuE7ELNS1_3repE0EEENS1_52radix_sort_onesweep_histogram_config_static_selectorELNS0_4arch9wavefront6targetE1EEEvSG_,@function
_ZN7rocprim17ROCPRIM_400000_NS6detail17trampoline_kernelINS0_14default_configENS1_35radix_sort_onesweep_config_selectorIffEEZNS1_34radix_sort_onesweep_global_offsetsIS3_Lb0EN6thrust23THRUST_200600_302600_NS6detail15normal_iteratorINS8_10device_ptrIfEEEESD_jNS0_19identity_decomposerEEE10hipError_tT1_T2_PT3_SI_jT4_jjP12ihipStream_tbEUlT_E_NS1_11comp_targetILNS1_3genE3ELNS1_11target_archE908ELNS1_3gpuE7ELNS1_3repE0EEENS1_52radix_sort_onesweep_histogram_config_static_selectorELNS0_4arch9wavefront6targetE1EEEvSG_: ; @_ZN7rocprim17ROCPRIM_400000_NS6detail17trampoline_kernelINS0_14default_configENS1_35radix_sort_onesweep_config_selectorIffEEZNS1_34radix_sort_onesweep_global_offsetsIS3_Lb0EN6thrust23THRUST_200600_302600_NS6detail15normal_iteratorINS8_10device_ptrIfEEEESD_jNS0_19identity_decomposerEEE10hipError_tT1_T2_PT3_SI_jT4_jjP12ihipStream_tbEUlT_E_NS1_11comp_targetILNS1_3genE3ELNS1_11target_archE908ELNS1_3gpuE7ELNS1_3repE0EEENS1_52radix_sort_onesweep_histogram_config_static_selectorELNS0_4arch9wavefront6targetE1EEEvSG_
; %bb.0:
	.section	.rodata,"a",@progbits
	.p2align	6, 0x0
	.amdhsa_kernel _ZN7rocprim17ROCPRIM_400000_NS6detail17trampoline_kernelINS0_14default_configENS1_35radix_sort_onesweep_config_selectorIffEEZNS1_34radix_sort_onesweep_global_offsetsIS3_Lb0EN6thrust23THRUST_200600_302600_NS6detail15normal_iteratorINS8_10device_ptrIfEEEESD_jNS0_19identity_decomposerEEE10hipError_tT1_T2_PT3_SI_jT4_jjP12ihipStream_tbEUlT_E_NS1_11comp_targetILNS1_3genE3ELNS1_11target_archE908ELNS1_3gpuE7ELNS1_3repE0EEENS1_52radix_sort_onesweep_histogram_config_static_selectorELNS0_4arch9wavefront6targetE1EEEvSG_
		.amdhsa_group_segment_fixed_size 0
		.amdhsa_private_segment_fixed_size 0
		.amdhsa_kernarg_size 40
		.amdhsa_user_sgpr_count 2
		.amdhsa_user_sgpr_dispatch_ptr 0
		.amdhsa_user_sgpr_queue_ptr 0
		.amdhsa_user_sgpr_kernarg_segment_ptr 1
		.amdhsa_user_sgpr_dispatch_id 0
		.amdhsa_user_sgpr_kernarg_preload_length 0
		.amdhsa_user_sgpr_kernarg_preload_offset 0
		.amdhsa_user_sgpr_private_segment_size 0
		.amdhsa_uses_dynamic_stack 0
		.amdhsa_enable_private_segment 0
		.amdhsa_system_sgpr_workgroup_id_x 1
		.amdhsa_system_sgpr_workgroup_id_y 0
		.amdhsa_system_sgpr_workgroup_id_z 0
		.amdhsa_system_sgpr_workgroup_info 0
		.amdhsa_system_vgpr_workitem_id 0
		.amdhsa_next_free_vgpr 1
		.amdhsa_next_free_sgpr 0
		.amdhsa_accum_offset 4
		.amdhsa_reserve_vcc 0
		.amdhsa_float_round_mode_32 0
		.amdhsa_float_round_mode_16_64 0
		.amdhsa_float_denorm_mode_32 3
		.amdhsa_float_denorm_mode_16_64 3
		.amdhsa_dx10_clamp 1
		.amdhsa_ieee_mode 1
		.amdhsa_fp16_overflow 0
		.amdhsa_tg_split 0
		.amdhsa_exception_fp_ieee_invalid_op 0
		.amdhsa_exception_fp_denorm_src 0
		.amdhsa_exception_fp_ieee_div_zero 0
		.amdhsa_exception_fp_ieee_overflow 0
		.amdhsa_exception_fp_ieee_underflow 0
		.amdhsa_exception_fp_ieee_inexact 0
		.amdhsa_exception_int_div_zero 0
	.end_amdhsa_kernel
	.section	.text._ZN7rocprim17ROCPRIM_400000_NS6detail17trampoline_kernelINS0_14default_configENS1_35radix_sort_onesweep_config_selectorIffEEZNS1_34radix_sort_onesweep_global_offsetsIS3_Lb0EN6thrust23THRUST_200600_302600_NS6detail15normal_iteratorINS8_10device_ptrIfEEEESD_jNS0_19identity_decomposerEEE10hipError_tT1_T2_PT3_SI_jT4_jjP12ihipStream_tbEUlT_E_NS1_11comp_targetILNS1_3genE3ELNS1_11target_archE908ELNS1_3gpuE7ELNS1_3repE0EEENS1_52radix_sort_onesweep_histogram_config_static_selectorELNS0_4arch9wavefront6targetE1EEEvSG_,"axG",@progbits,_ZN7rocprim17ROCPRIM_400000_NS6detail17trampoline_kernelINS0_14default_configENS1_35radix_sort_onesweep_config_selectorIffEEZNS1_34radix_sort_onesweep_global_offsetsIS3_Lb0EN6thrust23THRUST_200600_302600_NS6detail15normal_iteratorINS8_10device_ptrIfEEEESD_jNS0_19identity_decomposerEEE10hipError_tT1_T2_PT3_SI_jT4_jjP12ihipStream_tbEUlT_E_NS1_11comp_targetILNS1_3genE3ELNS1_11target_archE908ELNS1_3gpuE7ELNS1_3repE0EEENS1_52radix_sort_onesweep_histogram_config_static_selectorELNS0_4arch9wavefront6targetE1EEEvSG_,comdat
.Lfunc_end283:
	.size	_ZN7rocprim17ROCPRIM_400000_NS6detail17trampoline_kernelINS0_14default_configENS1_35radix_sort_onesweep_config_selectorIffEEZNS1_34radix_sort_onesweep_global_offsetsIS3_Lb0EN6thrust23THRUST_200600_302600_NS6detail15normal_iteratorINS8_10device_ptrIfEEEESD_jNS0_19identity_decomposerEEE10hipError_tT1_T2_PT3_SI_jT4_jjP12ihipStream_tbEUlT_E_NS1_11comp_targetILNS1_3genE3ELNS1_11target_archE908ELNS1_3gpuE7ELNS1_3repE0EEENS1_52radix_sort_onesweep_histogram_config_static_selectorELNS0_4arch9wavefront6targetE1EEEvSG_, .Lfunc_end283-_ZN7rocprim17ROCPRIM_400000_NS6detail17trampoline_kernelINS0_14default_configENS1_35radix_sort_onesweep_config_selectorIffEEZNS1_34radix_sort_onesweep_global_offsetsIS3_Lb0EN6thrust23THRUST_200600_302600_NS6detail15normal_iteratorINS8_10device_ptrIfEEEESD_jNS0_19identity_decomposerEEE10hipError_tT1_T2_PT3_SI_jT4_jjP12ihipStream_tbEUlT_E_NS1_11comp_targetILNS1_3genE3ELNS1_11target_archE908ELNS1_3gpuE7ELNS1_3repE0EEENS1_52radix_sort_onesweep_histogram_config_static_selectorELNS0_4arch9wavefront6targetE1EEEvSG_
                                        ; -- End function
	.set _ZN7rocprim17ROCPRIM_400000_NS6detail17trampoline_kernelINS0_14default_configENS1_35radix_sort_onesweep_config_selectorIffEEZNS1_34radix_sort_onesweep_global_offsetsIS3_Lb0EN6thrust23THRUST_200600_302600_NS6detail15normal_iteratorINS8_10device_ptrIfEEEESD_jNS0_19identity_decomposerEEE10hipError_tT1_T2_PT3_SI_jT4_jjP12ihipStream_tbEUlT_E_NS1_11comp_targetILNS1_3genE3ELNS1_11target_archE908ELNS1_3gpuE7ELNS1_3repE0EEENS1_52radix_sort_onesweep_histogram_config_static_selectorELNS0_4arch9wavefront6targetE1EEEvSG_.num_vgpr, 0
	.set _ZN7rocprim17ROCPRIM_400000_NS6detail17trampoline_kernelINS0_14default_configENS1_35radix_sort_onesweep_config_selectorIffEEZNS1_34radix_sort_onesweep_global_offsetsIS3_Lb0EN6thrust23THRUST_200600_302600_NS6detail15normal_iteratorINS8_10device_ptrIfEEEESD_jNS0_19identity_decomposerEEE10hipError_tT1_T2_PT3_SI_jT4_jjP12ihipStream_tbEUlT_E_NS1_11comp_targetILNS1_3genE3ELNS1_11target_archE908ELNS1_3gpuE7ELNS1_3repE0EEENS1_52radix_sort_onesweep_histogram_config_static_selectorELNS0_4arch9wavefront6targetE1EEEvSG_.num_agpr, 0
	.set _ZN7rocprim17ROCPRIM_400000_NS6detail17trampoline_kernelINS0_14default_configENS1_35radix_sort_onesweep_config_selectorIffEEZNS1_34radix_sort_onesweep_global_offsetsIS3_Lb0EN6thrust23THRUST_200600_302600_NS6detail15normal_iteratorINS8_10device_ptrIfEEEESD_jNS0_19identity_decomposerEEE10hipError_tT1_T2_PT3_SI_jT4_jjP12ihipStream_tbEUlT_E_NS1_11comp_targetILNS1_3genE3ELNS1_11target_archE908ELNS1_3gpuE7ELNS1_3repE0EEENS1_52radix_sort_onesweep_histogram_config_static_selectorELNS0_4arch9wavefront6targetE1EEEvSG_.numbered_sgpr, 0
	.set _ZN7rocprim17ROCPRIM_400000_NS6detail17trampoline_kernelINS0_14default_configENS1_35radix_sort_onesweep_config_selectorIffEEZNS1_34radix_sort_onesweep_global_offsetsIS3_Lb0EN6thrust23THRUST_200600_302600_NS6detail15normal_iteratorINS8_10device_ptrIfEEEESD_jNS0_19identity_decomposerEEE10hipError_tT1_T2_PT3_SI_jT4_jjP12ihipStream_tbEUlT_E_NS1_11comp_targetILNS1_3genE3ELNS1_11target_archE908ELNS1_3gpuE7ELNS1_3repE0EEENS1_52radix_sort_onesweep_histogram_config_static_selectorELNS0_4arch9wavefront6targetE1EEEvSG_.num_named_barrier, 0
	.set _ZN7rocprim17ROCPRIM_400000_NS6detail17trampoline_kernelINS0_14default_configENS1_35radix_sort_onesweep_config_selectorIffEEZNS1_34radix_sort_onesweep_global_offsetsIS3_Lb0EN6thrust23THRUST_200600_302600_NS6detail15normal_iteratorINS8_10device_ptrIfEEEESD_jNS0_19identity_decomposerEEE10hipError_tT1_T2_PT3_SI_jT4_jjP12ihipStream_tbEUlT_E_NS1_11comp_targetILNS1_3genE3ELNS1_11target_archE908ELNS1_3gpuE7ELNS1_3repE0EEENS1_52radix_sort_onesweep_histogram_config_static_selectorELNS0_4arch9wavefront6targetE1EEEvSG_.private_seg_size, 0
	.set _ZN7rocprim17ROCPRIM_400000_NS6detail17trampoline_kernelINS0_14default_configENS1_35radix_sort_onesweep_config_selectorIffEEZNS1_34radix_sort_onesweep_global_offsetsIS3_Lb0EN6thrust23THRUST_200600_302600_NS6detail15normal_iteratorINS8_10device_ptrIfEEEESD_jNS0_19identity_decomposerEEE10hipError_tT1_T2_PT3_SI_jT4_jjP12ihipStream_tbEUlT_E_NS1_11comp_targetILNS1_3genE3ELNS1_11target_archE908ELNS1_3gpuE7ELNS1_3repE0EEENS1_52radix_sort_onesweep_histogram_config_static_selectorELNS0_4arch9wavefront6targetE1EEEvSG_.uses_vcc, 0
	.set _ZN7rocprim17ROCPRIM_400000_NS6detail17trampoline_kernelINS0_14default_configENS1_35radix_sort_onesweep_config_selectorIffEEZNS1_34radix_sort_onesweep_global_offsetsIS3_Lb0EN6thrust23THRUST_200600_302600_NS6detail15normal_iteratorINS8_10device_ptrIfEEEESD_jNS0_19identity_decomposerEEE10hipError_tT1_T2_PT3_SI_jT4_jjP12ihipStream_tbEUlT_E_NS1_11comp_targetILNS1_3genE3ELNS1_11target_archE908ELNS1_3gpuE7ELNS1_3repE0EEENS1_52radix_sort_onesweep_histogram_config_static_selectorELNS0_4arch9wavefront6targetE1EEEvSG_.uses_flat_scratch, 0
	.set _ZN7rocprim17ROCPRIM_400000_NS6detail17trampoline_kernelINS0_14default_configENS1_35radix_sort_onesweep_config_selectorIffEEZNS1_34radix_sort_onesweep_global_offsetsIS3_Lb0EN6thrust23THRUST_200600_302600_NS6detail15normal_iteratorINS8_10device_ptrIfEEEESD_jNS0_19identity_decomposerEEE10hipError_tT1_T2_PT3_SI_jT4_jjP12ihipStream_tbEUlT_E_NS1_11comp_targetILNS1_3genE3ELNS1_11target_archE908ELNS1_3gpuE7ELNS1_3repE0EEENS1_52radix_sort_onesweep_histogram_config_static_selectorELNS0_4arch9wavefront6targetE1EEEvSG_.has_dyn_sized_stack, 0
	.set _ZN7rocprim17ROCPRIM_400000_NS6detail17trampoline_kernelINS0_14default_configENS1_35radix_sort_onesweep_config_selectorIffEEZNS1_34radix_sort_onesweep_global_offsetsIS3_Lb0EN6thrust23THRUST_200600_302600_NS6detail15normal_iteratorINS8_10device_ptrIfEEEESD_jNS0_19identity_decomposerEEE10hipError_tT1_T2_PT3_SI_jT4_jjP12ihipStream_tbEUlT_E_NS1_11comp_targetILNS1_3genE3ELNS1_11target_archE908ELNS1_3gpuE7ELNS1_3repE0EEENS1_52radix_sort_onesweep_histogram_config_static_selectorELNS0_4arch9wavefront6targetE1EEEvSG_.has_recursion, 0
	.set _ZN7rocprim17ROCPRIM_400000_NS6detail17trampoline_kernelINS0_14default_configENS1_35radix_sort_onesweep_config_selectorIffEEZNS1_34radix_sort_onesweep_global_offsetsIS3_Lb0EN6thrust23THRUST_200600_302600_NS6detail15normal_iteratorINS8_10device_ptrIfEEEESD_jNS0_19identity_decomposerEEE10hipError_tT1_T2_PT3_SI_jT4_jjP12ihipStream_tbEUlT_E_NS1_11comp_targetILNS1_3genE3ELNS1_11target_archE908ELNS1_3gpuE7ELNS1_3repE0EEENS1_52radix_sort_onesweep_histogram_config_static_selectorELNS0_4arch9wavefront6targetE1EEEvSG_.has_indirect_call, 0
	.section	.AMDGPU.csdata,"",@progbits
; Kernel info:
; codeLenInByte = 0
; TotalNumSgprs: 6
; NumVgprs: 0
; NumAgprs: 0
; TotalNumVgprs: 0
; ScratchSize: 0
; MemoryBound: 0
; FloatMode: 240
; IeeeMode: 1
; LDSByteSize: 0 bytes/workgroup (compile time only)
; SGPRBlocks: 0
; VGPRBlocks: 0
; NumSGPRsForWavesPerEU: 6
; NumVGPRsForWavesPerEU: 1
; AccumOffset: 4
; Occupancy: 8
; WaveLimiterHint : 0
; COMPUTE_PGM_RSRC2:SCRATCH_EN: 0
; COMPUTE_PGM_RSRC2:USER_SGPR: 2
; COMPUTE_PGM_RSRC2:TRAP_HANDLER: 0
; COMPUTE_PGM_RSRC2:TGID_X_EN: 1
; COMPUTE_PGM_RSRC2:TGID_Y_EN: 0
; COMPUTE_PGM_RSRC2:TGID_Z_EN: 0
; COMPUTE_PGM_RSRC2:TIDIG_COMP_CNT: 0
; COMPUTE_PGM_RSRC3_GFX90A:ACCUM_OFFSET: 0
; COMPUTE_PGM_RSRC3_GFX90A:TG_SPLIT: 0
	.section	.text._ZN7rocprim17ROCPRIM_400000_NS6detail17trampoline_kernelINS0_14default_configENS1_35radix_sort_onesweep_config_selectorIffEEZNS1_34radix_sort_onesweep_global_offsetsIS3_Lb0EN6thrust23THRUST_200600_302600_NS6detail15normal_iteratorINS8_10device_ptrIfEEEESD_jNS0_19identity_decomposerEEE10hipError_tT1_T2_PT3_SI_jT4_jjP12ihipStream_tbEUlT_E_NS1_11comp_targetILNS1_3genE10ELNS1_11target_archE1201ELNS1_3gpuE5ELNS1_3repE0EEENS1_52radix_sort_onesweep_histogram_config_static_selectorELNS0_4arch9wavefront6targetE1EEEvSG_,"axG",@progbits,_ZN7rocprim17ROCPRIM_400000_NS6detail17trampoline_kernelINS0_14default_configENS1_35radix_sort_onesweep_config_selectorIffEEZNS1_34radix_sort_onesweep_global_offsetsIS3_Lb0EN6thrust23THRUST_200600_302600_NS6detail15normal_iteratorINS8_10device_ptrIfEEEESD_jNS0_19identity_decomposerEEE10hipError_tT1_T2_PT3_SI_jT4_jjP12ihipStream_tbEUlT_E_NS1_11comp_targetILNS1_3genE10ELNS1_11target_archE1201ELNS1_3gpuE5ELNS1_3repE0EEENS1_52radix_sort_onesweep_histogram_config_static_selectorELNS0_4arch9wavefront6targetE1EEEvSG_,comdat
	.protected	_ZN7rocprim17ROCPRIM_400000_NS6detail17trampoline_kernelINS0_14default_configENS1_35radix_sort_onesweep_config_selectorIffEEZNS1_34radix_sort_onesweep_global_offsetsIS3_Lb0EN6thrust23THRUST_200600_302600_NS6detail15normal_iteratorINS8_10device_ptrIfEEEESD_jNS0_19identity_decomposerEEE10hipError_tT1_T2_PT3_SI_jT4_jjP12ihipStream_tbEUlT_E_NS1_11comp_targetILNS1_3genE10ELNS1_11target_archE1201ELNS1_3gpuE5ELNS1_3repE0EEENS1_52radix_sort_onesweep_histogram_config_static_selectorELNS0_4arch9wavefront6targetE1EEEvSG_ ; -- Begin function _ZN7rocprim17ROCPRIM_400000_NS6detail17trampoline_kernelINS0_14default_configENS1_35radix_sort_onesweep_config_selectorIffEEZNS1_34radix_sort_onesweep_global_offsetsIS3_Lb0EN6thrust23THRUST_200600_302600_NS6detail15normal_iteratorINS8_10device_ptrIfEEEESD_jNS0_19identity_decomposerEEE10hipError_tT1_T2_PT3_SI_jT4_jjP12ihipStream_tbEUlT_E_NS1_11comp_targetILNS1_3genE10ELNS1_11target_archE1201ELNS1_3gpuE5ELNS1_3repE0EEENS1_52radix_sort_onesweep_histogram_config_static_selectorELNS0_4arch9wavefront6targetE1EEEvSG_
	.globl	_ZN7rocprim17ROCPRIM_400000_NS6detail17trampoline_kernelINS0_14default_configENS1_35radix_sort_onesweep_config_selectorIffEEZNS1_34radix_sort_onesweep_global_offsetsIS3_Lb0EN6thrust23THRUST_200600_302600_NS6detail15normal_iteratorINS8_10device_ptrIfEEEESD_jNS0_19identity_decomposerEEE10hipError_tT1_T2_PT3_SI_jT4_jjP12ihipStream_tbEUlT_E_NS1_11comp_targetILNS1_3genE10ELNS1_11target_archE1201ELNS1_3gpuE5ELNS1_3repE0EEENS1_52radix_sort_onesweep_histogram_config_static_selectorELNS0_4arch9wavefront6targetE1EEEvSG_
	.p2align	8
	.type	_ZN7rocprim17ROCPRIM_400000_NS6detail17trampoline_kernelINS0_14default_configENS1_35radix_sort_onesweep_config_selectorIffEEZNS1_34radix_sort_onesweep_global_offsetsIS3_Lb0EN6thrust23THRUST_200600_302600_NS6detail15normal_iteratorINS8_10device_ptrIfEEEESD_jNS0_19identity_decomposerEEE10hipError_tT1_T2_PT3_SI_jT4_jjP12ihipStream_tbEUlT_E_NS1_11comp_targetILNS1_3genE10ELNS1_11target_archE1201ELNS1_3gpuE5ELNS1_3repE0EEENS1_52radix_sort_onesweep_histogram_config_static_selectorELNS0_4arch9wavefront6targetE1EEEvSG_,@function
_ZN7rocprim17ROCPRIM_400000_NS6detail17trampoline_kernelINS0_14default_configENS1_35radix_sort_onesweep_config_selectorIffEEZNS1_34radix_sort_onesweep_global_offsetsIS3_Lb0EN6thrust23THRUST_200600_302600_NS6detail15normal_iteratorINS8_10device_ptrIfEEEESD_jNS0_19identity_decomposerEEE10hipError_tT1_T2_PT3_SI_jT4_jjP12ihipStream_tbEUlT_E_NS1_11comp_targetILNS1_3genE10ELNS1_11target_archE1201ELNS1_3gpuE5ELNS1_3repE0EEENS1_52radix_sort_onesweep_histogram_config_static_selectorELNS0_4arch9wavefront6targetE1EEEvSG_: ; @_ZN7rocprim17ROCPRIM_400000_NS6detail17trampoline_kernelINS0_14default_configENS1_35radix_sort_onesweep_config_selectorIffEEZNS1_34radix_sort_onesweep_global_offsetsIS3_Lb0EN6thrust23THRUST_200600_302600_NS6detail15normal_iteratorINS8_10device_ptrIfEEEESD_jNS0_19identity_decomposerEEE10hipError_tT1_T2_PT3_SI_jT4_jjP12ihipStream_tbEUlT_E_NS1_11comp_targetILNS1_3genE10ELNS1_11target_archE1201ELNS1_3gpuE5ELNS1_3repE0EEENS1_52radix_sort_onesweep_histogram_config_static_selectorELNS0_4arch9wavefront6targetE1EEEvSG_
; %bb.0:
	.section	.rodata,"a",@progbits
	.p2align	6, 0x0
	.amdhsa_kernel _ZN7rocprim17ROCPRIM_400000_NS6detail17trampoline_kernelINS0_14default_configENS1_35radix_sort_onesweep_config_selectorIffEEZNS1_34radix_sort_onesweep_global_offsetsIS3_Lb0EN6thrust23THRUST_200600_302600_NS6detail15normal_iteratorINS8_10device_ptrIfEEEESD_jNS0_19identity_decomposerEEE10hipError_tT1_T2_PT3_SI_jT4_jjP12ihipStream_tbEUlT_E_NS1_11comp_targetILNS1_3genE10ELNS1_11target_archE1201ELNS1_3gpuE5ELNS1_3repE0EEENS1_52radix_sort_onesweep_histogram_config_static_selectorELNS0_4arch9wavefront6targetE1EEEvSG_
		.amdhsa_group_segment_fixed_size 0
		.amdhsa_private_segment_fixed_size 0
		.amdhsa_kernarg_size 40
		.amdhsa_user_sgpr_count 2
		.amdhsa_user_sgpr_dispatch_ptr 0
		.amdhsa_user_sgpr_queue_ptr 0
		.amdhsa_user_sgpr_kernarg_segment_ptr 1
		.amdhsa_user_sgpr_dispatch_id 0
		.amdhsa_user_sgpr_kernarg_preload_length 0
		.amdhsa_user_sgpr_kernarg_preload_offset 0
		.amdhsa_user_sgpr_private_segment_size 0
		.amdhsa_uses_dynamic_stack 0
		.amdhsa_enable_private_segment 0
		.amdhsa_system_sgpr_workgroup_id_x 1
		.amdhsa_system_sgpr_workgroup_id_y 0
		.amdhsa_system_sgpr_workgroup_id_z 0
		.amdhsa_system_sgpr_workgroup_info 0
		.amdhsa_system_vgpr_workitem_id 0
		.amdhsa_next_free_vgpr 1
		.amdhsa_next_free_sgpr 0
		.amdhsa_accum_offset 4
		.amdhsa_reserve_vcc 0
		.amdhsa_float_round_mode_32 0
		.amdhsa_float_round_mode_16_64 0
		.amdhsa_float_denorm_mode_32 3
		.amdhsa_float_denorm_mode_16_64 3
		.amdhsa_dx10_clamp 1
		.amdhsa_ieee_mode 1
		.amdhsa_fp16_overflow 0
		.amdhsa_tg_split 0
		.amdhsa_exception_fp_ieee_invalid_op 0
		.amdhsa_exception_fp_denorm_src 0
		.amdhsa_exception_fp_ieee_div_zero 0
		.amdhsa_exception_fp_ieee_overflow 0
		.amdhsa_exception_fp_ieee_underflow 0
		.amdhsa_exception_fp_ieee_inexact 0
		.amdhsa_exception_int_div_zero 0
	.end_amdhsa_kernel
	.section	.text._ZN7rocprim17ROCPRIM_400000_NS6detail17trampoline_kernelINS0_14default_configENS1_35radix_sort_onesweep_config_selectorIffEEZNS1_34radix_sort_onesweep_global_offsetsIS3_Lb0EN6thrust23THRUST_200600_302600_NS6detail15normal_iteratorINS8_10device_ptrIfEEEESD_jNS0_19identity_decomposerEEE10hipError_tT1_T2_PT3_SI_jT4_jjP12ihipStream_tbEUlT_E_NS1_11comp_targetILNS1_3genE10ELNS1_11target_archE1201ELNS1_3gpuE5ELNS1_3repE0EEENS1_52radix_sort_onesweep_histogram_config_static_selectorELNS0_4arch9wavefront6targetE1EEEvSG_,"axG",@progbits,_ZN7rocprim17ROCPRIM_400000_NS6detail17trampoline_kernelINS0_14default_configENS1_35radix_sort_onesweep_config_selectorIffEEZNS1_34radix_sort_onesweep_global_offsetsIS3_Lb0EN6thrust23THRUST_200600_302600_NS6detail15normal_iteratorINS8_10device_ptrIfEEEESD_jNS0_19identity_decomposerEEE10hipError_tT1_T2_PT3_SI_jT4_jjP12ihipStream_tbEUlT_E_NS1_11comp_targetILNS1_3genE10ELNS1_11target_archE1201ELNS1_3gpuE5ELNS1_3repE0EEENS1_52radix_sort_onesweep_histogram_config_static_selectorELNS0_4arch9wavefront6targetE1EEEvSG_,comdat
.Lfunc_end284:
	.size	_ZN7rocprim17ROCPRIM_400000_NS6detail17trampoline_kernelINS0_14default_configENS1_35radix_sort_onesweep_config_selectorIffEEZNS1_34radix_sort_onesweep_global_offsetsIS3_Lb0EN6thrust23THRUST_200600_302600_NS6detail15normal_iteratorINS8_10device_ptrIfEEEESD_jNS0_19identity_decomposerEEE10hipError_tT1_T2_PT3_SI_jT4_jjP12ihipStream_tbEUlT_E_NS1_11comp_targetILNS1_3genE10ELNS1_11target_archE1201ELNS1_3gpuE5ELNS1_3repE0EEENS1_52radix_sort_onesweep_histogram_config_static_selectorELNS0_4arch9wavefront6targetE1EEEvSG_, .Lfunc_end284-_ZN7rocprim17ROCPRIM_400000_NS6detail17trampoline_kernelINS0_14default_configENS1_35radix_sort_onesweep_config_selectorIffEEZNS1_34radix_sort_onesweep_global_offsetsIS3_Lb0EN6thrust23THRUST_200600_302600_NS6detail15normal_iteratorINS8_10device_ptrIfEEEESD_jNS0_19identity_decomposerEEE10hipError_tT1_T2_PT3_SI_jT4_jjP12ihipStream_tbEUlT_E_NS1_11comp_targetILNS1_3genE10ELNS1_11target_archE1201ELNS1_3gpuE5ELNS1_3repE0EEENS1_52radix_sort_onesweep_histogram_config_static_selectorELNS0_4arch9wavefront6targetE1EEEvSG_
                                        ; -- End function
	.set _ZN7rocprim17ROCPRIM_400000_NS6detail17trampoline_kernelINS0_14default_configENS1_35radix_sort_onesweep_config_selectorIffEEZNS1_34radix_sort_onesweep_global_offsetsIS3_Lb0EN6thrust23THRUST_200600_302600_NS6detail15normal_iteratorINS8_10device_ptrIfEEEESD_jNS0_19identity_decomposerEEE10hipError_tT1_T2_PT3_SI_jT4_jjP12ihipStream_tbEUlT_E_NS1_11comp_targetILNS1_3genE10ELNS1_11target_archE1201ELNS1_3gpuE5ELNS1_3repE0EEENS1_52radix_sort_onesweep_histogram_config_static_selectorELNS0_4arch9wavefront6targetE1EEEvSG_.num_vgpr, 0
	.set _ZN7rocprim17ROCPRIM_400000_NS6detail17trampoline_kernelINS0_14default_configENS1_35radix_sort_onesweep_config_selectorIffEEZNS1_34radix_sort_onesweep_global_offsetsIS3_Lb0EN6thrust23THRUST_200600_302600_NS6detail15normal_iteratorINS8_10device_ptrIfEEEESD_jNS0_19identity_decomposerEEE10hipError_tT1_T2_PT3_SI_jT4_jjP12ihipStream_tbEUlT_E_NS1_11comp_targetILNS1_3genE10ELNS1_11target_archE1201ELNS1_3gpuE5ELNS1_3repE0EEENS1_52radix_sort_onesweep_histogram_config_static_selectorELNS0_4arch9wavefront6targetE1EEEvSG_.num_agpr, 0
	.set _ZN7rocprim17ROCPRIM_400000_NS6detail17trampoline_kernelINS0_14default_configENS1_35radix_sort_onesweep_config_selectorIffEEZNS1_34radix_sort_onesweep_global_offsetsIS3_Lb0EN6thrust23THRUST_200600_302600_NS6detail15normal_iteratorINS8_10device_ptrIfEEEESD_jNS0_19identity_decomposerEEE10hipError_tT1_T2_PT3_SI_jT4_jjP12ihipStream_tbEUlT_E_NS1_11comp_targetILNS1_3genE10ELNS1_11target_archE1201ELNS1_3gpuE5ELNS1_3repE0EEENS1_52radix_sort_onesweep_histogram_config_static_selectorELNS0_4arch9wavefront6targetE1EEEvSG_.numbered_sgpr, 0
	.set _ZN7rocprim17ROCPRIM_400000_NS6detail17trampoline_kernelINS0_14default_configENS1_35radix_sort_onesweep_config_selectorIffEEZNS1_34radix_sort_onesweep_global_offsetsIS3_Lb0EN6thrust23THRUST_200600_302600_NS6detail15normal_iteratorINS8_10device_ptrIfEEEESD_jNS0_19identity_decomposerEEE10hipError_tT1_T2_PT3_SI_jT4_jjP12ihipStream_tbEUlT_E_NS1_11comp_targetILNS1_3genE10ELNS1_11target_archE1201ELNS1_3gpuE5ELNS1_3repE0EEENS1_52radix_sort_onesweep_histogram_config_static_selectorELNS0_4arch9wavefront6targetE1EEEvSG_.num_named_barrier, 0
	.set _ZN7rocprim17ROCPRIM_400000_NS6detail17trampoline_kernelINS0_14default_configENS1_35radix_sort_onesweep_config_selectorIffEEZNS1_34radix_sort_onesweep_global_offsetsIS3_Lb0EN6thrust23THRUST_200600_302600_NS6detail15normal_iteratorINS8_10device_ptrIfEEEESD_jNS0_19identity_decomposerEEE10hipError_tT1_T2_PT3_SI_jT4_jjP12ihipStream_tbEUlT_E_NS1_11comp_targetILNS1_3genE10ELNS1_11target_archE1201ELNS1_3gpuE5ELNS1_3repE0EEENS1_52radix_sort_onesweep_histogram_config_static_selectorELNS0_4arch9wavefront6targetE1EEEvSG_.private_seg_size, 0
	.set _ZN7rocprim17ROCPRIM_400000_NS6detail17trampoline_kernelINS0_14default_configENS1_35radix_sort_onesweep_config_selectorIffEEZNS1_34radix_sort_onesweep_global_offsetsIS3_Lb0EN6thrust23THRUST_200600_302600_NS6detail15normal_iteratorINS8_10device_ptrIfEEEESD_jNS0_19identity_decomposerEEE10hipError_tT1_T2_PT3_SI_jT4_jjP12ihipStream_tbEUlT_E_NS1_11comp_targetILNS1_3genE10ELNS1_11target_archE1201ELNS1_3gpuE5ELNS1_3repE0EEENS1_52radix_sort_onesweep_histogram_config_static_selectorELNS0_4arch9wavefront6targetE1EEEvSG_.uses_vcc, 0
	.set _ZN7rocprim17ROCPRIM_400000_NS6detail17trampoline_kernelINS0_14default_configENS1_35radix_sort_onesweep_config_selectorIffEEZNS1_34radix_sort_onesweep_global_offsetsIS3_Lb0EN6thrust23THRUST_200600_302600_NS6detail15normal_iteratorINS8_10device_ptrIfEEEESD_jNS0_19identity_decomposerEEE10hipError_tT1_T2_PT3_SI_jT4_jjP12ihipStream_tbEUlT_E_NS1_11comp_targetILNS1_3genE10ELNS1_11target_archE1201ELNS1_3gpuE5ELNS1_3repE0EEENS1_52radix_sort_onesweep_histogram_config_static_selectorELNS0_4arch9wavefront6targetE1EEEvSG_.uses_flat_scratch, 0
	.set _ZN7rocprim17ROCPRIM_400000_NS6detail17trampoline_kernelINS0_14default_configENS1_35radix_sort_onesweep_config_selectorIffEEZNS1_34radix_sort_onesweep_global_offsetsIS3_Lb0EN6thrust23THRUST_200600_302600_NS6detail15normal_iteratorINS8_10device_ptrIfEEEESD_jNS0_19identity_decomposerEEE10hipError_tT1_T2_PT3_SI_jT4_jjP12ihipStream_tbEUlT_E_NS1_11comp_targetILNS1_3genE10ELNS1_11target_archE1201ELNS1_3gpuE5ELNS1_3repE0EEENS1_52radix_sort_onesweep_histogram_config_static_selectorELNS0_4arch9wavefront6targetE1EEEvSG_.has_dyn_sized_stack, 0
	.set _ZN7rocprim17ROCPRIM_400000_NS6detail17trampoline_kernelINS0_14default_configENS1_35radix_sort_onesweep_config_selectorIffEEZNS1_34radix_sort_onesweep_global_offsetsIS3_Lb0EN6thrust23THRUST_200600_302600_NS6detail15normal_iteratorINS8_10device_ptrIfEEEESD_jNS0_19identity_decomposerEEE10hipError_tT1_T2_PT3_SI_jT4_jjP12ihipStream_tbEUlT_E_NS1_11comp_targetILNS1_3genE10ELNS1_11target_archE1201ELNS1_3gpuE5ELNS1_3repE0EEENS1_52radix_sort_onesweep_histogram_config_static_selectorELNS0_4arch9wavefront6targetE1EEEvSG_.has_recursion, 0
	.set _ZN7rocprim17ROCPRIM_400000_NS6detail17trampoline_kernelINS0_14default_configENS1_35radix_sort_onesweep_config_selectorIffEEZNS1_34radix_sort_onesweep_global_offsetsIS3_Lb0EN6thrust23THRUST_200600_302600_NS6detail15normal_iteratorINS8_10device_ptrIfEEEESD_jNS0_19identity_decomposerEEE10hipError_tT1_T2_PT3_SI_jT4_jjP12ihipStream_tbEUlT_E_NS1_11comp_targetILNS1_3genE10ELNS1_11target_archE1201ELNS1_3gpuE5ELNS1_3repE0EEENS1_52radix_sort_onesweep_histogram_config_static_selectorELNS0_4arch9wavefront6targetE1EEEvSG_.has_indirect_call, 0
	.section	.AMDGPU.csdata,"",@progbits
; Kernel info:
; codeLenInByte = 0
; TotalNumSgprs: 6
; NumVgprs: 0
; NumAgprs: 0
; TotalNumVgprs: 0
; ScratchSize: 0
; MemoryBound: 0
; FloatMode: 240
; IeeeMode: 1
; LDSByteSize: 0 bytes/workgroup (compile time only)
; SGPRBlocks: 0
; VGPRBlocks: 0
; NumSGPRsForWavesPerEU: 6
; NumVGPRsForWavesPerEU: 1
; AccumOffset: 4
; Occupancy: 8
; WaveLimiterHint : 0
; COMPUTE_PGM_RSRC2:SCRATCH_EN: 0
; COMPUTE_PGM_RSRC2:USER_SGPR: 2
; COMPUTE_PGM_RSRC2:TRAP_HANDLER: 0
; COMPUTE_PGM_RSRC2:TGID_X_EN: 1
; COMPUTE_PGM_RSRC2:TGID_Y_EN: 0
; COMPUTE_PGM_RSRC2:TGID_Z_EN: 0
; COMPUTE_PGM_RSRC2:TIDIG_COMP_CNT: 0
; COMPUTE_PGM_RSRC3_GFX90A:ACCUM_OFFSET: 0
; COMPUTE_PGM_RSRC3_GFX90A:TG_SPLIT: 0
	.section	.text._ZN7rocprim17ROCPRIM_400000_NS6detail17trampoline_kernelINS0_14default_configENS1_35radix_sort_onesweep_config_selectorIffEEZNS1_34radix_sort_onesweep_global_offsetsIS3_Lb0EN6thrust23THRUST_200600_302600_NS6detail15normal_iteratorINS8_10device_ptrIfEEEESD_jNS0_19identity_decomposerEEE10hipError_tT1_T2_PT3_SI_jT4_jjP12ihipStream_tbEUlT_E_NS1_11comp_targetILNS1_3genE9ELNS1_11target_archE1100ELNS1_3gpuE3ELNS1_3repE0EEENS1_52radix_sort_onesweep_histogram_config_static_selectorELNS0_4arch9wavefront6targetE1EEEvSG_,"axG",@progbits,_ZN7rocprim17ROCPRIM_400000_NS6detail17trampoline_kernelINS0_14default_configENS1_35radix_sort_onesweep_config_selectorIffEEZNS1_34radix_sort_onesweep_global_offsetsIS3_Lb0EN6thrust23THRUST_200600_302600_NS6detail15normal_iteratorINS8_10device_ptrIfEEEESD_jNS0_19identity_decomposerEEE10hipError_tT1_T2_PT3_SI_jT4_jjP12ihipStream_tbEUlT_E_NS1_11comp_targetILNS1_3genE9ELNS1_11target_archE1100ELNS1_3gpuE3ELNS1_3repE0EEENS1_52radix_sort_onesweep_histogram_config_static_selectorELNS0_4arch9wavefront6targetE1EEEvSG_,comdat
	.protected	_ZN7rocprim17ROCPRIM_400000_NS6detail17trampoline_kernelINS0_14default_configENS1_35radix_sort_onesweep_config_selectorIffEEZNS1_34radix_sort_onesweep_global_offsetsIS3_Lb0EN6thrust23THRUST_200600_302600_NS6detail15normal_iteratorINS8_10device_ptrIfEEEESD_jNS0_19identity_decomposerEEE10hipError_tT1_T2_PT3_SI_jT4_jjP12ihipStream_tbEUlT_E_NS1_11comp_targetILNS1_3genE9ELNS1_11target_archE1100ELNS1_3gpuE3ELNS1_3repE0EEENS1_52radix_sort_onesweep_histogram_config_static_selectorELNS0_4arch9wavefront6targetE1EEEvSG_ ; -- Begin function _ZN7rocprim17ROCPRIM_400000_NS6detail17trampoline_kernelINS0_14default_configENS1_35radix_sort_onesweep_config_selectorIffEEZNS1_34radix_sort_onesweep_global_offsetsIS3_Lb0EN6thrust23THRUST_200600_302600_NS6detail15normal_iteratorINS8_10device_ptrIfEEEESD_jNS0_19identity_decomposerEEE10hipError_tT1_T2_PT3_SI_jT4_jjP12ihipStream_tbEUlT_E_NS1_11comp_targetILNS1_3genE9ELNS1_11target_archE1100ELNS1_3gpuE3ELNS1_3repE0EEENS1_52radix_sort_onesweep_histogram_config_static_selectorELNS0_4arch9wavefront6targetE1EEEvSG_
	.globl	_ZN7rocprim17ROCPRIM_400000_NS6detail17trampoline_kernelINS0_14default_configENS1_35radix_sort_onesweep_config_selectorIffEEZNS1_34radix_sort_onesweep_global_offsetsIS3_Lb0EN6thrust23THRUST_200600_302600_NS6detail15normal_iteratorINS8_10device_ptrIfEEEESD_jNS0_19identity_decomposerEEE10hipError_tT1_T2_PT3_SI_jT4_jjP12ihipStream_tbEUlT_E_NS1_11comp_targetILNS1_3genE9ELNS1_11target_archE1100ELNS1_3gpuE3ELNS1_3repE0EEENS1_52radix_sort_onesweep_histogram_config_static_selectorELNS0_4arch9wavefront6targetE1EEEvSG_
	.p2align	8
	.type	_ZN7rocprim17ROCPRIM_400000_NS6detail17trampoline_kernelINS0_14default_configENS1_35radix_sort_onesweep_config_selectorIffEEZNS1_34radix_sort_onesweep_global_offsetsIS3_Lb0EN6thrust23THRUST_200600_302600_NS6detail15normal_iteratorINS8_10device_ptrIfEEEESD_jNS0_19identity_decomposerEEE10hipError_tT1_T2_PT3_SI_jT4_jjP12ihipStream_tbEUlT_E_NS1_11comp_targetILNS1_3genE9ELNS1_11target_archE1100ELNS1_3gpuE3ELNS1_3repE0EEENS1_52radix_sort_onesweep_histogram_config_static_selectorELNS0_4arch9wavefront6targetE1EEEvSG_,@function
_ZN7rocprim17ROCPRIM_400000_NS6detail17trampoline_kernelINS0_14default_configENS1_35radix_sort_onesweep_config_selectorIffEEZNS1_34radix_sort_onesweep_global_offsetsIS3_Lb0EN6thrust23THRUST_200600_302600_NS6detail15normal_iteratorINS8_10device_ptrIfEEEESD_jNS0_19identity_decomposerEEE10hipError_tT1_T2_PT3_SI_jT4_jjP12ihipStream_tbEUlT_E_NS1_11comp_targetILNS1_3genE9ELNS1_11target_archE1100ELNS1_3gpuE3ELNS1_3repE0EEENS1_52radix_sort_onesweep_histogram_config_static_selectorELNS0_4arch9wavefront6targetE1EEEvSG_: ; @_ZN7rocprim17ROCPRIM_400000_NS6detail17trampoline_kernelINS0_14default_configENS1_35radix_sort_onesweep_config_selectorIffEEZNS1_34radix_sort_onesweep_global_offsetsIS3_Lb0EN6thrust23THRUST_200600_302600_NS6detail15normal_iteratorINS8_10device_ptrIfEEEESD_jNS0_19identity_decomposerEEE10hipError_tT1_T2_PT3_SI_jT4_jjP12ihipStream_tbEUlT_E_NS1_11comp_targetILNS1_3genE9ELNS1_11target_archE1100ELNS1_3gpuE3ELNS1_3repE0EEENS1_52radix_sort_onesweep_histogram_config_static_selectorELNS0_4arch9wavefront6targetE1EEEvSG_
; %bb.0:
	.section	.rodata,"a",@progbits
	.p2align	6, 0x0
	.amdhsa_kernel _ZN7rocprim17ROCPRIM_400000_NS6detail17trampoline_kernelINS0_14default_configENS1_35radix_sort_onesweep_config_selectorIffEEZNS1_34radix_sort_onesweep_global_offsetsIS3_Lb0EN6thrust23THRUST_200600_302600_NS6detail15normal_iteratorINS8_10device_ptrIfEEEESD_jNS0_19identity_decomposerEEE10hipError_tT1_T2_PT3_SI_jT4_jjP12ihipStream_tbEUlT_E_NS1_11comp_targetILNS1_3genE9ELNS1_11target_archE1100ELNS1_3gpuE3ELNS1_3repE0EEENS1_52radix_sort_onesweep_histogram_config_static_selectorELNS0_4arch9wavefront6targetE1EEEvSG_
		.amdhsa_group_segment_fixed_size 0
		.amdhsa_private_segment_fixed_size 0
		.amdhsa_kernarg_size 40
		.amdhsa_user_sgpr_count 2
		.amdhsa_user_sgpr_dispatch_ptr 0
		.amdhsa_user_sgpr_queue_ptr 0
		.amdhsa_user_sgpr_kernarg_segment_ptr 1
		.amdhsa_user_sgpr_dispatch_id 0
		.amdhsa_user_sgpr_kernarg_preload_length 0
		.amdhsa_user_sgpr_kernarg_preload_offset 0
		.amdhsa_user_sgpr_private_segment_size 0
		.amdhsa_uses_dynamic_stack 0
		.amdhsa_enable_private_segment 0
		.amdhsa_system_sgpr_workgroup_id_x 1
		.amdhsa_system_sgpr_workgroup_id_y 0
		.amdhsa_system_sgpr_workgroup_id_z 0
		.amdhsa_system_sgpr_workgroup_info 0
		.amdhsa_system_vgpr_workitem_id 0
		.amdhsa_next_free_vgpr 1
		.amdhsa_next_free_sgpr 0
		.amdhsa_accum_offset 4
		.amdhsa_reserve_vcc 0
		.amdhsa_float_round_mode_32 0
		.amdhsa_float_round_mode_16_64 0
		.amdhsa_float_denorm_mode_32 3
		.amdhsa_float_denorm_mode_16_64 3
		.amdhsa_dx10_clamp 1
		.amdhsa_ieee_mode 1
		.amdhsa_fp16_overflow 0
		.amdhsa_tg_split 0
		.amdhsa_exception_fp_ieee_invalid_op 0
		.amdhsa_exception_fp_denorm_src 0
		.amdhsa_exception_fp_ieee_div_zero 0
		.amdhsa_exception_fp_ieee_overflow 0
		.amdhsa_exception_fp_ieee_underflow 0
		.amdhsa_exception_fp_ieee_inexact 0
		.amdhsa_exception_int_div_zero 0
	.end_amdhsa_kernel
	.section	.text._ZN7rocprim17ROCPRIM_400000_NS6detail17trampoline_kernelINS0_14default_configENS1_35radix_sort_onesweep_config_selectorIffEEZNS1_34radix_sort_onesweep_global_offsetsIS3_Lb0EN6thrust23THRUST_200600_302600_NS6detail15normal_iteratorINS8_10device_ptrIfEEEESD_jNS0_19identity_decomposerEEE10hipError_tT1_T2_PT3_SI_jT4_jjP12ihipStream_tbEUlT_E_NS1_11comp_targetILNS1_3genE9ELNS1_11target_archE1100ELNS1_3gpuE3ELNS1_3repE0EEENS1_52radix_sort_onesweep_histogram_config_static_selectorELNS0_4arch9wavefront6targetE1EEEvSG_,"axG",@progbits,_ZN7rocprim17ROCPRIM_400000_NS6detail17trampoline_kernelINS0_14default_configENS1_35radix_sort_onesweep_config_selectorIffEEZNS1_34radix_sort_onesweep_global_offsetsIS3_Lb0EN6thrust23THRUST_200600_302600_NS6detail15normal_iteratorINS8_10device_ptrIfEEEESD_jNS0_19identity_decomposerEEE10hipError_tT1_T2_PT3_SI_jT4_jjP12ihipStream_tbEUlT_E_NS1_11comp_targetILNS1_3genE9ELNS1_11target_archE1100ELNS1_3gpuE3ELNS1_3repE0EEENS1_52radix_sort_onesweep_histogram_config_static_selectorELNS0_4arch9wavefront6targetE1EEEvSG_,comdat
.Lfunc_end285:
	.size	_ZN7rocprim17ROCPRIM_400000_NS6detail17trampoline_kernelINS0_14default_configENS1_35radix_sort_onesweep_config_selectorIffEEZNS1_34radix_sort_onesweep_global_offsetsIS3_Lb0EN6thrust23THRUST_200600_302600_NS6detail15normal_iteratorINS8_10device_ptrIfEEEESD_jNS0_19identity_decomposerEEE10hipError_tT1_T2_PT3_SI_jT4_jjP12ihipStream_tbEUlT_E_NS1_11comp_targetILNS1_3genE9ELNS1_11target_archE1100ELNS1_3gpuE3ELNS1_3repE0EEENS1_52radix_sort_onesweep_histogram_config_static_selectorELNS0_4arch9wavefront6targetE1EEEvSG_, .Lfunc_end285-_ZN7rocprim17ROCPRIM_400000_NS6detail17trampoline_kernelINS0_14default_configENS1_35radix_sort_onesweep_config_selectorIffEEZNS1_34radix_sort_onesweep_global_offsetsIS3_Lb0EN6thrust23THRUST_200600_302600_NS6detail15normal_iteratorINS8_10device_ptrIfEEEESD_jNS0_19identity_decomposerEEE10hipError_tT1_T2_PT3_SI_jT4_jjP12ihipStream_tbEUlT_E_NS1_11comp_targetILNS1_3genE9ELNS1_11target_archE1100ELNS1_3gpuE3ELNS1_3repE0EEENS1_52radix_sort_onesweep_histogram_config_static_selectorELNS0_4arch9wavefront6targetE1EEEvSG_
                                        ; -- End function
	.set _ZN7rocprim17ROCPRIM_400000_NS6detail17trampoline_kernelINS0_14default_configENS1_35radix_sort_onesweep_config_selectorIffEEZNS1_34radix_sort_onesweep_global_offsetsIS3_Lb0EN6thrust23THRUST_200600_302600_NS6detail15normal_iteratorINS8_10device_ptrIfEEEESD_jNS0_19identity_decomposerEEE10hipError_tT1_T2_PT3_SI_jT4_jjP12ihipStream_tbEUlT_E_NS1_11comp_targetILNS1_3genE9ELNS1_11target_archE1100ELNS1_3gpuE3ELNS1_3repE0EEENS1_52radix_sort_onesweep_histogram_config_static_selectorELNS0_4arch9wavefront6targetE1EEEvSG_.num_vgpr, 0
	.set _ZN7rocprim17ROCPRIM_400000_NS6detail17trampoline_kernelINS0_14default_configENS1_35radix_sort_onesweep_config_selectorIffEEZNS1_34radix_sort_onesweep_global_offsetsIS3_Lb0EN6thrust23THRUST_200600_302600_NS6detail15normal_iteratorINS8_10device_ptrIfEEEESD_jNS0_19identity_decomposerEEE10hipError_tT1_T2_PT3_SI_jT4_jjP12ihipStream_tbEUlT_E_NS1_11comp_targetILNS1_3genE9ELNS1_11target_archE1100ELNS1_3gpuE3ELNS1_3repE0EEENS1_52radix_sort_onesweep_histogram_config_static_selectorELNS0_4arch9wavefront6targetE1EEEvSG_.num_agpr, 0
	.set _ZN7rocprim17ROCPRIM_400000_NS6detail17trampoline_kernelINS0_14default_configENS1_35radix_sort_onesweep_config_selectorIffEEZNS1_34radix_sort_onesweep_global_offsetsIS3_Lb0EN6thrust23THRUST_200600_302600_NS6detail15normal_iteratorINS8_10device_ptrIfEEEESD_jNS0_19identity_decomposerEEE10hipError_tT1_T2_PT3_SI_jT4_jjP12ihipStream_tbEUlT_E_NS1_11comp_targetILNS1_3genE9ELNS1_11target_archE1100ELNS1_3gpuE3ELNS1_3repE0EEENS1_52radix_sort_onesweep_histogram_config_static_selectorELNS0_4arch9wavefront6targetE1EEEvSG_.numbered_sgpr, 0
	.set _ZN7rocprim17ROCPRIM_400000_NS6detail17trampoline_kernelINS0_14default_configENS1_35radix_sort_onesweep_config_selectorIffEEZNS1_34radix_sort_onesweep_global_offsetsIS3_Lb0EN6thrust23THRUST_200600_302600_NS6detail15normal_iteratorINS8_10device_ptrIfEEEESD_jNS0_19identity_decomposerEEE10hipError_tT1_T2_PT3_SI_jT4_jjP12ihipStream_tbEUlT_E_NS1_11comp_targetILNS1_3genE9ELNS1_11target_archE1100ELNS1_3gpuE3ELNS1_3repE0EEENS1_52radix_sort_onesweep_histogram_config_static_selectorELNS0_4arch9wavefront6targetE1EEEvSG_.num_named_barrier, 0
	.set _ZN7rocprim17ROCPRIM_400000_NS6detail17trampoline_kernelINS0_14default_configENS1_35radix_sort_onesweep_config_selectorIffEEZNS1_34radix_sort_onesweep_global_offsetsIS3_Lb0EN6thrust23THRUST_200600_302600_NS6detail15normal_iteratorINS8_10device_ptrIfEEEESD_jNS0_19identity_decomposerEEE10hipError_tT1_T2_PT3_SI_jT4_jjP12ihipStream_tbEUlT_E_NS1_11comp_targetILNS1_3genE9ELNS1_11target_archE1100ELNS1_3gpuE3ELNS1_3repE0EEENS1_52radix_sort_onesweep_histogram_config_static_selectorELNS0_4arch9wavefront6targetE1EEEvSG_.private_seg_size, 0
	.set _ZN7rocprim17ROCPRIM_400000_NS6detail17trampoline_kernelINS0_14default_configENS1_35radix_sort_onesweep_config_selectorIffEEZNS1_34radix_sort_onesweep_global_offsetsIS3_Lb0EN6thrust23THRUST_200600_302600_NS6detail15normal_iteratorINS8_10device_ptrIfEEEESD_jNS0_19identity_decomposerEEE10hipError_tT1_T2_PT3_SI_jT4_jjP12ihipStream_tbEUlT_E_NS1_11comp_targetILNS1_3genE9ELNS1_11target_archE1100ELNS1_3gpuE3ELNS1_3repE0EEENS1_52radix_sort_onesweep_histogram_config_static_selectorELNS0_4arch9wavefront6targetE1EEEvSG_.uses_vcc, 0
	.set _ZN7rocprim17ROCPRIM_400000_NS6detail17trampoline_kernelINS0_14default_configENS1_35radix_sort_onesweep_config_selectorIffEEZNS1_34radix_sort_onesweep_global_offsetsIS3_Lb0EN6thrust23THRUST_200600_302600_NS6detail15normal_iteratorINS8_10device_ptrIfEEEESD_jNS0_19identity_decomposerEEE10hipError_tT1_T2_PT3_SI_jT4_jjP12ihipStream_tbEUlT_E_NS1_11comp_targetILNS1_3genE9ELNS1_11target_archE1100ELNS1_3gpuE3ELNS1_3repE0EEENS1_52radix_sort_onesweep_histogram_config_static_selectorELNS0_4arch9wavefront6targetE1EEEvSG_.uses_flat_scratch, 0
	.set _ZN7rocprim17ROCPRIM_400000_NS6detail17trampoline_kernelINS0_14default_configENS1_35radix_sort_onesweep_config_selectorIffEEZNS1_34radix_sort_onesweep_global_offsetsIS3_Lb0EN6thrust23THRUST_200600_302600_NS6detail15normal_iteratorINS8_10device_ptrIfEEEESD_jNS0_19identity_decomposerEEE10hipError_tT1_T2_PT3_SI_jT4_jjP12ihipStream_tbEUlT_E_NS1_11comp_targetILNS1_3genE9ELNS1_11target_archE1100ELNS1_3gpuE3ELNS1_3repE0EEENS1_52radix_sort_onesweep_histogram_config_static_selectorELNS0_4arch9wavefront6targetE1EEEvSG_.has_dyn_sized_stack, 0
	.set _ZN7rocprim17ROCPRIM_400000_NS6detail17trampoline_kernelINS0_14default_configENS1_35radix_sort_onesweep_config_selectorIffEEZNS1_34radix_sort_onesweep_global_offsetsIS3_Lb0EN6thrust23THRUST_200600_302600_NS6detail15normal_iteratorINS8_10device_ptrIfEEEESD_jNS0_19identity_decomposerEEE10hipError_tT1_T2_PT3_SI_jT4_jjP12ihipStream_tbEUlT_E_NS1_11comp_targetILNS1_3genE9ELNS1_11target_archE1100ELNS1_3gpuE3ELNS1_3repE0EEENS1_52radix_sort_onesweep_histogram_config_static_selectorELNS0_4arch9wavefront6targetE1EEEvSG_.has_recursion, 0
	.set _ZN7rocprim17ROCPRIM_400000_NS6detail17trampoline_kernelINS0_14default_configENS1_35radix_sort_onesweep_config_selectorIffEEZNS1_34radix_sort_onesweep_global_offsetsIS3_Lb0EN6thrust23THRUST_200600_302600_NS6detail15normal_iteratorINS8_10device_ptrIfEEEESD_jNS0_19identity_decomposerEEE10hipError_tT1_T2_PT3_SI_jT4_jjP12ihipStream_tbEUlT_E_NS1_11comp_targetILNS1_3genE9ELNS1_11target_archE1100ELNS1_3gpuE3ELNS1_3repE0EEENS1_52radix_sort_onesweep_histogram_config_static_selectorELNS0_4arch9wavefront6targetE1EEEvSG_.has_indirect_call, 0
	.section	.AMDGPU.csdata,"",@progbits
; Kernel info:
; codeLenInByte = 0
; TotalNumSgprs: 6
; NumVgprs: 0
; NumAgprs: 0
; TotalNumVgprs: 0
; ScratchSize: 0
; MemoryBound: 0
; FloatMode: 240
; IeeeMode: 1
; LDSByteSize: 0 bytes/workgroup (compile time only)
; SGPRBlocks: 0
; VGPRBlocks: 0
; NumSGPRsForWavesPerEU: 6
; NumVGPRsForWavesPerEU: 1
; AccumOffset: 4
; Occupancy: 8
; WaveLimiterHint : 0
; COMPUTE_PGM_RSRC2:SCRATCH_EN: 0
; COMPUTE_PGM_RSRC2:USER_SGPR: 2
; COMPUTE_PGM_RSRC2:TRAP_HANDLER: 0
; COMPUTE_PGM_RSRC2:TGID_X_EN: 1
; COMPUTE_PGM_RSRC2:TGID_Y_EN: 0
; COMPUTE_PGM_RSRC2:TGID_Z_EN: 0
; COMPUTE_PGM_RSRC2:TIDIG_COMP_CNT: 0
; COMPUTE_PGM_RSRC3_GFX90A:ACCUM_OFFSET: 0
; COMPUTE_PGM_RSRC3_GFX90A:TG_SPLIT: 0
	.section	.text._ZN7rocprim17ROCPRIM_400000_NS6detail17trampoline_kernelINS0_14default_configENS1_35radix_sort_onesweep_config_selectorIffEEZNS1_34radix_sort_onesweep_global_offsetsIS3_Lb0EN6thrust23THRUST_200600_302600_NS6detail15normal_iteratorINS8_10device_ptrIfEEEESD_jNS0_19identity_decomposerEEE10hipError_tT1_T2_PT3_SI_jT4_jjP12ihipStream_tbEUlT_E_NS1_11comp_targetILNS1_3genE8ELNS1_11target_archE1030ELNS1_3gpuE2ELNS1_3repE0EEENS1_52radix_sort_onesweep_histogram_config_static_selectorELNS0_4arch9wavefront6targetE1EEEvSG_,"axG",@progbits,_ZN7rocprim17ROCPRIM_400000_NS6detail17trampoline_kernelINS0_14default_configENS1_35radix_sort_onesweep_config_selectorIffEEZNS1_34radix_sort_onesweep_global_offsetsIS3_Lb0EN6thrust23THRUST_200600_302600_NS6detail15normal_iteratorINS8_10device_ptrIfEEEESD_jNS0_19identity_decomposerEEE10hipError_tT1_T2_PT3_SI_jT4_jjP12ihipStream_tbEUlT_E_NS1_11comp_targetILNS1_3genE8ELNS1_11target_archE1030ELNS1_3gpuE2ELNS1_3repE0EEENS1_52radix_sort_onesweep_histogram_config_static_selectorELNS0_4arch9wavefront6targetE1EEEvSG_,comdat
	.protected	_ZN7rocprim17ROCPRIM_400000_NS6detail17trampoline_kernelINS0_14default_configENS1_35radix_sort_onesweep_config_selectorIffEEZNS1_34radix_sort_onesweep_global_offsetsIS3_Lb0EN6thrust23THRUST_200600_302600_NS6detail15normal_iteratorINS8_10device_ptrIfEEEESD_jNS0_19identity_decomposerEEE10hipError_tT1_T2_PT3_SI_jT4_jjP12ihipStream_tbEUlT_E_NS1_11comp_targetILNS1_3genE8ELNS1_11target_archE1030ELNS1_3gpuE2ELNS1_3repE0EEENS1_52radix_sort_onesweep_histogram_config_static_selectorELNS0_4arch9wavefront6targetE1EEEvSG_ ; -- Begin function _ZN7rocprim17ROCPRIM_400000_NS6detail17trampoline_kernelINS0_14default_configENS1_35radix_sort_onesweep_config_selectorIffEEZNS1_34radix_sort_onesweep_global_offsetsIS3_Lb0EN6thrust23THRUST_200600_302600_NS6detail15normal_iteratorINS8_10device_ptrIfEEEESD_jNS0_19identity_decomposerEEE10hipError_tT1_T2_PT3_SI_jT4_jjP12ihipStream_tbEUlT_E_NS1_11comp_targetILNS1_3genE8ELNS1_11target_archE1030ELNS1_3gpuE2ELNS1_3repE0EEENS1_52radix_sort_onesweep_histogram_config_static_selectorELNS0_4arch9wavefront6targetE1EEEvSG_
	.globl	_ZN7rocprim17ROCPRIM_400000_NS6detail17trampoline_kernelINS0_14default_configENS1_35radix_sort_onesweep_config_selectorIffEEZNS1_34radix_sort_onesweep_global_offsetsIS3_Lb0EN6thrust23THRUST_200600_302600_NS6detail15normal_iteratorINS8_10device_ptrIfEEEESD_jNS0_19identity_decomposerEEE10hipError_tT1_T2_PT3_SI_jT4_jjP12ihipStream_tbEUlT_E_NS1_11comp_targetILNS1_3genE8ELNS1_11target_archE1030ELNS1_3gpuE2ELNS1_3repE0EEENS1_52radix_sort_onesweep_histogram_config_static_selectorELNS0_4arch9wavefront6targetE1EEEvSG_
	.p2align	8
	.type	_ZN7rocprim17ROCPRIM_400000_NS6detail17trampoline_kernelINS0_14default_configENS1_35radix_sort_onesweep_config_selectorIffEEZNS1_34radix_sort_onesweep_global_offsetsIS3_Lb0EN6thrust23THRUST_200600_302600_NS6detail15normal_iteratorINS8_10device_ptrIfEEEESD_jNS0_19identity_decomposerEEE10hipError_tT1_T2_PT3_SI_jT4_jjP12ihipStream_tbEUlT_E_NS1_11comp_targetILNS1_3genE8ELNS1_11target_archE1030ELNS1_3gpuE2ELNS1_3repE0EEENS1_52radix_sort_onesweep_histogram_config_static_selectorELNS0_4arch9wavefront6targetE1EEEvSG_,@function
_ZN7rocprim17ROCPRIM_400000_NS6detail17trampoline_kernelINS0_14default_configENS1_35radix_sort_onesweep_config_selectorIffEEZNS1_34radix_sort_onesweep_global_offsetsIS3_Lb0EN6thrust23THRUST_200600_302600_NS6detail15normal_iteratorINS8_10device_ptrIfEEEESD_jNS0_19identity_decomposerEEE10hipError_tT1_T2_PT3_SI_jT4_jjP12ihipStream_tbEUlT_E_NS1_11comp_targetILNS1_3genE8ELNS1_11target_archE1030ELNS1_3gpuE2ELNS1_3repE0EEENS1_52radix_sort_onesweep_histogram_config_static_selectorELNS0_4arch9wavefront6targetE1EEEvSG_: ; @_ZN7rocprim17ROCPRIM_400000_NS6detail17trampoline_kernelINS0_14default_configENS1_35radix_sort_onesweep_config_selectorIffEEZNS1_34radix_sort_onesweep_global_offsetsIS3_Lb0EN6thrust23THRUST_200600_302600_NS6detail15normal_iteratorINS8_10device_ptrIfEEEESD_jNS0_19identity_decomposerEEE10hipError_tT1_T2_PT3_SI_jT4_jjP12ihipStream_tbEUlT_E_NS1_11comp_targetILNS1_3genE8ELNS1_11target_archE1030ELNS1_3gpuE2ELNS1_3repE0EEENS1_52radix_sort_onesweep_histogram_config_static_selectorELNS0_4arch9wavefront6targetE1EEEvSG_
; %bb.0:
	.section	.rodata,"a",@progbits
	.p2align	6, 0x0
	.amdhsa_kernel _ZN7rocprim17ROCPRIM_400000_NS6detail17trampoline_kernelINS0_14default_configENS1_35radix_sort_onesweep_config_selectorIffEEZNS1_34radix_sort_onesweep_global_offsetsIS3_Lb0EN6thrust23THRUST_200600_302600_NS6detail15normal_iteratorINS8_10device_ptrIfEEEESD_jNS0_19identity_decomposerEEE10hipError_tT1_T2_PT3_SI_jT4_jjP12ihipStream_tbEUlT_E_NS1_11comp_targetILNS1_3genE8ELNS1_11target_archE1030ELNS1_3gpuE2ELNS1_3repE0EEENS1_52radix_sort_onesweep_histogram_config_static_selectorELNS0_4arch9wavefront6targetE1EEEvSG_
		.amdhsa_group_segment_fixed_size 0
		.amdhsa_private_segment_fixed_size 0
		.amdhsa_kernarg_size 40
		.amdhsa_user_sgpr_count 2
		.amdhsa_user_sgpr_dispatch_ptr 0
		.amdhsa_user_sgpr_queue_ptr 0
		.amdhsa_user_sgpr_kernarg_segment_ptr 1
		.amdhsa_user_sgpr_dispatch_id 0
		.amdhsa_user_sgpr_kernarg_preload_length 0
		.amdhsa_user_sgpr_kernarg_preload_offset 0
		.amdhsa_user_sgpr_private_segment_size 0
		.amdhsa_uses_dynamic_stack 0
		.amdhsa_enable_private_segment 0
		.amdhsa_system_sgpr_workgroup_id_x 1
		.amdhsa_system_sgpr_workgroup_id_y 0
		.amdhsa_system_sgpr_workgroup_id_z 0
		.amdhsa_system_sgpr_workgroup_info 0
		.amdhsa_system_vgpr_workitem_id 0
		.amdhsa_next_free_vgpr 1
		.amdhsa_next_free_sgpr 0
		.amdhsa_accum_offset 4
		.amdhsa_reserve_vcc 0
		.amdhsa_float_round_mode_32 0
		.amdhsa_float_round_mode_16_64 0
		.amdhsa_float_denorm_mode_32 3
		.amdhsa_float_denorm_mode_16_64 3
		.amdhsa_dx10_clamp 1
		.amdhsa_ieee_mode 1
		.amdhsa_fp16_overflow 0
		.amdhsa_tg_split 0
		.amdhsa_exception_fp_ieee_invalid_op 0
		.amdhsa_exception_fp_denorm_src 0
		.amdhsa_exception_fp_ieee_div_zero 0
		.amdhsa_exception_fp_ieee_overflow 0
		.amdhsa_exception_fp_ieee_underflow 0
		.amdhsa_exception_fp_ieee_inexact 0
		.amdhsa_exception_int_div_zero 0
	.end_amdhsa_kernel
	.section	.text._ZN7rocprim17ROCPRIM_400000_NS6detail17trampoline_kernelINS0_14default_configENS1_35radix_sort_onesweep_config_selectorIffEEZNS1_34radix_sort_onesweep_global_offsetsIS3_Lb0EN6thrust23THRUST_200600_302600_NS6detail15normal_iteratorINS8_10device_ptrIfEEEESD_jNS0_19identity_decomposerEEE10hipError_tT1_T2_PT3_SI_jT4_jjP12ihipStream_tbEUlT_E_NS1_11comp_targetILNS1_3genE8ELNS1_11target_archE1030ELNS1_3gpuE2ELNS1_3repE0EEENS1_52radix_sort_onesweep_histogram_config_static_selectorELNS0_4arch9wavefront6targetE1EEEvSG_,"axG",@progbits,_ZN7rocprim17ROCPRIM_400000_NS6detail17trampoline_kernelINS0_14default_configENS1_35radix_sort_onesweep_config_selectorIffEEZNS1_34radix_sort_onesweep_global_offsetsIS3_Lb0EN6thrust23THRUST_200600_302600_NS6detail15normal_iteratorINS8_10device_ptrIfEEEESD_jNS0_19identity_decomposerEEE10hipError_tT1_T2_PT3_SI_jT4_jjP12ihipStream_tbEUlT_E_NS1_11comp_targetILNS1_3genE8ELNS1_11target_archE1030ELNS1_3gpuE2ELNS1_3repE0EEENS1_52radix_sort_onesweep_histogram_config_static_selectorELNS0_4arch9wavefront6targetE1EEEvSG_,comdat
.Lfunc_end286:
	.size	_ZN7rocprim17ROCPRIM_400000_NS6detail17trampoline_kernelINS0_14default_configENS1_35radix_sort_onesweep_config_selectorIffEEZNS1_34radix_sort_onesweep_global_offsetsIS3_Lb0EN6thrust23THRUST_200600_302600_NS6detail15normal_iteratorINS8_10device_ptrIfEEEESD_jNS0_19identity_decomposerEEE10hipError_tT1_T2_PT3_SI_jT4_jjP12ihipStream_tbEUlT_E_NS1_11comp_targetILNS1_3genE8ELNS1_11target_archE1030ELNS1_3gpuE2ELNS1_3repE0EEENS1_52radix_sort_onesweep_histogram_config_static_selectorELNS0_4arch9wavefront6targetE1EEEvSG_, .Lfunc_end286-_ZN7rocprim17ROCPRIM_400000_NS6detail17trampoline_kernelINS0_14default_configENS1_35radix_sort_onesweep_config_selectorIffEEZNS1_34radix_sort_onesweep_global_offsetsIS3_Lb0EN6thrust23THRUST_200600_302600_NS6detail15normal_iteratorINS8_10device_ptrIfEEEESD_jNS0_19identity_decomposerEEE10hipError_tT1_T2_PT3_SI_jT4_jjP12ihipStream_tbEUlT_E_NS1_11comp_targetILNS1_3genE8ELNS1_11target_archE1030ELNS1_3gpuE2ELNS1_3repE0EEENS1_52radix_sort_onesweep_histogram_config_static_selectorELNS0_4arch9wavefront6targetE1EEEvSG_
                                        ; -- End function
	.set _ZN7rocprim17ROCPRIM_400000_NS6detail17trampoline_kernelINS0_14default_configENS1_35radix_sort_onesweep_config_selectorIffEEZNS1_34radix_sort_onesweep_global_offsetsIS3_Lb0EN6thrust23THRUST_200600_302600_NS6detail15normal_iteratorINS8_10device_ptrIfEEEESD_jNS0_19identity_decomposerEEE10hipError_tT1_T2_PT3_SI_jT4_jjP12ihipStream_tbEUlT_E_NS1_11comp_targetILNS1_3genE8ELNS1_11target_archE1030ELNS1_3gpuE2ELNS1_3repE0EEENS1_52radix_sort_onesweep_histogram_config_static_selectorELNS0_4arch9wavefront6targetE1EEEvSG_.num_vgpr, 0
	.set _ZN7rocprim17ROCPRIM_400000_NS6detail17trampoline_kernelINS0_14default_configENS1_35radix_sort_onesweep_config_selectorIffEEZNS1_34radix_sort_onesweep_global_offsetsIS3_Lb0EN6thrust23THRUST_200600_302600_NS6detail15normal_iteratorINS8_10device_ptrIfEEEESD_jNS0_19identity_decomposerEEE10hipError_tT1_T2_PT3_SI_jT4_jjP12ihipStream_tbEUlT_E_NS1_11comp_targetILNS1_3genE8ELNS1_11target_archE1030ELNS1_3gpuE2ELNS1_3repE0EEENS1_52radix_sort_onesweep_histogram_config_static_selectorELNS0_4arch9wavefront6targetE1EEEvSG_.num_agpr, 0
	.set _ZN7rocprim17ROCPRIM_400000_NS6detail17trampoline_kernelINS0_14default_configENS1_35radix_sort_onesweep_config_selectorIffEEZNS1_34radix_sort_onesweep_global_offsetsIS3_Lb0EN6thrust23THRUST_200600_302600_NS6detail15normal_iteratorINS8_10device_ptrIfEEEESD_jNS0_19identity_decomposerEEE10hipError_tT1_T2_PT3_SI_jT4_jjP12ihipStream_tbEUlT_E_NS1_11comp_targetILNS1_3genE8ELNS1_11target_archE1030ELNS1_3gpuE2ELNS1_3repE0EEENS1_52radix_sort_onesweep_histogram_config_static_selectorELNS0_4arch9wavefront6targetE1EEEvSG_.numbered_sgpr, 0
	.set _ZN7rocprim17ROCPRIM_400000_NS6detail17trampoline_kernelINS0_14default_configENS1_35radix_sort_onesweep_config_selectorIffEEZNS1_34radix_sort_onesweep_global_offsetsIS3_Lb0EN6thrust23THRUST_200600_302600_NS6detail15normal_iteratorINS8_10device_ptrIfEEEESD_jNS0_19identity_decomposerEEE10hipError_tT1_T2_PT3_SI_jT4_jjP12ihipStream_tbEUlT_E_NS1_11comp_targetILNS1_3genE8ELNS1_11target_archE1030ELNS1_3gpuE2ELNS1_3repE0EEENS1_52radix_sort_onesweep_histogram_config_static_selectorELNS0_4arch9wavefront6targetE1EEEvSG_.num_named_barrier, 0
	.set _ZN7rocprim17ROCPRIM_400000_NS6detail17trampoline_kernelINS0_14default_configENS1_35radix_sort_onesweep_config_selectorIffEEZNS1_34radix_sort_onesweep_global_offsetsIS3_Lb0EN6thrust23THRUST_200600_302600_NS6detail15normal_iteratorINS8_10device_ptrIfEEEESD_jNS0_19identity_decomposerEEE10hipError_tT1_T2_PT3_SI_jT4_jjP12ihipStream_tbEUlT_E_NS1_11comp_targetILNS1_3genE8ELNS1_11target_archE1030ELNS1_3gpuE2ELNS1_3repE0EEENS1_52radix_sort_onesweep_histogram_config_static_selectorELNS0_4arch9wavefront6targetE1EEEvSG_.private_seg_size, 0
	.set _ZN7rocprim17ROCPRIM_400000_NS6detail17trampoline_kernelINS0_14default_configENS1_35radix_sort_onesweep_config_selectorIffEEZNS1_34radix_sort_onesweep_global_offsetsIS3_Lb0EN6thrust23THRUST_200600_302600_NS6detail15normal_iteratorINS8_10device_ptrIfEEEESD_jNS0_19identity_decomposerEEE10hipError_tT1_T2_PT3_SI_jT4_jjP12ihipStream_tbEUlT_E_NS1_11comp_targetILNS1_3genE8ELNS1_11target_archE1030ELNS1_3gpuE2ELNS1_3repE0EEENS1_52radix_sort_onesweep_histogram_config_static_selectorELNS0_4arch9wavefront6targetE1EEEvSG_.uses_vcc, 0
	.set _ZN7rocprim17ROCPRIM_400000_NS6detail17trampoline_kernelINS0_14default_configENS1_35radix_sort_onesweep_config_selectorIffEEZNS1_34radix_sort_onesweep_global_offsetsIS3_Lb0EN6thrust23THRUST_200600_302600_NS6detail15normal_iteratorINS8_10device_ptrIfEEEESD_jNS0_19identity_decomposerEEE10hipError_tT1_T2_PT3_SI_jT4_jjP12ihipStream_tbEUlT_E_NS1_11comp_targetILNS1_3genE8ELNS1_11target_archE1030ELNS1_3gpuE2ELNS1_3repE0EEENS1_52radix_sort_onesweep_histogram_config_static_selectorELNS0_4arch9wavefront6targetE1EEEvSG_.uses_flat_scratch, 0
	.set _ZN7rocprim17ROCPRIM_400000_NS6detail17trampoline_kernelINS0_14default_configENS1_35radix_sort_onesweep_config_selectorIffEEZNS1_34radix_sort_onesweep_global_offsetsIS3_Lb0EN6thrust23THRUST_200600_302600_NS6detail15normal_iteratorINS8_10device_ptrIfEEEESD_jNS0_19identity_decomposerEEE10hipError_tT1_T2_PT3_SI_jT4_jjP12ihipStream_tbEUlT_E_NS1_11comp_targetILNS1_3genE8ELNS1_11target_archE1030ELNS1_3gpuE2ELNS1_3repE0EEENS1_52radix_sort_onesweep_histogram_config_static_selectorELNS0_4arch9wavefront6targetE1EEEvSG_.has_dyn_sized_stack, 0
	.set _ZN7rocprim17ROCPRIM_400000_NS6detail17trampoline_kernelINS0_14default_configENS1_35radix_sort_onesweep_config_selectorIffEEZNS1_34radix_sort_onesweep_global_offsetsIS3_Lb0EN6thrust23THRUST_200600_302600_NS6detail15normal_iteratorINS8_10device_ptrIfEEEESD_jNS0_19identity_decomposerEEE10hipError_tT1_T2_PT3_SI_jT4_jjP12ihipStream_tbEUlT_E_NS1_11comp_targetILNS1_3genE8ELNS1_11target_archE1030ELNS1_3gpuE2ELNS1_3repE0EEENS1_52radix_sort_onesweep_histogram_config_static_selectorELNS0_4arch9wavefront6targetE1EEEvSG_.has_recursion, 0
	.set _ZN7rocprim17ROCPRIM_400000_NS6detail17trampoline_kernelINS0_14default_configENS1_35radix_sort_onesweep_config_selectorIffEEZNS1_34radix_sort_onesweep_global_offsetsIS3_Lb0EN6thrust23THRUST_200600_302600_NS6detail15normal_iteratorINS8_10device_ptrIfEEEESD_jNS0_19identity_decomposerEEE10hipError_tT1_T2_PT3_SI_jT4_jjP12ihipStream_tbEUlT_E_NS1_11comp_targetILNS1_3genE8ELNS1_11target_archE1030ELNS1_3gpuE2ELNS1_3repE0EEENS1_52radix_sort_onesweep_histogram_config_static_selectorELNS0_4arch9wavefront6targetE1EEEvSG_.has_indirect_call, 0
	.section	.AMDGPU.csdata,"",@progbits
; Kernel info:
; codeLenInByte = 0
; TotalNumSgprs: 6
; NumVgprs: 0
; NumAgprs: 0
; TotalNumVgprs: 0
; ScratchSize: 0
; MemoryBound: 0
; FloatMode: 240
; IeeeMode: 1
; LDSByteSize: 0 bytes/workgroup (compile time only)
; SGPRBlocks: 0
; VGPRBlocks: 0
; NumSGPRsForWavesPerEU: 6
; NumVGPRsForWavesPerEU: 1
; AccumOffset: 4
; Occupancy: 8
; WaveLimiterHint : 0
; COMPUTE_PGM_RSRC2:SCRATCH_EN: 0
; COMPUTE_PGM_RSRC2:USER_SGPR: 2
; COMPUTE_PGM_RSRC2:TRAP_HANDLER: 0
; COMPUTE_PGM_RSRC2:TGID_X_EN: 1
; COMPUTE_PGM_RSRC2:TGID_Y_EN: 0
; COMPUTE_PGM_RSRC2:TGID_Z_EN: 0
; COMPUTE_PGM_RSRC2:TIDIG_COMP_CNT: 0
; COMPUTE_PGM_RSRC3_GFX90A:ACCUM_OFFSET: 0
; COMPUTE_PGM_RSRC3_GFX90A:TG_SPLIT: 0
	.section	.text._ZN7rocprim17ROCPRIM_400000_NS6detail17trampoline_kernelINS0_14default_configENS1_35radix_sort_onesweep_config_selectorIffEEZNS1_34radix_sort_onesweep_global_offsetsIS3_Lb0EN6thrust23THRUST_200600_302600_NS6detail15normal_iteratorINS8_10device_ptrIfEEEESD_jNS0_19identity_decomposerEEE10hipError_tT1_T2_PT3_SI_jT4_jjP12ihipStream_tbEUlT_E0_NS1_11comp_targetILNS1_3genE0ELNS1_11target_archE4294967295ELNS1_3gpuE0ELNS1_3repE0EEENS1_52radix_sort_onesweep_histogram_config_static_selectorELNS0_4arch9wavefront6targetE1EEEvSG_,"axG",@progbits,_ZN7rocprim17ROCPRIM_400000_NS6detail17trampoline_kernelINS0_14default_configENS1_35radix_sort_onesweep_config_selectorIffEEZNS1_34radix_sort_onesweep_global_offsetsIS3_Lb0EN6thrust23THRUST_200600_302600_NS6detail15normal_iteratorINS8_10device_ptrIfEEEESD_jNS0_19identity_decomposerEEE10hipError_tT1_T2_PT3_SI_jT4_jjP12ihipStream_tbEUlT_E0_NS1_11comp_targetILNS1_3genE0ELNS1_11target_archE4294967295ELNS1_3gpuE0ELNS1_3repE0EEENS1_52radix_sort_onesweep_histogram_config_static_selectorELNS0_4arch9wavefront6targetE1EEEvSG_,comdat
	.protected	_ZN7rocprim17ROCPRIM_400000_NS6detail17trampoline_kernelINS0_14default_configENS1_35radix_sort_onesweep_config_selectorIffEEZNS1_34radix_sort_onesweep_global_offsetsIS3_Lb0EN6thrust23THRUST_200600_302600_NS6detail15normal_iteratorINS8_10device_ptrIfEEEESD_jNS0_19identity_decomposerEEE10hipError_tT1_T2_PT3_SI_jT4_jjP12ihipStream_tbEUlT_E0_NS1_11comp_targetILNS1_3genE0ELNS1_11target_archE4294967295ELNS1_3gpuE0ELNS1_3repE0EEENS1_52radix_sort_onesweep_histogram_config_static_selectorELNS0_4arch9wavefront6targetE1EEEvSG_ ; -- Begin function _ZN7rocprim17ROCPRIM_400000_NS6detail17trampoline_kernelINS0_14default_configENS1_35radix_sort_onesweep_config_selectorIffEEZNS1_34radix_sort_onesweep_global_offsetsIS3_Lb0EN6thrust23THRUST_200600_302600_NS6detail15normal_iteratorINS8_10device_ptrIfEEEESD_jNS0_19identity_decomposerEEE10hipError_tT1_T2_PT3_SI_jT4_jjP12ihipStream_tbEUlT_E0_NS1_11comp_targetILNS1_3genE0ELNS1_11target_archE4294967295ELNS1_3gpuE0ELNS1_3repE0EEENS1_52radix_sort_onesweep_histogram_config_static_selectorELNS0_4arch9wavefront6targetE1EEEvSG_
	.globl	_ZN7rocprim17ROCPRIM_400000_NS6detail17trampoline_kernelINS0_14default_configENS1_35radix_sort_onesweep_config_selectorIffEEZNS1_34radix_sort_onesweep_global_offsetsIS3_Lb0EN6thrust23THRUST_200600_302600_NS6detail15normal_iteratorINS8_10device_ptrIfEEEESD_jNS0_19identity_decomposerEEE10hipError_tT1_T2_PT3_SI_jT4_jjP12ihipStream_tbEUlT_E0_NS1_11comp_targetILNS1_3genE0ELNS1_11target_archE4294967295ELNS1_3gpuE0ELNS1_3repE0EEENS1_52radix_sort_onesweep_histogram_config_static_selectorELNS0_4arch9wavefront6targetE1EEEvSG_
	.p2align	8
	.type	_ZN7rocprim17ROCPRIM_400000_NS6detail17trampoline_kernelINS0_14default_configENS1_35radix_sort_onesweep_config_selectorIffEEZNS1_34radix_sort_onesweep_global_offsetsIS3_Lb0EN6thrust23THRUST_200600_302600_NS6detail15normal_iteratorINS8_10device_ptrIfEEEESD_jNS0_19identity_decomposerEEE10hipError_tT1_T2_PT3_SI_jT4_jjP12ihipStream_tbEUlT_E0_NS1_11comp_targetILNS1_3genE0ELNS1_11target_archE4294967295ELNS1_3gpuE0ELNS1_3repE0EEENS1_52radix_sort_onesweep_histogram_config_static_selectorELNS0_4arch9wavefront6targetE1EEEvSG_,@function
_ZN7rocprim17ROCPRIM_400000_NS6detail17trampoline_kernelINS0_14default_configENS1_35radix_sort_onesweep_config_selectorIffEEZNS1_34radix_sort_onesweep_global_offsetsIS3_Lb0EN6thrust23THRUST_200600_302600_NS6detail15normal_iteratorINS8_10device_ptrIfEEEESD_jNS0_19identity_decomposerEEE10hipError_tT1_T2_PT3_SI_jT4_jjP12ihipStream_tbEUlT_E0_NS1_11comp_targetILNS1_3genE0ELNS1_11target_archE4294967295ELNS1_3gpuE0ELNS1_3repE0EEENS1_52radix_sort_onesweep_histogram_config_static_selectorELNS0_4arch9wavefront6targetE1EEEvSG_: ; @_ZN7rocprim17ROCPRIM_400000_NS6detail17trampoline_kernelINS0_14default_configENS1_35radix_sort_onesweep_config_selectorIffEEZNS1_34radix_sort_onesweep_global_offsetsIS3_Lb0EN6thrust23THRUST_200600_302600_NS6detail15normal_iteratorINS8_10device_ptrIfEEEESD_jNS0_19identity_decomposerEEE10hipError_tT1_T2_PT3_SI_jT4_jjP12ihipStream_tbEUlT_E0_NS1_11comp_targetILNS1_3genE0ELNS1_11target_archE4294967295ELNS1_3gpuE0ELNS1_3repE0EEENS1_52radix_sort_onesweep_histogram_config_static_selectorELNS0_4arch9wavefront6targetE1EEEvSG_
; %bb.0:
	.section	.rodata,"a",@progbits
	.p2align	6, 0x0
	.amdhsa_kernel _ZN7rocprim17ROCPRIM_400000_NS6detail17trampoline_kernelINS0_14default_configENS1_35radix_sort_onesweep_config_selectorIffEEZNS1_34radix_sort_onesweep_global_offsetsIS3_Lb0EN6thrust23THRUST_200600_302600_NS6detail15normal_iteratorINS8_10device_ptrIfEEEESD_jNS0_19identity_decomposerEEE10hipError_tT1_T2_PT3_SI_jT4_jjP12ihipStream_tbEUlT_E0_NS1_11comp_targetILNS1_3genE0ELNS1_11target_archE4294967295ELNS1_3gpuE0ELNS1_3repE0EEENS1_52radix_sort_onesweep_histogram_config_static_selectorELNS0_4arch9wavefront6targetE1EEEvSG_
		.amdhsa_group_segment_fixed_size 0
		.amdhsa_private_segment_fixed_size 0
		.amdhsa_kernarg_size 8
		.amdhsa_user_sgpr_count 2
		.amdhsa_user_sgpr_dispatch_ptr 0
		.amdhsa_user_sgpr_queue_ptr 0
		.amdhsa_user_sgpr_kernarg_segment_ptr 1
		.amdhsa_user_sgpr_dispatch_id 0
		.amdhsa_user_sgpr_kernarg_preload_length 0
		.amdhsa_user_sgpr_kernarg_preload_offset 0
		.amdhsa_user_sgpr_private_segment_size 0
		.amdhsa_uses_dynamic_stack 0
		.amdhsa_enable_private_segment 0
		.amdhsa_system_sgpr_workgroup_id_x 1
		.amdhsa_system_sgpr_workgroup_id_y 0
		.amdhsa_system_sgpr_workgroup_id_z 0
		.amdhsa_system_sgpr_workgroup_info 0
		.amdhsa_system_vgpr_workitem_id 0
		.amdhsa_next_free_vgpr 1
		.amdhsa_next_free_sgpr 0
		.amdhsa_accum_offset 4
		.amdhsa_reserve_vcc 0
		.amdhsa_float_round_mode_32 0
		.amdhsa_float_round_mode_16_64 0
		.amdhsa_float_denorm_mode_32 3
		.amdhsa_float_denorm_mode_16_64 3
		.amdhsa_dx10_clamp 1
		.amdhsa_ieee_mode 1
		.amdhsa_fp16_overflow 0
		.amdhsa_tg_split 0
		.amdhsa_exception_fp_ieee_invalid_op 0
		.amdhsa_exception_fp_denorm_src 0
		.amdhsa_exception_fp_ieee_div_zero 0
		.amdhsa_exception_fp_ieee_overflow 0
		.amdhsa_exception_fp_ieee_underflow 0
		.amdhsa_exception_fp_ieee_inexact 0
		.amdhsa_exception_int_div_zero 0
	.end_amdhsa_kernel
	.section	.text._ZN7rocprim17ROCPRIM_400000_NS6detail17trampoline_kernelINS0_14default_configENS1_35radix_sort_onesweep_config_selectorIffEEZNS1_34radix_sort_onesweep_global_offsetsIS3_Lb0EN6thrust23THRUST_200600_302600_NS6detail15normal_iteratorINS8_10device_ptrIfEEEESD_jNS0_19identity_decomposerEEE10hipError_tT1_T2_PT3_SI_jT4_jjP12ihipStream_tbEUlT_E0_NS1_11comp_targetILNS1_3genE0ELNS1_11target_archE4294967295ELNS1_3gpuE0ELNS1_3repE0EEENS1_52radix_sort_onesweep_histogram_config_static_selectorELNS0_4arch9wavefront6targetE1EEEvSG_,"axG",@progbits,_ZN7rocprim17ROCPRIM_400000_NS6detail17trampoline_kernelINS0_14default_configENS1_35radix_sort_onesweep_config_selectorIffEEZNS1_34radix_sort_onesweep_global_offsetsIS3_Lb0EN6thrust23THRUST_200600_302600_NS6detail15normal_iteratorINS8_10device_ptrIfEEEESD_jNS0_19identity_decomposerEEE10hipError_tT1_T2_PT3_SI_jT4_jjP12ihipStream_tbEUlT_E0_NS1_11comp_targetILNS1_3genE0ELNS1_11target_archE4294967295ELNS1_3gpuE0ELNS1_3repE0EEENS1_52radix_sort_onesweep_histogram_config_static_selectorELNS0_4arch9wavefront6targetE1EEEvSG_,comdat
.Lfunc_end287:
	.size	_ZN7rocprim17ROCPRIM_400000_NS6detail17trampoline_kernelINS0_14default_configENS1_35radix_sort_onesweep_config_selectorIffEEZNS1_34radix_sort_onesweep_global_offsetsIS3_Lb0EN6thrust23THRUST_200600_302600_NS6detail15normal_iteratorINS8_10device_ptrIfEEEESD_jNS0_19identity_decomposerEEE10hipError_tT1_T2_PT3_SI_jT4_jjP12ihipStream_tbEUlT_E0_NS1_11comp_targetILNS1_3genE0ELNS1_11target_archE4294967295ELNS1_3gpuE0ELNS1_3repE0EEENS1_52radix_sort_onesweep_histogram_config_static_selectorELNS0_4arch9wavefront6targetE1EEEvSG_, .Lfunc_end287-_ZN7rocprim17ROCPRIM_400000_NS6detail17trampoline_kernelINS0_14default_configENS1_35radix_sort_onesweep_config_selectorIffEEZNS1_34radix_sort_onesweep_global_offsetsIS3_Lb0EN6thrust23THRUST_200600_302600_NS6detail15normal_iteratorINS8_10device_ptrIfEEEESD_jNS0_19identity_decomposerEEE10hipError_tT1_T2_PT3_SI_jT4_jjP12ihipStream_tbEUlT_E0_NS1_11comp_targetILNS1_3genE0ELNS1_11target_archE4294967295ELNS1_3gpuE0ELNS1_3repE0EEENS1_52radix_sort_onesweep_histogram_config_static_selectorELNS0_4arch9wavefront6targetE1EEEvSG_
                                        ; -- End function
	.set _ZN7rocprim17ROCPRIM_400000_NS6detail17trampoline_kernelINS0_14default_configENS1_35radix_sort_onesweep_config_selectorIffEEZNS1_34radix_sort_onesweep_global_offsetsIS3_Lb0EN6thrust23THRUST_200600_302600_NS6detail15normal_iteratorINS8_10device_ptrIfEEEESD_jNS0_19identity_decomposerEEE10hipError_tT1_T2_PT3_SI_jT4_jjP12ihipStream_tbEUlT_E0_NS1_11comp_targetILNS1_3genE0ELNS1_11target_archE4294967295ELNS1_3gpuE0ELNS1_3repE0EEENS1_52radix_sort_onesweep_histogram_config_static_selectorELNS0_4arch9wavefront6targetE1EEEvSG_.num_vgpr, 0
	.set _ZN7rocprim17ROCPRIM_400000_NS6detail17trampoline_kernelINS0_14default_configENS1_35radix_sort_onesweep_config_selectorIffEEZNS1_34radix_sort_onesweep_global_offsetsIS3_Lb0EN6thrust23THRUST_200600_302600_NS6detail15normal_iteratorINS8_10device_ptrIfEEEESD_jNS0_19identity_decomposerEEE10hipError_tT1_T2_PT3_SI_jT4_jjP12ihipStream_tbEUlT_E0_NS1_11comp_targetILNS1_3genE0ELNS1_11target_archE4294967295ELNS1_3gpuE0ELNS1_3repE0EEENS1_52radix_sort_onesweep_histogram_config_static_selectorELNS0_4arch9wavefront6targetE1EEEvSG_.num_agpr, 0
	.set _ZN7rocprim17ROCPRIM_400000_NS6detail17trampoline_kernelINS0_14default_configENS1_35radix_sort_onesweep_config_selectorIffEEZNS1_34radix_sort_onesweep_global_offsetsIS3_Lb0EN6thrust23THRUST_200600_302600_NS6detail15normal_iteratorINS8_10device_ptrIfEEEESD_jNS0_19identity_decomposerEEE10hipError_tT1_T2_PT3_SI_jT4_jjP12ihipStream_tbEUlT_E0_NS1_11comp_targetILNS1_3genE0ELNS1_11target_archE4294967295ELNS1_3gpuE0ELNS1_3repE0EEENS1_52radix_sort_onesweep_histogram_config_static_selectorELNS0_4arch9wavefront6targetE1EEEvSG_.numbered_sgpr, 0
	.set _ZN7rocprim17ROCPRIM_400000_NS6detail17trampoline_kernelINS0_14default_configENS1_35radix_sort_onesweep_config_selectorIffEEZNS1_34radix_sort_onesweep_global_offsetsIS3_Lb0EN6thrust23THRUST_200600_302600_NS6detail15normal_iteratorINS8_10device_ptrIfEEEESD_jNS0_19identity_decomposerEEE10hipError_tT1_T2_PT3_SI_jT4_jjP12ihipStream_tbEUlT_E0_NS1_11comp_targetILNS1_3genE0ELNS1_11target_archE4294967295ELNS1_3gpuE0ELNS1_3repE0EEENS1_52radix_sort_onesweep_histogram_config_static_selectorELNS0_4arch9wavefront6targetE1EEEvSG_.num_named_barrier, 0
	.set _ZN7rocprim17ROCPRIM_400000_NS6detail17trampoline_kernelINS0_14default_configENS1_35radix_sort_onesweep_config_selectorIffEEZNS1_34radix_sort_onesweep_global_offsetsIS3_Lb0EN6thrust23THRUST_200600_302600_NS6detail15normal_iteratorINS8_10device_ptrIfEEEESD_jNS0_19identity_decomposerEEE10hipError_tT1_T2_PT3_SI_jT4_jjP12ihipStream_tbEUlT_E0_NS1_11comp_targetILNS1_3genE0ELNS1_11target_archE4294967295ELNS1_3gpuE0ELNS1_3repE0EEENS1_52radix_sort_onesweep_histogram_config_static_selectorELNS0_4arch9wavefront6targetE1EEEvSG_.private_seg_size, 0
	.set _ZN7rocprim17ROCPRIM_400000_NS6detail17trampoline_kernelINS0_14default_configENS1_35radix_sort_onesweep_config_selectorIffEEZNS1_34radix_sort_onesweep_global_offsetsIS3_Lb0EN6thrust23THRUST_200600_302600_NS6detail15normal_iteratorINS8_10device_ptrIfEEEESD_jNS0_19identity_decomposerEEE10hipError_tT1_T2_PT3_SI_jT4_jjP12ihipStream_tbEUlT_E0_NS1_11comp_targetILNS1_3genE0ELNS1_11target_archE4294967295ELNS1_3gpuE0ELNS1_3repE0EEENS1_52radix_sort_onesweep_histogram_config_static_selectorELNS0_4arch9wavefront6targetE1EEEvSG_.uses_vcc, 0
	.set _ZN7rocprim17ROCPRIM_400000_NS6detail17trampoline_kernelINS0_14default_configENS1_35radix_sort_onesweep_config_selectorIffEEZNS1_34radix_sort_onesweep_global_offsetsIS3_Lb0EN6thrust23THRUST_200600_302600_NS6detail15normal_iteratorINS8_10device_ptrIfEEEESD_jNS0_19identity_decomposerEEE10hipError_tT1_T2_PT3_SI_jT4_jjP12ihipStream_tbEUlT_E0_NS1_11comp_targetILNS1_3genE0ELNS1_11target_archE4294967295ELNS1_3gpuE0ELNS1_3repE0EEENS1_52radix_sort_onesweep_histogram_config_static_selectorELNS0_4arch9wavefront6targetE1EEEvSG_.uses_flat_scratch, 0
	.set _ZN7rocprim17ROCPRIM_400000_NS6detail17trampoline_kernelINS0_14default_configENS1_35radix_sort_onesweep_config_selectorIffEEZNS1_34radix_sort_onesweep_global_offsetsIS3_Lb0EN6thrust23THRUST_200600_302600_NS6detail15normal_iteratorINS8_10device_ptrIfEEEESD_jNS0_19identity_decomposerEEE10hipError_tT1_T2_PT3_SI_jT4_jjP12ihipStream_tbEUlT_E0_NS1_11comp_targetILNS1_3genE0ELNS1_11target_archE4294967295ELNS1_3gpuE0ELNS1_3repE0EEENS1_52radix_sort_onesweep_histogram_config_static_selectorELNS0_4arch9wavefront6targetE1EEEvSG_.has_dyn_sized_stack, 0
	.set _ZN7rocprim17ROCPRIM_400000_NS6detail17trampoline_kernelINS0_14default_configENS1_35radix_sort_onesweep_config_selectorIffEEZNS1_34radix_sort_onesweep_global_offsetsIS3_Lb0EN6thrust23THRUST_200600_302600_NS6detail15normal_iteratorINS8_10device_ptrIfEEEESD_jNS0_19identity_decomposerEEE10hipError_tT1_T2_PT3_SI_jT4_jjP12ihipStream_tbEUlT_E0_NS1_11comp_targetILNS1_3genE0ELNS1_11target_archE4294967295ELNS1_3gpuE0ELNS1_3repE0EEENS1_52radix_sort_onesweep_histogram_config_static_selectorELNS0_4arch9wavefront6targetE1EEEvSG_.has_recursion, 0
	.set _ZN7rocprim17ROCPRIM_400000_NS6detail17trampoline_kernelINS0_14default_configENS1_35radix_sort_onesweep_config_selectorIffEEZNS1_34radix_sort_onesweep_global_offsetsIS3_Lb0EN6thrust23THRUST_200600_302600_NS6detail15normal_iteratorINS8_10device_ptrIfEEEESD_jNS0_19identity_decomposerEEE10hipError_tT1_T2_PT3_SI_jT4_jjP12ihipStream_tbEUlT_E0_NS1_11comp_targetILNS1_3genE0ELNS1_11target_archE4294967295ELNS1_3gpuE0ELNS1_3repE0EEENS1_52radix_sort_onesweep_histogram_config_static_selectorELNS0_4arch9wavefront6targetE1EEEvSG_.has_indirect_call, 0
	.section	.AMDGPU.csdata,"",@progbits
; Kernel info:
; codeLenInByte = 0
; TotalNumSgprs: 6
; NumVgprs: 0
; NumAgprs: 0
; TotalNumVgprs: 0
; ScratchSize: 0
; MemoryBound: 0
; FloatMode: 240
; IeeeMode: 1
; LDSByteSize: 0 bytes/workgroup (compile time only)
; SGPRBlocks: 0
; VGPRBlocks: 0
; NumSGPRsForWavesPerEU: 6
; NumVGPRsForWavesPerEU: 1
; AccumOffset: 4
; Occupancy: 8
; WaveLimiterHint : 0
; COMPUTE_PGM_RSRC2:SCRATCH_EN: 0
; COMPUTE_PGM_RSRC2:USER_SGPR: 2
; COMPUTE_PGM_RSRC2:TRAP_HANDLER: 0
; COMPUTE_PGM_RSRC2:TGID_X_EN: 1
; COMPUTE_PGM_RSRC2:TGID_Y_EN: 0
; COMPUTE_PGM_RSRC2:TGID_Z_EN: 0
; COMPUTE_PGM_RSRC2:TIDIG_COMP_CNT: 0
; COMPUTE_PGM_RSRC3_GFX90A:ACCUM_OFFSET: 0
; COMPUTE_PGM_RSRC3_GFX90A:TG_SPLIT: 0
	.section	.text._ZN7rocprim17ROCPRIM_400000_NS6detail17trampoline_kernelINS0_14default_configENS1_35radix_sort_onesweep_config_selectorIffEEZNS1_34radix_sort_onesweep_global_offsetsIS3_Lb0EN6thrust23THRUST_200600_302600_NS6detail15normal_iteratorINS8_10device_ptrIfEEEESD_jNS0_19identity_decomposerEEE10hipError_tT1_T2_PT3_SI_jT4_jjP12ihipStream_tbEUlT_E0_NS1_11comp_targetILNS1_3genE6ELNS1_11target_archE950ELNS1_3gpuE13ELNS1_3repE0EEENS1_52radix_sort_onesweep_histogram_config_static_selectorELNS0_4arch9wavefront6targetE1EEEvSG_,"axG",@progbits,_ZN7rocprim17ROCPRIM_400000_NS6detail17trampoline_kernelINS0_14default_configENS1_35radix_sort_onesweep_config_selectorIffEEZNS1_34radix_sort_onesweep_global_offsetsIS3_Lb0EN6thrust23THRUST_200600_302600_NS6detail15normal_iteratorINS8_10device_ptrIfEEEESD_jNS0_19identity_decomposerEEE10hipError_tT1_T2_PT3_SI_jT4_jjP12ihipStream_tbEUlT_E0_NS1_11comp_targetILNS1_3genE6ELNS1_11target_archE950ELNS1_3gpuE13ELNS1_3repE0EEENS1_52radix_sort_onesweep_histogram_config_static_selectorELNS0_4arch9wavefront6targetE1EEEvSG_,comdat
	.protected	_ZN7rocprim17ROCPRIM_400000_NS6detail17trampoline_kernelINS0_14default_configENS1_35radix_sort_onesweep_config_selectorIffEEZNS1_34radix_sort_onesweep_global_offsetsIS3_Lb0EN6thrust23THRUST_200600_302600_NS6detail15normal_iteratorINS8_10device_ptrIfEEEESD_jNS0_19identity_decomposerEEE10hipError_tT1_T2_PT3_SI_jT4_jjP12ihipStream_tbEUlT_E0_NS1_11comp_targetILNS1_3genE6ELNS1_11target_archE950ELNS1_3gpuE13ELNS1_3repE0EEENS1_52radix_sort_onesweep_histogram_config_static_selectorELNS0_4arch9wavefront6targetE1EEEvSG_ ; -- Begin function _ZN7rocprim17ROCPRIM_400000_NS6detail17trampoline_kernelINS0_14default_configENS1_35radix_sort_onesweep_config_selectorIffEEZNS1_34radix_sort_onesweep_global_offsetsIS3_Lb0EN6thrust23THRUST_200600_302600_NS6detail15normal_iteratorINS8_10device_ptrIfEEEESD_jNS0_19identity_decomposerEEE10hipError_tT1_T2_PT3_SI_jT4_jjP12ihipStream_tbEUlT_E0_NS1_11comp_targetILNS1_3genE6ELNS1_11target_archE950ELNS1_3gpuE13ELNS1_3repE0EEENS1_52radix_sort_onesweep_histogram_config_static_selectorELNS0_4arch9wavefront6targetE1EEEvSG_
	.globl	_ZN7rocprim17ROCPRIM_400000_NS6detail17trampoline_kernelINS0_14default_configENS1_35radix_sort_onesweep_config_selectorIffEEZNS1_34radix_sort_onesweep_global_offsetsIS3_Lb0EN6thrust23THRUST_200600_302600_NS6detail15normal_iteratorINS8_10device_ptrIfEEEESD_jNS0_19identity_decomposerEEE10hipError_tT1_T2_PT3_SI_jT4_jjP12ihipStream_tbEUlT_E0_NS1_11comp_targetILNS1_3genE6ELNS1_11target_archE950ELNS1_3gpuE13ELNS1_3repE0EEENS1_52radix_sort_onesweep_histogram_config_static_selectorELNS0_4arch9wavefront6targetE1EEEvSG_
	.p2align	8
	.type	_ZN7rocprim17ROCPRIM_400000_NS6detail17trampoline_kernelINS0_14default_configENS1_35radix_sort_onesweep_config_selectorIffEEZNS1_34radix_sort_onesweep_global_offsetsIS3_Lb0EN6thrust23THRUST_200600_302600_NS6detail15normal_iteratorINS8_10device_ptrIfEEEESD_jNS0_19identity_decomposerEEE10hipError_tT1_T2_PT3_SI_jT4_jjP12ihipStream_tbEUlT_E0_NS1_11comp_targetILNS1_3genE6ELNS1_11target_archE950ELNS1_3gpuE13ELNS1_3repE0EEENS1_52radix_sort_onesweep_histogram_config_static_selectorELNS0_4arch9wavefront6targetE1EEEvSG_,@function
_ZN7rocprim17ROCPRIM_400000_NS6detail17trampoline_kernelINS0_14default_configENS1_35radix_sort_onesweep_config_selectorIffEEZNS1_34radix_sort_onesweep_global_offsetsIS3_Lb0EN6thrust23THRUST_200600_302600_NS6detail15normal_iteratorINS8_10device_ptrIfEEEESD_jNS0_19identity_decomposerEEE10hipError_tT1_T2_PT3_SI_jT4_jjP12ihipStream_tbEUlT_E0_NS1_11comp_targetILNS1_3genE6ELNS1_11target_archE950ELNS1_3gpuE13ELNS1_3repE0EEENS1_52radix_sort_onesweep_histogram_config_static_selectorELNS0_4arch9wavefront6targetE1EEEvSG_: ; @_ZN7rocprim17ROCPRIM_400000_NS6detail17trampoline_kernelINS0_14default_configENS1_35radix_sort_onesweep_config_selectorIffEEZNS1_34radix_sort_onesweep_global_offsetsIS3_Lb0EN6thrust23THRUST_200600_302600_NS6detail15normal_iteratorINS8_10device_ptrIfEEEESD_jNS0_19identity_decomposerEEE10hipError_tT1_T2_PT3_SI_jT4_jjP12ihipStream_tbEUlT_E0_NS1_11comp_targetILNS1_3genE6ELNS1_11target_archE950ELNS1_3gpuE13ELNS1_3repE0EEENS1_52radix_sort_onesweep_histogram_config_static_selectorELNS0_4arch9wavefront6targetE1EEEvSG_
; %bb.0:
	s_load_dwordx2 s[0:1], s[0:1], 0x0
	s_lshl_b32 s2, s2, 8
	s_mov_b32 s3, 0
	s_lshl_b64 s[2:3], s[2:3], 2
	v_lshlrev_b32_e32 v1, 2, v0
	s_waitcnt lgkmcnt(0)
	s_add_u32 s10, s0, s2
	s_movk_i32 s0, 0x100
	s_addc_u32 s11, s1, s3
	v_cmp_gt_u32_e32 vcc, s0, v0
                                        ; implicit-def: $vgpr3
	s_and_saveexec_b64 s[0:1], vcc
	s_cbranch_execz .LBB288_2
; %bb.1:
	global_load_dword v3, v1, s[10:11]
.LBB288_2:
	s_or_b64 exec, exec, s[0:1]
	v_mbcnt_lo_u32_b32 v2, -1, 0
	v_mbcnt_hi_u32_b32 v2, -1, v2
	v_and_b32_e32 v4, 15, v2
	s_waitcnt vmcnt(0)
	v_mov_b32_dpp v5, v3 row_shr:1 row_mask:0xf bank_mask:0xf
	v_cmp_eq_u32_e64 s[0:1], 0, v4
	v_cmp_lt_u32_e64 s[2:3], 1, v4
	v_cmp_lt_u32_e64 s[4:5], 3, v4
	v_cndmask_b32_e64 v5, v5, 0, s[0:1]
	v_add_u32_e32 v3, v5, v3
	v_cmp_lt_u32_e64 s[6:7], 7, v4
	v_cmp_lt_u32_e64 s[8:9], 31, v2
	v_mov_b32_dpp v5, v3 row_shr:2 row_mask:0xf bank_mask:0xf
	v_cndmask_b32_e64 v5, 0, v5, s[2:3]
	v_add_u32_e32 v3, v3, v5
	s_nop 1
	v_mov_b32_dpp v5, v3 row_shr:4 row_mask:0xf bank_mask:0xf
	v_cndmask_b32_e64 v5, 0, v5, s[4:5]
	v_add_u32_e32 v3, v3, v5
	s_nop 1
	v_mov_b32_dpp v5, v3 row_shr:8 row_mask:0xf bank_mask:0xf
	v_cndmask_b32_e64 v4, 0, v5, s[6:7]
	v_add_u32_e32 v3, v3, v4
	v_bfe_i32 v5, v2, 4, 1
	s_nop 0
	v_mov_b32_dpp v4, v3 row_bcast:15 row_mask:0xf bank_mask:0xf
	v_and_b32_e32 v4, v5, v4
	v_add_u32_e32 v3, v3, v4
	v_and_b32_e32 v5, 63, v0
	s_nop 0
	v_mov_b32_dpp v4, v3 row_bcast:31 row_mask:0xf bank_mask:0xf
	v_cndmask_b32_e64 v4, 0, v4, s[8:9]
	v_add_u32_e32 v3, v3, v4
	v_lshrrev_b32_e32 v4, 6, v0
	v_cmp_eq_u32_e64 s[8:9], 63, v5
	s_and_saveexec_b64 s[12:13], s[8:9]
; %bb.3:
	v_lshlrev_b32_e32 v5, 2, v4
	ds_write_b32 v5, v3
; %bb.4:
	s_or_b64 exec, exec, s[12:13]
	v_cmp_gt_u32_e64 s[8:9], 16, v0
	s_waitcnt lgkmcnt(0)
	s_barrier
	s_and_saveexec_b64 s[12:13], s[8:9]
	s_cbranch_execz .LBB288_6
; %bb.5:
	ds_read_b32 v5, v1
	s_waitcnt lgkmcnt(0)
	s_nop 0
	v_mov_b32_dpp v6, v5 row_shr:1 row_mask:0xf bank_mask:0xf
	v_cndmask_b32_e64 v6, v6, 0, s[0:1]
	v_add_u32_e32 v5, v6, v5
	s_nop 1
	v_mov_b32_dpp v6, v5 row_shr:2 row_mask:0xf bank_mask:0xf
	v_cndmask_b32_e64 v6, 0, v6, s[2:3]
	v_add_u32_e32 v5, v5, v6
	;; [unrolled: 4-line block ×4, first 2 shown]
	ds_write_b32 v1, v5
.LBB288_6:
	s_or_b64 exec, exec, s[12:13]
	v_cmp_lt_u32_e64 s[0:1], 63, v0
	v_mov_b32_e32 v0, 0
	s_waitcnt lgkmcnt(0)
	s_barrier
	s_and_saveexec_b64 s[2:3], s[0:1]
; %bb.7:
	v_lshl_add_u32 v0, v4, 2, -4
	ds_read_b32 v0, v0
; %bb.8:
	s_or_b64 exec, exec, s[2:3]
	v_add_u32_e32 v4, -1, v2
	v_and_b32_e32 v5, 64, v2
	v_cmp_lt_i32_e64 s[0:1], v4, v5
	s_waitcnt lgkmcnt(0)
	v_add_u32_e32 v3, v0, v3
	v_cndmask_b32_e64 v4, v4, v2, s[0:1]
	v_lshlrev_b32_e32 v4, 2, v4
	ds_bpermute_b32 v3, v4, v3
	s_and_saveexec_b64 s[0:1], vcc
	s_cbranch_execz .LBB288_10
; %bb.9:
	v_cmp_eq_u32_e32 vcc, 0, v2
	s_waitcnt lgkmcnt(0)
	s_nop 0
	v_cndmask_b32_e32 v0, v3, v0, vcc
	global_store_dword v1, v0, s[10:11]
.LBB288_10:
	s_endpgm
	.section	.rodata,"a",@progbits
	.p2align	6, 0x0
	.amdhsa_kernel _ZN7rocprim17ROCPRIM_400000_NS6detail17trampoline_kernelINS0_14default_configENS1_35radix_sort_onesweep_config_selectorIffEEZNS1_34radix_sort_onesweep_global_offsetsIS3_Lb0EN6thrust23THRUST_200600_302600_NS6detail15normal_iteratorINS8_10device_ptrIfEEEESD_jNS0_19identity_decomposerEEE10hipError_tT1_T2_PT3_SI_jT4_jjP12ihipStream_tbEUlT_E0_NS1_11comp_targetILNS1_3genE6ELNS1_11target_archE950ELNS1_3gpuE13ELNS1_3repE0EEENS1_52radix_sort_onesweep_histogram_config_static_selectorELNS0_4arch9wavefront6targetE1EEEvSG_
		.amdhsa_group_segment_fixed_size 64
		.amdhsa_private_segment_fixed_size 0
		.amdhsa_kernarg_size 8
		.amdhsa_user_sgpr_count 2
		.amdhsa_user_sgpr_dispatch_ptr 0
		.amdhsa_user_sgpr_queue_ptr 0
		.amdhsa_user_sgpr_kernarg_segment_ptr 1
		.amdhsa_user_sgpr_dispatch_id 0
		.amdhsa_user_sgpr_kernarg_preload_length 0
		.amdhsa_user_sgpr_kernarg_preload_offset 0
		.amdhsa_user_sgpr_private_segment_size 0
		.amdhsa_uses_dynamic_stack 0
		.amdhsa_enable_private_segment 0
		.amdhsa_system_sgpr_workgroup_id_x 1
		.amdhsa_system_sgpr_workgroup_id_y 0
		.amdhsa_system_sgpr_workgroup_id_z 0
		.amdhsa_system_sgpr_workgroup_info 0
		.amdhsa_system_vgpr_workitem_id 0
		.amdhsa_next_free_vgpr 7
		.amdhsa_next_free_sgpr 14
		.amdhsa_accum_offset 8
		.amdhsa_reserve_vcc 1
		.amdhsa_float_round_mode_32 0
		.amdhsa_float_round_mode_16_64 0
		.amdhsa_float_denorm_mode_32 3
		.amdhsa_float_denorm_mode_16_64 3
		.amdhsa_dx10_clamp 1
		.amdhsa_ieee_mode 1
		.amdhsa_fp16_overflow 0
		.amdhsa_tg_split 0
		.amdhsa_exception_fp_ieee_invalid_op 0
		.amdhsa_exception_fp_denorm_src 0
		.amdhsa_exception_fp_ieee_div_zero 0
		.amdhsa_exception_fp_ieee_overflow 0
		.amdhsa_exception_fp_ieee_underflow 0
		.amdhsa_exception_fp_ieee_inexact 0
		.amdhsa_exception_int_div_zero 0
	.end_amdhsa_kernel
	.section	.text._ZN7rocprim17ROCPRIM_400000_NS6detail17trampoline_kernelINS0_14default_configENS1_35radix_sort_onesweep_config_selectorIffEEZNS1_34radix_sort_onesweep_global_offsetsIS3_Lb0EN6thrust23THRUST_200600_302600_NS6detail15normal_iteratorINS8_10device_ptrIfEEEESD_jNS0_19identity_decomposerEEE10hipError_tT1_T2_PT3_SI_jT4_jjP12ihipStream_tbEUlT_E0_NS1_11comp_targetILNS1_3genE6ELNS1_11target_archE950ELNS1_3gpuE13ELNS1_3repE0EEENS1_52radix_sort_onesweep_histogram_config_static_selectorELNS0_4arch9wavefront6targetE1EEEvSG_,"axG",@progbits,_ZN7rocprim17ROCPRIM_400000_NS6detail17trampoline_kernelINS0_14default_configENS1_35radix_sort_onesweep_config_selectorIffEEZNS1_34radix_sort_onesweep_global_offsetsIS3_Lb0EN6thrust23THRUST_200600_302600_NS6detail15normal_iteratorINS8_10device_ptrIfEEEESD_jNS0_19identity_decomposerEEE10hipError_tT1_T2_PT3_SI_jT4_jjP12ihipStream_tbEUlT_E0_NS1_11comp_targetILNS1_3genE6ELNS1_11target_archE950ELNS1_3gpuE13ELNS1_3repE0EEENS1_52radix_sort_onesweep_histogram_config_static_selectorELNS0_4arch9wavefront6targetE1EEEvSG_,comdat
.Lfunc_end288:
	.size	_ZN7rocprim17ROCPRIM_400000_NS6detail17trampoline_kernelINS0_14default_configENS1_35radix_sort_onesweep_config_selectorIffEEZNS1_34radix_sort_onesweep_global_offsetsIS3_Lb0EN6thrust23THRUST_200600_302600_NS6detail15normal_iteratorINS8_10device_ptrIfEEEESD_jNS0_19identity_decomposerEEE10hipError_tT1_T2_PT3_SI_jT4_jjP12ihipStream_tbEUlT_E0_NS1_11comp_targetILNS1_3genE6ELNS1_11target_archE950ELNS1_3gpuE13ELNS1_3repE0EEENS1_52radix_sort_onesweep_histogram_config_static_selectorELNS0_4arch9wavefront6targetE1EEEvSG_, .Lfunc_end288-_ZN7rocprim17ROCPRIM_400000_NS6detail17trampoline_kernelINS0_14default_configENS1_35radix_sort_onesweep_config_selectorIffEEZNS1_34radix_sort_onesweep_global_offsetsIS3_Lb0EN6thrust23THRUST_200600_302600_NS6detail15normal_iteratorINS8_10device_ptrIfEEEESD_jNS0_19identity_decomposerEEE10hipError_tT1_T2_PT3_SI_jT4_jjP12ihipStream_tbEUlT_E0_NS1_11comp_targetILNS1_3genE6ELNS1_11target_archE950ELNS1_3gpuE13ELNS1_3repE0EEENS1_52radix_sort_onesweep_histogram_config_static_selectorELNS0_4arch9wavefront6targetE1EEEvSG_
                                        ; -- End function
	.set _ZN7rocprim17ROCPRIM_400000_NS6detail17trampoline_kernelINS0_14default_configENS1_35radix_sort_onesweep_config_selectorIffEEZNS1_34radix_sort_onesweep_global_offsetsIS3_Lb0EN6thrust23THRUST_200600_302600_NS6detail15normal_iteratorINS8_10device_ptrIfEEEESD_jNS0_19identity_decomposerEEE10hipError_tT1_T2_PT3_SI_jT4_jjP12ihipStream_tbEUlT_E0_NS1_11comp_targetILNS1_3genE6ELNS1_11target_archE950ELNS1_3gpuE13ELNS1_3repE0EEENS1_52radix_sort_onesweep_histogram_config_static_selectorELNS0_4arch9wavefront6targetE1EEEvSG_.num_vgpr, 7
	.set _ZN7rocprim17ROCPRIM_400000_NS6detail17trampoline_kernelINS0_14default_configENS1_35radix_sort_onesweep_config_selectorIffEEZNS1_34radix_sort_onesweep_global_offsetsIS3_Lb0EN6thrust23THRUST_200600_302600_NS6detail15normal_iteratorINS8_10device_ptrIfEEEESD_jNS0_19identity_decomposerEEE10hipError_tT1_T2_PT3_SI_jT4_jjP12ihipStream_tbEUlT_E0_NS1_11comp_targetILNS1_3genE6ELNS1_11target_archE950ELNS1_3gpuE13ELNS1_3repE0EEENS1_52radix_sort_onesweep_histogram_config_static_selectorELNS0_4arch9wavefront6targetE1EEEvSG_.num_agpr, 0
	.set _ZN7rocprim17ROCPRIM_400000_NS6detail17trampoline_kernelINS0_14default_configENS1_35radix_sort_onesweep_config_selectorIffEEZNS1_34radix_sort_onesweep_global_offsetsIS3_Lb0EN6thrust23THRUST_200600_302600_NS6detail15normal_iteratorINS8_10device_ptrIfEEEESD_jNS0_19identity_decomposerEEE10hipError_tT1_T2_PT3_SI_jT4_jjP12ihipStream_tbEUlT_E0_NS1_11comp_targetILNS1_3genE6ELNS1_11target_archE950ELNS1_3gpuE13ELNS1_3repE0EEENS1_52radix_sort_onesweep_histogram_config_static_selectorELNS0_4arch9wavefront6targetE1EEEvSG_.numbered_sgpr, 14
	.set _ZN7rocprim17ROCPRIM_400000_NS6detail17trampoline_kernelINS0_14default_configENS1_35radix_sort_onesweep_config_selectorIffEEZNS1_34radix_sort_onesweep_global_offsetsIS3_Lb0EN6thrust23THRUST_200600_302600_NS6detail15normal_iteratorINS8_10device_ptrIfEEEESD_jNS0_19identity_decomposerEEE10hipError_tT1_T2_PT3_SI_jT4_jjP12ihipStream_tbEUlT_E0_NS1_11comp_targetILNS1_3genE6ELNS1_11target_archE950ELNS1_3gpuE13ELNS1_3repE0EEENS1_52radix_sort_onesweep_histogram_config_static_selectorELNS0_4arch9wavefront6targetE1EEEvSG_.num_named_barrier, 0
	.set _ZN7rocprim17ROCPRIM_400000_NS6detail17trampoline_kernelINS0_14default_configENS1_35radix_sort_onesweep_config_selectorIffEEZNS1_34radix_sort_onesweep_global_offsetsIS3_Lb0EN6thrust23THRUST_200600_302600_NS6detail15normal_iteratorINS8_10device_ptrIfEEEESD_jNS0_19identity_decomposerEEE10hipError_tT1_T2_PT3_SI_jT4_jjP12ihipStream_tbEUlT_E0_NS1_11comp_targetILNS1_3genE6ELNS1_11target_archE950ELNS1_3gpuE13ELNS1_3repE0EEENS1_52radix_sort_onesweep_histogram_config_static_selectorELNS0_4arch9wavefront6targetE1EEEvSG_.private_seg_size, 0
	.set _ZN7rocprim17ROCPRIM_400000_NS6detail17trampoline_kernelINS0_14default_configENS1_35radix_sort_onesweep_config_selectorIffEEZNS1_34radix_sort_onesweep_global_offsetsIS3_Lb0EN6thrust23THRUST_200600_302600_NS6detail15normal_iteratorINS8_10device_ptrIfEEEESD_jNS0_19identity_decomposerEEE10hipError_tT1_T2_PT3_SI_jT4_jjP12ihipStream_tbEUlT_E0_NS1_11comp_targetILNS1_3genE6ELNS1_11target_archE950ELNS1_3gpuE13ELNS1_3repE0EEENS1_52radix_sort_onesweep_histogram_config_static_selectorELNS0_4arch9wavefront6targetE1EEEvSG_.uses_vcc, 1
	.set _ZN7rocprim17ROCPRIM_400000_NS6detail17trampoline_kernelINS0_14default_configENS1_35radix_sort_onesweep_config_selectorIffEEZNS1_34radix_sort_onesweep_global_offsetsIS3_Lb0EN6thrust23THRUST_200600_302600_NS6detail15normal_iteratorINS8_10device_ptrIfEEEESD_jNS0_19identity_decomposerEEE10hipError_tT1_T2_PT3_SI_jT4_jjP12ihipStream_tbEUlT_E0_NS1_11comp_targetILNS1_3genE6ELNS1_11target_archE950ELNS1_3gpuE13ELNS1_3repE0EEENS1_52radix_sort_onesweep_histogram_config_static_selectorELNS0_4arch9wavefront6targetE1EEEvSG_.uses_flat_scratch, 0
	.set _ZN7rocprim17ROCPRIM_400000_NS6detail17trampoline_kernelINS0_14default_configENS1_35radix_sort_onesweep_config_selectorIffEEZNS1_34radix_sort_onesweep_global_offsetsIS3_Lb0EN6thrust23THRUST_200600_302600_NS6detail15normal_iteratorINS8_10device_ptrIfEEEESD_jNS0_19identity_decomposerEEE10hipError_tT1_T2_PT3_SI_jT4_jjP12ihipStream_tbEUlT_E0_NS1_11comp_targetILNS1_3genE6ELNS1_11target_archE950ELNS1_3gpuE13ELNS1_3repE0EEENS1_52radix_sort_onesweep_histogram_config_static_selectorELNS0_4arch9wavefront6targetE1EEEvSG_.has_dyn_sized_stack, 0
	.set _ZN7rocprim17ROCPRIM_400000_NS6detail17trampoline_kernelINS0_14default_configENS1_35radix_sort_onesweep_config_selectorIffEEZNS1_34radix_sort_onesweep_global_offsetsIS3_Lb0EN6thrust23THRUST_200600_302600_NS6detail15normal_iteratorINS8_10device_ptrIfEEEESD_jNS0_19identity_decomposerEEE10hipError_tT1_T2_PT3_SI_jT4_jjP12ihipStream_tbEUlT_E0_NS1_11comp_targetILNS1_3genE6ELNS1_11target_archE950ELNS1_3gpuE13ELNS1_3repE0EEENS1_52radix_sort_onesweep_histogram_config_static_selectorELNS0_4arch9wavefront6targetE1EEEvSG_.has_recursion, 0
	.set _ZN7rocprim17ROCPRIM_400000_NS6detail17trampoline_kernelINS0_14default_configENS1_35radix_sort_onesweep_config_selectorIffEEZNS1_34radix_sort_onesweep_global_offsetsIS3_Lb0EN6thrust23THRUST_200600_302600_NS6detail15normal_iteratorINS8_10device_ptrIfEEEESD_jNS0_19identity_decomposerEEE10hipError_tT1_T2_PT3_SI_jT4_jjP12ihipStream_tbEUlT_E0_NS1_11comp_targetILNS1_3genE6ELNS1_11target_archE950ELNS1_3gpuE13ELNS1_3repE0EEENS1_52radix_sort_onesweep_histogram_config_static_selectorELNS0_4arch9wavefront6targetE1EEEvSG_.has_indirect_call, 0
	.section	.AMDGPU.csdata,"",@progbits
; Kernel info:
; codeLenInByte = 572
; TotalNumSgprs: 20
; NumVgprs: 7
; NumAgprs: 0
; TotalNumVgprs: 7
; ScratchSize: 0
; MemoryBound: 0
; FloatMode: 240
; IeeeMode: 1
; LDSByteSize: 64 bytes/workgroup (compile time only)
; SGPRBlocks: 2
; VGPRBlocks: 0
; NumSGPRsForWavesPerEU: 20
; NumVGPRsForWavesPerEU: 7
; AccumOffset: 8
; Occupancy: 8
; WaveLimiterHint : 0
; COMPUTE_PGM_RSRC2:SCRATCH_EN: 0
; COMPUTE_PGM_RSRC2:USER_SGPR: 2
; COMPUTE_PGM_RSRC2:TRAP_HANDLER: 0
; COMPUTE_PGM_RSRC2:TGID_X_EN: 1
; COMPUTE_PGM_RSRC2:TGID_Y_EN: 0
; COMPUTE_PGM_RSRC2:TGID_Z_EN: 0
; COMPUTE_PGM_RSRC2:TIDIG_COMP_CNT: 0
; COMPUTE_PGM_RSRC3_GFX90A:ACCUM_OFFSET: 1
; COMPUTE_PGM_RSRC3_GFX90A:TG_SPLIT: 0
	.section	.text._ZN7rocprim17ROCPRIM_400000_NS6detail17trampoline_kernelINS0_14default_configENS1_35radix_sort_onesweep_config_selectorIffEEZNS1_34radix_sort_onesweep_global_offsetsIS3_Lb0EN6thrust23THRUST_200600_302600_NS6detail15normal_iteratorINS8_10device_ptrIfEEEESD_jNS0_19identity_decomposerEEE10hipError_tT1_T2_PT3_SI_jT4_jjP12ihipStream_tbEUlT_E0_NS1_11comp_targetILNS1_3genE5ELNS1_11target_archE942ELNS1_3gpuE9ELNS1_3repE0EEENS1_52radix_sort_onesweep_histogram_config_static_selectorELNS0_4arch9wavefront6targetE1EEEvSG_,"axG",@progbits,_ZN7rocprim17ROCPRIM_400000_NS6detail17trampoline_kernelINS0_14default_configENS1_35radix_sort_onesweep_config_selectorIffEEZNS1_34radix_sort_onesweep_global_offsetsIS3_Lb0EN6thrust23THRUST_200600_302600_NS6detail15normal_iteratorINS8_10device_ptrIfEEEESD_jNS0_19identity_decomposerEEE10hipError_tT1_T2_PT3_SI_jT4_jjP12ihipStream_tbEUlT_E0_NS1_11comp_targetILNS1_3genE5ELNS1_11target_archE942ELNS1_3gpuE9ELNS1_3repE0EEENS1_52radix_sort_onesweep_histogram_config_static_selectorELNS0_4arch9wavefront6targetE1EEEvSG_,comdat
	.protected	_ZN7rocprim17ROCPRIM_400000_NS6detail17trampoline_kernelINS0_14default_configENS1_35radix_sort_onesweep_config_selectorIffEEZNS1_34radix_sort_onesweep_global_offsetsIS3_Lb0EN6thrust23THRUST_200600_302600_NS6detail15normal_iteratorINS8_10device_ptrIfEEEESD_jNS0_19identity_decomposerEEE10hipError_tT1_T2_PT3_SI_jT4_jjP12ihipStream_tbEUlT_E0_NS1_11comp_targetILNS1_3genE5ELNS1_11target_archE942ELNS1_3gpuE9ELNS1_3repE0EEENS1_52radix_sort_onesweep_histogram_config_static_selectorELNS0_4arch9wavefront6targetE1EEEvSG_ ; -- Begin function _ZN7rocprim17ROCPRIM_400000_NS6detail17trampoline_kernelINS0_14default_configENS1_35radix_sort_onesweep_config_selectorIffEEZNS1_34radix_sort_onesweep_global_offsetsIS3_Lb0EN6thrust23THRUST_200600_302600_NS6detail15normal_iteratorINS8_10device_ptrIfEEEESD_jNS0_19identity_decomposerEEE10hipError_tT1_T2_PT3_SI_jT4_jjP12ihipStream_tbEUlT_E0_NS1_11comp_targetILNS1_3genE5ELNS1_11target_archE942ELNS1_3gpuE9ELNS1_3repE0EEENS1_52radix_sort_onesweep_histogram_config_static_selectorELNS0_4arch9wavefront6targetE1EEEvSG_
	.globl	_ZN7rocprim17ROCPRIM_400000_NS6detail17trampoline_kernelINS0_14default_configENS1_35radix_sort_onesweep_config_selectorIffEEZNS1_34radix_sort_onesweep_global_offsetsIS3_Lb0EN6thrust23THRUST_200600_302600_NS6detail15normal_iteratorINS8_10device_ptrIfEEEESD_jNS0_19identity_decomposerEEE10hipError_tT1_T2_PT3_SI_jT4_jjP12ihipStream_tbEUlT_E0_NS1_11comp_targetILNS1_3genE5ELNS1_11target_archE942ELNS1_3gpuE9ELNS1_3repE0EEENS1_52radix_sort_onesweep_histogram_config_static_selectorELNS0_4arch9wavefront6targetE1EEEvSG_
	.p2align	8
	.type	_ZN7rocprim17ROCPRIM_400000_NS6detail17trampoline_kernelINS0_14default_configENS1_35radix_sort_onesweep_config_selectorIffEEZNS1_34radix_sort_onesweep_global_offsetsIS3_Lb0EN6thrust23THRUST_200600_302600_NS6detail15normal_iteratorINS8_10device_ptrIfEEEESD_jNS0_19identity_decomposerEEE10hipError_tT1_T2_PT3_SI_jT4_jjP12ihipStream_tbEUlT_E0_NS1_11comp_targetILNS1_3genE5ELNS1_11target_archE942ELNS1_3gpuE9ELNS1_3repE0EEENS1_52radix_sort_onesweep_histogram_config_static_selectorELNS0_4arch9wavefront6targetE1EEEvSG_,@function
_ZN7rocprim17ROCPRIM_400000_NS6detail17trampoline_kernelINS0_14default_configENS1_35radix_sort_onesweep_config_selectorIffEEZNS1_34radix_sort_onesweep_global_offsetsIS3_Lb0EN6thrust23THRUST_200600_302600_NS6detail15normal_iteratorINS8_10device_ptrIfEEEESD_jNS0_19identity_decomposerEEE10hipError_tT1_T2_PT3_SI_jT4_jjP12ihipStream_tbEUlT_E0_NS1_11comp_targetILNS1_3genE5ELNS1_11target_archE942ELNS1_3gpuE9ELNS1_3repE0EEENS1_52radix_sort_onesweep_histogram_config_static_selectorELNS0_4arch9wavefront6targetE1EEEvSG_: ; @_ZN7rocprim17ROCPRIM_400000_NS6detail17trampoline_kernelINS0_14default_configENS1_35radix_sort_onesweep_config_selectorIffEEZNS1_34radix_sort_onesweep_global_offsetsIS3_Lb0EN6thrust23THRUST_200600_302600_NS6detail15normal_iteratorINS8_10device_ptrIfEEEESD_jNS0_19identity_decomposerEEE10hipError_tT1_T2_PT3_SI_jT4_jjP12ihipStream_tbEUlT_E0_NS1_11comp_targetILNS1_3genE5ELNS1_11target_archE942ELNS1_3gpuE9ELNS1_3repE0EEENS1_52radix_sort_onesweep_histogram_config_static_selectorELNS0_4arch9wavefront6targetE1EEEvSG_
; %bb.0:
	.section	.rodata,"a",@progbits
	.p2align	6, 0x0
	.amdhsa_kernel _ZN7rocprim17ROCPRIM_400000_NS6detail17trampoline_kernelINS0_14default_configENS1_35radix_sort_onesweep_config_selectorIffEEZNS1_34radix_sort_onesweep_global_offsetsIS3_Lb0EN6thrust23THRUST_200600_302600_NS6detail15normal_iteratorINS8_10device_ptrIfEEEESD_jNS0_19identity_decomposerEEE10hipError_tT1_T2_PT3_SI_jT4_jjP12ihipStream_tbEUlT_E0_NS1_11comp_targetILNS1_3genE5ELNS1_11target_archE942ELNS1_3gpuE9ELNS1_3repE0EEENS1_52radix_sort_onesweep_histogram_config_static_selectorELNS0_4arch9wavefront6targetE1EEEvSG_
		.amdhsa_group_segment_fixed_size 0
		.amdhsa_private_segment_fixed_size 0
		.amdhsa_kernarg_size 8
		.amdhsa_user_sgpr_count 2
		.amdhsa_user_sgpr_dispatch_ptr 0
		.amdhsa_user_sgpr_queue_ptr 0
		.amdhsa_user_sgpr_kernarg_segment_ptr 1
		.amdhsa_user_sgpr_dispatch_id 0
		.amdhsa_user_sgpr_kernarg_preload_length 0
		.amdhsa_user_sgpr_kernarg_preload_offset 0
		.amdhsa_user_sgpr_private_segment_size 0
		.amdhsa_uses_dynamic_stack 0
		.amdhsa_enable_private_segment 0
		.amdhsa_system_sgpr_workgroup_id_x 1
		.amdhsa_system_sgpr_workgroup_id_y 0
		.amdhsa_system_sgpr_workgroup_id_z 0
		.amdhsa_system_sgpr_workgroup_info 0
		.amdhsa_system_vgpr_workitem_id 0
		.amdhsa_next_free_vgpr 1
		.amdhsa_next_free_sgpr 0
		.amdhsa_accum_offset 4
		.amdhsa_reserve_vcc 0
		.amdhsa_float_round_mode_32 0
		.amdhsa_float_round_mode_16_64 0
		.amdhsa_float_denorm_mode_32 3
		.amdhsa_float_denorm_mode_16_64 3
		.amdhsa_dx10_clamp 1
		.amdhsa_ieee_mode 1
		.amdhsa_fp16_overflow 0
		.amdhsa_tg_split 0
		.amdhsa_exception_fp_ieee_invalid_op 0
		.amdhsa_exception_fp_denorm_src 0
		.amdhsa_exception_fp_ieee_div_zero 0
		.amdhsa_exception_fp_ieee_overflow 0
		.amdhsa_exception_fp_ieee_underflow 0
		.amdhsa_exception_fp_ieee_inexact 0
		.amdhsa_exception_int_div_zero 0
	.end_amdhsa_kernel
	.section	.text._ZN7rocprim17ROCPRIM_400000_NS6detail17trampoline_kernelINS0_14default_configENS1_35radix_sort_onesweep_config_selectorIffEEZNS1_34radix_sort_onesweep_global_offsetsIS3_Lb0EN6thrust23THRUST_200600_302600_NS6detail15normal_iteratorINS8_10device_ptrIfEEEESD_jNS0_19identity_decomposerEEE10hipError_tT1_T2_PT3_SI_jT4_jjP12ihipStream_tbEUlT_E0_NS1_11comp_targetILNS1_3genE5ELNS1_11target_archE942ELNS1_3gpuE9ELNS1_3repE0EEENS1_52radix_sort_onesweep_histogram_config_static_selectorELNS0_4arch9wavefront6targetE1EEEvSG_,"axG",@progbits,_ZN7rocprim17ROCPRIM_400000_NS6detail17trampoline_kernelINS0_14default_configENS1_35radix_sort_onesweep_config_selectorIffEEZNS1_34radix_sort_onesweep_global_offsetsIS3_Lb0EN6thrust23THRUST_200600_302600_NS6detail15normal_iteratorINS8_10device_ptrIfEEEESD_jNS0_19identity_decomposerEEE10hipError_tT1_T2_PT3_SI_jT4_jjP12ihipStream_tbEUlT_E0_NS1_11comp_targetILNS1_3genE5ELNS1_11target_archE942ELNS1_3gpuE9ELNS1_3repE0EEENS1_52radix_sort_onesweep_histogram_config_static_selectorELNS0_4arch9wavefront6targetE1EEEvSG_,comdat
.Lfunc_end289:
	.size	_ZN7rocprim17ROCPRIM_400000_NS6detail17trampoline_kernelINS0_14default_configENS1_35radix_sort_onesweep_config_selectorIffEEZNS1_34radix_sort_onesweep_global_offsetsIS3_Lb0EN6thrust23THRUST_200600_302600_NS6detail15normal_iteratorINS8_10device_ptrIfEEEESD_jNS0_19identity_decomposerEEE10hipError_tT1_T2_PT3_SI_jT4_jjP12ihipStream_tbEUlT_E0_NS1_11comp_targetILNS1_3genE5ELNS1_11target_archE942ELNS1_3gpuE9ELNS1_3repE0EEENS1_52radix_sort_onesweep_histogram_config_static_selectorELNS0_4arch9wavefront6targetE1EEEvSG_, .Lfunc_end289-_ZN7rocprim17ROCPRIM_400000_NS6detail17trampoline_kernelINS0_14default_configENS1_35radix_sort_onesweep_config_selectorIffEEZNS1_34radix_sort_onesweep_global_offsetsIS3_Lb0EN6thrust23THRUST_200600_302600_NS6detail15normal_iteratorINS8_10device_ptrIfEEEESD_jNS0_19identity_decomposerEEE10hipError_tT1_T2_PT3_SI_jT4_jjP12ihipStream_tbEUlT_E0_NS1_11comp_targetILNS1_3genE5ELNS1_11target_archE942ELNS1_3gpuE9ELNS1_3repE0EEENS1_52radix_sort_onesweep_histogram_config_static_selectorELNS0_4arch9wavefront6targetE1EEEvSG_
                                        ; -- End function
	.set _ZN7rocprim17ROCPRIM_400000_NS6detail17trampoline_kernelINS0_14default_configENS1_35radix_sort_onesweep_config_selectorIffEEZNS1_34radix_sort_onesweep_global_offsetsIS3_Lb0EN6thrust23THRUST_200600_302600_NS6detail15normal_iteratorINS8_10device_ptrIfEEEESD_jNS0_19identity_decomposerEEE10hipError_tT1_T2_PT3_SI_jT4_jjP12ihipStream_tbEUlT_E0_NS1_11comp_targetILNS1_3genE5ELNS1_11target_archE942ELNS1_3gpuE9ELNS1_3repE0EEENS1_52radix_sort_onesweep_histogram_config_static_selectorELNS0_4arch9wavefront6targetE1EEEvSG_.num_vgpr, 0
	.set _ZN7rocprim17ROCPRIM_400000_NS6detail17trampoline_kernelINS0_14default_configENS1_35radix_sort_onesweep_config_selectorIffEEZNS1_34radix_sort_onesweep_global_offsetsIS3_Lb0EN6thrust23THRUST_200600_302600_NS6detail15normal_iteratorINS8_10device_ptrIfEEEESD_jNS0_19identity_decomposerEEE10hipError_tT1_T2_PT3_SI_jT4_jjP12ihipStream_tbEUlT_E0_NS1_11comp_targetILNS1_3genE5ELNS1_11target_archE942ELNS1_3gpuE9ELNS1_3repE0EEENS1_52radix_sort_onesweep_histogram_config_static_selectorELNS0_4arch9wavefront6targetE1EEEvSG_.num_agpr, 0
	.set _ZN7rocprim17ROCPRIM_400000_NS6detail17trampoline_kernelINS0_14default_configENS1_35radix_sort_onesweep_config_selectorIffEEZNS1_34radix_sort_onesweep_global_offsetsIS3_Lb0EN6thrust23THRUST_200600_302600_NS6detail15normal_iteratorINS8_10device_ptrIfEEEESD_jNS0_19identity_decomposerEEE10hipError_tT1_T2_PT3_SI_jT4_jjP12ihipStream_tbEUlT_E0_NS1_11comp_targetILNS1_3genE5ELNS1_11target_archE942ELNS1_3gpuE9ELNS1_3repE0EEENS1_52radix_sort_onesweep_histogram_config_static_selectorELNS0_4arch9wavefront6targetE1EEEvSG_.numbered_sgpr, 0
	.set _ZN7rocprim17ROCPRIM_400000_NS6detail17trampoline_kernelINS0_14default_configENS1_35radix_sort_onesweep_config_selectorIffEEZNS1_34radix_sort_onesweep_global_offsetsIS3_Lb0EN6thrust23THRUST_200600_302600_NS6detail15normal_iteratorINS8_10device_ptrIfEEEESD_jNS0_19identity_decomposerEEE10hipError_tT1_T2_PT3_SI_jT4_jjP12ihipStream_tbEUlT_E0_NS1_11comp_targetILNS1_3genE5ELNS1_11target_archE942ELNS1_3gpuE9ELNS1_3repE0EEENS1_52radix_sort_onesweep_histogram_config_static_selectorELNS0_4arch9wavefront6targetE1EEEvSG_.num_named_barrier, 0
	.set _ZN7rocprim17ROCPRIM_400000_NS6detail17trampoline_kernelINS0_14default_configENS1_35radix_sort_onesweep_config_selectorIffEEZNS1_34radix_sort_onesweep_global_offsetsIS3_Lb0EN6thrust23THRUST_200600_302600_NS6detail15normal_iteratorINS8_10device_ptrIfEEEESD_jNS0_19identity_decomposerEEE10hipError_tT1_T2_PT3_SI_jT4_jjP12ihipStream_tbEUlT_E0_NS1_11comp_targetILNS1_3genE5ELNS1_11target_archE942ELNS1_3gpuE9ELNS1_3repE0EEENS1_52radix_sort_onesweep_histogram_config_static_selectorELNS0_4arch9wavefront6targetE1EEEvSG_.private_seg_size, 0
	.set _ZN7rocprim17ROCPRIM_400000_NS6detail17trampoline_kernelINS0_14default_configENS1_35radix_sort_onesweep_config_selectorIffEEZNS1_34radix_sort_onesweep_global_offsetsIS3_Lb0EN6thrust23THRUST_200600_302600_NS6detail15normal_iteratorINS8_10device_ptrIfEEEESD_jNS0_19identity_decomposerEEE10hipError_tT1_T2_PT3_SI_jT4_jjP12ihipStream_tbEUlT_E0_NS1_11comp_targetILNS1_3genE5ELNS1_11target_archE942ELNS1_3gpuE9ELNS1_3repE0EEENS1_52radix_sort_onesweep_histogram_config_static_selectorELNS0_4arch9wavefront6targetE1EEEvSG_.uses_vcc, 0
	.set _ZN7rocprim17ROCPRIM_400000_NS6detail17trampoline_kernelINS0_14default_configENS1_35radix_sort_onesweep_config_selectorIffEEZNS1_34radix_sort_onesweep_global_offsetsIS3_Lb0EN6thrust23THRUST_200600_302600_NS6detail15normal_iteratorINS8_10device_ptrIfEEEESD_jNS0_19identity_decomposerEEE10hipError_tT1_T2_PT3_SI_jT4_jjP12ihipStream_tbEUlT_E0_NS1_11comp_targetILNS1_3genE5ELNS1_11target_archE942ELNS1_3gpuE9ELNS1_3repE0EEENS1_52radix_sort_onesweep_histogram_config_static_selectorELNS0_4arch9wavefront6targetE1EEEvSG_.uses_flat_scratch, 0
	.set _ZN7rocprim17ROCPRIM_400000_NS6detail17trampoline_kernelINS0_14default_configENS1_35radix_sort_onesweep_config_selectorIffEEZNS1_34radix_sort_onesweep_global_offsetsIS3_Lb0EN6thrust23THRUST_200600_302600_NS6detail15normal_iteratorINS8_10device_ptrIfEEEESD_jNS0_19identity_decomposerEEE10hipError_tT1_T2_PT3_SI_jT4_jjP12ihipStream_tbEUlT_E0_NS1_11comp_targetILNS1_3genE5ELNS1_11target_archE942ELNS1_3gpuE9ELNS1_3repE0EEENS1_52radix_sort_onesweep_histogram_config_static_selectorELNS0_4arch9wavefront6targetE1EEEvSG_.has_dyn_sized_stack, 0
	.set _ZN7rocprim17ROCPRIM_400000_NS6detail17trampoline_kernelINS0_14default_configENS1_35radix_sort_onesweep_config_selectorIffEEZNS1_34radix_sort_onesweep_global_offsetsIS3_Lb0EN6thrust23THRUST_200600_302600_NS6detail15normal_iteratorINS8_10device_ptrIfEEEESD_jNS0_19identity_decomposerEEE10hipError_tT1_T2_PT3_SI_jT4_jjP12ihipStream_tbEUlT_E0_NS1_11comp_targetILNS1_3genE5ELNS1_11target_archE942ELNS1_3gpuE9ELNS1_3repE0EEENS1_52radix_sort_onesweep_histogram_config_static_selectorELNS0_4arch9wavefront6targetE1EEEvSG_.has_recursion, 0
	.set _ZN7rocprim17ROCPRIM_400000_NS6detail17trampoline_kernelINS0_14default_configENS1_35radix_sort_onesweep_config_selectorIffEEZNS1_34radix_sort_onesweep_global_offsetsIS3_Lb0EN6thrust23THRUST_200600_302600_NS6detail15normal_iteratorINS8_10device_ptrIfEEEESD_jNS0_19identity_decomposerEEE10hipError_tT1_T2_PT3_SI_jT4_jjP12ihipStream_tbEUlT_E0_NS1_11comp_targetILNS1_3genE5ELNS1_11target_archE942ELNS1_3gpuE9ELNS1_3repE0EEENS1_52radix_sort_onesweep_histogram_config_static_selectorELNS0_4arch9wavefront6targetE1EEEvSG_.has_indirect_call, 0
	.section	.AMDGPU.csdata,"",@progbits
; Kernel info:
; codeLenInByte = 0
; TotalNumSgprs: 6
; NumVgprs: 0
; NumAgprs: 0
; TotalNumVgprs: 0
; ScratchSize: 0
; MemoryBound: 0
; FloatMode: 240
; IeeeMode: 1
; LDSByteSize: 0 bytes/workgroup (compile time only)
; SGPRBlocks: 0
; VGPRBlocks: 0
; NumSGPRsForWavesPerEU: 6
; NumVGPRsForWavesPerEU: 1
; AccumOffset: 4
; Occupancy: 8
; WaveLimiterHint : 0
; COMPUTE_PGM_RSRC2:SCRATCH_EN: 0
; COMPUTE_PGM_RSRC2:USER_SGPR: 2
; COMPUTE_PGM_RSRC2:TRAP_HANDLER: 0
; COMPUTE_PGM_RSRC2:TGID_X_EN: 1
; COMPUTE_PGM_RSRC2:TGID_Y_EN: 0
; COMPUTE_PGM_RSRC2:TGID_Z_EN: 0
; COMPUTE_PGM_RSRC2:TIDIG_COMP_CNT: 0
; COMPUTE_PGM_RSRC3_GFX90A:ACCUM_OFFSET: 0
; COMPUTE_PGM_RSRC3_GFX90A:TG_SPLIT: 0
	.section	.text._ZN7rocprim17ROCPRIM_400000_NS6detail17trampoline_kernelINS0_14default_configENS1_35radix_sort_onesweep_config_selectorIffEEZNS1_34radix_sort_onesweep_global_offsetsIS3_Lb0EN6thrust23THRUST_200600_302600_NS6detail15normal_iteratorINS8_10device_ptrIfEEEESD_jNS0_19identity_decomposerEEE10hipError_tT1_T2_PT3_SI_jT4_jjP12ihipStream_tbEUlT_E0_NS1_11comp_targetILNS1_3genE2ELNS1_11target_archE906ELNS1_3gpuE6ELNS1_3repE0EEENS1_52radix_sort_onesweep_histogram_config_static_selectorELNS0_4arch9wavefront6targetE1EEEvSG_,"axG",@progbits,_ZN7rocprim17ROCPRIM_400000_NS6detail17trampoline_kernelINS0_14default_configENS1_35radix_sort_onesweep_config_selectorIffEEZNS1_34radix_sort_onesweep_global_offsetsIS3_Lb0EN6thrust23THRUST_200600_302600_NS6detail15normal_iteratorINS8_10device_ptrIfEEEESD_jNS0_19identity_decomposerEEE10hipError_tT1_T2_PT3_SI_jT4_jjP12ihipStream_tbEUlT_E0_NS1_11comp_targetILNS1_3genE2ELNS1_11target_archE906ELNS1_3gpuE6ELNS1_3repE0EEENS1_52radix_sort_onesweep_histogram_config_static_selectorELNS0_4arch9wavefront6targetE1EEEvSG_,comdat
	.protected	_ZN7rocprim17ROCPRIM_400000_NS6detail17trampoline_kernelINS0_14default_configENS1_35radix_sort_onesweep_config_selectorIffEEZNS1_34radix_sort_onesweep_global_offsetsIS3_Lb0EN6thrust23THRUST_200600_302600_NS6detail15normal_iteratorINS8_10device_ptrIfEEEESD_jNS0_19identity_decomposerEEE10hipError_tT1_T2_PT3_SI_jT4_jjP12ihipStream_tbEUlT_E0_NS1_11comp_targetILNS1_3genE2ELNS1_11target_archE906ELNS1_3gpuE6ELNS1_3repE0EEENS1_52radix_sort_onesweep_histogram_config_static_selectorELNS0_4arch9wavefront6targetE1EEEvSG_ ; -- Begin function _ZN7rocprim17ROCPRIM_400000_NS6detail17trampoline_kernelINS0_14default_configENS1_35radix_sort_onesweep_config_selectorIffEEZNS1_34radix_sort_onesweep_global_offsetsIS3_Lb0EN6thrust23THRUST_200600_302600_NS6detail15normal_iteratorINS8_10device_ptrIfEEEESD_jNS0_19identity_decomposerEEE10hipError_tT1_T2_PT3_SI_jT4_jjP12ihipStream_tbEUlT_E0_NS1_11comp_targetILNS1_3genE2ELNS1_11target_archE906ELNS1_3gpuE6ELNS1_3repE0EEENS1_52radix_sort_onesweep_histogram_config_static_selectorELNS0_4arch9wavefront6targetE1EEEvSG_
	.globl	_ZN7rocprim17ROCPRIM_400000_NS6detail17trampoline_kernelINS0_14default_configENS1_35radix_sort_onesweep_config_selectorIffEEZNS1_34radix_sort_onesweep_global_offsetsIS3_Lb0EN6thrust23THRUST_200600_302600_NS6detail15normal_iteratorINS8_10device_ptrIfEEEESD_jNS0_19identity_decomposerEEE10hipError_tT1_T2_PT3_SI_jT4_jjP12ihipStream_tbEUlT_E0_NS1_11comp_targetILNS1_3genE2ELNS1_11target_archE906ELNS1_3gpuE6ELNS1_3repE0EEENS1_52radix_sort_onesweep_histogram_config_static_selectorELNS0_4arch9wavefront6targetE1EEEvSG_
	.p2align	8
	.type	_ZN7rocprim17ROCPRIM_400000_NS6detail17trampoline_kernelINS0_14default_configENS1_35radix_sort_onesweep_config_selectorIffEEZNS1_34radix_sort_onesweep_global_offsetsIS3_Lb0EN6thrust23THRUST_200600_302600_NS6detail15normal_iteratorINS8_10device_ptrIfEEEESD_jNS0_19identity_decomposerEEE10hipError_tT1_T2_PT3_SI_jT4_jjP12ihipStream_tbEUlT_E0_NS1_11comp_targetILNS1_3genE2ELNS1_11target_archE906ELNS1_3gpuE6ELNS1_3repE0EEENS1_52radix_sort_onesweep_histogram_config_static_selectorELNS0_4arch9wavefront6targetE1EEEvSG_,@function
_ZN7rocprim17ROCPRIM_400000_NS6detail17trampoline_kernelINS0_14default_configENS1_35radix_sort_onesweep_config_selectorIffEEZNS1_34radix_sort_onesweep_global_offsetsIS3_Lb0EN6thrust23THRUST_200600_302600_NS6detail15normal_iteratorINS8_10device_ptrIfEEEESD_jNS0_19identity_decomposerEEE10hipError_tT1_T2_PT3_SI_jT4_jjP12ihipStream_tbEUlT_E0_NS1_11comp_targetILNS1_3genE2ELNS1_11target_archE906ELNS1_3gpuE6ELNS1_3repE0EEENS1_52radix_sort_onesweep_histogram_config_static_selectorELNS0_4arch9wavefront6targetE1EEEvSG_: ; @_ZN7rocprim17ROCPRIM_400000_NS6detail17trampoline_kernelINS0_14default_configENS1_35radix_sort_onesweep_config_selectorIffEEZNS1_34radix_sort_onesweep_global_offsetsIS3_Lb0EN6thrust23THRUST_200600_302600_NS6detail15normal_iteratorINS8_10device_ptrIfEEEESD_jNS0_19identity_decomposerEEE10hipError_tT1_T2_PT3_SI_jT4_jjP12ihipStream_tbEUlT_E0_NS1_11comp_targetILNS1_3genE2ELNS1_11target_archE906ELNS1_3gpuE6ELNS1_3repE0EEENS1_52radix_sort_onesweep_histogram_config_static_selectorELNS0_4arch9wavefront6targetE1EEEvSG_
; %bb.0:
	.section	.rodata,"a",@progbits
	.p2align	6, 0x0
	.amdhsa_kernel _ZN7rocprim17ROCPRIM_400000_NS6detail17trampoline_kernelINS0_14default_configENS1_35radix_sort_onesweep_config_selectorIffEEZNS1_34radix_sort_onesweep_global_offsetsIS3_Lb0EN6thrust23THRUST_200600_302600_NS6detail15normal_iteratorINS8_10device_ptrIfEEEESD_jNS0_19identity_decomposerEEE10hipError_tT1_T2_PT3_SI_jT4_jjP12ihipStream_tbEUlT_E0_NS1_11comp_targetILNS1_3genE2ELNS1_11target_archE906ELNS1_3gpuE6ELNS1_3repE0EEENS1_52radix_sort_onesweep_histogram_config_static_selectorELNS0_4arch9wavefront6targetE1EEEvSG_
		.amdhsa_group_segment_fixed_size 0
		.amdhsa_private_segment_fixed_size 0
		.amdhsa_kernarg_size 8
		.amdhsa_user_sgpr_count 2
		.amdhsa_user_sgpr_dispatch_ptr 0
		.amdhsa_user_sgpr_queue_ptr 0
		.amdhsa_user_sgpr_kernarg_segment_ptr 1
		.amdhsa_user_sgpr_dispatch_id 0
		.amdhsa_user_sgpr_kernarg_preload_length 0
		.amdhsa_user_sgpr_kernarg_preload_offset 0
		.amdhsa_user_sgpr_private_segment_size 0
		.amdhsa_uses_dynamic_stack 0
		.amdhsa_enable_private_segment 0
		.amdhsa_system_sgpr_workgroup_id_x 1
		.amdhsa_system_sgpr_workgroup_id_y 0
		.amdhsa_system_sgpr_workgroup_id_z 0
		.amdhsa_system_sgpr_workgroup_info 0
		.amdhsa_system_vgpr_workitem_id 0
		.amdhsa_next_free_vgpr 1
		.amdhsa_next_free_sgpr 0
		.amdhsa_accum_offset 4
		.amdhsa_reserve_vcc 0
		.amdhsa_float_round_mode_32 0
		.amdhsa_float_round_mode_16_64 0
		.amdhsa_float_denorm_mode_32 3
		.amdhsa_float_denorm_mode_16_64 3
		.amdhsa_dx10_clamp 1
		.amdhsa_ieee_mode 1
		.amdhsa_fp16_overflow 0
		.amdhsa_tg_split 0
		.amdhsa_exception_fp_ieee_invalid_op 0
		.amdhsa_exception_fp_denorm_src 0
		.amdhsa_exception_fp_ieee_div_zero 0
		.amdhsa_exception_fp_ieee_overflow 0
		.amdhsa_exception_fp_ieee_underflow 0
		.amdhsa_exception_fp_ieee_inexact 0
		.amdhsa_exception_int_div_zero 0
	.end_amdhsa_kernel
	.section	.text._ZN7rocprim17ROCPRIM_400000_NS6detail17trampoline_kernelINS0_14default_configENS1_35radix_sort_onesweep_config_selectorIffEEZNS1_34radix_sort_onesweep_global_offsetsIS3_Lb0EN6thrust23THRUST_200600_302600_NS6detail15normal_iteratorINS8_10device_ptrIfEEEESD_jNS0_19identity_decomposerEEE10hipError_tT1_T2_PT3_SI_jT4_jjP12ihipStream_tbEUlT_E0_NS1_11comp_targetILNS1_3genE2ELNS1_11target_archE906ELNS1_3gpuE6ELNS1_3repE0EEENS1_52radix_sort_onesweep_histogram_config_static_selectorELNS0_4arch9wavefront6targetE1EEEvSG_,"axG",@progbits,_ZN7rocprim17ROCPRIM_400000_NS6detail17trampoline_kernelINS0_14default_configENS1_35radix_sort_onesweep_config_selectorIffEEZNS1_34radix_sort_onesweep_global_offsetsIS3_Lb0EN6thrust23THRUST_200600_302600_NS6detail15normal_iteratorINS8_10device_ptrIfEEEESD_jNS0_19identity_decomposerEEE10hipError_tT1_T2_PT3_SI_jT4_jjP12ihipStream_tbEUlT_E0_NS1_11comp_targetILNS1_3genE2ELNS1_11target_archE906ELNS1_3gpuE6ELNS1_3repE0EEENS1_52radix_sort_onesweep_histogram_config_static_selectorELNS0_4arch9wavefront6targetE1EEEvSG_,comdat
.Lfunc_end290:
	.size	_ZN7rocprim17ROCPRIM_400000_NS6detail17trampoline_kernelINS0_14default_configENS1_35radix_sort_onesweep_config_selectorIffEEZNS1_34radix_sort_onesweep_global_offsetsIS3_Lb0EN6thrust23THRUST_200600_302600_NS6detail15normal_iteratorINS8_10device_ptrIfEEEESD_jNS0_19identity_decomposerEEE10hipError_tT1_T2_PT3_SI_jT4_jjP12ihipStream_tbEUlT_E0_NS1_11comp_targetILNS1_3genE2ELNS1_11target_archE906ELNS1_3gpuE6ELNS1_3repE0EEENS1_52radix_sort_onesweep_histogram_config_static_selectorELNS0_4arch9wavefront6targetE1EEEvSG_, .Lfunc_end290-_ZN7rocprim17ROCPRIM_400000_NS6detail17trampoline_kernelINS0_14default_configENS1_35radix_sort_onesweep_config_selectorIffEEZNS1_34radix_sort_onesweep_global_offsetsIS3_Lb0EN6thrust23THRUST_200600_302600_NS6detail15normal_iteratorINS8_10device_ptrIfEEEESD_jNS0_19identity_decomposerEEE10hipError_tT1_T2_PT3_SI_jT4_jjP12ihipStream_tbEUlT_E0_NS1_11comp_targetILNS1_3genE2ELNS1_11target_archE906ELNS1_3gpuE6ELNS1_3repE0EEENS1_52radix_sort_onesweep_histogram_config_static_selectorELNS0_4arch9wavefront6targetE1EEEvSG_
                                        ; -- End function
	.set _ZN7rocprim17ROCPRIM_400000_NS6detail17trampoline_kernelINS0_14default_configENS1_35radix_sort_onesweep_config_selectorIffEEZNS1_34radix_sort_onesweep_global_offsetsIS3_Lb0EN6thrust23THRUST_200600_302600_NS6detail15normal_iteratorINS8_10device_ptrIfEEEESD_jNS0_19identity_decomposerEEE10hipError_tT1_T2_PT3_SI_jT4_jjP12ihipStream_tbEUlT_E0_NS1_11comp_targetILNS1_3genE2ELNS1_11target_archE906ELNS1_3gpuE6ELNS1_3repE0EEENS1_52radix_sort_onesweep_histogram_config_static_selectorELNS0_4arch9wavefront6targetE1EEEvSG_.num_vgpr, 0
	.set _ZN7rocprim17ROCPRIM_400000_NS6detail17trampoline_kernelINS0_14default_configENS1_35radix_sort_onesweep_config_selectorIffEEZNS1_34radix_sort_onesweep_global_offsetsIS3_Lb0EN6thrust23THRUST_200600_302600_NS6detail15normal_iteratorINS8_10device_ptrIfEEEESD_jNS0_19identity_decomposerEEE10hipError_tT1_T2_PT3_SI_jT4_jjP12ihipStream_tbEUlT_E0_NS1_11comp_targetILNS1_3genE2ELNS1_11target_archE906ELNS1_3gpuE6ELNS1_3repE0EEENS1_52radix_sort_onesweep_histogram_config_static_selectorELNS0_4arch9wavefront6targetE1EEEvSG_.num_agpr, 0
	.set _ZN7rocprim17ROCPRIM_400000_NS6detail17trampoline_kernelINS0_14default_configENS1_35radix_sort_onesweep_config_selectorIffEEZNS1_34radix_sort_onesweep_global_offsetsIS3_Lb0EN6thrust23THRUST_200600_302600_NS6detail15normal_iteratorINS8_10device_ptrIfEEEESD_jNS0_19identity_decomposerEEE10hipError_tT1_T2_PT3_SI_jT4_jjP12ihipStream_tbEUlT_E0_NS1_11comp_targetILNS1_3genE2ELNS1_11target_archE906ELNS1_3gpuE6ELNS1_3repE0EEENS1_52radix_sort_onesweep_histogram_config_static_selectorELNS0_4arch9wavefront6targetE1EEEvSG_.numbered_sgpr, 0
	.set _ZN7rocprim17ROCPRIM_400000_NS6detail17trampoline_kernelINS0_14default_configENS1_35radix_sort_onesweep_config_selectorIffEEZNS1_34radix_sort_onesweep_global_offsetsIS3_Lb0EN6thrust23THRUST_200600_302600_NS6detail15normal_iteratorINS8_10device_ptrIfEEEESD_jNS0_19identity_decomposerEEE10hipError_tT1_T2_PT3_SI_jT4_jjP12ihipStream_tbEUlT_E0_NS1_11comp_targetILNS1_3genE2ELNS1_11target_archE906ELNS1_3gpuE6ELNS1_3repE0EEENS1_52radix_sort_onesweep_histogram_config_static_selectorELNS0_4arch9wavefront6targetE1EEEvSG_.num_named_barrier, 0
	.set _ZN7rocprim17ROCPRIM_400000_NS6detail17trampoline_kernelINS0_14default_configENS1_35radix_sort_onesweep_config_selectorIffEEZNS1_34radix_sort_onesweep_global_offsetsIS3_Lb0EN6thrust23THRUST_200600_302600_NS6detail15normal_iteratorINS8_10device_ptrIfEEEESD_jNS0_19identity_decomposerEEE10hipError_tT1_T2_PT3_SI_jT4_jjP12ihipStream_tbEUlT_E0_NS1_11comp_targetILNS1_3genE2ELNS1_11target_archE906ELNS1_3gpuE6ELNS1_3repE0EEENS1_52radix_sort_onesweep_histogram_config_static_selectorELNS0_4arch9wavefront6targetE1EEEvSG_.private_seg_size, 0
	.set _ZN7rocprim17ROCPRIM_400000_NS6detail17trampoline_kernelINS0_14default_configENS1_35radix_sort_onesweep_config_selectorIffEEZNS1_34radix_sort_onesweep_global_offsetsIS3_Lb0EN6thrust23THRUST_200600_302600_NS6detail15normal_iteratorINS8_10device_ptrIfEEEESD_jNS0_19identity_decomposerEEE10hipError_tT1_T2_PT3_SI_jT4_jjP12ihipStream_tbEUlT_E0_NS1_11comp_targetILNS1_3genE2ELNS1_11target_archE906ELNS1_3gpuE6ELNS1_3repE0EEENS1_52radix_sort_onesweep_histogram_config_static_selectorELNS0_4arch9wavefront6targetE1EEEvSG_.uses_vcc, 0
	.set _ZN7rocprim17ROCPRIM_400000_NS6detail17trampoline_kernelINS0_14default_configENS1_35radix_sort_onesweep_config_selectorIffEEZNS1_34radix_sort_onesweep_global_offsetsIS3_Lb0EN6thrust23THRUST_200600_302600_NS6detail15normal_iteratorINS8_10device_ptrIfEEEESD_jNS0_19identity_decomposerEEE10hipError_tT1_T2_PT3_SI_jT4_jjP12ihipStream_tbEUlT_E0_NS1_11comp_targetILNS1_3genE2ELNS1_11target_archE906ELNS1_3gpuE6ELNS1_3repE0EEENS1_52radix_sort_onesweep_histogram_config_static_selectorELNS0_4arch9wavefront6targetE1EEEvSG_.uses_flat_scratch, 0
	.set _ZN7rocprim17ROCPRIM_400000_NS6detail17trampoline_kernelINS0_14default_configENS1_35radix_sort_onesweep_config_selectorIffEEZNS1_34radix_sort_onesweep_global_offsetsIS3_Lb0EN6thrust23THRUST_200600_302600_NS6detail15normal_iteratorINS8_10device_ptrIfEEEESD_jNS0_19identity_decomposerEEE10hipError_tT1_T2_PT3_SI_jT4_jjP12ihipStream_tbEUlT_E0_NS1_11comp_targetILNS1_3genE2ELNS1_11target_archE906ELNS1_3gpuE6ELNS1_3repE0EEENS1_52radix_sort_onesweep_histogram_config_static_selectorELNS0_4arch9wavefront6targetE1EEEvSG_.has_dyn_sized_stack, 0
	.set _ZN7rocprim17ROCPRIM_400000_NS6detail17trampoline_kernelINS0_14default_configENS1_35radix_sort_onesweep_config_selectorIffEEZNS1_34radix_sort_onesweep_global_offsetsIS3_Lb0EN6thrust23THRUST_200600_302600_NS6detail15normal_iteratorINS8_10device_ptrIfEEEESD_jNS0_19identity_decomposerEEE10hipError_tT1_T2_PT3_SI_jT4_jjP12ihipStream_tbEUlT_E0_NS1_11comp_targetILNS1_3genE2ELNS1_11target_archE906ELNS1_3gpuE6ELNS1_3repE0EEENS1_52radix_sort_onesweep_histogram_config_static_selectorELNS0_4arch9wavefront6targetE1EEEvSG_.has_recursion, 0
	.set _ZN7rocprim17ROCPRIM_400000_NS6detail17trampoline_kernelINS0_14default_configENS1_35radix_sort_onesweep_config_selectorIffEEZNS1_34radix_sort_onesweep_global_offsetsIS3_Lb0EN6thrust23THRUST_200600_302600_NS6detail15normal_iteratorINS8_10device_ptrIfEEEESD_jNS0_19identity_decomposerEEE10hipError_tT1_T2_PT3_SI_jT4_jjP12ihipStream_tbEUlT_E0_NS1_11comp_targetILNS1_3genE2ELNS1_11target_archE906ELNS1_3gpuE6ELNS1_3repE0EEENS1_52radix_sort_onesweep_histogram_config_static_selectorELNS0_4arch9wavefront6targetE1EEEvSG_.has_indirect_call, 0
	.section	.AMDGPU.csdata,"",@progbits
; Kernel info:
; codeLenInByte = 0
; TotalNumSgprs: 6
; NumVgprs: 0
; NumAgprs: 0
; TotalNumVgprs: 0
; ScratchSize: 0
; MemoryBound: 0
; FloatMode: 240
; IeeeMode: 1
; LDSByteSize: 0 bytes/workgroup (compile time only)
; SGPRBlocks: 0
; VGPRBlocks: 0
; NumSGPRsForWavesPerEU: 6
; NumVGPRsForWavesPerEU: 1
; AccumOffset: 4
; Occupancy: 8
; WaveLimiterHint : 0
; COMPUTE_PGM_RSRC2:SCRATCH_EN: 0
; COMPUTE_PGM_RSRC2:USER_SGPR: 2
; COMPUTE_PGM_RSRC2:TRAP_HANDLER: 0
; COMPUTE_PGM_RSRC2:TGID_X_EN: 1
; COMPUTE_PGM_RSRC2:TGID_Y_EN: 0
; COMPUTE_PGM_RSRC2:TGID_Z_EN: 0
; COMPUTE_PGM_RSRC2:TIDIG_COMP_CNT: 0
; COMPUTE_PGM_RSRC3_GFX90A:ACCUM_OFFSET: 0
; COMPUTE_PGM_RSRC3_GFX90A:TG_SPLIT: 0
	.section	.text._ZN7rocprim17ROCPRIM_400000_NS6detail17trampoline_kernelINS0_14default_configENS1_35radix_sort_onesweep_config_selectorIffEEZNS1_34radix_sort_onesweep_global_offsetsIS3_Lb0EN6thrust23THRUST_200600_302600_NS6detail15normal_iteratorINS8_10device_ptrIfEEEESD_jNS0_19identity_decomposerEEE10hipError_tT1_T2_PT3_SI_jT4_jjP12ihipStream_tbEUlT_E0_NS1_11comp_targetILNS1_3genE4ELNS1_11target_archE910ELNS1_3gpuE8ELNS1_3repE0EEENS1_52radix_sort_onesweep_histogram_config_static_selectorELNS0_4arch9wavefront6targetE1EEEvSG_,"axG",@progbits,_ZN7rocprim17ROCPRIM_400000_NS6detail17trampoline_kernelINS0_14default_configENS1_35radix_sort_onesweep_config_selectorIffEEZNS1_34radix_sort_onesweep_global_offsetsIS3_Lb0EN6thrust23THRUST_200600_302600_NS6detail15normal_iteratorINS8_10device_ptrIfEEEESD_jNS0_19identity_decomposerEEE10hipError_tT1_T2_PT3_SI_jT4_jjP12ihipStream_tbEUlT_E0_NS1_11comp_targetILNS1_3genE4ELNS1_11target_archE910ELNS1_3gpuE8ELNS1_3repE0EEENS1_52radix_sort_onesweep_histogram_config_static_selectorELNS0_4arch9wavefront6targetE1EEEvSG_,comdat
	.protected	_ZN7rocprim17ROCPRIM_400000_NS6detail17trampoline_kernelINS0_14default_configENS1_35radix_sort_onesweep_config_selectorIffEEZNS1_34radix_sort_onesweep_global_offsetsIS3_Lb0EN6thrust23THRUST_200600_302600_NS6detail15normal_iteratorINS8_10device_ptrIfEEEESD_jNS0_19identity_decomposerEEE10hipError_tT1_T2_PT3_SI_jT4_jjP12ihipStream_tbEUlT_E0_NS1_11comp_targetILNS1_3genE4ELNS1_11target_archE910ELNS1_3gpuE8ELNS1_3repE0EEENS1_52radix_sort_onesweep_histogram_config_static_selectorELNS0_4arch9wavefront6targetE1EEEvSG_ ; -- Begin function _ZN7rocprim17ROCPRIM_400000_NS6detail17trampoline_kernelINS0_14default_configENS1_35radix_sort_onesweep_config_selectorIffEEZNS1_34radix_sort_onesweep_global_offsetsIS3_Lb0EN6thrust23THRUST_200600_302600_NS6detail15normal_iteratorINS8_10device_ptrIfEEEESD_jNS0_19identity_decomposerEEE10hipError_tT1_T2_PT3_SI_jT4_jjP12ihipStream_tbEUlT_E0_NS1_11comp_targetILNS1_3genE4ELNS1_11target_archE910ELNS1_3gpuE8ELNS1_3repE0EEENS1_52radix_sort_onesweep_histogram_config_static_selectorELNS0_4arch9wavefront6targetE1EEEvSG_
	.globl	_ZN7rocprim17ROCPRIM_400000_NS6detail17trampoline_kernelINS0_14default_configENS1_35radix_sort_onesweep_config_selectorIffEEZNS1_34radix_sort_onesweep_global_offsetsIS3_Lb0EN6thrust23THRUST_200600_302600_NS6detail15normal_iteratorINS8_10device_ptrIfEEEESD_jNS0_19identity_decomposerEEE10hipError_tT1_T2_PT3_SI_jT4_jjP12ihipStream_tbEUlT_E0_NS1_11comp_targetILNS1_3genE4ELNS1_11target_archE910ELNS1_3gpuE8ELNS1_3repE0EEENS1_52radix_sort_onesweep_histogram_config_static_selectorELNS0_4arch9wavefront6targetE1EEEvSG_
	.p2align	8
	.type	_ZN7rocprim17ROCPRIM_400000_NS6detail17trampoline_kernelINS0_14default_configENS1_35radix_sort_onesweep_config_selectorIffEEZNS1_34radix_sort_onesweep_global_offsetsIS3_Lb0EN6thrust23THRUST_200600_302600_NS6detail15normal_iteratorINS8_10device_ptrIfEEEESD_jNS0_19identity_decomposerEEE10hipError_tT1_T2_PT3_SI_jT4_jjP12ihipStream_tbEUlT_E0_NS1_11comp_targetILNS1_3genE4ELNS1_11target_archE910ELNS1_3gpuE8ELNS1_3repE0EEENS1_52radix_sort_onesweep_histogram_config_static_selectorELNS0_4arch9wavefront6targetE1EEEvSG_,@function
_ZN7rocprim17ROCPRIM_400000_NS6detail17trampoline_kernelINS0_14default_configENS1_35radix_sort_onesweep_config_selectorIffEEZNS1_34radix_sort_onesweep_global_offsetsIS3_Lb0EN6thrust23THRUST_200600_302600_NS6detail15normal_iteratorINS8_10device_ptrIfEEEESD_jNS0_19identity_decomposerEEE10hipError_tT1_T2_PT3_SI_jT4_jjP12ihipStream_tbEUlT_E0_NS1_11comp_targetILNS1_3genE4ELNS1_11target_archE910ELNS1_3gpuE8ELNS1_3repE0EEENS1_52radix_sort_onesweep_histogram_config_static_selectorELNS0_4arch9wavefront6targetE1EEEvSG_: ; @_ZN7rocprim17ROCPRIM_400000_NS6detail17trampoline_kernelINS0_14default_configENS1_35radix_sort_onesweep_config_selectorIffEEZNS1_34radix_sort_onesweep_global_offsetsIS3_Lb0EN6thrust23THRUST_200600_302600_NS6detail15normal_iteratorINS8_10device_ptrIfEEEESD_jNS0_19identity_decomposerEEE10hipError_tT1_T2_PT3_SI_jT4_jjP12ihipStream_tbEUlT_E0_NS1_11comp_targetILNS1_3genE4ELNS1_11target_archE910ELNS1_3gpuE8ELNS1_3repE0EEENS1_52radix_sort_onesweep_histogram_config_static_selectorELNS0_4arch9wavefront6targetE1EEEvSG_
; %bb.0:
	.section	.rodata,"a",@progbits
	.p2align	6, 0x0
	.amdhsa_kernel _ZN7rocprim17ROCPRIM_400000_NS6detail17trampoline_kernelINS0_14default_configENS1_35radix_sort_onesweep_config_selectorIffEEZNS1_34radix_sort_onesweep_global_offsetsIS3_Lb0EN6thrust23THRUST_200600_302600_NS6detail15normal_iteratorINS8_10device_ptrIfEEEESD_jNS0_19identity_decomposerEEE10hipError_tT1_T2_PT3_SI_jT4_jjP12ihipStream_tbEUlT_E0_NS1_11comp_targetILNS1_3genE4ELNS1_11target_archE910ELNS1_3gpuE8ELNS1_3repE0EEENS1_52radix_sort_onesweep_histogram_config_static_selectorELNS0_4arch9wavefront6targetE1EEEvSG_
		.amdhsa_group_segment_fixed_size 0
		.amdhsa_private_segment_fixed_size 0
		.amdhsa_kernarg_size 8
		.amdhsa_user_sgpr_count 2
		.amdhsa_user_sgpr_dispatch_ptr 0
		.amdhsa_user_sgpr_queue_ptr 0
		.amdhsa_user_sgpr_kernarg_segment_ptr 1
		.amdhsa_user_sgpr_dispatch_id 0
		.amdhsa_user_sgpr_kernarg_preload_length 0
		.amdhsa_user_sgpr_kernarg_preload_offset 0
		.amdhsa_user_sgpr_private_segment_size 0
		.amdhsa_uses_dynamic_stack 0
		.amdhsa_enable_private_segment 0
		.amdhsa_system_sgpr_workgroup_id_x 1
		.amdhsa_system_sgpr_workgroup_id_y 0
		.amdhsa_system_sgpr_workgroup_id_z 0
		.amdhsa_system_sgpr_workgroup_info 0
		.amdhsa_system_vgpr_workitem_id 0
		.amdhsa_next_free_vgpr 1
		.amdhsa_next_free_sgpr 0
		.amdhsa_accum_offset 4
		.amdhsa_reserve_vcc 0
		.amdhsa_float_round_mode_32 0
		.amdhsa_float_round_mode_16_64 0
		.amdhsa_float_denorm_mode_32 3
		.amdhsa_float_denorm_mode_16_64 3
		.amdhsa_dx10_clamp 1
		.amdhsa_ieee_mode 1
		.amdhsa_fp16_overflow 0
		.amdhsa_tg_split 0
		.amdhsa_exception_fp_ieee_invalid_op 0
		.amdhsa_exception_fp_denorm_src 0
		.amdhsa_exception_fp_ieee_div_zero 0
		.amdhsa_exception_fp_ieee_overflow 0
		.amdhsa_exception_fp_ieee_underflow 0
		.amdhsa_exception_fp_ieee_inexact 0
		.amdhsa_exception_int_div_zero 0
	.end_amdhsa_kernel
	.section	.text._ZN7rocprim17ROCPRIM_400000_NS6detail17trampoline_kernelINS0_14default_configENS1_35radix_sort_onesweep_config_selectorIffEEZNS1_34radix_sort_onesweep_global_offsetsIS3_Lb0EN6thrust23THRUST_200600_302600_NS6detail15normal_iteratorINS8_10device_ptrIfEEEESD_jNS0_19identity_decomposerEEE10hipError_tT1_T2_PT3_SI_jT4_jjP12ihipStream_tbEUlT_E0_NS1_11comp_targetILNS1_3genE4ELNS1_11target_archE910ELNS1_3gpuE8ELNS1_3repE0EEENS1_52radix_sort_onesweep_histogram_config_static_selectorELNS0_4arch9wavefront6targetE1EEEvSG_,"axG",@progbits,_ZN7rocprim17ROCPRIM_400000_NS6detail17trampoline_kernelINS0_14default_configENS1_35radix_sort_onesweep_config_selectorIffEEZNS1_34radix_sort_onesweep_global_offsetsIS3_Lb0EN6thrust23THRUST_200600_302600_NS6detail15normal_iteratorINS8_10device_ptrIfEEEESD_jNS0_19identity_decomposerEEE10hipError_tT1_T2_PT3_SI_jT4_jjP12ihipStream_tbEUlT_E0_NS1_11comp_targetILNS1_3genE4ELNS1_11target_archE910ELNS1_3gpuE8ELNS1_3repE0EEENS1_52radix_sort_onesweep_histogram_config_static_selectorELNS0_4arch9wavefront6targetE1EEEvSG_,comdat
.Lfunc_end291:
	.size	_ZN7rocprim17ROCPRIM_400000_NS6detail17trampoline_kernelINS0_14default_configENS1_35radix_sort_onesweep_config_selectorIffEEZNS1_34radix_sort_onesweep_global_offsetsIS3_Lb0EN6thrust23THRUST_200600_302600_NS6detail15normal_iteratorINS8_10device_ptrIfEEEESD_jNS0_19identity_decomposerEEE10hipError_tT1_T2_PT3_SI_jT4_jjP12ihipStream_tbEUlT_E0_NS1_11comp_targetILNS1_3genE4ELNS1_11target_archE910ELNS1_3gpuE8ELNS1_3repE0EEENS1_52radix_sort_onesweep_histogram_config_static_selectorELNS0_4arch9wavefront6targetE1EEEvSG_, .Lfunc_end291-_ZN7rocprim17ROCPRIM_400000_NS6detail17trampoline_kernelINS0_14default_configENS1_35radix_sort_onesweep_config_selectorIffEEZNS1_34radix_sort_onesweep_global_offsetsIS3_Lb0EN6thrust23THRUST_200600_302600_NS6detail15normal_iteratorINS8_10device_ptrIfEEEESD_jNS0_19identity_decomposerEEE10hipError_tT1_T2_PT3_SI_jT4_jjP12ihipStream_tbEUlT_E0_NS1_11comp_targetILNS1_3genE4ELNS1_11target_archE910ELNS1_3gpuE8ELNS1_3repE0EEENS1_52radix_sort_onesweep_histogram_config_static_selectorELNS0_4arch9wavefront6targetE1EEEvSG_
                                        ; -- End function
	.set _ZN7rocprim17ROCPRIM_400000_NS6detail17trampoline_kernelINS0_14default_configENS1_35radix_sort_onesweep_config_selectorIffEEZNS1_34radix_sort_onesweep_global_offsetsIS3_Lb0EN6thrust23THRUST_200600_302600_NS6detail15normal_iteratorINS8_10device_ptrIfEEEESD_jNS0_19identity_decomposerEEE10hipError_tT1_T2_PT3_SI_jT4_jjP12ihipStream_tbEUlT_E0_NS1_11comp_targetILNS1_3genE4ELNS1_11target_archE910ELNS1_3gpuE8ELNS1_3repE0EEENS1_52radix_sort_onesweep_histogram_config_static_selectorELNS0_4arch9wavefront6targetE1EEEvSG_.num_vgpr, 0
	.set _ZN7rocprim17ROCPRIM_400000_NS6detail17trampoline_kernelINS0_14default_configENS1_35radix_sort_onesweep_config_selectorIffEEZNS1_34radix_sort_onesweep_global_offsetsIS3_Lb0EN6thrust23THRUST_200600_302600_NS6detail15normal_iteratorINS8_10device_ptrIfEEEESD_jNS0_19identity_decomposerEEE10hipError_tT1_T2_PT3_SI_jT4_jjP12ihipStream_tbEUlT_E0_NS1_11comp_targetILNS1_3genE4ELNS1_11target_archE910ELNS1_3gpuE8ELNS1_3repE0EEENS1_52radix_sort_onesweep_histogram_config_static_selectorELNS0_4arch9wavefront6targetE1EEEvSG_.num_agpr, 0
	.set _ZN7rocprim17ROCPRIM_400000_NS6detail17trampoline_kernelINS0_14default_configENS1_35radix_sort_onesweep_config_selectorIffEEZNS1_34radix_sort_onesweep_global_offsetsIS3_Lb0EN6thrust23THRUST_200600_302600_NS6detail15normal_iteratorINS8_10device_ptrIfEEEESD_jNS0_19identity_decomposerEEE10hipError_tT1_T2_PT3_SI_jT4_jjP12ihipStream_tbEUlT_E0_NS1_11comp_targetILNS1_3genE4ELNS1_11target_archE910ELNS1_3gpuE8ELNS1_3repE0EEENS1_52radix_sort_onesweep_histogram_config_static_selectorELNS0_4arch9wavefront6targetE1EEEvSG_.numbered_sgpr, 0
	.set _ZN7rocprim17ROCPRIM_400000_NS6detail17trampoline_kernelINS0_14default_configENS1_35radix_sort_onesweep_config_selectorIffEEZNS1_34radix_sort_onesweep_global_offsetsIS3_Lb0EN6thrust23THRUST_200600_302600_NS6detail15normal_iteratorINS8_10device_ptrIfEEEESD_jNS0_19identity_decomposerEEE10hipError_tT1_T2_PT3_SI_jT4_jjP12ihipStream_tbEUlT_E0_NS1_11comp_targetILNS1_3genE4ELNS1_11target_archE910ELNS1_3gpuE8ELNS1_3repE0EEENS1_52radix_sort_onesweep_histogram_config_static_selectorELNS0_4arch9wavefront6targetE1EEEvSG_.num_named_barrier, 0
	.set _ZN7rocprim17ROCPRIM_400000_NS6detail17trampoline_kernelINS0_14default_configENS1_35radix_sort_onesweep_config_selectorIffEEZNS1_34radix_sort_onesweep_global_offsetsIS3_Lb0EN6thrust23THRUST_200600_302600_NS6detail15normal_iteratorINS8_10device_ptrIfEEEESD_jNS0_19identity_decomposerEEE10hipError_tT1_T2_PT3_SI_jT4_jjP12ihipStream_tbEUlT_E0_NS1_11comp_targetILNS1_3genE4ELNS1_11target_archE910ELNS1_3gpuE8ELNS1_3repE0EEENS1_52radix_sort_onesweep_histogram_config_static_selectorELNS0_4arch9wavefront6targetE1EEEvSG_.private_seg_size, 0
	.set _ZN7rocprim17ROCPRIM_400000_NS6detail17trampoline_kernelINS0_14default_configENS1_35radix_sort_onesweep_config_selectorIffEEZNS1_34radix_sort_onesweep_global_offsetsIS3_Lb0EN6thrust23THRUST_200600_302600_NS6detail15normal_iteratorINS8_10device_ptrIfEEEESD_jNS0_19identity_decomposerEEE10hipError_tT1_T2_PT3_SI_jT4_jjP12ihipStream_tbEUlT_E0_NS1_11comp_targetILNS1_3genE4ELNS1_11target_archE910ELNS1_3gpuE8ELNS1_3repE0EEENS1_52radix_sort_onesweep_histogram_config_static_selectorELNS0_4arch9wavefront6targetE1EEEvSG_.uses_vcc, 0
	.set _ZN7rocprim17ROCPRIM_400000_NS6detail17trampoline_kernelINS0_14default_configENS1_35radix_sort_onesweep_config_selectorIffEEZNS1_34radix_sort_onesweep_global_offsetsIS3_Lb0EN6thrust23THRUST_200600_302600_NS6detail15normal_iteratorINS8_10device_ptrIfEEEESD_jNS0_19identity_decomposerEEE10hipError_tT1_T2_PT3_SI_jT4_jjP12ihipStream_tbEUlT_E0_NS1_11comp_targetILNS1_3genE4ELNS1_11target_archE910ELNS1_3gpuE8ELNS1_3repE0EEENS1_52radix_sort_onesweep_histogram_config_static_selectorELNS0_4arch9wavefront6targetE1EEEvSG_.uses_flat_scratch, 0
	.set _ZN7rocprim17ROCPRIM_400000_NS6detail17trampoline_kernelINS0_14default_configENS1_35radix_sort_onesweep_config_selectorIffEEZNS1_34radix_sort_onesweep_global_offsetsIS3_Lb0EN6thrust23THRUST_200600_302600_NS6detail15normal_iteratorINS8_10device_ptrIfEEEESD_jNS0_19identity_decomposerEEE10hipError_tT1_T2_PT3_SI_jT4_jjP12ihipStream_tbEUlT_E0_NS1_11comp_targetILNS1_3genE4ELNS1_11target_archE910ELNS1_3gpuE8ELNS1_3repE0EEENS1_52radix_sort_onesweep_histogram_config_static_selectorELNS0_4arch9wavefront6targetE1EEEvSG_.has_dyn_sized_stack, 0
	.set _ZN7rocprim17ROCPRIM_400000_NS6detail17trampoline_kernelINS0_14default_configENS1_35radix_sort_onesweep_config_selectorIffEEZNS1_34radix_sort_onesweep_global_offsetsIS3_Lb0EN6thrust23THRUST_200600_302600_NS6detail15normal_iteratorINS8_10device_ptrIfEEEESD_jNS0_19identity_decomposerEEE10hipError_tT1_T2_PT3_SI_jT4_jjP12ihipStream_tbEUlT_E0_NS1_11comp_targetILNS1_3genE4ELNS1_11target_archE910ELNS1_3gpuE8ELNS1_3repE0EEENS1_52radix_sort_onesweep_histogram_config_static_selectorELNS0_4arch9wavefront6targetE1EEEvSG_.has_recursion, 0
	.set _ZN7rocprim17ROCPRIM_400000_NS6detail17trampoline_kernelINS0_14default_configENS1_35radix_sort_onesweep_config_selectorIffEEZNS1_34radix_sort_onesweep_global_offsetsIS3_Lb0EN6thrust23THRUST_200600_302600_NS6detail15normal_iteratorINS8_10device_ptrIfEEEESD_jNS0_19identity_decomposerEEE10hipError_tT1_T2_PT3_SI_jT4_jjP12ihipStream_tbEUlT_E0_NS1_11comp_targetILNS1_3genE4ELNS1_11target_archE910ELNS1_3gpuE8ELNS1_3repE0EEENS1_52radix_sort_onesweep_histogram_config_static_selectorELNS0_4arch9wavefront6targetE1EEEvSG_.has_indirect_call, 0
	.section	.AMDGPU.csdata,"",@progbits
; Kernel info:
; codeLenInByte = 0
; TotalNumSgprs: 6
; NumVgprs: 0
; NumAgprs: 0
; TotalNumVgprs: 0
; ScratchSize: 0
; MemoryBound: 0
; FloatMode: 240
; IeeeMode: 1
; LDSByteSize: 0 bytes/workgroup (compile time only)
; SGPRBlocks: 0
; VGPRBlocks: 0
; NumSGPRsForWavesPerEU: 6
; NumVGPRsForWavesPerEU: 1
; AccumOffset: 4
; Occupancy: 8
; WaveLimiterHint : 0
; COMPUTE_PGM_RSRC2:SCRATCH_EN: 0
; COMPUTE_PGM_RSRC2:USER_SGPR: 2
; COMPUTE_PGM_RSRC2:TRAP_HANDLER: 0
; COMPUTE_PGM_RSRC2:TGID_X_EN: 1
; COMPUTE_PGM_RSRC2:TGID_Y_EN: 0
; COMPUTE_PGM_RSRC2:TGID_Z_EN: 0
; COMPUTE_PGM_RSRC2:TIDIG_COMP_CNT: 0
; COMPUTE_PGM_RSRC3_GFX90A:ACCUM_OFFSET: 0
; COMPUTE_PGM_RSRC3_GFX90A:TG_SPLIT: 0
	.section	.text._ZN7rocprim17ROCPRIM_400000_NS6detail17trampoline_kernelINS0_14default_configENS1_35radix_sort_onesweep_config_selectorIffEEZNS1_34radix_sort_onesweep_global_offsetsIS3_Lb0EN6thrust23THRUST_200600_302600_NS6detail15normal_iteratorINS8_10device_ptrIfEEEESD_jNS0_19identity_decomposerEEE10hipError_tT1_T2_PT3_SI_jT4_jjP12ihipStream_tbEUlT_E0_NS1_11comp_targetILNS1_3genE3ELNS1_11target_archE908ELNS1_3gpuE7ELNS1_3repE0EEENS1_52radix_sort_onesweep_histogram_config_static_selectorELNS0_4arch9wavefront6targetE1EEEvSG_,"axG",@progbits,_ZN7rocprim17ROCPRIM_400000_NS6detail17trampoline_kernelINS0_14default_configENS1_35radix_sort_onesweep_config_selectorIffEEZNS1_34radix_sort_onesweep_global_offsetsIS3_Lb0EN6thrust23THRUST_200600_302600_NS6detail15normal_iteratorINS8_10device_ptrIfEEEESD_jNS0_19identity_decomposerEEE10hipError_tT1_T2_PT3_SI_jT4_jjP12ihipStream_tbEUlT_E0_NS1_11comp_targetILNS1_3genE3ELNS1_11target_archE908ELNS1_3gpuE7ELNS1_3repE0EEENS1_52radix_sort_onesweep_histogram_config_static_selectorELNS0_4arch9wavefront6targetE1EEEvSG_,comdat
	.protected	_ZN7rocprim17ROCPRIM_400000_NS6detail17trampoline_kernelINS0_14default_configENS1_35radix_sort_onesweep_config_selectorIffEEZNS1_34radix_sort_onesweep_global_offsetsIS3_Lb0EN6thrust23THRUST_200600_302600_NS6detail15normal_iteratorINS8_10device_ptrIfEEEESD_jNS0_19identity_decomposerEEE10hipError_tT1_T2_PT3_SI_jT4_jjP12ihipStream_tbEUlT_E0_NS1_11comp_targetILNS1_3genE3ELNS1_11target_archE908ELNS1_3gpuE7ELNS1_3repE0EEENS1_52radix_sort_onesweep_histogram_config_static_selectorELNS0_4arch9wavefront6targetE1EEEvSG_ ; -- Begin function _ZN7rocprim17ROCPRIM_400000_NS6detail17trampoline_kernelINS0_14default_configENS1_35radix_sort_onesweep_config_selectorIffEEZNS1_34radix_sort_onesweep_global_offsetsIS3_Lb0EN6thrust23THRUST_200600_302600_NS6detail15normal_iteratorINS8_10device_ptrIfEEEESD_jNS0_19identity_decomposerEEE10hipError_tT1_T2_PT3_SI_jT4_jjP12ihipStream_tbEUlT_E0_NS1_11comp_targetILNS1_3genE3ELNS1_11target_archE908ELNS1_3gpuE7ELNS1_3repE0EEENS1_52radix_sort_onesweep_histogram_config_static_selectorELNS0_4arch9wavefront6targetE1EEEvSG_
	.globl	_ZN7rocprim17ROCPRIM_400000_NS6detail17trampoline_kernelINS0_14default_configENS1_35radix_sort_onesweep_config_selectorIffEEZNS1_34radix_sort_onesweep_global_offsetsIS3_Lb0EN6thrust23THRUST_200600_302600_NS6detail15normal_iteratorINS8_10device_ptrIfEEEESD_jNS0_19identity_decomposerEEE10hipError_tT1_T2_PT3_SI_jT4_jjP12ihipStream_tbEUlT_E0_NS1_11comp_targetILNS1_3genE3ELNS1_11target_archE908ELNS1_3gpuE7ELNS1_3repE0EEENS1_52radix_sort_onesweep_histogram_config_static_selectorELNS0_4arch9wavefront6targetE1EEEvSG_
	.p2align	8
	.type	_ZN7rocprim17ROCPRIM_400000_NS6detail17trampoline_kernelINS0_14default_configENS1_35radix_sort_onesweep_config_selectorIffEEZNS1_34radix_sort_onesweep_global_offsetsIS3_Lb0EN6thrust23THRUST_200600_302600_NS6detail15normal_iteratorINS8_10device_ptrIfEEEESD_jNS0_19identity_decomposerEEE10hipError_tT1_T2_PT3_SI_jT4_jjP12ihipStream_tbEUlT_E0_NS1_11comp_targetILNS1_3genE3ELNS1_11target_archE908ELNS1_3gpuE7ELNS1_3repE0EEENS1_52radix_sort_onesweep_histogram_config_static_selectorELNS0_4arch9wavefront6targetE1EEEvSG_,@function
_ZN7rocprim17ROCPRIM_400000_NS6detail17trampoline_kernelINS0_14default_configENS1_35radix_sort_onesweep_config_selectorIffEEZNS1_34radix_sort_onesweep_global_offsetsIS3_Lb0EN6thrust23THRUST_200600_302600_NS6detail15normal_iteratorINS8_10device_ptrIfEEEESD_jNS0_19identity_decomposerEEE10hipError_tT1_T2_PT3_SI_jT4_jjP12ihipStream_tbEUlT_E0_NS1_11comp_targetILNS1_3genE3ELNS1_11target_archE908ELNS1_3gpuE7ELNS1_3repE0EEENS1_52radix_sort_onesweep_histogram_config_static_selectorELNS0_4arch9wavefront6targetE1EEEvSG_: ; @_ZN7rocprim17ROCPRIM_400000_NS6detail17trampoline_kernelINS0_14default_configENS1_35radix_sort_onesweep_config_selectorIffEEZNS1_34radix_sort_onesweep_global_offsetsIS3_Lb0EN6thrust23THRUST_200600_302600_NS6detail15normal_iteratorINS8_10device_ptrIfEEEESD_jNS0_19identity_decomposerEEE10hipError_tT1_T2_PT3_SI_jT4_jjP12ihipStream_tbEUlT_E0_NS1_11comp_targetILNS1_3genE3ELNS1_11target_archE908ELNS1_3gpuE7ELNS1_3repE0EEENS1_52radix_sort_onesweep_histogram_config_static_selectorELNS0_4arch9wavefront6targetE1EEEvSG_
; %bb.0:
	.section	.rodata,"a",@progbits
	.p2align	6, 0x0
	.amdhsa_kernel _ZN7rocprim17ROCPRIM_400000_NS6detail17trampoline_kernelINS0_14default_configENS1_35radix_sort_onesweep_config_selectorIffEEZNS1_34radix_sort_onesweep_global_offsetsIS3_Lb0EN6thrust23THRUST_200600_302600_NS6detail15normal_iteratorINS8_10device_ptrIfEEEESD_jNS0_19identity_decomposerEEE10hipError_tT1_T2_PT3_SI_jT4_jjP12ihipStream_tbEUlT_E0_NS1_11comp_targetILNS1_3genE3ELNS1_11target_archE908ELNS1_3gpuE7ELNS1_3repE0EEENS1_52radix_sort_onesweep_histogram_config_static_selectorELNS0_4arch9wavefront6targetE1EEEvSG_
		.amdhsa_group_segment_fixed_size 0
		.amdhsa_private_segment_fixed_size 0
		.amdhsa_kernarg_size 8
		.amdhsa_user_sgpr_count 2
		.amdhsa_user_sgpr_dispatch_ptr 0
		.amdhsa_user_sgpr_queue_ptr 0
		.amdhsa_user_sgpr_kernarg_segment_ptr 1
		.amdhsa_user_sgpr_dispatch_id 0
		.amdhsa_user_sgpr_kernarg_preload_length 0
		.amdhsa_user_sgpr_kernarg_preload_offset 0
		.amdhsa_user_sgpr_private_segment_size 0
		.amdhsa_uses_dynamic_stack 0
		.amdhsa_enable_private_segment 0
		.amdhsa_system_sgpr_workgroup_id_x 1
		.amdhsa_system_sgpr_workgroup_id_y 0
		.amdhsa_system_sgpr_workgroup_id_z 0
		.amdhsa_system_sgpr_workgroup_info 0
		.amdhsa_system_vgpr_workitem_id 0
		.amdhsa_next_free_vgpr 1
		.amdhsa_next_free_sgpr 0
		.amdhsa_accum_offset 4
		.amdhsa_reserve_vcc 0
		.amdhsa_float_round_mode_32 0
		.amdhsa_float_round_mode_16_64 0
		.amdhsa_float_denorm_mode_32 3
		.amdhsa_float_denorm_mode_16_64 3
		.amdhsa_dx10_clamp 1
		.amdhsa_ieee_mode 1
		.amdhsa_fp16_overflow 0
		.amdhsa_tg_split 0
		.amdhsa_exception_fp_ieee_invalid_op 0
		.amdhsa_exception_fp_denorm_src 0
		.amdhsa_exception_fp_ieee_div_zero 0
		.amdhsa_exception_fp_ieee_overflow 0
		.amdhsa_exception_fp_ieee_underflow 0
		.amdhsa_exception_fp_ieee_inexact 0
		.amdhsa_exception_int_div_zero 0
	.end_amdhsa_kernel
	.section	.text._ZN7rocprim17ROCPRIM_400000_NS6detail17trampoline_kernelINS0_14default_configENS1_35radix_sort_onesweep_config_selectorIffEEZNS1_34radix_sort_onesweep_global_offsetsIS3_Lb0EN6thrust23THRUST_200600_302600_NS6detail15normal_iteratorINS8_10device_ptrIfEEEESD_jNS0_19identity_decomposerEEE10hipError_tT1_T2_PT3_SI_jT4_jjP12ihipStream_tbEUlT_E0_NS1_11comp_targetILNS1_3genE3ELNS1_11target_archE908ELNS1_3gpuE7ELNS1_3repE0EEENS1_52radix_sort_onesweep_histogram_config_static_selectorELNS0_4arch9wavefront6targetE1EEEvSG_,"axG",@progbits,_ZN7rocprim17ROCPRIM_400000_NS6detail17trampoline_kernelINS0_14default_configENS1_35radix_sort_onesweep_config_selectorIffEEZNS1_34radix_sort_onesweep_global_offsetsIS3_Lb0EN6thrust23THRUST_200600_302600_NS6detail15normal_iteratorINS8_10device_ptrIfEEEESD_jNS0_19identity_decomposerEEE10hipError_tT1_T2_PT3_SI_jT4_jjP12ihipStream_tbEUlT_E0_NS1_11comp_targetILNS1_3genE3ELNS1_11target_archE908ELNS1_3gpuE7ELNS1_3repE0EEENS1_52radix_sort_onesweep_histogram_config_static_selectorELNS0_4arch9wavefront6targetE1EEEvSG_,comdat
.Lfunc_end292:
	.size	_ZN7rocprim17ROCPRIM_400000_NS6detail17trampoline_kernelINS0_14default_configENS1_35radix_sort_onesweep_config_selectorIffEEZNS1_34radix_sort_onesweep_global_offsetsIS3_Lb0EN6thrust23THRUST_200600_302600_NS6detail15normal_iteratorINS8_10device_ptrIfEEEESD_jNS0_19identity_decomposerEEE10hipError_tT1_T2_PT3_SI_jT4_jjP12ihipStream_tbEUlT_E0_NS1_11comp_targetILNS1_3genE3ELNS1_11target_archE908ELNS1_3gpuE7ELNS1_3repE0EEENS1_52radix_sort_onesweep_histogram_config_static_selectorELNS0_4arch9wavefront6targetE1EEEvSG_, .Lfunc_end292-_ZN7rocprim17ROCPRIM_400000_NS6detail17trampoline_kernelINS0_14default_configENS1_35radix_sort_onesweep_config_selectorIffEEZNS1_34radix_sort_onesweep_global_offsetsIS3_Lb0EN6thrust23THRUST_200600_302600_NS6detail15normal_iteratorINS8_10device_ptrIfEEEESD_jNS0_19identity_decomposerEEE10hipError_tT1_T2_PT3_SI_jT4_jjP12ihipStream_tbEUlT_E0_NS1_11comp_targetILNS1_3genE3ELNS1_11target_archE908ELNS1_3gpuE7ELNS1_3repE0EEENS1_52radix_sort_onesweep_histogram_config_static_selectorELNS0_4arch9wavefront6targetE1EEEvSG_
                                        ; -- End function
	.set _ZN7rocprim17ROCPRIM_400000_NS6detail17trampoline_kernelINS0_14default_configENS1_35radix_sort_onesweep_config_selectorIffEEZNS1_34radix_sort_onesweep_global_offsetsIS3_Lb0EN6thrust23THRUST_200600_302600_NS6detail15normal_iteratorINS8_10device_ptrIfEEEESD_jNS0_19identity_decomposerEEE10hipError_tT1_T2_PT3_SI_jT4_jjP12ihipStream_tbEUlT_E0_NS1_11comp_targetILNS1_3genE3ELNS1_11target_archE908ELNS1_3gpuE7ELNS1_3repE0EEENS1_52radix_sort_onesweep_histogram_config_static_selectorELNS0_4arch9wavefront6targetE1EEEvSG_.num_vgpr, 0
	.set _ZN7rocprim17ROCPRIM_400000_NS6detail17trampoline_kernelINS0_14default_configENS1_35radix_sort_onesweep_config_selectorIffEEZNS1_34radix_sort_onesweep_global_offsetsIS3_Lb0EN6thrust23THRUST_200600_302600_NS6detail15normal_iteratorINS8_10device_ptrIfEEEESD_jNS0_19identity_decomposerEEE10hipError_tT1_T2_PT3_SI_jT4_jjP12ihipStream_tbEUlT_E0_NS1_11comp_targetILNS1_3genE3ELNS1_11target_archE908ELNS1_3gpuE7ELNS1_3repE0EEENS1_52radix_sort_onesweep_histogram_config_static_selectorELNS0_4arch9wavefront6targetE1EEEvSG_.num_agpr, 0
	.set _ZN7rocprim17ROCPRIM_400000_NS6detail17trampoline_kernelINS0_14default_configENS1_35radix_sort_onesweep_config_selectorIffEEZNS1_34radix_sort_onesweep_global_offsetsIS3_Lb0EN6thrust23THRUST_200600_302600_NS6detail15normal_iteratorINS8_10device_ptrIfEEEESD_jNS0_19identity_decomposerEEE10hipError_tT1_T2_PT3_SI_jT4_jjP12ihipStream_tbEUlT_E0_NS1_11comp_targetILNS1_3genE3ELNS1_11target_archE908ELNS1_3gpuE7ELNS1_3repE0EEENS1_52radix_sort_onesweep_histogram_config_static_selectorELNS0_4arch9wavefront6targetE1EEEvSG_.numbered_sgpr, 0
	.set _ZN7rocprim17ROCPRIM_400000_NS6detail17trampoline_kernelINS0_14default_configENS1_35radix_sort_onesweep_config_selectorIffEEZNS1_34radix_sort_onesweep_global_offsetsIS3_Lb0EN6thrust23THRUST_200600_302600_NS6detail15normal_iteratorINS8_10device_ptrIfEEEESD_jNS0_19identity_decomposerEEE10hipError_tT1_T2_PT3_SI_jT4_jjP12ihipStream_tbEUlT_E0_NS1_11comp_targetILNS1_3genE3ELNS1_11target_archE908ELNS1_3gpuE7ELNS1_3repE0EEENS1_52radix_sort_onesweep_histogram_config_static_selectorELNS0_4arch9wavefront6targetE1EEEvSG_.num_named_barrier, 0
	.set _ZN7rocprim17ROCPRIM_400000_NS6detail17trampoline_kernelINS0_14default_configENS1_35radix_sort_onesweep_config_selectorIffEEZNS1_34radix_sort_onesweep_global_offsetsIS3_Lb0EN6thrust23THRUST_200600_302600_NS6detail15normal_iteratorINS8_10device_ptrIfEEEESD_jNS0_19identity_decomposerEEE10hipError_tT1_T2_PT3_SI_jT4_jjP12ihipStream_tbEUlT_E0_NS1_11comp_targetILNS1_3genE3ELNS1_11target_archE908ELNS1_3gpuE7ELNS1_3repE0EEENS1_52radix_sort_onesweep_histogram_config_static_selectorELNS0_4arch9wavefront6targetE1EEEvSG_.private_seg_size, 0
	.set _ZN7rocprim17ROCPRIM_400000_NS6detail17trampoline_kernelINS0_14default_configENS1_35radix_sort_onesweep_config_selectorIffEEZNS1_34radix_sort_onesweep_global_offsetsIS3_Lb0EN6thrust23THRUST_200600_302600_NS6detail15normal_iteratorINS8_10device_ptrIfEEEESD_jNS0_19identity_decomposerEEE10hipError_tT1_T2_PT3_SI_jT4_jjP12ihipStream_tbEUlT_E0_NS1_11comp_targetILNS1_3genE3ELNS1_11target_archE908ELNS1_3gpuE7ELNS1_3repE0EEENS1_52radix_sort_onesweep_histogram_config_static_selectorELNS0_4arch9wavefront6targetE1EEEvSG_.uses_vcc, 0
	.set _ZN7rocprim17ROCPRIM_400000_NS6detail17trampoline_kernelINS0_14default_configENS1_35radix_sort_onesweep_config_selectorIffEEZNS1_34radix_sort_onesweep_global_offsetsIS3_Lb0EN6thrust23THRUST_200600_302600_NS6detail15normal_iteratorINS8_10device_ptrIfEEEESD_jNS0_19identity_decomposerEEE10hipError_tT1_T2_PT3_SI_jT4_jjP12ihipStream_tbEUlT_E0_NS1_11comp_targetILNS1_3genE3ELNS1_11target_archE908ELNS1_3gpuE7ELNS1_3repE0EEENS1_52radix_sort_onesweep_histogram_config_static_selectorELNS0_4arch9wavefront6targetE1EEEvSG_.uses_flat_scratch, 0
	.set _ZN7rocprim17ROCPRIM_400000_NS6detail17trampoline_kernelINS0_14default_configENS1_35radix_sort_onesweep_config_selectorIffEEZNS1_34radix_sort_onesweep_global_offsetsIS3_Lb0EN6thrust23THRUST_200600_302600_NS6detail15normal_iteratorINS8_10device_ptrIfEEEESD_jNS0_19identity_decomposerEEE10hipError_tT1_T2_PT3_SI_jT4_jjP12ihipStream_tbEUlT_E0_NS1_11comp_targetILNS1_3genE3ELNS1_11target_archE908ELNS1_3gpuE7ELNS1_3repE0EEENS1_52radix_sort_onesweep_histogram_config_static_selectorELNS0_4arch9wavefront6targetE1EEEvSG_.has_dyn_sized_stack, 0
	.set _ZN7rocprim17ROCPRIM_400000_NS6detail17trampoline_kernelINS0_14default_configENS1_35radix_sort_onesweep_config_selectorIffEEZNS1_34radix_sort_onesweep_global_offsetsIS3_Lb0EN6thrust23THRUST_200600_302600_NS6detail15normal_iteratorINS8_10device_ptrIfEEEESD_jNS0_19identity_decomposerEEE10hipError_tT1_T2_PT3_SI_jT4_jjP12ihipStream_tbEUlT_E0_NS1_11comp_targetILNS1_3genE3ELNS1_11target_archE908ELNS1_3gpuE7ELNS1_3repE0EEENS1_52radix_sort_onesweep_histogram_config_static_selectorELNS0_4arch9wavefront6targetE1EEEvSG_.has_recursion, 0
	.set _ZN7rocprim17ROCPRIM_400000_NS6detail17trampoline_kernelINS0_14default_configENS1_35radix_sort_onesweep_config_selectorIffEEZNS1_34radix_sort_onesweep_global_offsetsIS3_Lb0EN6thrust23THRUST_200600_302600_NS6detail15normal_iteratorINS8_10device_ptrIfEEEESD_jNS0_19identity_decomposerEEE10hipError_tT1_T2_PT3_SI_jT4_jjP12ihipStream_tbEUlT_E0_NS1_11comp_targetILNS1_3genE3ELNS1_11target_archE908ELNS1_3gpuE7ELNS1_3repE0EEENS1_52radix_sort_onesweep_histogram_config_static_selectorELNS0_4arch9wavefront6targetE1EEEvSG_.has_indirect_call, 0
	.section	.AMDGPU.csdata,"",@progbits
; Kernel info:
; codeLenInByte = 0
; TotalNumSgprs: 6
; NumVgprs: 0
; NumAgprs: 0
; TotalNumVgprs: 0
; ScratchSize: 0
; MemoryBound: 0
; FloatMode: 240
; IeeeMode: 1
; LDSByteSize: 0 bytes/workgroup (compile time only)
; SGPRBlocks: 0
; VGPRBlocks: 0
; NumSGPRsForWavesPerEU: 6
; NumVGPRsForWavesPerEU: 1
; AccumOffset: 4
; Occupancy: 8
; WaveLimiterHint : 0
; COMPUTE_PGM_RSRC2:SCRATCH_EN: 0
; COMPUTE_PGM_RSRC2:USER_SGPR: 2
; COMPUTE_PGM_RSRC2:TRAP_HANDLER: 0
; COMPUTE_PGM_RSRC2:TGID_X_EN: 1
; COMPUTE_PGM_RSRC2:TGID_Y_EN: 0
; COMPUTE_PGM_RSRC2:TGID_Z_EN: 0
; COMPUTE_PGM_RSRC2:TIDIG_COMP_CNT: 0
; COMPUTE_PGM_RSRC3_GFX90A:ACCUM_OFFSET: 0
; COMPUTE_PGM_RSRC3_GFX90A:TG_SPLIT: 0
	.section	.text._ZN7rocprim17ROCPRIM_400000_NS6detail17trampoline_kernelINS0_14default_configENS1_35radix_sort_onesweep_config_selectorIffEEZNS1_34radix_sort_onesweep_global_offsetsIS3_Lb0EN6thrust23THRUST_200600_302600_NS6detail15normal_iteratorINS8_10device_ptrIfEEEESD_jNS0_19identity_decomposerEEE10hipError_tT1_T2_PT3_SI_jT4_jjP12ihipStream_tbEUlT_E0_NS1_11comp_targetILNS1_3genE10ELNS1_11target_archE1201ELNS1_3gpuE5ELNS1_3repE0EEENS1_52radix_sort_onesweep_histogram_config_static_selectorELNS0_4arch9wavefront6targetE1EEEvSG_,"axG",@progbits,_ZN7rocprim17ROCPRIM_400000_NS6detail17trampoline_kernelINS0_14default_configENS1_35radix_sort_onesweep_config_selectorIffEEZNS1_34radix_sort_onesweep_global_offsetsIS3_Lb0EN6thrust23THRUST_200600_302600_NS6detail15normal_iteratorINS8_10device_ptrIfEEEESD_jNS0_19identity_decomposerEEE10hipError_tT1_T2_PT3_SI_jT4_jjP12ihipStream_tbEUlT_E0_NS1_11comp_targetILNS1_3genE10ELNS1_11target_archE1201ELNS1_3gpuE5ELNS1_3repE0EEENS1_52radix_sort_onesweep_histogram_config_static_selectorELNS0_4arch9wavefront6targetE1EEEvSG_,comdat
	.protected	_ZN7rocprim17ROCPRIM_400000_NS6detail17trampoline_kernelINS0_14default_configENS1_35radix_sort_onesweep_config_selectorIffEEZNS1_34radix_sort_onesweep_global_offsetsIS3_Lb0EN6thrust23THRUST_200600_302600_NS6detail15normal_iteratorINS8_10device_ptrIfEEEESD_jNS0_19identity_decomposerEEE10hipError_tT1_T2_PT3_SI_jT4_jjP12ihipStream_tbEUlT_E0_NS1_11comp_targetILNS1_3genE10ELNS1_11target_archE1201ELNS1_3gpuE5ELNS1_3repE0EEENS1_52radix_sort_onesweep_histogram_config_static_selectorELNS0_4arch9wavefront6targetE1EEEvSG_ ; -- Begin function _ZN7rocprim17ROCPRIM_400000_NS6detail17trampoline_kernelINS0_14default_configENS1_35radix_sort_onesweep_config_selectorIffEEZNS1_34radix_sort_onesweep_global_offsetsIS3_Lb0EN6thrust23THRUST_200600_302600_NS6detail15normal_iteratorINS8_10device_ptrIfEEEESD_jNS0_19identity_decomposerEEE10hipError_tT1_T2_PT3_SI_jT4_jjP12ihipStream_tbEUlT_E0_NS1_11comp_targetILNS1_3genE10ELNS1_11target_archE1201ELNS1_3gpuE5ELNS1_3repE0EEENS1_52radix_sort_onesweep_histogram_config_static_selectorELNS0_4arch9wavefront6targetE1EEEvSG_
	.globl	_ZN7rocprim17ROCPRIM_400000_NS6detail17trampoline_kernelINS0_14default_configENS1_35radix_sort_onesweep_config_selectorIffEEZNS1_34radix_sort_onesweep_global_offsetsIS3_Lb0EN6thrust23THRUST_200600_302600_NS6detail15normal_iteratorINS8_10device_ptrIfEEEESD_jNS0_19identity_decomposerEEE10hipError_tT1_T2_PT3_SI_jT4_jjP12ihipStream_tbEUlT_E0_NS1_11comp_targetILNS1_3genE10ELNS1_11target_archE1201ELNS1_3gpuE5ELNS1_3repE0EEENS1_52radix_sort_onesweep_histogram_config_static_selectorELNS0_4arch9wavefront6targetE1EEEvSG_
	.p2align	8
	.type	_ZN7rocprim17ROCPRIM_400000_NS6detail17trampoline_kernelINS0_14default_configENS1_35radix_sort_onesweep_config_selectorIffEEZNS1_34radix_sort_onesweep_global_offsetsIS3_Lb0EN6thrust23THRUST_200600_302600_NS6detail15normal_iteratorINS8_10device_ptrIfEEEESD_jNS0_19identity_decomposerEEE10hipError_tT1_T2_PT3_SI_jT4_jjP12ihipStream_tbEUlT_E0_NS1_11comp_targetILNS1_3genE10ELNS1_11target_archE1201ELNS1_3gpuE5ELNS1_3repE0EEENS1_52radix_sort_onesweep_histogram_config_static_selectorELNS0_4arch9wavefront6targetE1EEEvSG_,@function
_ZN7rocprim17ROCPRIM_400000_NS6detail17trampoline_kernelINS0_14default_configENS1_35radix_sort_onesweep_config_selectorIffEEZNS1_34radix_sort_onesweep_global_offsetsIS3_Lb0EN6thrust23THRUST_200600_302600_NS6detail15normal_iteratorINS8_10device_ptrIfEEEESD_jNS0_19identity_decomposerEEE10hipError_tT1_T2_PT3_SI_jT4_jjP12ihipStream_tbEUlT_E0_NS1_11comp_targetILNS1_3genE10ELNS1_11target_archE1201ELNS1_3gpuE5ELNS1_3repE0EEENS1_52radix_sort_onesweep_histogram_config_static_selectorELNS0_4arch9wavefront6targetE1EEEvSG_: ; @_ZN7rocprim17ROCPRIM_400000_NS6detail17trampoline_kernelINS0_14default_configENS1_35radix_sort_onesweep_config_selectorIffEEZNS1_34radix_sort_onesweep_global_offsetsIS3_Lb0EN6thrust23THRUST_200600_302600_NS6detail15normal_iteratorINS8_10device_ptrIfEEEESD_jNS0_19identity_decomposerEEE10hipError_tT1_T2_PT3_SI_jT4_jjP12ihipStream_tbEUlT_E0_NS1_11comp_targetILNS1_3genE10ELNS1_11target_archE1201ELNS1_3gpuE5ELNS1_3repE0EEENS1_52radix_sort_onesweep_histogram_config_static_selectorELNS0_4arch9wavefront6targetE1EEEvSG_
; %bb.0:
	.section	.rodata,"a",@progbits
	.p2align	6, 0x0
	.amdhsa_kernel _ZN7rocprim17ROCPRIM_400000_NS6detail17trampoline_kernelINS0_14default_configENS1_35radix_sort_onesweep_config_selectorIffEEZNS1_34radix_sort_onesweep_global_offsetsIS3_Lb0EN6thrust23THRUST_200600_302600_NS6detail15normal_iteratorINS8_10device_ptrIfEEEESD_jNS0_19identity_decomposerEEE10hipError_tT1_T2_PT3_SI_jT4_jjP12ihipStream_tbEUlT_E0_NS1_11comp_targetILNS1_3genE10ELNS1_11target_archE1201ELNS1_3gpuE5ELNS1_3repE0EEENS1_52radix_sort_onesweep_histogram_config_static_selectorELNS0_4arch9wavefront6targetE1EEEvSG_
		.amdhsa_group_segment_fixed_size 0
		.amdhsa_private_segment_fixed_size 0
		.amdhsa_kernarg_size 8
		.amdhsa_user_sgpr_count 2
		.amdhsa_user_sgpr_dispatch_ptr 0
		.amdhsa_user_sgpr_queue_ptr 0
		.amdhsa_user_sgpr_kernarg_segment_ptr 1
		.amdhsa_user_sgpr_dispatch_id 0
		.amdhsa_user_sgpr_kernarg_preload_length 0
		.amdhsa_user_sgpr_kernarg_preload_offset 0
		.amdhsa_user_sgpr_private_segment_size 0
		.amdhsa_uses_dynamic_stack 0
		.amdhsa_enable_private_segment 0
		.amdhsa_system_sgpr_workgroup_id_x 1
		.amdhsa_system_sgpr_workgroup_id_y 0
		.amdhsa_system_sgpr_workgroup_id_z 0
		.amdhsa_system_sgpr_workgroup_info 0
		.amdhsa_system_vgpr_workitem_id 0
		.amdhsa_next_free_vgpr 1
		.amdhsa_next_free_sgpr 0
		.amdhsa_accum_offset 4
		.amdhsa_reserve_vcc 0
		.amdhsa_float_round_mode_32 0
		.amdhsa_float_round_mode_16_64 0
		.amdhsa_float_denorm_mode_32 3
		.amdhsa_float_denorm_mode_16_64 3
		.amdhsa_dx10_clamp 1
		.amdhsa_ieee_mode 1
		.amdhsa_fp16_overflow 0
		.amdhsa_tg_split 0
		.amdhsa_exception_fp_ieee_invalid_op 0
		.amdhsa_exception_fp_denorm_src 0
		.amdhsa_exception_fp_ieee_div_zero 0
		.amdhsa_exception_fp_ieee_overflow 0
		.amdhsa_exception_fp_ieee_underflow 0
		.amdhsa_exception_fp_ieee_inexact 0
		.amdhsa_exception_int_div_zero 0
	.end_amdhsa_kernel
	.section	.text._ZN7rocprim17ROCPRIM_400000_NS6detail17trampoline_kernelINS0_14default_configENS1_35radix_sort_onesweep_config_selectorIffEEZNS1_34radix_sort_onesweep_global_offsetsIS3_Lb0EN6thrust23THRUST_200600_302600_NS6detail15normal_iteratorINS8_10device_ptrIfEEEESD_jNS0_19identity_decomposerEEE10hipError_tT1_T2_PT3_SI_jT4_jjP12ihipStream_tbEUlT_E0_NS1_11comp_targetILNS1_3genE10ELNS1_11target_archE1201ELNS1_3gpuE5ELNS1_3repE0EEENS1_52radix_sort_onesweep_histogram_config_static_selectorELNS0_4arch9wavefront6targetE1EEEvSG_,"axG",@progbits,_ZN7rocprim17ROCPRIM_400000_NS6detail17trampoline_kernelINS0_14default_configENS1_35radix_sort_onesweep_config_selectorIffEEZNS1_34radix_sort_onesweep_global_offsetsIS3_Lb0EN6thrust23THRUST_200600_302600_NS6detail15normal_iteratorINS8_10device_ptrIfEEEESD_jNS0_19identity_decomposerEEE10hipError_tT1_T2_PT3_SI_jT4_jjP12ihipStream_tbEUlT_E0_NS1_11comp_targetILNS1_3genE10ELNS1_11target_archE1201ELNS1_3gpuE5ELNS1_3repE0EEENS1_52radix_sort_onesweep_histogram_config_static_selectorELNS0_4arch9wavefront6targetE1EEEvSG_,comdat
.Lfunc_end293:
	.size	_ZN7rocprim17ROCPRIM_400000_NS6detail17trampoline_kernelINS0_14default_configENS1_35radix_sort_onesweep_config_selectorIffEEZNS1_34radix_sort_onesweep_global_offsetsIS3_Lb0EN6thrust23THRUST_200600_302600_NS6detail15normal_iteratorINS8_10device_ptrIfEEEESD_jNS0_19identity_decomposerEEE10hipError_tT1_T2_PT3_SI_jT4_jjP12ihipStream_tbEUlT_E0_NS1_11comp_targetILNS1_3genE10ELNS1_11target_archE1201ELNS1_3gpuE5ELNS1_3repE0EEENS1_52radix_sort_onesweep_histogram_config_static_selectorELNS0_4arch9wavefront6targetE1EEEvSG_, .Lfunc_end293-_ZN7rocprim17ROCPRIM_400000_NS6detail17trampoline_kernelINS0_14default_configENS1_35radix_sort_onesweep_config_selectorIffEEZNS1_34radix_sort_onesweep_global_offsetsIS3_Lb0EN6thrust23THRUST_200600_302600_NS6detail15normal_iteratorINS8_10device_ptrIfEEEESD_jNS0_19identity_decomposerEEE10hipError_tT1_T2_PT3_SI_jT4_jjP12ihipStream_tbEUlT_E0_NS1_11comp_targetILNS1_3genE10ELNS1_11target_archE1201ELNS1_3gpuE5ELNS1_3repE0EEENS1_52radix_sort_onesweep_histogram_config_static_selectorELNS0_4arch9wavefront6targetE1EEEvSG_
                                        ; -- End function
	.set _ZN7rocprim17ROCPRIM_400000_NS6detail17trampoline_kernelINS0_14default_configENS1_35radix_sort_onesweep_config_selectorIffEEZNS1_34radix_sort_onesweep_global_offsetsIS3_Lb0EN6thrust23THRUST_200600_302600_NS6detail15normal_iteratorINS8_10device_ptrIfEEEESD_jNS0_19identity_decomposerEEE10hipError_tT1_T2_PT3_SI_jT4_jjP12ihipStream_tbEUlT_E0_NS1_11comp_targetILNS1_3genE10ELNS1_11target_archE1201ELNS1_3gpuE5ELNS1_3repE0EEENS1_52radix_sort_onesweep_histogram_config_static_selectorELNS0_4arch9wavefront6targetE1EEEvSG_.num_vgpr, 0
	.set _ZN7rocprim17ROCPRIM_400000_NS6detail17trampoline_kernelINS0_14default_configENS1_35radix_sort_onesweep_config_selectorIffEEZNS1_34radix_sort_onesweep_global_offsetsIS3_Lb0EN6thrust23THRUST_200600_302600_NS6detail15normal_iteratorINS8_10device_ptrIfEEEESD_jNS0_19identity_decomposerEEE10hipError_tT1_T2_PT3_SI_jT4_jjP12ihipStream_tbEUlT_E0_NS1_11comp_targetILNS1_3genE10ELNS1_11target_archE1201ELNS1_3gpuE5ELNS1_3repE0EEENS1_52radix_sort_onesweep_histogram_config_static_selectorELNS0_4arch9wavefront6targetE1EEEvSG_.num_agpr, 0
	.set _ZN7rocprim17ROCPRIM_400000_NS6detail17trampoline_kernelINS0_14default_configENS1_35radix_sort_onesweep_config_selectorIffEEZNS1_34radix_sort_onesweep_global_offsetsIS3_Lb0EN6thrust23THRUST_200600_302600_NS6detail15normal_iteratorINS8_10device_ptrIfEEEESD_jNS0_19identity_decomposerEEE10hipError_tT1_T2_PT3_SI_jT4_jjP12ihipStream_tbEUlT_E0_NS1_11comp_targetILNS1_3genE10ELNS1_11target_archE1201ELNS1_3gpuE5ELNS1_3repE0EEENS1_52radix_sort_onesweep_histogram_config_static_selectorELNS0_4arch9wavefront6targetE1EEEvSG_.numbered_sgpr, 0
	.set _ZN7rocprim17ROCPRIM_400000_NS6detail17trampoline_kernelINS0_14default_configENS1_35radix_sort_onesweep_config_selectorIffEEZNS1_34radix_sort_onesweep_global_offsetsIS3_Lb0EN6thrust23THRUST_200600_302600_NS6detail15normal_iteratorINS8_10device_ptrIfEEEESD_jNS0_19identity_decomposerEEE10hipError_tT1_T2_PT3_SI_jT4_jjP12ihipStream_tbEUlT_E0_NS1_11comp_targetILNS1_3genE10ELNS1_11target_archE1201ELNS1_3gpuE5ELNS1_3repE0EEENS1_52radix_sort_onesweep_histogram_config_static_selectorELNS0_4arch9wavefront6targetE1EEEvSG_.num_named_barrier, 0
	.set _ZN7rocprim17ROCPRIM_400000_NS6detail17trampoline_kernelINS0_14default_configENS1_35radix_sort_onesweep_config_selectorIffEEZNS1_34radix_sort_onesweep_global_offsetsIS3_Lb0EN6thrust23THRUST_200600_302600_NS6detail15normal_iteratorINS8_10device_ptrIfEEEESD_jNS0_19identity_decomposerEEE10hipError_tT1_T2_PT3_SI_jT4_jjP12ihipStream_tbEUlT_E0_NS1_11comp_targetILNS1_3genE10ELNS1_11target_archE1201ELNS1_3gpuE5ELNS1_3repE0EEENS1_52radix_sort_onesweep_histogram_config_static_selectorELNS0_4arch9wavefront6targetE1EEEvSG_.private_seg_size, 0
	.set _ZN7rocprim17ROCPRIM_400000_NS6detail17trampoline_kernelINS0_14default_configENS1_35radix_sort_onesweep_config_selectorIffEEZNS1_34radix_sort_onesweep_global_offsetsIS3_Lb0EN6thrust23THRUST_200600_302600_NS6detail15normal_iteratorINS8_10device_ptrIfEEEESD_jNS0_19identity_decomposerEEE10hipError_tT1_T2_PT3_SI_jT4_jjP12ihipStream_tbEUlT_E0_NS1_11comp_targetILNS1_3genE10ELNS1_11target_archE1201ELNS1_3gpuE5ELNS1_3repE0EEENS1_52radix_sort_onesweep_histogram_config_static_selectorELNS0_4arch9wavefront6targetE1EEEvSG_.uses_vcc, 0
	.set _ZN7rocprim17ROCPRIM_400000_NS6detail17trampoline_kernelINS0_14default_configENS1_35radix_sort_onesweep_config_selectorIffEEZNS1_34radix_sort_onesweep_global_offsetsIS3_Lb0EN6thrust23THRUST_200600_302600_NS6detail15normal_iteratorINS8_10device_ptrIfEEEESD_jNS0_19identity_decomposerEEE10hipError_tT1_T2_PT3_SI_jT4_jjP12ihipStream_tbEUlT_E0_NS1_11comp_targetILNS1_3genE10ELNS1_11target_archE1201ELNS1_3gpuE5ELNS1_3repE0EEENS1_52radix_sort_onesweep_histogram_config_static_selectorELNS0_4arch9wavefront6targetE1EEEvSG_.uses_flat_scratch, 0
	.set _ZN7rocprim17ROCPRIM_400000_NS6detail17trampoline_kernelINS0_14default_configENS1_35radix_sort_onesweep_config_selectorIffEEZNS1_34radix_sort_onesweep_global_offsetsIS3_Lb0EN6thrust23THRUST_200600_302600_NS6detail15normal_iteratorINS8_10device_ptrIfEEEESD_jNS0_19identity_decomposerEEE10hipError_tT1_T2_PT3_SI_jT4_jjP12ihipStream_tbEUlT_E0_NS1_11comp_targetILNS1_3genE10ELNS1_11target_archE1201ELNS1_3gpuE5ELNS1_3repE0EEENS1_52radix_sort_onesweep_histogram_config_static_selectorELNS0_4arch9wavefront6targetE1EEEvSG_.has_dyn_sized_stack, 0
	.set _ZN7rocprim17ROCPRIM_400000_NS6detail17trampoline_kernelINS0_14default_configENS1_35radix_sort_onesweep_config_selectorIffEEZNS1_34radix_sort_onesweep_global_offsetsIS3_Lb0EN6thrust23THRUST_200600_302600_NS6detail15normal_iteratorINS8_10device_ptrIfEEEESD_jNS0_19identity_decomposerEEE10hipError_tT1_T2_PT3_SI_jT4_jjP12ihipStream_tbEUlT_E0_NS1_11comp_targetILNS1_3genE10ELNS1_11target_archE1201ELNS1_3gpuE5ELNS1_3repE0EEENS1_52radix_sort_onesweep_histogram_config_static_selectorELNS0_4arch9wavefront6targetE1EEEvSG_.has_recursion, 0
	.set _ZN7rocprim17ROCPRIM_400000_NS6detail17trampoline_kernelINS0_14default_configENS1_35radix_sort_onesweep_config_selectorIffEEZNS1_34radix_sort_onesweep_global_offsetsIS3_Lb0EN6thrust23THRUST_200600_302600_NS6detail15normal_iteratorINS8_10device_ptrIfEEEESD_jNS0_19identity_decomposerEEE10hipError_tT1_T2_PT3_SI_jT4_jjP12ihipStream_tbEUlT_E0_NS1_11comp_targetILNS1_3genE10ELNS1_11target_archE1201ELNS1_3gpuE5ELNS1_3repE0EEENS1_52radix_sort_onesweep_histogram_config_static_selectorELNS0_4arch9wavefront6targetE1EEEvSG_.has_indirect_call, 0
	.section	.AMDGPU.csdata,"",@progbits
; Kernel info:
; codeLenInByte = 0
; TotalNumSgprs: 6
; NumVgprs: 0
; NumAgprs: 0
; TotalNumVgprs: 0
; ScratchSize: 0
; MemoryBound: 0
; FloatMode: 240
; IeeeMode: 1
; LDSByteSize: 0 bytes/workgroup (compile time only)
; SGPRBlocks: 0
; VGPRBlocks: 0
; NumSGPRsForWavesPerEU: 6
; NumVGPRsForWavesPerEU: 1
; AccumOffset: 4
; Occupancy: 8
; WaveLimiterHint : 0
; COMPUTE_PGM_RSRC2:SCRATCH_EN: 0
; COMPUTE_PGM_RSRC2:USER_SGPR: 2
; COMPUTE_PGM_RSRC2:TRAP_HANDLER: 0
; COMPUTE_PGM_RSRC2:TGID_X_EN: 1
; COMPUTE_PGM_RSRC2:TGID_Y_EN: 0
; COMPUTE_PGM_RSRC2:TGID_Z_EN: 0
; COMPUTE_PGM_RSRC2:TIDIG_COMP_CNT: 0
; COMPUTE_PGM_RSRC3_GFX90A:ACCUM_OFFSET: 0
; COMPUTE_PGM_RSRC3_GFX90A:TG_SPLIT: 0
	.section	.text._ZN7rocprim17ROCPRIM_400000_NS6detail17trampoline_kernelINS0_14default_configENS1_35radix_sort_onesweep_config_selectorIffEEZNS1_34radix_sort_onesweep_global_offsetsIS3_Lb0EN6thrust23THRUST_200600_302600_NS6detail15normal_iteratorINS8_10device_ptrIfEEEESD_jNS0_19identity_decomposerEEE10hipError_tT1_T2_PT3_SI_jT4_jjP12ihipStream_tbEUlT_E0_NS1_11comp_targetILNS1_3genE9ELNS1_11target_archE1100ELNS1_3gpuE3ELNS1_3repE0EEENS1_52radix_sort_onesweep_histogram_config_static_selectorELNS0_4arch9wavefront6targetE1EEEvSG_,"axG",@progbits,_ZN7rocprim17ROCPRIM_400000_NS6detail17trampoline_kernelINS0_14default_configENS1_35radix_sort_onesweep_config_selectorIffEEZNS1_34radix_sort_onesweep_global_offsetsIS3_Lb0EN6thrust23THRUST_200600_302600_NS6detail15normal_iteratorINS8_10device_ptrIfEEEESD_jNS0_19identity_decomposerEEE10hipError_tT1_T2_PT3_SI_jT4_jjP12ihipStream_tbEUlT_E0_NS1_11comp_targetILNS1_3genE9ELNS1_11target_archE1100ELNS1_3gpuE3ELNS1_3repE0EEENS1_52radix_sort_onesweep_histogram_config_static_selectorELNS0_4arch9wavefront6targetE1EEEvSG_,comdat
	.protected	_ZN7rocprim17ROCPRIM_400000_NS6detail17trampoline_kernelINS0_14default_configENS1_35radix_sort_onesweep_config_selectorIffEEZNS1_34radix_sort_onesweep_global_offsetsIS3_Lb0EN6thrust23THRUST_200600_302600_NS6detail15normal_iteratorINS8_10device_ptrIfEEEESD_jNS0_19identity_decomposerEEE10hipError_tT1_T2_PT3_SI_jT4_jjP12ihipStream_tbEUlT_E0_NS1_11comp_targetILNS1_3genE9ELNS1_11target_archE1100ELNS1_3gpuE3ELNS1_3repE0EEENS1_52radix_sort_onesweep_histogram_config_static_selectorELNS0_4arch9wavefront6targetE1EEEvSG_ ; -- Begin function _ZN7rocprim17ROCPRIM_400000_NS6detail17trampoline_kernelINS0_14default_configENS1_35radix_sort_onesweep_config_selectorIffEEZNS1_34radix_sort_onesweep_global_offsetsIS3_Lb0EN6thrust23THRUST_200600_302600_NS6detail15normal_iteratorINS8_10device_ptrIfEEEESD_jNS0_19identity_decomposerEEE10hipError_tT1_T2_PT3_SI_jT4_jjP12ihipStream_tbEUlT_E0_NS1_11comp_targetILNS1_3genE9ELNS1_11target_archE1100ELNS1_3gpuE3ELNS1_3repE0EEENS1_52radix_sort_onesweep_histogram_config_static_selectorELNS0_4arch9wavefront6targetE1EEEvSG_
	.globl	_ZN7rocprim17ROCPRIM_400000_NS6detail17trampoline_kernelINS0_14default_configENS1_35radix_sort_onesweep_config_selectorIffEEZNS1_34radix_sort_onesweep_global_offsetsIS3_Lb0EN6thrust23THRUST_200600_302600_NS6detail15normal_iteratorINS8_10device_ptrIfEEEESD_jNS0_19identity_decomposerEEE10hipError_tT1_T2_PT3_SI_jT4_jjP12ihipStream_tbEUlT_E0_NS1_11comp_targetILNS1_3genE9ELNS1_11target_archE1100ELNS1_3gpuE3ELNS1_3repE0EEENS1_52radix_sort_onesweep_histogram_config_static_selectorELNS0_4arch9wavefront6targetE1EEEvSG_
	.p2align	8
	.type	_ZN7rocprim17ROCPRIM_400000_NS6detail17trampoline_kernelINS0_14default_configENS1_35radix_sort_onesweep_config_selectorIffEEZNS1_34radix_sort_onesweep_global_offsetsIS3_Lb0EN6thrust23THRUST_200600_302600_NS6detail15normal_iteratorINS8_10device_ptrIfEEEESD_jNS0_19identity_decomposerEEE10hipError_tT1_T2_PT3_SI_jT4_jjP12ihipStream_tbEUlT_E0_NS1_11comp_targetILNS1_3genE9ELNS1_11target_archE1100ELNS1_3gpuE3ELNS1_3repE0EEENS1_52radix_sort_onesweep_histogram_config_static_selectorELNS0_4arch9wavefront6targetE1EEEvSG_,@function
_ZN7rocprim17ROCPRIM_400000_NS6detail17trampoline_kernelINS0_14default_configENS1_35radix_sort_onesweep_config_selectorIffEEZNS1_34radix_sort_onesweep_global_offsetsIS3_Lb0EN6thrust23THRUST_200600_302600_NS6detail15normal_iteratorINS8_10device_ptrIfEEEESD_jNS0_19identity_decomposerEEE10hipError_tT1_T2_PT3_SI_jT4_jjP12ihipStream_tbEUlT_E0_NS1_11comp_targetILNS1_3genE9ELNS1_11target_archE1100ELNS1_3gpuE3ELNS1_3repE0EEENS1_52radix_sort_onesweep_histogram_config_static_selectorELNS0_4arch9wavefront6targetE1EEEvSG_: ; @_ZN7rocprim17ROCPRIM_400000_NS6detail17trampoline_kernelINS0_14default_configENS1_35radix_sort_onesweep_config_selectorIffEEZNS1_34radix_sort_onesweep_global_offsetsIS3_Lb0EN6thrust23THRUST_200600_302600_NS6detail15normal_iteratorINS8_10device_ptrIfEEEESD_jNS0_19identity_decomposerEEE10hipError_tT1_T2_PT3_SI_jT4_jjP12ihipStream_tbEUlT_E0_NS1_11comp_targetILNS1_3genE9ELNS1_11target_archE1100ELNS1_3gpuE3ELNS1_3repE0EEENS1_52radix_sort_onesweep_histogram_config_static_selectorELNS0_4arch9wavefront6targetE1EEEvSG_
; %bb.0:
	.section	.rodata,"a",@progbits
	.p2align	6, 0x0
	.amdhsa_kernel _ZN7rocprim17ROCPRIM_400000_NS6detail17trampoline_kernelINS0_14default_configENS1_35radix_sort_onesweep_config_selectorIffEEZNS1_34radix_sort_onesweep_global_offsetsIS3_Lb0EN6thrust23THRUST_200600_302600_NS6detail15normal_iteratorINS8_10device_ptrIfEEEESD_jNS0_19identity_decomposerEEE10hipError_tT1_T2_PT3_SI_jT4_jjP12ihipStream_tbEUlT_E0_NS1_11comp_targetILNS1_3genE9ELNS1_11target_archE1100ELNS1_3gpuE3ELNS1_3repE0EEENS1_52radix_sort_onesweep_histogram_config_static_selectorELNS0_4arch9wavefront6targetE1EEEvSG_
		.amdhsa_group_segment_fixed_size 0
		.amdhsa_private_segment_fixed_size 0
		.amdhsa_kernarg_size 8
		.amdhsa_user_sgpr_count 2
		.amdhsa_user_sgpr_dispatch_ptr 0
		.amdhsa_user_sgpr_queue_ptr 0
		.amdhsa_user_sgpr_kernarg_segment_ptr 1
		.amdhsa_user_sgpr_dispatch_id 0
		.amdhsa_user_sgpr_kernarg_preload_length 0
		.amdhsa_user_sgpr_kernarg_preload_offset 0
		.amdhsa_user_sgpr_private_segment_size 0
		.amdhsa_uses_dynamic_stack 0
		.amdhsa_enable_private_segment 0
		.amdhsa_system_sgpr_workgroup_id_x 1
		.amdhsa_system_sgpr_workgroup_id_y 0
		.amdhsa_system_sgpr_workgroup_id_z 0
		.amdhsa_system_sgpr_workgroup_info 0
		.amdhsa_system_vgpr_workitem_id 0
		.amdhsa_next_free_vgpr 1
		.amdhsa_next_free_sgpr 0
		.amdhsa_accum_offset 4
		.amdhsa_reserve_vcc 0
		.amdhsa_float_round_mode_32 0
		.amdhsa_float_round_mode_16_64 0
		.amdhsa_float_denorm_mode_32 3
		.amdhsa_float_denorm_mode_16_64 3
		.amdhsa_dx10_clamp 1
		.amdhsa_ieee_mode 1
		.amdhsa_fp16_overflow 0
		.amdhsa_tg_split 0
		.amdhsa_exception_fp_ieee_invalid_op 0
		.amdhsa_exception_fp_denorm_src 0
		.amdhsa_exception_fp_ieee_div_zero 0
		.amdhsa_exception_fp_ieee_overflow 0
		.amdhsa_exception_fp_ieee_underflow 0
		.amdhsa_exception_fp_ieee_inexact 0
		.amdhsa_exception_int_div_zero 0
	.end_amdhsa_kernel
	.section	.text._ZN7rocprim17ROCPRIM_400000_NS6detail17trampoline_kernelINS0_14default_configENS1_35radix_sort_onesweep_config_selectorIffEEZNS1_34radix_sort_onesweep_global_offsetsIS3_Lb0EN6thrust23THRUST_200600_302600_NS6detail15normal_iteratorINS8_10device_ptrIfEEEESD_jNS0_19identity_decomposerEEE10hipError_tT1_T2_PT3_SI_jT4_jjP12ihipStream_tbEUlT_E0_NS1_11comp_targetILNS1_3genE9ELNS1_11target_archE1100ELNS1_3gpuE3ELNS1_3repE0EEENS1_52radix_sort_onesweep_histogram_config_static_selectorELNS0_4arch9wavefront6targetE1EEEvSG_,"axG",@progbits,_ZN7rocprim17ROCPRIM_400000_NS6detail17trampoline_kernelINS0_14default_configENS1_35radix_sort_onesweep_config_selectorIffEEZNS1_34radix_sort_onesweep_global_offsetsIS3_Lb0EN6thrust23THRUST_200600_302600_NS6detail15normal_iteratorINS8_10device_ptrIfEEEESD_jNS0_19identity_decomposerEEE10hipError_tT1_T2_PT3_SI_jT4_jjP12ihipStream_tbEUlT_E0_NS1_11comp_targetILNS1_3genE9ELNS1_11target_archE1100ELNS1_3gpuE3ELNS1_3repE0EEENS1_52radix_sort_onesweep_histogram_config_static_selectorELNS0_4arch9wavefront6targetE1EEEvSG_,comdat
.Lfunc_end294:
	.size	_ZN7rocprim17ROCPRIM_400000_NS6detail17trampoline_kernelINS0_14default_configENS1_35radix_sort_onesweep_config_selectorIffEEZNS1_34radix_sort_onesweep_global_offsetsIS3_Lb0EN6thrust23THRUST_200600_302600_NS6detail15normal_iteratorINS8_10device_ptrIfEEEESD_jNS0_19identity_decomposerEEE10hipError_tT1_T2_PT3_SI_jT4_jjP12ihipStream_tbEUlT_E0_NS1_11comp_targetILNS1_3genE9ELNS1_11target_archE1100ELNS1_3gpuE3ELNS1_3repE0EEENS1_52radix_sort_onesweep_histogram_config_static_selectorELNS0_4arch9wavefront6targetE1EEEvSG_, .Lfunc_end294-_ZN7rocprim17ROCPRIM_400000_NS6detail17trampoline_kernelINS0_14default_configENS1_35radix_sort_onesweep_config_selectorIffEEZNS1_34radix_sort_onesweep_global_offsetsIS3_Lb0EN6thrust23THRUST_200600_302600_NS6detail15normal_iteratorINS8_10device_ptrIfEEEESD_jNS0_19identity_decomposerEEE10hipError_tT1_T2_PT3_SI_jT4_jjP12ihipStream_tbEUlT_E0_NS1_11comp_targetILNS1_3genE9ELNS1_11target_archE1100ELNS1_3gpuE3ELNS1_3repE0EEENS1_52radix_sort_onesweep_histogram_config_static_selectorELNS0_4arch9wavefront6targetE1EEEvSG_
                                        ; -- End function
	.set _ZN7rocprim17ROCPRIM_400000_NS6detail17trampoline_kernelINS0_14default_configENS1_35radix_sort_onesweep_config_selectorIffEEZNS1_34radix_sort_onesweep_global_offsetsIS3_Lb0EN6thrust23THRUST_200600_302600_NS6detail15normal_iteratorINS8_10device_ptrIfEEEESD_jNS0_19identity_decomposerEEE10hipError_tT1_T2_PT3_SI_jT4_jjP12ihipStream_tbEUlT_E0_NS1_11comp_targetILNS1_3genE9ELNS1_11target_archE1100ELNS1_3gpuE3ELNS1_3repE0EEENS1_52radix_sort_onesweep_histogram_config_static_selectorELNS0_4arch9wavefront6targetE1EEEvSG_.num_vgpr, 0
	.set _ZN7rocprim17ROCPRIM_400000_NS6detail17trampoline_kernelINS0_14default_configENS1_35radix_sort_onesweep_config_selectorIffEEZNS1_34radix_sort_onesweep_global_offsetsIS3_Lb0EN6thrust23THRUST_200600_302600_NS6detail15normal_iteratorINS8_10device_ptrIfEEEESD_jNS0_19identity_decomposerEEE10hipError_tT1_T2_PT3_SI_jT4_jjP12ihipStream_tbEUlT_E0_NS1_11comp_targetILNS1_3genE9ELNS1_11target_archE1100ELNS1_3gpuE3ELNS1_3repE0EEENS1_52radix_sort_onesweep_histogram_config_static_selectorELNS0_4arch9wavefront6targetE1EEEvSG_.num_agpr, 0
	.set _ZN7rocprim17ROCPRIM_400000_NS6detail17trampoline_kernelINS0_14default_configENS1_35radix_sort_onesweep_config_selectorIffEEZNS1_34radix_sort_onesweep_global_offsetsIS3_Lb0EN6thrust23THRUST_200600_302600_NS6detail15normal_iteratorINS8_10device_ptrIfEEEESD_jNS0_19identity_decomposerEEE10hipError_tT1_T2_PT3_SI_jT4_jjP12ihipStream_tbEUlT_E0_NS1_11comp_targetILNS1_3genE9ELNS1_11target_archE1100ELNS1_3gpuE3ELNS1_3repE0EEENS1_52radix_sort_onesweep_histogram_config_static_selectorELNS0_4arch9wavefront6targetE1EEEvSG_.numbered_sgpr, 0
	.set _ZN7rocprim17ROCPRIM_400000_NS6detail17trampoline_kernelINS0_14default_configENS1_35radix_sort_onesweep_config_selectorIffEEZNS1_34radix_sort_onesweep_global_offsetsIS3_Lb0EN6thrust23THRUST_200600_302600_NS6detail15normal_iteratorINS8_10device_ptrIfEEEESD_jNS0_19identity_decomposerEEE10hipError_tT1_T2_PT3_SI_jT4_jjP12ihipStream_tbEUlT_E0_NS1_11comp_targetILNS1_3genE9ELNS1_11target_archE1100ELNS1_3gpuE3ELNS1_3repE0EEENS1_52radix_sort_onesweep_histogram_config_static_selectorELNS0_4arch9wavefront6targetE1EEEvSG_.num_named_barrier, 0
	.set _ZN7rocprim17ROCPRIM_400000_NS6detail17trampoline_kernelINS0_14default_configENS1_35radix_sort_onesweep_config_selectorIffEEZNS1_34radix_sort_onesweep_global_offsetsIS3_Lb0EN6thrust23THRUST_200600_302600_NS6detail15normal_iteratorINS8_10device_ptrIfEEEESD_jNS0_19identity_decomposerEEE10hipError_tT1_T2_PT3_SI_jT4_jjP12ihipStream_tbEUlT_E0_NS1_11comp_targetILNS1_3genE9ELNS1_11target_archE1100ELNS1_3gpuE3ELNS1_3repE0EEENS1_52radix_sort_onesweep_histogram_config_static_selectorELNS0_4arch9wavefront6targetE1EEEvSG_.private_seg_size, 0
	.set _ZN7rocprim17ROCPRIM_400000_NS6detail17trampoline_kernelINS0_14default_configENS1_35radix_sort_onesweep_config_selectorIffEEZNS1_34radix_sort_onesweep_global_offsetsIS3_Lb0EN6thrust23THRUST_200600_302600_NS6detail15normal_iteratorINS8_10device_ptrIfEEEESD_jNS0_19identity_decomposerEEE10hipError_tT1_T2_PT3_SI_jT4_jjP12ihipStream_tbEUlT_E0_NS1_11comp_targetILNS1_3genE9ELNS1_11target_archE1100ELNS1_3gpuE3ELNS1_3repE0EEENS1_52radix_sort_onesweep_histogram_config_static_selectorELNS0_4arch9wavefront6targetE1EEEvSG_.uses_vcc, 0
	.set _ZN7rocprim17ROCPRIM_400000_NS6detail17trampoline_kernelINS0_14default_configENS1_35radix_sort_onesweep_config_selectorIffEEZNS1_34radix_sort_onesweep_global_offsetsIS3_Lb0EN6thrust23THRUST_200600_302600_NS6detail15normal_iteratorINS8_10device_ptrIfEEEESD_jNS0_19identity_decomposerEEE10hipError_tT1_T2_PT3_SI_jT4_jjP12ihipStream_tbEUlT_E0_NS1_11comp_targetILNS1_3genE9ELNS1_11target_archE1100ELNS1_3gpuE3ELNS1_3repE0EEENS1_52radix_sort_onesweep_histogram_config_static_selectorELNS0_4arch9wavefront6targetE1EEEvSG_.uses_flat_scratch, 0
	.set _ZN7rocprim17ROCPRIM_400000_NS6detail17trampoline_kernelINS0_14default_configENS1_35radix_sort_onesweep_config_selectorIffEEZNS1_34radix_sort_onesweep_global_offsetsIS3_Lb0EN6thrust23THRUST_200600_302600_NS6detail15normal_iteratorINS8_10device_ptrIfEEEESD_jNS0_19identity_decomposerEEE10hipError_tT1_T2_PT3_SI_jT4_jjP12ihipStream_tbEUlT_E0_NS1_11comp_targetILNS1_3genE9ELNS1_11target_archE1100ELNS1_3gpuE3ELNS1_3repE0EEENS1_52radix_sort_onesweep_histogram_config_static_selectorELNS0_4arch9wavefront6targetE1EEEvSG_.has_dyn_sized_stack, 0
	.set _ZN7rocprim17ROCPRIM_400000_NS6detail17trampoline_kernelINS0_14default_configENS1_35radix_sort_onesweep_config_selectorIffEEZNS1_34radix_sort_onesweep_global_offsetsIS3_Lb0EN6thrust23THRUST_200600_302600_NS6detail15normal_iteratorINS8_10device_ptrIfEEEESD_jNS0_19identity_decomposerEEE10hipError_tT1_T2_PT3_SI_jT4_jjP12ihipStream_tbEUlT_E0_NS1_11comp_targetILNS1_3genE9ELNS1_11target_archE1100ELNS1_3gpuE3ELNS1_3repE0EEENS1_52radix_sort_onesweep_histogram_config_static_selectorELNS0_4arch9wavefront6targetE1EEEvSG_.has_recursion, 0
	.set _ZN7rocprim17ROCPRIM_400000_NS6detail17trampoline_kernelINS0_14default_configENS1_35radix_sort_onesweep_config_selectorIffEEZNS1_34radix_sort_onesweep_global_offsetsIS3_Lb0EN6thrust23THRUST_200600_302600_NS6detail15normal_iteratorINS8_10device_ptrIfEEEESD_jNS0_19identity_decomposerEEE10hipError_tT1_T2_PT3_SI_jT4_jjP12ihipStream_tbEUlT_E0_NS1_11comp_targetILNS1_3genE9ELNS1_11target_archE1100ELNS1_3gpuE3ELNS1_3repE0EEENS1_52radix_sort_onesweep_histogram_config_static_selectorELNS0_4arch9wavefront6targetE1EEEvSG_.has_indirect_call, 0
	.section	.AMDGPU.csdata,"",@progbits
; Kernel info:
; codeLenInByte = 0
; TotalNumSgprs: 6
; NumVgprs: 0
; NumAgprs: 0
; TotalNumVgprs: 0
; ScratchSize: 0
; MemoryBound: 0
; FloatMode: 240
; IeeeMode: 1
; LDSByteSize: 0 bytes/workgroup (compile time only)
; SGPRBlocks: 0
; VGPRBlocks: 0
; NumSGPRsForWavesPerEU: 6
; NumVGPRsForWavesPerEU: 1
; AccumOffset: 4
; Occupancy: 8
; WaveLimiterHint : 0
; COMPUTE_PGM_RSRC2:SCRATCH_EN: 0
; COMPUTE_PGM_RSRC2:USER_SGPR: 2
; COMPUTE_PGM_RSRC2:TRAP_HANDLER: 0
; COMPUTE_PGM_RSRC2:TGID_X_EN: 1
; COMPUTE_PGM_RSRC2:TGID_Y_EN: 0
; COMPUTE_PGM_RSRC2:TGID_Z_EN: 0
; COMPUTE_PGM_RSRC2:TIDIG_COMP_CNT: 0
; COMPUTE_PGM_RSRC3_GFX90A:ACCUM_OFFSET: 0
; COMPUTE_PGM_RSRC3_GFX90A:TG_SPLIT: 0
	.section	.text._ZN7rocprim17ROCPRIM_400000_NS6detail17trampoline_kernelINS0_14default_configENS1_35radix_sort_onesweep_config_selectorIffEEZNS1_34radix_sort_onesweep_global_offsetsIS3_Lb0EN6thrust23THRUST_200600_302600_NS6detail15normal_iteratorINS8_10device_ptrIfEEEESD_jNS0_19identity_decomposerEEE10hipError_tT1_T2_PT3_SI_jT4_jjP12ihipStream_tbEUlT_E0_NS1_11comp_targetILNS1_3genE8ELNS1_11target_archE1030ELNS1_3gpuE2ELNS1_3repE0EEENS1_52radix_sort_onesweep_histogram_config_static_selectorELNS0_4arch9wavefront6targetE1EEEvSG_,"axG",@progbits,_ZN7rocprim17ROCPRIM_400000_NS6detail17trampoline_kernelINS0_14default_configENS1_35radix_sort_onesweep_config_selectorIffEEZNS1_34radix_sort_onesweep_global_offsetsIS3_Lb0EN6thrust23THRUST_200600_302600_NS6detail15normal_iteratorINS8_10device_ptrIfEEEESD_jNS0_19identity_decomposerEEE10hipError_tT1_T2_PT3_SI_jT4_jjP12ihipStream_tbEUlT_E0_NS1_11comp_targetILNS1_3genE8ELNS1_11target_archE1030ELNS1_3gpuE2ELNS1_3repE0EEENS1_52radix_sort_onesweep_histogram_config_static_selectorELNS0_4arch9wavefront6targetE1EEEvSG_,comdat
	.protected	_ZN7rocprim17ROCPRIM_400000_NS6detail17trampoline_kernelINS0_14default_configENS1_35radix_sort_onesweep_config_selectorIffEEZNS1_34radix_sort_onesweep_global_offsetsIS3_Lb0EN6thrust23THRUST_200600_302600_NS6detail15normal_iteratorINS8_10device_ptrIfEEEESD_jNS0_19identity_decomposerEEE10hipError_tT1_T2_PT3_SI_jT4_jjP12ihipStream_tbEUlT_E0_NS1_11comp_targetILNS1_3genE8ELNS1_11target_archE1030ELNS1_3gpuE2ELNS1_3repE0EEENS1_52radix_sort_onesweep_histogram_config_static_selectorELNS0_4arch9wavefront6targetE1EEEvSG_ ; -- Begin function _ZN7rocprim17ROCPRIM_400000_NS6detail17trampoline_kernelINS0_14default_configENS1_35radix_sort_onesweep_config_selectorIffEEZNS1_34radix_sort_onesweep_global_offsetsIS3_Lb0EN6thrust23THRUST_200600_302600_NS6detail15normal_iteratorINS8_10device_ptrIfEEEESD_jNS0_19identity_decomposerEEE10hipError_tT1_T2_PT3_SI_jT4_jjP12ihipStream_tbEUlT_E0_NS1_11comp_targetILNS1_3genE8ELNS1_11target_archE1030ELNS1_3gpuE2ELNS1_3repE0EEENS1_52radix_sort_onesweep_histogram_config_static_selectorELNS0_4arch9wavefront6targetE1EEEvSG_
	.globl	_ZN7rocprim17ROCPRIM_400000_NS6detail17trampoline_kernelINS0_14default_configENS1_35radix_sort_onesweep_config_selectorIffEEZNS1_34radix_sort_onesweep_global_offsetsIS3_Lb0EN6thrust23THRUST_200600_302600_NS6detail15normal_iteratorINS8_10device_ptrIfEEEESD_jNS0_19identity_decomposerEEE10hipError_tT1_T2_PT3_SI_jT4_jjP12ihipStream_tbEUlT_E0_NS1_11comp_targetILNS1_3genE8ELNS1_11target_archE1030ELNS1_3gpuE2ELNS1_3repE0EEENS1_52radix_sort_onesweep_histogram_config_static_selectorELNS0_4arch9wavefront6targetE1EEEvSG_
	.p2align	8
	.type	_ZN7rocprim17ROCPRIM_400000_NS6detail17trampoline_kernelINS0_14default_configENS1_35radix_sort_onesweep_config_selectorIffEEZNS1_34radix_sort_onesweep_global_offsetsIS3_Lb0EN6thrust23THRUST_200600_302600_NS6detail15normal_iteratorINS8_10device_ptrIfEEEESD_jNS0_19identity_decomposerEEE10hipError_tT1_T2_PT3_SI_jT4_jjP12ihipStream_tbEUlT_E0_NS1_11comp_targetILNS1_3genE8ELNS1_11target_archE1030ELNS1_3gpuE2ELNS1_3repE0EEENS1_52radix_sort_onesweep_histogram_config_static_selectorELNS0_4arch9wavefront6targetE1EEEvSG_,@function
_ZN7rocprim17ROCPRIM_400000_NS6detail17trampoline_kernelINS0_14default_configENS1_35radix_sort_onesweep_config_selectorIffEEZNS1_34radix_sort_onesweep_global_offsetsIS3_Lb0EN6thrust23THRUST_200600_302600_NS6detail15normal_iteratorINS8_10device_ptrIfEEEESD_jNS0_19identity_decomposerEEE10hipError_tT1_T2_PT3_SI_jT4_jjP12ihipStream_tbEUlT_E0_NS1_11comp_targetILNS1_3genE8ELNS1_11target_archE1030ELNS1_3gpuE2ELNS1_3repE0EEENS1_52radix_sort_onesweep_histogram_config_static_selectorELNS0_4arch9wavefront6targetE1EEEvSG_: ; @_ZN7rocprim17ROCPRIM_400000_NS6detail17trampoline_kernelINS0_14default_configENS1_35radix_sort_onesweep_config_selectorIffEEZNS1_34radix_sort_onesweep_global_offsetsIS3_Lb0EN6thrust23THRUST_200600_302600_NS6detail15normal_iteratorINS8_10device_ptrIfEEEESD_jNS0_19identity_decomposerEEE10hipError_tT1_T2_PT3_SI_jT4_jjP12ihipStream_tbEUlT_E0_NS1_11comp_targetILNS1_3genE8ELNS1_11target_archE1030ELNS1_3gpuE2ELNS1_3repE0EEENS1_52radix_sort_onesweep_histogram_config_static_selectorELNS0_4arch9wavefront6targetE1EEEvSG_
; %bb.0:
	.section	.rodata,"a",@progbits
	.p2align	6, 0x0
	.amdhsa_kernel _ZN7rocprim17ROCPRIM_400000_NS6detail17trampoline_kernelINS0_14default_configENS1_35radix_sort_onesweep_config_selectorIffEEZNS1_34radix_sort_onesweep_global_offsetsIS3_Lb0EN6thrust23THRUST_200600_302600_NS6detail15normal_iteratorINS8_10device_ptrIfEEEESD_jNS0_19identity_decomposerEEE10hipError_tT1_T2_PT3_SI_jT4_jjP12ihipStream_tbEUlT_E0_NS1_11comp_targetILNS1_3genE8ELNS1_11target_archE1030ELNS1_3gpuE2ELNS1_3repE0EEENS1_52radix_sort_onesweep_histogram_config_static_selectorELNS0_4arch9wavefront6targetE1EEEvSG_
		.amdhsa_group_segment_fixed_size 0
		.amdhsa_private_segment_fixed_size 0
		.amdhsa_kernarg_size 8
		.amdhsa_user_sgpr_count 2
		.amdhsa_user_sgpr_dispatch_ptr 0
		.amdhsa_user_sgpr_queue_ptr 0
		.amdhsa_user_sgpr_kernarg_segment_ptr 1
		.amdhsa_user_sgpr_dispatch_id 0
		.amdhsa_user_sgpr_kernarg_preload_length 0
		.amdhsa_user_sgpr_kernarg_preload_offset 0
		.amdhsa_user_sgpr_private_segment_size 0
		.amdhsa_uses_dynamic_stack 0
		.amdhsa_enable_private_segment 0
		.amdhsa_system_sgpr_workgroup_id_x 1
		.amdhsa_system_sgpr_workgroup_id_y 0
		.amdhsa_system_sgpr_workgroup_id_z 0
		.amdhsa_system_sgpr_workgroup_info 0
		.amdhsa_system_vgpr_workitem_id 0
		.amdhsa_next_free_vgpr 1
		.amdhsa_next_free_sgpr 0
		.amdhsa_accum_offset 4
		.amdhsa_reserve_vcc 0
		.amdhsa_float_round_mode_32 0
		.amdhsa_float_round_mode_16_64 0
		.amdhsa_float_denorm_mode_32 3
		.amdhsa_float_denorm_mode_16_64 3
		.amdhsa_dx10_clamp 1
		.amdhsa_ieee_mode 1
		.amdhsa_fp16_overflow 0
		.amdhsa_tg_split 0
		.amdhsa_exception_fp_ieee_invalid_op 0
		.amdhsa_exception_fp_denorm_src 0
		.amdhsa_exception_fp_ieee_div_zero 0
		.amdhsa_exception_fp_ieee_overflow 0
		.amdhsa_exception_fp_ieee_underflow 0
		.amdhsa_exception_fp_ieee_inexact 0
		.amdhsa_exception_int_div_zero 0
	.end_amdhsa_kernel
	.section	.text._ZN7rocprim17ROCPRIM_400000_NS6detail17trampoline_kernelINS0_14default_configENS1_35radix_sort_onesweep_config_selectorIffEEZNS1_34radix_sort_onesweep_global_offsetsIS3_Lb0EN6thrust23THRUST_200600_302600_NS6detail15normal_iteratorINS8_10device_ptrIfEEEESD_jNS0_19identity_decomposerEEE10hipError_tT1_T2_PT3_SI_jT4_jjP12ihipStream_tbEUlT_E0_NS1_11comp_targetILNS1_3genE8ELNS1_11target_archE1030ELNS1_3gpuE2ELNS1_3repE0EEENS1_52radix_sort_onesweep_histogram_config_static_selectorELNS0_4arch9wavefront6targetE1EEEvSG_,"axG",@progbits,_ZN7rocprim17ROCPRIM_400000_NS6detail17trampoline_kernelINS0_14default_configENS1_35radix_sort_onesweep_config_selectorIffEEZNS1_34radix_sort_onesweep_global_offsetsIS3_Lb0EN6thrust23THRUST_200600_302600_NS6detail15normal_iteratorINS8_10device_ptrIfEEEESD_jNS0_19identity_decomposerEEE10hipError_tT1_T2_PT3_SI_jT4_jjP12ihipStream_tbEUlT_E0_NS1_11comp_targetILNS1_3genE8ELNS1_11target_archE1030ELNS1_3gpuE2ELNS1_3repE0EEENS1_52radix_sort_onesweep_histogram_config_static_selectorELNS0_4arch9wavefront6targetE1EEEvSG_,comdat
.Lfunc_end295:
	.size	_ZN7rocprim17ROCPRIM_400000_NS6detail17trampoline_kernelINS0_14default_configENS1_35radix_sort_onesweep_config_selectorIffEEZNS1_34radix_sort_onesweep_global_offsetsIS3_Lb0EN6thrust23THRUST_200600_302600_NS6detail15normal_iteratorINS8_10device_ptrIfEEEESD_jNS0_19identity_decomposerEEE10hipError_tT1_T2_PT3_SI_jT4_jjP12ihipStream_tbEUlT_E0_NS1_11comp_targetILNS1_3genE8ELNS1_11target_archE1030ELNS1_3gpuE2ELNS1_3repE0EEENS1_52radix_sort_onesweep_histogram_config_static_selectorELNS0_4arch9wavefront6targetE1EEEvSG_, .Lfunc_end295-_ZN7rocprim17ROCPRIM_400000_NS6detail17trampoline_kernelINS0_14default_configENS1_35radix_sort_onesweep_config_selectorIffEEZNS1_34radix_sort_onesweep_global_offsetsIS3_Lb0EN6thrust23THRUST_200600_302600_NS6detail15normal_iteratorINS8_10device_ptrIfEEEESD_jNS0_19identity_decomposerEEE10hipError_tT1_T2_PT3_SI_jT4_jjP12ihipStream_tbEUlT_E0_NS1_11comp_targetILNS1_3genE8ELNS1_11target_archE1030ELNS1_3gpuE2ELNS1_3repE0EEENS1_52radix_sort_onesweep_histogram_config_static_selectorELNS0_4arch9wavefront6targetE1EEEvSG_
                                        ; -- End function
	.set _ZN7rocprim17ROCPRIM_400000_NS6detail17trampoline_kernelINS0_14default_configENS1_35radix_sort_onesweep_config_selectorIffEEZNS1_34radix_sort_onesweep_global_offsetsIS3_Lb0EN6thrust23THRUST_200600_302600_NS6detail15normal_iteratorINS8_10device_ptrIfEEEESD_jNS0_19identity_decomposerEEE10hipError_tT1_T2_PT3_SI_jT4_jjP12ihipStream_tbEUlT_E0_NS1_11comp_targetILNS1_3genE8ELNS1_11target_archE1030ELNS1_3gpuE2ELNS1_3repE0EEENS1_52radix_sort_onesweep_histogram_config_static_selectorELNS0_4arch9wavefront6targetE1EEEvSG_.num_vgpr, 0
	.set _ZN7rocprim17ROCPRIM_400000_NS6detail17trampoline_kernelINS0_14default_configENS1_35radix_sort_onesweep_config_selectorIffEEZNS1_34radix_sort_onesweep_global_offsetsIS3_Lb0EN6thrust23THRUST_200600_302600_NS6detail15normal_iteratorINS8_10device_ptrIfEEEESD_jNS0_19identity_decomposerEEE10hipError_tT1_T2_PT3_SI_jT4_jjP12ihipStream_tbEUlT_E0_NS1_11comp_targetILNS1_3genE8ELNS1_11target_archE1030ELNS1_3gpuE2ELNS1_3repE0EEENS1_52radix_sort_onesweep_histogram_config_static_selectorELNS0_4arch9wavefront6targetE1EEEvSG_.num_agpr, 0
	.set _ZN7rocprim17ROCPRIM_400000_NS6detail17trampoline_kernelINS0_14default_configENS1_35radix_sort_onesweep_config_selectorIffEEZNS1_34radix_sort_onesweep_global_offsetsIS3_Lb0EN6thrust23THRUST_200600_302600_NS6detail15normal_iteratorINS8_10device_ptrIfEEEESD_jNS0_19identity_decomposerEEE10hipError_tT1_T2_PT3_SI_jT4_jjP12ihipStream_tbEUlT_E0_NS1_11comp_targetILNS1_3genE8ELNS1_11target_archE1030ELNS1_3gpuE2ELNS1_3repE0EEENS1_52radix_sort_onesweep_histogram_config_static_selectorELNS0_4arch9wavefront6targetE1EEEvSG_.numbered_sgpr, 0
	.set _ZN7rocprim17ROCPRIM_400000_NS6detail17trampoline_kernelINS0_14default_configENS1_35radix_sort_onesweep_config_selectorIffEEZNS1_34radix_sort_onesweep_global_offsetsIS3_Lb0EN6thrust23THRUST_200600_302600_NS6detail15normal_iteratorINS8_10device_ptrIfEEEESD_jNS0_19identity_decomposerEEE10hipError_tT1_T2_PT3_SI_jT4_jjP12ihipStream_tbEUlT_E0_NS1_11comp_targetILNS1_3genE8ELNS1_11target_archE1030ELNS1_3gpuE2ELNS1_3repE0EEENS1_52radix_sort_onesweep_histogram_config_static_selectorELNS0_4arch9wavefront6targetE1EEEvSG_.num_named_barrier, 0
	.set _ZN7rocprim17ROCPRIM_400000_NS6detail17trampoline_kernelINS0_14default_configENS1_35radix_sort_onesweep_config_selectorIffEEZNS1_34radix_sort_onesweep_global_offsetsIS3_Lb0EN6thrust23THRUST_200600_302600_NS6detail15normal_iteratorINS8_10device_ptrIfEEEESD_jNS0_19identity_decomposerEEE10hipError_tT1_T2_PT3_SI_jT4_jjP12ihipStream_tbEUlT_E0_NS1_11comp_targetILNS1_3genE8ELNS1_11target_archE1030ELNS1_3gpuE2ELNS1_3repE0EEENS1_52radix_sort_onesweep_histogram_config_static_selectorELNS0_4arch9wavefront6targetE1EEEvSG_.private_seg_size, 0
	.set _ZN7rocprim17ROCPRIM_400000_NS6detail17trampoline_kernelINS0_14default_configENS1_35radix_sort_onesweep_config_selectorIffEEZNS1_34radix_sort_onesweep_global_offsetsIS3_Lb0EN6thrust23THRUST_200600_302600_NS6detail15normal_iteratorINS8_10device_ptrIfEEEESD_jNS0_19identity_decomposerEEE10hipError_tT1_T2_PT3_SI_jT4_jjP12ihipStream_tbEUlT_E0_NS1_11comp_targetILNS1_3genE8ELNS1_11target_archE1030ELNS1_3gpuE2ELNS1_3repE0EEENS1_52radix_sort_onesweep_histogram_config_static_selectorELNS0_4arch9wavefront6targetE1EEEvSG_.uses_vcc, 0
	.set _ZN7rocprim17ROCPRIM_400000_NS6detail17trampoline_kernelINS0_14default_configENS1_35radix_sort_onesweep_config_selectorIffEEZNS1_34radix_sort_onesweep_global_offsetsIS3_Lb0EN6thrust23THRUST_200600_302600_NS6detail15normal_iteratorINS8_10device_ptrIfEEEESD_jNS0_19identity_decomposerEEE10hipError_tT1_T2_PT3_SI_jT4_jjP12ihipStream_tbEUlT_E0_NS1_11comp_targetILNS1_3genE8ELNS1_11target_archE1030ELNS1_3gpuE2ELNS1_3repE0EEENS1_52radix_sort_onesweep_histogram_config_static_selectorELNS0_4arch9wavefront6targetE1EEEvSG_.uses_flat_scratch, 0
	.set _ZN7rocprim17ROCPRIM_400000_NS6detail17trampoline_kernelINS0_14default_configENS1_35radix_sort_onesweep_config_selectorIffEEZNS1_34radix_sort_onesweep_global_offsetsIS3_Lb0EN6thrust23THRUST_200600_302600_NS6detail15normal_iteratorINS8_10device_ptrIfEEEESD_jNS0_19identity_decomposerEEE10hipError_tT1_T2_PT3_SI_jT4_jjP12ihipStream_tbEUlT_E0_NS1_11comp_targetILNS1_3genE8ELNS1_11target_archE1030ELNS1_3gpuE2ELNS1_3repE0EEENS1_52radix_sort_onesweep_histogram_config_static_selectorELNS0_4arch9wavefront6targetE1EEEvSG_.has_dyn_sized_stack, 0
	.set _ZN7rocprim17ROCPRIM_400000_NS6detail17trampoline_kernelINS0_14default_configENS1_35radix_sort_onesweep_config_selectorIffEEZNS1_34radix_sort_onesweep_global_offsetsIS3_Lb0EN6thrust23THRUST_200600_302600_NS6detail15normal_iteratorINS8_10device_ptrIfEEEESD_jNS0_19identity_decomposerEEE10hipError_tT1_T2_PT3_SI_jT4_jjP12ihipStream_tbEUlT_E0_NS1_11comp_targetILNS1_3genE8ELNS1_11target_archE1030ELNS1_3gpuE2ELNS1_3repE0EEENS1_52radix_sort_onesweep_histogram_config_static_selectorELNS0_4arch9wavefront6targetE1EEEvSG_.has_recursion, 0
	.set _ZN7rocprim17ROCPRIM_400000_NS6detail17trampoline_kernelINS0_14default_configENS1_35radix_sort_onesweep_config_selectorIffEEZNS1_34radix_sort_onesweep_global_offsetsIS3_Lb0EN6thrust23THRUST_200600_302600_NS6detail15normal_iteratorINS8_10device_ptrIfEEEESD_jNS0_19identity_decomposerEEE10hipError_tT1_T2_PT3_SI_jT4_jjP12ihipStream_tbEUlT_E0_NS1_11comp_targetILNS1_3genE8ELNS1_11target_archE1030ELNS1_3gpuE2ELNS1_3repE0EEENS1_52radix_sort_onesweep_histogram_config_static_selectorELNS0_4arch9wavefront6targetE1EEEvSG_.has_indirect_call, 0
	.section	.AMDGPU.csdata,"",@progbits
; Kernel info:
; codeLenInByte = 0
; TotalNumSgprs: 6
; NumVgprs: 0
; NumAgprs: 0
; TotalNumVgprs: 0
; ScratchSize: 0
; MemoryBound: 0
; FloatMode: 240
; IeeeMode: 1
; LDSByteSize: 0 bytes/workgroup (compile time only)
; SGPRBlocks: 0
; VGPRBlocks: 0
; NumSGPRsForWavesPerEU: 6
; NumVGPRsForWavesPerEU: 1
; AccumOffset: 4
; Occupancy: 8
; WaveLimiterHint : 0
; COMPUTE_PGM_RSRC2:SCRATCH_EN: 0
; COMPUTE_PGM_RSRC2:USER_SGPR: 2
; COMPUTE_PGM_RSRC2:TRAP_HANDLER: 0
; COMPUTE_PGM_RSRC2:TGID_X_EN: 1
; COMPUTE_PGM_RSRC2:TGID_Y_EN: 0
; COMPUTE_PGM_RSRC2:TGID_Z_EN: 0
; COMPUTE_PGM_RSRC2:TIDIG_COMP_CNT: 0
; COMPUTE_PGM_RSRC3_GFX90A:ACCUM_OFFSET: 0
; COMPUTE_PGM_RSRC3_GFX90A:TG_SPLIT: 0
	.section	.text._ZN7rocprim17ROCPRIM_400000_NS6detail17trampoline_kernelINS0_14default_configENS1_25transform_config_selectorIfLb0EEEZNS1_14transform_implILb0ES3_S5_N6thrust23THRUST_200600_302600_NS6detail15normal_iteratorINS8_10device_ptrIfEEEEPfNS0_8identityIfEEEE10hipError_tT2_T3_mT4_P12ihipStream_tbEUlT_E_NS1_11comp_targetILNS1_3genE0ELNS1_11target_archE4294967295ELNS1_3gpuE0ELNS1_3repE0EEENS1_30default_config_static_selectorELNS0_4arch9wavefront6targetE1EEEvT1_,"axG",@progbits,_ZN7rocprim17ROCPRIM_400000_NS6detail17trampoline_kernelINS0_14default_configENS1_25transform_config_selectorIfLb0EEEZNS1_14transform_implILb0ES3_S5_N6thrust23THRUST_200600_302600_NS6detail15normal_iteratorINS8_10device_ptrIfEEEEPfNS0_8identityIfEEEE10hipError_tT2_T3_mT4_P12ihipStream_tbEUlT_E_NS1_11comp_targetILNS1_3genE0ELNS1_11target_archE4294967295ELNS1_3gpuE0ELNS1_3repE0EEENS1_30default_config_static_selectorELNS0_4arch9wavefront6targetE1EEEvT1_,comdat
	.protected	_ZN7rocprim17ROCPRIM_400000_NS6detail17trampoline_kernelINS0_14default_configENS1_25transform_config_selectorIfLb0EEEZNS1_14transform_implILb0ES3_S5_N6thrust23THRUST_200600_302600_NS6detail15normal_iteratorINS8_10device_ptrIfEEEEPfNS0_8identityIfEEEE10hipError_tT2_T3_mT4_P12ihipStream_tbEUlT_E_NS1_11comp_targetILNS1_3genE0ELNS1_11target_archE4294967295ELNS1_3gpuE0ELNS1_3repE0EEENS1_30default_config_static_selectorELNS0_4arch9wavefront6targetE1EEEvT1_ ; -- Begin function _ZN7rocprim17ROCPRIM_400000_NS6detail17trampoline_kernelINS0_14default_configENS1_25transform_config_selectorIfLb0EEEZNS1_14transform_implILb0ES3_S5_N6thrust23THRUST_200600_302600_NS6detail15normal_iteratorINS8_10device_ptrIfEEEEPfNS0_8identityIfEEEE10hipError_tT2_T3_mT4_P12ihipStream_tbEUlT_E_NS1_11comp_targetILNS1_3genE0ELNS1_11target_archE4294967295ELNS1_3gpuE0ELNS1_3repE0EEENS1_30default_config_static_selectorELNS0_4arch9wavefront6targetE1EEEvT1_
	.globl	_ZN7rocprim17ROCPRIM_400000_NS6detail17trampoline_kernelINS0_14default_configENS1_25transform_config_selectorIfLb0EEEZNS1_14transform_implILb0ES3_S5_N6thrust23THRUST_200600_302600_NS6detail15normal_iteratorINS8_10device_ptrIfEEEEPfNS0_8identityIfEEEE10hipError_tT2_T3_mT4_P12ihipStream_tbEUlT_E_NS1_11comp_targetILNS1_3genE0ELNS1_11target_archE4294967295ELNS1_3gpuE0ELNS1_3repE0EEENS1_30default_config_static_selectorELNS0_4arch9wavefront6targetE1EEEvT1_
	.p2align	8
	.type	_ZN7rocprim17ROCPRIM_400000_NS6detail17trampoline_kernelINS0_14default_configENS1_25transform_config_selectorIfLb0EEEZNS1_14transform_implILb0ES3_S5_N6thrust23THRUST_200600_302600_NS6detail15normal_iteratorINS8_10device_ptrIfEEEEPfNS0_8identityIfEEEE10hipError_tT2_T3_mT4_P12ihipStream_tbEUlT_E_NS1_11comp_targetILNS1_3genE0ELNS1_11target_archE4294967295ELNS1_3gpuE0ELNS1_3repE0EEENS1_30default_config_static_selectorELNS0_4arch9wavefront6targetE1EEEvT1_,@function
_ZN7rocprim17ROCPRIM_400000_NS6detail17trampoline_kernelINS0_14default_configENS1_25transform_config_selectorIfLb0EEEZNS1_14transform_implILb0ES3_S5_N6thrust23THRUST_200600_302600_NS6detail15normal_iteratorINS8_10device_ptrIfEEEEPfNS0_8identityIfEEEE10hipError_tT2_T3_mT4_P12ihipStream_tbEUlT_E_NS1_11comp_targetILNS1_3genE0ELNS1_11target_archE4294967295ELNS1_3gpuE0ELNS1_3repE0EEENS1_30default_config_static_selectorELNS0_4arch9wavefront6targetE1EEEvT1_: ; @_ZN7rocprim17ROCPRIM_400000_NS6detail17trampoline_kernelINS0_14default_configENS1_25transform_config_selectorIfLb0EEEZNS1_14transform_implILb0ES3_S5_N6thrust23THRUST_200600_302600_NS6detail15normal_iteratorINS8_10device_ptrIfEEEEPfNS0_8identityIfEEEE10hipError_tT2_T3_mT4_P12ihipStream_tbEUlT_E_NS1_11comp_targetILNS1_3genE0ELNS1_11target_archE4294967295ELNS1_3gpuE0ELNS1_3repE0EEENS1_30default_config_static_selectorELNS0_4arch9wavefront6targetE1EEEvT1_
; %bb.0:
	s_load_dwordx8 s[4:11], s[0:1], 0x0
	s_load_dword s3, s[0:1], 0x28
	s_waitcnt lgkmcnt(0)
	s_lshl_b64 s[0:1], s[6:7], 2
	s_add_u32 s4, s4, s0
	s_addc_u32 s5, s5, s1
	s_add_u32 s9, s10, s0
	s_addc_u32 s12, s11, s1
	s_lshl_b32 s0, s2, 8
	s_mov_b32 s1, 0
	s_add_i32 s3, s3, -1
	s_lshl_b64 s[6:7], s[0:1], 2
	s_add_u32 s10, s4, s6
	s_addc_u32 s11, s5, s7
	s_cmp_lg_u32 s2, s3
	s_cbranch_scc0 .LBB296_2
; %bb.1:
	v_lshlrev_b32_e32 v2, 2, v0
	v_mov_b32_e32 v3, 0
	v_lshl_add_u64 v[4:5], s[10:11], 0, v[2:3]
	flat_load_dword v6, v[4:5]
	flat_load_dword v1, v[4:5] offset:512
	s_add_u32 s4, s9, s6
	s_addc_u32 s5, s12, s7
	v_lshl_add_u64 v[4:5], s[4:5], 0, v[2:3]
	s_waitcnt vmcnt(0) lgkmcnt(0)
	global_store_dword v2, v6, s[4:5]
	s_mov_b64 s[4:5], -1
	s_cbranch_execz .LBB296_3
	s_branch .LBB296_12
.LBB296_2:
	s_mov_b64 s[4:5], 0
                                        ; implicit-def: $vgpr1
                                        ; implicit-def: $vgpr4_vgpr5
.LBB296_3:
	s_sub_i32 s2, s8, s0
	v_mov_b32_e32 v2, 0
	v_cmp_gt_u32_e32 vcc, s2, v0
	v_mov_b32_e32 v3, v2
	s_and_saveexec_b64 s[0:1], vcc
	s_cbranch_execz .LBB296_5
; %bb.4:
	v_lshlrev_b32_e32 v4, 2, v0
	v_mov_b32_e32 v5, v2
	v_lshl_add_u64 v[4:5], s[10:11], 0, v[4:5]
	flat_load_dword v4, v[4:5]
	v_mov_b32_e32 v5, v2
	s_waitcnt vmcnt(0) lgkmcnt(0)
	v_mov_b64_e32 v[2:3], v[4:5]
.LBB296_5:
	s_or_b64 exec, exec, s[0:1]
	v_or_b32_e32 v1, 0x80, v0
	v_cmp_gt_u32_e64 s[0:1], s2, v1
	v_cmp_le_u32_e64 s[2:3], s2, v1
	s_and_saveexec_b64 s[14:15], s[2:3]
	s_xor_b64 s[2:3], exec, s[14:15]
	s_andn2_saveexec_b64 s[2:3], s[2:3]
	s_cbranch_execz .LBB296_7
; %bb.6:
	v_lshlrev_b32_e32 v4, 2, v0
	v_mov_b32_e32 v5, 0
	v_lshl_add_u64 v[4:5], s[10:11], 0, v[4:5]
	flat_load_dword v3, v[4:5] offset:512
.LBB296_7:
	s_or_b64 exec, exec, s[2:3]
	s_add_u32 s2, s9, s6
	v_mov_b32_e32 v5, 0
	s_addc_u32 s3, s12, s7
	v_lshlrev_b32_e32 v4, 2, v0
	v_cndmask_b32_e32 v1, 0, v2, vcc
	v_lshl_add_u64 v[4:5], s[2:3], 0, v[4:5]
	s_and_saveexec_b64 s[2:3], vcc
	s_cbranch_execz .LBB296_9
; %bb.8:
	global_store_dword v[4:5], v1, off
.LBB296_9:
	s_or_b64 exec, exec, s[2:3]
                                        ; implicit-def: $vgpr1
	s_and_saveexec_b64 s[2:3], s[0:1]
	s_cbranch_execz .LBB296_11
; %bb.10:
	s_waitcnt vmcnt(0) lgkmcnt(0)
	v_cndmask_b32_e64 v1, 0, v3, s[0:1]
	s_or_b64 s[4:5], s[4:5], exec
.LBB296_11:
	s_or_b64 exec, exec, s[2:3]
.LBB296_12:
	s_and_saveexec_b64 s[0:1], s[4:5]
	s_cbranch_execnz .LBB296_14
; %bb.13:
	s_endpgm
.LBB296_14:
	global_store_dword v[4:5], v1, off offset:512
	s_endpgm
	.section	.rodata,"a",@progbits
	.p2align	6, 0x0
	.amdhsa_kernel _ZN7rocprim17ROCPRIM_400000_NS6detail17trampoline_kernelINS0_14default_configENS1_25transform_config_selectorIfLb0EEEZNS1_14transform_implILb0ES3_S5_N6thrust23THRUST_200600_302600_NS6detail15normal_iteratorINS8_10device_ptrIfEEEEPfNS0_8identityIfEEEE10hipError_tT2_T3_mT4_P12ihipStream_tbEUlT_E_NS1_11comp_targetILNS1_3genE0ELNS1_11target_archE4294967295ELNS1_3gpuE0ELNS1_3repE0EEENS1_30default_config_static_selectorELNS0_4arch9wavefront6targetE1EEEvT1_
		.amdhsa_group_segment_fixed_size 0
		.amdhsa_private_segment_fixed_size 0
		.amdhsa_kernarg_size 296
		.amdhsa_user_sgpr_count 2
		.amdhsa_user_sgpr_dispatch_ptr 0
		.amdhsa_user_sgpr_queue_ptr 0
		.amdhsa_user_sgpr_kernarg_segment_ptr 1
		.amdhsa_user_sgpr_dispatch_id 0
		.amdhsa_user_sgpr_kernarg_preload_length 0
		.amdhsa_user_sgpr_kernarg_preload_offset 0
		.amdhsa_user_sgpr_private_segment_size 0
		.amdhsa_uses_dynamic_stack 0
		.amdhsa_enable_private_segment 0
		.amdhsa_system_sgpr_workgroup_id_x 1
		.amdhsa_system_sgpr_workgroup_id_y 0
		.amdhsa_system_sgpr_workgroup_id_z 0
		.amdhsa_system_sgpr_workgroup_info 0
		.amdhsa_system_vgpr_workitem_id 0
		.amdhsa_next_free_vgpr 7
		.amdhsa_next_free_sgpr 16
		.amdhsa_accum_offset 8
		.amdhsa_reserve_vcc 1
		.amdhsa_float_round_mode_32 0
		.amdhsa_float_round_mode_16_64 0
		.amdhsa_float_denorm_mode_32 3
		.amdhsa_float_denorm_mode_16_64 3
		.amdhsa_dx10_clamp 1
		.amdhsa_ieee_mode 1
		.amdhsa_fp16_overflow 0
		.amdhsa_tg_split 0
		.amdhsa_exception_fp_ieee_invalid_op 0
		.amdhsa_exception_fp_denorm_src 0
		.amdhsa_exception_fp_ieee_div_zero 0
		.amdhsa_exception_fp_ieee_overflow 0
		.amdhsa_exception_fp_ieee_underflow 0
		.amdhsa_exception_fp_ieee_inexact 0
		.amdhsa_exception_int_div_zero 0
	.end_amdhsa_kernel
	.section	.text._ZN7rocprim17ROCPRIM_400000_NS6detail17trampoline_kernelINS0_14default_configENS1_25transform_config_selectorIfLb0EEEZNS1_14transform_implILb0ES3_S5_N6thrust23THRUST_200600_302600_NS6detail15normal_iteratorINS8_10device_ptrIfEEEEPfNS0_8identityIfEEEE10hipError_tT2_T3_mT4_P12ihipStream_tbEUlT_E_NS1_11comp_targetILNS1_3genE0ELNS1_11target_archE4294967295ELNS1_3gpuE0ELNS1_3repE0EEENS1_30default_config_static_selectorELNS0_4arch9wavefront6targetE1EEEvT1_,"axG",@progbits,_ZN7rocprim17ROCPRIM_400000_NS6detail17trampoline_kernelINS0_14default_configENS1_25transform_config_selectorIfLb0EEEZNS1_14transform_implILb0ES3_S5_N6thrust23THRUST_200600_302600_NS6detail15normal_iteratorINS8_10device_ptrIfEEEEPfNS0_8identityIfEEEE10hipError_tT2_T3_mT4_P12ihipStream_tbEUlT_E_NS1_11comp_targetILNS1_3genE0ELNS1_11target_archE4294967295ELNS1_3gpuE0ELNS1_3repE0EEENS1_30default_config_static_selectorELNS0_4arch9wavefront6targetE1EEEvT1_,comdat
.Lfunc_end296:
	.size	_ZN7rocprim17ROCPRIM_400000_NS6detail17trampoline_kernelINS0_14default_configENS1_25transform_config_selectorIfLb0EEEZNS1_14transform_implILb0ES3_S5_N6thrust23THRUST_200600_302600_NS6detail15normal_iteratorINS8_10device_ptrIfEEEEPfNS0_8identityIfEEEE10hipError_tT2_T3_mT4_P12ihipStream_tbEUlT_E_NS1_11comp_targetILNS1_3genE0ELNS1_11target_archE4294967295ELNS1_3gpuE0ELNS1_3repE0EEENS1_30default_config_static_selectorELNS0_4arch9wavefront6targetE1EEEvT1_, .Lfunc_end296-_ZN7rocprim17ROCPRIM_400000_NS6detail17trampoline_kernelINS0_14default_configENS1_25transform_config_selectorIfLb0EEEZNS1_14transform_implILb0ES3_S5_N6thrust23THRUST_200600_302600_NS6detail15normal_iteratorINS8_10device_ptrIfEEEEPfNS0_8identityIfEEEE10hipError_tT2_T3_mT4_P12ihipStream_tbEUlT_E_NS1_11comp_targetILNS1_3genE0ELNS1_11target_archE4294967295ELNS1_3gpuE0ELNS1_3repE0EEENS1_30default_config_static_selectorELNS0_4arch9wavefront6targetE1EEEvT1_
                                        ; -- End function
	.set _ZN7rocprim17ROCPRIM_400000_NS6detail17trampoline_kernelINS0_14default_configENS1_25transform_config_selectorIfLb0EEEZNS1_14transform_implILb0ES3_S5_N6thrust23THRUST_200600_302600_NS6detail15normal_iteratorINS8_10device_ptrIfEEEEPfNS0_8identityIfEEEE10hipError_tT2_T3_mT4_P12ihipStream_tbEUlT_E_NS1_11comp_targetILNS1_3genE0ELNS1_11target_archE4294967295ELNS1_3gpuE0ELNS1_3repE0EEENS1_30default_config_static_selectorELNS0_4arch9wavefront6targetE1EEEvT1_.num_vgpr, 7
	.set _ZN7rocprim17ROCPRIM_400000_NS6detail17trampoline_kernelINS0_14default_configENS1_25transform_config_selectorIfLb0EEEZNS1_14transform_implILb0ES3_S5_N6thrust23THRUST_200600_302600_NS6detail15normal_iteratorINS8_10device_ptrIfEEEEPfNS0_8identityIfEEEE10hipError_tT2_T3_mT4_P12ihipStream_tbEUlT_E_NS1_11comp_targetILNS1_3genE0ELNS1_11target_archE4294967295ELNS1_3gpuE0ELNS1_3repE0EEENS1_30default_config_static_selectorELNS0_4arch9wavefront6targetE1EEEvT1_.num_agpr, 0
	.set _ZN7rocprim17ROCPRIM_400000_NS6detail17trampoline_kernelINS0_14default_configENS1_25transform_config_selectorIfLb0EEEZNS1_14transform_implILb0ES3_S5_N6thrust23THRUST_200600_302600_NS6detail15normal_iteratorINS8_10device_ptrIfEEEEPfNS0_8identityIfEEEE10hipError_tT2_T3_mT4_P12ihipStream_tbEUlT_E_NS1_11comp_targetILNS1_3genE0ELNS1_11target_archE4294967295ELNS1_3gpuE0ELNS1_3repE0EEENS1_30default_config_static_selectorELNS0_4arch9wavefront6targetE1EEEvT1_.numbered_sgpr, 16
	.set _ZN7rocprim17ROCPRIM_400000_NS6detail17trampoline_kernelINS0_14default_configENS1_25transform_config_selectorIfLb0EEEZNS1_14transform_implILb0ES3_S5_N6thrust23THRUST_200600_302600_NS6detail15normal_iteratorINS8_10device_ptrIfEEEEPfNS0_8identityIfEEEE10hipError_tT2_T3_mT4_P12ihipStream_tbEUlT_E_NS1_11comp_targetILNS1_3genE0ELNS1_11target_archE4294967295ELNS1_3gpuE0ELNS1_3repE0EEENS1_30default_config_static_selectorELNS0_4arch9wavefront6targetE1EEEvT1_.num_named_barrier, 0
	.set _ZN7rocprim17ROCPRIM_400000_NS6detail17trampoline_kernelINS0_14default_configENS1_25transform_config_selectorIfLb0EEEZNS1_14transform_implILb0ES3_S5_N6thrust23THRUST_200600_302600_NS6detail15normal_iteratorINS8_10device_ptrIfEEEEPfNS0_8identityIfEEEE10hipError_tT2_T3_mT4_P12ihipStream_tbEUlT_E_NS1_11comp_targetILNS1_3genE0ELNS1_11target_archE4294967295ELNS1_3gpuE0ELNS1_3repE0EEENS1_30default_config_static_selectorELNS0_4arch9wavefront6targetE1EEEvT1_.private_seg_size, 0
	.set _ZN7rocprim17ROCPRIM_400000_NS6detail17trampoline_kernelINS0_14default_configENS1_25transform_config_selectorIfLb0EEEZNS1_14transform_implILb0ES3_S5_N6thrust23THRUST_200600_302600_NS6detail15normal_iteratorINS8_10device_ptrIfEEEEPfNS0_8identityIfEEEE10hipError_tT2_T3_mT4_P12ihipStream_tbEUlT_E_NS1_11comp_targetILNS1_3genE0ELNS1_11target_archE4294967295ELNS1_3gpuE0ELNS1_3repE0EEENS1_30default_config_static_selectorELNS0_4arch9wavefront6targetE1EEEvT1_.uses_vcc, 1
	.set _ZN7rocprim17ROCPRIM_400000_NS6detail17trampoline_kernelINS0_14default_configENS1_25transform_config_selectorIfLb0EEEZNS1_14transform_implILb0ES3_S5_N6thrust23THRUST_200600_302600_NS6detail15normal_iteratorINS8_10device_ptrIfEEEEPfNS0_8identityIfEEEE10hipError_tT2_T3_mT4_P12ihipStream_tbEUlT_E_NS1_11comp_targetILNS1_3genE0ELNS1_11target_archE4294967295ELNS1_3gpuE0ELNS1_3repE0EEENS1_30default_config_static_selectorELNS0_4arch9wavefront6targetE1EEEvT1_.uses_flat_scratch, 0
	.set _ZN7rocprim17ROCPRIM_400000_NS6detail17trampoline_kernelINS0_14default_configENS1_25transform_config_selectorIfLb0EEEZNS1_14transform_implILb0ES3_S5_N6thrust23THRUST_200600_302600_NS6detail15normal_iteratorINS8_10device_ptrIfEEEEPfNS0_8identityIfEEEE10hipError_tT2_T3_mT4_P12ihipStream_tbEUlT_E_NS1_11comp_targetILNS1_3genE0ELNS1_11target_archE4294967295ELNS1_3gpuE0ELNS1_3repE0EEENS1_30default_config_static_selectorELNS0_4arch9wavefront6targetE1EEEvT1_.has_dyn_sized_stack, 0
	.set _ZN7rocprim17ROCPRIM_400000_NS6detail17trampoline_kernelINS0_14default_configENS1_25transform_config_selectorIfLb0EEEZNS1_14transform_implILb0ES3_S5_N6thrust23THRUST_200600_302600_NS6detail15normal_iteratorINS8_10device_ptrIfEEEEPfNS0_8identityIfEEEE10hipError_tT2_T3_mT4_P12ihipStream_tbEUlT_E_NS1_11comp_targetILNS1_3genE0ELNS1_11target_archE4294967295ELNS1_3gpuE0ELNS1_3repE0EEENS1_30default_config_static_selectorELNS0_4arch9wavefront6targetE1EEEvT1_.has_recursion, 0
	.set _ZN7rocprim17ROCPRIM_400000_NS6detail17trampoline_kernelINS0_14default_configENS1_25transform_config_selectorIfLb0EEEZNS1_14transform_implILb0ES3_S5_N6thrust23THRUST_200600_302600_NS6detail15normal_iteratorINS8_10device_ptrIfEEEEPfNS0_8identityIfEEEE10hipError_tT2_T3_mT4_P12ihipStream_tbEUlT_E_NS1_11comp_targetILNS1_3genE0ELNS1_11target_archE4294967295ELNS1_3gpuE0ELNS1_3repE0EEENS1_30default_config_static_selectorELNS0_4arch9wavefront6targetE1EEEvT1_.has_indirect_call, 0
	.section	.AMDGPU.csdata,"",@progbits
; Kernel info:
; codeLenInByte = 380
; TotalNumSgprs: 22
; NumVgprs: 7
; NumAgprs: 0
; TotalNumVgprs: 7
; ScratchSize: 0
; MemoryBound: 0
; FloatMode: 240
; IeeeMode: 1
; LDSByteSize: 0 bytes/workgroup (compile time only)
; SGPRBlocks: 2
; VGPRBlocks: 0
; NumSGPRsForWavesPerEU: 22
; NumVGPRsForWavesPerEU: 7
; AccumOffset: 8
; Occupancy: 8
; WaveLimiterHint : 1
; COMPUTE_PGM_RSRC2:SCRATCH_EN: 0
; COMPUTE_PGM_RSRC2:USER_SGPR: 2
; COMPUTE_PGM_RSRC2:TRAP_HANDLER: 0
; COMPUTE_PGM_RSRC2:TGID_X_EN: 1
; COMPUTE_PGM_RSRC2:TGID_Y_EN: 0
; COMPUTE_PGM_RSRC2:TGID_Z_EN: 0
; COMPUTE_PGM_RSRC2:TIDIG_COMP_CNT: 0
; COMPUTE_PGM_RSRC3_GFX90A:ACCUM_OFFSET: 1
; COMPUTE_PGM_RSRC3_GFX90A:TG_SPLIT: 0
	.section	.text._ZN7rocprim17ROCPRIM_400000_NS6detail17trampoline_kernelINS0_14default_configENS1_25transform_config_selectorIfLb0EEEZNS1_14transform_implILb0ES3_S5_N6thrust23THRUST_200600_302600_NS6detail15normal_iteratorINS8_10device_ptrIfEEEEPfNS0_8identityIfEEEE10hipError_tT2_T3_mT4_P12ihipStream_tbEUlT_E_NS1_11comp_targetILNS1_3genE5ELNS1_11target_archE942ELNS1_3gpuE9ELNS1_3repE0EEENS1_30default_config_static_selectorELNS0_4arch9wavefront6targetE1EEEvT1_,"axG",@progbits,_ZN7rocprim17ROCPRIM_400000_NS6detail17trampoline_kernelINS0_14default_configENS1_25transform_config_selectorIfLb0EEEZNS1_14transform_implILb0ES3_S5_N6thrust23THRUST_200600_302600_NS6detail15normal_iteratorINS8_10device_ptrIfEEEEPfNS0_8identityIfEEEE10hipError_tT2_T3_mT4_P12ihipStream_tbEUlT_E_NS1_11comp_targetILNS1_3genE5ELNS1_11target_archE942ELNS1_3gpuE9ELNS1_3repE0EEENS1_30default_config_static_selectorELNS0_4arch9wavefront6targetE1EEEvT1_,comdat
	.protected	_ZN7rocprim17ROCPRIM_400000_NS6detail17trampoline_kernelINS0_14default_configENS1_25transform_config_selectorIfLb0EEEZNS1_14transform_implILb0ES3_S5_N6thrust23THRUST_200600_302600_NS6detail15normal_iteratorINS8_10device_ptrIfEEEEPfNS0_8identityIfEEEE10hipError_tT2_T3_mT4_P12ihipStream_tbEUlT_E_NS1_11comp_targetILNS1_3genE5ELNS1_11target_archE942ELNS1_3gpuE9ELNS1_3repE0EEENS1_30default_config_static_selectorELNS0_4arch9wavefront6targetE1EEEvT1_ ; -- Begin function _ZN7rocprim17ROCPRIM_400000_NS6detail17trampoline_kernelINS0_14default_configENS1_25transform_config_selectorIfLb0EEEZNS1_14transform_implILb0ES3_S5_N6thrust23THRUST_200600_302600_NS6detail15normal_iteratorINS8_10device_ptrIfEEEEPfNS0_8identityIfEEEE10hipError_tT2_T3_mT4_P12ihipStream_tbEUlT_E_NS1_11comp_targetILNS1_3genE5ELNS1_11target_archE942ELNS1_3gpuE9ELNS1_3repE0EEENS1_30default_config_static_selectorELNS0_4arch9wavefront6targetE1EEEvT1_
	.globl	_ZN7rocprim17ROCPRIM_400000_NS6detail17trampoline_kernelINS0_14default_configENS1_25transform_config_selectorIfLb0EEEZNS1_14transform_implILb0ES3_S5_N6thrust23THRUST_200600_302600_NS6detail15normal_iteratorINS8_10device_ptrIfEEEEPfNS0_8identityIfEEEE10hipError_tT2_T3_mT4_P12ihipStream_tbEUlT_E_NS1_11comp_targetILNS1_3genE5ELNS1_11target_archE942ELNS1_3gpuE9ELNS1_3repE0EEENS1_30default_config_static_selectorELNS0_4arch9wavefront6targetE1EEEvT1_
	.p2align	8
	.type	_ZN7rocprim17ROCPRIM_400000_NS6detail17trampoline_kernelINS0_14default_configENS1_25transform_config_selectorIfLb0EEEZNS1_14transform_implILb0ES3_S5_N6thrust23THRUST_200600_302600_NS6detail15normal_iteratorINS8_10device_ptrIfEEEEPfNS0_8identityIfEEEE10hipError_tT2_T3_mT4_P12ihipStream_tbEUlT_E_NS1_11comp_targetILNS1_3genE5ELNS1_11target_archE942ELNS1_3gpuE9ELNS1_3repE0EEENS1_30default_config_static_selectorELNS0_4arch9wavefront6targetE1EEEvT1_,@function
_ZN7rocprim17ROCPRIM_400000_NS6detail17trampoline_kernelINS0_14default_configENS1_25transform_config_selectorIfLb0EEEZNS1_14transform_implILb0ES3_S5_N6thrust23THRUST_200600_302600_NS6detail15normal_iteratorINS8_10device_ptrIfEEEEPfNS0_8identityIfEEEE10hipError_tT2_T3_mT4_P12ihipStream_tbEUlT_E_NS1_11comp_targetILNS1_3genE5ELNS1_11target_archE942ELNS1_3gpuE9ELNS1_3repE0EEENS1_30default_config_static_selectorELNS0_4arch9wavefront6targetE1EEEvT1_: ; @_ZN7rocprim17ROCPRIM_400000_NS6detail17trampoline_kernelINS0_14default_configENS1_25transform_config_selectorIfLb0EEEZNS1_14transform_implILb0ES3_S5_N6thrust23THRUST_200600_302600_NS6detail15normal_iteratorINS8_10device_ptrIfEEEEPfNS0_8identityIfEEEE10hipError_tT2_T3_mT4_P12ihipStream_tbEUlT_E_NS1_11comp_targetILNS1_3genE5ELNS1_11target_archE942ELNS1_3gpuE9ELNS1_3repE0EEENS1_30default_config_static_selectorELNS0_4arch9wavefront6targetE1EEEvT1_
; %bb.0:
	.section	.rodata,"a",@progbits
	.p2align	6, 0x0
	.amdhsa_kernel _ZN7rocprim17ROCPRIM_400000_NS6detail17trampoline_kernelINS0_14default_configENS1_25transform_config_selectorIfLb0EEEZNS1_14transform_implILb0ES3_S5_N6thrust23THRUST_200600_302600_NS6detail15normal_iteratorINS8_10device_ptrIfEEEEPfNS0_8identityIfEEEE10hipError_tT2_T3_mT4_P12ihipStream_tbEUlT_E_NS1_11comp_targetILNS1_3genE5ELNS1_11target_archE942ELNS1_3gpuE9ELNS1_3repE0EEENS1_30default_config_static_selectorELNS0_4arch9wavefront6targetE1EEEvT1_
		.amdhsa_group_segment_fixed_size 0
		.amdhsa_private_segment_fixed_size 0
		.amdhsa_kernarg_size 40
		.amdhsa_user_sgpr_count 2
		.amdhsa_user_sgpr_dispatch_ptr 0
		.amdhsa_user_sgpr_queue_ptr 0
		.amdhsa_user_sgpr_kernarg_segment_ptr 1
		.amdhsa_user_sgpr_dispatch_id 0
		.amdhsa_user_sgpr_kernarg_preload_length 0
		.amdhsa_user_sgpr_kernarg_preload_offset 0
		.amdhsa_user_sgpr_private_segment_size 0
		.amdhsa_uses_dynamic_stack 0
		.amdhsa_enable_private_segment 0
		.amdhsa_system_sgpr_workgroup_id_x 1
		.amdhsa_system_sgpr_workgroup_id_y 0
		.amdhsa_system_sgpr_workgroup_id_z 0
		.amdhsa_system_sgpr_workgroup_info 0
		.amdhsa_system_vgpr_workitem_id 0
		.amdhsa_next_free_vgpr 1
		.amdhsa_next_free_sgpr 0
		.amdhsa_accum_offset 4
		.amdhsa_reserve_vcc 0
		.amdhsa_float_round_mode_32 0
		.amdhsa_float_round_mode_16_64 0
		.amdhsa_float_denorm_mode_32 3
		.amdhsa_float_denorm_mode_16_64 3
		.amdhsa_dx10_clamp 1
		.amdhsa_ieee_mode 1
		.amdhsa_fp16_overflow 0
		.amdhsa_tg_split 0
		.amdhsa_exception_fp_ieee_invalid_op 0
		.amdhsa_exception_fp_denorm_src 0
		.amdhsa_exception_fp_ieee_div_zero 0
		.amdhsa_exception_fp_ieee_overflow 0
		.amdhsa_exception_fp_ieee_underflow 0
		.amdhsa_exception_fp_ieee_inexact 0
		.amdhsa_exception_int_div_zero 0
	.end_amdhsa_kernel
	.section	.text._ZN7rocprim17ROCPRIM_400000_NS6detail17trampoline_kernelINS0_14default_configENS1_25transform_config_selectorIfLb0EEEZNS1_14transform_implILb0ES3_S5_N6thrust23THRUST_200600_302600_NS6detail15normal_iteratorINS8_10device_ptrIfEEEEPfNS0_8identityIfEEEE10hipError_tT2_T3_mT4_P12ihipStream_tbEUlT_E_NS1_11comp_targetILNS1_3genE5ELNS1_11target_archE942ELNS1_3gpuE9ELNS1_3repE0EEENS1_30default_config_static_selectorELNS0_4arch9wavefront6targetE1EEEvT1_,"axG",@progbits,_ZN7rocprim17ROCPRIM_400000_NS6detail17trampoline_kernelINS0_14default_configENS1_25transform_config_selectorIfLb0EEEZNS1_14transform_implILb0ES3_S5_N6thrust23THRUST_200600_302600_NS6detail15normal_iteratorINS8_10device_ptrIfEEEEPfNS0_8identityIfEEEE10hipError_tT2_T3_mT4_P12ihipStream_tbEUlT_E_NS1_11comp_targetILNS1_3genE5ELNS1_11target_archE942ELNS1_3gpuE9ELNS1_3repE0EEENS1_30default_config_static_selectorELNS0_4arch9wavefront6targetE1EEEvT1_,comdat
.Lfunc_end297:
	.size	_ZN7rocprim17ROCPRIM_400000_NS6detail17trampoline_kernelINS0_14default_configENS1_25transform_config_selectorIfLb0EEEZNS1_14transform_implILb0ES3_S5_N6thrust23THRUST_200600_302600_NS6detail15normal_iteratorINS8_10device_ptrIfEEEEPfNS0_8identityIfEEEE10hipError_tT2_T3_mT4_P12ihipStream_tbEUlT_E_NS1_11comp_targetILNS1_3genE5ELNS1_11target_archE942ELNS1_3gpuE9ELNS1_3repE0EEENS1_30default_config_static_selectorELNS0_4arch9wavefront6targetE1EEEvT1_, .Lfunc_end297-_ZN7rocprim17ROCPRIM_400000_NS6detail17trampoline_kernelINS0_14default_configENS1_25transform_config_selectorIfLb0EEEZNS1_14transform_implILb0ES3_S5_N6thrust23THRUST_200600_302600_NS6detail15normal_iteratorINS8_10device_ptrIfEEEEPfNS0_8identityIfEEEE10hipError_tT2_T3_mT4_P12ihipStream_tbEUlT_E_NS1_11comp_targetILNS1_3genE5ELNS1_11target_archE942ELNS1_3gpuE9ELNS1_3repE0EEENS1_30default_config_static_selectorELNS0_4arch9wavefront6targetE1EEEvT1_
                                        ; -- End function
	.set _ZN7rocprim17ROCPRIM_400000_NS6detail17trampoline_kernelINS0_14default_configENS1_25transform_config_selectorIfLb0EEEZNS1_14transform_implILb0ES3_S5_N6thrust23THRUST_200600_302600_NS6detail15normal_iteratorINS8_10device_ptrIfEEEEPfNS0_8identityIfEEEE10hipError_tT2_T3_mT4_P12ihipStream_tbEUlT_E_NS1_11comp_targetILNS1_3genE5ELNS1_11target_archE942ELNS1_3gpuE9ELNS1_3repE0EEENS1_30default_config_static_selectorELNS0_4arch9wavefront6targetE1EEEvT1_.num_vgpr, 0
	.set _ZN7rocprim17ROCPRIM_400000_NS6detail17trampoline_kernelINS0_14default_configENS1_25transform_config_selectorIfLb0EEEZNS1_14transform_implILb0ES3_S5_N6thrust23THRUST_200600_302600_NS6detail15normal_iteratorINS8_10device_ptrIfEEEEPfNS0_8identityIfEEEE10hipError_tT2_T3_mT4_P12ihipStream_tbEUlT_E_NS1_11comp_targetILNS1_3genE5ELNS1_11target_archE942ELNS1_3gpuE9ELNS1_3repE0EEENS1_30default_config_static_selectorELNS0_4arch9wavefront6targetE1EEEvT1_.num_agpr, 0
	.set _ZN7rocprim17ROCPRIM_400000_NS6detail17trampoline_kernelINS0_14default_configENS1_25transform_config_selectorIfLb0EEEZNS1_14transform_implILb0ES3_S5_N6thrust23THRUST_200600_302600_NS6detail15normal_iteratorINS8_10device_ptrIfEEEEPfNS0_8identityIfEEEE10hipError_tT2_T3_mT4_P12ihipStream_tbEUlT_E_NS1_11comp_targetILNS1_3genE5ELNS1_11target_archE942ELNS1_3gpuE9ELNS1_3repE0EEENS1_30default_config_static_selectorELNS0_4arch9wavefront6targetE1EEEvT1_.numbered_sgpr, 0
	.set _ZN7rocprim17ROCPRIM_400000_NS6detail17trampoline_kernelINS0_14default_configENS1_25transform_config_selectorIfLb0EEEZNS1_14transform_implILb0ES3_S5_N6thrust23THRUST_200600_302600_NS6detail15normal_iteratorINS8_10device_ptrIfEEEEPfNS0_8identityIfEEEE10hipError_tT2_T3_mT4_P12ihipStream_tbEUlT_E_NS1_11comp_targetILNS1_3genE5ELNS1_11target_archE942ELNS1_3gpuE9ELNS1_3repE0EEENS1_30default_config_static_selectorELNS0_4arch9wavefront6targetE1EEEvT1_.num_named_barrier, 0
	.set _ZN7rocprim17ROCPRIM_400000_NS6detail17trampoline_kernelINS0_14default_configENS1_25transform_config_selectorIfLb0EEEZNS1_14transform_implILb0ES3_S5_N6thrust23THRUST_200600_302600_NS6detail15normal_iteratorINS8_10device_ptrIfEEEEPfNS0_8identityIfEEEE10hipError_tT2_T3_mT4_P12ihipStream_tbEUlT_E_NS1_11comp_targetILNS1_3genE5ELNS1_11target_archE942ELNS1_3gpuE9ELNS1_3repE0EEENS1_30default_config_static_selectorELNS0_4arch9wavefront6targetE1EEEvT1_.private_seg_size, 0
	.set _ZN7rocprim17ROCPRIM_400000_NS6detail17trampoline_kernelINS0_14default_configENS1_25transform_config_selectorIfLb0EEEZNS1_14transform_implILb0ES3_S5_N6thrust23THRUST_200600_302600_NS6detail15normal_iteratorINS8_10device_ptrIfEEEEPfNS0_8identityIfEEEE10hipError_tT2_T3_mT4_P12ihipStream_tbEUlT_E_NS1_11comp_targetILNS1_3genE5ELNS1_11target_archE942ELNS1_3gpuE9ELNS1_3repE0EEENS1_30default_config_static_selectorELNS0_4arch9wavefront6targetE1EEEvT1_.uses_vcc, 0
	.set _ZN7rocprim17ROCPRIM_400000_NS6detail17trampoline_kernelINS0_14default_configENS1_25transform_config_selectorIfLb0EEEZNS1_14transform_implILb0ES3_S5_N6thrust23THRUST_200600_302600_NS6detail15normal_iteratorINS8_10device_ptrIfEEEEPfNS0_8identityIfEEEE10hipError_tT2_T3_mT4_P12ihipStream_tbEUlT_E_NS1_11comp_targetILNS1_3genE5ELNS1_11target_archE942ELNS1_3gpuE9ELNS1_3repE0EEENS1_30default_config_static_selectorELNS0_4arch9wavefront6targetE1EEEvT1_.uses_flat_scratch, 0
	.set _ZN7rocprim17ROCPRIM_400000_NS6detail17trampoline_kernelINS0_14default_configENS1_25transform_config_selectorIfLb0EEEZNS1_14transform_implILb0ES3_S5_N6thrust23THRUST_200600_302600_NS6detail15normal_iteratorINS8_10device_ptrIfEEEEPfNS0_8identityIfEEEE10hipError_tT2_T3_mT4_P12ihipStream_tbEUlT_E_NS1_11comp_targetILNS1_3genE5ELNS1_11target_archE942ELNS1_3gpuE9ELNS1_3repE0EEENS1_30default_config_static_selectorELNS0_4arch9wavefront6targetE1EEEvT1_.has_dyn_sized_stack, 0
	.set _ZN7rocprim17ROCPRIM_400000_NS6detail17trampoline_kernelINS0_14default_configENS1_25transform_config_selectorIfLb0EEEZNS1_14transform_implILb0ES3_S5_N6thrust23THRUST_200600_302600_NS6detail15normal_iteratorINS8_10device_ptrIfEEEEPfNS0_8identityIfEEEE10hipError_tT2_T3_mT4_P12ihipStream_tbEUlT_E_NS1_11comp_targetILNS1_3genE5ELNS1_11target_archE942ELNS1_3gpuE9ELNS1_3repE0EEENS1_30default_config_static_selectorELNS0_4arch9wavefront6targetE1EEEvT1_.has_recursion, 0
	.set _ZN7rocprim17ROCPRIM_400000_NS6detail17trampoline_kernelINS0_14default_configENS1_25transform_config_selectorIfLb0EEEZNS1_14transform_implILb0ES3_S5_N6thrust23THRUST_200600_302600_NS6detail15normal_iteratorINS8_10device_ptrIfEEEEPfNS0_8identityIfEEEE10hipError_tT2_T3_mT4_P12ihipStream_tbEUlT_E_NS1_11comp_targetILNS1_3genE5ELNS1_11target_archE942ELNS1_3gpuE9ELNS1_3repE0EEENS1_30default_config_static_selectorELNS0_4arch9wavefront6targetE1EEEvT1_.has_indirect_call, 0
	.section	.AMDGPU.csdata,"",@progbits
; Kernel info:
; codeLenInByte = 0
; TotalNumSgprs: 6
; NumVgprs: 0
; NumAgprs: 0
; TotalNumVgprs: 0
; ScratchSize: 0
; MemoryBound: 0
; FloatMode: 240
; IeeeMode: 1
; LDSByteSize: 0 bytes/workgroup (compile time only)
; SGPRBlocks: 0
; VGPRBlocks: 0
; NumSGPRsForWavesPerEU: 6
; NumVGPRsForWavesPerEU: 1
; AccumOffset: 4
; Occupancy: 8
; WaveLimiterHint : 0
; COMPUTE_PGM_RSRC2:SCRATCH_EN: 0
; COMPUTE_PGM_RSRC2:USER_SGPR: 2
; COMPUTE_PGM_RSRC2:TRAP_HANDLER: 0
; COMPUTE_PGM_RSRC2:TGID_X_EN: 1
; COMPUTE_PGM_RSRC2:TGID_Y_EN: 0
; COMPUTE_PGM_RSRC2:TGID_Z_EN: 0
; COMPUTE_PGM_RSRC2:TIDIG_COMP_CNT: 0
; COMPUTE_PGM_RSRC3_GFX90A:ACCUM_OFFSET: 0
; COMPUTE_PGM_RSRC3_GFX90A:TG_SPLIT: 0
	.section	.text._ZN7rocprim17ROCPRIM_400000_NS6detail17trampoline_kernelINS0_14default_configENS1_25transform_config_selectorIfLb0EEEZNS1_14transform_implILb0ES3_S5_N6thrust23THRUST_200600_302600_NS6detail15normal_iteratorINS8_10device_ptrIfEEEEPfNS0_8identityIfEEEE10hipError_tT2_T3_mT4_P12ihipStream_tbEUlT_E_NS1_11comp_targetILNS1_3genE4ELNS1_11target_archE910ELNS1_3gpuE8ELNS1_3repE0EEENS1_30default_config_static_selectorELNS0_4arch9wavefront6targetE1EEEvT1_,"axG",@progbits,_ZN7rocprim17ROCPRIM_400000_NS6detail17trampoline_kernelINS0_14default_configENS1_25transform_config_selectorIfLb0EEEZNS1_14transform_implILb0ES3_S5_N6thrust23THRUST_200600_302600_NS6detail15normal_iteratorINS8_10device_ptrIfEEEEPfNS0_8identityIfEEEE10hipError_tT2_T3_mT4_P12ihipStream_tbEUlT_E_NS1_11comp_targetILNS1_3genE4ELNS1_11target_archE910ELNS1_3gpuE8ELNS1_3repE0EEENS1_30default_config_static_selectorELNS0_4arch9wavefront6targetE1EEEvT1_,comdat
	.protected	_ZN7rocprim17ROCPRIM_400000_NS6detail17trampoline_kernelINS0_14default_configENS1_25transform_config_selectorIfLb0EEEZNS1_14transform_implILb0ES3_S5_N6thrust23THRUST_200600_302600_NS6detail15normal_iteratorINS8_10device_ptrIfEEEEPfNS0_8identityIfEEEE10hipError_tT2_T3_mT4_P12ihipStream_tbEUlT_E_NS1_11comp_targetILNS1_3genE4ELNS1_11target_archE910ELNS1_3gpuE8ELNS1_3repE0EEENS1_30default_config_static_selectorELNS0_4arch9wavefront6targetE1EEEvT1_ ; -- Begin function _ZN7rocprim17ROCPRIM_400000_NS6detail17trampoline_kernelINS0_14default_configENS1_25transform_config_selectorIfLb0EEEZNS1_14transform_implILb0ES3_S5_N6thrust23THRUST_200600_302600_NS6detail15normal_iteratorINS8_10device_ptrIfEEEEPfNS0_8identityIfEEEE10hipError_tT2_T3_mT4_P12ihipStream_tbEUlT_E_NS1_11comp_targetILNS1_3genE4ELNS1_11target_archE910ELNS1_3gpuE8ELNS1_3repE0EEENS1_30default_config_static_selectorELNS0_4arch9wavefront6targetE1EEEvT1_
	.globl	_ZN7rocprim17ROCPRIM_400000_NS6detail17trampoline_kernelINS0_14default_configENS1_25transform_config_selectorIfLb0EEEZNS1_14transform_implILb0ES3_S5_N6thrust23THRUST_200600_302600_NS6detail15normal_iteratorINS8_10device_ptrIfEEEEPfNS0_8identityIfEEEE10hipError_tT2_T3_mT4_P12ihipStream_tbEUlT_E_NS1_11comp_targetILNS1_3genE4ELNS1_11target_archE910ELNS1_3gpuE8ELNS1_3repE0EEENS1_30default_config_static_selectorELNS0_4arch9wavefront6targetE1EEEvT1_
	.p2align	8
	.type	_ZN7rocprim17ROCPRIM_400000_NS6detail17trampoline_kernelINS0_14default_configENS1_25transform_config_selectorIfLb0EEEZNS1_14transform_implILb0ES3_S5_N6thrust23THRUST_200600_302600_NS6detail15normal_iteratorINS8_10device_ptrIfEEEEPfNS0_8identityIfEEEE10hipError_tT2_T3_mT4_P12ihipStream_tbEUlT_E_NS1_11comp_targetILNS1_3genE4ELNS1_11target_archE910ELNS1_3gpuE8ELNS1_3repE0EEENS1_30default_config_static_selectorELNS0_4arch9wavefront6targetE1EEEvT1_,@function
_ZN7rocprim17ROCPRIM_400000_NS6detail17trampoline_kernelINS0_14default_configENS1_25transform_config_selectorIfLb0EEEZNS1_14transform_implILb0ES3_S5_N6thrust23THRUST_200600_302600_NS6detail15normal_iteratorINS8_10device_ptrIfEEEEPfNS0_8identityIfEEEE10hipError_tT2_T3_mT4_P12ihipStream_tbEUlT_E_NS1_11comp_targetILNS1_3genE4ELNS1_11target_archE910ELNS1_3gpuE8ELNS1_3repE0EEENS1_30default_config_static_selectorELNS0_4arch9wavefront6targetE1EEEvT1_: ; @_ZN7rocprim17ROCPRIM_400000_NS6detail17trampoline_kernelINS0_14default_configENS1_25transform_config_selectorIfLb0EEEZNS1_14transform_implILb0ES3_S5_N6thrust23THRUST_200600_302600_NS6detail15normal_iteratorINS8_10device_ptrIfEEEEPfNS0_8identityIfEEEE10hipError_tT2_T3_mT4_P12ihipStream_tbEUlT_E_NS1_11comp_targetILNS1_3genE4ELNS1_11target_archE910ELNS1_3gpuE8ELNS1_3repE0EEENS1_30default_config_static_selectorELNS0_4arch9wavefront6targetE1EEEvT1_
; %bb.0:
	.section	.rodata,"a",@progbits
	.p2align	6, 0x0
	.amdhsa_kernel _ZN7rocprim17ROCPRIM_400000_NS6detail17trampoline_kernelINS0_14default_configENS1_25transform_config_selectorIfLb0EEEZNS1_14transform_implILb0ES3_S5_N6thrust23THRUST_200600_302600_NS6detail15normal_iteratorINS8_10device_ptrIfEEEEPfNS0_8identityIfEEEE10hipError_tT2_T3_mT4_P12ihipStream_tbEUlT_E_NS1_11comp_targetILNS1_3genE4ELNS1_11target_archE910ELNS1_3gpuE8ELNS1_3repE0EEENS1_30default_config_static_selectorELNS0_4arch9wavefront6targetE1EEEvT1_
		.amdhsa_group_segment_fixed_size 0
		.amdhsa_private_segment_fixed_size 0
		.amdhsa_kernarg_size 40
		.amdhsa_user_sgpr_count 2
		.amdhsa_user_sgpr_dispatch_ptr 0
		.amdhsa_user_sgpr_queue_ptr 0
		.amdhsa_user_sgpr_kernarg_segment_ptr 1
		.amdhsa_user_sgpr_dispatch_id 0
		.amdhsa_user_sgpr_kernarg_preload_length 0
		.amdhsa_user_sgpr_kernarg_preload_offset 0
		.amdhsa_user_sgpr_private_segment_size 0
		.amdhsa_uses_dynamic_stack 0
		.amdhsa_enable_private_segment 0
		.amdhsa_system_sgpr_workgroup_id_x 1
		.amdhsa_system_sgpr_workgroup_id_y 0
		.amdhsa_system_sgpr_workgroup_id_z 0
		.amdhsa_system_sgpr_workgroup_info 0
		.amdhsa_system_vgpr_workitem_id 0
		.amdhsa_next_free_vgpr 1
		.amdhsa_next_free_sgpr 0
		.amdhsa_accum_offset 4
		.amdhsa_reserve_vcc 0
		.amdhsa_float_round_mode_32 0
		.amdhsa_float_round_mode_16_64 0
		.amdhsa_float_denorm_mode_32 3
		.amdhsa_float_denorm_mode_16_64 3
		.amdhsa_dx10_clamp 1
		.amdhsa_ieee_mode 1
		.amdhsa_fp16_overflow 0
		.amdhsa_tg_split 0
		.amdhsa_exception_fp_ieee_invalid_op 0
		.amdhsa_exception_fp_denorm_src 0
		.amdhsa_exception_fp_ieee_div_zero 0
		.amdhsa_exception_fp_ieee_overflow 0
		.amdhsa_exception_fp_ieee_underflow 0
		.amdhsa_exception_fp_ieee_inexact 0
		.amdhsa_exception_int_div_zero 0
	.end_amdhsa_kernel
	.section	.text._ZN7rocprim17ROCPRIM_400000_NS6detail17trampoline_kernelINS0_14default_configENS1_25transform_config_selectorIfLb0EEEZNS1_14transform_implILb0ES3_S5_N6thrust23THRUST_200600_302600_NS6detail15normal_iteratorINS8_10device_ptrIfEEEEPfNS0_8identityIfEEEE10hipError_tT2_T3_mT4_P12ihipStream_tbEUlT_E_NS1_11comp_targetILNS1_3genE4ELNS1_11target_archE910ELNS1_3gpuE8ELNS1_3repE0EEENS1_30default_config_static_selectorELNS0_4arch9wavefront6targetE1EEEvT1_,"axG",@progbits,_ZN7rocprim17ROCPRIM_400000_NS6detail17trampoline_kernelINS0_14default_configENS1_25transform_config_selectorIfLb0EEEZNS1_14transform_implILb0ES3_S5_N6thrust23THRUST_200600_302600_NS6detail15normal_iteratorINS8_10device_ptrIfEEEEPfNS0_8identityIfEEEE10hipError_tT2_T3_mT4_P12ihipStream_tbEUlT_E_NS1_11comp_targetILNS1_3genE4ELNS1_11target_archE910ELNS1_3gpuE8ELNS1_3repE0EEENS1_30default_config_static_selectorELNS0_4arch9wavefront6targetE1EEEvT1_,comdat
.Lfunc_end298:
	.size	_ZN7rocprim17ROCPRIM_400000_NS6detail17trampoline_kernelINS0_14default_configENS1_25transform_config_selectorIfLb0EEEZNS1_14transform_implILb0ES3_S5_N6thrust23THRUST_200600_302600_NS6detail15normal_iteratorINS8_10device_ptrIfEEEEPfNS0_8identityIfEEEE10hipError_tT2_T3_mT4_P12ihipStream_tbEUlT_E_NS1_11comp_targetILNS1_3genE4ELNS1_11target_archE910ELNS1_3gpuE8ELNS1_3repE0EEENS1_30default_config_static_selectorELNS0_4arch9wavefront6targetE1EEEvT1_, .Lfunc_end298-_ZN7rocprim17ROCPRIM_400000_NS6detail17trampoline_kernelINS0_14default_configENS1_25transform_config_selectorIfLb0EEEZNS1_14transform_implILb0ES3_S5_N6thrust23THRUST_200600_302600_NS6detail15normal_iteratorINS8_10device_ptrIfEEEEPfNS0_8identityIfEEEE10hipError_tT2_T3_mT4_P12ihipStream_tbEUlT_E_NS1_11comp_targetILNS1_3genE4ELNS1_11target_archE910ELNS1_3gpuE8ELNS1_3repE0EEENS1_30default_config_static_selectorELNS0_4arch9wavefront6targetE1EEEvT1_
                                        ; -- End function
	.set _ZN7rocprim17ROCPRIM_400000_NS6detail17trampoline_kernelINS0_14default_configENS1_25transform_config_selectorIfLb0EEEZNS1_14transform_implILb0ES3_S5_N6thrust23THRUST_200600_302600_NS6detail15normal_iteratorINS8_10device_ptrIfEEEEPfNS0_8identityIfEEEE10hipError_tT2_T3_mT4_P12ihipStream_tbEUlT_E_NS1_11comp_targetILNS1_3genE4ELNS1_11target_archE910ELNS1_3gpuE8ELNS1_3repE0EEENS1_30default_config_static_selectorELNS0_4arch9wavefront6targetE1EEEvT1_.num_vgpr, 0
	.set _ZN7rocprim17ROCPRIM_400000_NS6detail17trampoline_kernelINS0_14default_configENS1_25transform_config_selectorIfLb0EEEZNS1_14transform_implILb0ES3_S5_N6thrust23THRUST_200600_302600_NS6detail15normal_iteratorINS8_10device_ptrIfEEEEPfNS0_8identityIfEEEE10hipError_tT2_T3_mT4_P12ihipStream_tbEUlT_E_NS1_11comp_targetILNS1_3genE4ELNS1_11target_archE910ELNS1_3gpuE8ELNS1_3repE0EEENS1_30default_config_static_selectorELNS0_4arch9wavefront6targetE1EEEvT1_.num_agpr, 0
	.set _ZN7rocprim17ROCPRIM_400000_NS6detail17trampoline_kernelINS0_14default_configENS1_25transform_config_selectorIfLb0EEEZNS1_14transform_implILb0ES3_S5_N6thrust23THRUST_200600_302600_NS6detail15normal_iteratorINS8_10device_ptrIfEEEEPfNS0_8identityIfEEEE10hipError_tT2_T3_mT4_P12ihipStream_tbEUlT_E_NS1_11comp_targetILNS1_3genE4ELNS1_11target_archE910ELNS1_3gpuE8ELNS1_3repE0EEENS1_30default_config_static_selectorELNS0_4arch9wavefront6targetE1EEEvT1_.numbered_sgpr, 0
	.set _ZN7rocprim17ROCPRIM_400000_NS6detail17trampoline_kernelINS0_14default_configENS1_25transform_config_selectorIfLb0EEEZNS1_14transform_implILb0ES3_S5_N6thrust23THRUST_200600_302600_NS6detail15normal_iteratorINS8_10device_ptrIfEEEEPfNS0_8identityIfEEEE10hipError_tT2_T3_mT4_P12ihipStream_tbEUlT_E_NS1_11comp_targetILNS1_3genE4ELNS1_11target_archE910ELNS1_3gpuE8ELNS1_3repE0EEENS1_30default_config_static_selectorELNS0_4arch9wavefront6targetE1EEEvT1_.num_named_barrier, 0
	.set _ZN7rocprim17ROCPRIM_400000_NS6detail17trampoline_kernelINS0_14default_configENS1_25transform_config_selectorIfLb0EEEZNS1_14transform_implILb0ES3_S5_N6thrust23THRUST_200600_302600_NS6detail15normal_iteratorINS8_10device_ptrIfEEEEPfNS0_8identityIfEEEE10hipError_tT2_T3_mT4_P12ihipStream_tbEUlT_E_NS1_11comp_targetILNS1_3genE4ELNS1_11target_archE910ELNS1_3gpuE8ELNS1_3repE0EEENS1_30default_config_static_selectorELNS0_4arch9wavefront6targetE1EEEvT1_.private_seg_size, 0
	.set _ZN7rocprim17ROCPRIM_400000_NS6detail17trampoline_kernelINS0_14default_configENS1_25transform_config_selectorIfLb0EEEZNS1_14transform_implILb0ES3_S5_N6thrust23THRUST_200600_302600_NS6detail15normal_iteratorINS8_10device_ptrIfEEEEPfNS0_8identityIfEEEE10hipError_tT2_T3_mT4_P12ihipStream_tbEUlT_E_NS1_11comp_targetILNS1_3genE4ELNS1_11target_archE910ELNS1_3gpuE8ELNS1_3repE0EEENS1_30default_config_static_selectorELNS0_4arch9wavefront6targetE1EEEvT1_.uses_vcc, 0
	.set _ZN7rocprim17ROCPRIM_400000_NS6detail17trampoline_kernelINS0_14default_configENS1_25transform_config_selectorIfLb0EEEZNS1_14transform_implILb0ES3_S5_N6thrust23THRUST_200600_302600_NS6detail15normal_iteratorINS8_10device_ptrIfEEEEPfNS0_8identityIfEEEE10hipError_tT2_T3_mT4_P12ihipStream_tbEUlT_E_NS1_11comp_targetILNS1_3genE4ELNS1_11target_archE910ELNS1_3gpuE8ELNS1_3repE0EEENS1_30default_config_static_selectorELNS0_4arch9wavefront6targetE1EEEvT1_.uses_flat_scratch, 0
	.set _ZN7rocprim17ROCPRIM_400000_NS6detail17trampoline_kernelINS0_14default_configENS1_25transform_config_selectorIfLb0EEEZNS1_14transform_implILb0ES3_S5_N6thrust23THRUST_200600_302600_NS6detail15normal_iteratorINS8_10device_ptrIfEEEEPfNS0_8identityIfEEEE10hipError_tT2_T3_mT4_P12ihipStream_tbEUlT_E_NS1_11comp_targetILNS1_3genE4ELNS1_11target_archE910ELNS1_3gpuE8ELNS1_3repE0EEENS1_30default_config_static_selectorELNS0_4arch9wavefront6targetE1EEEvT1_.has_dyn_sized_stack, 0
	.set _ZN7rocprim17ROCPRIM_400000_NS6detail17trampoline_kernelINS0_14default_configENS1_25transform_config_selectorIfLb0EEEZNS1_14transform_implILb0ES3_S5_N6thrust23THRUST_200600_302600_NS6detail15normal_iteratorINS8_10device_ptrIfEEEEPfNS0_8identityIfEEEE10hipError_tT2_T3_mT4_P12ihipStream_tbEUlT_E_NS1_11comp_targetILNS1_3genE4ELNS1_11target_archE910ELNS1_3gpuE8ELNS1_3repE0EEENS1_30default_config_static_selectorELNS0_4arch9wavefront6targetE1EEEvT1_.has_recursion, 0
	.set _ZN7rocprim17ROCPRIM_400000_NS6detail17trampoline_kernelINS0_14default_configENS1_25transform_config_selectorIfLb0EEEZNS1_14transform_implILb0ES3_S5_N6thrust23THRUST_200600_302600_NS6detail15normal_iteratorINS8_10device_ptrIfEEEEPfNS0_8identityIfEEEE10hipError_tT2_T3_mT4_P12ihipStream_tbEUlT_E_NS1_11comp_targetILNS1_3genE4ELNS1_11target_archE910ELNS1_3gpuE8ELNS1_3repE0EEENS1_30default_config_static_selectorELNS0_4arch9wavefront6targetE1EEEvT1_.has_indirect_call, 0
	.section	.AMDGPU.csdata,"",@progbits
; Kernel info:
; codeLenInByte = 0
; TotalNumSgprs: 6
; NumVgprs: 0
; NumAgprs: 0
; TotalNumVgprs: 0
; ScratchSize: 0
; MemoryBound: 0
; FloatMode: 240
; IeeeMode: 1
; LDSByteSize: 0 bytes/workgroup (compile time only)
; SGPRBlocks: 0
; VGPRBlocks: 0
; NumSGPRsForWavesPerEU: 6
; NumVGPRsForWavesPerEU: 1
; AccumOffset: 4
; Occupancy: 8
; WaveLimiterHint : 0
; COMPUTE_PGM_RSRC2:SCRATCH_EN: 0
; COMPUTE_PGM_RSRC2:USER_SGPR: 2
; COMPUTE_PGM_RSRC2:TRAP_HANDLER: 0
; COMPUTE_PGM_RSRC2:TGID_X_EN: 1
; COMPUTE_PGM_RSRC2:TGID_Y_EN: 0
; COMPUTE_PGM_RSRC2:TGID_Z_EN: 0
; COMPUTE_PGM_RSRC2:TIDIG_COMP_CNT: 0
; COMPUTE_PGM_RSRC3_GFX90A:ACCUM_OFFSET: 0
; COMPUTE_PGM_RSRC3_GFX90A:TG_SPLIT: 0
	.section	.text._ZN7rocprim17ROCPRIM_400000_NS6detail17trampoline_kernelINS0_14default_configENS1_25transform_config_selectorIfLb0EEEZNS1_14transform_implILb0ES3_S5_N6thrust23THRUST_200600_302600_NS6detail15normal_iteratorINS8_10device_ptrIfEEEEPfNS0_8identityIfEEEE10hipError_tT2_T3_mT4_P12ihipStream_tbEUlT_E_NS1_11comp_targetILNS1_3genE3ELNS1_11target_archE908ELNS1_3gpuE7ELNS1_3repE0EEENS1_30default_config_static_selectorELNS0_4arch9wavefront6targetE1EEEvT1_,"axG",@progbits,_ZN7rocprim17ROCPRIM_400000_NS6detail17trampoline_kernelINS0_14default_configENS1_25transform_config_selectorIfLb0EEEZNS1_14transform_implILb0ES3_S5_N6thrust23THRUST_200600_302600_NS6detail15normal_iteratorINS8_10device_ptrIfEEEEPfNS0_8identityIfEEEE10hipError_tT2_T3_mT4_P12ihipStream_tbEUlT_E_NS1_11comp_targetILNS1_3genE3ELNS1_11target_archE908ELNS1_3gpuE7ELNS1_3repE0EEENS1_30default_config_static_selectorELNS0_4arch9wavefront6targetE1EEEvT1_,comdat
	.protected	_ZN7rocprim17ROCPRIM_400000_NS6detail17trampoline_kernelINS0_14default_configENS1_25transform_config_selectorIfLb0EEEZNS1_14transform_implILb0ES3_S5_N6thrust23THRUST_200600_302600_NS6detail15normal_iteratorINS8_10device_ptrIfEEEEPfNS0_8identityIfEEEE10hipError_tT2_T3_mT4_P12ihipStream_tbEUlT_E_NS1_11comp_targetILNS1_3genE3ELNS1_11target_archE908ELNS1_3gpuE7ELNS1_3repE0EEENS1_30default_config_static_selectorELNS0_4arch9wavefront6targetE1EEEvT1_ ; -- Begin function _ZN7rocprim17ROCPRIM_400000_NS6detail17trampoline_kernelINS0_14default_configENS1_25transform_config_selectorIfLb0EEEZNS1_14transform_implILb0ES3_S5_N6thrust23THRUST_200600_302600_NS6detail15normal_iteratorINS8_10device_ptrIfEEEEPfNS0_8identityIfEEEE10hipError_tT2_T3_mT4_P12ihipStream_tbEUlT_E_NS1_11comp_targetILNS1_3genE3ELNS1_11target_archE908ELNS1_3gpuE7ELNS1_3repE0EEENS1_30default_config_static_selectorELNS0_4arch9wavefront6targetE1EEEvT1_
	.globl	_ZN7rocprim17ROCPRIM_400000_NS6detail17trampoline_kernelINS0_14default_configENS1_25transform_config_selectorIfLb0EEEZNS1_14transform_implILb0ES3_S5_N6thrust23THRUST_200600_302600_NS6detail15normal_iteratorINS8_10device_ptrIfEEEEPfNS0_8identityIfEEEE10hipError_tT2_T3_mT4_P12ihipStream_tbEUlT_E_NS1_11comp_targetILNS1_3genE3ELNS1_11target_archE908ELNS1_3gpuE7ELNS1_3repE0EEENS1_30default_config_static_selectorELNS0_4arch9wavefront6targetE1EEEvT1_
	.p2align	8
	.type	_ZN7rocprim17ROCPRIM_400000_NS6detail17trampoline_kernelINS0_14default_configENS1_25transform_config_selectorIfLb0EEEZNS1_14transform_implILb0ES3_S5_N6thrust23THRUST_200600_302600_NS6detail15normal_iteratorINS8_10device_ptrIfEEEEPfNS0_8identityIfEEEE10hipError_tT2_T3_mT4_P12ihipStream_tbEUlT_E_NS1_11comp_targetILNS1_3genE3ELNS1_11target_archE908ELNS1_3gpuE7ELNS1_3repE0EEENS1_30default_config_static_selectorELNS0_4arch9wavefront6targetE1EEEvT1_,@function
_ZN7rocprim17ROCPRIM_400000_NS6detail17trampoline_kernelINS0_14default_configENS1_25transform_config_selectorIfLb0EEEZNS1_14transform_implILb0ES3_S5_N6thrust23THRUST_200600_302600_NS6detail15normal_iteratorINS8_10device_ptrIfEEEEPfNS0_8identityIfEEEE10hipError_tT2_T3_mT4_P12ihipStream_tbEUlT_E_NS1_11comp_targetILNS1_3genE3ELNS1_11target_archE908ELNS1_3gpuE7ELNS1_3repE0EEENS1_30default_config_static_selectorELNS0_4arch9wavefront6targetE1EEEvT1_: ; @_ZN7rocprim17ROCPRIM_400000_NS6detail17trampoline_kernelINS0_14default_configENS1_25transform_config_selectorIfLb0EEEZNS1_14transform_implILb0ES3_S5_N6thrust23THRUST_200600_302600_NS6detail15normal_iteratorINS8_10device_ptrIfEEEEPfNS0_8identityIfEEEE10hipError_tT2_T3_mT4_P12ihipStream_tbEUlT_E_NS1_11comp_targetILNS1_3genE3ELNS1_11target_archE908ELNS1_3gpuE7ELNS1_3repE0EEENS1_30default_config_static_selectorELNS0_4arch9wavefront6targetE1EEEvT1_
; %bb.0:
	.section	.rodata,"a",@progbits
	.p2align	6, 0x0
	.amdhsa_kernel _ZN7rocprim17ROCPRIM_400000_NS6detail17trampoline_kernelINS0_14default_configENS1_25transform_config_selectorIfLb0EEEZNS1_14transform_implILb0ES3_S5_N6thrust23THRUST_200600_302600_NS6detail15normal_iteratorINS8_10device_ptrIfEEEEPfNS0_8identityIfEEEE10hipError_tT2_T3_mT4_P12ihipStream_tbEUlT_E_NS1_11comp_targetILNS1_3genE3ELNS1_11target_archE908ELNS1_3gpuE7ELNS1_3repE0EEENS1_30default_config_static_selectorELNS0_4arch9wavefront6targetE1EEEvT1_
		.amdhsa_group_segment_fixed_size 0
		.amdhsa_private_segment_fixed_size 0
		.amdhsa_kernarg_size 40
		.amdhsa_user_sgpr_count 2
		.amdhsa_user_sgpr_dispatch_ptr 0
		.amdhsa_user_sgpr_queue_ptr 0
		.amdhsa_user_sgpr_kernarg_segment_ptr 1
		.amdhsa_user_sgpr_dispatch_id 0
		.amdhsa_user_sgpr_kernarg_preload_length 0
		.amdhsa_user_sgpr_kernarg_preload_offset 0
		.amdhsa_user_sgpr_private_segment_size 0
		.amdhsa_uses_dynamic_stack 0
		.amdhsa_enable_private_segment 0
		.amdhsa_system_sgpr_workgroup_id_x 1
		.amdhsa_system_sgpr_workgroup_id_y 0
		.amdhsa_system_sgpr_workgroup_id_z 0
		.amdhsa_system_sgpr_workgroup_info 0
		.amdhsa_system_vgpr_workitem_id 0
		.amdhsa_next_free_vgpr 1
		.amdhsa_next_free_sgpr 0
		.amdhsa_accum_offset 4
		.amdhsa_reserve_vcc 0
		.amdhsa_float_round_mode_32 0
		.amdhsa_float_round_mode_16_64 0
		.amdhsa_float_denorm_mode_32 3
		.amdhsa_float_denorm_mode_16_64 3
		.amdhsa_dx10_clamp 1
		.amdhsa_ieee_mode 1
		.amdhsa_fp16_overflow 0
		.amdhsa_tg_split 0
		.amdhsa_exception_fp_ieee_invalid_op 0
		.amdhsa_exception_fp_denorm_src 0
		.amdhsa_exception_fp_ieee_div_zero 0
		.amdhsa_exception_fp_ieee_overflow 0
		.amdhsa_exception_fp_ieee_underflow 0
		.amdhsa_exception_fp_ieee_inexact 0
		.amdhsa_exception_int_div_zero 0
	.end_amdhsa_kernel
	.section	.text._ZN7rocprim17ROCPRIM_400000_NS6detail17trampoline_kernelINS0_14default_configENS1_25transform_config_selectorIfLb0EEEZNS1_14transform_implILb0ES3_S5_N6thrust23THRUST_200600_302600_NS6detail15normal_iteratorINS8_10device_ptrIfEEEEPfNS0_8identityIfEEEE10hipError_tT2_T3_mT4_P12ihipStream_tbEUlT_E_NS1_11comp_targetILNS1_3genE3ELNS1_11target_archE908ELNS1_3gpuE7ELNS1_3repE0EEENS1_30default_config_static_selectorELNS0_4arch9wavefront6targetE1EEEvT1_,"axG",@progbits,_ZN7rocprim17ROCPRIM_400000_NS6detail17trampoline_kernelINS0_14default_configENS1_25transform_config_selectorIfLb0EEEZNS1_14transform_implILb0ES3_S5_N6thrust23THRUST_200600_302600_NS6detail15normal_iteratorINS8_10device_ptrIfEEEEPfNS0_8identityIfEEEE10hipError_tT2_T3_mT4_P12ihipStream_tbEUlT_E_NS1_11comp_targetILNS1_3genE3ELNS1_11target_archE908ELNS1_3gpuE7ELNS1_3repE0EEENS1_30default_config_static_selectorELNS0_4arch9wavefront6targetE1EEEvT1_,comdat
.Lfunc_end299:
	.size	_ZN7rocprim17ROCPRIM_400000_NS6detail17trampoline_kernelINS0_14default_configENS1_25transform_config_selectorIfLb0EEEZNS1_14transform_implILb0ES3_S5_N6thrust23THRUST_200600_302600_NS6detail15normal_iteratorINS8_10device_ptrIfEEEEPfNS0_8identityIfEEEE10hipError_tT2_T3_mT4_P12ihipStream_tbEUlT_E_NS1_11comp_targetILNS1_3genE3ELNS1_11target_archE908ELNS1_3gpuE7ELNS1_3repE0EEENS1_30default_config_static_selectorELNS0_4arch9wavefront6targetE1EEEvT1_, .Lfunc_end299-_ZN7rocprim17ROCPRIM_400000_NS6detail17trampoline_kernelINS0_14default_configENS1_25transform_config_selectorIfLb0EEEZNS1_14transform_implILb0ES3_S5_N6thrust23THRUST_200600_302600_NS6detail15normal_iteratorINS8_10device_ptrIfEEEEPfNS0_8identityIfEEEE10hipError_tT2_T3_mT4_P12ihipStream_tbEUlT_E_NS1_11comp_targetILNS1_3genE3ELNS1_11target_archE908ELNS1_3gpuE7ELNS1_3repE0EEENS1_30default_config_static_selectorELNS0_4arch9wavefront6targetE1EEEvT1_
                                        ; -- End function
	.set _ZN7rocprim17ROCPRIM_400000_NS6detail17trampoline_kernelINS0_14default_configENS1_25transform_config_selectorIfLb0EEEZNS1_14transform_implILb0ES3_S5_N6thrust23THRUST_200600_302600_NS6detail15normal_iteratorINS8_10device_ptrIfEEEEPfNS0_8identityIfEEEE10hipError_tT2_T3_mT4_P12ihipStream_tbEUlT_E_NS1_11comp_targetILNS1_3genE3ELNS1_11target_archE908ELNS1_3gpuE7ELNS1_3repE0EEENS1_30default_config_static_selectorELNS0_4arch9wavefront6targetE1EEEvT1_.num_vgpr, 0
	.set _ZN7rocprim17ROCPRIM_400000_NS6detail17trampoline_kernelINS0_14default_configENS1_25transform_config_selectorIfLb0EEEZNS1_14transform_implILb0ES3_S5_N6thrust23THRUST_200600_302600_NS6detail15normal_iteratorINS8_10device_ptrIfEEEEPfNS0_8identityIfEEEE10hipError_tT2_T3_mT4_P12ihipStream_tbEUlT_E_NS1_11comp_targetILNS1_3genE3ELNS1_11target_archE908ELNS1_3gpuE7ELNS1_3repE0EEENS1_30default_config_static_selectorELNS0_4arch9wavefront6targetE1EEEvT1_.num_agpr, 0
	.set _ZN7rocprim17ROCPRIM_400000_NS6detail17trampoline_kernelINS0_14default_configENS1_25transform_config_selectorIfLb0EEEZNS1_14transform_implILb0ES3_S5_N6thrust23THRUST_200600_302600_NS6detail15normal_iteratorINS8_10device_ptrIfEEEEPfNS0_8identityIfEEEE10hipError_tT2_T3_mT4_P12ihipStream_tbEUlT_E_NS1_11comp_targetILNS1_3genE3ELNS1_11target_archE908ELNS1_3gpuE7ELNS1_3repE0EEENS1_30default_config_static_selectorELNS0_4arch9wavefront6targetE1EEEvT1_.numbered_sgpr, 0
	.set _ZN7rocprim17ROCPRIM_400000_NS6detail17trampoline_kernelINS0_14default_configENS1_25transform_config_selectorIfLb0EEEZNS1_14transform_implILb0ES3_S5_N6thrust23THRUST_200600_302600_NS6detail15normal_iteratorINS8_10device_ptrIfEEEEPfNS0_8identityIfEEEE10hipError_tT2_T3_mT4_P12ihipStream_tbEUlT_E_NS1_11comp_targetILNS1_3genE3ELNS1_11target_archE908ELNS1_3gpuE7ELNS1_3repE0EEENS1_30default_config_static_selectorELNS0_4arch9wavefront6targetE1EEEvT1_.num_named_barrier, 0
	.set _ZN7rocprim17ROCPRIM_400000_NS6detail17trampoline_kernelINS0_14default_configENS1_25transform_config_selectorIfLb0EEEZNS1_14transform_implILb0ES3_S5_N6thrust23THRUST_200600_302600_NS6detail15normal_iteratorINS8_10device_ptrIfEEEEPfNS0_8identityIfEEEE10hipError_tT2_T3_mT4_P12ihipStream_tbEUlT_E_NS1_11comp_targetILNS1_3genE3ELNS1_11target_archE908ELNS1_3gpuE7ELNS1_3repE0EEENS1_30default_config_static_selectorELNS0_4arch9wavefront6targetE1EEEvT1_.private_seg_size, 0
	.set _ZN7rocprim17ROCPRIM_400000_NS6detail17trampoline_kernelINS0_14default_configENS1_25transform_config_selectorIfLb0EEEZNS1_14transform_implILb0ES3_S5_N6thrust23THRUST_200600_302600_NS6detail15normal_iteratorINS8_10device_ptrIfEEEEPfNS0_8identityIfEEEE10hipError_tT2_T3_mT4_P12ihipStream_tbEUlT_E_NS1_11comp_targetILNS1_3genE3ELNS1_11target_archE908ELNS1_3gpuE7ELNS1_3repE0EEENS1_30default_config_static_selectorELNS0_4arch9wavefront6targetE1EEEvT1_.uses_vcc, 0
	.set _ZN7rocprim17ROCPRIM_400000_NS6detail17trampoline_kernelINS0_14default_configENS1_25transform_config_selectorIfLb0EEEZNS1_14transform_implILb0ES3_S5_N6thrust23THRUST_200600_302600_NS6detail15normal_iteratorINS8_10device_ptrIfEEEEPfNS0_8identityIfEEEE10hipError_tT2_T3_mT4_P12ihipStream_tbEUlT_E_NS1_11comp_targetILNS1_3genE3ELNS1_11target_archE908ELNS1_3gpuE7ELNS1_3repE0EEENS1_30default_config_static_selectorELNS0_4arch9wavefront6targetE1EEEvT1_.uses_flat_scratch, 0
	.set _ZN7rocprim17ROCPRIM_400000_NS6detail17trampoline_kernelINS0_14default_configENS1_25transform_config_selectorIfLb0EEEZNS1_14transform_implILb0ES3_S5_N6thrust23THRUST_200600_302600_NS6detail15normal_iteratorINS8_10device_ptrIfEEEEPfNS0_8identityIfEEEE10hipError_tT2_T3_mT4_P12ihipStream_tbEUlT_E_NS1_11comp_targetILNS1_3genE3ELNS1_11target_archE908ELNS1_3gpuE7ELNS1_3repE0EEENS1_30default_config_static_selectorELNS0_4arch9wavefront6targetE1EEEvT1_.has_dyn_sized_stack, 0
	.set _ZN7rocprim17ROCPRIM_400000_NS6detail17trampoline_kernelINS0_14default_configENS1_25transform_config_selectorIfLb0EEEZNS1_14transform_implILb0ES3_S5_N6thrust23THRUST_200600_302600_NS6detail15normal_iteratorINS8_10device_ptrIfEEEEPfNS0_8identityIfEEEE10hipError_tT2_T3_mT4_P12ihipStream_tbEUlT_E_NS1_11comp_targetILNS1_3genE3ELNS1_11target_archE908ELNS1_3gpuE7ELNS1_3repE0EEENS1_30default_config_static_selectorELNS0_4arch9wavefront6targetE1EEEvT1_.has_recursion, 0
	.set _ZN7rocprim17ROCPRIM_400000_NS6detail17trampoline_kernelINS0_14default_configENS1_25transform_config_selectorIfLb0EEEZNS1_14transform_implILb0ES3_S5_N6thrust23THRUST_200600_302600_NS6detail15normal_iteratorINS8_10device_ptrIfEEEEPfNS0_8identityIfEEEE10hipError_tT2_T3_mT4_P12ihipStream_tbEUlT_E_NS1_11comp_targetILNS1_3genE3ELNS1_11target_archE908ELNS1_3gpuE7ELNS1_3repE0EEENS1_30default_config_static_selectorELNS0_4arch9wavefront6targetE1EEEvT1_.has_indirect_call, 0
	.section	.AMDGPU.csdata,"",@progbits
; Kernel info:
; codeLenInByte = 0
; TotalNumSgprs: 6
; NumVgprs: 0
; NumAgprs: 0
; TotalNumVgprs: 0
; ScratchSize: 0
; MemoryBound: 0
; FloatMode: 240
; IeeeMode: 1
; LDSByteSize: 0 bytes/workgroup (compile time only)
; SGPRBlocks: 0
; VGPRBlocks: 0
; NumSGPRsForWavesPerEU: 6
; NumVGPRsForWavesPerEU: 1
; AccumOffset: 4
; Occupancy: 8
; WaveLimiterHint : 0
; COMPUTE_PGM_RSRC2:SCRATCH_EN: 0
; COMPUTE_PGM_RSRC2:USER_SGPR: 2
; COMPUTE_PGM_RSRC2:TRAP_HANDLER: 0
; COMPUTE_PGM_RSRC2:TGID_X_EN: 1
; COMPUTE_PGM_RSRC2:TGID_Y_EN: 0
; COMPUTE_PGM_RSRC2:TGID_Z_EN: 0
; COMPUTE_PGM_RSRC2:TIDIG_COMP_CNT: 0
; COMPUTE_PGM_RSRC3_GFX90A:ACCUM_OFFSET: 0
; COMPUTE_PGM_RSRC3_GFX90A:TG_SPLIT: 0
	.section	.text._ZN7rocprim17ROCPRIM_400000_NS6detail17trampoline_kernelINS0_14default_configENS1_25transform_config_selectorIfLb0EEEZNS1_14transform_implILb0ES3_S5_N6thrust23THRUST_200600_302600_NS6detail15normal_iteratorINS8_10device_ptrIfEEEEPfNS0_8identityIfEEEE10hipError_tT2_T3_mT4_P12ihipStream_tbEUlT_E_NS1_11comp_targetILNS1_3genE2ELNS1_11target_archE906ELNS1_3gpuE6ELNS1_3repE0EEENS1_30default_config_static_selectorELNS0_4arch9wavefront6targetE1EEEvT1_,"axG",@progbits,_ZN7rocprim17ROCPRIM_400000_NS6detail17trampoline_kernelINS0_14default_configENS1_25transform_config_selectorIfLb0EEEZNS1_14transform_implILb0ES3_S5_N6thrust23THRUST_200600_302600_NS6detail15normal_iteratorINS8_10device_ptrIfEEEEPfNS0_8identityIfEEEE10hipError_tT2_T3_mT4_P12ihipStream_tbEUlT_E_NS1_11comp_targetILNS1_3genE2ELNS1_11target_archE906ELNS1_3gpuE6ELNS1_3repE0EEENS1_30default_config_static_selectorELNS0_4arch9wavefront6targetE1EEEvT1_,comdat
	.protected	_ZN7rocprim17ROCPRIM_400000_NS6detail17trampoline_kernelINS0_14default_configENS1_25transform_config_selectorIfLb0EEEZNS1_14transform_implILb0ES3_S5_N6thrust23THRUST_200600_302600_NS6detail15normal_iteratorINS8_10device_ptrIfEEEEPfNS0_8identityIfEEEE10hipError_tT2_T3_mT4_P12ihipStream_tbEUlT_E_NS1_11comp_targetILNS1_3genE2ELNS1_11target_archE906ELNS1_3gpuE6ELNS1_3repE0EEENS1_30default_config_static_selectorELNS0_4arch9wavefront6targetE1EEEvT1_ ; -- Begin function _ZN7rocprim17ROCPRIM_400000_NS6detail17trampoline_kernelINS0_14default_configENS1_25transform_config_selectorIfLb0EEEZNS1_14transform_implILb0ES3_S5_N6thrust23THRUST_200600_302600_NS6detail15normal_iteratorINS8_10device_ptrIfEEEEPfNS0_8identityIfEEEE10hipError_tT2_T3_mT4_P12ihipStream_tbEUlT_E_NS1_11comp_targetILNS1_3genE2ELNS1_11target_archE906ELNS1_3gpuE6ELNS1_3repE0EEENS1_30default_config_static_selectorELNS0_4arch9wavefront6targetE1EEEvT1_
	.globl	_ZN7rocprim17ROCPRIM_400000_NS6detail17trampoline_kernelINS0_14default_configENS1_25transform_config_selectorIfLb0EEEZNS1_14transform_implILb0ES3_S5_N6thrust23THRUST_200600_302600_NS6detail15normal_iteratorINS8_10device_ptrIfEEEEPfNS0_8identityIfEEEE10hipError_tT2_T3_mT4_P12ihipStream_tbEUlT_E_NS1_11comp_targetILNS1_3genE2ELNS1_11target_archE906ELNS1_3gpuE6ELNS1_3repE0EEENS1_30default_config_static_selectorELNS0_4arch9wavefront6targetE1EEEvT1_
	.p2align	8
	.type	_ZN7rocprim17ROCPRIM_400000_NS6detail17trampoline_kernelINS0_14default_configENS1_25transform_config_selectorIfLb0EEEZNS1_14transform_implILb0ES3_S5_N6thrust23THRUST_200600_302600_NS6detail15normal_iteratorINS8_10device_ptrIfEEEEPfNS0_8identityIfEEEE10hipError_tT2_T3_mT4_P12ihipStream_tbEUlT_E_NS1_11comp_targetILNS1_3genE2ELNS1_11target_archE906ELNS1_3gpuE6ELNS1_3repE0EEENS1_30default_config_static_selectorELNS0_4arch9wavefront6targetE1EEEvT1_,@function
_ZN7rocprim17ROCPRIM_400000_NS6detail17trampoline_kernelINS0_14default_configENS1_25transform_config_selectorIfLb0EEEZNS1_14transform_implILb0ES3_S5_N6thrust23THRUST_200600_302600_NS6detail15normal_iteratorINS8_10device_ptrIfEEEEPfNS0_8identityIfEEEE10hipError_tT2_T3_mT4_P12ihipStream_tbEUlT_E_NS1_11comp_targetILNS1_3genE2ELNS1_11target_archE906ELNS1_3gpuE6ELNS1_3repE0EEENS1_30default_config_static_selectorELNS0_4arch9wavefront6targetE1EEEvT1_: ; @_ZN7rocprim17ROCPRIM_400000_NS6detail17trampoline_kernelINS0_14default_configENS1_25transform_config_selectorIfLb0EEEZNS1_14transform_implILb0ES3_S5_N6thrust23THRUST_200600_302600_NS6detail15normal_iteratorINS8_10device_ptrIfEEEEPfNS0_8identityIfEEEE10hipError_tT2_T3_mT4_P12ihipStream_tbEUlT_E_NS1_11comp_targetILNS1_3genE2ELNS1_11target_archE906ELNS1_3gpuE6ELNS1_3repE0EEENS1_30default_config_static_selectorELNS0_4arch9wavefront6targetE1EEEvT1_
; %bb.0:
	.section	.rodata,"a",@progbits
	.p2align	6, 0x0
	.amdhsa_kernel _ZN7rocprim17ROCPRIM_400000_NS6detail17trampoline_kernelINS0_14default_configENS1_25transform_config_selectorIfLb0EEEZNS1_14transform_implILb0ES3_S5_N6thrust23THRUST_200600_302600_NS6detail15normal_iteratorINS8_10device_ptrIfEEEEPfNS0_8identityIfEEEE10hipError_tT2_T3_mT4_P12ihipStream_tbEUlT_E_NS1_11comp_targetILNS1_3genE2ELNS1_11target_archE906ELNS1_3gpuE6ELNS1_3repE0EEENS1_30default_config_static_selectorELNS0_4arch9wavefront6targetE1EEEvT1_
		.amdhsa_group_segment_fixed_size 0
		.amdhsa_private_segment_fixed_size 0
		.amdhsa_kernarg_size 40
		.amdhsa_user_sgpr_count 2
		.amdhsa_user_sgpr_dispatch_ptr 0
		.amdhsa_user_sgpr_queue_ptr 0
		.amdhsa_user_sgpr_kernarg_segment_ptr 1
		.amdhsa_user_sgpr_dispatch_id 0
		.amdhsa_user_sgpr_kernarg_preload_length 0
		.amdhsa_user_sgpr_kernarg_preload_offset 0
		.amdhsa_user_sgpr_private_segment_size 0
		.amdhsa_uses_dynamic_stack 0
		.amdhsa_enable_private_segment 0
		.amdhsa_system_sgpr_workgroup_id_x 1
		.amdhsa_system_sgpr_workgroup_id_y 0
		.amdhsa_system_sgpr_workgroup_id_z 0
		.amdhsa_system_sgpr_workgroup_info 0
		.amdhsa_system_vgpr_workitem_id 0
		.amdhsa_next_free_vgpr 1
		.amdhsa_next_free_sgpr 0
		.amdhsa_accum_offset 4
		.amdhsa_reserve_vcc 0
		.amdhsa_float_round_mode_32 0
		.amdhsa_float_round_mode_16_64 0
		.amdhsa_float_denorm_mode_32 3
		.amdhsa_float_denorm_mode_16_64 3
		.amdhsa_dx10_clamp 1
		.amdhsa_ieee_mode 1
		.amdhsa_fp16_overflow 0
		.amdhsa_tg_split 0
		.amdhsa_exception_fp_ieee_invalid_op 0
		.amdhsa_exception_fp_denorm_src 0
		.amdhsa_exception_fp_ieee_div_zero 0
		.amdhsa_exception_fp_ieee_overflow 0
		.amdhsa_exception_fp_ieee_underflow 0
		.amdhsa_exception_fp_ieee_inexact 0
		.amdhsa_exception_int_div_zero 0
	.end_amdhsa_kernel
	.section	.text._ZN7rocprim17ROCPRIM_400000_NS6detail17trampoline_kernelINS0_14default_configENS1_25transform_config_selectorIfLb0EEEZNS1_14transform_implILb0ES3_S5_N6thrust23THRUST_200600_302600_NS6detail15normal_iteratorINS8_10device_ptrIfEEEEPfNS0_8identityIfEEEE10hipError_tT2_T3_mT4_P12ihipStream_tbEUlT_E_NS1_11comp_targetILNS1_3genE2ELNS1_11target_archE906ELNS1_3gpuE6ELNS1_3repE0EEENS1_30default_config_static_selectorELNS0_4arch9wavefront6targetE1EEEvT1_,"axG",@progbits,_ZN7rocprim17ROCPRIM_400000_NS6detail17trampoline_kernelINS0_14default_configENS1_25transform_config_selectorIfLb0EEEZNS1_14transform_implILb0ES3_S5_N6thrust23THRUST_200600_302600_NS6detail15normal_iteratorINS8_10device_ptrIfEEEEPfNS0_8identityIfEEEE10hipError_tT2_T3_mT4_P12ihipStream_tbEUlT_E_NS1_11comp_targetILNS1_3genE2ELNS1_11target_archE906ELNS1_3gpuE6ELNS1_3repE0EEENS1_30default_config_static_selectorELNS0_4arch9wavefront6targetE1EEEvT1_,comdat
.Lfunc_end300:
	.size	_ZN7rocprim17ROCPRIM_400000_NS6detail17trampoline_kernelINS0_14default_configENS1_25transform_config_selectorIfLb0EEEZNS1_14transform_implILb0ES3_S5_N6thrust23THRUST_200600_302600_NS6detail15normal_iteratorINS8_10device_ptrIfEEEEPfNS0_8identityIfEEEE10hipError_tT2_T3_mT4_P12ihipStream_tbEUlT_E_NS1_11comp_targetILNS1_3genE2ELNS1_11target_archE906ELNS1_3gpuE6ELNS1_3repE0EEENS1_30default_config_static_selectorELNS0_4arch9wavefront6targetE1EEEvT1_, .Lfunc_end300-_ZN7rocprim17ROCPRIM_400000_NS6detail17trampoline_kernelINS0_14default_configENS1_25transform_config_selectorIfLb0EEEZNS1_14transform_implILb0ES3_S5_N6thrust23THRUST_200600_302600_NS6detail15normal_iteratorINS8_10device_ptrIfEEEEPfNS0_8identityIfEEEE10hipError_tT2_T3_mT4_P12ihipStream_tbEUlT_E_NS1_11comp_targetILNS1_3genE2ELNS1_11target_archE906ELNS1_3gpuE6ELNS1_3repE0EEENS1_30default_config_static_selectorELNS0_4arch9wavefront6targetE1EEEvT1_
                                        ; -- End function
	.set _ZN7rocprim17ROCPRIM_400000_NS6detail17trampoline_kernelINS0_14default_configENS1_25transform_config_selectorIfLb0EEEZNS1_14transform_implILb0ES3_S5_N6thrust23THRUST_200600_302600_NS6detail15normal_iteratorINS8_10device_ptrIfEEEEPfNS0_8identityIfEEEE10hipError_tT2_T3_mT4_P12ihipStream_tbEUlT_E_NS1_11comp_targetILNS1_3genE2ELNS1_11target_archE906ELNS1_3gpuE6ELNS1_3repE0EEENS1_30default_config_static_selectorELNS0_4arch9wavefront6targetE1EEEvT1_.num_vgpr, 0
	.set _ZN7rocprim17ROCPRIM_400000_NS6detail17trampoline_kernelINS0_14default_configENS1_25transform_config_selectorIfLb0EEEZNS1_14transform_implILb0ES3_S5_N6thrust23THRUST_200600_302600_NS6detail15normal_iteratorINS8_10device_ptrIfEEEEPfNS0_8identityIfEEEE10hipError_tT2_T3_mT4_P12ihipStream_tbEUlT_E_NS1_11comp_targetILNS1_3genE2ELNS1_11target_archE906ELNS1_3gpuE6ELNS1_3repE0EEENS1_30default_config_static_selectorELNS0_4arch9wavefront6targetE1EEEvT1_.num_agpr, 0
	.set _ZN7rocprim17ROCPRIM_400000_NS6detail17trampoline_kernelINS0_14default_configENS1_25transform_config_selectorIfLb0EEEZNS1_14transform_implILb0ES3_S5_N6thrust23THRUST_200600_302600_NS6detail15normal_iteratorINS8_10device_ptrIfEEEEPfNS0_8identityIfEEEE10hipError_tT2_T3_mT4_P12ihipStream_tbEUlT_E_NS1_11comp_targetILNS1_3genE2ELNS1_11target_archE906ELNS1_3gpuE6ELNS1_3repE0EEENS1_30default_config_static_selectorELNS0_4arch9wavefront6targetE1EEEvT1_.numbered_sgpr, 0
	.set _ZN7rocprim17ROCPRIM_400000_NS6detail17trampoline_kernelINS0_14default_configENS1_25transform_config_selectorIfLb0EEEZNS1_14transform_implILb0ES3_S5_N6thrust23THRUST_200600_302600_NS6detail15normal_iteratorINS8_10device_ptrIfEEEEPfNS0_8identityIfEEEE10hipError_tT2_T3_mT4_P12ihipStream_tbEUlT_E_NS1_11comp_targetILNS1_3genE2ELNS1_11target_archE906ELNS1_3gpuE6ELNS1_3repE0EEENS1_30default_config_static_selectorELNS0_4arch9wavefront6targetE1EEEvT1_.num_named_barrier, 0
	.set _ZN7rocprim17ROCPRIM_400000_NS6detail17trampoline_kernelINS0_14default_configENS1_25transform_config_selectorIfLb0EEEZNS1_14transform_implILb0ES3_S5_N6thrust23THRUST_200600_302600_NS6detail15normal_iteratorINS8_10device_ptrIfEEEEPfNS0_8identityIfEEEE10hipError_tT2_T3_mT4_P12ihipStream_tbEUlT_E_NS1_11comp_targetILNS1_3genE2ELNS1_11target_archE906ELNS1_3gpuE6ELNS1_3repE0EEENS1_30default_config_static_selectorELNS0_4arch9wavefront6targetE1EEEvT1_.private_seg_size, 0
	.set _ZN7rocprim17ROCPRIM_400000_NS6detail17trampoline_kernelINS0_14default_configENS1_25transform_config_selectorIfLb0EEEZNS1_14transform_implILb0ES3_S5_N6thrust23THRUST_200600_302600_NS6detail15normal_iteratorINS8_10device_ptrIfEEEEPfNS0_8identityIfEEEE10hipError_tT2_T3_mT4_P12ihipStream_tbEUlT_E_NS1_11comp_targetILNS1_3genE2ELNS1_11target_archE906ELNS1_3gpuE6ELNS1_3repE0EEENS1_30default_config_static_selectorELNS0_4arch9wavefront6targetE1EEEvT1_.uses_vcc, 0
	.set _ZN7rocprim17ROCPRIM_400000_NS6detail17trampoline_kernelINS0_14default_configENS1_25transform_config_selectorIfLb0EEEZNS1_14transform_implILb0ES3_S5_N6thrust23THRUST_200600_302600_NS6detail15normal_iteratorINS8_10device_ptrIfEEEEPfNS0_8identityIfEEEE10hipError_tT2_T3_mT4_P12ihipStream_tbEUlT_E_NS1_11comp_targetILNS1_3genE2ELNS1_11target_archE906ELNS1_3gpuE6ELNS1_3repE0EEENS1_30default_config_static_selectorELNS0_4arch9wavefront6targetE1EEEvT1_.uses_flat_scratch, 0
	.set _ZN7rocprim17ROCPRIM_400000_NS6detail17trampoline_kernelINS0_14default_configENS1_25transform_config_selectorIfLb0EEEZNS1_14transform_implILb0ES3_S5_N6thrust23THRUST_200600_302600_NS6detail15normal_iteratorINS8_10device_ptrIfEEEEPfNS0_8identityIfEEEE10hipError_tT2_T3_mT4_P12ihipStream_tbEUlT_E_NS1_11comp_targetILNS1_3genE2ELNS1_11target_archE906ELNS1_3gpuE6ELNS1_3repE0EEENS1_30default_config_static_selectorELNS0_4arch9wavefront6targetE1EEEvT1_.has_dyn_sized_stack, 0
	.set _ZN7rocprim17ROCPRIM_400000_NS6detail17trampoline_kernelINS0_14default_configENS1_25transform_config_selectorIfLb0EEEZNS1_14transform_implILb0ES3_S5_N6thrust23THRUST_200600_302600_NS6detail15normal_iteratorINS8_10device_ptrIfEEEEPfNS0_8identityIfEEEE10hipError_tT2_T3_mT4_P12ihipStream_tbEUlT_E_NS1_11comp_targetILNS1_3genE2ELNS1_11target_archE906ELNS1_3gpuE6ELNS1_3repE0EEENS1_30default_config_static_selectorELNS0_4arch9wavefront6targetE1EEEvT1_.has_recursion, 0
	.set _ZN7rocprim17ROCPRIM_400000_NS6detail17trampoline_kernelINS0_14default_configENS1_25transform_config_selectorIfLb0EEEZNS1_14transform_implILb0ES3_S5_N6thrust23THRUST_200600_302600_NS6detail15normal_iteratorINS8_10device_ptrIfEEEEPfNS0_8identityIfEEEE10hipError_tT2_T3_mT4_P12ihipStream_tbEUlT_E_NS1_11comp_targetILNS1_3genE2ELNS1_11target_archE906ELNS1_3gpuE6ELNS1_3repE0EEENS1_30default_config_static_selectorELNS0_4arch9wavefront6targetE1EEEvT1_.has_indirect_call, 0
	.section	.AMDGPU.csdata,"",@progbits
; Kernel info:
; codeLenInByte = 0
; TotalNumSgprs: 6
; NumVgprs: 0
; NumAgprs: 0
; TotalNumVgprs: 0
; ScratchSize: 0
; MemoryBound: 0
; FloatMode: 240
; IeeeMode: 1
; LDSByteSize: 0 bytes/workgroup (compile time only)
; SGPRBlocks: 0
; VGPRBlocks: 0
; NumSGPRsForWavesPerEU: 6
; NumVGPRsForWavesPerEU: 1
; AccumOffset: 4
; Occupancy: 8
; WaveLimiterHint : 0
; COMPUTE_PGM_RSRC2:SCRATCH_EN: 0
; COMPUTE_PGM_RSRC2:USER_SGPR: 2
; COMPUTE_PGM_RSRC2:TRAP_HANDLER: 0
; COMPUTE_PGM_RSRC2:TGID_X_EN: 1
; COMPUTE_PGM_RSRC2:TGID_Y_EN: 0
; COMPUTE_PGM_RSRC2:TGID_Z_EN: 0
; COMPUTE_PGM_RSRC2:TIDIG_COMP_CNT: 0
; COMPUTE_PGM_RSRC3_GFX90A:ACCUM_OFFSET: 0
; COMPUTE_PGM_RSRC3_GFX90A:TG_SPLIT: 0
	.section	.text._ZN7rocprim17ROCPRIM_400000_NS6detail17trampoline_kernelINS0_14default_configENS1_25transform_config_selectorIfLb0EEEZNS1_14transform_implILb0ES3_S5_N6thrust23THRUST_200600_302600_NS6detail15normal_iteratorINS8_10device_ptrIfEEEEPfNS0_8identityIfEEEE10hipError_tT2_T3_mT4_P12ihipStream_tbEUlT_E_NS1_11comp_targetILNS1_3genE10ELNS1_11target_archE1201ELNS1_3gpuE5ELNS1_3repE0EEENS1_30default_config_static_selectorELNS0_4arch9wavefront6targetE1EEEvT1_,"axG",@progbits,_ZN7rocprim17ROCPRIM_400000_NS6detail17trampoline_kernelINS0_14default_configENS1_25transform_config_selectorIfLb0EEEZNS1_14transform_implILb0ES3_S5_N6thrust23THRUST_200600_302600_NS6detail15normal_iteratorINS8_10device_ptrIfEEEEPfNS0_8identityIfEEEE10hipError_tT2_T3_mT4_P12ihipStream_tbEUlT_E_NS1_11comp_targetILNS1_3genE10ELNS1_11target_archE1201ELNS1_3gpuE5ELNS1_3repE0EEENS1_30default_config_static_selectorELNS0_4arch9wavefront6targetE1EEEvT1_,comdat
	.protected	_ZN7rocprim17ROCPRIM_400000_NS6detail17trampoline_kernelINS0_14default_configENS1_25transform_config_selectorIfLb0EEEZNS1_14transform_implILb0ES3_S5_N6thrust23THRUST_200600_302600_NS6detail15normal_iteratorINS8_10device_ptrIfEEEEPfNS0_8identityIfEEEE10hipError_tT2_T3_mT4_P12ihipStream_tbEUlT_E_NS1_11comp_targetILNS1_3genE10ELNS1_11target_archE1201ELNS1_3gpuE5ELNS1_3repE0EEENS1_30default_config_static_selectorELNS0_4arch9wavefront6targetE1EEEvT1_ ; -- Begin function _ZN7rocprim17ROCPRIM_400000_NS6detail17trampoline_kernelINS0_14default_configENS1_25transform_config_selectorIfLb0EEEZNS1_14transform_implILb0ES3_S5_N6thrust23THRUST_200600_302600_NS6detail15normal_iteratorINS8_10device_ptrIfEEEEPfNS0_8identityIfEEEE10hipError_tT2_T3_mT4_P12ihipStream_tbEUlT_E_NS1_11comp_targetILNS1_3genE10ELNS1_11target_archE1201ELNS1_3gpuE5ELNS1_3repE0EEENS1_30default_config_static_selectorELNS0_4arch9wavefront6targetE1EEEvT1_
	.globl	_ZN7rocprim17ROCPRIM_400000_NS6detail17trampoline_kernelINS0_14default_configENS1_25transform_config_selectorIfLb0EEEZNS1_14transform_implILb0ES3_S5_N6thrust23THRUST_200600_302600_NS6detail15normal_iteratorINS8_10device_ptrIfEEEEPfNS0_8identityIfEEEE10hipError_tT2_T3_mT4_P12ihipStream_tbEUlT_E_NS1_11comp_targetILNS1_3genE10ELNS1_11target_archE1201ELNS1_3gpuE5ELNS1_3repE0EEENS1_30default_config_static_selectorELNS0_4arch9wavefront6targetE1EEEvT1_
	.p2align	8
	.type	_ZN7rocprim17ROCPRIM_400000_NS6detail17trampoline_kernelINS0_14default_configENS1_25transform_config_selectorIfLb0EEEZNS1_14transform_implILb0ES3_S5_N6thrust23THRUST_200600_302600_NS6detail15normal_iteratorINS8_10device_ptrIfEEEEPfNS0_8identityIfEEEE10hipError_tT2_T3_mT4_P12ihipStream_tbEUlT_E_NS1_11comp_targetILNS1_3genE10ELNS1_11target_archE1201ELNS1_3gpuE5ELNS1_3repE0EEENS1_30default_config_static_selectorELNS0_4arch9wavefront6targetE1EEEvT1_,@function
_ZN7rocprim17ROCPRIM_400000_NS6detail17trampoline_kernelINS0_14default_configENS1_25transform_config_selectorIfLb0EEEZNS1_14transform_implILb0ES3_S5_N6thrust23THRUST_200600_302600_NS6detail15normal_iteratorINS8_10device_ptrIfEEEEPfNS0_8identityIfEEEE10hipError_tT2_T3_mT4_P12ihipStream_tbEUlT_E_NS1_11comp_targetILNS1_3genE10ELNS1_11target_archE1201ELNS1_3gpuE5ELNS1_3repE0EEENS1_30default_config_static_selectorELNS0_4arch9wavefront6targetE1EEEvT1_: ; @_ZN7rocprim17ROCPRIM_400000_NS6detail17trampoline_kernelINS0_14default_configENS1_25transform_config_selectorIfLb0EEEZNS1_14transform_implILb0ES3_S5_N6thrust23THRUST_200600_302600_NS6detail15normal_iteratorINS8_10device_ptrIfEEEEPfNS0_8identityIfEEEE10hipError_tT2_T3_mT4_P12ihipStream_tbEUlT_E_NS1_11comp_targetILNS1_3genE10ELNS1_11target_archE1201ELNS1_3gpuE5ELNS1_3repE0EEENS1_30default_config_static_selectorELNS0_4arch9wavefront6targetE1EEEvT1_
; %bb.0:
	.section	.rodata,"a",@progbits
	.p2align	6, 0x0
	.amdhsa_kernel _ZN7rocprim17ROCPRIM_400000_NS6detail17trampoline_kernelINS0_14default_configENS1_25transform_config_selectorIfLb0EEEZNS1_14transform_implILb0ES3_S5_N6thrust23THRUST_200600_302600_NS6detail15normal_iteratorINS8_10device_ptrIfEEEEPfNS0_8identityIfEEEE10hipError_tT2_T3_mT4_P12ihipStream_tbEUlT_E_NS1_11comp_targetILNS1_3genE10ELNS1_11target_archE1201ELNS1_3gpuE5ELNS1_3repE0EEENS1_30default_config_static_selectorELNS0_4arch9wavefront6targetE1EEEvT1_
		.amdhsa_group_segment_fixed_size 0
		.amdhsa_private_segment_fixed_size 0
		.amdhsa_kernarg_size 40
		.amdhsa_user_sgpr_count 2
		.amdhsa_user_sgpr_dispatch_ptr 0
		.amdhsa_user_sgpr_queue_ptr 0
		.amdhsa_user_sgpr_kernarg_segment_ptr 1
		.amdhsa_user_sgpr_dispatch_id 0
		.amdhsa_user_sgpr_kernarg_preload_length 0
		.amdhsa_user_sgpr_kernarg_preload_offset 0
		.amdhsa_user_sgpr_private_segment_size 0
		.amdhsa_uses_dynamic_stack 0
		.amdhsa_enable_private_segment 0
		.amdhsa_system_sgpr_workgroup_id_x 1
		.amdhsa_system_sgpr_workgroup_id_y 0
		.amdhsa_system_sgpr_workgroup_id_z 0
		.amdhsa_system_sgpr_workgroup_info 0
		.amdhsa_system_vgpr_workitem_id 0
		.amdhsa_next_free_vgpr 1
		.amdhsa_next_free_sgpr 0
		.amdhsa_accum_offset 4
		.amdhsa_reserve_vcc 0
		.amdhsa_float_round_mode_32 0
		.amdhsa_float_round_mode_16_64 0
		.amdhsa_float_denorm_mode_32 3
		.amdhsa_float_denorm_mode_16_64 3
		.amdhsa_dx10_clamp 1
		.amdhsa_ieee_mode 1
		.amdhsa_fp16_overflow 0
		.amdhsa_tg_split 0
		.amdhsa_exception_fp_ieee_invalid_op 0
		.amdhsa_exception_fp_denorm_src 0
		.amdhsa_exception_fp_ieee_div_zero 0
		.amdhsa_exception_fp_ieee_overflow 0
		.amdhsa_exception_fp_ieee_underflow 0
		.amdhsa_exception_fp_ieee_inexact 0
		.amdhsa_exception_int_div_zero 0
	.end_amdhsa_kernel
	.section	.text._ZN7rocprim17ROCPRIM_400000_NS6detail17trampoline_kernelINS0_14default_configENS1_25transform_config_selectorIfLb0EEEZNS1_14transform_implILb0ES3_S5_N6thrust23THRUST_200600_302600_NS6detail15normal_iteratorINS8_10device_ptrIfEEEEPfNS0_8identityIfEEEE10hipError_tT2_T3_mT4_P12ihipStream_tbEUlT_E_NS1_11comp_targetILNS1_3genE10ELNS1_11target_archE1201ELNS1_3gpuE5ELNS1_3repE0EEENS1_30default_config_static_selectorELNS0_4arch9wavefront6targetE1EEEvT1_,"axG",@progbits,_ZN7rocprim17ROCPRIM_400000_NS6detail17trampoline_kernelINS0_14default_configENS1_25transform_config_selectorIfLb0EEEZNS1_14transform_implILb0ES3_S5_N6thrust23THRUST_200600_302600_NS6detail15normal_iteratorINS8_10device_ptrIfEEEEPfNS0_8identityIfEEEE10hipError_tT2_T3_mT4_P12ihipStream_tbEUlT_E_NS1_11comp_targetILNS1_3genE10ELNS1_11target_archE1201ELNS1_3gpuE5ELNS1_3repE0EEENS1_30default_config_static_selectorELNS0_4arch9wavefront6targetE1EEEvT1_,comdat
.Lfunc_end301:
	.size	_ZN7rocprim17ROCPRIM_400000_NS6detail17trampoline_kernelINS0_14default_configENS1_25transform_config_selectorIfLb0EEEZNS1_14transform_implILb0ES3_S5_N6thrust23THRUST_200600_302600_NS6detail15normal_iteratorINS8_10device_ptrIfEEEEPfNS0_8identityIfEEEE10hipError_tT2_T3_mT4_P12ihipStream_tbEUlT_E_NS1_11comp_targetILNS1_3genE10ELNS1_11target_archE1201ELNS1_3gpuE5ELNS1_3repE0EEENS1_30default_config_static_selectorELNS0_4arch9wavefront6targetE1EEEvT1_, .Lfunc_end301-_ZN7rocprim17ROCPRIM_400000_NS6detail17trampoline_kernelINS0_14default_configENS1_25transform_config_selectorIfLb0EEEZNS1_14transform_implILb0ES3_S5_N6thrust23THRUST_200600_302600_NS6detail15normal_iteratorINS8_10device_ptrIfEEEEPfNS0_8identityIfEEEE10hipError_tT2_T3_mT4_P12ihipStream_tbEUlT_E_NS1_11comp_targetILNS1_3genE10ELNS1_11target_archE1201ELNS1_3gpuE5ELNS1_3repE0EEENS1_30default_config_static_selectorELNS0_4arch9wavefront6targetE1EEEvT1_
                                        ; -- End function
	.set _ZN7rocprim17ROCPRIM_400000_NS6detail17trampoline_kernelINS0_14default_configENS1_25transform_config_selectorIfLb0EEEZNS1_14transform_implILb0ES3_S5_N6thrust23THRUST_200600_302600_NS6detail15normal_iteratorINS8_10device_ptrIfEEEEPfNS0_8identityIfEEEE10hipError_tT2_T3_mT4_P12ihipStream_tbEUlT_E_NS1_11comp_targetILNS1_3genE10ELNS1_11target_archE1201ELNS1_3gpuE5ELNS1_3repE0EEENS1_30default_config_static_selectorELNS0_4arch9wavefront6targetE1EEEvT1_.num_vgpr, 0
	.set _ZN7rocprim17ROCPRIM_400000_NS6detail17trampoline_kernelINS0_14default_configENS1_25transform_config_selectorIfLb0EEEZNS1_14transform_implILb0ES3_S5_N6thrust23THRUST_200600_302600_NS6detail15normal_iteratorINS8_10device_ptrIfEEEEPfNS0_8identityIfEEEE10hipError_tT2_T3_mT4_P12ihipStream_tbEUlT_E_NS1_11comp_targetILNS1_3genE10ELNS1_11target_archE1201ELNS1_3gpuE5ELNS1_3repE0EEENS1_30default_config_static_selectorELNS0_4arch9wavefront6targetE1EEEvT1_.num_agpr, 0
	.set _ZN7rocprim17ROCPRIM_400000_NS6detail17trampoline_kernelINS0_14default_configENS1_25transform_config_selectorIfLb0EEEZNS1_14transform_implILb0ES3_S5_N6thrust23THRUST_200600_302600_NS6detail15normal_iteratorINS8_10device_ptrIfEEEEPfNS0_8identityIfEEEE10hipError_tT2_T3_mT4_P12ihipStream_tbEUlT_E_NS1_11comp_targetILNS1_3genE10ELNS1_11target_archE1201ELNS1_3gpuE5ELNS1_3repE0EEENS1_30default_config_static_selectorELNS0_4arch9wavefront6targetE1EEEvT1_.numbered_sgpr, 0
	.set _ZN7rocprim17ROCPRIM_400000_NS6detail17trampoline_kernelINS0_14default_configENS1_25transform_config_selectorIfLb0EEEZNS1_14transform_implILb0ES3_S5_N6thrust23THRUST_200600_302600_NS6detail15normal_iteratorINS8_10device_ptrIfEEEEPfNS0_8identityIfEEEE10hipError_tT2_T3_mT4_P12ihipStream_tbEUlT_E_NS1_11comp_targetILNS1_3genE10ELNS1_11target_archE1201ELNS1_3gpuE5ELNS1_3repE0EEENS1_30default_config_static_selectorELNS0_4arch9wavefront6targetE1EEEvT1_.num_named_barrier, 0
	.set _ZN7rocprim17ROCPRIM_400000_NS6detail17trampoline_kernelINS0_14default_configENS1_25transform_config_selectorIfLb0EEEZNS1_14transform_implILb0ES3_S5_N6thrust23THRUST_200600_302600_NS6detail15normal_iteratorINS8_10device_ptrIfEEEEPfNS0_8identityIfEEEE10hipError_tT2_T3_mT4_P12ihipStream_tbEUlT_E_NS1_11comp_targetILNS1_3genE10ELNS1_11target_archE1201ELNS1_3gpuE5ELNS1_3repE0EEENS1_30default_config_static_selectorELNS0_4arch9wavefront6targetE1EEEvT1_.private_seg_size, 0
	.set _ZN7rocprim17ROCPRIM_400000_NS6detail17trampoline_kernelINS0_14default_configENS1_25transform_config_selectorIfLb0EEEZNS1_14transform_implILb0ES3_S5_N6thrust23THRUST_200600_302600_NS6detail15normal_iteratorINS8_10device_ptrIfEEEEPfNS0_8identityIfEEEE10hipError_tT2_T3_mT4_P12ihipStream_tbEUlT_E_NS1_11comp_targetILNS1_3genE10ELNS1_11target_archE1201ELNS1_3gpuE5ELNS1_3repE0EEENS1_30default_config_static_selectorELNS0_4arch9wavefront6targetE1EEEvT1_.uses_vcc, 0
	.set _ZN7rocprim17ROCPRIM_400000_NS6detail17trampoline_kernelINS0_14default_configENS1_25transform_config_selectorIfLb0EEEZNS1_14transform_implILb0ES3_S5_N6thrust23THRUST_200600_302600_NS6detail15normal_iteratorINS8_10device_ptrIfEEEEPfNS0_8identityIfEEEE10hipError_tT2_T3_mT4_P12ihipStream_tbEUlT_E_NS1_11comp_targetILNS1_3genE10ELNS1_11target_archE1201ELNS1_3gpuE5ELNS1_3repE0EEENS1_30default_config_static_selectorELNS0_4arch9wavefront6targetE1EEEvT1_.uses_flat_scratch, 0
	.set _ZN7rocprim17ROCPRIM_400000_NS6detail17trampoline_kernelINS0_14default_configENS1_25transform_config_selectorIfLb0EEEZNS1_14transform_implILb0ES3_S5_N6thrust23THRUST_200600_302600_NS6detail15normal_iteratorINS8_10device_ptrIfEEEEPfNS0_8identityIfEEEE10hipError_tT2_T3_mT4_P12ihipStream_tbEUlT_E_NS1_11comp_targetILNS1_3genE10ELNS1_11target_archE1201ELNS1_3gpuE5ELNS1_3repE0EEENS1_30default_config_static_selectorELNS0_4arch9wavefront6targetE1EEEvT1_.has_dyn_sized_stack, 0
	.set _ZN7rocprim17ROCPRIM_400000_NS6detail17trampoline_kernelINS0_14default_configENS1_25transform_config_selectorIfLb0EEEZNS1_14transform_implILb0ES3_S5_N6thrust23THRUST_200600_302600_NS6detail15normal_iteratorINS8_10device_ptrIfEEEEPfNS0_8identityIfEEEE10hipError_tT2_T3_mT4_P12ihipStream_tbEUlT_E_NS1_11comp_targetILNS1_3genE10ELNS1_11target_archE1201ELNS1_3gpuE5ELNS1_3repE0EEENS1_30default_config_static_selectorELNS0_4arch9wavefront6targetE1EEEvT1_.has_recursion, 0
	.set _ZN7rocprim17ROCPRIM_400000_NS6detail17trampoline_kernelINS0_14default_configENS1_25transform_config_selectorIfLb0EEEZNS1_14transform_implILb0ES3_S5_N6thrust23THRUST_200600_302600_NS6detail15normal_iteratorINS8_10device_ptrIfEEEEPfNS0_8identityIfEEEE10hipError_tT2_T3_mT4_P12ihipStream_tbEUlT_E_NS1_11comp_targetILNS1_3genE10ELNS1_11target_archE1201ELNS1_3gpuE5ELNS1_3repE0EEENS1_30default_config_static_selectorELNS0_4arch9wavefront6targetE1EEEvT1_.has_indirect_call, 0
	.section	.AMDGPU.csdata,"",@progbits
; Kernel info:
; codeLenInByte = 0
; TotalNumSgprs: 6
; NumVgprs: 0
; NumAgprs: 0
; TotalNumVgprs: 0
; ScratchSize: 0
; MemoryBound: 0
; FloatMode: 240
; IeeeMode: 1
; LDSByteSize: 0 bytes/workgroup (compile time only)
; SGPRBlocks: 0
; VGPRBlocks: 0
; NumSGPRsForWavesPerEU: 6
; NumVGPRsForWavesPerEU: 1
; AccumOffset: 4
; Occupancy: 8
; WaveLimiterHint : 0
; COMPUTE_PGM_RSRC2:SCRATCH_EN: 0
; COMPUTE_PGM_RSRC2:USER_SGPR: 2
; COMPUTE_PGM_RSRC2:TRAP_HANDLER: 0
; COMPUTE_PGM_RSRC2:TGID_X_EN: 1
; COMPUTE_PGM_RSRC2:TGID_Y_EN: 0
; COMPUTE_PGM_RSRC2:TGID_Z_EN: 0
; COMPUTE_PGM_RSRC2:TIDIG_COMP_CNT: 0
; COMPUTE_PGM_RSRC3_GFX90A:ACCUM_OFFSET: 0
; COMPUTE_PGM_RSRC3_GFX90A:TG_SPLIT: 0
	.section	.text._ZN7rocprim17ROCPRIM_400000_NS6detail17trampoline_kernelINS0_14default_configENS1_25transform_config_selectorIfLb0EEEZNS1_14transform_implILb0ES3_S5_N6thrust23THRUST_200600_302600_NS6detail15normal_iteratorINS8_10device_ptrIfEEEEPfNS0_8identityIfEEEE10hipError_tT2_T3_mT4_P12ihipStream_tbEUlT_E_NS1_11comp_targetILNS1_3genE10ELNS1_11target_archE1200ELNS1_3gpuE4ELNS1_3repE0EEENS1_30default_config_static_selectorELNS0_4arch9wavefront6targetE1EEEvT1_,"axG",@progbits,_ZN7rocprim17ROCPRIM_400000_NS6detail17trampoline_kernelINS0_14default_configENS1_25transform_config_selectorIfLb0EEEZNS1_14transform_implILb0ES3_S5_N6thrust23THRUST_200600_302600_NS6detail15normal_iteratorINS8_10device_ptrIfEEEEPfNS0_8identityIfEEEE10hipError_tT2_T3_mT4_P12ihipStream_tbEUlT_E_NS1_11comp_targetILNS1_3genE10ELNS1_11target_archE1200ELNS1_3gpuE4ELNS1_3repE0EEENS1_30default_config_static_selectorELNS0_4arch9wavefront6targetE1EEEvT1_,comdat
	.protected	_ZN7rocprim17ROCPRIM_400000_NS6detail17trampoline_kernelINS0_14default_configENS1_25transform_config_selectorIfLb0EEEZNS1_14transform_implILb0ES3_S5_N6thrust23THRUST_200600_302600_NS6detail15normal_iteratorINS8_10device_ptrIfEEEEPfNS0_8identityIfEEEE10hipError_tT2_T3_mT4_P12ihipStream_tbEUlT_E_NS1_11comp_targetILNS1_3genE10ELNS1_11target_archE1200ELNS1_3gpuE4ELNS1_3repE0EEENS1_30default_config_static_selectorELNS0_4arch9wavefront6targetE1EEEvT1_ ; -- Begin function _ZN7rocprim17ROCPRIM_400000_NS6detail17trampoline_kernelINS0_14default_configENS1_25transform_config_selectorIfLb0EEEZNS1_14transform_implILb0ES3_S5_N6thrust23THRUST_200600_302600_NS6detail15normal_iteratorINS8_10device_ptrIfEEEEPfNS0_8identityIfEEEE10hipError_tT2_T3_mT4_P12ihipStream_tbEUlT_E_NS1_11comp_targetILNS1_3genE10ELNS1_11target_archE1200ELNS1_3gpuE4ELNS1_3repE0EEENS1_30default_config_static_selectorELNS0_4arch9wavefront6targetE1EEEvT1_
	.globl	_ZN7rocprim17ROCPRIM_400000_NS6detail17trampoline_kernelINS0_14default_configENS1_25transform_config_selectorIfLb0EEEZNS1_14transform_implILb0ES3_S5_N6thrust23THRUST_200600_302600_NS6detail15normal_iteratorINS8_10device_ptrIfEEEEPfNS0_8identityIfEEEE10hipError_tT2_T3_mT4_P12ihipStream_tbEUlT_E_NS1_11comp_targetILNS1_3genE10ELNS1_11target_archE1200ELNS1_3gpuE4ELNS1_3repE0EEENS1_30default_config_static_selectorELNS0_4arch9wavefront6targetE1EEEvT1_
	.p2align	8
	.type	_ZN7rocprim17ROCPRIM_400000_NS6detail17trampoline_kernelINS0_14default_configENS1_25transform_config_selectorIfLb0EEEZNS1_14transform_implILb0ES3_S5_N6thrust23THRUST_200600_302600_NS6detail15normal_iteratorINS8_10device_ptrIfEEEEPfNS0_8identityIfEEEE10hipError_tT2_T3_mT4_P12ihipStream_tbEUlT_E_NS1_11comp_targetILNS1_3genE10ELNS1_11target_archE1200ELNS1_3gpuE4ELNS1_3repE0EEENS1_30default_config_static_selectorELNS0_4arch9wavefront6targetE1EEEvT1_,@function
_ZN7rocprim17ROCPRIM_400000_NS6detail17trampoline_kernelINS0_14default_configENS1_25transform_config_selectorIfLb0EEEZNS1_14transform_implILb0ES3_S5_N6thrust23THRUST_200600_302600_NS6detail15normal_iteratorINS8_10device_ptrIfEEEEPfNS0_8identityIfEEEE10hipError_tT2_T3_mT4_P12ihipStream_tbEUlT_E_NS1_11comp_targetILNS1_3genE10ELNS1_11target_archE1200ELNS1_3gpuE4ELNS1_3repE0EEENS1_30default_config_static_selectorELNS0_4arch9wavefront6targetE1EEEvT1_: ; @_ZN7rocprim17ROCPRIM_400000_NS6detail17trampoline_kernelINS0_14default_configENS1_25transform_config_selectorIfLb0EEEZNS1_14transform_implILb0ES3_S5_N6thrust23THRUST_200600_302600_NS6detail15normal_iteratorINS8_10device_ptrIfEEEEPfNS0_8identityIfEEEE10hipError_tT2_T3_mT4_P12ihipStream_tbEUlT_E_NS1_11comp_targetILNS1_3genE10ELNS1_11target_archE1200ELNS1_3gpuE4ELNS1_3repE0EEENS1_30default_config_static_selectorELNS0_4arch9wavefront6targetE1EEEvT1_
; %bb.0:
	.section	.rodata,"a",@progbits
	.p2align	6, 0x0
	.amdhsa_kernel _ZN7rocprim17ROCPRIM_400000_NS6detail17trampoline_kernelINS0_14default_configENS1_25transform_config_selectorIfLb0EEEZNS1_14transform_implILb0ES3_S5_N6thrust23THRUST_200600_302600_NS6detail15normal_iteratorINS8_10device_ptrIfEEEEPfNS0_8identityIfEEEE10hipError_tT2_T3_mT4_P12ihipStream_tbEUlT_E_NS1_11comp_targetILNS1_3genE10ELNS1_11target_archE1200ELNS1_3gpuE4ELNS1_3repE0EEENS1_30default_config_static_selectorELNS0_4arch9wavefront6targetE1EEEvT1_
		.amdhsa_group_segment_fixed_size 0
		.amdhsa_private_segment_fixed_size 0
		.amdhsa_kernarg_size 40
		.amdhsa_user_sgpr_count 2
		.amdhsa_user_sgpr_dispatch_ptr 0
		.amdhsa_user_sgpr_queue_ptr 0
		.amdhsa_user_sgpr_kernarg_segment_ptr 1
		.amdhsa_user_sgpr_dispatch_id 0
		.amdhsa_user_sgpr_kernarg_preload_length 0
		.amdhsa_user_sgpr_kernarg_preload_offset 0
		.amdhsa_user_sgpr_private_segment_size 0
		.amdhsa_uses_dynamic_stack 0
		.amdhsa_enable_private_segment 0
		.amdhsa_system_sgpr_workgroup_id_x 1
		.amdhsa_system_sgpr_workgroup_id_y 0
		.amdhsa_system_sgpr_workgroup_id_z 0
		.amdhsa_system_sgpr_workgroup_info 0
		.amdhsa_system_vgpr_workitem_id 0
		.amdhsa_next_free_vgpr 1
		.amdhsa_next_free_sgpr 0
		.amdhsa_accum_offset 4
		.amdhsa_reserve_vcc 0
		.amdhsa_float_round_mode_32 0
		.amdhsa_float_round_mode_16_64 0
		.amdhsa_float_denorm_mode_32 3
		.amdhsa_float_denorm_mode_16_64 3
		.amdhsa_dx10_clamp 1
		.amdhsa_ieee_mode 1
		.amdhsa_fp16_overflow 0
		.amdhsa_tg_split 0
		.amdhsa_exception_fp_ieee_invalid_op 0
		.amdhsa_exception_fp_denorm_src 0
		.amdhsa_exception_fp_ieee_div_zero 0
		.amdhsa_exception_fp_ieee_overflow 0
		.amdhsa_exception_fp_ieee_underflow 0
		.amdhsa_exception_fp_ieee_inexact 0
		.amdhsa_exception_int_div_zero 0
	.end_amdhsa_kernel
	.section	.text._ZN7rocprim17ROCPRIM_400000_NS6detail17trampoline_kernelINS0_14default_configENS1_25transform_config_selectorIfLb0EEEZNS1_14transform_implILb0ES3_S5_N6thrust23THRUST_200600_302600_NS6detail15normal_iteratorINS8_10device_ptrIfEEEEPfNS0_8identityIfEEEE10hipError_tT2_T3_mT4_P12ihipStream_tbEUlT_E_NS1_11comp_targetILNS1_3genE10ELNS1_11target_archE1200ELNS1_3gpuE4ELNS1_3repE0EEENS1_30default_config_static_selectorELNS0_4arch9wavefront6targetE1EEEvT1_,"axG",@progbits,_ZN7rocprim17ROCPRIM_400000_NS6detail17trampoline_kernelINS0_14default_configENS1_25transform_config_selectorIfLb0EEEZNS1_14transform_implILb0ES3_S5_N6thrust23THRUST_200600_302600_NS6detail15normal_iteratorINS8_10device_ptrIfEEEEPfNS0_8identityIfEEEE10hipError_tT2_T3_mT4_P12ihipStream_tbEUlT_E_NS1_11comp_targetILNS1_3genE10ELNS1_11target_archE1200ELNS1_3gpuE4ELNS1_3repE0EEENS1_30default_config_static_selectorELNS0_4arch9wavefront6targetE1EEEvT1_,comdat
.Lfunc_end302:
	.size	_ZN7rocprim17ROCPRIM_400000_NS6detail17trampoline_kernelINS0_14default_configENS1_25transform_config_selectorIfLb0EEEZNS1_14transform_implILb0ES3_S5_N6thrust23THRUST_200600_302600_NS6detail15normal_iteratorINS8_10device_ptrIfEEEEPfNS0_8identityIfEEEE10hipError_tT2_T3_mT4_P12ihipStream_tbEUlT_E_NS1_11comp_targetILNS1_3genE10ELNS1_11target_archE1200ELNS1_3gpuE4ELNS1_3repE0EEENS1_30default_config_static_selectorELNS0_4arch9wavefront6targetE1EEEvT1_, .Lfunc_end302-_ZN7rocprim17ROCPRIM_400000_NS6detail17trampoline_kernelINS0_14default_configENS1_25transform_config_selectorIfLb0EEEZNS1_14transform_implILb0ES3_S5_N6thrust23THRUST_200600_302600_NS6detail15normal_iteratorINS8_10device_ptrIfEEEEPfNS0_8identityIfEEEE10hipError_tT2_T3_mT4_P12ihipStream_tbEUlT_E_NS1_11comp_targetILNS1_3genE10ELNS1_11target_archE1200ELNS1_3gpuE4ELNS1_3repE0EEENS1_30default_config_static_selectorELNS0_4arch9wavefront6targetE1EEEvT1_
                                        ; -- End function
	.set _ZN7rocprim17ROCPRIM_400000_NS6detail17trampoline_kernelINS0_14default_configENS1_25transform_config_selectorIfLb0EEEZNS1_14transform_implILb0ES3_S5_N6thrust23THRUST_200600_302600_NS6detail15normal_iteratorINS8_10device_ptrIfEEEEPfNS0_8identityIfEEEE10hipError_tT2_T3_mT4_P12ihipStream_tbEUlT_E_NS1_11comp_targetILNS1_3genE10ELNS1_11target_archE1200ELNS1_3gpuE4ELNS1_3repE0EEENS1_30default_config_static_selectorELNS0_4arch9wavefront6targetE1EEEvT1_.num_vgpr, 0
	.set _ZN7rocprim17ROCPRIM_400000_NS6detail17trampoline_kernelINS0_14default_configENS1_25transform_config_selectorIfLb0EEEZNS1_14transform_implILb0ES3_S5_N6thrust23THRUST_200600_302600_NS6detail15normal_iteratorINS8_10device_ptrIfEEEEPfNS0_8identityIfEEEE10hipError_tT2_T3_mT4_P12ihipStream_tbEUlT_E_NS1_11comp_targetILNS1_3genE10ELNS1_11target_archE1200ELNS1_3gpuE4ELNS1_3repE0EEENS1_30default_config_static_selectorELNS0_4arch9wavefront6targetE1EEEvT1_.num_agpr, 0
	.set _ZN7rocprim17ROCPRIM_400000_NS6detail17trampoline_kernelINS0_14default_configENS1_25transform_config_selectorIfLb0EEEZNS1_14transform_implILb0ES3_S5_N6thrust23THRUST_200600_302600_NS6detail15normal_iteratorINS8_10device_ptrIfEEEEPfNS0_8identityIfEEEE10hipError_tT2_T3_mT4_P12ihipStream_tbEUlT_E_NS1_11comp_targetILNS1_3genE10ELNS1_11target_archE1200ELNS1_3gpuE4ELNS1_3repE0EEENS1_30default_config_static_selectorELNS0_4arch9wavefront6targetE1EEEvT1_.numbered_sgpr, 0
	.set _ZN7rocprim17ROCPRIM_400000_NS6detail17trampoline_kernelINS0_14default_configENS1_25transform_config_selectorIfLb0EEEZNS1_14transform_implILb0ES3_S5_N6thrust23THRUST_200600_302600_NS6detail15normal_iteratorINS8_10device_ptrIfEEEEPfNS0_8identityIfEEEE10hipError_tT2_T3_mT4_P12ihipStream_tbEUlT_E_NS1_11comp_targetILNS1_3genE10ELNS1_11target_archE1200ELNS1_3gpuE4ELNS1_3repE0EEENS1_30default_config_static_selectorELNS0_4arch9wavefront6targetE1EEEvT1_.num_named_barrier, 0
	.set _ZN7rocprim17ROCPRIM_400000_NS6detail17trampoline_kernelINS0_14default_configENS1_25transform_config_selectorIfLb0EEEZNS1_14transform_implILb0ES3_S5_N6thrust23THRUST_200600_302600_NS6detail15normal_iteratorINS8_10device_ptrIfEEEEPfNS0_8identityIfEEEE10hipError_tT2_T3_mT4_P12ihipStream_tbEUlT_E_NS1_11comp_targetILNS1_3genE10ELNS1_11target_archE1200ELNS1_3gpuE4ELNS1_3repE0EEENS1_30default_config_static_selectorELNS0_4arch9wavefront6targetE1EEEvT1_.private_seg_size, 0
	.set _ZN7rocprim17ROCPRIM_400000_NS6detail17trampoline_kernelINS0_14default_configENS1_25transform_config_selectorIfLb0EEEZNS1_14transform_implILb0ES3_S5_N6thrust23THRUST_200600_302600_NS6detail15normal_iteratorINS8_10device_ptrIfEEEEPfNS0_8identityIfEEEE10hipError_tT2_T3_mT4_P12ihipStream_tbEUlT_E_NS1_11comp_targetILNS1_3genE10ELNS1_11target_archE1200ELNS1_3gpuE4ELNS1_3repE0EEENS1_30default_config_static_selectorELNS0_4arch9wavefront6targetE1EEEvT1_.uses_vcc, 0
	.set _ZN7rocprim17ROCPRIM_400000_NS6detail17trampoline_kernelINS0_14default_configENS1_25transform_config_selectorIfLb0EEEZNS1_14transform_implILb0ES3_S5_N6thrust23THRUST_200600_302600_NS6detail15normal_iteratorINS8_10device_ptrIfEEEEPfNS0_8identityIfEEEE10hipError_tT2_T3_mT4_P12ihipStream_tbEUlT_E_NS1_11comp_targetILNS1_3genE10ELNS1_11target_archE1200ELNS1_3gpuE4ELNS1_3repE0EEENS1_30default_config_static_selectorELNS0_4arch9wavefront6targetE1EEEvT1_.uses_flat_scratch, 0
	.set _ZN7rocprim17ROCPRIM_400000_NS6detail17trampoline_kernelINS0_14default_configENS1_25transform_config_selectorIfLb0EEEZNS1_14transform_implILb0ES3_S5_N6thrust23THRUST_200600_302600_NS6detail15normal_iteratorINS8_10device_ptrIfEEEEPfNS0_8identityIfEEEE10hipError_tT2_T3_mT4_P12ihipStream_tbEUlT_E_NS1_11comp_targetILNS1_3genE10ELNS1_11target_archE1200ELNS1_3gpuE4ELNS1_3repE0EEENS1_30default_config_static_selectorELNS0_4arch9wavefront6targetE1EEEvT1_.has_dyn_sized_stack, 0
	.set _ZN7rocprim17ROCPRIM_400000_NS6detail17trampoline_kernelINS0_14default_configENS1_25transform_config_selectorIfLb0EEEZNS1_14transform_implILb0ES3_S5_N6thrust23THRUST_200600_302600_NS6detail15normal_iteratorINS8_10device_ptrIfEEEEPfNS0_8identityIfEEEE10hipError_tT2_T3_mT4_P12ihipStream_tbEUlT_E_NS1_11comp_targetILNS1_3genE10ELNS1_11target_archE1200ELNS1_3gpuE4ELNS1_3repE0EEENS1_30default_config_static_selectorELNS0_4arch9wavefront6targetE1EEEvT1_.has_recursion, 0
	.set _ZN7rocprim17ROCPRIM_400000_NS6detail17trampoline_kernelINS0_14default_configENS1_25transform_config_selectorIfLb0EEEZNS1_14transform_implILb0ES3_S5_N6thrust23THRUST_200600_302600_NS6detail15normal_iteratorINS8_10device_ptrIfEEEEPfNS0_8identityIfEEEE10hipError_tT2_T3_mT4_P12ihipStream_tbEUlT_E_NS1_11comp_targetILNS1_3genE10ELNS1_11target_archE1200ELNS1_3gpuE4ELNS1_3repE0EEENS1_30default_config_static_selectorELNS0_4arch9wavefront6targetE1EEEvT1_.has_indirect_call, 0
	.section	.AMDGPU.csdata,"",@progbits
; Kernel info:
; codeLenInByte = 0
; TotalNumSgprs: 6
; NumVgprs: 0
; NumAgprs: 0
; TotalNumVgprs: 0
; ScratchSize: 0
; MemoryBound: 0
; FloatMode: 240
; IeeeMode: 1
; LDSByteSize: 0 bytes/workgroup (compile time only)
; SGPRBlocks: 0
; VGPRBlocks: 0
; NumSGPRsForWavesPerEU: 6
; NumVGPRsForWavesPerEU: 1
; AccumOffset: 4
; Occupancy: 8
; WaveLimiterHint : 0
; COMPUTE_PGM_RSRC2:SCRATCH_EN: 0
; COMPUTE_PGM_RSRC2:USER_SGPR: 2
; COMPUTE_PGM_RSRC2:TRAP_HANDLER: 0
; COMPUTE_PGM_RSRC2:TGID_X_EN: 1
; COMPUTE_PGM_RSRC2:TGID_Y_EN: 0
; COMPUTE_PGM_RSRC2:TGID_Z_EN: 0
; COMPUTE_PGM_RSRC2:TIDIG_COMP_CNT: 0
; COMPUTE_PGM_RSRC3_GFX90A:ACCUM_OFFSET: 0
; COMPUTE_PGM_RSRC3_GFX90A:TG_SPLIT: 0
	.section	.text._ZN7rocprim17ROCPRIM_400000_NS6detail17trampoline_kernelINS0_14default_configENS1_25transform_config_selectorIfLb0EEEZNS1_14transform_implILb0ES3_S5_N6thrust23THRUST_200600_302600_NS6detail15normal_iteratorINS8_10device_ptrIfEEEEPfNS0_8identityIfEEEE10hipError_tT2_T3_mT4_P12ihipStream_tbEUlT_E_NS1_11comp_targetILNS1_3genE9ELNS1_11target_archE1100ELNS1_3gpuE3ELNS1_3repE0EEENS1_30default_config_static_selectorELNS0_4arch9wavefront6targetE1EEEvT1_,"axG",@progbits,_ZN7rocprim17ROCPRIM_400000_NS6detail17trampoline_kernelINS0_14default_configENS1_25transform_config_selectorIfLb0EEEZNS1_14transform_implILb0ES3_S5_N6thrust23THRUST_200600_302600_NS6detail15normal_iteratorINS8_10device_ptrIfEEEEPfNS0_8identityIfEEEE10hipError_tT2_T3_mT4_P12ihipStream_tbEUlT_E_NS1_11comp_targetILNS1_3genE9ELNS1_11target_archE1100ELNS1_3gpuE3ELNS1_3repE0EEENS1_30default_config_static_selectorELNS0_4arch9wavefront6targetE1EEEvT1_,comdat
	.protected	_ZN7rocprim17ROCPRIM_400000_NS6detail17trampoline_kernelINS0_14default_configENS1_25transform_config_selectorIfLb0EEEZNS1_14transform_implILb0ES3_S5_N6thrust23THRUST_200600_302600_NS6detail15normal_iteratorINS8_10device_ptrIfEEEEPfNS0_8identityIfEEEE10hipError_tT2_T3_mT4_P12ihipStream_tbEUlT_E_NS1_11comp_targetILNS1_3genE9ELNS1_11target_archE1100ELNS1_3gpuE3ELNS1_3repE0EEENS1_30default_config_static_selectorELNS0_4arch9wavefront6targetE1EEEvT1_ ; -- Begin function _ZN7rocprim17ROCPRIM_400000_NS6detail17trampoline_kernelINS0_14default_configENS1_25transform_config_selectorIfLb0EEEZNS1_14transform_implILb0ES3_S5_N6thrust23THRUST_200600_302600_NS6detail15normal_iteratorINS8_10device_ptrIfEEEEPfNS0_8identityIfEEEE10hipError_tT2_T3_mT4_P12ihipStream_tbEUlT_E_NS1_11comp_targetILNS1_3genE9ELNS1_11target_archE1100ELNS1_3gpuE3ELNS1_3repE0EEENS1_30default_config_static_selectorELNS0_4arch9wavefront6targetE1EEEvT1_
	.globl	_ZN7rocprim17ROCPRIM_400000_NS6detail17trampoline_kernelINS0_14default_configENS1_25transform_config_selectorIfLb0EEEZNS1_14transform_implILb0ES3_S5_N6thrust23THRUST_200600_302600_NS6detail15normal_iteratorINS8_10device_ptrIfEEEEPfNS0_8identityIfEEEE10hipError_tT2_T3_mT4_P12ihipStream_tbEUlT_E_NS1_11comp_targetILNS1_3genE9ELNS1_11target_archE1100ELNS1_3gpuE3ELNS1_3repE0EEENS1_30default_config_static_selectorELNS0_4arch9wavefront6targetE1EEEvT1_
	.p2align	8
	.type	_ZN7rocprim17ROCPRIM_400000_NS6detail17trampoline_kernelINS0_14default_configENS1_25transform_config_selectorIfLb0EEEZNS1_14transform_implILb0ES3_S5_N6thrust23THRUST_200600_302600_NS6detail15normal_iteratorINS8_10device_ptrIfEEEEPfNS0_8identityIfEEEE10hipError_tT2_T3_mT4_P12ihipStream_tbEUlT_E_NS1_11comp_targetILNS1_3genE9ELNS1_11target_archE1100ELNS1_3gpuE3ELNS1_3repE0EEENS1_30default_config_static_selectorELNS0_4arch9wavefront6targetE1EEEvT1_,@function
_ZN7rocprim17ROCPRIM_400000_NS6detail17trampoline_kernelINS0_14default_configENS1_25transform_config_selectorIfLb0EEEZNS1_14transform_implILb0ES3_S5_N6thrust23THRUST_200600_302600_NS6detail15normal_iteratorINS8_10device_ptrIfEEEEPfNS0_8identityIfEEEE10hipError_tT2_T3_mT4_P12ihipStream_tbEUlT_E_NS1_11comp_targetILNS1_3genE9ELNS1_11target_archE1100ELNS1_3gpuE3ELNS1_3repE0EEENS1_30default_config_static_selectorELNS0_4arch9wavefront6targetE1EEEvT1_: ; @_ZN7rocprim17ROCPRIM_400000_NS6detail17trampoline_kernelINS0_14default_configENS1_25transform_config_selectorIfLb0EEEZNS1_14transform_implILb0ES3_S5_N6thrust23THRUST_200600_302600_NS6detail15normal_iteratorINS8_10device_ptrIfEEEEPfNS0_8identityIfEEEE10hipError_tT2_T3_mT4_P12ihipStream_tbEUlT_E_NS1_11comp_targetILNS1_3genE9ELNS1_11target_archE1100ELNS1_3gpuE3ELNS1_3repE0EEENS1_30default_config_static_selectorELNS0_4arch9wavefront6targetE1EEEvT1_
; %bb.0:
	.section	.rodata,"a",@progbits
	.p2align	6, 0x0
	.amdhsa_kernel _ZN7rocprim17ROCPRIM_400000_NS6detail17trampoline_kernelINS0_14default_configENS1_25transform_config_selectorIfLb0EEEZNS1_14transform_implILb0ES3_S5_N6thrust23THRUST_200600_302600_NS6detail15normal_iteratorINS8_10device_ptrIfEEEEPfNS0_8identityIfEEEE10hipError_tT2_T3_mT4_P12ihipStream_tbEUlT_E_NS1_11comp_targetILNS1_3genE9ELNS1_11target_archE1100ELNS1_3gpuE3ELNS1_3repE0EEENS1_30default_config_static_selectorELNS0_4arch9wavefront6targetE1EEEvT1_
		.amdhsa_group_segment_fixed_size 0
		.amdhsa_private_segment_fixed_size 0
		.amdhsa_kernarg_size 40
		.amdhsa_user_sgpr_count 2
		.amdhsa_user_sgpr_dispatch_ptr 0
		.amdhsa_user_sgpr_queue_ptr 0
		.amdhsa_user_sgpr_kernarg_segment_ptr 1
		.amdhsa_user_sgpr_dispatch_id 0
		.amdhsa_user_sgpr_kernarg_preload_length 0
		.amdhsa_user_sgpr_kernarg_preload_offset 0
		.amdhsa_user_sgpr_private_segment_size 0
		.amdhsa_uses_dynamic_stack 0
		.amdhsa_enable_private_segment 0
		.amdhsa_system_sgpr_workgroup_id_x 1
		.amdhsa_system_sgpr_workgroup_id_y 0
		.amdhsa_system_sgpr_workgroup_id_z 0
		.amdhsa_system_sgpr_workgroup_info 0
		.amdhsa_system_vgpr_workitem_id 0
		.amdhsa_next_free_vgpr 1
		.amdhsa_next_free_sgpr 0
		.amdhsa_accum_offset 4
		.amdhsa_reserve_vcc 0
		.amdhsa_float_round_mode_32 0
		.amdhsa_float_round_mode_16_64 0
		.amdhsa_float_denorm_mode_32 3
		.amdhsa_float_denorm_mode_16_64 3
		.amdhsa_dx10_clamp 1
		.amdhsa_ieee_mode 1
		.amdhsa_fp16_overflow 0
		.amdhsa_tg_split 0
		.amdhsa_exception_fp_ieee_invalid_op 0
		.amdhsa_exception_fp_denorm_src 0
		.amdhsa_exception_fp_ieee_div_zero 0
		.amdhsa_exception_fp_ieee_overflow 0
		.amdhsa_exception_fp_ieee_underflow 0
		.amdhsa_exception_fp_ieee_inexact 0
		.amdhsa_exception_int_div_zero 0
	.end_amdhsa_kernel
	.section	.text._ZN7rocprim17ROCPRIM_400000_NS6detail17trampoline_kernelINS0_14default_configENS1_25transform_config_selectorIfLb0EEEZNS1_14transform_implILb0ES3_S5_N6thrust23THRUST_200600_302600_NS6detail15normal_iteratorINS8_10device_ptrIfEEEEPfNS0_8identityIfEEEE10hipError_tT2_T3_mT4_P12ihipStream_tbEUlT_E_NS1_11comp_targetILNS1_3genE9ELNS1_11target_archE1100ELNS1_3gpuE3ELNS1_3repE0EEENS1_30default_config_static_selectorELNS0_4arch9wavefront6targetE1EEEvT1_,"axG",@progbits,_ZN7rocprim17ROCPRIM_400000_NS6detail17trampoline_kernelINS0_14default_configENS1_25transform_config_selectorIfLb0EEEZNS1_14transform_implILb0ES3_S5_N6thrust23THRUST_200600_302600_NS6detail15normal_iteratorINS8_10device_ptrIfEEEEPfNS0_8identityIfEEEE10hipError_tT2_T3_mT4_P12ihipStream_tbEUlT_E_NS1_11comp_targetILNS1_3genE9ELNS1_11target_archE1100ELNS1_3gpuE3ELNS1_3repE0EEENS1_30default_config_static_selectorELNS0_4arch9wavefront6targetE1EEEvT1_,comdat
.Lfunc_end303:
	.size	_ZN7rocprim17ROCPRIM_400000_NS6detail17trampoline_kernelINS0_14default_configENS1_25transform_config_selectorIfLb0EEEZNS1_14transform_implILb0ES3_S5_N6thrust23THRUST_200600_302600_NS6detail15normal_iteratorINS8_10device_ptrIfEEEEPfNS0_8identityIfEEEE10hipError_tT2_T3_mT4_P12ihipStream_tbEUlT_E_NS1_11comp_targetILNS1_3genE9ELNS1_11target_archE1100ELNS1_3gpuE3ELNS1_3repE0EEENS1_30default_config_static_selectorELNS0_4arch9wavefront6targetE1EEEvT1_, .Lfunc_end303-_ZN7rocprim17ROCPRIM_400000_NS6detail17trampoline_kernelINS0_14default_configENS1_25transform_config_selectorIfLb0EEEZNS1_14transform_implILb0ES3_S5_N6thrust23THRUST_200600_302600_NS6detail15normal_iteratorINS8_10device_ptrIfEEEEPfNS0_8identityIfEEEE10hipError_tT2_T3_mT4_P12ihipStream_tbEUlT_E_NS1_11comp_targetILNS1_3genE9ELNS1_11target_archE1100ELNS1_3gpuE3ELNS1_3repE0EEENS1_30default_config_static_selectorELNS0_4arch9wavefront6targetE1EEEvT1_
                                        ; -- End function
	.set _ZN7rocprim17ROCPRIM_400000_NS6detail17trampoline_kernelINS0_14default_configENS1_25transform_config_selectorIfLb0EEEZNS1_14transform_implILb0ES3_S5_N6thrust23THRUST_200600_302600_NS6detail15normal_iteratorINS8_10device_ptrIfEEEEPfNS0_8identityIfEEEE10hipError_tT2_T3_mT4_P12ihipStream_tbEUlT_E_NS1_11comp_targetILNS1_3genE9ELNS1_11target_archE1100ELNS1_3gpuE3ELNS1_3repE0EEENS1_30default_config_static_selectorELNS0_4arch9wavefront6targetE1EEEvT1_.num_vgpr, 0
	.set _ZN7rocprim17ROCPRIM_400000_NS6detail17trampoline_kernelINS0_14default_configENS1_25transform_config_selectorIfLb0EEEZNS1_14transform_implILb0ES3_S5_N6thrust23THRUST_200600_302600_NS6detail15normal_iteratorINS8_10device_ptrIfEEEEPfNS0_8identityIfEEEE10hipError_tT2_T3_mT4_P12ihipStream_tbEUlT_E_NS1_11comp_targetILNS1_3genE9ELNS1_11target_archE1100ELNS1_3gpuE3ELNS1_3repE0EEENS1_30default_config_static_selectorELNS0_4arch9wavefront6targetE1EEEvT1_.num_agpr, 0
	.set _ZN7rocprim17ROCPRIM_400000_NS6detail17trampoline_kernelINS0_14default_configENS1_25transform_config_selectorIfLb0EEEZNS1_14transform_implILb0ES3_S5_N6thrust23THRUST_200600_302600_NS6detail15normal_iteratorINS8_10device_ptrIfEEEEPfNS0_8identityIfEEEE10hipError_tT2_T3_mT4_P12ihipStream_tbEUlT_E_NS1_11comp_targetILNS1_3genE9ELNS1_11target_archE1100ELNS1_3gpuE3ELNS1_3repE0EEENS1_30default_config_static_selectorELNS0_4arch9wavefront6targetE1EEEvT1_.numbered_sgpr, 0
	.set _ZN7rocprim17ROCPRIM_400000_NS6detail17trampoline_kernelINS0_14default_configENS1_25transform_config_selectorIfLb0EEEZNS1_14transform_implILb0ES3_S5_N6thrust23THRUST_200600_302600_NS6detail15normal_iteratorINS8_10device_ptrIfEEEEPfNS0_8identityIfEEEE10hipError_tT2_T3_mT4_P12ihipStream_tbEUlT_E_NS1_11comp_targetILNS1_3genE9ELNS1_11target_archE1100ELNS1_3gpuE3ELNS1_3repE0EEENS1_30default_config_static_selectorELNS0_4arch9wavefront6targetE1EEEvT1_.num_named_barrier, 0
	.set _ZN7rocprim17ROCPRIM_400000_NS6detail17trampoline_kernelINS0_14default_configENS1_25transform_config_selectorIfLb0EEEZNS1_14transform_implILb0ES3_S5_N6thrust23THRUST_200600_302600_NS6detail15normal_iteratorINS8_10device_ptrIfEEEEPfNS0_8identityIfEEEE10hipError_tT2_T3_mT4_P12ihipStream_tbEUlT_E_NS1_11comp_targetILNS1_3genE9ELNS1_11target_archE1100ELNS1_3gpuE3ELNS1_3repE0EEENS1_30default_config_static_selectorELNS0_4arch9wavefront6targetE1EEEvT1_.private_seg_size, 0
	.set _ZN7rocprim17ROCPRIM_400000_NS6detail17trampoline_kernelINS0_14default_configENS1_25transform_config_selectorIfLb0EEEZNS1_14transform_implILb0ES3_S5_N6thrust23THRUST_200600_302600_NS6detail15normal_iteratorINS8_10device_ptrIfEEEEPfNS0_8identityIfEEEE10hipError_tT2_T3_mT4_P12ihipStream_tbEUlT_E_NS1_11comp_targetILNS1_3genE9ELNS1_11target_archE1100ELNS1_3gpuE3ELNS1_3repE0EEENS1_30default_config_static_selectorELNS0_4arch9wavefront6targetE1EEEvT1_.uses_vcc, 0
	.set _ZN7rocprim17ROCPRIM_400000_NS6detail17trampoline_kernelINS0_14default_configENS1_25transform_config_selectorIfLb0EEEZNS1_14transform_implILb0ES3_S5_N6thrust23THRUST_200600_302600_NS6detail15normal_iteratorINS8_10device_ptrIfEEEEPfNS0_8identityIfEEEE10hipError_tT2_T3_mT4_P12ihipStream_tbEUlT_E_NS1_11comp_targetILNS1_3genE9ELNS1_11target_archE1100ELNS1_3gpuE3ELNS1_3repE0EEENS1_30default_config_static_selectorELNS0_4arch9wavefront6targetE1EEEvT1_.uses_flat_scratch, 0
	.set _ZN7rocprim17ROCPRIM_400000_NS6detail17trampoline_kernelINS0_14default_configENS1_25transform_config_selectorIfLb0EEEZNS1_14transform_implILb0ES3_S5_N6thrust23THRUST_200600_302600_NS6detail15normal_iteratorINS8_10device_ptrIfEEEEPfNS0_8identityIfEEEE10hipError_tT2_T3_mT4_P12ihipStream_tbEUlT_E_NS1_11comp_targetILNS1_3genE9ELNS1_11target_archE1100ELNS1_3gpuE3ELNS1_3repE0EEENS1_30default_config_static_selectorELNS0_4arch9wavefront6targetE1EEEvT1_.has_dyn_sized_stack, 0
	.set _ZN7rocprim17ROCPRIM_400000_NS6detail17trampoline_kernelINS0_14default_configENS1_25transform_config_selectorIfLb0EEEZNS1_14transform_implILb0ES3_S5_N6thrust23THRUST_200600_302600_NS6detail15normal_iteratorINS8_10device_ptrIfEEEEPfNS0_8identityIfEEEE10hipError_tT2_T3_mT4_P12ihipStream_tbEUlT_E_NS1_11comp_targetILNS1_3genE9ELNS1_11target_archE1100ELNS1_3gpuE3ELNS1_3repE0EEENS1_30default_config_static_selectorELNS0_4arch9wavefront6targetE1EEEvT1_.has_recursion, 0
	.set _ZN7rocprim17ROCPRIM_400000_NS6detail17trampoline_kernelINS0_14default_configENS1_25transform_config_selectorIfLb0EEEZNS1_14transform_implILb0ES3_S5_N6thrust23THRUST_200600_302600_NS6detail15normal_iteratorINS8_10device_ptrIfEEEEPfNS0_8identityIfEEEE10hipError_tT2_T3_mT4_P12ihipStream_tbEUlT_E_NS1_11comp_targetILNS1_3genE9ELNS1_11target_archE1100ELNS1_3gpuE3ELNS1_3repE0EEENS1_30default_config_static_selectorELNS0_4arch9wavefront6targetE1EEEvT1_.has_indirect_call, 0
	.section	.AMDGPU.csdata,"",@progbits
; Kernel info:
; codeLenInByte = 0
; TotalNumSgprs: 6
; NumVgprs: 0
; NumAgprs: 0
; TotalNumVgprs: 0
; ScratchSize: 0
; MemoryBound: 0
; FloatMode: 240
; IeeeMode: 1
; LDSByteSize: 0 bytes/workgroup (compile time only)
; SGPRBlocks: 0
; VGPRBlocks: 0
; NumSGPRsForWavesPerEU: 6
; NumVGPRsForWavesPerEU: 1
; AccumOffset: 4
; Occupancy: 8
; WaveLimiterHint : 0
; COMPUTE_PGM_RSRC2:SCRATCH_EN: 0
; COMPUTE_PGM_RSRC2:USER_SGPR: 2
; COMPUTE_PGM_RSRC2:TRAP_HANDLER: 0
; COMPUTE_PGM_RSRC2:TGID_X_EN: 1
; COMPUTE_PGM_RSRC2:TGID_Y_EN: 0
; COMPUTE_PGM_RSRC2:TGID_Z_EN: 0
; COMPUTE_PGM_RSRC2:TIDIG_COMP_CNT: 0
; COMPUTE_PGM_RSRC3_GFX90A:ACCUM_OFFSET: 0
; COMPUTE_PGM_RSRC3_GFX90A:TG_SPLIT: 0
	.section	.text._ZN7rocprim17ROCPRIM_400000_NS6detail17trampoline_kernelINS0_14default_configENS1_25transform_config_selectorIfLb0EEEZNS1_14transform_implILb0ES3_S5_N6thrust23THRUST_200600_302600_NS6detail15normal_iteratorINS8_10device_ptrIfEEEEPfNS0_8identityIfEEEE10hipError_tT2_T3_mT4_P12ihipStream_tbEUlT_E_NS1_11comp_targetILNS1_3genE8ELNS1_11target_archE1030ELNS1_3gpuE2ELNS1_3repE0EEENS1_30default_config_static_selectorELNS0_4arch9wavefront6targetE1EEEvT1_,"axG",@progbits,_ZN7rocprim17ROCPRIM_400000_NS6detail17trampoline_kernelINS0_14default_configENS1_25transform_config_selectorIfLb0EEEZNS1_14transform_implILb0ES3_S5_N6thrust23THRUST_200600_302600_NS6detail15normal_iteratorINS8_10device_ptrIfEEEEPfNS0_8identityIfEEEE10hipError_tT2_T3_mT4_P12ihipStream_tbEUlT_E_NS1_11comp_targetILNS1_3genE8ELNS1_11target_archE1030ELNS1_3gpuE2ELNS1_3repE0EEENS1_30default_config_static_selectorELNS0_4arch9wavefront6targetE1EEEvT1_,comdat
	.protected	_ZN7rocprim17ROCPRIM_400000_NS6detail17trampoline_kernelINS0_14default_configENS1_25transform_config_selectorIfLb0EEEZNS1_14transform_implILb0ES3_S5_N6thrust23THRUST_200600_302600_NS6detail15normal_iteratorINS8_10device_ptrIfEEEEPfNS0_8identityIfEEEE10hipError_tT2_T3_mT4_P12ihipStream_tbEUlT_E_NS1_11comp_targetILNS1_3genE8ELNS1_11target_archE1030ELNS1_3gpuE2ELNS1_3repE0EEENS1_30default_config_static_selectorELNS0_4arch9wavefront6targetE1EEEvT1_ ; -- Begin function _ZN7rocprim17ROCPRIM_400000_NS6detail17trampoline_kernelINS0_14default_configENS1_25transform_config_selectorIfLb0EEEZNS1_14transform_implILb0ES3_S5_N6thrust23THRUST_200600_302600_NS6detail15normal_iteratorINS8_10device_ptrIfEEEEPfNS0_8identityIfEEEE10hipError_tT2_T3_mT4_P12ihipStream_tbEUlT_E_NS1_11comp_targetILNS1_3genE8ELNS1_11target_archE1030ELNS1_3gpuE2ELNS1_3repE0EEENS1_30default_config_static_selectorELNS0_4arch9wavefront6targetE1EEEvT1_
	.globl	_ZN7rocprim17ROCPRIM_400000_NS6detail17trampoline_kernelINS0_14default_configENS1_25transform_config_selectorIfLb0EEEZNS1_14transform_implILb0ES3_S5_N6thrust23THRUST_200600_302600_NS6detail15normal_iteratorINS8_10device_ptrIfEEEEPfNS0_8identityIfEEEE10hipError_tT2_T3_mT4_P12ihipStream_tbEUlT_E_NS1_11comp_targetILNS1_3genE8ELNS1_11target_archE1030ELNS1_3gpuE2ELNS1_3repE0EEENS1_30default_config_static_selectorELNS0_4arch9wavefront6targetE1EEEvT1_
	.p2align	8
	.type	_ZN7rocprim17ROCPRIM_400000_NS6detail17trampoline_kernelINS0_14default_configENS1_25transform_config_selectorIfLb0EEEZNS1_14transform_implILb0ES3_S5_N6thrust23THRUST_200600_302600_NS6detail15normal_iteratorINS8_10device_ptrIfEEEEPfNS0_8identityIfEEEE10hipError_tT2_T3_mT4_P12ihipStream_tbEUlT_E_NS1_11comp_targetILNS1_3genE8ELNS1_11target_archE1030ELNS1_3gpuE2ELNS1_3repE0EEENS1_30default_config_static_selectorELNS0_4arch9wavefront6targetE1EEEvT1_,@function
_ZN7rocprim17ROCPRIM_400000_NS6detail17trampoline_kernelINS0_14default_configENS1_25transform_config_selectorIfLb0EEEZNS1_14transform_implILb0ES3_S5_N6thrust23THRUST_200600_302600_NS6detail15normal_iteratorINS8_10device_ptrIfEEEEPfNS0_8identityIfEEEE10hipError_tT2_T3_mT4_P12ihipStream_tbEUlT_E_NS1_11comp_targetILNS1_3genE8ELNS1_11target_archE1030ELNS1_3gpuE2ELNS1_3repE0EEENS1_30default_config_static_selectorELNS0_4arch9wavefront6targetE1EEEvT1_: ; @_ZN7rocprim17ROCPRIM_400000_NS6detail17trampoline_kernelINS0_14default_configENS1_25transform_config_selectorIfLb0EEEZNS1_14transform_implILb0ES3_S5_N6thrust23THRUST_200600_302600_NS6detail15normal_iteratorINS8_10device_ptrIfEEEEPfNS0_8identityIfEEEE10hipError_tT2_T3_mT4_P12ihipStream_tbEUlT_E_NS1_11comp_targetILNS1_3genE8ELNS1_11target_archE1030ELNS1_3gpuE2ELNS1_3repE0EEENS1_30default_config_static_selectorELNS0_4arch9wavefront6targetE1EEEvT1_
; %bb.0:
	.section	.rodata,"a",@progbits
	.p2align	6, 0x0
	.amdhsa_kernel _ZN7rocprim17ROCPRIM_400000_NS6detail17trampoline_kernelINS0_14default_configENS1_25transform_config_selectorIfLb0EEEZNS1_14transform_implILb0ES3_S5_N6thrust23THRUST_200600_302600_NS6detail15normal_iteratorINS8_10device_ptrIfEEEEPfNS0_8identityIfEEEE10hipError_tT2_T3_mT4_P12ihipStream_tbEUlT_E_NS1_11comp_targetILNS1_3genE8ELNS1_11target_archE1030ELNS1_3gpuE2ELNS1_3repE0EEENS1_30default_config_static_selectorELNS0_4arch9wavefront6targetE1EEEvT1_
		.amdhsa_group_segment_fixed_size 0
		.amdhsa_private_segment_fixed_size 0
		.amdhsa_kernarg_size 40
		.amdhsa_user_sgpr_count 2
		.amdhsa_user_sgpr_dispatch_ptr 0
		.amdhsa_user_sgpr_queue_ptr 0
		.amdhsa_user_sgpr_kernarg_segment_ptr 1
		.amdhsa_user_sgpr_dispatch_id 0
		.amdhsa_user_sgpr_kernarg_preload_length 0
		.amdhsa_user_sgpr_kernarg_preload_offset 0
		.amdhsa_user_sgpr_private_segment_size 0
		.amdhsa_uses_dynamic_stack 0
		.amdhsa_enable_private_segment 0
		.amdhsa_system_sgpr_workgroup_id_x 1
		.amdhsa_system_sgpr_workgroup_id_y 0
		.amdhsa_system_sgpr_workgroup_id_z 0
		.amdhsa_system_sgpr_workgroup_info 0
		.amdhsa_system_vgpr_workitem_id 0
		.amdhsa_next_free_vgpr 1
		.amdhsa_next_free_sgpr 0
		.amdhsa_accum_offset 4
		.amdhsa_reserve_vcc 0
		.amdhsa_float_round_mode_32 0
		.amdhsa_float_round_mode_16_64 0
		.amdhsa_float_denorm_mode_32 3
		.amdhsa_float_denorm_mode_16_64 3
		.amdhsa_dx10_clamp 1
		.amdhsa_ieee_mode 1
		.amdhsa_fp16_overflow 0
		.amdhsa_tg_split 0
		.amdhsa_exception_fp_ieee_invalid_op 0
		.amdhsa_exception_fp_denorm_src 0
		.amdhsa_exception_fp_ieee_div_zero 0
		.amdhsa_exception_fp_ieee_overflow 0
		.amdhsa_exception_fp_ieee_underflow 0
		.amdhsa_exception_fp_ieee_inexact 0
		.amdhsa_exception_int_div_zero 0
	.end_amdhsa_kernel
	.section	.text._ZN7rocprim17ROCPRIM_400000_NS6detail17trampoline_kernelINS0_14default_configENS1_25transform_config_selectorIfLb0EEEZNS1_14transform_implILb0ES3_S5_N6thrust23THRUST_200600_302600_NS6detail15normal_iteratorINS8_10device_ptrIfEEEEPfNS0_8identityIfEEEE10hipError_tT2_T3_mT4_P12ihipStream_tbEUlT_E_NS1_11comp_targetILNS1_3genE8ELNS1_11target_archE1030ELNS1_3gpuE2ELNS1_3repE0EEENS1_30default_config_static_selectorELNS0_4arch9wavefront6targetE1EEEvT1_,"axG",@progbits,_ZN7rocprim17ROCPRIM_400000_NS6detail17trampoline_kernelINS0_14default_configENS1_25transform_config_selectorIfLb0EEEZNS1_14transform_implILb0ES3_S5_N6thrust23THRUST_200600_302600_NS6detail15normal_iteratorINS8_10device_ptrIfEEEEPfNS0_8identityIfEEEE10hipError_tT2_T3_mT4_P12ihipStream_tbEUlT_E_NS1_11comp_targetILNS1_3genE8ELNS1_11target_archE1030ELNS1_3gpuE2ELNS1_3repE0EEENS1_30default_config_static_selectorELNS0_4arch9wavefront6targetE1EEEvT1_,comdat
.Lfunc_end304:
	.size	_ZN7rocprim17ROCPRIM_400000_NS6detail17trampoline_kernelINS0_14default_configENS1_25transform_config_selectorIfLb0EEEZNS1_14transform_implILb0ES3_S5_N6thrust23THRUST_200600_302600_NS6detail15normal_iteratorINS8_10device_ptrIfEEEEPfNS0_8identityIfEEEE10hipError_tT2_T3_mT4_P12ihipStream_tbEUlT_E_NS1_11comp_targetILNS1_3genE8ELNS1_11target_archE1030ELNS1_3gpuE2ELNS1_3repE0EEENS1_30default_config_static_selectorELNS0_4arch9wavefront6targetE1EEEvT1_, .Lfunc_end304-_ZN7rocprim17ROCPRIM_400000_NS6detail17trampoline_kernelINS0_14default_configENS1_25transform_config_selectorIfLb0EEEZNS1_14transform_implILb0ES3_S5_N6thrust23THRUST_200600_302600_NS6detail15normal_iteratorINS8_10device_ptrIfEEEEPfNS0_8identityIfEEEE10hipError_tT2_T3_mT4_P12ihipStream_tbEUlT_E_NS1_11comp_targetILNS1_3genE8ELNS1_11target_archE1030ELNS1_3gpuE2ELNS1_3repE0EEENS1_30default_config_static_selectorELNS0_4arch9wavefront6targetE1EEEvT1_
                                        ; -- End function
	.set _ZN7rocprim17ROCPRIM_400000_NS6detail17trampoline_kernelINS0_14default_configENS1_25transform_config_selectorIfLb0EEEZNS1_14transform_implILb0ES3_S5_N6thrust23THRUST_200600_302600_NS6detail15normal_iteratorINS8_10device_ptrIfEEEEPfNS0_8identityIfEEEE10hipError_tT2_T3_mT4_P12ihipStream_tbEUlT_E_NS1_11comp_targetILNS1_3genE8ELNS1_11target_archE1030ELNS1_3gpuE2ELNS1_3repE0EEENS1_30default_config_static_selectorELNS0_4arch9wavefront6targetE1EEEvT1_.num_vgpr, 0
	.set _ZN7rocprim17ROCPRIM_400000_NS6detail17trampoline_kernelINS0_14default_configENS1_25transform_config_selectorIfLb0EEEZNS1_14transform_implILb0ES3_S5_N6thrust23THRUST_200600_302600_NS6detail15normal_iteratorINS8_10device_ptrIfEEEEPfNS0_8identityIfEEEE10hipError_tT2_T3_mT4_P12ihipStream_tbEUlT_E_NS1_11comp_targetILNS1_3genE8ELNS1_11target_archE1030ELNS1_3gpuE2ELNS1_3repE0EEENS1_30default_config_static_selectorELNS0_4arch9wavefront6targetE1EEEvT1_.num_agpr, 0
	.set _ZN7rocprim17ROCPRIM_400000_NS6detail17trampoline_kernelINS0_14default_configENS1_25transform_config_selectorIfLb0EEEZNS1_14transform_implILb0ES3_S5_N6thrust23THRUST_200600_302600_NS6detail15normal_iteratorINS8_10device_ptrIfEEEEPfNS0_8identityIfEEEE10hipError_tT2_T3_mT4_P12ihipStream_tbEUlT_E_NS1_11comp_targetILNS1_3genE8ELNS1_11target_archE1030ELNS1_3gpuE2ELNS1_3repE0EEENS1_30default_config_static_selectorELNS0_4arch9wavefront6targetE1EEEvT1_.numbered_sgpr, 0
	.set _ZN7rocprim17ROCPRIM_400000_NS6detail17trampoline_kernelINS0_14default_configENS1_25transform_config_selectorIfLb0EEEZNS1_14transform_implILb0ES3_S5_N6thrust23THRUST_200600_302600_NS6detail15normal_iteratorINS8_10device_ptrIfEEEEPfNS0_8identityIfEEEE10hipError_tT2_T3_mT4_P12ihipStream_tbEUlT_E_NS1_11comp_targetILNS1_3genE8ELNS1_11target_archE1030ELNS1_3gpuE2ELNS1_3repE0EEENS1_30default_config_static_selectorELNS0_4arch9wavefront6targetE1EEEvT1_.num_named_barrier, 0
	.set _ZN7rocprim17ROCPRIM_400000_NS6detail17trampoline_kernelINS0_14default_configENS1_25transform_config_selectorIfLb0EEEZNS1_14transform_implILb0ES3_S5_N6thrust23THRUST_200600_302600_NS6detail15normal_iteratorINS8_10device_ptrIfEEEEPfNS0_8identityIfEEEE10hipError_tT2_T3_mT4_P12ihipStream_tbEUlT_E_NS1_11comp_targetILNS1_3genE8ELNS1_11target_archE1030ELNS1_3gpuE2ELNS1_3repE0EEENS1_30default_config_static_selectorELNS0_4arch9wavefront6targetE1EEEvT1_.private_seg_size, 0
	.set _ZN7rocprim17ROCPRIM_400000_NS6detail17trampoline_kernelINS0_14default_configENS1_25transform_config_selectorIfLb0EEEZNS1_14transform_implILb0ES3_S5_N6thrust23THRUST_200600_302600_NS6detail15normal_iteratorINS8_10device_ptrIfEEEEPfNS0_8identityIfEEEE10hipError_tT2_T3_mT4_P12ihipStream_tbEUlT_E_NS1_11comp_targetILNS1_3genE8ELNS1_11target_archE1030ELNS1_3gpuE2ELNS1_3repE0EEENS1_30default_config_static_selectorELNS0_4arch9wavefront6targetE1EEEvT1_.uses_vcc, 0
	.set _ZN7rocprim17ROCPRIM_400000_NS6detail17trampoline_kernelINS0_14default_configENS1_25transform_config_selectorIfLb0EEEZNS1_14transform_implILb0ES3_S5_N6thrust23THRUST_200600_302600_NS6detail15normal_iteratorINS8_10device_ptrIfEEEEPfNS0_8identityIfEEEE10hipError_tT2_T3_mT4_P12ihipStream_tbEUlT_E_NS1_11comp_targetILNS1_3genE8ELNS1_11target_archE1030ELNS1_3gpuE2ELNS1_3repE0EEENS1_30default_config_static_selectorELNS0_4arch9wavefront6targetE1EEEvT1_.uses_flat_scratch, 0
	.set _ZN7rocprim17ROCPRIM_400000_NS6detail17trampoline_kernelINS0_14default_configENS1_25transform_config_selectorIfLb0EEEZNS1_14transform_implILb0ES3_S5_N6thrust23THRUST_200600_302600_NS6detail15normal_iteratorINS8_10device_ptrIfEEEEPfNS0_8identityIfEEEE10hipError_tT2_T3_mT4_P12ihipStream_tbEUlT_E_NS1_11comp_targetILNS1_3genE8ELNS1_11target_archE1030ELNS1_3gpuE2ELNS1_3repE0EEENS1_30default_config_static_selectorELNS0_4arch9wavefront6targetE1EEEvT1_.has_dyn_sized_stack, 0
	.set _ZN7rocprim17ROCPRIM_400000_NS6detail17trampoline_kernelINS0_14default_configENS1_25transform_config_selectorIfLb0EEEZNS1_14transform_implILb0ES3_S5_N6thrust23THRUST_200600_302600_NS6detail15normal_iteratorINS8_10device_ptrIfEEEEPfNS0_8identityIfEEEE10hipError_tT2_T3_mT4_P12ihipStream_tbEUlT_E_NS1_11comp_targetILNS1_3genE8ELNS1_11target_archE1030ELNS1_3gpuE2ELNS1_3repE0EEENS1_30default_config_static_selectorELNS0_4arch9wavefront6targetE1EEEvT1_.has_recursion, 0
	.set _ZN7rocprim17ROCPRIM_400000_NS6detail17trampoline_kernelINS0_14default_configENS1_25transform_config_selectorIfLb0EEEZNS1_14transform_implILb0ES3_S5_N6thrust23THRUST_200600_302600_NS6detail15normal_iteratorINS8_10device_ptrIfEEEEPfNS0_8identityIfEEEE10hipError_tT2_T3_mT4_P12ihipStream_tbEUlT_E_NS1_11comp_targetILNS1_3genE8ELNS1_11target_archE1030ELNS1_3gpuE2ELNS1_3repE0EEENS1_30default_config_static_selectorELNS0_4arch9wavefront6targetE1EEEvT1_.has_indirect_call, 0
	.section	.AMDGPU.csdata,"",@progbits
; Kernel info:
; codeLenInByte = 0
; TotalNumSgprs: 6
; NumVgprs: 0
; NumAgprs: 0
; TotalNumVgprs: 0
; ScratchSize: 0
; MemoryBound: 0
; FloatMode: 240
; IeeeMode: 1
; LDSByteSize: 0 bytes/workgroup (compile time only)
; SGPRBlocks: 0
; VGPRBlocks: 0
; NumSGPRsForWavesPerEU: 6
; NumVGPRsForWavesPerEU: 1
; AccumOffset: 4
; Occupancy: 8
; WaveLimiterHint : 0
; COMPUTE_PGM_RSRC2:SCRATCH_EN: 0
; COMPUTE_PGM_RSRC2:USER_SGPR: 2
; COMPUTE_PGM_RSRC2:TRAP_HANDLER: 0
; COMPUTE_PGM_RSRC2:TGID_X_EN: 1
; COMPUTE_PGM_RSRC2:TGID_Y_EN: 0
; COMPUTE_PGM_RSRC2:TGID_Z_EN: 0
; COMPUTE_PGM_RSRC2:TIDIG_COMP_CNT: 0
; COMPUTE_PGM_RSRC3_GFX90A:ACCUM_OFFSET: 0
; COMPUTE_PGM_RSRC3_GFX90A:TG_SPLIT: 0
	.section	.text._ZN7rocprim17ROCPRIM_400000_NS6detail17trampoline_kernelINS0_14default_configENS1_35radix_sort_onesweep_config_selectorIffEEZZNS1_29radix_sort_onesweep_iterationIS3_Lb0EN6thrust23THRUST_200600_302600_NS6detail15normal_iteratorINS8_10device_ptrIfEEEESD_SD_SD_jNS0_19identity_decomposerENS1_16block_id_wrapperIjLb1EEEEE10hipError_tT1_PNSt15iterator_traitsISI_E10value_typeET2_T3_PNSJ_ISO_E10value_typeET4_T5_PST_SU_PNS1_23onesweep_lookback_stateEbbT6_jjT7_P12ihipStream_tbENKUlT_T0_SI_SN_E_clISD_SD_SD_SD_EEDaS11_S12_SI_SN_EUlS11_E_NS1_11comp_targetILNS1_3genE0ELNS1_11target_archE4294967295ELNS1_3gpuE0ELNS1_3repE0EEENS1_47radix_sort_onesweep_sort_config_static_selectorELNS0_4arch9wavefront6targetE1EEEvSI_,"axG",@progbits,_ZN7rocprim17ROCPRIM_400000_NS6detail17trampoline_kernelINS0_14default_configENS1_35radix_sort_onesweep_config_selectorIffEEZZNS1_29radix_sort_onesweep_iterationIS3_Lb0EN6thrust23THRUST_200600_302600_NS6detail15normal_iteratorINS8_10device_ptrIfEEEESD_SD_SD_jNS0_19identity_decomposerENS1_16block_id_wrapperIjLb1EEEEE10hipError_tT1_PNSt15iterator_traitsISI_E10value_typeET2_T3_PNSJ_ISO_E10value_typeET4_T5_PST_SU_PNS1_23onesweep_lookback_stateEbbT6_jjT7_P12ihipStream_tbENKUlT_T0_SI_SN_E_clISD_SD_SD_SD_EEDaS11_S12_SI_SN_EUlS11_E_NS1_11comp_targetILNS1_3genE0ELNS1_11target_archE4294967295ELNS1_3gpuE0ELNS1_3repE0EEENS1_47radix_sort_onesweep_sort_config_static_selectorELNS0_4arch9wavefront6targetE1EEEvSI_,comdat
	.protected	_ZN7rocprim17ROCPRIM_400000_NS6detail17trampoline_kernelINS0_14default_configENS1_35radix_sort_onesweep_config_selectorIffEEZZNS1_29radix_sort_onesweep_iterationIS3_Lb0EN6thrust23THRUST_200600_302600_NS6detail15normal_iteratorINS8_10device_ptrIfEEEESD_SD_SD_jNS0_19identity_decomposerENS1_16block_id_wrapperIjLb1EEEEE10hipError_tT1_PNSt15iterator_traitsISI_E10value_typeET2_T3_PNSJ_ISO_E10value_typeET4_T5_PST_SU_PNS1_23onesweep_lookback_stateEbbT6_jjT7_P12ihipStream_tbENKUlT_T0_SI_SN_E_clISD_SD_SD_SD_EEDaS11_S12_SI_SN_EUlS11_E_NS1_11comp_targetILNS1_3genE0ELNS1_11target_archE4294967295ELNS1_3gpuE0ELNS1_3repE0EEENS1_47radix_sort_onesweep_sort_config_static_selectorELNS0_4arch9wavefront6targetE1EEEvSI_ ; -- Begin function _ZN7rocprim17ROCPRIM_400000_NS6detail17trampoline_kernelINS0_14default_configENS1_35radix_sort_onesweep_config_selectorIffEEZZNS1_29radix_sort_onesweep_iterationIS3_Lb0EN6thrust23THRUST_200600_302600_NS6detail15normal_iteratorINS8_10device_ptrIfEEEESD_SD_SD_jNS0_19identity_decomposerENS1_16block_id_wrapperIjLb1EEEEE10hipError_tT1_PNSt15iterator_traitsISI_E10value_typeET2_T3_PNSJ_ISO_E10value_typeET4_T5_PST_SU_PNS1_23onesweep_lookback_stateEbbT6_jjT7_P12ihipStream_tbENKUlT_T0_SI_SN_E_clISD_SD_SD_SD_EEDaS11_S12_SI_SN_EUlS11_E_NS1_11comp_targetILNS1_3genE0ELNS1_11target_archE4294967295ELNS1_3gpuE0ELNS1_3repE0EEENS1_47radix_sort_onesweep_sort_config_static_selectorELNS0_4arch9wavefront6targetE1EEEvSI_
	.globl	_ZN7rocprim17ROCPRIM_400000_NS6detail17trampoline_kernelINS0_14default_configENS1_35radix_sort_onesweep_config_selectorIffEEZZNS1_29radix_sort_onesweep_iterationIS3_Lb0EN6thrust23THRUST_200600_302600_NS6detail15normal_iteratorINS8_10device_ptrIfEEEESD_SD_SD_jNS0_19identity_decomposerENS1_16block_id_wrapperIjLb1EEEEE10hipError_tT1_PNSt15iterator_traitsISI_E10value_typeET2_T3_PNSJ_ISO_E10value_typeET4_T5_PST_SU_PNS1_23onesweep_lookback_stateEbbT6_jjT7_P12ihipStream_tbENKUlT_T0_SI_SN_E_clISD_SD_SD_SD_EEDaS11_S12_SI_SN_EUlS11_E_NS1_11comp_targetILNS1_3genE0ELNS1_11target_archE4294967295ELNS1_3gpuE0ELNS1_3repE0EEENS1_47radix_sort_onesweep_sort_config_static_selectorELNS0_4arch9wavefront6targetE1EEEvSI_
	.p2align	8
	.type	_ZN7rocprim17ROCPRIM_400000_NS6detail17trampoline_kernelINS0_14default_configENS1_35radix_sort_onesweep_config_selectorIffEEZZNS1_29radix_sort_onesweep_iterationIS3_Lb0EN6thrust23THRUST_200600_302600_NS6detail15normal_iteratorINS8_10device_ptrIfEEEESD_SD_SD_jNS0_19identity_decomposerENS1_16block_id_wrapperIjLb1EEEEE10hipError_tT1_PNSt15iterator_traitsISI_E10value_typeET2_T3_PNSJ_ISO_E10value_typeET4_T5_PST_SU_PNS1_23onesweep_lookback_stateEbbT6_jjT7_P12ihipStream_tbENKUlT_T0_SI_SN_E_clISD_SD_SD_SD_EEDaS11_S12_SI_SN_EUlS11_E_NS1_11comp_targetILNS1_3genE0ELNS1_11target_archE4294967295ELNS1_3gpuE0ELNS1_3repE0EEENS1_47radix_sort_onesweep_sort_config_static_selectorELNS0_4arch9wavefront6targetE1EEEvSI_,@function
_ZN7rocprim17ROCPRIM_400000_NS6detail17trampoline_kernelINS0_14default_configENS1_35radix_sort_onesweep_config_selectorIffEEZZNS1_29radix_sort_onesweep_iterationIS3_Lb0EN6thrust23THRUST_200600_302600_NS6detail15normal_iteratorINS8_10device_ptrIfEEEESD_SD_SD_jNS0_19identity_decomposerENS1_16block_id_wrapperIjLb1EEEEE10hipError_tT1_PNSt15iterator_traitsISI_E10value_typeET2_T3_PNSJ_ISO_E10value_typeET4_T5_PST_SU_PNS1_23onesweep_lookback_stateEbbT6_jjT7_P12ihipStream_tbENKUlT_T0_SI_SN_E_clISD_SD_SD_SD_EEDaS11_S12_SI_SN_EUlS11_E_NS1_11comp_targetILNS1_3genE0ELNS1_11target_archE4294967295ELNS1_3gpuE0ELNS1_3repE0EEENS1_47radix_sort_onesweep_sort_config_static_selectorELNS0_4arch9wavefront6targetE1EEEvSI_: ; @_ZN7rocprim17ROCPRIM_400000_NS6detail17trampoline_kernelINS0_14default_configENS1_35radix_sort_onesweep_config_selectorIffEEZZNS1_29radix_sort_onesweep_iterationIS3_Lb0EN6thrust23THRUST_200600_302600_NS6detail15normal_iteratorINS8_10device_ptrIfEEEESD_SD_SD_jNS0_19identity_decomposerENS1_16block_id_wrapperIjLb1EEEEE10hipError_tT1_PNSt15iterator_traitsISI_E10value_typeET2_T3_PNSJ_ISO_E10value_typeET4_T5_PST_SU_PNS1_23onesweep_lookback_stateEbbT6_jjT7_P12ihipStream_tbENKUlT_T0_SI_SN_E_clISD_SD_SD_SD_EEDaS11_S12_SI_SN_EUlS11_E_NS1_11comp_targetILNS1_3genE0ELNS1_11target_archE4294967295ELNS1_3gpuE0ELNS1_3repE0EEENS1_47radix_sort_onesweep_sort_config_static_selectorELNS0_4arch9wavefront6targetE1EEEvSI_
; %bb.0:
	.section	.rodata,"a",@progbits
	.p2align	6, 0x0
	.amdhsa_kernel _ZN7rocprim17ROCPRIM_400000_NS6detail17trampoline_kernelINS0_14default_configENS1_35radix_sort_onesweep_config_selectorIffEEZZNS1_29radix_sort_onesweep_iterationIS3_Lb0EN6thrust23THRUST_200600_302600_NS6detail15normal_iteratorINS8_10device_ptrIfEEEESD_SD_SD_jNS0_19identity_decomposerENS1_16block_id_wrapperIjLb1EEEEE10hipError_tT1_PNSt15iterator_traitsISI_E10value_typeET2_T3_PNSJ_ISO_E10value_typeET4_T5_PST_SU_PNS1_23onesweep_lookback_stateEbbT6_jjT7_P12ihipStream_tbENKUlT_T0_SI_SN_E_clISD_SD_SD_SD_EEDaS11_S12_SI_SN_EUlS11_E_NS1_11comp_targetILNS1_3genE0ELNS1_11target_archE4294967295ELNS1_3gpuE0ELNS1_3repE0EEENS1_47radix_sort_onesweep_sort_config_static_selectorELNS0_4arch9wavefront6targetE1EEEvSI_
		.amdhsa_group_segment_fixed_size 0
		.amdhsa_private_segment_fixed_size 0
		.amdhsa_kernarg_size 88
		.amdhsa_user_sgpr_count 2
		.amdhsa_user_sgpr_dispatch_ptr 0
		.amdhsa_user_sgpr_queue_ptr 0
		.amdhsa_user_sgpr_kernarg_segment_ptr 1
		.amdhsa_user_sgpr_dispatch_id 0
		.amdhsa_user_sgpr_kernarg_preload_length 0
		.amdhsa_user_sgpr_kernarg_preload_offset 0
		.amdhsa_user_sgpr_private_segment_size 0
		.amdhsa_uses_dynamic_stack 0
		.amdhsa_enable_private_segment 0
		.amdhsa_system_sgpr_workgroup_id_x 1
		.amdhsa_system_sgpr_workgroup_id_y 0
		.amdhsa_system_sgpr_workgroup_id_z 0
		.amdhsa_system_sgpr_workgroup_info 0
		.amdhsa_system_vgpr_workitem_id 0
		.amdhsa_next_free_vgpr 1
		.amdhsa_next_free_sgpr 0
		.amdhsa_accum_offset 4
		.amdhsa_reserve_vcc 0
		.amdhsa_float_round_mode_32 0
		.amdhsa_float_round_mode_16_64 0
		.amdhsa_float_denorm_mode_32 3
		.amdhsa_float_denorm_mode_16_64 3
		.amdhsa_dx10_clamp 1
		.amdhsa_ieee_mode 1
		.amdhsa_fp16_overflow 0
		.amdhsa_tg_split 0
		.amdhsa_exception_fp_ieee_invalid_op 0
		.amdhsa_exception_fp_denorm_src 0
		.amdhsa_exception_fp_ieee_div_zero 0
		.amdhsa_exception_fp_ieee_overflow 0
		.amdhsa_exception_fp_ieee_underflow 0
		.amdhsa_exception_fp_ieee_inexact 0
		.amdhsa_exception_int_div_zero 0
	.end_amdhsa_kernel
	.section	.text._ZN7rocprim17ROCPRIM_400000_NS6detail17trampoline_kernelINS0_14default_configENS1_35radix_sort_onesweep_config_selectorIffEEZZNS1_29radix_sort_onesweep_iterationIS3_Lb0EN6thrust23THRUST_200600_302600_NS6detail15normal_iteratorINS8_10device_ptrIfEEEESD_SD_SD_jNS0_19identity_decomposerENS1_16block_id_wrapperIjLb1EEEEE10hipError_tT1_PNSt15iterator_traitsISI_E10value_typeET2_T3_PNSJ_ISO_E10value_typeET4_T5_PST_SU_PNS1_23onesweep_lookback_stateEbbT6_jjT7_P12ihipStream_tbENKUlT_T0_SI_SN_E_clISD_SD_SD_SD_EEDaS11_S12_SI_SN_EUlS11_E_NS1_11comp_targetILNS1_3genE0ELNS1_11target_archE4294967295ELNS1_3gpuE0ELNS1_3repE0EEENS1_47radix_sort_onesweep_sort_config_static_selectorELNS0_4arch9wavefront6targetE1EEEvSI_,"axG",@progbits,_ZN7rocprim17ROCPRIM_400000_NS6detail17trampoline_kernelINS0_14default_configENS1_35radix_sort_onesweep_config_selectorIffEEZZNS1_29radix_sort_onesweep_iterationIS3_Lb0EN6thrust23THRUST_200600_302600_NS6detail15normal_iteratorINS8_10device_ptrIfEEEESD_SD_SD_jNS0_19identity_decomposerENS1_16block_id_wrapperIjLb1EEEEE10hipError_tT1_PNSt15iterator_traitsISI_E10value_typeET2_T3_PNSJ_ISO_E10value_typeET4_T5_PST_SU_PNS1_23onesweep_lookback_stateEbbT6_jjT7_P12ihipStream_tbENKUlT_T0_SI_SN_E_clISD_SD_SD_SD_EEDaS11_S12_SI_SN_EUlS11_E_NS1_11comp_targetILNS1_3genE0ELNS1_11target_archE4294967295ELNS1_3gpuE0ELNS1_3repE0EEENS1_47radix_sort_onesweep_sort_config_static_selectorELNS0_4arch9wavefront6targetE1EEEvSI_,comdat
.Lfunc_end305:
	.size	_ZN7rocprim17ROCPRIM_400000_NS6detail17trampoline_kernelINS0_14default_configENS1_35radix_sort_onesweep_config_selectorIffEEZZNS1_29radix_sort_onesweep_iterationIS3_Lb0EN6thrust23THRUST_200600_302600_NS6detail15normal_iteratorINS8_10device_ptrIfEEEESD_SD_SD_jNS0_19identity_decomposerENS1_16block_id_wrapperIjLb1EEEEE10hipError_tT1_PNSt15iterator_traitsISI_E10value_typeET2_T3_PNSJ_ISO_E10value_typeET4_T5_PST_SU_PNS1_23onesweep_lookback_stateEbbT6_jjT7_P12ihipStream_tbENKUlT_T0_SI_SN_E_clISD_SD_SD_SD_EEDaS11_S12_SI_SN_EUlS11_E_NS1_11comp_targetILNS1_3genE0ELNS1_11target_archE4294967295ELNS1_3gpuE0ELNS1_3repE0EEENS1_47radix_sort_onesweep_sort_config_static_selectorELNS0_4arch9wavefront6targetE1EEEvSI_, .Lfunc_end305-_ZN7rocprim17ROCPRIM_400000_NS6detail17trampoline_kernelINS0_14default_configENS1_35radix_sort_onesweep_config_selectorIffEEZZNS1_29radix_sort_onesweep_iterationIS3_Lb0EN6thrust23THRUST_200600_302600_NS6detail15normal_iteratorINS8_10device_ptrIfEEEESD_SD_SD_jNS0_19identity_decomposerENS1_16block_id_wrapperIjLb1EEEEE10hipError_tT1_PNSt15iterator_traitsISI_E10value_typeET2_T3_PNSJ_ISO_E10value_typeET4_T5_PST_SU_PNS1_23onesweep_lookback_stateEbbT6_jjT7_P12ihipStream_tbENKUlT_T0_SI_SN_E_clISD_SD_SD_SD_EEDaS11_S12_SI_SN_EUlS11_E_NS1_11comp_targetILNS1_3genE0ELNS1_11target_archE4294967295ELNS1_3gpuE0ELNS1_3repE0EEENS1_47radix_sort_onesweep_sort_config_static_selectorELNS0_4arch9wavefront6targetE1EEEvSI_
                                        ; -- End function
	.set _ZN7rocprim17ROCPRIM_400000_NS6detail17trampoline_kernelINS0_14default_configENS1_35radix_sort_onesweep_config_selectorIffEEZZNS1_29radix_sort_onesweep_iterationIS3_Lb0EN6thrust23THRUST_200600_302600_NS6detail15normal_iteratorINS8_10device_ptrIfEEEESD_SD_SD_jNS0_19identity_decomposerENS1_16block_id_wrapperIjLb1EEEEE10hipError_tT1_PNSt15iterator_traitsISI_E10value_typeET2_T3_PNSJ_ISO_E10value_typeET4_T5_PST_SU_PNS1_23onesweep_lookback_stateEbbT6_jjT7_P12ihipStream_tbENKUlT_T0_SI_SN_E_clISD_SD_SD_SD_EEDaS11_S12_SI_SN_EUlS11_E_NS1_11comp_targetILNS1_3genE0ELNS1_11target_archE4294967295ELNS1_3gpuE0ELNS1_3repE0EEENS1_47radix_sort_onesweep_sort_config_static_selectorELNS0_4arch9wavefront6targetE1EEEvSI_.num_vgpr, 0
	.set _ZN7rocprim17ROCPRIM_400000_NS6detail17trampoline_kernelINS0_14default_configENS1_35radix_sort_onesweep_config_selectorIffEEZZNS1_29radix_sort_onesweep_iterationIS3_Lb0EN6thrust23THRUST_200600_302600_NS6detail15normal_iteratorINS8_10device_ptrIfEEEESD_SD_SD_jNS0_19identity_decomposerENS1_16block_id_wrapperIjLb1EEEEE10hipError_tT1_PNSt15iterator_traitsISI_E10value_typeET2_T3_PNSJ_ISO_E10value_typeET4_T5_PST_SU_PNS1_23onesweep_lookback_stateEbbT6_jjT7_P12ihipStream_tbENKUlT_T0_SI_SN_E_clISD_SD_SD_SD_EEDaS11_S12_SI_SN_EUlS11_E_NS1_11comp_targetILNS1_3genE0ELNS1_11target_archE4294967295ELNS1_3gpuE0ELNS1_3repE0EEENS1_47radix_sort_onesweep_sort_config_static_selectorELNS0_4arch9wavefront6targetE1EEEvSI_.num_agpr, 0
	.set _ZN7rocprim17ROCPRIM_400000_NS6detail17trampoline_kernelINS0_14default_configENS1_35radix_sort_onesweep_config_selectorIffEEZZNS1_29radix_sort_onesweep_iterationIS3_Lb0EN6thrust23THRUST_200600_302600_NS6detail15normal_iteratorINS8_10device_ptrIfEEEESD_SD_SD_jNS0_19identity_decomposerENS1_16block_id_wrapperIjLb1EEEEE10hipError_tT1_PNSt15iterator_traitsISI_E10value_typeET2_T3_PNSJ_ISO_E10value_typeET4_T5_PST_SU_PNS1_23onesweep_lookback_stateEbbT6_jjT7_P12ihipStream_tbENKUlT_T0_SI_SN_E_clISD_SD_SD_SD_EEDaS11_S12_SI_SN_EUlS11_E_NS1_11comp_targetILNS1_3genE0ELNS1_11target_archE4294967295ELNS1_3gpuE0ELNS1_3repE0EEENS1_47radix_sort_onesweep_sort_config_static_selectorELNS0_4arch9wavefront6targetE1EEEvSI_.numbered_sgpr, 0
	.set _ZN7rocprim17ROCPRIM_400000_NS6detail17trampoline_kernelINS0_14default_configENS1_35radix_sort_onesweep_config_selectorIffEEZZNS1_29radix_sort_onesweep_iterationIS3_Lb0EN6thrust23THRUST_200600_302600_NS6detail15normal_iteratorINS8_10device_ptrIfEEEESD_SD_SD_jNS0_19identity_decomposerENS1_16block_id_wrapperIjLb1EEEEE10hipError_tT1_PNSt15iterator_traitsISI_E10value_typeET2_T3_PNSJ_ISO_E10value_typeET4_T5_PST_SU_PNS1_23onesweep_lookback_stateEbbT6_jjT7_P12ihipStream_tbENKUlT_T0_SI_SN_E_clISD_SD_SD_SD_EEDaS11_S12_SI_SN_EUlS11_E_NS1_11comp_targetILNS1_3genE0ELNS1_11target_archE4294967295ELNS1_3gpuE0ELNS1_3repE0EEENS1_47radix_sort_onesweep_sort_config_static_selectorELNS0_4arch9wavefront6targetE1EEEvSI_.num_named_barrier, 0
	.set _ZN7rocprim17ROCPRIM_400000_NS6detail17trampoline_kernelINS0_14default_configENS1_35radix_sort_onesweep_config_selectorIffEEZZNS1_29radix_sort_onesweep_iterationIS3_Lb0EN6thrust23THRUST_200600_302600_NS6detail15normal_iteratorINS8_10device_ptrIfEEEESD_SD_SD_jNS0_19identity_decomposerENS1_16block_id_wrapperIjLb1EEEEE10hipError_tT1_PNSt15iterator_traitsISI_E10value_typeET2_T3_PNSJ_ISO_E10value_typeET4_T5_PST_SU_PNS1_23onesweep_lookback_stateEbbT6_jjT7_P12ihipStream_tbENKUlT_T0_SI_SN_E_clISD_SD_SD_SD_EEDaS11_S12_SI_SN_EUlS11_E_NS1_11comp_targetILNS1_3genE0ELNS1_11target_archE4294967295ELNS1_3gpuE0ELNS1_3repE0EEENS1_47radix_sort_onesweep_sort_config_static_selectorELNS0_4arch9wavefront6targetE1EEEvSI_.private_seg_size, 0
	.set _ZN7rocprim17ROCPRIM_400000_NS6detail17trampoline_kernelINS0_14default_configENS1_35radix_sort_onesweep_config_selectorIffEEZZNS1_29radix_sort_onesweep_iterationIS3_Lb0EN6thrust23THRUST_200600_302600_NS6detail15normal_iteratorINS8_10device_ptrIfEEEESD_SD_SD_jNS0_19identity_decomposerENS1_16block_id_wrapperIjLb1EEEEE10hipError_tT1_PNSt15iterator_traitsISI_E10value_typeET2_T3_PNSJ_ISO_E10value_typeET4_T5_PST_SU_PNS1_23onesweep_lookback_stateEbbT6_jjT7_P12ihipStream_tbENKUlT_T0_SI_SN_E_clISD_SD_SD_SD_EEDaS11_S12_SI_SN_EUlS11_E_NS1_11comp_targetILNS1_3genE0ELNS1_11target_archE4294967295ELNS1_3gpuE0ELNS1_3repE0EEENS1_47radix_sort_onesweep_sort_config_static_selectorELNS0_4arch9wavefront6targetE1EEEvSI_.uses_vcc, 0
	.set _ZN7rocprim17ROCPRIM_400000_NS6detail17trampoline_kernelINS0_14default_configENS1_35radix_sort_onesweep_config_selectorIffEEZZNS1_29radix_sort_onesweep_iterationIS3_Lb0EN6thrust23THRUST_200600_302600_NS6detail15normal_iteratorINS8_10device_ptrIfEEEESD_SD_SD_jNS0_19identity_decomposerENS1_16block_id_wrapperIjLb1EEEEE10hipError_tT1_PNSt15iterator_traitsISI_E10value_typeET2_T3_PNSJ_ISO_E10value_typeET4_T5_PST_SU_PNS1_23onesweep_lookback_stateEbbT6_jjT7_P12ihipStream_tbENKUlT_T0_SI_SN_E_clISD_SD_SD_SD_EEDaS11_S12_SI_SN_EUlS11_E_NS1_11comp_targetILNS1_3genE0ELNS1_11target_archE4294967295ELNS1_3gpuE0ELNS1_3repE0EEENS1_47radix_sort_onesweep_sort_config_static_selectorELNS0_4arch9wavefront6targetE1EEEvSI_.uses_flat_scratch, 0
	.set _ZN7rocprim17ROCPRIM_400000_NS6detail17trampoline_kernelINS0_14default_configENS1_35radix_sort_onesweep_config_selectorIffEEZZNS1_29radix_sort_onesweep_iterationIS3_Lb0EN6thrust23THRUST_200600_302600_NS6detail15normal_iteratorINS8_10device_ptrIfEEEESD_SD_SD_jNS0_19identity_decomposerENS1_16block_id_wrapperIjLb1EEEEE10hipError_tT1_PNSt15iterator_traitsISI_E10value_typeET2_T3_PNSJ_ISO_E10value_typeET4_T5_PST_SU_PNS1_23onesweep_lookback_stateEbbT6_jjT7_P12ihipStream_tbENKUlT_T0_SI_SN_E_clISD_SD_SD_SD_EEDaS11_S12_SI_SN_EUlS11_E_NS1_11comp_targetILNS1_3genE0ELNS1_11target_archE4294967295ELNS1_3gpuE0ELNS1_3repE0EEENS1_47radix_sort_onesweep_sort_config_static_selectorELNS0_4arch9wavefront6targetE1EEEvSI_.has_dyn_sized_stack, 0
	.set _ZN7rocprim17ROCPRIM_400000_NS6detail17trampoline_kernelINS0_14default_configENS1_35radix_sort_onesweep_config_selectorIffEEZZNS1_29radix_sort_onesweep_iterationIS3_Lb0EN6thrust23THRUST_200600_302600_NS6detail15normal_iteratorINS8_10device_ptrIfEEEESD_SD_SD_jNS0_19identity_decomposerENS1_16block_id_wrapperIjLb1EEEEE10hipError_tT1_PNSt15iterator_traitsISI_E10value_typeET2_T3_PNSJ_ISO_E10value_typeET4_T5_PST_SU_PNS1_23onesweep_lookback_stateEbbT6_jjT7_P12ihipStream_tbENKUlT_T0_SI_SN_E_clISD_SD_SD_SD_EEDaS11_S12_SI_SN_EUlS11_E_NS1_11comp_targetILNS1_3genE0ELNS1_11target_archE4294967295ELNS1_3gpuE0ELNS1_3repE0EEENS1_47radix_sort_onesweep_sort_config_static_selectorELNS0_4arch9wavefront6targetE1EEEvSI_.has_recursion, 0
	.set _ZN7rocprim17ROCPRIM_400000_NS6detail17trampoline_kernelINS0_14default_configENS1_35radix_sort_onesweep_config_selectorIffEEZZNS1_29radix_sort_onesweep_iterationIS3_Lb0EN6thrust23THRUST_200600_302600_NS6detail15normal_iteratorINS8_10device_ptrIfEEEESD_SD_SD_jNS0_19identity_decomposerENS1_16block_id_wrapperIjLb1EEEEE10hipError_tT1_PNSt15iterator_traitsISI_E10value_typeET2_T3_PNSJ_ISO_E10value_typeET4_T5_PST_SU_PNS1_23onesweep_lookback_stateEbbT6_jjT7_P12ihipStream_tbENKUlT_T0_SI_SN_E_clISD_SD_SD_SD_EEDaS11_S12_SI_SN_EUlS11_E_NS1_11comp_targetILNS1_3genE0ELNS1_11target_archE4294967295ELNS1_3gpuE0ELNS1_3repE0EEENS1_47radix_sort_onesweep_sort_config_static_selectorELNS0_4arch9wavefront6targetE1EEEvSI_.has_indirect_call, 0
	.section	.AMDGPU.csdata,"",@progbits
; Kernel info:
; codeLenInByte = 0
; TotalNumSgprs: 6
; NumVgprs: 0
; NumAgprs: 0
; TotalNumVgprs: 0
; ScratchSize: 0
; MemoryBound: 0
; FloatMode: 240
; IeeeMode: 1
; LDSByteSize: 0 bytes/workgroup (compile time only)
; SGPRBlocks: 0
; VGPRBlocks: 0
; NumSGPRsForWavesPerEU: 6
; NumVGPRsForWavesPerEU: 1
; AccumOffset: 4
; Occupancy: 8
; WaveLimiterHint : 0
; COMPUTE_PGM_RSRC2:SCRATCH_EN: 0
; COMPUTE_PGM_RSRC2:USER_SGPR: 2
; COMPUTE_PGM_RSRC2:TRAP_HANDLER: 0
; COMPUTE_PGM_RSRC2:TGID_X_EN: 1
; COMPUTE_PGM_RSRC2:TGID_Y_EN: 0
; COMPUTE_PGM_RSRC2:TGID_Z_EN: 0
; COMPUTE_PGM_RSRC2:TIDIG_COMP_CNT: 0
; COMPUTE_PGM_RSRC3_GFX90A:ACCUM_OFFSET: 0
; COMPUTE_PGM_RSRC3_GFX90A:TG_SPLIT: 0
	.section	.text._ZN7rocprim17ROCPRIM_400000_NS6detail17trampoline_kernelINS0_14default_configENS1_35radix_sort_onesweep_config_selectorIffEEZZNS1_29radix_sort_onesweep_iterationIS3_Lb0EN6thrust23THRUST_200600_302600_NS6detail15normal_iteratorINS8_10device_ptrIfEEEESD_SD_SD_jNS0_19identity_decomposerENS1_16block_id_wrapperIjLb1EEEEE10hipError_tT1_PNSt15iterator_traitsISI_E10value_typeET2_T3_PNSJ_ISO_E10value_typeET4_T5_PST_SU_PNS1_23onesweep_lookback_stateEbbT6_jjT7_P12ihipStream_tbENKUlT_T0_SI_SN_E_clISD_SD_SD_SD_EEDaS11_S12_SI_SN_EUlS11_E_NS1_11comp_targetILNS1_3genE6ELNS1_11target_archE950ELNS1_3gpuE13ELNS1_3repE0EEENS1_47radix_sort_onesweep_sort_config_static_selectorELNS0_4arch9wavefront6targetE1EEEvSI_,"axG",@progbits,_ZN7rocprim17ROCPRIM_400000_NS6detail17trampoline_kernelINS0_14default_configENS1_35radix_sort_onesweep_config_selectorIffEEZZNS1_29radix_sort_onesweep_iterationIS3_Lb0EN6thrust23THRUST_200600_302600_NS6detail15normal_iteratorINS8_10device_ptrIfEEEESD_SD_SD_jNS0_19identity_decomposerENS1_16block_id_wrapperIjLb1EEEEE10hipError_tT1_PNSt15iterator_traitsISI_E10value_typeET2_T3_PNSJ_ISO_E10value_typeET4_T5_PST_SU_PNS1_23onesweep_lookback_stateEbbT6_jjT7_P12ihipStream_tbENKUlT_T0_SI_SN_E_clISD_SD_SD_SD_EEDaS11_S12_SI_SN_EUlS11_E_NS1_11comp_targetILNS1_3genE6ELNS1_11target_archE950ELNS1_3gpuE13ELNS1_3repE0EEENS1_47radix_sort_onesweep_sort_config_static_selectorELNS0_4arch9wavefront6targetE1EEEvSI_,comdat
	.protected	_ZN7rocprim17ROCPRIM_400000_NS6detail17trampoline_kernelINS0_14default_configENS1_35radix_sort_onesweep_config_selectorIffEEZZNS1_29radix_sort_onesweep_iterationIS3_Lb0EN6thrust23THRUST_200600_302600_NS6detail15normal_iteratorINS8_10device_ptrIfEEEESD_SD_SD_jNS0_19identity_decomposerENS1_16block_id_wrapperIjLb1EEEEE10hipError_tT1_PNSt15iterator_traitsISI_E10value_typeET2_T3_PNSJ_ISO_E10value_typeET4_T5_PST_SU_PNS1_23onesweep_lookback_stateEbbT6_jjT7_P12ihipStream_tbENKUlT_T0_SI_SN_E_clISD_SD_SD_SD_EEDaS11_S12_SI_SN_EUlS11_E_NS1_11comp_targetILNS1_3genE6ELNS1_11target_archE950ELNS1_3gpuE13ELNS1_3repE0EEENS1_47radix_sort_onesweep_sort_config_static_selectorELNS0_4arch9wavefront6targetE1EEEvSI_ ; -- Begin function _ZN7rocprim17ROCPRIM_400000_NS6detail17trampoline_kernelINS0_14default_configENS1_35radix_sort_onesweep_config_selectorIffEEZZNS1_29radix_sort_onesweep_iterationIS3_Lb0EN6thrust23THRUST_200600_302600_NS6detail15normal_iteratorINS8_10device_ptrIfEEEESD_SD_SD_jNS0_19identity_decomposerENS1_16block_id_wrapperIjLb1EEEEE10hipError_tT1_PNSt15iterator_traitsISI_E10value_typeET2_T3_PNSJ_ISO_E10value_typeET4_T5_PST_SU_PNS1_23onesweep_lookback_stateEbbT6_jjT7_P12ihipStream_tbENKUlT_T0_SI_SN_E_clISD_SD_SD_SD_EEDaS11_S12_SI_SN_EUlS11_E_NS1_11comp_targetILNS1_3genE6ELNS1_11target_archE950ELNS1_3gpuE13ELNS1_3repE0EEENS1_47radix_sort_onesweep_sort_config_static_selectorELNS0_4arch9wavefront6targetE1EEEvSI_
	.globl	_ZN7rocprim17ROCPRIM_400000_NS6detail17trampoline_kernelINS0_14default_configENS1_35radix_sort_onesweep_config_selectorIffEEZZNS1_29radix_sort_onesweep_iterationIS3_Lb0EN6thrust23THRUST_200600_302600_NS6detail15normal_iteratorINS8_10device_ptrIfEEEESD_SD_SD_jNS0_19identity_decomposerENS1_16block_id_wrapperIjLb1EEEEE10hipError_tT1_PNSt15iterator_traitsISI_E10value_typeET2_T3_PNSJ_ISO_E10value_typeET4_T5_PST_SU_PNS1_23onesweep_lookback_stateEbbT6_jjT7_P12ihipStream_tbENKUlT_T0_SI_SN_E_clISD_SD_SD_SD_EEDaS11_S12_SI_SN_EUlS11_E_NS1_11comp_targetILNS1_3genE6ELNS1_11target_archE950ELNS1_3gpuE13ELNS1_3repE0EEENS1_47radix_sort_onesweep_sort_config_static_selectorELNS0_4arch9wavefront6targetE1EEEvSI_
	.p2align	8
	.type	_ZN7rocprim17ROCPRIM_400000_NS6detail17trampoline_kernelINS0_14default_configENS1_35radix_sort_onesweep_config_selectorIffEEZZNS1_29radix_sort_onesweep_iterationIS3_Lb0EN6thrust23THRUST_200600_302600_NS6detail15normal_iteratorINS8_10device_ptrIfEEEESD_SD_SD_jNS0_19identity_decomposerENS1_16block_id_wrapperIjLb1EEEEE10hipError_tT1_PNSt15iterator_traitsISI_E10value_typeET2_T3_PNSJ_ISO_E10value_typeET4_T5_PST_SU_PNS1_23onesweep_lookback_stateEbbT6_jjT7_P12ihipStream_tbENKUlT_T0_SI_SN_E_clISD_SD_SD_SD_EEDaS11_S12_SI_SN_EUlS11_E_NS1_11comp_targetILNS1_3genE6ELNS1_11target_archE950ELNS1_3gpuE13ELNS1_3repE0EEENS1_47radix_sort_onesweep_sort_config_static_selectorELNS0_4arch9wavefront6targetE1EEEvSI_,@function
_ZN7rocprim17ROCPRIM_400000_NS6detail17trampoline_kernelINS0_14default_configENS1_35radix_sort_onesweep_config_selectorIffEEZZNS1_29radix_sort_onesweep_iterationIS3_Lb0EN6thrust23THRUST_200600_302600_NS6detail15normal_iteratorINS8_10device_ptrIfEEEESD_SD_SD_jNS0_19identity_decomposerENS1_16block_id_wrapperIjLb1EEEEE10hipError_tT1_PNSt15iterator_traitsISI_E10value_typeET2_T3_PNSJ_ISO_E10value_typeET4_T5_PST_SU_PNS1_23onesweep_lookback_stateEbbT6_jjT7_P12ihipStream_tbENKUlT_T0_SI_SN_E_clISD_SD_SD_SD_EEDaS11_S12_SI_SN_EUlS11_E_NS1_11comp_targetILNS1_3genE6ELNS1_11target_archE950ELNS1_3gpuE13ELNS1_3repE0EEENS1_47radix_sort_onesweep_sort_config_static_selectorELNS0_4arch9wavefront6targetE1EEEvSI_: ; @_ZN7rocprim17ROCPRIM_400000_NS6detail17trampoline_kernelINS0_14default_configENS1_35radix_sort_onesweep_config_selectorIffEEZZNS1_29radix_sort_onesweep_iterationIS3_Lb0EN6thrust23THRUST_200600_302600_NS6detail15normal_iteratorINS8_10device_ptrIfEEEESD_SD_SD_jNS0_19identity_decomposerENS1_16block_id_wrapperIjLb1EEEEE10hipError_tT1_PNSt15iterator_traitsISI_E10value_typeET2_T3_PNSJ_ISO_E10value_typeET4_T5_PST_SU_PNS1_23onesweep_lookback_stateEbbT6_jjT7_P12ihipStream_tbENKUlT_T0_SI_SN_E_clISD_SD_SD_SD_EEDaS11_S12_SI_SN_EUlS11_E_NS1_11comp_targetILNS1_3genE6ELNS1_11target_archE950ELNS1_3gpuE13ELNS1_3repE0EEENS1_47radix_sort_onesweep_sort_config_static_selectorELNS0_4arch9wavefront6targetE1EEEvSI_
; %bb.0:
	s_load_dwordx4 s[48:51], s[2:3], 0x28
	s_load_dwordx2 s[38:39], s[2:3], 0x38
	s_load_dwordx4 s[52:55], s[2:3], 0x44
	v_and_b32_e32 v8, 0x3ff, v0
	v_cmp_eq_u32_e64 s[20:21], 0, v8
	s_and_saveexec_b64 s[6:7], s[20:21]
	s_cbranch_execz .LBB306_4
; %bb.1:
	s_mov_b64 s[10:11], exec
	v_mbcnt_lo_u32_b32 v1, s10, 0
	v_mbcnt_hi_u32_b32 v1, s11, v1
	v_cmp_eq_u32_e32 vcc, 0, v1
                                        ; implicit-def: $vgpr2
	s_and_saveexec_b64 s[8:9], vcc
	s_cbranch_execz .LBB306_3
; %bb.2:
	s_load_dwordx2 s[12:13], s[2:3], 0x50
	s_bcnt1_i32_b64 s5, s[10:11]
	v_mov_b32_e32 v2, 0
	v_mov_b32_e32 v3, s5
	s_waitcnt lgkmcnt(0)
	global_atomic_add v2, v2, v3, s[12:13] sc0
.LBB306_3:
	s_or_b64 exec, exec, s[8:9]
	s_waitcnt vmcnt(0)
	v_readfirstlane_b32 s5, v2
	v_mov_b32_e32 v2, 0
	s_nop 0
	v_add_u32_e32 v1, s5, v1
	ds_write_b32 v2, v1 offset:20544
.LBB306_4:
	s_or_b64 exec, exec, s[6:7]
	v_mov_b32_e32 v11, 0
	s_load_dwordx8 s[40:47], s[2:3], 0x0
	s_load_dword s5, s[2:3], 0x20
	s_waitcnt lgkmcnt(0)
	s_barrier
	ds_read_b32 v1, v11 offset:20544
	v_bfe_u32 v9, v0, 10, 10
	v_bfe_u32 v18, v0, 20, 10
	s_mov_b64 s[6:7], -1
	v_mbcnt_lo_u32_b32 v20, -1, 0
	s_waitcnt lgkmcnt(0)
	v_cmp_le_u32_e32 vcc, s54, v1
	v_readfirstlane_b32 s33, v1
	v_lshlrev_b32_e32 v19, 3, v8
	s_barrier
	s_cbranch_vccz .LBB306_128
; %bb.5:
	s_lshl_b32 s6, s54, 13
	s_sub_i32 s5, s5, s6
	s_lshl_b32 s6, s33, 13
	s_mov_b32 s7, 0
	s_lshl_b64 s[54:55], s[6:7], 2
	v_mbcnt_hi_u32_b32 v21, -1, v20
	s_add_u32 s6, s40, s54
	v_and_b32_e32 v2, 63, v21
	s_addc_u32 s7, s41, s55
	v_and_b32_e32 v3, 0x1e00, v19
	v_lshlrev_b32_e32 v10, 2, v2
	v_lshl_add_u64 v[0:1], s[6:7], 0, v[10:11]
	v_lshlrev_b32_e32 v12, 2, v3
	v_mov_b32_e32 v13, v11
	v_lshl_add_u64 v[14:15], v[0:1], 0, v[12:13]
	v_or_b32_e32 v11, v2, v3
	v_bfrev_b32_e32 v0, -2
	v_cmp_gt_u32_e64 s[28:29], s5, v11
	v_mov_b32_e32 v1, v0
	v_mov_b32_e32 v2, v0
	;; [unrolled: 1-line block ×7, first 2 shown]
	s_and_saveexec_b64 s[6:7], s[28:29]
	s_cbranch_execz .LBB306_7
; %bb.6:
	global_load_dword v22, v[14:15], off
	v_mov_b32_e32 v23, v0
	v_mov_b32_e32 v24, v0
	;; [unrolled: 1-line block ×7, first 2 shown]
	s_waitcnt vmcnt(0)
	v_mov_b64_e32 v[0:1], v[22:23]
	v_mov_b64_e32 v[2:3], v[24:25]
	;; [unrolled: 1-line block ×4, first 2 shown]
.LBB306_7:
	s_or_b64 exec, exec, s[6:7]
	v_or_b32_e32 v13, 64, v11
	v_cmp_gt_u32_e64 s[6:7], s5, v13
	s_and_saveexec_b64 s[8:9], s[6:7]
	s_cbranch_execz .LBB306_9
; %bb.8:
	global_load_dword v1, v[14:15], off offset:256
.LBB306_9:
	s_or_b64 exec, exec, s[8:9]
	v_or_b32_e32 v13, 0x80, v11
	v_cmp_gt_u32_e64 s[8:9], s5, v13
	s_and_saveexec_b64 s[10:11], s[8:9]
	s_cbranch_execz .LBB306_11
; %bb.10:
	global_load_dword v2, v[14:15], off offset:512
.LBB306_11:
	;; [unrolled: 8-line block ×7, first 2 shown]
	s_or_b64 exec, exec, s[22:23]
	s_load_dword s22, s[2:3], 0x64
	s_load_dword s56, s[2:3], 0x58
	s_add_u32 s23, s2, 0x58
	s_addc_u32 s24, s3, 0
	v_mov_b32_e32 v15, 0
	s_waitcnt lgkmcnt(0)
	s_lshr_b32 s25, s22, 16
	s_cmp_lt_u32 s4, s56
	s_cselect_b32 s22, 12, 18
	s_add_u32 s22, s23, s22
	s_addc_u32 s23, s24, 0
	global_load_ushort v13, v15, s[22:23]
	v_bfrev_b32_e32 v24, 1
	v_cmp_lt_i32_e32 vcc, -1, v0
	s_brev_b32 s58, -2
	s_lshl_b32 s22, -1, s53
	v_cndmask_b32_e32 v11, -1, v24, vcc
	v_xor_b32_e32 v11, v11, v0
	v_cmp_ne_u32_e32 vcc, s58, v11
	v_mov_b32_e32 v16, v15
	v_mov_b32_e32 v28, v15
	v_cndmask_b32_e32 v0, v24, v11, vcc
	v_lshrrev_b32_e32 v0, s52, v0
	v_bitop3_b32 v0, v0, s22, v0 bitop3:0x30
	v_and_b32_e32 v14, 1, v0
	v_lshlrev_b32_e32 v17, 30, v0
	v_lshlrev_b32_e32 v27, 29, v0
	v_lshlrev_b32_e32 v29, 28, v0
	v_lshl_add_u64 v[36:37], v[14:15], 0, -1
	v_cmp_ne_u32_e32 vcc, 0, v14
	v_not_b32_e32 v14, v17
	v_mov_b32_e32 v26, v15
	v_mov_b32_e32 v30, v15
	s_not_b32 s57, s22
	v_lshlrev_b32_e32 v31, 27, v0
	v_cmp_gt_i64_e64 s[22:23], 0, v[16:17]
	v_not_b32_e32 v16, v27
	v_cmp_gt_i64_e64 s[26:27], 0, v[28:29]
	v_not_b32_e32 v17, v29
	v_xor_b32_e32 v29, vcc_hi, v37
	v_ashrrev_i32_e32 v14, 31, v14
	v_mov_b32_e32 v32, v15
	v_mad_u32_u24 v23, v18, s25, v9
	v_lshlrev_b32_e32 v33, 26, v0
	v_cmp_gt_i64_e64 s[24:25], 0, v[26:27]
	v_cmp_gt_i64_e64 s[30:31], 0, v[30:31]
	v_not_b32_e32 v26, v31
	v_xor_b32_e32 v30, vcc_lo, v36
	v_ashrrev_i32_e32 v16, 31, v16
	v_and_b32_e32 v29, exec_hi, v29
	v_xor_b32_e32 v31, s23, v14
	v_cmp_gt_i64_e64 s[34:35], 0, v[32:33]
	v_ashrrev_i32_e32 v17, 31, v17
	v_and_b32_e32 v30, exec_lo, v30
	v_xor_b32_e32 v14, s22, v14
	v_xor_b32_e32 v32, s25, v16
	v_and_b32_e32 v29, v29, v31
	v_mov_b32_e32 v34, v15
	v_lshlrev_b32_e32 v35, 25, v0
	v_not_b32_e32 v27, v33
	v_ashrrev_i32_e32 v26, 31, v26
	v_xor_b32_e32 v16, s24, v16
	v_xor_b32_e32 v33, s27, v17
	v_and_b32_e32 v14, v30, v14
	v_and_b32_e32 v29, v29, v32
	v_cmp_gt_i64_e64 s[36:37], 0, v[34:35]
	v_ashrrev_i32_e32 v27, 31, v27
	v_xor_b32_e32 v17, s26, v17
	v_xor_b32_e32 v34, s31, v26
	v_and_b32_e32 v14, v14, v16
	v_and_b32_e32 v16, v29, v33
	v_not_b32_e32 v28, v35
	v_xor_b32_e32 v26, s30, v26
	v_xor_b32_e32 v35, s35, v27
	v_and_b32_e32 v14, v14, v17
	v_and_b32_e32 v16, v16, v34
	v_ashrrev_i32_e32 v28, 31, v28
	v_xor_b32_e32 v27, s34, v27
	v_and_b32_e32 v14, v14, v26
	v_and_b32_e32 v26, v16, v35
	s_movk_i32 s59, 0x44
	v_and_b32_e32 v14, v14, v27
	v_mul_lo_u32 v25, v0, s59
	v_mul_u32_u24_e32 v22, 20, v8
	ds_write2_b32 v22, v15, v15 offset0:16 offset1:17
	ds_write2_b32 v22, v15, v15 offset0:18 offset1:19
	ds_write_b32 v22, v15 offset:80
	s_waitcnt lgkmcnt(0)
	s_barrier
	s_waitcnt vmcnt(0)
	; wave barrier
	v_mad_u64_u32 v[16:17], s[22:23], v23, v13, v[8:9]
	v_lshrrev_b32_e32 v13, 4, v16
	v_xor_b32_e32 v16, s36, v28
	v_lshlrev_b32_e32 v17, 24, v0
	v_and_b32_e32 v14, v14, v16
	v_mov_b32_e32 v16, v15
	v_not_b32_e32 v0, v17
	v_and_b32_e32 v34, 0xffffffc, v13
	v_xor_b32_e32 v13, s37, v28
	v_cmp_gt_i64_e32 vcc, 0, v[16:17]
	v_ashrrev_i32_e32 v0, 31, v0
	v_and_b32_e32 v13, v26, v13
	v_xor_b32_e32 v16, vcc_hi, v0
	v_xor_b32_e32 v0, vcc_lo, v0
	v_and_b32_e32 v17, v13, v16
	v_and_b32_e32 v16, v14, v0
	v_mbcnt_lo_u32_b32 v0, v16, 0
	v_mbcnt_hi_u32_b32 v23, v17, v0
	v_cmp_eq_u32_e32 vcc, 0, v23
	v_cmp_ne_u64_e64 s[22:23], 0, v[16:17]
	s_and_b64 s[24:25], s[22:23], vcc
	v_add_u32_e32 v26, v34, v25
	s_and_saveexec_b64 s[22:23], s[24:25]
; %bb.22:
	v_bcnt_u32_b32 v0, v16, 0
	v_bcnt_u32_b32 v0, v17, v0
	ds_write_b32 v26, v0 offset:64
; %bb.23:
	s_or_b64 exec, exec, s[22:23]
	v_cmp_lt_i32_e32 vcc, -1, v1
	; wave barrier
	s_nop 1
	v_cndmask_b32_e32 v0, -1, v24, vcc
	v_xor_b32_e32 v13, v0, v1
	v_cmp_ne_u32_e32 vcc, s58, v13
	s_nop 1
	v_cndmask_b32_e32 v0, v24, v13, vcc
	v_lshrrev_b32_e32 v0, s52, v0
	v_and_b32_e32 v16, s57, v0
	v_mul_lo_u32 v0, v16, s59
	v_and_b32_e32 v14, 1, v16
	v_add_u32_e32 v28, v34, v0
	v_lshl_add_u64 v[0:1], v[14:15], 0, -1
	v_cmp_ne_u32_e32 vcc, 0, v14
	ds_read_b32 v17, v28 offset:64
	s_nop 0
	v_xor_b32_e32 v1, vcc_hi, v1
	v_xor_b32_e32 v0, vcc_lo, v0
	v_and_b32_e32 v14, exec_hi, v1
	v_and_b32_e32 v24, exec_lo, v0
	v_lshlrev_b32_e32 v1, 30, v16
	v_mov_b32_e32 v0, v15
	v_cmp_gt_i64_e32 vcc, 0, v[0:1]
	v_not_b32_e32 v0, v1
	v_ashrrev_i32_e32 v0, 31, v0
	v_xor_b32_e32 v1, vcc_hi, v0
	v_xor_b32_e32 v0, vcc_lo, v0
	v_and_b32_e32 v14, v14, v1
	v_and_b32_e32 v24, v24, v0
	v_lshlrev_b32_e32 v1, 29, v16
	v_mov_b32_e32 v0, v15
	v_cmp_gt_i64_e32 vcc, 0, v[0:1]
	v_not_b32_e32 v0, v1
	v_ashrrev_i32_e32 v0, 31, v0
	v_xor_b32_e32 v1, vcc_hi, v0
	v_xor_b32_e32 v0, vcc_lo, v0
	v_and_b32_e32 v14, v14, v1
	v_and_b32_e32 v24, v24, v0
	v_lshlrev_b32_e32 v1, 28, v16
	v_mov_b32_e32 v0, v15
	v_cmp_gt_i64_e32 vcc, 0, v[0:1]
	v_not_b32_e32 v0, v1
	v_ashrrev_i32_e32 v0, 31, v0
	v_xor_b32_e32 v1, vcc_hi, v0
	v_xor_b32_e32 v0, vcc_lo, v0
	v_and_b32_e32 v14, v14, v1
	v_and_b32_e32 v24, v24, v0
	v_lshlrev_b32_e32 v1, 27, v16
	v_mov_b32_e32 v0, v15
	v_cmp_gt_i64_e32 vcc, 0, v[0:1]
	v_not_b32_e32 v0, v1
	v_ashrrev_i32_e32 v0, 31, v0
	v_xor_b32_e32 v1, vcc_hi, v0
	v_xor_b32_e32 v0, vcc_lo, v0
	v_and_b32_e32 v14, v14, v1
	v_and_b32_e32 v24, v24, v0
	v_lshlrev_b32_e32 v1, 26, v16
	v_mov_b32_e32 v0, v15
	v_cmp_gt_i64_e32 vcc, 0, v[0:1]
	v_not_b32_e32 v0, v1
	v_ashrrev_i32_e32 v0, 31, v0
	v_xor_b32_e32 v1, vcc_hi, v0
	v_xor_b32_e32 v0, vcc_lo, v0
	v_and_b32_e32 v14, v14, v1
	v_and_b32_e32 v24, v24, v0
	v_lshlrev_b32_e32 v1, 25, v16
	v_mov_b32_e32 v0, v15
	v_cmp_gt_i64_e32 vcc, 0, v[0:1]
	v_not_b32_e32 v0, v1
	v_ashrrev_i32_e32 v0, 31, v0
	v_xor_b32_e32 v1, vcc_hi, v0
	v_xor_b32_e32 v0, vcc_lo, v0
	v_and_b32_e32 v14, v14, v1
	v_and_b32_e32 v24, v24, v0
	v_lshlrev_b32_e32 v1, 24, v16
	v_mov_b32_e32 v0, v15
	v_cmp_gt_i64_e32 vcc, 0, v[0:1]
	v_not_b32_e32 v0, v1
	v_ashrrev_i32_e32 v0, 31, v0
	v_xor_b32_e32 v1, vcc_hi, v0
	v_xor_b32_e32 v0, vcc_lo, v0
	v_and_b32_e32 v0, v24, v0
	v_and_b32_e32 v1, v14, v1
	v_mbcnt_lo_u32_b32 v14, v0, 0
	v_mbcnt_hi_u32_b32 v24, v1, v14
	v_cmp_eq_u32_e32 vcc, 0, v24
	v_cmp_ne_u64_e64 s[22:23], 0, v[0:1]
	s_and_b64 s[24:25], s[22:23], vcc
	; wave barrier
	s_and_saveexec_b64 s[22:23], s[24:25]
	s_cbranch_execz .LBB306_25
; %bb.24:
	v_bcnt_u32_b32 v0, v0, 0
	v_bcnt_u32_b32 v0, v1, v0
	s_waitcnt lgkmcnt(0)
	v_add_u32_e32 v0, v17, v0
	ds_write_b32 v28, v0 offset:64
.LBB306_25:
	s_or_b64 exec, exec, s[22:23]
	v_bfrev_b32_e32 v27, 1
	v_cmp_lt_i32_e32 vcc, -1, v2
	s_brev_b32 s24, -2
	s_movk_i32 s25, 0x44
	v_cndmask_b32_e32 v0, -1, v27, vcc
	v_xor_b32_e32 v16, v0, v2
	v_cmp_ne_u32_e32 vcc, s24, v16
	v_mov_b32_e32 v1, 0
	s_nop 0
	v_cndmask_b32_e32 v0, v27, v16, vcc
	v_lshrrev_b32_e32 v0, s52, v0
	v_and_b32_e32 v2, s57, v0
	v_mul_lo_u32 v0, v2, s25
	v_add_u32_e32 v32, v34, v0
	v_and_b32_e32 v0, 1, v2
	v_lshl_add_u64 v[14:15], v[0:1], 0, -1
	v_cmp_ne_u32_e32 vcc, 0, v0
	; wave barrier
	ds_read_b32 v25, v32 offset:64
	s_nop 0
	v_xor_b32_e32 v14, vcc_lo, v14
	v_xor_b32_e32 v0, vcc_hi, v15
	v_and_b32_e32 v29, exec_lo, v14
	v_lshlrev_b32_e32 v15, 30, v2
	v_mov_b32_e32 v14, v1
	v_cmp_gt_i64_e32 vcc, 0, v[14:15]
	v_not_b32_e32 v14, v15
	v_ashrrev_i32_e32 v14, 31, v14
	v_and_b32_e32 v0, exec_hi, v0
	v_xor_b32_e32 v15, vcc_hi, v14
	v_xor_b32_e32 v14, vcc_lo, v14
	v_and_b32_e32 v0, v0, v15
	v_and_b32_e32 v29, v29, v14
	v_lshlrev_b32_e32 v15, 29, v2
	v_mov_b32_e32 v14, v1
	v_cmp_gt_i64_e32 vcc, 0, v[14:15]
	v_not_b32_e32 v14, v15
	v_ashrrev_i32_e32 v14, 31, v14
	v_xor_b32_e32 v15, vcc_hi, v14
	v_xor_b32_e32 v14, vcc_lo, v14
	v_and_b32_e32 v0, v0, v15
	v_and_b32_e32 v29, v29, v14
	v_lshlrev_b32_e32 v15, 28, v2
	v_mov_b32_e32 v14, v1
	v_cmp_gt_i64_e32 vcc, 0, v[14:15]
	v_not_b32_e32 v14, v15
	v_ashrrev_i32_e32 v14, 31, v14
	v_xor_b32_e32 v15, vcc_hi, v14
	v_xor_b32_e32 v14, vcc_lo, v14
	v_and_b32_e32 v0, v0, v15
	v_and_b32_e32 v29, v29, v14
	v_lshlrev_b32_e32 v15, 27, v2
	v_mov_b32_e32 v14, v1
	v_cmp_gt_i64_e32 vcc, 0, v[14:15]
	v_not_b32_e32 v14, v15
	v_ashrrev_i32_e32 v14, 31, v14
	v_xor_b32_e32 v15, vcc_hi, v14
	v_xor_b32_e32 v14, vcc_lo, v14
	v_and_b32_e32 v0, v0, v15
	v_and_b32_e32 v29, v29, v14
	v_lshlrev_b32_e32 v15, 26, v2
	v_mov_b32_e32 v14, v1
	v_cmp_gt_i64_e32 vcc, 0, v[14:15]
	v_not_b32_e32 v14, v15
	v_ashrrev_i32_e32 v14, 31, v14
	v_xor_b32_e32 v15, vcc_hi, v14
	v_xor_b32_e32 v14, vcc_lo, v14
	v_and_b32_e32 v0, v0, v15
	v_and_b32_e32 v29, v29, v14
	v_lshlrev_b32_e32 v15, 25, v2
	v_mov_b32_e32 v14, v1
	v_cmp_gt_i64_e32 vcc, 0, v[14:15]
	v_not_b32_e32 v14, v15
	v_ashrrev_i32_e32 v14, 31, v14
	v_xor_b32_e32 v15, vcc_hi, v14
	v_xor_b32_e32 v14, vcc_lo, v14
	v_and_b32_e32 v0, v0, v15
	v_lshlrev_b32_e32 v15, 24, v2
	v_and_b32_e32 v29, v29, v14
	v_mov_b32_e32 v14, v1
	v_not_b32_e32 v2, v15
	v_cmp_gt_i64_e32 vcc, 0, v[14:15]
	v_ashrrev_i32_e32 v2, 31, v2
	s_nop 0
	v_xor_b32_e32 v14, vcc_hi, v2
	v_xor_b32_e32 v2, vcc_lo, v2
	v_and_b32_e32 v15, v0, v14
	v_and_b32_e32 v14, v29, v2
	v_mbcnt_lo_u32_b32 v0, v14, 0
	v_mbcnt_hi_u32_b32 v29, v15, v0
	v_cmp_eq_u32_e32 vcc, 0, v29
	v_cmp_ne_u64_e64 s[22:23], 0, v[14:15]
	s_and_b64 s[26:27], s[22:23], vcc
	; wave barrier
	s_and_saveexec_b64 s[22:23], s[26:27]
	s_cbranch_execz .LBB306_27
; %bb.26:
	v_bcnt_u32_b32 v0, v14, 0
	v_bcnt_u32_b32 v0, v15, v0
	s_waitcnt lgkmcnt(0)
	v_add_u32_e32 v0, v25, v0
	ds_write_b32 v32, v0 offset:64
.LBB306_27:
	s_or_b64 exec, exec, s[22:23]
	v_cmp_lt_i32_e32 vcc, -1, v3
	; wave barrier
	s_nop 1
	v_cndmask_b32_e32 v0, -1, v27, vcc
	v_xor_b32_e32 v14, v0, v3
	v_cmp_ne_u32_e32 vcc, s24, v14
	s_nop 1
	v_cndmask_b32_e32 v0, v27, v14, vcc
	v_lshrrev_b32_e32 v0, s52, v0
	v_and_b32_e32 v15, s57, v0
	v_mul_lo_u32 v0, v15, s25
	v_add_u32_e32 v37, v34, v0
	v_and_b32_e32 v0, 1, v15
	v_lshl_add_u64 v[2:3], v[0:1], 0, -1
	v_cmp_ne_u32_e32 vcc, 0, v0
	ds_read_b32 v30, v37 offset:64
	s_nop 0
	v_xor_b32_e32 v2, vcc_lo, v2
	v_xor_b32_e32 v0, vcc_hi, v3
	v_and_b32_e32 v27, exec_lo, v2
	v_lshlrev_b32_e32 v3, 30, v15
	v_mov_b32_e32 v2, v1
	v_cmp_gt_i64_e32 vcc, 0, v[2:3]
	v_not_b32_e32 v2, v3
	v_ashrrev_i32_e32 v2, 31, v2
	v_and_b32_e32 v0, exec_hi, v0
	v_xor_b32_e32 v3, vcc_hi, v2
	v_xor_b32_e32 v2, vcc_lo, v2
	v_and_b32_e32 v0, v0, v3
	v_and_b32_e32 v27, v27, v2
	v_lshlrev_b32_e32 v3, 29, v15
	v_mov_b32_e32 v2, v1
	v_cmp_gt_i64_e32 vcc, 0, v[2:3]
	v_not_b32_e32 v2, v3
	v_ashrrev_i32_e32 v2, 31, v2
	v_xor_b32_e32 v3, vcc_hi, v2
	v_xor_b32_e32 v2, vcc_lo, v2
	v_and_b32_e32 v0, v0, v3
	v_and_b32_e32 v27, v27, v2
	v_lshlrev_b32_e32 v3, 28, v15
	v_mov_b32_e32 v2, v1
	v_cmp_gt_i64_e32 vcc, 0, v[2:3]
	v_not_b32_e32 v2, v3
	v_ashrrev_i32_e32 v2, 31, v2
	;; [unrolled: 9-line block ×5, first 2 shown]
	v_xor_b32_e32 v3, vcc_hi, v2
	v_xor_b32_e32 v2, vcc_lo, v2
	v_and_b32_e32 v0, v0, v3
	v_lshlrev_b32_e32 v3, 24, v15
	v_and_b32_e32 v27, v27, v2
	v_mov_b32_e32 v2, v1
	v_not_b32_e32 v1, v3
	v_cmp_gt_i64_e32 vcc, 0, v[2:3]
	v_ashrrev_i32_e32 v1, 31, v1
	; wave barrier
	s_nop 0
	v_xor_b32_e32 v2, vcc_hi, v1
	v_xor_b32_e32 v3, vcc_lo, v1
	v_and_b32_e32 v1, v0, v2
	v_and_b32_e32 v0, v27, v3
	v_mbcnt_lo_u32_b32 v2, v0, 0
	v_mbcnt_hi_u32_b32 v33, v1, v2
	v_cmp_eq_u32_e32 vcc, 0, v33
	v_cmp_ne_u64_e64 s[22:23], 0, v[0:1]
	s_and_b64 s[24:25], s[22:23], vcc
	s_and_saveexec_b64 s[22:23], s[24:25]
	s_cbranch_execz .LBB306_29
; %bb.28:
	v_bcnt_u32_b32 v0, v0, 0
	v_bcnt_u32_b32 v0, v1, v0
	s_waitcnt lgkmcnt(0)
	v_add_u32_e32 v0, v30, v0
	ds_write_b32 v37, v0 offset:64
.LBB306_29:
	s_or_b64 exec, exec, s[22:23]
	v_bfrev_b32_e32 v31, 1
	v_cmp_lt_i32_e32 vcc, -1, v4
	s_brev_b32 s24, -2
	s_movk_i32 s25, 0x44
	v_cndmask_b32_e32 v0, -1, v31, vcc
	v_xor_b32_e32 v15, v0, v4
	v_cmp_ne_u32_e32 vcc, s24, v15
	v_mov_b32_e32 v1, 0
	s_nop 0
	v_cndmask_b32_e32 v0, v31, v15, vcc
	v_lshrrev_b32_e32 v0, s52, v0
	v_and_b32_e32 v27, s57, v0
	v_mul_lo_u32 v0, v27, s25
	v_add_u32_e32 v4, v34, v0
	v_and_b32_e32 v0, 1, v27
	v_lshl_add_u64 v[2:3], v[0:1], 0, -1
	v_cmp_ne_u32_e32 vcc, 0, v0
	; wave barrier
	ds_read_b32 v35, v4 offset:64
	s_nop 0
	v_xor_b32_e32 v2, vcc_lo, v2
	v_xor_b32_e32 v0, vcc_hi, v3
	v_and_b32_e32 v36, exec_lo, v2
	v_lshlrev_b32_e32 v3, 30, v27
	v_mov_b32_e32 v2, v1
	v_cmp_gt_i64_e32 vcc, 0, v[2:3]
	v_not_b32_e32 v2, v3
	v_ashrrev_i32_e32 v2, 31, v2
	v_and_b32_e32 v0, exec_hi, v0
	v_xor_b32_e32 v3, vcc_hi, v2
	v_xor_b32_e32 v2, vcc_lo, v2
	v_and_b32_e32 v0, v0, v3
	v_and_b32_e32 v36, v36, v2
	v_lshlrev_b32_e32 v3, 29, v27
	v_mov_b32_e32 v2, v1
	v_cmp_gt_i64_e32 vcc, 0, v[2:3]
	v_not_b32_e32 v2, v3
	v_ashrrev_i32_e32 v2, 31, v2
	v_xor_b32_e32 v3, vcc_hi, v2
	v_xor_b32_e32 v2, vcc_lo, v2
	v_and_b32_e32 v0, v0, v3
	v_and_b32_e32 v36, v36, v2
	v_lshlrev_b32_e32 v3, 28, v27
	v_mov_b32_e32 v2, v1
	v_cmp_gt_i64_e32 vcc, 0, v[2:3]
	v_not_b32_e32 v2, v3
	v_ashrrev_i32_e32 v2, 31, v2
	;; [unrolled: 9-line block ×6, first 2 shown]
	v_xor_b32_e32 v3, vcc_hi, v2
	v_xor_b32_e32 v2, vcc_lo, v2
	v_and_b32_e32 v2, v36, v2
	v_and_b32_e32 v3, v0, v3
	v_mbcnt_lo_u32_b32 v0, v2, 0
	v_mbcnt_hi_u32_b32 v38, v3, v0
	v_cmp_eq_u32_e32 vcc, 0, v38
	v_cmp_ne_u64_e64 s[22:23], 0, v[2:3]
	s_and_b64 s[26:27], s[22:23], vcc
	; wave barrier
	s_and_saveexec_b64 s[22:23], s[26:27]
	s_cbranch_execz .LBB306_31
; %bb.30:
	v_bcnt_u32_b32 v0, v2, 0
	v_bcnt_u32_b32 v0, v3, v0
	s_waitcnt lgkmcnt(0)
	v_add_u32_e32 v0, v35, v0
	ds_write_b32 v4, v0 offset:64
.LBB306_31:
	s_or_b64 exec, exec, s[22:23]
	v_cmp_lt_i32_e32 vcc, -1, v5
	; wave barrier
	s_nop 1
	v_cndmask_b32_e32 v0, -1, v31, vcc
	v_xor_b32_e32 v27, v0, v5
	v_cmp_ne_u32_e32 vcc, s24, v27
	s_nop 1
	v_cndmask_b32_e32 v0, v31, v27, vcc
	v_lshrrev_b32_e32 v0, s52, v0
	v_and_b32_e32 v31, s57, v0
	v_mul_lo_u32 v0, v31, s25
	v_add_u32_e32 v5, v34, v0
	v_and_b32_e32 v0, 1, v31
	v_lshl_add_u64 v[2:3], v[0:1], 0, -1
	v_cmp_ne_u32_e32 vcc, 0, v0
	ds_read_b32 v39, v5 offset:64
	s_nop 0
	v_xor_b32_e32 v2, vcc_lo, v2
	v_xor_b32_e32 v0, vcc_hi, v3
	v_and_b32_e32 v36, exec_lo, v2
	v_lshlrev_b32_e32 v3, 30, v31
	v_mov_b32_e32 v2, v1
	v_cmp_gt_i64_e32 vcc, 0, v[2:3]
	v_not_b32_e32 v2, v3
	v_ashrrev_i32_e32 v2, 31, v2
	v_and_b32_e32 v0, exec_hi, v0
	v_xor_b32_e32 v3, vcc_hi, v2
	v_xor_b32_e32 v2, vcc_lo, v2
	v_and_b32_e32 v0, v0, v3
	v_and_b32_e32 v36, v36, v2
	v_lshlrev_b32_e32 v3, 29, v31
	v_mov_b32_e32 v2, v1
	v_cmp_gt_i64_e32 vcc, 0, v[2:3]
	v_not_b32_e32 v2, v3
	v_ashrrev_i32_e32 v2, 31, v2
	v_xor_b32_e32 v3, vcc_hi, v2
	v_xor_b32_e32 v2, vcc_lo, v2
	v_and_b32_e32 v0, v0, v3
	v_and_b32_e32 v36, v36, v2
	v_lshlrev_b32_e32 v3, 28, v31
	v_mov_b32_e32 v2, v1
	v_cmp_gt_i64_e32 vcc, 0, v[2:3]
	v_not_b32_e32 v2, v3
	v_ashrrev_i32_e32 v2, 31, v2
	;; [unrolled: 9-line block ×5, first 2 shown]
	v_xor_b32_e32 v3, vcc_hi, v2
	v_xor_b32_e32 v2, vcc_lo, v2
	v_and_b32_e32 v0, v0, v3
	v_lshlrev_b32_e32 v3, 24, v31
	v_and_b32_e32 v36, v36, v2
	v_mov_b32_e32 v2, v1
	v_not_b32_e32 v1, v3
	v_cmp_gt_i64_e32 vcc, 0, v[2:3]
	v_ashrrev_i32_e32 v1, 31, v1
	; wave barrier
	s_nop 0
	v_xor_b32_e32 v2, vcc_hi, v1
	v_xor_b32_e32 v3, vcc_lo, v1
	v_and_b32_e32 v1, v0, v2
	v_and_b32_e32 v0, v36, v3
	v_mbcnt_lo_u32_b32 v2, v0, 0
	v_mbcnt_hi_u32_b32 v40, v1, v2
	v_cmp_eq_u32_e32 vcc, 0, v40
	v_cmp_ne_u64_e64 s[22:23], 0, v[0:1]
	s_and_b64 s[24:25], s[22:23], vcc
	s_and_saveexec_b64 s[22:23], s[24:25]
	s_cbranch_execz .LBB306_33
; %bb.32:
	v_bcnt_u32_b32 v0, v0, 0
	v_bcnt_u32_b32 v0, v1, v0
	s_waitcnt lgkmcnt(0)
	v_add_u32_e32 v0, v39, v0
	ds_write_b32 v5, v0 offset:64
.LBB306_33:
	s_or_b64 exec, exec, s[22:23]
	v_bfrev_b32_e32 v43, 1
	v_cmp_lt_i32_e32 vcc, -1, v6
	s_brev_b32 s24, -2
	s_movk_i32 s25, 0x44
	v_cndmask_b32_e32 v0, -1, v43, vcc
	v_xor_b32_e32 v31, v0, v6
	v_cmp_ne_u32_e32 vcc, s24, v31
	v_mov_b32_e32 v1, 0
	s_nop 0
	v_cndmask_b32_e32 v0, v43, v31, vcc
	v_lshrrev_b32_e32 v0, s52, v0
	v_and_b32_e32 v36, s57, v0
	v_mul_lo_u32 v0, v36, s25
	v_add_u32_e32 v6, v34, v0
	v_and_b32_e32 v0, 1, v36
	v_lshl_add_u64 v[2:3], v[0:1], 0, -1
	v_cmp_ne_u32_e32 vcc, 0, v0
	; wave barrier
	ds_read_b32 v41, v6 offset:64
	s_nop 0
	v_xor_b32_e32 v2, vcc_lo, v2
	v_xor_b32_e32 v0, vcc_hi, v3
	v_and_b32_e32 v42, exec_lo, v2
	v_lshlrev_b32_e32 v3, 30, v36
	v_mov_b32_e32 v2, v1
	v_cmp_gt_i64_e32 vcc, 0, v[2:3]
	v_not_b32_e32 v2, v3
	v_ashrrev_i32_e32 v2, 31, v2
	v_and_b32_e32 v0, exec_hi, v0
	v_xor_b32_e32 v3, vcc_hi, v2
	v_xor_b32_e32 v2, vcc_lo, v2
	v_and_b32_e32 v0, v0, v3
	v_and_b32_e32 v42, v42, v2
	v_lshlrev_b32_e32 v3, 29, v36
	v_mov_b32_e32 v2, v1
	v_cmp_gt_i64_e32 vcc, 0, v[2:3]
	v_not_b32_e32 v2, v3
	v_ashrrev_i32_e32 v2, 31, v2
	v_xor_b32_e32 v3, vcc_hi, v2
	v_xor_b32_e32 v2, vcc_lo, v2
	v_and_b32_e32 v0, v0, v3
	v_and_b32_e32 v42, v42, v2
	v_lshlrev_b32_e32 v3, 28, v36
	v_mov_b32_e32 v2, v1
	v_cmp_gt_i64_e32 vcc, 0, v[2:3]
	v_not_b32_e32 v2, v3
	v_ashrrev_i32_e32 v2, 31, v2
	;; [unrolled: 9-line block ×6, first 2 shown]
	v_xor_b32_e32 v3, vcc_hi, v2
	v_xor_b32_e32 v2, vcc_lo, v2
	v_and_b32_e32 v2, v42, v2
	v_and_b32_e32 v3, v0, v3
	v_mbcnt_lo_u32_b32 v0, v2, 0
	v_mbcnt_hi_u32_b32 v42, v3, v0
	v_cmp_eq_u32_e32 vcc, 0, v42
	v_cmp_ne_u64_e64 s[22:23], 0, v[2:3]
	s_and_b64 s[26:27], s[22:23], vcc
	; wave barrier
	s_and_saveexec_b64 s[22:23], s[26:27]
	s_cbranch_execz .LBB306_35
; %bb.34:
	v_bcnt_u32_b32 v0, v2, 0
	v_bcnt_u32_b32 v0, v3, v0
	s_waitcnt lgkmcnt(0)
	v_add_u32_e32 v0, v41, v0
	ds_write_b32 v6, v0 offset:64
.LBB306_35:
	s_or_b64 exec, exec, s[22:23]
	v_cmp_lt_i32_e32 vcc, -1, v7
	; wave barrier
	s_nop 1
	v_cndmask_b32_e32 v0, -1, v43, vcc
	v_xor_b32_e32 v36, v0, v7
	v_cmp_ne_u32_e32 vcc, s24, v36
	s_nop 1
	v_cndmask_b32_e32 v0, v43, v36, vcc
	v_lshrrev_b32_e32 v0, s52, v0
	v_and_b32_e32 v43, s57, v0
	v_mul_lo_u32 v0, v43, s25
	v_add_u32_e32 v7, v34, v0
	v_and_b32_e32 v0, 1, v43
	v_lshl_add_u64 v[2:3], v[0:1], 0, -1
	v_cmp_ne_u32_e32 vcc, 0, v0
	ds_read_b32 v34, v7 offset:64
	s_nop 0
	v_xor_b32_e32 v2, vcc_lo, v2
	v_xor_b32_e32 v0, vcc_hi, v3
	v_and_b32_e32 v44, exec_lo, v2
	v_lshlrev_b32_e32 v3, 30, v43
	v_mov_b32_e32 v2, v1
	v_cmp_gt_i64_e32 vcc, 0, v[2:3]
	v_not_b32_e32 v2, v3
	v_ashrrev_i32_e32 v2, 31, v2
	v_and_b32_e32 v0, exec_hi, v0
	v_xor_b32_e32 v3, vcc_hi, v2
	v_xor_b32_e32 v2, vcc_lo, v2
	v_and_b32_e32 v0, v0, v3
	v_and_b32_e32 v44, v44, v2
	v_lshlrev_b32_e32 v3, 29, v43
	v_mov_b32_e32 v2, v1
	v_cmp_gt_i64_e32 vcc, 0, v[2:3]
	v_not_b32_e32 v2, v3
	v_ashrrev_i32_e32 v2, 31, v2
	v_xor_b32_e32 v3, vcc_hi, v2
	v_xor_b32_e32 v2, vcc_lo, v2
	v_and_b32_e32 v0, v0, v3
	v_and_b32_e32 v44, v44, v2
	v_lshlrev_b32_e32 v3, 28, v43
	v_mov_b32_e32 v2, v1
	v_cmp_gt_i64_e32 vcc, 0, v[2:3]
	v_not_b32_e32 v2, v3
	v_ashrrev_i32_e32 v2, 31, v2
	;; [unrolled: 9-line block ×5, first 2 shown]
	v_xor_b32_e32 v3, vcc_hi, v2
	v_xor_b32_e32 v2, vcc_lo, v2
	v_and_b32_e32 v0, v0, v3
	v_lshlrev_b32_e32 v3, 24, v43
	v_and_b32_e32 v44, v44, v2
	v_mov_b32_e32 v2, v1
	v_not_b32_e32 v1, v3
	v_cmp_gt_i64_e32 vcc, 0, v[2:3]
	v_ashrrev_i32_e32 v1, 31, v1
	; wave barrier
	s_nop 0
	v_xor_b32_e32 v2, vcc_hi, v1
	v_xor_b32_e32 v3, vcc_lo, v1
	v_and_b32_e32 v1, v0, v2
	v_and_b32_e32 v0, v44, v3
	v_mbcnt_lo_u32_b32 v2, v0, 0
	v_mbcnt_hi_u32_b32 v43, v1, v2
	v_cmp_eq_u32_e32 vcc, 0, v43
	v_cmp_ne_u64_e64 s[22:23], 0, v[0:1]
	s_and_b64 s[24:25], s[22:23], vcc
	s_and_saveexec_b64 s[22:23], s[24:25]
	s_cbranch_execz .LBB306_37
; %bb.36:
	v_bcnt_u32_b32 v0, v0, 0
	v_bcnt_u32_b32 v0, v1, v0
	s_waitcnt lgkmcnt(0)
	v_add_u32_e32 v0, v34, v0
	ds_write_b32 v7, v0 offset:64
.LBB306_37:
	s_or_b64 exec, exec, s[22:23]
	; wave barrier
	s_waitcnt lgkmcnt(0)
	s_barrier
	ds_read2_b32 v[2:3], v22 offset0:16 offset1:17
	ds_read2_b32 v[0:1], v22 offset0:18 offset1:19
	ds_read_b32 v44, v22 offset:80
	v_cmp_lt_u32_e64 s[30:31], 31, v21
	s_waitcnt lgkmcnt(1)
	v_add3_u32 v45, v3, v2, v0
	s_waitcnt lgkmcnt(0)
	v_add3_u32 v44, v45, v1, v44
	v_and_b32_e32 v45, 15, v21
	v_cmp_eq_u32_e32 vcc, 0, v45
	v_mov_b32_dpp v46, v44 row_shr:1 row_mask:0xf bank_mask:0xf
	v_cmp_lt_u32_e64 s[22:23], 1, v45
	v_cndmask_b32_e64 v46, v46, 0, vcc
	v_add_u32_e32 v44, v46, v44
	v_cmp_lt_u32_e64 s[24:25], 3, v45
	v_cmp_lt_u32_e64 s[26:27], 7, v45
	v_mov_b32_dpp v46, v44 row_shr:2 row_mask:0xf bank_mask:0xf
	v_cndmask_b32_e64 v46, 0, v46, s[22:23]
	v_add_u32_e32 v44, v44, v46
	s_nop 1
	v_mov_b32_dpp v46, v44 row_shr:4 row_mask:0xf bank_mask:0xf
	v_cndmask_b32_e64 v46, 0, v46, s[24:25]
	v_add_u32_e32 v44, v44, v46
	s_nop 1
	v_mov_b32_dpp v46, v44 row_shr:8 row_mask:0xf bank_mask:0xf
	v_cndmask_b32_e64 v45, 0, v46, s[26:27]
	v_add_u32_e32 v44, v44, v45
	v_bfe_i32 v46, v21, 4, 1
	s_nop 0
	v_mov_b32_dpp v45, v44 row_bcast:15 row_mask:0xf bank_mask:0xf
	v_and_b32_e32 v45, v46, v45
	v_add_u32_e32 v44, v44, v45
	v_and_b32_e32 v46, 63, v8
	s_nop 0
	v_mov_b32_dpp v45, v44 row_bcast:31 row_mask:0xf bank_mask:0xf
	v_cndmask_b32_e64 v45, 0, v45, s[30:31]
	v_add_u32_e32 v44, v44, v45
	v_lshrrev_b32_e32 v45, 6, v8
	v_cmp_eq_u32_e64 s[30:31], 63, v46
	s_and_saveexec_b64 s[34:35], s[30:31]
; %bb.38:
	v_lshlrev_b32_e32 v46, 2, v45
	ds_write_b32 v46, v44
; %bb.39:
	s_or_b64 exec, exec, s[34:35]
	v_cmp_gt_u32_e64 s[30:31], 16, v8
	s_waitcnt lgkmcnt(0)
	s_barrier
	s_and_saveexec_b64 s[34:35], s[30:31]
	s_cbranch_execz .LBB306_41
; %bb.40:
	v_lshlrev_b32_e32 v46, 2, v8
	ds_read_b32 v47, v46
	s_waitcnt lgkmcnt(0)
	s_nop 0
	v_mov_b32_dpp v48, v47 row_shr:1 row_mask:0xf bank_mask:0xf
	v_cndmask_b32_e64 v48, v48, 0, vcc
	v_add_u32_e32 v47, v48, v47
	s_nop 1
	v_mov_b32_dpp v48, v47 row_shr:2 row_mask:0xf bank_mask:0xf
	v_cndmask_b32_e64 v48, 0, v48, s[22:23]
	v_add_u32_e32 v47, v47, v48
	s_nop 1
	v_mov_b32_dpp v48, v47 row_shr:4 row_mask:0xf bank_mask:0xf
	v_cndmask_b32_e64 v48, 0, v48, s[24:25]
	;; [unrolled: 4-line block ×3, first 2 shown]
	v_add_u32_e32 v47, v47, v48
	ds_write_b32 v46, v47
.LBB306_41:
	s_or_b64 exec, exec, s[34:35]
	v_cmp_lt_u32_e32 vcc, 63, v8
	v_mov_b32_e32 v46, 0
	s_waitcnt lgkmcnt(0)
	s_barrier
	s_and_saveexec_b64 s[22:23], vcc
; %bb.42:
	v_lshl_add_u32 v45, v45, 2, -4
	ds_read_b32 v46, v45
; %bb.43:
	s_or_b64 exec, exec, s[22:23]
	v_subrev_co_u32_e32 v45, vcc, 1, v21
	v_and_b32_e32 v47, 64, v21
	v_cmp_lt_i32_e64 s[22:23], v45, v47
	s_waitcnt lgkmcnt(0)
	v_add_u32_e32 v44, v46, v44
	s_movk_i32 s24, 0x100
	v_cndmask_b32_e64 v21, v45, v21, s[22:23]
	v_lshlrev_b32_e32 v21, 2, v21
	ds_bpermute_b32 v21, v21, v44
	s_movk_i32 s22, 0xff
	v_cmp_lt_u32_e64 s[22:23], s22, v8
	s_waitcnt lgkmcnt(0)
	v_cndmask_b32_e32 v21, v21, v46, vcc
	v_cndmask_b32_e64 v21, v21, 0, s[20:21]
	v_add_u32_e32 v2, v21, v2
	v_add_u32_e32 v3, v2, v3
	;; [unrolled: 1-line block ×4, first 2 shown]
	ds_write2_b32 v22, v21, v2 offset0:16 offset1:17
	ds_write2_b32 v22, v3, v0 offset0:18 offset1:19
	ds_write_b32 v22, v1 offset:80
	s_waitcnt lgkmcnt(0)
	s_barrier
	ds_read_b32 v44, v26 offset:64
	ds_read_b32 v45, v28 offset:64
	;; [unrolled: 1-line block ×8, first 2 shown]
	v_cmp_gt_u32_e32 vcc, s24, v8
                                        ; implicit-def: $vgpr6
                                        ; implicit-def: $vgpr7
	s_and_saveexec_b64 s[26:27], vcc
	s_cbranch_execz .LBB306_47
; %bb.44:
	v_mul_u32_u24_e32 v0, 0x44, v8
	ds_read_b32 v6, v0 offset:64
	v_add_u32_e32 v1, 1, v8
	v_cmp_ne_u32_e64 s[24:25], s24, v1
	v_mov_b32_e32 v0, 0x2000
	s_and_saveexec_b64 s[30:31], s[24:25]
; %bb.45:
	v_mul_u32_u24_e32 v0, 0x44, v1
	ds_read_b32 v0, v0 offset:64
; %bb.46:
	s_or_b64 exec, exec, s[30:31]
	s_waitcnt lgkmcnt(0)
	v_sub_u32_e32 v7, v0, v6
.LBB306_47:
	s_or_b64 exec, exec, s[26:27]
	v_mov_b32_e32 v1, 0
	v_lshlrev_b32_e32 v21, 2, v8
	s_waitcnt lgkmcnt(0)
	s_barrier
	s_and_saveexec_b64 s[24:25], vcc
	s_cbranch_execz .LBB306_57
; %bb.48:
	v_lshl_add_u32 v0, s33, 8, v8
	v_lshl_add_u64 v[2:3], v[0:1], 2, s[38:39]
	v_or_b32_e32 v0, 2.0, v7
	s_mov_b64 s[26:27], 0
	s_brev_b32 s36, -4
	s_mov_b32 s37, s33
	v_mov_b32_e32 v47, 0
	global_store_dword v[2:3], v0, off sc1
                                        ; implicit-def: $sgpr30_sgpr31
	s_branch .LBB306_51
.LBB306_49:                             ;   in Loop: Header=BB306_51 Depth=1
	s_or_b64 exec, exec, s[34:35]
.LBB306_50:                             ;   in Loop: Header=BB306_51 Depth=1
	s_or_b64 exec, exec, s[30:31]
	v_and_b32_e32 v4, 0x3fffffff, v0
	v_add_u32_e32 v47, v4, v47
	v_cmp_gt_i32_e64 s[30:31], -2.0, v0
	s_and_b64 s[34:35], exec, s[30:31]
	s_or_b64 s[26:27], s[34:35], s[26:27]
	s_andn2_b64 exec, exec, s[26:27]
	s_cbranch_execz .LBB306_56
.LBB306_51:                             ; =>This Loop Header: Depth=1
                                        ;     Child Loop BB306_54 Depth 2
	s_or_b64 s[30:31], s[30:31], exec
	s_cmp_eq_u32 s37, 0
	s_cbranch_scc1 .LBB306_55
; %bb.52:                               ;   in Loop: Header=BB306_51 Depth=1
	s_add_i32 s37, s37, -1
	v_lshl_or_b32 v0, s37, 8, v8
	v_lshl_add_u64 v[4:5], v[0:1], 2, s[38:39]
	global_load_dword v0, v[4:5], off sc1
	s_waitcnt vmcnt(0)
	v_cmp_gt_u32_e32 vcc, 2.0, v0
	s_and_saveexec_b64 s[30:31], vcc
	s_cbranch_execz .LBB306_50
; %bb.53:                               ;   in Loop: Header=BB306_51 Depth=1
	s_mov_b64 s[34:35], 0
.LBB306_54:                             ;   Parent Loop BB306_51 Depth=1
                                        ; =>  This Inner Loop Header: Depth=2
	global_load_dword v0, v[4:5], off sc1
	s_waitcnt vmcnt(0)
	v_cmp_lt_u32_e32 vcc, s36, v0
	s_or_b64 s[34:35], vcc, s[34:35]
	s_andn2_b64 exec, exec, s[34:35]
	s_cbranch_execnz .LBB306_54
	s_branch .LBB306_49
.LBB306_55:                             ;   in Loop: Header=BB306_51 Depth=1
                                        ; implicit-def: $sgpr37
	s_and_b64 s[34:35], exec, s[30:31]
	s_or_b64 s[26:27], s[34:35], s[26:27]
	s_andn2_b64 exec, exec, s[26:27]
	s_cbranch_execnz .LBB306_51
.LBB306_56:
	s_or_b64 exec, exec, s[26:27]
	v_add_u32_e32 v0, v47, v7
	v_or_b32_e32 v0, 0x80000000, v0
	global_store_dword v[2:3], v0, off sc1
	global_load_dword v0, v21, s[48:49]
	v_sub_u32_e32 v1, v47, v6
	s_waitcnt vmcnt(0)
	v_add_u32_e32 v0, v1, v0
	ds_write_b32 v21, v0
.LBB306_57:
	s_or_b64 exec, exec, s[24:25]
	s_load_dwordx2 s[24:25], s[0:1], 0x4
	v_add_u32_e32 v2, v44, v23
	v_add3_u32 v3, v24, v17, v45
	v_add3_u32 v4, v29, v25, v46
	;; [unrolled: 1-line block ×3, first 2 shown]
	s_waitcnt lgkmcnt(0)
	s_lshr_b32 s0, s24, 16
	s_mul_i32 s0, s0, s25
	v_mul_lo_u32 v0, s0, v8
	v_mad_u32_u24 v0, v9, s25, v0
	v_add_lshl_u32 v0, v0, v18, 5
	v_add3_u32 v17, v38, v35, v22
	v_add3_u32 v22, v40, v39, v26
	;; [unrolled: 1-line block ×4, first 2 shown]
	v_add_u32_e32 v37, 0x5050, v0
	v_add_u32_e32 v25, 0x5060, v0
	v_lshlrev_b32_e32 v26, 2, v24
	v_lshlrev_b32_e32 v28, 2, v23
	;; [unrolled: 1-line block ×8, first 2 shown]
	s_mov_b64 s[0:1], -1
	s_mov_b32 s26, 0
	s_brev_b32 s27, -2
	v_mov_b32_e32 v1, 0
	s_movk_i32 s30, 0x400
	s_movk_i32 s31, 0x800
	;; [unrolled: 1-line block ×3, first 2 shown]
	v_bfrev_b32_e32 v38, 1
	v_mov_b32_e32 v39, v2
	v_mov_b32_e32 v40, v3
	;; [unrolled: 1-line block ×10, first 2 shown]
	s_branch .LBB306_59
.LBB306_58:                             ;   in Loop: Header=BB306_59 Depth=1
	s_or_b64 exec, exec, s[24:25]
	s_xor_b64 s[24:25], s[0:1], -1
	v_add_u32_e32 v47, 0x1000, v47
	s_addk_i32 s26, 0xc000
	s_mov_b64 s[0:1], 0
	s_and_b64 vcc, exec, s[24:25]
	v_mov_b32_e32 v48, v25
	s_waitcnt lgkmcnt(0)
	s_barrier
	s_cbranch_vccnz .LBB306_83
.LBB306_59:                             ; =>This Inner Loop Header: Depth=1
	v_subrev_co_u32_e32 v39, vcc, 0x1000, v39
	s_and_saveexec_b64 s[24:25], vcc
	s_cbranch_execz .LBB306_67
; %bb.60:                               ;   in Loop: Header=BB306_59 Depth=1
	v_add_u32_e32 v0, s26, v35
	ds_write_b32 v0, v11 offset:1024
	s_or_b64 exec, exec, s[24:25]
	v_subrev_co_u32_e32 v40, vcc, 0x1000, v40
	s_and_saveexec_b64 s[24:25], vcc
	s_cbranch_execnz .LBB306_68
.LBB306_61:                             ;   in Loop: Header=BB306_59 Depth=1
	s_or_b64 exec, exec, s[24:25]
	v_subrev_co_u32_e32 v41, vcc, 0x1000, v41
	s_and_saveexec_b64 s[24:25], vcc
	s_cbranch_execz .LBB306_69
.LBB306_62:                             ;   in Loop: Header=BB306_59 Depth=1
	v_add_u32_e32 v0, s26, v33
	ds_write_b32 v0, v16 offset:1024
	s_or_b64 exec, exec, s[24:25]
	v_subrev_co_u32_e32 v42, vcc, 0x1000, v42
	s_and_saveexec_b64 s[24:25], vcc
	s_cbranch_execnz .LBB306_70
.LBB306_63:                             ;   in Loop: Header=BB306_59 Depth=1
	s_or_b64 exec, exec, s[24:25]
	v_subrev_co_u32_e32 v43, vcc, 0x1000, v43
	s_and_saveexec_b64 s[24:25], vcc
	s_cbranch_execz .LBB306_71
.LBB306_64:                             ;   in Loop: Header=BB306_59 Depth=1
	v_add_u32_e32 v0, s26, v30
	ds_write_b32 v0, v15 offset:1024
	s_or_b64 exec, exec, s[24:25]
	v_subrev_co_u32_e32 v44, vcc, 0x1000, v44
	s_and_saveexec_b64 s[24:25], vcc
	s_cbranch_execnz .LBB306_72
.LBB306_65:                             ;   in Loop: Header=BB306_59 Depth=1
	s_or_b64 exec, exec, s[24:25]
	v_subrev_co_u32_e32 v45, vcc, 0x1000, v45
	s_and_saveexec_b64 s[24:25], vcc
	s_cbranch_execz .LBB306_73
.LBB306_66:                             ;   in Loop: Header=BB306_59 Depth=1
	v_add_u32_e32 v0, s26, v28
	ds_write_b32 v0, v31 offset:1024
	s_or_b64 exec, exec, s[24:25]
	v_subrev_co_u32_e32 v46, vcc, 0x1000, v46
	s_and_saveexec_b64 s[24:25], vcc
	s_cbranch_execnz .LBB306_74
	s_branch .LBB306_75
.LBB306_67:                             ;   in Loop: Header=BB306_59 Depth=1
	s_or_b64 exec, exec, s[24:25]
	v_subrev_co_u32_e32 v40, vcc, 0x1000, v40
	s_and_saveexec_b64 s[24:25], vcc
	s_cbranch_execz .LBB306_61
.LBB306_68:                             ;   in Loop: Header=BB306_59 Depth=1
	v_add_u32_e32 v0, s26, v34
	ds_write_b32 v0, v13 offset:1024
	s_or_b64 exec, exec, s[24:25]
	v_subrev_co_u32_e32 v41, vcc, 0x1000, v41
	s_and_saveexec_b64 s[24:25], vcc
	s_cbranch_execnz .LBB306_62
.LBB306_69:                             ;   in Loop: Header=BB306_59 Depth=1
	s_or_b64 exec, exec, s[24:25]
	v_subrev_co_u32_e32 v42, vcc, 0x1000, v42
	s_and_saveexec_b64 s[24:25], vcc
	s_cbranch_execz .LBB306_63
.LBB306_70:                             ;   in Loop: Header=BB306_59 Depth=1
	v_add_u32_e32 v0, s26, v32
	ds_write_b32 v0, v14 offset:1024
	s_or_b64 exec, exec, s[24:25]
	v_subrev_co_u32_e32 v43, vcc, 0x1000, v43
	s_and_saveexec_b64 s[24:25], vcc
	s_cbranch_execnz .LBB306_64
.LBB306_71:                             ;   in Loop: Header=BB306_59 Depth=1
	s_or_b64 exec, exec, s[24:25]
	v_subrev_co_u32_e32 v44, vcc, 0x1000, v44
	s_and_saveexec_b64 s[24:25], vcc
	s_cbranch_execz .LBB306_65
.LBB306_72:                             ;   in Loop: Header=BB306_59 Depth=1
	v_add_u32_e32 v0, s26, v29
	ds_write_b32 v0, v27 offset:1024
	s_or_b64 exec, exec, s[24:25]
	v_subrev_co_u32_e32 v45, vcc, 0x1000, v45
	s_and_saveexec_b64 s[24:25], vcc
	s_cbranch_execnz .LBB306_66
.LBB306_73:                             ;   in Loop: Header=BB306_59 Depth=1
	s_or_b64 exec, exec, s[24:25]
	v_subrev_co_u32_e32 v46, vcc, 0x1000, v46
	s_and_saveexec_b64 s[24:25], vcc
.LBB306_74:                             ;   in Loop: Header=BB306_59 Depth=1
	v_add_u32_e32 v0, s26, v26
	ds_write_b32 v0, v36 offset:1024
.LBB306_75:                             ;   in Loop: Header=BB306_59 Depth=1
	s_or_b64 exec, exec, s[24:25]
	v_cmp_gt_u32_e32 vcc, s5, v47
	s_waitcnt lgkmcnt(0)
	s_barrier
	s_and_saveexec_b64 s[24:25], vcc
	s_cbranch_execz .LBB306_77
; %bb.76:                               ;   in Loop: Header=BB306_59 Depth=1
	ds_read_b32 v0, v21 offset:1024
	s_waitcnt lgkmcnt(0)
	v_cmp_ne_u32_e32 vcc, s27, v0
	s_nop 1
	v_cndmask_b32_e32 v49, v38, v0, vcc
	v_lshrrev_b32_e32 v49, s52, v49
	v_and_b32_e32 v49, s57, v49
	v_lshlrev_b32_e32 v50, 2, v49
	ds_read_b32 v50, v50
	v_cmp_lt_i32_e32 vcc, -1, v0
	ds_write_b32 v48, v49
	s_nop 0
	v_cndmask_b32_e64 v51, v38, -1, vcc
	v_xor_b32_e32 v52, v51, v0
	s_waitcnt lgkmcnt(1)
	v_add_u32_e32 v0, v47, v50
	v_lshl_add_u64 v[50:51], v[0:1], 2, s[42:43]
	global_store_dword v[50:51], v52, off
.LBB306_77:                             ;   in Loop: Header=BB306_59 Depth=1
	s_or_b64 exec, exec, s[24:25]
	v_add_u32_e32 v0, 0x400, v47
	v_cmp_gt_u32_e32 vcc, s5, v0
	s_and_saveexec_b64 s[24:25], vcc
	s_cbranch_execz .LBB306_79
; %bb.78:                               ;   in Loop: Header=BB306_59 Depth=1
	ds_read_b32 v0, v21 offset:5120
	s_waitcnt lgkmcnt(0)
	v_cmp_ne_u32_e32 vcc, s27, v0
	s_nop 1
	v_cndmask_b32_e32 v49, v38, v0, vcc
	v_lshrrev_b32_e32 v49, s52, v49
	v_and_b32_e32 v49, s57, v49
	v_lshlrev_b32_e32 v50, 2, v49
	ds_read_b32 v50, v50
	v_cmp_lt_i32_e32 vcc, -1, v0
	ds_write_b32 v48, v49 offset:4
	s_nop 0
	v_cndmask_b32_e64 v51, v38, -1, vcc
	v_xor_b32_e32 v52, v51, v0
	s_waitcnt lgkmcnt(1)
	v_add3_u32 v0, v47, v50, s30
	v_lshl_add_u64 v[50:51], v[0:1], 2, s[42:43]
	global_store_dword v[50:51], v52, off
.LBB306_79:                             ;   in Loop: Header=BB306_59 Depth=1
	s_or_b64 exec, exec, s[24:25]
	v_add_u32_e32 v0, 0x800, v47
	v_cmp_gt_u32_e32 vcc, s5, v0
	s_and_saveexec_b64 s[24:25], vcc
	s_cbranch_execz .LBB306_81
; %bb.80:                               ;   in Loop: Header=BB306_59 Depth=1
	ds_read_b32 v0, v21 offset:9216
	s_waitcnt lgkmcnt(0)
	v_cmp_ne_u32_e32 vcc, s27, v0
	s_nop 1
	v_cndmask_b32_e32 v49, v38, v0, vcc
	v_lshrrev_b32_e32 v49, s52, v49
	v_and_b32_e32 v49, s57, v49
	v_lshlrev_b32_e32 v50, 2, v49
	ds_read_b32 v50, v50
	v_cmp_lt_i32_e32 vcc, -1, v0
	ds_write_b32 v48, v49 offset:8
	s_nop 0
	v_cndmask_b32_e64 v51, v38, -1, vcc
	v_xor_b32_e32 v52, v51, v0
	s_waitcnt lgkmcnt(1)
	v_add3_u32 v0, v47, v50, s31
	v_lshl_add_u64 v[50:51], v[0:1], 2, s[42:43]
	global_store_dword v[50:51], v52, off
.LBB306_81:                             ;   in Loop: Header=BB306_59 Depth=1
	s_or_b64 exec, exec, s[24:25]
	v_add_u32_e32 v0, 0xc00, v47
	v_cmp_gt_u32_e32 vcc, s5, v0
	s_and_saveexec_b64 s[24:25], vcc
	s_cbranch_execz .LBB306_58
; %bb.82:                               ;   in Loop: Header=BB306_59 Depth=1
	ds_read_b32 v0, v21 offset:13312
	s_waitcnt lgkmcnt(0)
	v_cmp_ne_u32_e32 vcc, s27, v0
	s_nop 1
	v_cndmask_b32_e32 v49, v38, v0, vcc
	v_lshrrev_b32_e32 v49, s52, v49
	v_and_b32_e32 v49, s57, v49
	v_lshlrev_b32_e32 v50, 2, v49
	ds_read_b32 v50, v50
	v_cmp_lt_i32_e32 vcc, -1, v0
	ds_write_b32 v48, v49 offset:12
	s_nop 0
	v_cndmask_b32_e64 v51, v38, -1, vcc
	v_xor_b32_e32 v52, v51, v0
	s_waitcnt lgkmcnt(1)
	v_add3_u32 v0, v47, v50, s34
	v_lshl_add_u64 v[50:51], v[0:1], 2, s[42:43]
	global_store_dword v[50:51], v52, off
	s_branch .LBB306_58
.LBB306_83:
	s_add_u32 s0, s44, s54
	s_addc_u32 s1, s45, s55
	v_mov_b32_e32 v11, 0
	v_lshl_add_u64 v[0:1], s[0:1], 0, v[10:11]
	v_mov_b32_e32 v13, v11
	v_lshl_add_u64 v[0:1], v[0:1], 0, v[12:13]
                                        ; implicit-def: $vgpr10
	s_and_saveexec_b64 s[0:1], s[28:29]
	s_cbranch_execz .LBB306_91
; %bb.84:
	global_load_dword v10, v[0:1], off
	s_or_b64 exec, exec, s[0:1]
                                        ; implicit-def: $vgpr11
	s_and_saveexec_b64 s[0:1], s[6:7]
	s_cbranch_execnz .LBB306_92
.LBB306_85:
	s_or_b64 exec, exec, s[0:1]
                                        ; implicit-def: $vgpr12
	s_and_saveexec_b64 s[0:1], s[8:9]
	s_cbranch_execz .LBB306_93
.LBB306_86:
	global_load_dword v12, v[0:1], off offset:512
	s_or_b64 exec, exec, s[0:1]
                                        ; implicit-def: $vgpr13
	s_and_saveexec_b64 s[0:1], s[10:11]
	s_cbranch_execnz .LBB306_94
.LBB306_87:
	s_or_b64 exec, exec, s[0:1]
                                        ; implicit-def: $vgpr14
	s_and_saveexec_b64 s[0:1], s[12:13]
	s_cbranch_execz .LBB306_95
.LBB306_88:
	global_load_dword v14, v[0:1], off offset:1024
	s_or_b64 exec, exec, s[0:1]
                                        ; implicit-def: $vgpr15
	s_and_saveexec_b64 s[0:1], s[14:15]
	s_cbranch_execnz .LBB306_96
.LBB306_89:
	s_or_b64 exec, exec, s[0:1]
                                        ; implicit-def: $vgpr16
	s_and_saveexec_b64 s[0:1], s[16:17]
	s_cbranch_execz .LBB306_97
.LBB306_90:
	global_load_dword v16, v[0:1], off offset:1536
	s_or_b64 exec, exec, s[0:1]
                                        ; implicit-def: $vgpr27
	s_and_saveexec_b64 s[0:1], s[18:19]
	s_cbranch_execnz .LBB306_98
	s_branch .LBB306_99
.LBB306_91:
	s_or_b64 exec, exec, s[0:1]
                                        ; implicit-def: $vgpr11
	s_and_saveexec_b64 s[0:1], s[6:7]
	s_cbranch_execz .LBB306_85
.LBB306_92:
	global_load_dword v11, v[0:1], off offset:256
	s_or_b64 exec, exec, s[0:1]
                                        ; implicit-def: $vgpr12
	s_and_saveexec_b64 s[0:1], s[8:9]
	s_cbranch_execnz .LBB306_86
.LBB306_93:
	s_or_b64 exec, exec, s[0:1]
                                        ; implicit-def: $vgpr13
	s_and_saveexec_b64 s[0:1], s[10:11]
	s_cbranch_execz .LBB306_87
.LBB306_94:
	global_load_dword v13, v[0:1], off offset:768
	s_or_b64 exec, exec, s[0:1]
                                        ; implicit-def: $vgpr14
	s_and_saveexec_b64 s[0:1], s[12:13]
	s_cbranch_execnz .LBB306_88
.LBB306_95:
	s_or_b64 exec, exec, s[0:1]
                                        ; implicit-def: $vgpr15
	s_and_saveexec_b64 s[0:1], s[14:15]
	s_cbranch_execz .LBB306_89
.LBB306_96:
	global_load_dword v15, v[0:1], off offset:1280
	s_or_b64 exec, exec, s[0:1]
                                        ; implicit-def: $vgpr16
	s_and_saveexec_b64 s[0:1], s[16:17]
	s_cbranch_execnz .LBB306_90
.LBB306_97:
	s_or_b64 exec, exec, s[0:1]
                                        ; implicit-def: $vgpr27
	s_and_saveexec_b64 s[0:1], s[18:19]
	s_cbranch_execz .LBB306_99
.LBB306_98:
	global_load_dword v27, v[0:1], off offset:1792
.LBB306_99:
	s_or_b64 exec, exec, s[0:1]
	s_mov_b64 s[0:1], -1
	s_mov_b32 s8, 0
	v_mov_b32_e32 v1, 0
	s_movk_i32 s9, 0x400
	s_movk_i32 s10, 0x800
	s_movk_i32 s11, 0xc00
	v_mov_b32_e32 v31, v8
	s_waitcnt vmcnt(0)
	s_branch .LBB306_101
.LBB306_100:                            ;   in Loop: Header=BB306_101 Depth=1
	s_or_b64 exec, exec, s[6:7]
	s_xor_b64 s[6:7], s[0:1], -1
	v_add_u32_e32 v31, 0x1000, v31
	s_addk_i32 s8, 0xc000
	s_mov_b64 s[0:1], 0
	s_and_b64 vcc, exec, s[6:7]
	v_mov_b32_e32 v37, v25
	s_barrier
	s_cbranch_vccnz .LBB306_125
.LBB306_101:                            ; =>This Inner Loop Header: Depth=1
	v_subrev_co_u32_e32 v2, vcc, 0x1000, v2
	s_and_saveexec_b64 s[6:7], vcc
	s_cbranch_execz .LBB306_109
; %bb.102:                              ;   in Loop: Header=BB306_101 Depth=1
	v_add_u32_e32 v0, s8, v35
	ds_write_b32 v0, v10 offset:1024
	s_or_b64 exec, exec, s[6:7]
	v_subrev_co_u32_e32 v3, vcc, 0x1000, v3
	s_and_saveexec_b64 s[6:7], vcc
	s_cbranch_execnz .LBB306_110
.LBB306_103:                            ;   in Loop: Header=BB306_101 Depth=1
	s_or_b64 exec, exec, s[6:7]
	v_subrev_co_u32_e32 v4, vcc, 0x1000, v4
	s_and_saveexec_b64 s[6:7], vcc
	s_cbranch_execz .LBB306_111
.LBB306_104:                            ;   in Loop: Header=BB306_101 Depth=1
	v_add_u32_e32 v0, s8, v33
	ds_write_b32 v0, v12 offset:1024
	s_or_b64 exec, exec, s[6:7]
	v_subrev_co_u32_e32 v5, vcc, 0x1000, v5
	s_and_saveexec_b64 s[6:7], vcc
	s_cbranch_execnz .LBB306_112
.LBB306_105:                            ;   in Loop: Header=BB306_101 Depth=1
	s_or_b64 exec, exec, s[6:7]
	v_subrev_co_u32_e32 v17, vcc, 0x1000, v17
	s_and_saveexec_b64 s[6:7], vcc
	s_cbranch_execz .LBB306_113
.LBB306_106:                            ;   in Loop: Header=BB306_101 Depth=1
	v_add_u32_e32 v0, s8, v30
	ds_write_b32 v0, v14 offset:1024
	s_or_b64 exec, exec, s[6:7]
	v_subrev_co_u32_e32 v22, vcc, 0x1000, v22
	s_and_saveexec_b64 s[6:7], vcc
	s_cbranch_execnz .LBB306_114
.LBB306_107:                            ;   in Loop: Header=BB306_101 Depth=1
	s_or_b64 exec, exec, s[6:7]
	v_subrev_co_u32_e32 v23, vcc, 0x1000, v23
	s_and_saveexec_b64 s[6:7], vcc
	s_cbranch_execz .LBB306_115
.LBB306_108:                            ;   in Loop: Header=BB306_101 Depth=1
	v_add_u32_e32 v0, s8, v28
	ds_write_b32 v0, v16 offset:1024
	s_or_b64 exec, exec, s[6:7]
	v_subrev_co_u32_e32 v24, vcc, 0x1000, v24
	s_and_saveexec_b64 s[6:7], vcc
	s_cbranch_execnz .LBB306_116
	s_branch .LBB306_117
.LBB306_109:                            ;   in Loop: Header=BB306_101 Depth=1
	s_or_b64 exec, exec, s[6:7]
	v_subrev_co_u32_e32 v3, vcc, 0x1000, v3
	s_and_saveexec_b64 s[6:7], vcc
	s_cbranch_execz .LBB306_103
.LBB306_110:                            ;   in Loop: Header=BB306_101 Depth=1
	v_add_u32_e32 v0, s8, v34
	ds_write_b32 v0, v11 offset:1024
	s_or_b64 exec, exec, s[6:7]
	v_subrev_co_u32_e32 v4, vcc, 0x1000, v4
	s_and_saveexec_b64 s[6:7], vcc
	s_cbranch_execnz .LBB306_104
.LBB306_111:                            ;   in Loop: Header=BB306_101 Depth=1
	s_or_b64 exec, exec, s[6:7]
	v_subrev_co_u32_e32 v5, vcc, 0x1000, v5
	s_and_saveexec_b64 s[6:7], vcc
	s_cbranch_execz .LBB306_105
.LBB306_112:                            ;   in Loop: Header=BB306_101 Depth=1
	v_add_u32_e32 v0, s8, v32
	ds_write_b32 v0, v13 offset:1024
	s_or_b64 exec, exec, s[6:7]
	v_subrev_co_u32_e32 v17, vcc, 0x1000, v17
	s_and_saveexec_b64 s[6:7], vcc
	s_cbranch_execnz .LBB306_106
.LBB306_113:                            ;   in Loop: Header=BB306_101 Depth=1
	s_or_b64 exec, exec, s[6:7]
	v_subrev_co_u32_e32 v22, vcc, 0x1000, v22
	s_and_saveexec_b64 s[6:7], vcc
	s_cbranch_execz .LBB306_107
.LBB306_114:                            ;   in Loop: Header=BB306_101 Depth=1
	v_add_u32_e32 v0, s8, v29
	ds_write_b32 v0, v15 offset:1024
	s_or_b64 exec, exec, s[6:7]
	v_subrev_co_u32_e32 v23, vcc, 0x1000, v23
	s_and_saveexec_b64 s[6:7], vcc
	s_cbranch_execnz .LBB306_108
.LBB306_115:                            ;   in Loop: Header=BB306_101 Depth=1
	s_or_b64 exec, exec, s[6:7]
	v_subrev_co_u32_e32 v24, vcc, 0x1000, v24
	s_and_saveexec_b64 s[6:7], vcc
.LBB306_116:                            ;   in Loop: Header=BB306_101 Depth=1
	v_add_u32_e32 v0, s8, v26
	ds_write_b32 v0, v27 offset:1024
.LBB306_117:                            ;   in Loop: Header=BB306_101 Depth=1
	s_or_b64 exec, exec, s[6:7]
	v_cmp_gt_u32_e32 vcc, s5, v31
	s_waitcnt lgkmcnt(0)
	s_barrier
	s_and_saveexec_b64 s[6:7], vcc
	s_cbranch_execz .LBB306_119
; %bb.118:                              ;   in Loop: Header=BB306_101 Depth=1
	ds_read_b32 v0, v37
	s_waitcnt lgkmcnt(0)
	v_lshlrev_b32_e32 v0, 2, v0
	ds_read_b32 v0, v0
	ds_read_b32 v36, v21 offset:1024
	s_waitcnt lgkmcnt(1)
	v_add_u32_e32 v0, v31, v0
	v_lshl_add_u64 v[38:39], v[0:1], 2, s[46:47]
	s_waitcnt lgkmcnt(0)
	global_store_dword v[38:39], v36, off
.LBB306_119:                            ;   in Loop: Header=BB306_101 Depth=1
	s_or_b64 exec, exec, s[6:7]
	v_add_u32_e32 v0, 0x400, v31
	v_cmp_gt_u32_e32 vcc, s5, v0
	s_and_saveexec_b64 s[6:7], vcc
	s_cbranch_execz .LBB306_121
; %bb.120:                              ;   in Loop: Header=BB306_101 Depth=1
	ds_read_b32 v0, v37 offset:4
	s_waitcnt lgkmcnt(0)
	v_lshlrev_b32_e32 v0, 2, v0
	ds_read_b32 v0, v0
	ds_read_b32 v36, v21 offset:5120
	s_waitcnt lgkmcnt(1)
	v_add3_u32 v0, v31, v0, s9
	v_lshl_add_u64 v[38:39], v[0:1], 2, s[46:47]
	s_waitcnt lgkmcnt(0)
	global_store_dword v[38:39], v36, off
.LBB306_121:                            ;   in Loop: Header=BB306_101 Depth=1
	s_or_b64 exec, exec, s[6:7]
	v_add_u32_e32 v0, 0x800, v31
	v_cmp_gt_u32_e32 vcc, s5, v0
	s_and_saveexec_b64 s[6:7], vcc
	s_cbranch_execz .LBB306_123
; %bb.122:                              ;   in Loop: Header=BB306_101 Depth=1
	ds_read_b32 v0, v37 offset:8
	s_waitcnt lgkmcnt(0)
	v_lshlrev_b32_e32 v0, 2, v0
	ds_read_b32 v0, v0
	ds_read_b32 v36, v21 offset:9216
	s_waitcnt lgkmcnt(1)
	v_add3_u32 v0, v31, v0, s10
	v_lshl_add_u64 v[38:39], v[0:1], 2, s[46:47]
	s_waitcnt lgkmcnt(0)
	global_store_dword v[38:39], v36, off
.LBB306_123:                            ;   in Loop: Header=BB306_101 Depth=1
	s_or_b64 exec, exec, s[6:7]
	v_add_u32_e32 v0, 0xc00, v31
	v_cmp_gt_u32_e32 vcc, s5, v0
	s_and_saveexec_b64 s[6:7], vcc
	s_cbranch_execz .LBB306_100
; %bb.124:                              ;   in Loop: Header=BB306_101 Depth=1
	ds_read_b32 v0, v37 offset:12
	s_waitcnt lgkmcnt(0)
	v_lshlrev_b32_e32 v0, 2, v0
	ds_read_b32 v0, v0
	ds_read_b32 v38, v21 offset:13312
	s_waitcnt lgkmcnt(1)
	v_add3_u32 v0, v31, v0, s11
	v_lshl_add_u64 v[36:37], v[0:1], 2, s[46:47]
	s_waitcnt lgkmcnt(0)
	global_store_dword v[36:37], v38, off
	s_branch .LBB306_100
.LBB306_125:
	s_add_i32 s56, s56, -1
	s_cmp_eq_u32 s33, s56
	s_cselect_b64 s[0:1], -1, 0
	s_xor_b64 s[6:7], s[22:23], -1
	s_and_b64 s[6:7], s[6:7], s[0:1]
	s_and_saveexec_b64 s[0:1], s[6:7]
	s_cbranch_execz .LBB306_127
; %bb.126:
	ds_read_b32 v0, v21
	s_waitcnt lgkmcnt(0)
	v_add3_u32 v0, v6, v7, v0
	global_store_dword v21, v0, s[50:51]
.LBB306_127:
	s_or_b64 exec, exec, s[0:1]
	s_mov_b64 s[6:7], 0
.LBB306_128:
	s_and_b64 vcc, exec, s[6:7]
	s_cbranch_vccz .LBB306_203
; %bb.129:
	s_lshl_b32 s0, s33, 13
	s_mov_b32 s1, 0
	s_lshl_b64 s[8:9], s[0:1], 2
	v_mbcnt_hi_u32_b32 v10, -1, v20
	s_add_u32 s0, s40, s8
	v_and_b32_e32 v0, 63, v10
	v_mov_b32_e32 v5, 0
	s_addc_u32 s1, s41, s9
	v_lshlrev_b32_e32 v0, 2, v0
	v_mov_b32_e32 v1, v5
	v_lshl_add_u64 v[6:7], s[0:1], 0, v[0:1]
	s_load_dword s12, s[2:3], 0x58
	s_load_dword s0, s[2:3], 0x64
	v_and_b32_e32 v2, 0x1e00, v19
	v_lshlrev_b32_e32 v2, 2, v2
	v_mov_b32_e32 v3, v5
	v_lshl_add_u64 v[6:7], v[6:7], 0, v[2:3]
	global_load_dword v1, v[6:7], off
	s_add_u32 s1, s2, 0x58
	s_addc_u32 s2, s3, 0
	s_waitcnt lgkmcnt(0)
	s_lshr_b32 s3, s0, 16
	s_cmp_lt_u32 s4, s12
	s_cselect_b32 s0, 12, 18
	s_add_u32 s0, s1, s0
	s_addc_u32 s1, s2, 0
	global_load_ushort v4, v5, s[0:1]
	v_mul_u32_u24_e32 v11, 20, v8
	ds_write2_b32 v11, v5, v5 offset0:16 offset1:17
	ds_write2_b32 v11, v5, v5 offset0:18 offset1:19
	ds_write_b32 v11, v5 offset:80
	global_load_dword v3, v[6:7], off offset:256
	global_load_dword v20, v[6:7], off offset:512
	;; [unrolled: 1-line block ×7, first 2 shown]
	v_bfrev_b32_e32 v13, 1
	s_brev_b32 s10, -2
	v_mad_u32_u24 v6, v18, s3, v9
	s_lshl_b32 s2, -1, s53
	s_movk_i32 s11, 0x44
	v_mov_b32_e32 v28, v5
	v_mov_b32_e32 v30, v5
	;; [unrolled: 1-line block ×3, first 2 shown]
	s_not_b32 s13, s2
	v_mov_b32_e32 v34, v5
	s_waitcnt lgkmcnt(0)
	s_barrier
	s_waitcnt vmcnt(8)
	; wave barrier
	v_cmp_lt_i32_e32 vcc, -1, v1
	s_nop 1
	v_cndmask_b32_e32 v7, -1, v13, vcc
	v_xor_b32_e32 v1, v7, v1
	v_cmp_ne_u32_e32 vcc, s10, v1
	s_nop 1
	v_cndmask_b32_e32 v7, v13, v1, vcc
	v_lshrrev_b32_e32 v9, s52, v7
	s_waitcnt vmcnt(7)
	v_mad_u64_u32 v[6:7], s[0:1], v6, v4, v[8:9]
	v_bitop3_b32 v9, v9, s2, v9 bitop3:0x30
	v_lshrrev_b32_e32 v24, 6, v6
	v_mul_lo_u32 v6, v9, s11
	v_and_b32_e32 v4, 1, v9
	v_lshlrev_b32_e32 v29, 30, v9
	v_lshlrev_b32_e32 v31, 29, v9
	v_lshl_add_u32 v15, v24, 2, v6
	v_lshl_add_u64 v[6:7], v[4:5], 0, -1
	v_cmp_ne_u32_e32 vcc, 0, v4
	v_not_b32_e32 v4, v29
	v_lshlrev_b32_e32 v33, 28, v9
	v_cmp_gt_i64_e64 s[0:1], 0, v[28:29]
	v_not_b32_e32 v12, v31
	v_xor_b32_e32 v7, vcc_hi, v7
	v_xor_b32_e32 v6, vcc_lo, v6
	v_ashrrev_i32_e32 v4, 31, v4
	v_lshlrev_b32_e32 v35, 27, v9
	v_cmp_gt_i64_e64 s[2:3], 0, v[30:31]
	v_not_b32_e32 v16, v33
	v_ashrrev_i32_e32 v12, 31, v12
	v_and_b32_e32 v7, exec_hi, v7
	v_and_b32_e32 v6, exec_lo, v6
	v_xor_b32_e32 v19, s1, v4
	v_xor_b32_e32 v4, s0, v4
	v_cmp_gt_i64_e64 s[4:5], 0, v[32:33]
	v_not_b32_e32 v18, v35
	v_ashrrev_i32_e32 v16, 31, v16
	v_xor_b32_e32 v22, s3, v12
	v_xor_b32_e32 v12, s2, v12
	v_and_b32_e32 v7, v7, v19
	v_and_b32_e32 v4, v6, v4
	v_cmp_gt_i64_e64 s[6:7], 0, v[34:35]
	v_ashrrev_i32_e32 v18, 31, v18
	v_xor_b32_e32 v25, s5, v16
	v_xor_b32_e32 v16, s4, v16
	v_and_b32_e32 v6, v7, v22
	v_and_b32_e32 v4, v4, v12
	v_xor_b32_e32 v26, s7, v18
	v_and_b32_e32 v6, v6, v25
	v_and_b32_e32 v4, v4, v16
	;; [unrolled: 3-line block ×3, first 2 shown]
	v_lshlrev_b32_e32 v7, 26, v9
	v_mov_b32_e32 v6, v5
	v_cmp_gt_i64_e32 vcc, 0, v[6:7]
	v_not_b32_e32 v6, v7
	v_ashrrev_i32_e32 v6, 31, v6
	v_xor_b32_e32 v7, vcc_hi, v6
	v_xor_b32_e32 v6, vcc_lo, v6
	v_and_b32_e32 v12, v12, v7
	v_and_b32_e32 v4, v4, v6
	v_lshlrev_b32_e32 v7, 25, v9
	v_mov_b32_e32 v6, v5
	v_cmp_gt_i64_e32 vcc, 0, v[6:7]
	v_not_b32_e32 v6, v7
	v_ashrrev_i32_e32 v6, 31, v6
	v_xor_b32_e32 v7, vcc_hi, v6
	v_xor_b32_e32 v6, vcc_lo, v6
	v_and_b32_e32 v12, v12, v7
	v_and_b32_e32 v4, v4, v6
	;; [unrolled: 9-line block ×3, first 2 shown]
	v_mbcnt_lo_u32_b32 v4, v6, 0
	v_mbcnt_hi_u32_b32 v12, v7, v4
	v_cmp_eq_u32_e32 vcc, 0, v12
	v_cmp_ne_u64_e64 s[0:1], 0, v[6:7]
	s_and_b64 s[2:3], s[0:1], vcc
	s_and_saveexec_b64 s[0:1], s[2:3]
; %bb.130:
	v_bcnt_u32_b32 v4, v6, 0
	v_bcnt_u32_b32 v4, v7, v4
	ds_write_b32 v15, v4 offset:64
; %bb.131:
	s_or_b64 exec, exec, s[0:1]
	s_waitcnt vmcnt(6)
	v_cmp_lt_i32_e32 vcc, -1, v3
	; wave barrier
	s_nop 1
	v_cndmask_b32_e32 v4, -1, v13, vcc
	v_xor_b32_e32 v3, v4, v3
	v_cmp_ne_u32_e32 vcc, s10, v3
	s_nop 1
	v_cndmask_b32_e32 v4, v13, v3, vcc
	v_lshrrev_b32_e32 v4, s52, v4
	v_and_b32_e32 v9, s13, v4
	v_mul_lo_u32 v4, v9, s11
	v_lshl_add_u32 v19, v24, 2, v4
	v_and_b32_e32 v4, 1, v9
	v_lshl_add_u64 v[6:7], v[4:5], 0, -1
	v_cmp_ne_u32_e32 vcc, 0, v4
	ds_read_b32 v13, v19 offset:64
	s_nop 0
	v_xor_b32_e32 v6, vcc_lo, v6
	v_xor_b32_e32 v4, vcc_hi, v7
	v_and_b32_e32 v16, exec_lo, v6
	v_lshlrev_b32_e32 v7, 30, v9
	v_mov_b32_e32 v6, v5
	v_cmp_gt_i64_e32 vcc, 0, v[6:7]
	v_not_b32_e32 v6, v7
	v_ashrrev_i32_e32 v6, 31, v6
	v_and_b32_e32 v4, exec_hi, v4
	v_xor_b32_e32 v7, vcc_hi, v6
	v_xor_b32_e32 v6, vcc_lo, v6
	v_and_b32_e32 v4, v4, v7
	v_and_b32_e32 v16, v16, v6
	v_lshlrev_b32_e32 v7, 29, v9
	v_mov_b32_e32 v6, v5
	v_cmp_gt_i64_e32 vcc, 0, v[6:7]
	v_not_b32_e32 v6, v7
	v_ashrrev_i32_e32 v6, 31, v6
	v_xor_b32_e32 v7, vcc_hi, v6
	v_xor_b32_e32 v6, vcc_lo, v6
	v_and_b32_e32 v4, v4, v7
	v_and_b32_e32 v16, v16, v6
	v_lshlrev_b32_e32 v7, 28, v9
	v_mov_b32_e32 v6, v5
	v_cmp_gt_i64_e32 vcc, 0, v[6:7]
	v_not_b32_e32 v6, v7
	v_ashrrev_i32_e32 v6, 31, v6
	;; [unrolled: 9-line block ×5, first 2 shown]
	v_xor_b32_e32 v7, vcc_hi, v6
	v_xor_b32_e32 v6, vcc_lo, v6
	v_and_b32_e32 v4, v4, v7
	v_lshlrev_b32_e32 v7, 24, v9
	v_and_b32_e32 v16, v16, v6
	v_mov_b32_e32 v6, v5
	v_not_b32_e32 v5, v7
	v_cmp_gt_i64_e32 vcc, 0, v[6:7]
	v_ashrrev_i32_e32 v5, 31, v5
	; wave barrier
	s_nop 0
	v_xor_b32_e32 v6, vcc_hi, v5
	v_xor_b32_e32 v7, vcc_lo, v5
	v_and_b32_e32 v5, v4, v6
	v_and_b32_e32 v4, v16, v7
	v_mbcnt_lo_u32_b32 v6, v4, 0
	v_mbcnt_hi_u32_b32 v16, v5, v6
	v_cmp_eq_u32_e32 vcc, 0, v16
	v_cmp_ne_u64_e64 s[0:1], 0, v[4:5]
	s_and_b64 s[2:3], s[0:1], vcc
	s_and_saveexec_b64 s[0:1], s[2:3]
	s_cbranch_execz .LBB306_133
; %bb.132:
	v_bcnt_u32_b32 v4, v4, 0
	v_bcnt_u32_b32 v4, v5, v4
	s_waitcnt lgkmcnt(0)
	v_add_u32_e32 v4, v13, v4
	ds_write_b32 v19, v4 offset:64
.LBB306_133:
	s_or_b64 exec, exec, s[0:1]
	v_bfrev_b32_e32 v22, 1
	s_waitcnt vmcnt(5)
	v_cmp_lt_i32_e32 vcc, -1, v20
	s_brev_b32 s2, -2
	s_movk_i32 s3, 0x44
	v_cndmask_b32_e32 v4, -1, v22, vcc
	v_xor_b32_e32 v9, v4, v20
	v_cmp_ne_u32_e32 vcc, s2, v9
	v_mov_b32_e32 v5, 0
	s_nop 0
	v_cndmask_b32_e32 v4, v22, v9, vcc
	v_lshrrev_b32_e32 v4, s52, v4
	v_and_b32_e32 v20, s13, v4
	v_mul_lo_u32 v4, v20, s3
	v_lshl_add_u32 v25, v24, 2, v4
	v_and_b32_e32 v4, 1, v20
	v_lshl_add_u64 v[6:7], v[4:5], 0, -1
	v_cmp_ne_u32_e32 vcc, 0, v4
	; wave barrier
	ds_read_b32 v18, v25 offset:64
	s_nop 0
	v_xor_b32_e32 v6, vcc_lo, v6
	v_xor_b32_e32 v4, vcc_hi, v7
	v_and_b32_e32 v26, exec_lo, v6
	v_lshlrev_b32_e32 v7, 30, v20
	v_mov_b32_e32 v6, v5
	v_cmp_gt_i64_e32 vcc, 0, v[6:7]
	v_not_b32_e32 v6, v7
	v_ashrrev_i32_e32 v6, 31, v6
	v_and_b32_e32 v4, exec_hi, v4
	v_xor_b32_e32 v7, vcc_hi, v6
	v_xor_b32_e32 v6, vcc_lo, v6
	v_and_b32_e32 v4, v4, v7
	v_and_b32_e32 v26, v26, v6
	v_lshlrev_b32_e32 v7, 29, v20
	v_mov_b32_e32 v6, v5
	v_cmp_gt_i64_e32 vcc, 0, v[6:7]
	v_not_b32_e32 v6, v7
	v_ashrrev_i32_e32 v6, 31, v6
	v_xor_b32_e32 v7, vcc_hi, v6
	v_xor_b32_e32 v6, vcc_lo, v6
	v_and_b32_e32 v4, v4, v7
	v_and_b32_e32 v26, v26, v6
	v_lshlrev_b32_e32 v7, 28, v20
	v_mov_b32_e32 v6, v5
	v_cmp_gt_i64_e32 vcc, 0, v[6:7]
	v_not_b32_e32 v6, v7
	v_ashrrev_i32_e32 v6, 31, v6
	;; [unrolled: 9-line block ×6, first 2 shown]
	v_xor_b32_e32 v7, vcc_hi, v6
	v_xor_b32_e32 v6, vcc_lo, v6
	v_and_b32_e32 v6, v26, v6
	v_and_b32_e32 v7, v4, v7
	v_mbcnt_lo_u32_b32 v4, v6, 0
	v_mbcnt_hi_u32_b32 v20, v7, v4
	v_cmp_eq_u32_e32 vcc, 0, v20
	v_cmp_ne_u64_e64 s[0:1], 0, v[6:7]
	s_and_b64 s[4:5], s[0:1], vcc
	; wave barrier
	s_and_saveexec_b64 s[0:1], s[4:5]
	s_cbranch_execz .LBB306_135
; %bb.134:
	v_bcnt_u32_b32 v4, v6, 0
	v_bcnt_u32_b32 v4, v7, v4
	s_waitcnt lgkmcnt(0)
	v_add_u32_e32 v4, v18, v4
	ds_write_b32 v25, v4 offset:64
.LBB306_135:
	s_or_b64 exec, exec, s[0:1]
	s_waitcnt vmcnt(4)
	v_cmp_lt_i32_e32 vcc, -1, v14
	; wave barrier
	s_nop 1
	v_cndmask_b32_e32 v4, -1, v22, vcc
	v_xor_b32_e32 v14, v4, v14
	v_cmp_ne_u32_e32 vcc, s2, v14
	s_nop 1
	v_cndmask_b32_e32 v4, v22, v14, vcc
	v_lshrrev_b32_e32 v4, s52, v4
	v_and_b32_e32 v26, s13, v4
	v_mul_lo_u32 v4, v26, s3
	v_lshl_add_u32 v29, v24, 2, v4
	v_and_b32_e32 v4, 1, v26
	v_lshl_add_u64 v[6:7], v[4:5], 0, -1
	v_cmp_ne_u32_e32 vcc, 0, v4
	ds_read_b32 v22, v29 offset:64
	s_nop 0
	v_xor_b32_e32 v6, vcc_lo, v6
	v_xor_b32_e32 v4, vcc_hi, v7
	v_and_b32_e32 v28, exec_lo, v6
	v_lshlrev_b32_e32 v7, 30, v26
	v_mov_b32_e32 v6, v5
	v_cmp_gt_i64_e32 vcc, 0, v[6:7]
	v_not_b32_e32 v6, v7
	v_ashrrev_i32_e32 v6, 31, v6
	v_and_b32_e32 v4, exec_hi, v4
	v_xor_b32_e32 v7, vcc_hi, v6
	v_xor_b32_e32 v6, vcc_lo, v6
	v_and_b32_e32 v4, v4, v7
	v_and_b32_e32 v28, v28, v6
	v_lshlrev_b32_e32 v7, 29, v26
	v_mov_b32_e32 v6, v5
	v_cmp_gt_i64_e32 vcc, 0, v[6:7]
	v_not_b32_e32 v6, v7
	v_ashrrev_i32_e32 v6, 31, v6
	v_xor_b32_e32 v7, vcc_hi, v6
	v_xor_b32_e32 v6, vcc_lo, v6
	v_and_b32_e32 v4, v4, v7
	v_and_b32_e32 v28, v28, v6
	v_lshlrev_b32_e32 v7, 28, v26
	v_mov_b32_e32 v6, v5
	v_cmp_gt_i64_e32 vcc, 0, v[6:7]
	v_not_b32_e32 v6, v7
	v_ashrrev_i32_e32 v6, 31, v6
	;; [unrolled: 9-line block ×5, first 2 shown]
	v_xor_b32_e32 v7, vcc_hi, v6
	v_xor_b32_e32 v6, vcc_lo, v6
	v_and_b32_e32 v4, v4, v7
	v_lshlrev_b32_e32 v7, 24, v26
	v_and_b32_e32 v28, v28, v6
	v_mov_b32_e32 v6, v5
	v_not_b32_e32 v5, v7
	v_cmp_gt_i64_e32 vcc, 0, v[6:7]
	v_ashrrev_i32_e32 v5, 31, v5
	; wave barrier
	s_nop 0
	v_xor_b32_e32 v6, vcc_hi, v5
	v_xor_b32_e32 v7, vcc_lo, v5
	v_and_b32_e32 v5, v4, v6
	v_and_b32_e32 v4, v28, v7
	v_mbcnt_lo_u32_b32 v6, v4, 0
	v_mbcnt_hi_u32_b32 v26, v5, v6
	v_cmp_eq_u32_e32 vcc, 0, v26
	v_cmp_ne_u64_e64 s[0:1], 0, v[4:5]
	s_and_b64 s[2:3], s[0:1], vcc
	s_and_saveexec_b64 s[0:1], s[2:3]
	s_cbranch_execz .LBB306_137
; %bb.136:
	v_bcnt_u32_b32 v4, v4, 0
	v_bcnt_u32_b32 v4, v5, v4
	s_waitcnt lgkmcnt(0)
	v_add_u32_e32 v4, v22, v4
	ds_write_b32 v29, v4 offset:64
.LBB306_137:
	s_or_b64 exec, exec, s[0:1]
	v_bfrev_b32_e32 v31, 1
	s_waitcnt vmcnt(3)
	v_cmp_lt_i32_e32 vcc, -1, v17
	s_brev_b32 s2, -2
	s_movk_i32 s3, 0x44
	v_cndmask_b32_e32 v4, -1, v31, vcc
	v_xor_b32_e32 v17, v4, v17
	v_cmp_ne_u32_e32 vcc, s2, v17
	v_mov_b32_e32 v5, 0
	s_nop 0
	v_cndmask_b32_e32 v4, v31, v17, vcc
	v_lshrrev_b32_e32 v4, s52, v4
	v_and_b32_e32 v30, s13, v4
	v_mul_lo_u32 v4, v30, s3
	v_lshl_add_u32 v33, v24, 2, v4
	v_and_b32_e32 v4, 1, v30
	v_lshl_add_u64 v[6:7], v[4:5], 0, -1
	v_cmp_ne_u32_e32 vcc, 0, v4
	; wave barrier
	ds_read_b32 v28, v33 offset:64
	s_nop 0
	v_xor_b32_e32 v6, vcc_lo, v6
	v_xor_b32_e32 v4, vcc_hi, v7
	v_and_b32_e32 v32, exec_lo, v6
	v_lshlrev_b32_e32 v7, 30, v30
	v_mov_b32_e32 v6, v5
	v_cmp_gt_i64_e32 vcc, 0, v[6:7]
	v_not_b32_e32 v6, v7
	v_ashrrev_i32_e32 v6, 31, v6
	v_and_b32_e32 v4, exec_hi, v4
	v_xor_b32_e32 v7, vcc_hi, v6
	v_xor_b32_e32 v6, vcc_lo, v6
	v_and_b32_e32 v4, v4, v7
	v_and_b32_e32 v32, v32, v6
	v_lshlrev_b32_e32 v7, 29, v30
	v_mov_b32_e32 v6, v5
	v_cmp_gt_i64_e32 vcc, 0, v[6:7]
	v_not_b32_e32 v6, v7
	v_ashrrev_i32_e32 v6, 31, v6
	v_xor_b32_e32 v7, vcc_hi, v6
	v_xor_b32_e32 v6, vcc_lo, v6
	v_and_b32_e32 v4, v4, v7
	v_and_b32_e32 v32, v32, v6
	v_lshlrev_b32_e32 v7, 28, v30
	v_mov_b32_e32 v6, v5
	v_cmp_gt_i64_e32 vcc, 0, v[6:7]
	v_not_b32_e32 v6, v7
	v_ashrrev_i32_e32 v6, 31, v6
	;; [unrolled: 9-line block ×6, first 2 shown]
	v_xor_b32_e32 v7, vcc_hi, v6
	v_xor_b32_e32 v6, vcc_lo, v6
	v_and_b32_e32 v6, v32, v6
	v_and_b32_e32 v7, v4, v7
	v_mbcnt_lo_u32_b32 v4, v6, 0
	v_mbcnt_hi_u32_b32 v30, v7, v4
	v_cmp_eq_u32_e32 vcc, 0, v30
	v_cmp_ne_u64_e64 s[0:1], 0, v[6:7]
	s_and_b64 s[4:5], s[0:1], vcc
	; wave barrier
	s_and_saveexec_b64 s[0:1], s[4:5]
	s_cbranch_execz .LBB306_139
; %bb.138:
	v_bcnt_u32_b32 v4, v6, 0
	v_bcnt_u32_b32 v4, v7, v4
	s_waitcnt lgkmcnt(0)
	v_add_u32_e32 v4, v28, v4
	ds_write_b32 v33, v4 offset:64
.LBB306_139:
	s_or_b64 exec, exec, s[0:1]
	s_waitcnt vmcnt(2)
	v_cmp_lt_i32_e32 vcc, -1, v21
	; wave barrier
	s_nop 1
	v_cndmask_b32_e32 v4, -1, v31, vcc
	v_xor_b32_e32 v21, v4, v21
	v_cmp_ne_u32_e32 vcc, s2, v21
	s_nop 1
	v_cndmask_b32_e32 v4, v31, v21, vcc
	v_lshrrev_b32_e32 v4, s52, v4
	v_and_b32_e32 v31, s13, v4
	v_mul_lo_u32 v4, v31, s3
	v_lshl_add_u32 v36, v24, 2, v4
	v_and_b32_e32 v4, 1, v31
	v_lshl_add_u64 v[6:7], v[4:5], 0, -1
	v_cmp_ne_u32_e32 vcc, 0, v4
	ds_read_b32 v32, v36 offset:64
	s_nop 0
	v_xor_b32_e32 v6, vcc_lo, v6
	v_xor_b32_e32 v4, vcc_hi, v7
	v_and_b32_e32 v34, exec_lo, v6
	v_lshlrev_b32_e32 v7, 30, v31
	v_mov_b32_e32 v6, v5
	v_cmp_gt_i64_e32 vcc, 0, v[6:7]
	v_not_b32_e32 v6, v7
	v_ashrrev_i32_e32 v6, 31, v6
	v_and_b32_e32 v4, exec_hi, v4
	v_xor_b32_e32 v7, vcc_hi, v6
	v_xor_b32_e32 v6, vcc_lo, v6
	v_and_b32_e32 v4, v4, v7
	v_and_b32_e32 v34, v34, v6
	v_lshlrev_b32_e32 v7, 29, v31
	v_mov_b32_e32 v6, v5
	v_cmp_gt_i64_e32 vcc, 0, v[6:7]
	v_not_b32_e32 v6, v7
	v_ashrrev_i32_e32 v6, 31, v6
	v_xor_b32_e32 v7, vcc_hi, v6
	v_xor_b32_e32 v6, vcc_lo, v6
	v_and_b32_e32 v4, v4, v7
	v_and_b32_e32 v34, v34, v6
	v_lshlrev_b32_e32 v7, 28, v31
	v_mov_b32_e32 v6, v5
	v_cmp_gt_i64_e32 vcc, 0, v[6:7]
	v_not_b32_e32 v6, v7
	v_ashrrev_i32_e32 v6, 31, v6
	;; [unrolled: 9-line block ×5, first 2 shown]
	v_xor_b32_e32 v7, vcc_hi, v6
	v_xor_b32_e32 v6, vcc_lo, v6
	v_and_b32_e32 v4, v4, v7
	v_lshlrev_b32_e32 v7, 24, v31
	v_and_b32_e32 v34, v34, v6
	v_mov_b32_e32 v6, v5
	v_not_b32_e32 v5, v7
	v_cmp_gt_i64_e32 vcc, 0, v[6:7]
	v_ashrrev_i32_e32 v5, 31, v5
	; wave barrier
	s_nop 0
	v_xor_b32_e32 v6, vcc_hi, v5
	v_xor_b32_e32 v7, vcc_lo, v5
	v_and_b32_e32 v5, v4, v6
	v_and_b32_e32 v4, v34, v7
	v_mbcnt_lo_u32_b32 v6, v4, 0
	v_mbcnt_hi_u32_b32 v34, v5, v6
	v_cmp_eq_u32_e32 vcc, 0, v34
	v_cmp_ne_u64_e64 s[0:1], 0, v[4:5]
	s_and_b64 s[2:3], s[0:1], vcc
	s_and_saveexec_b64 s[0:1], s[2:3]
	s_cbranch_execz .LBB306_141
; %bb.140:
	v_bcnt_u32_b32 v4, v4, 0
	v_bcnt_u32_b32 v4, v5, v4
	s_waitcnt lgkmcnt(0)
	v_add_u32_e32 v4, v32, v4
	ds_write_b32 v36, v4 offset:64
.LBB306_141:
	s_or_b64 exec, exec, s[0:1]
	v_bfrev_b32_e32 v39, 1
	s_waitcnt vmcnt(1)
	v_cmp_lt_i32_e32 vcc, -1, v27
	s_brev_b32 s2, -2
	s_movk_i32 s3, 0x44
	v_cndmask_b32_e32 v4, -1, v39, vcc
	v_xor_b32_e32 v27, v4, v27
	v_cmp_ne_u32_e32 vcc, s2, v27
	v_mov_b32_e32 v5, 0
	s_nop 0
	v_cndmask_b32_e32 v4, v39, v27, vcc
	v_lshrrev_b32_e32 v4, s52, v4
	v_and_b32_e32 v31, s13, v4
	v_mul_lo_u32 v4, v31, s3
	v_lshl_add_u32 v38, v24, 2, v4
	v_and_b32_e32 v4, 1, v31
	v_lshl_add_u64 v[6:7], v[4:5], 0, -1
	v_cmp_ne_u32_e32 vcc, 0, v4
	; wave barrier
	ds_read_b32 v35, v38 offset:64
	s_nop 0
	v_xor_b32_e32 v6, vcc_lo, v6
	v_xor_b32_e32 v4, vcc_hi, v7
	v_and_b32_e32 v37, exec_lo, v6
	v_lshlrev_b32_e32 v7, 30, v31
	v_mov_b32_e32 v6, v5
	v_cmp_gt_i64_e32 vcc, 0, v[6:7]
	v_not_b32_e32 v6, v7
	v_ashrrev_i32_e32 v6, 31, v6
	v_and_b32_e32 v4, exec_hi, v4
	v_xor_b32_e32 v7, vcc_hi, v6
	v_xor_b32_e32 v6, vcc_lo, v6
	v_and_b32_e32 v4, v4, v7
	v_and_b32_e32 v37, v37, v6
	v_lshlrev_b32_e32 v7, 29, v31
	v_mov_b32_e32 v6, v5
	v_cmp_gt_i64_e32 vcc, 0, v[6:7]
	v_not_b32_e32 v6, v7
	v_ashrrev_i32_e32 v6, 31, v6
	v_xor_b32_e32 v7, vcc_hi, v6
	v_xor_b32_e32 v6, vcc_lo, v6
	v_and_b32_e32 v4, v4, v7
	v_and_b32_e32 v37, v37, v6
	v_lshlrev_b32_e32 v7, 28, v31
	v_mov_b32_e32 v6, v5
	v_cmp_gt_i64_e32 vcc, 0, v[6:7]
	v_not_b32_e32 v6, v7
	v_ashrrev_i32_e32 v6, 31, v6
	;; [unrolled: 9-line block ×6, first 2 shown]
	v_xor_b32_e32 v7, vcc_hi, v6
	v_xor_b32_e32 v6, vcc_lo, v6
	v_and_b32_e32 v6, v37, v6
	v_and_b32_e32 v7, v4, v7
	v_mbcnt_lo_u32_b32 v4, v6, 0
	v_mbcnt_hi_u32_b32 v37, v7, v4
	v_cmp_eq_u32_e32 vcc, 0, v37
	v_cmp_ne_u64_e64 s[0:1], 0, v[6:7]
	s_and_b64 s[4:5], s[0:1], vcc
	; wave barrier
	s_and_saveexec_b64 s[0:1], s[4:5]
	s_cbranch_execz .LBB306_143
; %bb.142:
	v_bcnt_u32_b32 v4, v6, 0
	v_bcnt_u32_b32 v4, v7, v4
	s_waitcnt lgkmcnt(0)
	v_add_u32_e32 v4, v35, v4
	ds_write_b32 v38, v4 offset:64
.LBB306_143:
	s_or_b64 exec, exec, s[0:1]
	s_waitcnt vmcnt(0)
	v_cmp_lt_i32_e32 vcc, -1, v23
	; wave barrier
	s_nop 1
	v_cndmask_b32_e32 v4, -1, v39, vcc
	v_xor_b32_e32 v31, v4, v23
	v_cmp_ne_u32_e32 vcc, s2, v31
	s_nop 1
	v_cndmask_b32_e32 v4, v39, v31, vcc
	v_lshrrev_b32_e32 v4, s52, v4
	v_and_b32_e32 v23, s13, v4
	v_mul_lo_u32 v4, v23, s3
	v_lshl_add_u32 v40, v24, 2, v4
	v_and_b32_e32 v4, 1, v23
	v_lshl_add_u64 v[6:7], v[4:5], 0, -1
	v_cmp_ne_u32_e32 vcc, 0, v4
	ds_read_b32 v24, v40 offset:64
	s_nop 0
	v_xor_b32_e32 v6, vcc_lo, v6
	v_xor_b32_e32 v4, vcc_hi, v7
	v_and_b32_e32 v39, exec_lo, v6
	v_lshlrev_b32_e32 v7, 30, v23
	v_mov_b32_e32 v6, v5
	v_cmp_gt_i64_e32 vcc, 0, v[6:7]
	v_not_b32_e32 v6, v7
	v_ashrrev_i32_e32 v6, 31, v6
	v_and_b32_e32 v4, exec_hi, v4
	v_xor_b32_e32 v7, vcc_hi, v6
	v_xor_b32_e32 v6, vcc_lo, v6
	v_and_b32_e32 v4, v4, v7
	v_and_b32_e32 v39, v39, v6
	v_lshlrev_b32_e32 v7, 29, v23
	v_mov_b32_e32 v6, v5
	v_cmp_gt_i64_e32 vcc, 0, v[6:7]
	v_not_b32_e32 v6, v7
	v_ashrrev_i32_e32 v6, 31, v6
	v_xor_b32_e32 v7, vcc_hi, v6
	v_xor_b32_e32 v6, vcc_lo, v6
	v_and_b32_e32 v4, v4, v7
	v_and_b32_e32 v39, v39, v6
	v_lshlrev_b32_e32 v7, 28, v23
	v_mov_b32_e32 v6, v5
	v_cmp_gt_i64_e32 vcc, 0, v[6:7]
	v_not_b32_e32 v6, v7
	v_ashrrev_i32_e32 v6, 31, v6
	;; [unrolled: 9-line block ×5, first 2 shown]
	v_xor_b32_e32 v7, vcc_hi, v6
	v_xor_b32_e32 v6, vcc_lo, v6
	v_and_b32_e32 v4, v4, v7
	v_lshlrev_b32_e32 v7, 24, v23
	v_and_b32_e32 v39, v39, v6
	v_mov_b32_e32 v6, v5
	v_not_b32_e32 v5, v7
	v_cmp_gt_i64_e32 vcc, 0, v[6:7]
	v_ashrrev_i32_e32 v5, 31, v5
	; wave barrier
	s_nop 0
	v_xor_b32_e32 v6, vcc_hi, v5
	v_xor_b32_e32 v7, vcc_lo, v5
	v_and_b32_e32 v5, v4, v6
	v_and_b32_e32 v4, v39, v7
	v_mbcnt_lo_u32_b32 v6, v4, 0
	v_mbcnt_hi_u32_b32 v39, v5, v6
	v_cmp_eq_u32_e32 vcc, 0, v39
	v_cmp_ne_u64_e64 s[0:1], 0, v[4:5]
	s_and_b64 s[2:3], s[0:1], vcc
	s_and_saveexec_b64 s[0:1], s[2:3]
	s_cbranch_execz .LBB306_145
; %bb.144:
	v_bcnt_u32_b32 v4, v4, 0
	v_bcnt_u32_b32 v4, v5, v4
	s_waitcnt lgkmcnt(0)
	v_add_u32_e32 v4, v24, v4
	ds_write_b32 v40, v4 offset:64
.LBB306_145:
	s_or_b64 exec, exec, s[0:1]
	; wave barrier
	s_waitcnt lgkmcnt(0)
	s_barrier
	ds_read2_b32 v[6:7], v11 offset0:16 offset1:17
	ds_read2_b32 v[4:5], v11 offset0:18 offset1:19
	ds_read_b32 v23, v11 offset:80
	v_cmp_lt_u32_e64 s[6:7], 31, v10
	s_waitcnt lgkmcnt(1)
	v_add3_u32 v41, v7, v6, v4
	s_waitcnt lgkmcnt(0)
	v_add3_u32 v23, v41, v5, v23
	v_and_b32_e32 v41, 15, v10
	v_cmp_eq_u32_e32 vcc, 0, v41
	v_mov_b32_dpp v42, v23 row_shr:1 row_mask:0xf bank_mask:0xf
	v_cmp_lt_u32_e64 s[0:1], 1, v41
	v_cndmask_b32_e64 v42, v42, 0, vcc
	v_add_u32_e32 v23, v42, v23
	v_cmp_lt_u32_e64 s[2:3], 3, v41
	v_cmp_lt_u32_e64 s[4:5], 7, v41
	v_mov_b32_dpp v42, v23 row_shr:2 row_mask:0xf bank_mask:0xf
	v_cndmask_b32_e64 v42, 0, v42, s[0:1]
	v_add_u32_e32 v23, v23, v42
	s_nop 1
	v_mov_b32_dpp v42, v23 row_shr:4 row_mask:0xf bank_mask:0xf
	v_cndmask_b32_e64 v42, 0, v42, s[2:3]
	v_add_u32_e32 v23, v23, v42
	s_nop 1
	v_mov_b32_dpp v42, v23 row_shr:8 row_mask:0xf bank_mask:0xf
	v_cndmask_b32_e64 v41, 0, v42, s[4:5]
	v_add_u32_e32 v23, v23, v41
	v_bfe_i32 v42, v10, 4, 1
	s_nop 0
	v_mov_b32_dpp v41, v23 row_bcast:15 row_mask:0xf bank_mask:0xf
	v_and_b32_e32 v41, v42, v41
	v_add_u32_e32 v23, v23, v41
	v_lshrrev_b32_e32 v42, 6, v8
	s_nop 0
	v_mov_b32_dpp v41, v23 row_bcast:31 row_mask:0xf bank_mask:0xf
	v_cndmask_b32_e64 v41, 0, v41, s[6:7]
	v_add_u32_e32 v41, v23, v41
	v_and_b32_e32 v23, 63, v8
	v_cmp_eq_u32_e64 s[6:7], 63, v23
	s_and_saveexec_b64 s[10:11], s[6:7]
; %bb.146:
	v_lshlrev_b32_e32 v23, 2, v42
	ds_write_b32 v23, v41
; %bb.147:
	s_or_b64 exec, exec, s[10:11]
	v_cmp_gt_u32_e64 s[6:7], 16, v8
	v_lshlrev_b32_e32 v23, 2, v8
	s_waitcnt lgkmcnt(0)
	s_barrier
	s_and_saveexec_b64 s[10:11], s[6:7]
	s_cbranch_execz .LBB306_149
; %bb.148:
	ds_read_b32 v43, v23
	s_waitcnt lgkmcnt(0)
	s_nop 0
	v_mov_b32_dpp v44, v43 row_shr:1 row_mask:0xf bank_mask:0xf
	v_cndmask_b32_e64 v44, v44, 0, vcc
	v_add_u32_e32 v43, v44, v43
	s_nop 1
	v_mov_b32_dpp v44, v43 row_shr:2 row_mask:0xf bank_mask:0xf
	v_cndmask_b32_e64 v44, 0, v44, s[0:1]
	v_add_u32_e32 v43, v43, v44
	s_nop 1
	v_mov_b32_dpp v44, v43 row_shr:4 row_mask:0xf bank_mask:0xf
	v_cndmask_b32_e64 v44, 0, v44, s[2:3]
	;; [unrolled: 4-line block ×3, first 2 shown]
	v_add_u32_e32 v43, v43, v44
	ds_write_b32 v23, v43
.LBB306_149:
	s_or_b64 exec, exec, s[10:11]
	v_cmp_lt_u32_e32 vcc, 63, v8
	v_mov_b32_e32 v43, 0
	s_waitcnt lgkmcnt(0)
	s_barrier
	s_and_saveexec_b64 s[0:1], vcc
; %bb.150:
	v_lshl_add_u32 v42, v42, 2, -4
	ds_read_b32 v43, v42
; %bb.151:
	s_or_b64 exec, exec, s[0:1]
	v_subrev_co_u32_e32 v42, vcc, 1, v10
	v_and_b32_e32 v44, 64, v10
	v_cmp_lt_i32_e64 s[0:1], v42, v44
	s_waitcnt lgkmcnt(0)
	v_add_u32_e32 v41, v43, v41
	s_movk_i32 s2, 0x100
	v_cndmask_b32_e64 v10, v42, v10, s[0:1]
	v_lshlrev_b32_e32 v10, 2, v10
	ds_bpermute_b32 v10, v10, v41
	s_movk_i32 s0, 0xff
	v_cmp_lt_u32_e64 s[0:1], s0, v8
	s_waitcnt lgkmcnt(0)
	v_cndmask_b32_e32 v10, v10, v43, vcc
	v_cndmask_b32_e64 v10, v10, 0, s[20:21]
	v_add_u32_e32 v6, v10, v6
	v_add_u32_e32 v7, v6, v7
	;; [unrolled: 1-line block ×4, first 2 shown]
	ds_write2_b32 v11, v10, v6 offset0:16 offset1:17
	ds_write2_b32 v11, v7, v4 offset0:18 offset1:19
	ds_write_b32 v11, v5 offset:80
	s_waitcnt lgkmcnt(0)
	s_barrier
	ds_read_b32 v44, v15 offset:64
	ds_read_b32 v41, v19 offset:64
	;; [unrolled: 1-line block ×8, first 2 shown]
	v_cmp_gt_u32_e32 vcc, s2, v8
                                        ; implicit-def: $vgpr15
                                        ; implicit-def: $vgpr19
	s_and_saveexec_b64 s[4:5], vcc
	s_cbranch_execz .LBB306_155
; %bb.152:
	v_mul_u32_u24_e32 v4, 0x44, v8
	ds_read_b32 v15, v4 offset:64
	v_add_u32_e32 v5, 1, v8
	v_cmp_ne_u32_e64 s[2:3], s2, v5
	v_mov_b32_e32 v4, 0x2000
	s_and_saveexec_b64 s[6:7], s[2:3]
; %bb.153:
	v_mul_u32_u24_e32 v4, 0x44, v5
	ds_read_b32 v4, v4 offset:64
; %bb.154:
	s_or_b64 exec, exec, s[6:7]
	s_waitcnt lgkmcnt(0)
	v_sub_u32_e32 v19, v4, v15
.LBB306_155:
	s_or_b64 exec, exec, s[4:5]
	v_mov_b32_e32 v5, 0
	s_waitcnt lgkmcnt(0)
	s_barrier
	s_and_saveexec_b64 s[2:3], vcc
	s_cbranch_execz .LBB306_165
; %bb.156:
	v_lshl_add_u32 v4, s33, 8, v8
	v_lshl_add_u64 v[6:7], v[4:5], 2, s[38:39]
	v_or_b32_e32 v4, 2.0, v19
	s_mov_b64 s[4:5], 0
	s_brev_b32 s14, -4
	s_mov_b32 s15, s33
	v_mov_b32_e32 v38, 0
	global_store_dword v[6:7], v4, off sc1
                                        ; implicit-def: $sgpr6_sgpr7
	s_branch .LBB306_159
.LBB306_157:                            ;   in Loop: Header=BB306_159 Depth=1
	s_or_b64 exec, exec, s[10:11]
.LBB306_158:                            ;   in Loop: Header=BB306_159 Depth=1
	s_or_b64 exec, exec, s[6:7]
	v_and_b32_e32 v10, 0x3fffffff, v4
	v_add_u32_e32 v38, v10, v38
	v_cmp_gt_i32_e64 s[6:7], -2.0, v4
	s_and_b64 s[10:11], exec, s[6:7]
	s_or_b64 s[4:5], s[10:11], s[4:5]
	s_andn2_b64 exec, exec, s[4:5]
	s_cbranch_execz .LBB306_164
.LBB306_159:                            ; =>This Loop Header: Depth=1
                                        ;     Child Loop BB306_162 Depth 2
	s_or_b64 s[6:7], s[6:7], exec
	s_cmp_eq_u32 s15, 0
	s_cbranch_scc1 .LBB306_163
; %bb.160:                              ;   in Loop: Header=BB306_159 Depth=1
	s_add_i32 s15, s15, -1
	v_lshl_or_b32 v4, s15, 8, v8
	v_lshl_add_u64 v[10:11], v[4:5], 2, s[38:39]
	global_load_dword v4, v[10:11], off sc1
	s_waitcnt vmcnt(0)
	v_cmp_gt_u32_e32 vcc, 2.0, v4
	s_and_saveexec_b64 s[6:7], vcc
	s_cbranch_execz .LBB306_158
; %bb.161:                              ;   in Loop: Header=BB306_159 Depth=1
	s_mov_b64 s[10:11], 0
.LBB306_162:                            ;   Parent Loop BB306_159 Depth=1
                                        ; =>  This Inner Loop Header: Depth=2
	global_load_dword v4, v[10:11], off sc1
	s_waitcnt vmcnt(0)
	v_cmp_lt_u32_e32 vcc, s14, v4
	s_or_b64 s[10:11], vcc, s[10:11]
	s_andn2_b64 exec, exec, s[10:11]
	s_cbranch_execnz .LBB306_162
	s_branch .LBB306_157
.LBB306_163:                            ;   in Loop: Header=BB306_159 Depth=1
                                        ; implicit-def: $sgpr15
	s_and_b64 s[10:11], exec, s[6:7]
	s_or_b64 s[4:5], s[10:11], s[4:5]
	s_andn2_b64 exec, exec, s[4:5]
	s_cbranch_execnz .LBB306_159
.LBB306_164:
	s_or_b64 exec, exec, s[4:5]
	v_add_u32_e32 v4, v38, v19
	v_or_b32_e32 v4, 0x80000000, v4
	global_store_dword v[6:7], v4, off sc1
	global_load_dword v4, v23, s[48:49]
	v_sub_u32_e32 v5, v38, v15
	s_waitcnt vmcnt(0)
	v_add_u32_e32 v4, v5, v4
	ds_write_b32 v23, v4
.LBB306_165:
	s_or_b64 exec, exec, s[2:3]
	v_add_u32_e32 v4, v39, v24
	v_add_u32_e32 v5, v37, v35
	;; [unrolled: 1-line block ×8, first 2 shown]
	s_mov_b32 s6, 16
	s_mov_b32 s7, s52
	;; [unrolled: 1-line block ×3, first 2 shown]
	v_add_lshl_u32 v7, v4, v36, 2
	v_add3_u32 v10, v39, v36, v24
	v_add_lshl_u32 v11, v5, v29, 2
	v_add3_u32 v12, v37, v29, v35
	;; [unrolled: 2-line block ×7, first 2 shown]
	v_lshlrev_b32_e32 v16, 2, v6
	s_mov_b32 s20, 0
	s_mov_b64 s[2:3], -1
	s_mov_b32 s11, 0
	s_movk_i32 s14, 0x1000
	v_bfrev_b32_e32 v32, 1
	s_brev_b32 s15, -2
	v_mov_b32_e32 v5, 0
	s_movk_i32 s16, 0x400
	s_movk_i32 s17, 0x800
	;; [unrolled: 1-line block ×3, first 2 shown]
	s_mov_b32 s19, 0
	v_mov_b32_e32 v33, v8
	s_branch .LBB306_167
.LBB306_166:                            ;   in Loop: Header=BB306_167 Depth=1
	s_or_b64 exec, exec, s[4:5]
	s_waitcnt lgkmcnt(0)
	s_barrier
	ds_read2st64_b32 v[34:35], v23 offset0:4 offset1:20
	ds_read2st64_b32 v[38:39], v23 offset0:36 offset1:52
	s_xor_b64 s[4:5], s[2:3], -1
	s_addk_i32 s19, 0xc000
	s_addk_i32 s11, 0xf000
	s_waitcnt lgkmcnt(1)
	v_cmp_lt_i32_e32 vcc, -1, v34
	s_mov_b64 s[2:3], 0
	s_nop 0
	v_cndmask_b32_e64 v4, v32, -1, vcc
	v_cmp_lt_i32_e32 vcc, -1, v35
	v_xor_b32_e32 v42, v4, v34
	s_nop 0
	v_cndmask_b32_e64 v4, v32, -1, vcc
	v_cmp_ne_u32_e32 vcc, s15, v34
	v_xor_b32_e32 v43, v4, v35
	s_nop 0
	v_cndmask_b32_e32 v4, v32, v34, vcc
	v_cmp_ne_u32_e32 vcc, s15, v35
	v_lshrrev_b32_e32 v4, s52, v4
	s_nop 0
	v_cndmask_b32_e32 v34, v32, v35, vcc
	v_lshrrev_b32_e32 v34, s7, v34
	s_waitcnt lgkmcnt(0)
	v_cmp_ne_u32_e32 vcc, s15, v38
	v_and_b32_e32 v35, s10, v34
	v_and_b32_e32 v34, s13, v4
	v_cndmask_b32_e32 v36, v32, v38, vcc
	v_cmp_ne_u32_e32 vcc, s15, v39
	v_lshlrev_b32_e32 v4, 2, v34
	ds_read_b32 v4, v4
	v_cndmask_b32_e32 v37, v32, v39, vcc
	v_lshrrev_b32_e32 v37, s7, v37
	v_lshrrev_b32_e32 v36, s52, v36
	v_and_b32_e32 v37, s10, v37
	v_lshlrev_b32_e32 v40, 2, v35
	v_and_b32_e32 v36, s13, v36
	v_lshlrev_b32_e32 v44, 2, v37
	v_lshlrev_b32_e32 v41, 2, v36
	ds_read_b32 v45, v40
	ds_read_b32 v46, v41
	;; [unrolled: 1-line block ×3, first 2 shown]
	s_waitcnt lgkmcnt(3)
	v_add_u32_e32 v4, v33, v4
	v_lshl_add_u64 v[40:41], v[4:5], 2, s[42:43]
	s_waitcnt lgkmcnt(2)
	v_add3_u32 v4, v33, v45, s16
	v_cmp_lt_i32_e32 vcc, -1, v38
	global_store_dword v[40:41], v42, off
	v_lshl_add_u64 v[40:41], v[4:5], 2, s[42:43]
	v_cndmask_b32_e64 v4, v32, -1, vcc
	v_cmp_lt_i32_e32 vcc, -1, v39
	global_store_dword v[40:41], v43, off
	v_xor_b32_e32 v40, v4, v38
	v_cndmask_b32_e64 v4, v32, -1, vcc
	v_xor_b32_e32 v41, v4, v39
	s_waitcnt lgkmcnt(1)
	v_add3_u32 v4, v33, v46, s17
	v_lshl_add_u64 v[38:39], v[4:5], 2, s[42:43]
	s_waitcnt lgkmcnt(0)
	v_add3_u32 v4, v33, v44, s18
	global_store_dword v[38:39], v40, off
	v_lshl_add_u64 v[38:39], v[4:5], 2, s[42:43]
	global_store_dword v[38:39], v41, off
	scratch_store_dwordx4 off, v[34:37], s20
	v_add_u32_e32 v33, 0x1000, v33
	s_and_b64 vcc, exec, s[4:5]
	s_mov_b32 s20, s6
	s_barrier
	s_cbranch_vccnz .LBB306_183
.LBB306_167:                            ; =>This Inner Loop Header: Depth=1
	v_add_u32_e32 v4, s11, v6
	v_cmp_gt_u32_e32 vcc, s14, v4
	s_and_saveexec_b64 s[4:5], vcc
; %bb.168:                              ;   in Loop: Header=BB306_167 Depth=1
	v_add_u32_e32 v4, s19, v16
	ds_write_b32 v4, v1 offset:1024
; %bb.169:                              ;   in Loop: Header=BB306_167 Depth=1
	s_or_b64 exec, exec, s[4:5]
	v_add_u32_e32 v4, s11, v13
	v_cmp_gt_u32_e32 vcc, s14, v4
	s_and_saveexec_b64 s[4:5], vcc
; %bb.170:                              ;   in Loop: Header=BB306_167 Depth=1
	v_add_u32_e32 v4, s19, v20
	ds_write_b32 v4, v3 offset:1024
; %bb.171:                              ;   in Loop: Header=BB306_167 Depth=1
	s_or_b64 exec, exec, s[4:5]
	;; [unrolled: 8-line block ×7, first 2 shown]
	v_add_u32_e32 v4, s11, v10
	v_cmp_gt_u32_e32 vcc, s14, v4
	s_and_saveexec_b64 s[4:5], vcc
	s_cbranch_execz .LBB306_166
; %bb.182:                              ;   in Loop: Header=BB306_167 Depth=1
	v_add_u32_e32 v4, s19, v7
	ds_write_b32 v4, v31 offset:1024
	s_branch .LBB306_166
.LBB306_183:
	s_add_u32 s2, s44, s8
	s_addc_u32 s3, s45, s9
	v_mov_b32_e32 v1, 0
	v_lshl_add_u64 v[4:5], s[2:3], 0, v[0:1]
	v_mov_b32_e32 v3, v1
	v_lshl_add_u64 v[32:33], v[4:5], 0, v[2:3]
	global_load_dword v2, v[32:33], off
	global_load_dword v3, v[32:33], off offset:256
	global_load_dword v4, v[32:33], off offset:512
	global_load_dword v5, v[32:33], off offset:768
	global_load_dword v9, v[32:33], off offset:1024
	global_load_dword v14, v[32:33], off offset:1280
	global_load_dword v17, v[32:33], off offset:1536
	global_load_dword v21, v[32:33], off offset:1792
	s_mov_b32 s14, 0
	s_mov_b64 s[2:3], -1
	s_mov_b32 s7, 0
	s_movk_i32 s8, 0x1000
	s_movk_i32 s9, 0x400
	;; [unrolled: 1-line block ×4, first 2 shown]
	s_mov_b32 s13, 0
	s_branch .LBB306_185
.LBB306_184:                            ;   in Loop: Header=BB306_185 Depth=1
	s_or_b64 exec, exec, s[4:5]
	s_waitcnt lgkmcnt(0)
	s_barrier
	scratch_load_dwordx4 v[32:35], off, s14
	ds_read2st64_b32 v[36:37], v23 offset0:4 offset1:20
	ds_read2st64_b32 v[38:39], v23 offset0:36 offset1:52
	s_xor_b64 s[4:5], s[2:3], -1
	s_addk_i32 s13, 0xc000
	s_addk_i32 s7, 0xf000
	s_mov_b64 s[2:3], 0
	s_mov_b32 s14, s6
	s_and_b64 vcc, exec, s[4:5]
	s_waitcnt vmcnt(0)
	v_lshlrev_b32_e32 v0, 2, v32
	ds_read_b32 v0, v0
	v_lshlrev_b32_e32 v27, 2, v33
	v_lshlrev_b32_e32 v31, 2, v34
	;; [unrolled: 1-line block ×3, first 2 shown]
	ds_read_b32 v27, v27
	ds_read_b32 v31, v31
	ds_read_b32 v34, v32
	s_waitcnt lgkmcnt(3)
	v_add_u32_e32 v0, v8, v0
	v_lshl_add_u64 v[32:33], v[0:1], 2, s[46:47]
	s_waitcnt lgkmcnt(2)
	v_add3_u32 v0, v8, v27, s9
	global_store_dword v[32:33], v36, off
	v_lshl_add_u64 v[32:33], v[0:1], 2, s[46:47]
	s_waitcnt lgkmcnt(1)
	v_add3_u32 v0, v8, v31, s10
	global_store_dword v[32:33], v37, off
	v_lshl_add_u64 v[32:33], v[0:1], 2, s[46:47]
	s_waitcnt lgkmcnt(0)
	v_add3_u32 v0, v8, v34, s11
	v_add_u32_e32 v8, 0x1000, v8
	global_store_dword v[32:33], v38, off
	v_lshl_add_u64 v[32:33], v[0:1], 2, s[46:47]
	global_store_dword v[32:33], v39, off
	s_barrier
	s_cbranch_vccnz .LBB306_201
.LBB306_185:                            ; =>This Inner Loop Header: Depth=1
	v_add_u32_e32 v0, s7, v6
	v_cmp_gt_u32_e32 vcc, s8, v0
	s_and_saveexec_b64 s[4:5], vcc
	s_cbranch_execz .LBB306_187
; %bb.186:                              ;   in Loop: Header=BB306_185 Depth=1
	v_add_u32_e32 v0, s13, v16
	s_waitcnt vmcnt(7)
	ds_write_b32 v0, v2 offset:1024
.LBB306_187:                            ;   in Loop: Header=BB306_185 Depth=1
	s_or_b64 exec, exec, s[4:5]
	v_add_u32_e32 v0, s7, v13
	v_cmp_gt_u32_e32 vcc, s8, v0
	s_and_saveexec_b64 s[4:5], vcc
	s_cbranch_execz .LBB306_189
; %bb.188:                              ;   in Loop: Header=BB306_185 Depth=1
	v_add_u32_e32 v0, s13, v20
	s_waitcnt vmcnt(6)
	ds_write_b32 v0, v3 offset:1024
.LBB306_189:                            ;   in Loop: Header=BB306_185 Depth=1
	s_or_b64 exec, exec, s[4:5]
	;; [unrolled: 10-line block ×7, first 2 shown]
	v_add_u32_e32 v0, s7, v10
	v_cmp_gt_u32_e32 vcc, s8, v0
	s_and_saveexec_b64 s[4:5], vcc
	s_cbranch_execz .LBB306_184
; %bb.200:                              ;   in Loop: Header=BB306_185 Depth=1
	v_add_u32_e32 v0, s13, v7
	s_waitcnt vmcnt(0)
	ds_write_b32 v0, v21 offset:1024
	s_branch .LBB306_184
.LBB306_201:
	s_add_i32 s12, s12, -1
	s_cmp_eq_u32 s33, s12
	s_cselect_b64 s[2:3], -1, 0
	s_xor_b64 s[0:1], s[0:1], -1
	s_and_b64 s[0:1], s[0:1], s[2:3]
	s_and_saveexec_b64 s[2:3], s[0:1]
	s_cbranch_execz .LBB306_203
; %bb.202:
	ds_read_b32 v0, v23
	s_waitcnt lgkmcnt(0)
	v_add3_u32 v0, v15, v19, v0
	global_store_dword v23, v0, s[50:51]
.LBB306_203:
	s_endpgm
	.section	.rodata,"a",@progbits
	.p2align	6, 0x0
	.amdhsa_kernel _ZN7rocprim17ROCPRIM_400000_NS6detail17trampoline_kernelINS0_14default_configENS1_35radix_sort_onesweep_config_selectorIffEEZZNS1_29radix_sort_onesweep_iterationIS3_Lb0EN6thrust23THRUST_200600_302600_NS6detail15normal_iteratorINS8_10device_ptrIfEEEESD_SD_SD_jNS0_19identity_decomposerENS1_16block_id_wrapperIjLb1EEEEE10hipError_tT1_PNSt15iterator_traitsISI_E10value_typeET2_T3_PNSJ_ISO_E10value_typeET4_T5_PST_SU_PNS1_23onesweep_lookback_stateEbbT6_jjT7_P12ihipStream_tbENKUlT_T0_SI_SN_E_clISD_SD_SD_SD_EEDaS11_S12_SI_SN_EUlS11_E_NS1_11comp_targetILNS1_3genE6ELNS1_11target_archE950ELNS1_3gpuE13ELNS1_3repE0EEENS1_47radix_sort_onesweep_sort_config_static_selectorELNS0_4arch9wavefront6targetE1EEEvSI_
		.amdhsa_group_segment_fixed_size 53328
		.amdhsa_private_segment_fixed_size 48
		.amdhsa_kernarg_size 344
		.amdhsa_user_sgpr_count 4
		.amdhsa_user_sgpr_dispatch_ptr 1
		.amdhsa_user_sgpr_queue_ptr 0
		.amdhsa_user_sgpr_kernarg_segment_ptr 1
		.amdhsa_user_sgpr_dispatch_id 0
		.amdhsa_user_sgpr_kernarg_preload_length 0
		.amdhsa_user_sgpr_kernarg_preload_offset 0
		.amdhsa_user_sgpr_private_segment_size 0
		.amdhsa_uses_dynamic_stack 0
		.amdhsa_enable_private_segment 1
		.amdhsa_system_sgpr_workgroup_id_x 1
		.amdhsa_system_sgpr_workgroup_id_y 0
		.amdhsa_system_sgpr_workgroup_id_z 0
		.amdhsa_system_sgpr_workgroup_info 0
		.amdhsa_system_vgpr_workitem_id 2
		.amdhsa_next_free_vgpr 53
		.amdhsa_next_free_sgpr 60
		.amdhsa_accum_offset 56
		.amdhsa_reserve_vcc 1
		.amdhsa_float_round_mode_32 0
		.amdhsa_float_round_mode_16_64 0
		.amdhsa_float_denorm_mode_32 3
		.amdhsa_float_denorm_mode_16_64 3
		.amdhsa_dx10_clamp 1
		.amdhsa_ieee_mode 1
		.amdhsa_fp16_overflow 0
		.amdhsa_tg_split 0
		.amdhsa_exception_fp_ieee_invalid_op 0
		.amdhsa_exception_fp_denorm_src 0
		.amdhsa_exception_fp_ieee_div_zero 0
		.amdhsa_exception_fp_ieee_overflow 0
		.amdhsa_exception_fp_ieee_underflow 0
		.amdhsa_exception_fp_ieee_inexact 0
		.amdhsa_exception_int_div_zero 0
	.end_amdhsa_kernel
	.section	.text._ZN7rocprim17ROCPRIM_400000_NS6detail17trampoline_kernelINS0_14default_configENS1_35radix_sort_onesweep_config_selectorIffEEZZNS1_29radix_sort_onesweep_iterationIS3_Lb0EN6thrust23THRUST_200600_302600_NS6detail15normal_iteratorINS8_10device_ptrIfEEEESD_SD_SD_jNS0_19identity_decomposerENS1_16block_id_wrapperIjLb1EEEEE10hipError_tT1_PNSt15iterator_traitsISI_E10value_typeET2_T3_PNSJ_ISO_E10value_typeET4_T5_PST_SU_PNS1_23onesweep_lookback_stateEbbT6_jjT7_P12ihipStream_tbENKUlT_T0_SI_SN_E_clISD_SD_SD_SD_EEDaS11_S12_SI_SN_EUlS11_E_NS1_11comp_targetILNS1_3genE6ELNS1_11target_archE950ELNS1_3gpuE13ELNS1_3repE0EEENS1_47radix_sort_onesweep_sort_config_static_selectorELNS0_4arch9wavefront6targetE1EEEvSI_,"axG",@progbits,_ZN7rocprim17ROCPRIM_400000_NS6detail17trampoline_kernelINS0_14default_configENS1_35radix_sort_onesweep_config_selectorIffEEZZNS1_29radix_sort_onesweep_iterationIS3_Lb0EN6thrust23THRUST_200600_302600_NS6detail15normal_iteratorINS8_10device_ptrIfEEEESD_SD_SD_jNS0_19identity_decomposerENS1_16block_id_wrapperIjLb1EEEEE10hipError_tT1_PNSt15iterator_traitsISI_E10value_typeET2_T3_PNSJ_ISO_E10value_typeET4_T5_PST_SU_PNS1_23onesweep_lookback_stateEbbT6_jjT7_P12ihipStream_tbENKUlT_T0_SI_SN_E_clISD_SD_SD_SD_EEDaS11_S12_SI_SN_EUlS11_E_NS1_11comp_targetILNS1_3genE6ELNS1_11target_archE950ELNS1_3gpuE13ELNS1_3repE0EEENS1_47radix_sort_onesweep_sort_config_static_selectorELNS0_4arch9wavefront6targetE1EEEvSI_,comdat
.Lfunc_end306:
	.size	_ZN7rocprim17ROCPRIM_400000_NS6detail17trampoline_kernelINS0_14default_configENS1_35radix_sort_onesweep_config_selectorIffEEZZNS1_29radix_sort_onesweep_iterationIS3_Lb0EN6thrust23THRUST_200600_302600_NS6detail15normal_iteratorINS8_10device_ptrIfEEEESD_SD_SD_jNS0_19identity_decomposerENS1_16block_id_wrapperIjLb1EEEEE10hipError_tT1_PNSt15iterator_traitsISI_E10value_typeET2_T3_PNSJ_ISO_E10value_typeET4_T5_PST_SU_PNS1_23onesweep_lookback_stateEbbT6_jjT7_P12ihipStream_tbENKUlT_T0_SI_SN_E_clISD_SD_SD_SD_EEDaS11_S12_SI_SN_EUlS11_E_NS1_11comp_targetILNS1_3genE6ELNS1_11target_archE950ELNS1_3gpuE13ELNS1_3repE0EEENS1_47radix_sort_onesweep_sort_config_static_selectorELNS0_4arch9wavefront6targetE1EEEvSI_, .Lfunc_end306-_ZN7rocprim17ROCPRIM_400000_NS6detail17trampoline_kernelINS0_14default_configENS1_35radix_sort_onesweep_config_selectorIffEEZZNS1_29radix_sort_onesweep_iterationIS3_Lb0EN6thrust23THRUST_200600_302600_NS6detail15normal_iteratorINS8_10device_ptrIfEEEESD_SD_SD_jNS0_19identity_decomposerENS1_16block_id_wrapperIjLb1EEEEE10hipError_tT1_PNSt15iterator_traitsISI_E10value_typeET2_T3_PNSJ_ISO_E10value_typeET4_T5_PST_SU_PNS1_23onesweep_lookback_stateEbbT6_jjT7_P12ihipStream_tbENKUlT_T0_SI_SN_E_clISD_SD_SD_SD_EEDaS11_S12_SI_SN_EUlS11_E_NS1_11comp_targetILNS1_3genE6ELNS1_11target_archE950ELNS1_3gpuE13ELNS1_3repE0EEENS1_47radix_sort_onesweep_sort_config_static_selectorELNS0_4arch9wavefront6targetE1EEEvSI_
                                        ; -- End function
	.set _ZN7rocprim17ROCPRIM_400000_NS6detail17trampoline_kernelINS0_14default_configENS1_35radix_sort_onesweep_config_selectorIffEEZZNS1_29radix_sort_onesweep_iterationIS3_Lb0EN6thrust23THRUST_200600_302600_NS6detail15normal_iteratorINS8_10device_ptrIfEEEESD_SD_SD_jNS0_19identity_decomposerENS1_16block_id_wrapperIjLb1EEEEE10hipError_tT1_PNSt15iterator_traitsISI_E10value_typeET2_T3_PNSJ_ISO_E10value_typeET4_T5_PST_SU_PNS1_23onesweep_lookback_stateEbbT6_jjT7_P12ihipStream_tbENKUlT_T0_SI_SN_E_clISD_SD_SD_SD_EEDaS11_S12_SI_SN_EUlS11_E_NS1_11comp_targetILNS1_3genE6ELNS1_11target_archE950ELNS1_3gpuE13ELNS1_3repE0EEENS1_47radix_sort_onesweep_sort_config_static_selectorELNS0_4arch9wavefront6targetE1EEEvSI_.num_vgpr, 53
	.set _ZN7rocprim17ROCPRIM_400000_NS6detail17trampoline_kernelINS0_14default_configENS1_35radix_sort_onesweep_config_selectorIffEEZZNS1_29radix_sort_onesweep_iterationIS3_Lb0EN6thrust23THRUST_200600_302600_NS6detail15normal_iteratorINS8_10device_ptrIfEEEESD_SD_SD_jNS0_19identity_decomposerENS1_16block_id_wrapperIjLb1EEEEE10hipError_tT1_PNSt15iterator_traitsISI_E10value_typeET2_T3_PNSJ_ISO_E10value_typeET4_T5_PST_SU_PNS1_23onesweep_lookback_stateEbbT6_jjT7_P12ihipStream_tbENKUlT_T0_SI_SN_E_clISD_SD_SD_SD_EEDaS11_S12_SI_SN_EUlS11_E_NS1_11comp_targetILNS1_3genE6ELNS1_11target_archE950ELNS1_3gpuE13ELNS1_3repE0EEENS1_47radix_sort_onesweep_sort_config_static_selectorELNS0_4arch9wavefront6targetE1EEEvSI_.num_agpr, 0
	.set _ZN7rocprim17ROCPRIM_400000_NS6detail17trampoline_kernelINS0_14default_configENS1_35radix_sort_onesweep_config_selectorIffEEZZNS1_29radix_sort_onesweep_iterationIS3_Lb0EN6thrust23THRUST_200600_302600_NS6detail15normal_iteratorINS8_10device_ptrIfEEEESD_SD_SD_jNS0_19identity_decomposerENS1_16block_id_wrapperIjLb1EEEEE10hipError_tT1_PNSt15iterator_traitsISI_E10value_typeET2_T3_PNSJ_ISO_E10value_typeET4_T5_PST_SU_PNS1_23onesweep_lookback_stateEbbT6_jjT7_P12ihipStream_tbENKUlT_T0_SI_SN_E_clISD_SD_SD_SD_EEDaS11_S12_SI_SN_EUlS11_E_NS1_11comp_targetILNS1_3genE6ELNS1_11target_archE950ELNS1_3gpuE13ELNS1_3repE0EEENS1_47radix_sort_onesweep_sort_config_static_selectorELNS0_4arch9wavefront6targetE1EEEvSI_.numbered_sgpr, 60
	.set _ZN7rocprim17ROCPRIM_400000_NS6detail17trampoline_kernelINS0_14default_configENS1_35radix_sort_onesweep_config_selectorIffEEZZNS1_29radix_sort_onesweep_iterationIS3_Lb0EN6thrust23THRUST_200600_302600_NS6detail15normal_iteratorINS8_10device_ptrIfEEEESD_SD_SD_jNS0_19identity_decomposerENS1_16block_id_wrapperIjLb1EEEEE10hipError_tT1_PNSt15iterator_traitsISI_E10value_typeET2_T3_PNSJ_ISO_E10value_typeET4_T5_PST_SU_PNS1_23onesweep_lookback_stateEbbT6_jjT7_P12ihipStream_tbENKUlT_T0_SI_SN_E_clISD_SD_SD_SD_EEDaS11_S12_SI_SN_EUlS11_E_NS1_11comp_targetILNS1_3genE6ELNS1_11target_archE950ELNS1_3gpuE13ELNS1_3repE0EEENS1_47radix_sort_onesweep_sort_config_static_selectorELNS0_4arch9wavefront6targetE1EEEvSI_.num_named_barrier, 0
	.set _ZN7rocprim17ROCPRIM_400000_NS6detail17trampoline_kernelINS0_14default_configENS1_35radix_sort_onesweep_config_selectorIffEEZZNS1_29radix_sort_onesweep_iterationIS3_Lb0EN6thrust23THRUST_200600_302600_NS6detail15normal_iteratorINS8_10device_ptrIfEEEESD_SD_SD_jNS0_19identity_decomposerENS1_16block_id_wrapperIjLb1EEEEE10hipError_tT1_PNSt15iterator_traitsISI_E10value_typeET2_T3_PNSJ_ISO_E10value_typeET4_T5_PST_SU_PNS1_23onesweep_lookback_stateEbbT6_jjT7_P12ihipStream_tbENKUlT_T0_SI_SN_E_clISD_SD_SD_SD_EEDaS11_S12_SI_SN_EUlS11_E_NS1_11comp_targetILNS1_3genE6ELNS1_11target_archE950ELNS1_3gpuE13ELNS1_3repE0EEENS1_47radix_sort_onesweep_sort_config_static_selectorELNS0_4arch9wavefront6targetE1EEEvSI_.private_seg_size, 48
	.set _ZN7rocprim17ROCPRIM_400000_NS6detail17trampoline_kernelINS0_14default_configENS1_35radix_sort_onesweep_config_selectorIffEEZZNS1_29radix_sort_onesweep_iterationIS3_Lb0EN6thrust23THRUST_200600_302600_NS6detail15normal_iteratorINS8_10device_ptrIfEEEESD_SD_SD_jNS0_19identity_decomposerENS1_16block_id_wrapperIjLb1EEEEE10hipError_tT1_PNSt15iterator_traitsISI_E10value_typeET2_T3_PNSJ_ISO_E10value_typeET4_T5_PST_SU_PNS1_23onesweep_lookback_stateEbbT6_jjT7_P12ihipStream_tbENKUlT_T0_SI_SN_E_clISD_SD_SD_SD_EEDaS11_S12_SI_SN_EUlS11_E_NS1_11comp_targetILNS1_3genE6ELNS1_11target_archE950ELNS1_3gpuE13ELNS1_3repE0EEENS1_47radix_sort_onesweep_sort_config_static_selectorELNS0_4arch9wavefront6targetE1EEEvSI_.uses_vcc, 1
	.set _ZN7rocprim17ROCPRIM_400000_NS6detail17trampoline_kernelINS0_14default_configENS1_35radix_sort_onesweep_config_selectorIffEEZZNS1_29radix_sort_onesweep_iterationIS3_Lb0EN6thrust23THRUST_200600_302600_NS6detail15normal_iteratorINS8_10device_ptrIfEEEESD_SD_SD_jNS0_19identity_decomposerENS1_16block_id_wrapperIjLb1EEEEE10hipError_tT1_PNSt15iterator_traitsISI_E10value_typeET2_T3_PNSJ_ISO_E10value_typeET4_T5_PST_SU_PNS1_23onesweep_lookback_stateEbbT6_jjT7_P12ihipStream_tbENKUlT_T0_SI_SN_E_clISD_SD_SD_SD_EEDaS11_S12_SI_SN_EUlS11_E_NS1_11comp_targetILNS1_3genE6ELNS1_11target_archE950ELNS1_3gpuE13ELNS1_3repE0EEENS1_47radix_sort_onesweep_sort_config_static_selectorELNS0_4arch9wavefront6targetE1EEEvSI_.uses_flat_scratch, 0
	.set _ZN7rocprim17ROCPRIM_400000_NS6detail17trampoline_kernelINS0_14default_configENS1_35radix_sort_onesweep_config_selectorIffEEZZNS1_29radix_sort_onesweep_iterationIS3_Lb0EN6thrust23THRUST_200600_302600_NS6detail15normal_iteratorINS8_10device_ptrIfEEEESD_SD_SD_jNS0_19identity_decomposerENS1_16block_id_wrapperIjLb1EEEEE10hipError_tT1_PNSt15iterator_traitsISI_E10value_typeET2_T3_PNSJ_ISO_E10value_typeET4_T5_PST_SU_PNS1_23onesweep_lookback_stateEbbT6_jjT7_P12ihipStream_tbENKUlT_T0_SI_SN_E_clISD_SD_SD_SD_EEDaS11_S12_SI_SN_EUlS11_E_NS1_11comp_targetILNS1_3genE6ELNS1_11target_archE950ELNS1_3gpuE13ELNS1_3repE0EEENS1_47radix_sort_onesweep_sort_config_static_selectorELNS0_4arch9wavefront6targetE1EEEvSI_.has_dyn_sized_stack, 0
	.set _ZN7rocprim17ROCPRIM_400000_NS6detail17trampoline_kernelINS0_14default_configENS1_35radix_sort_onesweep_config_selectorIffEEZZNS1_29radix_sort_onesweep_iterationIS3_Lb0EN6thrust23THRUST_200600_302600_NS6detail15normal_iteratorINS8_10device_ptrIfEEEESD_SD_SD_jNS0_19identity_decomposerENS1_16block_id_wrapperIjLb1EEEEE10hipError_tT1_PNSt15iterator_traitsISI_E10value_typeET2_T3_PNSJ_ISO_E10value_typeET4_T5_PST_SU_PNS1_23onesweep_lookback_stateEbbT6_jjT7_P12ihipStream_tbENKUlT_T0_SI_SN_E_clISD_SD_SD_SD_EEDaS11_S12_SI_SN_EUlS11_E_NS1_11comp_targetILNS1_3genE6ELNS1_11target_archE950ELNS1_3gpuE13ELNS1_3repE0EEENS1_47radix_sort_onesweep_sort_config_static_selectorELNS0_4arch9wavefront6targetE1EEEvSI_.has_recursion, 0
	.set _ZN7rocprim17ROCPRIM_400000_NS6detail17trampoline_kernelINS0_14default_configENS1_35radix_sort_onesweep_config_selectorIffEEZZNS1_29radix_sort_onesweep_iterationIS3_Lb0EN6thrust23THRUST_200600_302600_NS6detail15normal_iteratorINS8_10device_ptrIfEEEESD_SD_SD_jNS0_19identity_decomposerENS1_16block_id_wrapperIjLb1EEEEE10hipError_tT1_PNSt15iterator_traitsISI_E10value_typeET2_T3_PNSJ_ISO_E10value_typeET4_T5_PST_SU_PNS1_23onesweep_lookback_stateEbbT6_jjT7_P12ihipStream_tbENKUlT_T0_SI_SN_E_clISD_SD_SD_SD_EEDaS11_S12_SI_SN_EUlS11_E_NS1_11comp_targetILNS1_3genE6ELNS1_11target_archE950ELNS1_3gpuE13ELNS1_3repE0EEENS1_47radix_sort_onesweep_sort_config_static_selectorELNS0_4arch9wavefront6targetE1EEEvSI_.has_indirect_call, 0
	.section	.AMDGPU.csdata,"",@progbits
; Kernel info:
; codeLenInByte = 13876
; TotalNumSgprs: 66
; NumVgprs: 53
; NumAgprs: 0
; TotalNumVgprs: 53
; ScratchSize: 48
; MemoryBound: 0
; FloatMode: 240
; IeeeMode: 1
; LDSByteSize: 53328 bytes/workgroup (compile time only)
; SGPRBlocks: 8
; VGPRBlocks: 6
; NumSGPRsForWavesPerEU: 66
; NumVGPRsForWavesPerEU: 53
; AccumOffset: 56
; Occupancy: 8
; WaveLimiterHint : 1
; COMPUTE_PGM_RSRC2:SCRATCH_EN: 1
; COMPUTE_PGM_RSRC2:USER_SGPR: 4
; COMPUTE_PGM_RSRC2:TRAP_HANDLER: 0
; COMPUTE_PGM_RSRC2:TGID_X_EN: 1
; COMPUTE_PGM_RSRC2:TGID_Y_EN: 0
; COMPUTE_PGM_RSRC2:TGID_Z_EN: 0
; COMPUTE_PGM_RSRC2:TIDIG_COMP_CNT: 2
; COMPUTE_PGM_RSRC3_GFX90A:ACCUM_OFFSET: 13
; COMPUTE_PGM_RSRC3_GFX90A:TG_SPLIT: 0
	.section	.text._ZN7rocprim17ROCPRIM_400000_NS6detail17trampoline_kernelINS0_14default_configENS1_35radix_sort_onesweep_config_selectorIffEEZZNS1_29radix_sort_onesweep_iterationIS3_Lb0EN6thrust23THRUST_200600_302600_NS6detail15normal_iteratorINS8_10device_ptrIfEEEESD_SD_SD_jNS0_19identity_decomposerENS1_16block_id_wrapperIjLb1EEEEE10hipError_tT1_PNSt15iterator_traitsISI_E10value_typeET2_T3_PNSJ_ISO_E10value_typeET4_T5_PST_SU_PNS1_23onesweep_lookback_stateEbbT6_jjT7_P12ihipStream_tbENKUlT_T0_SI_SN_E_clISD_SD_SD_SD_EEDaS11_S12_SI_SN_EUlS11_E_NS1_11comp_targetILNS1_3genE5ELNS1_11target_archE942ELNS1_3gpuE9ELNS1_3repE0EEENS1_47radix_sort_onesweep_sort_config_static_selectorELNS0_4arch9wavefront6targetE1EEEvSI_,"axG",@progbits,_ZN7rocprim17ROCPRIM_400000_NS6detail17trampoline_kernelINS0_14default_configENS1_35radix_sort_onesweep_config_selectorIffEEZZNS1_29radix_sort_onesweep_iterationIS3_Lb0EN6thrust23THRUST_200600_302600_NS6detail15normal_iteratorINS8_10device_ptrIfEEEESD_SD_SD_jNS0_19identity_decomposerENS1_16block_id_wrapperIjLb1EEEEE10hipError_tT1_PNSt15iterator_traitsISI_E10value_typeET2_T3_PNSJ_ISO_E10value_typeET4_T5_PST_SU_PNS1_23onesweep_lookback_stateEbbT6_jjT7_P12ihipStream_tbENKUlT_T0_SI_SN_E_clISD_SD_SD_SD_EEDaS11_S12_SI_SN_EUlS11_E_NS1_11comp_targetILNS1_3genE5ELNS1_11target_archE942ELNS1_3gpuE9ELNS1_3repE0EEENS1_47radix_sort_onesweep_sort_config_static_selectorELNS0_4arch9wavefront6targetE1EEEvSI_,comdat
	.protected	_ZN7rocprim17ROCPRIM_400000_NS6detail17trampoline_kernelINS0_14default_configENS1_35radix_sort_onesweep_config_selectorIffEEZZNS1_29radix_sort_onesweep_iterationIS3_Lb0EN6thrust23THRUST_200600_302600_NS6detail15normal_iteratorINS8_10device_ptrIfEEEESD_SD_SD_jNS0_19identity_decomposerENS1_16block_id_wrapperIjLb1EEEEE10hipError_tT1_PNSt15iterator_traitsISI_E10value_typeET2_T3_PNSJ_ISO_E10value_typeET4_T5_PST_SU_PNS1_23onesweep_lookback_stateEbbT6_jjT7_P12ihipStream_tbENKUlT_T0_SI_SN_E_clISD_SD_SD_SD_EEDaS11_S12_SI_SN_EUlS11_E_NS1_11comp_targetILNS1_3genE5ELNS1_11target_archE942ELNS1_3gpuE9ELNS1_3repE0EEENS1_47radix_sort_onesweep_sort_config_static_selectorELNS0_4arch9wavefront6targetE1EEEvSI_ ; -- Begin function _ZN7rocprim17ROCPRIM_400000_NS6detail17trampoline_kernelINS0_14default_configENS1_35radix_sort_onesweep_config_selectorIffEEZZNS1_29radix_sort_onesweep_iterationIS3_Lb0EN6thrust23THRUST_200600_302600_NS6detail15normal_iteratorINS8_10device_ptrIfEEEESD_SD_SD_jNS0_19identity_decomposerENS1_16block_id_wrapperIjLb1EEEEE10hipError_tT1_PNSt15iterator_traitsISI_E10value_typeET2_T3_PNSJ_ISO_E10value_typeET4_T5_PST_SU_PNS1_23onesweep_lookback_stateEbbT6_jjT7_P12ihipStream_tbENKUlT_T0_SI_SN_E_clISD_SD_SD_SD_EEDaS11_S12_SI_SN_EUlS11_E_NS1_11comp_targetILNS1_3genE5ELNS1_11target_archE942ELNS1_3gpuE9ELNS1_3repE0EEENS1_47radix_sort_onesweep_sort_config_static_selectorELNS0_4arch9wavefront6targetE1EEEvSI_
	.globl	_ZN7rocprim17ROCPRIM_400000_NS6detail17trampoline_kernelINS0_14default_configENS1_35radix_sort_onesweep_config_selectorIffEEZZNS1_29radix_sort_onesweep_iterationIS3_Lb0EN6thrust23THRUST_200600_302600_NS6detail15normal_iteratorINS8_10device_ptrIfEEEESD_SD_SD_jNS0_19identity_decomposerENS1_16block_id_wrapperIjLb1EEEEE10hipError_tT1_PNSt15iterator_traitsISI_E10value_typeET2_T3_PNSJ_ISO_E10value_typeET4_T5_PST_SU_PNS1_23onesweep_lookback_stateEbbT6_jjT7_P12ihipStream_tbENKUlT_T0_SI_SN_E_clISD_SD_SD_SD_EEDaS11_S12_SI_SN_EUlS11_E_NS1_11comp_targetILNS1_3genE5ELNS1_11target_archE942ELNS1_3gpuE9ELNS1_3repE0EEENS1_47radix_sort_onesweep_sort_config_static_selectorELNS0_4arch9wavefront6targetE1EEEvSI_
	.p2align	8
	.type	_ZN7rocprim17ROCPRIM_400000_NS6detail17trampoline_kernelINS0_14default_configENS1_35radix_sort_onesweep_config_selectorIffEEZZNS1_29radix_sort_onesweep_iterationIS3_Lb0EN6thrust23THRUST_200600_302600_NS6detail15normal_iteratorINS8_10device_ptrIfEEEESD_SD_SD_jNS0_19identity_decomposerENS1_16block_id_wrapperIjLb1EEEEE10hipError_tT1_PNSt15iterator_traitsISI_E10value_typeET2_T3_PNSJ_ISO_E10value_typeET4_T5_PST_SU_PNS1_23onesweep_lookback_stateEbbT6_jjT7_P12ihipStream_tbENKUlT_T0_SI_SN_E_clISD_SD_SD_SD_EEDaS11_S12_SI_SN_EUlS11_E_NS1_11comp_targetILNS1_3genE5ELNS1_11target_archE942ELNS1_3gpuE9ELNS1_3repE0EEENS1_47radix_sort_onesweep_sort_config_static_selectorELNS0_4arch9wavefront6targetE1EEEvSI_,@function
_ZN7rocprim17ROCPRIM_400000_NS6detail17trampoline_kernelINS0_14default_configENS1_35radix_sort_onesweep_config_selectorIffEEZZNS1_29radix_sort_onesweep_iterationIS3_Lb0EN6thrust23THRUST_200600_302600_NS6detail15normal_iteratorINS8_10device_ptrIfEEEESD_SD_SD_jNS0_19identity_decomposerENS1_16block_id_wrapperIjLb1EEEEE10hipError_tT1_PNSt15iterator_traitsISI_E10value_typeET2_T3_PNSJ_ISO_E10value_typeET4_T5_PST_SU_PNS1_23onesweep_lookback_stateEbbT6_jjT7_P12ihipStream_tbENKUlT_T0_SI_SN_E_clISD_SD_SD_SD_EEDaS11_S12_SI_SN_EUlS11_E_NS1_11comp_targetILNS1_3genE5ELNS1_11target_archE942ELNS1_3gpuE9ELNS1_3repE0EEENS1_47radix_sort_onesweep_sort_config_static_selectorELNS0_4arch9wavefront6targetE1EEEvSI_: ; @_ZN7rocprim17ROCPRIM_400000_NS6detail17trampoline_kernelINS0_14default_configENS1_35radix_sort_onesweep_config_selectorIffEEZZNS1_29radix_sort_onesweep_iterationIS3_Lb0EN6thrust23THRUST_200600_302600_NS6detail15normal_iteratorINS8_10device_ptrIfEEEESD_SD_SD_jNS0_19identity_decomposerENS1_16block_id_wrapperIjLb1EEEEE10hipError_tT1_PNSt15iterator_traitsISI_E10value_typeET2_T3_PNSJ_ISO_E10value_typeET4_T5_PST_SU_PNS1_23onesweep_lookback_stateEbbT6_jjT7_P12ihipStream_tbENKUlT_T0_SI_SN_E_clISD_SD_SD_SD_EEDaS11_S12_SI_SN_EUlS11_E_NS1_11comp_targetILNS1_3genE5ELNS1_11target_archE942ELNS1_3gpuE9ELNS1_3repE0EEENS1_47radix_sort_onesweep_sort_config_static_selectorELNS0_4arch9wavefront6targetE1EEEvSI_
; %bb.0:
	.section	.rodata,"a",@progbits
	.p2align	6, 0x0
	.amdhsa_kernel _ZN7rocprim17ROCPRIM_400000_NS6detail17trampoline_kernelINS0_14default_configENS1_35radix_sort_onesweep_config_selectorIffEEZZNS1_29radix_sort_onesweep_iterationIS3_Lb0EN6thrust23THRUST_200600_302600_NS6detail15normal_iteratorINS8_10device_ptrIfEEEESD_SD_SD_jNS0_19identity_decomposerENS1_16block_id_wrapperIjLb1EEEEE10hipError_tT1_PNSt15iterator_traitsISI_E10value_typeET2_T3_PNSJ_ISO_E10value_typeET4_T5_PST_SU_PNS1_23onesweep_lookback_stateEbbT6_jjT7_P12ihipStream_tbENKUlT_T0_SI_SN_E_clISD_SD_SD_SD_EEDaS11_S12_SI_SN_EUlS11_E_NS1_11comp_targetILNS1_3genE5ELNS1_11target_archE942ELNS1_3gpuE9ELNS1_3repE0EEENS1_47radix_sort_onesweep_sort_config_static_selectorELNS0_4arch9wavefront6targetE1EEEvSI_
		.amdhsa_group_segment_fixed_size 0
		.amdhsa_private_segment_fixed_size 0
		.amdhsa_kernarg_size 88
		.amdhsa_user_sgpr_count 2
		.amdhsa_user_sgpr_dispatch_ptr 0
		.amdhsa_user_sgpr_queue_ptr 0
		.amdhsa_user_sgpr_kernarg_segment_ptr 1
		.amdhsa_user_sgpr_dispatch_id 0
		.amdhsa_user_sgpr_kernarg_preload_length 0
		.amdhsa_user_sgpr_kernarg_preload_offset 0
		.amdhsa_user_sgpr_private_segment_size 0
		.amdhsa_uses_dynamic_stack 0
		.amdhsa_enable_private_segment 0
		.amdhsa_system_sgpr_workgroup_id_x 1
		.amdhsa_system_sgpr_workgroup_id_y 0
		.amdhsa_system_sgpr_workgroup_id_z 0
		.amdhsa_system_sgpr_workgroup_info 0
		.amdhsa_system_vgpr_workitem_id 0
		.amdhsa_next_free_vgpr 1
		.amdhsa_next_free_sgpr 0
		.amdhsa_accum_offset 4
		.amdhsa_reserve_vcc 0
		.amdhsa_float_round_mode_32 0
		.amdhsa_float_round_mode_16_64 0
		.amdhsa_float_denorm_mode_32 3
		.amdhsa_float_denorm_mode_16_64 3
		.amdhsa_dx10_clamp 1
		.amdhsa_ieee_mode 1
		.amdhsa_fp16_overflow 0
		.amdhsa_tg_split 0
		.amdhsa_exception_fp_ieee_invalid_op 0
		.amdhsa_exception_fp_denorm_src 0
		.amdhsa_exception_fp_ieee_div_zero 0
		.amdhsa_exception_fp_ieee_overflow 0
		.amdhsa_exception_fp_ieee_underflow 0
		.amdhsa_exception_fp_ieee_inexact 0
		.amdhsa_exception_int_div_zero 0
	.end_amdhsa_kernel
	.section	.text._ZN7rocprim17ROCPRIM_400000_NS6detail17trampoline_kernelINS0_14default_configENS1_35radix_sort_onesweep_config_selectorIffEEZZNS1_29radix_sort_onesweep_iterationIS3_Lb0EN6thrust23THRUST_200600_302600_NS6detail15normal_iteratorINS8_10device_ptrIfEEEESD_SD_SD_jNS0_19identity_decomposerENS1_16block_id_wrapperIjLb1EEEEE10hipError_tT1_PNSt15iterator_traitsISI_E10value_typeET2_T3_PNSJ_ISO_E10value_typeET4_T5_PST_SU_PNS1_23onesweep_lookback_stateEbbT6_jjT7_P12ihipStream_tbENKUlT_T0_SI_SN_E_clISD_SD_SD_SD_EEDaS11_S12_SI_SN_EUlS11_E_NS1_11comp_targetILNS1_3genE5ELNS1_11target_archE942ELNS1_3gpuE9ELNS1_3repE0EEENS1_47radix_sort_onesweep_sort_config_static_selectorELNS0_4arch9wavefront6targetE1EEEvSI_,"axG",@progbits,_ZN7rocprim17ROCPRIM_400000_NS6detail17trampoline_kernelINS0_14default_configENS1_35radix_sort_onesweep_config_selectorIffEEZZNS1_29radix_sort_onesweep_iterationIS3_Lb0EN6thrust23THRUST_200600_302600_NS6detail15normal_iteratorINS8_10device_ptrIfEEEESD_SD_SD_jNS0_19identity_decomposerENS1_16block_id_wrapperIjLb1EEEEE10hipError_tT1_PNSt15iterator_traitsISI_E10value_typeET2_T3_PNSJ_ISO_E10value_typeET4_T5_PST_SU_PNS1_23onesweep_lookback_stateEbbT6_jjT7_P12ihipStream_tbENKUlT_T0_SI_SN_E_clISD_SD_SD_SD_EEDaS11_S12_SI_SN_EUlS11_E_NS1_11comp_targetILNS1_3genE5ELNS1_11target_archE942ELNS1_3gpuE9ELNS1_3repE0EEENS1_47radix_sort_onesweep_sort_config_static_selectorELNS0_4arch9wavefront6targetE1EEEvSI_,comdat
.Lfunc_end307:
	.size	_ZN7rocprim17ROCPRIM_400000_NS6detail17trampoline_kernelINS0_14default_configENS1_35radix_sort_onesweep_config_selectorIffEEZZNS1_29radix_sort_onesweep_iterationIS3_Lb0EN6thrust23THRUST_200600_302600_NS6detail15normal_iteratorINS8_10device_ptrIfEEEESD_SD_SD_jNS0_19identity_decomposerENS1_16block_id_wrapperIjLb1EEEEE10hipError_tT1_PNSt15iterator_traitsISI_E10value_typeET2_T3_PNSJ_ISO_E10value_typeET4_T5_PST_SU_PNS1_23onesweep_lookback_stateEbbT6_jjT7_P12ihipStream_tbENKUlT_T0_SI_SN_E_clISD_SD_SD_SD_EEDaS11_S12_SI_SN_EUlS11_E_NS1_11comp_targetILNS1_3genE5ELNS1_11target_archE942ELNS1_3gpuE9ELNS1_3repE0EEENS1_47radix_sort_onesweep_sort_config_static_selectorELNS0_4arch9wavefront6targetE1EEEvSI_, .Lfunc_end307-_ZN7rocprim17ROCPRIM_400000_NS6detail17trampoline_kernelINS0_14default_configENS1_35radix_sort_onesweep_config_selectorIffEEZZNS1_29radix_sort_onesweep_iterationIS3_Lb0EN6thrust23THRUST_200600_302600_NS6detail15normal_iteratorINS8_10device_ptrIfEEEESD_SD_SD_jNS0_19identity_decomposerENS1_16block_id_wrapperIjLb1EEEEE10hipError_tT1_PNSt15iterator_traitsISI_E10value_typeET2_T3_PNSJ_ISO_E10value_typeET4_T5_PST_SU_PNS1_23onesweep_lookback_stateEbbT6_jjT7_P12ihipStream_tbENKUlT_T0_SI_SN_E_clISD_SD_SD_SD_EEDaS11_S12_SI_SN_EUlS11_E_NS1_11comp_targetILNS1_3genE5ELNS1_11target_archE942ELNS1_3gpuE9ELNS1_3repE0EEENS1_47radix_sort_onesweep_sort_config_static_selectorELNS0_4arch9wavefront6targetE1EEEvSI_
                                        ; -- End function
	.set _ZN7rocprim17ROCPRIM_400000_NS6detail17trampoline_kernelINS0_14default_configENS1_35radix_sort_onesweep_config_selectorIffEEZZNS1_29radix_sort_onesweep_iterationIS3_Lb0EN6thrust23THRUST_200600_302600_NS6detail15normal_iteratorINS8_10device_ptrIfEEEESD_SD_SD_jNS0_19identity_decomposerENS1_16block_id_wrapperIjLb1EEEEE10hipError_tT1_PNSt15iterator_traitsISI_E10value_typeET2_T3_PNSJ_ISO_E10value_typeET4_T5_PST_SU_PNS1_23onesweep_lookback_stateEbbT6_jjT7_P12ihipStream_tbENKUlT_T0_SI_SN_E_clISD_SD_SD_SD_EEDaS11_S12_SI_SN_EUlS11_E_NS1_11comp_targetILNS1_3genE5ELNS1_11target_archE942ELNS1_3gpuE9ELNS1_3repE0EEENS1_47radix_sort_onesweep_sort_config_static_selectorELNS0_4arch9wavefront6targetE1EEEvSI_.num_vgpr, 0
	.set _ZN7rocprim17ROCPRIM_400000_NS6detail17trampoline_kernelINS0_14default_configENS1_35radix_sort_onesweep_config_selectorIffEEZZNS1_29radix_sort_onesweep_iterationIS3_Lb0EN6thrust23THRUST_200600_302600_NS6detail15normal_iteratorINS8_10device_ptrIfEEEESD_SD_SD_jNS0_19identity_decomposerENS1_16block_id_wrapperIjLb1EEEEE10hipError_tT1_PNSt15iterator_traitsISI_E10value_typeET2_T3_PNSJ_ISO_E10value_typeET4_T5_PST_SU_PNS1_23onesweep_lookback_stateEbbT6_jjT7_P12ihipStream_tbENKUlT_T0_SI_SN_E_clISD_SD_SD_SD_EEDaS11_S12_SI_SN_EUlS11_E_NS1_11comp_targetILNS1_3genE5ELNS1_11target_archE942ELNS1_3gpuE9ELNS1_3repE0EEENS1_47radix_sort_onesweep_sort_config_static_selectorELNS0_4arch9wavefront6targetE1EEEvSI_.num_agpr, 0
	.set _ZN7rocprim17ROCPRIM_400000_NS6detail17trampoline_kernelINS0_14default_configENS1_35radix_sort_onesweep_config_selectorIffEEZZNS1_29radix_sort_onesweep_iterationIS3_Lb0EN6thrust23THRUST_200600_302600_NS6detail15normal_iteratorINS8_10device_ptrIfEEEESD_SD_SD_jNS0_19identity_decomposerENS1_16block_id_wrapperIjLb1EEEEE10hipError_tT1_PNSt15iterator_traitsISI_E10value_typeET2_T3_PNSJ_ISO_E10value_typeET4_T5_PST_SU_PNS1_23onesweep_lookback_stateEbbT6_jjT7_P12ihipStream_tbENKUlT_T0_SI_SN_E_clISD_SD_SD_SD_EEDaS11_S12_SI_SN_EUlS11_E_NS1_11comp_targetILNS1_3genE5ELNS1_11target_archE942ELNS1_3gpuE9ELNS1_3repE0EEENS1_47radix_sort_onesweep_sort_config_static_selectorELNS0_4arch9wavefront6targetE1EEEvSI_.numbered_sgpr, 0
	.set _ZN7rocprim17ROCPRIM_400000_NS6detail17trampoline_kernelINS0_14default_configENS1_35radix_sort_onesweep_config_selectorIffEEZZNS1_29radix_sort_onesweep_iterationIS3_Lb0EN6thrust23THRUST_200600_302600_NS6detail15normal_iteratorINS8_10device_ptrIfEEEESD_SD_SD_jNS0_19identity_decomposerENS1_16block_id_wrapperIjLb1EEEEE10hipError_tT1_PNSt15iterator_traitsISI_E10value_typeET2_T3_PNSJ_ISO_E10value_typeET4_T5_PST_SU_PNS1_23onesweep_lookback_stateEbbT6_jjT7_P12ihipStream_tbENKUlT_T0_SI_SN_E_clISD_SD_SD_SD_EEDaS11_S12_SI_SN_EUlS11_E_NS1_11comp_targetILNS1_3genE5ELNS1_11target_archE942ELNS1_3gpuE9ELNS1_3repE0EEENS1_47radix_sort_onesweep_sort_config_static_selectorELNS0_4arch9wavefront6targetE1EEEvSI_.num_named_barrier, 0
	.set _ZN7rocprim17ROCPRIM_400000_NS6detail17trampoline_kernelINS0_14default_configENS1_35radix_sort_onesweep_config_selectorIffEEZZNS1_29radix_sort_onesweep_iterationIS3_Lb0EN6thrust23THRUST_200600_302600_NS6detail15normal_iteratorINS8_10device_ptrIfEEEESD_SD_SD_jNS0_19identity_decomposerENS1_16block_id_wrapperIjLb1EEEEE10hipError_tT1_PNSt15iterator_traitsISI_E10value_typeET2_T3_PNSJ_ISO_E10value_typeET4_T5_PST_SU_PNS1_23onesweep_lookback_stateEbbT6_jjT7_P12ihipStream_tbENKUlT_T0_SI_SN_E_clISD_SD_SD_SD_EEDaS11_S12_SI_SN_EUlS11_E_NS1_11comp_targetILNS1_3genE5ELNS1_11target_archE942ELNS1_3gpuE9ELNS1_3repE0EEENS1_47radix_sort_onesweep_sort_config_static_selectorELNS0_4arch9wavefront6targetE1EEEvSI_.private_seg_size, 0
	.set _ZN7rocprim17ROCPRIM_400000_NS6detail17trampoline_kernelINS0_14default_configENS1_35radix_sort_onesweep_config_selectorIffEEZZNS1_29radix_sort_onesweep_iterationIS3_Lb0EN6thrust23THRUST_200600_302600_NS6detail15normal_iteratorINS8_10device_ptrIfEEEESD_SD_SD_jNS0_19identity_decomposerENS1_16block_id_wrapperIjLb1EEEEE10hipError_tT1_PNSt15iterator_traitsISI_E10value_typeET2_T3_PNSJ_ISO_E10value_typeET4_T5_PST_SU_PNS1_23onesweep_lookback_stateEbbT6_jjT7_P12ihipStream_tbENKUlT_T0_SI_SN_E_clISD_SD_SD_SD_EEDaS11_S12_SI_SN_EUlS11_E_NS1_11comp_targetILNS1_3genE5ELNS1_11target_archE942ELNS1_3gpuE9ELNS1_3repE0EEENS1_47radix_sort_onesweep_sort_config_static_selectorELNS0_4arch9wavefront6targetE1EEEvSI_.uses_vcc, 0
	.set _ZN7rocprim17ROCPRIM_400000_NS6detail17trampoline_kernelINS0_14default_configENS1_35radix_sort_onesweep_config_selectorIffEEZZNS1_29radix_sort_onesweep_iterationIS3_Lb0EN6thrust23THRUST_200600_302600_NS6detail15normal_iteratorINS8_10device_ptrIfEEEESD_SD_SD_jNS0_19identity_decomposerENS1_16block_id_wrapperIjLb1EEEEE10hipError_tT1_PNSt15iterator_traitsISI_E10value_typeET2_T3_PNSJ_ISO_E10value_typeET4_T5_PST_SU_PNS1_23onesweep_lookback_stateEbbT6_jjT7_P12ihipStream_tbENKUlT_T0_SI_SN_E_clISD_SD_SD_SD_EEDaS11_S12_SI_SN_EUlS11_E_NS1_11comp_targetILNS1_3genE5ELNS1_11target_archE942ELNS1_3gpuE9ELNS1_3repE0EEENS1_47radix_sort_onesweep_sort_config_static_selectorELNS0_4arch9wavefront6targetE1EEEvSI_.uses_flat_scratch, 0
	.set _ZN7rocprim17ROCPRIM_400000_NS6detail17trampoline_kernelINS0_14default_configENS1_35radix_sort_onesweep_config_selectorIffEEZZNS1_29radix_sort_onesweep_iterationIS3_Lb0EN6thrust23THRUST_200600_302600_NS6detail15normal_iteratorINS8_10device_ptrIfEEEESD_SD_SD_jNS0_19identity_decomposerENS1_16block_id_wrapperIjLb1EEEEE10hipError_tT1_PNSt15iterator_traitsISI_E10value_typeET2_T3_PNSJ_ISO_E10value_typeET4_T5_PST_SU_PNS1_23onesweep_lookback_stateEbbT6_jjT7_P12ihipStream_tbENKUlT_T0_SI_SN_E_clISD_SD_SD_SD_EEDaS11_S12_SI_SN_EUlS11_E_NS1_11comp_targetILNS1_3genE5ELNS1_11target_archE942ELNS1_3gpuE9ELNS1_3repE0EEENS1_47radix_sort_onesweep_sort_config_static_selectorELNS0_4arch9wavefront6targetE1EEEvSI_.has_dyn_sized_stack, 0
	.set _ZN7rocprim17ROCPRIM_400000_NS6detail17trampoline_kernelINS0_14default_configENS1_35radix_sort_onesweep_config_selectorIffEEZZNS1_29radix_sort_onesweep_iterationIS3_Lb0EN6thrust23THRUST_200600_302600_NS6detail15normal_iteratorINS8_10device_ptrIfEEEESD_SD_SD_jNS0_19identity_decomposerENS1_16block_id_wrapperIjLb1EEEEE10hipError_tT1_PNSt15iterator_traitsISI_E10value_typeET2_T3_PNSJ_ISO_E10value_typeET4_T5_PST_SU_PNS1_23onesweep_lookback_stateEbbT6_jjT7_P12ihipStream_tbENKUlT_T0_SI_SN_E_clISD_SD_SD_SD_EEDaS11_S12_SI_SN_EUlS11_E_NS1_11comp_targetILNS1_3genE5ELNS1_11target_archE942ELNS1_3gpuE9ELNS1_3repE0EEENS1_47radix_sort_onesweep_sort_config_static_selectorELNS0_4arch9wavefront6targetE1EEEvSI_.has_recursion, 0
	.set _ZN7rocprim17ROCPRIM_400000_NS6detail17trampoline_kernelINS0_14default_configENS1_35radix_sort_onesweep_config_selectorIffEEZZNS1_29radix_sort_onesweep_iterationIS3_Lb0EN6thrust23THRUST_200600_302600_NS6detail15normal_iteratorINS8_10device_ptrIfEEEESD_SD_SD_jNS0_19identity_decomposerENS1_16block_id_wrapperIjLb1EEEEE10hipError_tT1_PNSt15iterator_traitsISI_E10value_typeET2_T3_PNSJ_ISO_E10value_typeET4_T5_PST_SU_PNS1_23onesweep_lookback_stateEbbT6_jjT7_P12ihipStream_tbENKUlT_T0_SI_SN_E_clISD_SD_SD_SD_EEDaS11_S12_SI_SN_EUlS11_E_NS1_11comp_targetILNS1_3genE5ELNS1_11target_archE942ELNS1_3gpuE9ELNS1_3repE0EEENS1_47radix_sort_onesweep_sort_config_static_selectorELNS0_4arch9wavefront6targetE1EEEvSI_.has_indirect_call, 0
	.section	.AMDGPU.csdata,"",@progbits
; Kernel info:
; codeLenInByte = 0
; TotalNumSgprs: 6
; NumVgprs: 0
; NumAgprs: 0
; TotalNumVgprs: 0
; ScratchSize: 0
; MemoryBound: 0
; FloatMode: 240
; IeeeMode: 1
; LDSByteSize: 0 bytes/workgroup (compile time only)
; SGPRBlocks: 0
; VGPRBlocks: 0
; NumSGPRsForWavesPerEU: 6
; NumVGPRsForWavesPerEU: 1
; AccumOffset: 4
; Occupancy: 8
; WaveLimiterHint : 0
; COMPUTE_PGM_RSRC2:SCRATCH_EN: 0
; COMPUTE_PGM_RSRC2:USER_SGPR: 2
; COMPUTE_PGM_RSRC2:TRAP_HANDLER: 0
; COMPUTE_PGM_RSRC2:TGID_X_EN: 1
; COMPUTE_PGM_RSRC2:TGID_Y_EN: 0
; COMPUTE_PGM_RSRC2:TGID_Z_EN: 0
; COMPUTE_PGM_RSRC2:TIDIG_COMP_CNT: 0
; COMPUTE_PGM_RSRC3_GFX90A:ACCUM_OFFSET: 0
; COMPUTE_PGM_RSRC3_GFX90A:TG_SPLIT: 0
	.section	.text._ZN7rocprim17ROCPRIM_400000_NS6detail17trampoline_kernelINS0_14default_configENS1_35radix_sort_onesweep_config_selectorIffEEZZNS1_29radix_sort_onesweep_iterationIS3_Lb0EN6thrust23THRUST_200600_302600_NS6detail15normal_iteratorINS8_10device_ptrIfEEEESD_SD_SD_jNS0_19identity_decomposerENS1_16block_id_wrapperIjLb1EEEEE10hipError_tT1_PNSt15iterator_traitsISI_E10value_typeET2_T3_PNSJ_ISO_E10value_typeET4_T5_PST_SU_PNS1_23onesweep_lookback_stateEbbT6_jjT7_P12ihipStream_tbENKUlT_T0_SI_SN_E_clISD_SD_SD_SD_EEDaS11_S12_SI_SN_EUlS11_E_NS1_11comp_targetILNS1_3genE2ELNS1_11target_archE906ELNS1_3gpuE6ELNS1_3repE0EEENS1_47radix_sort_onesweep_sort_config_static_selectorELNS0_4arch9wavefront6targetE1EEEvSI_,"axG",@progbits,_ZN7rocprim17ROCPRIM_400000_NS6detail17trampoline_kernelINS0_14default_configENS1_35radix_sort_onesweep_config_selectorIffEEZZNS1_29radix_sort_onesweep_iterationIS3_Lb0EN6thrust23THRUST_200600_302600_NS6detail15normal_iteratorINS8_10device_ptrIfEEEESD_SD_SD_jNS0_19identity_decomposerENS1_16block_id_wrapperIjLb1EEEEE10hipError_tT1_PNSt15iterator_traitsISI_E10value_typeET2_T3_PNSJ_ISO_E10value_typeET4_T5_PST_SU_PNS1_23onesweep_lookback_stateEbbT6_jjT7_P12ihipStream_tbENKUlT_T0_SI_SN_E_clISD_SD_SD_SD_EEDaS11_S12_SI_SN_EUlS11_E_NS1_11comp_targetILNS1_3genE2ELNS1_11target_archE906ELNS1_3gpuE6ELNS1_3repE0EEENS1_47radix_sort_onesweep_sort_config_static_selectorELNS0_4arch9wavefront6targetE1EEEvSI_,comdat
	.protected	_ZN7rocprim17ROCPRIM_400000_NS6detail17trampoline_kernelINS0_14default_configENS1_35radix_sort_onesweep_config_selectorIffEEZZNS1_29radix_sort_onesweep_iterationIS3_Lb0EN6thrust23THRUST_200600_302600_NS6detail15normal_iteratorINS8_10device_ptrIfEEEESD_SD_SD_jNS0_19identity_decomposerENS1_16block_id_wrapperIjLb1EEEEE10hipError_tT1_PNSt15iterator_traitsISI_E10value_typeET2_T3_PNSJ_ISO_E10value_typeET4_T5_PST_SU_PNS1_23onesweep_lookback_stateEbbT6_jjT7_P12ihipStream_tbENKUlT_T0_SI_SN_E_clISD_SD_SD_SD_EEDaS11_S12_SI_SN_EUlS11_E_NS1_11comp_targetILNS1_3genE2ELNS1_11target_archE906ELNS1_3gpuE6ELNS1_3repE0EEENS1_47radix_sort_onesweep_sort_config_static_selectorELNS0_4arch9wavefront6targetE1EEEvSI_ ; -- Begin function _ZN7rocprim17ROCPRIM_400000_NS6detail17trampoline_kernelINS0_14default_configENS1_35radix_sort_onesweep_config_selectorIffEEZZNS1_29radix_sort_onesweep_iterationIS3_Lb0EN6thrust23THRUST_200600_302600_NS6detail15normal_iteratorINS8_10device_ptrIfEEEESD_SD_SD_jNS0_19identity_decomposerENS1_16block_id_wrapperIjLb1EEEEE10hipError_tT1_PNSt15iterator_traitsISI_E10value_typeET2_T3_PNSJ_ISO_E10value_typeET4_T5_PST_SU_PNS1_23onesweep_lookback_stateEbbT6_jjT7_P12ihipStream_tbENKUlT_T0_SI_SN_E_clISD_SD_SD_SD_EEDaS11_S12_SI_SN_EUlS11_E_NS1_11comp_targetILNS1_3genE2ELNS1_11target_archE906ELNS1_3gpuE6ELNS1_3repE0EEENS1_47radix_sort_onesweep_sort_config_static_selectorELNS0_4arch9wavefront6targetE1EEEvSI_
	.globl	_ZN7rocprim17ROCPRIM_400000_NS6detail17trampoline_kernelINS0_14default_configENS1_35radix_sort_onesweep_config_selectorIffEEZZNS1_29radix_sort_onesweep_iterationIS3_Lb0EN6thrust23THRUST_200600_302600_NS6detail15normal_iteratorINS8_10device_ptrIfEEEESD_SD_SD_jNS0_19identity_decomposerENS1_16block_id_wrapperIjLb1EEEEE10hipError_tT1_PNSt15iterator_traitsISI_E10value_typeET2_T3_PNSJ_ISO_E10value_typeET4_T5_PST_SU_PNS1_23onesweep_lookback_stateEbbT6_jjT7_P12ihipStream_tbENKUlT_T0_SI_SN_E_clISD_SD_SD_SD_EEDaS11_S12_SI_SN_EUlS11_E_NS1_11comp_targetILNS1_3genE2ELNS1_11target_archE906ELNS1_3gpuE6ELNS1_3repE0EEENS1_47radix_sort_onesweep_sort_config_static_selectorELNS0_4arch9wavefront6targetE1EEEvSI_
	.p2align	8
	.type	_ZN7rocprim17ROCPRIM_400000_NS6detail17trampoline_kernelINS0_14default_configENS1_35radix_sort_onesweep_config_selectorIffEEZZNS1_29radix_sort_onesweep_iterationIS3_Lb0EN6thrust23THRUST_200600_302600_NS6detail15normal_iteratorINS8_10device_ptrIfEEEESD_SD_SD_jNS0_19identity_decomposerENS1_16block_id_wrapperIjLb1EEEEE10hipError_tT1_PNSt15iterator_traitsISI_E10value_typeET2_T3_PNSJ_ISO_E10value_typeET4_T5_PST_SU_PNS1_23onesweep_lookback_stateEbbT6_jjT7_P12ihipStream_tbENKUlT_T0_SI_SN_E_clISD_SD_SD_SD_EEDaS11_S12_SI_SN_EUlS11_E_NS1_11comp_targetILNS1_3genE2ELNS1_11target_archE906ELNS1_3gpuE6ELNS1_3repE0EEENS1_47radix_sort_onesweep_sort_config_static_selectorELNS0_4arch9wavefront6targetE1EEEvSI_,@function
_ZN7rocprim17ROCPRIM_400000_NS6detail17trampoline_kernelINS0_14default_configENS1_35radix_sort_onesweep_config_selectorIffEEZZNS1_29radix_sort_onesweep_iterationIS3_Lb0EN6thrust23THRUST_200600_302600_NS6detail15normal_iteratorINS8_10device_ptrIfEEEESD_SD_SD_jNS0_19identity_decomposerENS1_16block_id_wrapperIjLb1EEEEE10hipError_tT1_PNSt15iterator_traitsISI_E10value_typeET2_T3_PNSJ_ISO_E10value_typeET4_T5_PST_SU_PNS1_23onesweep_lookback_stateEbbT6_jjT7_P12ihipStream_tbENKUlT_T0_SI_SN_E_clISD_SD_SD_SD_EEDaS11_S12_SI_SN_EUlS11_E_NS1_11comp_targetILNS1_3genE2ELNS1_11target_archE906ELNS1_3gpuE6ELNS1_3repE0EEENS1_47radix_sort_onesweep_sort_config_static_selectorELNS0_4arch9wavefront6targetE1EEEvSI_: ; @_ZN7rocprim17ROCPRIM_400000_NS6detail17trampoline_kernelINS0_14default_configENS1_35radix_sort_onesweep_config_selectorIffEEZZNS1_29radix_sort_onesweep_iterationIS3_Lb0EN6thrust23THRUST_200600_302600_NS6detail15normal_iteratorINS8_10device_ptrIfEEEESD_SD_SD_jNS0_19identity_decomposerENS1_16block_id_wrapperIjLb1EEEEE10hipError_tT1_PNSt15iterator_traitsISI_E10value_typeET2_T3_PNSJ_ISO_E10value_typeET4_T5_PST_SU_PNS1_23onesweep_lookback_stateEbbT6_jjT7_P12ihipStream_tbENKUlT_T0_SI_SN_E_clISD_SD_SD_SD_EEDaS11_S12_SI_SN_EUlS11_E_NS1_11comp_targetILNS1_3genE2ELNS1_11target_archE906ELNS1_3gpuE6ELNS1_3repE0EEENS1_47radix_sort_onesweep_sort_config_static_selectorELNS0_4arch9wavefront6targetE1EEEvSI_
; %bb.0:
	.section	.rodata,"a",@progbits
	.p2align	6, 0x0
	.amdhsa_kernel _ZN7rocprim17ROCPRIM_400000_NS6detail17trampoline_kernelINS0_14default_configENS1_35radix_sort_onesweep_config_selectorIffEEZZNS1_29radix_sort_onesweep_iterationIS3_Lb0EN6thrust23THRUST_200600_302600_NS6detail15normal_iteratorINS8_10device_ptrIfEEEESD_SD_SD_jNS0_19identity_decomposerENS1_16block_id_wrapperIjLb1EEEEE10hipError_tT1_PNSt15iterator_traitsISI_E10value_typeET2_T3_PNSJ_ISO_E10value_typeET4_T5_PST_SU_PNS1_23onesweep_lookback_stateEbbT6_jjT7_P12ihipStream_tbENKUlT_T0_SI_SN_E_clISD_SD_SD_SD_EEDaS11_S12_SI_SN_EUlS11_E_NS1_11comp_targetILNS1_3genE2ELNS1_11target_archE906ELNS1_3gpuE6ELNS1_3repE0EEENS1_47radix_sort_onesweep_sort_config_static_selectorELNS0_4arch9wavefront6targetE1EEEvSI_
		.amdhsa_group_segment_fixed_size 0
		.amdhsa_private_segment_fixed_size 0
		.amdhsa_kernarg_size 88
		.amdhsa_user_sgpr_count 2
		.amdhsa_user_sgpr_dispatch_ptr 0
		.amdhsa_user_sgpr_queue_ptr 0
		.amdhsa_user_sgpr_kernarg_segment_ptr 1
		.amdhsa_user_sgpr_dispatch_id 0
		.amdhsa_user_sgpr_kernarg_preload_length 0
		.amdhsa_user_sgpr_kernarg_preload_offset 0
		.amdhsa_user_sgpr_private_segment_size 0
		.amdhsa_uses_dynamic_stack 0
		.amdhsa_enable_private_segment 0
		.amdhsa_system_sgpr_workgroup_id_x 1
		.amdhsa_system_sgpr_workgroup_id_y 0
		.amdhsa_system_sgpr_workgroup_id_z 0
		.amdhsa_system_sgpr_workgroup_info 0
		.amdhsa_system_vgpr_workitem_id 0
		.amdhsa_next_free_vgpr 1
		.amdhsa_next_free_sgpr 0
		.amdhsa_accum_offset 4
		.amdhsa_reserve_vcc 0
		.amdhsa_float_round_mode_32 0
		.amdhsa_float_round_mode_16_64 0
		.amdhsa_float_denorm_mode_32 3
		.amdhsa_float_denorm_mode_16_64 3
		.amdhsa_dx10_clamp 1
		.amdhsa_ieee_mode 1
		.amdhsa_fp16_overflow 0
		.amdhsa_tg_split 0
		.amdhsa_exception_fp_ieee_invalid_op 0
		.amdhsa_exception_fp_denorm_src 0
		.amdhsa_exception_fp_ieee_div_zero 0
		.amdhsa_exception_fp_ieee_overflow 0
		.amdhsa_exception_fp_ieee_underflow 0
		.amdhsa_exception_fp_ieee_inexact 0
		.amdhsa_exception_int_div_zero 0
	.end_amdhsa_kernel
	.section	.text._ZN7rocprim17ROCPRIM_400000_NS6detail17trampoline_kernelINS0_14default_configENS1_35radix_sort_onesweep_config_selectorIffEEZZNS1_29radix_sort_onesweep_iterationIS3_Lb0EN6thrust23THRUST_200600_302600_NS6detail15normal_iteratorINS8_10device_ptrIfEEEESD_SD_SD_jNS0_19identity_decomposerENS1_16block_id_wrapperIjLb1EEEEE10hipError_tT1_PNSt15iterator_traitsISI_E10value_typeET2_T3_PNSJ_ISO_E10value_typeET4_T5_PST_SU_PNS1_23onesweep_lookback_stateEbbT6_jjT7_P12ihipStream_tbENKUlT_T0_SI_SN_E_clISD_SD_SD_SD_EEDaS11_S12_SI_SN_EUlS11_E_NS1_11comp_targetILNS1_3genE2ELNS1_11target_archE906ELNS1_3gpuE6ELNS1_3repE0EEENS1_47radix_sort_onesweep_sort_config_static_selectorELNS0_4arch9wavefront6targetE1EEEvSI_,"axG",@progbits,_ZN7rocprim17ROCPRIM_400000_NS6detail17trampoline_kernelINS0_14default_configENS1_35radix_sort_onesweep_config_selectorIffEEZZNS1_29radix_sort_onesweep_iterationIS3_Lb0EN6thrust23THRUST_200600_302600_NS6detail15normal_iteratorINS8_10device_ptrIfEEEESD_SD_SD_jNS0_19identity_decomposerENS1_16block_id_wrapperIjLb1EEEEE10hipError_tT1_PNSt15iterator_traitsISI_E10value_typeET2_T3_PNSJ_ISO_E10value_typeET4_T5_PST_SU_PNS1_23onesweep_lookback_stateEbbT6_jjT7_P12ihipStream_tbENKUlT_T0_SI_SN_E_clISD_SD_SD_SD_EEDaS11_S12_SI_SN_EUlS11_E_NS1_11comp_targetILNS1_3genE2ELNS1_11target_archE906ELNS1_3gpuE6ELNS1_3repE0EEENS1_47radix_sort_onesweep_sort_config_static_selectorELNS0_4arch9wavefront6targetE1EEEvSI_,comdat
.Lfunc_end308:
	.size	_ZN7rocprim17ROCPRIM_400000_NS6detail17trampoline_kernelINS0_14default_configENS1_35radix_sort_onesweep_config_selectorIffEEZZNS1_29radix_sort_onesweep_iterationIS3_Lb0EN6thrust23THRUST_200600_302600_NS6detail15normal_iteratorINS8_10device_ptrIfEEEESD_SD_SD_jNS0_19identity_decomposerENS1_16block_id_wrapperIjLb1EEEEE10hipError_tT1_PNSt15iterator_traitsISI_E10value_typeET2_T3_PNSJ_ISO_E10value_typeET4_T5_PST_SU_PNS1_23onesweep_lookback_stateEbbT6_jjT7_P12ihipStream_tbENKUlT_T0_SI_SN_E_clISD_SD_SD_SD_EEDaS11_S12_SI_SN_EUlS11_E_NS1_11comp_targetILNS1_3genE2ELNS1_11target_archE906ELNS1_3gpuE6ELNS1_3repE0EEENS1_47radix_sort_onesweep_sort_config_static_selectorELNS0_4arch9wavefront6targetE1EEEvSI_, .Lfunc_end308-_ZN7rocprim17ROCPRIM_400000_NS6detail17trampoline_kernelINS0_14default_configENS1_35radix_sort_onesweep_config_selectorIffEEZZNS1_29radix_sort_onesweep_iterationIS3_Lb0EN6thrust23THRUST_200600_302600_NS6detail15normal_iteratorINS8_10device_ptrIfEEEESD_SD_SD_jNS0_19identity_decomposerENS1_16block_id_wrapperIjLb1EEEEE10hipError_tT1_PNSt15iterator_traitsISI_E10value_typeET2_T3_PNSJ_ISO_E10value_typeET4_T5_PST_SU_PNS1_23onesweep_lookback_stateEbbT6_jjT7_P12ihipStream_tbENKUlT_T0_SI_SN_E_clISD_SD_SD_SD_EEDaS11_S12_SI_SN_EUlS11_E_NS1_11comp_targetILNS1_3genE2ELNS1_11target_archE906ELNS1_3gpuE6ELNS1_3repE0EEENS1_47radix_sort_onesweep_sort_config_static_selectorELNS0_4arch9wavefront6targetE1EEEvSI_
                                        ; -- End function
	.set _ZN7rocprim17ROCPRIM_400000_NS6detail17trampoline_kernelINS0_14default_configENS1_35radix_sort_onesweep_config_selectorIffEEZZNS1_29radix_sort_onesweep_iterationIS3_Lb0EN6thrust23THRUST_200600_302600_NS6detail15normal_iteratorINS8_10device_ptrIfEEEESD_SD_SD_jNS0_19identity_decomposerENS1_16block_id_wrapperIjLb1EEEEE10hipError_tT1_PNSt15iterator_traitsISI_E10value_typeET2_T3_PNSJ_ISO_E10value_typeET4_T5_PST_SU_PNS1_23onesweep_lookback_stateEbbT6_jjT7_P12ihipStream_tbENKUlT_T0_SI_SN_E_clISD_SD_SD_SD_EEDaS11_S12_SI_SN_EUlS11_E_NS1_11comp_targetILNS1_3genE2ELNS1_11target_archE906ELNS1_3gpuE6ELNS1_3repE0EEENS1_47radix_sort_onesweep_sort_config_static_selectorELNS0_4arch9wavefront6targetE1EEEvSI_.num_vgpr, 0
	.set _ZN7rocprim17ROCPRIM_400000_NS6detail17trampoline_kernelINS0_14default_configENS1_35radix_sort_onesweep_config_selectorIffEEZZNS1_29radix_sort_onesweep_iterationIS3_Lb0EN6thrust23THRUST_200600_302600_NS6detail15normal_iteratorINS8_10device_ptrIfEEEESD_SD_SD_jNS0_19identity_decomposerENS1_16block_id_wrapperIjLb1EEEEE10hipError_tT1_PNSt15iterator_traitsISI_E10value_typeET2_T3_PNSJ_ISO_E10value_typeET4_T5_PST_SU_PNS1_23onesweep_lookback_stateEbbT6_jjT7_P12ihipStream_tbENKUlT_T0_SI_SN_E_clISD_SD_SD_SD_EEDaS11_S12_SI_SN_EUlS11_E_NS1_11comp_targetILNS1_3genE2ELNS1_11target_archE906ELNS1_3gpuE6ELNS1_3repE0EEENS1_47radix_sort_onesweep_sort_config_static_selectorELNS0_4arch9wavefront6targetE1EEEvSI_.num_agpr, 0
	.set _ZN7rocprim17ROCPRIM_400000_NS6detail17trampoline_kernelINS0_14default_configENS1_35radix_sort_onesweep_config_selectorIffEEZZNS1_29radix_sort_onesweep_iterationIS3_Lb0EN6thrust23THRUST_200600_302600_NS6detail15normal_iteratorINS8_10device_ptrIfEEEESD_SD_SD_jNS0_19identity_decomposerENS1_16block_id_wrapperIjLb1EEEEE10hipError_tT1_PNSt15iterator_traitsISI_E10value_typeET2_T3_PNSJ_ISO_E10value_typeET4_T5_PST_SU_PNS1_23onesweep_lookback_stateEbbT6_jjT7_P12ihipStream_tbENKUlT_T0_SI_SN_E_clISD_SD_SD_SD_EEDaS11_S12_SI_SN_EUlS11_E_NS1_11comp_targetILNS1_3genE2ELNS1_11target_archE906ELNS1_3gpuE6ELNS1_3repE0EEENS1_47radix_sort_onesweep_sort_config_static_selectorELNS0_4arch9wavefront6targetE1EEEvSI_.numbered_sgpr, 0
	.set _ZN7rocprim17ROCPRIM_400000_NS6detail17trampoline_kernelINS0_14default_configENS1_35radix_sort_onesweep_config_selectorIffEEZZNS1_29radix_sort_onesweep_iterationIS3_Lb0EN6thrust23THRUST_200600_302600_NS6detail15normal_iteratorINS8_10device_ptrIfEEEESD_SD_SD_jNS0_19identity_decomposerENS1_16block_id_wrapperIjLb1EEEEE10hipError_tT1_PNSt15iterator_traitsISI_E10value_typeET2_T3_PNSJ_ISO_E10value_typeET4_T5_PST_SU_PNS1_23onesweep_lookback_stateEbbT6_jjT7_P12ihipStream_tbENKUlT_T0_SI_SN_E_clISD_SD_SD_SD_EEDaS11_S12_SI_SN_EUlS11_E_NS1_11comp_targetILNS1_3genE2ELNS1_11target_archE906ELNS1_3gpuE6ELNS1_3repE0EEENS1_47radix_sort_onesweep_sort_config_static_selectorELNS0_4arch9wavefront6targetE1EEEvSI_.num_named_barrier, 0
	.set _ZN7rocprim17ROCPRIM_400000_NS6detail17trampoline_kernelINS0_14default_configENS1_35radix_sort_onesweep_config_selectorIffEEZZNS1_29radix_sort_onesweep_iterationIS3_Lb0EN6thrust23THRUST_200600_302600_NS6detail15normal_iteratorINS8_10device_ptrIfEEEESD_SD_SD_jNS0_19identity_decomposerENS1_16block_id_wrapperIjLb1EEEEE10hipError_tT1_PNSt15iterator_traitsISI_E10value_typeET2_T3_PNSJ_ISO_E10value_typeET4_T5_PST_SU_PNS1_23onesweep_lookback_stateEbbT6_jjT7_P12ihipStream_tbENKUlT_T0_SI_SN_E_clISD_SD_SD_SD_EEDaS11_S12_SI_SN_EUlS11_E_NS1_11comp_targetILNS1_3genE2ELNS1_11target_archE906ELNS1_3gpuE6ELNS1_3repE0EEENS1_47radix_sort_onesweep_sort_config_static_selectorELNS0_4arch9wavefront6targetE1EEEvSI_.private_seg_size, 0
	.set _ZN7rocprim17ROCPRIM_400000_NS6detail17trampoline_kernelINS0_14default_configENS1_35radix_sort_onesweep_config_selectorIffEEZZNS1_29radix_sort_onesweep_iterationIS3_Lb0EN6thrust23THRUST_200600_302600_NS6detail15normal_iteratorINS8_10device_ptrIfEEEESD_SD_SD_jNS0_19identity_decomposerENS1_16block_id_wrapperIjLb1EEEEE10hipError_tT1_PNSt15iterator_traitsISI_E10value_typeET2_T3_PNSJ_ISO_E10value_typeET4_T5_PST_SU_PNS1_23onesweep_lookback_stateEbbT6_jjT7_P12ihipStream_tbENKUlT_T0_SI_SN_E_clISD_SD_SD_SD_EEDaS11_S12_SI_SN_EUlS11_E_NS1_11comp_targetILNS1_3genE2ELNS1_11target_archE906ELNS1_3gpuE6ELNS1_3repE0EEENS1_47radix_sort_onesweep_sort_config_static_selectorELNS0_4arch9wavefront6targetE1EEEvSI_.uses_vcc, 0
	.set _ZN7rocprim17ROCPRIM_400000_NS6detail17trampoline_kernelINS0_14default_configENS1_35radix_sort_onesweep_config_selectorIffEEZZNS1_29radix_sort_onesweep_iterationIS3_Lb0EN6thrust23THRUST_200600_302600_NS6detail15normal_iteratorINS8_10device_ptrIfEEEESD_SD_SD_jNS0_19identity_decomposerENS1_16block_id_wrapperIjLb1EEEEE10hipError_tT1_PNSt15iterator_traitsISI_E10value_typeET2_T3_PNSJ_ISO_E10value_typeET4_T5_PST_SU_PNS1_23onesweep_lookback_stateEbbT6_jjT7_P12ihipStream_tbENKUlT_T0_SI_SN_E_clISD_SD_SD_SD_EEDaS11_S12_SI_SN_EUlS11_E_NS1_11comp_targetILNS1_3genE2ELNS1_11target_archE906ELNS1_3gpuE6ELNS1_3repE0EEENS1_47radix_sort_onesweep_sort_config_static_selectorELNS0_4arch9wavefront6targetE1EEEvSI_.uses_flat_scratch, 0
	.set _ZN7rocprim17ROCPRIM_400000_NS6detail17trampoline_kernelINS0_14default_configENS1_35radix_sort_onesweep_config_selectorIffEEZZNS1_29radix_sort_onesweep_iterationIS3_Lb0EN6thrust23THRUST_200600_302600_NS6detail15normal_iteratorINS8_10device_ptrIfEEEESD_SD_SD_jNS0_19identity_decomposerENS1_16block_id_wrapperIjLb1EEEEE10hipError_tT1_PNSt15iterator_traitsISI_E10value_typeET2_T3_PNSJ_ISO_E10value_typeET4_T5_PST_SU_PNS1_23onesweep_lookback_stateEbbT6_jjT7_P12ihipStream_tbENKUlT_T0_SI_SN_E_clISD_SD_SD_SD_EEDaS11_S12_SI_SN_EUlS11_E_NS1_11comp_targetILNS1_3genE2ELNS1_11target_archE906ELNS1_3gpuE6ELNS1_3repE0EEENS1_47radix_sort_onesweep_sort_config_static_selectorELNS0_4arch9wavefront6targetE1EEEvSI_.has_dyn_sized_stack, 0
	.set _ZN7rocprim17ROCPRIM_400000_NS6detail17trampoline_kernelINS0_14default_configENS1_35radix_sort_onesweep_config_selectorIffEEZZNS1_29radix_sort_onesweep_iterationIS3_Lb0EN6thrust23THRUST_200600_302600_NS6detail15normal_iteratorINS8_10device_ptrIfEEEESD_SD_SD_jNS0_19identity_decomposerENS1_16block_id_wrapperIjLb1EEEEE10hipError_tT1_PNSt15iterator_traitsISI_E10value_typeET2_T3_PNSJ_ISO_E10value_typeET4_T5_PST_SU_PNS1_23onesweep_lookback_stateEbbT6_jjT7_P12ihipStream_tbENKUlT_T0_SI_SN_E_clISD_SD_SD_SD_EEDaS11_S12_SI_SN_EUlS11_E_NS1_11comp_targetILNS1_3genE2ELNS1_11target_archE906ELNS1_3gpuE6ELNS1_3repE0EEENS1_47radix_sort_onesweep_sort_config_static_selectorELNS0_4arch9wavefront6targetE1EEEvSI_.has_recursion, 0
	.set _ZN7rocprim17ROCPRIM_400000_NS6detail17trampoline_kernelINS0_14default_configENS1_35radix_sort_onesweep_config_selectorIffEEZZNS1_29radix_sort_onesweep_iterationIS3_Lb0EN6thrust23THRUST_200600_302600_NS6detail15normal_iteratorINS8_10device_ptrIfEEEESD_SD_SD_jNS0_19identity_decomposerENS1_16block_id_wrapperIjLb1EEEEE10hipError_tT1_PNSt15iterator_traitsISI_E10value_typeET2_T3_PNSJ_ISO_E10value_typeET4_T5_PST_SU_PNS1_23onesweep_lookback_stateEbbT6_jjT7_P12ihipStream_tbENKUlT_T0_SI_SN_E_clISD_SD_SD_SD_EEDaS11_S12_SI_SN_EUlS11_E_NS1_11comp_targetILNS1_3genE2ELNS1_11target_archE906ELNS1_3gpuE6ELNS1_3repE0EEENS1_47radix_sort_onesweep_sort_config_static_selectorELNS0_4arch9wavefront6targetE1EEEvSI_.has_indirect_call, 0
	.section	.AMDGPU.csdata,"",@progbits
; Kernel info:
; codeLenInByte = 0
; TotalNumSgprs: 6
; NumVgprs: 0
; NumAgprs: 0
; TotalNumVgprs: 0
; ScratchSize: 0
; MemoryBound: 0
; FloatMode: 240
; IeeeMode: 1
; LDSByteSize: 0 bytes/workgroup (compile time only)
; SGPRBlocks: 0
; VGPRBlocks: 0
; NumSGPRsForWavesPerEU: 6
; NumVGPRsForWavesPerEU: 1
; AccumOffset: 4
; Occupancy: 8
; WaveLimiterHint : 0
; COMPUTE_PGM_RSRC2:SCRATCH_EN: 0
; COMPUTE_PGM_RSRC2:USER_SGPR: 2
; COMPUTE_PGM_RSRC2:TRAP_HANDLER: 0
; COMPUTE_PGM_RSRC2:TGID_X_EN: 1
; COMPUTE_PGM_RSRC2:TGID_Y_EN: 0
; COMPUTE_PGM_RSRC2:TGID_Z_EN: 0
; COMPUTE_PGM_RSRC2:TIDIG_COMP_CNT: 0
; COMPUTE_PGM_RSRC3_GFX90A:ACCUM_OFFSET: 0
; COMPUTE_PGM_RSRC3_GFX90A:TG_SPLIT: 0
	.section	.text._ZN7rocprim17ROCPRIM_400000_NS6detail17trampoline_kernelINS0_14default_configENS1_35radix_sort_onesweep_config_selectorIffEEZZNS1_29radix_sort_onesweep_iterationIS3_Lb0EN6thrust23THRUST_200600_302600_NS6detail15normal_iteratorINS8_10device_ptrIfEEEESD_SD_SD_jNS0_19identity_decomposerENS1_16block_id_wrapperIjLb1EEEEE10hipError_tT1_PNSt15iterator_traitsISI_E10value_typeET2_T3_PNSJ_ISO_E10value_typeET4_T5_PST_SU_PNS1_23onesweep_lookback_stateEbbT6_jjT7_P12ihipStream_tbENKUlT_T0_SI_SN_E_clISD_SD_SD_SD_EEDaS11_S12_SI_SN_EUlS11_E_NS1_11comp_targetILNS1_3genE4ELNS1_11target_archE910ELNS1_3gpuE8ELNS1_3repE0EEENS1_47radix_sort_onesweep_sort_config_static_selectorELNS0_4arch9wavefront6targetE1EEEvSI_,"axG",@progbits,_ZN7rocprim17ROCPRIM_400000_NS6detail17trampoline_kernelINS0_14default_configENS1_35radix_sort_onesweep_config_selectorIffEEZZNS1_29radix_sort_onesweep_iterationIS3_Lb0EN6thrust23THRUST_200600_302600_NS6detail15normal_iteratorINS8_10device_ptrIfEEEESD_SD_SD_jNS0_19identity_decomposerENS1_16block_id_wrapperIjLb1EEEEE10hipError_tT1_PNSt15iterator_traitsISI_E10value_typeET2_T3_PNSJ_ISO_E10value_typeET4_T5_PST_SU_PNS1_23onesweep_lookback_stateEbbT6_jjT7_P12ihipStream_tbENKUlT_T0_SI_SN_E_clISD_SD_SD_SD_EEDaS11_S12_SI_SN_EUlS11_E_NS1_11comp_targetILNS1_3genE4ELNS1_11target_archE910ELNS1_3gpuE8ELNS1_3repE0EEENS1_47radix_sort_onesweep_sort_config_static_selectorELNS0_4arch9wavefront6targetE1EEEvSI_,comdat
	.protected	_ZN7rocprim17ROCPRIM_400000_NS6detail17trampoline_kernelINS0_14default_configENS1_35radix_sort_onesweep_config_selectorIffEEZZNS1_29radix_sort_onesweep_iterationIS3_Lb0EN6thrust23THRUST_200600_302600_NS6detail15normal_iteratorINS8_10device_ptrIfEEEESD_SD_SD_jNS0_19identity_decomposerENS1_16block_id_wrapperIjLb1EEEEE10hipError_tT1_PNSt15iterator_traitsISI_E10value_typeET2_T3_PNSJ_ISO_E10value_typeET4_T5_PST_SU_PNS1_23onesweep_lookback_stateEbbT6_jjT7_P12ihipStream_tbENKUlT_T0_SI_SN_E_clISD_SD_SD_SD_EEDaS11_S12_SI_SN_EUlS11_E_NS1_11comp_targetILNS1_3genE4ELNS1_11target_archE910ELNS1_3gpuE8ELNS1_3repE0EEENS1_47radix_sort_onesweep_sort_config_static_selectorELNS0_4arch9wavefront6targetE1EEEvSI_ ; -- Begin function _ZN7rocprim17ROCPRIM_400000_NS6detail17trampoline_kernelINS0_14default_configENS1_35radix_sort_onesweep_config_selectorIffEEZZNS1_29radix_sort_onesweep_iterationIS3_Lb0EN6thrust23THRUST_200600_302600_NS6detail15normal_iteratorINS8_10device_ptrIfEEEESD_SD_SD_jNS0_19identity_decomposerENS1_16block_id_wrapperIjLb1EEEEE10hipError_tT1_PNSt15iterator_traitsISI_E10value_typeET2_T3_PNSJ_ISO_E10value_typeET4_T5_PST_SU_PNS1_23onesweep_lookback_stateEbbT6_jjT7_P12ihipStream_tbENKUlT_T0_SI_SN_E_clISD_SD_SD_SD_EEDaS11_S12_SI_SN_EUlS11_E_NS1_11comp_targetILNS1_3genE4ELNS1_11target_archE910ELNS1_3gpuE8ELNS1_3repE0EEENS1_47radix_sort_onesweep_sort_config_static_selectorELNS0_4arch9wavefront6targetE1EEEvSI_
	.globl	_ZN7rocprim17ROCPRIM_400000_NS6detail17trampoline_kernelINS0_14default_configENS1_35radix_sort_onesweep_config_selectorIffEEZZNS1_29radix_sort_onesweep_iterationIS3_Lb0EN6thrust23THRUST_200600_302600_NS6detail15normal_iteratorINS8_10device_ptrIfEEEESD_SD_SD_jNS0_19identity_decomposerENS1_16block_id_wrapperIjLb1EEEEE10hipError_tT1_PNSt15iterator_traitsISI_E10value_typeET2_T3_PNSJ_ISO_E10value_typeET4_T5_PST_SU_PNS1_23onesweep_lookback_stateEbbT6_jjT7_P12ihipStream_tbENKUlT_T0_SI_SN_E_clISD_SD_SD_SD_EEDaS11_S12_SI_SN_EUlS11_E_NS1_11comp_targetILNS1_3genE4ELNS1_11target_archE910ELNS1_3gpuE8ELNS1_3repE0EEENS1_47radix_sort_onesweep_sort_config_static_selectorELNS0_4arch9wavefront6targetE1EEEvSI_
	.p2align	8
	.type	_ZN7rocprim17ROCPRIM_400000_NS6detail17trampoline_kernelINS0_14default_configENS1_35radix_sort_onesweep_config_selectorIffEEZZNS1_29radix_sort_onesweep_iterationIS3_Lb0EN6thrust23THRUST_200600_302600_NS6detail15normal_iteratorINS8_10device_ptrIfEEEESD_SD_SD_jNS0_19identity_decomposerENS1_16block_id_wrapperIjLb1EEEEE10hipError_tT1_PNSt15iterator_traitsISI_E10value_typeET2_T3_PNSJ_ISO_E10value_typeET4_T5_PST_SU_PNS1_23onesweep_lookback_stateEbbT6_jjT7_P12ihipStream_tbENKUlT_T0_SI_SN_E_clISD_SD_SD_SD_EEDaS11_S12_SI_SN_EUlS11_E_NS1_11comp_targetILNS1_3genE4ELNS1_11target_archE910ELNS1_3gpuE8ELNS1_3repE0EEENS1_47radix_sort_onesweep_sort_config_static_selectorELNS0_4arch9wavefront6targetE1EEEvSI_,@function
_ZN7rocprim17ROCPRIM_400000_NS6detail17trampoline_kernelINS0_14default_configENS1_35radix_sort_onesweep_config_selectorIffEEZZNS1_29radix_sort_onesweep_iterationIS3_Lb0EN6thrust23THRUST_200600_302600_NS6detail15normal_iteratorINS8_10device_ptrIfEEEESD_SD_SD_jNS0_19identity_decomposerENS1_16block_id_wrapperIjLb1EEEEE10hipError_tT1_PNSt15iterator_traitsISI_E10value_typeET2_T3_PNSJ_ISO_E10value_typeET4_T5_PST_SU_PNS1_23onesweep_lookback_stateEbbT6_jjT7_P12ihipStream_tbENKUlT_T0_SI_SN_E_clISD_SD_SD_SD_EEDaS11_S12_SI_SN_EUlS11_E_NS1_11comp_targetILNS1_3genE4ELNS1_11target_archE910ELNS1_3gpuE8ELNS1_3repE0EEENS1_47radix_sort_onesweep_sort_config_static_selectorELNS0_4arch9wavefront6targetE1EEEvSI_: ; @_ZN7rocprim17ROCPRIM_400000_NS6detail17trampoline_kernelINS0_14default_configENS1_35radix_sort_onesweep_config_selectorIffEEZZNS1_29radix_sort_onesweep_iterationIS3_Lb0EN6thrust23THRUST_200600_302600_NS6detail15normal_iteratorINS8_10device_ptrIfEEEESD_SD_SD_jNS0_19identity_decomposerENS1_16block_id_wrapperIjLb1EEEEE10hipError_tT1_PNSt15iterator_traitsISI_E10value_typeET2_T3_PNSJ_ISO_E10value_typeET4_T5_PST_SU_PNS1_23onesweep_lookback_stateEbbT6_jjT7_P12ihipStream_tbENKUlT_T0_SI_SN_E_clISD_SD_SD_SD_EEDaS11_S12_SI_SN_EUlS11_E_NS1_11comp_targetILNS1_3genE4ELNS1_11target_archE910ELNS1_3gpuE8ELNS1_3repE0EEENS1_47radix_sort_onesweep_sort_config_static_selectorELNS0_4arch9wavefront6targetE1EEEvSI_
; %bb.0:
	.section	.rodata,"a",@progbits
	.p2align	6, 0x0
	.amdhsa_kernel _ZN7rocprim17ROCPRIM_400000_NS6detail17trampoline_kernelINS0_14default_configENS1_35radix_sort_onesweep_config_selectorIffEEZZNS1_29radix_sort_onesweep_iterationIS3_Lb0EN6thrust23THRUST_200600_302600_NS6detail15normal_iteratorINS8_10device_ptrIfEEEESD_SD_SD_jNS0_19identity_decomposerENS1_16block_id_wrapperIjLb1EEEEE10hipError_tT1_PNSt15iterator_traitsISI_E10value_typeET2_T3_PNSJ_ISO_E10value_typeET4_T5_PST_SU_PNS1_23onesweep_lookback_stateEbbT6_jjT7_P12ihipStream_tbENKUlT_T0_SI_SN_E_clISD_SD_SD_SD_EEDaS11_S12_SI_SN_EUlS11_E_NS1_11comp_targetILNS1_3genE4ELNS1_11target_archE910ELNS1_3gpuE8ELNS1_3repE0EEENS1_47radix_sort_onesweep_sort_config_static_selectorELNS0_4arch9wavefront6targetE1EEEvSI_
		.amdhsa_group_segment_fixed_size 0
		.amdhsa_private_segment_fixed_size 0
		.amdhsa_kernarg_size 88
		.amdhsa_user_sgpr_count 2
		.amdhsa_user_sgpr_dispatch_ptr 0
		.amdhsa_user_sgpr_queue_ptr 0
		.amdhsa_user_sgpr_kernarg_segment_ptr 1
		.amdhsa_user_sgpr_dispatch_id 0
		.amdhsa_user_sgpr_kernarg_preload_length 0
		.amdhsa_user_sgpr_kernarg_preload_offset 0
		.amdhsa_user_sgpr_private_segment_size 0
		.amdhsa_uses_dynamic_stack 0
		.amdhsa_enable_private_segment 0
		.amdhsa_system_sgpr_workgroup_id_x 1
		.amdhsa_system_sgpr_workgroup_id_y 0
		.amdhsa_system_sgpr_workgroup_id_z 0
		.amdhsa_system_sgpr_workgroup_info 0
		.amdhsa_system_vgpr_workitem_id 0
		.amdhsa_next_free_vgpr 1
		.amdhsa_next_free_sgpr 0
		.amdhsa_accum_offset 4
		.amdhsa_reserve_vcc 0
		.amdhsa_float_round_mode_32 0
		.amdhsa_float_round_mode_16_64 0
		.amdhsa_float_denorm_mode_32 3
		.amdhsa_float_denorm_mode_16_64 3
		.amdhsa_dx10_clamp 1
		.amdhsa_ieee_mode 1
		.amdhsa_fp16_overflow 0
		.amdhsa_tg_split 0
		.amdhsa_exception_fp_ieee_invalid_op 0
		.amdhsa_exception_fp_denorm_src 0
		.amdhsa_exception_fp_ieee_div_zero 0
		.amdhsa_exception_fp_ieee_overflow 0
		.amdhsa_exception_fp_ieee_underflow 0
		.amdhsa_exception_fp_ieee_inexact 0
		.amdhsa_exception_int_div_zero 0
	.end_amdhsa_kernel
	.section	.text._ZN7rocprim17ROCPRIM_400000_NS6detail17trampoline_kernelINS0_14default_configENS1_35radix_sort_onesweep_config_selectorIffEEZZNS1_29radix_sort_onesweep_iterationIS3_Lb0EN6thrust23THRUST_200600_302600_NS6detail15normal_iteratorINS8_10device_ptrIfEEEESD_SD_SD_jNS0_19identity_decomposerENS1_16block_id_wrapperIjLb1EEEEE10hipError_tT1_PNSt15iterator_traitsISI_E10value_typeET2_T3_PNSJ_ISO_E10value_typeET4_T5_PST_SU_PNS1_23onesweep_lookback_stateEbbT6_jjT7_P12ihipStream_tbENKUlT_T0_SI_SN_E_clISD_SD_SD_SD_EEDaS11_S12_SI_SN_EUlS11_E_NS1_11comp_targetILNS1_3genE4ELNS1_11target_archE910ELNS1_3gpuE8ELNS1_3repE0EEENS1_47radix_sort_onesweep_sort_config_static_selectorELNS0_4arch9wavefront6targetE1EEEvSI_,"axG",@progbits,_ZN7rocprim17ROCPRIM_400000_NS6detail17trampoline_kernelINS0_14default_configENS1_35radix_sort_onesweep_config_selectorIffEEZZNS1_29radix_sort_onesweep_iterationIS3_Lb0EN6thrust23THRUST_200600_302600_NS6detail15normal_iteratorINS8_10device_ptrIfEEEESD_SD_SD_jNS0_19identity_decomposerENS1_16block_id_wrapperIjLb1EEEEE10hipError_tT1_PNSt15iterator_traitsISI_E10value_typeET2_T3_PNSJ_ISO_E10value_typeET4_T5_PST_SU_PNS1_23onesweep_lookback_stateEbbT6_jjT7_P12ihipStream_tbENKUlT_T0_SI_SN_E_clISD_SD_SD_SD_EEDaS11_S12_SI_SN_EUlS11_E_NS1_11comp_targetILNS1_3genE4ELNS1_11target_archE910ELNS1_3gpuE8ELNS1_3repE0EEENS1_47radix_sort_onesweep_sort_config_static_selectorELNS0_4arch9wavefront6targetE1EEEvSI_,comdat
.Lfunc_end309:
	.size	_ZN7rocprim17ROCPRIM_400000_NS6detail17trampoline_kernelINS0_14default_configENS1_35radix_sort_onesweep_config_selectorIffEEZZNS1_29radix_sort_onesweep_iterationIS3_Lb0EN6thrust23THRUST_200600_302600_NS6detail15normal_iteratorINS8_10device_ptrIfEEEESD_SD_SD_jNS0_19identity_decomposerENS1_16block_id_wrapperIjLb1EEEEE10hipError_tT1_PNSt15iterator_traitsISI_E10value_typeET2_T3_PNSJ_ISO_E10value_typeET4_T5_PST_SU_PNS1_23onesweep_lookback_stateEbbT6_jjT7_P12ihipStream_tbENKUlT_T0_SI_SN_E_clISD_SD_SD_SD_EEDaS11_S12_SI_SN_EUlS11_E_NS1_11comp_targetILNS1_3genE4ELNS1_11target_archE910ELNS1_3gpuE8ELNS1_3repE0EEENS1_47radix_sort_onesweep_sort_config_static_selectorELNS0_4arch9wavefront6targetE1EEEvSI_, .Lfunc_end309-_ZN7rocprim17ROCPRIM_400000_NS6detail17trampoline_kernelINS0_14default_configENS1_35radix_sort_onesweep_config_selectorIffEEZZNS1_29radix_sort_onesweep_iterationIS3_Lb0EN6thrust23THRUST_200600_302600_NS6detail15normal_iteratorINS8_10device_ptrIfEEEESD_SD_SD_jNS0_19identity_decomposerENS1_16block_id_wrapperIjLb1EEEEE10hipError_tT1_PNSt15iterator_traitsISI_E10value_typeET2_T3_PNSJ_ISO_E10value_typeET4_T5_PST_SU_PNS1_23onesweep_lookback_stateEbbT6_jjT7_P12ihipStream_tbENKUlT_T0_SI_SN_E_clISD_SD_SD_SD_EEDaS11_S12_SI_SN_EUlS11_E_NS1_11comp_targetILNS1_3genE4ELNS1_11target_archE910ELNS1_3gpuE8ELNS1_3repE0EEENS1_47radix_sort_onesweep_sort_config_static_selectorELNS0_4arch9wavefront6targetE1EEEvSI_
                                        ; -- End function
	.set _ZN7rocprim17ROCPRIM_400000_NS6detail17trampoline_kernelINS0_14default_configENS1_35radix_sort_onesweep_config_selectorIffEEZZNS1_29radix_sort_onesweep_iterationIS3_Lb0EN6thrust23THRUST_200600_302600_NS6detail15normal_iteratorINS8_10device_ptrIfEEEESD_SD_SD_jNS0_19identity_decomposerENS1_16block_id_wrapperIjLb1EEEEE10hipError_tT1_PNSt15iterator_traitsISI_E10value_typeET2_T3_PNSJ_ISO_E10value_typeET4_T5_PST_SU_PNS1_23onesweep_lookback_stateEbbT6_jjT7_P12ihipStream_tbENKUlT_T0_SI_SN_E_clISD_SD_SD_SD_EEDaS11_S12_SI_SN_EUlS11_E_NS1_11comp_targetILNS1_3genE4ELNS1_11target_archE910ELNS1_3gpuE8ELNS1_3repE0EEENS1_47radix_sort_onesweep_sort_config_static_selectorELNS0_4arch9wavefront6targetE1EEEvSI_.num_vgpr, 0
	.set _ZN7rocprim17ROCPRIM_400000_NS6detail17trampoline_kernelINS0_14default_configENS1_35radix_sort_onesweep_config_selectorIffEEZZNS1_29radix_sort_onesweep_iterationIS3_Lb0EN6thrust23THRUST_200600_302600_NS6detail15normal_iteratorINS8_10device_ptrIfEEEESD_SD_SD_jNS0_19identity_decomposerENS1_16block_id_wrapperIjLb1EEEEE10hipError_tT1_PNSt15iterator_traitsISI_E10value_typeET2_T3_PNSJ_ISO_E10value_typeET4_T5_PST_SU_PNS1_23onesweep_lookback_stateEbbT6_jjT7_P12ihipStream_tbENKUlT_T0_SI_SN_E_clISD_SD_SD_SD_EEDaS11_S12_SI_SN_EUlS11_E_NS1_11comp_targetILNS1_3genE4ELNS1_11target_archE910ELNS1_3gpuE8ELNS1_3repE0EEENS1_47radix_sort_onesweep_sort_config_static_selectorELNS0_4arch9wavefront6targetE1EEEvSI_.num_agpr, 0
	.set _ZN7rocprim17ROCPRIM_400000_NS6detail17trampoline_kernelINS0_14default_configENS1_35radix_sort_onesweep_config_selectorIffEEZZNS1_29radix_sort_onesweep_iterationIS3_Lb0EN6thrust23THRUST_200600_302600_NS6detail15normal_iteratorINS8_10device_ptrIfEEEESD_SD_SD_jNS0_19identity_decomposerENS1_16block_id_wrapperIjLb1EEEEE10hipError_tT1_PNSt15iterator_traitsISI_E10value_typeET2_T3_PNSJ_ISO_E10value_typeET4_T5_PST_SU_PNS1_23onesweep_lookback_stateEbbT6_jjT7_P12ihipStream_tbENKUlT_T0_SI_SN_E_clISD_SD_SD_SD_EEDaS11_S12_SI_SN_EUlS11_E_NS1_11comp_targetILNS1_3genE4ELNS1_11target_archE910ELNS1_3gpuE8ELNS1_3repE0EEENS1_47radix_sort_onesweep_sort_config_static_selectorELNS0_4arch9wavefront6targetE1EEEvSI_.numbered_sgpr, 0
	.set _ZN7rocprim17ROCPRIM_400000_NS6detail17trampoline_kernelINS0_14default_configENS1_35radix_sort_onesweep_config_selectorIffEEZZNS1_29radix_sort_onesweep_iterationIS3_Lb0EN6thrust23THRUST_200600_302600_NS6detail15normal_iteratorINS8_10device_ptrIfEEEESD_SD_SD_jNS0_19identity_decomposerENS1_16block_id_wrapperIjLb1EEEEE10hipError_tT1_PNSt15iterator_traitsISI_E10value_typeET2_T3_PNSJ_ISO_E10value_typeET4_T5_PST_SU_PNS1_23onesweep_lookback_stateEbbT6_jjT7_P12ihipStream_tbENKUlT_T0_SI_SN_E_clISD_SD_SD_SD_EEDaS11_S12_SI_SN_EUlS11_E_NS1_11comp_targetILNS1_3genE4ELNS1_11target_archE910ELNS1_3gpuE8ELNS1_3repE0EEENS1_47radix_sort_onesweep_sort_config_static_selectorELNS0_4arch9wavefront6targetE1EEEvSI_.num_named_barrier, 0
	.set _ZN7rocprim17ROCPRIM_400000_NS6detail17trampoline_kernelINS0_14default_configENS1_35radix_sort_onesweep_config_selectorIffEEZZNS1_29radix_sort_onesweep_iterationIS3_Lb0EN6thrust23THRUST_200600_302600_NS6detail15normal_iteratorINS8_10device_ptrIfEEEESD_SD_SD_jNS0_19identity_decomposerENS1_16block_id_wrapperIjLb1EEEEE10hipError_tT1_PNSt15iterator_traitsISI_E10value_typeET2_T3_PNSJ_ISO_E10value_typeET4_T5_PST_SU_PNS1_23onesweep_lookback_stateEbbT6_jjT7_P12ihipStream_tbENKUlT_T0_SI_SN_E_clISD_SD_SD_SD_EEDaS11_S12_SI_SN_EUlS11_E_NS1_11comp_targetILNS1_3genE4ELNS1_11target_archE910ELNS1_3gpuE8ELNS1_3repE0EEENS1_47radix_sort_onesweep_sort_config_static_selectorELNS0_4arch9wavefront6targetE1EEEvSI_.private_seg_size, 0
	.set _ZN7rocprim17ROCPRIM_400000_NS6detail17trampoline_kernelINS0_14default_configENS1_35radix_sort_onesweep_config_selectorIffEEZZNS1_29radix_sort_onesweep_iterationIS3_Lb0EN6thrust23THRUST_200600_302600_NS6detail15normal_iteratorINS8_10device_ptrIfEEEESD_SD_SD_jNS0_19identity_decomposerENS1_16block_id_wrapperIjLb1EEEEE10hipError_tT1_PNSt15iterator_traitsISI_E10value_typeET2_T3_PNSJ_ISO_E10value_typeET4_T5_PST_SU_PNS1_23onesweep_lookback_stateEbbT6_jjT7_P12ihipStream_tbENKUlT_T0_SI_SN_E_clISD_SD_SD_SD_EEDaS11_S12_SI_SN_EUlS11_E_NS1_11comp_targetILNS1_3genE4ELNS1_11target_archE910ELNS1_3gpuE8ELNS1_3repE0EEENS1_47radix_sort_onesweep_sort_config_static_selectorELNS0_4arch9wavefront6targetE1EEEvSI_.uses_vcc, 0
	.set _ZN7rocprim17ROCPRIM_400000_NS6detail17trampoline_kernelINS0_14default_configENS1_35radix_sort_onesweep_config_selectorIffEEZZNS1_29radix_sort_onesweep_iterationIS3_Lb0EN6thrust23THRUST_200600_302600_NS6detail15normal_iteratorINS8_10device_ptrIfEEEESD_SD_SD_jNS0_19identity_decomposerENS1_16block_id_wrapperIjLb1EEEEE10hipError_tT1_PNSt15iterator_traitsISI_E10value_typeET2_T3_PNSJ_ISO_E10value_typeET4_T5_PST_SU_PNS1_23onesweep_lookback_stateEbbT6_jjT7_P12ihipStream_tbENKUlT_T0_SI_SN_E_clISD_SD_SD_SD_EEDaS11_S12_SI_SN_EUlS11_E_NS1_11comp_targetILNS1_3genE4ELNS1_11target_archE910ELNS1_3gpuE8ELNS1_3repE0EEENS1_47radix_sort_onesweep_sort_config_static_selectorELNS0_4arch9wavefront6targetE1EEEvSI_.uses_flat_scratch, 0
	.set _ZN7rocprim17ROCPRIM_400000_NS6detail17trampoline_kernelINS0_14default_configENS1_35radix_sort_onesweep_config_selectorIffEEZZNS1_29radix_sort_onesweep_iterationIS3_Lb0EN6thrust23THRUST_200600_302600_NS6detail15normal_iteratorINS8_10device_ptrIfEEEESD_SD_SD_jNS0_19identity_decomposerENS1_16block_id_wrapperIjLb1EEEEE10hipError_tT1_PNSt15iterator_traitsISI_E10value_typeET2_T3_PNSJ_ISO_E10value_typeET4_T5_PST_SU_PNS1_23onesweep_lookback_stateEbbT6_jjT7_P12ihipStream_tbENKUlT_T0_SI_SN_E_clISD_SD_SD_SD_EEDaS11_S12_SI_SN_EUlS11_E_NS1_11comp_targetILNS1_3genE4ELNS1_11target_archE910ELNS1_3gpuE8ELNS1_3repE0EEENS1_47radix_sort_onesweep_sort_config_static_selectorELNS0_4arch9wavefront6targetE1EEEvSI_.has_dyn_sized_stack, 0
	.set _ZN7rocprim17ROCPRIM_400000_NS6detail17trampoline_kernelINS0_14default_configENS1_35radix_sort_onesweep_config_selectorIffEEZZNS1_29radix_sort_onesweep_iterationIS3_Lb0EN6thrust23THRUST_200600_302600_NS6detail15normal_iteratorINS8_10device_ptrIfEEEESD_SD_SD_jNS0_19identity_decomposerENS1_16block_id_wrapperIjLb1EEEEE10hipError_tT1_PNSt15iterator_traitsISI_E10value_typeET2_T3_PNSJ_ISO_E10value_typeET4_T5_PST_SU_PNS1_23onesweep_lookback_stateEbbT6_jjT7_P12ihipStream_tbENKUlT_T0_SI_SN_E_clISD_SD_SD_SD_EEDaS11_S12_SI_SN_EUlS11_E_NS1_11comp_targetILNS1_3genE4ELNS1_11target_archE910ELNS1_3gpuE8ELNS1_3repE0EEENS1_47radix_sort_onesweep_sort_config_static_selectorELNS0_4arch9wavefront6targetE1EEEvSI_.has_recursion, 0
	.set _ZN7rocprim17ROCPRIM_400000_NS6detail17trampoline_kernelINS0_14default_configENS1_35radix_sort_onesweep_config_selectorIffEEZZNS1_29radix_sort_onesweep_iterationIS3_Lb0EN6thrust23THRUST_200600_302600_NS6detail15normal_iteratorINS8_10device_ptrIfEEEESD_SD_SD_jNS0_19identity_decomposerENS1_16block_id_wrapperIjLb1EEEEE10hipError_tT1_PNSt15iterator_traitsISI_E10value_typeET2_T3_PNSJ_ISO_E10value_typeET4_T5_PST_SU_PNS1_23onesweep_lookback_stateEbbT6_jjT7_P12ihipStream_tbENKUlT_T0_SI_SN_E_clISD_SD_SD_SD_EEDaS11_S12_SI_SN_EUlS11_E_NS1_11comp_targetILNS1_3genE4ELNS1_11target_archE910ELNS1_3gpuE8ELNS1_3repE0EEENS1_47radix_sort_onesweep_sort_config_static_selectorELNS0_4arch9wavefront6targetE1EEEvSI_.has_indirect_call, 0
	.section	.AMDGPU.csdata,"",@progbits
; Kernel info:
; codeLenInByte = 0
; TotalNumSgprs: 6
; NumVgprs: 0
; NumAgprs: 0
; TotalNumVgprs: 0
; ScratchSize: 0
; MemoryBound: 0
; FloatMode: 240
; IeeeMode: 1
; LDSByteSize: 0 bytes/workgroup (compile time only)
; SGPRBlocks: 0
; VGPRBlocks: 0
; NumSGPRsForWavesPerEU: 6
; NumVGPRsForWavesPerEU: 1
; AccumOffset: 4
; Occupancy: 8
; WaveLimiterHint : 0
; COMPUTE_PGM_RSRC2:SCRATCH_EN: 0
; COMPUTE_PGM_RSRC2:USER_SGPR: 2
; COMPUTE_PGM_RSRC2:TRAP_HANDLER: 0
; COMPUTE_PGM_RSRC2:TGID_X_EN: 1
; COMPUTE_PGM_RSRC2:TGID_Y_EN: 0
; COMPUTE_PGM_RSRC2:TGID_Z_EN: 0
; COMPUTE_PGM_RSRC2:TIDIG_COMP_CNT: 0
; COMPUTE_PGM_RSRC3_GFX90A:ACCUM_OFFSET: 0
; COMPUTE_PGM_RSRC3_GFX90A:TG_SPLIT: 0
	.section	.text._ZN7rocprim17ROCPRIM_400000_NS6detail17trampoline_kernelINS0_14default_configENS1_35radix_sort_onesweep_config_selectorIffEEZZNS1_29radix_sort_onesweep_iterationIS3_Lb0EN6thrust23THRUST_200600_302600_NS6detail15normal_iteratorINS8_10device_ptrIfEEEESD_SD_SD_jNS0_19identity_decomposerENS1_16block_id_wrapperIjLb1EEEEE10hipError_tT1_PNSt15iterator_traitsISI_E10value_typeET2_T3_PNSJ_ISO_E10value_typeET4_T5_PST_SU_PNS1_23onesweep_lookback_stateEbbT6_jjT7_P12ihipStream_tbENKUlT_T0_SI_SN_E_clISD_SD_SD_SD_EEDaS11_S12_SI_SN_EUlS11_E_NS1_11comp_targetILNS1_3genE3ELNS1_11target_archE908ELNS1_3gpuE7ELNS1_3repE0EEENS1_47radix_sort_onesweep_sort_config_static_selectorELNS0_4arch9wavefront6targetE1EEEvSI_,"axG",@progbits,_ZN7rocprim17ROCPRIM_400000_NS6detail17trampoline_kernelINS0_14default_configENS1_35radix_sort_onesweep_config_selectorIffEEZZNS1_29radix_sort_onesweep_iterationIS3_Lb0EN6thrust23THRUST_200600_302600_NS6detail15normal_iteratorINS8_10device_ptrIfEEEESD_SD_SD_jNS0_19identity_decomposerENS1_16block_id_wrapperIjLb1EEEEE10hipError_tT1_PNSt15iterator_traitsISI_E10value_typeET2_T3_PNSJ_ISO_E10value_typeET4_T5_PST_SU_PNS1_23onesweep_lookback_stateEbbT6_jjT7_P12ihipStream_tbENKUlT_T0_SI_SN_E_clISD_SD_SD_SD_EEDaS11_S12_SI_SN_EUlS11_E_NS1_11comp_targetILNS1_3genE3ELNS1_11target_archE908ELNS1_3gpuE7ELNS1_3repE0EEENS1_47radix_sort_onesweep_sort_config_static_selectorELNS0_4arch9wavefront6targetE1EEEvSI_,comdat
	.protected	_ZN7rocprim17ROCPRIM_400000_NS6detail17trampoline_kernelINS0_14default_configENS1_35radix_sort_onesweep_config_selectorIffEEZZNS1_29radix_sort_onesweep_iterationIS3_Lb0EN6thrust23THRUST_200600_302600_NS6detail15normal_iteratorINS8_10device_ptrIfEEEESD_SD_SD_jNS0_19identity_decomposerENS1_16block_id_wrapperIjLb1EEEEE10hipError_tT1_PNSt15iterator_traitsISI_E10value_typeET2_T3_PNSJ_ISO_E10value_typeET4_T5_PST_SU_PNS1_23onesweep_lookback_stateEbbT6_jjT7_P12ihipStream_tbENKUlT_T0_SI_SN_E_clISD_SD_SD_SD_EEDaS11_S12_SI_SN_EUlS11_E_NS1_11comp_targetILNS1_3genE3ELNS1_11target_archE908ELNS1_3gpuE7ELNS1_3repE0EEENS1_47radix_sort_onesweep_sort_config_static_selectorELNS0_4arch9wavefront6targetE1EEEvSI_ ; -- Begin function _ZN7rocprim17ROCPRIM_400000_NS6detail17trampoline_kernelINS0_14default_configENS1_35radix_sort_onesweep_config_selectorIffEEZZNS1_29radix_sort_onesweep_iterationIS3_Lb0EN6thrust23THRUST_200600_302600_NS6detail15normal_iteratorINS8_10device_ptrIfEEEESD_SD_SD_jNS0_19identity_decomposerENS1_16block_id_wrapperIjLb1EEEEE10hipError_tT1_PNSt15iterator_traitsISI_E10value_typeET2_T3_PNSJ_ISO_E10value_typeET4_T5_PST_SU_PNS1_23onesweep_lookback_stateEbbT6_jjT7_P12ihipStream_tbENKUlT_T0_SI_SN_E_clISD_SD_SD_SD_EEDaS11_S12_SI_SN_EUlS11_E_NS1_11comp_targetILNS1_3genE3ELNS1_11target_archE908ELNS1_3gpuE7ELNS1_3repE0EEENS1_47radix_sort_onesweep_sort_config_static_selectorELNS0_4arch9wavefront6targetE1EEEvSI_
	.globl	_ZN7rocprim17ROCPRIM_400000_NS6detail17trampoline_kernelINS0_14default_configENS1_35radix_sort_onesweep_config_selectorIffEEZZNS1_29radix_sort_onesweep_iterationIS3_Lb0EN6thrust23THRUST_200600_302600_NS6detail15normal_iteratorINS8_10device_ptrIfEEEESD_SD_SD_jNS0_19identity_decomposerENS1_16block_id_wrapperIjLb1EEEEE10hipError_tT1_PNSt15iterator_traitsISI_E10value_typeET2_T3_PNSJ_ISO_E10value_typeET4_T5_PST_SU_PNS1_23onesweep_lookback_stateEbbT6_jjT7_P12ihipStream_tbENKUlT_T0_SI_SN_E_clISD_SD_SD_SD_EEDaS11_S12_SI_SN_EUlS11_E_NS1_11comp_targetILNS1_3genE3ELNS1_11target_archE908ELNS1_3gpuE7ELNS1_3repE0EEENS1_47radix_sort_onesweep_sort_config_static_selectorELNS0_4arch9wavefront6targetE1EEEvSI_
	.p2align	8
	.type	_ZN7rocprim17ROCPRIM_400000_NS6detail17trampoline_kernelINS0_14default_configENS1_35radix_sort_onesweep_config_selectorIffEEZZNS1_29radix_sort_onesweep_iterationIS3_Lb0EN6thrust23THRUST_200600_302600_NS6detail15normal_iteratorINS8_10device_ptrIfEEEESD_SD_SD_jNS0_19identity_decomposerENS1_16block_id_wrapperIjLb1EEEEE10hipError_tT1_PNSt15iterator_traitsISI_E10value_typeET2_T3_PNSJ_ISO_E10value_typeET4_T5_PST_SU_PNS1_23onesweep_lookback_stateEbbT6_jjT7_P12ihipStream_tbENKUlT_T0_SI_SN_E_clISD_SD_SD_SD_EEDaS11_S12_SI_SN_EUlS11_E_NS1_11comp_targetILNS1_3genE3ELNS1_11target_archE908ELNS1_3gpuE7ELNS1_3repE0EEENS1_47radix_sort_onesweep_sort_config_static_selectorELNS0_4arch9wavefront6targetE1EEEvSI_,@function
_ZN7rocprim17ROCPRIM_400000_NS6detail17trampoline_kernelINS0_14default_configENS1_35radix_sort_onesweep_config_selectorIffEEZZNS1_29radix_sort_onesweep_iterationIS3_Lb0EN6thrust23THRUST_200600_302600_NS6detail15normal_iteratorINS8_10device_ptrIfEEEESD_SD_SD_jNS0_19identity_decomposerENS1_16block_id_wrapperIjLb1EEEEE10hipError_tT1_PNSt15iterator_traitsISI_E10value_typeET2_T3_PNSJ_ISO_E10value_typeET4_T5_PST_SU_PNS1_23onesweep_lookback_stateEbbT6_jjT7_P12ihipStream_tbENKUlT_T0_SI_SN_E_clISD_SD_SD_SD_EEDaS11_S12_SI_SN_EUlS11_E_NS1_11comp_targetILNS1_3genE3ELNS1_11target_archE908ELNS1_3gpuE7ELNS1_3repE0EEENS1_47radix_sort_onesweep_sort_config_static_selectorELNS0_4arch9wavefront6targetE1EEEvSI_: ; @_ZN7rocprim17ROCPRIM_400000_NS6detail17trampoline_kernelINS0_14default_configENS1_35radix_sort_onesweep_config_selectorIffEEZZNS1_29radix_sort_onesweep_iterationIS3_Lb0EN6thrust23THRUST_200600_302600_NS6detail15normal_iteratorINS8_10device_ptrIfEEEESD_SD_SD_jNS0_19identity_decomposerENS1_16block_id_wrapperIjLb1EEEEE10hipError_tT1_PNSt15iterator_traitsISI_E10value_typeET2_T3_PNSJ_ISO_E10value_typeET4_T5_PST_SU_PNS1_23onesweep_lookback_stateEbbT6_jjT7_P12ihipStream_tbENKUlT_T0_SI_SN_E_clISD_SD_SD_SD_EEDaS11_S12_SI_SN_EUlS11_E_NS1_11comp_targetILNS1_3genE3ELNS1_11target_archE908ELNS1_3gpuE7ELNS1_3repE0EEENS1_47radix_sort_onesweep_sort_config_static_selectorELNS0_4arch9wavefront6targetE1EEEvSI_
; %bb.0:
	.section	.rodata,"a",@progbits
	.p2align	6, 0x0
	.amdhsa_kernel _ZN7rocprim17ROCPRIM_400000_NS6detail17trampoline_kernelINS0_14default_configENS1_35radix_sort_onesweep_config_selectorIffEEZZNS1_29radix_sort_onesweep_iterationIS3_Lb0EN6thrust23THRUST_200600_302600_NS6detail15normal_iteratorINS8_10device_ptrIfEEEESD_SD_SD_jNS0_19identity_decomposerENS1_16block_id_wrapperIjLb1EEEEE10hipError_tT1_PNSt15iterator_traitsISI_E10value_typeET2_T3_PNSJ_ISO_E10value_typeET4_T5_PST_SU_PNS1_23onesweep_lookback_stateEbbT6_jjT7_P12ihipStream_tbENKUlT_T0_SI_SN_E_clISD_SD_SD_SD_EEDaS11_S12_SI_SN_EUlS11_E_NS1_11comp_targetILNS1_3genE3ELNS1_11target_archE908ELNS1_3gpuE7ELNS1_3repE0EEENS1_47radix_sort_onesweep_sort_config_static_selectorELNS0_4arch9wavefront6targetE1EEEvSI_
		.amdhsa_group_segment_fixed_size 0
		.amdhsa_private_segment_fixed_size 0
		.amdhsa_kernarg_size 88
		.amdhsa_user_sgpr_count 2
		.amdhsa_user_sgpr_dispatch_ptr 0
		.amdhsa_user_sgpr_queue_ptr 0
		.amdhsa_user_sgpr_kernarg_segment_ptr 1
		.amdhsa_user_sgpr_dispatch_id 0
		.amdhsa_user_sgpr_kernarg_preload_length 0
		.amdhsa_user_sgpr_kernarg_preload_offset 0
		.amdhsa_user_sgpr_private_segment_size 0
		.amdhsa_uses_dynamic_stack 0
		.amdhsa_enable_private_segment 0
		.amdhsa_system_sgpr_workgroup_id_x 1
		.amdhsa_system_sgpr_workgroup_id_y 0
		.amdhsa_system_sgpr_workgroup_id_z 0
		.amdhsa_system_sgpr_workgroup_info 0
		.amdhsa_system_vgpr_workitem_id 0
		.amdhsa_next_free_vgpr 1
		.amdhsa_next_free_sgpr 0
		.amdhsa_accum_offset 4
		.amdhsa_reserve_vcc 0
		.amdhsa_float_round_mode_32 0
		.amdhsa_float_round_mode_16_64 0
		.amdhsa_float_denorm_mode_32 3
		.amdhsa_float_denorm_mode_16_64 3
		.amdhsa_dx10_clamp 1
		.amdhsa_ieee_mode 1
		.amdhsa_fp16_overflow 0
		.amdhsa_tg_split 0
		.amdhsa_exception_fp_ieee_invalid_op 0
		.amdhsa_exception_fp_denorm_src 0
		.amdhsa_exception_fp_ieee_div_zero 0
		.amdhsa_exception_fp_ieee_overflow 0
		.amdhsa_exception_fp_ieee_underflow 0
		.amdhsa_exception_fp_ieee_inexact 0
		.amdhsa_exception_int_div_zero 0
	.end_amdhsa_kernel
	.section	.text._ZN7rocprim17ROCPRIM_400000_NS6detail17trampoline_kernelINS0_14default_configENS1_35radix_sort_onesweep_config_selectorIffEEZZNS1_29radix_sort_onesweep_iterationIS3_Lb0EN6thrust23THRUST_200600_302600_NS6detail15normal_iteratorINS8_10device_ptrIfEEEESD_SD_SD_jNS0_19identity_decomposerENS1_16block_id_wrapperIjLb1EEEEE10hipError_tT1_PNSt15iterator_traitsISI_E10value_typeET2_T3_PNSJ_ISO_E10value_typeET4_T5_PST_SU_PNS1_23onesweep_lookback_stateEbbT6_jjT7_P12ihipStream_tbENKUlT_T0_SI_SN_E_clISD_SD_SD_SD_EEDaS11_S12_SI_SN_EUlS11_E_NS1_11comp_targetILNS1_3genE3ELNS1_11target_archE908ELNS1_3gpuE7ELNS1_3repE0EEENS1_47radix_sort_onesweep_sort_config_static_selectorELNS0_4arch9wavefront6targetE1EEEvSI_,"axG",@progbits,_ZN7rocprim17ROCPRIM_400000_NS6detail17trampoline_kernelINS0_14default_configENS1_35radix_sort_onesweep_config_selectorIffEEZZNS1_29radix_sort_onesweep_iterationIS3_Lb0EN6thrust23THRUST_200600_302600_NS6detail15normal_iteratorINS8_10device_ptrIfEEEESD_SD_SD_jNS0_19identity_decomposerENS1_16block_id_wrapperIjLb1EEEEE10hipError_tT1_PNSt15iterator_traitsISI_E10value_typeET2_T3_PNSJ_ISO_E10value_typeET4_T5_PST_SU_PNS1_23onesweep_lookback_stateEbbT6_jjT7_P12ihipStream_tbENKUlT_T0_SI_SN_E_clISD_SD_SD_SD_EEDaS11_S12_SI_SN_EUlS11_E_NS1_11comp_targetILNS1_3genE3ELNS1_11target_archE908ELNS1_3gpuE7ELNS1_3repE0EEENS1_47radix_sort_onesweep_sort_config_static_selectorELNS0_4arch9wavefront6targetE1EEEvSI_,comdat
.Lfunc_end310:
	.size	_ZN7rocprim17ROCPRIM_400000_NS6detail17trampoline_kernelINS0_14default_configENS1_35radix_sort_onesweep_config_selectorIffEEZZNS1_29radix_sort_onesweep_iterationIS3_Lb0EN6thrust23THRUST_200600_302600_NS6detail15normal_iteratorINS8_10device_ptrIfEEEESD_SD_SD_jNS0_19identity_decomposerENS1_16block_id_wrapperIjLb1EEEEE10hipError_tT1_PNSt15iterator_traitsISI_E10value_typeET2_T3_PNSJ_ISO_E10value_typeET4_T5_PST_SU_PNS1_23onesweep_lookback_stateEbbT6_jjT7_P12ihipStream_tbENKUlT_T0_SI_SN_E_clISD_SD_SD_SD_EEDaS11_S12_SI_SN_EUlS11_E_NS1_11comp_targetILNS1_3genE3ELNS1_11target_archE908ELNS1_3gpuE7ELNS1_3repE0EEENS1_47radix_sort_onesweep_sort_config_static_selectorELNS0_4arch9wavefront6targetE1EEEvSI_, .Lfunc_end310-_ZN7rocprim17ROCPRIM_400000_NS6detail17trampoline_kernelINS0_14default_configENS1_35radix_sort_onesweep_config_selectorIffEEZZNS1_29radix_sort_onesweep_iterationIS3_Lb0EN6thrust23THRUST_200600_302600_NS6detail15normal_iteratorINS8_10device_ptrIfEEEESD_SD_SD_jNS0_19identity_decomposerENS1_16block_id_wrapperIjLb1EEEEE10hipError_tT1_PNSt15iterator_traitsISI_E10value_typeET2_T3_PNSJ_ISO_E10value_typeET4_T5_PST_SU_PNS1_23onesweep_lookback_stateEbbT6_jjT7_P12ihipStream_tbENKUlT_T0_SI_SN_E_clISD_SD_SD_SD_EEDaS11_S12_SI_SN_EUlS11_E_NS1_11comp_targetILNS1_3genE3ELNS1_11target_archE908ELNS1_3gpuE7ELNS1_3repE0EEENS1_47radix_sort_onesweep_sort_config_static_selectorELNS0_4arch9wavefront6targetE1EEEvSI_
                                        ; -- End function
	.set _ZN7rocprim17ROCPRIM_400000_NS6detail17trampoline_kernelINS0_14default_configENS1_35radix_sort_onesweep_config_selectorIffEEZZNS1_29radix_sort_onesweep_iterationIS3_Lb0EN6thrust23THRUST_200600_302600_NS6detail15normal_iteratorINS8_10device_ptrIfEEEESD_SD_SD_jNS0_19identity_decomposerENS1_16block_id_wrapperIjLb1EEEEE10hipError_tT1_PNSt15iterator_traitsISI_E10value_typeET2_T3_PNSJ_ISO_E10value_typeET4_T5_PST_SU_PNS1_23onesweep_lookback_stateEbbT6_jjT7_P12ihipStream_tbENKUlT_T0_SI_SN_E_clISD_SD_SD_SD_EEDaS11_S12_SI_SN_EUlS11_E_NS1_11comp_targetILNS1_3genE3ELNS1_11target_archE908ELNS1_3gpuE7ELNS1_3repE0EEENS1_47radix_sort_onesweep_sort_config_static_selectorELNS0_4arch9wavefront6targetE1EEEvSI_.num_vgpr, 0
	.set _ZN7rocprim17ROCPRIM_400000_NS6detail17trampoline_kernelINS0_14default_configENS1_35radix_sort_onesweep_config_selectorIffEEZZNS1_29radix_sort_onesweep_iterationIS3_Lb0EN6thrust23THRUST_200600_302600_NS6detail15normal_iteratorINS8_10device_ptrIfEEEESD_SD_SD_jNS0_19identity_decomposerENS1_16block_id_wrapperIjLb1EEEEE10hipError_tT1_PNSt15iterator_traitsISI_E10value_typeET2_T3_PNSJ_ISO_E10value_typeET4_T5_PST_SU_PNS1_23onesweep_lookback_stateEbbT6_jjT7_P12ihipStream_tbENKUlT_T0_SI_SN_E_clISD_SD_SD_SD_EEDaS11_S12_SI_SN_EUlS11_E_NS1_11comp_targetILNS1_3genE3ELNS1_11target_archE908ELNS1_3gpuE7ELNS1_3repE0EEENS1_47radix_sort_onesweep_sort_config_static_selectorELNS0_4arch9wavefront6targetE1EEEvSI_.num_agpr, 0
	.set _ZN7rocprim17ROCPRIM_400000_NS6detail17trampoline_kernelINS0_14default_configENS1_35radix_sort_onesweep_config_selectorIffEEZZNS1_29radix_sort_onesweep_iterationIS3_Lb0EN6thrust23THRUST_200600_302600_NS6detail15normal_iteratorINS8_10device_ptrIfEEEESD_SD_SD_jNS0_19identity_decomposerENS1_16block_id_wrapperIjLb1EEEEE10hipError_tT1_PNSt15iterator_traitsISI_E10value_typeET2_T3_PNSJ_ISO_E10value_typeET4_T5_PST_SU_PNS1_23onesweep_lookback_stateEbbT6_jjT7_P12ihipStream_tbENKUlT_T0_SI_SN_E_clISD_SD_SD_SD_EEDaS11_S12_SI_SN_EUlS11_E_NS1_11comp_targetILNS1_3genE3ELNS1_11target_archE908ELNS1_3gpuE7ELNS1_3repE0EEENS1_47radix_sort_onesweep_sort_config_static_selectorELNS0_4arch9wavefront6targetE1EEEvSI_.numbered_sgpr, 0
	.set _ZN7rocprim17ROCPRIM_400000_NS6detail17trampoline_kernelINS0_14default_configENS1_35radix_sort_onesweep_config_selectorIffEEZZNS1_29radix_sort_onesweep_iterationIS3_Lb0EN6thrust23THRUST_200600_302600_NS6detail15normal_iteratorINS8_10device_ptrIfEEEESD_SD_SD_jNS0_19identity_decomposerENS1_16block_id_wrapperIjLb1EEEEE10hipError_tT1_PNSt15iterator_traitsISI_E10value_typeET2_T3_PNSJ_ISO_E10value_typeET4_T5_PST_SU_PNS1_23onesweep_lookback_stateEbbT6_jjT7_P12ihipStream_tbENKUlT_T0_SI_SN_E_clISD_SD_SD_SD_EEDaS11_S12_SI_SN_EUlS11_E_NS1_11comp_targetILNS1_3genE3ELNS1_11target_archE908ELNS1_3gpuE7ELNS1_3repE0EEENS1_47radix_sort_onesweep_sort_config_static_selectorELNS0_4arch9wavefront6targetE1EEEvSI_.num_named_barrier, 0
	.set _ZN7rocprim17ROCPRIM_400000_NS6detail17trampoline_kernelINS0_14default_configENS1_35radix_sort_onesweep_config_selectorIffEEZZNS1_29radix_sort_onesweep_iterationIS3_Lb0EN6thrust23THRUST_200600_302600_NS6detail15normal_iteratorINS8_10device_ptrIfEEEESD_SD_SD_jNS0_19identity_decomposerENS1_16block_id_wrapperIjLb1EEEEE10hipError_tT1_PNSt15iterator_traitsISI_E10value_typeET2_T3_PNSJ_ISO_E10value_typeET4_T5_PST_SU_PNS1_23onesweep_lookback_stateEbbT6_jjT7_P12ihipStream_tbENKUlT_T0_SI_SN_E_clISD_SD_SD_SD_EEDaS11_S12_SI_SN_EUlS11_E_NS1_11comp_targetILNS1_3genE3ELNS1_11target_archE908ELNS1_3gpuE7ELNS1_3repE0EEENS1_47radix_sort_onesweep_sort_config_static_selectorELNS0_4arch9wavefront6targetE1EEEvSI_.private_seg_size, 0
	.set _ZN7rocprim17ROCPRIM_400000_NS6detail17trampoline_kernelINS0_14default_configENS1_35radix_sort_onesweep_config_selectorIffEEZZNS1_29radix_sort_onesweep_iterationIS3_Lb0EN6thrust23THRUST_200600_302600_NS6detail15normal_iteratorINS8_10device_ptrIfEEEESD_SD_SD_jNS0_19identity_decomposerENS1_16block_id_wrapperIjLb1EEEEE10hipError_tT1_PNSt15iterator_traitsISI_E10value_typeET2_T3_PNSJ_ISO_E10value_typeET4_T5_PST_SU_PNS1_23onesweep_lookback_stateEbbT6_jjT7_P12ihipStream_tbENKUlT_T0_SI_SN_E_clISD_SD_SD_SD_EEDaS11_S12_SI_SN_EUlS11_E_NS1_11comp_targetILNS1_3genE3ELNS1_11target_archE908ELNS1_3gpuE7ELNS1_3repE0EEENS1_47radix_sort_onesweep_sort_config_static_selectorELNS0_4arch9wavefront6targetE1EEEvSI_.uses_vcc, 0
	.set _ZN7rocprim17ROCPRIM_400000_NS6detail17trampoline_kernelINS0_14default_configENS1_35radix_sort_onesweep_config_selectorIffEEZZNS1_29radix_sort_onesweep_iterationIS3_Lb0EN6thrust23THRUST_200600_302600_NS6detail15normal_iteratorINS8_10device_ptrIfEEEESD_SD_SD_jNS0_19identity_decomposerENS1_16block_id_wrapperIjLb1EEEEE10hipError_tT1_PNSt15iterator_traitsISI_E10value_typeET2_T3_PNSJ_ISO_E10value_typeET4_T5_PST_SU_PNS1_23onesweep_lookback_stateEbbT6_jjT7_P12ihipStream_tbENKUlT_T0_SI_SN_E_clISD_SD_SD_SD_EEDaS11_S12_SI_SN_EUlS11_E_NS1_11comp_targetILNS1_3genE3ELNS1_11target_archE908ELNS1_3gpuE7ELNS1_3repE0EEENS1_47radix_sort_onesweep_sort_config_static_selectorELNS0_4arch9wavefront6targetE1EEEvSI_.uses_flat_scratch, 0
	.set _ZN7rocprim17ROCPRIM_400000_NS6detail17trampoline_kernelINS0_14default_configENS1_35radix_sort_onesweep_config_selectorIffEEZZNS1_29radix_sort_onesweep_iterationIS3_Lb0EN6thrust23THRUST_200600_302600_NS6detail15normal_iteratorINS8_10device_ptrIfEEEESD_SD_SD_jNS0_19identity_decomposerENS1_16block_id_wrapperIjLb1EEEEE10hipError_tT1_PNSt15iterator_traitsISI_E10value_typeET2_T3_PNSJ_ISO_E10value_typeET4_T5_PST_SU_PNS1_23onesweep_lookback_stateEbbT6_jjT7_P12ihipStream_tbENKUlT_T0_SI_SN_E_clISD_SD_SD_SD_EEDaS11_S12_SI_SN_EUlS11_E_NS1_11comp_targetILNS1_3genE3ELNS1_11target_archE908ELNS1_3gpuE7ELNS1_3repE0EEENS1_47radix_sort_onesweep_sort_config_static_selectorELNS0_4arch9wavefront6targetE1EEEvSI_.has_dyn_sized_stack, 0
	.set _ZN7rocprim17ROCPRIM_400000_NS6detail17trampoline_kernelINS0_14default_configENS1_35radix_sort_onesweep_config_selectorIffEEZZNS1_29radix_sort_onesweep_iterationIS3_Lb0EN6thrust23THRUST_200600_302600_NS6detail15normal_iteratorINS8_10device_ptrIfEEEESD_SD_SD_jNS0_19identity_decomposerENS1_16block_id_wrapperIjLb1EEEEE10hipError_tT1_PNSt15iterator_traitsISI_E10value_typeET2_T3_PNSJ_ISO_E10value_typeET4_T5_PST_SU_PNS1_23onesweep_lookback_stateEbbT6_jjT7_P12ihipStream_tbENKUlT_T0_SI_SN_E_clISD_SD_SD_SD_EEDaS11_S12_SI_SN_EUlS11_E_NS1_11comp_targetILNS1_3genE3ELNS1_11target_archE908ELNS1_3gpuE7ELNS1_3repE0EEENS1_47radix_sort_onesweep_sort_config_static_selectorELNS0_4arch9wavefront6targetE1EEEvSI_.has_recursion, 0
	.set _ZN7rocprim17ROCPRIM_400000_NS6detail17trampoline_kernelINS0_14default_configENS1_35radix_sort_onesweep_config_selectorIffEEZZNS1_29radix_sort_onesweep_iterationIS3_Lb0EN6thrust23THRUST_200600_302600_NS6detail15normal_iteratorINS8_10device_ptrIfEEEESD_SD_SD_jNS0_19identity_decomposerENS1_16block_id_wrapperIjLb1EEEEE10hipError_tT1_PNSt15iterator_traitsISI_E10value_typeET2_T3_PNSJ_ISO_E10value_typeET4_T5_PST_SU_PNS1_23onesweep_lookback_stateEbbT6_jjT7_P12ihipStream_tbENKUlT_T0_SI_SN_E_clISD_SD_SD_SD_EEDaS11_S12_SI_SN_EUlS11_E_NS1_11comp_targetILNS1_3genE3ELNS1_11target_archE908ELNS1_3gpuE7ELNS1_3repE0EEENS1_47radix_sort_onesweep_sort_config_static_selectorELNS0_4arch9wavefront6targetE1EEEvSI_.has_indirect_call, 0
	.section	.AMDGPU.csdata,"",@progbits
; Kernel info:
; codeLenInByte = 0
; TotalNumSgprs: 6
; NumVgprs: 0
; NumAgprs: 0
; TotalNumVgprs: 0
; ScratchSize: 0
; MemoryBound: 0
; FloatMode: 240
; IeeeMode: 1
; LDSByteSize: 0 bytes/workgroup (compile time only)
; SGPRBlocks: 0
; VGPRBlocks: 0
; NumSGPRsForWavesPerEU: 6
; NumVGPRsForWavesPerEU: 1
; AccumOffset: 4
; Occupancy: 8
; WaveLimiterHint : 0
; COMPUTE_PGM_RSRC2:SCRATCH_EN: 0
; COMPUTE_PGM_RSRC2:USER_SGPR: 2
; COMPUTE_PGM_RSRC2:TRAP_HANDLER: 0
; COMPUTE_PGM_RSRC2:TGID_X_EN: 1
; COMPUTE_PGM_RSRC2:TGID_Y_EN: 0
; COMPUTE_PGM_RSRC2:TGID_Z_EN: 0
; COMPUTE_PGM_RSRC2:TIDIG_COMP_CNT: 0
; COMPUTE_PGM_RSRC3_GFX90A:ACCUM_OFFSET: 0
; COMPUTE_PGM_RSRC3_GFX90A:TG_SPLIT: 0
	.section	.text._ZN7rocprim17ROCPRIM_400000_NS6detail17trampoline_kernelINS0_14default_configENS1_35radix_sort_onesweep_config_selectorIffEEZZNS1_29radix_sort_onesweep_iterationIS3_Lb0EN6thrust23THRUST_200600_302600_NS6detail15normal_iteratorINS8_10device_ptrIfEEEESD_SD_SD_jNS0_19identity_decomposerENS1_16block_id_wrapperIjLb1EEEEE10hipError_tT1_PNSt15iterator_traitsISI_E10value_typeET2_T3_PNSJ_ISO_E10value_typeET4_T5_PST_SU_PNS1_23onesweep_lookback_stateEbbT6_jjT7_P12ihipStream_tbENKUlT_T0_SI_SN_E_clISD_SD_SD_SD_EEDaS11_S12_SI_SN_EUlS11_E_NS1_11comp_targetILNS1_3genE10ELNS1_11target_archE1201ELNS1_3gpuE5ELNS1_3repE0EEENS1_47radix_sort_onesweep_sort_config_static_selectorELNS0_4arch9wavefront6targetE1EEEvSI_,"axG",@progbits,_ZN7rocprim17ROCPRIM_400000_NS6detail17trampoline_kernelINS0_14default_configENS1_35radix_sort_onesweep_config_selectorIffEEZZNS1_29radix_sort_onesweep_iterationIS3_Lb0EN6thrust23THRUST_200600_302600_NS6detail15normal_iteratorINS8_10device_ptrIfEEEESD_SD_SD_jNS0_19identity_decomposerENS1_16block_id_wrapperIjLb1EEEEE10hipError_tT1_PNSt15iterator_traitsISI_E10value_typeET2_T3_PNSJ_ISO_E10value_typeET4_T5_PST_SU_PNS1_23onesweep_lookback_stateEbbT6_jjT7_P12ihipStream_tbENKUlT_T0_SI_SN_E_clISD_SD_SD_SD_EEDaS11_S12_SI_SN_EUlS11_E_NS1_11comp_targetILNS1_3genE10ELNS1_11target_archE1201ELNS1_3gpuE5ELNS1_3repE0EEENS1_47radix_sort_onesweep_sort_config_static_selectorELNS0_4arch9wavefront6targetE1EEEvSI_,comdat
	.protected	_ZN7rocprim17ROCPRIM_400000_NS6detail17trampoline_kernelINS0_14default_configENS1_35radix_sort_onesweep_config_selectorIffEEZZNS1_29radix_sort_onesweep_iterationIS3_Lb0EN6thrust23THRUST_200600_302600_NS6detail15normal_iteratorINS8_10device_ptrIfEEEESD_SD_SD_jNS0_19identity_decomposerENS1_16block_id_wrapperIjLb1EEEEE10hipError_tT1_PNSt15iterator_traitsISI_E10value_typeET2_T3_PNSJ_ISO_E10value_typeET4_T5_PST_SU_PNS1_23onesweep_lookback_stateEbbT6_jjT7_P12ihipStream_tbENKUlT_T0_SI_SN_E_clISD_SD_SD_SD_EEDaS11_S12_SI_SN_EUlS11_E_NS1_11comp_targetILNS1_3genE10ELNS1_11target_archE1201ELNS1_3gpuE5ELNS1_3repE0EEENS1_47radix_sort_onesweep_sort_config_static_selectorELNS0_4arch9wavefront6targetE1EEEvSI_ ; -- Begin function _ZN7rocprim17ROCPRIM_400000_NS6detail17trampoline_kernelINS0_14default_configENS1_35radix_sort_onesweep_config_selectorIffEEZZNS1_29radix_sort_onesweep_iterationIS3_Lb0EN6thrust23THRUST_200600_302600_NS6detail15normal_iteratorINS8_10device_ptrIfEEEESD_SD_SD_jNS0_19identity_decomposerENS1_16block_id_wrapperIjLb1EEEEE10hipError_tT1_PNSt15iterator_traitsISI_E10value_typeET2_T3_PNSJ_ISO_E10value_typeET4_T5_PST_SU_PNS1_23onesweep_lookback_stateEbbT6_jjT7_P12ihipStream_tbENKUlT_T0_SI_SN_E_clISD_SD_SD_SD_EEDaS11_S12_SI_SN_EUlS11_E_NS1_11comp_targetILNS1_3genE10ELNS1_11target_archE1201ELNS1_3gpuE5ELNS1_3repE0EEENS1_47radix_sort_onesweep_sort_config_static_selectorELNS0_4arch9wavefront6targetE1EEEvSI_
	.globl	_ZN7rocprim17ROCPRIM_400000_NS6detail17trampoline_kernelINS0_14default_configENS1_35radix_sort_onesweep_config_selectorIffEEZZNS1_29radix_sort_onesweep_iterationIS3_Lb0EN6thrust23THRUST_200600_302600_NS6detail15normal_iteratorINS8_10device_ptrIfEEEESD_SD_SD_jNS0_19identity_decomposerENS1_16block_id_wrapperIjLb1EEEEE10hipError_tT1_PNSt15iterator_traitsISI_E10value_typeET2_T3_PNSJ_ISO_E10value_typeET4_T5_PST_SU_PNS1_23onesweep_lookback_stateEbbT6_jjT7_P12ihipStream_tbENKUlT_T0_SI_SN_E_clISD_SD_SD_SD_EEDaS11_S12_SI_SN_EUlS11_E_NS1_11comp_targetILNS1_3genE10ELNS1_11target_archE1201ELNS1_3gpuE5ELNS1_3repE0EEENS1_47radix_sort_onesweep_sort_config_static_selectorELNS0_4arch9wavefront6targetE1EEEvSI_
	.p2align	8
	.type	_ZN7rocprim17ROCPRIM_400000_NS6detail17trampoline_kernelINS0_14default_configENS1_35radix_sort_onesweep_config_selectorIffEEZZNS1_29radix_sort_onesweep_iterationIS3_Lb0EN6thrust23THRUST_200600_302600_NS6detail15normal_iteratorINS8_10device_ptrIfEEEESD_SD_SD_jNS0_19identity_decomposerENS1_16block_id_wrapperIjLb1EEEEE10hipError_tT1_PNSt15iterator_traitsISI_E10value_typeET2_T3_PNSJ_ISO_E10value_typeET4_T5_PST_SU_PNS1_23onesweep_lookback_stateEbbT6_jjT7_P12ihipStream_tbENKUlT_T0_SI_SN_E_clISD_SD_SD_SD_EEDaS11_S12_SI_SN_EUlS11_E_NS1_11comp_targetILNS1_3genE10ELNS1_11target_archE1201ELNS1_3gpuE5ELNS1_3repE0EEENS1_47radix_sort_onesweep_sort_config_static_selectorELNS0_4arch9wavefront6targetE1EEEvSI_,@function
_ZN7rocprim17ROCPRIM_400000_NS6detail17trampoline_kernelINS0_14default_configENS1_35radix_sort_onesweep_config_selectorIffEEZZNS1_29radix_sort_onesweep_iterationIS3_Lb0EN6thrust23THRUST_200600_302600_NS6detail15normal_iteratorINS8_10device_ptrIfEEEESD_SD_SD_jNS0_19identity_decomposerENS1_16block_id_wrapperIjLb1EEEEE10hipError_tT1_PNSt15iterator_traitsISI_E10value_typeET2_T3_PNSJ_ISO_E10value_typeET4_T5_PST_SU_PNS1_23onesweep_lookback_stateEbbT6_jjT7_P12ihipStream_tbENKUlT_T0_SI_SN_E_clISD_SD_SD_SD_EEDaS11_S12_SI_SN_EUlS11_E_NS1_11comp_targetILNS1_3genE10ELNS1_11target_archE1201ELNS1_3gpuE5ELNS1_3repE0EEENS1_47radix_sort_onesweep_sort_config_static_selectorELNS0_4arch9wavefront6targetE1EEEvSI_: ; @_ZN7rocprim17ROCPRIM_400000_NS6detail17trampoline_kernelINS0_14default_configENS1_35radix_sort_onesweep_config_selectorIffEEZZNS1_29radix_sort_onesweep_iterationIS3_Lb0EN6thrust23THRUST_200600_302600_NS6detail15normal_iteratorINS8_10device_ptrIfEEEESD_SD_SD_jNS0_19identity_decomposerENS1_16block_id_wrapperIjLb1EEEEE10hipError_tT1_PNSt15iterator_traitsISI_E10value_typeET2_T3_PNSJ_ISO_E10value_typeET4_T5_PST_SU_PNS1_23onesweep_lookback_stateEbbT6_jjT7_P12ihipStream_tbENKUlT_T0_SI_SN_E_clISD_SD_SD_SD_EEDaS11_S12_SI_SN_EUlS11_E_NS1_11comp_targetILNS1_3genE10ELNS1_11target_archE1201ELNS1_3gpuE5ELNS1_3repE0EEENS1_47radix_sort_onesweep_sort_config_static_selectorELNS0_4arch9wavefront6targetE1EEEvSI_
; %bb.0:
	.section	.rodata,"a",@progbits
	.p2align	6, 0x0
	.amdhsa_kernel _ZN7rocprim17ROCPRIM_400000_NS6detail17trampoline_kernelINS0_14default_configENS1_35radix_sort_onesweep_config_selectorIffEEZZNS1_29radix_sort_onesweep_iterationIS3_Lb0EN6thrust23THRUST_200600_302600_NS6detail15normal_iteratorINS8_10device_ptrIfEEEESD_SD_SD_jNS0_19identity_decomposerENS1_16block_id_wrapperIjLb1EEEEE10hipError_tT1_PNSt15iterator_traitsISI_E10value_typeET2_T3_PNSJ_ISO_E10value_typeET4_T5_PST_SU_PNS1_23onesweep_lookback_stateEbbT6_jjT7_P12ihipStream_tbENKUlT_T0_SI_SN_E_clISD_SD_SD_SD_EEDaS11_S12_SI_SN_EUlS11_E_NS1_11comp_targetILNS1_3genE10ELNS1_11target_archE1201ELNS1_3gpuE5ELNS1_3repE0EEENS1_47radix_sort_onesweep_sort_config_static_selectorELNS0_4arch9wavefront6targetE1EEEvSI_
		.amdhsa_group_segment_fixed_size 0
		.amdhsa_private_segment_fixed_size 0
		.amdhsa_kernarg_size 88
		.amdhsa_user_sgpr_count 2
		.amdhsa_user_sgpr_dispatch_ptr 0
		.amdhsa_user_sgpr_queue_ptr 0
		.amdhsa_user_sgpr_kernarg_segment_ptr 1
		.amdhsa_user_sgpr_dispatch_id 0
		.amdhsa_user_sgpr_kernarg_preload_length 0
		.amdhsa_user_sgpr_kernarg_preload_offset 0
		.amdhsa_user_sgpr_private_segment_size 0
		.amdhsa_uses_dynamic_stack 0
		.amdhsa_enable_private_segment 0
		.amdhsa_system_sgpr_workgroup_id_x 1
		.amdhsa_system_sgpr_workgroup_id_y 0
		.amdhsa_system_sgpr_workgroup_id_z 0
		.amdhsa_system_sgpr_workgroup_info 0
		.amdhsa_system_vgpr_workitem_id 0
		.amdhsa_next_free_vgpr 1
		.amdhsa_next_free_sgpr 0
		.amdhsa_accum_offset 4
		.amdhsa_reserve_vcc 0
		.amdhsa_float_round_mode_32 0
		.amdhsa_float_round_mode_16_64 0
		.amdhsa_float_denorm_mode_32 3
		.amdhsa_float_denorm_mode_16_64 3
		.amdhsa_dx10_clamp 1
		.amdhsa_ieee_mode 1
		.amdhsa_fp16_overflow 0
		.amdhsa_tg_split 0
		.amdhsa_exception_fp_ieee_invalid_op 0
		.amdhsa_exception_fp_denorm_src 0
		.amdhsa_exception_fp_ieee_div_zero 0
		.amdhsa_exception_fp_ieee_overflow 0
		.amdhsa_exception_fp_ieee_underflow 0
		.amdhsa_exception_fp_ieee_inexact 0
		.amdhsa_exception_int_div_zero 0
	.end_amdhsa_kernel
	.section	.text._ZN7rocprim17ROCPRIM_400000_NS6detail17trampoline_kernelINS0_14default_configENS1_35radix_sort_onesweep_config_selectorIffEEZZNS1_29radix_sort_onesweep_iterationIS3_Lb0EN6thrust23THRUST_200600_302600_NS6detail15normal_iteratorINS8_10device_ptrIfEEEESD_SD_SD_jNS0_19identity_decomposerENS1_16block_id_wrapperIjLb1EEEEE10hipError_tT1_PNSt15iterator_traitsISI_E10value_typeET2_T3_PNSJ_ISO_E10value_typeET4_T5_PST_SU_PNS1_23onesweep_lookback_stateEbbT6_jjT7_P12ihipStream_tbENKUlT_T0_SI_SN_E_clISD_SD_SD_SD_EEDaS11_S12_SI_SN_EUlS11_E_NS1_11comp_targetILNS1_3genE10ELNS1_11target_archE1201ELNS1_3gpuE5ELNS1_3repE0EEENS1_47radix_sort_onesweep_sort_config_static_selectorELNS0_4arch9wavefront6targetE1EEEvSI_,"axG",@progbits,_ZN7rocprim17ROCPRIM_400000_NS6detail17trampoline_kernelINS0_14default_configENS1_35radix_sort_onesweep_config_selectorIffEEZZNS1_29radix_sort_onesweep_iterationIS3_Lb0EN6thrust23THRUST_200600_302600_NS6detail15normal_iteratorINS8_10device_ptrIfEEEESD_SD_SD_jNS0_19identity_decomposerENS1_16block_id_wrapperIjLb1EEEEE10hipError_tT1_PNSt15iterator_traitsISI_E10value_typeET2_T3_PNSJ_ISO_E10value_typeET4_T5_PST_SU_PNS1_23onesweep_lookback_stateEbbT6_jjT7_P12ihipStream_tbENKUlT_T0_SI_SN_E_clISD_SD_SD_SD_EEDaS11_S12_SI_SN_EUlS11_E_NS1_11comp_targetILNS1_3genE10ELNS1_11target_archE1201ELNS1_3gpuE5ELNS1_3repE0EEENS1_47radix_sort_onesweep_sort_config_static_selectorELNS0_4arch9wavefront6targetE1EEEvSI_,comdat
.Lfunc_end311:
	.size	_ZN7rocprim17ROCPRIM_400000_NS6detail17trampoline_kernelINS0_14default_configENS1_35radix_sort_onesweep_config_selectorIffEEZZNS1_29radix_sort_onesweep_iterationIS3_Lb0EN6thrust23THRUST_200600_302600_NS6detail15normal_iteratorINS8_10device_ptrIfEEEESD_SD_SD_jNS0_19identity_decomposerENS1_16block_id_wrapperIjLb1EEEEE10hipError_tT1_PNSt15iterator_traitsISI_E10value_typeET2_T3_PNSJ_ISO_E10value_typeET4_T5_PST_SU_PNS1_23onesweep_lookback_stateEbbT6_jjT7_P12ihipStream_tbENKUlT_T0_SI_SN_E_clISD_SD_SD_SD_EEDaS11_S12_SI_SN_EUlS11_E_NS1_11comp_targetILNS1_3genE10ELNS1_11target_archE1201ELNS1_3gpuE5ELNS1_3repE0EEENS1_47radix_sort_onesweep_sort_config_static_selectorELNS0_4arch9wavefront6targetE1EEEvSI_, .Lfunc_end311-_ZN7rocprim17ROCPRIM_400000_NS6detail17trampoline_kernelINS0_14default_configENS1_35radix_sort_onesweep_config_selectorIffEEZZNS1_29radix_sort_onesweep_iterationIS3_Lb0EN6thrust23THRUST_200600_302600_NS6detail15normal_iteratorINS8_10device_ptrIfEEEESD_SD_SD_jNS0_19identity_decomposerENS1_16block_id_wrapperIjLb1EEEEE10hipError_tT1_PNSt15iterator_traitsISI_E10value_typeET2_T3_PNSJ_ISO_E10value_typeET4_T5_PST_SU_PNS1_23onesweep_lookback_stateEbbT6_jjT7_P12ihipStream_tbENKUlT_T0_SI_SN_E_clISD_SD_SD_SD_EEDaS11_S12_SI_SN_EUlS11_E_NS1_11comp_targetILNS1_3genE10ELNS1_11target_archE1201ELNS1_3gpuE5ELNS1_3repE0EEENS1_47radix_sort_onesweep_sort_config_static_selectorELNS0_4arch9wavefront6targetE1EEEvSI_
                                        ; -- End function
	.set _ZN7rocprim17ROCPRIM_400000_NS6detail17trampoline_kernelINS0_14default_configENS1_35radix_sort_onesweep_config_selectorIffEEZZNS1_29radix_sort_onesweep_iterationIS3_Lb0EN6thrust23THRUST_200600_302600_NS6detail15normal_iteratorINS8_10device_ptrIfEEEESD_SD_SD_jNS0_19identity_decomposerENS1_16block_id_wrapperIjLb1EEEEE10hipError_tT1_PNSt15iterator_traitsISI_E10value_typeET2_T3_PNSJ_ISO_E10value_typeET4_T5_PST_SU_PNS1_23onesweep_lookback_stateEbbT6_jjT7_P12ihipStream_tbENKUlT_T0_SI_SN_E_clISD_SD_SD_SD_EEDaS11_S12_SI_SN_EUlS11_E_NS1_11comp_targetILNS1_3genE10ELNS1_11target_archE1201ELNS1_3gpuE5ELNS1_3repE0EEENS1_47radix_sort_onesweep_sort_config_static_selectorELNS0_4arch9wavefront6targetE1EEEvSI_.num_vgpr, 0
	.set _ZN7rocprim17ROCPRIM_400000_NS6detail17trampoline_kernelINS0_14default_configENS1_35radix_sort_onesweep_config_selectorIffEEZZNS1_29radix_sort_onesweep_iterationIS3_Lb0EN6thrust23THRUST_200600_302600_NS6detail15normal_iteratorINS8_10device_ptrIfEEEESD_SD_SD_jNS0_19identity_decomposerENS1_16block_id_wrapperIjLb1EEEEE10hipError_tT1_PNSt15iterator_traitsISI_E10value_typeET2_T3_PNSJ_ISO_E10value_typeET4_T5_PST_SU_PNS1_23onesweep_lookback_stateEbbT6_jjT7_P12ihipStream_tbENKUlT_T0_SI_SN_E_clISD_SD_SD_SD_EEDaS11_S12_SI_SN_EUlS11_E_NS1_11comp_targetILNS1_3genE10ELNS1_11target_archE1201ELNS1_3gpuE5ELNS1_3repE0EEENS1_47radix_sort_onesweep_sort_config_static_selectorELNS0_4arch9wavefront6targetE1EEEvSI_.num_agpr, 0
	.set _ZN7rocprim17ROCPRIM_400000_NS6detail17trampoline_kernelINS0_14default_configENS1_35radix_sort_onesweep_config_selectorIffEEZZNS1_29radix_sort_onesweep_iterationIS3_Lb0EN6thrust23THRUST_200600_302600_NS6detail15normal_iteratorINS8_10device_ptrIfEEEESD_SD_SD_jNS0_19identity_decomposerENS1_16block_id_wrapperIjLb1EEEEE10hipError_tT1_PNSt15iterator_traitsISI_E10value_typeET2_T3_PNSJ_ISO_E10value_typeET4_T5_PST_SU_PNS1_23onesweep_lookback_stateEbbT6_jjT7_P12ihipStream_tbENKUlT_T0_SI_SN_E_clISD_SD_SD_SD_EEDaS11_S12_SI_SN_EUlS11_E_NS1_11comp_targetILNS1_3genE10ELNS1_11target_archE1201ELNS1_3gpuE5ELNS1_3repE0EEENS1_47radix_sort_onesweep_sort_config_static_selectorELNS0_4arch9wavefront6targetE1EEEvSI_.numbered_sgpr, 0
	.set _ZN7rocprim17ROCPRIM_400000_NS6detail17trampoline_kernelINS0_14default_configENS1_35radix_sort_onesweep_config_selectorIffEEZZNS1_29radix_sort_onesweep_iterationIS3_Lb0EN6thrust23THRUST_200600_302600_NS6detail15normal_iteratorINS8_10device_ptrIfEEEESD_SD_SD_jNS0_19identity_decomposerENS1_16block_id_wrapperIjLb1EEEEE10hipError_tT1_PNSt15iterator_traitsISI_E10value_typeET2_T3_PNSJ_ISO_E10value_typeET4_T5_PST_SU_PNS1_23onesweep_lookback_stateEbbT6_jjT7_P12ihipStream_tbENKUlT_T0_SI_SN_E_clISD_SD_SD_SD_EEDaS11_S12_SI_SN_EUlS11_E_NS1_11comp_targetILNS1_3genE10ELNS1_11target_archE1201ELNS1_3gpuE5ELNS1_3repE0EEENS1_47radix_sort_onesweep_sort_config_static_selectorELNS0_4arch9wavefront6targetE1EEEvSI_.num_named_barrier, 0
	.set _ZN7rocprim17ROCPRIM_400000_NS6detail17trampoline_kernelINS0_14default_configENS1_35radix_sort_onesweep_config_selectorIffEEZZNS1_29radix_sort_onesweep_iterationIS3_Lb0EN6thrust23THRUST_200600_302600_NS6detail15normal_iteratorINS8_10device_ptrIfEEEESD_SD_SD_jNS0_19identity_decomposerENS1_16block_id_wrapperIjLb1EEEEE10hipError_tT1_PNSt15iterator_traitsISI_E10value_typeET2_T3_PNSJ_ISO_E10value_typeET4_T5_PST_SU_PNS1_23onesweep_lookback_stateEbbT6_jjT7_P12ihipStream_tbENKUlT_T0_SI_SN_E_clISD_SD_SD_SD_EEDaS11_S12_SI_SN_EUlS11_E_NS1_11comp_targetILNS1_3genE10ELNS1_11target_archE1201ELNS1_3gpuE5ELNS1_3repE0EEENS1_47radix_sort_onesweep_sort_config_static_selectorELNS0_4arch9wavefront6targetE1EEEvSI_.private_seg_size, 0
	.set _ZN7rocprim17ROCPRIM_400000_NS6detail17trampoline_kernelINS0_14default_configENS1_35radix_sort_onesweep_config_selectorIffEEZZNS1_29radix_sort_onesweep_iterationIS3_Lb0EN6thrust23THRUST_200600_302600_NS6detail15normal_iteratorINS8_10device_ptrIfEEEESD_SD_SD_jNS0_19identity_decomposerENS1_16block_id_wrapperIjLb1EEEEE10hipError_tT1_PNSt15iterator_traitsISI_E10value_typeET2_T3_PNSJ_ISO_E10value_typeET4_T5_PST_SU_PNS1_23onesweep_lookback_stateEbbT6_jjT7_P12ihipStream_tbENKUlT_T0_SI_SN_E_clISD_SD_SD_SD_EEDaS11_S12_SI_SN_EUlS11_E_NS1_11comp_targetILNS1_3genE10ELNS1_11target_archE1201ELNS1_3gpuE5ELNS1_3repE0EEENS1_47radix_sort_onesweep_sort_config_static_selectorELNS0_4arch9wavefront6targetE1EEEvSI_.uses_vcc, 0
	.set _ZN7rocprim17ROCPRIM_400000_NS6detail17trampoline_kernelINS0_14default_configENS1_35radix_sort_onesweep_config_selectorIffEEZZNS1_29radix_sort_onesweep_iterationIS3_Lb0EN6thrust23THRUST_200600_302600_NS6detail15normal_iteratorINS8_10device_ptrIfEEEESD_SD_SD_jNS0_19identity_decomposerENS1_16block_id_wrapperIjLb1EEEEE10hipError_tT1_PNSt15iterator_traitsISI_E10value_typeET2_T3_PNSJ_ISO_E10value_typeET4_T5_PST_SU_PNS1_23onesweep_lookback_stateEbbT6_jjT7_P12ihipStream_tbENKUlT_T0_SI_SN_E_clISD_SD_SD_SD_EEDaS11_S12_SI_SN_EUlS11_E_NS1_11comp_targetILNS1_3genE10ELNS1_11target_archE1201ELNS1_3gpuE5ELNS1_3repE0EEENS1_47radix_sort_onesweep_sort_config_static_selectorELNS0_4arch9wavefront6targetE1EEEvSI_.uses_flat_scratch, 0
	.set _ZN7rocprim17ROCPRIM_400000_NS6detail17trampoline_kernelINS0_14default_configENS1_35radix_sort_onesweep_config_selectorIffEEZZNS1_29radix_sort_onesweep_iterationIS3_Lb0EN6thrust23THRUST_200600_302600_NS6detail15normal_iteratorINS8_10device_ptrIfEEEESD_SD_SD_jNS0_19identity_decomposerENS1_16block_id_wrapperIjLb1EEEEE10hipError_tT1_PNSt15iterator_traitsISI_E10value_typeET2_T3_PNSJ_ISO_E10value_typeET4_T5_PST_SU_PNS1_23onesweep_lookback_stateEbbT6_jjT7_P12ihipStream_tbENKUlT_T0_SI_SN_E_clISD_SD_SD_SD_EEDaS11_S12_SI_SN_EUlS11_E_NS1_11comp_targetILNS1_3genE10ELNS1_11target_archE1201ELNS1_3gpuE5ELNS1_3repE0EEENS1_47radix_sort_onesweep_sort_config_static_selectorELNS0_4arch9wavefront6targetE1EEEvSI_.has_dyn_sized_stack, 0
	.set _ZN7rocprim17ROCPRIM_400000_NS6detail17trampoline_kernelINS0_14default_configENS1_35radix_sort_onesweep_config_selectorIffEEZZNS1_29radix_sort_onesweep_iterationIS3_Lb0EN6thrust23THRUST_200600_302600_NS6detail15normal_iteratorINS8_10device_ptrIfEEEESD_SD_SD_jNS0_19identity_decomposerENS1_16block_id_wrapperIjLb1EEEEE10hipError_tT1_PNSt15iterator_traitsISI_E10value_typeET2_T3_PNSJ_ISO_E10value_typeET4_T5_PST_SU_PNS1_23onesweep_lookback_stateEbbT6_jjT7_P12ihipStream_tbENKUlT_T0_SI_SN_E_clISD_SD_SD_SD_EEDaS11_S12_SI_SN_EUlS11_E_NS1_11comp_targetILNS1_3genE10ELNS1_11target_archE1201ELNS1_3gpuE5ELNS1_3repE0EEENS1_47radix_sort_onesweep_sort_config_static_selectorELNS0_4arch9wavefront6targetE1EEEvSI_.has_recursion, 0
	.set _ZN7rocprim17ROCPRIM_400000_NS6detail17trampoline_kernelINS0_14default_configENS1_35radix_sort_onesweep_config_selectorIffEEZZNS1_29radix_sort_onesweep_iterationIS3_Lb0EN6thrust23THRUST_200600_302600_NS6detail15normal_iteratorINS8_10device_ptrIfEEEESD_SD_SD_jNS0_19identity_decomposerENS1_16block_id_wrapperIjLb1EEEEE10hipError_tT1_PNSt15iterator_traitsISI_E10value_typeET2_T3_PNSJ_ISO_E10value_typeET4_T5_PST_SU_PNS1_23onesweep_lookback_stateEbbT6_jjT7_P12ihipStream_tbENKUlT_T0_SI_SN_E_clISD_SD_SD_SD_EEDaS11_S12_SI_SN_EUlS11_E_NS1_11comp_targetILNS1_3genE10ELNS1_11target_archE1201ELNS1_3gpuE5ELNS1_3repE0EEENS1_47radix_sort_onesweep_sort_config_static_selectorELNS0_4arch9wavefront6targetE1EEEvSI_.has_indirect_call, 0
	.section	.AMDGPU.csdata,"",@progbits
; Kernel info:
; codeLenInByte = 0
; TotalNumSgprs: 6
; NumVgprs: 0
; NumAgprs: 0
; TotalNumVgprs: 0
; ScratchSize: 0
; MemoryBound: 0
; FloatMode: 240
; IeeeMode: 1
; LDSByteSize: 0 bytes/workgroup (compile time only)
; SGPRBlocks: 0
; VGPRBlocks: 0
; NumSGPRsForWavesPerEU: 6
; NumVGPRsForWavesPerEU: 1
; AccumOffset: 4
; Occupancy: 8
; WaveLimiterHint : 0
; COMPUTE_PGM_RSRC2:SCRATCH_EN: 0
; COMPUTE_PGM_RSRC2:USER_SGPR: 2
; COMPUTE_PGM_RSRC2:TRAP_HANDLER: 0
; COMPUTE_PGM_RSRC2:TGID_X_EN: 1
; COMPUTE_PGM_RSRC2:TGID_Y_EN: 0
; COMPUTE_PGM_RSRC2:TGID_Z_EN: 0
; COMPUTE_PGM_RSRC2:TIDIG_COMP_CNT: 0
; COMPUTE_PGM_RSRC3_GFX90A:ACCUM_OFFSET: 0
; COMPUTE_PGM_RSRC3_GFX90A:TG_SPLIT: 0
	.section	.text._ZN7rocprim17ROCPRIM_400000_NS6detail17trampoline_kernelINS0_14default_configENS1_35radix_sort_onesweep_config_selectorIffEEZZNS1_29radix_sort_onesweep_iterationIS3_Lb0EN6thrust23THRUST_200600_302600_NS6detail15normal_iteratorINS8_10device_ptrIfEEEESD_SD_SD_jNS0_19identity_decomposerENS1_16block_id_wrapperIjLb1EEEEE10hipError_tT1_PNSt15iterator_traitsISI_E10value_typeET2_T3_PNSJ_ISO_E10value_typeET4_T5_PST_SU_PNS1_23onesweep_lookback_stateEbbT6_jjT7_P12ihipStream_tbENKUlT_T0_SI_SN_E_clISD_SD_SD_SD_EEDaS11_S12_SI_SN_EUlS11_E_NS1_11comp_targetILNS1_3genE9ELNS1_11target_archE1100ELNS1_3gpuE3ELNS1_3repE0EEENS1_47radix_sort_onesweep_sort_config_static_selectorELNS0_4arch9wavefront6targetE1EEEvSI_,"axG",@progbits,_ZN7rocprim17ROCPRIM_400000_NS6detail17trampoline_kernelINS0_14default_configENS1_35radix_sort_onesweep_config_selectorIffEEZZNS1_29radix_sort_onesweep_iterationIS3_Lb0EN6thrust23THRUST_200600_302600_NS6detail15normal_iteratorINS8_10device_ptrIfEEEESD_SD_SD_jNS0_19identity_decomposerENS1_16block_id_wrapperIjLb1EEEEE10hipError_tT1_PNSt15iterator_traitsISI_E10value_typeET2_T3_PNSJ_ISO_E10value_typeET4_T5_PST_SU_PNS1_23onesweep_lookback_stateEbbT6_jjT7_P12ihipStream_tbENKUlT_T0_SI_SN_E_clISD_SD_SD_SD_EEDaS11_S12_SI_SN_EUlS11_E_NS1_11comp_targetILNS1_3genE9ELNS1_11target_archE1100ELNS1_3gpuE3ELNS1_3repE0EEENS1_47radix_sort_onesweep_sort_config_static_selectorELNS0_4arch9wavefront6targetE1EEEvSI_,comdat
	.protected	_ZN7rocprim17ROCPRIM_400000_NS6detail17trampoline_kernelINS0_14default_configENS1_35radix_sort_onesweep_config_selectorIffEEZZNS1_29radix_sort_onesweep_iterationIS3_Lb0EN6thrust23THRUST_200600_302600_NS6detail15normal_iteratorINS8_10device_ptrIfEEEESD_SD_SD_jNS0_19identity_decomposerENS1_16block_id_wrapperIjLb1EEEEE10hipError_tT1_PNSt15iterator_traitsISI_E10value_typeET2_T3_PNSJ_ISO_E10value_typeET4_T5_PST_SU_PNS1_23onesweep_lookback_stateEbbT6_jjT7_P12ihipStream_tbENKUlT_T0_SI_SN_E_clISD_SD_SD_SD_EEDaS11_S12_SI_SN_EUlS11_E_NS1_11comp_targetILNS1_3genE9ELNS1_11target_archE1100ELNS1_3gpuE3ELNS1_3repE0EEENS1_47radix_sort_onesweep_sort_config_static_selectorELNS0_4arch9wavefront6targetE1EEEvSI_ ; -- Begin function _ZN7rocprim17ROCPRIM_400000_NS6detail17trampoline_kernelINS0_14default_configENS1_35radix_sort_onesweep_config_selectorIffEEZZNS1_29radix_sort_onesweep_iterationIS3_Lb0EN6thrust23THRUST_200600_302600_NS6detail15normal_iteratorINS8_10device_ptrIfEEEESD_SD_SD_jNS0_19identity_decomposerENS1_16block_id_wrapperIjLb1EEEEE10hipError_tT1_PNSt15iterator_traitsISI_E10value_typeET2_T3_PNSJ_ISO_E10value_typeET4_T5_PST_SU_PNS1_23onesweep_lookback_stateEbbT6_jjT7_P12ihipStream_tbENKUlT_T0_SI_SN_E_clISD_SD_SD_SD_EEDaS11_S12_SI_SN_EUlS11_E_NS1_11comp_targetILNS1_3genE9ELNS1_11target_archE1100ELNS1_3gpuE3ELNS1_3repE0EEENS1_47radix_sort_onesweep_sort_config_static_selectorELNS0_4arch9wavefront6targetE1EEEvSI_
	.globl	_ZN7rocprim17ROCPRIM_400000_NS6detail17trampoline_kernelINS0_14default_configENS1_35radix_sort_onesweep_config_selectorIffEEZZNS1_29radix_sort_onesweep_iterationIS3_Lb0EN6thrust23THRUST_200600_302600_NS6detail15normal_iteratorINS8_10device_ptrIfEEEESD_SD_SD_jNS0_19identity_decomposerENS1_16block_id_wrapperIjLb1EEEEE10hipError_tT1_PNSt15iterator_traitsISI_E10value_typeET2_T3_PNSJ_ISO_E10value_typeET4_T5_PST_SU_PNS1_23onesweep_lookback_stateEbbT6_jjT7_P12ihipStream_tbENKUlT_T0_SI_SN_E_clISD_SD_SD_SD_EEDaS11_S12_SI_SN_EUlS11_E_NS1_11comp_targetILNS1_3genE9ELNS1_11target_archE1100ELNS1_3gpuE3ELNS1_3repE0EEENS1_47radix_sort_onesweep_sort_config_static_selectorELNS0_4arch9wavefront6targetE1EEEvSI_
	.p2align	8
	.type	_ZN7rocprim17ROCPRIM_400000_NS6detail17trampoline_kernelINS0_14default_configENS1_35radix_sort_onesweep_config_selectorIffEEZZNS1_29radix_sort_onesweep_iterationIS3_Lb0EN6thrust23THRUST_200600_302600_NS6detail15normal_iteratorINS8_10device_ptrIfEEEESD_SD_SD_jNS0_19identity_decomposerENS1_16block_id_wrapperIjLb1EEEEE10hipError_tT1_PNSt15iterator_traitsISI_E10value_typeET2_T3_PNSJ_ISO_E10value_typeET4_T5_PST_SU_PNS1_23onesweep_lookback_stateEbbT6_jjT7_P12ihipStream_tbENKUlT_T0_SI_SN_E_clISD_SD_SD_SD_EEDaS11_S12_SI_SN_EUlS11_E_NS1_11comp_targetILNS1_3genE9ELNS1_11target_archE1100ELNS1_3gpuE3ELNS1_3repE0EEENS1_47radix_sort_onesweep_sort_config_static_selectorELNS0_4arch9wavefront6targetE1EEEvSI_,@function
_ZN7rocprim17ROCPRIM_400000_NS6detail17trampoline_kernelINS0_14default_configENS1_35radix_sort_onesweep_config_selectorIffEEZZNS1_29radix_sort_onesweep_iterationIS3_Lb0EN6thrust23THRUST_200600_302600_NS6detail15normal_iteratorINS8_10device_ptrIfEEEESD_SD_SD_jNS0_19identity_decomposerENS1_16block_id_wrapperIjLb1EEEEE10hipError_tT1_PNSt15iterator_traitsISI_E10value_typeET2_T3_PNSJ_ISO_E10value_typeET4_T5_PST_SU_PNS1_23onesweep_lookback_stateEbbT6_jjT7_P12ihipStream_tbENKUlT_T0_SI_SN_E_clISD_SD_SD_SD_EEDaS11_S12_SI_SN_EUlS11_E_NS1_11comp_targetILNS1_3genE9ELNS1_11target_archE1100ELNS1_3gpuE3ELNS1_3repE0EEENS1_47radix_sort_onesweep_sort_config_static_selectorELNS0_4arch9wavefront6targetE1EEEvSI_: ; @_ZN7rocprim17ROCPRIM_400000_NS6detail17trampoline_kernelINS0_14default_configENS1_35radix_sort_onesweep_config_selectorIffEEZZNS1_29radix_sort_onesweep_iterationIS3_Lb0EN6thrust23THRUST_200600_302600_NS6detail15normal_iteratorINS8_10device_ptrIfEEEESD_SD_SD_jNS0_19identity_decomposerENS1_16block_id_wrapperIjLb1EEEEE10hipError_tT1_PNSt15iterator_traitsISI_E10value_typeET2_T3_PNSJ_ISO_E10value_typeET4_T5_PST_SU_PNS1_23onesweep_lookback_stateEbbT6_jjT7_P12ihipStream_tbENKUlT_T0_SI_SN_E_clISD_SD_SD_SD_EEDaS11_S12_SI_SN_EUlS11_E_NS1_11comp_targetILNS1_3genE9ELNS1_11target_archE1100ELNS1_3gpuE3ELNS1_3repE0EEENS1_47radix_sort_onesweep_sort_config_static_selectorELNS0_4arch9wavefront6targetE1EEEvSI_
; %bb.0:
	.section	.rodata,"a",@progbits
	.p2align	6, 0x0
	.amdhsa_kernel _ZN7rocprim17ROCPRIM_400000_NS6detail17trampoline_kernelINS0_14default_configENS1_35radix_sort_onesweep_config_selectorIffEEZZNS1_29radix_sort_onesweep_iterationIS3_Lb0EN6thrust23THRUST_200600_302600_NS6detail15normal_iteratorINS8_10device_ptrIfEEEESD_SD_SD_jNS0_19identity_decomposerENS1_16block_id_wrapperIjLb1EEEEE10hipError_tT1_PNSt15iterator_traitsISI_E10value_typeET2_T3_PNSJ_ISO_E10value_typeET4_T5_PST_SU_PNS1_23onesweep_lookback_stateEbbT6_jjT7_P12ihipStream_tbENKUlT_T0_SI_SN_E_clISD_SD_SD_SD_EEDaS11_S12_SI_SN_EUlS11_E_NS1_11comp_targetILNS1_3genE9ELNS1_11target_archE1100ELNS1_3gpuE3ELNS1_3repE0EEENS1_47radix_sort_onesweep_sort_config_static_selectorELNS0_4arch9wavefront6targetE1EEEvSI_
		.amdhsa_group_segment_fixed_size 0
		.amdhsa_private_segment_fixed_size 0
		.amdhsa_kernarg_size 88
		.amdhsa_user_sgpr_count 2
		.amdhsa_user_sgpr_dispatch_ptr 0
		.amdhsa_user_sgpr_queue_ptr 0
		.amdhsa_user_sgpr_kernarg_segment_ptr 1
		.amdhsa_user_sgpr_dispatch_id 0
		.amdhsa_user_sgpr_kernarg_preload_length 0
		.amdhsa_user_sgpr_kernarg_preload_offset 0
		.amdhsa_user_sgpr_private_segment_size 0
		.amdhsa_uses_dynamic_stack 0
		.amdhsa_enable_private_segment 0
		.amdhsa_system_sgpr_workgroup_id_x 1
		.amdhsa_system_sgpr_workgroup_id_y 0
		.amdhsa_system_sgpr_workgroup_id_z 0
		.amdhsa_system_sgpr_workgroup_info 0
		.amdhsa_system_vgpr_workitem_id 0
		.amdhsa_next_free_vgpr 1
		.amdhsa_next_free_sgpr 0
		.amdhsa_accum_offset 4
		.amdhsa_reserve_vcc 0
		.amdhsa_float_round_mode_32 0
		.amdhsa_float_round_mode_16_64 0
		.amdhsa_float_denorm_mode_32 3
		.amdhsa_float_denorm_mode_16_64 3
		.amdhsa_dx10_clamp 1
		.amdhsa_ieee_mode 1
		.amdhsa_fp16_overflow 0
		.amdhsa_tg_split 0
		.amdhsa_exception_fp_ieee_invalid_op 0
		.amdhsa_exception_fp_denorm_src 0
		.amdhsa_exception_fp_ieee_div_zero 0
		.amdhsa_exception_fp_ieee_overflow 0
		.amdhsa_exception_fp_ieee_underflow 0
		.amdhsa_exception_fp_ieee_inexact 0
		.amdhsa_exception_int_div_zero 0
	.end_amdhsa_kernel
	.section	.text._ZN7rocprim17ROCPRIM_400000_NS6detail17trampoline_kernelINS0_14default_configENS1_35radix_sort_onesweep_config_selectorIffEEZZNS1_29radix_sort_onesweep_iterationIS3_Lb0EN6thrust23THRUST_200600_302600_NS6detail15normal_iteratorINS8_10device_ptrIfEEEESD_SD_SD_jNS0_19identity_decomposerENS1_16block_id_wrapperIjLb1EEEEE10hipError_tT1_PNSt15iterator_traitsISI_E10value_typeET2_T3_PNSJ_ISO_E10value_typeET4_T5_PST_SU_PNS1_23onesweep_lookback_stateEbbT6_jjT7_P12ihipStream_tbENKUlT_T0_SI_SN_E_clISD_SD_SD_SD_EEDaS11_S12_SI_SN_EUlS11_E_NS1_11comp_targetILNS1_3genE9ELNS1_11target_archE1100ELNS1_3gpuE3ELNS1_3repE0EEENS1_47radix_sort_onesweep_sort_config_static_selectorELNS0_4arch9wavefront6targetE1EEEvSI_,"axG",@progbits,_ZN7rocprim17ROCPRIM_400000_NS6detail17trampoline_kernelINS0_14default_configENS1_35radix_sort_onesweep_config_selectorIffEEZZNS1_29radix_sort_onesweep_iterationIS3_Lb0EN6thrust23THRUST_200600_302600_NS6detail15normal_iteratorINS8_10device_ptrIfEEEESD_SD_SD_jNS0_19identity_decomposerENS1_16block_id_wrapperIjLb1EEEEE10hipError_tT1_PNSt15iterator_traitsISI_E10value_typeET2_T3_PNSJ_ISO_E10value_typeET4_T5_PST_SU_PNS1_23onesweep_lookback_stateEbbT6_jjT7_P12ihipStream_tbENKUlT_T0_SI_SN_E_clISD_SD_SD_SD_EEDaS11_S12_SI_SN_EUlS11_E_NS1_11comp_targetILNS1_3genE9ELNS1_11target_archE1100ELNS1_3gpuE3ELNS1_3repE0EEENS1_47radix_sort_onesweep_sort_config_static_selectorELNS0_4arch9wavefront6targetE1EEEvSI_,comdat
.Lfunc_end312:
	.size	_ZN7rocprim17ROCPRIM_400000_NS6detail17trampoline_kernelINS0_14default_configENS1_35radix_sort_onesweep_config_selectorIffEEZZNS1_29radix_sort_onesweep_iterationIS3_Lb0EN6thrust23THRUST_200600_302600_NS6detail15normal_iteratorINS8_10device_ptrIfEEEESD_SD_SD_jNS0_19identity_decomposerENS1_16block_id_wrapperIjLb1EEEEE10hipError_tT1_PNSt15iterator_traitsISI_E10value_typeET2_T3_PNSJ_ISO_E10value_typeET4_T5_PST_SU_PNS1_23onesweep_lookback_stateEbbT6_jjT7_P12ihipStream_tbENKUlT_T0_SI_SN_E_clISD_SD_SD_SD_EEDaS11_S12_SI_SN_EUlS11_E_NS1_11comp_targetILNS1_3genE9ELNS1_11target_archE1100ELNS1_3gpuE3ELNS1_3repE0EEENS1_47radix_sort_onesweep_sort_config_static_selectorELNS0_4arch9wavefront6targetE1EEEvSI_, .Lfunc_end312-_ZN7rocprim17ROCPRIM_400000_NS6detail17trampoline_kernelINS0_14default_configENS1_35radix_sort_onesweep_config_selectorIffEEZZNS1_29radix_sort_onesweep_iterationIS3_Lb0EN6thrust23THRUST_200600_302600_NS6detail15normal_iteratorINS8_10device_ptrIfEEEESD_SD_SD_jNS0_19identity_decomposerENS1_16block_id_wrapperIjLb1EEEEE10hipError_tT1_PNSt15iterator_traitsISI_E10value_typeET2_T3_PNSJ_ISO_E10value_typeET4_T5_PST_SU_PNS1_23onesweep_lookback_stateEbbT6_jjT7_P12ihipStream_tbENKUlT_T0_SI_SN_E_clISD_SD_SD_SD_EEDaS11_S12_SI_SN_EUlS11_E_NS1_11comp_targetILNS1_3genE9ELNS1_11target_archE1100ELNS1_3gpuE3ELNS1_3repE0EEENS1_47radix_sort_onesweep_sort_config_static_selectorELNS0_4arch9wavefront6targetE1EEEvSI_
                                        ; -- End function
	.set _ZN7rocprim17ROCPRIM_400000_NS6detail17trampoline_kernelINS0_14default_configENS1_35radix_sort_onesweep_config_selectorIffEEZZNS1_29radix_sort_onesweep_iterationIS3_Lb0EN6thrust23THRUST_200600_302600_NS6detail15normal_iteratorINS8_10device_ptrIfEEEESD_SD_SD_jNS0_19identity_decomposerENS1_16block_id_wrapperIjLb1EEEEE10hipError_tT1_PNSt15iterator_traitsISI_E10value_typeET2_T3_PNSJ_ISO_E10value_typeET4_T5_PST_SU_PNS1_23onesweep_lookback_stateEbbT6_jjT7_P12ihipStream_tbENKUlT_T0_SI_SN_E_clISD_SD_SD_SD_EEDaS11_S12_SI_SN_EUlS11_E_NS1_11comp_targetILNS1_3genE9ELNS1_11target_archE1100ELNS1_3gpuE3ELNS1_3repE0EEENS1_47radix_sort_onesweep_sort_config_static_selectorELNS0_4arch9wavefront6targetE1EEEvSI_.num_vgpr, 0
	.set _ZN7rocprim17ROCPRIM_400000_NS6detail17trampoline_kernelINS0_14default_configENS1_35radix_sort_onesweep_config_selectorIffEEZZNS1_29radix_sort_onesweep_iterationIS3_Lb0EN6thrust23THRUST_200600_302600_NS6detail15normal_iteratorINS8_10device_ptrIfEEEESD_SD_SD_jNS0_19identity_decomposerENS1_16block_id_wrapperIjLb1EEEEE10hipError_tT1_PNSt15iterator_traitsISI_E10value_typeET2_T3_PNSJ_ISO_E10value_typeET4_T5_PST_SU_PNS1_23onesweep_lookback_stateEbbT6_jjT7_P12ihipStream_tbENKUlT_T0_SI_SN_E_clISD_SD_SD_SD_EEDaS11_S12_SI_SN_EUlS11_E_NS1_11comp_targetILNS1_3genE9ELNS1_11target_archE1100ELNS1_3gpuE3ELNS1_3repE0EEENS1_47radix_sort_onesweep_sort_config_static_selectorELNS0_4arch9wavefront6targetE1EEEvSI_.num_agpr, 0
	.set _ZN7rocprim17ROCPRIM_400000_NS6detail17trampoline_kernelINS0_14default_configENS1_35radix_sort_onesweep_config_selectorIffEEZZNS1_29radix_sort_onesweep_iterationIS3_Lb0EN6thrust23THRUST_200600_302600_NS6detail15normal_iteratorINS8_10device_ptrIfEEEESD_SD_SD_jNS0_19identity_decomposerENS1_16block_id_wrapperIjLb1EEEEE10hipError_tT1_PNSt15iterator_traitsISI_E10value_typeET2_T3_PNSJ_ISO_E10value_typeET4_T5_PST_SU_PNS1_23onesweep_lookback_stateEbbT6_jjT7_P12ihipStream_tbENKUlT_T0_SI_SN_E_clISD_SD_SD_SD_EEDaS11_S12_SI_SN_EUlS11_E_NS1_11comp_targetILNS1_3genE9ELNS1_11target_archE1100ELNS1_3gpuE3ELNS1_3repE0EEENS1_47radix_sort_onesweep_sort_config_static_selectorELNS0_4arch9wavefront6targetE1EEEvSI_.numbered_sgpr, 0
	.set _ZN7rocprim17ROCPRIM_400000_NS6detail17trampoline_kernelINS0_14default_configENS1_35radix_sort_onesweep_config_selectorIffEEZZNS1_29radix_sort_onesweep_iterationIS3_Lb0EN6thrust23THRUST_200600_302600_NS6detail15normal_iteratorINS8_10device_ptrIfEEEESD_SD_SD_jNS0_19identity_decomposerENS1_16block_id_wrapperIjLb1EEEEE10hipError_tT1_PNSt15iterator_traitsISI_E10value_typeET2_T3_PNSJ_ISO_E10value_typeET4_T5_PST_SU_PNS1_23onesweep_lookback_stateEbbT6_jjT7_P12ihipStream_tbENKUlT_T0_SI_SN_E_clISD_SD_SD_SD_EEDaS11_S12_SI_SN_EUlS11_E_NS1_11comp_targetILNS1_3genE9ELNS1_11target_archE1100ELNS1_3gpuE3ELNS1_3repE0EEENS1_47radix_sort_onesweep_sort_config_static_selectorELNS0_4arch9wavefront6targetE1EEEvSI_.num_named_barrier, 0
	.set _ZN7rocprim17ROCPRIM_400000_NS6detail17trampoline_kernelINS0_14default_configENS1_35radix_sort_onesweep_config_selectorIffEEZZNS1_29radix_sort_onesweep_iterationIS3_Lb0EN6thrust23THRUST_200600_302600_NS6detail15normal_iteratorINS8_10device_ptrIfEEEESD_SD_SD_jNS0_19identity_decomposerENS1_16block_id_wrapperIjLb1EEEEE10hipError_tT1_PNSt15iterator_traitsISI_E10value_typeET2_T3_PNSJ_ISO_E10value_typeET4_T5_PST_SU_PNS1_23onesweep_lookback_stateEbbT6_jjT7_P12ihipStream_tbENKUlT_T0_SI_SN_E_clISD_SD_SD_SD_EEDaS11_S12_SI_SN_EUlS11_E_NS1_11comp_targetILNS1_3genE9ELNS1_11target_archE1100ELNS1_3gpuE3ELNS1_3repE0EEENS1_47radix_sort_onesweep_sort_config_static_selectorELNS0_4arch9wavefront6targetE1EEEvSI_.private_seg_size, 0
	.set _ZN7rocprim17ROCPRIM_400000_NS6detail17trampoline_kernelINS0_14default_configENS1_35radix_sort_onesweep_config_selectorIffEEZZNS1_29radix_sort_onesweep_iterationIS3_Lb0EN6thrust23THRUST_200600_302600_NS6detail15normal_iteratorINS8_10device_ptrIfEEEESD_SD_SD_jNS0_19identity_decomposerENS1_16block_id_wrapperIjLb1EEEEE10hipError_tT1_PNSt15iterator_traitsISI_E10value_typeET2_T3_PNSJ_ISO_E10value_typeET4_T5_PST_SU_PNS1_23onesweep_lookback_stateEbbT6_jjT7_P12ihipStream_tbENKUlT_T0_SI_SN_E_clISD_SD_SD_SD_EEDaS11_S12_SI_SN_EUlS11_E_NS1_11comp_targetILNS1_3genE9ELNS1_11target_archE1100ELNS1_3gpuE3ELNS1_3repE0EEENS1_47radix_sort_onesweep_sort_config_static_selectorELNS0_4arch9wavefront6targetE1EEEvSI_.uses_vcc, 0
	.set _ZN7rocprim17ROCPRIM_400000_NS6detail17trampoline_kernelINS0_14default_configENS1_35radix_sort_onesweep_config_selectorIffEEZZNS1_29radix_sort_onesweep_iterationIS3_Lb0EN6thrust23THRUST_200600_302600_NS6detail15normal_iteratorINS8_10device_ptrIfEEEESD_SD_SD_jNS0_19identity_decomposerENS1_16block_id_wrapperIjLb1EEEEE10hipError_tT1_PNSt15iterator_traitsISI_E10value_typeET2_T3_PNSJ_ISO_E10value_typeET4_T5_PST_SU_PNS1_23onesweep_lookback_stateEbbT6_jjT7_P12ihipStream_tbENKUlT_T0_SI_SN_E_clISD_SD_SD_SD_EEDaS11_S12_SI_SN_EUlS11_E_NS1_11comp_targetILNS1_3genE9ELNS1_11target_archE1100ELNS1_3gpuE3ELNS1_3repE0EEENS1_47radix_sort_onesweep_sort_config_static_selectorELNS0_4arch9wavefront6targetE1EEEvSI_.uses_flat_scratch, 0
	.set _ZN7rocprim17ROCPRIM_400000_NS6detail17trampoline_kernelINS0_14default_configENS1_35radix_sort_onesweep_config_selectorIffEEZZNS1_29radix_sort_onesweep_iterationIS3_Lb0EN6thrust23THRUST_200600_302600_NS6detail15normal_iteratorINS8_10device_ptrIfEEEESD_SD_SD_jNS0_19identity_decomposerENS1_16block_id_wrapperIjLb1EEEEE10hipError_tT1_PNSt15iterator_traitsISI_E10value_typeET2_T3_PNSJ_ISO_E10value_typeET4_T5_PST_SU_PNS1_23onesweep_lookback_stateEbbT6_jjT7_P12ihipStream_tbENKUlT_T0_SI_SN_E_clISD_SD_SD_SD_EEDaS11_S12_SI_SN_EUlS11_E_NS1_11comp_targetILNS1_3genE9ELNS1_11target_archE1100ELNS1_3gpuE3ELNS1_3repE0EEENS1_47radix_sort_onesweep_sort_config_static_selectorELNS0_4arch9wavefront6targetE1EEEvSI_.has_dyn_sized_stack, 0
	.set _ZN7rocprim17ROCPRIM_400000_NS6detail17trampoline_kernelINS0_14default_configENS1_35radix_sort_onesweep_config_selectorIffEEZZNS1_29radix_sort_onesweep_iterationIS3_Lb0EN6thrust23THRUST_200600_302600_NS6detail15normal_iteratorINS8_10device_ptrIfEEEESD_SD_SD_jNS0_19identity_decomposerENS1_16block_id_wrapperIjLb1EEEEE10hipError_tT1_PNSt15iterator_traitsISI_E10value_typeET2_T3_PNSJ_ISO_E10value_typeET4_T5_PST_SU_PNS1_23onesweep_lookback_stateEbbT6_jjT7_P12ihipStream_tbENKUlT_T0_SI_SN_E_clISD_SD_SD_SD_EEDaS11_S12_SI_SN_EUlS11_E_NS1_11comp_targetILNS1_3genE9ELNS1_11target_archE1100ELNS1_3gpuE3ELNS1_3repE0EEENS1_47radix_sort_onesweep_sort_config_static_selectorELNS0_4arch9wavefront6targetE1EEEvSI_.has_recursion, 0
	.set _ZN7rocprim17ROCPRIM_400000_NS6detail17trampoline_kernelINS0_14default_configENS1_35radix_sort_onesweep_config_selectorIffEEZZNS1_29radix_sort_onesweep_iterationIS3_Lb0EN6thrust23THRUST_200600_302600_NS6detail15normal_iteratorINS8_10device_ptrIfEEEESD_SD_SD_jNS0_19identity_decomposerENS1_16block_id_wrapperIjLb1EEEEE10hipError_tT1_PNSt15iterator_traitsISI_E10value_typeET2_T3_PNSJ_ISO_E10value_typeET4_T5_PST_SU_PNS1_23onesweep_lookback_stateEbbT6_jjT7_P12ihipStream_tbENKUlT_T0_SI_SN_E_clISD_SD_SD_SD_EEDaS11_S12_SI_SN_EUlS11_E_NS1_11comp_targetILNS1_3genE9ELNS1_11target_archE1100ELNS1_3gpuE3ELNS1_3repE0EEENS1_47radix_sort_onesweep_sort_config_static_selectorELNS0_4arch9wavefront6targetE1EEEvSI_.has_indirect_call, 0
	.section	.AMDGPU.csdata,"",@progbits
; Kernel info:
; codeLenInByte = 0
; TotalNumSgprs: 6
; NumVgprs: 0
; NumAgprs: 0
; TotalNumVgprs: 0
; ScratchSize: 0
; MemoryBound: 0
; FloatMode: 240
; IeeeMode: 1
; LDSByteSize: 0 bytes/workgroup (compile time only)
; SGPRBlocks: 0
; VGPRBlocks: 0
; NumSGPRsForWavesPerEU: 6
; NumVGPRsForWavesPerEU: 1
; AccumOffset: 4
; Occupancy: 8
; WaveLimiterHint : 0
; COMPUTE_PGM_RSRC2:SCRATCH_EN: 0
; COMPUTE_PGM_RSRC2:USER_SGPR: 2
; COMPUTE_PGM_RSRC2:TRAP_HANDLER: 0
; COMPUTE_PGM_RSRC2:TGID_X_EN: 1
; COMPUTE_PGM_RSRC2:TGID_Y_EN: 0
; COMPUTE_PGM_RSRC2:TGID_Z_EN: 0
; COMPUTE_PGM_RSRC2:TIDIG_COMP_CNT: 0
; COMPUTE_PGM_RSRC3_GFX90A:ACCUM_OFFSET: 0
; COMPUTE_PGM_RSRC3_GFX90A:TG_SPLIT: 0
	.section	.text._ZN7rocprim17ROCPRIM_400000_NS6detail17trampoline_kernelINS0_14default_configENS1_35radix_sort_onesweep_config_selectorIffEEZZNS1_29radix_sort_onesweep_iterationIS3_Lb0EN6thrust23THRUST_200600_302600_NS6detail15normal_iteratorINS8_10device_ptrIfEEEESD_SD_SD_jNS0_19identity_decomposerENS1_16block_id_wrapperIjLb1EEEEE10hipError_tT1_PNSt15iterator_traitsISI_E10value_typeET2_T3_PNSJ_ISO_E10value_typeET4_T5_PST_SU_PNS1_23onesweep_lookback_stateEbbT6_jjT7_P12ihipStream_tbENKUlT_T0_SI_SN_E_clISD_SD_SD_SD_EEDaS11_S12_SI_SN_EUlS11_E_NS1_11comp_targetILNS1_3genE8ELNS1_11target_archE1030ELNS1_3gpuE2ELNS1_3repE0EEENS1_47radix_sort_onesweep_sort_config_static_selectorELNS0_4arch9wavefront6targetE1EEEvSI_,"axG",@progbits,_ZN7rocprim17ROCPRIM_400000_NS6detail17trampoline_kernelINS0_14default_configENS1_35radix_sort_onesweep_config_selectorIffEEZZNS1_29radix_sort_onesweep_iterationIS3_Lb0EN6thrust23THRUST_200600_302600_NS6detail15normal_iteratorINS8_10device_ptrIfEEEESD_SD_SD_jNS0_19identity_decomposerENS1_16block_id_wrapperIjLb1EEEEE10hipError_tT1_PNSt15iterator_traitsISI_E10value_typeET2_T3_PNSJ_ISO_E10value_typeET4_T5_PST_SU_PNS1_23onesweep_lookback_stateEbbT6_jjT7_P12ihipStream_tbENKUlT_T0_SI_SN_E_clISD_SD_SD_SD_EEDaS11_S12_SI_SN_EUlS11_E_NS1_11comp_targetILNS1_3genE8ELNS1_11target_archE1030ELNS1_3gpuE2ELNS1_3repE0EEENS1_47radix_sort_onesweep_sort_config_static_selectorELNS0_4arch9wavefront6targetE1EEEvSI_,comdat
	.protected	_ZN7rocprim17ROCPRIM_400000_NS6detail17trampoline_kernelINS0_14default_configENS1_35radix_sort_onesweep_config_selectorIffEEZZNS1_29radix_sort_onesweep_iterationIS3_Lb0EN6thrust23THRUST_200600_302600_NS6detail15normal_iteratorINS8_10device_ptrIfEEEESD_SD_SD_jNS0_19identity_decomposerENS1_16block_id_wrapperIjLb1EEEEE10hipError_tT1_PNSt15iterator_traitsISI_E10value_typeET2_T3_PNSJ_ISO_E10value_typeET4_T5_PST_SU_PNS1_23onesweep_lookback_stateEbbT6_jjT7_P12ihipStream_tbENKUlT_T0_SI_SN_E_clISD_SD_SD_SD_EEDaS11_S12_SI_SN_EUlS11_E_NS1_11comp_targetILNS1_3genE8ELNS1_11target_archE1030ELNS1_3gpuE2ELNS1_3repE0EEENS1_47radix_sort_onesweep_sort_config_static_selectorELNS0_4arch9wavefront6targetE1EEEvSI_ ; -- Begin function _ZN7rocprim17ROCPRIM_400000_NS6detail17trampoline_kernelINS0_14default_configENS1_35radix_sort_onesweep_config_selectorIffEEZZNS1_29radix_sort_onesweep_iterationIS3_Lb0EN6thrust23THRUST_200600_302600_NS6detail15normal_iteratorINS8_10device_ptrIfEEEESD_SD_SD_jNS0_19identity_decomposerENS1_16block_id_wrapperIjLb1EEEEE10hipError_tT1_PNSt15iterator_traitsISI_E10value_typeET2_T3_PNSJ_ISO_E10value_typeET4_T5_PST_SU_PNS1_23onesweep_lookback_stateEbbT6_jjT7_P12ihipStream_tbENKUlT_T0_SI_SN_E_clISD_SD_SD_SD_EEDaS11_S12_SI_SN_EUlS11_E_NS1_11comp_targetILNS1_3genE8ELNS1_11target_archE1030ELNS1_3gpuE2ELNS1_3repE0EEENS1_47radix_sort_onesweep_sort_config_static_selectorELNS0_4arch9wavefront6targetE1EEEvSI_
	.globl	_ZN7rocprim17ROCPRIM_400000_NS6detail17trampoline_kernelINS0_14default_configENS1_35radix_sort_onesweep_config_selectorIffEEZZNS1_29radix_sort_onesweep_iterationIS3_Lb0EN6thrust23THRUST_200600_302600_NS6detail15normal_iteratorINS8_10device_ptrIfEEEESD_SD_SD_jNS0_19identity_decomposerENS1_16block_id_wrapperIjLb1EEEEE10hipError_tT1_PNSt15iterator_traitsISI_E10value_typeET2_T3_PNSJ_ISO_E10value_typeET4_T5_PST_SU_PNS1_23onesweep_lookback_stateEbbT6_jjT7_P12ihipStream_tbENKUlT_T0_SI_SN_E_clISD_SD_SD_SD_EEDaS11_S12_SI_SN_EUlS11_E_NS1_11comp_targetILNS1_3genE8ELNS1_11target_archE1030ELNS1_3gpuE2ELNS1_3repE0EEENS1_47radix_sort_onesweep_sort_config_static_selectorELNS0_4arch9wavefront6targetE1EEEvSI_
	.p2align	8
	.type	_ZN7rocprim17ROCPRIM_400000_NS6detail17trampoline_kernelINS0_14default_configENS1_35radix_sort_onesweep_config_selectorIffEEZZNS1_29radix_sort_onesweep_iterationIS3_Lb0EN6thrust23THRUST_200600_302600_NS6detail15normal_iteratorINS8_10device_ptrIfEEEESD_SD_SD_jNS0_19identity_decomposerENS1_16block_id_wrapperIjLb1EEEEE10hipError_tT1_PNSt15iterator_traitsISI_E10value_typeET2_T3_PNSJ_ISO_E10value_typeET4_T5_PST_SU_PNS1_23onesweep_lookback_stateEbbT6_jjT7_P12ihipStream_tbENKUlT_T0_SI_SN_E_clISD_SD_SD_SD_EEDaS11_S12_SI_SN_EUlS11_E_NS1_11comp_targetILNS1_3genE8ELNS1_11target_archE1030ELNS1_3gpuE2ELNS1_3repE0EEENS1_47radix_sort_onesweep_sort_config_static_selectorELNS0_4arch9wavefront6targetE1EEEvSI_,@function
_ZN7rocprim17ROCPRIM_400000_NS6detail17trampoline_kernelINS0_14default_configENS1_35radix_sort_onesweep_config_selectorIffEEZZNS1_29radix_sort_onesweep_iterationIS3_Lb0EN6thrust23THRUST_200600_302600_NS6detail15normal_iteratorINS8_10device_ptrIfEEEESD_SD_SD_jNS0_19identity_decomposerENS1_16block_id_wrapperIjLb1EEEEE10hipError_tT1_PNSt15iterator_traitsISI_E10value_typeET2_T3_PNSJ_ISO_E10value_typeET4_T5_PST_SU_PNS1_23onesweep_lookback_stateEbbT6_jjT7_P12ihipStream_tbENKUlT_T0_SI_SN_E_clISD_SD_SD_SD_EEDaS11_S12_SI_SN_EUlS11_E_NS1_11comp_targetILNS1_3genE8ELNS1_11target_archE1030ELNS1_3gpuE2ELNS1_3repE0EEENS1_47radix_sort_onesweep_sort_config_static_selectorELNS0_4arch9wavefront6targetE1EEEvSI_: ; @_ZN7rocprim17ROCPRIM_400000_NS6detail17trampoline_kernelINS0_14default_configENS1_35radix_sort_onesweep_config_selectorIffEEZZNS1_29radix_sort_onesweep_iterationIS3_Lb0EN6thrust23THRUST_200600_302600_NS6detail15normal_iteratorINS8_10device_ptrIfEEEESD_SD_SD_jNS0_19identity_decomposerENS1_16block_id_wrapperIjLb1EEEEE10hipError_tT1_PNSt15iterator_traitsISI_E10value_typeET2_T3_PNSJ_ISO_E10value_typeET4_T5_PST_SU_PNS1_23onesweep_lookback_stateEbbT6_jjT7_P12ihipStream_tbENKUlT_T0_SI_SN_E_clISD_SD_SD_SD_EEDaS11_S12_SI_SN_EUlS11_E_NS1_11comp_targetILNS1_3genE8ELNS1_11target_archE1030ELNS1_3gpuE2ELNS1_3repE0EEENS1_47radix_sort_onesweep_sort_config_static_selectorELNS0_4arch9wavefront6targetE1EEEvSI_
; %bb.0:
	.section	.rodata,"a",@progbits
	.p2align	6, 0x0
	.amdhsa_kernel _ZN7rocprim17ROCPRIM_400000_NS6detail17trampoline_kernelINS0_14default_configENS1_35radix_sort_onesweep_config_selectorIffEEZZNS1_29radix_sort_onesweep_iterationIS3_Lb0EN6thrust23THRUST_200600_302600_NS6detail15normal_iteratorINS8_10device_ptrIfEEEESD_SD_SD_jNS0_19identity_decomposerENS1_16block_id_wrapperIjLb1EEEEE10hipError_tT1_PNSt15iterator_traitsISI_E10value_typeET2_T3_PNSJ_ISO_E10value_typeET4_T5_PST_SU_PNS1_23onesweep_lookback_stateEbbT6_jjT7_P12ihipStream_tbENKUlT_T0_SI_SN_E_clISD_SD_SD_SD_EEDaS11_S12_SI_SN_EUlS11_E_NS1_11comp_targetILNS1_3genE8ELNS1_11target_archE1030ELNS1_3gpuE2ELNS1_3repE0EEENS1_47radix_sort_onesweep_sort_config_static_selectorELNS0_4arch9wavefront6targetE1EEEvSI_
		.amdhsa_group_segment_fixed_size 0
		.amdhsa_private_segment_fixed_size 0
		.amdhsa_kernarg_size 88
		.amdhsa_user_sgpr_count 2
		.amdhsa_user_sgpr_dispatch_ptr 0
		.amdhsa_user_sgpr_queue_ptr 0
		.amdhsa_user_sgpr_kernarg_segment_ptr 1
		.amdhsa_user_sgpr_dispatch_id 0
		.amdhsa_user_sgpr_kernarg_preload_length 0
		.amdhsa_user_sgpr_kernarg_preload_offset 0
		.amdhsa_user_sgpr_private_segment_size 0
		.amdhsa_uses_dynamic_stack 0
		.amdhsa_enable_private_segment 0
		.amdhsa_system_sgpr_workgroup_id_x 1
		.amdhsa_system_sgpr_workgroup_id_y 0
		.amdhsa_system_sgpr_workgroup_id_z 0
		.amdhsa_system_sgpr_workgroup_info 0
		.amdhsa_system_vgpr_workitem_id 0
		.amdhsa_next_free_vgpr 1
		.amdhsa_next_free_sgpr 0
		.amdhsa_accum_offset 4
		.amdhsa_reserve_vcc 0
		.amdhsa_float_round_mode_32 0
		.amdhsa_float_round_mode_16_64 0
		.amdhsa_float_denorm_mode_32 3
		.amdhsa_float_denorm_mode_16_64 3
		.amdhsa_dx10_clamp 1
		.amdhsa_ieee_mode 1
		.amdhsa_fp16_overflow 0
		.amdhsa_tg_split 0
		.amdhsa_exception_fp_ieee_invalid_op 0
		.amdhsa_exception_fp_denorm_src 0
		.amdhsa_exception_fp_ieee_div_zero 0
		.amdhsa_exception_fp_ieee_overflow 0
		.amdhsa_exception_fp_ieee_underflow 0
		.amdhsa_exception_fp_ieee_inexact 0
		.amdhsa_exception_int_div_zero 0
	.end_amdhsa_kernel
	.section	.text._ZN7rocprim17ROCPRIM_400000_NS6detail17trampoline_kernelINS0_14default_configENS1_35radix_sort_onesweep_config_selectorIffEEZZNS1_29radix_sort_onesweep_iterationIS3_Lb0EN6thrust23THRUST_200600_302600_NS6detail15normal_iteratorINS8_10device_ptrIfEEEESD_SD_SD_jNS0_19identity_decomposerENS1_16block_id_wrapperIjLb1EEEEE10hipError_tT1_PNSt15iterator_traitsISI_E10value_typeET2_T3_PNSJ_ISO_E10value_typeET4_T5_PST_SU_PNS1_23onesweep_lookback_stateEbbT6_jjT7_P12ihipStream_tbENKUlT_T0_SI_SN_E_clISD_SD_SD_SD_EEDaS11_S12_SI_SN_EUlS11_E_NS1_11comp_targetILNS1_3genE8ELNS1_11target_archE1030ELNS1_3gpuE2ELNS1_3repE0EEENS1_47radix_sort_onesweep_sort_config_static_selectorELNS0_4arch9wavefront6targetE1EEEvSI_,"axG",@progbits,_ZN7rocprim17ROCPRIM_400000_NS6detail17trampoline_kernelINS0_14default_configENS1_35radix_sort_onesweep_config_selectorIffEEZZNS1_29radix_sort_onesweep_iterationIS3_Lb0EN6thrust23THRUST_200600_302600_NS6detail15normal_iteratorINS8_10device_ptrIfEEEESD_SD_SD_jNS0_19identity_decomposerENS1_16block_id_wrapperIjLb1EEEEE10hipError_tT1_PNSt15iterator_traitsISI_E10value_typeET2_T3_PNSJ_ISO_E10value_typeET4_T5_PST_SU_PNS1_23onesweep_lookback_stateEbbT6_jjT7_P12ihipStream_tbENKUlT_T0_SI_SN_E_clISD_SD_SD_SD_EEDaS11_S12_SI_SN_EUlS11_E_NS1_11comp_targetILNS1_3genE8ELNS1_11target_archE1030ELNS1_3gpuE2ELNS1_3repE0EEENS1_47radix_sort_onesweep_sort_config_static_selectorELNS0_4arch9wavefront6targetE1EEEvSI_,comdat
.Lfunc_end313:
	.size	_ZN7rocprim17ROCPRIM_400000_NS6detail17trampoline_kernelINS0_14default_configENS1_35radix_sort_onesweep_config_selectorIffEEZZNS1_29radix_sort_onesweep_iterationIS3_Lb0EN6thrust23THRUST_200600_302600_NS6detail15normal_iteratorINS8_10device_ptrIfEEEESD_SD_SD_jNS0_19identity_decomposerENS1_16block_id_wrapperIjLb1EEEEE10hipError_tT1_PNSt15iterator_traitsISI_E10value_typeET2_T3_PNSJ_ISO_E10value_typeET4_T5_PST_SU_PNS1_23onesweep_lookback_stateEbbT6_jjT7_P12ihipStream_tbENKUlT_T0_SI_SN_E_clISD_SD_SD_SD_EEDaS11_S12_SI_SN_EUlS11_E_NS1_11comp_targetILNS1_3genE8ELNS1_11target_archE1030ELNS1_3gpuE2ELNS1_3repE0EEENS1_47radix_sort_onesweep_sort_config_static_selectorELNS0_4arch9wavefront6targetE1EEEvSI_, .Lfunc_end313-_ZN7rocprim17ROCPRIM_400000_NS6detail17trampoline_kernelINS0_14default_configENS1_35radix_sort_onesweep_config_selectorIffEEZZNS1_29radix_sort_onesweep_iterationIS3_Lb0EN6thrust23THRUST_200600_302600_NS6detail15normal_iteratorINS8_10device_ptrIfEEEESD_SD_SD_jNS0_19identity_decomposerENS1_16block_id_wrapperIjLb1EEEEE10hipError_tT1_PNSt15iterator_traitsISI_E10value_typeET2_T3_PNSJ_ISO_E10value_typeET4_T5_PST_SU_PNS1_23onesweep_lookback_stateEbbT6_jjT7_P12ihipStream_tbENKUlT_T0_SI_SN_E_clISD_SD_SD_SD_EEDaS11_S12_SI_SN_EUlS11_E_NS1_11comp_targetILNS1_3genE8ELNS1_11target_archE1030ELNS1_3gpuE2ELNS1_3repE0EEENS1_47radix_sort_onesweep_sort_config_static_selectorELNS0_4arch9wavefront6targetE1EEEvSI_
                                        ; -- End function
	.set _ZN7rocprim17ROCPRIM_400000_NS6detail17trampoline_kernelINS0_14default_configENS1_35radix_sort_onesweep_config_selectorIffEEZZNS1_29radix_sort_onesweep_iterationIS3_Lb0EN6thrust23THRUST_200600_302600_NS6detail15normal_iteratorINS8_10device_ptrIfEEEESD_SD_SD_jNS0_19identity_decomposerENS1_16block_id_wrapperIjLb1EEEEE10hipError_tT1_PNSt15iterator_traitsISI_E10value_typeET2_T3_PNSJ_ISO_E10value_typeET4_T5_PST_SU_PNS1_23onesweep_lookback_stateEbbT6_jjT7_P12ihipStream_tbENKUlT_T0_SI_SN_E_clISD_SD_SD_SD_EEDaS11_S12_SI_SN_EUlS11_E_NS1_11comp_targetILNS1_3genE8ELNS1_11target_archE1030ELNS1_3gpuE2ELNS1_3repE0EEENS1_47radix_sort_onesweep_sort_config_static_selectorELNS0_4arch9wavefront6targetE1EEEvSI_.num_vgpr, 0
	.set _ZN7rocprim17ROCPRIM_400000_NS6detail17trampoline_kernelINS0_14default_configENS1_35radix_sort_onesweep_config_selectorIffEEZZNS1_29radix_sort_onesweep_iterationIS3_Lb0EN6thrust23THRUST_200600_302600_NS6detail15normal_iteratorINS8_10device_ptrIfEEEESD_SD_SD_jNS0_19identity_decomposerENS1_16block_id_wrapperIjLb1EEEEE10hipError_tT1_PNSt15iterator_traitsISI_E10value_typeET2_T3_PNSJ_ISO_E10value_typeET4_T5_PST_SU_PNS1_23onesweep_lookback_stateEbbT6_jjT7_P12ihipStream_tbENKUlT_T0_SI_SN_E_clISD_SD_SD_SD_EEDaS11_S12_SI_SN_EUlS11_E_NS1_11comp_targetILNS1_3genE8ELNS1_11target_archE1030ELNS1_3gpuE2ELNS1_3repE0EEENS1_47radix_sort_onesweep_sort_config_static_selectorELNS0_4arch9wavefront6targetE1EEEvSI_.num_agpr, 0
	.set _ZN7rocprim17ROCPRIM_400000_NS6detail17trampoline_kernelINS0_14default_configENS1_35radix_sort_onesweep_config_selectorIffEEZZNS1_29radix_sort_onesweep_iterationIS3_Lb0EN6thrust23THRUST_200600_302600_NS6detail15normal_iteratorINS8_10device_ptrIfEEEESD_SD_SD_jNS0_19identity_decomposerENS1_16block_id_wrapperIjLb1EEEEE10hipError_tT1_PNSt15iterator_traitsISI_E10value_typeET2_T3_PNSJ_ISO_E10value_typeET4_T5_PST_SU_PNS1_23onesweep_lookback_stateEbbT6_jjT7_P12ihipStream_tbENKUlT_T0_SI_SN_E_clISD_SD_SD_SD_EEDaS11_S12_SI_SN_EUlS11_E_NS1_11comp_targetILNS1_3genE8ELNS1_11target_archE1030ELNS1_3gpuE2ELNS1_3repE0EEENS1_47radix_sort_onesweep_sort_config_static_selectorELNS0_4arch9wavefront6targetE1EEEvSI_.numbered_sgpr, 0
	.set _ZN7rocprim17ROCPRIM_400000_NS6detail17trampoline_kernelINS0_14default_configENS1_35radix_sort_onesweep_config_selectorIffEEZZNS1_29radix_sort_onesweep_iterationIS3_Lb0EN6thrust23THRUST_200600_302600_NS6detail15normal_iteratorINS8_10device_ptrIfEEEESD_SD_SD_jNS0_19identity_decomposerENS1_16block_id_wrapperIjLb1EEEEE10hipError_tT1_PNSt15iterator_traitsISI_E10value_typeET2_T3_PNSJ_ISO_E10value_typeET4_T5_PST_SU_PNS1_23onesweep_lookback_stateEbbT6_jjT7_P12ihipStream_tbENKUlT_T0_SI_SN_E_clISD_SD_SD_SD_EEDaS11_S12_SI_SN_EUlS11_E_NS1_11comp_targetILNS1_3genE8ELNS1_11target_archE1030ELNS1_3gpuE2ELNS1_3repE0EEENS1_47radix_sort_onesweep_sort_config_static_selectorELNS0_4arch9wavefront6targetE1EEEvSI_.num_named_barrier, 0
	.set _ZN7rocprim17ROCPRIM_400000_NS6detail17trampoline_kernelINS0_14default_configENS1_35radix_sort_onesweep_config_selectorIffEEZZNS1_29radix_sort_onesweep_iterationIS3_Lb0EN6thrust23THRUST_200600_302600_NS6detail15normal_iteratorINS8_10device_ptrIfEEEESD_SD_SD_jNS0_19identity_decomposerENS1_16block_id_wrapperIjLb1EEEEE10hipError_tT1_PNSt15iterator_traitsISI_E10value_typeET2_T3_PNSJ_ISO_E10value_typeET4_T5_PST_SU_PNS1_23onesweep_lookback_stateEbbT6_jjT7_P12ihipStream_tbENKUlT_T0_SI_SN_E_clISD_SD_SD_SD_EEDaS11_S12_SI_SN_EUlS11_E_NS1_11comp_targetILNS1_3genE8ELNS1_11target_archE1030ELNS1_3gpuE2ELNS1_3repE0EEENS1_47radix_sort_onesweep_sort_config_static_selectorELNS0_4arch9wavefront6targetE1EEEvSI_.private_seg_size, 0
	.set _ZN7rocprim17ROCPRIM_400000_NS6detail17trampoline_kernelINS0_14default_configENS1_35radix_sort_onesweep_config_selectorIffEEZZNS1_29radix_sort_onesweep_iterationIS3_Lb0EN6thrust23THRUST_200600_302600_NS6detail15normal_iteratorINS8_10device_ptrIfEEEESD_SD_SD_jNS0_19identity_decomposerENS1_16block_id_wrapperIjLb1EEEEE10hipError_tT1_PNSt15iterator_traitsISI_E10value_typeET2_T3_PNSJ_ISO_E10value_typeET4_T5_PST_SU_PNS1_23onesweep_lookback_stateEbbT6_jjT7_P12ihipStream_tbENKUlT_T0_SI_SN_E_clISD_SD_SD_SD_EEDaS11_S12_SI_SN_EUlS11_E_NS1_11comp_targetILNS1_3genE8ELNS1_11target_archE1030ELNS1_3gpuE2ELNS1_3repE0EEENS1_47radix_sort_onesweep_sort_config_static_selectorELNS0_4arch9wavefront6targetE1EEEvSI_.uses_vcc, 0
	.set _ZN7rocprim17ROCPRIM_400000_NS6detail17trampoline_kernelINS0_14default_configENS1_35radix_sort_onesweep_config_selectorIffEEZZNS1_29radix_sort_onesweep_iterationIS3_Lb0EN6thrust23THRUST_200600_302600_NS6detail15normal_iteratorINS8_10device_ptrIfEEEESD_SD_SD_jNS0_19identity_decomposerENS1_16block_id_wrapperIjLb1EEEEE10hipError_tT1_PNSt15iterator_traitsISI_E10value_typeET2_T3_PNSJ_ISO_E10value_typeET4_T5_PST_SU_PNS1_23onesweep_lookback_stateEbbT6_jjT7_P12ihipStream_tbENKUlT_T0_SI_SN_E_clISD_SD_SD_SD_EEDaS11_S12_SI_SN_EUlS11_E_NS1_11comp_targetILNS1_3genE8ELNS1_11target_archE1030ELNS1_3gpuE2ELNS1_3repE0EEENS1_47radix_sort_onesweep_sort_config_static_selectorELNS0_4arch9wavefront6targetE1EEEvSI_.uses_flat_scratch, 0
	.set _ZN7rocprim17ROCPRIM_400000_NS6detail17trampoline_kernelINS0_14default_configENS1_35radix_sort_onesweep_config_selectorIffEEZZNS1_29radix_sort_onesweep_iterationIS3_Lb0EN6thrust23THRUST_200600_302600_NS6detail15normal_iteratorINS8_10device_ptrIfEEEESD_SD_SD_jNS0_19identity_decomposerENS1_16block_id_wrapperIjLb1EEEEE10hipError_tT1_PNSt15iterator_traitsISI_E10value_typeET2_T3_PNSJ_ISO_E10value_typeET4_T5_PST_SU_PNS1_23onesweep_lookback_stateEbbT6_jjT7_P12ihipStream_tbENKUlT_T0_SI_SN_E_clISD_SD_SD_SD_EEDaS11_S12_SI_SN_EUlS11_E_NS1_11comp_targetILNS1_3genE8ELNS1_11target_archE1030ELNS1_3gpuE2ELNS1_3repE0EEENS1_47radix_sort_onesweep_sort_config_static_selectorELNS0_4arch9wavefront6targetE1EEEvSI_.has_dyn_sized_stack, 0
	.set _ZN7rocprim17ROCPRIM_400000_NS6detail17trampoline_kernelINS0_14default_configENS1_35radix_sort_onesweep_config_selectorIffEEZZNS1_29radix_sort_onesweep_iterationIS3_Lb0EN6thrust23THRUST_200600_302600_NS6detail15normal_iteratorINS8_10device_ptrIfEEEESD_SD_SD_jNS0_19identity_decomposerENS1_16block_id_wrapperIjLb1EEEEE10hipError_tT1_PNSt15iterator_traitsISI_E10value_typeET2_T3_PNSJ_ISO_E10value_typeET4_T5_PST_SU_PNS1_23onesweep_lookback_stateEbbT6_jjT7_P12ihipStream_tbENKUlT_T0_SI_SN_E_clISD_SD_SD_SD_EEDaS11_S12_SI_SN_EUlS11_E_NS1_11comp_targetILNS1_3genE8ELNS1_11target_archE1030ELNS1_3gpuE2ELNS1_3repE0EEENS1_47radix_sort_onesweep_sort_config_static_selectorELNS0_4arch9wavefront6targetE1EEEvSI_.has_recursion, 0
	.set _ZN7rocprim17ROCPRIM_400000_NS6detail17trampoline_kernelINS0_14default_configENS1_35radix_sort_onesweep_config_selectorIffEEZZNS1_29radix_sort_onesweep_iterationIS3_Lb0EN6thrust23THRUST_200600_302600_NS6detail15normal_iteratorINS8_10device_ptrIfEEEESD_SD_SD_jNS0_19identity_decomposerENS1_16block_id_wrapperIjLb1EEEEE10hipError_tT1_PNSt15iterator_traitsISI_E10value_typeET2_T3_PNSJ_ISO_E10value_typeET4_T5_PST_SU_PNS1_23onesweep_lookback_stateEbbT6_jjT7_P12ihipStream_tbENKUlT_T0_SI_SN_E_clISD_SD_SD_SD_EEDaS11_S12_SI_SN_EUlS11_E_NS1_11comp_targetILNS1_3genE8ELNS1_11target_archE1030ELNS1_3gpuE2ELNS1_3repE0EEENS1_47radix_sort_onesweep_sort_config_static_selectorELNS0_4arch9wavefront6targetE1EEEvSI_.has_indirect_call, 0
	.section	.AMDGPU.csdata,"",@progbits
; Kernel info:
; codeLenInByte = 0
; TotalNumSgprs: 6
; NumVgprs: 0
; NumAgprs: 0
; TotalNumVgprs: 0
; ScratchSize: 0
; MemoryBound: 0
; FloatMode: 240
; IeeeMode: 1
; LDSByteSize: 0 bytes/workgroup (compile time only)
; SGPRBlocks: 0
; VGPRBlocks: 0
; NumSGPRsForWavesPerEU: 6
; NumVGPRsForWavesPerEU: 1
; AccumOffset: 4
; Occupancy: 8
; WaveLimiterHint : 0
; COMPUTE_PGM_RSRC2:SCRATCH_EN: 0
; COMPUTE_PGM_RSRC2:USER_SGPR: 2
; COMPUTE_PGM_RSRC2:TRAP_HANDLER: 0
; COMPUTE_PGM_RSRC2:TGID_X_EN: 1
; COMPUTE_PGM_RSRC2:TGID_Y_EN: 0
; COMPUTE_PGM_RSRC2:TGID_Z_EN: 0
; COMPUTE_PGM_RSRC2:TIDIG_COMP_CNT: 0
; COMPUTE_PGM_RSRC3_GFX90A:ACCUM_OFFSET: 0
; COMPUTE_PGM_RSRC3_GFX90A:TG_SPLIT: 0
	.section	.text._ZN7rocprim17ROCPRIM_400000_NS6detail17trampoline_kernelINS0_14default_configENS1_35radix_sort_onesweep_config_selectorIffEEZZNS1_29radix_sort_onesweep_iterationIS3_Lb0EN6thrust23THRUST_200600_302600_NS6detail15normal_iteratorINS8_10device_ptrIfEEEESD_SD_SD_jNS0_19identity_decomposerENS1_16block_id_wrapperIjLb1EEEEE10hipError_tT1_PNSt15iterator_traitsISI_E10value_typeET2_T3_PNSJ_ISO_E10value_typeET4_T5_PST_SU_PNS1_23onesweep_lookback_stateEbbT6_jjT7_P12ihipStream_tbENKUlT_T0_SI_SN_E_clISD_PfSD_S15_EEDaS11_S12_SI_SN_EUlS11_E_NS1_11comp_targetILNS1_3genE0ELNS1_11target_archE4294967295ELNS1_3gpuE0ELNS1_3repE0EEENS1_47radix_sort_onesweep_sort_config_static_selectorELNS0_4arch9wavefront6targetE1EEEvSI_,"axG",@progbits,_ZN7rocprim17ROCPRIM_400000_NS6detail17trampoline_kernelINS0_14default_configENS1_35radix_sort_onesweep_config_selectorIffEEZZNS1_29radix_sort_onesweep_iterationIS3_Lb0EN6thrust23THRUST_200600_302600_NS6detail15normal_iteratorINS8_10device_ptrIfEEEESD_SD_SD_jNS0_19identity_decomposerENS1_16block_id_wrapperIjLb1EEEEE10hipError_tT1_PNSt15iterator_traitsISI_E10value_typeET2_T3_PNSJ_ISO_E10value_typeET4_T5_PST_SU_PNS1_23onesweep_lookback_stateEbbT6_jjT7_P12ihipStream_tbENKUlT_T0_SI_SN_E_clISD_PfSD_S15_EEDaS11_S12_SI_SN_EUlS11_E_NS1_11comp_targetILNS1_3genE0ELNS1_11target_archE4294967295ELNS1_3gpuE0ELNS1_3repE0EEENS1_47radix_sort_onesweep_sort_config_static_selectorELNS0_4arch9wavefront6targetE1EEEvSI_,comdat
	.protected	_ZN7rocprim17ROCPRIM_400000_NS6detail17trampoline_kernelINS0_14default_configENS1_35radix_sort_onesweep_config_selectorIffEEZZNS1_29radix_sort_onesweep_iterationIS3_Lb0EN6thrust23THRUST_200600_302600_NS6detail15normal_iteratorINS8_10device_ptrIfEEEESD_SD_SD_jNS0_19identity_decomposerENS1_16block_id_wrapperIjLb1EEEEE10hipError_tT1_PNSt15iterator_traitsISI_E10value_typeET2_T3_PNSJ_ISO_E10value_typeET4_T5_PST_SU_PNS1_23onesweep_lookback_stateEbbT6_jjT7_P12ihipStream_tbENKUlT_T0_SI_SN_E_clISD_PfSD_S15_EEDaS11_S12_SI_SN_EUlS11_E_NS1_11comp_targetILNS1_3genE0ELNS1_11target_archE4294967295ELNS1_3gpuE0ELNS1_3repE0EEENS1_47radix_sort_onesweep_sort_config_static_selectorELNS0_4arch9wavefront6targetE1EEEvSI_ ; -- Begin function _ZN7rocprim17ROCPRIM_400000_NS6detail17trampoline_kernelINS0_14default_configENS1_35radix_sort_onesweep_config_selectorIffEEZZNS1_29radix_sort_onesweep_iterationIS3_Lb0EN6thrust23THRUST_200600_302600_NS6detail15normal_iteratorINS8_10device_ptrIfEEEESD_SD_SD_jNS0_19identity_decomposerENS1_16block_id_wrapperIjLb1EEEEE10hipError_tT1_PNSt15iterator_traitsISI_E10value_typeET2_T3_PNSJ_ISO_E10value_typeET4_T5_PST_SU_PNS1_23onesweep_lookback_stateEbbT6_jjT7_P12ihipStream_tbENKUlT_T0_SI_SN_E_clISD_PfSD_S15_EEDaS11_S12_SI_SN_EUlS11_E_NS1_11comp_targetILNS1_3genE0ELNS1_11target_archE4294967295ELNS1_3gpuE0ELNS1_3repE0EEENS1_47radix_sort_onesweep_sort_config_static_selectorELNS0_4arch9wavefront6targetE1EEEvSI_
	.globl	_ZN7rocprim17ROCPRIM_400000_NS6detail17trampoline_kernelINS0_14default_configENS1_35radix_sort_onesweep_config_selectorIffEEZZNS1_29radix_sort_onesweep_iterationIS3_Lb0EN6thrust23THRUST_200600_302600_NS6detail15normal_iteratorINS8_10device_ptrIfEEEESD_SD_SD_jNS0_19identity_decomposerENS1_16block_id_wrapperIjLb1EEEEE10hipError_tT1_PNSt15iterator_traitsISI_E10value_typeET2_T3_PNSJ_ISO_E10value_typeET4_T5_PST_SU_PNS1_23onesweep_lookback_stateEbbT6_jjT7_P12ihipStream_tbENKUlT_T0_SI_SN_E_clISD_PfSD_S15_EEDaS11_S12_SI_SN_EUlS11_E_NS1_11comp_targetILNS1_3genE0ELNS1_11target_archE4294967295ELNS1_3gpuE0ELNS1_3repE0EEENS1_47radix_sort_onesweep_sort_config_static_selectorELNS0_4arch9wavefront6targetE1EEEvSI_
	.p2align	8
	.type	_ZN7rocprim17ROCPRIM_400000_NS6detail17trampoline_kernelINS0_14default_configENS1_35radix_sort_onesweep_config_selectorIffEEZZNS1_29radix_sort_onesweep_iterationIS3_Lb0EN6thrust23THRUST_200600_302600_NS6detail15normal_iteratorINS8_10device_ptrIfEEEESD_SD_SD_jNS0_19identity_decomposerENS1_16block_id_wrapperIjLb1EEEEE10hipError_tT1_PNSt15iterator_traitsISI_E10value_typeET2_T3_PNSJ_ISO_E10value_typeET4_T5_PST_SU_PNS1_23onesweep_lookback_stateEbbT6_jjT7_P12ihipStream_tbENKUlT_T0_SI_SN_E_clISD_PfSD_S15_EEDaS11_S12_SI_SN_EUlS11_E_NS1_11comp_targetILNS1_3genE0ELNS1_11target_archE4294967295ELNS1_3gpuE0ELNS1_3repE0EEENS1_47radix_sort_onesweep_sort_config_static_selectorELNS0_4arch9wavefront6targetE1EEEvSI_,@function
_ZN7rocprim17ROCPRIM_400000_NS6detail17trampoline_kernelINS0_14default_configENS1_35radix_sort_onesweep_config_selectorIffEEZZNS1_29radix_sort_onesweep_iterationIS3_Lb0EN6thrust23THRUST_200600_302600_NS6detail15normal_iteratorINS8_10device_ptrIfEEEESD_SD_SD_jNS0_19identity_decomposerENS1_16block_id_wrapperIjLb1EEEEE10hipError_tT1_PNSt15iterator_traitsISI_E10value_typeET2_T3_PNSJ_ISO_E10value_typeET4_T5_PST_SU_PNS1_23onesweep_lookback_stateEbbT6_jjT7_P12ihipStream_tbENKUlT_T0_SI_SN_E_clISD_PfSD_S15_EEDaS11_S12_SI_SN_EUlS11_E_NS1_11comp_targetILNS1_3genE0ELNS1_11target_archE4294967295ELNS1_3gpuE0ELNS1_3repE0EEENS1_47radix_sort_onesweep_sort_config_static_selectorELNS0_4arch9wavefront6targetE1EEEvSI_: ; @_ZN7rocprim17ROCPRIM_400000_NS6detail17trampoline_kernelINS0_14default_configENS1_35radix_sort_onesweep_config_selectorIffEEZZNS1_29radix_sort_onesweep_iterationIS3_Lb0EN6thrust23THRUST_200600_302600_NS6detail15normal_iteratorINS8_10device_ptrIfEEEESD_SD_SD_jNS0_19identity_decomposerENS1_16block_id_wrapperIjLb1EEEEE10hipError_tT1_PNSt15iterator_traitsISI_E10value_typeET2_T3_PNSJ_ISO_E10value_typeET4_T5_PST_SU_PNS1_23onesweep_lookback_stateEbbT6_jjT7_P12ihipStream_tbENKUlT_T0_SI_SN_E_clISD_PfSD_S15_EEDaS11_S12_SI_SN_EUlS11_E_NS1_11comp_targetILNS1_3genE0ELNS1_11target_archE4294967295ELNS1_3gpuE0ELNS1_3repE0EEENS1_47radix_sort_onesweep_sort_config_static_selectorELNS0_4arch9wavefront6targetE1EEEvSI_
; %bb.0:
	.section	.rodata,"a",@progbits
	.p2align	6, 0x0
	.amdhsa_kernel _ZN7rocprim17ROCPRIM_400000_NS6detail17trampoline_kernelINS0_14default_configENS1_35radix_sort_onesweep_config_selectorIffEEZZNS1_29radix_sort_onesweep_iterationIS3_Lb0EN6thrust23THRUST_200600_302600_NS6detail15normal_iteratorINS8_10device_ptrIfEEEESD_SD_SD_jNS0_19identity_decomposerENS1_16block_id_wrapperIjLb1EEEEE10hipError_tT1_PNSt15iterator_traitsISI_E10value_typeET2_T3_PNSJ_ISO_E10value_typeET4_T5_PST_SU_PNS1_23onesweep_lookback_stateEbbT6_jjT7_P12ihipStream_tbENKUlT_T0_SI_SN_E_clISD_PfSD_S15_EEDaS11_S12_SI_SN_EUlS11_E_NS1_11comp_targetILNS1_3genE0ELNS1_11target_archE4294967295ELNS1_3gpuE0ELNS1_3repE0EEENS1_47radix_sort_onesweep_sort_config_static_selectorELNS0_4arch9wavefront6targetE1EEEvSI_
		.amdhsa_group_segment_fixed_size 0
		.amdhsa_private_segment_fixed_size 0
		.amdhsa_kernarg_size 88
		.amdhsa_user_sgpr_count 2
		.amdhsa_user_sgpr_dispatch_ptr 0
		.amdhsa_user_sgpr_queue_ptr 0
		.amdhsa_user_sgpr_kernarg_segment_ptr 1
		.amdhsa_user_sgpr_dispatch_id 0
		.amdhsa_user_sgpr_kernarg_preload_length 0
		.amdhsa_user_sgpr_kernarg_preload_offset 0
		.amdhsa_user_sgpr_private_segment_size 0
		.amdhsa_uses_dynamic_stack 0
		.amdhsa_enable_private_segment 0
		.amdhsa_system_sgpr_workgroup_id_x 1
		.amdhsa_system_sgpr_workgroup_id_y 0
		.amdhsa_system_sgpr_workgroup_id_z 0
		.amdhsa_system_sgpr_workgroup_info 0
		.amdhsa_system_vgpr_workitem_id 0
		.amdhsa_next_free_vgpr 1
		.amdhsa_next_free_sgpr 0
		.amdhsa_accum_offset 4
		.amdhsa_reserve_vcc 0
		.amdhsa_float_round_mode_32 0
		.amdhsa_float_round_mode_16_64 0
		.amdhsa_float_denorm_mode_32 3
		.amdhsa_float_denorm_mode_16_64 3
		.amdhsa_dx10_clamp 1
		.amdhsa_ieee_mode 1
		.amdhsa_fp16_overflow 0
		.amdhsa_tg_split 0
		.amdhsa_exception_fp_ieee_invalid_op 0
		.amdhsa_exception_fp_denorm_src 0
		.amdhsa_exception_fp_ieee_div_zero 0
		.amdhsa_exception_fp_ieee_overflow 0
		.amdhsa_exception_fp_ieee_underflow 0
		.amdhsa_exception_fp_ieee_inexact 0
		.amdhsa_exception_int_div_zero 0
	.end_amdhsa_kernel
	.section	.text._ZN7rocprim17ROCPRIM_400000_NS6detail17trampoline_kernelINS0_14default_configENS1_35radix_sort_onesweep_config_selectorIffEEZZNS1_29radix_sort_onesweep_iterationIS3_Lb0EN6thrust23THRUST_200600_302600_NS6detail15normal_iteratorINS8_10device_ptrIfEEEESD_SD_SD_jNS0_19identity_decomposerENS1_16block_id_wrapperIjLb1EEEEE10hipError_tT1_PNSt15iterator_traitsISI_E10value_typeET2_T3_PNSJ_ISO_E10value_typeET4_T5_PST_SU_PNS1_23onesweep_lookback_stateEbbT6_jjT7_P12ihipStream_tbENKUlT_T0_SI_SN_E_clISD_PfSD_S15_EEDaS11_S12_SI_SN_EUlS11_E_NS1_11comp_targetILNS1_3genE0ELNS1_11target_archE4294967295ELNS1_3gpuE0ELNS1_3repE0EEENS1_47radix_sort_onesweep_sort_config_static_selectorELNS0_4arch9wavefront6targetE1EEEvSI_,"axG",@progbits,_ZN7rocprim17ROCPRIM_400000_NS6detail17trampoline_kernelINS0_14default_configENS1_35radix_sort_onesweep_config_selectorIffEEZZNS1_29radix_sort_onesweep_iterationIS3_Lb0EN6thrust23THRUST_200600_302600_NS6detail15normal_iteratorINS8_10device_ptrIfEEEESD_SD_SD_jNS0_19identity_decomposerENS1_16block_id_wrapperIjLb1EEEEE10hipError_tT1_PNSt15iterator_traitsISI_E10value_typeET2_T3_PNSJ_ISO_E10value_typeET4_T5_PST_SU_PNS1_23onesweep_lookback_stateEbbT6_jjT7_P12ihipStream_tbENKUlT_T0_SI_SN_E_clISD_PfSD_S15_EEDaS11_S12_SI_SN_EUlS11_E_NS1_11comp_targetILNS1_3genE0ELNS1_11target_archE4294967295ELNS1_3gpuE0ELNS1_3repE0EEENS1_47radix_sort_onesweep_sort_config_static_selectorELNS0_4arch9wavefront6targetE1EEEvSI_,comdat
.Lfunc_end314:
	.size	_ZN7rocprim17ROCPRIM_400000_NS6detail17trampoline_kernelINS0_14default_configENS1_35radix_sort_onesweep_config_selectorIffEEZZNS1_29radix_sort_onesweep_iterationIS3_Lb0EN6thrust23THRUST_200600_302600_NS6detail15normal_iteratorINS8_10device_ptrIfEEEESD_SD_SD_jNS0_19identity_decomposerENS1_16block_id_wrapperIjLb1EEEEE10hipError_tT1_PNSt15iterator_traitsISI_E10value_typeET2_T3_PNSJ_ISO_E10value_typeET4_T5_PST_SU_PNS1_23onesweep_lookback_stateEbbT6_jjT7_P12ihipStream_tbENKUlT_T0_SI_SN_E_clISD_PfSD_S15_EEDaS11_S12_SI_SN_EUlS11_E_NS1_11comp_targetILNS1_3genE0ELNS1_11target_archE4294967295ELNS1_3gpuE0ELNS1_3repE0EEENS1_47radix_sort_onesweep_sort_config_static_selectorELNS0_4arch9wavefront6targetE1EEEvSI_, .Lfunc_end314-_ZN7rocprim17ROCPRIM_400000_NS6detail17trampoline_kernelINS0_14default_configENS1_35radix_sort_onesweep_config_selectorIffEEZZNS1_29radix_sort_onesweep_iterationIS3_Lb0EN6thrust23THRUST_200600_302600_NS6detail15normal_iteratorINS8_10device_ptrIfEEEESD_SD_SD_jNS0_19identity_decomposerENS1_16block_id_wrapperIjLb1EEEEE10hipError_tT1_PNSt15iterator_traitsISI_E10value_typeET2_T3_PNSJ_ISO_E10value_typeET4_T5_PST_SU_PNS1_23onesweep_lookback_stateEbbT6_jjT7_P12ihipStream_tbENKUlT_T0_SI_SN_E_clISD_PfSD_S15_EEDaS11_S12_SI_SN_EUlS11_E_NS1_11comp_targetILNS1_3genE0ELNS1_11target_archE4294967295ELNS1_3gpuE0ELNS1_3repE0EEENS1_47radix_sort_onesweep_sort_config_static_selectorELNS0_4arch9wavefront6targetE1EEEvSI_
                                        ; -- End function
	.set _ZN7rocprim17ROCPRIM_400000_NS6detail17trampoline_kernelINS0_14default_configENS1_35radix_sort_onesweep_config_selectorIffEEZZNS1_29radix_sort_onesweep_iterationIS3_Lb0EN6thrust23THRUST_200600_302600_NS6detail15normal_iteratorINS8_10device_ptrIfEEEESD_SD_SD_jNS0_19identity_decomposerENS1_16block_id_wrapperIjLb1EEEEE10hipError_tT1_PNSt15iterator_traitsISI_E10value_typeET2_T3_PNSJ_ISO_E10value_typeET4_T5_PST_SU_PNS1_23onesweep_lookback_stateEbbT6_jjT7_P12ihipStream_tbENKUlT_T0_SI_SN_E_clISD_PfSD_S15_EEDaS11_S12_SI_SN_EUlS11_E_NS1_11comp_targetILNS1_3genE0ELNS1_11target_archE4294967295ELNS1_3gpuE0ELNS1_3repE0EEENS1_47radix_sort_onesweep_sort_config_static_selectorELNS0_4arch9wavefront6targetE1EEEvSI_.num_vgpr, 0
	.set _ZN7rocprim17ROCPRIM_400000_NS6detail17trampoline_kernelINS0_14default_configENS1_35radix_sort_onesweep_config_selectorIffEEZZNS1_29radix_sort_onesweep_iterationIS3_Lb0EN6thrust23THRUST_200600_302600_NS6detail15normal_iteratorINS8_10device_ptrIfEEEESD_SD_SD_jNS0_19identity_decomposerENS1_16block_id_wrapperIjLb1EEEEE10hipError_tT1_PNSt15iterator_traitsISI_E10value_typeET2_T3_PNSJ_ISO_E10value_typeET4_T5_PST_SU_PNS1_23onesweep_lookback_stateEbbT6_jjT7_P12ihipStream_tbENKUlT_T0_SI_SN_E_clISD_PfSD_S15_EEDaS11_S12_SI_SN_EUlS11_E_NS1_11comp_targetILNS1_3genE0ELNS1_11target_archE4294967295ELNS1_3gpuE0ELNS1_3repE0EEENS1_47radix_sort_onesweep_sort_config_static_selectorELNS0_4arch9wavefront6targetE1EEEvSI_.num_agpr, 0
	.set _ZN7rocprim17ROCPRIM_400000_NS6detail17trampoline_kernelINS0_14default_configENS1_35radix_sort_onesweep_config_selectorIffEEZZNS1_29radix_sort_onesweep_iterationIS3_Lb0EN6thrust23THRUST_200600_302600_NS6detail15normal_iteratorINS8_10device_ptrIfEEEESD_SD_SD_jNS0_19identity_decomposerENS1_16block_id_wrapperIjLb1EEEEE10hipError_tT1_PNSt15iterator_traitsISI_E10value_typeET2_T3_PNSJ_ISO_E10value_typeET4_T5_PST_SU_PNS1_23onesweep_lookback_stateEbbT6_jjT7_P12ihipStream_tbENKUlT_T0_SI_SN_E_clISD_PfSD_S15_EEDaS11_S12_SI_SN_EUlS11_E_NS1_11comp_targetILNS1_3genE0ELNS1_11target_archE4294967295ELNS1_3gpuE0ELNS1_3repE0EEENS1_47radix_sort_onesweep_sort_config_static_selectorELNS0_4arch9wavefront6targetE1EEEvSI_.numbered_sgpr, 0
	.set _ZN7rocprim17ROCPRIM_400000_NS6detail17trampoline_kernelINS0_14default_configENS1_35radix_sort_onesweep_config_selectorIffEEZZNS1_29radix_sort_onesweep_iterationIS3_Lb0EN6thrust23THRUST_200600_302600_NS6detail15normal_iteratorINS8_10device_ptrIfEEEESD_SD_SD_jNS0_19identity_decomposerENS1_16block_id_wrapperIjLb1EEEEE10hipError_tT1_PNSt15iterator_traitsISI_E10value_typeET2_T3_PNSJ_ISO_E10value_typeET4_T5_PST_SU_PNS1_23onesweep_lookback_stateEbbT6_jjT7_P12ihipStream_tbENKUlT_T0_SI_SN_E_clISD_PfSD_S15_EEDaS11_S12_SI_SN_EUlS11_E_NS1_11comp_targetILNS1_3genE0ELNS1_11target_archE4294967295ELNS1_3gpuE0ELNS1_3repE0EEENS1_47radix_sort_onesweep_sort_config_static_selectorELNS0_4arch9wavefront6targetE1EEEvSI_.num_named_barrier, 0
	.set _ZN7rocprim17ROCPRIM_400000_NS6detail17trampoline_kernelINS0_14default_configENS1_35radix_sort_onesweep_config_selectorIffEEZZNS1_29radix_sort_onesweep_iterationIS3_Lb0EN6thrust23THRUST_200600_302600_NS6detail15normal_iteratorINS8_10device_ptrIfEEEESD_SD_SD_jNS0_19identity_decomposerENS1_16block_id_wrapperIjLb1EEEEE10hipError_tT1_PNSt15iterator_traitsISI_E10value_typeET2_T3_PNSJ_ISO_E10value_typeET4_T5_PST_SU_PNS1_23onesweep_lookback_stateEbbT6_jjT7_P12ihipStream_tbENKUlT_T0_SI_SN_E_clISD_PfSD_S15_EEDaS11_S12_SI_SN_EUlS11_E_NS1_11comp_targetILNS1_3genE0ELNS1_11target_archE4294967295ELNS1_3gpuE0ELNS1_3repE0EEENS1_47radix_sort_onesweep_sort_config_static_selectorELNS0_4arch9wavefront6targetE1EEEvSI_.private_seg_size, 0
	.set _ZN7rocprim17ROCPRIM_400000_NS6detail17trampoline_kernelINS0_14default_configENS1_35radix_sort_onesweep_config_selectorIffEEZZNS1_29radix_sort_onesweep_iterationIS3_Lb0EN6thrust23THRUST_200600_302600_NS6detail15normal_iteratorINS8_10device_ptrIfEEEESD_SD_SD_jNS0_19identity_decomposerENS1_16block_id_wrapperIjLb1EEEEE10hipError_tT1_PNSt15iterator_traitsISI_E10value_typeET2_T3_PNSJ_ISO_E10value_typeET4_T5_PST_SU_PNS1_23onesweep_lookback_stateEbbT6_jjT7_P12ihipStream_tbENKUlT_T0_SI_SN_E_clISD_PfSD_S15_EEDaS11_S12_SI_SN_EUlS11_E_NS1_11comp_targetILNS1_3genE0ELNS1_11target_archE4294967295ELNS1_3gpuE0ELNS1_3repE0EEENS1_47radix_sort_onesweep_sort_config_static_selectorELNS0_4arch9wavefront6targetE1EEEvSI_.uses_vcc, 0
	.set _ZN7rocprim17ROCPRIM_400000_NS6detail17trampoline_kernelINS0_14default_configENS1_35radix_sort_onesweep_config_selectorIffEEZZNS1_29radix_sort_onesweep_iterationIS3_Lb0EN6thrust23THRUST_200600_302600_NS6detail15normal_iteratorINS8_10device_ptrIfEEEESD_SD_SD_jNS0_19identity_decomposerENS1_16block_id_wrapperIjLb1EEEEE10hipError_tT1_PNSt15iterator_traitsISI_E10value_typeET2_T3_PNSJ_ISO_E10value_typeET4_T5_PST_SU_PNS1_23onesweep_lookback_stateEbbT6_jjT7_P12ihipStream_tbENKUlT_T0_SI_SN_E_clISD_PfSD_S15_EEDaS11_S12_SI_SN_EUlS11_E_NS1_11comp_targetILNS1_3genE0ELNS1_11target_archE4294967295ELNS1_3gpuE0ELNS1_3repE0EEENS1_47radix_sort_onesweep_sort_config_static_selectorELNS0_4arch9wavefront6targetE1EEEvSI_.uses_flat_scratch, 0
	.set _ZN7rocprim17ROCPRIM_400000_NS6detail17trampoline_kernelINS0_14default_configENS1_35radix_sort_onesweep_config_selectorIffEEZZNS1_29radix_sort_onesweep_iterationIS3_Lb0EN6thrust23THRUST_200600_302600_NS6detail15normal_iteratorINS8_10device_ptrIfEEEESD_SD_SD_jNS0_19identity_decomposerENS1_16block_id_wrapperIjLb1EEEEE10hipError_tT1_PNSt15iterator_traitsISI_E10value_typeET2_T3_PNSJ_ISO_E10value_typeET4_T5_PST_SU_PNS1_23onesweep_lookback_stateEbbT6_jjT7_P12ihipStream_tbENKUlT_T0_SI_SN_E_clISD_PfSD_S15_EEDaS11_S12_SI_SN_EUlS11_E_NS1_11comp_targetILNS1_3genE0ELNS1_11target_archE4294967295ELNS1_3gpuE0ELNS1_3repE0EEENS1_47radix_sort_onesweep_sort_config_static_selectorELNS0_4arch9wavefront6targetE1EEEvSI_.has_dyn_sized_stack, 0
	.set _ZN7rocprim17ROCPRIM_400000_NS6detail17trampoline_kernelINS0_14default_configENS1_35radix_sort_onesweep_config_selectorIffEEZZNS1_29radix_sort_onesweep_iterationIS3_Lb0EN6thrust23THRUST_200600_302600_NS6detail15normal_iteratorINS8_10device_ptrIfEEEESD_SD_SD_jNS0_19identity_decomposerENS1_16block_id_wrapperIjLb1EEEEE10hipError_tT1_PNSt15iterator_traitsISI_E10value_typeET2_T3_PNSJ_ISO_E10value_typeET4_T5_PST_SU_PNS1_23onesweep_lookback_stateEbbT6_jjT7_P12ihipStream_tbENKUlT_T0_SI_SN_E_clISD_PfSD_S15_EEDaS11_S12_SI_SN_EUlS11_E_NS1_11comp_targetILNS1_3genE0ELNS1_11target_archE4294967295ELNS1_3gpuE0ELNS1_3repE0EEENS1_47radix_sort_onesweep_sort_config_static_selectorELNS0_4arch9wavefront6targetE1EEEvSI_.has_recursion, 0
	.set _ZN7rocprim17ROCPRIM_400000_NS6detail17trampoline_kernelINS0_14default_configENS1_35radix_sort_onesweep_config_selectorIffEEZZNS1_29radix_sort_onesweep_iterationIS3_Lb0EN6thrust23THRUST_200600_302600_NS6detail15normal_iteratorINS8_10device_ptrIfEEEESD_SD_SD_jNS0_19identity_decomposerENS1_16block_id_wrapperIjLb1EEEEE10hipError_tT1_PNSt15iterator_traitsISI_E10value_typeET2_T3_PNSJ_ISO_E10value_typeET4_T5_PST_SU_PNS1_23onesweep_lookback_stateEbbT6_jjT7_P12ihipStream_tbENKUlT_T0_SI_SN_E_clISD_PfSD_S15_EEDaS11_S12_SI_SN_EUlS11_E_NS1_11comp_targetILNS1_3genE0ELNS1_11target_archE4294967295ELNS1_3gpuE0ELNS1_3repE0EEENS1_47radix_sort_onesweep_sort_config_static_selectorELNS0_4arch9wavefront6targetE1EEEvSI_.has_indirect_call, 0
	.section	.AMDGPU.csdata,"",@progbits
; Kernel info:
; codeLenInByte = 0
; TotalNumSgprs: 6
; NumVgprs: 0
; NumAgprs: 0
; TotalNumVgprs: 0
; ScratchSize: 0
; MemoryBound: 0
; FloatMode: 240
; IeeeMode: 1
; LDSByteSize: 0 bytes/workgroup (compile time only)
; SGPRBlocks: 0
; VGPRBlocks: 0
; NumSGPRsForWavesPerEU: 6
; NumVGPRsForWavesPerEU: 1
; AccumOffset: 4
; Occupancy: 8
; WaveLimiterHint : 0
; COMPUTE_PGM_RSRC2:SCRATCH_EN: 0
; COMPUTE_PGM_RSRC2:USER_SGPR: 2
; COMPUTE_PGM_RSRC2:TRAP_HANDLER: 0
; COMPUTE_PGM_RSRC2:TGID_X_EN: 1
; COMPUTE_PGM_RSRC2:TGID_Y_EN: 0
; COMPUTE_PGM_RSRC2:TGID_Z_EN: 0
; COMPUTE_PGM_RSRC2:TIDIG_COMP_CNT: 0
; COMPUTE_PGM_RSRC3_GFX90A:ACCUM_OFFSET: 0
; COMPUTE_PGM_RSRC3_GFX90A:TG_SPLIT: 0
	.section	.text._ZN7rocprim17ROCPRIM_400000_NS6detail17trampoline_kernelINS0_14default_configENS1_35radix_sort_onesweep_config_selectorIffEEZZNS1_29radix_sort_onesweep_iterationIS3_Lb0EN6thrust23THRUST_200600_302600_NS6detail15normal_iteratorINS8_10device_ptrIfEEEESD_SD_SD_jNS0_19identity_decomposerENS1_16block_id_wrapperIjLb1EEEEE10hipError_tT1_PNSt15iterator_traitsISI_E10value_typeET2_T3_PNSJ_ISO_E10value_typeET4_T5_PST_SU_PNS1_23onesweep_lookback_stateEbbT6_jjT7_P12ihipStream_tbENKUlT_T0_SI_SN_E_clISD_PfSD_S15_EEDaS11_S12_SI_SN_EUlS11_E_NS1_11comp_targetILNS1_3genE6ELNS1_11target_archE950ELNS1_3gpuE13ELNS1_3repE0EEENS1_47radix_sort_onesweep_sort_config_static_selectorELNS0_4arch9wavefront6targetE1EEEvSI_,"axG",@progbits,_ZN7rocprim17ROCPRIM_400000_NS6detail17trampoline_kernelINS0_14default_configENS1_35radix_sort_onesweep_config_selectorIffEEZZNS1_29radix_sort_onesweep_iterationIS3_Lb0EN6thrust23THRUST_200600_302600_NS6detail15normal_iteratorINS8_10device_ptrIfEEEESD_SD_SD_jNS0_19identity_decomposerENS1_16block_id_wrapperIjLb1EEEEE10hipError_tT1_PNSt15iterator_traitsISI_E10value_typeET2_T3_PNSJ_ISO_E10value_typeET4_T5_PST_SU_PNS1_23onesweep_lookback_stateEbbT6_jjT7_P12ihipStream_tbENKUlT_T0_SI_SN_E_clISD_PfSD_S15_EEDaS11_S12_SI_SN_EUlS11_E_NS1_11comp_targetILNS1_3genE6ELNS1_11target_archE950ELNS1_3gpuE13ELNS1_3repE0EEENS1_47radix_sort_onesweep_sort_config_static_selectorELNS0_4arch9wavefront6targetE1EEEvSI_,comdat
	.protected	_ZN7rocprim17ROCPRIM_400000_NS6detail17trampoline_kernelINS0_14default_configENS1_35radix_sort_onesweep_config_selectorIffEEZZNS1_29radix_sort_onesweep_iterationIS3_Lb0EN6thrust23THRUST_200600_302600_NS6detail15normal_iteratorINS8_10device_ptrIfEEEESD_SD_SD_jNS0_19identity_decomposerENS1_16block_id_wrapperIjLb1EEEEE10hipError_tT1_PNSt15iterator_traitsISI_E10value_typeET2_T3_PNSJ_ISO_E10value_typeET4_T5_PST_SU_PNS1_23onesweep_lookback_stateEbbT6_jjT7_P12ihipStream_tbENKUlT_T0_SI_SN_E_clISD_PfSD_S15_EEDaS11_S12_SI_SN_EUlS11_E_NS1_11comp_targetILNS1_3genE6ELNS1_11target_archE950ELNS1_3gpuE13ELNS1_3repE0EEENS1_47radix_sort_onesweep_sort_config_static_selectorELNS0_4arch9wavefront6targetE1EEEvSI_ ; -- Begin function _ZN7rocprim17ROCPRIM_400000_NS6detail17trampoline_kernelINS0_14default_configENS1_35radix_sort_onesweep_config_selectorIffEEZZNS1_29radix_sort_onesweep_iterationIS3_Lb0EN6thrust23THRUST_200600_302600_NS6detail15normal_iteratorINS8_10device_ptrIfEEEESD_SD_SD_jNS0_19identity_decomposerENS1_16block_id_wrapperIjLb1EEEEE10hipError_tT1_PNSt15iterator_traitsISI_E10value_typeET2_T3_PNSJ_ISO_E10value_typeET4_T5_PST_SU_PNS1_23onesweep_lookback_stateEbbT6_jjT7_P12ihipStream_tbENKUlT_T0_SI_SN_E_clISD_PfSD_S15_EEDaS11_S12_SI_SN_EUlS11_E_NS1_11comp_targetILNS1_3genE6ELNS1_11target_archE950ELNS1_3gpuE13ELNS1_3repE0EEENS1_47radix_sort_onesweep_sort_config_static_selectorELNS0_4arch9wavefront6targetE1EEEvSI_
	.globl	_ZN7rocprim17ROCPRIM_400000_NS6detail17trampoline_kernelINS0_14default_configENS1_35radix_sort_onesweep_config_selectorIffEEZZNS1_29radix_sort_onesweep_iterationIS3_Lb0EN6thrust23THRUST_200600_302600_NS6detail15normal_iteratorINS8_10device_ptrIfEEEESD_SD_SD_jNS0_19identity_decomposerENS1_16block_id_wrapperIjLb1EEEEE10hipError_tT1_PNSt15iterator_traitsISI_E10value_typeET2_T3_PNSJ_ISO_E10value_typeET4_T5_PST_SU_PNS1_23onesweep_lookback_stateEbbT6_jjT7_P12ihipStream_tbENKUlT_T0_SI_SN_E_clISD_PfSD_S15_EEDaS11_S12_SI_SN_EUlS11_E_NS1_11comp_targetILNS1_3genE6ELNS1_11target_archE950ELNS1_3gpuE13ELNS1_3repE0EEENS1_47radix_sort_onesweep_sort_config_static_selectorELNS0_4arch9wavefront6targetE1EEEvSI_
	.p2align	8
	.type	_ZN7rocprim17ROCPRIM_400000_NS6detail17trampoline_kernelINS0_14default_configENS1_35radix_sort_onesweep_config_selectorIffEEZZNS1_29radix_sort_onesweep_iterationIS3_Lb0EN6thrust23THRUST_200600_302600_NS6detail15normal_iteratorINS8_10device_ptrIfEEEESD_SD_SD_jNS0_19identity_decomposerENS1_16block_id_wrapperIjLb1EEEEE10hipError_tT1_PNSt15iterator_traitsISI_E10value_typeET2_T3_PNSJ_ISO_E10value_typeET4_T5_PST_SU_PNS1_23onesweep_lookback_stateEbbT6_jjT7_P12ihipStream_tbENKUlT_T0_SI_SN_E_clISD_PfSD_S15_EEDaS11_S12_SI_SN_EUlS11_E_NS1_11comp_targetILNS1_3genE6ELNS1_11target_archE950ELNS1_3gpuE13ELNS1_3repE0EEENS1_47radix_sort_onesweep_sort_config_static_selectorELNS0_4arch9wavefront6targetE1EEEvSI_,@function
_ZN7rocprim17ROCPRIM_400000_NS6detail17trampoline_kernelINS0_14default_configENS1_35radix_sort_onesweep_config_selectorIffEEZZNS1_29radix_sort_onesweep_iterationIS3_Lb0EN6thrust23THRUST_200600_302600_NS6detail15normal_iteratorINS8_10device_ptrIfEEEESD_SD_SD_jNS0_19identity_decomposerENS1_16block_id_wrapperIjLb1EEEEE10hipError_tT1_PNSt15iterator_traitsISI_E10value_typeET2_T3_PNSJ_ISO_E10value_typeET4_T5_PST_SU_PNS1_23onesweep_lookback_stateEbbT6_jjT7_P12ihipStream_tbENKUlT_T0_SI_SN_E_clISD_PfSD_S15_EEDaS11_S12_SI_SN_EUlS11_E_NS1_11comp_targetILNS1_3genE6ELNS1_11target_archE950ELNS1_3gpuE13ELNS1_3repE0EEENS1_47radix_sort_onesweep_sort_config_static_selectorELNS0_4arch9wavefront6targetE1EEEvSI_: ; @_ZN7rocprim17ROCPRIM_400000_NS6detail17trampoline_kernelINS0_14default_configENS1_35radix_sort_onesweep_config_selectorIffEEZZNS1_29radix_sort_onesweep_iterationIS3_Lb0EN6thrust23THRUST_200600_302600_NS6detail15normal_iteratorINS8_10device_ptrIfEEEESD_SD_SD_jNS0_19identity_decomposerENS1_16block_id_wrapperIjLb1EEEEE10hipError_tT1_PNSt15iterator_traitsISI_E10value_typeET2_T3_PNSJ_ISO_E10value_typeET4_T5_PST_SU_PNS1_23onesweep_lookback_stateEbbT6_jjT7_P12ihipStream_tbENKUlT_T0_SI_SN_E_clISD_PfSD_S15_EEDaS11_S12_SI_SN_EUlS11_E_NS1_11comp_targetILNS1_3genE6ELNS1_11target_archE950ELNS1_3gpuE13ELNS1_3repE0EEENS1_47radix_sort_onesweep_sort_config_static_selectorELNS0_4arch9wavefront6targetE1EEEvSI_
; %bb.0:
	s_load_dwordx4 s[48:51], s[2:3], 0x28
	s_load_dwordx2 s[38:39], s[2:3], 0x38
	s_load_dwordx4 s[52:55], s[2:3], 0x44
	v_and_b32_e32 v8, 0x3ff, v0
	v_cmp_eq_u32_e64 s[20:21], 0, v8
	s_and_saveexec_b64 s[6:7], s[20:21]
	s_cbranch_execz .LBB315_4
; %bb.1:
	s_mov_b64 s[10:11], exec
	v_mbcnt_lo_u32_b32 v1, s10, 0
	v_mbcnt_hi_u32_b32 v1, s11, v1
	v_cmp_eq_u32_e32 vcc, 0, v1
                                        ; implicit-def: $vgpr2
	s_and_saveexec_b64 s[8:9], vcc
	s_cbranch_execz .LBB315_3
; %bb.2:
	s_load_dwordx2 s[12:13], s[2:3], 0x50
	s_bcnt1_i32_b64 s5, s[10:11]
	v_mov_b32_e32 v2, 0
	v_mov_b32_e32 v3, s5
	s_waitcnt lgkmcnt(0)
	global_atomic_add v2, v2, v3, s[12:13] sc0
.LBB315_3:
	s_or_b64 exec, exec, s[8:9]
	s_waitcnt vmcnt(0)
	v_readfirstlane_b32 s5, v2
	v_mov_b32_e32 v2, 0
	s_nop 0
	v_add_u32_e32 v1, s5, v1
	ds_write_b32 v2, v1 offset:20544
.LBB315_4:
	s_or_b64 exec, exec, s[6:7]
	v_mov_b32_e32 v11, 0
	s_load_dwordx8 s[40:47], s[2:3], 0x0
	s_load_dword s5, s[2:3], 0x20
	s_waitcnt lgkmcnt(0)
	s_barrier
	ds_read_b32 v1, v11 offset:20544
	v_bfe_u32 v9, v0, 10, 10
	v_bfe_u32 v18, v0, 20, 10
	s_mov_b64 s[6:7], -1
	v_mbcnt_lo_u32_b32 v20, -1, 0
	s_waitcnt lgkmcnt(0)
	v_cmp_le_u32_e32 vcc, s54, v1
	v_readfirstlane_b32 s33, v1
	v_lshlrev_b32_e32 v19, 3, v8
	s_barrier
	s_cbranch_vccz .LBB315_128
; %bb.5:
	s_lshl_b32 s6, s54, 13
	s_sub_i32 s5, s5, s6
	s_lshl_b32 s6, s33, 13
	s_mov_b32 s7, 0
	s_lshl_b64 s[54:55], s[6:7], 2
	v_mbcnt_hi_u32_b32 v21, -1, v20
	s_add_u32 s6, s40, s54
	v_and_b32_e32 v2, 63, v21
	s_addc_u32 s7, s41, s55
	v_and_b32_e32 v3, 0x1e00, v19
	v_lshlrev_b32_e32 v10, 2, v2
	v_lshl_add_u64 v[0:1], s[6:7], 0, v[10:11]
	v_lshlrev_b32_e32 v12, 2, v3
	v_mov_b32_e32 v13, v11
	v_lshl_add_u64 v[14:15], v[0:1], 0, v[12:13]
	v_or_b32_e32 v11, v2, v3
	v_bfrev_b32_e32 v0, -2
	v_cmp_gt_u32_e64 s[28:29], s5, v11
	v_mov_b32_e32 v1, v0
	v_mov_b32_e32 v2, v0
	;; [unrolled: 1-line block ×7, first 2 shown]
	s_and_saveexec_b64 s[6:7], s[28:29]
	s_cbranch_execz .LBB315_7
; %bb.6:
	global_load_dword v22, v[14:15], off
	v_mov_b32_e32 v23, v0
	v_mov_b32_e32 v24, v0
	;; [unrolled: 1-line block ×7, first 2 shown]
	s_waitcnt vmcnt(0)
	v_mov_b64_e32 v[0:1], v[22:23]
	v_mov_b64_e32 v[2:3], v[24:25]
	;; [unrolled: 1-line block ×4, first 2 shown]
.LBB315_7:
	s_or_b64 exec, exec, s[6:7]
	v_or_b32_e32 v13, 64, v11
	v_cmp_gt_u32_e64 s[6:7], s5, v13
	s_and_saveexec_b64 s[8:9], s[6:7]
	s_cbranch_execz .LBB315_9
; %bb.8:
	global_load_dword v1, v[14:15], off offset:256
.LBB315_9:
	s_or_b64 exec, exec, s[8:9]
	v_or_b32_e32 v13, 0x80, v11
	v_cmp_gt_u32_e64 s[8:9], s5, v13
	s_and_saveexec_b64 s[10:11], s[8:9]
	s_cbranch_execz .LBB315_11
; %bb.10:
	global_load_dword v2, v[14:15], off offset:512
.LBB315_11:
	;; [unrolled: 8-line block ×7, first 2 shown]
	s_or_b64 exec, exec, s[22:23]
	s_load_dword s22, s[2:3], 0x64
	s_load_dword s56, s[2:3], 0x58
	s_add_u32 s23, s2, 0x58
	s_addc_u32 s24, s3, 0
	v_mov_b32_e32 v15, 0
	s_waitcnt lgkmcnt(0)
	s_lshr_b32 s25, s22, 16
	s_cmp_lt_u32 s4, s56
	s_cselect_b32 s22, 12, 18
	s_add_u32 s22, s23, s22
	s_addc_u32 s23, s24, 0
	global_load_ushort v13, v15, s[22:23]
	v_bfrev_b32_e32 v24, 1
	v_cmp_lt_i32_e32 vcc, -1, v0
	s_brev_b32 s58, -2
	s_lshl_b32 s22, -1, s53
	v_cndmask_b32_e32 v11, -1, v24, vcc
	v_xor_b32_e32 v11, v11, v0
	v_cmp_ne_u32_e32 vcc, s58, v11
	v_mov_b32_e32 v16, v15
	v_mov_b32_e32 v28, v15
	v_cndmask_b32_e32 v0, v24, v11, vcc
	v_lshrrev_b32_e32 v0, s52, v0
	v_bitop3_b32 v0, v0, s22, v0 bitop3:0x30
	v_and_b32_e32 v14, 1, v0
	v_lshlrev_b32_e32 v17, 30, v0
	v_lshlrev_b32_e32 v27, 29, v0
	;; [unrolled: 1-line block ×3, first 2 shown]
	v_lshl_add_u64 v[36:37], v[14:15], 0, -1
	v_cmp_ne_u32_e32 vcc, 0, v14
	v_not_b32_e32 v14, v17
	v_mov_b32_e32 v26, v15
	v_mov_b32_e32 v30, v15
	s_not_b32 s57, s22
	v_lshlrev_b32_e32 v31, 27, v0
	v_cmp_gt_i64_e64 s[22:23], 0, v[16:17]
	v_not_b32_e32 v16, v27
	v_cmp_gt_i64_e64 s[26:27], 0, v[28:29]
	v_not_b32_e32 v17, v29
	v_xor_b32_e32 v29, vcc_hi, v37
	v_ashrrev_i32_e32 v14, 31, v14
	v_mov_b32_e32 v32, v15
	v_mad_u32_u24 v23, v18, s25, v9
	v_lshlrev_b32_e32 v33, 26, v0
	v_cmp_gt_i64_e64 s[24:25], 0, v[26:27]
	v_cmp_gt_i64_e64 s[30:31], 0, v[30:31]
	v_not_b32_e32 v26, v31
	v_xor_b32_e32 v30, vcc_lo, v36
	v_ashrrev_i32_e32 v16, 31, v16
	v_and_b32_e32 v29, exec_hi, v29
	v_xor_b32_e32 v31, s23, v14
	v_cmp_gt_i64_e64 s[34:35], 0, v[32:33]
	v_ashrrev_i32_e32 v17, 31, v17
	v_and_b32_e32 v30, exec_lo, v30
	v_xor_b32_e32 v14, s22, v14
	v_xor_b32_e32 v32, s25, v16
	v_and_b32_e32 v29, v29, v31
	v_mov_b32_e32 v34, v15
	v_lshlrev_b32_e32 v35, 25, v0
	v_not_b32_e32 v27, v33
	v_ashrrev_i32_e32 v26, 31, v26
	v_xor_b32_e32 v16, s24, v16
	v_xor_b32_e32 v33, s27, v17
	v_and_b32_e32 v14, v30, v14
	v_and_b32_e32 v29, v29, v32
	v_cmp_gt_i64_e64 s[36:37], 0, v[34:35]
	v_ashrrev_i32_e32 v27, 31, v27
	v_xor_b32_e32 v17, s26, v17
	v_xor_b32_e32 v34, s31, v26
	v_and_b32_e32 v14, v14, v16
	v_and_b32_e32 v16, v29, v33
	v_not_b32_e32 v28, v35
	v_xor_b32_e32 v26, s30, v26
	v_xor_b32_e32 v35, s35, v27
	v_and_b32_e32 v14, v14, v17
	v_and_b32_e32 v16, v16, v34
	v_ashrrev_i32_e32 v28, 31, v28
	v_xor_b32_e32 v27, s34, v27
	v_and_b32_e32 v14, v14, v26
	v_and_b32_e32 v26, v16, v35
	s_movk_i32 s59, 0x44
	v_and_b32_e32 v14, v14, v27
	v_mul_lo_u32 v25, v0, s59
	v_mul_u32_u24_e32 v22, 20, v8
	ds_write2_b32 v22, v15, v15 offset0:16 offset1:17
	ds_write2_b32 v22, v15, v15 offset0:18 offset1:19
	ds_write_b32 v22, v15 offset:80
	s_waitcnt lgkmcnt(0)
	s_barrier
	s_waitcnt vmcnt(0)
	; wave barrier
	v_mad_u64_u32 v[16:17], s[22:23], v23, v13, v[8:9]
	v_lshrrev_b32_e32 v13, 4, v16
	v_xor_b32_e32 v16, s36, v28
	v_lshlrev_b32_e32 v17, 24, v0
	v_and_b32_e32 v14, v14, v16
	v_mov_b32_e32 v16, v15
	v_not_b32_e32 v0, v17
	v_and_b32_e32 v34, 0xffffffc, v13
	v_xor_b32_e32 v13, s37, v28
	v_cmp_gt_i64_e32 vcc, 0, v[16:17]
	v_ashrrev_i32_e32 v0, 31, v0
	v_and_b32_e32 v13, v26, v13
	v_xor_b32_e32 v16, vcc_hi, v0
	v_xor_b32_e32 v0, vcc_lo, v0
	v_and_b32_e32 v17, v13, v16
	v_and_b32_e32 v16, v14, v0
	v_mbcnt_lo_u32_b32 v0, v16, 0
	v_mbcnt_hi_u32_b32 v23, v17, v0
	v_cmp_eq_u32_e32 vcc, 0, v23
	v_cmp_ne_u64_e64 s[22:23], 0, v[16:17]
	s_and_b64 s[24:25], s[22:23], vcc
	v_add_u32_e32 v26, v34, v25
	s_and_saveexec_b64 s[22:23], s[24:25]
; %bb.22:
	v_bcnt_u32_b32 v0, v16, 0
	v_bcnt_u32_b32 v0, v17, v0
	ds_write_b32 v26, v0 offset:64
; %bb.23:
	s_or_b64 exec, exec, s[22:23]
	v_cmp_lt_i32_e32 vcc, -1, v1
	; wave barrier
	s_nop 1
	v_cndmask_b32_e32 v0, -1, v24, vcc
	v_xor_b32_e32 v13, v0, v1
	v_cmp_ne_u32_e32 vcc, s58, v13
	s_nop 1
	v_cndmask_b32_e32 v0, v24, v13, vcc
	v_lshrrev_b32_e32 v0, s52, v0
	v_and_b32_e32 v16, s57, v0
	v_mul_lo_u32 v0, v16, s59
	v_and_b32_e32 v14, 1, v16
	v_add_u32_e32 v28, v34, v0
	v_lshl_add_u64 v[0:1], v[14:15], 0, -1
	v_cmp_ne_u32_e32 vcc, 0, v14
	ds_read_b32 v17, v28 offset:64
	s_nop 0
	v_xor_b32_e32 v1, vcc_hi, v1
	v_xor_b32_e32 v0, vcc_lo, v0
	v_and_b32_e32 v14, exec_hi, v1
	v_and_b32_e32 v24, exec_lo, v0
	v_lshlrev_b32_e32 v1, 30, v16
	v_mov_b32_e32 v0, v15
	v_cmp_gt_i64_e32 vcc, 0, v[0:1]
	v_not_b32_e32 v0, v1
	v_ashrrev_i32_e32 v0, 31, v0
	v_xor_b32_e32 v1, vcc_hi, v0
	v_xor_b32_e32 v0, vcc_lo, v0
	v_and_b32_e32 v14, v14, v1
	v_and_b32_e32 v24, v24, v0
	v_lshlrev_b32_e32 v1, 29, v16
	v_mov_b32_e32 v0, v15
	v_cmp_gt_i64_e32 vcc, 0, v[0:1]
	v_not_b32_e32 v0, v1
	v_ashrrev_i32_e32 v0, 31, v0
	v_xor_b32_e32 v1, vcc_hi, v0
	v_xor_b32_e32 v0, vcc_lo, v0
	v_and_b32_e32 v14, v14, v1
	v_and_b32_e32 v24, v24, v0
	;; [unrolled: 9-line block ×7, first 2 shown]
	v_mbcnt_lo_u32_b32 v14, v0, 0
	v_mbcnt_hi_u32_b32 v24, v1, v14
	v_cmp_eq_u32_e32 vcc, 0, v24
	v_cmp_ne_u64_e64 s[22:23], 0, v[0:1]
	s_and_b64 s[24:25], s[22:23], vcc
	; wave barrier
	s_and_saveexec_b64 s[22:23], s[24:25]
	s_cbranch_execz .LBB315_25
; %bb.24:
	v_bcnt_u32_b32 v0, v0, 0
	v_bcnt_u32_b32 v0, v1, v0
	s_waitcnt lgkmcnt(0)
	v_add_u32_e32 v0, v17, v0
	ds_write_b32 v28, v0 offset:64
.LBB315_25:
	s_or_b64 exec, exec, s[22:23]
	v_bfrev_b32_e32 v27, 1
	v_cmp_lt_i32_e32 vcc, -1, v2
	s_brev_b32 s24, -2
	s_movk_i32 s25, 0x44
	v_cndmask_b32_e32 v0, -1, v27, vcc
	v_xor_b32_e32 v16, v0, v2
	v_cmp_ne_u32_e32 vcc, s24, v16
	v_mov_b32_e32 v1, 0
	s_nop 0
	v_cndmask_b32_e32 v0, v27, v16, vcc
	v_lshrrev_b32_e32 v0, s52, v0
	v_and_b32_e32 v2, s57, v0
	v_mul_lo_u32 v0, v2, s25
	v_add_u32_e32 v32, v34, v0
	v_and_b32_e32 v0, 1, v2
	v_lshl_add_u64 v[14:15], v[0:1], 0, -1
	v_cmp_ne_u32_e32 vcc, 0, v0
	; wave barrier
	ds_read_b32 v25, v32 offset:64
	s_nop 0
	v_xor_b32_e32 v14, vcc_lo, v14
	v_xor_b32_e32 v0, vcc_hi, v15
	v_and_b32_e32 v29, exec_lo, v14
	v_lshlrev_b32_e32 v15, 30, v2
	v_mov_b32_e32 v14, v1
	v_cmp_gt_i64_e32 vcc, 0, v[14:15]
	v_not_b32_e32 v14, v15
	v_ashrrev_i32_e32 v14, 31, v14
	v_and_b32_e32 v0, exec_hi, v0
	v_xor_b32_e32 v15, vcc_hi, v14
	v_xor_b32_e32 v14, vcc_lo, v14
	v_and_b32_e32 v0, v0, v15
	v_and_b32_e32 v29, v29, v14
	v_lshlrev_b32_e32 v15, 29, v2
	v_mov_b32_e32 v14, v1
	v_cmp_gt_i64_e32 vcc, 0, v[14:15]
	v_not_b32_e32 v14, v15
	v_ashrrev_i32_e32 v14, 31, v14
	v_xor_b32_e32 v15, vcc_hi, v14
	v_xor_b32_e32 v14, vcc_lo, v14
	v_and_b32_e32 v0, v0, v15
	v_and_b32_e32 v29, v29, v14
	v_lshlrev_b32_e32 v15, 28, v2
	v_mov_b32_e32 v14, v1
	v_cmp_gt_i64_e32 vcc, 0, v[14:15]
	v_not_b32_e32 v14, v15
	v_ashrrev_i32_e32 v14, 31, v14
	;; [unrolled: 9-line block ×5, first 2 shown]
	v_xor_b32_e32 v15, vcc_hi, v14
	v_xor_b32_e32 v14, vcc_lo, v14
	v_and_b32_e32 v0, v0, v15
	v_lshlrev_b32_e32 v15, 24, v2
	v_and_b32_e32 v29, v29, v14
	v_mov_b32_e32 v14, v1
	v_not_b32_e32 v2, v15
	v_cmp_gt_i64_e32 vcc, 0, v[14:15]
	v_ashrrev_i32_e32 v2, 31, v2
	s_nop 0
	v_xor_b32_e32 v14, vcc_hi, v2
	v_xor_b32_e32 v2, vcc_lo, v2
	v_and_b32_e32 v15, v0, v14
	v_and_b32_e32 v14, v29, v2
	v_mbcnt_lo_u32_b32 v0, v14, 0
	v_mbcnt_hi_u32_b32 v29, v15, v0
	v_cmp_eq_u32_e32 vcc, 0, v29
	v_cmp_ne_u64_e64 s[22:23], 0, v[14:15]
	s_and_b64 s[26:27], s[22:23], vcc
	; wave barrier
	s_and_saveexec_b64 s[22:23], s[26:27]
	s_cbranch_execz .LBB315_27
; %bb.26:
	v_bcnt_u32_b32 v0, v14, 0
	v_bcnt_u32_b32 v0, v15, v0
	s_waitcnt lgkmcnt(0)
	v_add_u32_e32 v0, v25, v0
	ds_write_b32 v32, v0 offset:64
.LBB315_27:
	s_or_b64 exec, exec, s[22:23]
	v_cmp_lt_i32_e32 vcc, -1, v3
	; wave barrier
	s_nop 1
	v_cndmask_b32_e32 v0, -1, v27, vcc
	v_xor_b32_e32 v14, v0, v3
	v_cmp_ne_u32_e32 vcc, s24, v14
	s_nop 1
	v_cndmask_b32_e32 v0, v27, v14, vcc
	v_lshrrev_b32_e32 v0, s52, v0
	v_and_b32_e32 v15, s57, v0
	v_mul_lo_u32 v0, v15, s25
	v_add_u32_e32 v37, v34, v0
	v_and_b32_e32 v0, 1, v15
	v_lshl_add_u64 v[2:3], v[0:1], 0, -1
	v_cmp_ne_u32_e32 vcc, 0, v0
	ds_read_b32 v30, v37 offset:64
	s_nop 0
	v_xor_b32_e32 v2, vcc_lo, v2
	v_xor_b32_e32 v0, vcc_hi, v3
	v_and_b32_e32 v27, exec_lo, v2
	v_lshlrev_b32_e32 v3, 30, v15
	v_mov_b32_e32 v2, v1
	v_cmp_gt_i64_e32 vcc, 0, v[2:3]
	v_not_b32_e32 v2, v3
	v_ashrrev_i32_e32 v2, 31, v2
	v_and_b32_e32 v0, exec_hi, v0
	v_xor_b32_e32 v3, vcc_hi, v2
	v_xor_b32_e32 v2, vcc_lo, v2
	v_and_b32_e32 v0, v0, v3
	v_and_b32_e32 v27, v27, v2
	v_lshlrev_b32_e32 v3, 29, v15
	v_mov_b32_e32 v2, v1
	v_cmp_gt_i64_e32 vcc, 0, v[2:3]
	v_not_b32_e32 v2, v3
	v_ashrrev_i32_e32 v2, 31, v2
	v_xor_b32_e32 v3, vcc_hi, v2
	v_xor_b32_e32 v2, vcc_lo, v2
	v_and_b32_e32 v0, v0, v3
	v_and_b32_e32 v27, v27, v2
	v_lshlrev_b32_e32 v3, 28, v15
	v_mov_b32_e32 v2, v1
	v_cmp_gt_i64_e32 vcc, 0, v[2:3]
	v_not_b32_e32 v2, v3
	v_ashrrev_i32_e32 v2, 31, v2
	v_xor_b32_e32 v3, vcc_hi, v2
	v_xor_b32_e32 v2, vcc_lo, v2
	v_and_b32_e32 v0, v0, v3
	v_and_b32_e32 v27, v27, v2
	v_lshlrev_b32_e32 v3, 27, v15
	v_mov_b32_e32 v2, v1
	v_cmp_gt_i64_e32 vcc, 0, v[2:3]
	v_not_b32_e32 v2, v3
	v_ashrrev_i32_e32 v2, 31, v2
	v_xor_b32_e32 v3, vcc_hi, v2
	v_xor_b32_e32 v2, vcc_lo, v2
	v_and_b32_e32 v0, v0, v3
	v_and_b32_e32 v27, v27, v2
	v_lshlrev_b32_e32 v3, 26, v15
	v_mov_b32_e32 v2, v1
	v_cmp_gt_i64_e32 vcc, 0, v[2:3]
	v_not_b32_e32 v2, v3
	v_ashrrev_i32_e32 v2, 31, v2
	v_xor_b32_e32 v3, vcc_hi, v2
	v_xor_b32_e32 v2, vcc_lo, v2
	v_and_b32_e32 v0, v0, v3
	v_and_b32_e32 v27, v27, v2
	v_lshlrev_b32_e32 v3, 25, v15
	v_mov_b32_e32 v2, v1
	v_cmp_gt_i64_e32 vcc, 0, v[2:3]
	v_not_b32_e32 v2, v3
	v_ashrrev_i32_e32 v2, 31, v2
	v_xor_b32_e32 v3, vcc_hi, v2
	v_xor_b32_e32 v2, vcc_lo, v2
	v_and_b32_e32 v0, v0, v3
	v_lshlrev_b32_e32 v3, 24, v15
	v_and_b32_e32 v27, v27, v2
	v_mov_b32_e32 v2, v1
	v_not_b32_e32 v1, v3
	v_cmp_gt_i64_e32 vcc, 0, v[2:3]
	v_ashrrev_i32_e32 v1, 31, v1
	; wave barrier
	s_nop 0
	v_xor_b32_e32 v2, vcc_hi, v1
	v_xor_b32_e32 v3, vcc_lo, v1
	v_and_b32_e32 v1, v0, v2
	v_and_b32_e32 v0, v27, v3
	v_mbcnt_lo_u32_b32 v2, v0, 0
	v_mbcnt_hi_u32_b32 v33, v1, v2
	v_cmp_eq_u32_e32 vcc, 0, v33
	v_cmp_ne_u64_e64 s[22:23], 0, v[0:1]
	s_and_b64 s[24:25], s[22:23], vcc
	s_and_saveexec_b64 s[22:23], s[24:25]
	s_cbranch_execz .LBB315_29
; %bb.28:
	v_bcnt_u32_b32 v0, v0, 0
	v_bcnt_u32_b32 v0, v1, v0
	s_waitcnt lgkmcnt(0)
	v_add_u32_e32 v0, v30, v0
	ds_write_b32 v37, v0 offset:64
.LBB315_29:
	s_or_b64 exec, exec, s[22:23]
	v_bfrev_b32_e32 v31, 1
	v_cmp_lt_i32_e32 vcc, -1, v4
	s_brev_b32 s24, -2
	s_movk_i32 s25, 0x44
	v_cndmask_b32_e32 v0, -1, v31, vcc
	v_xor_b32_e32 v15, v0, v4
	v_cmp_ne_u32_e32 vcc, s24, v15
	v_mov_b32_e32 v1, 0
	s_nop 0
	v_cndmask_b32_e32 v0, v31, v15, vcc
	v_lshrrev_b32_e32 v0, s52, v0
	v_and_b32_e32 v27, s57, v0
	v_mul_lo_u32 v0, v27, s25
	v_add_u32_e32 v4, v34, v0
	v_and_b32_e32 v0, 1, v27
	v_lshl_add_u64 v[2:3], v[0:1], 0, -1
	v_cmp_ne_u32_e32 vcc, 0, v0
	; wave barrier
	ds_read_b32 v35, v4 offset:64
	s_nop 0
	v_xor_b32_e32 v2, vcc_lo, v2
	v_xor_b32_e32 v0, vcc_hi, v3
	v_and_b32_e32 v36, exec_lo, v2
	v_lshlrev_b32_e32 v3, 30, v27
	v_mov_b32_e32 v2, v1
	v_cmp_gt_i64_e32 vcc, 0, v[2:3]
	v_not_b32_e32 v2, v3
	v_ashrrev_i32_e32 v2, 31, v2
	v_and_b32_e32 v0, exec_hi, v0
	v_xor_b32_e32 v3, vcc_hi, v2
	v_xor_b32_e32 v2, vcc_lo, v2
	v_and_b32_e32 v0, v0, v3
	v_and_b32_e32 v36, v36, v2
	v_lshlrev_b32_e32 v3, 29, v27
	v_mov_b32_e32 v2, v1
	v_cmp_gt_i64_e32 vcc, 0, v[2:3]
	v_not_b32_e32 v2, v3
	v_ashrrev_i32_e32 v2, 31, v2
	v_xor_b32_e32 v3, vcc_hi, v2
	v_xor_b32_e32 v2, vcc_lo, v2
	v_and_b32_e32 v0, v0, v3
	v_and_b32_e32 v36, v36, v2
	v_lshlrev_b32_e32 v3, 28, v27
	v_mov_b32_e32 v2, v1
	v_cmp_gt_i64_e32 vcc, 0, v[2:3]
	v_not_b32_e32 v2, v3
	v_ashrrev_i32_e32 v2, 31, v2
	;; [unrolled: 9-line block ×6, first 2 shown]
	v_xor_b32_e32 v3, vcc_hi, v2
	v_xor_b32_e32 v2, vcc_lo, v2
	v_and_b32_e32 v2, v36, v2
	v_and_b32_e32 v3, v0, v3
	v_mbcnt_lo_u32_b32 v0, v2, 0
	v_mbcnt_hi_u32_b32 v38, v3, v0
	v_cmp_eq_u32_e32 vcc, 0, v38
	v_cmp_ne_u64_e64 s[22:23], 0, v[2:3]
	s_and_b64 s[26:27], s[22:23], vcc
	; wave barrier
	s_and_saveexec_b64 s[22:23], s[26:27]
	s_cbranch_execz .LBB315_31
; %bb.30:
	v_bcnt_u32_b32 v0, v2, 0
	v_bcnt_u32_b32 v0, v3, v0
	s_waitcnt lgkmcnt(0)
	v_add_u32_e32 v0, v35, v0
	ds_write_b32 v4, v0 offset:64
.LBB315_31:
	s_or_b64 exec, exec, s[22:23]
	v_cmp_lt_i32_e32 vcc, -1, v5
	; wave barrier
	s_nop 1
	v_cndmask_b32_e32 v0, -1, v31, vcc
	v_xor_b32_e32 v27, v0, v5
	v_cmp_ne_u32_e32 vcc, s24, v27
	s_nop 1
	v_cndmask_b32_e32 v0, v31, v27, vcc
	v_lshrrev_b32_e32 v0, s52, v0
	v_and_b32_e32 v31, s57, v0
	v_mul_lo_u32 v0, v31, s25
	v_add_u32_e32 v5, v34, v0
	v_and_b32_e32 v0, 1, v31
	v_lshl_add_u64 v[2:3], v[0:1], 0, -1
	v_cmp_ne_u32_e32 vcc, 0, v0
	ds_read_b32 v39, v5 offset:64
	s_nop 0
	v_xor_b32_e32 v2, vcc_lo, v2
	v_xor_b32_e32 v0, vcc_hi, v3
	v_and_b32_e32 v36, exec_lo, v2
	v_lshlrev_b32_e32 v3, 30, v31
	v_mov_b32_e32 v2, v1
	v_cmp_gt_i64_e32 vcc, 0, v[2:3]
	v_not_b32_e32 v2, v3
	v_ashrrev_i32_e32 v2, 31, v2
	v_and_b32_e32 v0, exec_hi, v0
	v_xor_b32_e32 v3, vcc_hi, v2
	v_xor_b32_e32 v2, vcc_lo, v2
	v_and_b32_e32 v0, v0, v3
	v_and_b32_e32 v36, v36, v2
	v_lshlrev_b32_e32 v3, 29, v31
	v_mov_b32_e32 v2, v1
	v_cmp_gt_i64_e32 vcc, 0, v[2:3]
	v_not_b32_e32 v2, v3
	v_ashrrev_i32_e32 v2, 31, v2
	v_xor_b32_e32 v3, vcc_hi, v2
	v_xor_b32_e32 v2, vcc_lo, v2
	v_and_b32_e32 v0, v0, v3
	v_and_b32_e32 v36, v36, v2
	v_lshlrev_b32_e32 v3, 28, v31
	v_mov_b32_e32 v2, v1
	v_cmp_gt_i64_e32 vcc, 0, v[2:3]
	v_not_b32_e32 v2, v3
	v_ashrrev_i32_e32 v2, 31, v2
	;; [unrolled: 9-line block ×5, first 2 shown]
	v_xor_b32_e32 v3, vcc_hi, v2
	v_xor_b32_e32 v2, vcc_lo, v2
	v_and_b32_e32 v0, v0, v3
	v_lshlrev_b32_e32 v3, 24, v31
	v_and_b32_e32 v36, v36, v2
	v_mov_b32_e32 v2, v1
	v_not_b32_e32 v1, v3
	v_cmp_gt_i64_e32 vcc, 0, v[2:3]
	v_ashrrev_i32_e32 v1, 31, v1
	; wave barrier
	s_nop 0
	v_xor_b32_e32 v2, vcc_hi, v1
	v_xor_b32_e32 v3, vcc_lo, v1
	v_and_b32_e32 v1, v0, v2
	v_and_b32_e32 v0, v36, v3
	v_mbcnt_lo_u32_b32 v2, v0, 0
	v_mbcnt_hi_u32_b32 v40, v1, v2
	v_cmp_eq_u32_e32 vcc, 0, v40
	v_cmp_ne_u64_e64 s[22:23], 0, v[0:1]
	s_and_b64 s[24:25], s[22:23], vcc
	s_and_saveexec_b64 s[22:23], s[24:25]
	s_cbranch_execz .LBB315_33
; %bb.32:
	v_bcnt_u32_b32 v0, v0, 0
	v_bcnt_u32_b32 v0, v1, v0
	s_waitcnt lgkmcnt(0)
	v_add_u32_e32 v0, v39, v0
	ds_write_b32 v5, v0 offset:64
.LBB315_33:
	s_or_b64 exec, exec, s[22:23]
	v_bfrev_b32_e32 v43, 1
	v_cmp_lt_i32_e32 vcc, -1, v6
	s_brev_b32 s24, -2
	s_movk_i32 s25, 0x44
	v_cndmask_b32_e32 v0, -1, v43, vcc
	v_xor_b32_e32 v31, v0, v6
	v_cmp_ne_u32_e32 vcc, s24, v31
	v_mov_b32_e32 v1, 0
	s_nop 0
	v_cndmask_b32_e32 v0, v43, v31, vcc
	v_lshrrev_b32_e32 v0, s52, v0
	v_and_b32_e32 v36, s57, v0
	v_mul_lo_u32 v0, v36, s25
	v_add_u32_e32 v6, v34, v0
	v_and_b32_e32 v0, 1, v36
	v_lshl_add_u64 v[2:3], v[0:1], 0, -1
	v_cmp_ne_u32_e32 vcc, 0, v0
	; wave barrier
	ds_read_b32 v41, v6 offset:64
	s_nop 0
	v_xor_b32_e32 v2, vcc_lo, v2
	v_xor_b32_e32 v0, vcc_hi, v3
	v_and_b32_e32 v42, exec_lo, v2
	v_lshlrev_b32_e32 v3, 30, v36
	v_mov_b32_e32 v2, v1
	v_cmp_gt_i64_e32 vcc, 0, v[2:3]
	v_not_b32_e32 v2, v3
	v_ashrrev_i32_e32 v2, 31, v2
	v_and_b32_e32 v0, exec_hi, v0
	v_xor_b32_e32 v3, vcc_hi, v2
	v_xor_b32_e32 v2, vcc_lo, v2
	v_and_b32_e32 v0, v0, v3
	v_and_b32_e32 v42, v42, v2
	v_lshlrev_b32_e32 v3, 29, v36
	v_mov_b32_e32 v2, v1
	v_cmp_gt_i64_e32 vcc, 0, v[2:3]
	v_not_b32_e32 v2, v3
	v_ashrrev_i32_e32 v2, 31, v2
	v_xor_b32_e32 v3, vcc_hi, v2
	v_xor_b32_e32 v2, vcc_lo, v2
	v_and_b32_e32 v0, v0, v3
	v_and_b32_e32 v42, v42, v2
	v_lshlrev_b32_e32 v3, 28, v36
	v_mov_b32_e32 v2, v1
	v_cmp_gt_i64_e32 vcc, 0, v[2:3]
	v_not_b32_e32 v2, v3
	v_ashrrev_i32_e32 v2, 31, v2
	;; [unrolled: 9-line block ×6, first 2 shown]
	v_xor_b32_e32 v3, vcc_hi, v2
	v_xor_b32_e32 v2, vcc_lo, v2
	v_and_b32_e32 v2, v42, v2
	v_and_b32_e32 v3, v0, v3
	v_mbcnt_lo_u32_b32 v0, v2, 0
	v_mbcnt_hi_u32_b32 v42, v3, v0
	v_cmp_eq_u32_e32 vcc, 0, v42
	v_cmp_ne_u64_e64 s[22:23], 0, v[2:3]
	s_and_b64 s[26:27], s[22:23], vcc
	; wave barrier
	s_and_saveexec_b64 s[22:23], s[26:27]
	s_cbranch_execz .LBB315_35
; %bb.34:
	v_bcnt_u32_b32 v0, v2, 0
	v_bcnt_u32_b32 v0, v3, v0
	s_waitcnt lgkmcnt(0)
	v_add_u32_e32 v0, v41, v0
	ds_write_b32 v6, v0 offset:64
.LBB315_35:
	s_or_b64 exec, exec, s[22:23]
	v_cmp_lt_i32_e32 vcc, -1, v7
	; wave barrier
	s_nop 1
	v_cndmask_b32_e32 v0, -1, v43, vcc
	v_xor_b32_e32 v36, v0, v7
	v_cmp_ne_u32_e32 vcc, s24, v36
	s_nop 1
	v_cndmask_b32_e32 v0, v43, v36, vcc
	v_lshrrev_b32_e32 v0, s52, v0
	v_and_b32_e32 v43, s57, v0
	v_mul_lo_u32 v0, v43, s25
	v_add_u32_e32 v7, v34, v0
	v_and_b32_e32 v0, 1, v43
	v_lshl_add_u64 v[2:3], v[0:1], 0, -1
	v_cmp_ne_u32_e32 vcc, 0, v0
	ds_read_b32 v34, v7 offset:64
	s_nop 0
	v_xor_b32_e32 v2, vcc_lo, v2
	v_xor_b32_e32 v0, vcc_hi, v3
	v_and_b32_e32 v44, exec_lo, v2
	v_lshlrev_b32_e32 v3, 30, v43
	v_mov_b32_e32 v2, v1
	v_cmp_gt_i64_e32 vcc, 0, v[2:3]
	v_not_b32_e32 v2, v3
	v_ashrrev_i32_e32 v2, 31, v2
	v_and_b32_e32 v0, exec_hi, v0
	v_xor_b32_e32 v3, vcc_hi, v2
	v_xor_b32_e32 v2, vcc_lo, v2
	v_and_b32_e32 v0, v0, v3
	v_and_b32_e32 v44, v44, v2
	v_lshlrev_b32_e32 v3, 29, v43
	v_mov_b32_e32 v2, v1
	v_cmp_gt_i64_e32 vcc, 0, v[2:3]
	v_not_b32_e32 v2, v3
	v_ashrrev_i32_e32 v2, 31, v2
	v_xor_b32_e32 v3, vcc_hi, v2
	v_xor_b32_e32 v2, vcc_lo, v2
	v_and_b32_e32 v0, v0, v3
	v_and_b32_e32 v44, v44, v2
	v_lshlrev_b32_e32 v3, 28, v43
	v_mov_b32_e32 v2, v1
	v_cmp_gt_i64_e32 vcc, 0, v[2:3]
	v_not_b32_e32 v2, v3
	v_ashrrev_i32_e32 v2, 31, v2
	v_xor_b32_e32 v3, vcc_hi, v2
	v_xor_b32_e32 v2, vcc_lo, v2
	v_and_b32_e32 v0, v0, v3
	v_and_b32_e32 v44, v44, v2
	v_lshlrev_b32_e32 v3, 27, v43
	v_mov_b32_e32 v2, v1
	v_cmp_gt_i64_e32 vcc, 0, v[2:3]
	v_not_b32_e32 v2, v3
	v_ashrrev_i32_e32 v2, 31, v2
	v_xor_b32_e32 v3, vcc_hi, v2
	v_xor_b32_e32 v2, vcc_lo, v2
	v_and_b32_e32 v0, v0, v3
	v_and_b32_e32 v44, v44, v2
	v_lshlrev_b32_e32 v3, 26, v43
	v_mov_b32_e32 v2, v1
	v_cmp_gt_i64_e32 vcc, 0, v[2:3]
	v_not_b32_e32 v2, v3
	v_ashrrev_i32_e32 v2, 31, v2
	v_xor_b32_e32 v3, vcc_hi, v2
	v_xor_b32_e32 v2, vcc_lo, v2
	v_and_b32_e32 v0, v0, v3
	v_and_b32_e32 v44, v44, v2
	v_lshlrev_b32_e32 v3, 25, v43
	v_mov_b32_e32 v2, v1
	v_cmp_gt_i64_e32 vcc, 0, v[2:3]
	v_not_b32_e32 v2, v3
	v_ashrrev_i32_e32 v2, 31, v2
	v_xor_b32_e32 v3, vcc_hi, v2
	v_xor_b32_e32 v2, vcc_lo, v2
	v_and_b32_e32 v0, v0, v3
	v_lshlrev_b32_e32 v3, 24, v43
	v_and_b32_e32 v44, v44, v2
	v_mov_b32_e32 v2, v1
	v_not_b32_e32 v1, v3
	v_cmp_gt_i64_e32 vcc, 0, v[2:3]
	v_ashrrev_i32_e32 v1, 31, v1
	; wave barrier
	s_nop 0
	v_xor_b32_e32 v2, vcc_hi, v1
	v_xor_b32_e32 v3, vcc_lo, v1
	v_and_b32_e32 v1, v0, v2
	v_and_b32_e32 v0, v44, v3
	v_mbcnt_lo_u32_b32 v2, v0, 0
	v_mbcnt_hi_u32_b32 v43, v1, v2
	v_cmp_eq_u32_e32 vcc, 0, v43
	v_cmp_ne_u64_e64 s[22:23], 0, v[0:1]
	s_and_b64 s[24:25], s[22:23], vcc
	s_and_saveexec_b64 s[22:23], s[24:25]
	s_cbranch_execz .LBB315_37
; %bb.36:
	v_bcnt_u32_b32 v0, v0, 0
	v_bcnt_u32_b32 v0, v1, v0
	s_waitcnt lgkmcnt(0)
	v_add_u32_e32 v0, v34, v0
	ds_write_b32 v7, v0 offset:64
.LBB315_37:
	s_or_b64 exec, exec, s[22:23]
	; wave barrier
	s_waitcnt lgkmcnt(0)
	s_barrier
	ds_read2_b32 v[2:3], v22 offset0:16 offset1:17
	ds_read2_b32 v[0:1], v22 offset0:18 offset1:19
	ds_read_b32 v44, v22 offset:80
	v_cmp_lt_u32_e64 s[30:31], 31, v21
	s_waitcnt lgkmcnt(1)
	v_add3_u32 v45, v3, v2, v0
	s_waitcnt lgkmcnt(0)
	v_add3_u32 v44, v45, v1, v44
	v_and_b32_e32 v45, 15, v21
	v_cmp_eq_u32_e32 vcc, 0, v45
	v_mov_b32_dpp v46, v44 row_shr:1 row_mask:0xf bank_mask:0xf
	v_cmp_lt_u32_e64 s[22:23], 1, v45
	v_cndmask_b32_e64 v46, v46, 0, vcc
	v_add_u32_e32 v44, v46, v44
	v_cmp_lt_u32_e64 s[24:25], 3, v45
	v_cmp_lt_u32_e64 s[26:27], 7, v45
	v_mov_b32_dpp v46, v44 row_shr:2 row_mask:0xf bank_mask:0xf
	v_cndmask_b32_e64 v46, 0, v46, s[22:23]
	v_add_u32_e32 v44, v44, v46
	s_nop 1
	v_mov_b32_dpp v46, v44 row_shr:4 row_mask:0xf bank_mask:0xf
	v_cndmask_b32_e64 v46, 0, v46, s[24:25]
	v_add_u32_e32 v44, v44, v46
	s_nop 1
	v_mov_b32_dpp v46, v44 row_shr:8 row_mask:0xf bank_mask:0xf
	v_cndmask_b32_e64 v45, 0, v46, s[26:27]
	v_add_u32_e32 v44, v44, v45
	v_bfe_i32 v46, v21, 4, 1
	s_nop 0
	v_mov_b32_dpp v45, v44 row_bcast:15 row_mask:0xf bank_mask:0xf
	v_and_b32_e32 v45, v46, v45
	v_add_u32_e32 v44, v44, v45
	v_and_b32_e32 v46, 63, v8
	s_nop 0
	v_mov_b32_dpp v45, v44 row_bcast:31 row_mask:0xf bank_mask:0xf
	v_cndmask_b32_e64 v45, 0, v45, s[30:31]
	v_add_u32_e32 v44, v44, v45
	v_lshrrev_b32_e32 v45, 6, v8
	v_cmp_eq_u32_e64 s[30:31], 63, v46
	s_and_saveexec_b64 s[34:35], s[30:31]
; %bb.38:
	v_lshlrev_b32_e32 v46, 2, v45
	ds_write_b32 v46, v44
; %bb.39:
	s_or_b64 exec, exec, s[34:35]
	v_cmp_gt_u32_e64 s[30:31], 16, v8
	s_waitcnt lgkmcnt(0)
	s_barrier
	s_and_saveexec_b64 s[34:35], s[30:31]
	s_cbranch_execz .LBB315_41
; %bb.40:
	v_lshlrev_b32_e32 v46, 2, v8
	ds_read_b32 v47, v46
	s_waitcnt lgkmcnt(0)
	s_nop 0
	v_mov_b32_dpp v48, v47 row_shr:1 row_mask:0xf bank_mask:0xf
	v_cndmask_b32_e64 v48, v48, 0, vcc
	v_add_u32_e32 v47, v48, v47
	s_nop 1
	v_mov_b32_dpp v48, v47 row_shr:2 row_mask:0xf bank_mask:0xf
	v_cndmask_b32_e64 v48, 0, v48, s[22:23]
	v_add_u32_e32 v47, v47, v48
	s_nop 1
	v_mov_b32_dpp v48, v47 row_shr:4 row_mask:0xf bank_mask:0xf
	v_cndmask_b32_e64 v48, 0, v48, s[24:25]
	;; [unrolled: 4-line block ×3, first 2 shown]
	v_add_u32_e32 v47, v47, v48
	ds_write_b32 v46, v47
.LBB315_41:
	s_or_b64 exec, exec, s[34:35]
	v_cmp_lt_u32_e32 vcc, 63, v8
	v_mov_b32_e32 v46, 0
	s_waitcnt lgkmcnt(0)
	s_barrier
	s_and_saveexec_b64 s[22:23], vcc
; %bb.42:
	v_lshl_add_u32 v45, v45, 2, -4
	ds_read_b32 v46, v45
; %bb.43:
	s_or_b64 exec, exec, s[22:23]
	v_subrev_co_u32_e32 v45, vcc, 1, v21
	v_and_b32_e32 v47, 64, v21
	v_cmp_lt_i32_e64 s[22:23], v45, v47
	s_waitcnt lgkmcnt(0)
	v_add_u32_e32 v44, v46, v44
	s_movk_i32 s24, 0x100
	v_cndmask_b32_e64 v21, v45, v21, s[22:23]
	v_lshlrev_b32_e32 v21, 2, v21
	ds_bpermute_b32 v21, v21, v44
	s_movk_i32 s22, 0xff
	v_cmp_lt_u32_e64 s[22:23], s22, v8
	s_waitcnt lgkmcnt(0)
	v_cndmask_b32_e32 v21, v21, v46, vcc
	v_cndmask_b32_e64 v21, v21, 0, s[20:21]
	v_add_u32_e32 v2, v21, v2
	v_add_u32_e32 v3, v2, v3
	;; [unrolled: 1-line block ×4, first 2 shown]
	ds_write2_b32 v22, v21, v2 offset0:16 offset1:17
	ds_write2_b32 v22, v3, v0 offset0:18 offset1:19
	ds_write_b32 v22, v1 offset:80
	s_waitcnt lgkmcnt(0)
	s_barrier
	ds_read_b32 v44, v26 offset:64
	ds_read_b32 v45, v28 offset:64
	;; [unrolled: 1-line block ×8, first 2 shown]
	v_cmp_gt_u32_e32 vcc, s24, v8
                                        ; implicit-def: $vgpr6
                                        ; implicit-def: $vgpr7
	s_and_saveexec_b64 s[26:27], vcc
	s_cbranch_execz .LBB315_47
; %bb.44:
	v_mul_u32_u24_e32 v0, 0x44, v8
	ds_read_b32 v6, v0 offset:64
	v_add_u32_e32 v1, 1, v8
	v_cmp_ne_u32_e64 s[24:25], s24, v1
	v_mov_b32_e32 v0, 0x2000
	s_and_saveexec_b64 s[30:31], s[24:25]
; %bb.45:
	v_mul_u32_u24_e32 v0, 0x44, v1
	ds_read_b32 v0, v0 offset:64
; %bb.46:
	s_or_b64 exec, exec, s[30:31]
	s_waitcnt lgkmcnt(0)
	v_sub_u32_e32 v7, v0, v6
.LBB315_47:
	s_or_b64 exec, exec, s[26:27]
	v_mov_b32_e32 v1, 0
	v_lshlrev_b32_e32 v21, 2, v8
	s_waitcnt lgkmcnt(0)
	s_barrier
	s_and_saveexec_b64 s[24:25], vcc
	s_cbranch_execz .LBB315_57
; %bb.48:
	v_lshl_add_u32 v0, s33, 8, v8
	v_lshl_add_u64 v[2:3], v[0:1], 2, s[38:39]
	v_or_b32_e32 v0, 2.0, v7
	s_mov_b64 s[26:27], 0
	s_brev_b32 s36, -4
	s_mov_b32 s37, s33
	v_mov_b32_e32 v47, 0
	global_store_dword v[2:3], v0, off sc1
                                        ; implicit-def: $sgpr30_sgpr31
	s_branch .LBB315_51
.LBB315_49:                             ;   in Loop: Header=BB315_51 Depth=1
	s_or_b64 exec, exec, s[34:35]
.LBB315_50:                             ;   in Loop: Header=BB315_51 Depth=1
	s_or_b64 exec, exec, s[30:31]
	v_and_b32_e32 v4, 0x3fffffff, v0
	v_add_u32_e32 v47, v4, v47
	v_cmp_gt_i32_e64 s[30:31], -2.0, v0
	s_and_b64 s[34:35], exec, s[30:31]
	s_or_b64 s[26:27], s[34:35], s[26:27]
	s_andn2_b64 exec, exec, s[26:27]
	s_cbranch_execz .LBB315_56
.LBB315_51:                             ; =>This Loop Header: Depth=1
                                        ;     Child Loop BB315_54 Depth 2
	s_or_b64 s[30:31], s[30:31], exec
	s_cmp_eq_u32 s37, 0
	s_cbranch_scc1 .LBB315_55
; %bb.52:                               ;   in Loop: Header=BB315_51 Depth=1
	s_add_i32 s37, s37, -1
	v_lshl_or_b32 v0, s37, 8, v8
	v_lshl_add_u64 v[4:5], v[0:1], 2, s[38:39]
	global_load_dword v0, v[4:5], off sc1
	s_waitcnt vmcnt(0)
	v_cmp_gt_u32_e32 vcc, 2.0, v0
	s_and_saveexec_b64 s[30:31], vcc
	s_cbranch_execz .LBB315_50
; %bb.53:                               ;   in Loop: Header=BB315_51 Depth=1
	s_mov_b64 s[34:35], 0
.LBB315_54:                             ;   Parent Loop BB315_51 Depth=1
                                        ; =>  This Inner Loop Header: Depth=2
	global_load_dword v0, v[4:5], off sc1
	s_waitcnt vmcnt(0)
	v_cmp_lt_u32_e32 vcc, s36, v0
	s_or_b64 s[34:35], vcc, s[34:35]
	s_andn2_b64 exec, exec, s[34:35]
	s_cbranch_execnz .LBB315_54
	s_branch .LBB315_49
.LBB315_55:                             ;   in Loop: Header=BB315_51 Depth=1
                                        ; implicit-def: $sgpr37
	s_and_b64 s[34:35], exec, s[30:31]
	s_or_b64 s[26:27], s[34:35], s[26:27]
	s_andn2_b64 exec, exec, s[26:27]
	s_cbranch_execnz .LBB315_51
.LBB315_56:
	s_or_b64 exec, exec, s[26:27]
	v_add_u32_e32 v0, v47, v7
	v_or_b32_e32 v0, 0x80000000, v0
	global_store_dword v[2:3], v0, off sc1
	global_load_dword v0, v21, s[48:49]
	v_sub_u32_e32 v1, v47, v6
	s_waitcnt vmcnt(0)
	v_add_u32_e32 v0, v1, v0
	ds_write_b32 v21, v0
.LBB315_57:
	s_or_b64 exec, exec, s[24:25]
	s_load_dwordx2 s[24:25], s[0:1], 0x4
	v_add_u32_e32 v2, v44, v23
	v_add3_u32 v3, v24, v17, v45
	v_add3_u32 v4, v29, v25, v46
	;; [unrolled: 1-line block ×3, first 2 shown]
	s_waitcnt lgkmcnt(0)
	s_lshr_b32 s0, s24, 16
	s_mul_i32 s0, s0, s25
	v_mul_lo_u32 v0, s0, v8
	v_mad_u32_u24 v0, v9, s25, v0
	v_add_lshl_u32 v0, v0, v18, 5
	v_add3_u32 v17, v38, v35, v22
	v_add3_u32 v22, v40, v39, v26
	;; [unrolled: 1-line block ×4, first 2 shown]
	v_add_u32_e32 v37, 0x5050, v0
	v_add_u32_e32 v25, 0x5060, v0
	v_lshlrev_b32_e32 v26, 2, v24
	v_lshlrev_b32_e32 v28, 2, v23
	;; [unrolled: 1-line block ×8, first 2 shown]
	s_mov_b64 s[0:1], -1
	s_mov_b32 s26, 0
	s_brev_b32 s27, -2
	v_mov_b32_e32 v1, 0
	s_movk_i32 s30, 0x400
	s_movk_i32 s31, 0x800
	;; [unrolled: 1-line block ×3, first 2 shown]
	v_bfrev_b32_e32 v38, 1
	v_mov_b32_e32 v39, v2
	v_mov_b32_e32 v40, v3
	;; [unrolled: 1-line block ×10, first 2 shown]
	s_branch .LBB315_59
.LBB315_58:                             ;   in Loop: Header=BB315_59 Depth=1
	s_or_b64 exec, exec, s[24:25]
	s_xor_b64 s[24:25], s[0:1], -1
	v_add_u32_e32 v47, 0x1000, v47
	s_addk_i32 s26, 0xc000
	s_mov_b64 s[0:1], 0
	s_and_b64 vcc, exec, s[24:25]
	v_mov_b32_e32 v48, v25
	s_waitcnt lgkmcnt(0)
	s_barrier
	s_cbranch_vccnz .LBB315_83
.LBB315_59:                             ; =>This Inner Loop Header: Depth=1
	v_subrev_co_u32_e32 v39, vcc, 0x1000, v39
	s_and_saveexec_b64 s[24:25], vcc
	s_cbranch_execz .LBB315_67
; %bb.60:                               ;   in Loop: Header=BB315_59 Depth=1
	v_add_u32_e32 v0, s26, v35
	ds_write_b32 v0, v11 offset:1024
	s_or_b64 exec, exec, s[24:25]
	v_subrev_co_u32_e32 v40, vcc, 0x1000, v40
	s_and_saveexec_b64 s[24:25], vcc
	s_cbranch_execnz .LBB315_68
.LBB315_61:                             ;   in Loop: Header=BB315_59 Depth=1
	s_or_b64 exec, exec, s[24:25]
	v_subrev_co_u32_e32 v41, vcc, 0x1000, v41
	s_and_saveexec_b64 s[24:25], vcc
	s_cbranch_execz .LBB315_69
.LBB315_62:                             ;   in Loop: Header=BB315_59 Depth=1
	v_add_u32_e32 v0, s26, v33
	ds_write_b32 v0, v16 offset:1024
	s_or_b64 exec, exec, s[24:25]
	v_subrev_co_u32_e32 v42, vcc, 0x1000, v42
	s_and_saveexec_b64 s[24:25], vcc
	s_cbranch_execnz .LBB315_70
.LBB315_63:                             ;   in Loop: Header=BB315_59 Depth=1
	s_or_b64 exec, exec, s[24:25]
	v_subrev_co_u32_e32 v43, vcc, 0x1000, v43
	s_and_saveexec_b64 s[24:25], vcc
	s_cbranch_execz .LBB315_71
.LBB315_64:                             ;   in Loop: Header=BB315_59 Depth=1
	v_add_u32_e32 v0, s26, v30
	ds_write_b32 v0, v15 offset:1024
	s_or_b64 exec, exec, s[24:25]
	v_subrev_co_u32_e32 v44, vcc, 0x1000, v44
	s_and_saveexec_b64 s[24:25], vcc
	s_cbranch_execnz .LBB315_72
.LBB315_65:                             ;   in Loop: Header=BB315_59 Depth=1
	s_or_b64 exec, exec, s[24:25]
	v_subrev_co_u32_e32 v45, vcc, 0x1000, v45
	s_and_saveexec_b64 s[24:25], vcc
	s_cbranch_execz .LBB315_73
.LBB315_66:                             ;   in Loop: Header=BB315_59 Depth=1
	v_add_u32_e32 v0, s26, v28
	ds_write_b32 v0, v31 offset:1024
	s_or_b64 exec, exec, s[24:25]
	v_subrev_co_u32_e32 v46, vcc, 0x1000, v46
	s_and_saveexec_b64 s[24:25], vcc
	s_cbranch_execnz .LBB315_74
	s_branch .LBB315_75
.LBB315_67:                             ;   in Loop: Header=BB315_59 Depth=1
	s_or_b64 exec, exec, s[24:25]
	v_subrev_co_u32_e32 v40, vcc, 0x1000, v40
	s_and_saveexec_b64 s[24:25], vcc
	s_cbranch_execz .LBB315_61
.LBB315_68:                             ;   in Loop: Header=BB315_59 Depth=1
	v_add_u32_e32 v0, s26, v34
	ds_write_b32 v0, v13 offset:1024
	s_or_b64 exec, exec, s[24:25]
	v_subrev_co_u32_e32 v41, vcc, 0x1000, v41
	s_and_saveexec_b64 s[24:25], vcc
	s_cbranch_execnz .LBB315_62
.LBB315_69:                             ;   in Loop: Header=BB315_59 Depth=1
	s_or_b64 exec, exec, s[24:25]
	v_subrev_co_u32_e32 v42, vcc, 0x1000, v42
	s_and_saveexec_b64 s[24:25], vcc
	s_cbranch_execz .LBB315_63
.LBB315_70:                             ;   in Loop: Header=BB315_59 Depth=1
	v_add_u32_e32 v0, s26, v32
	ds_write_b32 v0, v14 offset:1024
	s_or_b64 exec, exec, s[24:25]
	v_subrev_co_u32_e32 v43, vcc, 0x1000, v43
	s_and_saveexec_b64 s[24:25], vcc
	s_cbranch_execnz .LBB315_64
.LBB315_71:                             ;   in Loop: Header=BB315_59 Depth=1
	s_or_b64 exec, exec, s[24:25]
	v_subrev_co_u32_e32 v44, vcc, 0x1000, v44
	s_and_saveexec_b64 s[24:25], vcc
	s_cbranch_execz .LBB315_65
.LBB315_72:                             ;   in Loop: Header=BB315_59 Depth=1
	v_add_u32_e32 v0, s26, v29
	ds_write_b32 v0, v27 offset:1024
	s_or_b64 exec, exec, s[24:25]
	v_subrev_co_u32_e32 v45, vcc, 0x1000, v45
	s_and_saveexec_b64 s[24:25], vcc
	s_cbranch_execnz .LBB315_66
.LBB315_73:                             ;   in Loop: Header=BB315_59 Depth=1
	s_or_b64 exec, exec, s[24:25]
	v_subrev_co_u32_e32 v46, vcc, 0x1000, v46
	s_and_saveexec_b64 s[24:25], vcc
.LBB315_74:                             ;   in Loop: Header=BB315_59 Depth=1
	v_add_u32_e32 v0, s26, v26
	ds_write_b32 v0, v36 offset:1024
.LBB315_75:                             ;   in Loop: Header=BB315_59 Depth=1
	s_or_b64 exec, exec, s[24:25]
	v_cmp_gt_u32_e32 vcc, s5, v47
	s_waitcnt lgkmcnt(0)
	s_barrier
	s_and_saveexec_b64 s[24:25], vcc
	s_cbranch_execz .LBB315_77
; %bb.76:                               ;   in Loop: Header=BB315_59 Depth=1
	ds_read_b32 v0, v21 offset:1024
	s_waitcnt lgkmcnt(0)
	v_cmp_ne_u32_e32 vcc, s27, v0
	s_nop 1
	v_cndmask_b32_e32 v49, v38, v0, vcc
	v_lshrrev_b32_e32 v49, s52, v49
	v_and_b32_e32 v49, s57, v49
	v_lshlrev_b32_e32 v50, 2, v49
	ds_read_b32 v50, v50
	v_cmp_lt_i32_e32 vcc, -1, v0
	ds_write_b32 v48, v49
	s_nop 0
	v_cndmask_b32_e64 v51, v38, -1, vcc
	v_xor_b32_e32 v52, v51, v0
	s_waitcnt lgkmcnt(1)
	v_add_u32_e32 v0, v47, v50
	v_lshl_add_u64 v[50:51], v[0:1], 2, s[42:43]
	global_store_dword v[50:51], v52, off
.LBB315_77:                             ;   in Loop: Header=BB315_59 Depth=1
	s_or_b64 exec, exec, s[24:25]
	v_add_u32_e32 v0, 0x400, v47
	v_cmp_gt_u32_e32 vcc, s5, v0
	s_and_saveexec_b64 s[24:25], vcc
	s_cbranch_execz .LBB315_79
; %bb.78:                               ;   in Loop: Header=BB315_59 Depth=1
	ds_read_b32 v0, v21 offset:5120
	s_waitcnt lgkmcnt(0)
	v_cmp_ne_u32_e32 vcc, s27, v0
	s_nop 1
	v_cndmask_b32_e32 v49, v38, v0, vcc
	v_lshrrev_b32_e32 v49, s52, v49
	v_and_b32_e32 v49, s57, v49
	v_lshlrev_b32_e32 v50, 2, v49
	ds_read_b32 v50, v50
	v_cmp_lt_i32_e32 vcc, -1, v0
	ds_write_b32 v48, v49 offset:4
	s_nop 0
	v_cndmask_b32_e64 v51, v38, -1, vcc
	v_xor_b32_e32 v52, v51, v0
	s_waitcnt lgkmcnt(1)
	v_add3_u32 v0, v47, v50, s30
	v_lshl_add_u64 v[50:51], v[0:1], 2, s[42:43]
	global_store_dword v[50:51], v52, off
.LBB315_79:                             ;   in Loop: Header=BB315_59 Depth=1
	s_or_b64 exec, exec, s[24:25]
	v_add_u32_e32 v0, 0x800, v47
	v_cmp_gt_u32_e32 vcc, s5, v0
	s_and_saveexec_b64 s[24:25], vcc
	s_cbranch_execz .LBB315_81
; %bb.80:                               ;   in Loop: Header=BB315_59 Depth=1
	ds_read_b32 v0, v21 offset:9216
	s_waitcnt lgkmcnt(0)
	v_cmp_ne_u32_e32 vcc, s27, v0
	s_nop 1
	v_cndmask_b32_e32 v49, v38, v0, vcc
	v_lshrrev_b32_e32 v49, s52, v49
	v_and_b32_e32 v49, s57, v49
	v_lshlrev_b32_e32 v50, 2, v49
	ds_read_b32 v50, v50
	v_cmp_lt_i32_e32 vcc, -1, v0
	ds_write_b32 v48, v49 offset:8
	s_nop 0
	v_cndmask_b32_e64 v51, v38, -1, vcc
	v_xor_b32_e32 v52, v51, v0
	s_waitcnt lgkmcnt(1)
	v_add3_u32 v0, v47, v50, s31
	v_lshl_add_u64 v[50:51], v[0:1], 2, s[42:43]
	global_store_dword v[50:51], v52, off
.LBB315_81:                             ;   in Loop: Header=BB315_59 Depth=1
	s_or_b64 exec, exec, s[24:25]
	v_add_u32_e32 v0, 0xc00, v47
	v_cmp_gt_u32_e32 vcc, s5, v0
	s_and_saveexec_b64 s[24:25], vcc
	s_cbranch_execz .LBB315_58
; %bb.82:                               ;   in Loop: Header=BB315_59 Depth=1
	ds_read_b32 v0, v21 offset:13312
	s_waitcnt lgkmcnt(0)
	v_cmp_ne_u32_e32 vcc, s27, v0
	s_nop 1
	v_cndmask_b32_e32 v49, v38, v0, vcc
	v_lshrrev_b32_e32 v49, s52, v49
	v_and_b32_e32 v49, s57, v49
	v_lshlrev_b32_e32 v50, 2, v49
	ds_read_b32 v50, v50
	v_cmp_lt_i32_e32 vcc, -1, v0
	ds_write_b32 v48, v49 offset:12
	s_nop 0
	v_cndmask_b32_e64 v51, v38, -1, vcc
	v_xor_b32_e32 v52, v51, v0
	s_waitcnt lgkmcnt(1)
	v_add3_u32 v0, v47, v50, s34
	v_lshl_add_u64 v[50:51], v[0:1], 2, s[42:43]
	global_store_dword v[50:51], v52, off
	s_branch .LBB315_58
.LBB315_83:
	s_add_u32 s0, s44, s54
	s_addc_u32 s1, s45, s55
	v_mov_b32_e32 v11, 0
	v_lshl_add_u64 v[0:1], s[0:1], 0, v[10:11]
	v_mov_b32_e32 v13, v11
	v_lshl_add_u64 v[0:1], v[0:1], 0, v[12:13]
                                        ; implicit-def: $vgpr10
	s_and_saveexec_b64 s[0:1], s[28:29]
	s_cbranch_execz .LBB315_91
; %bb.84:
	global_load_dword v10, v[0:1], off
	s_or_b64 exec, exec, s[0:1]
                                        ; implicit-def: $vgpr11
	s_and_saveexec_b64 s[0:1], s[6:7]
	s_cbranch_execnz .LBB315_92
.LBB315_85:
	s_or_b64 exec, exec, s[0:1]
                                        ; implicit-def: $vgpr12
	s_and_saveexec_b64 s[0:1], s[8:9]
	s_cbranch_execz .LBB315_93
.LBB315_86:
	global_load_dword v12, v[0:1], off offset:512
	s_or_b64 exec, exec, s[0:1]
                                        ; implicit-def: $vgpr13
	s_and_saveexec_b64 s[0:1], s[10:11]
	s_cbranch_execnz .LBB315_94
.LBB315_87:
	s_or_b64 exec, exec, s[0:1]
                                        ; implicit-def: $vgpr14
	s_and_saveexec_b64 s[0:1], s[12:13]
	s_cbranch_execz .LBB315_95
.LBB315_88:
	global_load_dword v14, v[0:1], off offset:1024
	s_or_b64 exec, exec, s[0:1]
                                        ; implicit-def: $vgpr15
	s_and_saveexec_b64 s[0:1], s[14:15]
	s_cbranch_execnz .LBB315_96
.LBB315_89:
	s_or_b64 exec, exec, s[0:1]
                                        ; implicit-def: $vgpr16
	s_and_saveexec_b64 s[0:1], s[16:17]
	s_cbranch_execz .LBB315_97
.LBB315_90:
	global_load_dword v16, v[0:1], off offset:1536
	s_or_b64 exec, exec, s[0:1]
                                        ; implicit-def: $vgpr27
	s_and_saveexec_b64 s[0:1], s[18:19]
	s_cbranch_execnz .LBB315_98
	s_branch .LBB315_99
.LBB315_91:
	s_or_b64 exec, exec, s[0:1]
                                        ; implicit-def: $vgpr11
	s_and_saveexec_b64 s[0:1], s[6:7]
	s_cbranch_execz .LBB315_85
.LBB315_92:
	global_load_dword v11, v[0:1], off offset:256
	s_or_b64 exec, exec, s[0:1]
                                        ; implicit-def: $vgpr12
	s_and_saveexec_b64 s[0:1], s[8:9]
	s_cbranch_execnz .LBB315_86
.LBB315_93:
	s_or_b64 exec, exec, s[0:1]
                                        ; implicit-def: $vgpr13
	s_and_saveexec_b64 s[0:1], s[10:11]
	s_cbranch_execz .LBB315_87
.LBB315_94:
	global_load_dword v13, v[0:1], off offset:768
	s_or_b64 exec, exec, s[0:1]
                                        ; implicit-def: $vgpr14
	s_and_saveexec_b64 s[0:1], s[12:13]
	s_cbranch_execnz .LBB315_88
.LBB315_95:
	s_or_b64 exec, exec, s[0:1]
                                        ; implicit-def: $vgpr15
	s_and_saveexec_b64 s[0:1], s[14:15]
	s_cbranch_execz .LBB315_89
.LBB315_96:
	global_load_dword v15, v[0:1], off offset:1280
	s_or_b64 exec, exec, s[0:1]
                                        ; implicit-def: $vgpr16
	s_and_saveexec_b64 s[0:1], s[16:17]
	s_cbranch_execnz .LBB315_90
.LBB315_97:
	s_or_b64 exec, exec, s[0:1]
                                        ; implicit-def: $vgpr27
	s_and_saveexec_b64 s[0:1], s[18:19]
	s_cbranch_execz .LBB315_99
.LBB315_98:
	global_load_dword v27, v[0:1], off offset:1792
.LBB315_99:
	s_or_b64 exec, exec, s[0:1]
	s_mov_b64 s[0:1], -1
	s_mov_b32 s8, 0
	v_mov_b32_e32 v1, 0
	s_movk_i32 s9, 0x400
	s_movk_i32 s10, 0x800
	;; [unrolled: 1-line block ×3, first 2 shown]
	v_mov_b32_e32 v31, v8
	s_waitcnt vmcnt(0)
	s_branch .LBB315_101
.LBB315_100:                            ;   in Loop: Header=BB315_101 Depth=1
	s_or_b64 exec, exec, s[6:7]
	s_xor_b64 s[6:7], s[0:1], -1
	v_add_u32_e32 v31, 0x1000, v31
	s_addk_i32 s8, 0xc000
	s_mov_b64 s[0:1], 0
	s_and_b64 vcc, exec, s[6:7]
	v_mov_b32_e32 v37, v25
	s_barrier
	s_cbranch_vccnz .LBB315_125
.LBB315_101:                            ; =>This Inner Loop Header: Depth=1
	v_subrev_co_u32_e32 v2, vcc, 0x1000, v2
	s_and_saveexec_b64 s[6:7], vcc
	s_cbranch_execz .LBB315_109
; %bb.102:                              ;   in Loop: Header=BB315_101 Depth=1
	v_add_u32_e32 v0, s8, v35
	ds_write_b32 v0, v10 offset:1024
	s_or_b64 exec, exec, s[6:7]
	v_subrev_co_u32_e32 v3, vcc, 0x1000, v3
	s_and_saveexec_b64 s[6:7], vcc
	s_cbranch_execnz .LBB315_110
.LBB315_103:                            ;   in Loop: Header=BB315_101 Depth=1
	s_or_b64 exec, exec, s[6:7]
	v_subrev_co_u32_e32 v4, vcc, 0x1000, v4
	s_and_saveexec_b64 s[6:7], vcc
	s_cbranch_execz .LBB315_111
.LBB315_104:                            ;   in Loop: Header=BB315_101 Depth=1
	v_add_u32_e32 v0, s8, v33
	ds_write_b32 v0, v12 offset:1024
	s_or_b64 exec, exec, s[6:7]
	v_subrev_co_u32_e32 v5, vcc, 0x1000, v5
	s_and_saveexec_b64 s[6:7], vcc
	s_cbranch_execnz .LBB315_112
.LBB315_105:                            ;   in Loop: Header=BB315_101 Depth=1
	s_or_b64 exec, exec, s[6:7]
	v_subrev_co_u32_e32 v17, vcc, 0x1000, v17
	s_and_saveexec_b64 s[6:7], vcc
	s_cbranch_execz .LBB315_113
.LBB315_106:                            ;   in Loop: Header=BB315_101 Depth=1
	v_add_u32_e32 v0, s8, v30
	ds_write_b32 v0, v14 offset:1024
	s_or_b64 exec, exec, s[6:7]
	v_subrev_co_u32_e32 v22, vcc, 0x1000, v22
	s_and_saveexec_b64 s[6:7], vcc
	s_cbranch_execnz .LBB315_114
.LBB315_107:                            ;   in Loop: Header=BB315_101 Depth=1
	s_or_b64 exec, exec, s[6:7]
	v_subrev_co_u32_e32 v23, vcc, 0x1000, v23
	s_and_saveexec_b64 s[6:7], vcc
	s_cbranch_execz .LBB315_115
.LBB315_108:                            ;   in Loop: Header=BB315_101 Depth=1
	v_add_u32_e32 v0, s8, v28
	ds_write_b32 v0, v16 offset:1024
	s_or_b64 exec, exec, s[6:7]
	v_subrev_co_u32_e32 v24, vcc, 0x1000, v24
	s_and_saveexec_b64 s[6:7], vcc
	s_cbranch_execnz .LBB315_116
	s_branch .LBB315_117
.LBB315_109:                            ;   in Loop: Header=BB315_101 Depth=1
	s_or_b64 exec, exec, s[6:7]
	v_subrev_co_u32_e32 v3, vcc, 0x1000, v3
	s_and_saveexec_b64 s[6:7], vcc
	s_cbranch_execz .LBB315_103
.LBB315_110:                            ;   in Loop: Header=BB315_101 Depth=1
	v_add_u32_e32 v0, s8, v34
	ds_write_b32 v0, v11 offset:1024
	s_or_b64 exec, exec, s[6:7]
	v_subrev_co_u32_e32 v4, vcc, 0x1000, v4
	s_and_saveexec_b64 s[6:7], vcc
	s_cbranch_execnz .LBB315_104
.LBB315_111:                            ;   in Loop: Header=BB315_101 Depth=1
	s_or_b64 exec, exec, s[6:7]
	v_subrev_co_u32_e32 v5, vcc, 0x1000, v5
	s_and_saveexec_b64 s[6:7], vcc
	s_cbranch_execz .LBB315_105
.LBB315_112:                            ;   in Loop: Header=BB315_101 Depth=1
	v_add_u32_e32 v0, s8, v32
	ds_write_b32 v0, v13 offset:1024
	s_or_b64 exec, exec, s[6:7]
	v_subrev_co_u32_e32 v17, vcc, 0x1000, v17
	s_and_saveexec_b64 s[6:7], vcc
	s_cbranch_execnz .LBB315_106
.LBB315_113:                            ;   in Loop: Header=BB315_101 Depth=1
	s_or_b64 exec, exec, s[6:7]
	v_subrev_co_u32_e32 v22, vcc, 0x1000, v22
	s_and_saveexec_b64 s[6:7], vcc
	s_cbranch_execz .LBB315_107
.LBB315_114:                            ;   in Loop: Header=BB315_101 Depth=1
	v_add_u32_e32 v0, s8, v29
	ds_write_b32 v0, v15 offset:1024
	s_or_b64 exec, exec, s[6:7]
	v_subrev_co_u32_e32 v23, vcc, 0x1000, v23
	s_and_saveexec_b64 s[6:7], vcc
	s_cbranch_execnz .LBB315_108
.LBB315_115:                            ;   in Loop: Header=BB315_101 Depth=1
	s_or_b64 exec, exec, s[6:7]
	v_subrev_co_u32_e32 v24, vcc, 0x1000, v24
	s_and_saveexec_b64 s[6:7], vcc
.LBB315_116:                            ;   in Loop: Header=BB315_101 Depth=1
	v_add_u32_e32 v0, s8, v26
	ds_write_b32 v0, v27 offset:1024
.LBB315_117:                            ;   in Loop: Header=BB315_101 Depth=1
	s_or_b64 exec, exec, s[6:7]
	v_cmp_gt_u32_e32 vcc, s5, v31
	s_waitcnt lgkmcnt(0)
	s_barrier
	s_and_saveexec_b64 s[6:7], vcc
	s_cbranch_execz .LBB315_119
; %bb.118:                              ;   in Loop: Header=BB315_101 Depth=1
	ds_read_b32 v0, v37
	s_waitcnt lgkmcnt(0)
	v_lshlrev_b32_e32 v0, 2, v0
	ds_read_b32 v0, v0
	ds_read_b32 v36, v21 offset:1024
	s_waitcnt lgkmcnt(1)
	v_add_u32_e32 v0, v31, v0
	v_lshl_add_u64 v[38:39], v[0:1], 2, s[46:47]
	s_waitcnt lgkmcnt(0)
	global_store_dword v[38:39], v36, off
.LBB315_119:                            ;   in Loop: Header=BB315_101 Depth=1
	s_or_b64 exec, exec, s[6:7]
	v_add_u32_e32 v0, 0x400, v31
	v_cmp_gt_u32_e32 vcc, s5, v0
	s_and_saveexec_b64 s[6:7], vcc
	s_cbranch_execz .LBB315_121
; %bb.120:                              ;   in Loop: Header=BB315_101 Depth=1
	ds_read_b32 v0, v37 offset:4
	s_waitcnt lgkmcnt(0)
	v_lshlrev_b32_e32 v0, 2, v0
	ds_read_b32 v0, v0
	ds_read_b32 v36, v21 offset:5120
	s_waitcnt lgkmcnt(1)
	v_add3_u32 v0, v31, v0, s9
	v_lshl_add_u64 v[38:39], v[0:1], 2, s[46:47]
	s_waitcnt lgkmcnt(0)
	global_store_dword v[38:39], v36, off
.LBB315_121:                            ;   in Loop: Header=BB315_101 Depth=1
	s_or_b64 exec, exec, s[6:7]
	v_add_u32_e32 v0, 0x800, v31
	v_cmp_gt_u32_e32 vcc, s5, v0
	s_and_saveexec_b64 s[6:7], vcc
	s_cbranch_execz .LBB315_123
; %bb.122:                              ;   in Loop: Header=BB315_101 Depth=1
	ds_read_b32 v0, v37 offset:8
	s_waitcnt lgkmcnt(0)
	v_lshlrev_b32_e32 v0, 2, v0
	ds_read_b32 v0, v0
	ds_read_b32 v36, v21 offset:9216
	s_waitcnt lgkmcnt(1)
	v_add3_u32 v0, v31, v0, s10
	v_lshl_add_u64 v[38:39], v[0:1], 2, s[46:47]
	s_waitcnt lgkmcnt(0)
	global_store_dword v[38:39], v36, off
.LBB315_123:                            ;   in Loop: Header=BB315_101 Depth=1
	s_or_b64 exec, exec, s[6:7]
	v_add_u32_e32 v0, 0xc00, v31
	v_cmp_gt_u32_e32 vcc, s5, v0
	s_and_saveexec_b64 s[6:7], vcc
	s_cbranch_execz .LBB315_100
; %bb.124:                              ;   in Loop: Header=BB315_101 Depth=1
	ds_read_b32 v0, v37 offset:12
	s_waitcnt lgkmcnt(0)
	v_lshlrev_b32_e32 v0, 2, v0
	ds_read_b32 v0, v0
	ds_read_b32 v38, v21 offset:13312
	s_waitcnt lgkmcnt(1)
	v_add3_u32 v0, v31, v0, s11
	v_lshl_add_u64 v[36:37], v[0:1], 2, s[46:47]
	s_waitcnt lgkmcnt(0)
	global_store_dword v[36:37], v38, off
	s_branch .LBB315_100
.LBB315_125:
	s_add_i32 s56, s56, -1
	s_cmp_eq_u32 s33, s56
	s_cselect_b64 s[0:1], -1, 0
	s_xor_b64 s[6:7], s[22:23], -1
	s_and_b64 s[6:7], s[6:7], s[0:1]
	s_and_saveexec_b64 s[0:1], s[6:7]
	s_cbranch_execz .LBB315_127
; %bb.126:
	ds_read_b32 v0, v21
	s_waitcnt lgkmcnt(0)
	v_add3_u32 v0, v6, v7, v0
	global_store_dword v21, v0, s[50:51]
.LBB315_127:
	s_or_b64 exec, exec, s[0:1]
	s_mov_b64 s[6:7], 0
.LBB315_128:
	s_and_b64 vcc, exec, s[6:7]
	s_cbranch_vccz .LBB315_203
; %bb.129:
	s_lshl_b32 s0, s33, 13
	s_mov_b32 s1, 0
	s_lshl_b64 s[8:9], s[0:1], 2
	v_mbcnt_hi_u32_b32 v10, -1, v20
	s_add_u32 s0, s40, s8
	v_and_b32_e32 v0, 63, v10
	v_mov_b32_e32 v5, 0
	s_addc_u32 s1, s41, s9
	v_lshlrev_b32_e32 v0, 2, v0
	v_mov_b32_e32 v1, v5
	v_lshl_add_u64 v[6:7], s[0:1], 0, v[0:1]
	s_load_dword s12, s[2:3], 0x58
	s_load_dword s0, s[2:3], 0x64
	v_and_b32_e32 v2, 0x1e00, v19
	v_lshlrev_b32_e32 v2, 2, v2
	v_mov_b32_e32 v3, v5
	v_lshl_add_u64 v[6:7], v[6:7], 0, v[2:3]
	global_load_dword v1, v[6:7], off
	s_add_u32 s1, s2, 0x58
	s_addc_u32 s2, s3, 0
	s_waitcnt lgkmcnt(0)
	s_lshr_b32 s3, s0, 16
	s_cmp_lt_u32 s4, s12
	s_cselect_b32 s0, 12, 18
	s_add_u32 s0, s1, s0
	s_addc_u32 s1, s2, 0
	global_load_ushort v4, v5, s[0:1]
	v_mul_u32_u24_e32 v11, 20, v8
	ds_write2_b32 v11, v5, v5 offset0:16 offset1:17
	ds_write2_b32 v11, v5, v5 offset0:18 offset1:19
	ds_write_b32 v11, v5 offset:80
	global_load_dword v3, v[6:7], off offset:256
	global_load_dword v20, v[6:7], off offset:512
	;; [unrolled: 1-line block ×7, first 2 shown]
	v_bfrev_b32_e32 v13, 1
	s_brev_b32 s10, -2
	v_mad_u32_u24 v6, v18, s3, v9
	s_lshl_b32 s2, -1, s53
	s_movk_i32 s11, 0x44
	v_mov_b32_e32 v28, v5
	v_mov_b32_e32 v30, v5
	v_mov_b32_e32 v32, v5
	s_not_b32 s13, s2
	v_mov_b32_e32 v34, v5
	s_waitcnt lgkmcnt(0)
	s_barrier
	s_waitcnt vmcnt(8)
	; wave barrier
	v_cmp_lt_i32_e32 vcc, -1, v1
	s_nop 1
	v_cndmask_b32_e32 v7, -1, v13, vcc
	v_xor_b32_e32 v1, v7, v1
	v_cmp_ne_u32_e32 vcc, s10, v1
	s_nop 1
	v_cndmask_b32_e32 v7, v13, v1, vcc
	v_lshrrev_b32_e32 v9, s52, v7
	s_waitcnt vmcnt(7)
	v_mad_u64_u32 v[6:7], s[0:1], v6, v4, v[8:9]
	v_bitop3_b32 v9, v9, s2, v9 bitop3:0x30
	v_lshrrev_b32_e32 v24, 6, v6
	v_mul_lo_u32 v6, v9, s11
	v_and_b32_e32 v4, 1, v9
	v_lshlrev_b32_e32 v29, 30, v9
	v_lshlrev_b32_e32 v31, 29, v9
	v_lshl_add_u32 v15, v24, 2, v6
	v_lshl_add_u64 v[6:7], v[4:5], 0, -1
	v_cmp_ne_u32_e32 vcc, 0, v4
	v_not_b32_e32 v4, v29
	v_lshlrev_b32_e32 v33, 28, v9
	v_cmp_gt_i64_e64 s[0:1], 0, v[28:29]
	v_not_b32_e32 v12, v31
	v_xor_b32_e32 v7, vcc_hi, v7
	v_xor_b32_e32 v6, vcc_lo, v6
	v_ashrrev_i32_e32 v4, 31, v4
	v_lshlrev_b32_e32 v35, 27, v9
	v_cmp_gt_i64_e64 s[2:3], 0, v[30:31]
	v_not_b32_e32 v16, v33
	v_ashrrev_i32_e32 v12, 31, v12
	v_and_b32_e32 v7, exec_hi, v7
	v_and_b32_e32 v6, exec_lo, v6
	v_xor_b32_e32 v19, s1, v4
	v_xor_b32_e32 v4, s0, v4
	v_cmp_gt_i64_e64 s[4:5], 0, v[32:33]
	v_not_b32_e32 v18, v35
	v_ashrrev_i32_e32 v16, 31, v16
	v_xor_b32_e32 v22, s3, v12
	v_xor_b32_e32 v12, s2, v12
	v_and_b32_e32 v7, v7, v19
	v_and_b32_e32 v4, v6, v4
	v_cmp_gt_i64_e64 s[6:7], 0, v[34:35]
	v_ashrrev_i32_e32 v18, 31, v18
	v_xor_b32_e32 v25, s5, v16
	v_xor_b32_e32 v16, s4, v16
	v_and_b32_e32 v6, v7, v22
	v_and_b32_e32 v4, v4, v12
	v_xor_b32_e32 v26, s7, v18
	v_and_b32_e32 v6, v6, v25
	v_and_b32_e32 v4, v4, v16
	;; [unrolled: 3-line block ×3, first 2 shown]
	v_lshlrev_b32_e32 v7, 26, v9
	v_mov_b32_e32 v6, v5
	v_cmp_gt_i64_e32 vcc, 0, v[6:7]
	v_not_b32_e32 v6, v7
	v_ashrrev_i32_e32 v6, 31, v6
	v_xor_b32_e32 v7, vcc_hi, v6
	v_xor_b32_e32 v6, vcc_lo, v6
	v_and_b32_e32 v12, v12, v7
	v_and_b32_e32 v4, v4, v6
	v_lshlrev_b32_e32 v7, 25, v9
	v_mov_b32_e32 v6, v5
	v_cmp_gt_i64_e32 vcc, 0, v[6:7]
	v_not_b32_e32 v6, v7
	v_ashrrev_i32_e32 v6, 31, v6
	v_xor_b32_e32 v7, vcc_hi, v6
	v_xor_b32_e32 v6, vcc_lo, v6
	v_and_b32_e32 v12, v12, v7
	v_and_b32_e32 v4, v4, v6
	;; [unrolled: 9-line block ×3, first 2 shown]
	v_mbcnt_lo_u32_b32 v4, v6, 0
	v_mbcnt_hi_u32_b32 v12, v7, v4
	v_cmp_eq_u32_e32 vcc, 0, v12
	v_cmp_ne_u64_e64 s[0:1], 0, v[6:7]
	s_and_b64 s[2:3], s[0:1], vcc
	s_and_saveexec_b64 s[0:1], s[2:3]
; %bb.130:
	v_bcnt_u32_b32 v4, v6, 0
	v_bcnt_u32_b32 v4, v7, v4
	ds_write_b32 v15, v4 offset:64
; %bb.131:
	s_or_b64 exec, exec, s[0:1]
	s_waitcnt vmcnt(6)
	v_cmp_lt_i32_e32 vcc, -1, v3
	; wave barrier
	s_nop 1
	v_cndmask_b32_e32 v4, -1, v13, vcc
	v_xor_b32_e32 v3, v4, v3
	v_cmp_ne_u32_e32 vcc, s10, v3
	s_nop 1
	v_cndmask_b32_e32 v4, v13, v3, vcc
	v_lshrrev_b32_e32 v4, s52, v4
	v_and_b32_e32 v9, s13, v4
	v_mul_lo_u32 v4, v9, s11
	v_lshl_add_u32 v19, v24, 2, v4
	v_and_b32_e32 v4, 1, v9
	v_lshl_add_u64 v[6:7], v[4:5], 0, -1
	v_cmp_ne_u32_e32 vcc, 0, v4
	ds_read_b32 v13, v19 offset:64
	s_nop 0
	v_xor_b32_e32 v6, vcc_lo, v6
	v_xor_b32_e32 v4, vcc_hi, v7
	v_and_b32_e32 v16, exec_lo, v6
	v_lshlrev_b32_e32 v7, 30, v9
	v_mov_b32_e32 v6, v5
	v_cmp_gt_i64_e32 vcc, 0, v[6:7]
	v_not_b32_e32 v6, v7
	v_ashrrev_i32_e32 v6, 31, v6
	v_and_b32_e32 v4, exec_hi, v4
	v_xor_b32_e32 v7, vcc_hi, v6
	v_xor_b32_e32 v6, vcc_lo, v6
	v_and_b32_e32 v4, v4, v7
	v_and_b32_e32 v16, v16, v6
	v_lshlrev_b32_e32 v7, 29, v9
	v_mov_b32_e32 v6, v5
	v_cmp_gt_i64_e32 vcc, 0, v[6:7]
	v_not_b32_e32 v6, v7
	v_ashrrev_i32_e32 v6, 31, v6
	v_xor_b32_e32 v7, vcc_hi, v6
	v_xor_b32_e32 v6, vcc_lo, v6
	v_and_b32_e32 v4, v4, v7
	v_and_b32_e32 v16, v16, v6
	v_lshlrev_b32_e32 v7, 28, v9
	v_mov_b32_e32 v6, v5
	v_cmp_gt_i64_e32 vcc, 0, v[6:7]
	v_not_b32_e32 v6, v7
	v_ashrrev_i32_e32 v6, 31, v6
	;; [unrolled: 9-line block ×5, first 2 shown]
	v_xor_b32_e32 v7, vcc_hi, v6
	v_xor_b32_e32 v6, vcc_lo, v6
	v_and_b32_e32 v4, v4, v7
	v_lshlrev_b32_e32 v7, 24, v9
	v_and_b32_e32 v16, v16, v6
	v_mov_b32_e32 v6, v5
	v_not_b32_e32 v5, v7
	v_cmp_gt_i64_e32 vcc, 0, v[6:7]
	v_ashrrev_i32_e32 v5, 31, v5
	; wave barrier
	s_nop 0
	v_xor_b32_e32 v6, vcc_hi, v5
	v_xor_b32_e32 v7, vcc_lo, v5
	v_and_b32_e32 v5, v4, v6
	v_and_b32_e32 v4, v16, v7
	v_mbcnt_lo_u32_b32 v6, v4, 0
	v_mbcnt_hi_u32_b32 v16, v5, v6
	v_cmp_eq_u32_e32 vcc, 0, v16
	v_cmp_ne_u64_e64 s[0:1], 0, v[4:5]
	s_and_b64 s[2:3], s[0:1], vcc
	s_and_saveexec_b64 s[0:1], s[2:3]
	s_cbranch_execz .LBB315_133
; %bb.132:
	v_bcnt_u32_b32 v4, v4, 0
	v_bcnt_u32_b32 v4, v5, v4
	s_waitcnt lgkmcnt(0)
	v_add_u32_e32 v4, v13, v4
	ds_write_b32 v19, v4 offset:64
.LBB315_133:
	s_or_b64 exec, exec, s[0:1]
	v_bfrev_b32_e32 v22, 1
	s_waitcnt vmcnt(5)
	v_cmp_lt_i32_e32 vcc, -1, v20
	s_brev_b32 s2, -2
	s_movk_i32 s3, 0x44
	v_cndmask_b32_e32 v4, -1, v22, vcc
	v_xor_b32_e32 v9, v4, v20
	v_cmp_ne_u32_e32 vcc, s2, v9
	v_mov_b32_e32 v5, 0
	s_nop 0
	v_cndmask_b32_e32 v4, v22, v9, vcc
	v_lshrrev_b32_e32 v4, s52, v4
	v_and_b32_e32 v20, s13, v4
	v_mul_lo_u32 v4, v20, s3
	v_lshl_add_u32 v25, v24, 2, v4
	v_and_b32_e32 v4, 1, v20
	v_lshl_add_u64 v[6:7], v[4:5], 0, -1
	v_cmp_ne_u32_e32 vcc, 0, v4
	; wave barrier
	ds_read_b32 v18, v25 offset:64
	s_nop 0
	v_xor_b32_e32 v6, vcc_lo, v6
	v_xor_b32_e32 v4, vcc_hi, v7
	v_and_b32_e32 v26, exec_lo, v6
	v_lshlrev_b32_e32 v7, 30, v20
	v_mov_b32_e32 v6, v5
	v_cmp_gt_i64_e32 vcc, 0, v[6:7]
	v_not_b32_e32 v6, v7
	v_ashrrev_i32_e32 v6, 31, v6
	v_and_b32_e32 v4, exec_hi, v4
	v_xor_b32_e32 v7, vcc_hi, v6
	v_xor_b32_e32 v6, vcc_lo, v6
	v_and_b32_e32 v4, v4, v7
	v_and_b32_e32 v26, v26, v6
	v_lshlrev_b32_e32 v7, 29, v20
	v_mov_b32_e32 v6, v5
	v_cmp_gt_i64_e32 vcc, 0, v[6:7]
	v_not_b32_e32 v6, v7
	v_ashrrev_i32_e32 v6, 31, v6
	v_xor_b32_e32 v7, vcc_hi, v6
	v_xor_b32_e32 v6, vcc_lo, v6
	v_and_b32_e32 v4, v4, v7
	v_and_b32_e32 v26, v26, v6
	v_lshlrev_b32_e32 v7, 28, v20
	v_mov_b32_e32 v6, v5
	v_cmp_gt_i64_e32 vcc, 0, v[6:7]
	v_not_b32_e32 v6, v7
	v_ashrrev_i32_e32 v6, 31, v6
	;; [unrolled: 9-line block ×6, first 2 shown]
	v_xor_b32_e32 v7, vcc_hi, v6
	v_xor_b32_e32 v6, vcc_lo, v6
	v_and_b32_e32 v6, v26, v6
	v_and_b32_e32 v7, v4, v7
	v_mbcnt_lo_u32_b32 v4, v6, 0
	v_mbcnt_hi_u32_b32 v20, v7, v4
	v_cmp_eq_u32_e32 vcc, 0, v20
	v_cmp_ne_u64_e64 s[0:1], 0, v[6:7]
	s_and_b64 s[4:5], s[0:1], vcc
	; wave barrier
	s_and_saveexec_b64 s[0:1], s[4:5]
	s_cbranch_execz .LBB315_135
; %bb.134:
	v_bcnt_u32_b32 v4, v6, 0
	v_bcnt_u32_b32 v4, v7, v4
	s_waitcnt lgkmcnt(0)
	v_add_u32_e32 v4, v18, v4
	ds_write_b32 v25, v4 offset:64
.LBB315_135:
	s_or_b64 exec, exec, s[0:1]
	s_waitcnt vmcnt(4)
	v_cmp_lt_i32_e32 vcc, -1, v14
	; wave barrier
	s_nop 1
	v_cndmask_b32_e32 v4, -1, v22, vcc
	v_xor_b32_e32 v14, v4, v14
	v_cmp_ne_u32_e32 vcc, s2, v14
	s_nop 1
	v_cndmask_b32_e32 v4, v22, v14, vcc
	v_lshrrev_b32_e32 v4, s52, v4
	v_and_b32_e32 v26, s13, v4
	v_mul_lo_u32 v4, v26, s3
	v_lshl_add_u32 v29, v24, 2, v4
	v_and_b32_e32 v4, 1, v26
	v_lshl_add_u64 v[6:7], v[4:5], 0, -1
	v_cmp_ne_u32_e32 vcc, 0, v4
	ds_read_b32 v22, v29 offset:64
	s_nop 0
	v_xor_b32_e32 v6, vcc_lo, v6
	v_xor_b32_e32 v4, vcc_hi, v7
	v_and_b32_e32 v28, exec_lo, v6
	v_lshlrev_b32_e32 v7, 30, v26
	v_mov_b32_e32 v6, v5
	v_cmp_gt_i64_e32 vcc, 0, v[6:7]
	v_not_b32_e32 v6, v7
	v_ashrrev_i32_e32 v6, 31, v6
	v_and_b32_e32 v4, exec_hi, v4
	v_xor_b32_e32 v7, vcc_hi, v6
	v_xor_b32_e32 v6, vcc_lo, v6
	v_and_b32_e32 v4, v4, v7
	v_and_b32_e32 v28, v28, v6
	v_lshlrev_b32_e32 v7, 29, v26
	v_mov_b32_e32 v6, v5
	v_cmp_gt_i64_e32 vcc, 0, v[6:7]
	v_not_b32_e32 v6, v7
	v_ashrrev_i32_e32 v6, 31, v6
	v_xor_b32_e32 v7, vcc_hi, v6
	v_xor_b32_e32 v6, vcc_lo, v6
	v_and_b32_e32 v4, v4, v7
	v_and_b32_e32 v28, v28, v6
	v_lshlrev_b32_e32 v7, 28, v26
	v_mov_b32_e32 v6, v5
	v_cmp_gt_i64_e32 vcc, 0, v[6:7]
	v_not_b32_e32 v6, v7
	v_ashrrev_i32_e32 v6, 31, v6
	;; [unrolled: 9-line block ×5, first 2 shown]
	v_xor_b32_e32 v7, vcc_hi, v6
	v_xor_b32_e32 v6, vcc_lo, v6
	v_and_b32_e32 v4, v4, v7
	v_lshlrev_b32_e32 v7, 24, v26
	v_and_b32_e32 v28, v28, v6
	v_mov_b32_e32 v6, v5
	v_not_b32_e32 v5, v7
	v_cmp_gt_i64_e32 vcc, 0, v[6:7]
	v_ashrrev_i32_e32 v5, 31, v5
	; wave barrier
	s_nop 0
	v_xor_b32_e32 v6, vcc_hi, v5
	v_xor_b32_e32 v7, vcc_lo, v5
	v_and_b32_e32 v5, v4, v6
	v_and_b32_e32 v4, v28, v7
	v_mbcnt_lo_u32_b32 v6, v4, 0
	v_mbcnt_hi_u32_b32 v26, v5, v6
	v_cmp_eq_u32_e32 vcc, 0, v26
	v_cmp_ne_u64_e64 s[0:1], 0, v[4:5]
	s_and_b64 s[2:3], s[0:1], vcc
	s_and_saveexec_b64 s[0:1], s[2:3]
	s_cbranch_execz .LBB315_137
; %bb.136:
	v_bcnt_u32_b32 v4, v4, 0
	v_bcnt_u32_b32 v4, v5, v4
	s_waitcnt lgkmcnt(0)
	v_add_u32_e32 v4, v22, v4
	ds_write_b32 v29, v4 offset:64
.LBB315_137:
	s_or_b64 exec, exec, s[0:1]
	v_bfrev_b32_e32 v31, 1
	s_waitcnt vmcnt(3)
	v_cmp_lt_i32_e32 vcc, -1, v17
	s_brev_b32 s2, -2
	s_movk_i32 s3, 0x44
	v_cndmask_b32_e32 v4, -1, v31, vcc
	v_xor_b32_e32 v17, v4, v17
	v_cmp_ne_u32_e32 vcc, s2, v17
	v_mov_b32_e32 v5, 0
	s_nop 0
	v_cndmask_b32_e32 v4, v31, v17, vcc
	v_lshrrev_b32_e32 v4, s52, v4
	v_and_b32_e32 v30, s13, v4
	v_mul_lo_u32 v4, v30, s3
	v_lshl_add_u32 v33, v24, 2, v4
	v_and_b32_e32 v4, 1, v30
	v_lshl_add_u64 v[6:7], v[4:5], 0, -1
	v_cmp_ne_u32_e32 vcc, 0, v4
	; wave barrier
	ds_read_b32 v28, v33 offset:64
	s_nop 0
	v_xor_b32_e32 v6, vcc_lo, v6
	v_xor_b32_e32 v4, vcc_hi, v7
	v_and_b32_e32 v32, exec_lo, v6
	v_lshlrev_b32_e32 v7, 30, v30
	v_mov_b32_e32 v6, v5
	v_cmp_gt_i64_e32 vcc, 0, v[6:7]
	v_not_b32_e32 v6, v7
	v_ashrrev_i32_e32 v6, 31, v6
	v_and_b32_e32 v4, exec_hi, v4
	v_xor_b32_e32 v7, vcc_hi, v6
	v_xor_b32_e32 v6, vcc_lo, v6
	v_and_b32_e32 v4, v4, v7
	v_and_b32_e32 v32, v32, v6
	v_lshlrev_b32_e32 v7, 29, v30
	v_mov_b32_e32 v6, v5
	v_cmp_gt_i64_e32 vcc, 0, v[6:7]
	v_not_b32_e32 v6, v7
	v_ashrrev_i32_e32 v6, 31, v6
	v_xor_b32_e32 v7, vcc_hi, v6
	v_xor_b32_e32 v6, vcc_lo, v6
	v_and_b32_e32 v4, v4, v7
	v_and_b32_e32 v32, v32, v6
	v_lshlrev_b32_e32 v7, 28, v30
	v_mov_b32_e32 v6, v5
	v_cmp_gt_i64_e32 vcc, 0, v[6:7]
	v_not_b32_e32 v6, v7
	v_ashrrev_i32_e32 v6, 31, v6
	;; [unrolled: 9-line block ×6, first 2 shown]
	v_xor_b32_e32 v7, vcc_hi, v6
	v_xor_b32_e32 v6, vcc_lo, v6
	v_and_b32_e32 v6, v32, v6
	v_and_b32_e32 v7, v4, v7
	v_mbcnt_lo_u32_b32 v4, v6, 0
	v_mbcnt_hi_u32_b32 v30, v7, v4
	v_cmp_eq_u32_e32 vcc, 0, v30
	v_cmp_ne_u64_e64 s[0:1], 0, v[6:7]
	s_and_b64 s[4:5], s[0:1], vcc
	; wave barrier
	s_and_saveexec_b64 s[0:1], s[4:5]
	s_cbranch_execz .LBB315_139
; %bb.138:
	v_bcnt_u32_b32 v4, v6, 0
	v_bcnt_u32_b32 v4, v7, v4
	s_waitcnt lgkmcnt(0)
	v_add_u32_e32 v4, v28, v4
	ds_write_b32 v33, v4 offset:64
.LBB315_139:
	s_or_b64 exec, exec, s[0:1]
	s_waitcnt vmcnt(2)
	v_cmp_lt_i32_e32 vcc, -1, v21
	; wave barrier
	s_nop 1
	v_cndmask_b32_e32 v4, -1, v31, vcc
	v_xor_b32_e32 v21, v4, v21
	v_cmp_ne_u32_e32 vcc, s2, v21
	s_nop 1
	v_cndmask_b32_e32 v4, v31, v21, vcc
	v_lshrrev_b32_e32 v4, s52, v4
	v_and_b32_e32 v31, s13, v4
	v_mul_lo_u32 v4, v31, s3
	v_lshl_add_u32 v36, v24, 2, v4
	v_and_b32_e32 v4, 1, v31
	v_lshl_add_u64 v[6:7], v[4:5], 0, -1
	v_cmp_ne_u32_e32 vcc, 0, v4
	ds_read_b32 v32, v36 offset:64
	s_nop 0
	v_xor_b32_e32 v6, vcc_lo, v6
	v_xor_b32_e32 v4, vcc_hi, v7
	v_and_b32_e32 v34, exec_lo, v6
	v_lshlrev_b32_e32 v7, 30, v31
	v_mov_b32_e32 v6, v5
	v_cmp_gt_i64_e32 vcc, 0, v[6:7]
	v_not_b32_e32 v6, v7
	v_ashrrev_i32_e32 v6, 31, v6
	v_and_b32_e32 v4, exec_hi, v4
	v_xor_b32_e32 v7, vcc_hi, v6
	v_xor_b32_e32 v6, vcc_lo, v6
	v_and_b32_e32 v4, v4, v7
	v_and_b32_e32 v34, v34, v6
	v_lshlrev_b32_e32 v7, 29, v31
	v_mov_b32_e32 v6, v5
	v_cmp_gt_i64_e32 vcc, 0, v[6:7]
	v_not_b32_e32 v6, v7
	v_ashrrev_i32_e32 v6, 31, v6
	v_xor_b32_e32 v7, vcc_hi, v6
	v_xor_b32_e32 v6, vcc_lo, v6
	v_and_b32_e32 v4, v4, v7
	v_and_b32_e32 v34, v34, v6
	v_lshlrev_b32_e32 v7, 28, v31
	v_mov_b32_e32 v6, v5
	v_cmp_gt_i64_e32 vcc, 0, v[6:7]
	v_not_b32_e32 v6, v7
	v_ashrrev_i32_e32 v6, 31, v6
	;; [unrolled: 9-line block ×5, first 2 shown]
	v_xor_b32_e32 v7, vcc_hi, v6
	v_xor_b32_e32 v6, vcc_lo, v6
	v_and_b32_e32 v4, v4, v7
	v_lshlrev_b32_e32 v7, 24, v31
	v_and_b32_e32 v34, v34, v6
	v_mov_b32_e32 v6, v5
	v_not_b32_e32 v5, v7
	v_cmp_gt_i64_e32 vcc, 0, v[6:7]
	v_ashrrev_i32_e32 v5, 31, v5
	; wave barrier
	s_nop 0
	v_xor_b32_e32 v6, vcc_hi, v5
	v_xor_b32_e32 v7, vcc_lo, v5
	v_and_b32_e32 v5, v4, v6
	v_and_b32_e32 v4, v34, v7
	v_mbcnt_lo_u32_b32 v6, v4, 0
	v_mbcnt_hi_u32_b32 v34, v5, v6
	v_cmp_eq_u32_e32 vcc, 0, v34
	v_cmp_ne_u64_e64 s[0:1], 0, v[4:5]
	s_and_b64 s[2:3], s[0:1], vcc
	s_and_saveexec_b64 s[0:1], s[2:3]
	s_cbranch_execz .LBB315_141
; %bb.140:
	v_bcnt_u32_b32 v4, v4, 0
	v_bcnt_u32_b32 v4, v5, v4
	s_waitcnt lgkmcnt(0)
	v_add_u32_e32 v4, v32, v4
	ds_write_b32 v36, v4 offset:64
.LBB315_141:
	s_or_b64 exec, exec, s[0:1]
	v_bfrev_b32_e32 v39, 1
	s_waitcnt vmcnt(1)
	v_cmp_lt_i32_e32 vcc, -1, v27
	s_brev_b32 s2, -2
	s_movk_i32 s3, 0x44
	v_cndmask_b32_e32 v4, -1, v39, vcc
	v_xor_b32_e32 v27, v4, v27
	v_cmp_ne_u32_e32 vcc, s2, v27
	v_mov_b32_e32 v5, 0
	s_nop 0
	v_cndmask_b32_e32 v4, v39, v27, vcc
	v_lshrrev_b32_e32 v4, s52, v4
	v_and_b32_e32 v31, s13, v4
	v_mul_lo_u32 v4, v31, s3
	v_lshl_add_u32 v38, v24, 2, v4
	v_and_b32_e32 v4, 1, v31
	v_lshl_add_u64 v[6:7], v[4:5], 0, -1
	v_cmp_ne_u32_e32 vcc, 0, v4
	; wave barrier
	ds_read_b32 v35, v38 offset:64
	s_nop 0
	v_xor_b32_e32 v6, vcc_lo, v6
	v_xor_b32_e32 v4, vcc_hi, v7
	v_and_b32_e32 v37, exec_lo, v6
	v_lshlrev_b32_e32 v7, 30, v31
	v_mov_b32_e32 v6, v5
	v_cmp_gt_i64_e32 vcc, 0, v[6:7]
	v_not_b32_e32 v6, v7
	v_ashrrev_i32_e32 v6, 31, v6
	v_and_b32_e32 v4, exec_hi, v4
	v_xor_b32_e32 v7, vcc_hi, v6
	v_xor_b32_e32 v6, vcc_lo, v6
	v_and_b32_e32 v4, v4, v7
	v_and_b32_e32 v37, v37, v6
	v_lshlrev_b32_e32 v7, 29, v31
	v_mov_b32_e32 v6, v5
	v_cmp_gt_i64_e32 vcc, 0, v[6:7]
	v_not_b32_e32 v6, v7
	v_ashrrev_i32_e32 v6, 31, v6
	v_xor_b32_e32 v7, vcc_hi, v6
	v_xor_b32_e32 v6, vcc_lo, v6
	v_and_b32_e32 v4, v4, v7
	v_and_b32_e32 v37, v37, v6
	v_lshlrev_b32_e32 v7, 28, v31
	v_mov_b32_e32 v6, v5
	v_cmp_gt_i64_e32 vcc, 0, v[6:7]
	v_not_b32_e32 v6, v7
	v_ashrrev_i32_e32 v6, 31, v6
	;; [unrolled: 9-line block ×6, first 2 shown]
	v_xor_b32_e32 v7, vcc_hi, v6
	v_xor_b32_e32 v6, vcc_lo, v6
	v_and_b32_e32 v6, v37, v6
	v_and_b32_e32 v7, v4, v7
	v_mbcnt_lo_u32_b32 v4, v6, 0
	v_mbcnt_hi_u32_b32 v37, v7, v4
	v_cmp_eq_u32_e32 vcc, 0, v37
	v_cmp_ne_u64_e64 s[0:1], 0, v[6:7]
	s_and_b64 s[4:5], s[0:1], vcc
	; wave barrier
	s_and_saveexec_b64 s[0:1], s[4:5]
	s_cbranch_execz .LBB315_143
; %bb.142:
	v_bcnt_u32_b32 v4, v6, 0
	v_bcnt_u32_b32 v4, v7, v4
	s_waitcnt lgkmcnt(0)
	v_add_u32_e32 v4, v35, v4
	ds_write_b32 v38, v4 offset:64
.LBB315_143:
	s_or_b64 exec, exec, s[0:1]
	s_waitcnt vmcnt(0)
	v_cmp_lt_i32_e32 vcc, -1, v23
	; wave barrier
	s_nop 1
	v_cndmask_b32_e32 v4, -1, v39, vcc
	v_xor_b32_e32 v31, v4, v23
	v_cmp_ne_u32_e32 vcc, s2, v31
	s_nop 1
	v_cndmask_b32_e32 v4, v39, v31, vcc
	v_lshrrev_b32_e32 v4, s52, v4
	v_and_b32_e32 v23, s13, v4
	v_mul_lo_u32 v4, v23, s3
	v_lshl_add_u32 v40, v24, 2, v4
	v_and_b32_e32 v4, 1, v23
	v_lshl_add_u64 v[6:7], v[4:5], 0, -1
	v_cmp_ne_u32_e32 vcc, 0, v4
	ds_read_b32 v24, v40 offset:64
	s_nop 0
	v_xor_b32_e32 v6, vcc_lo, v6
	v_xor_b32_e32 v4, vcc_hi, v7
	v_and_b32_e32 v39, exec_lo, v6
	v_lshlrev_b32_e32 v7, 30, v23
	v_mov_b32_e32 v6, v5
	v_cmp_gt_i64_e32 vcc, 0, v[6:7]
	v_not_b32_e32 v6, v7
	v_ashrrev_i32_e32 v6, 31, v6
	v_and_b32_e32 v4, exec_hi, v4
	v_xor_b32_e32 v7, vcc_hi, v6
	v_xor_b32_e32 v6, vcc_lo, v6
	v_and_b32_e32 v4, v4, v7
	v_and_b32_e32 v39, v39, v6
	v_lshlrev_b32_e32 v7, 29, v23
	v_mov_b32_e32 v6, v5
	v_cmp_gt_i64_e32 vcc, 0, v[6:7]
	v_not_b32_e32 v6, v7
	v_ashrrev_i32_e32 v6, 31, v6
	v_xor_b32_e32 v7, vcc_hi, v6
	v_xor_b32_e32 v6, vcc_lo, v6
	v_and_b32_e32 v4, v4, v7
	v_and_b32_e32 v39, v39, v6
	v_lshlrev_b32_e32 v7, 28, v23
	v_mov_b32_e32 v6, v5
	v_cmp_gt_i64_e32 vcc, 0, v[6:7]
	v_not_b32_e32 v6, v7
	v_ashrrev_i32_e32 v6, 31, v6
	;; [unrolled: 9-line block ×5, first 2 shown]
	v_xor_b32_e32 v7, vcc_hi, v6
	v_xor_b32_e32 v6, vcc_lo, v6
	v_and_b32_e32 v4, v4, v7
	v_lshlrev_b32_e32 v7, 24, v23
	v_and_b32_e32 v39, v39, v6
	v_mov_b32_e32 v6, v5
	v_not_b32_e32 v5, v7
	v_cmp_gt_i64_e32 vcc, 0, v[6:7]
	v_ashrrev_i32_e32 v5, 31, v5
	; wave barrier
	s_nop 0
	v_xor_b32_e32 v6, vcc_hi, v5
	v_xor_b32_e32 v7, vcc_lo, v5
	v_and_b32_e32 v5, v4, v6
	v_and_b32_e32 v4, v39, v7
	v_mbcnt_lo_u32_b32 v6, v4, 0
	v_mbcnt_hi_u32_b32 v39, v5, v6
	v_cmp_eq_u32_e32 vcc, 0, v39
	v_cmp_ne_u64_e64 s[0:1], 0, v[4:5]
	s_and_b64 s[2:3], s[0:1], vcc
	s_and_saveexec_b64 s[0:1], s[2:3]
	s_cbranch_execz .LBB315_145
; %bb.144:
	v_bcnt_u32_b32 v4, v4, 0
	v_bcnt_u32_b32 v4, v5, v4
	s_waitcnt lgkmcnt(0)
	v_add_u32_e32 v4, v24, v4
	ds_write_b32 v40, v4 offset:64
.LBB315_145:
	s_or_b64 exec, exec, s[0:1]
	; wave barrier
	s_waitcnt lgkmcnt(0)
	s_barrier
	ds_read2_b32 v[6:7], v11 offset0:16 offset1:17
	ds_read2_b32 v[4:5], v11 offset0:18 offset1:19
	ds_read_b32 v23, v11 offset:80
	v_cmp_lt_u32_e64 s[6:7], 31, v10
	s_waitcnt lgkmcnt(1)
	v_add3_u32 v41, v7, v6, v4
	s_waitcnt lgkmcnt(0)
	v_add3_u32 v23, v41, v5, v23
	v_and_b32_e32 v41, 15, v10
	v_cmp_eq_u32_e32 vcc, 0, v41
	v_mov_b32_dpp v42, v23 row_shr:1 row_mask:0xf bank_mask:0xf
	v_cmp_lt_u32_e64 s[0:1], 1, v41
	v_cndmask_b32_e64 v42, v42, 0, vcc
	v_add_u32_e32 v23, v42, v23
	v_cmp_lt_u32_e64 s[2:3], 3, v41
	v_cmp_lt_u32_e64 s[4:5], 7, v41
	v_mov_b32_dpp v42, v23 row_shr:2 row_mask:0xf bank_mask:0xf
	v_cndmask_b32_e64 v42, 0, v42, s[0:1]
	v_add_u32_e32 v23, v23, v42
	s_nop 1
	v_mov_b32_dpp v42, v23 row_shr:4 row_mask:0xf bank_mask:0xf
	v_cndmask_b32_e64 v42, 0, v42, s[2:3]
	v_add_u32_e32 v23, v23, v42
	s_nop 1
	v_mov_b32_dpp v42, v23 row_shr:8 row_mask:0xf bank_mask:0xf
	v_cndmask_b32_e64 v41, 0, v42, s[4:5]
	v_add_u32_e32 v23, v23, v41
	v_bfe_i32 v42, v10, 4, 1
	s_nop 0
	v_mov_b32_dpp v41, v23 row_bcast:15 row_mask:0xf bank_mask:0xf
	v_and_b32_e32 v41, v42, v41
	v_add_u32_e32 v23, v23, v41
	v_lshrrev_b32_e32 v42, 6, v8
	s_nop 0
	v_mov_b32_dpp v41, v23 row_bcast:31 row_mask:0xf bank_mask:0xf
	v_cndmask_b32_e64 v41, 0, v41, s[6:7]
	v_add_u32_e32 v41, v23, v41
	v_and_b32_e32 v23, 63, v8
	v_cmp_eq_u32_e64 s[6:7], 63, v23
	s_and_saveexec_b64 s[10:11], s[6:7]
; %bb.146:
	v_lshlrev_b32_e32 v23, 2, v42
	ds_write_b32 v23, v41
; %bb.147:
	s_or_b64 exec, exec, s[10:11]
	v_cmp_gt_u32_e64 s[6:7], 16, v8
	v_lshlrev_b32_e32 v23, 2, v8
	s_waitcnt lgkmcnt(0)
	s_barrier
	s_and_saveexec_b64 s[10:11], s[6:7]
	s_cbranch_execz .LBB315_149
; %bb.148:
	ds_read_b32 v43, v23
	s_waitcnt lgkmcnt(0)
	s_nop 0
	v_mov_b32_dpp v44, v43 row_shr:1 row_mask:0xf bank_mask:0xf
	v_cndmask_b32_e64 v44, v44, 0, vcc
	v_add_u32_e32 v43, v44, v43
	s_nop 1
	v_mov_b32_dpp v44, v43 row_shr:2 row_mask:0xf bank_mask:0xf
	v_cndmask_b32_e64 v44, 0, v44, s[0:1]
	v_add_u32_e32 v43, v43, v44
	s_nop 1
	v_mov_b32_dpp v44, v43 row_shr:4 row_mask:0xf bank_mask:0xf
	v_cndmask_b32_e64 v44, 0, v44, s[2:3]
	;; [unrolled: 4-line block ×3, first 2 shown]
	v_add_u32_e32 v43, v43, v44
	ds_write_b32 v23, v43
.LBB315_149:
	s_or_b64 exec, exec, s[10:11]
	v_cmp_lt_u32_e32 vcc, 63, v8
	v_mov_b32_e32 v43, 0
	s_waitcnt lgkmcnt(0)
	s_barrier
	s_and_saveexec_b64 s[0:1], vcc
; %bb.150:
	v_lshl_add_u32 v42, v42, 2, -4
	ds_read_b32 v43, v42
; %bb.151:
	s_or_b64 exec, exec, s[0:1]
	v_subrev_co_u32_e32 v42, vcc, 1, v10
	v_and_b32_e32 v44, 64, v10
	v_cmp_lt_i32_e64 s[0:1], v42, v44
	s_waitcnt lgkmcnt(0)
	v_add_u32_e32 v41, v43, v41
	s_movk_i32 s2, 0x100
	v_cndmask_b32_e64 v10, v42, v10, s[0:1]
	v_lshlrev_b32_e32 v10, 2, v10
	ds_bpermute_b32 v10, v10, v41
	s_movk_i32 s0, 0xff
	v_cmp_lt_u32_e64 s[0:1], s0, v8
	s_waitcnt lgkmcnt(0)
	v_cndmask_b32_e32 v10, v10, v43, vcc
	v_cndmask_b32_e64 v10, v10, 0, s[20:21]
	v_add_u32_e32 v6, v10, v6
	v_add_u32_e32 v7, v6, v7
	;; [unrolled: 1-line block ×4, first 2 shown]
	ds_write2_b32 v11, v10, v6 offset0:16 offset1:17
	ds_write2_b32 v11, v7, v4 offset0:18 offset1:19
	ds_write_b32 v11, v5 offset:80
	s_waitcnt lgkmcnt(0)
	s_barrier
	ds_read_b32 v44, v15 offset:64
	ds_read_b32 v41, v19 offset:64
	;; [unrolled: 1-line block ×8, first 2 shown]
	v_cmp_gt_u32_e32 vcc, s2, v8
                                        ; implicit-def: $vgpr15
                                        ; implicit-def: $vgpr19
	s_and_saveexec_b64 s[4:5], vcc
	s_cbranch_execz .LBB315_155
; %bb.152:
	v_mul_u32_u24_e32 v4, 0x44, v8
	ds_read_b32 v15, v4 offset:64
	v_add_u32_e32 v5, 1, v8
	v_cmp_ne_u32_e64 s[2:3], s2, v5
	v_mov_b32_e32 v4, 0x2000
	s_and_saveexec_b64 s[6:7], s[2:3]
; %bb.153:
	v_mul_u32_u24_e32 v4, 0x44, v5
	ds_read_b32 v4, v4 offset:64
; %bb.154:
	s_or_b64 exec, exec, s[6:7]
	s_waitcnt lgkmcnt(0)
	v_sub_u32_e32 v19, v4, v15
.LBB315_155:
	s_or_b64 exec, exec, s[4:5]
	v_mov_b32_e32 v5, 0
	s_waitcnt lgkmcnt(0)
	s_barrier
	s_and_saveexec_b64 s[2:3], vcc
	s_cbranch_execz .LBB315_165
; %bb.156:
	v_lshl_add_u32 v4, s33, 8, v8
	v_lshl_add_u64 v[6:7], v[4:5], 2, s[38:39]
	v_or_b32_e32 v4, 2.0, v19
	s_mov_b64 s[4:5], 0
	s_brev_b32 s14, -4
	s_mov_b32 s15, s33
	v_mov_b32_e32 v38, 0
	global_store_dword v[6:7], v4, off sc1
                                        ; implicit-def: $sgpr6_sgpr7
	s_branch .LBB315_159
.LBB315_157:                            ;   in Loop: Header=BB315_159 Depth=1
	s_or_b64 exec, exec, s[10:11]
.LBB315_158:                            ;   in Loop: Header=BB315_159 Depth=1
	s_or_b64 exec, exec, s[6:7]
	v_and_b32_e32 v10, 0x3fffffff, v4
	v_add_u32_e32 v38, v10, v38
	v_cmp_gt_i32_e64 s[6:7], -2.0, v4
	s_and_b64 s[10:11], exec, s[6:7]
	s_or_b64 s[4:5], s[10:11], s[4:5]
	s_andn2_b64 exec, exec, s[4:5]
	s_cbranch_execz .LBB315_164
.LBB315_159:                            ; =>This Loop Header: Depth=1
                                        ;     Child Loop BB315_162 Depth 2
	s_or_b64 s[6:7], s[6:7], exec
	s_cmp_eq_u32 s15, 0
	s_cbranch_scc1 .LBB315_163
; %bb.160:                              ;   in Loop: Header=BB315_159 Depth=1
	s_add_i32 s15, s15, -1
	v_lshl_or_b32 v4, s15, 8, v8
	v_lshl_add_u64 v[10:11], v[4:5], 2, s[38:39]
	global_load_dword v4, v[10:11], off sc1
	s_waitcnt vmcnt(0)
	v_cmp_gt_u32_e32 vcc, 2.0, v4
	s_and_saveexec_b64 s[6:7], vcc
	s_cbranch_execz .LBB315_158
; %bb.161:                              ;   in Loop: Header=BB315_159 Depth=1
	s_mov_b64 s[10:11], 0
.LBB315_162:                            ;   Parent Loop BB315_159 Depth=1
                                        ; =>  This Inner Loop Header: Depth=2
	global_load_dword v4, v[10:11], off sc1
	s_waitcnt vmcnt(0)
	v_cmp_lt_u32_e32 vcc, s14, v4
	s_or_b64 s[10:11], vcc, s[10:11]
	s_andn2_b64 exec, exec, s[10:11]
	s_cbranch_execnz .LBB315_162
	s_branch .LBB315_157
.LBB315_163:                            ;   in Loop: Header=BB315_159 Depth=1
                                        ; implicit-def: $sgpr15
	s_and_b64 s[10:11], exec, s[6:7]
	s_or_b64 s[4:5], s[10:11], s[4:5]
	s_andn2_b64 exec, exec, s[4:5]
	s_cbranch_execnz .LBB315_159
.LBB315_164:
	s_or_b64 exec, exec, s[4:5]
	v_add_u32_e32 v4, v38, v19
	v_or_b32_e32 v4, 0x80000000, v4
	global_store_dword v[6:7], v4, off sc1
	global_load_dword v4, v23, s[48:49]
	v_sub_u32_e32 v5, v38, v15
	s_waitcnt vmcnt(0)
	v_add_u32_e32 v4, v5, v4
	ds_write_b32 v23, v4
.LBB315_165:
	s_or_b64 exec, exec, s[2:3]
	v_add_u32_e32 v4, v39, v24
	v_add_u32_e32 v5, v37, v35
	;; [unrolled: 1-line block ×8, first 2 shown]
	s_mov_b32 s6, 16
	s_mov_b32 s7, s52
	;; [unrolled: 1-line block ×3, first 2 shown]
	v_add_lshl_u32 v7, v4, v36, 2
	v_add3_u32 v10, v39, v36, v24
	v_add_lshl_u32 v11, v5, v29, 2
	v_add3_u32 v12, v37, v29, v35
	;; [unrolled: 2-line block ×7, first 2 shown]
	v_lshlrev_b32_e32 v16, 2, v6
	s_mov_b32 s20, 0
	s_mov_b64 s[2:3], -1
	s_mov_b32 s11, 0
	s_movk_i32 s14, 0x1000
	v_bfrev_b32_e32 v32, 1
	s_brev_b32 s15, -2
	v_mov_b32_e32 v5, 0
	s_movk_i32 s16, 0x400
	s_movk_i32 s17, 0x800
	;; [unrolled: 1-line block ×3, first 2 shown]
	s_mov_b32 s19, 0
	v_mov_b32_e32 v33, v8
	s_branch .LBB315_167
.LBB315_166:                            ;   in Loop: Header=BB315_167 Depth=1
	s_or_b64 exec, exec, s[4:5]
	s_waitcnt lgkmcnt(0)
	s_barrier
	ds_read2st64_b32 v[34:35], v23 offset0:4 offset1:20
	ds_read2st64_b32 v[38:39], v23 offset0:36 offset1:52
	s_xor_b64 s[4:5], s[2:3], -1
	s_addk_i32 s19, 0xc000
	s_addk_i32 s11, 0xf000
	s_waitcnt lgkmcnt(1)
	v_cmp_lt_i32_e32 vcc, -1, v34
	s_mov_b64 s[2:3], 0
	s_nop 0
	v_cndmask_b32_e64 v4, v32, -1, vcc
	v_cmp_lt_i32_e32 vcc, -1, v35
	v_xor_b32_e32 v42, v4, v34
	s_nop 0
	v_cndmask_b32_e64 v4, v32, -1, vcc
	v_cmp_ne_u32_e32 vcc, s15, v34
	v_xor_b32_e32 v43, v4, v35
	s_nop 0
	v_cndmask_b32_e32 v4, v32, v34, vcc
	v_cmp_ne_u32_e32 vcc, s15, v35
	v_lshrrev_b32_e32 v4, s52, v4
	s_nop 0
	v_cndmask_b32_e32 v34, v32, v35, vcc
	v_lshrrev_b32_e32 v34, s7, v34
	s_waitcnt lgkmcnt(0)
	v_cmp_ne_u32_e32 vcc, s15, v38
	v_and_b32_e32 v35, s10, v34
	v_and_b32_e32 v34, s13, v4
	v_cndmask_b32_e32 v36, v32, v38, vcc
	v_cmp_ne_u32_e32 vcc, s15, v39
	v_lshlrev_b32_e32 v4, 2, v34
	ds_read_b32 v4, v4
	v_cndmask_b32_e32 v37, v32, v39, vcc
	v_lshrrev_b32_e32 v37, s7, v37
	v_lshrrev_b32_e32 v36, s52, v36
	v_and_b32_e32 v37, s10, v37
	v_lshlrev_b32_e32 v40, 2, v35
	v_and_b32_e32 v36, s13, v36
	v_lshlrev_b32_e32 v44, 2, v37
	v_lshlrev_b32_e32 v41, 2, v36
	ds_read_b32 v45, v40
	ds_read_b32 v46, v41
	;; [unrolled: 1-line block ×3, first 2 shown]
	s_waitcnt lgkmcnt(3)
	v_add_u32_e32 v4, v33, v4
	v_lshl_add_u64 v[40:41], v[4:5], 2, s[42:43]
	s_waitcnt lgkmcnt(2)
	v_add3_u32 v4, v33, v45, s16
	v_cmp_lt_i32_e32 vcc, -1, v38
	global_store_dword v[40:41], v42, off
	v_lshl_add_u64 v[40:41], v[4:5], 2, s[42:43]
	v_cndmask_b32_e64 v4, v32, -1, vcc
	v_cmp_lt_i32_e32 vcc, -1, v39
	global_store_dword v[40:41], v43, off
	v_xor_b32_e32 v40, v4, v38
	v_cndmask_b32_e64 v4, v32, -1, vcc
	v_xor_b32_e32 v41, v4, v39
	s_waitcnt lgkmcnt(1)
	v_add3_u32 v4, v33, v46, s17
	v_lshl_add_u64 v[38:39], v[4:5], 2, s[42:43]
	s_waitcnt lgkmcnt(0)
	v_add3_u32 v4, v33, v44, s18
	global_store_dword v[38:39], v40, off
	v_lshl_add_u64 v[38:39], v[4:5], 2, s[42:43]
	global_store_dword v[38:39], v41, off
	scratch_store_dwordx4 off, v[34:37], s20
	v_add_u32_e32 v33, 0x1000, v33
	s_and_b64 vcc, exec, s[4:5]
	s_mov_b32 s20, s6
	s_barrier
	s_cbranch_vccnz .LBB315_183
.LBB315_167:                            ; =>This Inner Loop Header: Depth=1
	v_add_u32_e32 v4, s11, v6
	v_cmp_gt_u32_e32 vcc, s14, v4
	s_and_saveexec_b64 s[4:5], vcc
; %bb.168:                              ;   in Loop: Header=BB315_167 Depth=1
	v_add_u32_e32 v4, s19, v16
	ds_write_b32 v4, v1 offset:1024
; %bb.169:                              ;   in Loop: Header=BB315_167 Depth=1
	s_or_b64 exec, exec, s[4:5]
	v_add_u32_e32 v4, s11, v13
	v_cmp_gt_u32_e32 vcc, s14, v4
	s_and_saveexec_b64 s[4:5], vcc
; %bb.170:                              ;   in Loop: Header=BB315_167 Depth=1
	v_add_u32_e32 v4, s19, v20
	ds_write_b32 v4, v3 offset:1024
; %bb.171:                              ;   in Loop: Header=BB315_167 Depth=1
	s_or_b64 exec, exec, s[4:5]
	;; [unrolled: 8-line block ×7, first 2 shown]
	v_add_u32_e32 v4, s11, v10
	v_cmp_gt_u32_e32 vcc, s14, v4
	s_and_saveexec_b64 s[4:5], vcc
	s_cbranch_execz .LBB315_166
; %bb.182:                              ;   in Loop: Header=BB315_167 Depth=1
	v_add_u32_e32 v4, s19, v7
	ds_write_b32 v4, v31 offset:1024
	s_branch .LBB315_166
.LBB315_183:
	s_add_u32 s2, s44, s8
	s_addc_u32 s3, s45, s9
	v_mov_b32_e32 v1, 0
	v_lshl_add_u64 v[4:5], s[2:3], 0, v[0:1]
	v_mov_b32_e32 v3, v1
	v_lshl_add_u64 v[32:33], v[4:5], 0, v[2:3]
	global_load_dword v2, v[32:33], off
	global_load_dword v3, v[32:33], off offset:256
	global_load_dword v4, v[32:33], off offset:512
	;; [unrolled: 1-line block ×7, first 2 shown]
	s_mov_b32 s14, 0
	s_mov_b64 s[2:3], -1
	s_mov_b32 s7, 0
	s_movk_i32 s8, 0x1000
	s_movk_i32 s9, 0x400
	;; [unrolled: 1-line block ×4, first 2 shown]
	s_mov_b32 s13, 0
	s_branch .LBB315_185
.LBB315_184:                            ;   in Loop: Header=BB315_185 Depth=1
	s_or_b64 exec, exec, s[4:5]
	s_waitcnt lgkmcnt(0)
	s_barrier
	scratch_load_dwordx4 v[32:35], off, s14
	ds_read2st64_b32 v[36:37], v23 offset0:4 offset1:20
	ds_read2st64_b32 v[38:39], v23 offset0:36 offset1:52
	s_xor_b64 s[4:5], s[2:3], -1
	s_addk_i32 s13, 0xc000
	s_addk_i32 s7, 0xf000
	s_mov_b64 s[2:3], 0
	s_mov_b32 s14, s6
	s_and_b64 vcc, exec, s[4:5]
	s_waitcnt vmcnt(0)
	v_lshlrev_b32_e32 v0, 2, v32
	ds_read_b32 v0, v0
	v_lshlrev_b32_e32 v27, 2, v33
	v_lshlrev_b32_e32 v31, 2, v34
	;; [unrolled: 1-line block ×3, first 2 shown]
	ds_read_b32 v27, v27
	ds_read_b32 v31, v31
	;; [unrolled: 1-line block ×3, first 2 shown]
	s_waitcnt lgkmcnt(3)
	v_add_u32_e32 v0, v8, v0
	v_lshl_add_u64 v[32:33], v[0:1], 2, s[46:47]
	s_waitcnt lgkmcnt(2)
	v_add3_u32 v0, v8, v27, s9
	global_store_dword v[32:33], v36, off
	v_lshl_add_u64 v[32:33], v[0:1], 2, s[46:47]
	s_waitcnt lgkmcnt(1)
	v_add3_u32 v0, v8, v31, s10
	global_store_dword v[32:33], v37, off
	v_lshl_add_u64 v[32:33], v[0:1], 2, s[46:47]
	s_waitcnt lgkmcnt(0)
	v_add3_u32 v0, v8, v34, s11
	v_add_u32_e32 v8, 0x1000, v8
	global_store_dword v[32:33], v38, off
	v_lshl_add_u64 v[32:33], v[0:1], 2, s[46:47]
	global_store_dword v[32:33], v39, off
	s_barrier
	s_cbranch_vccnz .LBB315_201
.LBB315_185:                            ; =>This Inner Loop Header: Depth=1
	v_add_u32_e32 v0, s7, v6
	v_cmp_gt_u32_e32 vcc, s8, v0
	s_and_saveexec_b64 s[4:5], vcc
	s_cbranch_execz .LBB315_187
; %bb.186:                              ;   in Loop: Header=BB315_185 Depth=1
	v_add_u32_e32 v0, s13, v16
	s_waitcnt vmcnt(7)
	ds_write_b32 v0, v2 offset:1024
.LBB315_187:                            ;   in Loop: Header=BB315_185 Depth=1
	s_or_b64 exec, exec, s[4:5]
	v_add_u32_e32 v0, s7, v13
	v_cmp_gt_u32_e32 vcc, s8, v0
	s_and_saveexec_b64 s[4:5], vcc
	s_cbranch_execz .LBB315_189
; %bb.188:                              ;   in Loop: Header=BB315_185 Depth=1
	v_add_u32_e32 v0, s13, v20
	s_waitcnt vmcnt(6)
	ds_write_b32 v0, v3 offset:1024
.LBB315_189:                            ;   in Loop: Header=BB315_185 Depth=1
	s_or_b64 exec, exec, s[4:5]
	;; [unrolled: 10-line block ×7, first 2 shown]
	v_add_u32_e32 v0, s7, v10
	v_cmp_gt_u32_e32 vcc, s8, v0
	s_and_saveexec_b64 s[4:5], vcc
	s_cbranch_execz .LBB315_184
; %bb.200:                              ;   in Loop: Header=BB315_185 Depth=1
	v_add_u32_e32 v0, s13, v7
	s_waitcnt vmcnt(0)
	ds_write_b32 v0, v21 offset:1024
	s_branch .LBB315_184
.LBB315_201:
	s_add_i32 s12, s12, -1
	s_cmp_eq_u32 s33, s12
	s_cselect_b64 s[2:3], -1, 0
	s_xor_b64 s[0:1], s[0:1], -1
	s_and_b64 s[0:1], s[0:1], s[2:3]
	s_and_saveexec_b64 s[2:3], s[0:1]
	s_cbranch_execz .LBB315_203
; %bb.202:
	ds_read_b32 v0, v23
	s_waitcnt lgkmcnt(0)
	v_add3_u32 v0, v15, v19, v0
	global_store_dword v23, v0, s[50:51]
.LBB315_203:
	s_endpgm
	.section	.rodata,"a",@progbits
	.p2align	6, 0x0
	.amdhsa_kernel _ZN7rocprim17ROCPRIM_400000_NS6detail17trampoline_kernelINS0_14default_configENS1_35radix_sort_onesweep_config_selectorIffEEZZNS1_29radix_sort_onesweep_iterationIS3_Lb0EN6thrust23THRUST_200600_302600_NS6detail15normal_iteratorINS8_10device_ptrIfEEEESD_SD_SD_jNS0_19identity_decomposerENS1_16block_id_wrapperIjLb1EEEEE10hipError_tT1_PNSt15iterator_traitsISI_E10value_typeET2_T3_PNSJ_ISO_E10value_typeET4_T5_PST_SU_PNS1_23onesweep_lookback_stateEbbT6_jjT7_P12ihipStream_tbENKUlT_T0_SI_SN_E_clISD_PfSD_S15_EEDaS11_S12_SI_SN_EUlS11_E_NS1_11comp_targetILNS1_3genE6ELNS1_11target_archE950ELNS1_3gpuE13ELNS1_3repE0EEENS1_47radix_sort_onesweep_sort_config_static_selectorELNS0_4arch9wavefront6targetE1EEEvSI_
		.amdhsa_group_segment_fixed_size 53328
		.amdhsa_private_segment_fixed_size 48
		.amdhsa_kernarg_size 344
		.amdhsa_user_sgpr_count 4
		.amdhsa_user_sgpr_dispatch_ptr 1
		.amdhsa_user_sgpr_queue_ptr 0
		.amdhsa_user_sgpr_kernarg_segment_ptr 1
		.amdhsa_user_sgpr_dispatch_id 0
		.amdhsa_user_sgpr_kernarg_preload_length 0
		.amdhsa_user_sgpr_kernarg_preload_offset 0
		.amdhsa_user_sgpr_private_segment_size 0
		.amdhsa_uses_dynamic_stack 0
		.amdhsa_enable_private_segment 1
		.amdhsa_system_sgpr_workgroup_id_x 1
		.amdhsa_system_sgpr_workgroup_id_y 0
		.amdhsa_system_sgpr_workgroup_id_z 0
		.amdhsa_system_sgpr_workgroup_info 0
		.amdhsa_system_vgpr_workitem_id 2
		.amdhsa_next_free_vgpr 53
		.amdhsa_next_free_sgpr 60
		.amdhsa_accum_offset 56
		.amdhsa_reserve_vcc 1
		.amdhsa_float_round_mode_32 0
		.amdhsa_float_round_mode_16_64 0
		.amdhsa_float_denorm_mode_32 3
		.amdhsa_float_denorm_mode_16_64 3
		.amdhsa_dx10_clamp 1
		.amdhsa_ieee_mode 1
		.amdhsa_fp16_overflow 0
		.amdhsa_tg_split 0
		.amdhsa_exception_fp_ieee_invalid_op 0
		.amdhsa_exception_fp_denorm_src 0
		.amdhsa_exception_fp_ieee_div_zero 0
		.amdhsa_exception_fp_ieee_overflow 0
		.amdhsa_exception_fp_ieee_underflow 0
		.amdhsa_exception_fp_ieee_inexact 0
		.amdhsa_exception_int_div_zero 0
	.end_amdhsa_kernel
	.section	.text._ZN7rocprim17ROCPRIM_400000_NS6detail17trampoline_kernelINS0_14default_configENS1_35radix_sort_onesweep_config_selectorIffEEZZNS1_29radix_sort_onesweep_iterationIS3_Lb0EN6thrust23THRUST_200600_302600_NS6detail15normal_iteratorINS8_10device_ptrIfEEEESD_SD_SD_jNS0_19identity_decomposerENS1_16block_id_wrapperIjLb1EEEEE10hipError_tT1_PNSt15iterator_traitsISI_E10value_typeET2_T3_PNSJ_ISO_E10value_typeET4_T5_PST_SU_PNS1_23onesweep_lookback_stateEbbT6_jjT7_P12ihipStream_tbENKUlT_T0_SI_SN_E_clISD_PfSD_S15_EEDaS11_S12_SI_SN_EUlS11_E_NS1_11comp_targetILNS1_3genE6ELNS1_11target_archE950ELNS1_3gpuE13ELNS1_3repE0EEENS1_47radix_sort_onesweep_sort_config_static_selectorELNS0_4arch9wavefront6targetE1EEEvSI_,"axG",@progbits,_ZN7rocprim17ROCPRIM_400000_NS6detail17trampoline_kernelINS0_14default_configENS1_35radix_sort_onesweep_config_selectorIffEEZZNS1_29radix_sort_onesweep_iterationIS3_Lb0EN6thrust23THRUST_200600_302600_NS6detail15normal_iteratorINS8_10device_ptrIfEEEESD_SD_SD_jNS0_19identity_decomposerENS1_16block_id_wrapperIjLb1EEEEE10hipError_tT1_PNSt15iterator_traitsISI_E10value_typeET2_T3_PNSJ_ISO_E10value_typeET4_T5_PST_SU_PNS1_23onesweep_lookback_stateEbbT6_jjT7_P12ihipStream_tbENKUlT_T0_SI_SN_E_clISD_PfSD_S15_EEDaS11_S12_SI_SN_EUlS11_E_NS1_11comp_targetILNS1_3genE6ELNS1_11target_archE950ELNS1_3gpuE13ELNS1_3repE0EEENS1_47radix_sort_onesweep_sort_config_static_selectorELNS0_4arch9wavefront6targetE1EEEvSI_,comdat
.Lfunc_end315:
	.size	_ZN7rocprim17ROCPRIM_400000_NS6detail17trampoline_kernelINS0_14default_configENS1_35radix_sort_onesweep_config_selectorIffEEZZNS1_29radix_sort_onesweep_iterationIS3_Lb0EN6thrust23THRUST_200600_302600_NS6detail15normal_iteratorINS8_10device_ptrIfEEEESD_SD_SD_jNS0_19identity_decomposerENS1_16block_id_wrapperIjLb1EEEEE10hipError_tT1_PNSt15iterator_traitsISI_E10value_typeET2_T3_PNSJ_ISO_E10value_typeET4_T5_PST_SU_PNS1_23onesweep_lookback_stateEbbT6_jjT7_P12ihipStream_tbENKUlT_T0_SI_SN_E_clISD_PfSD_S15_EEDaS11_S12_SI_SN_EUlS11_E_NS1_11comp_targetILNS1_3genE6ELNS1_11target_archE950ELNS1_3gpuE13ELNS1_3repE0EEENS1_47radix_sort_onesweep_sort_config_static_selectorELNS0_4arch9wavefront6targetE1EEEvSI_, .Lfunc_end315-_ZN7rocprim17ROCPRIM_400000_NS6detail17trampoline_kernelINS0_14default_configENS1_35radix_sort_onesweep_config_selectorIffEEZZNS1_29radix_sort_onesweep_iterationIS3_Lb0EN6thrust23THRUST_200600_302600_NS6detail15normal_iteratorINS8_10device_ptrIfEEEESD_SD_SD_jNS0_19identity_decomposerENS1_16block_id_wrapperIjLb1EEEEE10hipError_tT1_PNSt15iterator_traitsISI_E10value_typeET2_T3_PNSJ_ISO_E10value_typeET4_T5_PST_SU_PNS1_23onesweep_lookback_stateEbbT6_jjT7_P12ihipStream_tbENKUlT_T0_SI_SN_E_clISD_PfSD_S15_EEDaS11_S12_SI_SN_EUlS11_E_NS1_11comp_targetILNS1_3genE6ELNS1_11target_archE950ELNS1_3gpuE13ELNS1_3repE0EEENS1_47radix_sort_onesweep_sort_config_static_selectorELNS0_4arch9wavefront6targetE1EEEvSI_
                                        ; -- End function
	.set _ZN7rocprim17ROCPRIM_400000_NS6detail17trampoline_kernelINS0_14default_configENS1_35radix_sort_onesweep_config_selectorIffEEZZNS1_29radix_sort_onesweep_iterationIS3_Lb0EN6thrust23THRUST_200600_302600_NS6detail15normal_iteratorINS8_10device_ptrIfEEEESD_SD_SD_jNS0_19identity_decomposerENS1_16block_id_wrapperIjLb1EEEEE10hipError_tT1_PNSt15iterator_traitsISI_E10value_typeET2_T3_PNSJ_ISO_E10value_typeET4_T5_PST_SU_PNS1_23onesweep_lookback_stateEbbT6_jjT7_P12ihipStream_tbENKUlT_T0_SI_SN_E_clISD_PfSD_S15_EEDaS11_S12_SI_SN_EUlS11_E_NS1_11comp_targetILNS1_3genE6ELNS1_11target_archE950ELNS1_3gpuE13ELNS1_3repE0EEENS1_47radix_sort_onesweep_sort_config_static_selectorELNS0_4arch9wavefront6targetE1EEEvSI_.num_vgpr, 53
	.set _ZN7rocprim17ROCPRIM_400000_NS6detail17trampoline_kernelINS0_14default_configENS1_35radix_sort_onesweep_config_selectorIffEEZZNS1_29radix_sort_onesweep_iterationIS3_Lb0EN6thrust23THRUST_200600_302600_NS6detail15normal_iteratorINS8_10device_ptrIfEEEESD_SD_SD_jNS0_19identity_decomposerENS1_16block_id_wrapperIjLb1EEEEE10hipError_tT1_PNSt15iterator_traitsISI_E10value_typeET2_T3_PNSJ_ISO_E10value_typeET4_T5_PST_SU_PNS1_23onesweep_lookback_stateEbbT6_jjT7_P12ihipStream_tbENKUlT_T0_SI_SN_E_clISD_PfSD_S15_EEDaS11_S12_SI_SN_EUlS11_E_NS1_11comp_targetILNS1_3genE6ELNS1_11target_archE950ELNS1_3gpuE13ELNS1_3repE0EEENS1_47radix_sort_onesweep_sort_config_static_selectorELNS0_4arch9wavefront6targetE1EEEvSI_.num_agpr, 0
	.set _ZN7rocprim17ROCPRIM_400000_NS6detail17trampoline_kernelINS0_14default_configENS1_35radix_sort_onesweep_config_selectorIffEEZZNS1_29radix_sort_onesweep_iterationIS3_Lb0EN6thrust23THRUST_200600_302600_NS6detail15normal_iteratorINS8_10device_ptrIfEEEESD_SD_SD_jNS0_19identity_decomposerENS1_16block_id_wrapperIjLb1EEEEE10hipError_tT1_PNSt15iterator_traitsISI_E10value_typeET2_T3_PNSJ_ISO_E10value_typeET4_T5_PST_SU_PNS1_23onesweep_lookback_stateEbbT6_jjT7_P12ihipStream_tbENKUlT_T0_SI_SN_E_clISD_PfSD_S15_EEDaS11_S12_SI_SN_EUlS11_E_NS1_11comp_targetILNS1_3genE6ELNS1_11target_archE950ELNS1_3gpuE13ELNS1_3repE0EEENS1_47radix_sort_onesweep_sort_config_static_selectorELNS0_4arch9wavefront6targetE1EEEvSI_.numbered_sgpr, 60
	.set _ZN7rocprim17ROCPRIM_400000_NS6detail17trampoline_kernelINS0_14default_configENS1_35radix_sort_onesweep_config_selectorIffEEZZNS1_29radix_sort_onesweep_iterationIS3_Lb0EN6thrust23THRUST_200600_302600_NS6detail15normal_iteratorINS8_10device_ptrIfEEEESD_SD_SD_jNS0_19identity_decomposerENS1_16block_id_wrapperIjLb1EEEEE10hipError_tT1_PNSt15iterator_traitsISI_E10value_typeET2_T3_PNSJ_ISO_E10value_typeET4_T5_PST_SU_PNS1_23onesweep_lookback_stateEbbT6_jjT7_P12ihipStream_tbENKUlT_T0_SI_SN_E_clISD_PfSD_S15_EEDaS11_S12_SI_SN_EUlS11_E_NS1_11comp_targetILNS1_3genE6ELNS1_11target_archE950ELNS1_3gpuE13ELNS1_3repE0EEENS1_47radix_sort_onesweep_sort_config_static_selectorELNS0_4arch9wavefront6targetE1EEEvSI_.num_named_barrier, 0
	.set _ZN7rocprim17ROCPRIM_400000_NS6detail17trampoline_kernelINS0_14default_configENS1_35radix_sort_onesweep_config_selectorIffEEZZNS1_29radix_sort_onesweep_iterationIS3_Lb0EN6thrust23THRUST_200600_302600_NS6detail15normal_iteratorINS8_10device_ptrIfEEEESD_SD_SD_jNS0_19identity_decomposerENS1_16block_id_wrapperIjLb1EEEEE10hipError_tT1_PNSt15iterator_traitsISI_E10value_typeET2_T3_PNSJ_ISO_E10value_typeET4_T5_PST_SU_PNS1_23onesweep_lookback_stateEbbT6_jjT7_P12ihipStream_tbENKUlT_T0_SI_SN_E_clISD_PfSD_S15_EEDaS11_S12_SI_SN_EUlS11_E_NS1_11comp_targetILNS1_3genE6ELNS1_11target_archE950ELNS1_3gpuE13ELNS1_3repE0EEENS1_47radix_sort_onesweep_sort_config_static_selectorELNS0_4arch9wavefront6targetE1EEEvSI_.private_seg_size, 48
	.set _ZN7rocprim17ROCPRIM_400000_NS6detail17trampoline_kernelINS0_14default_configENS1_35radix_sort_onesweep_config_selectorIffEEZZNS1_29radix_sort_onesweep_iterationIS3_Lb0EN6thrust23THRUST_200600_302600_NS6detail15normal_iteratorINS8_10device_ptrIfEEEESD_SD_SD_jNS0_19identity_decomposerENS1_16block_id_wrapperIjLb1EEEEE10hipError_tT1_PNSt15iterator_traitsISI_E10value_typeET2_T3_PNSJ_ISO_E10value_typeET4_T5_PST_SU_PNS1_23onesweep_lookback_stateEbbT6_jjT7_P12ihipStream_tbENKUlT_T0_SI_SN_E_clISD_PfSD_S15_EEDaS11_S12_SI_SN_EUlS11_E_NS1_11comp_targetILNS1_3genE6ELNS1_11target_archE950ELNS1_3gpuE13ELNS1_3repE0EEENS1_47radix_sort_onesweep_sort_config_static_selectorELNS0_4arch9wavefront6targetE1EEEvSI_.uses_vcc, 1
	.set _ZN7rocprim17ROCPRIM_400000_NS6detail17trampoline_kernelINS0_14default_configENS1_35radix_sort_onesweep_config_selectorIffEEZZNS1_29radix_sort_onesweep_iterationIS3_Lb0EN6thrust23THRUST_200600_302600_NS6detail15normal_iteratorINS8_10device_ptrIfEEEESD_SD_SD_jNS0_19identity_decomposerENS1_16block_id_wrapperIjLb1EEEEE10hipError_tT1_PNSt15iterator_traitsISI_E10value_typeET2_T3_PNSJ_ISO_E10value_typeET4_T5_PST_SU_PNS1_23onesweep_lookback_stateEbbT6_jjT7_P12ihipStream_tbENKUlT_T0_SI_SN_E_clISD_PfSD_S15_EEDaS11_S12_SI_SN_EUlS11_E_NS1_11comp_targetILNS1_3genE6ELNS1_11target_archE950ELNS1_3gpuE13ELNS1_3repE0EEENS1_47radix_sort_onesweep_sort_config_static_selectorELNS0_4arch9wavefront6targetE1EEEvSI_.uses_flat_scratch, 0
	.set _ZN7rocprim17ROCPRIM_400000_NS6detail17trampoline_kernelINS0_14default_configENS1_35radix_sort_onesweep_config_selectorIffEEZZNS1_29radix_sort_onesweep_iterationIS3_Lb0EN6thrust23THRUST_200600_302600_NS6detail15normal_iteratorINS8_10device_ptrIfEEEESD_SD_SD_jNS0_19identity_decomposerENS1_16block_id_wrapperIjLb1EEEEE10hipError_tT1_PNSt15iterator_traitsISI_E10value_typeET2_T3_PNSJ_ISO_E10value_typeET4_T5_PST_SU_PNS1_23onesweep_lookback_stateEbbT6_jjT7_P12ihipStream_tbENKUlT_T0_SI_SN_E_clISD_PfSD_S15_EEDaS11_S12_SI_SN_EUlS11_E_NS1_11comp_targetILNS1_3genE6ELNS1_11target_archE950ELNS1_3gpuE13ELNS1_3repE0EEENS1_47radix_sort_onesweep_sort_config_static_selectorELNS0_4arch9wavefront6targetE1EEEvSI_.has_dyn_sized_stack, 0
	.set _ZN7rocprim17ROCPRIM_400000_NS6detail17trampoline_kernelINS0_14default_configENS1_35radix_sort_onesweep_config_selectorIffEEZZNS1_29radix_sort_onesweep_iterationIS3_Lb0EN6thrust23THRUST_200600_302600_NS6detail15normal_iteratorINS8_10device_ptrIfEEEESD_SD_SD_jNS0_19identity_decomposerENS1_16block_id_wrapperIjLb1EEEEE10hipError_tT1_PNSt15iterator_traitsISI_E10value_typeET2_T3_PNSJ_ISO_E10value_typeET4_T5_PST_SU_PNS1_23onesweep_lookback_stateEbbT6_jjT7_P12ihipStream_tbENKUlT_T0_SI_SN_E_clISD_PfSD_S15_EEDaS11_S12_SI_SN_EUlS11_E_NS1_11comp_targetILNS1_3genE6ELNS1_11target_archE950ELNS1_3gpuE13ELNS1_3repE0EEENS1_47radix_sort_onesweep_sort_config_static_selectorELNS0_4arch9wavefront6targetE1EEEvSI_.has_recursion, 0
	.set _ZN7rocprim17ROCPRIM_400000_NS6detail17trampoline_kernelINS0_14default_configENS1_35radix_sort_onesweep_config_selectorIffEEZZNS1_29radix_sort_onesweep_iterationIS3_Lb0EN6thrust23THRUST_200600_302600_NS6detail15normal_iteratorINS8_10device_ptrIfEEEESD_SD_SD_jNS0_19identity_decomposerENS1_16block_id_wrapperIjLb1EEEEE10hipError_tT1_PNSt15iterator_traitsISI_E10value_typeET2_T3_PNSJ_ISO_E10value_typeET4_T5_PST_SU_PNS1_23onesweep_lookback_stateEbbT6_jjT7_P12ihipStream_tbENKUlT_T0_SI_SN_E_clISD_PfSD_S15_EEDaS11_S12_SI_SN_EUlS11_E_NS1_11comp_targetILNS1_3genE6ELNS1_11target_archE950ELNS1_3gpuE13ELNS1_3repE0EEENS1_47radix_sort_onesweep_sort_config_static_selectorELNS0_4arch9wavefront6targetE1EEEvSI_.has_indirect_call, 0
	.section	.AMDGPU.csdata,"",@progbits
; Kernel info:
; codeLenInByte = 13876
; TotalNumSgprs: 66
; NumVgprs: 53
; NumAgprs: 0
; TotalNumVgprs: 53
; ScratchSize: 48
; MemoryBound: 0
; FloatMode: 240
; IeeeMode: 1
; LDSByteSize: 53328 bytes/workgroup (compile time only)
; SGPRBlocks: 8
; VGPRBlocks: 6
; NumSGPRsForWavesPerEU: 66
; NumVGPRsForWavesPerEU: 53
; AccumOffset: 56
; Occupancy: 8
; WaveLimiterHint : 1
; COMPUTE_PGM_RSRC2:SCRATCH_EN: 1
; COMPUTE_PGM_RSRC2:USER_SGPR: 4
; COMPUTE_PGM_RSRC2:TRAP_HANDLER: 0
; COMPUTE_PGM_RSRC2:TGID_X_EN: 1
; COMPUTE_PGM_RSRC2:TGID_Y_EN: 0
; COMPUTE_PGM_RSRC2:TGID_Z_EN: 0
; COMPUTE_PGM_RSRC2:TIDIG_COMP_CNT: 2
; COMPUTE_PGM_RSRC3_GFX90A:ACCUM_OFFSET: 13
; COMPUTE_PGM_RSRC3_GFX90A:TG_SPLIT: 0
	.section	.text._ZN7rocprim17ROCPRIM_400000_NS6detail17trampoline_kernelINS0_14default_configENS1_35radix_sort_onesweep_config_selectorIffEEZZNS1_29radix_sort_onesweep_iterationIS3_Lb0EN6thrust23THRUST_200600_302600_NS6detail15normal_iteratorINS8_10device_ptrIfEEEESD_SD_SD_jNS0_19identity_decomposerENS1_16block_id_wrapperIjLb1EEEEE10hipError_tT1_PNSt15iterator_traitsISI_E10value_typeET2_T3_PNSJ_ISO_E10value_typeET4_T5_PST_SU_PNS1_23onesweep_lookback_stateEbbT6_jjT7_P12ihipStream_tbENKUlT_T0_SI_SN_E_clISD_PfSD_S15_EEDaS11_S12_SI_SN_EUlS11_E_NS1_11comp_targetILNS1_3genE5ELNS1_11target_archE942ELNS1_3gpuE9ELNS1_3repE0EEENS1_47radix_sort_onesweep_sort_config_static_selectorELNS0_4arch9wavefront6targetE1EEEvSI_,"axG",@progbits,_ZN7rocprim17ROCPRIM_400000_NS6detail17trampoline_kernelINS0_14default_configENS1_35radix_sort_onesweep_config_selectorIffEEZZNS1_29radix_sort_onesweep_iterationIS3_Lb0EN6thrust23THRUST_200600_302600_NS6detail15normal_iteratorINS8_10device_ptrIfEEEESD_SD_SD_jNS0_19identity_decomposerENS1_16block_id_wrapperIjLb1EEEEE10hipError_tT1_PNSt15iterator_traitsISI_E10value_typeET2_T3_PNSJ_ISO_E10value_typeET4_T5_PST_SU_PNS1_23onesweep_lookback_stateEbbT6_jjT7_P12ihipStream_tbENKUlT_T0_SI_SN_E_clISD_PfSD_S15_EEDaS11_S12_SI_SN_EUlS11_E_NS1_11comp_targetILNS1_3genE5ELNS1_11target_archE942ELNS1_3gpuE9ELNS1_3repE0EEENS1_47radix_sort_onesweep_sort_config_static_selectorELNS0_4arch9wavefront6targetE1EEEvSI_,comdat
	.protected	_ZN7rocprim17ROCPRIM_400000_NS6detail17trampoline_kernelINS0_14default_configENS1_35radix_sort_onesweep_config_selectorIffEEZZNS1_29radix_sort_onesweep_iterationIS3_Lb0EN6thrust23THRUST_200600_302600_NS6detail15normal_iteratorINS8_10device_ptrIfEEEESD_SD_SD_jNS0_19identity_decomposerENS1_16block_id_wrapperIjLb1EEEEE10hipError_tT1_PNSt15iterator_traitsISI_E10value_typeET2_T3_PNSJ_ISO_E10value_typeET4_T5_PST_SU_PNS1_23onesweep_lookback_stateEbbT6_jjT7_P12ihipStream_tbENKUlT_T0_SI_SN_E_clISD_PfSD_S15_EEDaS11_S12_SI_SN_EUlS11_E_NS1_11comp_targetILNS1_3genE5ELNS1_11target_archE942ELNS1_3gpuE9ELNS1_3repE0EEENS1_47radix_sort_onesweep_sort_config_static_selectorELNS0_4arch9wavefront6targetE1EEEvSI_ ; -- Begin function _ZN7rocprim17ROCPRIM_400000_NS6detail17trampoline_kernelINS0_14default_configENS1_35radix_sort_onesweep_config_selectorIffEEZZNS1_29radix_sort_onesweep_iterationIS3_Lb0EN6thrust23THRUST_200600_302600_NS6detail15normal_iteratorINS8_10device_ptrIfEEEESD_SD_SD_jNS0_19identity_decomposerENS1_16block_id_wrapperIjLb1EEEEE10hipError_tT1_PNSt15iterator_traitsISI_E10value_typeET2_T3_PNSJ_ISO_E10value_typeET4_T5_PST_SU_PNS1_23onesweep_lookback_stateEbbT6_jjT7_P12ihipStream_tbENKUlT_T0_SI_SN_E_clISD_PfSD_S15_EEDaS11_S12_SI_SN_EUlS11_E_NS1_11comp_targetILNS1_3genE5ELNS1_11target_archE942ELNS1_3gpuE9ELNS1_3repE0EEENS1_47radix_sort_onesweep_sort_config_static_selectorELNS0_4arch9wavefront6targetE1EEEvSI_
	.globl	_ZN7rocprim17ROCPRIM_400000_NS6detail17trampoline_kernelINS0_14default_configENS1_35radix_sort_onesweep_config_selectorIffEEZZNS1_29radix_sort_onesweep_iterationIS3_Lb0EN6thrust23THRUST_200600_302600_NS6detail15normal_iteratorINS8_10device_ptrIfEEEESD_SD_SD_jNS0_19identity_decomposerENS1_16block_id_wrapperIjLb1EEEEE10hipError_tT1_PNSt15iterator_traitsISI_E10value_typeET2_T3_PNSJ_ISO_E10value_typeET4_T5_PST_SU_PNS1_23onesweep_lookback_stateEbbT6_jjT7_P12ihipStream_tbENKUlT_T0_SI_SN_E_clISD_PfSD_S15_EEDaS11_S12_SI_SN_EUlS11_E_NS1_11comp_targetILNS1_3genE5ELNS1_11target_archE942ELNS1_3gpuE9ELNS1_3repE0EEENS1_47radix_sort_onesweep_sort_config_static_selectorELNS0_4arch9wavefront6targetE1EEEvSI_
	.p2align	8
	.type	_ZN7rocprim17ROCPRIM_400000_NS6detail17trampoline_kernelINS0_14default_configENS1_35radix_sort_onesweep_config_selectorIffEEZZNS1_29radix_sort_onesweep_iterationIS3_Lb0EN6thrust23THRUST_200600_302600_NS6detail15normal_iteratorINS8_10device_ptrIfEEEESD_SD_SD_jNS0_19identity_decomposerENS1_16block_id_wrapperIjLb1EEEEE10hipError_tT1_PNSt15iterator_traitsISI_E10value_typeET2_T3_PNSJ_ISO_E10value_typeET4_T5_PST_SU_PNS1_23onesweep_lookback_stateEbbT6_jjT7_P12ihipStream_tbENKUlT_T0_SI_SN_E_clISD_PfSD_S15_EEDaS11_S12_SI_SN_EUlS11_E_NS1_11comp_targetILNS1_3genE5ELNS1_11target_archE942ELNS1_3gpuE9ELNS1_3repE0EEENS1_47radix_sort_onesweep_sort_config_static_selectorELNS0_4arch9wavefront6targetE1EEEvSI_,@function
_ZN7rocprim17ROCPRIM_400000_NS6detail17trampoline_kernelINS0_14default_configENS1_35radix_sort_onesweep_config_selectorIffEEZZNS1_29radix_sort_onesweep_iterationIS3_Lb0EN6thrust23THRUST_200600_302600_NS6detail15normal_iteratorINS8_10device_ptrIfEEEESD_SD_SD_jNS0_19identity_decomposerENS1_16block_id_wrapperIjLb1EEEEE10hipError_tT1_PNSt15iterator_traitsISI_E10value_typeET2_T3_PNSJ_ISO_E10value_typeET4_T5_PST_SU_PNS1_23onesweep_lookback_stateEbbT6_jjT7_P12ihipStream_tbENKUlT_T0_SI_SN_E_clISD_PfSD_S15_EEDaS11_S12_SI_SN_EUlS11_E_NS1_11comp_targetILNS1_3genE5ELNS1_11target_archE942ELNS1_3gpuE9ELNS1_3repE0EEENS1_47radix_sort_onesweep_sort_config_static_selectorELNS0_4arch9wavefront6targetE1EEEvSI_: ; @_ZN7rocprim17ROCPRIM_400000_NS6detail17trampoline_kernelINS0_14default_configENS1_35radix_sort_onesweep_config_selectorIffEEZZNS1_29radix_sort_onesweep_iterationIS3_Lb0EN6thrust23THRUST_200600_302600_NS6detail15normal_iteratorINS8_10device_ptrIfEEEESD_SD_SD_jNS0_19identity_decomposerENS1_16block_id_wrapperIjLb1EEEEE10hipError_tT1_PNSt15iterator_traitsISI_E10value_typeET2_T3_PNSJ_ISO_E10value_typeET4_T5_PST_SU_PNS1_23onesweep_lookback_stateEbbT6_jjT7_P12ihipStream_tbENKUlT_T0_SI_SN_E_clISD_PfSD_S15_EEDaS11_S12_SI_SN_EUlS11_E_NS1_11comp_targetILNS1_3genE5ELNS1_11target_archE942ELNS1_3gpuE9ELNS1_3repE0EEENS1_47radix_sort_onesweep_sort_config_static_selectorELNS0_4arch9wavefront6targetE1EEEvSI_
; %bb.0:
	.section	.rodata,"a",@progbits
	.p2align	6, 0x0
	.amdhsa_kernel _ZN7rocprim17ROCPRIM_400000_NS6detail17trampoline_kernelINS0_14default_configENS1_35radix_sort_onesweep_config_selectorIffEEZZNS1_29radix_sort_onesweep_iterationIS3_Lb0EN6thrust23THRUST_200600_302600_NS6detail15normal_iteratorINS8_10device_ptrIfEEEESD_SD_SD_jNS0_19identity_decomposerENS1_16block_id_wrapperIjLb1EEEEE10hipError_tT1_PNSt15iterator_traitsISI_E10value_typeET2_T3_PNSJ_ISO_E10value_typeET4_T5_PST_SU_PNS1_23onesweep_lookback_stateEbbT6_jjT7_P12ihipStream_tbENKUlT_T0_SI_SN_E_clISD_PfSD_S15_EEDaS11_S12_SI_SN_EUlS11_E_NS1_11comp_targetILNS1_3genE5ELNS1_11target_archE942ELNS1_3gpuE9ELNS1_3repE0EEENS1_47radix_sort_onesweep_sort_config_static_selectorELNS0_4arch9wavefront6targetE1EEEvSI_
		.amdhsa_group_segment_fixed_size 0
		.amdhsa_private_segment_fixed_size 0
		.amdhsa_kernarg_size 88
		.amdhsa_user_sgpr_count 2
		.amdhsa_user_sgpr_dispatch_ptr 0
		.amdhsa_user_sgpr_queue_ptr 0
		.amdhsa_user_sgpr_kernarg_segment_ptr 1
		.amdhsa_user_sgpr_dispatch_id 0
		.amdhsa_user_sgpr_kernarg_preload_length 0
		.amdhsa_user_sgpr_kernarg_preload_offset 0
		.amdhsa_user_sgpr_private_segment_size 0
		.amdhsa_uses_dynamic_stack 0
		.amdhsa_enable_private_segment 0
		.amdhsa_system_sgpr_workgroup_id_x 1
		.amdhsa_system_sgpr_workgroup_id_y 0
		.amdhsa_system_sgpr_workgroup_id_z 0
		.amdhsa_system_sgpr_workgroup_info 0
		.amdhsa_system_vgpr_workitem_id 0
		.amdhsa_next_free_vgpr 1
		.amdhsa_next_free_sgpr 0
		.amdhsa_accum_offset 4
		.amdhsa_reserve_vcc 0
		.amdhsa_float_round_mode_32 0
		.amdhsa_float_round_mode_16_64 0
		.amdhsa_float_denorm_mode_32 3
		.amdhsa_float_denorm_mode_16_64 3
		.amdhsa_dx10_clamp 1
		.amdhsa_ieee_mode 1
		.amdhsa_fp16_overflow 0
		.amdhsa_tg_split 0
		.amdhsa_exception_fp_ieee_invalid_op 0
		.amdhsa_exception_fp_denorm_src 0
		.amdhsa_exception_fp_ieee_div_zero 0
		.amdhsa_exception_fp_ieee_overflow 0
		.amdhsa_exception_fp_ieee_underflow 0
		.amdhsa_exception_fp_ieee_inexact 0
		.amdhsa_exception_int_div_zero 0
	.end_amdhsa_kernel
	.section	.text._ZN7rocprim17ROCPRIM_400000_NS6detail17trampoline_kernelINS0_14default_configENS1_35radix_sort_onesweep_config_selectorIffEEZZNS1_29radix_sort_onesweep_iterationIS3_Lb0EN6thrust23THRUST_200600_302600_NS6detail15normal_iteratorINS8_10device_ptrIfEEEESD_SD_SD_jNS0_19identity_decomposerENS1_16block_id_wrapperIjLb1EEEEE10hipError_tT1_PNSt15iterator_traitsISI_E10value_typeET2_T3_PNSJ_ISO_E10value_typeET4_T5_PST_SU_PNS1_23onesweep_lookback_stateEbbT6_jjT7_P12ihipStream_tbENKUlT_T0_SI_SN_E_clISD_PfSD_S15_EEDaS11_S12_SI_SN_EUlS11_E_NS1_11comp_targetILNS1_3genE5ELNS1_11target_archE942ELNS1_3gpuE9ELNS1_3repE0EEENS1_47radix_sort_onesweep_sort_config_static_selectorELNS0_4arch9wavefront6targetE1EEEvSI_,"axG",@progbits,_ZN7rocprim17ROCPRIM_400000_NS6detail17trampoline_kernelINS0_14default_configENS1_35radix_sort_onesweep_config_selectorIffEEZZNS1_29radix_sort_onesweep_iterationIS3_Lb0EN6thrust23THRUST_200600_302600_NS6detail15normal_iteratorINS8_10device_ptrIfEEEESD_SD_SD_jNS0_19identity_decomposerENS1_16block_id_wrapperIjLb1EEEEE10hipError_tT1_PNSt15iterator_traitsISI_E10value_typeET2_T3_PNSJ_ISO_E10value_typeET4_T5_PST_SU_PNS1_23onesweep_lookback_stateEbbT6_jjT7_P12ihipStream_tbENKUlT_T0_SI_SN_E_clISD_PfSD_S15_EEDaS11_S12_SI_SN_EUlS11_E_NS1_11comp_targetILNS1_3genE5ELNS1_11target_archE942ELNS1_3gpuE9ELNS1_3repE0EEENS1_47radix_sort_onesweep_sort_config_static_selectorELNS0_4arch9wavefront6targetE1EEEvSI_,comdat
.Lfunc_end316:
	.size	_ZN7rocprim17ROCPRIM_400000_NS6detail17trampoline_kernelINS0_14default_configENS1_35radix_sort_onesweep_config_selectorIffEEZZNS1_29radix_sort_onesweep_iterationIS3_Lb0EN6thrust23THRUST_200600_302600_NS6detail15normal_iteratorINS8_10device_ptrIfEEEESD_SD_SD_jNS0_19identity_decomposerENS1_16block_id_wrapperIjLb1EEEEE10hipError_tT1_PNSt15iterator_traitsISI_E10value_typeET2_T3_PNSJ_ISO_E10value_typeET4_T5_PST_SU_PNS1_23onesweep_lookback_stateEbbT6_jjT7_P12ihipStream_tbENKUlT_T0_SI_SN_E_clISD_PfSD_S15_EEDaS11_S12_SI_SN_EUlS11_E_NS1_11comp_targetILNS1_3genE5ELNS1_11target_archE942ELNS1_3gpuE9ELNS1_3repE0EEENS1_47radix_sort_onesweep_sort_config_static_selectorELNS0_4arch9wavefront6targetE1EEEvSI_, .Lfunc_end316-_ZN7rocprim17ROCPRIM_400000_NS6detail17trampoline_kernelINS0_14default_configENS1_35radix_sort_onesweep_config_selectorIffEEZZNS1_29radix_sort_onesweep_iterationIS3_Lb0EN6thrust23THRUST_200600_302600_NS6detail15normal_iteratorINS8_10device_ptrIfEEEESD_SD_SD_jNS0_19identity_decomposerENS1_16block_id_wrapperIjLb1EEEEE10hipError_tT1_PNSt15iterator_traitsISI_E10value_typeET2_T3_PNSJ_ISO_E10value_typeET4_T5_PST_SU_PNS1_23onesweep_lookback_stateEbbT6_jjT7_P12ihipStream_tbENKUlT_T0_SI_SN_E_clISD_PfSD_S15_EEDaS11_S12_SI_SN_EUlS11_E_NS1_11comp_targetILNS1_3genE5ELNS1_11target_archE942ELNS1_3gpuE9ELNS1_3repE0EEENS1_47radix_sort_onesweep_sort_config_static_selectorELNS0_4arch9wavefront6targetE1EEEvSI_
                                        ; -- End function
	.set _ZN7rocprim17ROCPRIM_400000_NS6detail17trampoline_kernelINS0_14default_configENS1_35radix_sort_onesweep_config_selectorIffEEZZNS1_29radix_sort_onesweep_iterationIS3_Lb0EN6thrust23THRUST_200600_302600_NS6detail15normal_iteratorINS8_10device_ptrIfEEEESD_SD_SD_jNS0_19identity_decomposerENS1_16block_id_wrapperIjLb1EEEEE10hipError_tT1_PNSt15iterator_traitsISI_E10value_typeET2_T3_PNSJ_ISO_E10value_typeET4_T5_PST_SU_PNS1_23onesweep_lookback_stateEbbT6_jjT7_P12ihipStream_tbENKUlT_T0_SI_SN_E_clISD_PfSD_S15_EEDaS11_S12_SI_SN_EUlS11_E_NS1_11comp_targetILNS1_3genE5ELNS1_11target_archE942ELNS1_3gpuE9ELNS1_3repE0EEENS1_47radix_sort_onesweep_sort_config_static_selectorELNS0_4arch9wavefront6targetE1EEEvSI_.num_vgpr, 0
	.set _ZN7rocprim17ROCPRIM_400000_NS6detail17trampoline_kernelINS0_14default_configENS1_35radix_sort_onesweep_config_selectorIffEEZZNS1_29radix_sort_onesweep_iterationIS3_Lb0EN6thrust23THRUST_200600_302600_NS6detail15normal_iteratorINS8_10device_ptrIfEEEESD_SD_SD_jNS0_19identity_decomposerENS1_16block_id_wrapperIjLb1EEEEE10hipError_tT1_PNSt15iterator_traitsISI_E10value_typeET2_T3_PNSJ_ISO_E10value_typeET4_T5_PST_SU_PNS1_23onesweep_lookback_stateEbbT6_jjT7_P12ihipStream_tbENKUlT_T0_SI_SN_E_clISD_PfSD_S15_EEDaS11_S12_SI_SN_EUlS11_E_NS1_11comp_targetILNS1_3genE5ELNS1_11target_archE942ELNS1_3gpuE9ELNS1_3repE0EEENS1_47radix_sort_onesweep_sort_config_static_selectorELNS0_4arch9wavefront6targetE1EEEvSI_.num_agpr, 0
	.set _ZN7rocprim17ROCPRIM_400000_NS6detail17trampoline_kernelINS0_14default_configENS1_35radix_sort_onesweep_config_selectorIffEEZZNS1_29radix_sort_onesweep_iterationIS3_Lb0EN6thrust23THRUST_200600_302600_NS6detail15normal_iteratorINS8_10device_ptrIfEEEESD_SD_SD_jNS0_19identity_decomposerENS1_16block_id_wrapperIjLb1EEEEE10hipError_tT1_PNSt15iterator_traitsISI_E10value_typeET2_T3_PNSJ_ISO_E10value_typeET4_T5_PST_SU_PNS1_23onesweep_lookback_stateEbbT6_jjT7_P12ihipStream_tbENKUlT_T0_SI_SN_E_clISD_PfSD_S15_EEDaS11_S12_SI_SN_EUlS11_E_NS1_11comp_targetILNS1_3genE5ELNS1_11target_archE942ELNS1_3gpuE9ELNS1_3repE0EEENS1_47radix_sort_onesweep_sort_config_static_selectorELNS0_4arch9wavefront6targetE1EEEvSI_.numbered_sgpr, 0
	.set _ZN7rocprim17ROCPRIM_400000_NS6detail17trampoline_kernelINS0_14default_configENS1_35radix_sort_onesweep_config_selectorIffEEZZNS1_29radix_sort_onesweep_iterationIS3_Lb0EN6thrust23THRUST_200600_302600_NS6detail15normal_iteratorINS8_10device_ptrIfEEEESD_SD_SD_jNS0_19identity_decomposerENS1_16block_id_wrapperIjLb1EEEEE10hipError_tT1_PNSt15iterator_traitsISI_E10value_typeET2_T3_PNSJ_ISO_E10value_typeET4_T5_PST_SU_PNS1_23onesweep_lookback_stateEbbT6_jjT7_P12ihipStream_tbENKUlT_T0_SI_SN_E_clISD_PfSD_S15_EEDaS11_S12_SI_SN_EUlS11_E_NS1_11comp_targetILNS1_3genE5ELNS1_11target_archE942ELNS1_3gpuE9ELNS1_3repE0EEENS1_47radix_sort_onesweep_sort_config_static_selectorELNS0_4arch9wavefront6targetE1EEEvSI_.num_named_barrier, 0
	.set _ZN7rocprim17ROCPRIM_400000_NS6detail17trampoline_kernelINS0_14default_configENS1_35radix_sort_onesweep_config_selectorIffEEZZNS1_29radix_sort_onesweep_iterationIS3_Lb0EN6thrust23THRUST_200600_302600_NS6detail15normal_iteratorINS8_10device_ptrIfEEEESD_SD_SD_jNS0_19identity_decomposerENS1_16block_id_wrapperIjLb1EEEEE10hipError_tT1_PNSt15iterator_traitsISI_E10value_typeET2_T3_PNSJ_ISO_E10value_typeET4_T5_PST_SU_PNS1_23onesweep_lookback_stateEbbT6_jjT7_P12ihipStream_tbENKUlT_T0_SI_SN_E_clISD_PfSD_S15_EEDaS11_S12_SI_SN_EUlS11_E_NS1_11comp_targetILNS1_3genE5ELNS1_11target_archE942ELNS1_3gpuE9ELNS1_3repE0EEENS1_47radix_sort_onesweep_sort_config_static_selectorELNS0_4arch9wavefront6targetE1EEEvSI_.private_seg_size, 0
	.set _ZN7rocprim17ROCPRIM_400000_NS6detail17trampoline_kernelINS0_14default_configENS1_35radix_sort_onesweep_config_selectorIffEEZZNS1_29radix_sort_onesweep_iterationIS3_Lb0EN6thrust23THRUST_200600_302600_NS6detail15normal_iteratorINS8_10device_ptrIfEEEESD_SD_SD_jNS0_19identity_decomposerENS1_16block_id_wrapperIjLb1EEEEE10hipError_tT1_PNSt15iterator_traitsISI_E10value_typeET2_T3_PNSJ_ISO_E10value_typeET4_T5_PST_SU_PNS1_23onesweep_lookback_stateEbbT6_jjT7_P12ihipStream_tbENKUlT_T0_SI_SN_E_clISD_PfSD_S15_EEDaS11_S12_SI_SN_EUlS11_E_NS1_11comp_targetILNS1_3genE5ELNS1_11target_archE942ELNS1_3gpuE9ELNS1_3repE0EEENS1_47radix_sort_onesweep_sort_config_static_selectorELNS0_4arch9wavefront6targetE1EEEvSI_.uses_vcc, 0
	.set _ZN7rocprim17ROCPRIM_400000_NS6detail17trampoline_kernelINS0_14default_configENS1_35radix_sort_onesweep_config_selectorIffEEZZNS1_29radix_sort_onesweep_iterationIS3_Lb0EN6thrust23THRUST_200600_302600_NS6detail15normal_iteratorINS8_10device_ptrIfEEEESD_SD_SD_jNS0_19identity_decomposerENS1_16block_id_wrapperIjLb1EEEEE10hipError_tT1_PNSt15iterator_traitsISI_E10value_typeET2_T3_PNSJ_ISO_E10value_typeET4_T5_PST_SU_PNS1_23onesweep_lookback_stateEbbT6_jjT7_P12ihipStream_tbENKUlT_T0_SI_SN_E_clISD_PfSD_S15_EEDaS11_S12_SI_SN_EUlS11_E_NS1_11comp_targetILNS1_3genE5ELNS1_11target_archE942ELNS1_3gpuE9ELNS1_3repE0EEENS1_47radix_sort_onesweep_sort_config_static_selectorELNS0_4arch9wavefront6targetE1EEEvSI_.uses_flat_scratch, 0
	.set _ZN7rocprim17ROCPRIM_400000_NS6detail17trampoline_kernelINS0_14default_configENS1_35radix_sort_onesweep_config_selectorIffEEZZNS1_29radix_sort_onesweep_iterationIS3_Lb0EN6thrust23THRUST_200600_302600_NS6detail15normal_iteratorINS8_10device_ptrIfEEEESD_SD_SD_jNS0_19identity_decomposerENS1_16block_id_wrapperIjLb1EEEEE10hipError_tT1_PNSt15iterator_traitsISI_E10value_typeET2_T3_PNSJ_ISO_E10value_typeET4_T5_PST_SU_PNS1_23onesweep_lookback_stateEbbT6_jjT7_P12ihipStream_tbENKUlT_T0_SI_SN_E_clISD_PfSD_S15_EEDaS11_S12_SI_SN_EUlS11_E_NS1_11comp_targetILNS1_3genE5ELNS1_11target_archE942ELNS1_3gpuE9ELNS1_3repE0EEENS1_47radix_sort_onesweep_sort_config_static_selectorELNS0_4arch9wavefront6targetE1EEEvSI_.has_dyn_sized_stack, 0
	.set _ZN7rocprim17ROCPRIM_400000_NS6detail17trampoline_kernelINS0_14default_configENS1_35radix_sort_onesweep_config_selectorIffEEZZNS1_29radix_sort_onesweep_iterationIS3_Lb0EN6thrust23THRUST_200600_302600_NS6detail15normal_iteratorINS8_10device_ptrIfEEEESD_SD_SD_jNS0_19identity_decomposerENS1_16block_id_wrapperIjLb1EEEEE10hipError_tT1_PNSt15iterator_traitsISI_E10value_typeET2_T3_PNSJ_ISO_E10value_typeET4_T5_PST_SU_PNS1_23onesweep_lookback_stateEbbT6_jjT7_P12ihipStream_tbENKUlT_T0_SI_SN_E_clISD_PfSD_S15_EEDaS11_S12_SI_SN_EUlS11_E_NS1_11comp_targetILNS1_3genE5ELNS1_11target_archE942ELNS1_3gpuE9ELNS1_3repE0EEENS1_47radix_sort_onesweep_sort_config_static_selectorELNS0_4arch9wavefront6targetE1EEEvSI_.has_recursion, 0
	.set _ZN7rocprim17ROCPRIM_400000_NS6detail17trampoline_kernelINS0_14default_configENS1_35radix_sort_onesweep_config_selectorIffEEZZNS1_29radix_sort_onesweep_iterationIS3_Lb0EN6thrust23THRUST_200600_302600_NS6detail15normal_iteratorINS8_10device_ptrIfEEEESD_SD_SD_jNS0_19identity_decomposerENS1_16block_id_wrapperIjLb1EEEEE10hipError_tT1_PNSt15iterator_traitsISI_E10value_typeET2_T3_PNSJ_ISO_E10value_typeET4_T5_PST_SU_PNS1_23onesweep_lookback_stateEbbT6_jjT7_P12ihipStream_tbENKUlT_T0_SI_SN_E_clISD_PfSD_S15_EEDaS11_S12_SI_SN_EUlS11_E_NS1_11comp_targetILNS1_3genE5ELNS1_11target_archE942ELNS1_3gpuE9ELNS1_3repE0EEENS1_47radix_sort_onesweep_sort_config_static_selectorELNS0_4arch9wavefront6targetE1EEEvSI_.has_indirect_call, 0
	.section	.AMDGPU.csdata,"",@progbits
; Kernel info:
; codeLenInByte = 0
; TotalNumSgprs: 6
; NumVgprs: 0
; NumAgprs: 0
; TotalNumVgprs: 0
; ScratchSize: 0
; MemoryBound: 0
; FloatMode: 240
; IeeeMode: 1
; LDSByteSize: 0 bytes/workgroup (compile time only)
; SGPRBlocks: 0
; VGPRBlocks: 0
; NumSGPRsForWavesPerEU: 6
; NumVGPRsForWavesPerEU: 1
; AccumOffset: 4
; Occupancy: 8
; WaveLimiterHint : 0
; COMPUTE_PGM_RSRC2:SCRATCH_EN: 0
; COMPUTE_PGM_RSRC2:USER_SGPR: 2
; COMPUTE_PGM_RSRC2:TRAP_HANDLER: 0
; COMPUTE_PGM_RSRC2:TGID_X_EN: 1
; COMPUTE_PGM_RSRC2:TGID_Y_EN: 0
; COMPUTE_PGM_RSRC2:TGID_Z_EN: 0
; COMPUTE_PGM_RSRC2:TIDIG_COMP_CNT: 0
; COMPUTE_PGM_RSRC3_GFX90A:ACCUM_OFFSET: 0
; COMPUTE_PGM_RSRC3_GFX90A:TG_SPLIT: 0
	.section	.text._ZN7rocprim17ROCPRIM_400000_NS6detail17trampoline_kernelINS0_14default_configENS1_35radix_sort_onesweep_config_selectorIffEEZZNS1_29radix_sort_onesweep_iterationIS3_Lb0EN6thrust23THRUST_200600_302600_NS6detail15normal_iteratorINS8_10device_ptrIfEEEESD_SD_SD_jNS0_19identity_decomposerENS1_16block_id_wrapperIjLb1EEEEE10hipError_tT1_PNSt15iterator_traitsISI_E10value_typeET2_T3_PNSJ_ISO_E10value_typeET4_T5_PST_SU_PNS1_23onesweep_lookback_stateEbbT6_jjT7_P12ihipStream_tbENKUlT_T0_SI_SN_E_clISD_PfSD_S15_EEDaS11_S12_SI_SN_EUlS11_E_NS1_11comp_targetILNS1_3genE2ELNS1_11target_archE906ELNS1_3gpuE6ELNS1_3repE0EEENS1_47radix_sort_onesweep_sort_config_static_selectorELNS0_4arch9wavefront6targetE1EEEvSI_,"axG",@progbits,_ZN7rocprim17ROCPRIM_400000_NS6detail17trampoline_kernelINS0_14default_configENS1_35radix_sort_onesweep_config_selectorIffEEZZNS1_29radix_sort_onesweep_iterationIS3_Lb0EN6thrust23THRUST_200600_302600_NS6detail15normal_iteratorINS8_10device_ptrIfEEEESD_SD_SD_jNS0_19identity_decomposerENS1_16block_id_wrapperIjLb1EEEEE10hipError_tT1_PNSt15iterator_traitsISI_E10value_typeET2_T3_PNSJ_ISO_E10value_typeET4_T5_PST_SU_PNS1_23onesweep_lookback_stateEbbT6_jjT7_P12ihipStream_tbENKUlT_T0_SI_SN_E_clISD_PfSD_S15_EEDaS11_S12_SI_SN_EUlS11_E_NS1_11comp_targetILNS1_3genE2ELNS1_11target_archE906ELNS1_3gpuE6ELNS1_3repE0EEENS1_47radix_sort_onesweep_sort_config_static_selectorELNS0_4arch9wavefront6targetE1EEEvSI_,comdat
	.protected	_ZN7rocprim17ROCPRIM_400000_NS6detail17trampoline_kernelINS0_14default_configENS1_35radix_sort_onesweep_config_selectorIffEEZZNS1_29radix_sort_onesweep_iterationIS3_Lb0EN6thrust23THRUST_200600_302600_NS6detail15normal_iteratorINS8_10device_ptrIfEEEESD_SD_SD_jNS0_19identity_decomposerENS1_16block_id_wrapperIjLb1EEEEE10hipError_tT1_PNSt15iterator_traitsISI_E10value_typeET2_T3_PNSJ_ISO_E10value_typeET4_T5_PST_SU_PNS1_23onesweep_lookback_stateEbbT6_jjT7_P12ihipStream_tbENKUlT_T0_SI_SN_E_clISD_PfSD_S15_EEDaS11_S12_SI_SN_EUlS11_E_NS1_11comp_targetILNS1_3genE2ELNS1_11target_archE906ELNS1_3gpuE6ELNS1_3repE0EEENS1_47radix_sort_onesweep_sort_config_static_selectorELNS0_4arch9wavefront6targetE1EEEvSI_ ; -- Begin function _ZN7rocprim17ROCPRIM_400000_NS6detail17trampoline_kernelINS0_14default_configENS1_35radix_sort_onesweep_config_selectorIffEEZZNS1_29radix_sort_onesweep_iterationIS3_Lb0EN6thrust23THRUST_200600_302600_NS6detail15normal_iteratorINS8_10device_ptrIfEEEESD_SD_SD_jNS0_19identity_decomposerENS1_16block_id_wrapperIjLb1EEEEE10hipError_tT1_PNSt15iterator_traitsISI_E10value_typeET2_T3_PNSJ_ISO_E10value_typeET4_T5_PST_SU_PNS1_23onesweep_lookback_stateEbbT6_jjT7_P12ihipStream_tbENKUlT_T0_SI_SN_E_clISD_PfSD_S15_EEDaS11_S12_SI_SN_EUlS11_E_NS1_11comp_targetILNS1_3genE2ELNS1_11target_archE906ELNS1_3gpuE6ELNS1_3repE0EEENS1_47radix_sort_onesweep_sort_config_static_selectorELNS0_4arch9wavefront6targetE1EEEvSI_
	.globl	_ZN7rocprim17ROCPRIM_400000_NS6detail17trampoline_kernelINS0_14default_configENS1_35radix_sort_onesweep_config_selectorIffEEZZNS1_29radix_sort_onesweep_iterationIS3_Lb0EN6thrust23THRUST_200600_302600_NS6detail15normal_iteratorINS8_10device_ptrIfEEEESD_SD_SD_jNS0_19identity_decomposerENS1_16block_id_wrapperIjLb1EEEEE10hipError_tT1_PNSt15iterator_traitsISI_E10value_typeET2_T3_PNSJ_ISO_E10value_typeET4_T5_PST_SU_PNS1_23onesweep_lookback_stateEbbT6_jjT7_P12ihipStream_tbENKUlT_T0_SI_SN_E_clISD_PfSD_S15_EEDaS11_S12_SI_SN_EUlS11_E_NS1_11comp_targetILNS1_3genE2ELNS1_11target_archE906ELNS1_3gpuE6ELNS1_3repE0EEENS1_47radix_sort_onesweep_sort_config_static_selectorELNS0_4arch9wavefront6targetE1EEEvSI_
	.p2align	8
	.type	_ZN7rocprim17ROCPRIM_400000_NS6detail17trampoline_kernelINS0_14default_configENS1_35radix_sort_onesweep_config_selectorIffEEZZNS1_29radix_sort_onesweep_iterationIS3_Lb0EN6thrust23THRUST_200600_302600_NS6detail15normal_iteratorINS8_10device_ptrIfEEEESD_SD_SD_jNS0_19identity_decomposerENS1_16block_id_wrapperIjLb1EEEEE10hipError_tT1_PNSt15iterator_traitsISI_E10value_typeET2_T3_PNSJ_ISO_E10value_typeET4_T5_PST_SU_PNS1_23onesweep_lookback_stateEbbT6_jjT7_P12ihipStream_tbENKUlT_T0_SI_SN_E_clISD_PfSD_S15_EEDaS11_S12_SI_SN_EUlS11_E_NS1_11comp_targetILNS1_3genE2ELNS1_11target_archE906ELNS1_3gpuE6ELNS1_3repE0EEENS1_47radix_sort_onesweep_sort_config_static_selectorELNS0_4arch9wavefront6targetE1EEEvSI_,@function
_ZN7rocprim17ROCPRIM_400000_NS6detail17trampoline_kernelINS0_14default_configENS1_35radix_sort_onesweep_config_selectorIffEEZZNS1_29radix_sort_onesweep_iterationIS3_Lb0EN6thrust23THRUST_200600_302600_NS6detail15normal_iteratorINS8_10device_ptrIfEEEESD_SD_SD_jNS0_19identity_decomposerENS1_16block_id_wrapperIjLb1EEEEE10hipError_tT1_PNSt15iterator_traitsISI_E10value_typeET2_T3_PNSJ_ISO_E10value_typeET4_T5_PST_SU_PNS1_23onesweep_lookback_stateEbbT6_jjT7_P12ihipStream_tbENKUlT_T0_SI_SN_E_clISD_PfSD_S15_EEDaS11_S12_SI_SN_EUlS11_E_NS1_11comp_targetILNS1_3genE2ELNS1_11target_archE906ELNS1_3gpuE6ELNS1_3repE0EEENS1_47radix_sort_onesweep_sort_config_static_selectorELNS0_4arch9wavefront6targetE1EEEvSI_: ; @_ZN7rocprim17ROCPRIM_400000_NS6detail17trampoline_kernelINS0_14default_configENS1_35radix_sort_onesweep_config_selectorIffEEZZNS1_29radix_sort_onesweep_iterationIS3_Lb0EN6thrust23THRUST_200600_302600_NS6detail15normal_iteratorINS8_10device_ptrIfEEEESD_SD_SD_jNS0_19identity_decomposerENS1_16block_id_wrapperIjLb1EEEEE10hipError_tT1_PNSt15iterator_traitsISI_E10value_typeET2_T3_PNSJ_ISO_E10value_typeET4_T5_PST_SU_PNS1_23onesweep_lookback_stateEbbT6_jjT7_P12ihipStream_tbENKUlT_T0_SI_SN_E_clISD_PfSD_S15_EEDaS11_S12_SI_SN_EUlS11_E_NS1_11comp_targetILNS1_3genE2ELNS1_11target_archE906ELNS1_3gpuE6ELNS1_3repE0EEENS1_47radix_sort_onesweep_sort_config_static_selectorELNS0_4arch9wavefront6targetE1EEEvSI_
; %bb.0:
	.section	.rodata,"a",@progbits
	.p2align	6, 0x0
	.amdhsa_kernel _ZN7rocprim17ROCPRIM_400000_NS6detail17trampoline_kernelINS0_14default_configENS1_35radix_sort_onesweep_config_selectorIffEEZZNS1_29radix_sort_onesweep_iterationIS3_Lb0EN6thrust23THRUST_200600_302600_NS6detail15normal_iteratorINS8_10device_ptrIfEEEESD_SD_SD_jNS0_19identity_decomposerENS1_16block_id_wrapperIjLb1EEEEE10hipError_tT1_PNSt15iterator_traitsISI_E10value_typeET2_T3_PNSJ_ISO_E10value_typeET4_T5_PST_SU_PNS1_23onesweep_lookback_stateEbbT6_jjT7_P12ihipStream_tbENKUlT_T0_SI_SN_E_clISD_PfSD_S15_EEDaS11_S12_SI_SN_EUlS11_E_NS1_11comp_targetILNS1_3genE2ELNS1_11target_archE906ELNS1_3gpuE6ELNS1_3repE0EEENS1_47radix_sort_onesweep_sort_config_static_selectorELNS0_4arch9wavefront6targetE1EEEvSI_
		.amdhsa_group_segment_fixed_size 0
		.amdhsa_private_segment_fixed_size 0
		.amdhsa_kernarg_size 88
		.amdhsa_user_sgpr_count 2
		.amdhsa_user_sgpr_dispatch_ptr 0
		.amdhsa_user_sgpr_queue_ptr 0
		.amdhsa_user_sgpr_kernarg_segment_ptr 1
		.amdhsa_user_sgpr_dispatch_id 0
		.amdhsa_user_sgpr_kernarg_preload_length 0
		.amdhsa_user_sgpr_kernarg_preload_offset 0
		.amdhsa_user_sgpr_private_segment_size 0
		.amdhsa_uses_dynamic_stack 0
		.amdhsa_enable_private_segment 0
		.amdhsa_system_sgpr_workgroup_id_x 1
		.amdhsa_system_sgpr_workgroup_id_y 0
		.amdhsa_system_sgpr_workgroup_id_z 0
		.amdhsa_system_sgpr_workgroup_info 0
		.amdhsa_system_vgpr_workitem_id 0
		.amdhsa_next_free_vgpr 1
		.amdhsa_next_free_sgpr 0
		.amdhsa_accum_offset 4
		.amdhsa_reserve_vcc 0
		.amdhsa_float_round_mode_32 0
		.amdhsa_float_round_mode_16_64 0
		.amdhsa_float_denorm_mode_32 3
		.amdhsa_float_denorm_mode_16_64 3
		.amdhsa_dx10_clamp 1
		.amdhsa_ieee_mode 1
		.amdhsa_fp16_overflow 0
		.amdhsa_tg_split 0
		.amdhsa_exception_fp_ieee_invalid_op 0
		.amdhsa_exception_fp_denorm_src 0
		.amdhsa_exception_fp_ieee_div_zero 0
		.amdhsa_exception_fp_ieee_overflow 0
		.amdhsa_exception_fp_ieee_underflow 0
		.amdhsa_exception_fp_ieee_inexact 0
		.amdhsa_exception_int_div_zero 0
	.end_amdhsa_kernel
	.section	.text._ZN7rocprim17ROCPRIM_400000_NS6detail17trampoline_kernelINS0_14default_configENS1_35radix_sort_onesweep_config_selectorIffEEZZNS1_29radix_sort_onesweep_iterationIS3_Lb0EN6thrust23THRUST_200600_302600_NS6detail15normal_iteratorINS8_10device_ptrIfEEEESD_SD_SD_jNS0_19identity_decomposerENS1_16block_id_wrapperIjLb1EEEEE10hipError_tT1_PNSt15iterator_traitsISI_E10value_typeET2_T3_PNSJ_ISO_E10value_typeET4_T5_PST_SU_PNS1_23onesweep_lookback_stateEbbT6_jjT7_P12ihipStream_tbENKUlT_T0_SI_SN_E_clISD_PfSD_S15_EEDaS11_S12_SI_SN_EUlS11_E_NS1_11comp_targetILNS1_3genE2ELNS1_11target_archE906ELNS1_3gpuE6ELNS1_3repE0EEENS1_47radix_sort_onesweep_sort_config_static_selectorELNS0_4arch9wavefront6targetE1EEEvSI_,"axG",@progbits,_ZN7rocprim17ROCPRIM_400000_NS6detail17trampoline_kernelINS0_14default_configENS1_35radix_sort_onesweep_config_selectorIffEEZZNS1_29radix_sort_onesweep_iterationIS3_Lb0EN6thrust23THRUST_200600_302600_NS6detail15normal_iteratorINS8_10device_ptrIfEEEESD_SD_SD_jNS0_19identity_decomposerENS1_16block_id_wrapperIjLb1EEEEE10hipError_tT1_PNSt15iterator_traitsISI_E10value_typeET2_T3_PNSJ_ISO_E10value_typeET4_T5_PST_SU_PNS1_23onesweep_lookback_stateEbbT6_jjT7_P12ihipStream_tbENKUlT_T0_SI_SN_E_clISD_PfSD_S15_EEDaS11_S12_SI_SN_EUlS11_E_NS1_11comp_targetILNS1_3genE2ELNS1_11target_archE906ELNS1_3gpuE6ELNS1_3repE0EEENS1_47radix_sort_onesweep_sort_config_static_selectorELNS0_4arch9wavefront6targetE1EEEvSI_,comdat
.Lfunc_end317:
	.size	_ZN7rocprim17ROCPRIM_400000_NS6detail17trampoline_kernelINS0_14default_configENS1_35radix_sort_onesweep_config_selectorIffEEZZNS1_29radix_sort_onesweep_iterationIS3_Lb0EN6thrust23THRUST_200600_302600_NS6detail15normal_iteratorINS8_10device_ptrIfEEEESD_SD_SD_jNS0_19identity_decomposerENS1_16block_id_wrapperIjLb1EEEEE10hipError_tT1_PNSt15iterator_traitsISI_E10value_typeET2_T3_PNSJ_ISO_E10value_typeET4_T5_PST_SU_PNS1_23onesweep_lookback_stateEbbT6_jjT7_P12ihipStream_tbENKUlT_T0_SI_SN_E_clISD_PfSD_S15_EEDaS11_S12_SI_SN_EUlS11_E_NS1_11comp_targetILNS1_3genE2ELNS1_11target_archE906ELNS1_3gpuE6ELNS1_3repE0EEENS1_47radix_sort_onesweep_sort_config_static_selectorELNS0_4arch9wavefront6targetE1EEEvSI_, .Lfunc_end317-_ZN7rocprim17ROCPRIM_400000_NS6detail17trampoline_kernelINS0_14default_configENS1_35radix_sort_onesweep_config_selectorIffEEZZNS1_29radix_sort_onesweep_iterationIS3_Lb0EN6thrust23THRUST_200600_302600_NS6detail15normal_iteratorINS8_10device_ptrIfEEEESD_SD_SD_jNS0_19identity_decomposerENS1_16block_id_wrapperIjLb1EEEEE10hipError_tT1_PNSt15iterator_traitsISI_E10value_typeET2_T3_PNSJ_ISO_E10value_typeET4_T5_PST_SU_PNS1_23onesweep_lookback_stateEbbT6_jjT7_P12ihipStream_tbENKUlT_T0_SI_SN_E_clISD_PfSD_S15_EEDaS11_S12_SI_SN_EUlS11_E_NS1_11comp_targetILNS1_3genE2ELNS1_11target_archE906ELNS1_3gpuE6ELNS1_3repE0EEENS1_47radix_sort_onesweep_sort_config_static_selectorELNS0_4arch9wavefront6targetE1EEEvSI_
                                        ; -- End function
	.set _ZN7rocprim17ROCPRIM_400000_NS6detail17trampoline_kernelINS0_14default_configENS1_35radix_sort_onesweep_config_selectorIffEEZZNS1_29radix_sort_onesweep_iterationIS3_Lb0EN6thrust23THRUST_200600_302600_NS6detail15normal_iteratorINS8_10device_ptrIfEEEESD_SD_SD_jNS0_19identity_decomposerENS1_16block_id_wrapperIjLb1EEEEE10hipError_tT1_PNSt15iterator_traitsISI_E10value_typeET2_T3_PNSJ_ISO_E10value_typeET4_T5_PST_SU_PNS1_23onesweep_lookback_stateEbbT6_jjT7_P12ihipStream_tbENKUlT_T0_SI_SN_E_clISD_PfSD_S15_EEDaS11_S12_SI_SN_EUlS11_E_NS1_11comp_targetILNS1_3genE2ELNS1_11target_archE906ELNS1_3gpuE6ELNS1_3repE0EEENS1_47radix_sort_onesweep_sort_config_static_selectorELNS0_4arch9wavefront6targetE1EEEvSI_.num_vgpr, 0
	.set _ZN7rocprim17ROCPRIM_400000_NS6detail17trampoline_kernelINS0_14default_configENS1_35radix_sort_onesweep_config_selectorIffEEZZNS1_29radix_sort_onesweep_iterationIS3_Lb0EN6thrust23THRUST_200600_302600_NS6detail15normal_iteratorINS8_10device_ptrIfEEEESD_SD_SD_jNS0_19identity_decomposerENS1_16block_id_wrapperIjLb1EEEEE10hipError_tT1_PNSt15iterator_traitsISI_E10value_typeET2_T3_PNSJ_ISO_E10value_typeET4_T5_PST_SU_PNS1_23onesweep_lookback_stateEbbT6_jjT7_P12ihipStream_tbENKUlT_T0_SI_SN_E_clISD_PfSD_S15_EEDaS11_S12_SI_SN_EUlS11_E_NS1_11comp_targetILNS1_3genE2ELNS1_11target_archE906ELNS1_3gpuE6ELNS1_3repE0EEENS1_47radix_sort_onesweep_sort_config_static_selectorELNS0_4arch9wavefront6targetE1EEEvSI_.num_agpr, 0
	.set _ZN7rocprim17ROCPRIM_400000_NS6detail17trampoline_kernelINS0_14default_configENS1_35radix_sort_onesweep_config_selectorIffEEZZNS1_29radix_sort_onesweep_iterationIS3_Lb0EN6thrust23THRUST_200600_302600_NS6detail15normal_iteratorINS8_10device_ptrIfEEEESD_SD_SD_jNS0_19identity_decomposerENS1_16block_id_wrapperIjLb1EEEEE10hipError_tT1_PNSt15iterator_traitsISI_E10value_typeET2_T3_PNSJ_ISO_E10value_typeET4_T5_PST_SU_PNS1_23onesweep_lookback_stateEbbT6_jjT7_P12ihipStream_tbENKUlT_T0_SI_SN_E_clISD_PfSD_S15_EEDaS11_S12_SI_SN_EUlS11_E_NS1_11comp_targetILNS1_3genE2ELNS1_11target_archE906ELNS1_3gpuE6ELNS1_3repE0EEENS1_47radix_sort_onesweep_sort_config_static_selectorELNS0_4arch9wavefront6targetE1EEEvSI_.numbered_sgpr, 0
	.set _ZN7rocprim17ROCPRIM_400000_NS6detail17trampoline_kernelINS0_14default_configENS1_35radix_sort_onesweep_config_selectorIffEEZZNS1_29radix_sort_onesweep_iterationIS3_Lb0EN6thrust23THRUST_200600_302600_NS6detail15normal_iteratorINS8_10device_ptrIfEEEESD_SD_SD_jNS0_19identity_decomposerENS1_16block_id_wrapperIjLb1EEEEE10hipError_tT1_PNSt15iterator_traitsISI_E10value_typeET2_T3_PNSJ_ISO_E10value_typeET4_T5_PST_SU_PNS1_23onesweep_lookback_stateEbbT6_jjT7_P12ihipStream_tbENKUlT_T0_SI_SN_E_clISD_PfSD_S15_EEDaS11_S12_SI_SN_EUlS11_E_NS1_11comp_targetILNS1_3genE2ELNS1_11target_archE906ELNS1_3gpuE6ELNS1_3repE0EEENS1_47radix_sort_onesweep_sort_config_static_selectorELNS0_4arch9wavefront6targetE1EEEvSI_.num_named_barrier, 0
	.set _ZN7rocprim17ROCPRIM_400000_NS6detail17trampoline_kernelINS0_14default_configENS1_35radix_sort_onesweep_config_selectorIffEEZZNS1_29radix_sort_onesweep_iterationIS3_Lb0EN6thrust23THRUST_200600_302600_NS6detail15normal_iteratorINS8_10device_ptrIfEEEESD_SD_SD_jNS0_19identity_decomposerENS1_16block_id_wrapperIjLb1EEEEE10hipError_tT1_PNSt15iterator_traitsISI_E10value_typeET2_T3_PNSJ_ISO_E10value_typeET4_T5_PST_SU_PNS1_23onesweep_lookback_stateEbbT6_jjT7_P12ihipStream_tbENKUlT_T0_SI_SN_E_clISD_PfSD_S15_EEDaS11_S12_SI_SN_EUlS11_E_NS1_11comp_targetILNS1_3genE2ELNS1_11target_archE906ELNS1_3gpuE6ELNS1_3repE0EEENS1_47radix_sort_onesweep_sort_config_static_selectorELNS0_4arch9wavefront6targetE1EEEvSI_.private_seg_size, 0
	.set _ZN7rocprim17ROCPRIM_400000_NS6detail17trampoline_kernelINS0_14default_configENS1_35radix_sort_onesweep_config_selectorIffEEZZNS1_29radix_sort_onesweep_iterationIS3_Lb0EN6thrust23THRUST_200600_302600_NS6detail15normal_iteratorINS8_10device_ptrIfEEEESD_SD_SD_jNS0_19identity_decomposerENS1_16block_id_wrapperIjLb1EEEEE10hipError_tT1_PNSt15iterator_traitsISI_E10value_typeET2_T3_PNSJ_ISO_E10value_typeET4_T5_PST_SU_PNS1_23onesweep_lookback_stateEbbT6_jjT7_P12ihipStream_tbENKUlT_T0_SI_SN_E_clISD_PfSD_S15_EEDaS11_S12_SI_SN_EUlS11_E_NS1_11comp_targetILNS1_3genE2ELNS1_11target_archE906ELNS1_3gpuE6ELNS1_3repE0EEENS1_47radix_sort_onesweep_sort_config_static_selectorELNS0_4arch9wavefront6targetE1EEEvSI_.uses_vcc, 0
	.set _ZN7rocprim17ROCPRIM_400000_NS6detail17trampoline_kernelINS0_14default_configENS1_35radix_sort_onesweep_config_selectorIffEEZZNS1_29radix_sort_onesweep_iterationIS3_Lb0EN6thrust23THRUST_200600_302600_NS6detail15normal_iteratorINS8_10device_ptrIfEEEESD_SD_SD_jNS0_19identity_decomposerENS1_16block_id_wrapperIjLb1EEEEE10hipError_tT1_PNSt15iterator_traitsISI_E10value_typeET2_T3_PNSJ_ISO_E10value_typeET4_T5_PST_SU_PNS1_23onesweep_lookback_stateEbbT6_jjT7_P12ihipStream_tbENKUlT_T0_SI_SN_E_clISD_PfSD_S15_EEDaS11_S12_SI_SN_EUlS11_E_NS1_11comp_targetILNS1_3genE2ELNS1_11target_archE906ELNS1_3gpuE6ELNS1_3repE0EEENS1_47radix_sort_onesweep_sort_config_static_selectorELNS0_4arch9wavefront6targetE1EEEvSI_.uses_flat_scratch, 0
	.set _ZN7rocprim17ROCPRIM_400000_NS6detail17trampoline_kernelINS0_14default_configENS1_35radix_sort_onesweep_config_selectorIffEEZZNS1_29radix_sort_onesweep_iterationIS3_Lb0EN6thrust23THRUST_200600_302600_NS6detail15normal_iteratorINS8_10device_ptrIfEEEESD_SD_SD_jNS0_19identity_decomposerENS1_16block_id_wrapperIjLb1EEEEE10hipError_tT1_PNSt15iterator_traitsISI_E10value_typeET2_T3_PNSJ_ISO_E10value_typeET4_T5_PST_SU_PNS1_23onesweep_lookback_stateEbbT6_jjT7_P12ihipStream_tbENKUlT_T0_SI_SN_E_clISD_PfSD_S15_EEDaS11_S12_SI_SN_EUlS11_E_NS1_11comp_targetILNS1_3genE2ELNS1_11target_archE906ELNS1_3gpuE6ELNS1_3repE0EEENS1_47radix_sort_onesweep_sort_config_static_selectorELNS0_4arch9wavefront6targetE1EEEvSI_.has_dyn_sized_stack, 0
	.set _ZN7rocprim17ROCPRIM_400000_NS6detail17trampoline_kernelINS0_14default_configENS1_35radix_sort_onesweep_config_selectorIffEEZZNS1_29radix_sort_onesweep_iterationIS3_Lb0EN6thrust23THRUST_200600_302600_NS6detail15normal_iteratorINS8_10device_ptrIfEEEESD_SD_SD_jNS0_19identity_decomposerENS1_16block_id_wrapperIjLb1EEEEE10hipError_tT1_PNSt15iterator_traitsISI_E10value_typeET2_T3_PNSJ_ISO_E10value_typeET4_T5_PST_SU_PNS1_23onesweep_lookback_stateEbbT6_jjT7_P12ihipStream_tbENKUlT_T0_SI_SN_E_clISD_PfSD_S15_EEDaS11_S12_SI_SN_EUlS11_E_NS1_11comp_targetILNS1_3genE2ELNS1_11target_archE906ELNS1_3gpuE6ELNS1_3repE0EEENS1_47radix_sort_onesweep_sort_config_static_selectorELNS0_4arch9wavefront6targetE1EEEvSI_.has_recursion, 0
	.set _ZN7rocprim17ROCPRIM_400000_NS6detail17trampoline_kernelINS0_14default_configENS1_35radix_sort_onesweep_config_selectorIffEEZZNS1_29radix_sort_onesweep_iterationIS3_Lb0EN6thrust23THRUST_200600_302600_NS6detail15normal_iteratorINS8_10device_ptrIfEEEESD_SD_SD_jNS0_19identity_decomposerENS1_16block_id_wrapperIjLb1EEEEE10hipError_tT1_PNSt15iterator_traitsISI_E10value_typeET2_T3_PNSJ_ISO_E10value_typeET4_T5_PST_SU_PNS1_23onesweep_lookback_stateEbbT6_jjT7_P12ihipStream_tbENKUlT_T0_SI_SN_E_clISD_PfSD_S15_EEDaS11_S12_SI_SN_EUlS11_E_NS1_11comp_targetILNS1_3genE2ELNS1_11target_archE906ELNS1_3gpuE6ELNS1_3repE0EEENS1_47radix_sort_onesweep_sort_config_static_selectorELNS0_4arch9wavefront6targetE1EEEvSI_.has_indirect_call, 0
	.section	.AMDGPU.csdata,"",@progbits
; Kernel info:
; codeLenInByte = 0
; TotalNumSgprs: 6
; NumVgprs: 0
; NumAgprs: 0
; TotalNumVgprs: 0
; ScratchSize: 0
; MemoryBound: 0
; FloatMode: 240
; IeeeMode: 1
; LDSByteSize: 0 bytes/workgroup (compile time only)
; SGPRBlocks: 0
; VGPRBlocks: 0
; NumSGPRsForWavesPerEU: 6
; NumVGPRsForWavesPerEU: 1
; AccumOffset: 4
; Occupancy: 8
; WaveLimiterHint : 0
; COMPUTE_PGM_RSRC2:SCRATCH_EN: 0
; COMPUTE_PGM_RSRC2:USER_SGPR: 2
; COMPUTE_PGM_RSRC2:TRAP_HANDLER: 0
; COMPUTE_PGM_RSRC2:TGID_X_EN: 1
; COMPUTE_PGM_RSRC2:TGID_Y_EN: 0
; COMPUTE_PGM_RSRC2:TGID_Z_EN: 0
; COMPUTE_PGM_RSRC2:TIDIG_COMP_CNT: 0
; COMPUTE_PGM_RSRC3_GFX90A:ACCUM_OFFSET: 0
; COMPUTE_PGM_RSRC3_GFX90A:TG_SPLIT: 0
	.section	.text._ZN7rocprim17ROCPRIM_400000_NS6detail17trampoline_kernelINS0_14default_configENS1_35radix_sort_onesweep_config_selectorIffEEZZNS1_29radix_sort_onesweep_iterationIS3_Lb0EN6thrust23THRUST_200600_302600_NS6detail15normal_iteratorINS8_10device_ptrIfEEEESD_SD_SD_jNS0_19identity_decomposerENS1_16block_id_wrapperIjLb1EEEEE10hipError_tT1_PNSt15iterator_traitsISI_E10value_typeET2_T3_PNSJ_ISO_E10value_typeET4_T5_PST_SU_PNS1_23onesweep_lookback_stateEbbT6_jjT7_P12ihipStream_tbENKUlT_T0_SI_SN_E_clISD_PfSD_S15_EEDaS11_S12_SI_SN_EUlS11_E_NS1_11comp_targetILNS1_3genE4ELNS1_11target_archE910ELNS1_3gpuE8ELNS1_3repE0EEENS1_47radix_sort_onesweep_sort_config_static_selectorELNS0_4arch9wavefront6targetE1EEEvSI_,"axG",@progbits,_ZN7rocprim17ROCPRIM_400000_NS6detail17trampoline_kernelINS0_14default_configENS1_35radix_sort_onesweep_config_selectorIffEEZZNS1_29radix_sort_onesweep_iterationIS3_Lb0EN6thrust23THRUST_200600_302600_NS6detail15normal_iteratorINS8_10device_ptrIfEEEESD_SD_SD_jNS0_19identity_decomposerENS1_16block_id_wrapperIjLb1EEEEE10hipError_tT1_PNSt15iterator_traitsISI_E10value_typeET2_T3_PNSJ_ISO_E10value_typeET4_T5_PST_SU_PNS1_23onesweep_lookback_stateEbbT6_jjT7_P12ihipStream_tbENKUlT_T0_SI_SN_E_clISD_PfSD_S15_EEDaS11_S12_SI_SN_EUlS11_E_NS1_11comp_targetILNS1_3genE4ELNS1_11target_archE910ELNS1_3gpuE8ELNS1_3repE0EEENS1_47radix_sort_onesweep_sort_config_static_selectorELNS0_4arch9wavefront6targetE1EEEvSI_,comdat
	.protected	_ZN7rocprim17ROCPRIM_400000_NS6detail17trampoline_kernelINS0_14default_configENS1_35radix_sort_onesweep_config_selectorIffEEZZNS1_29radix_sort_onesweep_iterationIS3_Lb0EN6thrust23THRUST_200600_302600_NS6detail15normal_iteratorINS8_10device_ptrIfEEEESD_SD_SD_jNS0_19identity_decomposerENS1_16block_id_wrapperIjLb1EEEEE10hipError_tT1_PNSt15iterator_traitsISI_E10value_typeET2_T3_PNSJ_ISO_E10value_typeET4_T5_PST_SU_PNS1_23onesweep_lookback_stateEbbT6_jjT7_P12ihipStream_tbENKUlT_T0_SI_SN_E_clISD_PfSD_S15_EEDaS11_S12_SI_SN_EUlS11_E_NS1_11comp_targetILNS1_3genE4ELNS1_11target_archE910ELNS1_3gpuE8ELNS1_3repE0EEENS1_47radix_sort_onesweep_sort_config_static_selectorELNS0_4arch9wavefront6targetE1EEEvSI_ ; -- Begin function _ZN7rocprim17ROCPRIM_400000_NS6detail17trampoline_kernelINS0_14default_configENS1_35radix_sort_onesweep_config_selectorIffEEZZNS1_29radix_sort_onesweep_iterationIS3_Lb0EN6thrust23THRUST_200600_302600_NS6detail15normal_iteratorINS8_10device_ptrIfEEEESD_SD_SD_jNS0_19identity_decomposerENS1_16block_id_wrapperIjLb1EEEEE10hipError_tT1_PNSt15iterator_traitsISI_E10value_typeET2_T3_PNSJ_ISO_E10value_typeET4_T5_PST_SU_PNS1_23onesweep_lookback_stateEbbT6_jjT7_P12ihipStream_tbENKUlT_T0_SI_SN_E_clISD_PfSD_S15_EEDaS11_S12_SI_SN_EUlS11_E_NS1_11comp_targetILNS1_3genE4ELNS1_11target_archE910ELNS1_3gpuE8ELNS1_3repE0EEENS1_47radix_sort_onesweep_sort_config_static_selectorELNS0_4arch9wavefront6targetE1EEEvSI_
	.globl	_ZN7rocprim17ROCPRIM_400000_NS6detail17trampoline_kernelINS0_14default_configENS1_35radix_sort_onesweep_config_selectorIffEEZZNS1_29radix_sort_onesweep_iterationIS3_Lb0EN6thrust23THRUST_200600_302600_NS6detail15normal_iteratorINS8_10device_ptrIfEEEESD_SD_SD_jNS0_19identity_decomposerENS1_16block_id_wrapperIjLb1EEEEE10hipError_tT1_PNSt15iterator_traitsISI_E10value_typeET2_T3_PNSJ_ISO_E10value_typeET4_T5_PST_SU_PNS1_23onesweep_lookback_stateEbbT6_jjT7_P12ihipStream_tbENKUlT_T0_SI_SN_E_clISD_PfSD_S15_EEDaS11_S12_SI_SN_EUlS11_E_NS1_11comp_targetILNS1_3genE4ELNS1_11target_archE910ELNS1_3gpuE8ELNS1_3repE0EEENS1_47radix_sort_onesweep_sort_config_static_selectorELNS0_4arch9wavefront6targetE1EEEvSI_
	.p2align	8
	.type	_ZN7rocprim17ROCPRIM_400000_NS6detail17trampoline_kernelINS0_14default_configENS1_35radix_sort_onesweep_config_selectorIffEEZZNS1_29radix_sort_onesweep_iterationIS3_Lb0EN6thrust23THRUST_200600_302600_NS6detail15normal_iteratorINS8_10device_ptrIfEEEESD_SD_SD_jNS0_19identity_decomposerENS1_16block_id_wrapperIjLb1EEEEE10hipError_tT1_PNSt15iterator_traitsISI_E10value_typeET2_T3_PNSJ_ISO_E10value_typeET4_T5_PST_SU_PNS1_23onesweep_lookback_stateEbbT6_jjT7_P12ihipStream_tbENKUlT_T0_SI_SN_E_clISD_PfSD_S15_EEDaS11_S12_SI_SN_EUlS11_E_NS1_11comp_targetILNS1_3genE4ELNS1_11target_archE910ELNS1_3gpuE8ELNS1_3repE0EEENS1_47radix_sort_onesweep_sort_config_static_selectorELNS0_4arch9wavefront6targetE1EEEvSI_,@function
_ZN7rocprim17ROCPRIM_400000_NS6detail17trampoline_kernelINS0_14default_configENS1_35radix_sort_onesweep_config_selectorIffEEZZNS1_29radix_sort_onesweep_iterationIS3_Lb0EN6thrust23THRUST_200600_302600_NS6detail15normal_iteratorINS8_10device_ptrIfEEEESD_SD_SD_jNS0_19identity_decomposerENS1_16block_id_wrapperIjLb1EEEEE10hipError_tT1_PNSt15iterator_traitsISI_E10value_typeET2_T3_PNSJ_ISO_E10value_typeET4_T5_PST_SU_PNS1_23onesweep_lookback_stateEbbT6_jjT7_P12ihipStream_tbENKUlT_T0_SI_SN_E_clISD_PfSD_S15_EEDaS11_S12_SI_SN_EUlS11_E_NS1_11comp_targetILNS1_3genE4ELNS1_11target_archE910ELNS1_3gpuE8ELNS1_3repE0EEENS1_47radix_sort_onesweep_sort_config_static_selectorELNS0_4arch9wavefront6targetE1EEEvSI_: ; @_ZN7rocprim17ROCPRIM_400000_NS6detail17trampoline_kernelINS0_14default_configENS1_35radix_sort_onesweep_config_selectorIffEEZZNS1_29radix_sort_onesweep_iterationIS3_Lb0EN6thrust23THRUST_200600_302600_NS6detail15normal_iteratorINS8_10device_ptrIfEEEESD_SD_SD_jNS0_19identity_decomposerENS1_16block_id_wrapperIjLb1EEEEE10hipError_tT1_PNSt15iterator_traitsISI_E10value_typeET2_T3_PNSJ_ISO_E10value_typeET4_T5_PST_SU_PNS1_23onesweep_lookback_stateEbbT6_jjT7_P12ihipStream_tbENKUlT_T0_SI_SN_E_clISD_PfSD_S15_EEDaS11_S12_SI_SN_EUlS11_E_NS1_11comp_targetILNS1_3genE4ELNS1_11target_archE910ELNS1_3gpuE8ELNS1_3repE0EEENS1_47radix_sort_onesweep_sort_config_static_selectorELNS0_4arch9wavefront6targetE1EEEvSI_
; %bb.0:
	.section	.rodata,"a",@progbits
	.p2align	6, 0x0
	.amdhsa_kernel _ZN7rocprim17ROCPRIM_400000_NS6detail17trampoline_kernelINS0_14default_configENS1_35radix_sort_onesweep_config_selectorIffEEZZNS1_29radix_sort_onesweep_iterationIS3_Lb0EN6thrust23THRUST_200600_302600_NS6detail15normal_iteratorINS8_10device_ptrIfEEEESD_SD_SD_jNS0_19identity_decomposerENS1_16block_id_wrapperIjLb1EEEEE10hipError_tT1_PNSt15iterator_traitsISI_E10value_typeET2_T3_PNSJ_ISO_E10value_typeET4_T5_PST_SU_PNS1_23onesweep_lookback_stateEbbT6_jjT7_P12ihipStream_tbENKUlT_T0_SI_SN_E_clISD_PfSD_S15_EEDaS11_S12_SI_SN_EUlS11_E_NS1_11comp_targetILNS1_3genE4ELNS1_11target_archE910ELNS1_3gpuE8ELNS1_3repE0EEENS1_47radix_sort_onesweep_sort_config_static_selectorELNS0_4arch9wavefront6targetE1EEEvSI_
		.amdhsa_group_segment_fixed_size 0
		.amdhsa_private_segment_fixed_size 0
		.amdhsa_kernarg_size 88
		.amdhsa_user_sgpr_count 2
		.amdhsa_user_sgpr_dispatch_ptr 0
		.amdhsa_user_sgpr_queue_ptr 0
		.amdhsa_user_sgpr_kernarg_segment_ptr 1
		.amdhsa_user_sgpr_dispatch_id 0
		.amdhsa_user_sgpr_kernarg_preload_length 0
		.amdhsa_user_sgpr_kernarg_preload_offset 0
		.amdhsa_user_sgpr_private_segment_size 0
		.amdhsa_uses_dynamic_stack 0
		.amdhsa_enable_private_segment 0
		.amdhsa_system_sgpr_workgroup_id_x 1
		.amdhsa_system_sgpr_workgroup_id_y 0
		.amdhsa_system_sgpr_workgroup_id_z 0
		.amdhsa_system_sgpr_workgroup_info 0
		.amdhsa_system_vgpr_workitem_id 0
		.amdhsa_next_free_vgpr 1
		.amdhsa_next_free_sgpr 0
		.amdhsa_accum_offset 4
		.amdhsa_reserve_vcc 0
		.amdhsa_float_round_mode_32 0
		.amdhsa_float_round_mode_16_64 0
		.amdhsa_float_denorm_mode_32 3
		.amdhsa_float_denorm_mode_16_64 3
		.amdhsa_dx10_clamp 1
		.amdhsa_ieee_mode 1
		.amdhsa_fp16_overflow 0
		.amdhsa_tg_split 0
		.amdhsa_exception_fp_ieee_invalid_op 0
		.amdhsa_exception_fp_denorm_src 0
		.amdhsa_exception_fp_ieee_div_zero 0
		.amdhsa_exception_fp_ieee_overflow 0
		.amdhsa_exception_fp_ieee_underflow 0
		.amdhsa_exception_fp_ieee_inexact 0
		.amdhsa_exception_int_div_zero 0
	.end_amdhsa_kernel
	.section	.text._ZN7rocprim17ROCPRIM_400000_NS6detail17trampoline_kernelINS0_14default_configENS1_35radix_sort_onesweep_config_selectorIffEEZZNS1_29radix_sort_onesweep_iterationIS3_Lb0EN6thrust23THRUST_200600_302600_NS6detail15normal_iteratorINS8_10device_ptrIfEEEESD_SD_SD_jNS0_19identity_decomposerENS1_16block_id_wrapperIjLb1EEEEE10hipError_tT1_PNSt15iterator_traitsISI_E10value_typeET2_T3_PNSJ_ISO_E10value_typeET4_T5_PST_SU_PNS1_23onesweep_lookback_stateEbbT6_jjT7_P12ihipStream_tbENKUlT_T0_SI_SN_E_clISD_PfSD_S15_EEDaS11_S12_SI_SN_EUlS11_E_NS1_11comp_targetILNS1_3genE4ELNS1_11target_archE910ELNS1_3gpuE8ELNS1_3repE0EEENS1_47radix_sort_onesweep_sort_config_static_selectorELNS0_4arch9wavefront6targetE1EEEvSI_,"axG",@progbits,_ZN7rocprim17ROCPRIM_400000_NS6detail17trampoline_kernelINS0_14default_configENS1_35radix_sort_onesweep_config_selectorIffEEZZNS1_29radix_sort_onesweep_iterationIS3_Lb0EN6thrust23THRUST_200600_302600_NS6detail15normal_iteratorINS8_10device_ptrIfEEEESD_SD_SD_jNS0_19identity_decomposerENS1_16block_id_wrapperIjLb1EEEEE10hipError_tT1_PNSt15iterator_traitsISI_E10value_typeET2_T3_PNSJ_ISO_E10value_typeET4_T5_PST_SU_PNS1_23onesweep_lookback_stateEbbT6_jjT7_P12ihipStream_tbENKUlT_T0_SI_SN_E_clISD_PfSD_S15_EEDaS11_S12_SI_SN_EUlS11_E_NS1_11comp_targetILNS1_3genE4ELNS1_11target_archE910ELNS1_3gpuE8ELNS1_3repE0EEENS1_47radix_sort_onesweep_sort_config_static_selectorELNS0_4arch9wavefront6targetE1EEEvSI_,comdat
.Lfunc_end318:
	.size	_ZN7rocprim17ROCPRIM_400000_NS6detail17trampoline_kernelINS0_14default_configENS1_35radix_sort_onesweep_config_selectorIffEEZZNS1_29radix_sort_onesweep_iterationIS3_Lb0EN6thrust23THRUST_200600_302600_NS6detail15normal_iteratorINS8_10device_ptrIfEEEESD_SD_SD_jNS0_19identity_decomposerENS1_16block_id_wrapperIjLb1EEEEE10hipError_tT1_PNSt15iterator_traitsISI_E10value_typeET2_T3_PNSJ_ISO_E10value_typeET4_T5_PST_SU_PNS1_23onesweep_lookback_stateEbbT6_jjT7_P12ihipStream_tbENKUlT_T0_SI_SN_E_clISD_PfSD_S15_EEDaS11_S12_SI_SN_EUlS11_E_NS1_11comp_targetILNS1_3genE4ELNS1_11target_archE910ELNS1_3gpuE8ELNS1_3repE0EEENS1_47radix_sort_onesweep_sort_config_static_selectorELNS0_4arch9wavefront6targetE1EEEvSI_, .Lfunc_end318-_ZN7rocprim17ROCPRIM_400000_NS6detail17trampoline_kernelINS0_14default_configENS1_35radix_sort_onesweep_config_selectorIffEEZZNS1_29radix_sort_onesweep_iterationIS3_Lb0EN6thrust23THRUST_200600_302600_NS6detail15normal_iteratorINS8_10device_ptrIfEEEESD_SD_SD_jNS0_19identity_decomposerENS1_16block_id_wrapperIjLb1EEEEE10hipError_tT1_PNSt15iterator_traitsISI_E10value_typeET2_T3_PNSJ_ISO_E10value_typeET4_T5_PST_SU_PNS1_23onesweep_lookback_stateEbbT6_jjT7_P12ihipStream_tbENKUlT_T0_SI_SN_E_clISD_PfSD_S15_EEDaS11_S12_SI_SN_EUlS11_E_NS1_11comp_targetILNS1_3genE4ELNS1_11target_archE910ELNS1_3gpuE8ELNS1_3repE0EEENS1_47radix_sort_onesweep_sort_config_static_selectorELNS0_4arch9wavefront6targetE1EEEvSI_
                                        ; -- End function
	.set _ZN7rocprim17ROCPRIM_400000_NS6detail17trampoline_kernelINS0_14default_configENS1_35radix_sort_onesweep_config_selectorIffEEZZNS1_29radix_sort_onesweep_iterationIS3_Lb0EN6thrust23THRUST_200600_302600_NS6detail15normal_iteratorINS8_10device_ptrIfEEEESD_SD_SD_jNS0_19identity_decomposerENS1_16block_id_wrapperIjLb1EEEEE10hipError_tT1_PNSt15iterator_traitsISI_E10value_typeET2_T3_PNSJ_ISO_E10value_typeET4_T5_PST_SU_PNS1_23onesweep_lookback_stateEbbT6_jjT7_P12ihipStream_tbENKUlT_T0_SI_SN_E_clISD_PfSD_S15_EEDaS11_S12_SI_SN_EUlS11_E_NS1_11comp_targetILNS1_3genE4ELNS1_11target_archE910ELNS1_3gpuE8ELNS1_3repE0EEENS1_47radix_sort_onesweep_sort_config_static_selectorELNS0_4arch9wavefront6targetE1EEEvSI_.num_vgpr, 0
	.set _ZN7rocprim17ROCPRIM_400000_NS6detail17trampoline_kernelINS0_14default_configENS1_35radix_sort_onesweep_config_selectorIffEEZZNS1_29radix_sort_onesweep_iterationIS3_Lb0EN6thrust23THRUST_200600_302600_NS6detail15normal_iteratorINS8_10device_ptrIfEEEESD_SD_SD_jNS0_19identity_decomposerENS1_16block_id_wrapperIjLb1EEEEE10hipError_tT1_PNSt15iterator_traitsISI_E10value_typeET2_T3_PNSJ_ISO_E10value_typeET4_T5_PST_SU_PNS1_23onesweep_lookback_stateEbbT6_jjT7_P12ihipStream_tbENKUlT_T0_SI_SN_E_clISD_PfSD_S15_EEDaS11_S12_SI_SN_EUlS11_E_NS1_11comp_targetILNS1_3genE4ELNS1_11target_archE910ELNS1_3gpuE8ELNS1_3repE0EEENS1_47radix_sort_onesweep_sort_config_static_selectorELNS0_4arch9wavefront6targetE1EEEvSI_.num_agpr, 0
	.set _ZN7rocprim17ROCPRIM_400000_NS6detail17trampoline_kernelINS0_14default_configENS1_35radix_sort_onesweep_config_selectorIffEEZZNS1_29radix_sort_onesweep_iterationIS3_Lb0EN6thrust23THRUST_200600_302600_NS6detail15normal_iteratorINS8_10device_ptrIfEEEESD_SD_SD_jNS0_19identity_decomposerENS1_16block_id_wrapperIjLb1EEEEE10hipError_tT1_PNSt15iterator_traitsISI_E10value_typeET2_T3_PNSJ_ISO_E10value_typeET4_T5_PST_SU_PNS1_23onesweep_lookback_stateEbbT6_jjT7_P12ihipStream_tbENKUlT_T0_SI_SN_E_clISD_PfSD_S15_EEDaS11_S12_SI_SN_EUlS11_E_NS1_11comp_targetILNS1_3genE4ELNS1_11target_archE910ELNS1_3gpuE8ELNS1_3repE0EEENS1_47radix_sort_onesweep_sort_config_static_selectorELNS0_4arch9wavefront6targetE1EEEvSI_.numbered_sgpr, 0
	.set _ZN7rocprim17ROCPRIM_400000_NS6detail17trampoline_kernelINS0_14default_configENS1_35radix_sort_onesweep_config_selectorIffEEZZNS1_29radix_sort_onesweep_iterationIS3_Lb0EN6thrust23THRUST_200600_302600_NS6detail15normal_iteratorINS8_10device_ptrIfEEEESD_SD_SD_jNS0_19identity_decomposerENS1_16block_id_wrapperIjLb1EEEEE10hipError_tT1_PNSt15iterator_traitsISI_E10value_typeET2_T3_PNSJ_ISO_E10value_typeET4_T5_PST_SU_PNS1_23onesweep_lookback_stateEbbT6_jjT7_P12ihipStream_tbENKUlT_T0_SI_SN_E_clISD_PfSD_S15_EEDaS11_S12_SI_SN_EUlS11_E_NS1_11comp_targetILNS1_3genE4ELNS1_11target_archE910ELNS1_3gpuE8ELNS1_3repE0EEENS1_47radix_sort_onesweep_sort_config_static_selectorELNS0_4arch9wavefront6targetE1EEEvSI_.num_named_barrier, 0
	.set _ZN7rocprim17ROCPRIM_400000_NS6detail17trampoline_kernelINS0_14default_configENS1_35radix_sort_onesweep_config_selectorIffEEZZNS1_29radix_sort_onesweep_iterationIS3_Lb0EN6thrust23THRUST_200600_302600_NS6detail15normal_iteratorINS8_10device_ptrIfEEEESD_SD_SD_jNS0_19identity_decomposerENS1_16block_id_wrapperIjLb1EEEEE10hipError_tT1_PNSt15iterator_traitsISI_E10value_typeET2_T3_PNSJ_ISO_E10value_typeET4_T5_PST_SU_PNS1_23onesweep_lookback_stateEbbT6_jjT7_P12ihipStream_tbENKUlT_T0_SI_SN_E_clISD_PfSD_S15_EEDaS11_S12_SI_SN_EUlS11_E_NS1_11comp_targetILNS1_3genE4ELNS1_11target_archE910ELNS1_3gpuE8ELNS1_3repE0EEENS1_47radix_sort_onesweep_sort_config_static_selectorELNS0_4arch9wavefront6targetE1EEEvSI_.private_seg_size, 0
	.set _ZN7rocprim17ROCPRIM_400000_NS6detail17trampoline_kernelINS0_14default_configENS1_35radix_sort_onesweep_config_selectorIffEEZZNS1_29radix_sort_onesweep_iterationIS3_Lb0EN6thrust23THRUST_200600_302600_NS6detail15normal_iteratorINS8_10device_ptrIfEEEESD_SD_SD_jNS0_19identity_decomposerENS1_16block_id_wrapperIjLb1EEEEE10hipError_tT1_PNSt15iterator_traitsISI_E10value_typeET2_T3_PNSJ_ISO_E10value_typeET4_T5_PST_SU_PNS1_23onesweep_lookback_stateEbbT6_jjT7_P12ihipStream_tbENKUlT_T0_SI_SN_E_clISD_PfSD_S15_EEDaS11_S12_SI_SN_EUlS11_E_NS1_11comp_targetILNS1_3genE4ELNS1_11target_archE910ELNS1_3gpuE8ELNS1_3repE0EEENS1_47radix_sort_onesweep_sort_config_static_selectorELNS0_4arch9wavefront6targetE1EEEvSI_.uses_vcc, 0
	.set _ZN7rocprim17ROCPRIM_400000_NS6detail17trampoline_kernelINS0_14default_configENS1_35radix_sort_onesweep_config_selectorIffEEZZNS1_29radix_sort_onesweep_iterationIS3_Lb0EN6thrust23THRUST_200600_302600_NS6detail15normal_iteratorINS8_10device_ptrIfEEEESD_SD_SD_jNS0_19identity_decomposerENS1_16block_id_wrapperIjLb1EEEEE10hipError_tT1_PNSt15iterator_traitsISI_E10value_typeET2_T3_PNSJ_ISO_E10value_typeET4_T5_PST_SU_PNS1_23onesweep_lookback_stateEbbT6_jjT7_P12ihipStream_tbENKUlT_T0_SI_SN_E_clISD_PfSD_S15_EEDaS11_S12_SI_SN_EUlS11_E_NS1_11comp_targetILNS1_3genE4ELNS1_11target_archE910ELNS1_3gpuE8ELNS1_3repE0EEENS1_47radix_sort_onesweep_sort_config_static_selectorELNS0_4arch9wavefront6targetE1EEEvSI_.uses_flat_scratch, 0
	.set _ZN7rocprim17ROCPRIM_400000_NS6detail17trampoline_kernelINS0_14default_configENS1_35radix_sort_onesweep_config_selectorIffEEZZNS1_29radix_sort_onesweep_iterationIS3_Lb0EN6thrust23THRUST_200600_302600_NS6detail15normal_iteratorINS8_10device_ptrIfEEEESD_SD_SD_jNS0_19identity_decomposerENS1_16block_id_wrapperIjLb1EEEEE10hipError_tT1_PNSt15iterator_traitsISI_E10value_typeET2_T3_PNSJ_ISO_E10value_typeET4_T5_PST_SU_PNS1_23onesweep_lookback_stateEbbT6_jjT7_P12ihipStream_tbENKUlT_T0_SI_SN_E_clISD_PfSD_S15_EEDaS11_S12_SI_SN_EUlS11_E_NS1_11comp_targetILNS1_3genE4ELNS1_11target_archE910ELNS1_3gpuE8ELNS1_3repE0EEENS1_47radix_sort_onesweep_sort_config_static_selectorELNS0_4arch9wavefront6targetE1EEEvSI_.has_dyn_sized_stack, 0
	.set _ZN7rocprim17ROCPRIM_400000_NS6detail17trampoline_kernelINS0_14default_configENS1_35radix_sort_onesweep_config_selectorIffEEZZNS1_29radix_sort_onesweep_iterationIS3_Lb0EN6thrust23THRUST_200600_302600_NS6detail15normal_iteratorINS8_10device_ptrIfEEEESD_SD_SD_jNS0_19identity_decomposerENS1_16block_id_wrapperIjLb1EEEEE10hipError_tT1_PNSt15iterator_traitsISI_E10value_typeET2_T3_PNSJ_ISO_E10value_typeET4_T5_PST_SU_PNS1_23onesweep_lookback_stateEbbT6_jjT7_P12ihipStream_tbENKUlT_T0_SI_SN_E_clISD_PfSD_S15_EEDaS11_S12_SI_SN_EUlS11_E_NS1_11comp_targetILNS1_3genE4ELNS1_11target_archE910ELNS1_3gpuE8ELNS1_3repE0EEENS1_47radix_sort_onesweep_sort_config_static_selectorELNS0_4arch9wavefront6targetE1EEEvSI_.has_recursion, 0
	.set _ZN7rocprim17ROCPRIM_400000_NS6detail17trampoline_kernelINS0_14default_configENS1_35radix_sort_onesweep_config_selectorIffEEZZNS1_29radix_sort_onesweep_iterationIS3_Lb0EN6thrust23THRUST_200600_302600_NS6detail15normal_iteratorINS8_10device_ptrIfEEEESD_SD_SD_jNS0_19identity_decomposerENS1_16block_id_wrapperIjLb1EEEEE10hipError_tT1_PNSt15iterator_traitsISI_E10value_typeET2_T3_PNSJ_ISO_E10value_typeET4_T5_PST_SU_PNS1_23onesweep_lookback_stateEbbT6_jjT7_P12ihipStream_tbENKUlT_T0_SI_SN_E_clISD_PfSD_S15_EEDaS11_S12_SI_SN_EUlS11_E_NS1_11comp_targetILNS1_3genE4ELNS1_11target_archE910ELNS1_3gpuE8ELNS1_3repE0EEENS1_47radix_sort_onesweep_sort_config_static_selectorELNS0_4arch9wavefront6targetE1EEEvSI_.has_indirect_call, 0
	.section	.AMDGPU.csdata,"",@progbits
; Kernel info:
; codeLenInByte = 0
; TotalNumSgprs: 6
; NumVgprs: 0
; NumAgprs: 0
; TotalNumVgprs: 0
; ScratchSize: 0
; MemoryBound: 0
; FloatMode: 240
; IeeeMode: 1
; LDSByteSize: 0 bytes/workgroup (compile time only)
; SGPRBlocks: 0
; VGPRBlocks: 0
; NumSGPRsForWavesPerEU: 6
; NumVGPRsForWavesPerEU: 1
; AccumOffset: 4
; Occupancy: 8
; WaveLimiterHint : 0
; COMPUTE_PGM_RSRC2:SCRATCH_EN: 0
; COMPUTE_PGM_RSRC2:USER_SGPR: 2
; COMPUTE_PGM_RSRC2:TRAP_HANDLER: 0
; COMPUTE_PGM_RSRC2:TGID_X_EN: 1
; COMPUTE_PGM_RSRC2:TGID_Y_EN: 0
; COMPUTE_PGM_RSRC2:TGID_Z_EN: 0
; COMPUTE_PGM_RSRC2:TIDIG_COMP_CNT: 0
; COMPUTE_PGM_RSRC3_GFX90A:ACCUM_OFFSET: 0
; COMPUTE_PGM_RSRC3_GFX90A:TG_SPLIT: 0
	.section	.text._ZN7rocprim17ROCPRIM_400000_NS6detail17trampoline_kernelINS0_14default_configENS1_35radix_sort_onesweep_config_selectorIffEEZZNS1_29radix_sort_onesweep_iterationIS3_Lb0EN6thrust23THRUST_200600_302600_NS6detail15normal_iteratorINS8_10device_ptrIfEEEESD_SD_SD_jNS0_19identity_decomposerENS1_16block_id_wrapperIjLb1EEEEE10hipError_tT1_PNSt15iterator_traitsISI_E10value_typeET2_T3_PNSJ_ISO_E10value_typeET4_T5_PST_SU_PNS1_23onesweep_lookback_stateEbbT6_jjT7_P12ihipStream_tbENKUlT_T0_SI_SN_E_clISD_PfSD_S15_EEDaS11_S12_SI_SN_EUlS11_E_NS1_11comp_targetILNS1_3genE3ELNS1_11target_archE908ELNS1_3gpuE7ELNS1_3repE0EEENS1_47radix_sort_onesweep_sort_config_static_selectorELNS0_4arch9wavefront6targetE1EEEvSI_,"axG",@progbits,_ZN7rocprim17ROCPRIM_400000_NS6detail17trampoline_kernelINS0_14default_configENS1_35radix_sort_onesweep_config_selectorIffEEZZNS1_29radix_sort_onesweep_iterationIS3_Lb0EN6thrust23THRUST_200600_302600_NS6detail15normal_iteratorINS8_10device_ptrIfEEEESD_SD_SD_jNS0_19identity_decomposerENS1_16block_id_wrapperIjLb1EEEEE10hipError_tT1_PNSt15iterator_traitsISI_E10value_typeET2_T3_PNSJ_ISO_E10value_typeET4_T5_PST_SU_PNS1_23onesweep_lookback_stateEbbT6_jjT7_P12ihipStream_tbENKUlT_T0_SI_SN_E_clISD_PfSD_S15_EEDaS11_S12_SI_SN_EUlS11_E_NS1_11comp_targetILNS1_3genE3ELNS1_11target_archE908ELNS1_3gpuE7ELNS1_3repE0EEENS1_47radix_sort_onesweep_sort_config_static_selectorELNS0_4arch9wavefront6targetE1EEEvSI_,comdat
	.protected	_ZN7rocprim17ROCPRIM_400000_NS6detail17trampoline_kernelINS0_14default_configENS1_35radix_sort_onesweep_config_selectorIffEEZZNS1_29radix_sort_onesweep_iterationIS3_Lb0EN6thrust23THRUST_200600_302600_NS6detail15normal_iteratorINS8_10device_ptrIfEEEESD_SD_SD_jNS0_19identity_decomposerENS1_16block_id_wrapperIjLb1EEEEE10hipError_tT1_PNSt15iterator_traitsISI_E10value_typeET2_T3_PNSJ_ISO_E10value_typeET4_T5_PST_SU_PNS1_23onesweep_lookback_stateEbbT6_jjT7_P12ihipStream_tbENKUlT_T0_SI_SN_E_clISD_PfSD_S15_EEDaS11_S12_SI_SN_EUlS11_E_NS1_11comp_targetILNS1_3genE3ELNS1_11target_archE908ELNS1_3gpuE7ELNS1_3repE0EEENS1_47radix_sort_onesweep_sort_config_static_selectorELNS0_4arch9wavefront6targetE1EEEvSI_ ; -- Begin function _ZN7rocprim17ROCPRIM_400000_NS6detail17trampoline_kernelINS0_14default_configENS1_35radix_sort_onesweep_config_selectorIffEEZZNS1_29radix_sort_onesweep_iterationIS3_Lb0EN6thrust23THRUST_200600_302600_NS6detail15normal_iteratorINS8_10device_ptrIfEEEESD_SD_SD_jNS0_19identity_decomposerENS1_16block_id_wrapperIjLb1EEEEE10hipError_tT1_PNSt15iterator_traitsISI_E10value_typeET2_T3_PNSJ_ISO_E10value_typeET4_T5_PST_SU_PNS1_23onesweep_lookback_stateEbbT6_jjT7_P12ihipStream_tbENKUlT_T0_SI_SN_E_clISD_PfSD_S15_EEDaS11_S12_SI_SN_EUlS11_E_NS1_11comp_targetILNS1_3genE3ELNS1_11target_archE908ELNS1_3gpuE7ELNS1_3repE0EEENS1_47radix_sort_onesweep_sort_config_static_selectorELNS0_4arch9wavefront6targetE1EEEvSI_
	.globl	_ZN7rocprim17ROCPRIM_400000_NS6detail17trampoline_kernelINS0_14default_configENS1_35radix_sort_onesweep_config_selectorIffEEZZNS1_29radix_sort_onesweep_iterationIS3_Lb0EN6thrust23THRUST_200600_302600_NS6detail15normal_iteratorINS8_10device_ptrIfEEEESD_SD_SD_jNS0_19identity_decomposerENS1_16block_id_wrapperIjLb1EEEEE10hipError_tT1_PNSt15iterator_traitsISI_E10value_typeET2_T3_PNSJ_ISO_E10value_typeET4_T5_PST_SU_PNS1_23onesweep_lookback_stateEbbT6_jjT7_P12ihipStream_tbENKUlT_T0_SI_SN_E_clISD_PfSD_S15_EEDaS11_S12_SI_SN_EUlS11_E_NS1_11comp_targetILNS1_3genE3ELNS1_11target_archE908ELNS1_3gpuE7ELNS1_3repE0EEENS1_47radix_sort_onesweep_sort_config_static_selectorELNS0_4arch9wavefront6targetE1EEEvSI_
	.p2align	8
	.type	_ZN7rocprim17ROCPRIM_400000_NS6detail17trampoline_kernelINS0_14default_configENS1_35radix_sort_onesweep_config_selectorIffEEZZNS1_29radix_sort_onesweep_iterationIS3_Lb0EN6thrust23THRUST_200600_302600_NS6detail15normal_iteratorINS8_10device_ptrIfEEEESD_SD_SD_jNS0_19identity_decomposerENS1_16block_id_wrapperIjLb1EEEEE10hipError_tT1_PNSt15iterator_traitsISI_E10value_typeET2_T3_PNSJ_ISO_E10value_typeET4_T5_PST_SU_PNS1_23onesweep_lookback_stateEbbT6_jjT7_P12ihipStream_tbENKUlT_T0_SI_SN_E_clISD_PfSD_S15_EEDaS11_S12_SI_SN_EUlS11_E_NS1_11comp_targetILNS1_3genE3ELNS1_11target_archE908ELNS1_3gpuE7ELNS1_3repE0EEENS1_47radix_sort_onesweep_sort_config_static_selectorELNS0_4arch9wavefront6targetE1EEEvSI_,@function
_ZN7rocprim17ROCPRIM_400000_NS6detail17trampoline_kernelINS0_14default_configENS1_35radix_sort_onesweep_config_selectorIffEEZZNS1_29radix_sort_onesweep_iterationIS3_Lb0EN6thrust23THRUST_200600_302600_NS6detail15normal_iteratorINS8_10device_ptrIfEEEESD_SD_SD_jNS0_19identity_decomposerENS1_16block_id_wrapperIjLb1EEEEE10hipError_tT1_PNSt15iterator_traitsISI_E10value_typeET2_T3_PNSJ_ISO_E10value_typeET4_T5_PST_SU_PNS1_23onesweep_lookback_stateEbbT6_jjT7_P12ihipStream_tbENKUlT_T0_SI_SN_E_clISD_PfSD_S15_EEDaS11_S12_SI_SN_EUlS11_E_NS1_11comp_targetILNS1_3genE3ELNS1_11target_archE908ELNS1_3gpuE7ELNS1_3repE0EEENS1_47radix_sort_onesweep_sort_config_static_selectorELNS0_4arch9wavefront6targetE1EEEvSI_: ; @_ZN7rocprim17ROCPRIM_400000_NS6detail17trampoline_kernelINS0_14default_configENS1_35radix_sort_onesweep_config_selectorIffEEZZNS1_29radix_sort_onesweep_iterationIS3_Lb0EN6thrust23THRUST_200600_302600_NS6detail15normal_iteratorINS8_10device_ptrIfEEEESD_SD_SD_jNS0_19identity_decomposerENS1_16block_id_wrapperIjLb1EEEEE10hipError_tT1_PNSt15iterator_traitsISI_E10value_typeET2_T3_PNSJ_ISO_E10value_typeET4_T5_PST_SU_PNS1_23onesweep_lookback_stateEbbT6_jjT7_P12ihipStream_tbENKUlT_T0_SI_SN_E_clISD_PfSD_S15_EEDaS11_S12_SI_SN_EUlS11_E_NS1_11comp_targetILNS1_3genE3ELNS1_11target_archE908ELNS1_3gpuE7ELNS1_3repE0EEENS1_47radix_sort_onesweep_sort_config_static_selectorELNS0_4arch9wavefront6targetE1EEEvSI_
; %bb.0:
	.section	.rodata,"a",@progbits
	.p2align	6, 0x0
	.amdhsa_kernel _ZN7rocprim17ROCPRIM_400000_NS6detail17trampoline_kernelINS0_14default_configENS1_35radix_sort_onesweep_config_selectorIffEEZZNS1_29radix_sort_onesweep_iterationIS3_Lb0EN6thrust23THRUST_200600_302600_NS6detail15normal_iteratorINS8_10device_ptrIfEEEESD_SD_SD_jNS0_19identity_decomposerENS1_16block_id_wrapperIjLb1EEEEE10hipError_tT1_PNSt15iterator_traitsISI_E10value_typeET2_T3_PNSJ_ISO_E10value_typeET4_T5_PST_SU_PNS1_23onesweep_lookback_stateEbbT6_jjT7_P12ihipStream_tbENKUlT_T0_SI_SN_E_clISD_PfSD_S15_EEDaS11_S12_SI_SN_EUlS11_E_NS1_11comp_targetILNS1_3genE3ELNS1_11target_archE908ELNS1_3gpuE7ELNS1_3repE0EEENS1_47radix_sort_onesweep_sort_config_static_selectorELNS0_4arch9wavefront6targetE1EEEvSI_
		.amdhsa_group_segment_fixed_size 0
		.amdhsa_private_segment_fixed_size 0
		.amdhsa_kernarg_size 88
		.amdhsa_user_sgpr_count 2
		.amdhsa_user_sgpr_dispatch_ptr 0
		.amdhsa_user_sgpr_queue_ptr 0
		.amdhsa_user_sgpr_kernarg_segment_ptr 1
		.amdhsa_user_sgpr_dispatch_id 0
		.amdhsa_user_sgpr_kernarg_preload_length 0
		.amdhsa_user_sgpr_kernarg_preload_offset 0
		.amdhsa_user_sgpr_private_segment_size 0
		.amdhsa_uses_dynamic_stack 0
		.amdhsa_enable_private_segment 0
		.amdhsa_system_sgpr_workgroup_id_x 1
		.amdhsa_system_sgpr_workgroup_id_y 0
		.amdhsa_system_sgpr_workgroup_id_z 0
		.amdhsa_system_sgpr_workgroup_info 0
		.amdhsa_system_vgpr_workitem_id 0
		.amdhsa_next_free_vgpr 1
		.amdhsa_next_free_sgpr 0
		.amdhsa_accum_offset 4
		.amdhsa_reserve_vcc 0
		.amdhsa_float_round_mode_32 0
		.amdhsa_float_round_mode_16_64 0
		.amdhsa_float_denorm_mode_32 3
		.amdhsa_float_denorm_mode_16_64 3
		.amdhsa_dx10_clamp 1
		.amdhsa_ieee_mode 1
		.amdhsa_fp16_overflow 0
		.amdhsa_tg_split 0
		.amdhsa_exception_fp_ieee_invalid_op 0
		.amdhsa_exception_fp_denorm_src 0
		.amdhsa_exception_fp_ieee_div_zero 0
		.amdhsa_exception_fp_ieee_overflow 0
		.amdhsa_exception_fp_ieee_underflow 0
		.amdhsa_exception_fp_ieee_inexact 0
		.amdhsa_exception_int_div_zero 0
	.end_amdhsa_kernel
	.section	.text._ZN7rocprim17ROCPRIM_400000_NS6detail17trampoline_kernelINS0_14default_configENS1_35radix_sort_onesweep_config_selectorIffEEZZNS1_29radix_sort_onesweep_iterationIS3_Lb0EN6thrust23THRUST_200600_302600_NS6detail15normal_iteratorINS8_10device_ptrIfEEEESD_SD_SD_jNS0_19identity_decomposerENS1_16block_id_wrapperIjLb1EEEEE10hipError_tT1_PNSt15iterator_traitsISI_E10value_typeET2_T3_PNSJ_ISO_E10value_typeET4_T5_PST_SU_PNS1_23onesweep_lookback_stateEbbT6_jjT7_P12ihipStream_tbENKUlT_T0_SI_SN_E_clISD_PfSD_S15_EEDaS11_S12_SI_SN_EUlS11_E_NS1_11comp_targetILNS1_3genE3ELNS1_11target_archE908ELNS1_3gpuE7ELNS1_3repE0EEENS1_47radix_sort_onesweep_sort_config_static_selectorELNS0_4arch9wavefront6targetE1EEEvSI_,"axG",@progbits,_ZN7rocprim17ROCPRIM_400000_NS6detail17trampoline_kernelINS0_14default_configENS1_35radix_sort_onesweep_config_selectorIffEEZZNS1_29radix_sort_onesweep_iterationIS3_Lb0EN6thrust23THRUST_200600_302600_NS6detail15normal_iteratorINS8_10device_ptrIfEEEESD_SD_SD_jNS0_19identity_decomposerENS1_16block_id_wrapperIjLb1EEEEE10hipError_tT1_PNSt15iterator_traitsISI_E10value_typeET2_T3_PNSJ_ISO_E10value_typeET4_T5_PST_SU_PNS1_23onesweep_lookback_stateEbbT6_jjT7_P12ihipStream_tbENKUlT_T0_SI_SN_E_clISD_PfSD_S15_EEDaS11_S12_SI_SN_EUlS11_E_NS1_11comp_targetILNS1_3genE3ELNS1_11target_archE908ELNS1_3gpuE7ELNS1_3repE0EEENS1_47radix_sort_onesweep_sort_config_static_selectorELNS0_4arch9wavefront6targetE1EEEvSI_,comdat
.Lfunc_end319:
	.size	_ZN7rocprim17ROCPRIM_400000_NS6detail17trampoline_kernelINS0_14default_configENS1_35radix_sort_onesweep_config_selectorIffEEZZNS1_29radix_sort_onesweep_iterationIS3_Lb0EN6thrust23THRUST_200600_302600_NS6detail15normal_iteratorINS8_10device_ptrIfEEEESD_SD_SD_jNS0_19identity_decomposerENS1_16block_id_wrapperIjLb1EEEEE10hipError_tT1_PNSt15iterator_traitsISI_E10value_typeET2_T3_PNSJ_ISO_E10value_typeET4_T5_PST_SU_PNS1_23onesweep_lookback_stateEbbT6_jjT7_P12ihipStream_tbENKUlT_T0_SI_SN_E_clISD_PfSD_S15_EEDaS11_S12_SI_SN_EUlS11_E_NS1_11comp_targetILNS1_3genE3ELNS1_11target_archE908ELNS1_3gpuE7ELNS1_3repE0EEENS1_47radix_sort_onesweep_sort_config_static_selectorELNS0_4arch9wavefront6targetE1EEEvSI_, .Lfunc_end319-_ZN7rocprim17ROCPRIM_400000_NS6detail17trampoline_kernelINS0_14default_configENS1_35radix_sort_onesweep_config_selectorIffEEZZNS1_29radix_sort_onesweep_iterationIS3_Lb0EN6thrust23THRUST_200600_302600_NS6detail15normal_iteratorINS8_10device_ptrIfEEEESD_SD_SD_jNS0_19identity_decomposerENS1_16block_id_wrapperIjLb1EEEEE10hipError_tT1_PNSt15iterator_traitsISI_E10value_typeET2_T3_PNSJ_ISO_E10value_typeET4_T5_PST_SU_PNS1_23onesweep_lookback_stateEbbT6_jjT7_P12ihipStream_tbENKUlT_T0_SI_SN_E_clISD_PfSD_S15_EEDaS11_S12_SI_SN_EUlS11_E_NS1_11comp_targetILNS1_3genE3ELNS1_11target_archE908ELNS1_3gpuE7ELNS1_3repE0EEENS1_47radix_sort_onesweep_sort_config_static_selectorELNS0_4arch9wavefront6targetE1EEEvSI_
                                        ; -- End function
	.set _ZN7rocprim17ROCPRIM_400000_NS6detail17trampoline_kernelINS0_14default_configENS1_35radix_sort_onesweep_config_selectorIffEEZZNS1_29radix_sort_onesweep_iterationIS3_Lb0EN6thrust23THRUST_200600_302600_NS6detail15normal_iteratorINS8_10device_ptrIfEEEESD_SD_SD_jNS0_19identity_decomposerENS1_16block_id_wrapperIjLb1EEEEE10hipError_tT1_PNSt15iterator_traitsISI_E10value_typeET2_T3_PNSJ_ISO_E10value_typeET4_T5_PST_SU_PNS1_23onesweep_lookback_stateEbbT6_jjT7_P12ihipStream_tbENKUlT_T0_SI_SN_E_clISD_PfSD_S15_EEDaS11_S12_SI_SN_EUlS11_E_NS1_11comp_targetILNS1_3genE3ELNS1_11target_archE908ELNS1_3gpuE7ELNS1_3repE0EEENS1_47radix_sort_onesweep_sort_config_static_selectorELNS0_4arch9wavefront6targetE1EEEvSI_.num_vgpr, 0
	.set _ZN7rocprim17ROCPRIM_400000_NS6detail17trampoline_kernelINS0_14default_configENS1_35radix_sort_onesweep_config_selectorIffEEZZNS1_29radix_sort_onesweep_iterationIS3_Lb0EN6thrust23THRUST_200600_302600_NS6detail15normal_iteratorINS8_10device_ptrIfEEEESD_SD_SD_jNS0_19identity_decomposerENS1_16block_id_wrapperIjLb1EEEEE10hipError_tT1_PNSt15iterator_traitsISI_E10value_typeET2_T3_PNSJ_ISO_E10value_typeET4_T5_PST_SU_PNS1_23onesweep_lookback_stateEbbT6_jjT7_P12ihipStream_tbENKUlT_T0_SI_SN_E_clISD_PfSD_S15_EEDaS11_S12_SI_SN_EUlS11_E_NS1_11comp_targetILNS1_3genE3ELNS1_11target_archE908ELNS1_3gpuE7ELNS1_3repE0EEENS1_47radix_sort_onesweep_sort_config_static_selectorELNS0_4arch9wavefront6targetE1EEEvSI_.num_agpr, 0
	.set _ZN7rocprim17ROCPRIM_400000_NS6detail17trampoline_kernelINS0_14default_configENS1_35radix_sort_onesweep_config_selectorIffEEZZNS1_29radix_sort_onesweep_iterationIS3_Lb0EN6thrust23THRUST_200600_302600_NS6detail15normal_iteratorINS8_10device_ptrIfEEEESD_SD_SD_jNS0_19identity_decomposerENS1_16block_id_wrapperIjLb1EEEEE10hipError_tT1_PNSt15iterator_traitsISI_E10value_typeET2_T3_PNSJ_ISO_E10value_typeET4_T5_PST_SU_PNS1_23onesweep_lookback_stateEbbT6_jjT7_P12ihipStream_tbENKUlT_T0_SI_SN_E_clISD_PfSD_S15_EEDaS11_S12_SI_SN_EUlS11_E_NS1_11comp_targetILNS1_3genE3ELNS1_11target_archE908ELNS1_3gpuE7ELNS1_3repE0EEENS1_47radix_sort_onesweep_sort_config_static_selectorELNS0_4arch9wavefront6targetE1EEEvSI_.numbered_sgpr, 0
	.set _ZN7rocprim17ROCPRIM_400000_NS6detail17trampoline_kernelINS0_14default_configENS1_35radix_sort_onesweep_config_selectorIffEEZZNS1_29radix_sort_onesweep_iterationIS3_Lb0EN6thrust23THRUST_200600_302600_NS6detail15normal_iteratorINS8_10device_ptrIfEEEESD_SD_SD_jNS0_19identity_decomposerENS1_16block_id_wrapperIjLb1EEEEE10hipError_tT1_PNSt15iterator_traitsISI_E10value_typeET2_T3_PNSJ_ISO_E10value_typeET4_T5_PST_SU_PNS1_23onesweep_lookback_stateEbbT6_jjT7_P12ihipStream_tbENKUlT_T0_SI_SN_E_clISD_PfSD_S15_EEDaS11_S12_SI_SN_EUlS11_E_NS1_11comp_targetILNS1_3genE3ELNS1_11target_archE908ELNS1_3gpuE7ELNS1_3repE0EEENS1_47radix_sort_onesweep_sort_config_static_selectorELNS0_4arch9wavefront6targetE1EEEvSI_.num_named_barrier, 0
	.set _ZN7rocprim17ROCPRIM_400000_NS6detail17trampoline_kernelINS0_14default_configENS1_35radix_sort_onesweep_config_selectorIffEEZZNS1_29radix_sort_onesweep_iterationIS3_Lb0EN6thrust23THRUST_200600_302600_NS6detail15normal_iteratorINS8_10device_ptrIfEEEESD_SD_SD_jNS0_19identity_decomposerENS1_16block_id_wrapperIjLb1EEEEE10hipError_tT1_PNSt15iterator_traitsISI_E10value_typeET2_T3_PNSJ_ISO_E10value_typeET4_T5_PST_SU_PNS1_23onesweep_lookback_stateEbbT6_jjT7_P12ihipStream_tbENKUlT_T0_SI_SN_E_clISD_PfSD_S15_EEDaS11_S12_SI_SN_EUlS11_E_NS1_11comp_targetILNS1_3genE3ELNS1_11target_archE908ELNS1_3gpuE7ELNS1_3repE0EEENS1_47radix_sort_onesweep_sort_config_static_selectorELNS0_4arch9wavefront6targetE1EEEvSI_.private_seg_size, 0
	.set _ZN7rocprim17ROCPRIM_400000_NS6detail17trampoline_kernelINS0_14default_configENS1_35radix_sort_onesweep_config_selectorIffEEZZNS1_29radix_sort_onesweep_iterationIS3_Lb0EN6thrust23THRUST_200600_302600_NS6detail15normal_iteratorINS8_10device_ptrIfEEEESD_SD_SD_jNS0_19identity_decomposerENS1_16block_id_wrapperIjLb1EEEEE10hipError_tT1_PNSt15iterator_traitsISI_E10value_typeET2_T3_PNSJ_ISO_E10value_typeET4_T5_PST_SU_PNS1_23onesweep_lookback_stateEbbT6_jjT7_P12ihipStream_tbENKUlT_T0_SI_SN_E_clISD_PfSD_S15_EEDaS11_S12_SI_SN_EUlS11_E_NS1_11comp_targetILNS1_3genE3ELNS1_11target_archE908ELNS1_3gpuE7ELNS1_3repE0EEENS1_47radix_sort_onesweep_sort_config_static_selectorELNS0_4arch9wavefront6targetE1EEEvSI_.uses_vcc, 0
	.set _ZN7rocprim17ROCPRIM_400000_NS6detail17trampoline_kernelINS0_14default_configENS1_35radix_sort_onesweep_config_selectorIffEEZZNS1_29radix_sort_onesweep_iterationIS3_Lb0EN6thrust23THRUST_200600_302600_NS6detail15normal_iteratorINS8_10device_ptrIfEEEESD_SD_SD_jNS0_19identity_decomposerENS1_16block_id_wrapperIjLb1EEEEE10hipError_tT1_PNSt15iterator_traitsISI_E10value_typeET2_T3_PNSJ_ISO_E10value_typeET4_T5_PST_SU_PNS1_23onesweep_lookback_stateEbbT6_jjT7_P12ihipStream_tbENKUlT_T0_SI_SN_E_clISD_PfSD_S15_EEDaS11_S12_SI_SN_EUlS11_E_NS1_11comp_targetILNS1_3genE3ELNS1_11target_archE908ELNS1_3gpuE7ELNS1_3repE0EEENS1_47radix_sort_onesweep_sort_config_static_selectorELNS0_4arch9wavefront6targetE1EEEvSI_.uses_flat_scratch, 0
	.set _ZN7rocprim17ROCPRIM_400000_NS6detail17trampoline_kernelINS0_14default_configENS1_35radix_sort_onesweep_config_selectorIffEEZZNS1_29radix_sort_onesweep_iterationIS3_Lb0EN6thrust23THRUST_200600_302600_NS6detail15normal_iteratorINS8_10device_ptrIfEEEESD_SD_SD_jNS0_19identity_decomposerENS1_16block_id_wrapperIjLb1EEEEE10hipError_tT1_PNSt15iterator_traitsISI_E10value_typeET2_T3_PNSJ_ISO_E10value_typeET4_T5_PST_SU_PNS1_23onesweep_lookback_stateEbbT6_jjT7_P12ihipStream_tbENKUlT_T0_SI_SN_E_clISD_PfSD_S15_EEDaS11_S12_SI_SN_EUlS11_E_NS1_11comp_targetILNS1_3genE3ELNS1_11target_archE908ELNS1_3gpuE7ELNS1_3repE0EEENS1_47radix_sort_onesweep_sort_config_static_selectorELNS0_4arch9wavefront6targetE1EEEvSI_.has_dyn_sized_stack, 0
	.set _ZN7rocprim17ROCPRIM_400000_NS6detail17trampoline_kernelINS0_14default_configENS1_35radix_sort_onesweep_config_selectorIffEEZZNS1_29radix_sort_onesweep_iterationIS3_Lb0EN6thrust23THRUST_200600_302600_NS6detail15normal_iteratorINS8_10device_ptrIfEEEESD_SD_SD_jNS0_19identity_decomposerENS1_16block_id_wrapperIjLb1EEEEE10hipError_tT1_PNSt15iterator_traitsISI_E10value_typeET2_T3_PNSJ_ISO_E10value_typeET4_T5_PST_SU_PNS1_23onesweep_lookback_stateEbbT6_jjT7_P12ihipStream_tbENKUlT_T0_SI_SN_E_clISD_PfSD_S15_EEDaS11_S12_SI_SN_EUlS11_E_NS1_11comp_targetILNS1_3genE3ELNS1_11target_archE908ELNS1_3gpuE7ELNS1_3repE0EEENS1_47radix_sort_onesweep_sort_config_static_selectorELNS0_4arch9wavefront6targetE1EEEvSI_.has_recursion, 0
	.set _ZN7rocprim17ROCPRIM_400000_NS6detail17trampoline_kernelINS0_14default_configENS1_35radix_sort_onesweep_config_selectorIffEEZZNS1_29radix_sort_onesweep_iterationIS3_Lb0EN6thrust23THRUST_200600_302600_NS6detail15normal_iteratorINS8_10device_ptrIfEEEESD_SD_SD_jNS0_19identity_decomposerENS1_16block_id_wrapperIjLb1EEEEE10hipError_tT1_PNSt15iterator_traitsISI_E10value_typeET2_T3_PNSJ_ISO_E10value_typeET4_T5_PST_SU_PNS1_23onesweep_lookback_stateEbbT6_jjT7_P12ihipStream_tbENKUlT_T0_SI_SN_E_clISD_PfSD_S15_EEDaS11_S12_SI_SN_EUlS11_E_NS1_11comp_targetILNS1_3genE3ELNS1_11target_archE908ELNS1_3gpuE7ELNS1_3repE0EEENS1_47radix_sort_onesweep_sort_config_static_selectorELNS0_4arch9wavefront6targetE1EEEvSI_.has_indirect_call, 0
	.section	.AMDGPU.csdata,"",@progbits
; Kernel info:
; codeLenInByte = 0
; TotalNumSgprs: 6
; NumVgprs: 0
; NumAgprs: 0
; TotalNumVgprs: 0
; ScratchSize: 0
; MemoryBound: 0
; FloatMode: 240
; IeeeMode: 1
; LDSByteSize: 0 bytes/workgroup (compile time only)
; SGPRBlocks: 0
; VGPRBlocks: 0
; NumSGPRsForWavesPerEU: 6
; NumVGPRsForWavesPerEU: 1
; AccumOffset: 4
; Occupancy: 8
; WaveLimiterHint : 0
; COMPUTE_PGM_RSRC2:SCRATCH_EN: 0
; COMPUTE_PGM_RSRC2:USER_SGPR: 2
; COMPUTE_PGM_RSRC2:TRAP_HANDLER: 0
; COMPUTE_PGM_RSRC2:TGID_X_EN: 1
; COMPUTE_PGM_RSRC2:TGID_Y_EN: 0
; COMPUTE_PGM_RSRC2:TGID_Z_EN: 0
; COMPUTE_PGM_RSRC2:TIDIG_COMP_CNT: 0
; COMPUTE_PGM_RSRC3_GFX90A:ACCUM_OFFSET: 0
; COMPUTE_PGM_RSRC3_GFX90A:TG_SPLIT: 0
	.section	.text._ZN7rocprim17ROCPRIM_400000_NS6detail17trampoline_kernelINS0_14default_configENS1_35radix_sort_onesweep_config_selectorIffEEZZNS1_29radix_sort_onesweep_iterationIS3_Lb0EN6thrust23THRUST_200600_302600_NS6detail15normal_iteratorINS8_10device_ptrIfEEEESD_SD_SD_jNS0_19identity_decomposerENS1_16block_id_wrapperIjLb1EEEEE10hipError_tT1_PNSt15iterator_traitsISI_E10value_typeET2_T3_PNSJ_ISO_E10value_typeET4_T5_PST_SU_PNS1_23onesweep_lookback_stateEbbT6_jjT7_P12ihipStream_tbENKUlT_T0_SI_SN_E_clISD_PfSD_S15_EEDaS11_S12_SI_SN_EUlS11_E_NS1_11comp_targetILNS1_3genE10ELNS1_11target_archE1201ELNS1_3gpuE5ELNS1_3repE0EEENS1_47radix_sort_onesweep_sort_config_static_selectorELNS0_4arch9wavefront6targetE1EEEvSI_,"axG",@progbits,_ZN7rocprim17ROCPRIM_400000_NS6detail17trampoline_kernelINS0_14default_configENS1_35radix_sort_onesweep_config_selectorIffEEZZNS1_29radix_sort_onesweep_iterationIS3_Lb0EN6thrust23THRUST_200600_302600_NS6detail15normal_iteratorINS8_10device_ptrIfEEEESD_SD_SD_jNS0_19identity_decomposerENS1_16block_id_wrapperIjLb1EEEEE10hipError_tT1_PNSt15iterator_traitsISI_E10value_typeET2_T3_PNSJ_ISO_E10value_typeET4_T5_PST_SU_PNS1_23onesweep_lookback_stateEbbT6_jjT7_P12ihipStream_tbENKUlT_T0_SI_SN_E_clISD_PfSD_S15_EEDaS11_S12_SI_SN_EUlS11_E_NS1_11comp_targetILNS1_3genE10ELNS1_11target_archE1201ELNS1_3gpuE5ELNS1_3repE0EEENS1_47radix_sort_onesweep_sort_config_static_selectorELNS0_4arch9wavefront6targetE1EEEvSI_,comdat
	.protected	_ZN7rocprim17ROCPRIM_400000_NS6detail17trampoline_kernelINS0_14default_configENS1_35radix_sort_onesweep_config_selectorIffEEZZNS1_29radix_sort_onesweep_iterationIS3_Lb0EN6thrust23THRUST_200600_302600_NS6detail15normal_iteratorINS8_10device_ptrIfEEEESD_SD_SD_jNS0_19identity_decomposerENS1_16block_id_wrapperIjLb1EEEEE10hipError_tT1_PNSt15iterator_traitsISI_E10value_typeET2_T3_PNSJ_ISO_E10value_typeET4_T5_PST_SU_PNS1_23onesweep_lookback_stateEbbT6_jjT7_P12ihipStream_tbENKUlT_T0_SI_SN_E_clISD_PfSD_S15_EEDaS11_S12_SI_SN_EUlS11_E_NS1_11comp_targetILNS1_3genE10ELNS1_11target_archE1201ELNS1_3gpuE5ELNS1_3repE0EEENS1_47radix_sort_onesweep_sort_config_static_selectorELNS0_4arch9wavefront6targetE1EEEvSI_ ; -- Begin function _ZN7rocprim17ROCPRIM_400000_NS6detail17trampoline_kernelINS0_14default_configENS1_35radix_sort_onesweep_config_selectorIffEEZZNS1_29radix_sort_onesweep_iterationIS3_Lb0EN6thrust23THRUST_200600_302600_NS6detail15normal_iteratorINS8_10device_ptrIfEEEESD_SD_SD_jNS0_19identity_decomposerENS1_16block_id_wrapperIjLb1EEEEE10hipError_tT1_PNSt15iterator_traitsISI_E10value_typeET2_T3_PNSJ_ISO_E10value_typeET4_T5_PST_SU_PNS1_23onesweep_lookback_stateEbbT6_jjT7_P12ihipStream_tbENKUlT_T0_SI_SN_E_clISD_PfSD_S15_EEDaS11_S12_SI_SN_EUlS11_E_NS1_11comp_targetILNS1_3genE10ELNS1_11target_archE1201ELNS1_3gpuE5ELNS1_3repE0EEENS1_47radix_sort_onesweep_sort_config_static_selectorELNS0_4arch9wavefront6targetE1EEEvSI_
	.globl	_ZN7rocprim17ROCPRIM_400000_NS6detail17trampoline_kernelINS0_14default_configENS1_35radix_sort_onesweep_config_selectorIffEEZZNS1_29radix_sort_onesweep_iterationIS3_Lb0EN6thrust23THRUST_200600_302600_NS6detail15normal_iteratorINS8_10device_ptrIfEEEESD_SD_SD_jNS0_19identity_decomposerENS1_16block_id_wrapperIjLb1EEEEE10hipError_tT1_PNSt15iterator_traitsISI_E10value_typeET2_T3_PNSJ_ISO_E10value_typeET4_T5_PST_SU_PNS1_23onesweep_lookback_stateEbbT6_jjT7_P12ihipStream_tbENKUlT_T0_SI_SN_E_clISD_PfSD_S15_EEDaS11_S12_SI_SN_EUlS11_E_NS1_11comp_targetILNS1_3genE10ELNS1_11target_archE1201ELNS1_3gpuE5ELNS1_3repE0EEENS1_47radix_sort_onesweep_sort_config_static_selectorELNS0_4arch9wavefront6targetE1EEEvSI_
	.p2align	8
	.type	_ZN7rocprim17ROCPRIM_400000_NS6detail17trampoline_kernelINS0_14default_configENS1_35radix_sort_onesweep_config_selectorIffEEZZNS1_29radix_sort_onesweep_iterationIS3_Lb0EN6thrust23THRUST_200600_302600_NS6detail15normal_iteratorINS8_10device_ptrIfEEEESD_SD_SD_jNS0_19identity_decomposerENS1_16block_id_wrapperIjLb1EEEEE10hipError_tT1_PNSt15iterator_traitsISI_E10value_typeET2_T3_PNSJ_ISO_E10value_typeET4_T5_PST_SU_PNS1_23onesweep_lookback_stateEbbT6_jjT7_P12ihipStream_tbENKUlT_T0_SI_SN_E_clISD_PfSD_S15_EEDaS11_S12_SI_SN_EUlS11_E_NS1_11comp_targetILNS1_3genE10ELNS1_11target_archE1201ELNS1_3gpuE5ELNS1_3repE0EEENS1_47radix_sort_onesweep_sort_config_static_selectorELNS0_4arch9wavefront6targetE1EEEvSI_,@function
_ZN7rocprim17ROCPRIM_400000_NS6detail17trampoline_kernelINS0_14default_configENS1_35radix_sort_onesweep_config_selectorIffEEZZNS1_29radix_sort_onesweep_iterationIS3_Lb0EN6thrust23THRUST_200600_302600_NS6detail15normal_iteratorINS8_10device_ptrIfEEEESD_SD_SD_jNS0_19identity_decomposerENS1_16block_id_wrapperIjLb1EEEEE10hipError_tT1_PNSt15iterator_traitsISI_E10value_typeET2_T3_PNSJ_ISO_E10value_typeET4_T5_PST_SU_PNS1_23onesweep_lookback_stateEbbT6_jjT7_P12ihipStream_tbENKUlT_T0_SI_SN_E_clISD_PfSD_S15_EEDaS11_S12_SI_SN_EUlS11_E_NS1_11comp_targetILNS1_3genE10ELNS1_11target_archE1201ELNS1_3gpuE5ELNS1_3repE0EEENS1_47radix_sort_onesweep_sort_config_static_selectorELNS0_4arch9wavefront6targetE1EEEvSI_: ; @_ZN7rocprim17ROCPRIM_400000_NS6detail17trampoline_kernelINS0_14default_configENS1_35radix_sort_onesweep_config_selectorIffEEZZNS1_29radix_sort_onesweep_iterationIS3_Lb0EN6thrust23THRUST_200600_302600_NS6detail15normal_iteratorINS8_10device_ptrIfEEEESD_SD_SD_jNS0_19identity_decomposerENS1_16block_id_wrapperIjLb1EEEEE10hipError_tT1_PNSt15iterator_traitsISI_E10value_typeET2_T3_PNSJ_ISO_E10value_typeET4_T5_PST_SU_PNS1_23onesweep_lookback_stateEbbT6_jjT7_P12ihipStream_tbENKUlT_T0_SI_SN_E_clISD_PfSD_S15_EEDaS11_S12_SI_SN_EUlS11_E_NS1_11comp_targetILNS1_3genE10ELNS1_11target_archE1201ELNS1_3gpuE5ELNS1_3repE0EEENS1_47radix_sort_onesweep_sort_config_static_selectorELNS0_4arch9wavefront6targetE1EEEvSI_
; %bb.0:
	.section	.rodata,"a",@progbits
	.p2align	6, 0x0
	.amdhsa_kernel _ZN7rocprim17ROCPRIM_400000_NS6detail17trampoline_kernelINS0_14default_configENS1_35radix_sort_onesweep_config_selectorIffEEZZNS1_29radix_sort_onesweep_iterationIS3_Lb0EN6thrust23THRUST_200600_302600_NS6detail15normal_iteratorINS8_10device_ptrIfEEEESD_SD_SD_jNS0_19identity_decomposerENS1_16block_id_wrapperIjLb1EEEEE10hipError_tT1_PNSt15iterator_traitsISI_E10value_typeET2_T3_PNSJ_ISO_E10value_typeET4_T5_PST_SU_PNS1_23onesweep_lookback_stateEbbT6_jjT7_P12ihipStream_tbENKUlT_T0_SI_SN_E_clISD_PfSD_S15_EEDaS11_S12_SI_SN_EUlS11_E_NS1_11comp_targetILNS1_3genE10ELNS1_11target_archE1201ELNS1_3gpuE5ELNS1_3repE0EEENS1_47radix_sort_onesweep_sort_config_static_selectorELNS0_4arch9wavefront6targetE1EEEvSI_
		.amdhsa_group_segment_fixed_size 0
		.amdhsa_private_segment_fixed_size 0
		.amdhsa_kernarg_size 88
		.amdhsa_user_sgpr_count 2
		.amdhsa_user_sgpr_dispatch_ptr 0
		.amdhsa_user_sgpr_queue_ptr 0
		.amdhsa_user_sgpr_kernarg_segment_ptr 1
		.amdhsa_user_sgpr_dispatch_id 0
		.amdhsa_user_sgpr_kernarg_preload_length 0
		.amdhsa_user_sgpr_kernarg_preload_offset 0
		.amdhsa_user_sgpr_private_segment_size 0
		.amdhsa_uses_dynamic_stack 0
		.amdhsa_enable_private_segment 0
		.amdhsa_system_sgpr_workgroup_id_x 1
		.amdhsa_system_sgpr_workgroup_id_y 0
		.amdhsa_system_sgpr_workgroup_id_z 0
		.amdhsa_system_sgpr_workgroup_info 0
		.amdhsa_system_vgpr_workitem_id 0
		.amdhsa_next_free_vgpr 1
		.amdhsa_next_free_sgpr 0
		.amdhsa_accum_offset 4
		.amdhsa_reserve_vcc 0
		.amdhsa_float_round_mode_32 0
		.amdhsa_float_round_mode_16_64 0
		.amdhsa_float_denorm_mode_32 3
		.amdhsa_float_denorm_mode_16_64 3
		.amdhsa_dx10_clamp 1
		.amdhsa_ieee_mode 1
		.amdhsa_fp16_overflow 0
		.amdhsa_tg_split 0
		.amdhsa_exception_fp_ieee_invalid_op 0
		.amdhsa_exception_fp_denorm_src 0
		.amdhsa_exception_fp_ieee_div_zero 0
		.amdhsa_exception_fp_ieee_overflow 0
		.amdhsa_exception_fp_ieee_underflow 0
		.amdhsa_exception_fp_ieee_inexact 0
		.amdhsa_exception_int_div_zero 0
	.end_amdhsa_kernel
	.section	.text._ZN7rocprim17ROCPRIM_400000_NS6detail17trampoline_kernelINS0_14default_configENS1_35radix_sort_onesweep_config_selectorIffEEZZNS1_29radix_sort_onesweep_iterationIS3_Lb0EN6thrust23THRUST_200600_302600_NS6detail15normal_iteratorINS8_10device_ptrIfEEEESD_SD_SD_jNS0_19identity_decomposerENS1_16block_id_wrapperIjLb1EEEEE10hipError_tT1_PNSt15iterator_traitsISI_E10value_typeET2_T3_PNSJ_ISO_E10value_typeET4_T5_PST_SU_PNS1_23onesweep_lookback_stateEbbT6_jjT7_P12ihipStream_tbENKUlT_T0_SI_SN_E_clISD_PfSD_S15_EEDaS11_S12_SI_SN_EUlS11_E_NS1_11comp_targetILNS1_3genE10ELNS1_11target_archE1201ELNS1_3gpuE5ELNS1_3repE0EEENS1_47radix_sort_onesweep_sort_config_static_selectorELNS0_4arch9wavefront6targetE1EEEvSI_,"axG",@progbits,_ZN7rocprim17ROCPRIM_400000_NS6detail17trampoline_kernelINS0_14default_configENS1_35radix_sort_onesweep_config_selectorIffEEZZNS1_29radix_sort_onesweep_iterationIS3_Lb0EN6thrust23THRUST_200600_302600_NS6detail15normal_iteratorINS8_10device_ptrIfEEEESD_SD_SD_jNS0_19identity_decomposerENS1_16block_id_wrapperIjLb1EEEEE10hipError_tT1_PNSt15iterator_traitsISI_E10value_typeET2_T3_PNSJ_ISO_E10value_typeET4_T5_PST_SU_PNS1_23onesweep_lookback_stateEbbT6_jjT7_P12ihipStream_tbENKUlT_T0_SI_SN_E_clISD_PfSD_S15_EEDaS11_S12_SI_SN_EUlS11_E_NS1_11comp_targetILNS1_3genE10ELNS1_11target_archE1201ELNS1_3gpuE5ELNS1_3repE0EEENS1_47radix_sort_onesweep_sort_config_static_selectorELNS0_4arch9wavefront6targetE1EEEvSI_,comdat
.Lfunc_end320:
	.size	_ZN7rocprim17ROCPRIM_400000_NS6detail17trampoline_kernelINS0_14default_configENS1_35radix_sort_onesweep_config_selectorIffEEZZNS1_29radix_sort_onesweep_iterationIS3_Lb0EN6thrust23THRUST_200600_302600_NS6detail15normal_iteratorINS8_10device_ptrIfEEEESD_SD_SD_jNS0_19identity_decomposerENS1_16block_id_wrapperIjLb1EEEEE10hipError_tT1_PNSt15iterator_traitsISI_E10value_typeET2_T3_PNSJ_ISO_E10value_typeET4_T5_PST_SU_PNS1_23onesweep_lookback_stateEbbT6_jjT7_P12ihipStream_tbENKUlT_T0_SI_SN_E_clISD_PfSD_S15_EEDaS11_S12_SI_SN_EUlS11_E_NS1_11comp_targetILNS1_3genE10ELNS1_11target_archE1201ELNS1_3gpuE5ELNS1_3repE0EEENS1_47radix_sort_onesweep_sort_config_static_selectorELNS0_4arch9wavefront6targetE1EEEvSI_, .Lfunc_end320-_ZN7rocprim17ROCPRIM_400000_NS6detail17trampoline_kernelINS0_14default_configENS1_35radix_sort_onesweep_config_selectorIffEEZZNS1_29radix_sort_onesweep_iterationIS3_Lb0EN6thrust23THRUST_200600_302600_NS6detail15normal_iteratorINS8_10device_ptrIfEEEESD_SD_SD_jNS0_19identity_decomposerENS1_16block_id_wrapperIjLb1EEEEE10hipError_tT1_PNSt15iterator_traitsISI_E10value_typeET2_T3_PNSJ_ISO_E10value_typeET4_T5_PST_SU_PNS1_23onesweep_lookback_stateEbbT6_jjT7_P12ihipStream_tbENKUlT_T0_SI_SN_E_clISD_PfSD_S15_EEDaS11_S12_SI_SN_EUlS11_E_NS1_11comp_targetILNS1_3genE10ELNS1_11target_archE1201ELNS1_3gpuE5ELNS1_3repE0EEENS1_47radix_sort_onesweep_sort_config_static_selectorELNS0_4arch9wavefront6targetE1EEEvSI_
                                        ; -- End function
	.set _ZN7rocprim17ROCPRIM_400000_NS6detail17trampoline_kernelINS0_14default_configENS1_35radix_sort_onesweep_config_selectorIffEEZZNS1_29radix_sort_onesweep_iterationIS3_Lb0EN6thrust23THRUST_200600_302600_NS6detail15normal_iteratorINS8_10device_ptrIfEEEESD_SD_SD_jNS0_19identity_decomposerENS1_16block_id_wrapperIjLb1EEEEE10hipError_tT1_PNSt15iterator_traitsISI_E10value_typeET2_T3_PNSJ_ISO_E10value_typeET4_T5_PST_SU_PNS1_23onesweep_lookback_stateEbbT6_jjT7_P12ihipStream_tbENKUlT_T0_SI_SN_E_clISD_PfSD_S15_EEDaS11_S12_SI_SN_EUlS11_E_NS1_11comp_targetILNS1_3genE10ELNS1_11target_archE1201ELNS1_3gpuE5ELNS1_3repE0EEENS1_47radix_sort_onesweep_sort_config_static_selectorELNS0_4arch9wavefront6targetE1EEEvSI_.num_vgpr, 0
	.set _ZN7rocprim17ROCPRIM_400000_NS6detail17trampoline_kernelINS0_14default_configENS1_35radix_sort_onesweep_config_selectorIffEEZZNS1_29radix_sort_onesweep_iterationIS3_Lb0EN6thrust23THRUST_200600_302600_NS6detail15normal_iteratorINS8_10device_ptrIfEEEESD_SD_SD_jNS0_19identity_decomposerENS1_16block_id_wrapperIjLb1EEEEE10hipError_tT1_PNSt15iterator_traitsISI_E10value_typeET2_T3_PNSJ_ISO_E10value_typeET4_T5_PST_SU_PNS1_23onesweep_lookback_stateEbbT6_jjT7_P12ihipStream_tbENKUlT_T0_SI_SN_E_clISD_PfSD_S15_EEDaS11_S12_SI_SN_EUlS11_E_NS1_11comp_targetILNS1_3genE10ELNS1_11target_archE1201ELNS1_3gpuE5ELNS1_3repE0EEENS1_47radix_sort_onesweep_sort_config_static_selectorELNS0_4arch9wavefront6targetE1EEEvSI_.num_agpr, 0
	.set _ZN7rocprim17ROCPRIM_400000_NS6detail17trampoline_kernelINS0_14default_configENS1_35radix_sort_onesweep_config_selectorIffEEZZNS1_29radix_sort_onesweep_iterationIS3_Lb0EN6thrust23THRUST_200600_302600_NS6detail15normal_iteratorINS8_10device_ptrIfEEEESD_SD_SD_jNS0_19identity_decomposerENS1_16block_id_wrapperIjLb1EEEEE10hipError_tT1_PNSt15iterator_traitsISI_E10value_typeET2_T3_PNSJ_ISO_E10value_typeET4_T5_PST_SU_PNS1_23onesweep_lookback_stateEbbT6_jjT7_P12ihipStream_tbENKUlT_T0_SI_SN_E_clISD_PfSD_S15_EEDaS11_S12_SI_SN_EUlS11_E_NS1_11comp_targetILNS1_3genE10ELNS1_11target_archE1201ELNS1_3gpuE5ELNS1_3repE0EEENS1_47radix_sort_onesweep_sort_config_static_selectorELNS0_4arch9wavefront6targetE1EEEvSI_.numbered_sgpr, 0
	.set _ZN7rocprim17ROCPRIM_400000_NS6detail17trampoline_kernelINS0_14default_configENS1_35radix_sort_onesweep_config_selectorIffEEZZNS1_29radix_sort_onesweep_iterationIS3_Lb0EN6thrust23THRUST_200600_302600_NS6detail15normal_iteratorINS8_10device_ptrIfEEEESD_SD_SD_jNS0_19identity_decomposerENS1_16block_id_wrapperIjLb1EEEEE10hipError_tT1_PNSt15iterator_traitsISI_E10value_typeET2_T3_PNSJ_ISO_E10value_typeET4_T5_PST_SU_PNS1_23onesweep_lookback_stateEbbT6_jjT7_P12ihipStream_tbENKUlT_T0_SI_SN_E_clISD_PfSD_S15_EEDaS11_S12_SI_SN_EUlS11_E_NS1_11comp_targetILNS1_3genE10ELNS1_11target_archE1201ELNS1_3gpuE5ELNS1_3repE0EEENS1_47radix_sort_onesweep_sort_config_static_selectorELNS0_4arch9wavefront6targetE1EEEvSI_.num_named_barrier, 0
	.set _ZN7rocprim17ROCPRIM_400000_NS6detail17trampoline_kernelINS0_14default_configENS1_35radix_sort_onesweep_config_selectorIffEEZZNS1_29radix_sort_onesweep_iterationIS3_Lb0EN6thrust23THRUST_200600_302600_NS6detail15normal_iteratorINS8_10device_ptrIfEEEESD_SD_SD_jNS0_19identity_decomposerENS1_16block_id_wrapperIjLb1EEEEE10hipError_tT1_PNSt15iterator_traitsISI_E10value_typeET2_T3_PNSJ_ISO_E10value_typeET4_T5_PST_SU_PNS1_23onesweep_lookback_stateEbbT6_jjT7_P12ihipStream_tbENKUlT_T0_SI_SN_E_clISD_PfSD_S15_EEDaS11_S12_SI_SN_EUlS11_E_NS1_11comp_targetILNS1_3genE10ELNS1_11target_archE1201ELNS1_3gpuE5ELNS1_3repE0EEENS1_47radix_sort_onesweep_sort_config_static_selectorELNS0_4arch9wavefront6targetE1EEEvSI_.private_seg_size, 0
	.set _ZN7rocprim17ROCPRIM_400000_NS6detail17trampoline_kernelINS0_14default_configENS1_35radix_sort_onesweep_config_selectorIffEEZZNS1_29radix_sort_onesweep_iterationIS3_Lb0EN6thrust23THRUST_200600_302600_NS6detail15normal_iteratorINS8_10device_ptrIfEEEESD_SD_SD_jNS0_19identity_decomposerENS1_16block_id_wrapperIjLb1EEEEE10hipError_tT1_PNSt15iterator_traitsISI_E10value_typeET2_T3_PNSJ_ISO_E10value_typeET4_T5_PST_SU_PNS1_23onesweep_lookback_stateEbbT6_jjT7_P12ihipStream_tbENKUlT_T0_SI_SN_E_clISD_PfSD_S15_EEDaS11_S12_SI_SN_EUlS11_E_NS1_11comp_targetILNS1_3genE10ELNS1_11target_archE1201ELNS1_3gpuE5ELNS1_3repE0EEENS1_47radix_sort_onesweep_sort_config_static_selectorELNS0_4arch9wavefront6targetE1EEEvSI_.uses_vcc, 0
	.set _ZN7rocprim17ROCPRIM_400000_NS6detail17trampoline_kernelINS0_14default_configENS1_35radix_sort_onesweep_config_selectorIffEEZZNS1_29radix_sort_onesweep_iterationIS3_Lb0EN6thrust23THRUST_200600_302600_NS6detail15normal_iteratorINS8_10device_ptrIfEEEESD_SD_SD_jNS0_19identity_decomposerENS1_16block_id_wrapperIjLb1EEEEE10hipError_tT1_PNSt15iterator_traitsISI_E10value_typeET2_T3_PNSJ_ISO_E10value_typeET4_T5_PST_SU_PNS1_23onesweep_lookback_stateEbbT6_jjT7_P12ihipStream_tbENKUlT_T0_SI_SN_E_clISD_PfSD_S15_EEDaS11_S12_SI_SN_EUlS11_E_NS1_11comp_targetILNS1_3genE10ELNS1_11target_archE1201ELNS1_3gpuE5ELNS1_3repE0EEENS1_47radix_sort_onesweep_sort_config_static_selectorELNS0_4arch9wavefront6targetE1EEEvSI_.uses_flat_scratch, 0
	.set _ZN7rocprim17ROCPRIM_400000_NS6detail17trampoline_kernelINS0_14default_configENS1_35radix_sort_onesweep_config_selectorIffEEZZNS1_29radix_sort_onesweep_iterationIS3_Lb0EN6thrust23THRUST_200600_302600_NS6detail15normal_iteratorINS8_10device_ptrIfEEEESD_SD_SD_jNS0_19identity_decomposerENS1_16block_id_wrapperIjLb1EEEEE10hipError_tT1_PNSt15iterator_traitsISI_E10value_typeET2_T3_PNSJ_ISO_E10value_typeET4_T5_PST_SU_PNS1_23onesweep_lookback_stateEbbT6_jjT7_P12ihipStream_tbENKUlT_T0_SI_SN_E_clISD_PfSD_S15_EEDaS11_S12_SI_SN_EUlS11_E_NS1_11comp_targetILNS1_3genE10ELNS1_11target_archE1201ELNS1_3gpuE5ELNS1_3repE0EEENS1_47radix_sort_onesweep_sort_config_static_selectorELNS0_4arch9wavefront6targetE1EEEvSI_.has_dyn_sized_stack, 0
	.set _ZN7rocprim17ROCPRIM_400000_NS6detail17trampoline_kernelINS0_14default_configENS1_35radix_sort_onesweep_config_selectorIffEEZZNS1_29radix_sort_onesweep_iterationIS3_Lb0EN6thrust23THRUST_200600_302600_NS6detail15normal_iteratorINS8_10device_ptrIfEEEESD_SD_SD_jNS0_19identity_decomposerENS1_16block_id_wrapperIjLb1EEEEE10hipError_tT1_PNSt15iterator_traitsISI_E10value_typeET2_T3_PNSJ_ISO_E10value_typeET4_T5_PST_SU_PNS1_23onesweep_lookback_stateEbbT6_jjT7_P12ihipStream_tbENKUlT_T0_SI_SN_E_clISD_PfSD_S15_EEDaS11_S12_SI_SN_EUlS11_E_NS1_11comp_targetILNS1_3genE10ELNS1_11target_archE1201ELNS1_3gpuE5ELNS1_3repE0EEENS1_47radix_sort_onesweep_sort_config_static_selectorELNS0_4arch9wavefront6targetE1EEEvSI_.has_recursion, 0
	.set _ZN7rocprim17ROCPRIM_400000_NS6detail17trampoline_kernelINS0_14default_configENS1_35radix_sort_onesweep_config_selectorIffEEZZNS1_29radix_sort_onesweep_iterationIS3_Lb0EN6thrust23THRUST_200600_302600_NS6detail15normal_iteratorINS8_10device_ptrIfEEEESD_SD_SD_jNS0_19identity_decomposerENS1_16block_id_wrapperIjLb1EEEEE10hipError_tT1_PNSt15iterator_traitsISI_E10value_typeET2_T3_PNSJ_ISO_E10value_typeET4_T5_PST_SU_PNS1_23onesweep_lookback_stateEbbT6_jjT7_P12ihipStream_tbENKUlT_T0_SI_SN_E_clISD_PfSD_S15_EEDaS11_S12_SI_SN_EUlS11_E_NS1_11comp_targetILNS1_3genE10ELNS1_11target_archE1201ELNS1_3gpuE5ELNS1_3repE0EEENS1_47radix_sort_onesweep_sort_config_static_selectorELNS0_4arch9wavefront6targetE1EEEvSI_.has_indirect_call, 0
	.section	.AMDGPU.csdata,"",@progbits
; Kernel info:
; codeLenInByte = 0
; TotalNumSgprs: 6
; NumVgprs: 0
; NumAgprs: 0
; TotalNumVgprs: 0
; ScratchSize: 0
; MemoryBound: 0
; FloatMode: 240
; IeeeMode: 1
; LDSByteSize: 0 bytes/workgroup (compile time only)
; SGPRBlocks: 0
; VGPRBlocks: 0
; NumSGPRsForWavesPerEU: 6
; NumVGPRsForWavesPerEU: 1
; AccumOffset: 4
; Occupancy: 8
; WaveLimiterHint : 0
; COMPUTE_PGM_RSRC2:SCRATCH_EN: 0
; COMPUTE_PGM_RSRC2:USER_SGPR: 2
; COMPUTE_PGM_RSRC2:TRAP_HANDLER: 0
; COMPUTE_PGM_RSRC2:TGID_X_EN: 1
; COMPUTE_PGM_RSRC2:TGID_Y_EN: 0
; COMPUTE_PGM_RSRC2:TGID_Z_EN: 0
; COMPUTE_PGM_RSRC2:TIDIG_COMP_CNT: 0
; COMPUTE_PGM_RSRC3_GFX90A:ACCUM_OFFSET: 0
; COMPUTE_PGM_RSRC3_GFX90A:TG_SPLIT: 0
	.section	.text._ZN7rocprim17ROCPRIM_400000_NS6detail17trampoline_kernelINS0_14default_configENS1_35radix_sort_onesweep_config_selectorIffEEZZNS1_29radix_sort_onesweep_iterationIS3_Lb0EN6thrust23THRUST_200600_302600_NS6detail15normal_iteratorINS8_10device_ptrIfEEEESD_SD_SD_jNS0_19identity_decomposerENS1_16block_id_wrapperIjLb1EEEEE10hipError_tT1_PNSt15iterator_traitsISI_E10value_typeET2_T3_PNSJ_ISO_E10value_typeET4_T5_PST_SU_PNS1_23onesweep_lookback_stateEbbT6_jjT7_P12ihipStream_tbENKUlT_T0_SI_SN_E_clISD_PfSD_S15_EEDaS11_S12_SI_SN_EUlS11_E_NS1_11comp_targetILNS1_3genE9ELNS1_11target_archE1100ELNS1_3gpuE3ELNS1_3repE0EEENS1_47radix_sort_onesweep_sort_config_static_selectorELNS0_4arch9wavefront6targetE1EEEvSI_,"axG",@progbits,_ZN7rocprim17ROCPRIM_400000_NS6detail17trampoline_kernelINS0_14default_configENS1_35radix_sort_onesweep_config_selectorIffEEZZNS1_29radix_sort_onesweep_iterationIS3_Lb0EN6thrust23THRUST_200600_302600_NS6detail15normal_iteratorINS8_10device_ptrIfEEEESD_SD_SD_jNS0_19identity_decomposerENS1_16block_id_wrapperIjLb1EEEEE10hipError_tT1_PNSt15iterator_traitsISI_E10value_typeET2_T3_PNSJ_ISO_E10value_typeET4_T5_PST_SU_PNS1_23onesweep_lookback_stateEbbT6_jjT7_P12ihipStream_tbENKUlT_T0_SI_SN_E_clISD_PfSD_S15_EEDaS11_S12_SI_SN_EUlS11_E_NS1_11comp_targetILNS1_3genE9ELNS1_11target_archE1100ELNS1_3gpuE3ELNS1_3repE0EEENS1_47radix_sort_onesweep_sort_config_static_selectorELNS0_4arch9wavefront6targetE1EEEvSI_,comdat
	.protected	_ZN7rocprim17ROCPRIM_400000_NS6detail17trampoline_kernelINS0_14default_configENS1_35radix_sort_onesweep_config_selectorIffEEZZNS1_29radix_sort_onesweep_iterationIS3_Lb0EN6thrust23THRUST_200600_302600_NS6detail15normal_iteratorINS8_10device_ptrIfEEEESD_SD_SD_jNS0_19identity_decomposerENS1_16block_id_wrapperIjLb1EEEEE10hipError_tT1_PNSt15iterator_traitsISI_E10value_typeET2_T3_PNSJ_ISO_E10value_typeET4_T5_PST_SU_PNS1_23onesweep_lookback_stateEbbT6_jjT7_P12ihipStream_tbENKUlT_T0_SI_SN_E_clISD_PfSD_S15_EEDaS11_S12_SI_SN_EUlS11_E_NS1_11comp_targetILNS1_3genE9ELNS1_11target_archE1100ELNS1_3gpuE3ELNS1_3repE0EEENS1_47radix_sort_onesweep_sort_config_static_selectorELNS0_4arch9wavefront6targetE1EEEvSI_ ; -- Begin function _ZN7rocprim17ROCPRIM_400000_NS6detail17trampoline_kernelINS0_14default_configENS1_35radix_sort_onesweep_config_selectorIffEEZZNS1_29radix_sort_onesweep_iterationIS3_Lb0EN6thrust23THRUST_200600_302600_NS6detail15normal_iteratorINS8_10device_ptrIfEEEESD_SD_SD_jNS0_19identity_decomposerENS1_16block_id_wrapperIjLb1EEEEE10hipError_tT1_PNSt15iterator_traitsISI_E10value_typeET2_T3_PNSJ_ISO_E10value_typeET4_T5_PST_SU_PNS1_23onesweep_lookback_stateEbbT6_jjT7_P12ihipStream_tbENKUlT_T0_SI_SN_E_clISD_PfSD_S15_EEDaS11_S12_SI_SN_EUlS11_E_NS1_11comp_targetILNS1_3genE9ELNS1_11target_archE1100ELNS1_3gpuE3ELNS1_3repE0EEENS1_47radix_sort_onesweep_sort_config_static_selectorELNS0_4arch9wavefront6targetE1EEEvSI_
	.globl	_ZN7rocprim17ROCPRIM_400000_NS6detail17trampoline_kernelINS0_14default_configENS1_35radix_sort_onesweep_config_selectorIffEEZZNS1_29radix_sort_onesweep_iterationIS3_Lb0EN6thrust23THRUST_200600_302600_NS6detail15normal_iteratorINS8_10device_ptrIfEEEESD_SD_SD_jNS0_19identity_decomposerENS1_16block_id_wrapperIjLb1EEEEE10hipError_tT1_PNSt15iterator_traitsISI_E10value_typeET2_T3_PNSJ_ISO_E10value_typeET4_T5_PST_SU_PNS1_23onesweep_lookback_stateEbbT6_jjT7_P12ihipStream_tbENKUlT_T0_SI_SN_E_clISD_PfSD_S15_EEDaS11_S12_SI_SN_EUlS11_E_NS1_11comp_targetILNS1_3genE9ELNS1_11target_archE1100ELNS1_3gpuE3ELNS1_3repE0EEENS1_47radix_sort_onesweep_sort_config_static_selectorELNS0_4arch9wavefront6targetE1EEEvSI_
	.p2align	8
	.type	_ZN7rocprim17ROCPRIM_400000_NS6detail17trampoline_kernelINS0_14default_configENS1_35radix_sort_onesweep_config_selectorIffEEZZNS1_29radix_sort_onesweep_iterationIS3_Lb0EN6thrust23THRUST_200600_302600_NS6detail15normal_iteratorINS8_10device_ptrIfEEEESD_SD_SD_jNS0_19identity_decomposerENS1_16block_id_wrapperIjLb1EEEEE10hipError_tT1_PNSt15iterator_traitsISI_E10value_typeET2_T3_PNSJ_ISO_E10value_typeET4_T5_PST_SU_PNS1_23onesweep_lookback_stateEbbT6_jjT7_P12ihipStream_tbENKUlT_T0_SI_SN_E_clISD_PfSD_S15_EEDaS11_S12_SI_SN_EUlS11_E_NS1_11comp_targetILNS1_3genE9ELNS1_11target_archE1100ELNS1_3gpuE3ELNS1_3repE0EEENS1_47radix_sort_onesweep_sort_config_static_selectorELNS0_4arch9wavefront6targetE1EEEvSI_,@function
_ZN7rocprim17ROCPRIM_400000_NS6detail17trampoline_kernelINS0_14default_configENS1_35radix_sort_onesweep_config_selectorIffEEZZNS1_29radix_sort_onesweep_iterationIS3_Lb0EN6thrust23THRUST_200600_302600_NS6detail15normal_iteratorINS8_10device_ptrIfEEEESD_SD_SD_jNS0_19identity_decomposerENS1_16block_id_wrapperIjLb1EEEEE10hipError_tT1_PNSt15iterator_traitsISI_E10value_typeET2_T3_PNSJ_ISO_E10value_typeET4_T5_PST_SU_PNS1_23onesweep_lookback_stateEbbT6_jjT7_P12ihipStream_tbENKUlT_T0_SI_SN_E_clISD_PfSD_S15_EEDaS11_S12_SI_SN_EUlS11_E_NS1_11comp_targetILNS1_3genE9ELNS1_11target_archE1100ELNS1_3gpuE3ELNS1_3repE0EEENS1_47radix_sort_onesweep_sort_config_static_selectorELNS0_4arch9wavefront6targetE1EEEvSI_: ; @_ZN7rocprim17ROCPRIM_400000_NS6detail17trampoline_kernelINS0_14default_configENS1_35radix_sort_onesweep_config_selectorIffEEZZNS1_29radix_sort_onesweep_iterationIS3_Lb0EN6thrust23THRUST_200600_302600_NS6detail15normal_iteratorINS8_10device_ptrIfEEEESD_SD_SD_jNS0_19identity_decomposerENS1_16block_id_wrapperIjLb1EEEEE10hipError_tT1_PNSt15iterator_traitsISI_E10value_typeET2_T3_PNSJ_ISO_E10value_typeET4_T5_PST_SU_PNS1_23onesweep_lookback_stateEbbT6_jjT7_P12ihipStream_tbENKUlT_T0_SI_SN_E_clISD_PfSD_S15_EEDaS11_S12_SI_SN_EUlS11_E_NS1_11comp_targetILNS1_3genE9ELNS1_11target_archE1100ELNS1_3gpuE3ELNS1_3repE0EEENS1_47radix_sort_onesweep_sort_config_static_selectorELNS0_4arch9wavefront6targetE1EEEvSI_
; %bb.0:
	.section	.rodata,"a",@progbits
	.p2align	6, 0x0
	.amdhsa_kernel _ZN7rocprim17ROCPRIM_400000_NS6detail17trampoline_kernelINS0_14default_configENS1_35radix_sort_onesweep_config_selectorIffEEZZNS1_29radix_sort_onesweep_iterationIS3_Lb0EN6thrust23THRUST_200600_302600_NS6detail15normal_iteratorINS8_10device_ptrIfEEEESD_SD_SD_jNS0_19identity_decomposerENS1_16block_id_wrapperIjLb1EEEEE10hipError_tT1_PNSt15iterator_traitsISI_E10value_typeET2_T3_PNSJ_ISO_E10value_typeET4_T5_PST_SU_PNS1_23onesweep_lookback_stateEbbT6_jjT7_P12ihipStream_tbENKUlT_T0_SI_SN_E_clISD_PfSD_S15_EEDaS11_S12_SI_SN_EUlS11_E_NS1_11comp_targetILNS1_3genE9ELNS1_11target_archE1100ELNS1_3gpuE3ELNS1_3repE0EEENS1_47radix_sort_onesweep_sort_config_static_selectorELNS0_4arch9wavefront6targetE1EEEvSI_
		.amdhsa_group_segment_fixed_size 0
		.amdhsa_private_segment_fixed_size 0
		.amdhsa_kernarg_size 88
		.amdhsa_user_sgpr_count 2
		.amdhsa_user_sgpr_dispatch_ptr 0
		.amdhsa_user_sgpr_queue_ptr 0
		.amdhsa_user_sgpr_kernarg_segment_ptr 1
		.amdhsa_user_sgpr_dispatch_id 0
		.amdhsa_user_sgpr_kernarg_preload_length 0
		.amdhsa_user_sgpr_kernarg_preload_offset 0
		.amdhsa_user_sgpr_private_segment_size 0
		.amdhsa_uses_dynamic_stack 0
		.amdhsa_enable_private_segment 0
		.amdhsa_system_sgpr_workgroup_id_x 1
		.amdhsa_system_sgpr_workgroup_id_y 0
		.amdhsa_system_sgpr_workgroup_id_z 0
		.amdhsa_system_sgpr_workgroup_info 0
		.amdhsa_system_vgpr_workitem_id 0
		.amdhsa_next_free_vgpr 1
		.amdhsa_next_free_sgpr 0
		.amdhsa_accum_offset 4
		.amdhsa_reserve_vcc 0
		.amdhsa_float_round_mode_32 0
		.amdhsa_float_round_mode_16_64 0
		.amdhsa_float_denorm_mode_32 3
		.amdhsa_float_denorm_mode_16_64 3
		.amdhsa_dx10_clamp 1
		.amdhsa_ieee_mode 1
		.amdhsa_fp16_overflow 0
		.amdhsa_tg_split 0
		.amdhsa_exception_fp_ieee_invalid_op 0
		.amdhsa_exception_fp_denorm_src 0
		.amdhsa_exception_fp_ieee_div_zero 0
		.amdhsa_exception_fp_ieee_overflow 0
		.amdhsa_exception_fp_ieee_underflow 0
		.amdhsa_exception_fp_ieee_inexact 0
		.amdhsa_exception_int_div_zero 0
	.end_amdhsa_kernel
	.section	.text._ZN7rocprim17ROCPRIM_400000_NS6detail17trampoline_kernelINS0_14default_configENS1_35radix_sort_onesweep_config_selectorIffEEZZNS1_29radix_sort_onesweep_iterationIS3_Lb0EN6thrust23THRUST_200600_302600_NS6detail15normal_iteratorINS8_10device_ptrIfEEEESD_SD_SD_jNS0_19identity_decomposerENS1_16block_id_wrapperIjLb1EEEEE10hipError_tT1_PNSt15iterator_traitsISI_E10value_typeET2_T3_PNSJ_ISO_E10value_typeET4_T5_PST_SU_PNS1_23onesweep_lookback_stateEbbT6_jjT7_P12ihipStream_tbENKUlT_T0_SI_SN_E_clISD_PfSD_S15_EEDaS11_S12_SI_SN_EUlS11_E_NS1_11comp_targetILNS1_3genE9ELNS1_11target_archE1100ELNS1_3gpuE3ELNS1_3repE0EEENS1_47radix_sort_onesweep_sort_config_static_selectorELNS0_4arch9wavefront6targetE1EEEvSI_,"axG",@progbits,_ZN7rocprim17ROCPRIM_400000_NS6detail17trampoline_kernelINS0_14default_configENS1_35radix_sort_onesweep_config_selectorIffEEZZNS1_29radix_sort_onesweep_iterationIS3_Lb0EN6thrust23THRUST_200600_302600_NS6detail15normal_iteratorINS8_10device_ptrIfEEEESD_SD_SD_jNS0_19identity_decomposerENS1_16block_id_wrapperIjLb1EEEEE10hipError_tT1_PNSt15iterator_traitsISI_E10value_typeET2_T3_PNSJ_ISO_E10value_typeET4_T5_PST_SU_PNS1_23onesweep_lookback_stateEbbT6_jjT7_P12ihipStream_tbENKUlT_T0_SI_SN_E_clISD_PfSD_S15_EEDaS11_S12_SI_SN_EUlS11_E_NS1_11comp_targetILNS1_3genE9ELNS1_11target_archE1100ELNS1_3gpuE3ELNS1_3repE0EEENS1_47radix_sort_onesweep_sort_config_static_selectorELNS0_4arch9wavefront6targetE1EEEvSI_,comdat
.Lfunc_end321:
	.size	_ZN7rocprim17ROCPRIM_400000_NS6detail17trampoline_kernelINS0_14default_configENS1_35radix_sort_onesweep_config_selectorIffEEZZNS1_29radix_sort_onesweep_iterationIS3_Lb0EN6thrust23THRUST_200600_302600_NS6detail15normal_iteratorINS8_10device_ptrIfEEEESD_SD_SD_jNS0_19identity_decomposerENS1_16block_id_wrapperIjLb1EEEEE10hipError_tT1_PNSt15iterator_traitsISI_E10value_typeET2_T3_PNSJ_ISO_E10value_typeET4_T5_PST_SU_PNS1_23onesweep_lookback_stateEbbT6_jjT7_P12ihipStream_tbENKUlT_T0_SI_SN_E_clISD_PfSD_S15_EEDaS11_S12_SI_SN_EUlS11_E_NS1_11comp_targetILNS1_3genE9ELNS1_11target_archE1100ELNS1_3gpuE3ELNS1_3repE0EEENS1_47radix_sort_onesweep_sort_config_static_selectorELNS0_4arch9wavefront6targetE1EEEvSI_, .Lfunc_end321-_ZN7rocprim17ROCPRIM_400000_NS6detail17trampoline_kernelINS0_14default_configENS1_35radix_sort_onesweep_config_selectorIffEEZZNS1_29radix_sort_onesweep_iterationIS3_Lb0EN6thrust23THRUST_200600_302600_NS6detail15normal_iteratorINS8_10device_ptrIfEEEESD_SD_SD_jNS0_19identity_decomposerENS1_16block_id_wrapperIjLb1EEEEE10hipError_tT1_PNSt15iterator_traitsISI_E10value_typeET2_T3_PNSJ_ISO_E10value_typeET4_T5_PST_SU_PNS1_23onesweep_lookback_stateEbbT6_jjT7_P12ihipStream_tbENKUlT_T0_SI_SN_E_clISD_PfSD_S15_EEDaS11_S12_SI_SN_EUlS11_E_NS1_11comp_targetILNS1_3genE9ELNS1_11target_archE1100ELNS1_3gpuE3ELNS1_3repE0EEENS1_47radix_sort_onesweep_sort_config_static_selectorELNS0_4arch9wavefront6targetE1EEEvSI_
                                        ; -- End function
	.set _ZN7rocprim17ROCPRIM_400000_NS6detail17trampoline_kernelINS0_14default_configENS1_35radix_sort_onesweep_config_selectorIffEEZZNS1_29radix_sort_onesweep_iterationIS3_Lb0EN6thrust23THRUST_200600_302600_NS6detail15normal_iteratorINS8_10device_ptrIfEEEESD_SD_SD_jNS0_19identity_decomposerENS1_16block_id_wrapperIjLb1EEEEE10hipError_tT1_PNSt15iterator_traitsISI_E10value_typeET2_T3_PNSJ_ISO_E10value_typeET4_T5_PST_SU_PNS1_23onesweep_lookback_stateEbbT6_jjT7_P12ihipStream_tbENKUlT_T0_SI_SN_E_clISD_PfSD_S15_EEDaS11_S12_SI_SN_EUlS11_E_NS1_11comp_targetILNS1_3genE9ELNS1_11target_archE1100ELNS1_3gpuE3ELNS1_3repE0EEENS1_47radix_sort_onesweep_sort_config_static_selectorELNS0_4arch9wavefront6targetE1EEEvSI_.num_vgpr, 0
	.set _ZN7rocprim17ROCPRIM_400000_NS6detail17trampoline_kernelINS0_14default_configENS1_35radix_sort_onesweep_config_selectorIffEEZZNS1_29radix_sort_onesweep_iterationIS3_Lb0EN6thrust23THRUST_200600_302600_NS6detail15normal_iteratorINS8_10device_ptrIfEEEESD_SD_SD_jNS0_19identity_decomposerENS1_16block_id_wrapperIjLb1EEEEE10hipError_tT1_PNSt15iterator_traitsISI_E10value_typeET2_T3_PNSJ_ISO_E10value_typeET4_T5_PST_SU_PNS1_23onesweep_lookback_stateEbbT6_jjT7_P12ihipStream_tbENKUlT_T0_SI_SN_E_clISD_PfSD_S15_EEDaS11_S12_SI_SN_EUlS11_E_NS1_11comp_targetILNS1_3genE9ELNS1_11target_archE1100ELNS1_3gpuE3ELNS1_3repE0EEENS1_47radix_sort_onesweep_sort_config_static_selectorELNS0_4arch9wavefront6targetE1EEEvSI_.num_agpr, 0
	.set _ZN7rocprim17ROCPRIM_400000_NS6detail17trampoline_kernelINS0_14default_configENS1_35radix_sort_onesweep_config_selectorIffEEZZNS1_29radix_sort_onesweep_iterationIS3_Lb0EN6thrust23THRUST_200600_302600_NS6detail15normal_iteratorINS8_10device_ptrIfEEEESD_SD_SD_jNS0_19identity_decomposerENS1_16block_id_wrapperIjLb1EEEEE10hipError_tT1_PNSt15iterator_traitsISI_E10value_typeET2_T3_PNSJ_ISO_E10value_typeET4_T5_PST_SU_PNS1_23onesweep_lookback_stateEbbT6_jjT7_P12ihipStream_tbENKUlT_T0_SI_SN_E_clISD_PfSD_S15_EEDaS11_S12_SI_SN_EUlS11_E_NS1_11comp_targetILNS1_3genE9ELNS1_11target_archE1100ELNS1_3gpuE3ELNS1_3repE0EEENS1_47radix_sort_onesweep_sort_config_static_selectorELNS0_4arch9wavefront6targetE1EEEvSI_.numbered_sgpr, 0
	.set _ZN7rocprim17ROCPRIM_400000_NS6detail17trampoline_kernelINS0_14default_configENS1_35radix_sort_onesweep_config_selectorIffEEZZNS1_29radix_sort_onesweep_iterationIS3_Lb0EN6thrust23THRUST_200600_302600_NS6detail15normal_iteratorINS8_10device_ptrIfEEEESD_SD_SD_jNS0_19identity_decomposerENS1_16block_id_wrapperIjLb1EEEEE10hipError_tT1_PNSt15iterator_traitsISI_E10value_typeET2_T3_PNSJ_ISO_E10value_typeET4_T5_PST_SU_PNS1_23onesweep_lookback_stateEbbT6_jjT7_P12ihipStream_tbENKUlT_T0_SI_SN_E_clISD_PfSD_S15_EEDaS11_S12_SI_SN_EUlS11_E_NS1_11comp_targetILNS1_3genE9ELNS1_11target_archE1100ELNS1_3gpuE3ELNS1_3repE0EEENS1_47radix_sort_onesweep_sort_config_static_selectorELNS0_4arch9wavefront6targetE1EEEvSI_.num_named_barrier, 0
	.set _ZN7rocprim17ROCPRIM_400000_NS6detail17trampoline_kernelINS0_14default_configENS1_35radix_sort_onesweep_config_selectorIffEEZZNS1_29radix_sort_onesweep_iterationIS3_Lb0EN6thrust23THRUST_200600_302600_NS6detail15normal_iteratorINS8_10device_ptrIfEEEESD_SD_SD_jNS0_19identity_decomposerENS1_16block_id_wrapperIjLb1EEEEE10hipError_tT1_PNSt15iterator_traitsISI_E10value_typeET2_T3_PNSJ_ISO_E10value_typeET4_T5_PST_SU_PNS1_23onesweep_lookback_stateEbbT6_jjT7_P12ihipStream_tbENKUlT_T0_SI_SN_E_clISD_PfSD_S15_EEDaS11_S12_SI_SN_EUlS11_E_NS1_11comp_targetILNS1_3genE9ELNS1_11target_archE1100ELNS1_3gpuE3ELNS1_3repE0EEENS1_47radix_sort_onesweep_sort_config_static_selectorELNS0_4arch9wavefront6targetE1EEEvSI_.private_seg_size, 0
	.set _ZN7rocprim17ROCPRIM_400000_NS6detail17trampoline_kernelINS0_14default_configENS1_35radix_sort_onesweep_config_selectorIffEEZZNS1_29radix_sort_onesweep_iterationIS3_Lb0EN6thrust23THRUST_200600_302600_NS6detail15normal_iteratorINS8_10device_ptrIfEEEESD_SD_SD_jNS0_19identity_decomposerENS1_16block_id_wrapperIjLb1EEEEE10hipError_tT1_PNSt15iterator_traitsISI_E10value_typeET2_T3_PNSJ_ISO_E10value_typeET4_T5_PST_SU_PNS1_23onesweep_lookback_stateEbbT6_jjT7_P12ihipStream_tbENKUlT_T0_SI_SN_E_clISD_PfSD_S15_EEDaS11_S12_SI_SN_EUlS11_E_NS1_11comp_targetILNS1_3genE9ELNS1_11target_archE1100ELNS1_3gpuE3ELNS1_3repE0EEENS1_47radix_sort_onesweep_sort_config_static_selectorELNS0_4arch9wavefront6targetE1EEEvSI_.uses_vcc, 0
	.set _ZN7rocprim17ROCPRIM_400000_NS6detail17trampoline_kernelINS0_14default_configENS1_35radix_sort_onesweep_config_selectorIffEEZZNS1_29radix_sort_onesweep_iterationIS3_Lb0EN6thrust23THRUST_200600_302600_NS6detail15normal_iteratorINS8_10device_ptrIfEEEESD_SD_SD_jNS0_19identity_decomposerENS1_16block_id_wrapperIjLb1EEEEE10hipError_tT1_PNSt15iterator_traitsISI_E10value_typeET2_T3_PNSJ_ISO_E10value_typeET4_T5_PST_SU_PNS1_23onesweep_lookback_stateEbbT6_jjT7_P12ihipStream_tbENKUlT_T0_SI_SN_E_clISD_PfSD_S15_EEDaS11_S12_SI_SN_EUlS11_E_NS1_11comp_targetILNS1_3genE9ELNS1_11target_archE1100ELNS1_3gpuE3ELNS1_3repE0EEENS1_47radix_sort_onesweep_sort_config_static_selectorELNS0_4arch9wavefront6targetE1EEEvSI_.uses_flat_scratch, 0
	.set _ZN7rocprim17ROCPRIM_400000_NS6detail17trampoline_kernelINS0_14default_configENS1_35radix_sort_onesweep_config_selectorIffEEZZNS1_29radix_sort_onesweep_iterationIS3_Lb0EN6thrust23THRUST_200600_302600_NS6detail15normal_iteratorINS8_10device_ptrIfEEEESD_SD_SD_jNS0_19identity_decomposerENS1_16block_id_wrapperIjLb1EEEEE10hipError_tT1_PNSt15iterator_traitsISI_E10value_typeET2_T3_PNSJ_ISO_E10value_typeET4_T5_PST_SU_PNS1_23onesweep_lookback_stateEbbT6_jjT7_P12ihipStream_tbENKUlT_T0_SI_SN_E_clISD_PfSD_S15_EEDaS11_S12_SI_SN_EUlS11_E_NS1_11comp_targetILNS1_3genE9ELNS1_11target_archE1100ELNS1_3gpuE3ELNS1_3repE0EEENS1_47radix_sort_onesweep_sort_config_static_selectorELNS0_4arch9wavefront6targetE1EEEvSI_.has_dyn_sized_stack, 0
	.set _ZN7rocprim17ROCPRIM_400000_NS6detail17trampoline_kernelINS0_14default_configENS1_35radix_sort_onesweep_config_selectorIffEEZZNS1_29radix_sort_onesweep_iterationIS3_Lb0EN6thrust23THRUST_200600_302600_NS6detail15normal_iteratorINS8_10device_ptrIfEEEESD_SD_SD_jNS0_19identity_decomposerENS1_16block_id_wrapperIjLb1EEEEE10hipError_tT1_PNSt15iterator_traitsISI_E10value_typeET2_T3_PNSJ_ISO_E10value_typeET4_T5_PST_SU_PNS1_23onesweep_lookback_stateEbbT6_jjT7_P12ihipStream_tbENKUlT_T0_SI_SN_E_clISD_PfSD_S15_EEDaS11_S12_SI_SN_EUlS11_E_NS1_11comp_targetILNS1_3genE9ELNS1_11target_archE1100ELNS1_3gpuE3ELNS1_3repE0EEENS1_47radix_sort_onesweep_sort_config_static_selectorELNS0_4arch9wavefront6targetE1EEEvSI_.has_recursion, 0
	.set _ZN7rocprim17ROCPRIM_400000_NS6detail17trampoline_kernelINS0_14default_configENS1_35radix_sort_onesweep_config_selectorIffEEZZNS1_29radix_sort_onesweep_iterationIS3_Lb0EN6thrust23THRUST_200600_302600_NS6detail15normal_iteratorINS8_10device_ptrIfEEEESD_SD_SD_jNS0_19identity_decomposerENS1_16block_id_wrapperIjLb1EEEEE10hipError_tT1_PNSt15iterator_traitsISI_E10value_typeET2_T3_PNSJ_ISO_E10value_typeET4_T5_PST_SU_PNS1_23onesweep_lookback_stateEbbT6_jjT7_P12ihipStream_tbENKUlT_T0_SI_SN_E_clISD_PfSD_S15_EEDaS11_S12_SI_SN_EUlS11_E_NS1_11comp_targetILNS1_3genE9ELNS1_11target_archE1100ELNS1_3gpuE3ELNS1_3repE0EEENS1_47radix_sort_onesweep_sort_config_static_selectorELNS0_4arch9wavefront6targetE1EEEvSI_.has_indirect_call, 0
	.section	.AMDGPU.csdata,"",@progbits
; Kernel info:
; codeLenInByte = 0
; TotalNumSgprs: 6
; NumVgprs: 0
; NumAgprs: 0
; TotalNumVgprs: 0
; ScratchSize: 0
; MemoryBound: 0
; FloatMode: 240
; IeeeMode: 1
; LDSByteSize: 0 bytes/workgroup (compile time only)
; SGPRBlocks: 0
; VGPRBlocks: 0
; NumSGPRsForWavesPerEU: 6
; NumVGPRsForWavesPerEU: 1
; AccumOffset: 4
; Occupancy: 8
; WaveLimiterHint : 0
; COMPUTE_PGM_RSRC2:SCRATCH_EN: 0
; COMPUTE_PGM_RSRC2:USER_SGPR: 2
; COMPUTE_PGM_RSRC2:TRAP_HANDLER: 0
; COMPUTE_PGM_RSRC2:TGID_X_EN: 1
; COMPUTE_PGM_RSRC2:TGID_Y_EN: 0
; COMPUTE_PGM_RSRC2:TGID_Z_EN: 0
; COMPUTE_PGM_RSRC2:TIDIG_COMP_CNT: 0
; COMPUTE_PGM_RSRC3_GFX90A:ACCUM_OFFSET: 0
; COMPUTE_PGM_RSRC3_GFX90A:TG_SPLIT: 0
	.section	.text._ZN7rocprim17ROCPRIM_400000_NS6detail17trampoline_kernelINS0_14default_configENS1_35radix_sort_onesweep_config_selectorIffEEZZNS1_29radix_sort_onesweep_iterationIS3_Lb0EN6thrust23THRUST_200600_302600_NS6detail15normal_iteratorINS8_10device_ptrIfEEEESD_SD_SD_jNS0_19identity_decomposerENS1_16block_id_wrapperIjLb1EEEEE10hipError_tT1_PNSt15iterator_traitsISI_E10value_typeET2_T3_PNSJ_ISO_E10value_typeET4_T5_PST_SU_PNS1_23onesweep_lookback_stateEbbT6_jjT7_P12ihipStream_tbENKUlT_T0_SI_SN_E_clISD_PfSD_S15_EEDaS11_S12_SI_SN_EUlS11_E_NS1_11comp_targetILNS1_3genE8ELNS1_11target_archE1030ELNS1_3gpuE2ELNS1_3repE0EEENS1_47radix_sort_onesweep_sort_config_static_selectorELNS0_4arch9wavefront6targetE1EEEvSI_,"axG",@progbits,_ZN7rocprim17ROCPRIM_400000_NS6detail17trampoline_kernelINS0_14default_configENS1_35radix_sort_onesweep_config_selectorIffEEZZNS1_29radix_sort_onesweep_iterationIS3_Lb0EN6thrust23THRUST_200600_302600_NS6detail15normal_iteratorINS8_10device_ptrIfEEEESD_SD_SD_jNS0_19identity_decomposerENS1_16block_id_wrapperIjLb1EEEEE10hipError_tT1_PNSt15iterator_traitsISI_E10value_typeET2_T3_PNSJ_ISO_E10value_typeET4_T5_PST_SU_PNS1_23onesweep_lookback_stateEbbT6_jjT7_P12ihipStream_tbENKUlT_T0_SI_SN_E_clISD_PfSD_S15_EEDaS11_S12_SI_SN_EUlS11_E_NS1_11comp_targetILNS1_3genE8ELNS1_11target_archE1030ELNS1_3gpuE2ELNS1_3repE0EEENS1_47radix_sort_onesweep_sort_config_static_selectorELNS0_4arch9wavefront6targetE1EEEvSI_,comdat
	.protected	_ZN7rocprim17ROCPRIM_400000_NS6detail17trampoline_kernelINS0_14default_configENS1_35radix_sort_onesweep_config_selectorIffEEZZNS1_29radix_sort_onesweep_iterationIS3_Lb0EN6thrust23THRUST_200600_302600_NS6detail15normal_iteratorINS8_10device_ptrIfEEEESD_SD_SD_jNS0_19identity_decomposerENS1_16block_id_wrapperIjLb1EEEEE10hipError_tT1_PNSt15iterator_traitsISI_E10value_typeET2_T3_PNSJ_ISO_E10value_typeET4_T5_PST_SU_PNS1_23onesweep_lookback_stateEbbT6_jjT7_P12ihipStream_tbENKUlT_T0_SI_SN_E_clISD_PfSD_S15_EEDaS11_S12_SI_SN_EUlS11_E_NS1_11comp_targetILNS1_3genE8ELNS1_11target_archE1030ELNS1_3gpuE2ELNS1_3repE0EEENS1_47radix_sort_onesweep_sort_config_static_selectorELNS0_4arch9wavefront6targetE1EEEvSI_ ; -- Begin function _ZN7rocprim17ROCPRIM_400000_NS6detail17trampoline_kernelINS0_14default_configENS1_35radix_sort_onesweep_config_selectorIffEEZZNS1_29radix_sort_onesweep_iterationIS3_Lb0EN6thrust23THRUST_200600_302600_NS6detail15normal_iteratorINS8_10device_ptrIfEEEESD_SD_SD_jNS0_19identity_decomposerENS1_16block_id_wrapperIjLb1EEEEE10hipError_tT1_PNSt15iterator_traitsISI_E10value_typeET2_T3_PNSJ_ISO_E10value_typeET4_T5_PST_SU_PNS1_23onesweep_lookback_stateEbbT6_jjT7_P12ihipStream_tbENKUlT_T0_SI_SN_E_clISD_PfSD_S15_EEDaS11_S12_SI_SN_EUlS11_E_NS1_11comp_targetILNS1_3genE8ELNS1_11target_archE1030ELNS1_3gpuE2ELNS1_3repE0EEENS1_47radix_sort_onesweep_sort_config_static_selectorELNS0_4arch9wavefront6targetE1EEEvSI_
	.globl	_ZN7rocprim17ROCPRIM_400000_NS6detail17trampoline_kernelINS0_14default_configENS1_35radix_sort_onesweep_config_selectorIffEEZZNS1_29radix_sort_onesweep_iterationIS3_Lb0EN6thrust23THRUST_200600_302600_NS6detail15normal_iteratorINS8_10device_ptrIfEEEESD_SD_SD_jNS0_19identity_decomposerENS1_16block_id_wrapperIjLb1EEEEE10hipError_tT1_PNSt15iterator_traitsISI_E10value_typeET2_T3_PNSJ_ISO_E10value_typeET4_T5_PST_SU_PNS1_23onesweep_lookback_stateEbbT6_jjT7_P12ihipStream_tbENKUlT_T0_SI_SN_E_clISD_PfSD_S15_EEDaS11_S12_SI_SN_EUlS11_E_NS1_11comp_targetILNS1_3genE8ELNS1_11target_archE1030ELNS1_3gpuE2ELNS1_3repE0EEENS1_47radix_sort_onesweep_sort_config_static_selectorELNS0_4arch9wavefront6targetE1EEEvSI_
	.p2align	8
	.type	_ZN7rocprim17ROCPRIM_400000_NS6detail17trampoline_kernelINS0_14default_configENS1_35radix_sort_onesweep_config_selectorIffEEZZNS1_29radix_sort_onesweep_iterationIS3_Lb0EN6thrust23THRUST_200600_302600_NS6detail15normal_iteratorINS8_10device_ptrIfEEEESD_SD_SD_jNS0_19identity_decomposerENS1_16block_id_wrapperIjLb1EEEEE10hipError_tT1_PNSt15iterator_traitsISI_E10value_typeET2_T3_PNSJ_ISO_E10value_typeET4_T5_PST_SU_PNS1_23onesweep_lookback_stateEbbT6_jjT7_P12ihipStream_tbENKUlT_T0_SI_SN_E_clISD_PfSD_S15_EEDaS11_S12_SI_SN_EUlS11_E_NS1_11comp_targetILNS1_3genE8ELNS1_11target_archE1030ELNS1_3gpuE2ELNS1_3repE0EEENS1_47radix_sort_onesweep_sort_config_static_selectorELNS0_4arch9wavefront6targetE1EEEvSI_,@function
_ZN7rocprim17ROCPRIM_400000_NS6detail17trampoline_kernelINS0_14default_configENS1_35radix_sort_onesweep_config_selectorIffEEZZNS1_29radix_sort_onesweep_iterationIS3_Lb0EN6thrust23THRUST_200600_302600_NS6detail15normal_iteratorINS8_10device_ptrIfEEEESD_SD_SD_jNS0_19identity_decomposerENS1_16block_id_wrapperIjLb1EEEEE10hipError_tT1_PNSt15iterator_traitsISI_E10value_typeET2_T3_PNSJ_ISO_E10value_typeET4_T5_PST_SU_PNS1_23onesweep_lookback_stateEbbT6_jjT7_P12ihipStream_tbENKUlT_T0_SI_SN_E_clISD_PfSD_S15_EEDaS11_S12_SI_SN_EUlS11_E_NS1_11comp_targetILNS1_3genE8ELNS1_11target_archE1030ELNS1_3gpuE2ELNS1_3repE0EEENS1_47radix_sort_onesweep_sort_config_static_selectorELNS0_4arch9wavefront6targetE1EEEvSI_: ; @_ZN7rocprim17ROCPRIM_400000_NS6detail17trampoline_kernelINS0_14default_configENS1_35radix_sort_onesweep_config_selectorIffEEZZNS1_29radix_sort_onesweep_iterationIS3_Lb0EN6thrust23THRUST_200600_302600_NS6detail15normal_iteratorINS8_10device_ptrIfEEEESD_SD_SD_jNS0_19identity_decomposerENS1_16block_id_wrapperIjLb1EEEEE10hipError_tT1_PNSt15iterator_traitsISI_E10value_typeET2_T3_PNSJ_ISO_E10value_typeET4_T5_PST_SU_PNS1_23onesweep_lookback_stateEbbT6_jjT7_P12ihipStream_tbENKUlT_T0_SI_SN_E_clISD_PfSD_S15_EEDaS11_S12_SI_SN_EUlS11_E_NS1_11comp_targetILNS1_3genE8ELNS1_11target_archE1030ELNS1_3gpuE2ELNS1_3repE0EEENS1_47radix_sort_onesweep_sort_config_static_selectorELNS0_4arch9wavefront6targetE1EEEvSI_
; %bb.0:
	.section	.rodata,"a",@progbits
	.p2align	6, 0x0
	.amdhsa_kernel _ZN7rocprim17ROCPRIM_400000_NS6detail17trampoline_kernelINS0_14default_configENS1_35radix_sort_onesweep_config_selectorIffEEZZNS1_29radix_sort_onesweep_iterationIS3_Lb0EN6thrust23THRUST_200600_302600_NS6detail15normal_iteratorINS8_10device_ptrIfEEEESD_SD_SD_jNS0_19identity_decomposerENS1_16block_id_wrapperIjLb1EEEEE10hipError_tT1_PNSt15iterator_traitsISI_E10value_typeET2_T3_PNSJ_ISO_E10value_typeET4_T5_PST_SU_PNS1_23onesweep_lookback_stateEbbT6_jjT7_P12ihipStream_tbENKUlT_T0_SI_SN_E_clISD_PfSD_S15_EEDaS11_S12_SI_SN_EUlS11_E_NS1_11comp_targetILNS1_3genE8ELNS1_11target_archE1030ELNS1_3gpuE2ELNS1_3repE0EEENS1_47radix_sort_onesweep_sort_config_static_selectorELNS0_4arch9wavefront6targetE1EEEvSI_
		.amdhsa_group_segment_fixed_size 0
		.amdhsa_private_segment_fixed_size 0
		.amdhsa_kernarg_size 88
		.amdhsa_user_sgpr_count 2
		.amdhsa_user_sgpr_dispatch_ptr 0
		.amdhsa_user_sgpr_queue_ptr 0
		.amdhsa_user_sgpr_kernarg_segment_ptr 1
		.amdhsa_user_sgpr_dispatch_id 0
		.amdhsa_user_sgpr_kernarg_preload_length 0
		.amdhsa_user_sgpr_kernarg_preload_offset 0
		.amdhsa_user_sgpr_private_segment_size 0
		.amdhsa_uses_dynamic_stack 0
		.amdhsa_enable_private_segment 0
		.amdhsa_system_sgpr_workgroup_id_x 1
		.amdhsa_system_sgpr_workgroup_id_y 0
		.amdhsa_system_sgpr_workgroup_id_z 0
		.amdhsa_system_sgpr_workgroup_info 0
		.amdhsa_system_vgpr_workitem_id 0
		.amdhsa_next_free_vgpr 1
		.amdhsa_next_free_sgpr 0
		.amdhsa_accum_offset 4
		.amdhsa_reserve_vcc 0
		.amdhsa_float_round_mode_32 0
		.amdhsa_float_round_mode_16_64 0
		.amdhsa_float_denorm_mode_32 3
		.amdhsa_float_denorm_mode_16_64 3
		.amdhsa_dx10_clamp 1
		.amdhsa_ieee_mode 1
		.amdhsa_fp16_overflow 0
		.amdhsa_tg_split 0
		.amdhsa_exception_fp_ieee_invalid_op 0
		.amdhsa_exception_fp_denorm_src 0
		.amdhsa_exception_fp_ieee_div_zero 0
		.amdhsa_exception_fp_ieee_overflow 0
		.amdhsa_exception_fp_ieee_underflow 0
		.amdhsa_exception_fp_ieee_inexact 0
		.amdhsa_exception_int_div_zero 0
	.end_amdhsa_kernel
	.section	.text._ZN7rocprim17ROCPRIM_400000_NS6detail17trampoline_kernelINS0_14default_configENS1_35radix_sort_onesweep_config_selectorIffEEZZNS1_29radix_sort_onesweep_iterationIS3_Lb0EN6thrust23THRUST_200600_302600_NS6detail15normal_iteratorINS8_10device_ptrIfEEEESD_SD_SD_jNS0_19identity_decomposerENS1_16block_id_wrapperIjLb1EEEEE10hipError_tT1_PNSt15iterator_traitsISI_E10value_typeET2_T3_PNSJ_ISO_E10value_typeET4_T5_PST_SU_PNS1_23onesweep_lookback_stateEbbT6_jjT7_P12ihipStream_tbENKUlT_T0_SI_SN_E_clISD_PfSD_S15_EEDaS11_S12_SI_SN_EUlS11_E_NS1_11comp_targetILNS1_3genE8ELNS1_11target_archE1030ELNS1_3gpuE2ELNS1_3repE0EEENS1_47radix_sort_onesweep_sort_config_static_selectorELNS0_4arch9wavefront6targetE1EEEvSI_,"axG",@progbits,_ZN7rocprim17ROCPRIM_400000_NS6detail17trampoline_kernelINS0_14default_configENS1_35radix_sort_onesweep_config_selectorIffEEZZNS1_29radix_sort_onesweep_iterationIS3_Lb0EN6thrust23THRUST_200600_302600_NS6detail15normal_iteratorINS8_10device_ptrIfEEEESD_SD_SD_jNS0_19identity_decomposerENS1_16block_id_wrapperIjLb1EEEEE10hipError_tT1_PNSt15iterator_traitsISI_E10value_typeET2_T3_PNSJ_ISO_E10value_typeET4_T5_PST_SU_PNS1_23onesweep_lookback_stateEbbT6_jjT7_P12ihipStream_tbENKUlT_T0_SI_SN_E_clISD_PfSD_S15_EEDaS11_S12_SI_SN_EUlS11_E_NS1_11comp_targetILNS1_3genE8ELNS1_11target_archE1030ELNS1_3gpuE2ELNS1_3repE0EEENS1_47radix_sort_onesweep_sort_config_static_selectorELNS0_4arch9wavefront6targetE1EEEvSI_,comdat
.Lfunc_end322:
	.size	_ZN7rocprim17ROCPRIM_400000_NS6detail17trampoline_kernelINS0_14default_configENS1_35radix_sort_onesweep_config_selectorIffEEZZNS1_29radix_sort_onesweep_iterationIS3_Lb0EN6thrust23THRUST_200600_302600_NS6detail15normal_iteratorINS8_10device_ptrIfEEEESD_SD_SD_jNS0_19identity_decomposerENS1_16block_id_wrapperIjLb1EEEEE10hipError_tT1_PNSt15iterator_traitsISI_E10value_typeET2_T3_PNSJ_ISO_E10value_typeET4_T5_PST_SU_PNS1_23onesweep_lookback_stateEbbT6_jjT7_P12ihipStream_tbENKUlT_T0_SI_SN_E_clISD_PfSD_S15_EEDaS11_S12_SI_SN_EUlS11_E_NS1_11comp_targetILNS1_3genE8ELNS1_11target_archE1030ELNS1_3gpuE2ELNS1_3repE0EEENS1_47radix_sort_onesweep_sort_config_static_selectorELNS0_4arch9wavefront6targetE1EEEvSI_, .Lfunc_end322-_ZN7rocprim17ROCPRIM_400000_NS6detail17trampoline_kernelINS0_14default_configENS1_35radix_sort_onesweep_config_selectorIffEEZZNS1_29radix_sort_onesweep_iterationIS3_Lb0EN6thrust23THRUST_200600_302600_NS6detail15normal_iteratorINS8_10device_ptrIfEEEESD_SD_SD_jNS0_19identity_decomposerENS1_16block_id_wrapperIjLb1EEEEE10hipError_tT1_PNSt15iterator_traitsISI_E10value_typeET2_T3_PNSJ_ISO_E10value_typeET4_T5_PST_SU_PNS1_23onesweep_lookback_stateEbbT6_jjT7_P12ihipStream_tbENKUlT_T0_SI_SN_E_clISD_PfSD_S15_EEDaS11_S12_SI_SN_EUlS11_E_NS1_11comp_targetILNS1_3genE8ELNS1_11target_archE1030ELNS1_3gpuE2ELNS1_3repE0EEENS1_47radix_sort_onesweep_sort_config_static_selectorELNS0_4arch9wavefront6targetE1EEEvSI_
                                        ; -- End function
	.set _ZN7rocprim17ROCPRIM_400000_NS6detail17trampoline_kernelINS0_14default_configENS1_35radix_sort_onesweep_config_selectorIffEEZZNS1_29radix_sort_onesweep_iterationIS3_Lb0EN6thrust23THRUST_200600_302600_NS6detail15normal_iteratorINS8_10device_ptrIfEEEESD_SD_SD_jNS0_19identity_decomposerENS1_16block_id_wrapperIjLb1EEEEE10hipError_tT1_PNSt15iterator_traitsISI_E10value_typeET2_T3_PNSJ_ISO_E10value_typeET4_T5_PST_SU_PNS1_23onesweep_lookback_stateEbbT6_jjT7_P12ihipStream_tbENKUlT_T0_SI_SN_E_clISD_PfSD_S15_EEDaS11_S12_SI_SN_EUlS11_E_NS1_11comp_targetILNS1_3genE8ELNS1_11target_archE1030ELNS1_3gpuE2ELNS1_3repE0EEENS1_47radix_sort_onesweep_sort_config_static_selectorELNS0_4arch9wavefront6targetE1EEEvSI_.num_vgpr, 0
	.set _ZN7rocprim17ROCPRIM_400000_NS6detail17trampoline_kernelINS0_14default_configENS1_35radix_sort_onesweep_config_selectorIffEEZZNS1_29radix_sort_onesweep_iterationIS3_Lb0EN6thrust23THRUST_200600_302600_NS6detail15normal_iteratorINS8_10device_ptrIfEEEESD_SD_SD_jNS0_19identity_decomposerENS1_16block_id_wrapperIjLb1EEEEE10hipError_tT1_PNSt15iterator_traitsISI_E10value_typeET2_T3_PNSJ_ISO_E10value_typeET4_T5_PST_SU_PNS1_23onesweep_lookback_stateEbbT6_jjT7_P12ihipStream_tbENKUlT_T0_SI_SN_E_clISD_PfSD_S15_EEDaS11_S12_SI_SN_EUlS11_E_NS1_11comp_targetILNS1_3genE8ELNS1_11target_archE1030ELNS1_3gpuE2ELNS1_3repE0EEENS1_47radix_sort_onesweep_sort_config_static_selectorELNS0_4arch9wavefront6targetE1EEEvSI_.num_agpr, 0
	.set _ZN7rocprim17ROCPRIM_400000_NS6detail17trampoline_kernelINS0_14default_configENS1_35radix_sort_onesweep_config_selectorIffEEZZNS1_29radix_sort_onesweep_iterationIS3_Lb0EN6thrust23THRUST_200600_302600_NS6detail15normal_iteratorINS8_10device_ptrIfEEEESD_SD_SD_jNS0_19identity_decomposerENS1_16block_id_wrapperIjLb1EEEEE10hipError_tT1_PNSt15iterator_traitsISI_E10value_typeET2_T3_PNSJ_ISO_E10value_typeET4_T5_PST_SU_PNS1_23onesweep_lookback_stateEbbT6_jjT7_P12ihipStream_tbENKUlT_T0_SI_SN_E_clISD_PfSD_S15_EEDaS11_S12_SI_SN_EUlS11_E_NS1_11comp_targetILNS1_3genE8ELNS1_11target_archE1030ELNS1_3gpuE2ELNS1_3repE0EEENS1_47radix_sort_onesweep_sort_config_static_selectorELNS0_4arch9wavefront6targetE1EEEvSI_.numbered_sgpr, 0
	.set _ZN7rocprim17ROCPRIM_400000_NS6detail17trampoline_kernelINS0_14default_configENS1_35radix_sort_onesweep_config_selectorIffEEZZNS1_29radix_sort_onesweep_iterationIS3_Lb0EN6thrust23THRUST_200600_302600_NS6detail15normal_iteratorINS8_10device_ptrIfEEEESD_SD_SD_jNS0_19identity_decomposerENS1_16block_id_wrapperIjLb1EEEEE10hipError_tT1_PNSt15iterator_traitsISI_E10value_typeET2_T3_PNSJ_ISO_E10value_typeET4_T5_PST_SU_PNS1_23onesweep_lookback_stateEbbT6_jjT7_P12ihipStream_tbENKUlT_T0_SI_SN_E_clISD_PfSD_S15_EEDaS11_S12_SI_SN_EUlS11_E_NS1_11comp_targetILNS1_3genE8ELNS1_11target_archE1030ELNS1_3gpuE2ELNS1_3repE0EEENS1_47radix_sort_onesweep_sort_config_static_selectorELNS0_4arch9wavefront6targetE1EEEvSI_.num_named_barrier, 0
	.set _ZN7rocprim17ROCPRIM_400000_NS6detail17trampoline_kernelINS0_14default_configENS1_35radix_sort_onesweep_config_selectorIffEEZZNS1_29radix_sort_onesweep_iterationIS3_Lb0EN6thrust23THRUST_200600_302600_NS6detail15normal_iteratorINS8_10device_ptrIfEEEESD_SD_SD_jNS0_19identity_decomposerENS1_16block_id_wrapperIjLb1EEEEE10hipError_tT1_PNSt15iterator_traitsISI_E10value_typeET2_T3_PNSJ_ISO_E10value_typeET4_T5_PST_SU_PNS1_23onesweep_lookback_stateEbbT6_jjT7_P12ihipStream_tbENKUlT_T0_SI_SN_E_clISD_PfSD_S15_EEDaS11_S12_SI_SN_EUlS11_E_NS1_11comp_targetILNS1_3genE8ELNS1_11target_archE1030ELNS1_3gpuE2ELNS1_3repE0EEENS1_47radix_sort_onesweep_sort_config_static_selectorELNS0_4arch9wavefront6targetE1EEEvSI_.private_seg_size, 0
	.set _ZN7rocprim17ROCPRIM_400000_NS6detail17trampoline_kernelINS0_14default_configENS1_35radix_sort_onesweep_config_selectorIffEEZZNS1_29radix_sort_onesweep_iterationIS3_Lb0EN6thrust23THRUST_200600_302600_NS6detail15normal_iteratorINS8_10device_ptrIfEEEESD_SD_SD_jNS0_19identity_decomposerENS1_16block_id_wrapperIjLb1EEEEE10hipError_tT1_PNSt15iterator_traitsISI_E10value_typeET2_T3_PNSJ_ISO_E10value_typeET4_T5_PST_SU_PNS1_23onesweep_lookback_stateEbbT6_jjT7_P12ihipStream_tbENKUlT_T0_SI_SN_E_clISD_PfSD_S15_EEDaS11_S12_SI_SN_EUlS11_E_NS1_11comp_targetILNS1_3genE8ELNS1_11target_archE1030ELNS1_3gpuE2ELNS1_3repE0EEENS1_47radix_sort_onesweep_sort_config_static_selectorELNS0_4arch9wavefront6targetE1EEEvSI_.uses_vcc, 0
	.set _ZN7rocprim17ROCPRIM_400000_NS6detail17trampoline_kernelINS0_14default_configENS1_35radix_sort_onesweep_config_selectorIffEEZZNS1_29radix_sort_onesweep_iterationIS3_Lb0EN6thrust23THRUST_200600_302600_NS6detail15normal_iteratorINS8_10device_ptrIfEEEESD_SD_SD_jNS0_19identity_decomposerENS1_16block_id_wrapperIjLb1EEEEE10hipError_tT1_PNSt15iterator_traitsISI_E10value_typeET2_T3_PNSJ_ISO_E10value_typeET4_T5_PST_SU_PNS1_23onesweep_lookback_stateEbbT6_jjT7_P12ihipStream_tbENKUlT_T0_SI_SN_E_clISD_PfSD_S15_EEDaS11_S12_SI_SN_EUlS11_E_NS1_11comp_targetILNS1_3genE8ELNS1_11target_archE1030ELNS1_3gpuE2ELNS1_3repE0EEENS1_47radix_sort_onesweep_sort_config_static_selectorELNS0_4arch9wavefront6targetE1EEEvSI_.uses_flat_scratch, 0
	.set _ZN7rocprim17ROCPRIM_400000_NS6detail17trampoline_kernelINS0_14default_configENS1_35radix_sort_onesweep_config_selectorIffEEZZNS1_29radix_sort_onesweep_iterationIS3_Lb0EN6thrust23THRUST_200600_302600_NS6detail15normal_iteratorINS8_10device_ptrIfEEEESD_SD_SD_jNS0_19identity_decomposerENS1_16block_id_wrapperIjLb1EEEEE10hipError_tT1_PNSt15iterator_traitsISI_E10value_typeET2_T3_PNSJ_ISO_E10value_typeET4_T5_PST_SU_PNS1_23onesweep_lookback_stateEbbT6_jjT7_P12ihipStream_tbENKUlT_T0_SI_SN_E_clISD_PfSD_S15_EEDaS11_S12_SI_SN_EUlS11_E_NS1_11comp_targetILNS1_3genE8ELNS1_11target_archE1030ELNS1_3gpuE2ELNS1_3repE0EEENS1_47radix_sort_onesweep_sort_config_static_selectorELNS0_4arch9wavefront6targetE1EEEvSI_.has_dyn_sized_stack, 0
	.set _ZN7rocprim17ROCPRIM_400000_NS6detail17trampoline_kernelINS0_14default_configENS1_35radix_sort_onesweep_config_selectorIffEEZZNS1_29radix_sort_onesweep_iterationIS3_Lb0EN6thrust23THRUST_200600_302600_NS6detail15normal_iteratorINS8_10device_ptrIfEEEESD_SD_SD_jNS0_19identity_decomposerENS1_16block_id_wrapperIjLb1EEEEE10hipError_tT1_PNSt15iterator_traitsISI_E10value_typeET2_T3_PNSJ_ISO_E10value_typeET4_T5_PST_SU_PNS1_23onesweep_lookback_stateEbbT6_jjT7_P12ihipStream_tbENKUlT_T0_SI_SN_E_clISD_PfSD_S15_EEDaS11_S12_SI_SN_EUlS11_E_NS1_11comp_targetILNS1_3genE8ELNS1_11target_archE1030ELNS1_3gpuE2ELNS1_3repE0EEENS1_47radix_sort_onesweep_sort_config_static_selectorELNS0_4arch9wavefront6targetE1EEEvSI_.has_recursion, 0
	.set _ZN7rocprim17ROCPRIM_400000_NS6detail17trampoline_kernelINS0_14default_configENS1_35radix_sort_onesweep_config_selectorIffEEZZNS1_29radix_sort_onesweep_iterationIS3_Lb0EN6thrust23THRUST_200600_302600_NS6detail15normal_iteratorINS8_10device_ptrIfEEEESD_SD_SD_jNS0_19identity_decomposerENS1_16block_id_wrapperIjLb1EEEEE10hipError_tT1_PNSt15iterator_traitsISI_E10value_typeET2_T3_PNSJ_ISO_E10value_typeET4_T5_PST_SU_PNS1_23onesweep_lookback_stateEbbT6_jjT7_P12ihipStream_tbENKUlT_T0_SI_SN_E_clISD_PfSD_S15_EEDaS11_S12_SI_SN_EUlS11_E_NS1_11comp_targetILNS1_3genE8ELNS1_11target_archE1030ELNS1_3gpuE2ELNS1_3repE0EEENS1_47radix_sort_onesweep_sort_config_static_selectorELNS0_4arch9wavefront6targetE1EEEvSI_.has_indirect_call, 0
	.section	.AMDGPU.csdata,"",@progbits
; Kernel info:
; codeLenInByte = 0
; TotalNumSgprs: 6
; NumVgprs: 0
; NumAgprs: 0
; TotalNumVgprs: 0
; ScratchSize: 0
; MemoryBound: 0
; FloatMode: 240
; IeeeMode: 1
; LDSByteSize: 0 bytes/workgroup (compile time only)
; SGPRBlocks: 0
; VGPRBlocks: 0
; NumSGPRsForWavesPerEU: 6
; NumVGPRsForWavesPerEU: 1
; AccumOffset: 4
; Occupancy: 8
; WaveLimiterHint : 0
; COMPUTE_PGM_RSRC2:SCRATCH_EN: 0
; COMPUTE_PGM_RSRC2:USER_SGPR: 2
; COMPUTE_PGM_RSRC2:TRAP_HANDLER: 0
; COMPUTE_PGM_RSRC2:TGID_X_EN: 1
; COMPUTE_PGM_RSRC2:TGID_Y_EN: 0
; COMPUTE_PGM_RSRC2:TGID_Z_EN: 0
; COMPUTE_PGM_RSRC2:TIDIG_COMP_CNT: 0
; COMPUTE_PGM_RSRC3_GFX90A:ACCUM_OFFSET: 0
; COMPUTE_PGM_RSRC3_GFX90A:TG_SPLIT: 0
	.section	.text._ZN7rocprim17ROCPRIM_400000_NS6detail17trampoline_kernelINS0_14default_configENS1_35radix_sort_onesweep_config_selectorIffEEZZNS1_29radix_sort_onesweep_iterationIS3_Lb0EN6thrust23THRUST_200600_302600_NS6detail15normal_iteratorINS8_10device_ptrIfEEEESD_SD_SD_jNS0_19identity_decomposerENS1_16block_id_wrapperIjLb1EEEEE10hipError_tT1_PNSt15iterator_traitsISI_E10value_typeET2_T3_PNSJ_ISO_E10value_typeET4_T5_PST_SU_PNS1_23onesweep_lookback_stateEbbT6_jjT7_P12ihipStream_tbENKUlT_T0_SI_SN_E_clIPfSD_S15_SD_EEDaS11_S12_SI_SN_EUlS11_E_NS1_11comp_targetILNS1_3genE0ELNS1_11target_archE4294967295ELNS1_3gpuE0ELNS1_3repE0EEENS1_47radix_sort_onesweep_sort_config_static_selectorELNS0_4arch9wavefront6targetE1EEEvSI_,"axG",@progbits,_ZN7rocprim17ROCPRIM_400000_NS6detail17trampoline_kernelINS0_14default_configENS1_35radix_sort_onesweep_config_selectorIffEEZZNS1_29radix_sort_onesweep_iterationIS3_Lb0EN6thrust23THRUST_200600_302600_NS6detail15normal_iteratorINS8_10device_ptrIfEEEESD_SD_SD_jNS0_19identity_decomposerENS1_16block_id_wrapperIjLb1EEEEE10hipError_tT1_PNSt15iterator_traitsISI_E10value_typeET2_T3_PNSJ_ISO_E10value_typeET4_T5_PST_SU_PNS1_23onesweep_lookback_stateEbbT6_jjT7_P12ihipStream_tbENKUlT_T0_SI_SN_E_clIPfSD_S15_SD_EEDaS11_S12_SI_SN_EUlS11_E_NS1_11comp_targetILNS1_3genE0ELNS1_11target_archE4294967295ELNS1_3gpuE0ELNS1_3repE0EEENS1_47radix_sort_onesweep_sort_config_static_selectorELNS0_4arch9wavefront6targetE1EEEvSI_,comdat
	.protected	_ZN7rocprim17ROCPRIM_400000_NS6detail17trampoline_kernelINS0_14default_configENS1_35radix_sort_onesweep_config_selectorIffEEZZNS1_29radix_sort_onesweep_iterationIS3_Lb0EN6thrust23THRUST_200600_302600_NS6detail15normal_iteratorINS8_10device_ptrIfEEEESD_SD_SD_jNS0_19identity_decomposerENS1_16block_id_wrapperIjLb1EEEEE10hipError_tT1_PNSt15iterator_traitsISI_E10value_typeET2_T3_PNSJ_ISO_E10value_typeET4_T5_PST_SU_PNS1_23onesweep_lookback_stateEbbT6_jjT7_P12ihipStream_tbENKUlT_T0_SI_SN_E_clIPfSD_S15_SD_EEDaS11_S12_SI_SN_EUlS11_E_NS1_11comp_targetILNS1_3genE0ELNS1_11target_archE4294967295ELNS1_3gpuE0ELNS1_3repE0EEENS1_47radix_sort_onesweep_sort_config_static_selectorELNS0_4arch9wavefront6targetE1EEEvSI_ ; -- Begin function _ZN7rocprim17ROCPRIM_400000_NS6detail17trampoline_kernelINS0_14default_configENS1_35radix_sort_onesweep_config_selectorIffEEZZNS1_29radix_sort_onesweep_iterationIS3_Lb0EN6thrust23THRUST_200600_302600_NS6detail15normal_iteratorINS8_10device_ptrIfEEEESD_SD_SD_jNS0_19identity_decomposerENS1_16block_id_wrapperIjLb1EEEEE10hipError_tT1_PNSt15iterator_traitsISI_E10value_typeET2_T3_PNSJ_ISO_E10value_typeET4_T5_PST_SU_PNS1_23onesweep_lookback_stateEbbT6_jjT7_P12ihipStream_tbENKUlT_T0_SI_SN_E_clIPfSD_S15_SD_EEDaS11_S12_SI_SN_EUlS11_E_NS1_11comp_targetILNS1_3genE0ELNS1_11target_archE4294967295ELNS1_3gpuE0ELNS1_3repE0EEENS1_47radix_sort_onesweep_sort_config_static_selectorELNS0_4arch9wavefront6targetE1EEEvSI_
	.globl	_ZN7rocprim17ROCPRIM_400000_NS6detail17trampoline_kernelINS0_14default_configENS1_35radix_sort_onesweep_config_selectorIffEEZZNS1_29radix_sort_onesweep_iterationIS3_Lb0EN6thrust23THRUST_200600_302600_NS6detail15normal_iteratorINS8_10device_ptrIfEEEESD_SD_SD_jNS0_19identity_decomposerENS1_16block_id_wrapperIjLb1EEEEE10hipError_tT1_PNSt15iterator_traitsISI_E10value_typeET2_T3_PNSJ_ISO_E10value_typeET4_T5_PST_SU_PNS1_23onesweep_lookback_stateEbbT6_jjT7_P12ihipStream_tbENKUlT_T0_SI_SN_E_clIPfSD_S15_SD_EEDaS11_S12_SI_SN_EUlS11_E_NS1_11comp_targetILNS1_3genE0ELNS1_11target_archE4294967295ELNS1_3gpuE0ELNS1_3repE0EEENS1_47radix_sort_onesweep_sort_config_static_selectorELNS0_4arch9wavefront6targetE1EEEvSI_
	.p2align	8
	.type	_ZN7rocprim17ROCPRIM_400000_NS6detail17trampoline_kernelINS0_14default_configENS1_35radix_sort_onesweep_config_selectorIffEEZZNS1_29radix_sort_onesweep_iterationIS3_Lb0EN6thrust23THRUST_200600_302600_NS6detail15normal_iteratorINS8_10device_ptrIfEEEESD_SD_SD_jNS0_19identity_decomposerENS1_16block_id_wrapperIjLb1EEEEE10hipError_tT1_PNSt15iterator_traitsISI_E10value_typeET2_T3_PNSJ_ISO_E10value_typeET4_T5_PST_SU_PNS1_23onesweep_lookback_stateEbbT6_jjT7_P12ihipStream_tbENKUlT_T0_SI_SN_E_clIPfSD_S15_SD_EEDaS11_S12_SI_SN_EUlS11_E_NS1_11comp_targetILNS1_3genE0ELNS1_11target_archE4294967295ELNS1_3gpuE0ELNS1_3repE0EEENS1_47radix_sort_onesweep_sort_config_static_selectorELNS0_4arch9wavefront6targetE1EEEvSI_,@function
_ZN7rocprim17ROCPRIM_400000_NS6detail17trampoline_kernelINS0_14default_configENS1_35radix_sort_onesweep_config_selectorIffEEZZNS1_29radix_sort_onesweep_iterationIS3_Lb0EN6thrust23THRUST_200600_302600_NS6detail15normal_iteratorINS8_10device_ptrIfEEEESD_SD_SD_jNS0_19identity_decomposerENS1_16block_id_wrapperIjLb1EEEEE10hipError_tT1_PNSt15iterator_traitsISI_E10value_typeET2_T3_PNSJ_ISO_E10value_typeET4_T5_PST_SU_PNS1_23onesweep_lookback_stateEbbT6_jjT7_P12ihipStream_tbENKUlT_T0_SI_SN_E_clIPfSD_S15_SD_EEDaS11_S12_SI_SN_EUlS11_E_NS1_11comp_targetILNS1_3genE0ELNS1_11target_archE4294967295ELNS1_3gpuE0ELNS1_3repE0EEENS1_47radix_sort_onesweep_sort_config_static_selectorELNS0_4arch9wavefront6targetE1EEEvSI_: ; @_ZN7rocprim17ROCPRIM_400000_NS6detail17trampoline_kernelINS0_14default_configENS1_35radix_sort_onesweep_config_selectorIffEEZZNS1_29radix_sort_onesweep_iterationIS3_Lb0EN6thrust23THRUST_200600_302600_NS6detail15normal_iteratorINS8_10device_ptrIfEEEESD_SD_SD_jNS0_19identity_decomposerENS1_16block_id_wrapperIjLb1EEEEE10hipError_tT1_PNSt15iterator_traitsISI_E10value_typeET2_T3_PNSJ_ISO_E10value_typeET4_T5_PST_SU_PNS1_23onesweep_lookback_stateEbbT6_jjT7_P12ihipStream_tbENKUlT_T0_SI_SN_E_clIPfSD_S15_SD_EEDaS11_S12_SI_SN_EUlS11_E_NS1_11comp_targetILNS1_3genE0ELNS1_11target_archE4294967295ELNS1_3gpuE0ELNS1_3repE0EEENS1_47radix_sort_onesweep_sort_config_static_selectorELNS0_4arch9wavefront6targetE1EEEvSI_
; %bb.0:
	.section	.rodata,"a",@progbits
	.p2align	6, 0x0
	.amdhsa_kernel _ZN7rocprim17ROCPRIM_400000_NS6detail17trampoline_kernelINS0_14default_configENS1_35radix_sort_onesweep_config_selectorIffEEZZNS1_29radix_sort_onesweep_iterationIS3_Lb0EN6thrust23THRUST_200600_302600_NS6detail15normal_iteratorINS8_10device_ptrIfEEEESD_SD_SD_jNS0_19identity_decomposerENS1_16block_id_wrapperIjLb1EEEEE10hipError_tT1_PNSt15iterator_traitsISI_E10value_typeET2_T3_PNSJ_ISO_E10value_typeET4_T5_PST_SU_PNS1_23onesweep_lookback_stateEbbT6_jjT7_P12ihipStream_tbENKUlT_T0_SI_SN_E_clIPfSD_S15_SD_EEDaS11_S12_SI_SN_EUlS11_E_NS1_11comp_targetILNS1_3genE0ELNS1_11target_archE4294967295ELNS1_3gpuE0ELNS1_3repE0EEENS1_47radix_sort_onesweep_sort_config_static_selectorELNS0_4arch9wavefront6targetE1EEEvSI_
		.amdhsa_group_segment_fixed_size 0
		.amdhsa_private_segment_fixed_size 0
		.amdhsa_kernarg_size 88
		.amdhsa_user_sgpr_count 2
		.amdhsa_user_sgpr_dispatch_ptr 0
		.amdhsa_user_sgpr_queue_ptr 0
		.amdhsa_user_sgpr_kernarg_segment_ptr 1
		.amdhsa_user_sgpr_dispatch_id 0
		.amdhsa_user_sgpr_kernarg_preload_length 0
		.amdhsa_user_sgpr_kernarg_preload_offset 0
		.amdhsa_user_sgpr_private_segment_size 0
		.amdhsa_uses_dynamic_stack 0
		.amdhsa_enable_private_segment 0
		.amdhsa_system_sgpr_workgroup_id_x 1
		.amdhsa_system_sgpr_workgroup_id_y 0
		.amdhsa_system_sgpr_workgroup_id_z 0
		.amdhsa_system_sgpr_workgroup_info 0
		.amdhsa_system_vgpr_workitem_id 0
		.amdhsa_next_free_vgpr 1
		.amdhsa_next_free_sgpr 0
		.amdhsa_accum_offset 4
		.amdhsa_reserve_vcc 0
		.amdhsa_float_round_mode_32 0
		.amdhsa_float_round_mode_16_64 0
		.amdhsa_float_denorm_mode_32 3
		.amdhsa_float_denorm_mode_16_64 3
		.amdhsa_dx10_clamp 1
		.amdhsa_ieee_mode 1
		.amdhsa_fp16_overflow 0
		.amdhsa_tg_split 0
		.amdhsa_exception_fp_ieee_invalid_op 0
		.amdhsa_exception_fp_denorm_src 0
		.amdhsa_exception_fp_ieee_div_zero 0
		.amdhsa_exception_fp_ieee_overflow 0
		.amdhsa_exception_fp_ieee_underflow 0
		.amdhsa_exception_fp_ieee_inexact 0
		.amdhsa_exception_int_div_zero 0
	.end_amdhsa_kernel
	.section	.text._ZN7rocprim17ROCPRIM_400000_NS6detail17trampoline_kernelINS0_14default_configENS1_35radix_sort_onesweep_config_selectorIffEEZZNS1_29radix_sort_onesweep_iterationIS3_Lb0EN6thrust23THRUST_200600_302600_NS6detail15normal_iteratorINS8_10device_ptrIfEEEESD_SD_SD_jNS0_19identity_decomposerENS1_16block_id_wrapperIjLb1EEEEE10hipError_tT1_PNSt15iterator_traitsISI_E10value_typeET2_T3_PNSJ_ISO_E10value_typeET4_T5_PST_SU_PNS1_23onesweep_lookback_stateEbbT6_jjT7_P12ihipStream_tbENKUlT_T0_SI_SN_E_clIPfSD_S15_SD_EEDaS11_S12_SI_SN_EUlS11_E_NS1_11comp_targetILNS1_3genE0ELNS1_11target_archE4294967295ELNS1_3gpuE0ELNS1_3repE0EEENS1_47radix_sort_onesweep_sort_config_static_selectorELNS0_4arch9wavefront6targetE1EEEvSI_,"axG",@progbits,_ZN7rocprim17ROCPRIM_400000_NS6detail17trampoline_kernelINS0_14default_configENS1_35radix_sort_onesweep_config_selectorIffEEZZNS1_29radix_sort_onesweep_iterationIS3_Lb0EN6thrust23THRUST_200600_302600_NS6detail15normal_iteratorINS8_10device_ptrIfEEEESD_SD_SD_jNS0_19identity_decomposerENS1_16block_id_wrapperIjLb1EEEEE10hipError_tT1_PNSt15iterator_traitsISI_E10value_typeET2_T3_PNSJ_ISO_E10value_typeET4_T5_PST_SU_PNS1_23onesweep_lookback_stateEbbT6_jjT7_P12ihipStream_tbENKUlT_T0_SI_SN_E_clIPfSD_S15_SD_EEDaS11_S12_SI_SN_EUlS11_E_NS1_11comp_targetILNS1_3genE0ELNS1_11target_archE4294967295ELNS1_3gpuE0ELNS1_3repE0EEENS1_47radix_sort_onesweep_sort_config_static_selectorELNS0_4arch9wavefront6targetE1EEEvSI_,comdat
.Lfunc_end323:
	.size	_ZN7rocprim17ROCPRIM_400000_NS6detail17trampoline_kernelINS0_14default_configENS1_35radix_sort_onesweep_config_selectorIffEEZZNS1_29radix_sort_onesweep_iterationIS3_Lb0EN6thrust23THRUST_200600_302600_NS6detail15normal_iteratorINS8_10device_ptrIfEEEESD_SD_SD_jNS0_19identity_decomposerENS1_16block_id_wrapperIjLb1EEEEE10hipError_tT1_PNSt15iterator_traitsISI_E10value_typeET2_T3_PNSJ_ISO_E10value_typeET4_T5_PST_SU_PNS1_23onesweep_lookback_stateEbbT6_jjT7_P12ihipStream_tbENKUlT_T0_SI_SN_E_clIPfSD_S15_SD_EEDaS11_S12_SI_SN_EUlS11_E_NS1_11comp_targetILNS1_3genE0ELNS1_11target_archE4294967295ELNS1_3gpuE0ELNS1_3repE0EEENS1_47radix_sort_onesweep_sort_config_static_selectorELNS0_4arch9wavefront6targetE1EEEvSI_, .Lfunc_end323-_ZN7rocprim17ROCPRIM_400000_NS6detail17trampoline_kernelINS0_14default_configENS1_35radix_sort_onesweep_config_selectorIffEEZZNS1_29radix_sort_onesweep_iterationIS3_Lb0EN6thrust23THRUST_200600_302600_NS6detail15normal_iteratorINS8_10device_ptrIfEEEESD_SD_SD_jNS0_19identity_decomposerENS1_16block_id_wrapperIjLb1EEEEE10hipError_tT1_PNSt15iterator_traitsISI_E10value_typeET2_T3_PNSJ_ISO_E10value_typeET4_T5_PST_SU_PNS1_23onesweep_lookback_stateEbbT6_jjT7_P12ihipStream_tbENKUlT_T0_SI_SN_E_clIPfSD_S15_SD_EEDaS11_S12_SI_SN_EUlS11_E_NS1_11comp_targetILNS1_3genE0ELNS1_11target_archE4294967295ELNS1_3gpuE0ELNS1_3repE0EEENS1_47radix_sort_onesweep_sort_config_static_selectorELNS0_4arch9wavefront6targetE1EEEvSI_
                                        ; -- End function
	.set _ZN7rocprim17ROCPRIM_400000_NS6detail17trampoline_kernelINS0_14default_configENS1_35radix_sort_onesweep_config_selectorIffEEZZNS1_29radix_sort_onesweep_iterationIS3_Lb0EN6thrust23THRUST_200600_302600_NS6detail15normal_iteratorINS8_10device_ptrIfEEEESD_SD_SD_jNS0_19identity_decomposerENS1_16block_id_wrapperIjLb1EEEEE10hipError_tT1_PNSt15iterator_traitsISI_E10value_typeET2_T3_PNSJ_ISO_E10value_typeET4_T5_PST_SU_PNS1_23onesweep_lookback_stateEbbT6_jjT7_P12ihipStream_tbENKUlT_T0_SI_SN_E_clIPfSD_S15_SD_EEDaS11_S12_SI_SN_EUlS11_E_NS1_11comp_targetILNS1_3genE0ELNS1_11target_archE4294967295ELNS1_3gpuE0ELNS1_3repE0EEENS1_47radix_sort_onesweep_sort_config_static_selectorELNS0_4arch9wavefront6targetE1EEEvSI_.num_vgpr, 0
	.set _ZN7rocprim17ROCPRIM_400000_NS6detail17trampoline_kernelINS0_14default_configENS1_35radix_sort_onesweep_config_selectorIffEEZZNS1_29radix_sort_onesweep_iterationIS3_Lb0EN6thrust23THRUST_200600_302600_NS6detail15normal_iteratorINS8_10device_ptrIfEEEESD_SD_SD_jNS0_19identity_decomposerENS1_16block_id_wrapperIjLb1EEEEE10hipError_tT1_PNSt15iterator_traitsISI_E10value_typeET2_T3_PNSJ_ISO_E10value_typeET4_T5_PST_SU_PNS1_23onesweep_lookback_stateEbbT6_jjT7_P12ihipStream_tbENKUlT_T0_SI_SN_E_clIPfSD_S15_SD_EEDaS11_S12_SI_SN_EUlS11_E_NS1_11comp_targetILNS1_3genE0ELNS1_11target_archE4294967295ELNS1_3gpuE0ELNS1_3repE0EEENS1_47radix_sort_onesweep_sort_config_static_selectorELNS0_4arch9wavefront6targetE1EEEvSI_.num_agpr, 0
	.set _ZN7rocprim17ROCPRIM_400000_NS6detail17trampoline_kernelINS0_14default_configENS1_35radix_sort_onesweep_config_selectorIffEEZZNS1_29radix_sort_onesweep_iterationIS3_Lb0EN6thrust23THRUST_200600_302600_NS6detail15normal_iteratorINS8_10device_ptrIfEEEESD_SD_SD_jNS0_19identity_decomposerENS1_16block_id_wrapperIjLb1EEEEE10hipError_tT1_PNSt15iterator_traitsISI_E10value_typeET2_T3_PNSJ_ISO_E10value_typeET4_T5_PST_SU_PNS1_23onesweep_lookback_stateEbbT6_jjT7_P12ihipStream_tbENKUlT_T0_SI_SN_E_clIPfSD_S15_SD_EEDaS11_S12_SI_SN_EUlS11_E_NS1_11comp_targetILNS1_3genE0ELNS1_11target_archE4294967295ELNS1_3gpuE0ELNS1_3repE0EEENS1_47radix_sort_onesweep_sort_config_static_selectorELNS0_4arch9wavefront6targetE1EEEvSI_.numbered_sgpr, 0
	.set _ZN7rocprim17ROCPRIM_400000_NS6detail17trampoline_kernelINS0_14default_configENS1_35radix_sort_onesweep_config_selectorIffEEZZNS1_29radix_sort_onesweep_iterationIS3_Lb0EN6thrust23THRUST_200600_302600_NS6detail15normal_iteratorINS8_10device_ptrIfEEEESD_SD_SD_jNS0_19identity_decomposerENS1_16block_id_wrapperIjLb1EEEEE10hipError_tT1_PNSt15iterator_traitsISI_E10value_typeET2_T3_PNSJ_ISO_E10value_typeET4_T5_PST_SU_PNS1_23onesweep_lookback_stateEbbT6_jjT7_P12ihipStream_tbENKUlT_T0_SI_SN_E_clIPfSD_S15_SD_EEDaS11_S12_SI_SN_EUlS11_E_NS1_11comp_targetILNS1_3genE0ELNS1_11target_archE4294967295ELNS1_3gpuE0ELNS1_3repE0EEENS1_47radix_sort_onesweep_sort_config_static_selectorELNS0_4arch9wavefront6targetE1EEEvSI_.num_named_barrier, 0
	.set _ZN7rocprim17ROCPRIM_400000_NS6detail17trampoline_kernelINS0_14default_configENS1_35radix_sort_onesweep_config_selectorIffEEZZNS1_29radix_sort_onesweep_iterationIS3_Lb0EN6thrust23THRUST_200600_302600_NS6detail15normal_iteratorINS8_10device_ptrIfEEEESD_SD_SD_jNS0_19identity_decomposerENS1_16block_id_wrapperIjLb1EEEEE10hipError_tT1_PNSt15iterator_traitsISI_E10value_typeET2_T3_PNSJ_ISO_E10value_typeET4_T5_PST_SU_PNS1_23onesweep_lookback_stateEbbT6_jjT7_P12ihipStream_tbENKUlT_T0_SI_SN_E_clIPfSD_S15_SD_EEDaS11_S12_SI_SN_EUlS11_E_NS1_11comp_targetILNS1_3genE0ELNS1_11target_archE4294967295ELNS1_3gpuE0ELNS1_3repE0EEENS1_47radix_sort_onesweep_sort_config_static_selectorELNS0_4arch9wavefront6targetE1EEEvSI_.private_seg_size, 0
	.set _ZN7rocprim17ROCPRIM_400000_NS6detail17trampoline_kernelINS0_14default_configENS1_35radix_sort_onesweep_config_selectorIffEEZZNS1_29radix_sort_onesweep_iterationIS3_Lb0EN6thrust23THRUST_200600_302600_NS6detail15normal_iteratorINS8_10device_ptrIfEEEESD_SD_SD_jNS0_19identity_decomposerENS1_16block_id_wrapperIjLb1EEEEE10hipError_tT1_PNSt15iterator_traitsISI_E10value_typeET2_T3_PNSJ_ISO_E10value_typeET4_T5_PST_SU_PNS1_23onesweep_lookback_stateEbbT6_jjT7_P12ihipStream_tbENKUlT_T0_SI_SN_E_clIPfSD_S15_SD_EEDaS11_S12_SI_SN_EUlS11_E_NS1_11comp_targetILNS1_3genE0ELNS1_11target_archE4294967295ELNS1_3gpuE0ELNS1_3repE0EEENS1_47radix_sort_onesweep_sort_config_static_selectorELNS0_4arch9wavefront6targetE1EEEvSI_.uses_vcc, 0
	.set _ZN7rocprim17ROCPRIM_400000_NS6detail17trampoline_kernelINS0_14default_configENS1_35radix_sort_onesweep_config_selectorIffEEZZNS1_29radix_sort_onesweep_iterationIS3_Lb0EN6thrust23THRUST_200600_302600_NS6detail15normal_iteratorINS8_10device_ptrIfEEEESD_SD_SD_jNS0_19identity_decomposerENS1_16block_id_wrapperIjLb1EEEEE10hipError_tT1_PNSt15iterator_traitsISI_E10value_typeET2_T3_PNSJ_ISO_E10value_typeET4_T5_PST_SU_PNS1_23onesweep_lookback_stateEbbT6_jjT7_P12ihipStream_tbENKUlT_T0_SI_SN_E_clIPfSD_S15_SD_EEDaS11_S12_SI_SN_EUlS11_E_NS1_11comp_targetILNS1_3genE0ELNS1_11target_archE4294967295ELNS1_3gpuE0ELNS1_3repE0EEENS1_47radix_sort_onesweep_sort_config_static_selectorELNS0_4arch9wavefront6targetE1EEEvSI_.uses_flat_scratch, 0
	.set _ZN7rocprim17ROCPRIM_400000_NS6detail17trampoline_kernelINS0_14default_configENS1_35radix_sort_onesweep_config_selectorIffEEZZNS1_29radix_sort_onesweep_iterationIS3_Lb0EN6thrust23THRUST_200600_302600_NS6detail15normal_iteratorINS8_10device_ptrIfEEEESD_SD_SD_jNS0_19identity_decomposerENS1_16block_id_wrapperIjLb1EEEEE10hipError_tT1_PNSt15iterator_traitsISI_E10value_typeET2_T3_PNSJ_ISO_E10value_typeET4_T5_PST_SU_PNS1_23onesweep_lookback_stateEbbT6_jjT7_P12ihipStream_tbENKUlT_T0_SI_SN_E_clIPfSD_S15_SD_EEDaS11_S12_SI_SN_EUlS11_E_NS1_11comp_targetILNS1_3genE0ELNS1_11target_archE4294967295ELNS1_3gpuE0ELNS1_3repE0EEENS1_47radix_sort_onesweep_sort_config_static_selectorELNS0_4arch9wavefront6targetE1EEEvSI_.has_dyn_sized_stack, 0
	.set _ZN7rocprim17ROCPRIM_400000_NS6detail17trampoline_kernelINS0_14default_configENS1_35radix_sort_onesweep_config_selectorIffEEZZNS1_29radix_sort_onesweep_iterationIS3_Lb0EN6thrust23THRUST_200600_302600_NS6detail15normal_iteratorINS8_10device_ptrIfEEEESD_SD_SD_jNS0_19identity_decomposerENS1_16block_id_wrapperIjLb1EEEEE10hipError_tT1_PNSt15iterator_traitsISI_E10value_typeET2_T3_PNSJ_ISO_E10value_typeET4_T5_PST_SU_PNS1_23onesweep_lookback_stateEbbT6_jjT7_P12ihipStream_tbENKUlT_T0_SI_SN_E_clIPfSD_S15_SD_EEDaS11_S12_SI_SN_EUlS11_E_NS1_11comp_targetILNS1_3genE0ELNS1_11target_archE4294967295ELNS1_3gpuE0ELNS1_3repE0EEENS1_47radix_sort_onesweep_sort_config_static_selectorELNS0_4arch9wavefront6targetE1EEEvSI_.has_recursion, 0
	.set _ZN7rocprim17ROCPRIM_400000_NS6detail17trampoline_kernelINS0_14default_configENS1_35radix_sort_onesweep_config_selectorIffEEZZNS1_29radix_sort_onesweep_iterationIS3_Lb0EN6thrust23THRUST_200600_302600_NS6detail15normal_iteratorINS8_10device_ptrIfEEEESD_SD_SD_jNS0_19identity_decomposerENS1_16block_id_wrapperIjLb1EEEEE10hipError_tT1_PNSt15iterator_traitsISI_E10value_typeET2_T3_PNSJ_ISO_E10value_typeET4_T5_PST_SU_PNS1_23onesweep_lookback_stateEbbT6_jjT7_P12ihipStream_tbENKUlT_T0_SI_SN_E_clIPfSD_S15_SD_EEDaS11_S12_SI_SN_EUlS11_E_NS1_11comp_targetILNS1_3genE0ELNS1_11target_archE4294967295ELNS1_3gpuE0ELNS1_3repE0EEENS1_47radix_sort_onesweep_sort_config_static_selectorELNS0_4arch9wavefront6targetE1EEEvSI_.has_indirect_call, 0
	.section	.AMDGPU.csdata,"",@progbits
; Kernel info:
; codeLenInByte = 0
; TotalNumSgprs: 6
; NumVgprs: 0
; NumAgprs: 0
; TotalNumVgprs: 0
; ScratchSize: 0
; MemoryBound: 0
; FloatMode: 240
; IeeeMode: 1
; LDSByteSize: 0 bytes/workgroup (compile time only)
; SGPRBlocks: 0
; VGPRBlocks: 0
; NumSGPRsForWavesPerEU: 6
; NumVGPRsForWavesPerEU: 1
; AccumOffset: 4
; Occupancy: 8
; WaveLimiterHint : 0
; COMPUTE_PGM_RSRC2:SCRATCH_EN: 0
; COMPUTE_PGM_RSRC2:USER_SGPR: 2
; COMPUTE_PGM_RSRC2:TRAP_HANDLER: 0
; COMPUTE_PGM_RSRC2:TGID_X_EN: 1
; COMPUTE_PGM_RSRC2:TGID_Y_EN: 0
; COMPUTE_PGM_RSRC2:TGID_Z_EN: 0
; COMPUTE_PGM_RSRC2:TIDIG_COMP_CNT: 0
; COMPUTE_PGM_RSRC3_GFX90A:ACCUM_OFFSET: 0
; COMPUTE_PGM_RSRC3_GFX90A:TG_SPLIT: 0
	.section	.text._ZN7rocprim17ROCPRIM_400000_NS6detail17trampoline_kernelINS0_14default_configENS1_35radix_sort_onesweep_config_selectorIffEEZZNS1_29radix_sort_onesweep_iterationIS3_Lb0EN6thrust23THRUST_200600_302600_NS6detail15normal_iteratorINS8_10device_ptrIfEEEESD_SD_SD_jNS0_19identity_decomposerENS1_16block_id_wrapperIjLb1EEEEE10hipError_tT1_PNSt15iterator_traitsISI_E10value_typeET2_T3_PNSJ_ISO_E10value_typeET4_T5_PST_SU_PNS1_23onesweep_lookback_stateEbbT6_jjT7_P12ihipStream_tbENKUlT_T0_SI_SN_E_clIPfSD_S15_SD_EEDaS11_S12_SI_SN_EUlS11_E_NS1_11comp_targetILNS1_3genE6ELNS1_11target_archE950ELNS1_3gpuE13ELNS1_3repE0EEENS1_47radix_sort_onesweep_sort_config_static_selectorELNS0_4arch9wavefront6targetE1EEEvSI_,"axG",@progbits,_ZN7rocprim17ROCPRIM_400000_NS6detail17trampoline_kernelINS0_14default_configENS1_35radix_sort_onesweep_config_selectorIffEEZZNS1_29radix_sort_onesweep_iterationIS3_Lb0EN6thrust23THRUST_200600_302600_NS6detail15normal_iteratorINS8_10device_ptrIfEEEESD_SD_SD_jNS0_19identity_decomposerENS1_16block_id_wrapperIjLb1EEEEE10hipError_tT1_PNSt15iterator_traitsISI_E10value_typeET2_T3_PNSJ_ISO_E10value_typeET4_T5_PST_SU_PNS1_23onesweep_lookback_stateEbbT6_jjT7_P12ihipStream_tbENKUlT_T0_SI_SN_E_clIPfSD_S15_SD_EEDaS11_S12_SI_SN_EUlS11_E_NS1_11comp_targetILNS1_3genE6ELNS1_11target_archE950ELNS1_3gpuE13ELNS1_3repE0EEENS1_47radix_sort_onesweep_sort_config_static_selectorELNS0_4arch9wavefront6targetE1EEEvSI_,comdat
	.protected	_ZN7rocprim17ROCPRIM_400000_NS6detail17trampoline_kernelINS0_14default_configENS1_35radix_sort_onesweep_config_selectorIffEEZZNS1_29radix_sort_onesweep_iterationIS3_Lb0EN6thrust23THRUST_200600_302600_NS6detail15normal_iteratorINS8_10device_ptrIfEEEESD_SD_SD_jNS0_19identity_decomposerENS1_16block_id_wrapperIjLb1EEEEE10hipError_tT1_PNSt15iterator_traitsISI_E10value_typeET2_T3_PNSJ_ISO_E10value_typeET4_T5_PST_SU_PNS1_23onesweep_lookback_stateEbbT6_jjT7_P12ihipStream_tbENKUlT_T0_SI_SN_E_clIPfSD_S15_SD_EEDaS11_S12_SI_SN_EUlS11_E_NS1_11comp_targetILNS1_3genE6ELNS1_11target_archE950ELNS1_3gpuE13ELNS1_3repE0EEENS1_47radix_sort_onesweep_sort_config_static_selectorELNS0_4arch9wavefront6targetE1EEEvSI_ ; -- Begin function _ZN7rocprim17ROCPRIM_400000_NS6detail17trampoline_kernelINS0_14default_configENS1_35radix_sort_onesweep_config_selectorIffEEZZNS1_29radix_sort_onesweep_iterationIS3_Lb0EN6thrust23THRUST_200600_302600_NS6detail15normal_iteratorINS8_10device_ptrIfEEEESD_SD_SD_jNS0_19identity_decomposerENS1_16block_id_wrapperIjLb1EEEEE10hipError_tT1_PNSt15iterator_traitsISI_E10value_typeET2_T3_PNSJ_ISO_E10value_typeET4_T5_PST_SU_PNS1_23onesweep_lookback_stateEbbT6_jjT7_P12ihipStream_tbENKUlT_T0_SI_SN_E_clIPfSD_S15_SD_EEDaS11_S12_SI_SN_EUlS11_E_NS1_11comp_targetILNS1_3genE6ELNS1_11target_archE950ELNS1_3gpuE13ELNS1_3repE0EEENS1_47radix_sort_onesweep_sort_config_static_selectorELNS0_4arch9wavefront6targetE1EEEvSI_
	.globl	_ZN7rocprim17ROCPRIM_400000_NS6detail17trampoline_kernelINS0_14default_configENS1_35radix_sort_onesweep_config_selectorIffEEZZNS1_29radix_sort_onesweep_iterationIS3_Lb0EN6thrust23THRUST_200600_302600_NS6detail15normal_iteratorINS8_10device_ptrIfEEEESD_SD_SD_jNS0_19identity_decomposerENS1_16block_id_wrapperIjLb1EEEEE10hipError_tT1_PNSt15iterator_traitsISI_E10value_typeET2_T3_PNSJ_ISO_E10value_typeET4_T5_PST_SU_PNS1_23onesweep_lookback_stateEbbT6_jjT7_P12ihipStream_tbENKUlT_T0_SI_SN_E_clIPfSD_S15_SD_EEDaS11_S12_SI_SN_EUlS11_E_NS1_11comp_targetILNS1_3genE6ELNS1_11target_archE950ELNS1_3gpuE13ELNS1_3repE0EEENS1_47radix_sort_onesweep_sort_config_static_selectorELNS0_4arch9wavefront6targetE1EEEvSI_
	.p2align	8
	.type	_ZN7rocprim17ROCPRIM_400000_NS6detail17trampoline_kernelINS0_14default_configENS1_35radix_sort_onesweep_config_selectorIffEEZZNS1_29radix_sort_onesweep_iterationIS3_Lb0EN6thrust23THRUST_200600_302600_NS6detail15normal_iteratorINS8_10device_ptrIfEEEESD_SD_SD_jNS0_19identity_decomposerENS1_16block_id_wrapperIjLb1EEEEE10hipError_tT1_PNSt15iterator_traitsISI_E10value_typeET2_T3_PNSJ_ISO_E10value_typeET4_T5_PST_SU_PNS1_23onesweep_lookback_stateEbbT6_jjT7_P12ihipStream_tbENKUlT_T0_SI_SN_E_clIPfSD_S15_SD_EEDaS11_S12_SI_SN_EUlS11_E_NS1_11comp_targetILNS1_3genE6ELNS1_11target_archE950ELNS1_3gpuE13ELNS1_3repE0EEENS1_47radix_sort_onesweep_sort_config_static_selectorELNS0_4arch9wavefront6targetE1EEEvSI_,@function
_ZN7rocprim17ROCPRIM_400000_NS6detail17trampoline_kernelINS0_14default_configENS1_35radix_sort_onesweep_config_selectorIffEEZZNS1_29radix_sort_onesweep_iterationIS3_Lb0EN6thrust23THRUST_200600_302600_NS6detail15normal_iteratorINS8_10device_ptrIfEEEESD_SD_SD_jNS0_19identity_decomposerENS1_16block_id_wrapperIjLb1EEEEE10hipError_tT1_PNSt15iterator_traitsISI_E10value_typeET2_T3_PNSJ_ISO_E10value_typeET4_T5_PST_SU_PNS1_23onesweep_lookback_stateEbbT6_jjT7_P12ihipStream_tbENKUlT_T0_SI_SN_E_clIPfSD_S15_SD_EEDaS11_S12_SI_SN_EUlS11_E_NS1_11comp_targetILNS1_3genE6ELNS1_11target_archE950ELNS1_3gpuE13ELNS1_3repE0EEENS1_47radix_sort_onesweep_sort_config_static_selectorELNS0_4arch9wavefront6targetE1EEEvSI_: ; @_ZN7rocprim17ROCPRIM_400000_NS6detail17trampoline_kernelINS0_14default_configENS1_35radix_sort_onesweep_config_selectorIffEEZZNS1_29radix_sort_onesweep_iterationIS3_Lb0EN6thrust23THRUST_200600_302600_NS6detail15normal_iteratorINS8_10device_ptrIfEEEESD_SD_SD_jNS0_19identity_decomposerENS1_16block_id_wrapperIjLb1EEEEE10hipError_tT1_PNSt15iterator_traitsISI_E10value_typeET2_T3_PNSJ_ISO_E10value_typeET4_T5_PST_SU_PNS1_23onesweep_lookback_stateEbbT6_jjT7_P12ihipStream_tbENKUlT_T0_SI_SN_E_clIPfSD_S15_SD_EEDaS11_S12_SI_SN_EUlS11_E_NS1_11comp_targetILNS1_3genE6ELNS1_11target_archE950ELNS1_3gpuE13ELNS1_3repE0EEENS1_47radix_sort_onesweep_sort_config_static_selectorELNS0_4arch9wavefront6targetE1EEEvSI_
; %bb.0:
	s_load_dwordx4 s[48:51], s[2:3], 0x28
	s_load_dwordx2 s[38:39], s[2:3], 0x38
	s_load_dwordx4 s[52:55], s[2:3], 0x44
	v_and_b32_e32 v8, 0x3ff, v0
	v_cmp_eq_u32_e64 s[20:21], 0, v8
	s_and_saveexec_b64 s[6:7], s[20:21]
	s_cbranch_execz .LBB324_4
; %bb.1:
	s_mov_b64 s[10:11], exec
	v_mbcnt_lo_u32_b32 v1, s10, 0
	v_mbcnt_hi_u32_b32 v1, s11, v1
	v_cmp_eq_u32_e32 vcc, 0, v1
                                        ; implicit-def: $vgpr2
	s_and_saveexec_b64 s[8:9], vcc
	s_cbranch_execz .LBB324_3
; %bb.2:
	s_load_dwordx2 s[12:13], s[2:3], 0x50
	s_bcnt1_i32_b64 s5, s[10:11]
	v_mov_b32_e32 v2, 0
	v_mov_b32_e32 v3, s5
	s_waitcnt lgkmcnt(0)
	global_atomic_add v2, v2, v3, s[12:13] sc0
.LBB324_3:
	s_or_b64 exec, exec, s[8:9]
	s_waitcnt vmcnt(0)
	v_readfirstlane_b32 s5, v2
	v_mov_b32_e32 v2, 0
	s_nop 0
	v_add_u32_e32 v1, s5, v1
	ds_write_b32 v2, v1 offset:20544
.LBB324_4:
	s_or_b64 exec, exec, s[6:7]
	v_mov_b32_e32 v11, 0
	s_load_dwordx8 s[40:47], s[2:3], 0x0
	s_load_dword s5, s[2:3], 0x20
	s_waitcnt lgkmcnt(0)
	s_barrier
	ds_read_b32 v1, v11 offset:20544
	v_bfe_u32 v9, v0, 10, 10
	v_bfe_u32 v18, v0, 20, 10
	s_mov_b64 s[6:7], -1
	v_mbcnt_lo_u32_b32 v20, -1, 0
	s_waitcnt lgkmcnt(0)
	v_cmp_le_u32_e32 vcc, s54, v1
	v_readfirstlane_b32 s33, v1
	v_lshlrev_b32_e32 v19, 3, v8
	s_barrier
	s_cbranch_vccz .LBB324_128
; %bb.5:
	s_lshl_b32 s6, s54, 13
	s_sub_i32 s5, s5, s6
	s_lshl_b32 s6, s33, 13
	s_mov_b32 s7, 0
	s_lshl_b64 s[54:55], s[6:7], 2
	v_mbcnt_hi_u32_b32 v21, -1, v20
	s_add_u32 s6, s40, s54
	v_and_b32_e32 v2, 63, v21
	s_addc_u32 s7, s41, s55
	v_and_b32_e32 v3, 0x1e00, v19
	v_lshlrev_b32_e32 v10, 2, v2
	v_lshl_add_u64 v[0:1], s[6:7], 0, v[10:11]
	v_lshlrev_b32_e32 v12, 2, v3
	v_mov_b32_e32 v13, v11
	v_lshl_add_u64 v[14:15], v[0:1], 0, v[12:13]
	v_or_b32_e32 v11, v2, v3
	v_bfrev_b32_e32 v0, -2
	v_cmp_gt_u32_e64 s[28:29], s5, v11
	v_mov_b32_e32 v1, v0
	v_mov_b32_e32 v2, v0
	;; [unrolled: 1-line block ×7, first 2 shown]
	s_and_saveexec_b64 s[6:7], s[28:29]
	s_cbranch_execz .LBB324_7
; %bb.6:
	global_load_dword v22, v[14:15], off
	v_mov_b32_e32 v23, v0
	v_mov_b32_e32 v24, v0
	;; [unrolled: 1-line block ×7, first 2 shown]
	s_waitcnt vmcnt(0)
	v_mov_b64_e32 v[0:1], v[22:23]
	v_mov_b64_e32 v[2:3], v[24:25]
	;; [unrolled: 1-line block ×4, first 2 shown]
.LBB324_7:
	s_or_b64 exec, exec, s[6:7]
	v_or_b32_e32 v13, 64, v11
	v_cmp_gt_u32_e64 s[6:7], s5, v13
	s_and_saveexec_b64 s[8:9], s[6:7]
	s_cbranch_execz .LBB324_9
; %bb.8:
	global_load_dword v1, v[14:15], off offset:256
.LBB324_9:
	s_or_b64 exec, exec, s[8:9]
	v_or_b32_e32 v13, 0x80, v11
	v_cmp_gt_u32_e64 s[8:9], s5, v13
	s_and_saveexec_b64 s[10:11], s[8:9]
	s_cbranch_execz .LBB324_11
; %bb.10:
	global_load_dword v2, v[14:15], off offset:512
.LBB324_11:
	;; [unrolled: 8-line block ×7, first 2 shown]
	s_or_b64 exec, exec, s[22:23]
	s_load_dword s22, s[2:3], 0x64
	s_load_dword s56, s[2:3], 0x58
	s_add_u32 s23, s2, 0x58
	s_addc_u32 s24, s3, 0
	v_mov_b32_e32 v15, 0
	s_waitcnt lgkmcnt(0)
	s_lshr_b32 s25, s22, 16
	s_cmp_lt_u32 s4, s56
	s_cselect_b32 s22, 12, 18
	s_add_u32 s22, s23, s22
	s_addc_u32 s23, s24, 0
	global_load_ushort v13, v15, s[22:23]
	v_bfrev_b32_e32 v24, 1
	v_cmp_lt_i32_e32 vcc, -1, v0
	s_brev_b32 s58, -2
	s_lshl_b32 s22, -1, s53
	v_cndmask_b32_e32 v11, -1, v24, vcc
	v_xor_b32_e32 v11, v11, v0
	v_cmp_ne_u32_e32 vcc, s58, v11
	v_mov_b32_e32 v16, v15
	v_mov_b32_e32 v28, v15
	v_cndmask_b32_e32 v0, v24, v11, vcc
	v_lshrrev_b32_e32 v0, s52, v0
	v_bitop3_b32 v0, v0, s22, v0 bitop3:0x30
	v_and_b32_e32 v14, 1, v0
	v_lshlrev_b32_e32 v17, 30, v0
	v_lshlrev_b32_e32 v27, 29, v0
	;; [unrolled: 1-line block ×3, first 2 shown]
	v_lshl_add_u64 v[36:37], v[14:15], 0, -1
	v_cmp_ne_u32_e32 vcc, 0, v14
	v_not_b32_e32 v14, v17
	v_mov_b32_e32 v26, v15
	v_mov_b32_e32 v30, v15
	s_not_b32 s57, s22
	v_lshlrev_b32_e32 v31, 27, v0
	v_cmp_gt_i64_e64 s[22:23], 0, v[16:17]
	v_not_b32_e32 v16, v27
	v_cmp_gt_i64_e64 s[26:27], 0, v[28:29]
	v_not_b32_e32 v17, v29
	v_xor_b32_e32 v29, vcc_hi, v37
	v_ashrrev_i32_e32 v14, 31, v14
	v_mov_b32_e32 v32, v15
	v_mad_u32_u24 v23, v18, s25, v9
	v_lshlrev_b32_e32 v33, 26, v0
	v_cmp_gt_i64_e64 s[24:25], 0, v[26:27]
	v_cmp_gt_i64_e64 s[30:31], 0, v[30:31]
	v_not_b32_e32 v26, v31
	v_xor_b32_e32 v30, vcc_lo, v36
	v_ashrrev_i32_e32 v16, 31, v16
	v_and_b32_e32 v29, exec_hi, v29
	v_xor_b32_e32 v31, s23, v14
	v_cmp_gt_i64_e64 s[34:35], 0, v[32:33]
	v_ashrrev_i32_e32 v17, 31, v17
	v_and_b32_e32 v30, exec_lo, v30
	v_xor_b32_e32 v14, s22, v14
	v_xor_b32_e32 v32, s25, v16
	v_and_b32_e32 v29, v29, v31
	v_mov_b32_e32 v34, v15
	v_lshlrev_b32_e32 v35, 25, v0
	v_not_b32_e32 v27, v33
	v_ashrrev_i32_e32 v26, 31, v26
	v_xor_b32_e32 v16, s24, v16
	v_xor_b32_e32 v33, s27, v17
	v_and_b32_e32 v14, v30, v14
	v_and_b32_e32 v29, v29, v32
	v_cmp_gt_i64_e64 s[36:37], 0, v[34:35]
	v_ashrrev_i32_e32 v27, 31, v27
	v_xor_b32_e32 v17, s26, v17
	v_xor_b32_e32 v34, s31, v26
	v_and_b32_e32 v14, v14, v16
	v_and_b32_e32 v16, v29, v33
	v_not_b32_e32 v28, v35
	v_xor_b32_e32 v26, s30, v26
	v_xor_b32_e32 v35, s35, v27
	v_and_b32_e32 v14, v14, v17
	v_and_b32_e32 v16, v16, v34
	v_ashrrev_i32_e32 v28, 31, v28
	v_xor_b32_e32 v27, s34, v27
	v_and_b32_e32 v14, v14, v26
	v_and_b32_e32 v26, v16, v35
	s_movk_i32 s59, 0x44
	v_and_b32_e32 v14, v14, v27
	v_mul_lo_u32 v25, v0, s59
	v_mul_u32_u24_e32 v22, 20, v8
	ds_write2_b32 v22, v15, v15 offset0:16 offset1:17
	ds_write2_b32 v22, v15, v15 offset0:18 offset1:19
	ds_write_b32 v22, v15 offset:80
	s_waitcnt lgkmcnt(0)
	s_barrier
	s_waitcnt vmcnt(0)
	; wave barrier
	v_mad_u64_u32 v[16:17], s[22:23], v23, v13, v[8:9]
	v_lshrrev_b32_e32 v13, 4, v16
	v_xor_b32_e32 v16, s36, v28
	v_lshlrev_b32_e32 v17, 24, v0
	v_and_b32_e32 v14, v14, v16
	v_mov_b32_e32 v16, v15
	v_not_b32_e32 v0, v17
	v_and_b32_e32 v34, 0xffffffc, v13
	v_xor_b32_e32 v13, s37, v28
	v_cmp_gt_i64_e32 vcc, 0, v[16:17]
	v_ashrrev_i32_e32 v0, 31, v0
	v_and_b32_e32 v13, v26, v13
	v_xor_b32_e32 v16, vcc_hi, v0
	v_xor_b32_e32 v0, vcc_lo, v0
	v_and_b32_e32 v17, v13, v16
	v_and_b32_e32 v16, v14, v0
	v_mbcnt_lo_u32_b32 v0, v16, 0
	v_mbcnt_hi_u32_b32 v23, v17, v0
	v_cmp_eq_u32_e32 vcc, 0, v23
	v_cmp_ne_u64_e64 s[22:23], 0, v[16:17]
	s_and_b64 s[24:25], s[22:23], vcc
	v_add_u32_e32 v26, v34, v25
	s_and_saveexec_b64 s[22:23], s[24:25]
; %bb.22:
	v_bcnt_u32_b32 v0, v16, 0
	v_bcnt_u32_b32 v0, v17, v0
	ds_write_b32 v26, v0 offset:64
; %bb.23:
	s_or_b64 exec, exec, s[22:23]
	v_cmp_lt_i32_e32 vcc, -1, v1
	; wave barrier
	s_nop 1
	v_cndmask_b32_e32 v0, -1, v24, vcc
	v_xor_b32_e32 v13, v0, v1
	v_cmp_ne_u32_e32 vcc, s58, v13
	s_nop 1
	v_cndmask_b32_e32 v0, v24, v13, vcc
	v_lshrrev_b32_e32 v0, s52, v0
	v_and_b32_e32 v16, s57, v0
	v_mul_lo_u32 v0, v16, s59
	v_and_b32_e32 v14, 1, v16
	v_add_u32_e32 v28, v34, v0
	v_lshl_add_u64 v[0:1], v[14:15], 0, -1
	v_cmp_ne_u32_e32 vcc, 0, v14
	ds_read_b32 v17, v28 offset:64
	s_nop 0
	v_xor_b32_e32 v1, vcc_hi, v1
	v_xor_b32_e32 v0, vcc_lo, v0
	v_and_b32_e32 v14, exec_hi, v1
	v_and_b32_e32 v24, exec_lo, v0
	v_lshlrev_b32_e32 v1, 30, v16
	v_mov_b32_e32 v0, v15
	v_cmp_gt_i64_e32 vcc, 0, v[0:1]
	v_not_b32_e32 v0, v1
	v_ashrrev_i32_e32 v0, 31, v0
	v_xor_b32_e32 v1, vcc_hi, v0
	v_xor_b32_e32 v0, vcc_lo, v0
	v_and_b32_e32 v14, v14, v1
	v_and_b32_e32 v24, v24, v0
	v_lshlrev_b32_e32 v1, 29, v16
	v_mov_b32_e32 v0, v15
	v_cmp_gt_i64_e32 vcc, 0, v[0:1]
	v_not_b32_e32 v0, v1
	v_ashrrev_i32_e32 v0, 31, v0
	v_xor_b32_e32 v1, vcc_hi, v0
	v_xor_b32_e32 v0, vcc_lo, v0
	v_and_b32_e32 v14, v14, v1
	v_and_b32_e32 v24, v24, v0
	;; [unrolled: 9-line block ×7, first 2 shown]
	v_mbcnt_lo_u32_b32 v14, v0, 0
	v_mbcnt_hi_u32_b32 v24, v1, v14
	v_cmp_eq_u32_e32 vcc, 0, v24
	v_cmp_ne_u64_e64 s[22:23], 0, v[0:1]
	s_and_b64 s[24:25], s[22:23], vcc
	; wave barrier
	s_and_saveexec_b64 s[22:23], s[24:25]
	s_cbranch_execz .LBB324_25
; %bb.24:
	v_bcnt_u32_b32 v0, v0, 0
	v_bcnt_u32_b32 v0, v1, v0
	s_waitcnt lgkmcnt(0)
	v_add_u32_e32 v0, v17, v0
	ds_write_b32 v28, v0 offset:64
.LBB324_25:
	s_or_b64 exec, exec, s[22:23]
	v_bfrev_b32_e32 v27, 1
	v_cmp_lt_i32_e32 vcc, -1, v2
	s_brev_b32 s24, -2
	s_movk_i32 s25, 0x44
	v_cndmask_b32_e32 v0, -1, v27, vcc
	v_xor_b32_e32 v16, v0, v2
	v_cmp_ne_u32_e32 vcc, s24, v16
	v_mov_b32_e32 v1, 0
	s_nop 0
	v_cndmask_b32_e32 v0, v27, v16, vcc
	v_lshrrev_b32_e32 v0, s52, v0
	v_and_b32_e32 v2, s57, v0
	v_mul_lo_u32 v0, v2, s25
	v_add_u32_e32 v32, v34, v0
	v_and_b32_e32 v0, 1, v2
	v_lshl_add_u64 v[14:15], v[0:1], 0, -1
	v_cmp_ne_u32_e32 vcc, 0, v0
	; wave barrier
	ds_read_b32 v25, v32 offset:64
	s_nop 0
	v_xor_b32_e32 v14, vcc_lo, v14
	v_xor_b32_e32 v0, vcc_hi, v15
	v_and_b32_e32 v29, exec_lo, v14
	v_lshlrev_b32_e32 v15, 30, v2
	v_mov_b32_e32 v14, v1
	v_cmp_gt_i64_e32 vcc, 0, v[14:15]
	v_not_b32_e32 v14, v15
	v_ashrrev_i32_e32 v14, 31, v14
	v_and_b32_e32 v0, exec_hi, v0
	v_xor_b32_e32 v15, vcc_hi, v14
	v_xor_b32_e32 v14, vcc_lo, v14
	v_and_b32_e32 v0, v0, v15
	v_and_b32_e32 v29, v29, v14
	v_lshlrev_b32_e32 v15, 29, v2
	v_mov_b32_e32 v14, v1
	v_cmp_gt_i64_e32 vcc, 0, v[14:15]
	v_not_b32_e32 v14, v15
	v_ashrrev_i32_e32 v14, 31, v14
	v_xor_b32_e32 v15, vcc_hi, v14
	v_xor_b32_e32 v14, vcc_lo, v14
	v_and_b32_e32 v0, v0, v15
	v_and_b32_e32 v29, v29, v14
	v_lshlrev_b32_e32 v15, 28, v2
	v_mov_b32_e32 v14, v1
	v_cmp_gt_i64_e32 vcc, 0, v[14:15]
	v_not_b32_e32 v14, v15
	v_ashrrev_i32_e32 v14, 31, v14
	;; [unrolled: 9-line block ×5, first 2 shown]
	v_xor_b32_e32 v15, vcc_hi, v14
	v_xor_b32_e32 v14, vcc_lo, v14
	v_and_b32_e32 v0, v0, v15
	v_lshlrev_b32_e32 v15, 24, v2
	v_and_b32_e32 v29, v29, v14
	v_mov_b32_e32 v14, v1
	v_not_b32_e32 v2, v15
	v_cmp_gt_i64_e32 vcc, 0, v[14:15]
	v_ashrrev_i32_e32 v2, 31, v2
	s_nop 0
	v_xor_b32_e32 v14, vcc_hi, v2
	v_xor_b32_e32 v2, vcc_lo, v2
	v_and_b32_e32 v15, v0, v14
	v_and_b32_e32 v14, v29, v2
	v_mbcnt_lo_u32_b32 v0, v14, 0
	v_mbcnt_hi_u32_b32 v29, v15, v0
	v_cmp_eq_u32_e32 vcc, 0, v29
	v_cmp_ne_u64_e64 s[22:23], 0, v[14:15]
	s_and_b64 s[26:27], s[22:23], vcc
	; wave barrier
	s_and_saveexec_b64 s[22:23], s[26:27]
	s_cbranch_execz .LBB324_27
; %bb.26:
	v_bcnt_u32_b32 v0, v14, 0
	v_bcnt_u32_b32 v0, v15, v0
	s_waitcnt lgkmcnt(0)
	v_add_u32_e32 v0, v25, v0
	ds_write_b32 v32, v0 offset:64
.LBB324_27:
	s_or_b64 exec, exec, s[22:23]
	v_cmp_lt_i32_e32 vcc, -1, v3
	; wave barrier
	s_nop 1
	v_cndmask_b32_e32 v0, -1, v27, vcc
	v_xor_b32_e32 v14, v0, v3
	v_cmp_ne_u32_e32 vcc, s24, v14
	s_nop 1
	v_cndmask_b32_e32 v0, v27, v14, vcc
	v_lshrrev_b32_e32 v0, s52, v0
	v_and_b32_e32 v15, s57, v0
	v_mul_lo_u32 v0, v15, s25
	v_add_u32_e32 v37, v34, v0
	v_and_b32_e32 v0, 1, v15
	v_lshl_add_u64 v[2:3], v[0:1], 0, -1
	v_cmp_ne_u32_e32 vcc, 0, v0
	ds_read_b32 v30, v37 offset:64
	s_nop 0
	v_xor_b32_e32 v2, vcc_lo, v2
	v_xor_b32_e32 v0, vcc_hi, v3
	v_and_b32_e32 v27, exec_lo, v2
	v_lshlrev_b32_e32 v3, 30, v15
	v_mov_b32_e32 v2, v1
	v_cmp_gt_i64_e32 vcc, 0, v[2:3]
	v_not_b32_e32 v2, v3
	v_ashrrev_i32_e32 v2, 31, v2
	v_and_b32_e32 v0, exec_hi, v0
	v_xor_b32_e32 v3, vcc_hi, v2
	v_xor_b32_e32 v2, vcc_lo, v2
	v_and_b32_e32 v0, v0, v3
	v_and_b32_e32 v27, v27, v2
	v_lshlrev_b32_e32 v3, 29, v15
	v_mov_b32_e32 v2, v1
	v_cmp_gt_i64_e32 vcc, 0, v[2:3]
	v_not_b32_e32 v2, v3
	v_ashrrev_i32_e32 v2, 31, v2
	v_xor_b32_e32 v3, vcc_hi, v2
	v_xor_b32_e32 v2, vcc_lo, v2
	v_and_b32_e32 v0, v0, v3
	v_and_b32_e32 v27, v27, v2
	v_lshlrev_b32_e32 v3, 28, v15
	v_mov_b32_e32 v2, v1
	v_cmp_gt_i64_e32 vcc, 0, v[2:3]
	v_not_b32_e32 v2, v3
	v_ashrrev_i32_e32 v2, 31, v2
	;; [unrolled: 9-line block ×5, first 2 shown]
	v_xor_b32_e32 v3, vcc_hi, v2
	v_xor_b32_e32 v2, vcc_lo, v2
	v_and_b32_e32 v0, v0, v3
	v_lshlrev_b32_e32 v3, 24, v15
	v_and_b32_e32 v27, v27, v2
	v_mov_b32_e32 v2, v1
	v_not_b32_e32 v1, v3
	v_cmp_gt_i64_e32 vcc, 0, v[2:3]
	v_ashrrev_i32_e32 v1, 31, v1
	; wave barrier
	s_nop 0
	v_xor_b32_e32 v2, vcc_hi, v1
	v_xor_b32_e32 v3, vcc_lo, v1
	v_and_b32_e32 v1, v0, v2
	v_and_b32_e32 v0, v27, v3
	v_mbcnt_lo_u32_b32 v2, v0, 0
	v_mbcnt_hi_u32_b32 v33, v1, v2
	v_cmp_eq_u32_e32 vcc, 0, v33
	v_cmp_ne_u64_e64 s[22:23], 0, v[0:1]
	s_and_b64 s[24:25], s[22:23], vcc
	s_and_saveexec_b64 s[22:23], s[24:25]
	s_cbranch_execz .LBB324_29
; %bb.28:
	v_bcnt_u32_b32 v0, v0, 0
	v_bcnt_u32_b32 v0, v1, v0
	s_waitcnt lgkmcnt(0)
	v_add_u32_e32 v0, v30, v0
	ds_write_b32 v37, v0 offset:64
.LBB324_29:
	s_or_b64 exec, exec, s[22:23]
	v_bfrev_b32_e32 v31, 1
	v_cmp_lt_i32_e32 vcc, -1, v4
	s_brev_b32 s24, -2
	s_movk_i32 s25, 0x44
	v_cndmask_b32_e32 v0, -1, v31, vcc
	v_xor_b32_e32 v15, v0, v4
	v_cmp_ne_u32_e32 vcc, s24, v15
	v_mov_b32_e32 v1, 0
	s_nop 0
	v_cndmask_b32_e32 v0, v31, v15, vcc
	v_lshrrev_b32_e32 v0, s52, v0
	v_and_b32_e32 v27, s57, v0
	v_mul_lo_u32 v0, v27, s25
	v_add_u32_e32 v4, v34, v0
	v_and_b32_e32 v0, 1, v27
	v_lshl_add_u64 v[2:3], v[0:1], 0, -1
	v_cmp_ne_u32_e32 vcc, 0, v0
	; wave barrier
	ds_read_b32 v35, v4 offset:64
	s_nop 0
	v_xor_b32_e32 v2, vcc_lo, v2
	v_xor_b32_e32 v0, vcc_hi, v3
	v_and_b32_e32 v36, exec_lo, v2
	v_lshlrev_b32_e32 v3, 30, v27
	v_mov_b32_e32 v2, v1
	v_cmp_gt_i64_e32 vcc, 0, v[2:3]
	v_not_b32_e32 v2, v3
	v_ashrrev_i32_e32 v2, 31, v2
	v_and_b32_e32 v0, exec_hi, v0
	v_xor_b32_e32 v3, vcc_hi, v2
	v_xor_b32_e32 v2, vcc_lo, v2
	v_and_b32_e32 v0, v0, v3
	v_and_b32_e32 v36, v36, v2
	v_lshlrev_b32_e32 v3, 29, v27
	v_mov_b32_e32 v2, v1
	v_cmp_gt_i64_e32 vcc, 0, v[2:3]
	v_not_b32_e32 v2, v3
	v_ashrrev_i32_e32 v2, 31, v2
	v_xor_b32_e32 v3, vcc_hi, v2
	v_xor_b32_e32 v2, vcc_lo, v2
	v_and_b32_e32 v0, v0, v3
	v_and_b32_e32 v36, v36, v2
	v_lshlrev_b32_e32 v3, 28, v27
	v_mov_b32_e32 v2, v1
	v_cmp_gt_i64_e32 vcc, 0, v[2:3]
	v_not_b32_e32 v2, v3
	v_ashrrev_i32_e32 v2, 31, v2
	;; [unrolled: 9-line block ×6, first 2 shown]
	v_xor_b32_e32 v3, vcc_hi, v2
	v_xor_b32_e32 v2, vcc_lo, v2
	v_and_b32_e32 v2, v36, v2
	v_and_b32_e32 v3, v0, v3
	v_mbcnt_lo_u32_b32 v0, v2, 0
	v_mbcnt_hi_u32_b32 v38, v3, v0
	v_cmp_eq_u32_e32 vcc, 0, v38
	v_cmp_ne_u64_e64 s[22:23], 0, v[2:3]
	s_and_b64 s[26:27], s[22:23], vcc
	; wave barrier
	s_and_saveexec_b64 s[22:23], s[26:27]
	s_cbranch_execz .LBB324_31
; %bb.30:
	v_bcnt_u32_b32 v0, v2, 0
	v_bcnt_u32_b32 v0, v3, v0
	s_waitcnt lgkmcnt(0)
	v_add_u32_e32 v0, v35, v0
	ds_write_b32 v4, v0 offset:64
.LBB324_31:
	s_or_b64 exec, exec, s[22:23]
	v_cmp_lt_i32_e32 vcc, -1, v5
	; wave barrier
	s_nop 1
	v_cndmask_b32_e32 v0, -1, v31, vcc
	v_xor_b32_e32 v27, v0, v5
	v_cmp_ne_u32_e32 vcc, s24, v27
	s_nop 1
	v_cndmask_b32_e32 v0, v31, v27, vcc
	v_lshrrev_b32_e32 v0, s52, v0
	v_and_b32_e32 v31, s57, v0
	v_mul_lo_u32 v0, v31, s25
	v_add_u32_e32 v5, v34, v0
	v_and_b32_e32 v0, 1, v31
	v_lshl_add_u64 v[2:3], v[0:1], 0, -1
	v_cmp_ne_u32_e32 vcc, 0, v0
	ds_read_b32 v39, v5 offset:64
	s_nop 0
	v_xor_b32_e32 v2, vcc_lo, v2
	v_xor_b32_e32 v0, vcc_hi, v3
	v_and_b32_e32 v36, exec_lo, v2
	v_lshlrev_b32_e32 v3, 30, v31
	v_mov_b32_e32 v2, v1
	v_cmp_gt_i64_e32 vcc, 0, v[2:3]
	v_not_b32_e32 v2, v3
	v_ashrrev_i32_e32 v2, 31, v2
	v_and_b32_e32 v0, exec_hi, v0
	v_xor_b32_e32 v3, vcc_hi, v2
	v_xor_b32_e32 v2, vcc_lo, v2
	v_and_b32_e32 v0, v0, v3
	v_and_b32_e32 v36, v36, v2
	v_lshlrev_b32_e32 v3, 29, v31
	v_mov_b32_e32 v2, v1
	v_cmp_gt_i64_e32 vcc, 0, v[2:3]
	v_not_b32_e32 v2, v3
	v_ashrrev_i32_e32 v2, 31, v2
	v_xor_b32_e32 v3, vcc_hi, v2
	v_xor_b32_e32 v2, vcc_lo, v2
	v_and_b32_e32 v0, v0, v3
	v_and_b32_e32 v36, v36, v2
	v_lshlrev_b32_e32 v3, 28, v31
	v_mov_b32_e32 v2, v1
	v_cmp_gt_i64_e32 vcc, 0, v[2:3]
	v_not_b32_e32 v2, v3
	v_ashrrev_i32_e32 v2, 31, v2
	v_xor_b32_e32 v3, vcc_hi, v2
	v_xor_b32_e32 v2, vcc_lo, v2
	v_and_b32_e32 v0, v0, v3
	v_and_b32_e32 v36, v36, v2
	v_lshlrev_b32_e32 v3, 27, v31
	v_mov_b32_e32 v2, v1
	v_cmp_gt_i64_e32 vcc, 0, v[2:3]
	v_not_b32_e32 v2, v3
	v_ashrrev_i32_e32 v2, 31, v2
	v_xor_b32_e32 v3, vcc_hi, v2
	v_xor_b32_e32 v2, vcc_lo, v2
	v_and_b32_e32 v0, v0, v3
	v_and_b32_e32 v36, v36, v2
	v_lshlrev_b32_e32 v3, 26, v31
	v_mov_b32_e32 v2, v1
	v_cmp_gt_i64_e32 vcc, 0, v[2:3]
	v_not_b32_e32 v2, v3
	v_ashrrev_i32_e32 v2, 31, v2
	v_xor_b32_e32 v3, vcc_hi, v2
	v_xor_b32_e32 v2, vcc_lo, v2
	v_and_b32_e32 v0, v0, v3
	v_and_b32_e32 v36, v36, v2
	v_lshlrev_b32_e32 v3, 25, v31
	v_mov_b32_e32 v2, v1
	v_cmp_gt_i64_e32 vcc, 0, v[2:3]
	v_not_b32_e32 v2, v3
	v_ashrrev_i32_e32 v2, 31, v2
	v_xor_b32_e32 v3, vcc_hi, v2
	v_xor_b32_e32 v2, vcc_lo, v2
	v_and_b32_e32 v0, v0, v3
	v_lshlrev_b32_e32 v3, 24, v31
	v_and_b32_e32 v36, v36, v2
	v_mov_b32_e32 v2, v1
	v_not_b32_e32 v1, v3
	v_cmp_gt_i64_e32 vcc, 0, v[2:3]
	v_ashrrev_i32_e32 v1, 31, v1
	; wave barrier
	s_nop 0
	v_xor_b32_e32 v2, vcc_hi, v1
	v_xor_b32_e32 v3, vcc_lo, v1
	v_and_b32_e32 v1, v0, v2
	v_and_b32_e32 v0, v36, v3
	v_mbcnt_lo_u32_b32 v2, v0, 0
	v_mbcnt_hi_u32_b32 v40, v1, v2
	v_cmp_eq_u32_e32 vcc, 0, v40
	v_cmp_ne_u64_e64 s[22:23], 0, v[0:1]
	s_and_b64 s[24:25], s[22:23], vcc
	s_and_saveexec_b64 s[22:23], s[24:25]
	s_cbranch_execz .LBB324_33
; %bb.32:
	v_bcnt_u32_b32 v0, v0, 0
	v_bcnt_u32_b32 v0, v1, v0
	s_waitcnt lgkmcnt(0)
	v_add_u32_e32 v0, v39, v0
	ds_write_b32 v5, v0 offset:64
.LBB324_33:
	s_or_b64 exec, exec, s[22:23]
	v_bfrev_b32_e32 v43, 1
	v_cmp_lt_i32_e32 vcc, -1, v6
	s_brev_b32 s24, -2
	s_movk_i32 s25, 0x44
	v_cndmask_b32_e32 v0, -1, v43, vcc
	v_xor_b32_e32 v31, v0, v6
	v_cmp_ne_u32_e32 vcc, s24, v31
	v_mov_b32_e32 v1, 0
	s_nop 0
	v_cndmask_b32_e32 v0, v43, v31, vcc
	v_lshrrev_b32_e32 v0, s52, v0
	v_and_b32_e32 v36, s57, v0
	v_mul_lo_u32 v0, v36, s25
	v_add_u32_e32 v6, v34, v0
	v_and_b32_e32 v0, 1, v36
	v_lshl_add_u64 v[2:3], v[0:1], 0, -1
	v_cmp_ne_u32_e32 vcc, 0, v0
	; wave barrier
	ds_read_b32 v41, v6 offset:64
	s_nop 0
	v_xor_b32_e32 v2, vcc_lo, v2
	v_xor_b32_e32 v0, vcc_hi, v3
	v_and_b32_e32 v42, exec_lo, v2
	v_lshlrev_b32_e32 v3, 30, v36
	v_mov_b32_e32 v2, v1
	v_cmp_gt_i64_e32 vcc, 0, v[2:3]
	v_not_b32_e32 v2, v3
	v_ashrrev_i32_e32 v2, 31, v2
	v_and_b32_e32 v0, exec_hi, v0
	v_xor_b32_e32 v3, vcc_hi, v2
	v_xor_b32_e32 v2, vcc_lo, v2
	v_and_b32_e32 v0, v0, v3
	v_and_b32_e32 v42, v42, v2
	v_lshlrev_b32_e32 v3, 29, v36
	v_mov_b32_e32 v2, v1
	v_cmp_gt_i64_e32 vcc, 0, v[2:3]
	v_not_b32_e32 v2, v3
	v_ashrrev_i32_e32 v2, 31, v2
	v_xor_b32_e32 v3, vcc_hi, v2
	v_xor_b32_e32 v2, vcc_lo, v2
	v_and_b32_e32 v0, v0, v3
	v_and_b32_e32 v42, v42, v2
	v_lshlrev_b32_e32 v3, 28, v36
	v_mov_b32_e32 v2, v1
	v_cmp_gt_i64_e32 vcc, 0, v[2:3]
	v_not_b32_e32 v2, v3
	v_ashrrev_i32_e32 v2, 31, v2
	;; [unrolled: 9-line block ×6, first 2 shown]
	v_xor_b32_e32 v3, vcc_hi, v2
	v_xor_b32_e32 v2, vcc_lo, v2
	v_and_b32_e32 v2, v42, v2
	v_and_b32_e32 v3, v0, v3
	v_mbcnt_lo_u32_b32 v0, v2, 0
	v_mbcnt_hi_u32_b32 v42, v3, v0
	v_cmp_eq_u32_e32 vcc, 0, v42
	v_cmp_ne_u64_e64 s[22:23], 0, v[2:3]
	s_and_b64 s[26:27], s[22:23], vcc
	; wave barrier
	s_and_saveexec_b64 s[22:23], s[26:27]
	s_cbranch_execz .LBB324_35
; %bb.34:
	v_bcnt_u32_b32 v0, v2, 0
	v_bcnt_u32_b32 v0, v3, v0
	s_waitcnt lgkmcnt(0)
	v_add_u32_e32 v0, v41, v0
	ds_write_b32 v6, v0 offset:64
.LBB324_35:
	s_or_b64 exec, exec, s[22:23]
	v_cmp_lt_i32_e32 vcc, -1, v7
	; wave barrier
	s_nop 1
	v_cndmask_b32_e32 v0, -1, v43, vcc
	v_xor_b32_e32 v36, v0, v7
	v_cmp_ne_u32_e32 vcc, s24, v36
	s_nop 1
	v_cndmask_b32_e32 v0, v43, v36, vcc
	v_lshrrev_b32_e32 v0, s52, v0
	v_and_b32_e32 v43, s57, v0
	v_mul_lo_u32 v0, v43, s25
	v_add_u32_e32 v7, v34, v0
	v_and_b32_e32 v0, 1, v43
	v_lshl_add_u64 v[2:3], v[0:1], 0, -1
	v_cmp_ne_u32_e32 vcc, 0, v0
	ds_read_b32 v34, v7 offset:64
	s_nop 0
	v_xor_b32_e32 v2, vcc_lo, v2
	v_xor_b32_e32 v0, vcc_hi, v3
	v_and_b32_e32 v44, exec_lo, v2
	v_lshlrev_b32_e32 v3, 30, v43
	v_mov_b32_e32 v2, v1
	v_cmp_gt_i64_e32 vcc, 0, v[2:3]
	v_not_b32_e32 v2, v3
	v_ashrrev_i32_e32 v2, 31, v2
	v_and_b32_e32 v0, exec_hi, v0
	v_xor_b32_e32 v3, vcc_hi, v2
	v_xor_b32_e32 v2, vcc_lo, v2
	v_and_b32_e32 v0, v0, v3
	v_and_b32_e32 v44, v44, v2
	v_lshlrev_b32_e32 v3, 29, v43
	v_mov_b32_e32 v2, v1
	v_cmp_gt_i64_e32 vcc, 0, v[2:3]
	v_not_b32_e32 v2, v3
	v_ashrrev_i32_e32 v2, 31, v2
	v_xor_b32_e32 v3, vcc_hi, v2
	v_xor_b32_e32 v2, vcc_lo, v2
	v_and_b32_e32 v0, v0, v3
	v_and_b32_e32 v44, v44, v2
	v_lshlrev_b32_e32 v3, 28, v43
	v_mov_b32_e32 v2, v1
	v_cmp_gt_i64_e32 vcc, 0, v[2:3]
	v_not_b32_e32 v2, v3
	v_ashrrev_i32_e32 v2, 31, v2
	;; [unrolled: 9-line block ×5, first 2 shown]
	v_xor_b32_e32 v3, vcc_hi, v2
	v_xor_b32_e32 v2, vcc_lo, v2
	v_and_b32_e32 v0, v0, v3
	v_lshlrev_b32_e32 v3, 24, v43
	v_and_b32_e32 v44, v44, v2
	v_mov_b32_e32 v2, v1
	v_not_b32_e32 v1, v3
	v_cmp_gt_i64_e32 vcc, 0, v[2:3]
	v_ashrrev_i32_e32 v1, 31, v1
	; wave barrier
	s_nop 0
	v_xor_b32_e32 v2, vcc_hi, v1
	v_xor_b32_e32 v3, vcc_lo, v1
	v_and_b32_e32 v1, v0, v2
	v_and_b32_e32 v0, v44, v3
	v_mbcnt_lo_u32_b32 v2, v0, 0
	v_mbcnt_hi_u32_b32 v43, v1, v2
	v_cmp_eq_u32_e32 vcc, 0, v43
	v_cmp_ne_u64_e64 s[22:23], 0, v[0:1]
	s_and_b64 s[24:25], s[22:23], vcc
	s_and_saveexec_b64 s[22:23], s[24:25]
	s_cbranch_execz .LBB324_37
; %bb.36:
	v_bcnt_u32_b32 v0, v0, 0
	v_bcnt_u32_b32 v0, v1, v0
	s_waitcnt lgkmcnt(0)
	v_add_u32_e32 v0, v34, v0
	ds_write_b32 v7, v0 offset:64
.LBB324_37:
	s_or_b64 exec, exec, s[22:23]
	; wave barrier
	s_waitcnt lgkmcnt(0)
	s_barrier
	ds_read2_b32 v[2:3], v22 offset0:16 offset1:17
	ds_read2_b32 v[0:1], v22 offset0:18 offset1:19
	ds_read_b32 v44, v22 offset:80
	v_cmp_lt_u32_e64 s[30:31], 31, v21
	s_waitcnt lgkmcnt(1)
	v_add3_u32 v45, v3, v2, v0
	s_waitcnt lgkmcnt(0)
	v_add3_u32 v44, v45, v1, v44
	v_and_b32_e32 v45, 15, v21
	v_cmp_eq_u32_e32 vcc, 0, v45
	v_mov_b32_dpp v46, v44 row_shr:1 row_mask:0xf bank_mask:0xf
	v_cmp_lt_u32_e64 s[22:23], 1, v45
	v_cndmask_b32_e64 v46, v46, 0, vcc
	v_add_u32_e32 v44, v46, v44
	v_cmp_lt_u32_e64 s[24:25], 3, v45
	v_cmp_lt_u32_e64 s[26:27], 7, v45
	v_mov_b32_dpp v46, v44 row_shr:2 row_mask:0xf bank_mask:0xf
	v_cndmask_b32_e64 v46, 0, v46, s[22:23]
	v_add_u32_e32 v44, v44, v46
	s_nop 1
	v_mov_b32_dpp v46, v44 row_shr:4 row_mask:0xf bank_mask:0xf
	v_cndmask_b32_e64 v46, 0, v46, s[24:25]
	v_add_u32_e32 v44, v44, v46
	s_nop 1
	v_mov_b32_dpp v46, v44 row_shr:8 row_mask:0xf bank_mask:0xf
	v_cndmask_b32_e64 v45, 0, v46, s[26:27]
	v_add_u32_e32 v44, v44, v45
	v_bfe_i32 v46, v21, 4, 1
	s_nop 0
	v_mov_b32_dpp v45, v44 row_bcast:15 row_mask:0xf bank_mask:0xf
	v_and_b32_e32 v45, v46, v45
	v_add_u32_e32 v44, v44, v45
	v_and_b32_e32 v46, 63, v8
	s_nop 0
	v_mov_b32_dpp v45, v44 row_bcast:31 row_mask:0xf bank_mask:0xf
	v_cndmask_b32_e64 v45, 0, v45, s[30:31]
	v_add_u32_e32 v44, v44, v45
	v_lshrrev_b32_e32 v45, 6, v8
	v_cmp_eq_u32_e64 s[30:31], 63, v46
	s_and_saveexec_b64 s[34:35], s[30:31]
; %bb.38:
	v_lshlrev_b32_e32 v46, 2, v45
	ds_write_b32 v46, v44
; %bb.39:
	s_or_b64 exec, exec, s[34:35]
	v_cmp_gt_u32_e64 s[30:31], 16, v8
	s_waitcnt lgkmcnt(0)
	s_barrier
	s_and_saveexec_b64 s[34:35], s[30:31]
	s_cbranch_execz .LBB324_41
; %bb.40:
	v_lshlrev_b32_e32 v46, 2, v8
	ds_read_b32 v47, v46
	s_waitcnt lgkmcnt(0)
	s_nop 0
	v_mov_b32_dpp v48, v47 row_shr:1 row_mask:0xf bank_mask:0xf
	v_cndmask_b32_e64 v48, v48, 0, vcc
	v_add_u32_e32 v47, v48, v47
	s_nop 1
	v_mov_b32_dpp v48, v47 row_shr:2 row_mask:0xf bank_mask:0xf
	v_cndmask_b32_e64 v48, 0, v48, s[22:23]
	v_add_u32_e32 v47, v47, v48
	s_nop 1
	v_mov_b32_dpp v48, v47 row_shr:4 row_mask:0xf bank_mask:0xf
	v_cndmask_b32_e64 v48, 0, v48, s[24:25]
	v_add_u32_e32 v47, v47, v48
	s_nop 1
	v_mov_b32_dpp v48, v47 row_shr:8 row_mask:0xf bank_mask:0xf
	v_cndmask_b32_e64 v48, 0, v48, s[26:27]
	v_add_u32_e32 v47, v47, v48
	ds_write_b32 v46, v47
.LBB324_41:
	s_or_b64 exec, exec, s[34:35]
	v_cmp_lt_u32_e32 vcc, 63, v8
	v_mov_b32_e32 v46, 0
	s_waitcnt lgkmcnt(0)
	s_barrier
	s_and_saveexec_b64 s[22:23], vcc
; %bb.42:
	v_lshl_add_u32 v45, v45, 2, -4
	ds_read_b32 v46, v45
; %bb.43:
	s_or_b64 exec, exec, s[22:23]
	v_subrev_co_u32_e32 v45, vcc, 1, v21
	v_and_b32_e32 v47, 64, v21
	v_cmp_lt_i32_e64 s[22:23], v45, v47
	s_waitcnt lgkmcnt(0)
	v_add_u32_e32 v44, v46, v44
	s_movk_i32 s24, 0x100
	v_cndmask_b32_e64 v21, v45, v21, s[22:23]
	v_lshlrev_b32_e32 v21, 2, v21
	ds_bpermute_b32 v21, v21, v44
	s_movk_i32 s22, 0xff
	v_cmp_lt_u32_e64 s[22:23], s22, v8
	s_waitcnt lgkmcnt(0)
	v_cndmask_b32_e32 v21, v21, v46, vcc
	v_cndmask_b32_e64 v21, v21, 0, s[20:21]
	v_add_u32_e32 v2, v21, v2
	v_add_u32_e32 v3, v2, v3
	;; [unrolled: 1-line block ×4, first 2 shown]
	ds_write2_b32 v22, v21, v2 offset0:16 offset1:17
	ds_write2_b32 v22, v3, v0 offset0:18 offset1:19
	ds_write_b32 v22, v1 offset:80
	s_waitcnt lgkmcnt(0)
	s_barrier
	ds_read_b32 v44, v26 offset:64
	ds_read_b32 v45, v28 offset:64
	;; [unrolled: 1-line block ×8, first 2 shown]
	v_cmp_gt_u32_e32 vcc, s24, v8
                                        ; implicit-def: $vgpr6
                                        ; implicit-def: $vgpr7
	s_and_saveexec_b64 s[26:27], vcc
	s_cbranch_execz .LBB324_47
; %bb.44:
	v_mul_u32_u24_e32 v0, 0x44, v8
	ds_read_b32 v6, v0 offset:64
	v_add_u32_e32 v1, 1, v8
	v_cmp_ne_u32_e64 s[24:25], s24, v1
	v_mov_b32_e32 v0, 0x2000
	s_and_saveexec_b64 s[30:31], s[24:25]
; %bb.45:
	v_mul_u32_u24_e32 v0, 0x44, v1
	ds_read_b32 v0, v0 offset:64
; %bb.46:
	s_or_b64 exec, exec, s[30:31]
	s_waitcnt lgkmcnt(0)
	v_sub_u32_e32 v7, v0, v6
.LBB324_47:
	s_or_b64 exec, exec, s[26:27]
	v_mov_b32_e32 v1, 0
	v_lshlrev_b32_e32 v21, 2, v8
	s_waitcnt lgkmcnt(0)
	s_barrier
	s_and_saveexec_b64 s[24:25], vcc
	s_cbranch_execz .LBB324_57
; %bb.48:
	v_lshl_add_u32 v0, s33, 8, v8
	v_lshl_add_u64 v[2:3], v[0:1], 2, s[38:39]
	v_or_b32_e32 v0, 2.0, v7
	s_mov_b64 s[26:27], 0
	s_brev_b32 s36, -4
	s_mov_b32 s37, s33
	v_mov_b32_e32 v47, 0
	global_store_dword v[2:3], v0, off sc1
                                        ; implicit-def: $sgpr30_sgpr31
	s_branch .LBB324_51
.LBB324_49:                             ;   in Loop: Header=BB324_51 Depth=1
	s_or_b64 exec, exec, s[34:35]
.LBB324_50:                             ;   in Loop: Header=BB324_51 Depth=1
	s_or_b64 exec, exec, s[30:31]
	v_and_b32_e32 v4, 0x3fffffff, v0
	v_add_u32_e32 v47, v4, v47
	v_cmp_gt_i32_e64 s[30:31], -2.0, v0
	s_and_b64 s[34:35], exec, s[30:31]
	s_or_b64 s[26:27], s[34:35], s[26:27]
	s_andn2_b64 exec, exec, s[26:27]
	s_cbranch_execz .LBB324_56
.LBB324_51:                             ; =>This Loop Header: Depth=1
                                        ;     Child Loop BB324_54 Depth 2
	s_or_b64 s[30:31], s[30:31], exec
	s_cmp_eq_u32 s37, 0
	s_cbranch_scc1 .LBB324_55
; %bb.52:                               ;   in Loop: Header=BB324_51 Depth=1
	s_add_i32 s37, s37, -1
	v_lshl_or_b32 v0, s37, 8, v8
	v_lshl_add_u64 v[4:5], v[0:1], 2, s[38:39]
	global_load_dword v0, v[4:5], off sc1
	s_waitcnt vmcnt(0)
	v_cmp_gt_u32_e32 vcc, 2.0, v0
	s_and_saveexec_b64 s[30:31], vcc
	s_cbranch_execz .LBB324_50
; %bb.53:                               ;   in Loop: Header=BB324_51 Depth=1
	s_mov_b64 s[34:35], 0
.LBB324_54:                             ;   Parent Loop BB324_51 Depth=1
                                        ; =>  This Inner Loop Header: Depth=2
	global_load_dword v0, v[4:5], off sc1
	s_waitcnt vmcnt(0)
	v_cmp_lt_u32_e32 vcc, s36, v0
	s_or_b64 s[34:35], vcc, s[34:35]
	s_andn2_b64 exec, exec, s[34:35]
	s_cbranch_execnz .LBB324_54
	s_branch .LBB324_49
.LBB324_55:                             ;   in Loop: Header=BB324_51 Depth=1
                                        ; implicit-def: $sgpr37
	s_and_b64 s[34:35], exec, s[30:31]
	s_or_b64 s[26:27], s[34:35], s[26:27]
	s_andn2_b64 exec, exec, s[26:27]
	s_cbranch_execnz .LBB324_51
.LBB324_56:
	s_or_b64 exec, exec, s[26:27]
	v_add_u32_e32 v0, v47, v7
	v_or_b32_e32 v0, 0x80000000, v0
	global_store_dword v[2:3], v0, off sc1
	global_load_dword v0, v21, s[48:49]
	v_sub_u32_e32 v1, v47, v6
	s_waitcnt vmcnt(0)
	v_add_u32_e32 v0, v1, v0
	ds_write_b32 v21, v0
.LBB324_57:
	s_or_b64 exec, exec, s[24:25]
	s_load_dwordx2 s[24:25], s[0:1], 0x4
	v_add_u32_e32 v2, v44, v23
	v_add3_u32 v3, v24, v17, v45
	v_add3_u32 v4, v29, v25, v46
	;; [unrolled: 1-line block ×3, first 2 shown]
	s_waitcnt lgkmcnt(0)
	s_lshr_b32 s0, s24, 16
	s_mul_i32 s0, s0, s25
	v_mul_lo_u32 v0, s0, v8
	v_mad_u32_u24 v0, v9, s25, v0
	v_add_lshl_u32 v0, v0, v18, 5
	v_add3_u32 v17, v38, v35, v22
	v_add3_u32 v22, v40, v39, v26
	;; [unrolled: 1-line block ×4, first 2 shown]
	v_add_u32_e32 v37, 0x5050, v0
	v_add_u32_e32 v25, 0x5060, v0
	v_lshlrev_b32_e32 v26, 2, v24
	v_lshlrev_b32_e32 v28, 2, v23
	;; [unrolled: 1-line block ×8, first 2 shown]
	s_mov_b64 s[0:1], -1
	s_mov_b32 s26, 0
	s_brev_b32 s27, -2
	v_mov_b32_e32 v1, 0
	s_movk_i32 s30, 0x400
	s_movk_i32 s31, 0x800
	s_movk_i32 s34, 0xc00
	v_bfrev_b32_e32 v38, 1
	v_mov_b32_e32 v39, v2
	v_mov_b32_e32 v40, v3
	;; [unrolled: 1-line block ×10, first 2 shown]
	s_branch .LBB324_59
.LBB324_58:                             ;   in Loop: Header=BB324_59 Depth=1
	s_or_b64 exec, exec, s[24:25]
	s_xor_b64 s[24:25], s[0:1], -1
	v_add_u32_e32 v47, 0x1000, v47
	s_addk_i32 s26, 0xc000
	s_mov_b64 s[0:1], 0
	s_and_b64 vcc, exec, s[24:25]
	v_mov_b32_e32 v48, v25
	s_waitcnt lgkmcnt(0)
	s_barrier
	s_cbranch_vccnz .LBB324_83
.LBB324_59:                             ; =>This Inner Loop Header: Depth=1
	v_subrev_co_u32_e32 v39, vcc, 0x1000, v39
	s_and_saveexec_b64 s[24:25], vcc
	s_cbranch_execz .LBB324_67
; %bb.60:                               ;   in Loop: Header=BB324_59 Depth=1
	v_add_u32_e32 v0, s26, v35
	ds_write_b32 v0, v11 offset:1024
	s_or_b64 exec, exec, s[24:25]
	v_subrev_co_u32_e32 v40, vcc, 0x1000, v40
	s_and_saveexec_b64 s[24:25], vcc
	s_cbranch_execnz .LBB324_68
.LBB324_61:                             ;   in Loop: Header=BB324_59 Depth=1
	s_or_b64 exec, exec, s[24:25]
	v_subrev_co_u32_e32 v41, vcc, 0x1000, v41
	s_and_saveexec_b64 s[24:25], vcc
	s_cbranch_execz .LBB324_69
.LBB324_62:                             ;   in Loop: Header=BB324_59 Depth=1
	v_add_u32_e32 v0, s26, v33
	ds_write_b32 v0, v16 offset:1024
	s_or_b64 exec, exec, s[24:25]
	v_subrev_co_u32_e32 v42, vcc, 0x1000, v42
	s_and_saveexec_b64 s[24:25], vcc
	s_cbranch_execnz .LBB324_70
.LBB324_63:                             ;   in Loop: Header=BB324_59 Depth=1
	s_or_b64 exec, exec, s[24:25]
	v_subrev_co_u32_e32 v43, vcc, 0x1000, v43
	s_and_saveexec_b64 s[24:25], vcc
	s_cbranch_execz .LBB324_71
.LBB324_64:                             ;   in Loop: Header=BB324_59 Depth=1
	v_add_u32_e32 v0, s26, v30
	ds_write_b32 v0, v15 offset:1024
	s_or_b64 exec, exec, s[24:25]
	v_subrev_co_u32_e32 v44, vcc, 0x1000, v44
	s_and_saveexec_b64 s[24:25], vcc
	s_cbranch_execnz .LBB324_72
.LBB324_65:                             ;   in Loop: Header=BB324_59 Depth=1
	s_or_b64 exec, exec, s[24:25]
	v_subrev_co_u32_e32 v45, vcc, 0x1000, v45
	s_and_saveexec_b64 s[24:25], vcc
	s_cbranch_execz .LBB324_73
.LBB324_66:                             ;   in Loop: Header=BB324_59 Depth=1
	v_add_u32_e32 v0, s26, v28
	ds_write_b32 v0, v31 offset:1024
	s_or_b64 exec, exec, s[24:25]
	v_subrev_co_u32_e32 v46, vcc, 0x1000, v46
	s_and_saveexec_b64 s[24:25], vcc
	s_cbranch_execnz .LBB324_74
	s_branch .LBB324_75
.LBB324_67:                             ;   in Loop: Header=BB324_59 Depth=1
	s_or_b64 exec, exec, s[24:25]
	v_subrev_co_u32_e32 v40, vcc, 0x1000, v40
	s_and_saveexec_b64 s[24:25], vcc
	s_cbranch_execz .LBB324_61
.LBB324_68:                             ;   in Loop: Header=BB324_59 Depth=1
	v_add_u32_e32 v0, s26, v34
	ds_write_b32 v0, v13 offset:1024
	s_or_b64 exec, exec, s[24:25]
	v_subrev_co_u32_e32 v41, vcc, 0x1000, v41
	s_and_saveexec_b64 s[24:25], vcc
	s_cbranch_execnz .LBB324_62
.LBB324_69:                             ;   in Loop: Header=BB324_59 Depth=1
	s_or_b64 exec, exec, s[24:25]
	v_subrev_co_u32_e32 v42, vcc, 0x1000, v42
	s_and_saveexec_b64 s[24:25], vcc
	s_cbranch_execz .LBB324_63
.LBB324_70:                             ;   in Loop: Header=BB324_59 Depth=1
	v_add_u32_e32 v0, s26, v32
	ds_write_b32 v0, v14 offset:1024
	s_or_b64 exec, exec, s[24:25]
	v_subrev_co_u32_e32 v43, vcc, 0x1000, v43
	s_and_saveexec_b64 s[24:25], vcc
	s_cbranch_execnz .LBB324_64
.LBB324_71:                             ;   in Loop: Header=BB324_59 Depth=1
	s_or_b64 exec, exec, s[24:25]
	v_subrev_co_u32_e32 v44, vcc, 0x1000, v44
	s_and_saveexec_b64 s[24:25], vcc
	s_cbranch_execz .LBB324_65
.LBB324_72:                             ;   in Loop: Header=BB324_59 Depth=1
	v_add_u32_e32 v0, s26, v29
	ds_write_b32 v0, v27 offset:1024
	s_or_b64 exec, exec, s[24:25]
	v_subrev_co_u32_e32 v45, vcc, 0x1000, v45
	s_and_saveexec_b64 s[24:25], vcc
	s_cbranch_execnz .LBB324_66
.LBB324_73:                             ;   in Loop: Header=BB324_59 Depth=1
	s_or_b64 exec, exec, s[24:25]
	v_subrev_co_u32_e32 v46, vcc, 0x1000, v46
	s_and_saveexec_b64 s[24:25], vcc
.LBB324_74:                             ;   in Loop: Header=BB324_59 Depth=1
	v_add_u32_e32 v0, s26, v26
	ds_write_b32 v0, v36 offset:1024
.LBB324_75:                             ;   in Loop: Header=BB324_59 Depth=1
	s_or_b64 exec, exec, s[24:25]
	v_cmp_gt_u32_e32 vcc, s5, v47
	s_waitcnt lgkmcnt(0)
	s_barrier
	s_and_saveexec_b64 s[24:25], vcc
	s_cbranch_execz .LBB324_77
; %bb.76:                               ;   in Loop: Header=BB324_59 Depth=1
	ds_read_b32 v0, v21 offset:1024
	s_waitcnt lgkmcnt(0)
	v_cmp_ne_u32_e32 vcc, s27, v0
	s_nop 1
	v_cndmask_b32_e32 v49, v38, v0, vcc
	v_lshrrev_b32_e32 v49, s52, v49
	v_and_b32_e32 v49, s57, v49
	v_lshlrev_b32_e32 v50, 2, v49
	ds_read_b32 v50, v50
	v_cmp_lt_i32_e32 vcc, -1, v0
	ds_write_b32 v48, v49
	s_nop 0
	v_cndmask_b32_e64 v51, v38, -1, vcc
	v_xor_b32_e32 v52, v51, v0
	s_waitcnt lgkmcnt(1)
	v_add_u32_e32 v0, v47, v50
	v_lshl_add_u64 v[50:51], v[0:1], 2, s[42:43]
	global_store_dword v[50:51], v52, off
.LBB324_77:                             ;   in Loop: Header=BB324_59 Depth=1
	s_or_b64 exec, exec, s[24:25]
	v_add_u32_e32 v0, 0x400, v47
	v_cmp_gt_u32_e32 vcc, s5, v0
	s_and_saveexec_b64 s[24:25], vcc
	s_cbranch_execz .LBB324_79
; %bb.78:                               ;   in Loop: Header=BB324_59 Depth=1
	ds_read_b32 v0, v21 offset:5120
	s_waitcnt lgkmcnt(0)
	v_cmp_ne_u32_e32 vcc, s27, v0
	s_nop 1
	v_cndmask_b32_e32 v49, v38, v0, vcc
	v_lshrrev_b32_e32 v49, s52, v49
	v_and_b32_e32 v49, s57, v49
	v_lshlrev_b32_e32 v50, 2, v49
	ds_read_b32 v50, v50
	v_cmp_lt_i32_e32 vcc, -1, v0
	ds_write_b32 v48, v49 offset:4
	s_nop 0
	v_cndmask_b32_e64 v51, v38, -1, vcc
	v_xor_b32_e32 v52, v51, v0
	s_waitcnt lgkmcnt(1)
	v_add3_u32 v0, v47, v50, s30
	v_lshl_add_u64 v[50:51], v[0:1], 2, s[42:43]
	global_store_dword v[50:51], v52, off
.LBB324_79:                             ;   in Loop: Header=BB324_59 Depth=1
	s_or_b64 exec, exec, s[24:25]
	v_add_u32_e32 v0, 0x800, v47
	v_cmp_gt_u32_e32 vcc, s5, v0
	s_and_saveexec_b64 s[24:25], vcc
	s_cbranch_execz .LBB324_81
; %bb.80:                               ;   in Loop: Header=BB324_59 Depth=1
	ds_read_b32 v0, v21 offset:9216
	s_waitcnt lgkmcnt(0)
	v_cmp_ne_u32_e32 vcc, s27, v0
	s_nop 1
	v_cndmask_b32_e32 v49, v38, v0, vcc
	v_lshrrev_b32_e32 v49, s52, v49
	v_and_b32_e32 v49, s57, v49
	v_lshlrev_b32_e32 v50, 2, v49
	ds_read_b32 v50, v50
	v_cmp_lt_i32_e32 vcc, -1, v0
	ds_write_b32 v48, v49 offset:8
	s_nop 0
	v_cndmask_b32_e64 v51, v38, -1, vcc
	v_xor_b32_e32 v52, v51, v0
	s_waitcnt lgkmcnt(1)
	v_add3_u32 v0, v47, v50, s31
	v_lshl_add_u64 v[50:51], v[0:1], 2, s[42:43]
	global_store_dword v[50:51], v52, off
.LBB324_81:                             ;   in Loop: Header=BB324_59 Depth=1
	s_or_b64 exec, exec, s[24:25]
	v_add_u32_e32 v0, 0xc00, v47
	v_cmp_gt_u32_e32 vcc, s5, v0
	s_and_saveexec_b64 s[24:25], vcc
	s_cbranch_execz .LBB324_58
; %bb.82:                               ;   in Loop: Header=BB324_59 Depth=1
	ds_read_b32 v0, v21 offset:13312
	s_waitcnt lgkmcnt(0)
	v_cmp_ne_u32_e32 vcc, s27, v0
	s_nop 1
	v_cndmask_b32_e32 v49, v38, v0, vcc
	v_lshrrev_b32_e32 v49, s52, v49
	v_and_b32_e32 v49, s57, v49
	v_lshlrev_b32_e32 v50, 2, v49
	ds_read_b32 v50, v50
	v_cmp_lt_i32_e32 vcc, -1, v0
	ds_write_b32 v48, v49 offset:12
	s_nop 0
	v_cndmask_b32_e64 v51, v38, -1, vcc
	v_xor_b32_e32 v52, v51, v0
	s_waitcnt lgkmcnt(1)
	v_add3_u32 v0, v47, v50, s34
	v_lshl_add_u64 v[50:51], v[0:1], 2, s[42:43]
	global_store_dword v[50:51], v52, off
	s_branch .LBB324_58
.LBB324_83:
	s_add_u32 s0, s44, s54
	s_addc_u32 s1, s45, s55
	v_mov_b32_e32 v11, 0
	v_lshl_add_u64 v[0:1], s[0:1], 0, v[10:11]
	v_mov_b32_e32 v13, v11
	v_lshl_add_u64 v[0:1], v[0:1], 0, v[12:13]
                                        ; implicit-def: $vgpr10
	s_and_saveexec_b64 s[0:1], s[28:29]
	s_cbranch_execz .LBB324_91
; %bb.84:
	global_load_dword v10, v[0:1], off
	s_or_b64 exec, exec, s[0:1]
                                        ; implicit-def: $vgpr11
	s_and_saveexec_b64 s[0:1], s[6:7]
	s_cbranch_execnz .LBB324_92
.LBB324_85:
	s_or_b64 exec, exec, s[0:1]
                                        ; implicit-def: $vgpr12
	s_and_saveexec_b64 s[0:1], s[8:9]
	s_cbranch_execz .LBB324_93
.LBB324_86:
	global_load_dword v12, v[0:1], off offset:512
	s_or_b64 exec, exec, s[0:1]
                                        ; implicit-def: $vgpr13
	s_and_saveexec_b64 s[0:1], s[10:11]
	s_cbranch_execnz .LBB324_94
.LBB324_87:
	s_or_b64 exec, exec, s[0:1]
                                        ; implicit-def: $vgpr14
	s_and_saveexec_b64 s[0:1], s[12:13]
	s_cbranch_execz .LBB324_95
.LBB324_88:
	global_load_dword v14, v[0:1], off offset:1024
	s_or_b64 exec, exec, s[0:1]
                                        ; implicit-def: $vgpr15
	s_and_saveexec_b64 s[0:1], s[14:15]
	s_cbranch_execnz .LBB324_96
.LBB324_89:
	s_or_b64 exec, exec, s[0:1]
                                        ; implicit-def: $vgpr16
	s_and_saveexec_b64 s[0:1], s[16:17]
	s_cbranch_execz .LBB324_97
.LBB324_90:
	global_load_dword v16, v[0:1], off offset:1536
	s_or_b64 exec, exec, s[0:1]
                                        ; implicit-def: $vgpr27
	s_and_saveexec_b64 s[0:1], s[18:19]
	s_cbranch_execnz .LBB324_98
	s_branch .LBB324_99
.LBB324_91:
	s_or_b64 exec, exec, s[0:1]
                                        ; implicit-def: $vgpr11
	s_and_saveexec_b64 s[0:1], s[6:7]
	s_cbranch_execz .LBB324_85
.LBB324_92:
	global_load_dword v11, v[0:1], off offset:256
	s_or_b64 exec, exec, s[0:1]
                                        ; implicit-def: $vgpr12
	s_and_saveexec_b64 s[0:1], s[8:9]
	s_cbranch_execnz .LBB324_86
.LBB324_93:
	s_or_b64 exec, exec, s[0:1]
                                        ; implicit-def: $vgpr13
	s_and_saveexec_b64 s[0:1], s[10:11]
	s_cbranch_execz .LBB324_87
.LBB324_94:
	global_load_dword v13, v[0:1], off offset:768
	s_or_b64 exec, exec, s[0:1]
                                        ; implicit-def: $vgpr14
	s_and_saveexec_b64 s[0:1], s[12:13]
	s_cbranch_execnz .LBB324_88
.LBB324_95:
	s_or_b64 exec, exec, s[0:1]
                                        ; implicit-def: $vgpr15
	s_and_saveexec_b64 s[0:1], s[14:15]
	s_cbranch_execz .LBB324_89
.LBB324_96:
	global_load_dword v15, v[0:1], off offset:1280
	s_or_b64 exec, exec, s[0:1]
                                        ; implicit-def: $vgpr16
	s_and_saveexec_b64 s[0:1], s[16:17]
	s_cbranch_execnz .LBB324_90
.LBB324_97:
	s_or_b64 exec, exec, s[0:1]
                                        ; implicit-def: $vgpr27
	s_and_saveexec_b64 s[0:1], s[18:19]
	s_cbranch_execz .LBB324_99
.LBB324_98:
	global_load_dword v27, v[0:1], off offset:1792
.LBB324_99:
	s_or_b64 exec, exec, s[0:1]
	s_mov_b64 s[0:1], -1
	s_mov_b32 s8, 0
	v_mov_b32_e32 v1, 0
	s_movk_i32 s9, 0x400
	s_movk_i32 s10, 0x800
	;; [unrolled: 1-line block ×3, first 2 shown]
	v_mov_b32_e32 v31, v8
	s_waitcnt vmcnt(0)
	s_branch .LBB324_101
.LBB324_100:                            ;   in Loop: Header=BB324_101 Depth=1
	s_or_b64 exec, exec, s[6:7]
	s_xor_b64 s[6:7], s[0:1], -1
	v_add_u32_e32 v31, 0x1000, v31
	s_addk_i32 s8, 0xc000
	s_mov_b64 s[0:1], 0
	s_and_b64 vcc, exec, s[6:7]
	v_mov_b32_e32 v37, v25
	s_barrier
	s_cbranch_vccnz .LBB324_125
.LBB324_101:                            ; =>This Inner Loop Header: Depth=1
	v_subrev_co_u32_e32 v2, vcc, 0x1000, v2
	s_and_saveexec_b64 s[6:7], vcc
	s_cbranch_execz .LBB324_109
; %bb.102:                              ;   in Loop: Header=BB324_101 Depth=1
	v_add_u32_e32 v0, s8, v35
	ds_write_b32 v0, v10 offset:1024
	s_or_b64 exec, exec, s[6:7]
	v_subrev_co_u32_e32 v3, vcc, 0x1000, v3
	s_and_saveexec_b64 s[6:7], vcc
	s_cbranch_execnz .LBB324_110
.LBB324_103:                            ;   in Loop: Header=BB324_101 Depth=1
	s_or_b64 exec, exec, s[6:7]
	v_subrev_co_u32_e32 v4, vcc, 0x1000, v4
	s_and_saveexec_b64 s[6:7], vcc
	s_cbranch_execz .LBB324_111
.LBB324_104:                            ;   in Loop: Header=BB324_101 Depth=1
	v_add_u32_e32 v0, s8, v33
	ds_write_b32 v0, v12 offset:1024
	s_or_b64 exec, exec, s[6:7]
	v_subrev_co_u32_e32 v5, vcc, 0x1000, v5
	s_and_saveexec_b64 s[6:7], vcc
	s_cbranch_execnz .LBB324_112
.LBB324_105:                            ;   in Loop: Header=BB324_101 Depth=1
	s_or_b64 exec, exec, s[6:7]
	v_subrev_co_u32_e32 v17, vcc, 0x1000, v17
	s_and_saveexec_b64 s[6:7], vcc
	s_cbranch_execz .LBB324_113
.LBB324_106:                            ;   in Loop: Header=BB324_101 Depth=1
	v_add_u32_e32 v0, s8, v30
	ds_write_b32 v0, v14 offset:1024
	s_or_b64 exec, exec, s[6:7]
	v_subrev_co_u32_e32 v22, vcc, 0x1000, v22
	s_and_saveexec_b64 s[6:7], vcc
	s_cbranch_execnz .LBB324_114
.LBB324_107:                            ;   in Loop: Header=BB324_101 Depth=1
	s_or_b64 exec, exec, s[6:7]
	v_subrev_co_u32_e32 v23, vcc, 0x1000, v23
	s_and_saveexec_b64 s[6:7], vcc
	s_cbranch_execz .LBB324_115
.LBB324_108:                            ;   in Loop: Header=BB324_101 Depth=1
	v_add_u32_e32 v0, s8, v28
	ds_write_b32 v0, v16 offset:1024
	s_or_b64 exec, exec, s[6:7]
	v_subrev_co_u32_e32 v24, vcc, 0x1000, v24
	s_and_saveexec_b64 s[6:7], vcc
	s_cbranch_execnz .LBB324_116
	s_branch .LBB324_117
.LBB324_109:                            ;   in Loop: Header=BB324_101 Depth=1
	s_or_b64 exec, exec, s[6:7]
	v_subrev_co_u32_e32 v3, vcc, 0x1000, v3
	s_and_saveexec_b64 s[6:7], vcc
	s_cbranch_execz .LBB324_103
.LBB324_110:                            ;   in Loop: Header=BB324_101 Depth=1
	v_add_u32_e32 v0, s8, v34
	ds_write_b32 v0, v11 offset:1024
	s_or_b64 exec, exec, s[6:7]
	v_subrev_co_u32_e32 v4, vcc, 0x1000, v4
	s_and_saveexec_b64 s[6:7], vcc
	s_cbranch_execnz .LBB324_104
.LBB324_111:                            ;   in Loop: Header=BB324_101 Depth=1
	s_or_b64 exec, exec, s[6:7]
	v_subrev_co_u32_e32 v5, vcc, 0x1000, v5
	s_and_saveexec_b64 s[6:7], vcc
	s_cbranch_execz .LBB324_105
.LBB324_112:                            ;   in Loop: Header=BB324_101 Depth=1
	v_add_u32_e32 v0, s8, v32
	ds_write_b32 v0, v13 offset:1024
	s_or_b64 exec, exec, s[6:7]
	v_subrev_co_u32_e32 v17, vcc, 0x1000, v17
	s_and_saveexec_b64 s[6:7], vcc
	s_cbranch_execnz .LBB324_106
.LBB324_113:                            ;   in Loop: Header=BB324_101 Depth=1
	s_or_b64 exec, exec, s[6:7]
	v_subrev_co_u32_e32 v22, vcc, 0x1000, v22
	s_and_saveexec_b64 s[6:7], vcc
	s_cbranch_execz .LBB324_107
.LBB324_114:                            ;   in Loop: Header=BB324_101 Depth=1
	v_add_u32_e32 v0, s8, v29
	ds_write_b32 v0, v15 offset:1024
	s_or_b64 exec, exec, s[6:7]
	v_subrev_co_u32_e32 v23, vcc, 0x1000, v23
	s_and_saveexec_b64 s[6:7], vcc
	s_cbranch_execnz .LBB324_108
.LBB324_115:                            ;   in Loop: Header=BB324_101 Depth=1
	s_or_b64 exec, exec, s[6:7]
	v_subrev_co_u32_e32 v24, vcc, 0x1000, v24
	s_and_saveexec_b64 s[6:7], vcc
.LBB324_116:                            ;   in Loop: Header=BB324_101 Depth=1
	v_add_u32_e32 v0, s8, v26
	ds_write_b32 v0, v27 offset:1024
.LBB324_117:                            ;   in Loop: Header=BB324_101 Depth=1
	s_or_b64 exec, exec, s[6:7]
	v_cmp_gt_u32_e32 vcc, s5, v31
	s_waitcnt lgkmcnt(0)
	s_barrier
	s_and_saveexec_b64 s[6:7], vcc
	s_cbranch_execz .LBB324_119
; %bb.118:                              ;   in Loop: Header=BB324_101 Depth=1
	ds_read_b32 v0, v37
	s_waitcnt lgkmcnt(0)
	v_lshlrev_b32_e32 v0, 2, v0
	ds_read_b32 v0, v0
	ds_read_b32 v36, v21 offset:1024
	s_waitcnt lgkmcnt(1)
	v_add_u32_e32 v0, v31, v0
	v_lshl_add_u64 v[38:39], v[0:1], 2, s[46:47]
	s_waitcnt lgkmcnt(0)
	global_store_dword v[38:39], v36, off
.LBB324_119:                            ;   in Loop: Header=BB324_101 Depth=1
	s_or_b64 exec, exec, s[6:7]
	v_add_u32_e32 v0, 0x400, v31
	v_cmp_gt_u32_e32 vcc, s5, v0
	s_and_saveexec_b64 s[6:7], vcc
	s_cbranch_execz .LBB324_121
; %bb.120:                              ;   in Loop: Header=BB324_101 Depth=1
	ds_read_b32 v0, v37 offset:4
	s_waitcnt lgkmcnt(0)
	v_lshlrev_b32_e32 v0, 2, v0
	ds_read_b32 v0, v0
	ds_read_b32 v36, v21 offset:5120
	s_waitcnt lgkmcnt(1)
	v_add3_u32 v0, v31, v0, s9
	v_lshl_add_u64 v[38:39], v[0:1], 2, s[46:47]
	s_waitcnt lgkmcnt(0)
	global_store_dword v[38:39], v36, off
.LBB324_121:                            ;   in Loop: Header=BB324_101 Depth=1
	s_or_b64 exec, exec, s[6:7]
	v_add_u32_e32 v0, 0x800, v31
	v_cmp_gt_u32_e32 vcc, s5, v0
	s_and_saveexec_b64 s[6:7], vcc
	s_cbranch_execz .LBB324_123
; %bb.122:                              ;   in Loop: Header=BB324_101 Depth=1
	ds_read_b32 v0, v37 offset:8
	s_waitcnt lgkmcnt(0)
	v_lshlrev_b32_e32 v0, 2, v0
	ds_read_b32 v0, v0
	ds_read_b32 v36, v21 offset:9216
	s_waitcnt lgkmcnt(1)
	v_add3_u32 v0, v31, v0, s10
	v_lshl_add_u64 v[38:39], v[0:1], 2, s[46:47]
	s_waitcnt lgkmcnt(0)
	global_store_dword v[38:39], v36, off
.LBB324_123:                            ;   in Loop: Header=BB324_101 Depth=1
	s_or_b64 exec, exec, s[6:7]
	v_add_u32_e32 v0, 0xc00, v31
	v_cmp_gt_u32_e32 vcc, s5, v0
	s_and_saveexec_b64 s[6:7], vcc
	s_cbranch_execz .LBB324_100
; %bb.124:                              ;   in Loop: Header=BB324_101 Depth=1
	ds_read_b32 v0, v37 offset:12
	s_waitcnt lgkmcnt(0)
	v_lshlrev_b32_e32 v0, 2, v0
	ds_read_b32 v0, v0
	ds_read_b32 v38, v21 offset:13312
	s_waitcnt lgkmcnt(1)
	v_add3_u32 v0, v31, v0, s11
	v_lshl_add_u64 v[36:37], v[0:1], 2, s[46:47]
	s_waitcnt lgkmcnt(0)
	global_store_dword v[36:37], v38, off
	s_branch .LBB324_100
.LBB324_125:
	s_add_i32 s56, s56, -1
	s_cmp_eq_u32 s33, s56
	s_cselect_b64 s[0:1], -1, 0
	s_xor_b64 s[6:7], s[22:23], -1
	s_and_b64 s[6:7], s[6:7], s[0:1]
	s_and_saveexec_b64 s[0:1], s[6:7]
	s_cbranch_execz .LBB324_127
; %bb.126:
	ds_read_b32 v0, v21
	s_waitcnt lgkmcnt(0)
	v_add3_u32 v0, v6, v7, v0
	global_store_dword v21, v0, s[50:51]
.LBB324_127:
	s_or_b64 exec, exec, s[0:1]
	s_mov_b64 s[6:7], 0
.LBB324_128:
	s_and_b64 vcc, exec, s[6:7]
	s_cbranch_vccz .LBB324_203
; %bb.129:
	s_lshl_b32 s0, s33, 13
	s_mov_b32 s1, 0
	s_lshl_b64 s[8:9], s[0:1], 2
	v_mbcnt_hi_u32_b32 v10, -1, v20
	s_add_u32 s0, s40, s8
	v_and_b32_e32 v0, 63, v10
	v_mov_b32_e32 v5, 0
	s_addc_u32 s1, s41, s9
	v_lshlrev_b32_e32 v0, 2, v0
	v_mov_b32_e32 v1, v5
	v_lshl_add_u64 v[6:7], s[0:1], 0, v[0:1]
	s_load_dword s12, s[2:3], 0x58
	s_load_dword s0, s[2:3], 0x64
	v_and_b32_e32 v2, 0x1e00, v19
	v_lshlrev_b32_e32 v2, 2, v2
	v_mov_b32_e32 v3, v5
	v_lshl_add_u64 v[6:7], v[6:7], 0, v[2:3]
	global_load_dword v1, v[6:7], off
	s_add_u32 s1, s2, 0x58
	s_addc_u32 s2, s3, 0
	s_waitcnt lgkmcnt(0)
	s_lshr_b32 s3, s0, 16
	s_cmp_lt_u32 s4, s12
	s_cselect_b32 s0, 12, 18
	s_add_u32 s0, s1, s0
	s_addc_u32 s1, s2, 0
	global_load_ushort v4, v5, s[0:1]
	v_mul_u32_u24_e32 v11, 20, v8
	ds_write2_b32 v11, v5, v5 offset0:16 offset1:17
	ds_write2_b32 v11, v5, v5 offset0:18 offset1:19
	ds_write_b32 v11, v5 offset:80
	global_load_dword v3, v[6:7], off offset:256
	global_load_dword v20, v[6:7], off offset:512
	;; [unrolled: 1-line block ×7, first 2 shown]
	v_bfrev_b32_e32 v13, 1
	s_brev_b32 s10, -2
	v_mad_u32_u24 v6, v18, s3, v9
	s_lshl_b32 s2, -1, s53
	s_movk_i32 s11, 0x44
	v_mov_b32_e32 v28, v5
	v_mov_b32_e32 v30, v5
	;; [unrolled: 1-line block ×3, first 2 shown]
	s_not_b32 s13, s2
	v_mov_b32_e32 v34, v5
	s_waitcnt lgkmcnt(0)
	s_barrier
	s_waitcnt vmcnt(8)
	; wave barrier
	v_cmp_lt_i32_e32 vcc, -1, v1
	s_nop 1
	v_cndmask_b32_e32 v7, -1, v13, vcc
	v_xor_b32_e32 v1, v7, v1
	v_cmp_ne_u32_e32 vcc, s10, v1
	s_nop 1
	v_cndmask_b32_e32 v7, v13, v1, vcc
	v_lshrrev_b32_e32 v9, s52, v7
	s_waitcnt vmcnt(7)
	v_mad_u64_u32 v[6:7], s[0:1], v6, v4, v[8:9]
	v_bitop3_b32 v9, v9, s2, v9 bitop3:0x30
	v_lshrrev_b32_e32 v24, 6, v6
	v_mul_lo_u32 v6, v9, s11
	v_and_b32_e32 v4, 1, v9
	v_lshlrev_b32_e32 v29, 30, v9
	v_lshlrev_b32_e32 v31, 29, v9
	v_lshl_add_u32 v15, v24, 2, v6
	v_lshl_add_u64 v[6:7], v[4:5], 0, -1
	v_cmp_ne_u32_e32 vcc, 0, v4
	v_not_b32_e32 v4, v29
	v_lshlrev_b32_e32 v33, 28, v9
	v_cmp_gt_i64_e64 s[0:1], 0, v[28:29]
	v_not_b32_e32 v12, v31
	v_xor_b32_e32 v7, vcc_hi, v7
	v_xor_b32_e32 v6, vcc_lo, v6
	v_ashrrev_i32_e32 v4, 31, v4
	v_lshlrev_b32_e32 v35, 27, v9
	v_cmp_gt_i64_e64 s[2:3], 0, v[30:31]
	v_not_b32_e32 v16, v33
	v_ashrrev_i32_e32 v12, 31, v12
	v_and_b32_e32 v7, exec_hi, v7
	v_and_b32_e32 v6, exec_lo, v6
	v_xor_b32_e32 v19, s1, v4
	v_xor_b32_e32 v4, s0, v4
	v_cmp_gt_i64_e64 s[4:5], 0, v[32:33]
	v_not_b32_e32 v18, v35
	v_ashrrev_i32_e32 v16, 31, v16
	v_xor_b32_e32 v22, s3, v12
	v_xor_b32_e32 v12, s2, v12
	v_and_b32_e32 v7, v7, v19
	v_and_b32_e32 v4, v6, v4
	v_cmp_gt_i64_e64 s[6:7], 0, v[34:35]
	v_ashrrev_i32_e32 v18, 31, v18
	v_xor_b32_e32 v25, s5, v16
	v_xor_b32_e32 v16, s4, v16
	v_and_b32_e32 v6, v7, v22
	v_and_b32_e32 v4, v4, v12
	v_xor_b32_e32 v26, s7, v18
	v_and_b32_e32 v6, v6, v25
	v_and_b32_e32 v4, v4, v16
	v_xor_b32_e32 v7, s6, v18
	v_and_b32_e32 v12, v6, v26
	v_and_b32_e32 v4, v4, v7
	v_lshlrev_b32_e32 v7, 26, v9
	v_mov_b32_e32 v6, v5
	v_cmp_gt_i64_e32 vcc, 0, v[6:7]
	v_not_b32_e32 v6, v7
	v_ashrrev_i32_e32 v6, 31, v6
	v_xor_b32_e32 v7, vcc_hi, v6
	v_xor_b32_e32 v6, vcc_lo, v6
	v_and_b32_e32 v12, v12, v7
	v_and_b32_e32 v4, v4, v6
	v_lshlrev_b32_e32 v7, 25, v9
	v_mov_b32_e32 v6, v5
	v_cmp_gt_i64_e32 vcc, 0, v[6:7]
	v_not_b32_e32 v6, v7
	v_ashrrev_i32_e32 v6, 31, v6
	v_xor_b32_e32 v7, vcc_hi, v6
	v_xor_b32_e32 v6, vcc_lo, v6
	v_and_b32_e32 v12, v12, v7
	v_and_b32_e32 v4, v4, v6
	;; [unrolled: 9-line block ×3, first 2 shown]
	v_mbcnt_lo_u32_b32 v4, v6, 0
	v_mbcnt_hi_u32_b32 v12, v7, v4
	v_cmp_eq_u32_e32 vcc, 0, v12
	v_cmp_ne_u64_e64 s[0:1], 0, v[6:7]
	s_and_b64 s[2:3], s[0:1], vcc
	s_and_saveexec_b64 s[0:1], s[2:3]
; %bb.130:
	v_bcnt_u32_b32 v4, v6, 0
	v_bcnt_u32_b32 v4, v7, v4
	ds_write_b32 v15, v4 offset:64
; %bb.131:
	s_or_b64 exec, exec, s[0:1]
	s_waitcnt vmcnt(6)
	v_cmp_lt_i32_e32 vcc, -1, v3
	; wave barrier
	s_nop 1
	v_cndmask_b32_e32 v4, -1, v13, vcc
	v_xor_b32_e32 v3, v4, v3
	v_cmp_ne_u32_e32 vcc, s10, v3
	s_nop 1
	v_cndmask_b32_e32 v4, v13, v3, vcc
	v_lshrrev_b32_e32 v4, s52, v4
	v_and_b32_e32 v9, s13, v4
	v_mul_lo_u32 v4, v9, s11
	v_lshl_add_u32 v19, v24, 2, v4
	v_and_b32_e32 v4, 1, v9
	v_lshl_add_u64 v[6:7], v[4:5], 0, -1
	v_cmp_ne_u32_e32 vcc, 0, v4
	ds_read_b32 v13, v19 offset:64
	s_nop 0
	v_xor_b32_e32 v6, vcc_lo, v6
	v_xor_b32_e32 v4, vcc_hi, v7
	v_and_b32_e32 v16, exec_lo, v6
	v_lshlrev_b32_e32 v7, 30, v9
	v_mov_b32_e32 v6, v5
	v_cmp_gt_i64_e32 vcc, 0, v[6:7]
	v_not_b32_e32 v6, v7
	v_ashrrev_i32_e32 v6, 31, v6
	v_and_b32_e32 v4, exec_hi, v4
	v_xor_b32_e32 v7, vcc_hi, v6
	v_xor_b32_e32 v6, vcc_lo, v6
	v_and_b32_e32 v4, v4, v7
	v_and_b32_e32 v16, v16, v6
	v_lshlrev_b32_e32 v7, 29, v9
	v_mov_b32_e32 v6, v5
	v_cmp_gt_i64_e32 vcc, 0, v[6:7]
	v_not_b32_e32 v6, v7
	v_ashrrev_i32_e32 v6, 31, v6
	v_xor_b32_e32 v7, vcc_hi, v6
	v_xor_b32_e32 v6, vcc_lo, v6
	v_and_b32_e32 v4, v4, v7
	v_and_b32_e32 v16, v16, v6
	v_lshlrev_b32_e32 v7, 28, v9
	v_mov_b32_e32 v6, v5
	v_cmp_gt_i64_e32 vcc, 0, v[6:7]
	v_not_b32_e32 v6, v7
	v_ashrrev_i32_e32 v6, 31, v6
	;; [unrolled: 9-line block ×5, first 2 shown]
	v_xor_b32_e32 v7, vcc_hi, v6
	v_xor_b32_e32 v6, vcc_lo, v6
	v_and_b32_e32 v4, v4, v7
	v_lshlrev_b32_e32 v7, 24, v9
	v_and_b32_e32 v16, v16, v6
	v_mov_b32_e32 v6, v5
	v_not_b32_e32 v5, v7
	v_cmp_gt_i64_e32 vcc, 0, v[6:7]
	v_ashrrev_i32_e32 v5, 31, v5
	; wave barrier
	s_nop 0
	v_xor_b32_e32 v6, vcc_hi, v5
	v_xor_b32_e32 v7, vcc_lo, v5
	v_and_b32_e32 v5, v4, v6
	v_and_b32_e32 v4, v16, v7
	v_mbcnt_lo_u32_b32 v6, v4, 0
	v_mbcnt_hi_u32_b32 v16, v5, v6
	v_cmp_eq_u32_e32 vcc, 0, v16
	v_cmp_ne_u64_e64 s[0:1], 0, v[4:5]
	s_and_b64 s[2:3], s[0:1], vcc
	s_and_saveexec_b64 s[0:1], s[2:3]
	s_cbranch_execz .LBB324_133
; %bb.132:
	v_bcnt_u32_b32 v4, v4, 0
	v_bcnt_u32_b32 v4, v5, v4
	s_waitcnt lgkmcnt(0)
	v_add_u32_e32 v4, v13, v4
	ds_write_b32 v19, v4 offset:64
.LBB324_133:
	s_or_b64 exec, exec, s[0:1]
	v_bfrev_b32_e32 v22, 1
	s_waitcnt vmcnt(5)
	v_cmp_lt_i32_e32 vcc, -1, v20
	s_brev_b32 s2, -2
	s_movk_i32 s3, 0x44
	v_cndmask_b32_e32 v4, -1, v22, vcc
	v_xor_b32_e32 v9, v4, v20
	v_cmp_ne_u32_e32 vcc, s2, v9
	v_mov_b32_e32 v5, 0
	s_nop 0
	v_cndmask_b32_e32 v4, v22, v9, vcc
	v_lshrrev_b32_e32 v4, s52, v4
	v_and_b32_e32 v20, s13, v4
	v_mul_lo_u32 v4, v20, s3
	v_lshl_add_u32 v25, v24, 2, v4
	v_and_b32_e32 v4, 1, v20
	v_lshl_add_u64 v[6:7], v[4:5], 0, -1
	v_cmp_ne_u32_e32 vcc, 0, v4
	; wave barrier
	ds_read_b32 v18, v25 offset:64
	s_nop 0
	v_xor_b32_e32 v6, vcc_lo, v6
	v_xor_b32_e32 v4, vcc_hi, v7
	v_and_b32_e32 v26, exec_lo, v6
	v_lshlrev_b32_e32 v7, 30, v20
	v_mov_b32_e32 v6, v5
	v_cmp_gt_i64_e32 vcc, 0, v[6:7]
	v_not_b32_e32 v6, v7
	v_ashrrev_i32_e32 v6, 31, v6
	v_and_b32_e32 v4, exec_hi, v4
	v_xor_b32_e32 v7, vcc_hi, v6
	v_xor_b32_e32 v6, vcc_lo, v6
	v_and_b32_e32 v4, v4, v7
	v_and_b32_e32 v26, v26, v6
	v_lshlrev_b32_e32 v7, 29, v20
	v_mov_b32_e32 v6, v5
	v_cmp_gt_i64_e32 vcc, 0, v[6:7]
	v_not_b32_e32 v6, v7
	v_ashrrev_i32_e32 v6, 31, v6
	v_xor_b32_e32 v7, vcc_hi, v6
	v_xor_b32_e32 v6, vcc_lo, v6
	v_and_b32_e32 v4, v4, v7
	v_and_b32_e32 v26, v26, v6
	v_lshlrev_b32_e32 v7, 28, v20
	v_mov_b32_e32 v6, v5
	v_cmp_gt_i64_e32 vcc, 0, v[6:7]
	v_not_b32_e32 v6, v7
	v_ashrrev_i32_e32 v6, 31, v6
	;; [unrolled: 9-line block ×6, first 2 shown]
	v_xor_b32_e32 v7, vcc_hi, v6
	v_xor_b32_e32 v6, vcc_lo, v6
	v_and_b32_e32 v6, v26, v6
	v_and_b32_e32 v7, v4, v7
	v_mbcnt_lo_u32_b32 v4, v6, 0
	v_mbcnt_hi_u32_b32 v20, v7, v4
	v_cmp_eq_u32_e32 vcc, 0, v20
	v_cmp_ne_u64_e64 s[0:1], 0, v[6:7]
	s_and_b64 s[4:5], s[0:1], vcc
	; wave barrier
	s_and_saveexec_b64 s[0:1], s[4:5]
	s_cbranch_execz .LBB324_135
; %bb.134:
	v_bcnt_u32_b32 v4, v6, 0
	v_bcnt_u32_b32 v4, v7, v4
	s_waitcnt lgkmcnt(0)
	v_add_u32_e32 v4, v18, v4
	ds_write_b32 v25, v4 offset:64
.LBB324_135:
	s_or_b64 exec, exec, s[0:1]
	s_waitcnt vmcnt(4)
	v_cmp_lt_i32_e32 vcc, -1, v14
	; wave barrier
	s_nop 1
	v_cndmask_b32_e32 v4, -1, v22, vcc
	v_xor_b32_e32 v14, v4, v14
	v_cmp_ne_u32_e32 vcc, s2, v14
	s_nop 1
	v_cndmask_b32_e32 v4, v22, v14, vcc
	v_lshrrev_b32_e32 v4, s52, v4
	v_and_b32_e32 v26, s13, v4
	v_mul_lo_u32 v4, v26, s3
	v_lshl_add_u32 v29, v24, 2, v4
	v_and_b32_e32 v4, 1, v26
	v_lshl_add_u64 v[6:7], v[4:5], 0, -1
	v_cmp_ne_u32_e32 vcc, 0, v4
	ds_read_b32 v22, v29 offset:64
	s_nop 0
	v_xor_b32_e32 v6, vcc_lo, v6
	v_xor_b32_e32 v4, vcc_hi, v7
	v_and_b32_e32 v28, exec_lo, v6
	v_lshlrev_b32_e32 v7, 30, v26
	v_mov_b32_e32 v6, v5
	v_cmp_gt_i64_e32 vcc, 0, v[6:7]
	v_not_b32_e32 v6, v7
	v_ashrrev_i32_e32 v6, 31, v6
	v_and_b32_e32 v4, exec_hi, v4
	v_xor_b32_e32 v7, vcc_hi, v6
	v_xor_b32_e32 v6, vcc_lo, v6
	v_and_b32_e32 v4, v4, v7
	v_and_b32_e32 v28, v28, v6
	v_lshlrev_b32_e32 v7, 29, v26
	v_mov_b32_e32 v6, v5
	v_cmp_gt_i64_e32 vcc, 0, v[6:7]
	v_not_b32_e32 v6, v7
	v_ashrrev_i32_e32 v6, 31, v6
	v_xor_b32_e32 v7, vcc_hi, v6
	v_xor_b32_e32 v6, vcc_lo, v6
	v_and_b32_e32 v4, v4, v7
	v_and_b32_e32 v28, v28, v6
	v_lshlrev_b32_e32 v7, 28, v26
	v_mov_b32_e32 v6, v5
	v_cmp_gt_i64_e32 vcc, 0, v[6:7]
	v_not_b32_e32 v6, v7
	v_ashrrev_i32_e32 v6, 31, v6
	;; [unrolled: 9-line block ×5, first 2 shown]
	v_xor_b32_e32 v7, vcc_hi, v6
	v_xor_b32_e32 v6, vcc_lo, v6
	v_and_b32_e32 v4, v4, v7
	v_lshlrev_b32_e32 v7, 24, v26
	v_and_b32_e32 v28, v28, v6
	v_mov_b32_e32 v6, v5
	v_not_b32_e32 v5, v7
	v_cmp_gt_i64_e32 vcc, 0, v[6:7]
	v_ashrrev_i32_e32 v5, 31, v5
	; wave barrier
	s_nop 0
	v_xor_b32_e32 v6, vcc_hi, v5
	v_xor_b32_e32 v7, vcc_lo, v5
	v_and_b32_e32 v5, v4, v6
	v_and_b32_e32 v4, v28, v7
	v_mbcnt_lo_u32_b32 v6, v4, 0
	v_mbcnt_hi_u32_b32 v26, v5, v6
	v_cmp_eq_u32_e32 vcc, 0, v26
	v_cmp_ne_u64_e64 s[0:1], 0, v[4:5]
	s_and_b64 s[2:3], s[0:1], vcc
	s_and_saveexec_b64 s[0:1], s[2:3]
	s_cbranch_execz .LBB324_137
; %bb.136:
	v_bcnt_u32_b32 v4, v4, 0
	v_bcnt_u32_b32 v4, v5, v4
	s_waitcnt lgkmcnt(0)
	v_add_u32_e32 v4, v22, v4
	ds_write_b32 v29, v4 offset:64
.LBB324_137:
	s_or_b64 exec, exec, s[0:1]
	v_bfrev_b32_e32 v31, 1
	s_waitcnt vmcnt(3)
	v_cmp_lt_i32_e32 vcc, -1, v17
	s_brev_b32 s2, -2
	s_movk_i32 s3, 0x44
	v_cndmask_b32_e32 v4, -1, v31, vcc
	v_xor_b32_e32 v17, v4, v17
	v_cmp_ne_u32_e32 vcc, s2, v17
	v_mov_b32_e32 v5, 0
	s_nop 0
	v_cndmask_b32_e32 v4, v31, v17, vcc
	v_lshrrev_b32_e32 v4, s52, v4
	v_and_b32_e32 v30, s13, v4
	v_mul_lo_u32 v4, v30, s3
	v_lshl_add_u32 v33, v24, 2, v4
	v_and_b32_e32 v4, 1, v30
	v_lshl_add_u64 v[6:7], v[4:5], 0, -1
	v_cmp_ne_u32_e32 vcc, 0, v4
	; wave barrier
	ds_read_b32 v28, v33 offset:64
	s_nop 0
	v_xor_b32_e32 v6, vcc_lo, v6
	v_xor_b32_e32 v4, vcc_hi, v7
	v_and_b32_e32 v32, exec_lo, v6
	v_lshlrev_b32_e32 v7, 30, v30
	v_mov_b32_e32 v6, v5
	v_cmp_gt_i64_e32 vcc, 0, v[6:7]
	v_not_b32_e32 v6, v7
	v_ashrrev_i32_e32 v6, 31, v6
	v_and_b32_e32 v4, exec_hi, v4
	v_xor_b32_e32 v7, vcc_hi, v6
	v_xor_b32_e32 v6, vcc_lo, v6
	v_and_b32_e32 v4, v4, v7
	v_and_b32_e32 v32, v32, v6
	v_lshlrev_b32_e32 v7, 29, v30
	v_mov_b32_e32 v6, v5
	v_cmp_gt_i64_e32 vcc, 0, v[6:7]
	v_not_b32_e32 v6, v7
	v_ashrrev_i32_e32 v6, 31, v6
	v_xor_b32_e32 v7, vcc_hi, v6
	v_xor_b32_e32 v6, vcc_lo, v6
	v_and_b32_e32 v4, v4, v7
	v_and_b32_e32 v32, v32, v6
	v_lshlrev_b32_e32 v7, 28, v30
	v_mov_b32_e32 v6, v5
	v_cmp_gt_i64_e32 vcc, 0, v[6:7]
	v_not_b32_e32 v6, v7
	v_ashrrev_i32_e32 v6, 31, v6
	;; [unrolled: 9-line block ×6, first 2 shown]
	v_xor_b32_e32 v7, vcc_hi, v6
	v_xor_b32_e32 v6, vcc_lo, v6
	v_and_b32_e32 v6, v32, v6
	v_and_b32_e32 v7, v4, v7
	v_mbcnt_lo_u32_b32 v4, v6, 0
	v_mbcnt_hi_u32_b32 v30, v7, v4
	v_cmp_eq_u32_e32 vcc, 0, v30
	v_cmp_ne_u64_e64 s[0:1], 0, v[6:7]
	s_and_b64 s[4:5], s[0:1], vcc
	; wave barrier
	s_and_saveexec_b64 s[0:1], s[4:5]
	s_cbranch_execz .LBB324_139
; %bb.138:
	v_bcnt_u32_b32 v4, v6, 0
	v_bcnt_u32_b32 v4, v7, v4
	s_waitcnt lgkmcnt(0)
	v_add_u32_e32 v4, v28, v4
	ds_write_b32 v33, v4 offset:64
.LBB324_139:
	s_or_b64 exec, exec, s[0:1]
	s_waitcnt vmcnt(2)
	v_cmp_lt_i32_e32 vcc, -1, v21
	; wave barrier
	s_nop 1
	v_cndmask_b32_e32 v4, -1, v31, vcc
	v_xor_b32_e32 v21, v4, v21
	v_cmp_ne_u32_e32 vcc, s2, v21
	s_nop 1
	v_cndmask_b32_e32 v4, v31, v21, vcc
	v_lshrrev_b32_e32 v4, s52, v4
	v_and_b32_e32 v31, s13, v4
	v_mul_lo_u32 v4, v31, s3
	v_lshl_add_u32 v36, v24, 2, v4
	v_and_b32_e32 v4, 1, v31
	v_lshl_add_u64 v[6:7], v[4:5], 0, -1
	v_cmp_ne_u32_e32 vcc, 0, v4
	ds_read_b32 v32, v36 offset:64
	s_nop 0
	v_xor_b32_e32 v6, vcc_lo, v6
	v_xor_b32_e32 v4, vcc_hi, v7
	v_and_b32_e32 v34, exec_lo, v6
	v_lshlrev_b32_e32 v7, 30, v31
	v_mov_b32_e32 v6, v5
	v_cmp_gt_i64_e32 vcc, 0, v[6:7]
	v_not_b32_e32 v6, v7
	v_ashrrev_i32_e32 v6, 31, v6
	v_and_b32_e32 v4, exec_hi, v4
	v_xor_b32_e32 v7, vcc_hi, v6
	v_xor_b32_e32 v6, vcc_lo, v6
	v_and_b32_e32 v4, v4, v7
	v_and_b32_e32 v34, v34, v6
	v_lshlrev_b32_e32 v7, 29, v31
	v_mov_b32_e32 v6, v5
	v_cmp_gt_i64_e32 vcc, 0, v[6:7]
	v_not_b32_e32 v6, v7
	v_ashrrev_i32_e32 v6, 31, v6
	v_xor_b32_e32 v7, vcc_hi, v6
	v_xor_b32_e32 v6, vcc_lo, v6
	v_and_b32_e32 v4, v4, v7
	v_and_b32_e32 v34, v34, v6
	v_lshlrev_b32_e32 v7, 28, v31
	v_mov_b32_e32 v6, v5
	v_cmp_gt_i64_e32 vcc, 0, v[6:7]
	v_not_b32_e32 v6, v7
	v_ashrrev_i32_e32 v6, 31, v6
	;; [unrolled: 9-line block ×5, first 2 shown]
	v_xor_b32_e32 v7, vcc_hi, v6
	v_xor_b32_e32 v6, vcc_lo, v6
	v_and_b32_e32 v4, v4, v7
	v_lshlrev_b32_e32 v7, 24, v31
	v_and_b32_e32 v34, v34, v6
	v_mov_b32_e32 v6, v5
	v_not_b32_e32 v5, v7
	v_cmp_gt_i64_e32 vcc, 0, v[6:7]
	v_ashrrev_i32_e32 v5, 31, v5
	; wave barrier
	s_nop 0
	v_xor_b32_e32 v6, vcc_hi, v5
	v_xor_b32_e32 v7, vcc_lo, v5
	v_and_b32_e32 v5, v4, v6
	v_and_b32_e32 v4, v34, v7
	v_mbcnt_lo_u32_b32 v6, v4, 0
	v_mbcnt_hi_u32_b32 v34, v5, v6
	v_cmp_eq_u32_e32 vcc, 0, v34
	v_cmp_ne_u64_e64 s[0:1], 0, v[4:5]
	s_and_b64 s[2:3], s[0:1], vcc
	s_and_saveexec_b64 s[0:1], s[2:3]
	s_cbranch_execz .LBB324_141
; %bb.140:
	v_bcnt_u32_b32 v4, v4, 0
	v_bcnt_u32_b32 v4, v5, v4
	s_waitcnt lgkmcnt(0)
	v_add_u32_e32 v4, v32, v4
	ds_write_b32 v36, v4 offset:64
.LBB324_141:
	s_or_b64 exec, exec, s[0:1]
	v_bfrev_b32_e32 v39, 1
	s_waitcnt vmcnt(1)
	v_cmp_lt_i32_e32 vcc, -1, v27
	s_brev_b32 s2, -2
	s_movk_i32 s3, 0x44
	v_cndmask_b32_e32 v4, -1, v39, vcc
	v_xor_b32_e32 v27, v4, v27
	v_cmp_ne_u32_e32 vcc, s2, v27
	v_mov_b32_e32 v5, 0
	s_nop 0
	v_cndmask_b32_e32 v4, v39, v27, vcc
	v_lshrrev_b32_e32 v4, s52, v4
	v_and_b32_e32 v31, s13, v4
	v_mul_lo_u32 v4, v31, s3
	v_lshl_add_u32 v38, v24, 2, v4
	v_and_b32_e32 v4, 1, v31
	v_lshl_add_u64 v[6:7], v[4:5], 0, -1
	v_cmp_ne_u32_e32 vcc, 0, v4
	; wave barrier
	ds_read_b32 v35, v38 offset:64
	s_nop 0
	v_xor_b32_e32 v6, vcc_lo, v6
	v_xor_b32_e32 v4, vcc_hi, v7
	v_and_b32_e32 v37, exec_lo, v6
	v_lshlrev_b32_e32 v7, 30, v31
	v_mov_b32_e32 v6, v5
	v_cmp_gt_i64_e32 vcc, 0, v[6:7]
	v_not_b32_e32 v6, v7
	v_ashrrev_i32_e32 v6, 31, v6
	v_and_b32_e32 v4, exec_hi, v4
	v_xor_b32_e32 v7, vcc_hi, v6
	v_xor_b32_e32 v6, vcc_lo, v6
	v_and_b32_e32 v4, v4, v7
	v_and_b32_e32 v37, v37, v6
	v_lshlrev_b32_e32 v7, 29, v31
	v_mov_b32_e32 v6, v5
	v_cmp_gt_i64_e32 vcc, 0, v[6:7]
	v_not_b32_e32 v6, v7
	v_ashrrev_i32_e32 v6, 31, v6
	v_xor_b32_e32 v7, vcc_hi, v6
	v_xor_b32_e32 v6, vcc_lo, v6
	v_and_b32_e32 v4, v4, v7
	v_and_b32_e32 v37, v37, v6
	v_lshlrev_b32_e32 v7, 28, v31
	v_mov_b32_e32 v6, v5
	v_cmp_gt_i64_e32 vcc, 0, v[6:7]
	v_not_b32_e32 v6, v7
	v_ashrrev_i32_e32 v6, 31, v6
	;; [unrolled: 9-line block ×6, first 2 shown]
	v_xor_b32_e32 v7, vcc_hi, v6
	v_xor_b32_e32 v6, vcc_lo, v6
	v_and_b32_e32 v6, v37, v6
	v_and_b32_e32 v7, v4, v7
	v_mbcnt_lo_u32_b32 v4, v6, 0
	v_mbcnt_hi_u32_b32 v37, v7, v4
	v_cmp_eq_u32_e32 vcc, 0, v37
	v_cmp_ne_u64_e64 s[0:1], 0, v[6:7]
	s_and_b64 s[4:5], s[0:1], vcc
	; wave barrier
	s_and_saveexec_b64 s[0:1], s[4:5]
	s_cbranch_execz .LBB324_143
; %bb.142:
	v_bcnt_u32_b32 v4, v6, 0
	v_bcnt_u32_b32 v4, v7, v4
	s_waitcnt lgkmcnt(0)
	v_add_u32_e32 v4, v35, v4
	ds_write_b32 v38, v4 offset:64
.LBB324_143:
	s_or_b64 exec, exec, s[0:1]
	s_waitcnt vmcnt(0)
	v_cmp_lt_i32_e32 vcc, -1, v23
	; wave barrier
	s_nop 1
	v_cndmask_b32_e32 v4, -1, v39, vcc
	v_xor_b32_e32 v31, v4, v23
	v_cmp_ne_u32_e32 vcc, s2, v31
	s_nop 1
	v_cndmask_b32_e32 v4, v39, v31, vcc
	v_lshrrev_b32_e32 v4, s52, v4
	v_and_b32_e32 v23, s13, v4
	v_mul_lo_u32 v4, v23, s3
	v_lshl_add_u32 v40, v24, 2, v4
	v_and_b32_e32 v4, 1, v23
	v_lshl_add_u64 v[6:7], v[4:5], 0, -1
	v_cmp_ne_u32_e32 vcc, 0, v4
	ds_read_b32 v24, v40 offset:64
	s_nop 0
	v_xor_b32_e32 v6, vcc_lo, v6
	v_xor_b32_e32 v4, vcc_hi, v7
	v_and_b32_e32 v39, exec_lo, v6
	v_lshlrev_b32_e32 v7, 30, v23
	v_mov_b32_e32 v6, v5
	v_cmp_gt_i64_e32 vcc, 0, v[6:7]
	v_not_b32_e32 v6, v7
	v_ashrrev_i32_e32 v6, 31, v6
	v_and_b32_e32 v4, exec_hi, v4
	v_xor_b32_e32 v7, vcc_hi, v6
	v_xor_b32_e32 v6, vcc_lo, v6
	v_and_b32_e32 v4, v4, v7
	v_and_b32_e32 v39, v39, v6
	v_lshlrev_b32_e32 v7, 29, v23
	v_mov_b32_e32 v6, v5
	v_cmp_gt_i64_e32 vcc, 0, v[6:7]
	v_not_b32_e32 v6, v7
	v_ashrrev_i32_e32 v6, 31, v6
	v_xor_b32_e32 v7, vcc_hi, v6
	v_xor_b32_e32 v6, vcc_lo, v6
	v_and_b32_e32 v4, v4, v7
	v_and_b32_e32 v39, v39, v6
	v_lshlrev_b32_e32 v7, 28, v23
	v_mov_b32_e32 v6, v5
	v_cmp_gt_i64_e32 vcc, 0, v[6:7]
	v_not_b32_e32 v6, v7
	v_ashrrev_i32_e32 v6, 31, v6
	;; [unrolled: 9-line block ×5, first 2 shown]
	v_xor_b32_e32 v7, vcc_hi, v6
	v_xor_b32_e32 v6, vcc_lo, v6
	v_and_b32_e32 v4, v4, v7
	v_lshlrev_b32_e32 v7, 24, v23
	v_and_b32_e32 v39, v39, v6
	v_mov_b32_e32 v6, v5
	v_not_b32_e32 v5, v7
	v_cmp_gt_i64_e32 vcc, 0, v[6:7]
	v_ashrrev_i32_e32 v5, 31, v5
	; wave barrier
	s_nop 0
	v_xor_b32_e32 v6, vcc_hi, v5
	v_xor_b32_e32 v7, vcc_lo, v5
	v_and_b32_e32 v5, v4, v6
	v_and_b32_e32 v4, v39, v7
	v_mbcnt_lo_u32_b32 v6, v4, 0
	v_mbcnt_hi_u32_b32 v39, v5, v6
	v_cmp_eq_u32_e32 vcc, 0, v39
	v_cmp_ne_u64_e64 s[0:1], 0, v[4:5]
	s_and_b64 s[2:3], s[0:1], vcc
	s_and_saveexec_b64 s[0:1], s[2:3]
	s_cbranch_execz .LBB324_145
; %bb.144:
	v_bcnt_u32_b32 v4, v4, 0
	v_bcnt_u32_b32 v4, v5, v4
	s_waitcnt lgkmcnt(0)
	v_add_u32_e32 v4, v24, v4
	ds_write_b32 v40, v4 offset:64
.LBB324_145:
	s_or_b64 exec, exec, s[0:1]
	; wave barrier
	s_waitcnt lgkmcnt(0)
	s_barrier
	ds_read2_b32 v[6:7], v11 offset0:16 offset1:17
	ds_read2_b32 v[4:5], v11 offset0:18 offset1:19
	ds_read_b32 v23, v11 offset:80
	v_cmp_lt_u32_e64 s[6:7], 31, v10
	s_waitcnt lgkmcnt(1)
	v_add3_u32 v41, v7, v6, v4
	s_waitcnt lgkmcnt(0)
	v_add3_u32 v23, v41, v5, v23
	v_and_b32_e32 v41, 15, v10
	v_cmp_eq_u32_e32 vcc, 0, v41
	v_mov_b32_dpp v42, v23 row_shr:1 row_mask:0xf bank_mask:0xf
	v_cmp_lt_u32_e64 s[0:1], 1, v41
	v_cndmask_b32_e64 v42, v42, 0, vcc
	v_add_u32_e32 v23, v42, v23
	v_cmp_lt_u32_e64 s[2:3], 3, v41
	v_cmp_lt_u32_e64 s[4:5], 7, v41
	v_mov_b32_dpp v42, v23 row_shr:2 row_mask:0xf bank_mask:0xf
	v_cndmask_b32_e64 v42, 0, v42, s[0:1]
	v_add_u32_e32 v23, v23, v42
	s_nop 1
	v_mov_b32_dpp v42, v23 row_shr:4 row_mask:0xf bank_mask:0xf
	v_cndmask_b32_e64 v42, 0, v42, s[2:3]
	v_add_u32_e32 v23, v23, v42
	s_nop 1
	v_mov_b32_dpp v42, v23 row_shr:8 row_mask:0xf bank_mask:0xf
	v_cndmask_b32_e64 v41, 0, v42, s[4:5]
	v_add_u32_e32 v23, v23, v41
	v_bfe_i32 v42, v10, 4, 1
	s_nop 0
	v_mov_b32_dpp v41, v23 row_bcast:15 row_mask:0xf bank_mask:0xf
	v_and_b32_e32 v41, v42, v41
	v_add_u32_e32 v23, v23, v41
	v_lshrrev_b32_e32 v42, 6, v8
	s_nop 0
	v_mov_b32_dpp v41, v23 row_bcast:31 row_mask:0xf bank_mask:0xf
	v_cndmask_b32_e64 v41, 0, v41, s[6:7]
	v_add_u32_e32 v41, v23, v41
	v_and_b32_e32 v23, 63, v8
	v_cmp_eq_u32_e64 s[6:7], 63, v23
	s_and_saveexec_b64 s[10:11], s[6:7]
; %bb.146:
	v_lshlrev_b32_e32 v23, 2, v42
	ds_write_b32 v23, v41
; %bb.147:
	s_or_b64 exec, exec, s[10:11]
	v_cmp_gt_u32_e64 s[6:7], 16, v8
	v_lshlrev_b32_e32 v23, 2, v8
	s_waitcnt lgkmcnt(0)
	s_barrier
	s_and_saveexec_b64 s[10:11], s[6:7]
	s_cbranch_execz .LBB324_149
; %bb.148:
	ds_read_b32 v43, v23
	s_waitcnt lgkmcnt(0)
	s_nop 0
	v_mov_b32_dpp v44, v43 row_shr:1 row_mask:0xf bank_mask:0xf
	v_cndmask_b32_e64 v44, v44, 0, vcc
	v_add_u32_e32 v43, v44, v43
	s_nop 1
	v_mov_b32_dpp v44, v43 row_shr:2 row_mask:0xf bank_mask:0xf
	v_cndmask_b32_e64 v44, 0, v44, s[0:1]
	v_add_u32_e32 v43, v43, v44
	s_nop 1
	v_mov_b32_dpp v44, v43 row_shr:4 row_mask:0xf bank_mask:0xf
	v_cndmask_b32_e64 v44, 0, v44, s[2:3]
	;; [unrolled: 4-line block ×3, first 2 shown]
	v_add_u32_e32 v43, v43, v44
	ds_write_b32 v23, v43
.LBB324_149:
	s_or_b64 exec, exec, s[10:11]
	v_cmp_lt_u32_e32 vcc, 63, v8
	v_mov_b32_e32 v43, 0
	s_waitcnt lgkmcnt(0)
	s_barrier
	s_and_saveexec_b64 s[0:1], vcc
; %bb.150:
	v_lshl_add_u32 v42, v42, 2, -4
	ds_read_b32 v43, v42
; %bb.151:
	s_or_b64 exec, exec, s[0:1]
	v_subrev_co_u32_e32 v42, vcc, 1, v10
	v_and_b32_e32 v44, 64, v10
	v_cmp_lt_i32_e64 s[0:1], v42, v44
	s_waitcnt lgkmcnt(0)
	v_add_u32_e32 v41, v43, v41
	s_movk_i32 s2, 0x100
	v_cndmask_b32_e64 v10, v42, v10, s[0:1]
	v_lshlrev_b32_e32 v10, 2, v10
	ds_bpermute_b32 v10, v10, v41
	s_movk_i32 s0, 0xff
	v_cmp_lt_u32_e64 s[0:1], s0, v8
	s_waitcnt lgkmcnt(0)
	v_cndmask_b32_e32 v10, v10, v43, vcc
	v_cndmask_b32_e64 v10, v10, 0, s[20:21]
	v_add_u32_e32 v6, v10, v6
	v_add_u32_e32 v7, v6, v7
	v_add_u32_e32 v4, v7, v4
	v_add_u32_e32 v5, v4, v5
	ds_write2_b32 v11, v10, v6 offset0:16 offset1:17
	ds_write2_b32 v11, v7, v4 offset0:18 offset1:19
	ds_write_b32 v11, v5 offset:80
	s_waitcnt lgkmcnt(0)
	s_barrier
	ds_read_b32 v44, v15 offset:64
	ds_read_b32 v41, v19 offset:64
	;; [unrolled: 1-line block ×8, first 2 shown]
	v_cmp_gt_u32_e32 vcc, s2, v8
                                        ; implicit-def: $vgpr15
                                        ; implicit-def: $vgpr19
	s_and_saveexec_b64 s[4:5], vcc
	s_cbranch_execz .LBB324_155
; %bb.152:
	v_mul_u32_u24_e32 v4, 0x44, v8
	ds_read_b32 v15, v4 offset:64
	v_add_u32_e32 v5, 1, v8
	v_cmp_ne_u32_e64 s[2:3], s2, v5
	v_mov_b32_e32 v4, 0x2000
	s_and_saveexec_b64 s[6:7], s[2:3]
; %bb.153:
	v_mul_u32_u24_e32 v4, 0x44, v5
	ds_read_b32 v4, v4 offset:64
; %bb.154:
	s_or_b64 exec, exec, s[6:7]
	s_waitcnt lgkmcnt(0)
	v_sub_u32_e32 v19, v4, v15
.LBB324_155:
	s_or_b64 exec, exec, s[4:5]
	v_mov_b32_e32 v5, 0
	s_waitcnt lgkmcnt(0)
	s_barrier
	s_and_saveexec_b64 s[2:3], vcc
	s_cbranch_execz .LBB324_165
; %bb.156:
	v_lshl_add_u32 v4, s33, 8, v8
	v_lshl_add_u64 v[6:7], v[4:5], 2, s[38:39]
	v_or_b32_e32 v4, 2.0, v19
	s_mov_b64 s[4:5], 0
	s_brev_b32 s14, -4
	s_mov_b32 s15, s33
	v_mov_b32_e32 v38, 0
	global_store_dword v[6:7], v4, off sc1
                                        ; implicit-def: $sgpr6_sgpr7
	s_branch .LBB324_159
.LBB324_157:                            ;   in Loop: Header=BB324_159 Depth=1
	s_or_b64 exec, exec, s[10:11]
.LBB324_158:                            ;   in Loop: Header=BB324_159 Depth=1
	s_or_b64 exec, exec, s[6:7]
	v_and_b32_e32 v10, 0x3fffffff, v4
	v_add_u32_e32 v38, v10, v38
	v_cmp_gt_i32_e64 s[6:7], -2.0, v4
	s_and_b64 s[10:11], exec, s[6:7]
	s_or_b64 s[4:5], s[10:11], s[4:5]
	s_andn2_b64 exec, exec, s[4:5]
	s_cbranch_execz .LBB324_164
.LBB324_159:                            ; =>This Loop Header: Depth=1
                                        ;     Child Loop BB324_162 Depth 2
	s_or_b64 s[6:7], s[6:7], exec
	s_cmp_eq_u32 s15, 0
	s_cbranch_scc1 .LBB324_163
; %bb.160:                              ;   in Loop: Header=BB324_159 Depth=1
	s_add_i32 s15, s15, -1
	v_lshl_or_b32 v4, s15, 8, v8
	v_lshl_add_u64 v[10:11], v[4:5], 2, s[38:39]
	global_load_dword v4, v[10:11], off sc1
	s_waitcnt vmcnt(0)
	v_cmp_gt_u32_e32 vcc, 2.0, v4
	s_and_saveexec_b64 s[6:7], vcc
	s_cbranch_execz .LBB324_158
; %bb.161:                              ;   in Loop: Header=BB324_159 Depth=1
	s_mov_b64 s[10:11], 0
.LBB324_162:                            ;   Parent Loop BB324_159 Depth=1
                                        ; =>  This Inner Loop Header: Depth=2
	global_load_dword v4, v[10:11], off sc1
	s_waitcnt vmcnt(0)
	v_cmp_lt_u32_e32 vcc, s14, v4
	s_or_b64 s[10:11], vcc, s[10:11]
	s_andn2_b64 exec, exec, s[10:11]
	s_cbranch_execnz .LBB324_162
	s_branch .LBB324_157
.LBB324_163:                            ;   in Loop: Header=BB324_159 Depth=1
                                        ; implicit-def: $sgpr15
	s_and_b64 s[10:11], exec, s[6:7]
	s_or_b64 s[4:5], s[10:11], s[4:5]
	s_andn2_b64 exec, exec, s[4:5]
	s_cbranch_execnz .LBB324_159
.LBB324_164:
	s_or_b64 exec, exec, s[4:5]
	v_add_u32_e32 v4, v38, v19
	v_or_b32_e32 v4, 0x80000000, v4
	global_store_dword v[6:7], v4, off sc1
	global_load_dword v4, v23, s[48:49]
	v_sub_u32_e32 v5, v38, v15
	s_waitcnt vmcnt(0)
	v_add_u32_e32 v4, v5, v4
	ds_write_b32 v23, v4
.LBB324_165:
	s_or_b64 exec, exec, s[2:3]
	v_add_u32_e32 v4, v39, v24
	v_add_u32_e32 v5, v37, v35
	;; [unrolled: 1-line block ×8, first 2 shown]
	s_mov_b32 s6, 16
	s_mov_b32 s7, s52
	;; [unrolled: 1-line block ×3, first 2 shown]
	v_add_lshl_u32 v7, v4, v36, 2
	v_add3_u32 v10, v39, v36, v24
	v_add_lshl_u32 v11, v5, v29, 2
	v_add3_u32 v12, v37, v29, v35
	;; [unrolled: 2-line block ×7, first 2 shown]
	v_lshlrev_b32_e32 v16, 2, v6
	s_mov_b32 s20, 0
	s_mov_b64 s[2:3], -1
	s_mov_b32 s11, 0
	s_movk_i32 s14, 0x1000
	v_bfrev_b32_e32 v32, 1
	s_brev_b32 s15, -2
	v_mov_b32_e32 v5, 0
	s_movk_i32 s16, 0x400
	s_movk_i32 s17, 0x800
	;; [unrolled: 1-line block ×3, first 2 shown]
	s_mov_b32 s19, 0
	v_mov_b32_e32 v33, v8
	s_branch .LBB324_167
.LBB324_166:                            ;   in Loop: Header=BB324_167 Depth=1
	s_or_b64 exec, exec, s[4:5]
	s_waitcnt lgkmcnt(0)
	s_barrier
	ds_read2st64_b32 v[34:35], v23 offset0:4 offset1:20
	ds_read2st64_b32 v[38:39], v23 offset0:36 offset1:52
	s_xor_b64 s[4:5], s[2:3], -1
	s_addk_i32 s19, 0xc000
	s_addk_i32 s11, 0xf000
	s_waitcnt lgkmcnt(1)
	v_cmp_lt_i32_e32 vcc, -1, v34
	s_mov_b64 s[2:3], 0
	s_nop 0
	v_cndmask_b32_e64 v4, v32, -1, vcc
	v_cmp_lt_i32_e32 vcc, -1, v35
	v_xor_b32_e32 v42, v4, v34
	s_nop 0
	v_cndmask_b32_e64 v4, v32, -1, vcc
	v_cmp_ne_u32_e32 vcc, s15, v34
	v_xor_b32_e32 v43, v4, v35
	s_nop 0
	v_cndmask_b32_e32 v4, v32, v34, vcc
	v_cmp_ne_u32_e32 vcc, s15, v35
	v_lshrrev_b32_e32 v4, s52, v4
	s_nop 0
	v_cndmask_b32_e32 v34, v32, v35, vcc
	v_lshrrev_b32_e32 v34, s7, v34
	s_waitcnt lgkmcnt(0)
	v_cmp_ne_u32_e32 vcc, s15, v38
	v_and_b32_e32 v35, s10, v34
	v_and_b32_e32 v34, s13, v4
	v_cndmask_b32_e32 v36, v32, v38, vcc
	v_cmp_ne_u32_e32 vcc, s15, v39
	v_lshlrev_b32_e32 v4, 2, v34
	ds_read_b32 v4, v4
	v_cndmask_b32_e32 v37, v32, v39, vcc
	v_lshrrev_b32_e32 v37, s7, v37
	v_lshrrev_b32_e32 v36, s52, v36
	v_and_b32_e32 v37, s10, v37
	v_lshlrev_b32_e32 v40, 2, v35
	v_and_b32_e32 v36, s13, v36
	v_lshlrev_b32_e32 v44, 2, v37
	v_lshlrev_b32_e32 v41, 2, v36
	ds_read_b32 v45, v40
	ds_read_b32 v46, v41
	;; [unrolled: 1-line block ×3, first 2 shown]
	s_waitcnt lgkmcnt(3)
	v_add_u32_e32 v4, v33, v4
	v_lshl_add_u64 v[40:41], v[4:5], 2, s[42:43]
	s_waitcnt lgkmcnt(2)
	v_add3_u32 v4, v33, v45, s16
	v_cmp_lt_i32_e32 vcc, -1, v38
	global_store_dword v[40:41], v42, off
	v_lshl_add_u64 v[40:41], v[4:5], 2, s[42:43]
	v_cndmask_b32_e64 v4, v32, -1, vcc
	v_cmp_lt_i32_e32 vcc, -1, v39
	global_store_dword v[40:41], v43, off
	v_xor_b32_e32 v40, v4, v38
	v_cndmask_b32_e64 v4, v32, -1, vcc
	v_xor_b32_e32 v41, v4, v39
	s_waitcnt lgkmcnt(1)
	v_add3_u32 v4, v33, v46, s17
	v_lshl_add_u64 v[38:39], v[4:5], 2, s[42:43]
	s_waitcnt lgkmcnt(0)
	v_add3_u32 v4, v33, v44, s18
	global_store_dword v[38:39], v40, off
	v_lshl_add_u64 v[38:39], v[4:5], 2, s[42:43]
	global_store_dword v[38:39], v41, off
	scratch_store_dwordx4 off, v[34:37], s20
	v_add_u32_e32 v33, 0x1000, v33
	s_and_b64 vcc, exec, s[4:5]
	s_mov_b32 s20, s6
	s_barrier
	s_cbranch_vccnz .LBB324_183
.LBB324_167:                            ; =>This Inner Loop Header: Depth=1
	v_add_u32_e32 v4, s11, v6
	v_cmp_gt_u32_e32 vcc, s14, v4
	s_and_saveexec_b64 s[4:5], vcc
; %bb.168:                              ;   in Loop: Header=BB324_167 Depth=1
	v_add_u32_e32 v4, s19, v16
	ds_write_b32 v4, v1 offset:1024
; %bb.169:                              ;   in Loop: Header=BB324_167 Depth=1
	s_or_b64 exec, exec, s[4:5]
	v_add_u32_e32 v4, s11, v13
	v_cmp_gt_u32_e32 vcc, s14, v4
	s_and_saveexec_b64 s[4:5], vcc
; %bb.170:                              ;   in Loop: Header=BB324_167 Depth=1
	v_add_u32_e32 v4, s19, v20
	ds_write_b32 v4, v3 offset:1024
; %bb.171:                              ;   in Loop: Header=BB324_167 Depth=1
	s_or_b64 exec, exec, s[4:5]
	;; [unrolled: 8-line block ×7, first 2 shown]
	v_add_u32_e32 v4, s11, v10
	v_cmp_gt_u32_e32 vcc, s14, v4
	s_and_saveexec_b64 s[4:5], vcc
	s_cbranch_execz .LBB324_166
; %bb.182:                              ;   in Loop: Header=BB324_167 Depth=1
	v_add_u32_e32 v4, s19, v7
	ds_write_b32 v4, v31 offset:1024
	s_branch .LBB324_166
.LBB324_183:
	s_add_u32 s2, s44, s8
	s_addc_u32 s3, s45, s9
	v_mov_b32_e32 v1, 0
	v_lshl_add_u64 v[4:5], s[2:3], 0, v[0:1]
	v_mov_b32_e32 v3, v1
	v_lshl_add_u64 v[32:33], v[4:5], 0, v[2:3]
	global_load_dword v2, v[32:33], off
	global_load_dword v3, v[32:33], off offset:256
	global_load_dword v4, v[32:33], off offset:512
	;; [unrolled: 1-line block ×7, first 2 shown]
	s_mov_b32 s14, 0
	s_mov_b64 s[2:3], -1
	s_mov_b32 s7, 0
	s_movk_i32 s8, 0x1000
	s_movk_i32 s9, 0x400
	;; [unrolled: 1-line block ×4, first 2 shown]
	s_mov_b32 s13, 0
	s_branch .LBB324_185
.LBB324_184:                            ;   in Loop: Header=BB324_185 Depth=1
	s_or_b64 exec, exec, s[4:5]
	s_waitcnt lgkmcnt(0)
	s_barrier
	scratch_load_dwordx4 v[32:35], off, s14
	ds_read2st64_b32 v[36:37], v23 offset0:4 offset1:20
	ds_read2st64_b32 v[38:39], v23 offset0:36 offset1:52
	s_xor_b64 s[4:5], s[2:3], -1
	s_addk_i32 s13, 0xc000
	s_addk_i32 s7, 0xf000
	s_mov_b64 s[2:3], 0
	s_mov_b32 s14, s6
	s_and_b64 vcc, exec, s[4:5]
	s_waitcnt vmcnt(0)
	v_lshlrev_b32_e32 v0, 2, v32
	ds_read_b32 v0, v0
	v_lshlrev_b32_e32 v27, 2, v33
	v_lshlrev_b32_e32 v31, 2, v34
	;; [unrolled: 1-line block ×3, first 2 shown]
	ds_read_b32 v27, v27
	ds_read_b32 v31, v31
	;; [unrolled: 1-line block ×3, first 2 shown]
	s_waitcnt lgkmcnt(3)
	v_add_u32_e32 v0, v8, v0
	v_lshl_add_u64 v[32:33], v[0:1], 2, s[46:47]
	s_waitcnt lgkmcnt(2)
	v_add3_u32 v0, v8, v27, s9
	global_store_dword v[32:33], v36, off
	v_lshl_add_u64 v[32:33], v[0:1], 2, s[46:47]
	s_waitcnt lgkmcnt(1)
	v_add3_u32 v0, v8, v31, s10
	global_store_dword v[32:33], v37, off
	v_lshl_add_u64 v[32:33], v[0:1], 2, s[46:47]
	s_waitcnt lgkmcnt(0)
	v_add3_u32 v0, v8, v34, s11
	v_add_u32_e32 v8, 0x1000, v8
	global_store_dword v[32:33], v38, off
	v_lshl_add_u64 v[32:33], v[0:1], 2, s[46:47]
	global_store_dword v[32:33], v39, off
	s_barrier
	s_cbranch_vccnz .LBB324_201
.LBB324_185:                            ; =>This Inner Loop Header: Depth=1
	v_add_u32_e32 v0, s7, v6
	v_cmp_gt_u32_e32 vcc, s8, v0
	s_and_saveexec_b64 s[4:5], vcc
	s_cbranch_execz .LBB324_187
; %bb.186:                              ;   in Loop: Header=BB324_185 Depth=1
	v_add_u32_e32 v0, s13, v16
	s_waitcnt vmcnt(7)
	ds_write_b32 v0, v2 offset:1024
.LBB324_187:                            ;   in Loop: Header=BB324_185 Depth=1
	s_or_b64 exec, exec, s[4:5]
	v_add_u32_e32 v0, s7, v13
	v_cmp_gt_u32_e32 vcc, s8, v0
	s_and_saveexec_b64 s[4:5], vcc
	s_cbranch_execz .LBB324_189
; %bb.188:                              ;   in Loop: Header=BB324_185 Depth=1
	v_add_u32_e32 v0, s13, v20
	s_waitcnt vmcnt(6)
	ds_write_b32 v0, v3 offset:1024
.LBB324_189:                            ;   in Loop: Header=BB324_185 Depth=1
	s_or_b64 exec, exec, s[4:5]
	v_add_u32_e32 v0, s7, v18
	v_cmp_gt_u32_e32 vcc, s8, v0
	s_and_saveexec_b64 s[4:5], vcc
	s_cbranch_execz .LBB324_191
; %bb.190:                              ;   in Loop: Header=BB324_185 Depth=1
	v_add_u32_e32 v0, s13, v26
	s_waitcnt vmcnt(5)
	ds_write_b32 v0, v4 offset:1024
.LBB324_191:                            ;   in Loop: Header=BB324_185 Depth=1
	s_or_b64 exec, exec, s[4:5]
	v_add_u32_e32 v0, s7, v22
	v_cmp_gt_u32_e32 vcc, s8, v0
	s_and_saveexec_b64 s[4:5], vcc
	s_cbranch_execz .LBB324_193
; %bb.192:                              ;   in Loop: Header=BB324_185 Depth=1
	v_add_u32_e32 v0, s13, v30
	s_waitcnt vmcnt(4)
	ds_write_b32 v0, v5 offset:1024
.LBB324_193:                            ;   in Loop: Header=BB324_185 Depth=1
	s_or_b64 exec, exec, s[4:5]
	v_add_u32_e32 v0, s7, v28
	v_cmp_gt_u32_e32 vcc, s8, v0
	s_and_saveexec_b64 s[4:5], vcc
	s_cbranch_execz .LBB324_195
; %bb.194:                              ;   in Loop: Header=BB324_185 Depth=1
	v_add_u32_e32 v0, s13, v29
	s_waitcnt vmcnt(3)
	ds_write_b32 v0, v9 offset:1024
.LBB324_195:                            ;   in Loop: Header=BB324_185 Depth=1
	s_or_b64 exec, exec, s[4:5]
	v_add_u32_e32 v0, s7, v25
	v_cmp_gt_u32_e32 vcc, s8, v0
	s_and_saveexec_b64 s[4:5], vcc
	s_cbranch_execz .LBB324_197
; %bb.196:                              ;   in Loop: Header=BB324_185 Depth=1
	v_add_u32_e32 v0, s13, v24
	s_waitcnt vmcnt(2)
	ds_write_b32 v0, v14 offset:1024
.LBB324_197:                            ;   in Loop: Header=BB324_185 Depth=1
	s_or_b64 exec, exec, s[4:5]
	v_add_u32_e32 v0, s7, v12
	v_cmp_gt_u32_e32 vcc, s8, v0
	s_and_saveexec_b64 s[4:5], vcc
	s_cbranch_execz .LBB324_199
; %bb.198:                              ;   in Loop: Header=BB324_185 Depth=1
	v_add_u32_e32 v0, s13, v11
	s_waitcnt vmcnt(1)
	ds_write_b32 v0, v17 offset:1024
.LBB324_199:                            ;   in Loop: Header=BB324_185 Depth=1
	s_or_b64 exec, exec, s[4:5]
	v_add_u32_e32 v0, s7, v10
	v_cmp_gt_u32_e32 vcc, s8, v0
	s_and_saveexec_b64 s[4:5], vcc
	s_cbranch_execz .LBB324_184
; %bb.200:                              ;   in Loop: Header=BB324_185 Depth=1
	v_add_u32_e32 v0, s13, v7
	s_waitcnt vmcnt(0)
	ds_write_b32 v0, v21 offset:1024
	s_branch .LBB324_184
.LBB324_201:
	s_add_i32 s12, s12, -1
	s_cmp_eq_u32 s33, s12
	s_cselect_b64 s[2:3], -1, 0
	s_xor_b64 s[0:1], s[0:1], -1
	s_and_b64 s[0:1], s[0:1], s[2:3]
	s_and_saveexec_b64 s[2:3], s[0:1]
	s_cbranch_execz .LBB324_203
; %bb.202:
	ds_read_b32 v0, v23
	s_waitcnt lgkmcnt(0)
	v_add3_u32 v0, v15, v19, v0
	global_store_dword v23, v0, s[50:51]
.LBB324_203:
	s_endpgm
	.section	.rodata,"a",@progbits
	.p2align	6, 0x0
	.amdhsa_kernel _ZN7rocprim17ROCPRIM_400000_NS6detail17trampoline_kernelINS0_14default_configENS1_35radix_sort_onesweep_config_selectorIffEEZZNS1_29radix_sort_onesweep_iterationIS3_Lb0EN6thrust23THRUST_200600_302600_NS6detail15normal_iteratorINS8_10device_ptrIfEEEESD_SD_SD_jNS0_19identity_decomposerENS1_16block_id_wrapperIjLb1EEEEE10hipError_tT1_PNSt15iterator_traitsISI_E10value_typeET2_T3_PNSJ_ISO_E10value_typeET4_T5_PST_SU_PNS1_23onesweep_lookback_stateEbbT6_jjT7_P12ihipStream_tbENKUlT_T0_SI_SN_E_clIPfSD_S15_SD_EEDaS11_S12_SI_SN_EUlS11_E_NS1_11comp_targetILNS1_3genE6ELNS1_11target_archE950ELNS1_3gpuE13ELNS1_3repE0EEENS1_47radix_sort_onesweep_sort_config_static_selectorELNS0_4arch9wavefront6targetE1EEEvSI_
		.amdhsa_group_segment_fixed_size 53328
		.amdhsa_private_segment_fixed_size 48
		.amdhsa_kernarg_size 344
		.amdhsa_user_sgpr_count 4
		.amdhsa_user_sgpr_dispatch_ptr 1
		.amdhsa_user_sgpr_queue_ptr 0
		.amdhsa_user_sgpr_kernarg_segment_ptr 1
		.amdhsa_user_sgpr_dispatch_id 0
		.amdhsa_user_sgpr_kernarg_preload_length 0
		.amdhsa_user_sgpr_kernarg_preload_offset 0
		.amdhsa_user_sgpr_private_segment_size 0
		.amdhsa_uses_dynamic_stack 0
		.amdhsa_enable_private_segment 1
		.amdhsa_system_sgpr_workgroup_id_x 1
		.amdhsa_system_sgpr_workgroup_id_y 0
		.amdhsa_system_sgpr_workgroup_id_z 0
		.amdhsa_system_sgpr_workgroup_info 0
		.amdhsa_system_vgpr_workitem_id 2
		.amdhsa_next_free_vgpr 53
		.amdhsa_next_free_sgpr 60
		.amdhsa_accum_offset 56
		.amdhsa_reserve_vcc 1
		.amdhsa_float_round_mode_32 0
		.amdhsa_float_round_mode_16_64 0
		.amdhsa_float_denorm_mode_32 3
		.amdhsa_float_denorm_mode_16_64 3
		.amdhsa_dx10_clamp 1
		.amdhsa_ieee_mode 1
		.amdhsa_fp16_overflow 0
		.amdhsa_tg_split 0
		.amdhsa_exception_fp_ieee_invalid_op 0
		.amdhsa_exception_fp_denorm_src 0
		.amdhsa_exception_fp_ieee_div_zero 0
		.amdhsa_exception_fp_ieee_overflow 0
		.amdhsa_exception_fp_ieee_underflow 0
		.amdhsa_exception_fp_ieee_inexact 0
		.amdhsa_exception_int_div_zero 0
	.end_amdhsa_kernel
	.section	.text._ZN7rocprim17ROCPRIM_400000_NS6detail17trampoline_kernelINS0_14default_configENS1_35radix_sort_onesweep_config_selectorIffEEZZNS1_29radix_sort_onesweep_iterationIS3_Lb0EN6thrust23THRUST_200600_302600_NS6detail15normal_iteratorINS8_10device_ptrIfEEEESD_SD_SD_jNS0_19identity_decomposerENS1_16block_id_wrapperIjLb1EEEEE10hipError_tT1_PNSt15iterator_traitsISI_E10value_typeET2_T3_PNSJ_ISO_E10value_typeET4_T5_PST_SU_PNS1_23onesweep_lookback_stateEbbT6_jjT7_P12ihipStream_tbENKUlT_T0_SI_SN_E_clIPfSD_S15_SD_EEDaS11_S12_SI_SN_EUlS11_E_NS1_11comp_targetILNS1_3genE6ELNS1_11target_archE950ELNS1_3gpuE13ELNS1_3repE0EEENS1_47radix_sort_onesweep_sort_config_static_selectorELNS0_4arch9wavefront6targetE1EEEvSI_,"axG",@progbits,_ZN7rocprim17ROCPRIM_400000_NS6detail17trampoline_kernelINS0_14default_configENS1_35radix_sort_onesweep_config_selectorIffEEZZNS1_29radix_sort_onesweep_iterationIS3_Lb0EN6thrust23THRUST_200600_302600_NS6detail15normal_iteratorINS8_10device_ptrIfEEEESD_SD_SD_jNS0_19identity_decomposerENS1_16block_id_wrapperIjLb1EEEEE10hipError_tT1_PNSt15iterator_traitsISI_E10value_typeET2_T3_PNSJ_ISO_E10value_typeET4_T5_PST_SU_PNS1_23onesweep_lookback_stateEbbT6_jjT7_P12ihipStream_tbENKUlT_T0_SI_SN_E_clIPfSD_S15_SD_EEDaS11_S12_SI_SN_EUlS11_E_NS1_11comp_targetILNS1_3genE6ELNS1_11target_archE950ELNS1_3gpuE13ELNS1_3repE0EEENS1_47radix_sort_onesweep_sort_config_static_selectorELNS0_4arch9wavefront6targetE1EEEvSI_,comdat
.Lfunc_end324:
	.size	_ZN7rocprim17ROCPRIM_400000_NS6detail17trampoline_kernelINS0_14default_configENS1_35radix_sort_onesweep_config_selectorIffEEZZNS1_29radix_sort_onesweep_iterationIS3_Lb0EN6thrust23THRUST_200600_302600_NS6detail15normal_iteratorINS8_10device_ptrIfEEEESD_SD_SD_jNS0_19identity_decomposerENS1_16block_id_wrapperIjLb1EEEEE10hipError_tT1_PNSt15iterator_traitsISI_E10value_typeET2_T3_PNSJ_ISO_E10value_typeET4_T5_PST_SU_PNS1_23onesweep_lookback_stateEbbT6_jjT7_P12ihipStream_tbENKUlT_T0_SI_SN_E_clIPfSD_S15_SD_EEDaS11_S12_SI_SN_EUlS11_E_NS1_11comp_targetILNS1_3genE6ELNS1_11target_archE950ELNS1_3gpuE13ELNS1_3repE0EEENS1_47radix_sort_onesweep_sort_config_static_selectorELNS0_4arch9wavefront6targetE1EEEvSI_, .Lfunc_end324-_ZN7rocprim17ROCPRIM_400000_NS6detail17trampoline_kernelINS0_14default_configENS1_35radix_sort_onesweep_config_selectorIffEEZZNS1_29radix_sort_onesweep_iterationIS3_Lb0EN6thrust23THRUST_200600_302600_NS6detail15normal_iteratorINS8_10device_ptrIfEEEESD_SD_SD_jNS0_19identity_decomposerENS1_16block_id_wrapperIjLb1EEEEE10hipError_tT1_PNSt15iterator_traitsISI_E10value_typeET2_T3_PNSJ_ISO_E10value_typeET4_T5_PST_SU_PNS1_23onesweep_lookback_stateEbbT6_jjT7_P12ihipStream_tbENKUlT_T0_SI_SN_E_clIPfSD_S15_SD_EEDaS11_S12_SI_SN_EUlS11_E_NS1_11comp_targetILNS1_3genE6ELNS1_11target_archE950ELNS1_3gpuE13ELNS1_3repE0EEENS1_47radix_sort_onesweep_sort_config_static_selectorELNS0_4arch9wavefront6targetE1EEEvSI_
                                        ; -- End function
	.set _ZN7rocprim17ROCPRIM_400000_NS6detail17trampoline_kernelINS0_14default_configENS1_35radix_sort_onesweep_config_selectorIffEEZZNS1_29radix_sort_onesweep_iterationIS3_Lb0EN6thrust23THRUST_200600_302600_NS6detail15normal_iteratorINS8_10device_ptrIfEEEESD_SD_SD_jNS0_19identity_decomposerENS1_16block_id_wrapperIjLb1EEEEE10hipError_tT1_PNSt15iterator_traitsISI_E10value_typeET2_T3_PNSJ_ISO_E10value_typeET4_T5_PST_SU_PNS1_23onesweep_lookback_stateEbbT6_jjT7_P12ihipStream_tbENKUlT_T0_SI_SN_E_clIPfSD_S15_SD_EEDaS11_S12_SI_SN_EUlS11_E_NS1_11comp_targetILNS1_3genE6ELNS1_11target_archE950ELNS1_3gpuE13ELNS1_3repE0EEENS1_47radix_sort_onesweep_sort_config_static_selectorELNS0_4arch9wavefront6targetE1EEEvSI_.num_vgpr, 53
	.set _ZN7rocprim17ROCPRIM_400000_NS6detail17trampoline_kernelINS0_14default_configENS1_35radix_sort_onesweep_config_selectorIffEEZZNS1_29radix_sort_onesweep_iterationIS3_Lb0EN6thrust23THRUST_200600_302600_NS6detail15normal_iteratorINS8_10device_ptrIfEEEESD_SD_SD_jNS0_19identity_decomposerENS1_16block_id_wrapperIjLb1EEEEE10hipError_tT1_PNSt15iterator_traitsISI_E10value_typeET2_T3_PNSJ_ISO_E10value_typeET4_T5_PST_SU_PNS1_23onesweep_lookback_stateEbbT6_jjT7_P12ihipStream_tbENKUlT_T0_SI_SN_E_clIPfSD_S15_SD_EEDaS11_S12_SI_SN_EUlS11_E_NS1_11comp_targetILNS1_3genE6ELNS1_11target_archE950ELNS1_3gpuE13ELNS1_3repE0EEENS1_47radix_sort_onesweep_sort_config_static_selectorELNS0_4arch9wavefront6targetE1EEEvSI_.num_agpr, 0
	.set _ZN7rocprim17ROCPRIM_400000_NS6detail17trampoline_kernelINS0_14default_configENS1_35radix_sort_onesweep_config_selectorIffEEZZNS1_29radix_sort_onesweep_iterationIS3_Lb0EN6thrust23THRUST_200600_302600_NS6detail15normal_iteratorINS8_10device_ptrIfEEEESD_SD_SD_jNS0_19identity_decomposerENS1_16block_id_wrapperIjLb1EEEEE10hipError_tT1_PNSt15iterator_traitsISI_E10value_typeET2_T3_PNSJ_ISO_E10value_typeET4_T5_PST_SU_PNS1_23onesweep_lookback_stateEbbT6_jjT7_P12ihipStream_tbENKUlT_T0_SI_SN_E_clIPfSD_S15_SD_EEDaS11_S12_SI_SN_EUlS11_E_NS1_11comp_targetILNS1_3genE6ELNS1_11target_archE950ELNS1_3gpuE13ELNS1_3repE0EEENS1_47radix_sort_onesweep_sort_config_static_selectorELNS0_4arch9wavefront6targetE1EEEvSI_.numbered_sgpr, 60
	.set _ZN7rocprim17ROCPRIM_400000_NS6detail17trampoline_kernelINS0_14default_configENS1_35radix_sort_onesweep_config_selectorIffEEZZNS1_29radix_sort_onesweep_iterationIS3_Lb0EN6thrust23THRUST_200600_302600_NS6detail15normal_iteratorINS8_10device_ptrIfEEEESD_SD_SD_jNS0_19identity_decomposerENS1_16block_id_wrapperIjLb1EEEEE10hipError_tT1_PNSt15iterator_traitsISI_E10value_typeET2_T3_PNSJ_ISO_E10value_typeET4_T5_PST_SU_PNS1_23onesweep_lookback_stateEbbT6_jjT7_P12ihipStream_tbENKUlT_T0_SI_SN_E_clIPfSD_S15_SD_EEDaS11_S12_SI_SN_EUlS11_E_NS1_11comp_targetILNS1_3genE6ELNS1_11target_archE950ELNS1_3gpuE13ELNS1_3repE0EEENS1_47radix_sort_onesweep_sort_config_static_selectorELNS0_4arch9wavefront6targetE1EEEvSI_.num_named_barrier, 0
	.set _ZN7rocprim17ROCPRIM_400000_NS6detail17trampoline_kernelINS0_14default_configENS1_35radix_sort_onesweep_config_selectorIffEEZZNS1_29radix_sort_onesweep_iterationIS3_Lb0EN6thrust23THRUST_200600_302600_NS6detail15normal_iteratorINS8_10device_ptrIfEEEESD_SD_SD_jNS0_19identity_decomposerENS1_16block_id_wrapperIjLb1EEEEE10hipError_tT1_PNSt15iterator_traitsISI_E10value_typeET2_T3_PNSJ_ISO_E10value_typeET4_T5_PST_SU_PNS1_23onesweep_lookback_stateEbbT6_jjT7_P12ihipStream_tbENKUlT_T0_SI_SN_E_clIPfSD_S15_SD_EEDaS11_S12_SI_SN_EUlS11_E_NS1_11comp_targetILNS1_3genE6ELNS1_11target_archE950ELNS1_3gpuE13ELNS1_3repE0EEENS1_47radix_sort_onesweep_sort_config_static_selectorELNS0_4arch9wavefront6targetE1EEEvSI_.private_seg_size, 48
	.set _ZN7rocprim17ROCPRIM_400000_NS6detail17trampoline_kernelINS0_14default_configENS1_35radix_sort_onesweep_config_selectorIffEEZZNS1_29radix_sort_onesweep_iterationIS3_Lb0EN6thrust23THRUST_200600_302600_NS6detail15normal_iteratorINS8_10device_ptrIfEEEESD_SD_SD_jNS0_19identity_decomposerENS1_16block_id_wrapperIjLb1EEEEE10hipError_tT1_PNSt15iterator_traitsISI_E10value_typeET2_T3_PNSJ_ISO_E10value_typeET4_T5_PST_SU_PNS1_23onesweep_lookback_stateEbbT6_jjT7_P12ihipStream_tbENKUlT_T0_SI_SN_E_clIPfSD_S15_SD_EEDaS11_S12_SI_SN_EUlS11_E_NS1_11comp_targetILNS1_3genE6ELNS1_11target_archE950ELNS1_3gpuE13ELNS1_3repE0EEENS1_47radix_sort_onesweep_sort_config_static_selectorELNS0_4arch9wavefront6targetE1EEEvSI_.uses_vcc, 1
	.set _ZN7rocprim17ROCPRIM_400000_NS6detail17trampoline_kernelINS0_14default_configENS1_35radix_sort_onesweep_config_selectorIffEEZZNS1_29radix_sort_onesweep_iterationIS3_Lb0EN6thrust23THRUST_200600_302600_NS6detail15normal_iteratorINS8_10device_ptrIfEEEESD_SD_SD_jNS0_19identity_decomposerENS1_16block_id_wrapperIjLb1EEEEE10hipError_tT1_PNSt15iterator_traitsISI_E10value_typeET2_T3_PNSJ_ISO_E10value_typeET4_T5_PST_SU_PNS1_23onesweep_lookback_stateEbbT6_jjT7_P12ihipStream_tbENKUlT_T0_SI_SN_E_clIPfSD_S15_SD_EEDaS11_S12_SI_SN_EUlS11_E_NS1_11comp_targetILNS1_3genE6ELNS1_11target_archE950ELNS1_3gpuE13ELNS1_3repE0EEENS1_47radix_sort_onesweep_sort_config_static_selectorELNS0_4arch9wavefront6targetE1EEEvSI_.uses_flat_scratch, 0
	.set _ZN7rocprim17ROCPRIM_400000_NS6detail17trampoline_kernelINS0_14default_configENS1_35radix_sort_onesweep_config_selectorIffEEZZNS1_29radix_sort_onesweep_iterationIS3_Lb0EN6thrust23THRUST_200600_302600_NS6detail15normal_iteratorINS8_10device_ptrIfEEEESD_SD_SD_jNS0_19identity_decomposerENS1_16block_id_wrapperIjLb1EEEEE10hipError_tT1_PNSt15iterator_traitsISI_E10value_typeET2_T3_PNSJ_ISO_E10value_typeET4_T5_PST_SU_PNS1_23onesweep_lookback_stateEbbT6_jjT7_P12ihipStream_tbENKUlT_T0_SI_SN_E_clIPfSD_S15_SD_EEDaS11_S12_SI_SN_EUlS11_E_NS1_11comp_targetILNS1_3genE6ELNS1_11target_archE950ELNS1_3gpuE13ELNS1_3repE0EEENS1_47radix_sort_onesweep_sort_config_static_selectorELNS0_4arch9wavefront6targetE1EEEvSI_.has_dyn_sized_stack, 0
	.set _ZN7rocprim17ROCPRIM_400000_NS6detail17trampoline_kernelINS0_14default_configENS1_35radix_sort_onesweep_config_selectorIffEEZZNS1_29radix_sort_onesweep_iterationIS3_Lb0EN6thrust23THRUST_200600_302600_NS6detail15normal_iteratorINS8_10device_ptrIfEEEESD_SD_SD_jNS0_19identity_decomposerENS1_16block_id_wrapperIjLb1EEEEE10hipError_tT1_PNSt15iterator_traitsISI_E10value_typeET2_T3_PNSJ_ISO_E10value_typeET4_T5_PST_SU_PNS1_23onesweep_lookback_stateEbbT6_jjT7_P12ihipStream_tbENKUlT_T0_SI_SN_E_clIPfSD_S15_SD_EEDaS11_S12_SI_SN_EUlS11_E_NS1_11comp_targetILNS1_3genE6ELNS1_11target_archE950ELNS1_3gpuE13ELNS1_3repE0EEENS1_47radix_sort_onesweep_sort_config_static_selectorELNS0_4arch9wavefront6targetE1EEEvSI_.has_recursion, 0
	.set _ZN7rocprim17ROCPRIM_400000_NS6detail17trampoline_kernelINS0_14default_configENS1_35radix_sort_onesweep_config_selectorIffEEZZNS1_29radix_sort_onesweep_iterationIS3_Lb0EN6thrust23THRUST_200600_302600_NS6detail15normal_iteratorINS8_10device_ptrIfEEEESD_SD_SD_jNS0_19identity_decomposerENS1_16block_id_wrapperIjLb1EEEEE10hipError_tT1_PNSt15iterator_traitsISI_E10value_typeET2_T3_PNSJ_ISO_E10value_typeET4_T5_PST_SU_PNS1_23onesweep_lookback_stateEbbT6_jjT7_P12ihipStream_tbENKUlT_T0_SI_SN_E_clIPfSD_S15_SD_EEDaS11_S12_SI_SN_EUlS11_E_NS1_11comp_targetILNS1_3genE6ELNS1_11target_archE950ELNS1_3gpuE13ELNS1_3repE0EEENS1_47radix_sort_onesweep_sort_config_static_selectorELNS0_4arch9wavefront6targetE1EEEvSI_.has_indirect_call, 0
	.section	.AMDGPU.csdata,"",@progbits
; Kernel info:
; codeLenInByte = 13876
; TotalNumSgprs: 66
; NumVgprs: 53
; NumAgprs: 0
; TotalNumVgprs: 53
; ScratchSize: 48
; MemoryBound: 0
; FloatMode: 240
; IeeeMode: 1
; LDSByteSize: 53328 bytes/workgroup (compile time only)
; SGPRBlocks: 8
; VGPRBlocks: 6
; NumSGPRsForWavesPerEU: 66
; NumVGPRsForWavesPerEU: 53
; AccumOffset: 56
; Occupancy: 8
; WaveLimiterHint : 1
; COMPUTE_PGM_RSRC2:SCRATCH_EN: 1
; COMPUTE_PGM_RSRC2:USER_SGPR: 4
; COMPUTE_PGM_RSRC2:TRAP_HANDLER: 0
; COMPUTE_PGM_RSRC2:TGID_X_EN: 1
; COMPUTE_PGM_RSRC2:TGID_Y_EN: 0
; COMPUTE_PGM_RSRC2:TGID_Z_EN: 0
; COMPUTE_PGM_RSRC2:TIDIG_COMP_CNT: 2
; COMPUTE_PGM_RSRC3_GFX90A:ACCUM_OFFSET: 13
; COMPUTE_PGM_RSRC3_GFX90A:TG_SPLIT: 0
	.section	.text._ZN7rocprim17ROCPRIM_400000_NS6detail17trampoline_kernelINS0_14default_configENS1_35radix_sort_onesweep_config_selectorIffEEZZNS1_29radix_sort_onesweep_iterationIS3_Lb0EN6thrust23THRUST_200600_302600_NS6detail15normal_iteratorINS8_10device_ptrIfEEEESD_SD_SD_jNS0_19identity_decomposerENS1_16block_id_wrapperIjLb1EEEEE10hipError_tT1_PNSt15iterator_traitsISI_E10value_typeET2_T3_PNSJ_ISO_E10value_typeET4_T5_PST_SU_PNS1_23onesweep_lookback_stateEbbT6_jjT7_P12ihipStream_tbENKUlT_T0_SI_SN_E_clIPfSD_S15_SD_EEDaS11_S12_SI_SN_EUlS11_E_NS1_11comp_targetILNS1_3genE5ELNS1_11target_archE942ELNS1_3gpuE9ELNS1_3repE0EEENS1_47radix_sort_onesweep_sort_config_static_selectorELNS0_4arch9wavefront6targetE1EEEvSI_,"axG",@progbits,_ZN7rocprim17ROCPRIM_400000_NS6detail17trampoline_kernelINS0_14default_configENS1_35radix_sort_onesweep_config_selectorIffEEZZNS1_29radix_sort_onesweep_iterationIS3_Lb0EN6thrust23THRUST_200600_302600_NS6detail15normal_iteratorINS8_10device_ptrIfEEEESD_SD_SD_jNS0_19identity_decomposerENS1_16block_id_wrapperIjLb1EEEEE10hipError_tT1_PNSt15iterator_traitsISI_E10value_typeET2_T3_PNSJ_ISO_E10value_typeET4_T5_PST_SU_PNS1_23onesweep_lookback_stateEbbT6_jjT7_P12ihipStream_tbENKUlT_T0_SI_SN_E_clIPfSD_S15_SD_EEDaS11_S12_SI_SN_EUlS11_E_NS1_11comp_targetILNS1_3genE5ELNS1_11target_archE942ELNS1_3gpuE9ELNS1_3repE0EEENS1_47radix_sort_onesweep_sort_config_static_selectorELNS0_4arch9wavefront6targetE1EEEvSI_,comdat
	.protected	_ZN7rocprim17ROCPRIM_400000_NS6detail17trampoline_kernelINS0_14default_configENS1_35radix_sort_onesweep_config_selectorIffEEZZNS1_29radix_sort_onesweep_iterationIS3_Lb0EN6thrust23THRUST_200600_302600_NS6detail15normal_iteratorINS8_10device_ptrIfEEEESD_SD_SD_jNS0_19identity_decomposerENS1_16block_id_wrapperIjLb1EEEEE10hipError_tT1_PNSt15iterator_traitsISI_E10value_typeET2_T3_PNSJ_ISO_E10value_typeET4_T5_PST_SU_PNS1_23onesweep_lookback_stateEbbT6_jjT7_P12ihipStream_tbENKUlT_T0_SI_SN_E_clIPfSD_S15_SD_EEDaS11_S12_SI_SN_EUlS11_E_NS1_11comp_targetILNS1_3genE5ELNS1_11target_archE942ELNS1_3gpuE9ELNS1_3repE0EEENS1_47radix_sort_onesweep_sort_config_static_selectorELNS0_4arch9wavefront6targetE1EEEvSI_ ; -- Begin function _ZN7rocprim17ROCPRIM_400000_NS6detail17trampoline_kernelINS0_14default_configENS1_35radix_sort_onesweep_config_selectorIffEEZZNS1_29radix_sort_onesweep_iterationIS3_Lb0EN6thrust23THRUST_200600_302600_NS6detail15normal_iteratorINS8_10device_ptrIfEEEESD_SD_SD_jNS0_19identity_decomposerENS1_16block_id_wrapperIjLb1EEEEE10hipError_tT1_PNSt15iterator_traitsISI_E10value_typeET2_T3_PNSJ_ISO_E10value_typeET4_T5_PST_SU_PNS1_23onesweep_lookback_stateEbbT6_jjT7_P12ihipStream_tbENKUlT_T0_SI_SN_E_clIPfSD_S15_SD_EEDaS11_S12_SI_SN_EUlS11_E_NS1_11comp_targetILNS1_3genE5ELNS1_11target_archE942ELNS1_3gpuE9ELNS1_3repE0EEENS1_47radix_sort_onesweep_sort_config_static_selectorELNS0_4arch9wavefront6targetE1EEEvSI_
	.globl	_ZN7rocprim17ROCPRIM_400000_NS6detail17trampoline_kernelINS0_14default_configENS1_35radix_sort_onesweep_config_selectorIffEEZZNS1_29radix_sort_onesweep_iterationIS3_Lb0EN6thrust23THRUST_200600_302600_NS6detail15normal_iteratorINS8_10device_ptrIfEEEESD_SD_SD_jNS0_19identity_decomposerENS1_16block_id_wrapperIjLb1EEEEE10hipError_tT1_PNSt15iterator_traitsISI_E10value_typeET2_T3_PNSJ_ISO_E10value_typeET4_T5_PST_SU_PNS1_23onesweep_lookback_stateEbbT6_jjT7_P12ihipStream_tbENKUlT_T0_SI_SN_E_clIPfSD_S15_SD_EEDaS11_S12_SI_SN_EUlS11_E_NS1_11comp_targetILNS1_3genE5ELNS1_11target_archE942ELNS1_3gpuE9ELNS1_3repE0EEENS1_47radix_sort_onesweep_sort_config_static_selectorELNS0_4arch9wavefront6targetE1EEEvSI_
	.p2align	8
	.type	_ZN7rocprim17ROCPRIM_400000_NS6detail17trampoline_kernelINS0_14default_configENS1_35radix_sort_onesweep_config_selectorIffEEZZNS1_29radix_sort_onesweep_iterationIS3_Lb0EN6thrust23THRUST_200600_302600_NS6detail15normal_iteratorINS8_10device_ptrIfEEEESD_SD_SD_jNS0_19identity_decomposerENS1_16block_id_wrapperIjLb1EEEEE10hipError_tT1_PNSt15iterator_traitsISI_E10value_typeET2_T3_PNSJ_ISO_E10value_typeET4_T5_PST_SU_PNS1_23onesweep_lookback_stateEbbT6_jjT7_P12ihipStream_tbENKUlT_T0_SI_SN_E_clIPfSD_S15_SD_EEDaS11_S12_SI_SN_EUlS11_E_NS1_11comp_targetILNS1_3genE5ELNS1_11target_archE942ELNS1_3gpuE9ELNS1_3repE0EEENS1_47radix_sort_onesweep_sort_config_static_selectorELNS0_4arch9wavefront6targetE1EEEvSI_,@function
_ZN7rocprim17ROCPRIM_400000_NS6detail17trampoline_kernelINS0_14default_configENS1_35radix_sort_onesweep_config_selectorIffEEZZNS1_29radix_sort_onesweep_iterationIS3_Lb0EN6thrust23THRUST_200600_302600_NS6detail15normal_iteratorINS8_10device_ptrIfEEEESD_SD_SD_jNS0_19identity_decomposerENS1_16block_id_wrapperIjLb1EEEEE10hipError_tT1_PNSt15iterator_traitsISI_E10value_typeET2_T3_PNSJ_ISO_E10value_typeET4_T5_PST_SU_PNS1_23onesweep_lookback_stateEbbT6_jjT7_P12ihipStream_tbENKUlT_T0_SI_SN_E_clIPfSD_S15_SD_EEDaS11_S12_SI_SN_EUlS11_E_NS1_11comp_targetILNS1_3genE5ELNS1_11target_archE942ELNS1_3gpuE9ELNS1_3repE0EEENS1_47radix_sort_onesweep_sort_config_static_selectorELNS0_4arch9wavefront6targetE1EEEvSI_: ; @_ZN7rocprim17ROCPRIM_400000_NS6detail17trampoline_kernelINS0_14default_configENS1_35radix_sort_onesweep_config_selectorIffEEZZNS1_29radix_sort_onesweep_iterationIS3_Lb0EN6thrust23THRUST_200600_302600_NS6detail15normal_iteratorINS8_10device_ptrIfEEEESD_SD_SD_jNS0_19identity_decomposerENS1_16block_id_wrapperIjLb1EEEEE10hipError_tT1_PNSt15iterator_traitsISI_E10value_typeET2_T3_PNSJ_ISO_E10value_typeET4_T5_PST_SU_PNS1_23onesweep_lookback_stateEbbT6_jjT7_P12ihipStream_tbENKUlT_T0_SI_SN_E_clIPfSD_S15_SD_EEDaS11_S12_SI_SN_EUlS11_E_NS1_11comp_targetILNS1_3genE5ELNS1_11target_archE942ELNS1_3gpuE9ELNS1_3repE0EEENS1_47radix_sort_onesweep_sort_config_static_selectorELNS0_4arch9wavefront6targetE1EEEvSI_
; %bb.0:
	.section	.rodata,"a",@progbits
	.p2align	6, 0x0
	.amdhsa_kernel _ZN7rocprim17ROCPRIM_400000_NS6detail17trampoline_kernelINS0_14default_configENS1_35radix_sort_onesweep_config_selectorIffEEZZNS1_29radix_sort_onesweep_iterationIS3_Lb0EN6thrust23THRUST_200600_302600_NS6detail15normal_iteratorINS8_10device_ptrIfEEEESD_SD_SD_jNS0_19identity_decomposerENS1_16block_id_wrapperIjLb1EEEEE10hipError_tT1_PNSt15iterator_traitsISI_E10value_typeET2_T3_PNSJ_ISO_E10value_typeET4_T5_PST_SU_PNS1_23onesweep_lookback_stateEbbT6_jjT7_P12ihipStream_tbENKUlT_T0_SI_SN_E_clIPfSD_S15_SD_EEDaS11_S12_SI_SN_EUlS11_E_NS1_11comp_targetILNS1_3genE5ELNS1_11target_archE942ELNS1_3gpuE9ELNS1_3repE0EEENS1_47radix_sort_onesweep_sort_config_static_selectorELNS0_4arch9wavefront6targetE1EEEvSI_
		.amdhsa_group_segment_fixed_size 0
		.amdhsa_private_segment_fixed_size 0
		.amdhsa_kernarg_size 88
		.amdhsa_user_sgpr_count 2
		.amdhsa_user_sgpr_dispatch_ptr 0
		.amdhsa_user_sgpr_queue_ptr 0
		.amdhsa_user_sgpr_kernarg_segment_ptr 1
		.amdhsa_user_sgpr_dispatch_id 0
		.amdhsa_user_sgpr_kernarg_preload_length 0
		.amdhsa_user_sgpr_kernarg_preload_offset 0
		.amdhsa_user_sgpr_private_segment_size 0
		.amdhsa_uses_dynamic_stack 0
		.amdhsa_enable_private_segment 0
		.amdhsa_system_sgpr_workgroup_id_x 1
		.amdhsa_system_sgpr_workgroup_id_y 0
		.amdhsa_system_sgpr_workgroup_id_z 0
		.amdhsa_system_sgpr_workgroup_info 0
		.amdhsa_system_vgpr_workitem_id 0
		.amdhsa_next_free_vgpr 1
		.amdhsa_next_free_sgpr 0
		.amdhsa_accum_offset 4
		.amdhsa_reserve_vcc 0
		.amdhsa_float_round_mode_32 0
		.amdhsa_float_round_mode_16_64 0
		.amdhsa_float_denorm_mode_32 3
		.amdhsa_float_denorm_mode_16_64 3
		.amdhsa_dx10_clamp 1
		.amdhsa_ieee_mode 1
		.amdhsa_fp16_overflow 0
		.amdhsa_tg_split 0
		.amdhsa_exception_fp_ieee_invalid_op 0
		.amdhsa_exception_fp_denorm_src 0
		.amdhsa_exception_fp_ieee_div_zero 0
		.amdhsa_exception_fp_ieee_overflow 0
		.amdhsa_exception_fp_ieee_underflow 0
		.amdhsa_exception_fp_ieee_inexact 0
		.amdhsa_exception_int_div_zero 0
	.end_amdhsa_kernel
	.section	.text._ZN7rocprim17ROCPRIM_400000_NS6detail17trampoline_kernelINS0_14default_configENS1_35radix_sort_onesweep_config_selectorIffEEZZNS1_29radix_sort_onesweep_iterationIS3_Lb0EN6thrust23THRUST_200600_302600_NS6detail15normal_iteratorINS8_10device_ptrIfEEEESD_SD_SD_jNS0_19identity_decomposerENS1_16block_id_wrapperIjLb1EEEEE10hipError_tT1_PNSt15iterator_traitsISI_E10value_typeET2_T3_PNSJ_ISO_E10value_typeET4_T5_PST_SU_PNS1_23onesweep_lookback_stateEbbT6_jjT7_P12ihipStream_tbENKUlT_T0_SI_SN_E_clIPfSD_S15_SD_EEDaS11_S12_SI_SN_EUlS11_E_NS1_11comp_targetILNS1_3genE5ELNS1_11target_archE942ELNS1_3gpuE9ELNS1_3repE0EEENS1_47radix_sort_onesweep_sort_config_static_selectorELNS0_4arch9wavefront6targetE1EEEvSI_,"axG",@progbits,_ZN7rocprim17ROCPRIM_400000_NS6detail17trampoline_kernelINS0_14default_configENS1_35radix_sort_onesweep_config_selectorIffEEZZNS1_29radix_sort_onesweep_iterationIS3_Lb0EN6thrust23THRUST_200600_302600_NS6detail15normal_iteratorINS8_10device_ptrIfEEEESD_SD_SD_jNS0_19identity_decomposerENS1_16block_id_wrapperIjLb1EEEEE10hipError_tT1_PNSt15iterator_traitsISI_E10value_typeET2_T3_PNSJ_ISO_E10value_typeET4_T5_PST_SU_PNS1_23onesweep_lookback_stateEbbT6_jjT7_P12ihipStream_tbENKUlT_T0_SI_SN_E_clIPfSD_S15_SD_EEDaS11_S12_SI_SN_EUlS11_E_NS1_11comp_targetILNS1_3genE5ELNS1_11target_archE942ELNS1_3gpuE9ELNS1_3repE0EEENS1_47radix_sort_onesweep_sort_config_static_selectorELNS0_4arch9wavefront6targetE1EEEvSI_,comdat
.Lfunc_end325:
	.size	_ZN7rocprim17ROCPRIM_400000_NS6detail17trampoline_kernelINS0_14default_configENS1_35radix_sort_onesweep_config_selectorIffEEZZNS1_29radix_sort_onesweep_iterationIS3_Lb0EN6thrust23THRUST_200600_302600_NS6detail15normal_iteratorINS8_10device_ptrIfEEEESD_SD_SD_jNS0_19identity_decomposerENS1_16block_id_wrapperIjLb1EEEEE10hipError_tT1_PNSt15iterator_traitsISI_E10value_typeET2_T3_PNSJ_ISO_E10value_typeET4_T5_PST_SU_PNS1_23onesweep_lookback_stateEbbT6_jjT7_P12ihipStream_tbENKUlT_T0_SI_SN_E_clIPfSD_S15_SD_EEDaS11_S12_SI_SN_EUlS11_E_NS1_11comp_targetILNS1_3genE5ELNS1_11target_archE942ELNS1_3gpuE9ELNS1_3repE0EEENS1_47radix_sort_onesweep_sort_config_static_selectorELNS0_4arch9wavefront6targetE1EEEvSI_, .Lfunc_end325-_ZN7rocprim17ROCPRIM_400000_NS6detail17trampoline_kernelINS0_14default_configENS1_35radix_sort_onesweep_config_selectorIffEEZZNS1_29radix_sort_onesweep_iterationIS3_Lb0EN6thrust23THRUST_200600_302600_NS6detail15normal_iteratorINS8_10device_ptrIfEEEESD_SD_SD_jNS0_19identity_decomposerENS1_16block_id_wrapperIjLb1EEEEE10hipError_tT1_PNSt15iterator_traitsISI_E10value_typeET2_T3_PNSJ_ISO_E10value_typeET4_T5_PST_SU_PNS1_23onesweep_lookback_stateEbbT6_jjT7_P12ihipStream_tbENKUlT_T0_SI_SN_E_clIPfSD_S15_SD_EEDaS11_S12_SI_SN_EUlS11_E_NS1_11comp_targetILNS1_3genE5ELNS1_11target_archE942ELNS1_3gpuE9ELNS1_3repE0EEENS1_47radix_sort_onesweep_sort_config_static_selectorELNS0_4arch9wavefront6targetE1EEEvSI_
                                        ; -- End function
	.set _ZN7rocprim17ROCPRIM_400000_NS6detail17trampoline_kernelINS0_14default_configENS1_35radix_sort_onesweep_config_selectorIffEEZZNS1_29radix_sort_onesweep_iterationIS3_Lb0EN6thrust23THRUST_200600_302600_NS6detail15normal_iteratorINS8_10device_ptrIfEEEESD_SD_SD_jNS0_19identity_decomposerENS1_16block_id_wrapperIjLb1EEEEE10hipError_tT1_PNSt15iterator_traitsISI_E10value_typeET2_T3_PNSJ_ISO_E10value_typeET4_T5_PST_SU_PNS1_23onesweep_lookback_stateEbbT6_jjT7_P12ihipStream_tbENKUlT_T0_SI_SN_E_clIPfSD_S15_SD_EEDaS11_S12_SI_SN_EUlS11_E_NS1_11comp_targetILNS1_3genE5ELNS1_11target_archE942ELNS1_3gpuE9ELNS1_3repE0EEENS1_47radix_sort_onesweep_sort_config_static_selectorELNS0_4arch9wavefront6targetE1EEEvSI_.num_vgpr, 0
	.set _ZN7rocprim17ROCPRIM_400000_NS6detail17trampoline_kernelINS0_14default_configENS1_35radix_sort_onesweep_config_selectorIffEEZZNS1_29radix_sort_onesweep_iterationIS3_Lb0EN6thrust23THRUST_200600_302600_NS6detail15normal_iteratorINS8_10device_ptrIfEEEESD_SD_SD_jNS0_19identity_decomposerENS1_16block_id_wrapperIjLb1EEEEE10hipError_tT1_PNSt15iterator_traitsISI_E10value_typeET2_T3_PNSJ_ISO_E10value_typeET4_T5_PST_SU_PNS1_23onesweep_lookback_stateEbbT6_jjT7_P12ihipStream_tbENKUlT_T0_SI_SN_E_clIPfSD_S15_SD_EEDaS11_S12_SI_SN_EUlS11_E_NS1_11comp_targetILNS1_3genE5ELNS1_11target_archE942ELNS1_3gpuE9ELNS1_3repE0EEENS1_47radix_sort_onesweep_sort_config_static_selectorELNS0_4arch9wavefront6targetE1EEEvSI_.num_agpr, 0
	.set _ZN7rocprim17ROCPRIM_400000_NS6detail17trampoline_kernelINS0_14default_configENS1_35radix_sort_onesweep_config_selectorIffEEZZNS1_29radix_sort_onesweep_iterationIS3_Lb0EN6thrust23THRUST_200600_302600_NS6detail15normal_iteratorINS8_10device_ptrIfEEEESD_SD_SD_jNS0_19identity_decomposerENS1_16block_id_wrapperIjLb1EEEEE10hipError_tT1_PNSt15iterator_traitsISI_E10value_typeET2_T3_PNSJ_ISO_E10value_typeET4_T5_PST_SU_PNS1_23onesweep_lookback_stateEbbT6_jjT7_P12ihipStream_tbENKUlT_T0_SI_SN_E_clIPfSD_S15_SD_EEDaS11_S12_SI_SN_EUlS11_E_NS1_11comp_targetILNS1_3genE5ELNS1_11target_archE942ELNS1_3gpuE9ELNS1_3repE0EEENS1_47radix_sort_onesweep_sort_config_static_selectorELNS0_4arch9wavefront6targetE1EEEvSI_.numbered_sgpr, 0
	.set _ZN7rocprim17ROCPRIM_400000_NS6detail17trampoline_kernelINS0_14default_configENS1_35radix_sort_onesweep_config_selectorIffEEZZNS1_29radix_sort_onesweep_iterationIS3_Lb0EN6thrust23THRUST_200600_302600_NS6detail15normal_iteratorINS8_10device_ptrIfEEEESD_SD_SD_jNS0_19identity_decomposerENS1_16block_id_wrapperIjLb1EEEEE10hipError_tT1_PNSt15iterator_traitsISI_E10value_typeET2_T3_PNSJ_ISO_E10value_typeET4_T5_PST_SU_PNS1_23onesweep_lookback_stateEbbT6_jjT7_P12ihipStream_tbENKUlT_T0_SI_SN_E_clIPfSD_S15_SD_EEDaS11_S12_SI_SN_EUlS11_E_NS1_11comp_targetILNS1_3genE5ELNS1_11target_archE942ELNS1_3gpuE9ELNS1_3repE0EEENS1_47radix_sort_onesweep_sort_config_static_selectorELNS0_4arch9wavefront6targetE1EEEvSI_.num_named_barrier, 0
	.set _ZN7rocprim17ROCPRIM_400000_NS6detail17trampoline_kernelINS0_14default_configENS1_35radix_sort_onesweep_config_selectorIffEEZZNS1_29radix_sort_onesweep_iterationIS3_Lb0EN6thrust23THRUST_200600_302600_NS6detail15normal_iteratorINS8_10device_ptrIfEEEESD_SD_SD_jNS0_19identity_decomposerENS1_16block_id_wrapperIjLb1EEEEE10hipError_tT1_PNSt15iterator_traitsISI_E10value_typeET2_T3_PNSJ_ISO_E10value_typeET4_T5_PST_SU_PNS1_23onesweep_lookback_stateEbbT6_jjT7_P12ihipStream_tbENKUlT_T0_SI_SN_E_clIPfSD_S15_SD_EEDaS11_S12_SI_SN_EUlS11_E_NS1_11comp_targetILNS1_3genE5ELNS1_11target_archE942ELNS1_3gpuE9ELNS1_3repE0EEENS1_47radix_sort_onesweep_sort_config_static_selectorELNS0_4arch9wavefront6targetE1EEEvSI_.private_seg_size, 0
	.set _ZN7rocprim17ROCPRIM_400000_NS6detail17trampoline_kernelINS0_14default_configENS1_35radix_sort_onesweep_config_selectorIffEEZZNS1_29radix_sort_onesweep_iterationIS3_Lb0EN6thrust23THRUST_200600_302600_NS6detail15normal_iteratorINS8_10device_ptrIfEEEESD_SD_SD_jNS0_19identity_decomposerENS1_16block_id_wrapperIjLb1EEEEE10hipError_tT1_PNSt15iterator_traitsISI_E10value_typeET2_T3_PNSJ_ISO_E10value_typeET4_T5_PST_SU_PNS1_23onesweep_lookback_stateEbbT6_jjT7_P12ihipStream_tbENKUlT_T0_SI_SN_E_clIPfSD_S15_SD_EEDaS11_S12_SI_SN_EUlS11_E_NS1_11comp_targetILNS1_3genE5ELNS1_11target_archE942ELNS1_3gpuE9ELNS1_3repE0EEENS1_47radix_sort_onesweep_sort_config_static_selectorELNS0_4arch9wavefront6targetE1EEEvSI_.uses_vcc, 0
	.set _ZN7rocprim17ROCPRIM_400000_NS6detail17trampoline_kernelINS0_14default_configENS1_35radix_sort_onesweep_config_selectorIffEEZZNS1_29radix_sort_onesweep_iterationIS3_Lb0EN6thrust23THRUST_200600_302600_NS6detail15normal_iteratorINS8_10device_ptrIfEEEESD_SD_SD_jNS0_19identity_decomposerENS1_16block_id_wrapperIjLb1EEEEE10hipError_tT1_PNSt15iterator_traitsISI_E10value_typeET2_T3_PNSJ_ISO_E10value_typeET4_T5_PST_SU_PNS1_23onesweep_lookback_stateEbbT6_jjT7_P12ihipStream_tbENKUlT_T0_SI_SN_E_clIPfSD_S15_SD_EEDaS11_S12_SI_SN_EUlS11_E_NS1_11comp_targetILNS1_3genE5ELNS1_11target_archE942ELNS1_3gpuE9ELNS1_3repE0EEENS1_47radix_sort_onesweep_sort_config_static_selectorELNS0_4arch9wavefront6targetE1EEEvSI_.uses_flat_scratch, 0
	.set _ZN7rocprim17ROCPRIM_400000_NS6detail17trampoline_kernelINS0_14default_configENS1_35radix_sort_onesweep_config_selectorIffEEZZNS1_29radix_sort_onesweep_iterationIS3_Lb0EN6thrust23THRUST_200600_302600_NS6detail15normal_iteratorINS8_10device_ptrIfEEEESD_SD_SD_jNS0_19identity_decomposerENS1_16block_id_wrapperIjLb1EEEEE10hipError_tT1_PNSt15iterator_traitsISI_E10value_typeET2_T3_PNSJ_ISO_E10value_typeET4_T5_PST_SU_PNS1_23onesweep_lookback_stateEbbT6_jjT7_P12ihipStream_tbENKUlT_T0_SI_SN_E_clIPfSD_S15_SD_EEDaS11_S12_SI_SN_EUlS11_E_NS1_11comp_targetILNS1_3genE5ELNS1_11target_archE942ELNS1_3gpuE9ELNS1_3repE0EEENS1_47radix_sort_onesweep_sort_config_static_selectorELNS0_4arch9wavefront6targetE1EEEvSI_.has_dyn_sized_stack, 0
	.set _ZN7rocprim17ROCPRIM_400000_NS6detail17trampoline_kernelINS0_14default_configENS1_35radix_sort_onesweep_config_selectorIffEEZZNS1_29radix_sort_onesweep_iterationIS3_Lb0EN6thrust23THRUST_200600_302600_NS6detail15normal_iteratorINS8_10device_ptrIfEEEESD_SD_SD_jNS0_19identity_decomposerENS1_16block_id_wrapperIjLb1EEEEE10hipError_tT1_PNSt15iterator_traitsISI_E10value_typeET2_T3_PNSJ_ISO_E10value_typeET4_T5_PST_SU_PNS1_23onesweep_lookback_stateEbbT6_jjT7_P12ihipStream_tbENKUlT_T0_SI_SN_E_clIPfSD_S15_SD_EEDaS11_S12_SI_SN_EUlS11_E_NS1_11comp_targetILNS1_3genE5ELNS1_11target_archE942ELNS1_3gpuE9ELNS1_3repE0EEENS1_47radix_sort_onesweep_sort_config_static_selectorELNS0_4arch9wavefront6targetE1EEEvSI_.has_recursion, 0
	.set _ZN7rocprim17ROCPRIM_400000_NS6detail17trampoline_kernelINS0_14default_configENS1_35radix_sort_onesweep_config_selectorIffEEZZNS1_29radix_sort_onesweep_iterationIS3_Lb0EN6thrust23THRUST_200600_302600_NS6detail15normal_iteratorINS8_10device_ptrIfEEEESD_SD_SD_jNS0_19identity_decomposerENS1_16block_id_wrapperIjLb1EEEEE10hipError_tT1_PNSt15iterator_traitsISI_E10value_typeET2_T3_PNSJ_ISO_E10value_typeET4_T5_PST_SU_PNS1_23onesweep_lookback_stateEbbT6_jjT7_P12ihipStream_tbENKUlT_T0_SI_SN_E_clIPfSD_S15_SD_EEDaS11_S12_SI_SN_EUlS11_E_NS1_11comp_targetILNS1_3genE5ELNS1_11target_archE942ELNS1_3gpuE9ELNS1_3repE0EEENS1_47radix_sort_onesweep_sort_config_static_selectorELNS0_4arch9wavefront6targetE1EEEvSI_.has_indirect_call, 0
	.section	.AMDGPU.csdata,"",@progbits
; Kernel info:
; codeLenInByte = 0
; TotalNumSgprs: 6
; NumVgprs: 0
; NumAgprs: 0
; TotalNumVgprs: 0
; ScratchSize: 0
; MemoryBound: 0
; FloatMode: 240
; IeeeMode: 1
; LDSByteSize: 0 bytes/workgroup (compile time only)
; SGPRBlocks: 0
; VGPRBlocks: 0
; NumSGPRsForWavesPerEU: 6
; NumVGPRsForWavesPerEU: 1
; AccumOffset: 4
; Occupancy: 8
; WaveLimiterHint : 0
; COMPUTE_PGM_RSRC2:SCRATCH_EN: 0
; COMPUTE_PGM_RSRC2:USER_SGPR: 2
; COMPUTE_PGM_RSRC2:TRAP_HANDLER: 0
; COMPUTE_PGM_RSRC2:TGID_X_EN: 1
; COMPUTE_PGM_RSRC2:TGID_Y_EN: 0
; COMPUTE_PGM_RSRC2:TGID_Z_EN: 0
; COMPUTE_PGM_RSRC2:TIDIG_COMP_CNT: 0
; COMPUTE_PGM_RSRC3_GFX90A:ACCUM_OFFSET: 0
; COMPUTE_PGM_RSRC3_GFX90A:TG_SPLIT: 0
	.section	.text._ZN7rocprim17ROCPRIM_400000_NS6detail17trampoline_kernelINS0_14default_configENS1_35radix_sort_onesweep_config_selectorIffEEZZNS1_29radix_sort_onesweep_iterationIS3_Lb0EN6thrust23THRUST_200600_302600_NS6detail15normal_iteratorINS8_10device_ptrIfEEEESD_SD_SD_jNS0_19identity_decomposerENS1_16block_id_wrapperIjLb1EEEEE10hipError_tT1_PNSt15iterator_traitsISI_E10value_typeET2_T3_PNSJ_ISO_E10value_typeET4_T5_PST_SU_PNS1_23onesweep_lookback_stateEbbT6_jjT7_P12ihipStream_tbENKUlT_T0_SI_SN_E_clIPfSD_S15_SD_EEDaS11_S12_SI_SN_EUlS11_E_NS1_11comp_targetILNS1_3genE2ELNS1_11target_archE906ELNS1_3gpuE6ELNS1_3repE0EEENS1_47radix_sort_onesweep_sort_config_static_selectorELNS0_4arch9wavefront6targetE1EEEvSI_,"axG",@progbits,_ZN7rocprim17ROCPRIM_400000_NS6detail17trampoline_kernelINS0_14default_configENS1_35radix_sort_onesweep_config_selectorIffEEZZNS1_29radix_sort_onesweep_iterationIS3_Lb0EN6thrust23THRUST_200600_302600_NS6detail15normal_iteratorINS8_10device_ptrIfEEEESD_SD_SD_jNS0_19identity_decomposerENS1_16block_id_wrapperIjLb1EEEEE10hipError_tT1_PNSt15iterator_traitsISI_E10value_typeET2_T3_PNSJ_ISO_E10value_typeET4_T5_PST_SU_PNS1_23onesweep_lookback_stateEbbT6_jjT7_P12ihipStream_tbENKUlT_T0_SI_SN_E_clIPfSD_S15_SD_EEDaS11_S12_SI_SN_EUlS11_E_NS1_11comp_targetILNS1_3genE2ELNS1_11target_archE906ELNS1_3gpuE6ELNS1_3repE0EEENS1_47radix_sort_onesweep_sort_config_static_selectorELNS0_4arch9wavefront6targetE1EEEvSI_,comdat
	.protected	_ZN7rocprim17ROCPRIM_400000_NS6detail17trampoline_kernelINS0_14default_configENS1_35radix_sort_onesweep_config_selectorIffEEZZNS1_29radix_sort_onesweep_iterationIS3_Lb0EN6thrust23THRUST_200600_302600_NS6detail15normal_iteratorINS8_10device_ptrIfEEEESD_SD_SD_jNS0_19identity_decomposerENS1_16block_id_wrapperIjLb1EEEEE10hipError_tT1_PNSt15iterator_traitsISI_E10value_typeET2_T3_PNSJ_ISO_E10value_typeET4_T5_PST_SU_PNS1_23onesweep_lookback_stateEbbT6_jjT7_P12ihipStream_tbENKUlT_T0_SI_SN_E_clIPfSD_S15_SD_EEDaS11_S12_SI_SN_EUlS11_E_NS1_11comp_targetILNS1_3genE2ELNS1_11target_archE906ELNS1_3gpuE6ELNS1_3repE0EEENS1_47radix_sort_onesweep_sort_config_static_selectorELNS0_4arch9wavefront6targetE1EEEvSI_ ; -- Begin function _ZN7rocprim17ROCPRIM_400000_NS6detail17trampoline_kernelINS0_14default_configENS1_35radix_sort_onesweep_config_selectorIffEEZZNS1_29radix_sort_onesweep_iterationIS3_Lb0EN6thrust23THRUST_200600_302600_NS6detail15normal_iteratorINS8_10device_ptrIfEEEESD_SD_SD_jNS0_19identity_decomposerENS1_16block_id_wrapperIjLb1EEEEE10hipError_tT1_PNSt15iterator_traitsISI_E10value_typeET2_T3_PNSJ_ISO_E10value_typeET4_T5_PST_SU_PNS1_23onesweep_lookback_stateEbbT6_jjT7_P12ihipStream_tbENKUlT_T0_SI_SN_E_clIPfSD_S15_SD_EEDaS11_S12_SI_SN_EUlS11_E_NS1_11comp_targetILNS1_3genE2ELNS1_11target_archE906ELNS1_3gpuE6ELNS1_3repE0EEENS1_47radix_sort_onesweep_sort_config_static_selectorELNS0_4arch9wavefront6targetE1EEEvSI_
	.globl	_ZN7rocprim17ROCPRIM_400000_NS6detail17trampoline_kernelINS0_14default_configENS1_35radix_sort_onesweep_config_selectorIffEEZZNS1_29radix_sort_onesweep_iterationIS3_Lb0EN6thrust23THRUST_200600_302600_NS6detail15normal_iteratorINS8_10device_ptrIfEEEESD_SD_SD_jNS0_19identity_decomposerENS1_16block_id_wrapperIjLb1EEEEE10hipError_tT1_PNSt15iterator_traitsISI_E10value_typeET2_T3_PNSJ_ISO_E10value_typeET4_T5_PST_SU_PNS1_23onesweep_lookback_stateEbbT6_jjT7_P12ihipStream_tbENKUlT_T0_SI_SN_E_clIPfSD_S15_SD_EEDaS11_S12_SI_SN_EUlS11_E_NS1_11comp_targetILNS1_3genE2ELNS1_11target_archE906ELNS1_3gpuE6ELNS1_3repE0EEENS1_47radix_sort_onesweep_sort_config_static_selectorELNS0_4arch9wavefront6targetE1EEEvSI_
	.p2align	8
	.type	_ZN7rocprim17ROCPRIM_400000_NS6detail17trampoline_kernelINS0_14default_configENS1_35radix_sort_onesweep_config_selectorIffEEZZNS1_29radix_sort_onesweep_iterationIS3_Lb0EN6thrust23THRUST_200600_302600_NS6detail15normal_iteratorINS8_10device_ptrIfEEEESD_SD_SD_jNS0_19identity_decomposerENS1_16block_id_wrapperIjLb1EEEEE10hipError_tT1_PNSt15iterator_traitsISI_E10value_typeET2_T3_PNSJ_ISO_E10value_typeET4_T5_PST_SU_PNS1_23onesweep_lookback_stateEbbT6_jjT7_P12ihipStream_tbENKUlT_T0_SI_SN_E_clIPfSD_S15_SD_EEDaS11_S12_SI_SN_EUlS11_E_NS1_11comp_targetILNS1_3genE2ELNS1_11target_archE906ELNS1_3gpuE6ELNS1_3repE0EEENS1_47radix_sort_onesweep_sort_config_static_selectorELNS0_4arch9wavefront6targetE1EEEvSI_,@function
_ZN7rocprim17ROCPRIM_400000_NS6detail17trampoline_kernelINS0_14default_configENS1_35radix_sort_onesweep_config_selectorIffEEZZNS1_29radix_sort_onesweep_iterationIS3_Lb0EN6thrust23THRUST_200600_302600_NS6detail15normal_iteratorINS8_10device_ptrIfEEEESD_SD_SD_jNS0_19identity_decomposerENS1_16block_id_wrapperIjLb1EEEEE10hipError_tT1_PNSt15iterator_traitsISI_E10value_typeET2_T3_PNSJ_ISO_E10value_typeET4_T5_PST_SU_PNS1_23onesweep_lookback_stateEbbT6_jjT7_P12ihipStream_tbENKUlT_T0_SI_SN_E_clIPfSD_S15_SD_EEDaS11_S12_SI_SN_EUlS11_E_NS1_11comp_targetILNS1_3genE2ELNS1_11target_archE906ELNS1_3gpuE6ELNS1_3repE0EEENS1_47radix_sort_onesweep_sort_config_static_selectorELNS0_4arch9wavefront6targetE1EEEvSI_: ; @_ZN7rocprim17ROCPRIM_400000_NS6detail17trampoline_kernelINS0_14default_configENS1_35radix_sort_onesweep_config_selectorIffEEZZNS1_29radix_sort_onesweep_iterationIS3_Lb0EN6thrust23THRUST_200600_302600_NS6detail15normal_iteratorINS8_10device_ptrIfEEEESD_SD_SD_jNS0_19identity_decomposerENS1_16block_id_wrapperIjLb1EEEEE10hipError_tT1_PNSt15iterator_traitsISI_E10value_typeET2_T3_PNSJ_ISO_E10value_typeET4_T5_PST_SU_PNS1_23onesweep_lookback_stateEbbT6_jjT7_P12ihipStream_tbENKUlT_T0_SI_SN_E_clIPfSD_S15_SD_EEDaS11_S12_SI_SN_EUlS11_E_NS1_11comp_targetILNS1_3genE2ELNS1_11target_archE906ELNS1_3gpuE6ELNS1_3repE0EEENS1_47radix_sort_onesweep_sort_config_static_selectorELNS0_4arch9wavefront6targetE1EEEvSI_
; %bb.0:
	.section	.rodata,"a",@progbits
	.p2align	6, 0x0
	.amdhsa_kernel _ZN7rocprim17ROCPRIM_400000_NS6detail17trampoline_kernelINS0_14default_configENS1_35radix_sort_onesweep_config_selectorIffEEZZNS1_29radix_sort_onesweep_iterationIS3_Lb0EN6thrust23THRUST_200600_302600_NS6detail15normal_iteratorINS8_10device_ptrIfEEEESD_SD_SD_jNS0_19identity_decomposerENS1_16block_id_wrapperIjLb1EEEEE10hipError_tT1_PNSt15iterator_traitsISI_E10value_typeET2_T3_PNSJ_ISO_E10value_typeET4_T5_PST_SU_PNS1_23onesweep_lookback_stateEbbT6_jjT7_P12ihipStream_tbENKUlT_T0_SI_SN_E_clIPfSD_S15_SD_EEDaS11_S12_SI_SN_EUlS11_E_NS1_11comp_targetILNS1_3genE2ELNS1_11target_archE906ELNS1_3gpuE6ELNS1_3repE0EEENS1_47radix_sort_onesweep_sort_config_static_selectorELNS0_4arch9wavefront6targetE1EEEvSI_
		.amdhsa_group_segment_fixed_size 0
		.amdhsa_private_segment_fixed_size 0
		.amdhsa_kernarg_size 88
		.amdhsa_user_sgpr_count 2
		.amdhsa_user_sgpr_dispatch_ptr 0
		.amdhsa_user_sgpr_queue_ptr 0
		.amdhsa_user_sgpr_kernarg_segment_ptr 1
		.amdhsa_user_sgpr_dispatch_id 0
		.amdhsa_user_sgpr_kernarg_preload_length 0
		.amdhsa_user_sgpr_kernarg_preload_offset 0
		.amdhsa_user_sgpr_private_segment_size 0
		.amdhsa_uses_dynamic_stack 0
		.amdhsa_enable_private_segment 0
		.amdhsa_system_sgpr_workgroup_id_x 1
		.amdhsa_system_sgpr_workgroup_id_y 0
		.amdhsa_system_sgpr_workgroup_id_z 0
		.amdhsa_system_sgpr_workgroup_info 0
		.amdhsa_system_vgpr_workitem_id 0
		.amdhsa_next_free_vgpr 1
		.amdhsa_next_free_sgpr 0
		.amdhsa_accum_offset 4
		.amdhsa_reserve_vcc 0
		.amdhsa_float_round_mode_32 0
		.amdhsa_float_round_mode_16_64 0
		.amdhsa_float_denorm_mode_32 3
		.amdhsa_float_denorm_mode_16_64 3
		.amdhsa_dx10_clamp 1
		.amdhsa_ieee_mode 1
		.amdhsa_fp16_overflow 0
		.amdhsa_tg_split 0
		.amdhsa_exception_fp_ieee_invalid_op 0
		.amdhsa_exception_fp_denorm_src 0
		.amdhsa_exception_fp_ieee_div_zero 0
		.amdhsa_exception_fp_ieee_overflow 0
		.amdhsa_exception_fp_ieee_underflow 0
		.amdhsa_exception_fp_ieee_inexact 0
		.amdhsa_exception_int_div_zero 0
	.end_amdhsa_kernel
	.section	.text._ZN7rocprim17ROCPRIM_400000_NS6detail17trampoline_kernelINS0_14default_configENS1_35radix_sort_onesweep_config_selectorIffEEZZNS1_29radix_sort_onesweep_iterationIS3_Lb0EN6thrust23THRUST_200600_302600_NS6detail15normal_iteratorINS8_10device_ptrIfEEEESD_SD_SD_jNS0_19identity_decomposerENS1_16block_id_wrapperIjLb1EEEEE10hipError_tT1_PNSt15iterator_traitsISI_E10value_typeET2_T3_PNSJ_ISO_E10value_typeET4_T5_PST_SU_PNS1_23onesweep_lookback_stateEbbT6_jjT7_P12ihipStream_tbENKUlT_T0_SI_SN_E_clIPfSD_S15_SD_EEDaS11_S12_SI_SN_EUlS11_E_NS1_11comp_targetILNS1_3genE2ELNS1_11target_archE906ELNS1_3gpuE6ELNS1_3repE0EEENS1_47radix_sort_onesweep_sort_config_static_selectorELNS0_4arch9wavefront6targetE1EEEvSI_,"axG",@progbits,_ZN7rocprim17ROCPRIM_400000_NS6detail17trampoline_kernelINS0_14default_configENS1_35radix_sort_onesweep_config_selectorIffEEZZNS1_29radix_sort_onesweep_iterationIS3_Lb0EN6thrust23THRUST_200600_302600_NS6detail15normal_iteratorINS8_10device_ptrIfEEEESD_SD_SD_jNS0_19identity_decomposerENS1_16block_id_wrapperIjLb1EEEEE10hipError_tT1_PNSt15iterator_traitsISI_E10value_typeET2_T3_PNSJ_ISO_E10value_typeET4_T5_PST_SU_PNS1_23onesweep_lookback_stateEbbT6_jjT7_P12ihipStream_tbENKUlT_T0_SI_SN_E_clIPfSD_S15_SD_EEDaS11_S12_SI_SN_EUlS11_E_NS1_11comp_targetILNS1_3genE2ELNS1_11target_archE906ELNS1_3gpuE6ELNS1_3repE0EEENS1_47radix_sort_onesweep_sort_config_static_selectorELNS0_4arch9wavefront6targetE1EEEvSI_,comdat
.Lfunc_end326:
	.size	_ZN7rocprim17ROCPRIM_400000_NS6detail17trampoline_kernelINS0_14default_configENS1_35radix_sort_onesweep_config_selectorIffEEZZNS1_29radix_sort_onesweep_iterationIS3_Lb0EN6thrust23THRUST_200600_302600_NS6detail15normal_iteratorINS8_10device_ptrIfEEEESD_SD_SD_jNS0_19identity_decomposerENS1_16block_id_wrapperIjLb1EEEEE10hipError_tT1_PNSt15iterator_traitsISI_E10value_typeET2_T3_PNSJ_ISO_E10value_typeET4_T5_PST_SU_PNS1_23onesweep_lookback_stateEbbT6_jjT7_P12ihipStream_tbENKUlT_T0_SI_SN_E_clIPfSD_S15_SD_EEDaS11_S12_SI_SN_EUlS11_E_NS1_11comp_targetILNS1_3genE2ELNS1_11target_archE906ELNS1_3gpuE6ELNS1_3repE0EEENS1_47radix_sort_onesweep_sort_config_static_selectorELNS0_4arch9wavefront6targetE1EEEvSI_, .Lfunc_end326-_ZN7rocprim17ROCPRIM_400000_NS6detail17trampoline_kernelINS0_14default_configENS1_35radix_sort_onesweep_config_selectorIffEEZZNS1_29radix_sort_onesweep_iterationIS3_Lb0EN6thrust23THRUST_200600_302600_NS6detail15normal_iteratorINS8_10device_ptrIfEEEESD_SD_SD_jNS0_19identity_decomposerENS1_16block_id_wrapperIjLb1EEEEE10hipError_tT1_PNSt15iterator_traitsISI_E10value_typeET2_T3_PNSJ_ISO_E10value_typeET4_T5_PST_SU_PNS1_23onesweep_lookback_stateEbbT6_jjT7_P12ihipStream_tbENKUlT_T0_SI_SN_E_clIPfSD_S15_SD_EEDaS11_S12_SI_SN_EUlS11_E_NS1_11comp_targetILNS1_3genE2ELNS1_11target_archE906ELNS1_3gpuE6ELNS1_3repE0EEENS1_47radix_sort_onesweep_sort_config_static_selectorELNS0_4arch9wavefront6targetE1EEEvSI_
                                        ; -- End function
	.set _ZN7rocprim17ROCPRIM_400000_NS6detail17trampoline_kernelINS0_14default_configENS1_35radix_sort_onesweep_config_selectorIffEEZZNS1_29radix_sort_onesweep_iterationIS3_Lb0EN6thrust23THRUST_200600_302600_NS6detail15normal_iteratorINS8_10device_ptrIfEEEESD_SD_SD_jNS0_19identity_decomposerENS1_16block_id_wrapperIjLb1EEEEE10hipError_tT1_PNSt15iterator_traitsISI_E10value_typeET2_T3_PNSJ_ISO_E10value_typeET4_T5_PST_SU_PNS1_23onesweep_lookback_stateEbbT6_jjT7_P12ihipStream_tbENKUlT_T0_SI_SN_E_clIPfSD_S15_SD_EEDaS11_S12_SI_SN_EUlS11_E_NS1_11comp_targetILNS1_3genE2ELNS1_11target_archE906ELNS1_3gpuE6ELNS1_3repE0EEENS1_47radix_sort_onesweep_sort_config_static_selectorELNS0_4arch9wavefront6targetE1EEEvSI_.num_vgpr, 0
	.set _ZN7rocprim17ROCPRIM_400000_NS6detail17trampoline_kernelINS0_14default_configENS1_35radix_sort_onesweep_config_selectorIffEEZZNS1_29radix_sort_onesweep_iterationIS3_Lb0EN6thrust23THRUST_200600_302600_NS6detail15normal_iteratorINS8_10device_ptrIfEEEESD_SD_SD_jNS0_19identity_decomposerENS1_16block_id_wrapperIjLb1EEEEE10hipError_tT1_PNSt15iterator_traitsISI_E10value_typeET2_T3_PNSJ_ISO_E10value_typeET4_T5_PST_SU_PNS1_23onesweep_lookback_stateEbbT6_jjT7_P12ihipStream_tbENKUlT_T0_SI_SN_E_clIPfSD_S15_SD_EEDaS11_S12_SI_SN_EUlS11_E_NS1_11comp_targetILNS1_3genE2ELNS1_11target_archE906ELNS1_3gpuE6ELNS1_3repE0EEENS1_47radix_sort_onesweep_sort_config_static_selectorELNS0_4arch9wavefront6targetE1EEEvSI_.num_agpr, 0
	.set _ZN7rocprim17ROCPRIM_400000_NS6detail17trampoline_kernelINS0_14default_configENS1_35radix_sort_onesweep_config_selectorIffEEZZNS1_29radix_sort_onesweep_iterationIS3_Lb0EN6thrust23THRUST_200600_302600_NS6detail15normal_iteratorINS8_10device_ptrIfEEEESD_SD_SD_jNS0_19identity_decomposerENS1_16block_id_wrapperIjLb1EEEEE10hipError_tT1_PNSt15iterator_traitsISI_E10value_typeET2_T3_PNSJ_ISO_E10value_typeET4_T5_PST_SU_PNS1_23onesweep_lookback_stateEbbT6_jjT7_P12ihipStream_tbENKUlT_T0_SI_SN_E_clIPfSD_S15_SD_EEDaS11_S12_SI_SN_EUlS11_E_NS1_11comp_targetILNS1_3genE2ELNS1_11target_archE906ELNS1_3gpuE6ELNS1_3repE0EEENS1_47radix_sort_onesweep_sort_config_static_selectorELNS0_4arch9wavefront6targetE1EEEvSI_.numbered_sgpr, 0
	.set _ZN7rocprim17ROCPRIM_400000_NS6detail17trampoline_kernelINS0_14default_configENS1_35radix_sort_onesweep_config_selectorIffEEZZNS1_29radix_sort_onesweep_iterationIS3_Lb0EN6thrust23THRUST_200600_302600_NS6detail15normal_iteratorINS8_10device_ptrIfEEEESD_SD_SD_jNS0_19identity_decomposerENS1_16block_id_wrapperIjLb1EEEEE10hipError_tT1_PNSt15iterator_traitsISI_E10value_typeET2_T3_PNSJ_ISO_E10value_typeET4_T5_PST_SU_PNS1_23onesweep_lookback_stateEbbT6_jjT7_P12ihipStream_tbENKUlT_T0_SI_SN_E_clIPfSD_S15_SD_EEDaS11_S12_SI_SN_EUlS11_E_NS1_11comp_targetILNS1_3genE2ELNS1_11target_archE906ELNS1_3gpuE6ELNS1_3repE0EEENS1_47radix_sort_onesweep_sort_config_static_selectorELNS0_4arch9wavefront6targetE1EEEvSI_.num_named_barrier, 0
	.set _ZN7rocprim17ROCPRIM_400000_NS6detail17trampoline_kernelINS0_14default_configENS1_35radix_sort_onesweep_config_selectorIffEEZZNS1_29radix_sort_onesweep_iterationIS3_Lb0EN6thrust23THRUST_200600_302600_NS6detail15normal_iteratorINS8_10device_ptrIfEEEESD_SD_SD_jNS0_19identity_decomposerENS1_16block_id_wrapperIjLb1EEEEE10hipError_tT1_PNSt15iterator_traitsISI_E10value_typeET2_T3_PNSJ_ISO_E10value_typeET4_T5_PST_SU_PNS1_23onesweep_lookback_stateEbbT6_jjT7_P12ihipStream_tbENKUlT_T0_SI_SN_E_clIPfSD_S15_SD_EEDaS11_S12_SI_SN_EUlS11_E_NS1_11comp_targetILNS1_3genE2ELNS1_11target_archE906ELNS1_3gpuE6ELNS1_3repE0EEENS1_47radix_sort_onesweep_sort_config_static_selectorELNS0_4arch9wavefront6targetE1EEEvSI_.private_seg_size, 0
	.set _ZN7rocprim17ROCPRIM_400000_NS6detail17trampoline_kernelINS0_14default_configENS1_35radix_sort_onesweep_config_selectorIffEEZZNS1_29radix_sort_onesweep_iterationIS3_Lb0EN6thrust23THRUST_200600_302600_NS6detail15normal_iteratorINS8_10device_ptrIfEEEESD_SD_SD_jNS0_19identity_decomposerENS1_16block_id_wrapperIjLb1EEEEE10hipError_tT1_PNSt15iterator_traitsISI_E10value_typeET2_T3_PNSJ_ISO_E10value_typeET4_T5_PST_SU_PNS1_23onesweep_lookback_stateEbbT6_jjT7_P12ihipStream_tbENKUlT_T0_SI_SN_E_clIPfSD_S15_SD_EEDaS11_S12_SI_SN_EUlS11_E_NS1_11comp_targetILNS1_3genE2ELNS1_11target_archE906ELNS1_3gpuE6ELNS1_3repE0EEENS1_47radix_sort_onesweep_sort_config_static_selectorELNS0_4arch9wavefront6targetE1EEEvSI_.uses_vcc, 0
	.set _ZN7rocprim17ROCPRIM_400000_NS6detail17trampoline_kernelINS0_14default_configENS1_35radix_sort_onesweep_config_selectorIffEEZZNS1_29radix_sort_onesweep_iterationIS3_Lb0EN6thrust23THRUST_200600_302600_NS6detail15normal_iteratorINS8_10device_ptrIfEEEESD_SD_SD_jNS0_19identity_decomposerENS1_16block_id_wrapperIjLb1EEEEE10hipError_tT1_PNSt15iterator_traitsISI_E10value_typeET2_T3_PNSJ_ISO_E10value_typeET4_T5_PST_SU_PNS1_23onesweep_lookback_stateEbbT6_jjT7_P12ihipStream_tbENKUlT_T0_SI_SN_E_clIPfSD_S15_SD_EEDaS11_S12_SI_SN_EUlS11_E_NS1_11comp_targetILNS1_3genE2ELNS1_11target_archE906ELNS1_3gpuE6ELNS1_3repE0EEENS1_47radix_sort_onesweep_sort_config_static_selectorELNS0_4arch9wavefront6targetE1EEEvSI_.uses_flat_scratch, 0
	.set _ZN7rocprim17ROCPRIM_400000_NS6detail17trampoline_kernelINS0_14default_configENS1_35radix_sort_onesweep_config_selectorIffEEZZNS1_29radix_sort_onesweep_iterationIS3_Lb0EN6thrust23THRUST_200600_302600_NS6detail15normal_iteratorINS8_10device_ptrIfEEEESD_SD_SD_jNS0_19identity_decomposerENS1_16block_id_wrapperIjLb1EEEEE10hipError_tT1_PNSt15iterator_traitsISI_E10value_typeET2_T3_PNSJ_ISO_E10value_typeET4_T5_PST_SU_PNS1_23onesweep_lookback_stateEbbT6_jjT7_P12ihipStream_tbENKUlT_T0_SI_SN_E_clIPfSD_S15_SD_EEDaS11_S12_SI_SN_EUlS11_E_NS1_11comp_targetILNS1_3genE2ELNS1_11target_archE906ELNS1_3gpuE6ELNS1_3repE0EEENS1_47radix_sort_onesweep_sort_config_static_selectorELNS0_4arch9wavefront6targetE1EEEvSI_.has_dyn_sized_stack, 0
	.set _ZN7rocprim17ROCPRIM_400000_NS6detail17trampoline_kernelINS0_14default_configENS1_35radix_sort_onesweep_config_selectorIffEEZZNS1_29radix_sort_onesweep_iterationIS3_Lb0EN6thrust23THRUST_200600_302600_NS6detail15normal_iteratorINS8_10device_ptrIfEEEESD_SD_SD_jNS0_19identity_decomposerENS1_16block_id_wrapperIjLb1EEEEE10hipError_tT1_PNSt15iterator_traitsISI_E10value_typeET2_T3_PNSJ_ISO_E10value_typeET4_T5_PST_SU_PNS1_23onesweep_lookback_stateEbbT6_jjT7_P12ihipStream_tbENKUlT_T0_SI_SN_E_clIPfSD_S15_SD_EEDaS11_S12_SI_SN_EUlS11_E_NS1_11comp_targetILNS1_3genE2ELNS1_11target_archE906ELNS1_3gpuE6ELNS1_3repE0EEENS1_47radix_sort_onesweep_sort_config_static_selectorELNS0_4arch9wavefront6targetE1EEEvSI_.has_recursion, 0
	.set _ZN7rocprim17ROCPRIM_400000_NS6detail17trampoline_kernelINS0_14default_configENS1_35radix_sort_onesweep_config_selectorIffEEZZNS1_29radix_sort_onesweep_iterationIS3_Lb0EN6thrust23THRUST_200600_302600_NS6detail15normal_iteratorINS8_10device_ptrIfEEEESD_SD_SD_jNS0_19identity_decomposerENS1_16block_id_wrapperIjLb1EEEEE10hipError_tT1_PNSt15iterator_traitsISI_E10value_typeET2_T3_PNSJ_ISO_E10value_typeET4_T5_PST_SU_PNS1_23onesweep_lookback_stateEbbT6_jjT7_P12ihipStream_tbENKUlT_T0_SI_SN_E_clIPfSD_S15_SD_EEDaS11_S12_SI_SN_EUlS11_E_NS1_11comp_targetILNS1_3genE2ELNS1_11target_archE906ELNS1_3gpuE6ELNS1_3repE0EEENS1_47radix_sort_onesweep_sort_config_static_selectorELNS0_4arch9wavefront6targetE1EEEvSI_.has_indirect_call, 0
	.section	.AMDGPU.csdata,"",@progbits
; Kernel info:
; codeLenInByte = 0
; TotalNumSgprs: 6
; NumVgprs: 0
; NumAgprs: 0
; TotalNumVgprs: 0
; ScratchSize: 0
; MemoryBound: 0
; FloatMode: 240
; IeeeMode: 1
; LDSByteSize: 0 bytes/workgroup (compile time only)
; SGPRBlocks: 0
; VGPRBlocks: 0
; NumSGPRsForWavesPerEU: 6
; NumVGPRsForWavesPerEU: 1
; AccumOffset: 4
; Occupancy: 8
; WaveLimiterHint : 0
; COMPUTE_PGM_RSRC2:SCRATCH_EN: 0
; COMPUTE_PGM_RSRC2:USER_SGPR: 2
; COMPUTE_PGM_RSRC2:TRAP_HANDLER: 0
; COMPUTE_PGM_RSRC2:TGID_X_EN: 1
; COMPUTE_PGM_RSRC2:TGID_Y_EN: 0
; COMPUTE_PGM_RSRC2:TGID_Z_EN: 0
; COMPUTE_PGM_RSRC2:TIDIG_COMP_CNT: 0
; COMPUTE_PGM_RSRC3_GFX90A:ACCUM_OFFSET: 0
; COMPUTE_PGM_RSRC3_GFX90A:TG_SPLIT: 0
	.section	.text._ZN7rocprim17ROCPRIM_400000_NS6detail17trampoline_kernelINS0_14default_configENS1_35radix_sort_onesweep_config_selectorIffEEZZNS1_29radix_sort_onesweep_iterationIS3_Lb0EN6thrust23THRUST_200600_302600_NS6detail15normal_iteratorINS8_10device_ptrIfEEEESD_SD_SD_jNS0_19identity_decomposerENS1_16block_id_wrapperIjLb1EEEEE10hipError_tT1_PNSt15iterator_traitsISI_E10value_typeET2_T3_PNSJ_ISO_E10value_typeET4_T5_PST_SU_PNS1_23onesweep_lookback_stateEbbT6_jjT7_P12ihipStream_tbENKUlT_T0_SI_SN_E_clIPfSD_S15_SD_EEDaS11_S12_SI_SN_EUlS11_E_NS1_11comp_targetILNS1_3genE4ELNS1_11target_archE910ELNS1_3gpuE8ELNS1_3repE0EEENS1_47radix_sort_onesweep_sort_config_static_selectorELNS0_4arch9wavefront6targetE1EEEvSI_,"axG",@progbits,_ZN7rocprim17ROCPRIM_400000_NS6detail17trampoline_kernelINS0_14default_configENS1_35radix_sort_onesweep_config_selectorIffEEZZNS1_29radix_sort_onesweep_iterationIS3_Lb0EN6thrust23THRUST_200600_302600_NS6detail15normal_iteratorINS8_10device_ptrIfEEEESD_SD_SD_jNS0_19identity_decomposerENS1_16block_id_wrapperIjLb1EEEEE10hipError_tT1_PNSt15iterator_traitsISI_E10value_typeET2_T3_PNSJ_ISO_E10value_typeET4_T5_PST_SU_PNS1_23onesweep_lookback_stateEbbT6_jjT7_P12ihipStream_tbENKUlT_T0_SI_SN_E_clIPfSD_S15_SD_EEDaS11_S12_SI_SN_EUlS11_E_NS1_11comp_targetILNS1_3genE4ELNS1_11target_archE910ELNS1_3gpuE8ELNS1_3repE0EEENS1_47radix_sort_onesweep_sort_config_static_selectorELNS0_4arch9wavefront6targetE1EEEvSI_,comdat
	.protected	_ZN7rocprim17ROCPRIM_400000_NS6detail17trampoline_kernelINS0_14default_configENS1_35radix_sort_onesweep_config_selectorIffEEZZNS1_29radix_sort_onesweep_iterationIS3_Lb0EN6thrust23THRUST_200600_302600_NS6detail15normal_iteratorINS8_10device_ptrIfEEEESD_SD_SD_jNS0_19identity_decomposerENS1_16block_id_wrapperIjLb1EEEEE10hipError_tT1_PNSt15iterator_traitsISI_E10value_typeET2_T3_PNSJ_ISO_E10value_typeET4_T5_PST_SU_PNS1_23onesweep_lookback_stateEbbT6_jjT7_P12ihipStream_tbENKUlT_T0_SI_SN_E_clIPfSD_S15_SD_EEDaS11_S12_SI_SN_EUlS11_E_NS1_11comp_targetILNS1_3genE4ELNS1_11target_archE910ELNS1_3gpuE8ELNS1_3repE0EEENS1_47radix_sort_onesweep_sort_config_static_selectorELNS0_4arch9wavefront6targetE1EEEvSI_ ; -- Begin function _ZN7rocprim17ROCPRIM_400000_NS6detail17trampoline_kernelINS0_14default_configENS1_35radix_sort_onesweep_config_selectorIffEEZZNS1_29radix_sort_onesweep_iterationIS3_Lb0EN6thrust23THRUST_200600_302600_NS6detail15normal_iteratorINS8_10device_ptrIfEEEESD_SD_SD_jNS0_19identity_decomposerENS1_16block_id_wrapperIjLb1EEEEE10hipError_tT1_PNSt15iterator_traitsISI_E10value_typeET2_T3_PNSJ_ISO_E10value_typeET4_T5_PST_SU_PNS1_23onesweep_lookback_stateEbbT6_jjT7_P12ihipStream_tbENKUlT_T0_SI_SN_E_clIPfSD_S15_SD_EEDaS11_S12_SI_SN_EUlS11_E_NS1_11comp_targetILNS1_3genE4ELNS1_11target_archE910ELNS1_3gpuE8ELNS1_3repE0EEENS1_47radix_sort_onesweep_sort_config_static_selectorELNS0_4arch9wavefront6targetE1EEEvSI_
	.globl	_ZN7rocprim17ROCPRIM_400000_NS6detail17trampoline_kernelINS0_14default_configENS1_35radix_sort_onesweep_config_selectorIffEEZZNS1_29radix_sort_onesweep_iterationIS3_Lb0EN6thrust23THRUST_200600_302600_NS6detail15normal_iteratorINS8_10device_ptrIfEEEESD_SD_SD_jNS0_19identity_decomposerENS1_16block_id_wrapperIjLb1EEEEE10hipError_tT1_PNSt15iterator_traitsISI_E10value_typeET2_T3_PNSJ_ISO_E10value_typeET4_T5_PST_SU_PNS1_23onesweep_lookback_stateEbbT6_jjT7_P12ihipStream_tbENKUlT_T0_SI_SN_E_clIPfSD_S15_SD_EEDaS11_S12_SI_SN_EUlS11_E_NS1_11comp_targetILNS1_3genE4ELNS1_11target_archE910ELNS1_3gpuE8ELNS1_3repE0EEENS1_47radix_sort_onesweep_sort_config_static_selectorELNS0_4arch9wavefront6targetE1EEEvSI_
	.p2align	8
	.type	_ZN7rocprim17ROCPRIM_400000_NS6detail17trampoline_kernelINS0_14default_configENS1_35radix_sort_onesweep_config_selectorIffEEZZNS1_29radix_sort_onesweep_iterationIS3_Lb0EN6thrust23THRUST_200600_302600_NS6detail15normal_iteratorINS8_10device_ptrIfEEEESD_SD_SD_jNS0_19identity_decomposerENS1_16block_id_wrapperIjLb1EEEEE10hipError_tT1_PNSt15iterator_traitsISI_E10value_typeET2_T3_PNSJ_ISO_E10value_typeET4_T5_PST_SU_PNS1_23onesweep_lookback_stateEbbT6_jjT7_P12ihipStream_tbENKUlT_T0_SI_SN_E_clIPfSD_S15_SD_EEDaS11_S12_SI_SN_EUlS11_E_NS1_11comp_targetILNS1_3genE4ELNS1_11target_archE910ELNS1_3gpuE8ELNS1_3repE0EEENS1_47radix_sort_onesweep_sort_config_static_selectorELNS0_4arch9wavefront6targetE1EEEvSI_,@function
_ZN7rocprim17ROCPRIM_400000_NS6detail17trampoline_kernelINS0_14default_configENS1_35radix_sort_onesweep_config_selectorIffEEZZNS1_29radix_sort_onesweep_iterationIS3_Lb0EN6thrust23THRUST_200600_302600_NS6detail15normal_iteratorINS8_10device_ptrIfEEEESD_SD_SD_jNS0_19identity_decomposerENS1_16block_id_wrapperIjLb1EEEEE10hipError_tT1_PNSt15iterator_traitsISI_E10value_typeET2_T3_PNSJ_ISO_E10value_typeET4_T5_PST_SU_PNS1_23onesweep_lookback_stateEbbT6_jjT7_P12ihipStream_tbENKUlT_T0_SI_SN_E_clIPfSD_S15_SD_EEDaS11_S12_SI_SN_EUlS11_E_NS1_11comp_targetILNS1_3genE4ELNS1_11target_archE910ELNS1_3gpuE8ELNS1_3repE0EEENS1_47radix_sort_onesweep_sort_config_static_selectorELNS0_4arch9wavefront6targetE1EEEvSI_: ; @_ZN7rocprim17ROCPRIM_400000_NS6detail17trampoline_kernelINS0_14default_configENS1_35radix_sort_onesweep_config_selectorIffEEZZNS1_29radix_sort_onesweep_iterationIS3_Lb0EN6thrust23THRUST_200600_302600_NS6detail15normal_iteratorINS8_10device_ptrIfEEEESD_SD_SD_jNS0_19identity_decomposerENS1_16block_id_wrapperIjLb1EEEEE10hipError_tT1_PNSt15iterator_traitsISI_E10value_typeET2_T3_PNSJ_ISO_E10value_typeET4_T5_PST_SU_PNS1_23onesweep_lookback_stateEbbT6_jjT7_P12ihipStream_tbENKUlT_T0_SI_SN_E_clIPfSD_S15_SD_EEDaS11_S12_SI_SN_EUlS11_E_NS1_11comp_targetILNS1_3genE4ELNS1_11target_archE910ELNS1_3gpuE8ELNS1_3repE0EEENS1_47radix_sort_onesweep_sort_config_static_selectorELNS0_4arch9wavefront6targetE1EEEvSI_
; %bb.0:
	.section	.rodata,"a",@progbits
	.p2align	6, 0x0
	.amdhsa_kernel _ZN7rocprim17ROCPRIM_400000_NS6detail17trampoline_kernelINS0_14default_configENS1_35radix_sort_onesweep_config_selectorIffEEZZNS1_29radix_sort_onesweep_iterationIS3_Lb0EN6thrust23THRUST_200600_302600_NS6detail15normal_iteratorINS8_10device_ptrIfEEEESD_SD_SD_jNS0_19identity_decomposerENS1_16block_id_wrapperIjLb1EEEEE10hipError_tT1_PNSt15iterator_traitsISI_E10value_typeET2_T3_PNSJ_ISO_E10value_typeET4_T5_PST_SU_PNS1_23onesweep_lookback_stateEbbT6_jjT7_P12ihipStream_tbENKUlT_T0_SI_SN_E_clIPfSD_S15_SD_EEDaS11_S12_SI_SN_EUlS11_E_NS1_11comp_targetILNS1_3genE4ELNS1_11target_archE910ELNS1_3gpuE8ELNS1_3repE0EEENS1_47radix_sort_onesweep_sort_config_static_selectorELNS0_4arch9wavefront6targetE1EEEvSI_
		.amdhsa_group_segment_fixed_size 0
		.amdhsa_private_segment_fixed_size 0
		.amdhsa_kernarg_size 88
		.amdhsa_user_sgpr_count 2
		.amdhsa_user_sgpr_dispatch_ptr 0
		.amdhsa_user_sgpr_queue_ptr 0
		.amdhsa_user_sgpr_kernarg_segment_ptr 1
		.amdhsa_user_sgpr_dispatch_id 0
		.amdhsa_user_sgpr_kernarg_preload_length 0
		.amdhsa_user_sgpr_kernarg_preload_offset 0
		.amdhsa_user_sgpr_private_segment_size 0
		.amdhsa_uses_dynamic_stack 0
		.amdhsa_enable_private_segment 0
		.amdhsa_system_sgpr_workgroup_id_x 1
		.amdhsa_system_sgpr_workgroup_id_y 0
		.amdhsa_system_sgpr_workgroup_id_z 0
		.amdhsa_system_sgpr_workgroup_info 0
		.amdhsa_system_vgpr_workitem_id 0
		.amdhsa_next_free_vgpr 1
		.amdhsa_next_free_sgpr 0
		.amdhsa_accum_offset 4
		.amdhsa_reserve_vcc 0
		.amdhsa_float_round_mode_32 0
		.amdhsa_float_round_mode_16_64 0
		.amdhsa_float_denorm_mode_32 3
		.amdhsa_float_denorm_mode_16_64 3
		.amdhsa_dx10_clamp 1
		.amdhsa_ieee_mode 1
		.amdhsa_fp16_overflow 0
		.amdhsa_tg_split 0
		.amdhsa_exception_fp_ieee_invalid_op 0
		.amdhsa_exception_fp_denorm_src 0
		.amdhsa_exception_fp_ieee_div_zero 0
		.amdhsa_exception_fp_ieee_overflow 0
		.amdhsa_exception_fp_ieee_underflow 0
		.amdhsa_exception_fp_ieee_inexact 0
		.amdhsa_exception_int_div_zero 0
	.end_amdhsa_kernel
	.section	.text._ZN7rocprim17ROCPRIM_400000_NS6detail17trampoline_kernelINS0_14default_configENS1_35radix_sort_onesweep_config_selectorIffEEZZNS1_29radix_sort_onesweep_iterationIS3_Lb0EN6thrust23THRUST_200600_302600_NS6detail15normal_iteratorINS8_10device_ptrIfEEEESD_SD_SD_jNS0_19identity_decomposerENS1_16block_id_wrapperIjLb1EEEEE10hipError_tT1_PNSt15iterator_traitsISI_E10value_typeET2_T3_PNSJ_ISO_E10value_typeET4_T5_PST_SU_PNS1_23onesweep_lookback_stateEbbT6_jjT7_P12ihipStream_tbENKUlT_T0_SI_SN_E_clIPfSD_S15_SD_EEDaS11_S12_SI_SN_EUlS11_E_NS1_11comp_targetILNS1_3genE4ELNS1_11target_archE910ELNS1_3gpuE8ELNS1_3repE0EEENS1_47radix_sort_onesweep_sort_config_static_selectorELNS0_4arch9wavefront6targetE1EEEvSI_,"axG",@progbits,_ZN7rocprim17ROCPRIM_400000_NS6detail17trampoline_kernelINS0_14default_configENS1_35radix_sort_onesweep_config_selectorIffEEZZNS1_29radix_sort_onesweep_iterationIS3_Lb0EN6thrust23THRUST_200600_302600_NS6detail15normal_iteratorINS8_10device_ptrIfEEEESD_SD_SD_jNS0_19identity_decomposerENS1_16block_id_wrapperIjLb1EEEEE10hipError_tT1_PNSt15iterator_traitsISI_E10value_typeET2_T3_PNSJ_ISO_E10value_typeET4_T5_PST_SU_PNS1_23onesweep_lookback_stateEbbT6_jjT7_P12ihipStream_tbENKUlT_T0_SI_SN_E_clIPfSD_S15_SD_EEDaS11_S12_SI_SN_EUlS11_E_NS1_11comp_targetILNS1_3genE4ELNS1_11target_archE910ELNS1_3gpuE8ELNS1_3repE0EEENS1_47radix_sort_onesweep_sort_config_static_selectorELNS0_4arch9wavefront6targetE1EEEvSI_,comdat
.Lfunc_end327:
	.size	_ZN7rocprim17ROCPRIM_400000_NS6detail17trampoline_kernelINS0_14default_configENS1_35radix_sort_onesweep_config_selectorIffEEZZNS1_29radix_sort_onesweep_iterationIS3_Lb0EN6thrust23THRUST_200600_302600_NS6detail15normal_iteratorINS8_10device_ptrIfEEEESD_SD_SD_jNS0_19identity_decomposerENS1_16block_id_wrapperIjLb1EEEEE10hipError_tT1_PNSt15iterator_traitsISI_E10value_typeET2_T3_PNSJ_ISO_E10value_typeET4_T5_PST_SU_PNS1_23onesweep_lookback_stateEbbT6_jjT7_P12ihipStream_tbENKUlT_T0_SI_SN_E_clIPfSD_S15_SD_EEDaS11_S12_SI_SN_EUlS11_E_NS1_11comp_targetILNS1_3genE4ELNS1_11target_archE910ELNS1_3gpuE8ELNS1_3repE0EEENS1_47radix_sort_onesweep_sort_config_static_selectorELNS0_4arch9wavefront6targetE1EEEvSI_, .Lfunc_end327-_ZN7rocprim17ROCPRIM_400000_NS6detail17trampoline_kernelINS0_14default_configENS1_35radix_sort_onesweep_config_selectorIffEEZZNS1_29radix_sort_onesweep_iterationIS3_Lb0EN6thrust23THRUST_200600_302600_NS6detail15normal_iteratorINS8_10device_ptrIfEEEESD_SD_SD_jNS0_19identity_decomposerENS1_16block_id_wrapperIjLb1EEEEE10hipError_tT1_PNSt15iterator_traitsISI_E10value_typeET2_T3_PNSJ_ISO_E10value_typeET4_T5_PST_SU_PNS1_23onesweep_lookback_stateEbbT6_jjT7_P12ihipStream_tbENKUlT_T0_SI_SN_E_clIPfSD_S15_SD_EEDaS11_S12_SI_SN_EUlS11_E_NS1_11comp_targetILNS1_3genE4ELNS1_11target_archE910ELNS1_3gpuE8ELNS1_3repE0EEENS1_47radix_sort_onesweep_sort_config_static_selectorELNS0_4arch9wavefront6targetE1EEEvSI_
                                        ; -- End function
	.set _ZN7rocprim17ROCPRIM_400000_NS6detail17trampoline_kernelINS0_14default_configENS1_35radix_sort_onesweep_config_selectorIffEEZZNS1_29radix_sort_onesweep_iterationIS3_Lb0EN6thrust23THRUST_200600_302600_NS6detail15normal_iteratorINS8_10device_ptrIfEEEESD_SD_SD_jNS0_19identity_decomposerENS1_16block_id_wrapperIjLb1EEEEE10hipError_tT1_PNSt15iterator_traitsISI_E10value_typeET2_T3_PNSJ_ISO_E10value_typeET4_T5_PST_SU_PNS1_23onesweep_lookback_stateEbbT6_jjT7_P12ihipStream_tbENKUlT_T0_SI_SN_E_clIPfSD_S15_SD_EEDaS11_S12_SI_SN_EUlS11_E_NS1_11comp_targetILNS1_3genE4ELNS1_11target_archE910ELNS1_3gpuE8ELNS1_3repE0EEENS1_47radix_sort_onesweep_sort_config_static_selectorELNS0_4arch9wavefront6targetE1EEEvSI_.num_vgpr, 0
	.set _ZN7rocprim17ROCPRIM_400000_NS6detail17trampoline_kernelINS0_14default_configENS1_35radix_sort_onesweep_config_selectorIffEEZZNS1_29radix_sort_onesweep_iterationIS3_Lb0EN6thrust23THRUST_200600_302600_NS6detail15normal_iteratorINS8_10device_ptrIfEEEESD_SD_SD_jNS0_19identity_decomposerENS1_16block_id_wrapperIjLb1EEEEE10hipError_tT1_PNSt15iterator_traitsISI_E10value_typeET2_T3_PNSJ_ISO_E10value_typeET4_T5_PST_SU_PNS1_23onesweep_lookback_stateEbbT6_jjT7_P12ihipStream_tbENKUlT_T0_SI_SN_E_clIPfSD_S15_SD_EEDaS11_S12_SI_SN_EUlS11_E_NS1_11comp_targetILNS1_3genE4ELNS1_11target_archE910ELNS1_3gpuE8ELNS1_3repE0EEENS1_47radix_sort_onesweep_sort_config_static_selectorELNS0_4arch9wavefront6targetE1EEEvSI_.num_agpr, 0
	.set _ZN7rocprim17ROCPRIM_400000_NS6detail17trampoline_kernelINS0_14default_configENS1_35radix_sort_onesweep_config_selectorIffEEZZNS1_29radix_sort_onesweep_iterationIS3_Lb0EN6thrust23THRUST_200600_302600_NS6detail15normal_iteratorINS8_10device_ptrIfEEEESD_SD_SD_jNS0_19identity_decomposerENS1_16block_id_wrapperIjLb1EEEEE10hipError_tT1_PNSt15iterator_traitsISI_E10value_typeET2_T3_PNSJ_ISO_E10value_typeET4_T5_PST_SU_PNS1_23onesweep_lookback_stateEbbT6_jjT7_P12ihipStream_tbENKUlT_T0_SI_SN_E_clIPfSD_S15_SD_EEDaS11_S12_SI_SN_EUlS11_E_NS1_11comp_targetILNS1_3genE4ELNS1_11target_archE910ELNS1_3gpuE8ELNS1_3repE0EEENS1_47radix_sort_onesweep_sort_config_static_selectorELNS0_4arch9wavefront6targetE1EEEvSI_.numbered_sgpr, 0
	.set _ZN7rocprim17ROCPRIM_400000_NS6detail17trampoline_kernelINS0_14default_configENS1_35radix_sort_onesweep_config_selectorIffEEZZNS1_29radix_sort_onesweep_iterationIS3_Lb0EN6thrust23THRUST_200600_302600_NS6detail15normal_iteratorINS8_10device_ptrIfEEEESD_SD_SD_jNS0_19identity_decomposerENS1_16block_id_wrapperIjLb1EEEEE10hipError_tT1_PNSt15iterator_traitsISI_E10value_typeET2_T3_PNSJ_ISO_E10value_typeET4_T5_PST_SU_PNS1_23onesweep_lookback_stateEbbT6_jjT7_P12ihipStream_tbENKUlT_T0_SI_SN_E_clIPfSD_S15_SD_EEDaS11_S12_SI_SN_EUlS11_E_NS1_11comp_targetILNS1_3genE4ELNS1_11target_archE910ELNS1_3gpuE8ELNS1_3repE0EEENS1_47radix_sort_onesweep_sort_config_static_selectorELNS0_4arch9wavefront6targetE1EEEvSI_.num_named_barrier, 0
	.set _ZN7rocprim17ROCPRIM_400000_NS6detail17trampoline_kernelINS0_14default_configENS1_35radix_sort_onesweep_config_selectorIffEEZZNS1_29radix_sort_onesweep_iterationIS3_Lb0EN6thrust23THRUST_200600_302600_NS6detail15normal_iteratorINS8_10device_ptrIfEEEESD_SD_SD_jNS0_19identity_decomposerENS1_16block_id_wrapperIjLb1EEEEE10hipError_tT1_PNSt15iterator_traitsISI_E10value_typeET2_T3_PNSJ_ISO_E10value_typeET4_T5_PST_SU_PNS1_23onesweep_lookback_stateEbbT6_jjT7_P12ihipStream_tbENKUlT_T0_SI_SN_E_clIPfSD_S15_SD_EEDaS11_S12_SI_SN_EUlS11_E_NS1_11comp_targetILNS1_3genE4ELNS1_11target_archE910ELNS1_3gpuE8ELNS1_3repE0EEENS1_47radix_sort_onesweep_sort_config_static_selectorELNS0_4arch9wavefront6targetE1EEEvSI_.private_seg_size, 0
	.set _ZN7rocprim17ROCPRIM_400000_NS6detail17trampoline_kernelINS0_14default_configENS1_35radix_sort_onesweep_config_selectorIffEEZZNS1_29radix_sort_onesweep_iterationIS3_Lb0EN6thrust23THRUST_200600_302600_NS6detail15normal_iteratorINS8_10device_ptrIfEEEESD_SD_SD_jNS0_19identity_decomposerENS1_16block_id_wrapperIjLb1EEEEE10hipError_tT1_PNSt15iterator_traitsISI_E10value_typeET2_T3_PNSJ_ISO_E10value_typeET4_T5_PST_SU_PNS1_23onesweep_lookback_stateEbbT6_jjT7_P12ihipStream_tbENKUlT_T0_SI_SN_E_clIPfSD_S15_SD_EEDaS11_S12_SI_SN_EUlS11_E_NS1_11comp_targetILNS1_3genE4ELNS1_11target_archE910ELNS1_3gpuE8ELNS1_3repE0EEENS1_47radix_sort_onesweep_sort_config_static_selectorELNS0_4arch9wavefront6targetE1EEEvSI_.uses_vcc, 0
	.set _ZN7rocprim17ROCPRIM_400000_NS6detail17trampoline_kernelINS0_14default_configENS1_35radix_sort_onesweep_config_selectorIffEEZZNS1_29radix_sort_onesweep_iterationIS3_Lb0EN6thrust23THRUST_200600_302600_NS6detail15normal_iteratorINS8_10device_ptrIfEEEESD_SD_SD_jNS0_19identity_decomposerENS1_16block_id_wrapperIjLb1EEEEE10hipError_tT1_PNSt15iterator_traitsISI_E10value_typeET2_T3_PNSJ_ISO_E10value_typeET4_T5_PST_SU_PNS1_23onesweep_lookback_stateEbbT6_jjT7_P12ihipStream_tbENKUlT_T0_SI_SN_E_clIPfSD_S15_SD_EEDaS11_S12_SI_SN_EUlS11_E_NS1_11comp_targetILNS1_3genE4ELNS1_11target_archE910ELNS1_3gpuE8ELNS1_3repE0EEENS1_47radix_sort_onesweep_sort_config_static_selectorELNS0_4arch9wavefront6targetE1EEEvSI_.uses_flat_scratch, 0
	.set _ZN7rocprim17ROCPRIM_400000_NS6detail17trampoline_kernelINS0_14default_configENS1_35radix_sort_onesweep_config_selectorIffEEZZNS1_29radix_sort_onesweep_iterationIS3_Lb0EN6thrust23THRUST_200600_302600_NS6detail15normal_iteratorINS8_10device_ptrIfEEEESD_SD_SD_jNS0_19identity_decomposerENS1_16block_id_wrapperIjLb1EEEEE10hipError_tT1_PNSt15iterator_traitsISI_E10value_typeET2_T3_PNSJ_ISO_E10value_typeET4_T5_PST_SU_PNS1_23onesweep_lookback_stateEbbT6_jjT7_P12ihipStream_tbENKUlT_T0_SI_SN_E_clIPfSD_S15_SD_EEDaS11_S12_SI_SN_EUlS11_E_NS1_11comp_targetILNS1_3genE4ELNS1_11target_archE910ELNS1_3gpuE8ELNS1_3repE0EEENS1_47radix_sort_onesweep_sort_config_static_selectorELNS0_4arch9wavefront6targetE1EEEvSI_.has_dyn_sized_stack, 0
	.set _ZN7rocprim17ROCPRIM_400000_NS6detail17trampoline_kernelINS0_14default_configENS1_35radix_sort_onesweep_config_selectorIffEEZZNS1_29radix_sort_onesweep_iterationIS3_Lb0EN6thrust23THRUST_200600_302600_NS6detail15normal_iteratorINS8_10device_ptrIfEEEESD_SD_SD_jNS0_19identity_decomposerENS1_16block_id_wrapperIjLb1EEEEE10hipError_tT1_PNSt15iterator_traitsISI_E10value_typeET2_T3_PNSJ_ISO_E10value_typeET4_T5_PST_SU_PNS1_23onesweep_lookback_stateEbbT6_jjT7_P12ihipStream_tbENKUlT_T0_SI_SN_E_clIPfSD_S15_SD_EEDaS11_S12_SI_SN_EUlS11_E_NS1_11comp_targetILNS1_3genE4ELNS1_11target_archE910ELNS1_3gpuE8ELNS1_3repE0EEENS1_47radix_sort_onesweep_sort_config_static_selectorELNS0_4arch9wavefront6targetE1EEEvSI_.has_recursion, 0
	.set _ZN7rocprim17ROCPRIM_400000_NS6detail17trampoline_kernelINS0_14default_configENS1_35radix_sort_onesweep_config_selectorIffEEZZNS1_29radix_sort_onesweep_iterationIS3_Lb0EN6thrust23THRUST_200600_302600_NS6detail15normal_iteratorINS8_10device_ptrIfEEEESD_SD_SD_jNS0_19identity_decomposerENS1_16block_id_wrapperIjLb1EEEEE10hipError_tT1_PNSt15iterator_traitsISI_E10value_typeET2_T3_PNSJ_ISO_E10value_typeET4_T5_PST_SU_PNS1_23onesweep_lookback_stateEbbT6_jjT7_P12ihipStream_tbENKUlT_T0_SI_SN_E_clIPfSD_S15_SD_EEDaS11_S12_SI_SN_EUlS11_E_NS1_11comp_targetILNS1_3genE4ELNS1_11target_archE910ELNS1_3gpuE8ELNS1_3repE0EEENS1_47radix_sort_onesweep_sort_config_static_selectorELNS0_4arch9wavefront6targetE1EEEvSI_.has_indirect_call, 0
	.section	.AMDGPU.csdata,"",@progbits
; Kernel info:
; codeLenInByte = 0
; TotalNumSgprs: 6
; NumVgprs: 0
; NumAgprs: 0
; TotalNumVgprs: 0
; ScratchSize: 0
; MemoryBound: 0
; FloatMode: 240
; IeeeMode: 1
; LDSByteSize: 0 bytes/workgroup (compile time only)
; SGPRBlocks: 0
; VGPRBlocks: 0
; NumSGPRsForWavesPerEU: 6
; NumVGPRsForWavesPerEU: 1
; AccumOffset: 4
; Occupancy: 8
; WaveLimiterHint : 0
; COMPUTE_PGM_RSRC2:SCRATCH_EN: 0
; COMPUTE_PGM_RSRC2:USER_SGPR: 2
; COMPUTE_PGM_RSRC2:TRAP_HANDLER: 0
; COMPUTE_PGM_RSRC2:TGID_X_EN: 1
; COMPUTE_PGM_RSRC2:TGID_Y_EN: 0
; COMPUTE_PGM_RSRC2:TGID_Z_EN: 0
; COMPUTE_PGM_RSRC2:TIDIG_COMP_CNT: 0
; COMPUTE_PGM_RSRC3_GFX90A:ACCUM_OFFSET: 0
; COMPUTE_PGM_RSRC3_GFX90A:TG_SPLIT: 0
	.section	.text._ZN7rocprim17ROCPRIM_400000_NS6detail17trampoline_kernelINS0_14default_configENS1_35radix_sort_onesweep_config_selectorIffEEZZNS1_29radix_sort_onesweep_iterationIS3_Lb0EN6thrust23THRUST_200600_302600_NS6detail15normal_iteratorINS8_10device_ptrIfEEEESD_SD_SD_jNS0_19identity_decomposerENS1_16block_id_wrapperIjLb1EEEEE10hipError_tT1_PNSt15iterator_traitsISI_E10value_typeET2_T3_PNSJ_ISO_E10value_typeET4_T5_PST_SU_PNS1_23onesweep_lookback_stateEbbT6_jjT7_P12ihipStream_tbENKUlT_T0_SI_SN_E_clIPfSD_S15_SD_EEDaS11_S12_SI_SN_EUlS11_E_NS1_11comp_targetILNS1_3genE3ELNS1_11target_archE908ELNS1_3gpuE7ELNS1_3repE0EEENS1_47radix_sort_onesweep_sort_config_static_selectorELNS0_4arch9wavefront6targetE1EEEvSI_,"axG",@progbits,_ZN7rocprim17ROCPRIM_400000_NS6detail17trampoline_kernelINS0_14default_configENS1_35radix_sort_onesweep_config_selectorIffEEZZNS1_29radix_sort_onesweep_iterationIS3_Lb0EN6thrust23THRUST_200600_302600_NS6detail15normal_iteratorINS8_10device_ptrIfEEEESD_SD_SD_jNS0_19identity_decomposerENS1_16block_id_wrapperIjLb1EEEEE10hipError_tT1_PNSt15iterator_traitsISI_E10value_typeET2_T3_PNSJ_ISO_E10value_typeET4_T5_PST_SU_PNS1_23onesweep_lookback_stateEbbT6_jjT7_P12ihipStream_tbENKUlT_T0_SI_SN_E_clIPfSD_S15_SD_EEDaS11_S12_SI_SN_EUlS11_E_NS1_11comp_targetILNS1_3genE3ELNS1_11target_archE908ELNS1_3gpuE7ELNS1_3repE0EEENS1_47radix_sort_onesweep_sort_config_static_selectorELNS0_4arch9wavefront6targetE1EEEvSI_,comdat
	.protected	_ZN7rocprim17ROCPRIM_400000_NS6detail17trampoline_kernelINS0_14default_configENS1_35radix_sort_onesweep_config_selectorIffEEZZNS1_29radix_sort_onesweep_iterationIS3_Lb0EN6thrust23THRUST_200600_302600_NS6detail15normal_iteratorINS8_10device_ptrIfEEEESD_SD_SD_jNS0_19identity_decomposerENS1_16block_id_wrapperIjLb1EEEEE10hipError_tT1_PNSt15iterator_traitsISI_E10value_typeET2_T3_PNSJ_ISO_E10value_typeET4_T5_PST_SU_PNS1_23onesweep_lookback_stateEbbT6_jjT7_P12ihipStream_tbENKUlT_T0_SI_SN_E_clIPfSD_S15_SD_EEDaS11_S12_SI_SN_EUlS11_E_NS1_11comp_targetILNS1_3genE3ELNS1_11target_archE908ELNS1_3gpuE7ELNS1_3repE0EEENS1_47radix_sort_onesweep_sort_config_static_selectorELNS0_4arch9wavefront6targetE1EEEvSI_ ; -- Begin function _ZN7rocprim17ROCPRIM_400000_NS6detail17trampoline_kernelINS0_14default_configENS1_35radix_sort_onesweep_config_selectorIffEEZZNS1_29radix_sort_onesweep_iterationIS3_Lb0EN6thrust23THRUST_200600_302600_NS6detail15normal_iteratorINS8_10device_ptrIfEEEESD_SD_SD_jNS0_19identity_decomposerENS1_16block_id_wrapperIjLb1EEEEE10hipError_tT1_PNSt15iterator_traitsISI_E10value_typeET2_T3_PNSJ_ISO_E10value_typeET4_T5_PST_SU_PNS1_23onesweep_lookback_stateEbbT6_jjT7_P12ihipStream_tbENKUlT_T0_SI_SN_E_clIPfSD_S15_SD_EEDaS11_S12_SI_SN_EUlS11_E_NS1_11comp_targetILNS1_3genE3ELNS1_11target_archE908ELNS1_3gpuE7ELNS1_3repE0EEENS1_47radix_sort_onesweep_sort_config_static_selectorELNS0_4arch9wavefront6targetE1EEEvSI_
	.globl	_ZN7rocprim17ROCPRIM_400000_NS6detail17trampoline_kernelINS0_14default_configENS1_35radix_sort_onesweep_config_selectorIffEEZZNS1_29radix_sort_onesweep_iterationIS3_Lb0EN6thrust23THRUST_200600_302600_NS6detail15normal_iteratorINS8_10device_ptrIfEEEESD_SD_SD_jNS0_19identity_decomposerENS1_16block_id_wrapperIjLb1EEEEE10hipError_tT1_PNSt15iterator_traitsISI_E10value_typeET2_T3_PNSJ_ISO_E10value_typeET4_T5_PST_SU_PNS1_23onesweep_lookback_stateEbbT6_jjT7_P12ihipStream_tbENKUlT_T0_SI_SN_E_clIPfSD_S15_SD_EEDaS11_S12_SI_SN_EUlS11_E_NS1_11comp_targetILNS1_3genE3ELNS1_11target_archE908ELNS1_3gpuE7ELNS1_3repE0EEENS1_47radix_sort_onesweep_sort_config_static_selectorELNS0_4arch9wavefront6targetE1EEEvSI_
	.p2align	8
	.type	_ZN7rocprim17ROCPRIM_400000_NS6detail17trampoline_kernelINS0_14default_configENS1_35radix_sort_onesweep_config_selectorIffEEZZNS1_29radix_sort_onesweep_iterationIS3_Lb0EN6thrust23THRUST_200600_302600_NS6detail15normal_iteratorINS8_10device_ptrIfEEEESD_SD_SD_jNS0_19identity_decomposerENS1_16block_id_wrapperIjLb1EEEEE10hipError_tT1_PNSt15iterator_traitsISI_E10value_typeET2_T3_PNSJ_ISO_E10value_typeET4_T5_PST_SU_PNS1_23onesweep_lookback_stateEbbT6_jjT7_P12ihipStream_tbENKUlT_T0_SI_SN_E_clIPfSD_S15_SD_EEDaS11_S12_SI_SN_EUlS11_E_NS1_11comp_targetILNS1_3genE3ELNS1_11target_archE908ELNS1_3gpuE7ELNS1_3repE0EEENS1_47radix_sort_onesweep_sort_config_static_selectorELNS0_4arch9wavefront6targetE1EEEvSI_,@function
_ZN7rocprim17ROCPRIM_400000_NS6detail17trampoline_kernelINS0_14default_configENS1_35radix_sort_onesweep_config_selectorIffEEZZNS1_29radix_sort_onesweep_iterationIS3_Lb0EN6thrust23THRUST_200600_302600_NS6detail15normal_iteratorINS8_10device_ptrIfEEEESD_SD_SD_jNS0_19identity_decomposerENS1_16block_id_wrapperIjLb1EEEEE10hipError_tT1_PNSt15iterator_traitsISI_E10value_typeET2_T3_PNSJ_ISO_E10value_typeET4_T5_PST_SU_PNS1_23onesweep_lookback_stateEbbT6_jjT7_P12ihipStream_tbENKUlT_T0_SI_SN_E_clIPfSD_S15_SD_EEDaS11_S12_SI_SN_EUlS11_E_NS1_11comp_targetILNS1_3genE3ELNS1_11target_archE908ELNS1_3gpuE7ELNS1_3repE0EEENS1_47radix_sort_onesweep_sort_config_static_selectorELNS0_4arch9wavefront6targetE1EEEvSI_: ; @_ZN7rocprim17ROCPRIM_400000_NS6detail17trampoline_kernelINS0_14default_configENS1_35radix_sort_onesweep_config_selectorIffEEZZNS1_29radix_sort_onesweep_iterationIS3_Lb0EN6thrust23THRUST_200600_302600_NS6detail15normal_iteratorINS8_10device_ptrIfEEEESD_SD_SD_jNS0_19identity_decomposerENS1_16block_id_wrapperIjLb1EEEEE10hipError_tT1_PNSt15iterator_traitsISI_E10value_typeET2_T3_PNSJ_ISO_E10value_typeET4_T5_PST_SU_PNS1_23onesweep_lookback_stateEbbT6_jjT7_P12ihipStream_tbENKUlT_T0_SI_SN_E_clIPfSD_S15_SD_EEDaS11_S12_SI_SN_EUlS11_E_NS1_11comp_targetILNS1_3genE3ELNS1_11target_archE908ELNS1_3gpuE7ELNS1_3repE0EEENS1_47radix_sort_onesweep_sort_config_static_selectorELNS0_4arch9wavefront6targetE1EEEvSI_
; %bb.0:
	.section	.rodata,"a",@progbits
	.p2align	6, 0x0
	.amdhsa_kernel _ZN7rocprim17ROCPRIM_400000_NS6detail17trampoline_kernelINS0_14default_configENS1_35radix_sort_onesweep_config_selectorIffEEZZNS1_29radix_sort_onesweep_iterationIS3_Lb0EN6thrust23THRUST_200600_302600_NS6detail15normal_iteratorINS8_10device_ptrIfEEEESD_SD_SD_jNS0_19identity_decomposerENS1_16block_id_wrapperIjLb1EEEEE10hipError_tT1_PNSt15iterator_traitsISI_E10value_typeET2_T3_PNSJ_ISO_E10value_typeET4_T5_PST_SU_PNS1_23onesweep_lookback_stateEbbT6_jjT7_P12ihipStream_tbENKUlT_T0_SI_SN_E_clIPfSD_S15_SD_EEDaS11_S12_SI_SN_EUlS11_E_NS1_11comp_targetILNS1_3genE3ELNS1_11target_archE908ELNS1_3gpuE7ELNS1_3repE0EEENS1_47radix_sort_onesweep_sort_config_static_selectorELNS0_4arch9wavefront6targetE1EEEvSI_
		.amdhsa_group_segment_fixed_size 0
		.amdhsa_private_segment_fixed_size 0
		.amdhsa_kernarg_size 88
		.amdhsa_user_sgpr_count 2
		.amdhsa_user_sgpr_dispatch_ptr 0
		.amdhsa_user_sgpr_queue_ptr 0
		.amdhsa_user_sgpr_kernarg_segment_ptr 1
		.amdhsa_user_sgpr_dispatch_id 0
		.amdhsa_user_sgpr_kernarg_preload_length 0
		.amdhsa_user_sgpr_kernarg_preload_offset 0
		.amdhsa_user_sgpr_private_segment_size 0
		.amdhsa_uses_dynamic_stack 0
		.amdhsa_enable_private_segment 0
		.amdhsa_system_sgpr_workgroup_id_x 1
		.amdhsa_system_sgpr_workgroup_id_y 0
		.amdhsa_system_sgpr_workgroup_id_z 0
		.amdhsa_system_sgpr_workgroup_info 0
		.amdhsa_system_vgpr_workitem_id 0
		.amdhsa_next_free_vgpr 1
		.amdhsa_next_free_sgpr 0
		.amdhsa_accum_offset 4
		.amdhsa_reserve_vcc 0
		.amdhsa_float_round_mode_32 0
		.amdhsa_float_round_mode_16_64 0
		.amdhsa_float_denorm_mode_32 3
		.amdhsa_float_denorm_mode_16_64 3
		.amdhsa_dx10_clamp 1
		.amdhsa_ieee_mode 1
		.amdhsa_fp16_overflow 0
		.amdhsa_tg_split 0
		.amdhsa_exception_fp_ieee_invalid_op 0
		.amdhsa_exception_fp_denorm_src 0
		.amdhsa_exception_fp_ieee_div_zero 0
		.amdhsa_exception_fp_ieee_overflow 0
		.amdhsa_exception_fp_ieee_underflow 0
		.amdhsa_exception_fp_ieee_inexact 0
		.amdhsa_exception_int_div_zero 0
	.end_amdhsa_kernel
	.section	.text._ZN7rocprim17ROCPRIM_400000_NS6detail17trampoline_kernelINS0_14default_configENS1_35radix_sort_onesweep_config_selectorIffEEZZNS1_29radix_sort_onesweep_iterationIS3_Lb0EN6thrust23THRUST_200600_302600_NS6detail15normal_iteratorINS8_10device_ptrIfEEEESD_SD_SD_jNS0_19identity_decomposerENS1_16block_id_wrapperIjLb1EEEEE10hipError_tT1_PNSt15iterator_traitsISI_E10value_typeET2_T3_PNSJ_ISO_E10value_typeET4_T5_PST_SU_PNS1_23onesweep_lookback_stateEbbT6_jjT7_P12ihipStream_tbENKUlT_T0_SI_SN_E_clIPfSD_S15_SD_EEDaS11_S12_SI_SN_EUlS11_E_NS1_11comp_targetILNS1_3genE3ELNS1_11target_archE908ELNS1_3gpuE7ELNS1_3repE0EEENS1_47radix_sort_onesweep_sort_config_static_selectorELNS0_4arch9wavefront6targetE1EEEvSI_,"axG",@progbits,_ZN7rocprim17ROCPRIM_400000_NS6detail17trampoline_kernelINS0_14default_configENS1_35radix_sort_onesweep_config_selectorIffEEZZNS1_29radix_sort_onesweep_iterationIS3_Lb0EN6thrust23THRUST_200600_302600_NS6detail15normal_iteratorINS8_10device_ptrIfEEEESD_SD_SD_jNS0_19identity_decomposerENS1_16block_id_wrapperIjLb1EEEEE10hipError_tT1_PNSt15iterator_traitsISI_E10value_typeET2_T3_PNSJ_ISO_E10value_typeET4_T5_PST_SU_PNS1_23onesweep_lookback_stateEbbT6_jjT7_P12ihipStream_tbENKUlT_T0_SI_SN_E_clIPfSD_S15_SD_EEDaS11_S12_SI_SN_EUlS11_E_NS1_11comp_targetILNS1_3genE3ELNS1_11target_archE908ELNS1_3gpuE7ELNS1_3repE0EEENS1_47radix_sort_onesweep_sort_config_static_selectorELNS0_4arch9wavefront6targetE1EEEvSI_,comdat
.Lfunc_end328:
	.size	_ZN7rocprim17ROCPRIM_400000_NS6detail17trampoline_kernelINS0_14default_configENS1_35radix_sort_onesweep_config_selectorIffEEZZNS1_29radix_sort_onesweep_iterationIS3_Lb0EN6thrust23THRUST_200600_302600_NS6detail15normal_iteratorINS8_10device_ptrIfEEEESD_SD_SD_jNS0_19identity_decomposerENS1_16block_id_wrapperIjLb1EEEEE10hipError_tT1_PNSt15iterator_traitsISI_E10value_typeET2_T3_PNSJ_ISO_E10value_typeET4_T5_PST_SU_PNS1_23onesweep_lookback_stateEbbT6_jjT7_P12ihipStream_tbENKUlT_T0_SI_SN_E_clIPfSD_S15_SD_EEDaS11_S12_SI_SN_EUlS11_E_NS1_11comp_targetILNS1_3genE3ELNS1_11target_archE908ELNS1_3gpuE7ELNS1_3repE0EEENS1_47radix_sort_onesweep_sort_config_static_selectorELNS0_4arch9wavefront6targetE1EEEvSI_, .Lfunc_end328-_ZN7rocprim17ROCPRIM_400000_NS6detail17trampoline_kernelINS0_14default_configENS1_35radix_sort_onesweep_config_selectorIffEEZZNS1_29radix_sort_onesweep_iterationIS3_Lb0EN6thrust23THRUST_200600_302600_NS6detail15normal_iteratorINS8_10device_ptrIfEEEESD_SD_SD_jNS0_19identity_decomposerENS1_16block_id_wrapperIjLb1EEEEE10hipError_tT1_PNSt15iterator_traitsISI_E10value_typeET2_T3_PNSJ_ISO_E10value_typeET4_T5_PST_SU_PNS1_23onesweep_lookback_stateEbbT6_jjT7_P12ihipStream_tbENKUlT_T0_SI_SN_E_clIPfSD_S15_SD_EEDaS11_S12_SI_SN_EUlS11_E_NS1_11comp_targetILNS1_3genE3ELNS1_11target_archE908ELNS1_3gpuE7ELNS1_3repE0EEENS1_47radix_sort_onesweep_sort_config_static_selectorELNS0_4arch9wavefront6targetE1EEEvSI_
                                        ; -- End function
	.set _ZN7rocprim17ROCPRIM_400000_NS6detail17trampoline_kernelINS0_14default_configENS1_35radix_sort_onesweep_config_selectorIffEEZZNS1_29radix_sort_onesweep_iterationIS3_Lb0EN6thrust23THRUST_200600_302600_NS6detail15normal_iteratorINS8_10device_ptrIfEEEESD_SD_SD_jNS0_19identity_decomposerENS1_16block_id_wrapperIjLb1EEEEE10hipError_tT1_PNSt15iterator_traitsISI_E10value_typeET2_T3_PNSJ_ISO_E10value_typeET4_T5_PST_SU_PNS1_23onesweep_lookback_stateEbbT6_jjT7_P12ihipStream_tbENKUlT_T0_SI_SN_E_clIPfSD_S15_SD_EEDaS11_S12_SI_SN_EUlS11_E_NS1_11comp_targetILNS1_3genE3ELNS1_11target_archE908ELNS1_3gpuE7ELNS1_3repE0EEENS1_47radix_sort_onesweep_sort_config_static_selectorELNS0_4arch9wavefront6targetE1EEEvSI_.num_vgpr, 0
	.set _ZN7rocprim17ROCPRIM_400000_NS6detail17trampoline_kernelINS0_14default_configENS1_35radix_sort_onesweep_config_selectorIffEEZZNS1_29radix_sort_onesweep_iterationIS3_Lb0EN6thrust23THRUST_200600_302600_NS6detail15normal_iteratorINS8_10device_ptrIfEEEESD_SD_SD_jNS0_19identity_decomposerENS1_16block_id_wrapperIjLb1EEEEE10hipError_tT1_PNSt15iterator_traitsISI_E10value_typeET2_T3_PNSJ_ISO_E10value_typeET4_T5_PST_SU_PNS1_23onesweep_lookback_stateEbbT6_jjT7_P12ihipStream_tbENKUlT_T0_SI_SN_E_clIPfSD_S15_SD_EEDaS11_S12_SI_SN_EUlS11_E_NS1_11comp_targetILNS1_3genE3ELNS1_11target_archE908ELNS1_3gpuE7ELNS1_3repE0EEENS1_47radix_sort_onesweep_sort_config_static_selectorELNS0_4arch9wavefront6targetE1EEEvSI_.num_agpr, 0
	.set _ZN7rocprim17ROCPRIM_400000_NS6detail17trampoline_kernelINS0_14default_configENS1_35radix_sort_onesweep_config_selectorIffEEZZNS1_29radix_sort_onesweep_iterationIS3_Lb0EN6thrust23THRUST_200600_302600_NS6detail15normal_iteratorINS8_10device_ptrIfEEEESD_SD_SD_jNS0_19identity_decomposerENS1_16block_id_wrapperIjLb1EEEEE10hipError_tT1_PNSt15iterator_traitsISI_E10value_typeET2_T3_PNSJ_ISO_E10value_typeET4_T5_PST_SU_PNS1_23onesweep_lookback_stateEbbT6_jjT7_P12ihipStream_tbENKUlT_T0_SI_SN_E_clIPfSD_S15_SD_EEDaS11_S12_SI_SN_EUlS11_E_NS1_11comp_targetILNS1_3genE3ELNS1_11target_archE908ELNS1_3gpuE7ELNS1_3repE0EEENS1_47radix_sort_onesweep_sort_config_static_selectorELNS0_4arch9wavefront6targetE1EEEvSI_.numbered_sgpr, 0
	.set _ZN7rocprim17ROCPRIM_400000_NS6detail17trampoline_kernelINS0_14default_configENS1_35radix_sort_onesweep_config_selectorIffEEZZNS1_29radix_sort_onesweep_iterationIS3_Lb0EN6thrust23THRUST_200600_302600_NS6detail15normal_iteratorINS8_10device_ptrIfEEEESD_SD_SD_jNS0_19identity_decomposerENS1_16block_id_wrapperIjLb1EEEEE10hipError_tT1_PNSt15iterator_traitsISI_E10value_typeET2_T3_PNSJ_ISO_E10value_typeET4_T5_PST_SU_PNS1_23onesweep_lookback_stateEbbT6_jjT7_P12ihipStream_tbENKUlT_T0_SI_SN_E_clIPfSD_S15_SD_EEDaS11_S12_SI_SN_EUlS11_E_NS1_11comp_targetILNS1_3genE3ELNS1_11target_archE908ELNS1_3gpuE7ELNS1_3repE0EEENS1_47radix_sort_onesweep_sort_config_static_selectorELNS0_4arch9wavefront6targetE1EEEvSI_.num_named_barrier, 0
	.set _ZN7rocprim17ROCPRIM_400000_NS6detail17trampoline_kernelINS0_14default_configENS1_35radix_sort_onesweep_config_selectorIffEEZZNS1_29radix_sort_onesweep_iterationIS3_Lb0EN6thrust23THRUST_200600_302600_NS6detail15normal_iteratorINS8_10device_ptrIfEEEESD_SD_SD_jNS0_19identity_decomposerENS1_16block_id_wrapperIjLb1EEEEE10hipError_tT1_PNSt15iterator_traitsISI_E10value_typeET2_T3_PNSJ_ISO_E10value_typeET4_T5_PST_SU_PNS1_23onesweep_lookback_stateEbbT6_jjT7_P12ihipStream_tbENKUlT_T0_SI_SN_E_clIPfSD_S15_SD_EEDaS11_S12_SI_SN_EUlS11_E_NS1_11comp_targetILNS1_3genE3ELNS1_11target_archE908ELNS1_3gpuE7ELNS1_3repE0EEENS1_47radix_sort_onesweep_sort_config_static_selectorELNS0_4arch9wavefront6targetE1EEEvSI_.private_seg_size, 0
	.set _ZN7rocprim17ROCPRIM_400000_NS6detail17trampoline_kernelINS0_14default_configENS1_35radix_sort_onesweep_config_selectorIffEEZZNS1_29radix_sort_onesweep_iterationIS3_Lb0EN6thrust23THRUST_200600_302600_NS6detail15normal_iteratorINS8_10device_ptrIfEEEESD_SD_SD_jNS0_19identity_decomposerENS1_16block_id_wrapperIjLb1EEEEE10hipError_tT1_PNSt15iterator_traitsISI_E10value_typeET2_T3_PNSJ_ISO_E10value_typeET4_T5_PST_SU_PNS1_23onesweep_lookback_stateEbbT6_jjT7_P12ihipStream_tbENKUlT_T0_SI_SN_E_clIPfSD_S15_SD_EEDaS11_S12_SI_SN_EUlS11_E_NS1_11comp_targetILNS1_3genE3ELNS1_11target_archE908ELNS1_3gpuE7ELNS1_3repE0EEENS1_47radix_sort_onesweep_sort_config_static_selectorELNS0_4arch9wavefront6targetE1EEEvSI_.uses_vcc, 0
	.set _ZN7rocprim17ROCPRIM_400000_NS6detail17trampoline_kernelINS0_14default_configENS1_35radix_sort_onesweep_config_selectorIffEEZZNS1_29radix_sort_onesweep_iterationIS3_Lb0EN6thrust23THRUST_200600_302600_NS6detail15normal_iteratorINS8_10device_ptrIfEEEESD_SD_SD_jNS0_19identity_decomposerENS1_16block_id_wrapperIjLb1EEEEE10hipError_tT1_PNSt15iterator_traitsISI_E10value_typeET2_T3_PNSJ_ISO_E10value_typeET4_T5_PST_SU_PNS1_23onesweep_lookback_stateEbbT6_jjT7_P12ihipStream_tbENKUlT_T0_SI_SN_E_clIPfSD_S15_SD_EEDaS11_S12_SI_SN_EUlS11_E_NS1_11comp_targetILNS1_3genE3ELNS1_11target_archE908ELNS1_3gpuE7ELNS1_3repE0EEENS1_47radix_sort_onesweep_sort_config_static_selectorELNS0_4arch9wavefront6targetE1EEEvSI_.uses_flat_scratch, 0
	.set _ZN7rocprim17ROCPRIM_400000_NS6detail17trampoline_kernelINS0_14default_configENS1_35radix_sort_onesweep_config_selectorIffEEZZNS1_29radix_sort_onesweep_iterationIS3_Lb0EN6thrust23THRUST_200600_302600_NS6detail15normal_iteratorINS8_10device_ptrIfEEEESD_SD_SD_jNS0_19identity_decomposerENS1_16block_id_wrapperIjLb1EEEEE10hipError_tT1_PNSt15iterator_traitsISI_E10value_typeET2_T3_PNSJ_ISO_E10value_typeET4_T5_PST_SU_PNS1_23onesweep_lookback_stateEbbT6_jjT7_P12ihipStream_tbENKUlT_T0_SI_SN_E_clIPfSD_S15_SD_EEDaS11_S12_SI_SN_EUlS11_E_NS1_11comp_targetILNS1_3genE3ELNS1_11target_archE908ELNS1_3gpuE7ELNS1_3repE0EEENS1_47radix_sort_onesweep_sort_config_static_selectorELNS0_4arch9wavefront6targetE1EEEvSI_.has_dyn_sized_stack, 0
	.set _ZN7rocprim17ROCPRIM_400000_NS6detail17trampoline_kernelINS0_14default_configENS1_35radix_sort_onesweep_config_selectorIffEEZZNS1_29radix_sort_onesweep_iterationIS3_Lb0EN6thrust23THRUST_200600_302600_NS6detail15normal_iteratorINS8_10device_ptrIfEEEESD_SD_SD_jNS0_19identity_decomposerENS1_16block_id_wrapperIjLb1EEEEE10hipError_tT1_PNSt15iterator_traitsISI_E10value_typeET2_T3_PNSJ_ISO_E10value_typeET4_T5_PST_SU_PNS1_23onesweep_lookback_stateEbbT6_jjT7_P12ihipStream_tbENKUlT_T0_SI_SN_E_clIPfSD_S15_SD_EEDaS11_S12_SI_SN_EUlS11_E_NS1_11comp_targetILNS1_3genE3ELNS1_11target_archE908ELNS1_3gpuE7ELNS1_3repE0EEENS1_47radix_sort_onesweep_sort_config_static_selectorELNS0_4arch9wavefront6targetE1EEEvSI_.has_recursion, 0
	.set _ZN7rocprim17ROCPRIM_400000_NS6detail17trampoline_kernelINS0_14default_configENS1_35radix_sort_onesweep_config_selectorIffEEZZNS1_29radix_sort_onesweep_iterationIS3_Lb0EN6thrust23THRUST_200600_302600_NS6detail15normal_iteratorINS8_10device_ptrIfEEEESD_SD_SD_jNS0_19identity_decomposerENS1_16block_id_wrapperIjLb1EEEEE10hipError_tT1_PNSt15iterator_traitsISI_E10value_typeET2_T3_PNSJ_ISO_E10value_typeET4_T5_PST_SU_PNS1_23onesweep_lookback_stateEbbT6_jjT7_P12ihipStream_tbENKUlT_T0_SI_SN_E_clIPfSD_S15_SD_EEDaS11_S12_SI_SN_EUlS11_E_NS1_11comp_targetILNS1_3genE3ELNS1_11target_archE908ELNS1_3gpuE7ELNS1_3repE0EEENS1_47radix_sort_onesweep_sort_config_static_selectorELNS0_4arch9wavefront6targetE1EEEvSI_.has_indirect_call, 0
	.section	.AMDGPU.csdata,"",@progbits
; Kernel info:
; codeLenInByte = 0
; TotalNumSgprs: 6
; NumVgprs: 0
; NumAgprs: 0
; TotalNumVgprs: 0
; ScratchSize: 0
; MemoryBound: 0
; FloatMode: 240
; IeeeMode: 1
; LDSByteSize: 0 bytes/workgroup (compile time only)
; SGPRBlocks: 0
; VGPRBlocks: 0
; NumSGPRsForWavesPerEU: 6
; NumVGPRsForWavesPerEU: 1
; AccumOffset: 4
; Occupancy: 8
; WaveLimiterHint : 0
; COMPUTE_PGM_RSRC2:SCRATCH_EN: 0
; COMPUTE_PGM_RSRC2:USER_SGPR: 2
; COMPUTE_PGM_RSRC2:TRAP_HANDLER: 0
; COMPUTE_PGM_RSRC2:TGID_X_EN: 1
; COMPUTE_PGM_RSRC2:TGID_Y_EN: 0
; COMPUTE_PGM_RSRC2:TGID_Z_EN: 0
; COMPUTE_PGM_RSRC2:TIDIG_COMP_CNT: 0
; COMPUTE_PGM_RSRC3_GFX90A:ACCUM_OFFSET: 0
; COMPUTE_PGM_RSRC3_GFX90A:TG_SPLIT: 0
	.section	.text._ZN7rocprim17ROCPRIM_400000_NS6detail17trampoline_kernelINS0_14default_configENS1_35radix_sort_onesweep_config_selectorIffEEZZNS1_29radix_sort_onesweep_iterationIS3_Lb0EN6thrust23THRUST_200600_302600_NS6detail15normal_iteratorINS8_10device_ptrIfEEEESD_SD_SD_jNS0_19identity_decomposerENS1_16block_id_wrapperIjLb1EEEEE10hipError_tT1_PNSt15iterator_traitsISI_E10value_typeET2_T3_PNSJ_ISO_E10value_typeET4_T5_PST_SU_PNS1_23onesweep_lookback_stateEbbT6_jjT7_P12ihipStream_tbENKUlT_T0_SI_SN_E_clIPfSD_S15_SD_EEDaS11_S12_SI_SN_EUlS11_E_NS1_11comp_targetILNS1_3genE10ELNS1_11target_archE1201ELNS1_3gpuE5ELNS1_3repE0EEENS1_47radix_sort_onesweep_sort_config_static_selectorELNS0_4arch9wavefront6targetE1EEEvSI_,"axG",@progbits,_ZN7rocprim17ROCPRIM_400000_NS6detail17trampoline_kernelINS0_14default_configENS1_35radix_sort_onesweep_config_selectorIffEEZZNS1_29radix_sort_onesweep_iterationIS3_Lb0EN6thrust23THRUST_200600_302600_NS6detail15normal_iteratorINS8_10device_ptrIfEEEESD_SD_SD_jNS0_19identity_decomposerENS1_16block_id_wrapperIjLb1EEEEE10hipError_tT1_PNSt15iterator_traitsISI_E10value_typeET2_T3_PNSJ_ISO_E10value_typeET4_T5_PST_SU_PNS1_23onesweep_lookback_stateEbbT6_jjT7_P12ihipStream_tbENKUlT_T0_SI_SN_E_clIPfSD_S15_SD_EEDaS11_S12_SI_SN_EUlS11_E_NS1_11comp_targetILNS1_3genE10ELNS1_11target_archE1201ELNS1_3gpuE5ELNS1_3repE0EEENS1_47radix_sort_onesweep_sort_config_static_selectorELNS0_4arch9wavefront6targetE1EEEvSI_,comdat
	.protected	_ZN7rocprim17ROCPRIM_400000_NS6detail17trampoline_kernelINS0_14default_configENS1_35radix_sort_onesweep_config_selectorIffEEZZNS1_29radix_sort_onesweep_iterationIS3_Lb0EN6thrust23THRUST_200600_302600_NS6detail15normal_iteratorINS8_10device_ptrIfEEEESD_SD_SD_jNS0_19identity_decomposerENS1_16block_id_wrapperIjLb1EEEEE10hipError_tT1_PNSt15iterator_traitsISI_E10value_typeET2_T3_PNSJ_ISO_E10value_typeET4_T5_PST_SU_PNS1_23onesweep_lookback_stateEbbT6_jjT7_P12ihipStream_tbENKUlT_T0_SI_SN_E_clIPfSD_S15_SD_EEDaS11_S12_SI_SN_EUlS11_E_NS1_11comp_targetILNS1_3genE10ELNS1_11target_archE1201ELNS1_3gpuE5ELNS1_3repE0EEENS1_47radix_sort_onesweep_sort_config_static_selectorELNS0_4arch9wavefront6targetE1EEEvSI_ ; -- Begin function _ZN7rocprim17ROCPRIM_400000_NS6detail17trampoline_kernelINS0_14default_configENS1_35radix_sort_onesweep_config_selectorIffEEZZNS1_29radix_sort_onesweep_iterationIS3_Lb0EN6thrust23THRUST_200600_302600_NS6detail15normal_iteratorINS8_10device_ptrIfEEEESD_SD_SD_jNS0_19identity_decomposerENS1_16block_id_wrapperIjLb1EEEEE10hipError_tT1_PNSt15iterator_traitsISI_E10value_typeET2_T3_PNSJ_ISO_E10value_typeET4_T5_PST_SU_PNS1_23onesweep_lookback_stateEbbT6_jjT7_P12ihipStream_tbENKUlT_T0_SI_SN_E_clIPfSD_S15_SD_EEDaS11_S12_SI_SN_EUlS11_E_NS1_11comp_targetILNS1_3genE10ELNS1_11target_archE1201ELNS1_3gpuE5ELNS1_3repE0EEENS1_47radix_sort_onesweep_sort_config_static_selectorELNS0_4arch9wavefront6targetE1EEEvSI_
	.globl	_ZN7rocprim17ROCPRIM_400000_NS6detail17trampoline_kernelINS0_14default_configENS1_35radix_sort_onesweep_config_selectorIffEEZZNS1_29radix_sort_onesweep_iterationIS3_Lb0EN6thrust23THRUST_200600_302600_NS6detail15normal_iteratorINS8_10device_ptrIfEEEESD_SD_SD_jNS0_19identity_decomposerENS1_16block_id_wrapperIjLb1EEEEE10hipError_tT1_PNSt15iterator_traitsISI_E10value_typeET2_T3_PNSJ_ISO_E10value_typeET4_T5_PST_SU_PNS1_23onesweep_lookback_stateEbbT6_jjT7_P12ihipStream_tbENKUlT_T0_SI_SN_E_clIPfSD_S15_SD_EEDaS11_S12_SI_SN_EUlS11_E_NS1_11comp_targetILNS1_3genE10ELNS1_11target_archE1201ELNS1_3gpuE5ELNS1_3repE0EEENS1_47radix_sort_onesweep_sort_config_static_selectorELNS0_4arch9wavefront6targetE1EEEvSI_
	.p2align	8
	.type	_ZN7rocprim17ROCPRIM_400000_NS6detail17trampoline_kernelINS0_14default_configENS1_35radix_sort_onesweep_config_selectorIffEEZZNS1_29radix_sort_onesweep_iterationIS3_Lb0EN6thrust23THRUST_200600_302600_NS6detail15normal_iteratorINS8_10device_ptrIfEEEESD_SD_SD_jNS0_19identity_decomposerENS1_16block_id_wrapperIjLb1EEEEE10hipError_tT1_PNSt15iterator_traitsISI_E10value_typeET2_T3_PNSJ_ISO_E10value_typeET4_T5_PST_SU_PNS1_23onesweep_lookback_stateEbbT6_jjT7_P12ihipStream_tbENKUlT_T0_SI_SN_E_clIPfSD_S15_SD_EEDaS11_S12_SI_SN_EUlS11_E_NS1_11comp_targetILNS1_3genE10ELNS1_11target_archE1201ELNS1_3gpuE5ELNS1_3repE0EEENS1_47radix_sort_onesweep_sort_config_static_selectorELNS0_4arch9wavefront6targetE1EEEvSI_,@function
_ZN7rocprim17ROCPRIM_400000_NS6detail17trampoline_kernelINS0_14default_configENS1_35radix_sort_onesweep_config_selectorIffEEZZNS1_29radix_sort_onesweep_iterationIS3_Lb0EN6thrust23THRUST_200600_302600_NS6detail15normal_iteratorINS8_10device_ptrIfEEEESD_SD_SD_jNS0_19identity_decomposerENS1_16block_id_wrapperIjLb1EEEEE10hipError_tT1_PNSt15iterator_traitsISI_E10value_typeET2_T3_PNSJ_ISO_E10value_typeET4_T5_PST_SU_PNS1_23onesweep_lookback_stateEbbT6_jjT7_P12ihipStream_tbENKUlT_T0_SI_SN_E_clIPfSD_S15_SD_EEDaS11_S12_SI_SN_EUlS11_E_NS1_11comp_targetILNS1_3genE10ELNS1_11target_archE1201ELNS1_3gpuE5ELNS1_3repE0EEENS1_47radix_sort_onesweep_sort_config_static_selectorELNS0_4arch9wavefront6targetE1EEEvSI_: ; @_ZN7rocprim17ROCPRIM_400000_NS6detail17trampoline_kernelINS0_14default_configENS1_35radix_sort_onesweep_config_selectorIffEEZZNS1_29radix_sort_onesweep_iterationIS3_Lb0EN6thrust23THRUST_200600_302600_NS6detail15normal_iteratorINS8_10device_ptrIfEEEESD_SD_SD_jNS0_19identity_decomposerENS1_16block_id_wrapperIjLb1EEEEE10hipError_tT1_PNSt15iterator_traitsISI_E10value_typeET2_T3_PNSJ_ISO_E10value_typeET4_T5_PST_SU_PNS1_23onesweep_lookback_stateEbbT6_jjT7_P12ihipStream_tbENKUlT_T0_SI_SN_E_clIPfSD_S15_SD_EEDaS11_S12_SI_SN_EUlS11_E_NS1_11comp_targetILNS1_3genE10ELNS1_11target_archE1201ELNS1_3gpuE5ELNS1_3repE0EEENS1_47radix_sort_onesweep_sort_config_static_selectorELNS0_4arch9wavefront6targetE1EEEvSI_
; %bb.0:
	.section	.rodata,"a",@progbits
	.p2align	6, 0x0
	.amdhsa_kernel _ZN7rocprim17ROCPRIM_400000_NS6detail17trampoline_kernelINS0_14default_configENS1_35radix_sort_onesweep_config_selectorIffEEZZNS1_29radix_sort_onesweep_iterationIS3_Lb0EN6thrust23THRUST_200600_302600_NS6detail15normal_iteratorINS8_10device_ptrIfEEEESD_SD_SD_jNS0_19identity_decomposerENS1_16block_id_wrapperIjLb1EEEEE10hipError_tT1_PNSt15iterator_traitsISI_E10value_typeET2_T3_PNSJ_ISO_E10value_typeET4_T5_PST_SU_PNS1_23onesweep_lookback_stateEbbT6_jjT7_P12ihipStream_tbENKUlT_T0_SI_SN_E_clIPfSD_S15_SD_EEDaS11_S12_SI_SN_EUlS11_E_NS1_11comp_targetILNS1_3genE10ELNS1_11target_archE1201ELNS1_3gpuE5ELNS1_3repE0EEENS1_47radix_sort_onesweep_sort_config_static_selectorELNS0_4arch9wavefront6targetE1EEEvSI_
		.amdhsa_group_segment_fixed_size 0
		.amdhsa_private_segment_fixed_size 0
		.amdhsa_kernarg_size 88
		.amdhsa_user_sgpr_count 2
		.amdhsa_user_sgpr_dispatch_ptr 0
		.amdhsa_user_sgpr_queue_ptr 0
		.amdhsa_user_sgpr_kernarg_segment_ptr 1
		.amdhsa_user_sgpr_dispatch_id 0
		.amdhsa_user_sgpr_kernarg_preload_length 0
		.amdhsa_user_sgpr_kernarg_preload_offset 0
		.amdhsa_user_sgpr_private_segment_size 0
		.amdhsa_uses_dynamic_stack 0
		.amdhsa_enable_private_segment 0
		.amdhsa_system_sgpr_workgroup_id_x 1
		.amdhsa_system_sgpr_workgroup_id_y 0
		.amdhsa_system_sgpr_workgroup_id_z 0
		.amdhsa_system_sgpr_workgroup_info 0
		.amdhsa_system_vgpr_workitem_id 0
		.amdhsa_next_free_vgpr 1
		.amdhsa_next_free_sgpr 0
		.amdhsa_accum_offset 4
		.amdhsa_reserve_vcc 0
		.amdhsa_float_round_mode_32 0
		.amdhsa_float_round_mode_16_64 0
		.amdhsa_float_denorm_mode_32 3
		.amdhsa_float_denorm_mode_16_64 3
		.amdhsa_dx10_clamp 1
		.amdhsa_ieee_mode 1
		.amdhsa_fp16_overflow 0
		.amdhsa_tg_split 0
		.amdhsa_exception_fp_ieee_invalid_op 0
		.amdhsa_exception_fp_denorm_src 0
		.amdhsa_exception_fp_ieee_div_zero 0
		.amdhsa_exception_fp_ieee_overflow 0
		.amdhsa_exception_fp_ieee_underflow 0
		.amdhsa_exception_fp_ieee_inexact 0
		.amdhsa_exception_int_div_zero 0
	.end_amdhsa_kernel
	.section	.text._ZN7rocprim17ROCPRIM_400000_NS6detail17trampoline_kernelINS0_14default_configENS1_35radix_sort_onesweep_config_selectorIffEEZZNS1_29radix_sort_onesweep_iterationIS3_Lb0EN6thrust23THRUST_200600_302600_NS6detail15normal_iteratorINS8_10device_ptrIfEEEESD_SD_SD_jNS0_19identity_decomposerENS1_16block_id_wrapperIjLb1EEEEE10hipError_tT1_PNSt15iterator_traitsISI_E10value_typeET2_T3_PNSJ_ISO_E10value_typeET4_T5_PST_SU_PNS1_23onesweep_lookback_stateEbbT6_jjT7_P12ihipStream_tbENKUlT_T0_SI_SN_E_clIPfSD_S15_SD_EEDaS11_S12_SI_SN_EUlS11_E_NS1_11comp_targetILNS1_3genE10ELNS1_11target_archE1201ELNS1_3gpuE5ELNS1_3repE0EEENS1_47radix_sort_onesweep_sort_config_static_selectorELNS0_4arch9wavefront6targetE1EEEvSI_,"axG",@progbits,_ZN7rocprim17ROCPRIM_400000_NS6detail17trampoline_kernelINS0_14default_configENS1_35radix_sort_onesweep_config_selectorIffEEZZNS1_29radix_sort_onesweep_iterationIS3_Lb0EN6thrust23THRUST_200600_302600_NS6detail15normal_iteratorINS8_10device_ptrIfEEEESD_SD_SD_jNS0_19identity_decomposerENS1_16block_id_wrapperIjLb1EEEEE10hipError_tT1_PNSt15iterator_traitsISI_E10value_typeET2_T3_PNSJ_ISO_E10value_typeET4_T5_PST_SU_PNS1_23onesweep_lookback_stateEbbT6_jjT7_P12ihipStream_tbENKUlT_T0_SI_SN_E_clIPfSD_S15_SD_EEDaS11_S12_SI_SN_EUlS11_E_NS1_11comp_targetILNS1_3genE10ELNS1_11target_archE1201ELNS1_3gpuE5ELNS1_3repE0EEENS1_47radix_sort_onesweep_sort_config_static_selectorELNS0_4arch9wavefront6targetE1EEEvSI_,comdat
.Lfunc_end329:
	.size	_ZN7rocprim17ROCPRIM_400000_NS6detail17trampoline_kernelINS0_14default_configENS1_35radix_sort_onesweep_config_selectorIffEEZZNS1_29radix_sort_onesweep_iterationIS3_Lb0EN6thrust23THRUST_200600_302600_NS6detail15normal_iteratorINS8_10device_ptrIfEEEESD_SD_SD_jNS0_19identity_decomposerENS1_16block_id_wrapperIjLb1EEEEE10hipError_tT1_PNSt15iterator_traitsISI_E10value_typeET2_T3_PNSJ_ISO_E10value_typeET4_T5_PST_SU_PNS1_23onesweep_lookback_stateEbbT6_jjT7_P12ihipStream_tbENKUlT_T0_SI_SN_E_clIPfSD_S15_SD_EEDaS11_S12_SI_SN_EUlS11_E_NS1_11comp_targetILNS1_3genE10ELNS1_11target_archE1201ELNS1_3gpuE5ELNS1_3repE0EEENS1_47radix_sort_onesweep_sort_config_static_selectorELNS0_4arch9wavefront6targetE1EEEvSI_, .Lfunc_end329-_ZN7rocprim17ROCPRIM_400000_NS6detail17trampoline_kernelINS0_14default_configENS1_35radix_sort_onesweep_config_selectorIffEEZZNS1_29radix_sort_onesweep_iterationIS3_Lb0EN6thrust23THRUST_200600_302600_NS6detail15normal_iteratorINS8_10device_ptrIfEEEESD_SD_SD_jNS0_19identity_decomposerENS1_16block_id_wrapperIjLb1EEEEE10hipError_tT1_PNSt15iterator_traitsISI_E10value_typeET2_T3_PNSJ_ISO_E10value_typeET4_T5_PST_SU_PNS1_23onesweep_lookback_stateEbbT6_jjT7_P12ihipStream_tbENKUlT_T0_SI_SN_E_clIPfSD_S15_SD_EEDaS11_S12_SI_SN_EUlS11_E_NS1_11comp_targetILNS1_3genE10ELNS1_11target_archE1201ELNS1_3gpuE5ELNS1_3repE0EEENS1_47radix_sort_onesweep_sort_config_static_selectorELNS0_4arch9wavefront6targetE1EEEvSI_
                                        ; -- End function
	.set _ZN7rocprim17ROCPRIM_400000_NS6detail17trampoline_kernelINS0_14default_configENS1_35radix_sort_onesweep_config_selectorIffEEZZNS1_29radix_sort_onesweep_iterationIS3_Lb0EN6thrust23THRUST_200600_302600_NS6detail15normal_iteratorINS8_10device_ptrIfEEEESD_SD_SD_jNS0_19identity_decomposerENS1_16block_id_wrapperIjLb1EEEEE10hipError_tT1_PNSt15iterator_traitsISI_E10value_typeET2_T3_PNSJ_ISO_E10value_typeET4_T5_PST_SU_PNS1_23onesweep_lookback_stateEbbT6_jjT7_P12ihipStream_tbENKUlT_T0_SI_SN_E_clIPfSD_S15_SD_EEDaS11_S12_SI_SN_EUlS11_E_NS1_11comp_targetILNS1_3genE10ELNS1_11target_archE1201ELNS1_3gpuE5ELNS1_3repE0EEENS1_47radix_sort_onesweep_sort_config_static_selectorELNS0_4arch9wavefront6targetE1EEEvSI_.num_vgpr, 0
	.set _ZN7rocprim17ROCPRIM_400000_NS6detail17trampoline_kernelINS0_14default_configENS1_35radix_sort_onesweep_config_selectorIffEEZZNS1_29radix_sort_onesweep_iterationIS3_Lb0EN6thrust23THRUST_200600_302600_NS6detail15normal_iteratorINS8_10device_ptrIfEEEESD_SD_SD_jNS0_19identity_decomposerENS1_16block_id_wrapperIjLb1EEEEE10hipError_tT1_PNSt15iterator_traitsISI_E10value_typeET2_T3_PNSJ_ISO_E10value_typeET4_T5_PST_SU_PNS1_23onesweep_lookback_stateEbbT6_jjT7_P12ihipStream_tbENKUlT_T0_SI_SN_E_clIPfSD_S15_SD_EEDaS11_S12_SI_SN_EUlS11_E_NS1_11comp_targetILNS1_3genE10ELNS1_11target_archE1201ELNS1_3gpuE5ELNS1_3repE0EEENS1_47radix_sort_onesweep_sort_config_static_selectorELNS0_4arch9wavefront6targetE1EEEvSI_.num_agpr, 0
	.set _ZN7rocprim17ROCPRIM_400000_NS6detail17trampoline_kernelINS0_14default_configENS1_35radix_sort_onesweep_config_selectorIffEEZZNS1_29radix_sort_onesweep_iterationIS3_Lb0EN6thrust23THRUST_200600_302600_NS6detail15normal_iteratorINS8_10device_ptrIfEEEESD_SD_SD_jNS0_19identity_decomposerENS1_16block_id_wrapperIjLb1EEEEE10hipError_tT1_PNSt15iterator_traitsISI_E10value_typeET2_T3_PNSJ_ISO_E10value_typeET4_T5_PST_SU_PNS1_23onesweep_lookback_stateEbbT6_jjT7_P12ihipStream_tbENKUlT_T0_SI_SN_E_clIPfSD_S15_SD_EEDaS11_S12_SI_SN_EUlS11_E_NS1_11comp_targetILNS1_3genE10ELNS1_11target_archE1201ELNS1_3gpuE5ELNS1_3repE0EEENS1_47radix_sort_onesweep_sort_config_static_selectorELNS0_4arch9wavefront6targetE1EEEvSI_.numbered_sgpr, 0
	.set _ZN7rocprim17ROCPRIM_400000_NS6detail17trampoline_kernelINS0_14default_configENS1_35radix_sort_onesweep_config_selectorIffEEZZNS1_29radix_sort_onesweep_iterationIS3_Lb0EN6thrust23THRUST_200600_302600_NS6detail15normal_iteratorINS8_10device_ptrIfEEEESD_SD_SD_jNS0_19identity_decomposerENS1_16block_id_wrapperIjLb1EEEEE10hipError_tT1_PNSt15iterator_traitsISI_E10value_typeET2_T3_PNSJ_ISO_E10value_typeET4_T5_PST_SU_PNS1_23onesweep_lookback_stateEbbT6_jjT7_P12ihipStream_tbENKUlT_T0_SI_SN_E_clIPfSD_S15_SD_EEDaS11_S12_SI_SN_EUlS11_E_NS1_11comp_targetILNS1_3genE10ELNS1_11target_archE1201ELNS1_3gpuE5ELNS1_3repE0EEENS1_47radix_sort_onesweep_sort_config_static_selectorELNS0_4arch9wavefront6targetE1EEEvSI_.num_named_barrier, 0
	.set _ZN7rocprim17ROCPRIM_400000_NS6detail17trampoline_kernelINS0_14default_configENS1_35radix_sort_onesweep_config_selectorIffEEZZNS1_29radix_sort_onesweep_iterationIS3_Lb0EN6thrust23THRUST_200600_302600_NS6detail15normal_iteratorINS8_10device_ptrIfEEEESD_SD_SD_jNS0_19identity_decomposerENS1_16block_id_wrapperIjLb1EEEEE10hipError_tT1_PNSt15iterator_traitsISI_E10value_typeET2_T3_PNSJ_ISO_E10value_typeET4_T5_PST_SU_PNS1_23onesweep_lookback_stateEbbT6_jjT7_P12ihipStream_tbENKUlT_T0_SI_SN_E_clIPfSD_S15_SD_EEDaS11_S12_SI_SN_EUlS11_E_NS1_11comp_targetILNS1_3genE10ELNS1_11target_archE1201ELNS1_3gpuE5ELNS1_3repE0EEENS1_47radix_sort_onesweep_sort_config_static_selectorELNS0_4arch9wavefront6targetE1EEEvSI_.private_seg_size, 0
	.set _ZN7rocprim17ROCPRIM_400000_NS6detail17trampoline_kernelINS0_14default_configENS1_35radix_sort_onesweep_config_selectorIffEEZZNS1_29radix_sort_onesweep_iterationIS3_Lb0EN6thrust23THRUST_200600_302600_NS6detail15normal_iteratorINS8_10device_ptrIfEEEESD_SD_SD_jNS0_19identity_decomposerENS1_16block_id_wrapperIjLb1EEEEE10hipError_tT1_PNSt15iterator_traitsISI_E10value_typeET2_T3_PNSJ_ISO_E10value_typeET4_T5_PST_SU_PNS1_23onesweep_lookback_stateEbbT6_jjT7_P12ihipStream_tbENKUlT_T0_SI_SN_E_clIPfSD_S15_SD_EEDaS11_S12_SI_SN_EUlS11_E_NS1_11comp_targetILNS1_3genE10ELNS1_11target_archE1201ELNS1_3gpuE5ELNS1_3repE0EEENS1_47radix_sort_onesweep_sort_config_static_selectorELNS0_4arch9wavefront6targetE1EEEvSI_.uses_vcc, 0
	.set _ZN7rocprim17ROCPRIM_400000_NS6detail17trampoline_kernelINS0_14default_configENS1_35radix_sort_onesweep_config_selectorIffEEZZNS1_29radix_sort_onesweep_iterationIS3_Lb0EN6thrust23THRUST_200600_302600_NS6detail15normal_iteratorINS8_10device_ptrIfEEEESD_SD_SD_jNS0_19identity_decomposerENS1_16block_id_wrapperIjLb1EEEEE10hipError_tT1_PNSt15iterator_traitsISI_E10value_typeET2_T3_PNSJ_ISO_E10value_typeET4_T5_PST_SU_PNS1_23onesweep_lookback_stateEbbT6_jjT7_P12ihipStream_tbENKUlT_T0_SI_SN_E_clIPfSD_S15_SD_EEDaS11_S12_SI_SN_EUlS11_E_NS1_11comp_targetILNS1_3genE10ELNS1_11target_archE1201ELNS1_3gpuE5ELNS1_3repE0EEENS1_47radix_sort_onesweep_sort_config_static_selectorELNS0_4arch9wavefront6targetE1EEEvSI_.uses_flat_scratch, 0
	.set _ZN7rocprim17ROCPRIM_400000_NS6detail17trampoline_kernelINS0_14default_configENS1_35radix_sort_onesweep_config_selectorIffEEZZNS1_29radix_sort_onesweep_iterationIS3_Lb0EN6thrust23THRUST_200600_302600_NS6detail15normal_iteratorINS8_10device_ptrIfEEEESD_SD_SD_jNS0_19identity_decomposerENS1_16block_id_wrapperIjLb1EEEEE10hipError_tT1_PNSt15iterator_traitsISI_E10value_typeET2_T3_PNSJ_ISO_E10value_typeET4_T5_PST_SU_PNS1_23onesweep_lookback_stateEbbT6_jjT7_P12ihipStream_tbENKUlT_T0_SI_SN_E_clIPfSD_S15_SD_EEDaS11_S12_SI_SN_EUlS11_E_NS1_11comp_targetILNS1_3genE10ELNS1_11target_archE1201ELNS1_3gpuE5ELNS1_3repE0EEENS1_47radix_sort_onesweep_sort_config_static_selectorELNS0_4arch9wavefront6targetE1EEEvSI_.has_dyn_sized_stack, 0
	.set _ZN7rocprim17ROCPRIM_400000_NS6detail17trampoline_kernelINS0_14default_configENS1_35radix_sort_onesweep_config_selectorIffEEZZNS1_29radix_sort_onesweep_iterationIS3_Lb0EN6thrust23THRUST_200600_302600_NS6detail15normal_iteratorINS8_10device_ptrIfEEEESD_SD_SD_jNS0_19identity_decomposerENS1_16block_id_wrapperIjLb1EEEEE10hipError_tT1_PNSt15iterator_traitsISI_E10value_typeET2_T3_PNSJ_ISO_E10value_typeET4_T5_PST_SU_PNS1_23onesweep_lookback_stateEbbT6_jjT7_P12ihipStream_tbENKUlT_T0_SI_SN_E_clIPfSD_S15_SD_EEDaS11_S12_SI_SN_EUlS11_E_NS1_11comp_targetILNS1_3genE10ELNS1_11target_archE1201ELNS1_3gpuE5ELNS1_3repE0EEENS1_47radix_sort_onesweep_sort_config_static_selectorELNS0_4arch9wavefront6targetE1EEEvSI_.has_recursion, 0
	.set _ZN7rocprim17ROCPRIM_400000_NS6detail17trampoline_kernelINS0_14default_configENS1_35radix_sort_onesweep_config_selectorIffEEZZNS1_29radix_sort_onesweep_iterationIS3_Lb0EN6thrust23THRUST_200600_302600_NS6detail15normal_iteratorINS8_10device_ptrIfEEEESD_SD_SD_jNS0_19identity_decomposerENS1_16block_id_wrapperIjLb1EEEEE10hipError_tT1_PNSt15iterator_traitsISI_E10value_typeET2_T3_PNSJ_ISO_E10value_typeET4_T5_PST_SU_PNS1_23onesweep_lookback_stateEbbT6_jjT7_P12ihipStream_tbENKUlT_T0_SI_SN_E_clIPfSD_S15_SD_EEDaS11_S12_SI_SN_EUlS11_E_NS1_11comp_targetILNS1_3genE10ELNS1_11target_archE1201ELNS1_3gpuE5ELNS1_3repE0EEENS1_47radix_sort_onesweep_sort_config_static_selectorELNS0_4arch9wavefront6targetE1EEEvSI_.has_indirect_call, 0
	.section	.AMDGPU.csdata,"",@progbits
; Kernel info:
; codeLenInByte = 0
; TotalNumSgprs: 6
; NumVgprs: 0
; NumAgprs: 0
; TotalNumVgprs: 0
; ScratchSize: 0
; MemoryBound: 0
; FloatMode: 240
; IeeeMode: 1
; LDSByteSize: 0 bytes/workgroup (compile time only)
; SGPRBlocks: 0
; VGPRBlocks: 0
; NumSGPRsForWavesPerEU: 6
; NumVGPRsForWavesPerEU: 1
; AccumOffset: 4
; Occupancy: 8
; WaveLimiterHint : 0
; COMPUTE_PGM_RSRC2:SCRATCH_EN: 0
; COMPUTE_PGM_RSRC2:USER_SGPR: 2
; COMPUTE_PGM_RSRC2:TRAP_HANDLER: 0
; COMPUTE_PGM_RSRC2:TGID_X_EN: 1
; COMPUTE_PGM_RSRC2:TGID_Y_EN: 0
; COMPUTE_PGM_RSRC2:TGID_Z_EN: 0
; COMPUTE_PGM_RSRC2:TIDIG_COMP_CNT: 0
; COMPUTE_PGM_RSRC3_GFX90A:ACCUM_OFFSET: 0
; COMPUTE_PGM_RSRC3_GFX90A:TG_SPLIT: 0
	.section	.text._ZN7rocprim17ROCPRIM_400000_NS6detail17trampoline_kernelINS0_14default_configENS1_35radix_sort_onesweep_config_selectorIffEEZZNS1_29radix_sort_onesweep_iterationIS3_Lb0EN6thrust23THRUST_200600_302600_NS6detail15normal_iteratorINS8_10device_ptrIfEEEESD_SD_SD_jNS0_19identity_decomposerENS1_16block_id_wrapperIjLb1EEEEE10hipError_tT1_PNSt15iterator_traitsISI_E10value_typeET2_T3_PNSJ_ISO_E10value_typeET4_T5_PST_SU_PNS1_23onesweep_lookback_stateEbbT6_jjT7_P12ihipStream_tbENKUlT_T0_SI_SN_E_clIPfSD_S15_SD_EEDaS11_S12_SI_SN_EUlS11_E_NS1_11comp_targetILNS1_3genE9ELNS1_11target_archE1100ELNS1_3gpuE3ELNS1_3repE0EEENS1_47radix_sort_onesweep_sort_config_static_selectorELNS0_4arch9wavefront6targetE1EEEvSI_,"axG",@progbits,_ZN7rocprim17ROCPRIM_400000_NS6detail17trampoline_kernelINS0_14default_configENS1_35radix_sort_onesweep_config_selectorIffEEZZNS1_29radix_sort_onesweep_iterationIS3_Lb0EN6thrust23THRUST_200600_302600_NS6detail15normal_iteratorINS8_10device_ptrIfEEEESD_SD_SD_jNS0_19identity_decomposerENS1_16block_id_wrapperIjLb1EEEEE10hipError_tT1_PNSt15iterator_traitsISI_E10value_typeET2_T3_PNSJ_ISO_E10value_typeET4_T5_PST_SU_PNS1_23onesweep_lookback_stateEbbT6_jjT7_P12ihipStream_tbENKUlT_T0_SI_SN_E_clIPfSD_S15_SD_EEDaS11_S12_SI_SN_EUlS11_E_NS1_11comp_targetILNS1_3genE9ELNS1_11target_archE1100ELNS1_3gpuE3ELNS1_3repE0EEENS1_47radix_sort_onesweep_sort_config_static_selectorELNS0_4arch9wavefront6targetE1EEEvSI_,comdat
	.protected	_ZN7rocprim17ROCPRIM_400000_NS6detail17trampoline_kernelINS0_14default_configENS1_35radix_sort_onesweep_config_selectorIffEEZZNS1_29radix_sort_onesweep_iterationIS3_Lb0EN6thrust23THRUST_200600_302600_NS6detail15normal_iteratorINS8_10device_ptrIfEEEESD_SD_SD_jNS0_19identity_decomposerENS1_16block_id_wrapperIjLb1EEEEE10hipError_tT1_PNSt15iterator_traitsISI_E10value_typeET2_T3_PNSJ_ISO_E10value_typeET4_T5_PST_SU_PNS1_23onesweep_lookback_stateEbbT6_jjT7_P12ihipStream_tbENKUlT_T0_SI_SN_E_clIPfSD_S15_SD_EEDaS11_S12_SI_SN_EUlS11_E_NS1_11comp_targetILNS1_3genE9ELNS1_11target_archE1100ELNS1_3gpuE3ELNS1_3repE0EEENS1_47radix_sort_onesweep_sort_config_static_selectorELNS0_4arch9wavefront6targetE1EEEvSI_ ; -- Begin function _ZN7rocprim17ROCPRIM_400000_NS6detail17trampoline_kernelINS0_14default_configENS1_35radix_sort_onesweep_config_selectorIffEEZZNS1_29radix_sort_onesweep_iterationIS3_Lb0EN6thrust23THRUST_200600_302600_NS6detail15normal_iteratorINS8_10device_ptrIfEEEESD_SD_SD_jNS0_19identity_decomposerENS1_16block_id_wrapperIjLb1EEEEE10hipError_tT1_PNSt15iterator_traitsISI_E10value_typeET2_T3_PNSJ_ISO_E10value_typeET4_T5_PST_SU_PNS1_23onesweep_lookback_stateEbbT6_jjT7_P12ihipStream_tbENKUlT_T0_SI_SN_E_clIPfSD_S15_SD_EEDaS11_S12_SI_SN_EUlS11_E_NS1_11comp_targetILNS1_3genE9ELNS1_11target_archE1100ELNS1_3gpuE3ELNS1_3repE0EEENS1_47radix_sort_onesweep_sort_config_static_selectorELNS0_4arch9wavefront6targetE1EEEvSI_
	.globl	_ZN7rocprim17ROCPRIM_400000_NS6detail17trampoline_kernelINS0_14default_configENS1_35radix_sort_onesweep_config_selectorIffEEZZNS1_29radix_sort_onesweep_iterationIS3_Lb0EN6thrust23THRUST_200600_302600_NS6detail15normal_iteratorINS8_10device_ptrIfEEEESD_SD_SD_jNS0_19identity_decomposerENS1_16block_id_wrapperIjLb1EEEEE10hipError_tT1_PNSt15iterator_traitsISI_E10value_typeET2_T3_PNSJ_ISO_E10value_typeET4_T5_PST_SU_PNS1_23onesweep_lookback_stateEbbT6_jjT7_P12ihipStream_tbENKUlT_T0_SI_SN_E_clIPfSD_S15_SD_EEDaS11_S12_SI_SN_EUlS11_E_NS1_11comp_targetILNS1_3genE9ELNS1_11target_archE1100ELNS1_3gpuE3ELNS1_3repE0EEENS1_47radix_sort_onesweep_sort_config_static_selectorELNS0_4arch9wavefront6targetE1EEEvSI_
	.p2align	8
	.type	_ZN7rocprim17ROCPRIM_400000_NS6detail17trampoline_kernelINS0_14default_configENS1_35radix_sort_onesweep_config_selectorIffEEZZNS1_29radix_sort_onesweep_iterationIS3_Lb0EN6thrust23THRUST_200600_302600_NS6detail15normal_iteratorINS8_10device_ptrIfEEEESD_SD_SD_jNS0_19identity_decomposerENS1_16block_id_wrapperIjLb1EEEEE10hipError_tT1_PNSt15iterator_traitsISI_E10value_typeET2_T3_PNSJ_ISO_E10value_typeET4_T5_PST_SU_PNS1_23onesweep_lookback_stateEbbT6_jjT7_P12ihipStream_tbENKUlT_T0_SI_SN_E_clIPfSD_S15_SD_EEDaS11_S12_SI_SN_EUlS11_E_NS1_11comp_targetILNS1_3genE9ELNS1_11target_archE1100ELNS1_3gpuE3ELNS1_3repE0EEENS1_47radix_sort_onesweep_sort_config_static_selectorELNS0_4arch9wavefront6targetE1EEEvSI_,@function
_ZN7rocprim17ROCPRIM_400000_NS6detail17trampoline_kernelINS0_14default_configENS1_35radix_sort_onesweep_config_selectorIffEEZZNS1_29radix_sort_onesweep_iterationIS3_Lb0EN6thrust23THRUST_200600_302600_NS6detail15normal_iteratorINS8_10device_ptrIfEEEESD_SD_SD_jNS0_19identity_decomposerENS1_16block_id_wrapperIjLb1EEEEE10hipError_tT1_PNSt15iterator_traitsISI_E10value_typeET2_T3_PNSJ_ISO_E10value_typeET4_T5_PST_SU_PNS1_23onesweep_lookback_stateEbbT6_jjT7_P12ihipStream_tbENKUlT_T0_SI_SN_E_clIPfSD_S15_SD_EEDaS11_S12_SI_SN_EUlS11_E_NS1_11comp_targetILNS1_3genE9ELNS1_11target_archE1100ELNS1_3gpuE3ELNS1_3repE0EEENS1_47radix_sort_onesweep_sort_config_static_selectorELNS0_4arch9wavefront6targetE1EEEvSI_: ; @_ZN7rocprim17ROCPRIM_400000_NS6detail17trampoline_kernelINS0_14default_configENS1_35radix_sort_onesweep_config_selectorIffEEZZNS1_29radix_sort_onesweep_iterationIS3_Lb0EN6thrust23THRUST_200600_302600_NS6detail15normal_iteratorINS8_10device_ptrIfEEEESD_SD_SD_jNS0_19identity_decomposerENS1_16block_id_wrapperIjLb1EEEEE10hipError_tT1_PNSt15iterator_traitsISI_E10value_typeET2_T3_PNSJ_ISO_E10value_typeET4_T5_PST_SU_PNS1_23onesweep_lookback_stateEbbT6_jjT7_P12ihipStream_tbENKUlT_T0_SI_SN_E_clIPfSD_S15_SD_EEDaS11_S12_SI_SN_EUlS11_E_NS1_11comp_targetILNS1_3genE9ELNS1_11target_archE1100ELNS1_3gpuE3ELNS1_3repE0EEENS1_47radix_sort_onesweep_sort_config_static_selectorELNS0_4arch9wavefront6targetE1EEEvSI_
; %bb.0:
	.section	.rodata,"a",@progbits
	.p2align	6, 0x0
	.amdhsa_kernel _ZN7rocprim17ROCPRIM_400000_NS6detail17trampoline_kernelINS0_14default_configENS1_35radix_sort_onesweep_config_selectorIffEEZZNS1_29radix_sort_onesweep_iterationIS3_Lb0EN6thrust23THRUST_200600_302600_NS6detail15normal_iteratorINS8_10device_ptrIfEEEESD_SD_SD_jNS0_19identity_decomposerENS1_16block_id_wrapperIjLb1EEEEE10hipError_tT1_PNSt15iterator_traitsISI_E10value_typeET2_T3_PNSJ_ISO_E10value_typeET4_T5_PST_SU_PNS1_23onesweep_lookback_stateEbbT6_jjT7_P12ihipStream_tbENKUlT_T0_SI_SN_E_clIPfSD_S15_SD_EEDaS11_S12_SI_SN_EUlS11_E_NS1_11comp_targetILNS1_3genE9ELNS1_11target_archE1100ELNS1_3gpuE3ELNS1_3repE0EEENS1_47radix_sort_onesweep_sort_config_static_selectorELNS0_4arch9wavefront6targetE1EEEvSI_
		.amdhsa_group_segment_fixed_size 0
		.amdhsa_private_segment_fixed_size 0
		.amdhsa_kernarg_size 88
		.amdhsa_user_sgpr_count 2
		.amdhsa_user_sgpr_dispatch_ptr 0
		.amdhsa_user_sgpr_queue_ptr 0
		.amdhsa_user_sgpr_kernarg_segment_ptr 1
		.amdhsa_user_sgpr_dispatch_id 0
		.amdhsa_user_sgpr_kernarg_preload_length 0
		.amdhsa_user_sgpr_kernarg_preload_offset 0
		.amdhsa_user_sgpr_private_segment_size 0
		.amdhsa_uses_dynamic_stack 0
		.amdhsa_enable_private_segment 0
		.amdhsa_system_sgpr_workgroup_id_x 1
		.amdhsa_system_sgpr_workgroup_id_y 0
		.amdhsa_system_sgpr_workgroup_id_z 0
		.amdhsa_system_sgpr_workgroup_info 0
		.amdhsa_system_vgpr_workitem_id 0
		.amdhsa_next_free_vgpr 1
		.amdhsa_next_free_sgpr 0
		.amdhsa_accum_offset 4
		.amdhsa_reserve_vcc 0
		.amdhsa_float_round_mode_32 0
		.amdhsa_float_round_mode_16_64 0
		.amdhsa_float_denorm_mode_32 3
		.amdhsa_float_denorm_mode_16_64 3
		.amdhsa_dx10_clamp 1
		.amdhsa_ieee_mode 1
		.amdhsa_fp16_overflow 0
		.amdhsa_tg_split 0
		.amdhsa_exception_fp_ieee_invalid_op 0
		.amdhsa_exception_fp_denorm_src 0
		.amdhsa_exception_fp_ieee_div_zero 0
		.amdhsa_exception_fp_ieee_overflow 0
		.amdhsa_exception_fp_ieee_underflow 0
		.amdhsa_exception_fp_ieee_inexact 0
		.amdhsa_exception_int_div_zero 0
	.end_amdhsa_kernel
	.section	.text._ZN7rocprim17ROCPRIM_400000_NS6detail17trampoline_kernelINS0_14default_configENS1_35radix_sort_onesweep_config_selectorIffEEZZNS1_29radix_sort_onesweep_iterationIS3_Lb0EN6thrust23THRUST_200600_302600_NS6detail15normal_iteratorINS8_10device_ptrIfEEEESD_SD_SD_jNS0_19identity_decomposerENS1_16block_id_wrapperIjLb1EEEEE10hipError_tT1_PNSt15iterator_traitsISI_E10value_typeET2_T3_PNSJ_ISO_E10value_typeET4_T5_PST_SU_PNS1_23onesweep_lookback_stateEbbT6_jjT7_P12ihipStream_tbENKUlT_T0_SI_SN_E_clIPfSD_S15_SD_EEDaS11_S12_SI_SN_EUlS11_E_NS1_11comp_targetILNS1_3genE9ELNS1_11target_archE1100ELNS1_3gpuE3ELNS1_3repE0EEENS1_47radix_sort_onesweep_sort_config_static_selectorELNS0_4arch9wavefront6targetE1EEEvSI_,"axG",@progbits,_ZN7rocprim17ROCPRIM_400000_NS6detail17trampoline_kernelINS0_14default_configENS1_35radix_sort_onesweep_config_selectorIffEEZZNS1_29radix_sort_onesweep_iterationIS3_Lb0EN6thrust23THRUST_200600_302600_NS6detail15normal_iteratorINS8_10device_ptrIfEEEESD_SD_SD_jNS0_19identity_decomposerENS1_16block_id_wrapperIjLb1EEEEE10hipError_tT1_PNSt15iterator_traitsISI_E10value_typeET2_T3_PNSJ_ISO_E10value_typeET4_T5_PST_SU_PNS1_23onesweep_lookback_stateEbbT6_jjT7_P12ihipStream_tbENKUlT_T0_SI_SN_E_clIPfSD_S15_SD_EEDaS11_S12_SI_SN_EUlS11_E_NS1_11comp_targetILNS1_3genE9ELNS1_11target_archE1100ELNS1_3gpuE3ELNS1_3repE0EEENS1_47radix_sort_onesweep_sort_config_static_selectorELNS0_4arch9wavefront6targetE1EEEvSI_,comdat
.Lfunc_end330:
	.size	_ZN7rocprim17ROCPRIM_400000_NS6detail17trampoline_kernelINS0_14default_configENS1_35radix_sort_onesweep_config_selectorIffEEZZNS1_29radix_sort_onesweep_iterationIS3_Lb0EN6thrust23THRUST_200600_302600_NS6detail15normal_iteratorINS8_10device_ptrIfEEEESD_SD_SD_jNS0_19identity_decomposerENS1_16block_id_wrapperIjLb1EEEEE10hipError_tT1_PNSt15iterator_traitsISI_E10value_typeET2_T3_PNSJ_ISO_E10value_typeET4_T5_PST_SU_PNS1_23onesweep_lookback_stateEbbT6_jjT7_P12ihipStream_tbENKUlT_T0_SI_SN_E_clIPfSD_S15_SD_EEDaS11_S12_SI_SN_EUlS11_E_NS1_11comp_targetILNS1_3genE9ELNS1_11target_archE1100ELNS1_3gpuE3ELNS1_3repE0EEENS1_47radix_sort_onesweep_sort_config_static_selectorELNS0_4arch9wavefront6targetE1EEEvSI_, .Lfunc_end330-_ZN7rocprim17ROCPRIM_400000_NS6detail17trampoline_kernelINS0_14default_configENS1_35radix_sort_onesweep_config_selectorIffEEZZNS1_29radix_sort_onesweep_iterationIS3_Lb0EN6thrust23THRUST_200600_302600_NS6detail15normal_iteratorINS8_10device_ptrIfEEEESD_SD_SD_jNS0_19identity_decomposerENS1_16block_id_wrapperIjLb1EEEEE10hipError_tT1_PNSt15iterator_traitsISI_E10value_typeET2_T3_PNSJ_ISO_E10value_typeET4_T5_PST_SU_PNS1_23onesweep_lookback_stateEbbT6_jjT7_P12ihipStream_tbENKUlT_T0_SI_SN_E_clIPfSD_S15_SD_EEDaS11_S12_SI_SN_EUlS11_E_NS1_11comp_targetILNS1_3genE9ELNS1_11target_archE1100ELNS1_3gpuE3ELNS1_3repE0EEENS1_47radix_sort_onesweep_sort_config_static_selectorELNS0_4arch9wavefront6targetE1EEEvSI_
                                        ; -- End function
	.set _ZN7rocprim17ROCPRIM_400000_NS6detail17trampoline_kernelINS0_14default_configENS1_35radix_sort_onesweep_config_selectorIffEEZZNS1_29radix_sort_onesweep_iterationIS3_Lb0EN6thrust23THRUST_200600_302600_NS6detail15normal_iteratorINS8_10device_ptrIfEEEESD_SD_SD_jNS0_19identity_decomposerENS1_16block_id_wrapperIjLb1EEEEE10hipError_tT1_PNSt15iterator_traitsISI_E10value_typeET2_T3_PNSJ_ISO_E10value_typeET4_T5_PST_SU_PNS1_23onesweep_lookback_stateEbbT6_jjT7_P12ihipStream_tbENKUlT_T0_SI_SN_E_clIPfSD_S15_SD_EEDaS11_S12_SI_SN_EUlS11_E_NS1_11comp_targetILNS1_3genE9ELNS1_11target_archE1100ELNS1_3gpuE3ELNS1_3repE0EEENS1_47radix_sort_onesweep_sort_config_static_selectorELNS0_4arch9wavefront6targetE1EEEvSI_.num_vgpr, 0
	.set _ZN7rocprim17ROCPRIM_400000_NS6detail17trampoline_kernelINS0_14default_configENS1_35radix_sort_onesweep_config_selectorIffEEZZNS1_29radix_sort_onesweep_iterationIS3_Lb0EN6thrust23THRUST_200600_302600_NS6detail15normal_iteratorINS8_10device_ptrIfEEEESD_SD_SD_jNS0_19identity_decomposerENS1_16block_id_wrapperIjLb1EEEEE10hipError_tT1_PNSt15iterator_traitsISI_E10value_typeET2_T3_PNSJ_ISO_E10value_typeET4_T5_PST_SU_PNS1_23onesweep_lookback_stateEbbT6_jjT7_P12ihipStream_tbENKUlT_T0_SI_SN_E_clIPfSD_S15_SD_EEDaS11_S12_SI_SN_EUlS11_E_NS1_11comp_targetILNS1_3genE9ELNS1_11target_archE1100ELNS1_3gpuE3ELNS1_3repE0EEENS1_47radix_sort_onesweep_sort_config_static_selectorELNS0_4arch9wavefront6targetE1EEEvSI_.num_agpr, 0
	.set _ZN7rocprim17ROCPRIM_400000_NS6detail17trampoline_kernelINS0_14default_configENS1_35radix_sort_onesweep_config_selectorIffEEZZNS1_29radix_sort_onesweep_iterationIS3_Lb0EN6thrust23THRUST_200600_302600_NS6detail15normal_iteratorINS8_10device_ptrIfEEEESD_SD_SD_jNS0_19identity_decomposerENS1_16block_id_wrapperIjLb1EEEEE10hipError_tT1_PNSt15iterator_traitsISI_E10value_typeET2_T3_PNSJ_ISO_E10value_typeET4_T5_PST_SU_PNS1_23onesweep_lookback_stateEbbT6_jjT7_P12ihipStream_tbENKUlT_T0_SI_SN_E_clIPfSD_S15_SD_EEDaS11_S12_SI_SN_EUlS11_E_NS1_11comp_targetILNS1_3genE9ELNS1_11target_archE1100ELNS1_3gpuE3ELNS1_3repE0EEENS1_47radix_sort_onesweep_sort_config_static_selectorELNS0_4arch9wavefront6targetE1EEEvSI_.numbered_sgpr, 0
	.set _ZN7rocprim17ROCPRIM_400000_NS6detail17trampoline_kernelINS0_14default_configENS1_35radix_sort_onesweep_config_selectorIffEEZZNS1_29radix_sort_onesweep_iterationIS3_Lb0EN6thrust23THRUST_200600_302600_NS6detail15normal_iteratorINS8_10device_ptrIfEEEESD_SD_SD_jNS0_19identity_decomposerENS1_16block_id_wrapperIjLb1EEEEE10hipError_tT1_PNSt15iterator_traitsISI_E10value_typeET2_T3_PNSJ_ISO_E10value_typeET4_T5_PST_SU_PNS1_23onesweep_lookback_stateEbbT6_jjT7_P12ihipStream_tbENKUlT_T0_SI_SN_E_clIPfSD_S15_SD_EEDaS11_S12_SI_SN_EUlS11_E_NS1_11comp_targetILNS1_3genE9ELNS1_11target_archE1100ELNS1_3gpuE3ELNS1_3repE0EEENS1_47radix_sort_onesweep_sort_config_static_selectorELNS0_4arch9wavefront6targetE1EEEvSI_.num_named_barrier, 0
	.set _ZN7rocprim17ROCPRIM_400000_NS6detail17trampoline_kernelINS0_14default_configENS1_35radix_sort_onesweep_config_selectorIffEEZZNS1_29radix_sort_onesweep_iterationIS3_Lb0EN6thrust23THRUST_200600_302600_NS6detail15normal_iteratorINS8_10device_ptrIfEEEESD_SD_SD_jNS0_19identity_decomposerENS1_16block_id_wrapperIjLb1EEEEE10hipError_tT1_PNSt15iterator_traitsISI_E10value_typeET2_T3_PNSJ_ISO_E10value_typeET4_T5_PST_SU_PNS1_23onesweep_lookback_stateEbbT6_jjT7_P12ihipStream_tbENKUlT_T0_SI_SN_E_clIPfSD_S15_SD_EEDaS11_S12_SI_SN_EUlS11_E_NS1_11comp_targetILNS1_3genE9ELNS1_11target_archE1100ELNS1_3gpuE3ELNS1_3repE0EEENS1_47radix_sort_onesweep_sort_config_static_selectorELNS0_4arch9wavefront6targetE1EEEvSI_.private_seg_size, 0
	.set _ZN7rocprim17ROCPRIM_400000_NS6detail17trampoline_kernelINS0_14default_configENS1_35radix_sort_onesweep_config_selectorIffEEZZNS1_29radix_sort_onesweep_iterationIS3_Lb0EN6thrust23THRUST_200600_302600_NS6detail15normal_iteratorINS8_10device_ptrIfEEEESD_SD_SD_jNS0_19identity_decomposerENS1_16block_id_wrapperIjLb1EEEEE10hipError_tT1_PNSt15iterator_traitsISI_E10value_typeET2_T3_PNSJ_ISO_E10value_typeET4_T5_PST_SU_PNS1_23onesweep_lookback_stateEbbT6_jjT7_P12ihipStream_tbENKUlT_T0_SI_SN_E_clIPfSD_S15_SD_EEDaS11_S12_SI_SN_EUlS11_E_NS1_11comp_targetILNS1_3genE9ELNS1_11target_archE1100ELNS1_3gpuE3ELNS1_3repE0EEENS1_47radix_sort_onesweep_sort_config_static_selectorELNS0_4arch9wavefront6targetE1EEEvSI_.uses_vcc, 0
	.set _ZN7rocprim17ROCPRIM_400000_NS6detail17trampoline_kernelINS0_14default_configENS1_35radix_sort_onesweep_config_selectorIffEEZZNS1_29radix_sort_onesweep_iterationIS3_Lb0EN6thrust23THRUST_200600_302600_NS6detail15normal_iteratorINS8_10device_ptrIfEEEESD_SD_SD_jNS0_19identity_decomposerENS1_16block_id_wrapperIjLb1EEEEE10hipError_tT1_PNSt15iterator_traitsISI_E10value_typeET2_T3_PNSJ_ISO_E10value_typeET4_T5_PST_SU_PNS1_23onesweep_lookback_stateEbbT6_jjT7_P12ihipStream_tbENKUlT_T0_SI_SN_E_clIPfSD_S15_SD_EEDaS11_S12_SI_SN_EUlS11_E_NS1_11comp_targetILNS1_3genE9ELNS1_11target_archE1100ELNS1_3gpuE3ELNS1_3repE0EEENS1_47radix_sort_onesweep_sort_config_static_selectorELNS0_4arch9wavefront6targetE1EEEvSI_.uses_flat_scratch, 0
	.set _ZN7rocprim17ROCPRIM_400000_NS6detail17trampoline_kernelINS0_14default_configENS1_35radix_sort_onesweep_config_selectorIffEEZZNS1_29radix_sort_onesweep_iterationIS3_Lb0EN6thrust23THRUST_200600_302600_NS6detail15normal_iteratorINS8_10device_ptrIfEEEESD_SD_SD_jNS0_19identity_decomposerENS1_16block_id_wrapperIjLb1EEEEE10hipError_tT1_PNSt15iterator_traitsISI_E10value_typeET2_T3_PNSJ_ISO_E10value_typeET4_T5_PST_SU_PNS1_23onesweep_lookback_stateEbbT6_jjT7_P12ihipStream_tbENKUlT_T0_SI_SN_E_clIPfSD_S15_SD_EEDaS11_S12_SI_SN_EUlS11_E_NS1_11comp_targetILNS1_3genE9ELNS1_11target_archE1100ELNS1_3gpuE3ELNS1_3repE0EEENS1_47radix_sort_onesweep_sort_config_static_selectorELNS0_4arch9wavefront6targetE1EEEvSI_.has_dyn_sized_stack, 0
	.set _ZN7rocprim17ROCPRIM_400000_NS6detail17trampoline_kernelINS0_14default_configENS1_35radix_sort_onesweep_config_selectorIffEEZZNS1_29radix_sort_onesweep_iterationIS3_Lb0EN6thrust23THRUST_200600_302600_NS6detail15normal_iteratorINS8_10device_ptrIfEEEESD_SD_SD_jNS0_19identity_decomposerENS1_16block_id_wrapperIjLb1EEEEE10hipError_tT1_PNSt15iterator_traitsISI_E10value_typeET2_T3_PNSJ_ISO_E10value_typeET4_T5_PST_SU_PNS1_23onesweep_lookback_stateEbbT6_jjT7_P12ihipStream_tbENKUlT_T0_SI_SN_E_clIPfSD_S15_SD_EEDaS11_S12_SI_SN_EUlS11_E_NS1_11comp_targetILNS1_3genE9ELNS1_11target_archE1100ELNS1_3gpuE3ELNS1_3repE0EEENS1_47radix_sort_onesweep_sort_config_static_selectorELNS0_4arch9wavefront6targetE1EEEvSI_.has_recursion, 0
	.set _ZN7rocprim17ROCPRIM_400000_NS6detail17trampoline_kernelINS0_14default_configENS1_35radix_sort_onesweep_config_selectorIffEEZZNS1_29radix_sort_onesweep_iterationIS3_Lb0EN6thrust23THRUST_200600_302600_NS6detail15normal_iteratorINS8_10device_ptrIfEEEESD_SD_SD_jNS0_19identity_decomposerENS1_16block_id_wrapperIjLb1EEEEE10hipError_tT1_PNSt15iterator_traitsISI_E10value_typeET2_T3_PNSJ_ISO_E10value_typeET4_T5_PST_SU_PNS1_23onesweep_lookback_stateEbbT6_jjT7_P12ihipStream_tbENKUlT_T0_SI_SN_E_clIPfSD_S15_SD_EEDaS11_S12_SI_SN_EUlS11_E_NS1_11comp_targetILNS1_3genE9ELNS1_11target_archE1100ELNS1_3gpuE3ELNS1_3repE0EEENS1_47radix_sort_onesweep_sort_config_static_selectorELNS0_4arch9wavefront6targetE1EEEvSI_.has_indirect_call, 0
	.section	.AMDGPU.csdata,"",@progbits
; Kernel info:
; codeLenInByte = 0
; TotalNumSgprs: 6
; NumVgprs: 0
; NumAgprs: 0
; TotalNumVgprs: 0
; ScratchSize: 0
; MemoryBound: 0
; FloatMode: 240
; IeeeMode: 1
; LDSByteSize: 0 bytes/workgroup (compile time only)
; SGPRBlocks: 0
; VGPRBlocks: 0
; NumSGPRsForWavesPerEU: 6
; NumVGPRsForWavesPerEU: 1
; AccumOffset: 4
; Occupancy: 8
; WaveLimiterHint : 0
; COMPUTE_PGM_RSRC2:SCRATCH_EN: 0
; COMPUTE_PGM_RSRC2:USER_SGPR: 2
; COMPUTE_PGM_RSRC2:TRAP_HANDLER: 0
; COMPUTE_PGM_RSRC2:TGID_X_EN: 1
; COMPUTE_PGM_RSRC2:TGID_Y_EN: 0
; COMPUTE_PGM_RSRC2:TGID_Z_EN: 0
; COMPUTE_PGM_RSRC2:TIDIG_COMP_CNT: 0
; COMPUTE_PGM_RSRC3_GFX90A:ACCUM_OFFSET: 0
; COMPUTE_PGM_RSRC3_GFX90A:TG_SPLIT: 0
	.section	.text._ZN7rocprim17ROCPRIM_400000_NS6detail17trampoline_kernelINS0_14default_configENS1_35radix_sort_onesweep_config_selectorIffEEZZNS1_29radix_sort_onesweep_iterationIS3_Lb0EN6thrust23THRUST_200600_302600_NS6detail15normal_iteratorINS8_10device_ptrIfEEEESD_SD_SD_jNS0_19identity_decomposerENS1_16block_id_wrapperIjLb1EEEEE10hipError_tT1_PNSt15iterator_traitsISI_E10value_typeET2_T3_PNSJ_ISO_E10value_typeET4_T5_PST_SU_PNS1_23onesweep_lookback_stateEbbT6_jjT7_P12ihipStream_tbENKUlT_T0_SI_SN_E_clIPfSD_S15_SD_EEDaS11_S12_SI_SN_EUlS11_E_NS1_11comp_targetILNS1_3genE8ELNS1_11target_archE1030ELNS1_3gpuE2ELNS1_3repE0EEENS1_47radix_sort_onesweep_sort_config_static_selectorELNS0_4arch9wavefront6targetE1EEEvSI_,"axG",@progbits,_ZN7rocprim17ROCPRIM_400000_NS6detail17trampoline_kernelINS0_14default_configENS1_35radix_sort_onesweep_config_selectorIffEEZZNS1_29radix_sort_onesweep_iterationIS3_Lb0EN6thrust23THRUST_200600_302600_NS6detail15normal_iteratorINS8_10device_ptrIfEEEESD_SD_SD_jNS0_19identity_decomposerENS1_16block_id_wrapperIjLb1EEEEE10hipError_tT1_PNSt15iterator_traitsISI_E10value_typeET2_T3_PNSJ_ISO_E10value_typeET4_T5_PST_SU_PNS1_23onesweep_lookback_stateEbbT6_jjT7_P12ihipStream_tbENKUlT_T0_SI_SN_E_clIPfSD_S15_SD_EEDaS11_S12_SI_SN_EUlS11_E_NS1_11comp_targetILNS1_3genE8ELNS1_11target_archE1030ELNS1_3gpuE2ELNS1_3repE0EEENS1_47radix_sort_onesweep_sort_config_static_selectorELNS0_4arch9wavefront6targetE1EEEvSI_,comdat
	.protected	_ZN7rocprim17ROCPRIM_400000_NS6detail17trampoline_kernelINS0_14default_configENS1_35radix_sort_onesweep_config_selectorIffEEZZNS1_29radix_sort_onesweep_iterationIS3_Lb0EN6thrust23THRUST_200600_302600_NS6detail15normal_iteratorINS8_10device_ptrIfEEEESD_SD_SD_jNS0_19identity_decomposerENS1_16block_id_wrapperIjLb1EEEEE10hipError_tT1_PNSt15iterator_traitsISI_E10value_typeET2_T3_PNSJ_ISO_E10value_typeET4_T5_PST_SU_PNS1_23onesweep_lookback_stateEbbT6_jjT7_P12ihipStream_tbENKUlT_T0_SI_SN_E_clIPfSD_S15_SD_EEDaS11_S12_SI_SN_EUlS11_E_NS1_11comp_targetILNS1_3genE8ELNS1_11target_archE1030ELNS1_3gpuE2ELNS1_3repE0EEENS1_47radix_sort_onesweep_sort_config_static_selectorELNS0_4arch9wavefront6targetE1EEEvSI_ ; -- Begin function _ZN7rocprim17ROCPRIM_400000_NS6detail17trampoline_kernelINS0_14default_configENS1_35radix_sort_onesweep_config_selectorIffEEZZNS1_29radix_sort_onesweep_iterationIS3_Lb0EN6thrust23THRUST_200600_302600_NS6detail15normal_iteratorINS8_10device_ptrIfEEEESD_SD_SD_jNS0_19identity_decomposerENS1_16block_id_wrapperIjLb1EEEEE10hipError_tT1_PNSt15iterator_traitsISI_E10value_typeET2_T3_PNSJ_ISO_E10value_typeET4_T5_PST_SU_PNS1_23onesweep_lookback_stateEbbT6_jjT7_P12ihipStream_tbENKUlT_T0_SI_SN_E_clIPfSD_S15_SD_EEDaS11_S12_SI_SN_EUlS11_E_NS1_11comp_targetILNS1_3genE8ELNS1_11target_archE1030ELNS1_3gpuE2ELNS1_3repE0EEENS1_47radix_sort_onesweep_sort_config_static_selectorELNS0_4arch9wavefront6targetE1EEEvSI_
	.globl	_ZN7rocprim17ROCPRIM_400000_NS6detail17trampoline_kernelINS0_14default_configENS1_35radix_sort_onesweep_config_selectorIffEEZZNS1_29radix_sort_onesweep_iterationIS3_Lb0EN6thrust23THRUST_200600_302600_NS6detail15normal_iteratorINS8_10device_ptrIfEEEESD_SD_SD_jNS0_19identity_decomposerENS1_16block_id_wrapperIjLb1EEEEE10hipError_tT1_PNSt15iterator_traitsISI_E10value_typeET2_T3_PNSJ_ISO_E10value_typeET4_T5_PST_SU_PNS1_23onesweep_lookback_stateEbbT6_jjT7_P12ihipStream_tbENKUlT_T0_SI_SN_E_clIPfSD_S15_SD_EEDaS11_S12_SI_SN_EUlS11_E_NS1_11comp_targetILNS1_3genE8ELNS1_11target_archE1030ELNS1_3gpuE2ELNS1_3repE0EEENS1_47radix_sort_onesweep_sort_config_static_selectorELNS0_4arch9wavefront6targetE1EEEvSI_
	.p2align	8
	.type	_ZN7rocprim17ROCPRIM_400000_NS6detail17trampoline_kernelINS0_14default_configENS1_35radix_sort_onesweep_config_selectorIffEEZZNS1_29radix_sort_onesweep_iterationIS3_Lb0EN6thrust23THRUST_200600_302600_NS6detail15normal_iteratorINS8_10device_ptrIfEEEESD_SD_SD_jNS0_19identity_decomposerENS1_16block_id_wrapperIjLb1EEEEE10hipError_tT1_PNSt15iterator_traitsISI_E10value_typeET2_T3_PNSJ_ISO_E10value_typeET4_T5_PST_SU_PNS1_23onesweep_lookback_stateEbbT6_jjT7_P12ihipStream_tbENKUlT_T0_SI_SN_E_clIPfSD_S15_SD_EEDaS11_S12_SI_SN_EUlS11_E_NS1_11comp_targetILNS1_3genE8ELNS1_11target_archE1030ELNS1_3gpuE2ELNS1_3repE0EEENS1_47radix_sort_onesweep_sort_config_static_selectorELNS0_4arch9wavefront6targetE1EEEvSI_,@function
_ZN7rocprim17ROCPRIM_400000_NS6detail17trampoline_kernelINS0_14default_configENS1_35radix_sort_onesweep_config_selectorIffEEZZNS1_29radix_sort_onesweep_iterationIS3_Lb0EN6thrust23THRUST_200600_302600_NS6detail15normal_iteratorINS8_10device_ptrIfEEEESD_SD_SD_jNS0_19identity_decomposerENS1_16block_id_wrapperIjLb1EEEEE10hipError_tT1_PNSt15iterator_traitsISI_E10value_typeET2_T3_PNSJ_ISO_E10value_typeET4_T5_PST_SU_PNS1_23onesweep_lookback_stateEbbT6_jjT7_P12ihipStream_tbENKUlT_T0_SI_SN_E_clIPfSD_S15_SD_EEDaS11_S12_SI_SN_EUlS11_E_NS1_11comp_targetILNS1_3genE8ELNS1_11target_archE1030ELNS1_3gpuE2ELNS1_3repE0EEENS1_47radix_sort_onesweep_sort_config_static_selectorELNS0_4arch9wavefront6targetE1EEEvSI_: ; @_ZN7rocprim17ROCPRIM_400000_NS6detail17trampoline_kernelINS0_14default_configENS1_35radix_sort_onesweep_config_selectorIffEEZZNS1_29radix_sort_onesweep_iterationIS3_Lb0EN6thrust23THRUST_200600_302600_NS6detail15normal_iteratorINS8_10device_ptrIfEEEESD_SD_SD_jNS0_19identity_decomposerENS1_16block_id_wrapperIjLb1EEEEE10hipError_tT1_PNSt15iterator_traitsISI_E10value_typeET2_T3_PNSJ_ISO_E10value_typeET4_T5_PST_SU_PNS1_23onesweep_lookback_stateEbbT6_jjT7_P12ihipStream_tbENKUlT_T0_SI_SN_E_clIPfSD_S15_SD_EEDaS11_S12_SI_SN_EUlS11_E_NS1_11comp_targetILNS1_3genE8ELNS1_11target_archE1030ELNS1_3gpuE2ELNS1_3repE0EEENS1_47radix_sort_onesweep_sort_config_static_selectorELNS0_4arch9wavefront6targetE1EEEvSI_
; %bb.0:
	.section	.rodata,"a",@progbits
	.p2align	6, 0x0
	.amdhsa_kernel _ZN7rocprim17ROCPRIM_400000_NS6detail17trampoline_kernelINS0_14default_configENS1_35radix_sort_onesweep_config_selectorIffEEZZNS1_29radix_sort_onesweep_iterationIS3_Lb0EN6thrust23THRUST_200600_302600_NS6detail15normal_iteratorINS8_10device_ptrIfEEEESD_SD_SD_jNS0_19identity_decomposerENS1_16block_id_wrapperIjLb1EEEEE10hipError_tT1_PNSt15iterator_traitsISI_E10value_typeET2_T3_PNSJ_ISO_E10value_typeET4_T5_PST_SU_PNS1_23onesweep_lookback_stateEbbT6_jjT7_P12ihipStream_tbENKUlT_T0_SI_SN_E_clIPfSD_S15_SD_EEDaS11_S12_SI_SN_EUlS11_E_NS1_11comp_targetILNS1_3genE8ELNS1_11target_archE1030ELNS1_3gpuE2ELNS1_3repE0EEENS1_47radix_sort_onesweep_sort_config_static_selectorELNS0_4arch9wavefront6targetE1EEEvSI_
		.amdhsa_group_segment_fixed_size 0
		.amdhsa_private_segment_fixed_size 0
		.amdhsa_kernarg_size 88
		.amdhsa_user_sgpr_count 2
		.amdhsa_user_sgpr_dispatch_ptr 0
		.amdhsa_user_sgpr_queue_ptr 0
		.amdhsa_user_sgpr_kernarg_segment_ptr 1
		.amdhsa_user_sgpr_dispatch_id 0
		.amdhsa_user_sgpr_kernarg_preload_length 0
		.amdhsa_user_sgpr_kernarg_preload_offset 0
		.amdhsa_user_sgpr_private_segment_size 0
		.amdhsa_uses_dynamic_stack 0
		.amdhsa_enable_private_segment 0
		.amdhsa_system_sgpr_workgroup_id_x 1
		.amdhsa_system_sgpr_workgroup_id_y 0
		.amdhsa_system_sgpr_workgroup_id_z 0
		.amdhsa_system_sgpr_workgroup_info 0
		.amdhsa_system_vgpr_workitem_id 0
		.amdhsa_next_free_vgpr 1
		.amdhsa_next_free_sgpr 0
		.amdhsa_accum_offset 4
		.amdhsa_reserve_vcc 0
		.amdhsa_float_round_mode_32 0
		.amdhsa_float_round_mode_16_64 0
		.amdhsa_float_denorm_mode_32 3
		.amdhsa_float_denorm_mode_16_64 3
		.amdhsa_dx10_clamp 1
		.amdhsa_ieee_mode 1
		.amdhsa_fp16_overflow 0
		.amdhsa_tg_split 0
		.amdhsa_exception_fp_ieee_invalid_op 0
		.amdhsa_exception_fp_denorm_src 0
		.amdhsa_exception_fp_ieee_div_zero 0
		.amdhsa_exception_fp_ieee_overflow 0
		.amdhsa_exception_fp_ieee_underflow 0
		.amdhsa_exception_fp_ieee_inexact 0
		.amdhsa_exception_int_div_zero 0
	.end_amdhsa_kernel
	.section	.text._ZN7rocprim17ROCPRIM_400000_NS6detail17trampoline_kernelINS0_14default_configENS1_35radix_sort_onesweep_config_selectorIffEEZZNS1_29radix_sort_onesweep_iterationIS3_Lb0EN6thrust23THRUST_200600_302600_NS6detail15normal_iteratorINS8_10device_ptrIfEEEESD_SD_SD_jNS0_19identity_decomposerENS1_16block_id_wrapperIjLb1EEEEE10hipError_tT1_PNSt15iterator_traitsISI_E10value_typeET2_T3_PNSJ_ISO_E10value_typeET4_T5_PST_SU_PNS1_23onesweep_lookback_stateEbbT6_jjT7_P12ihipStream_tbENKUlT_T0_SI_SN_E_clIPfSD_S15_SD_EEDaS11_S12_SI_SN_EUlS11_E_NS1_11comp_targetILNS1_3genE8ELNS1_11target_archE1030ELNS1_3gpuE2ELNS1_3repE0EEENS1_47radix_sort_onesweep_sort_config_static_selectorELNS0_4arch9wavefront6targetE1EEEvSI_,"axG",@progbits,_ZN7rocprim17ROCPRIM_400000_NS6detail17trampoline_kernelINS0_14default_configENS1_35radix_sort_onesweep_config_selectorIffEEZZNS1_29radix_sort_onesweep_iterationIS3_Lb0EN6thrust23THRUST_200600_302600_NS6detail15normal_iteratorINS8_10device_ptrIfEEEESD_SD_SD_jNS0_19identity_decomposerENS1_16block_id_wrapperIjLb1EEEEE10hipError_tT1_PNSt15iterator_traitsISI_E10value_typeET2_T3_PNSJ_ISO_E10value_typeET4_T5_PST_SU_PNS1_23onesweep_lookback_stateEbbT6_jjT7_P12ihipStream_tbENKUlT_T0_SI_SN_E_clIPfSD_S15_SD_EEDaS11_S12_SI_SN_EUlS11_E_NS1_11comp_targetILNS1_3genE8ELNS1_11target_archE1030ELNS1_3gpuE2ELNS1_3repE0EEENS1_47radix_sort_onesweep_sort_config_static_selectorELNS0_4arch9wavefront6targetE1EEEvSI_,comdat
.Lfunc_end331:
	.size	_ZN7rocprim17ROCPRIM_400000_NS6detail17trampoline_kernelINS0_14default_configENS1_35radix_sort_onesweep_config_selectorIffEEZZNS1_29radix_sort_onesweep_iterationIS3_Lb0EN6thrust23THRUST_200600_302600_NS6detail15normal_iteratorINS8_10device_ptrIfEEEESD_SD_SD_jNS0_19identity_decomposerENS1_16block_id_wrapperIjLb1EEEEE10hipError_tT1_PNSt15iterator_traitsISI_E10value_typeET2_T3_PNSJ_ISO_E10value_typeET4_T5_PST_SU_PNS1_23onesweep_lookback_stateEbbT6_jjT7_P12ihipStream_tbENKUlT_T0_SI_SN_E_clIPfSD_S15_SD_EEDaS11_S12_SI_SN_EUlS11_E_NS1_11comp_targetILNS1_3genE8ELNS1_11target_archE1030ELNS1_3gpuE2ELNS1_3repE0EEENS1_47radix_sort_onesweep_sort_config_static_selectorELNS0_4arch9wavefront6targetE1EEEvSI_, .Lfunc_end331-_ZN7rocprim17ROCPRIM_400000_NS6detail17trampoline_kernelINS0_14default_configENS1_35radix_sort_onesweep_config_selectorIffEEZZNS1_29radix_sort_onesweep_iterationIS3_Lb0EN6thrust23THRUST_200600_302600_NS6detail15normal_iteratorINS8_10device_ptrIfEEEESD_SD_SD_jNS0_19identity_decomposerENS1_16block_id_wrapperIjLb1EEEEE10hipError_tT1_PNSt15iterator_traitsISI_E10value_typeET2_T3_PNSJ_ISO_E10value_typeET4_T5_PST_SU_PNS1_23onesweep_lookback_stateEbbT6_jjT7_P12ihipStream_tbENKUlT_T0_SI_SN_E_clIPfSD_S15_SD_EEDaS11_S12_SI_SN_EUlS11_E_NS1_11comp_targetILNS1_3genE8ELNS1_11target_archE1030ELNS1_3gpuE2ELNS1_3repE0EEENS1_47radix_sort_onesweep_sort_config_static_selectorELNS0_4arch9wavefront6targetE1EEEvSI_
                                        ; -- End function
	.set _ZN7rocprim17ROCPRIM_400000_NS6detail17trampoline_kernelINS0_14default_configENS1_35radix_sort_onesweep_config_selectorIffEEZZNS1_29radix_sort_onesweep_iterationIS3_Lb0EN6thrust23THRUST_200600_302600_NS6detail15normal_iteratorINS8_10device_ptrIfEEEESD_SD_SD_jNS0_19identity_decomposerENS1_16block_id_wrapperIjLb1EEEEE10hipError_tT1_PNSt15iterator_traitsISI_E10value_typeET2_T3_PNSJ_ISO_E10value_typeET4_T5_PST_SU_PNS1_23onesweep_lookback_stateEbbT6_jjT7_P12ihipStream_tbENKUlT_T0_SI_SN_E_clIPfSD_S15_SD_EEDaS11_S12_SI_SN_EUlS11_E_NS1_11comp_targetILNS1_3genE8ELNS1_11target_archE1030ELNS1_3gpuE2ELNS1_3repE0EEENS1_47radix_sort_onesweep_sort_config_static_selectorELNS0_4arch9wavefront6targetE1EEEvSI_.num_vgpr, 0
	.set _ZN7rocprim17ROCPRIM_400000_NS6detail17trampoline_kernelINS0_14default_configENS1_35radix_sort_onesweep_config_selectorIffEEZZNS1_29radix_sort_onesweep_iterationIS3_Lb0EN6thrust23THRUST_200600_302600_NS6detail15normal_iteratorINS8_10device_ptrIfEEEESD_SD_SD_jNS0_19identity_decomposerENS1_16block_id_wrapperIjLb1EEEEE10hipError_tT1_PNSt15iterator_traitsISI_E10value_typeET2_T3_PNSJ_ISO_E10value_typeET4_T5_PST_SU_PNS1_23onesweep_lookback_stateEbbT6_jjT7_P12ihipStream_tbENKUlT_T0_SI_SN_E_clIPfSD_S15_SD_EEDaS11_S12_SI_SN_EUlS11_E_NS1_11comp_targetILNS1_3genE8ELNS1_11target_archE1030ELNS1_3gpuE2ELNS1_3repE0EEENS1_47radix_sort_onesweep_sort_config_static_selectorELNS0_4arch9wavefront6targetE1EEEvSI_.num_agpr, 0
	.set _ZN7rocprim17ROCPRIM_400000_NS6detail17trampoline_kernelINS0_14default_configENS1_35radix_sort_onesweep_config_selectorIffEEZZNS1_29radix_sort_onesweep_iterationIS3_Lb0EN6thrust23THRUST_200600_302600_NS6detail15normal_iteratorINS8_10device_ptrIfEEEESD_SD_SD_jNS0_19identity_decomposerENS1_16block_id_wrapperIjLb1EEEEE10hipError_tT1_PNSt15iterator_traitsISI_E10value_typeET2_T3_PNSJ_ISO_E10value_typeET4_T5_PST_SU_PNS1_23onesweep_lookback_stateEbbT6_jjT7_P12ihipStream_tbENKUlT_T0_SI_SN_E_clIPfSD_S15_SD_EEDaS11_S12_SI_SN_EUlS11_E_NS1_11comp_targetILNS1_3genE8ELNS1_11target_archE1030ELNS1_3gpuE2ELNS1_3repE0EEENS1_47radix_sort_onesweep_sort_config_static_selectorELNS0_4arch9wavefront6targetE1EEEvSI_.numbered_sgpr, 0
	.set _ZN7rocprim17ROCPRIM_400000_NS6detail17trampoline_kernelINS0_14default_configENS1_35radix_sort_onesweep_config_selectorIffEEZZNS1_29radix_sort_onesweep_iterationIS3_Lb0EN6thrust23THRUST_200600_302600_NS6detail15normal_iteratorINS8_10device_ptrIfEEEESD_SD_SD_jNS0_19identity_decomposerENS1_16block_id_wrapperIjLb1EEEEE10hipError_tT1_PNSt15iterator_traitsISI_E10value_typeET2_T3_PNSJ_ISO_E10value_typeET4_T5_PST_SU_PNS1_23onesweep_lookback_stateEbbT6_jjT7_P12ihipStream_tbENKUlT_T0_SI_SN_E_clIPfSD_S15_SD_EEDaS11_S12_SI_SN_EUlS11_E_NS1_11comp_targetILNS1_3genE8ELNS1_11target_archE1030ELNS1_3gpuE2ELNS1_3repE0EEENS1_47radix_sort_onesweep_sort_config_static_selectorELNS0_4arch9wavefront6targetE1EEEvSI_.num_named_barrier, 0
	.set _ZN7rocprim17ROCPRIM_400000_NS6detail17trampoline_kernelINS0_14default_configENS1_35radix_sort_onesweep_config_selectorIffEEZZNS1_29radix_sort_onesweep_iterationIS3_Lb0EN6thrust23THRUST_200600_302600_NS6detail15normal_iteratorINS8_10device_ptrIfEEEESD_SD_SD_jNS0_19identity_decomposerENS1_16block_id_wrapperIjLb1EEEEE10hipError_tT1_PNSt15iterator_traitsISI_E10value_typeET2_T3_PNSJ_ISO_E10value_typeET4_T5_PST_SU_PNS1_23onesweep_lookback_stateEbbT6_jjT7_P12ihipStream_tbENKUlT_T0_SI_SN_E_clIPfSD_S15_SD_EEDaS11_S12_SI_SN_EUlS11_E_NS1_11comp_targetILNS1_3genE8ELNS1_11target_archE1030ELNS1_3gpuE2ELNS1_3repE0EEENS1_47radix_sort_onesweep_sort_config_static_selectorELNS0_4arch9wavefront6targetE1EEEvSI_.private_seg_size, 0
	.set _ZN7rocprim17ROCPRIM_400000_NS6detail17trampoline_kernelINS0_14default_configENS1_35radix_sort_onesweep_config_selectorIffEEZZNS1_29radix_sort_onesweep_iterationIS3_Lb0EN6thrust23THRUST_200600_302600_NS6detail15normal_iteratorINS8_10device_ptrIfEEEESD_SD_SD_jNS0_19identity_decomposerENS1_16block_id_wrapperIjLb1EEEEE10hipError_tT1_PNSt15iterator_traitsISI_E10value_typeET2_T3_PNSJ_ISO_E10value_typeET4_T5_PST_SU_PNS1_23onesweep_lookback_stateEbbT6_jjT7_P12ihipStream_tbENKUlT_T0_SI_SN_E_clIPfSD_S15_SD_EEDaS11_S12_SI_SN_EUlS11_E_NS1_11comp_targetILNS1_3genE8ELNS1_11target_archE1030ELNS1_3gpuE2ELNS1_3repE0EEENS1_47radix_sort_onesweep_sort_config_static_selectorELNS0_4arch9wavefront6targetE1EEEvSI_.uses_vcc, 0
	.set _ZN7rocprim17ROCPRIM_400000_NS6detail17trampoline_kernelINS0_14default_configENS1_35radix_sort_onesweep_config_selectorIffEEZZNS1_29radix_sort_onesweep_iterationIS3_Lb0EN6thrust23THRUST_200600_302600_NS6detail15normal_iteratorINS8_10device_ptrIfEEEESD_SD_SD_jNS0_19identity_decomposerENS1_16block_id_wrapperIjLb1EEEEE10hipError_tT1_PNSt15iterator_traitsISI_E10value_typeET2_T3_PNSJ_ISO_E10value_typeET4_T5_PST_SU_PNS1_23onesweep_lookback_stateEbbT6_jjT7_P12ihipStream_tbENKUlT_T0_SI_SN_E_clIPfSD_S15_SD_EEDaS11_S12_SI_SN_EUlS11_E_NS1_11comp_targetILNS1_3genE8ELNS1_11target_archE1030ELNS1_3gpuE2ELNS1_3repE0EEENS1_47radix_sort_onesweep_sort_config_static_selectorELNS0_4arch9wavefront6targetE1EEEvSI_.uses_flat_scratch, 0
	.set _ZN7rocprim17ROCPRIM_400000_NS6detail17trampoline_kernelINS0_14default_configENS1_35radix_sort_onesweep_config_selectorIffEEZZNS1_29radix_sort_onesweep_iterationIS3_Lb0EN6thrust23THRUST_200600_302600_NS6detail15normal_iteratorINS8_10device_ptrIfEEEESD_SD_SD_jNS0_19identity_decomposerENS1_16block_id_wrapperIjLb1EEEEE10hipError_tT1_PNSt15iterator_traitsISI_E10value_typeET2_T3_PNSJ_ISO_E10value_typeET4_T5_PST_SU_PNS1_23onesweep_lookback_stateEbbT6_jjT7_P12ihipStream_tbENKUlT_T0_SI_SN_E_clIPfSD_S15_SD_EEDaS11_S12_SI_SN_EUlS11_E_NS1_11comp_targetILNS1_3genE8ELNS1_11target_archE1030ELNS1_3gpuE2ELNS1_3repE0EEENS1_47radix_sort_onesweep_sort_config_static_selectorELNS0_4arch9wavefront6targetE1EEEvSI_.has_dyn_sized_stack, 0
	.set _ZN7rocprim17ROCPRIM_400000_NS6detail17trampoline_kernelINS0_14default_configENS1_35radix_sort_onesweep_config_selectorIffEEZZNS1_29radix_sort_onesweep_iterationIS3_Lb0EN6thrust23THRUST_200600_302600_NS6detail15normal_iteratorINS8_10device_ptrIfEEEESD_SD_SD_jNS0_19identity_decomposerENS1_16block_id_wrapperIjLb1EEEEE10hipError_tT1_PNSt15iterator_traitsISI_E10value_typeET2_T3_PNSJ_ISO_E10value_typeET4_T5_PST_SU_PNS1_23onesweep_lookback_stateEbbT6_jjT7_P12ihipStream_tbENKUlT_T0_SI_SN_E_clIPfSD_S15_SD_EEDaS11_S12_SI_SN_EUlS11_E_NS1_11comp_targetILNS1_3genE8ELNS1_11target_archE1030ELNS1_3gpuE2ELNS1_3repE0EEENS1_47radix_sort_onesweep_sort_config_static_selectorELNS0_4arch9wavefront6targetE1EEEvSI_.has_recursion, 0
	.set _ZN7rocprim17ROCPRIM_400000_NS6detail17trampoline_kernelINS0_14default_configENS1_35radix_sort_onesweep_config_selectorIffEEZZNS1_29radix_sort_onesweep_iterationIS3_Lb0EN6thrust23THRUST_200600_302600_NS6detail15normal_iteratorINS8_10device_ptrIfEEEESD_SD_SD_jNS0_19identity_decomposerENS1_16block_id_wrapperIjLb1EEEEE10hipError_tT1_PNSt15iterator_traitsISI_E10value_typeET2_T3_PNSJ_ISO_E10value_typeET4_T5_PST_SU_PNS1_23onesweep_lookback_stateEbbT6_jjT7_P12ihipStream_tbENKUlT_T0_SI_SN_E_clIPfSD_S15_SD_EEDaS11_S12_SI_SN_EUlS11_E_NS1_11comp_targetILNS1_3genE8ELNS1_11target_archE1030ELNS1_3gpuE2ELNS1_3repE0EEENS1_47radix_sort_onesweep_sort_config_static_selectorELNS0_4arch9wavefront6targetE1EEEvSI_.has_indirect_call, 0
	.section	.AMDGPU.csdata,"",@progbits
; Kernel info:
; codeLenInByte = 0
; TotalNumSgprs: 6
; NumVgprs: 0
; NumAgprs: 0
; TotalNumVgprs: 0
; ScratchSize: 0
; MemoryBound: 0
; FloatMode: 240
; IeeeMode: 1
; LDSByteSize: 0 bytes/workgroup (compile time only)
; SGPRBlocks: 0
; VGPRBlocks: 0
; NumSGPRsForWavesPerEU: 6
; NumVGPRsForWavesPerEU: 1
; AccumOffset: 4
; Occupancy: 8
; WaveLimiterHint : 0
; COMPUTE_PGM_RSRC2:SCRATCH_EN: 0
; COMPUTE_PGM_RSRC2:USER_SGPR: 2
; COMPUTE_PGM_RSRC2:TRAP_HANDLER: 0
; COMPUTE_PGM_RSRC2:TGID_X_EN: 1
; COMPUTE_PGM_RSRC2:TGID_Y_EN: 0
; COMPUTE_PGM_RSRC2:TGID_Z_EN: 0
; COMPUTE_PGM_RSRC2:TIDIG_COMP_CNT: 0
; COMPUTE_PGM_RSRC3_GFX90A:ACCUM_OFFSET: 0
; COMPUTE_PGM_RSRC3_GFX90A:TG_SPLIT: 0
	.section	.text._ZN7rocprim17ROCPRIM_400000_NS6detail17trampoline_kernelINS0_14default_configENS1_35radix_sort_onesweep_config_selectorIffEEZZNS1_29radix_sort_onesweep_iterationIS3_Lb0EN6thrust23THRUST_200600_302600_NS6detail15normal_iteratorINS8_10device_ptrIfEEEESD_SD_SD_jNS0_19identity_decomposerENS1_16block_id_wrapperIjLb0EEEEE10hipError_tT1_PNSt15iterator_traitsISI_E10value_typeET2_T3_PNSJ_ISO_E10value_typeET4_T5_PST_SU_PNS1_23onesweep_lookback_stateEbbT6_jjT7_P12ihipStream_tbENKUlT_T0_SI_SN_E_clISD_SD_SD_SD_EEDaS11_S12_SI_SN_EUlS11_E_NS1_11comp_targetILNS1_3genE0ELNS1_11target_archE4294967295ELNS1_3gpuE0ELNS1_3repE0EEENS1_47radix_sort_onesweep_sort_config_static_selectorELNS0_4arch9wavefront6targetE1EEEvSI_,"axG",@progbits,_ZN7rocprim17ROCPRIM_400000_NS6detail17trampoline_kernelINS0_14default_configENS1_35radix_sort_onesweep_config_selectorIffEEZZNS1_29radix_sort_onesweep_iterationIS3_Lb0EN6thrust23THRUST_200600_302600_NS6detail15normal_iteratorINS8_10device_ptrIfEEEESD_SD_SD_jNS0_19identity_decomposerENS1_16block_id_wrapperIjLb0EEEEE10hipError_tT1_PNSt15iterator_traitsISI_E10value_typeET2_T3_PNSJ_ISO_E10value_typeET4_T5_PST_SU_PNS1_23onesweep_lookback_stateEbbT6_jjT7_P12ihipStream_tbENKUlT_T0_SI_SN_E_clISD_SD_SD_SD_EEDaS11_S12_SI_SN_EUlS11_E_NS1_11comp_targetILNS1_3genE0ELNS1_11target_archE4294967295ELNS1_3gpuE0ELNS1_3repE0EEENS1_47radix_sort_onesweep_sort_config_static_selectorELNS0_4arch9wavefront6targetE1EEEvSI_,comdat
	.protected	_ZN7rocprim17ROCPRIM_400000_NS6detail17trampoline_kernelINS0_14default_configENS1_35radix_sort_onesweep_config_selectorIffEEZZNS1_29radix_sort_onesweep_iterationIS3_Lb0EN6thrust23THRUST_200600_302600_NS6detail15normal_iteratorINS8_10device_ptrIfEEEESD_SD_SD_jNS0_19identity_decomposerENS1_16block_id_wrapperIjLb0EEEEE10hipError_tT1_PNSt15iterator_traitsISI_E10value_typeET2_T3_PNSJ_ISO_E10value_typeET4_T5_PST_SU_PNS1_23onesweep_lookback_stateEbbT6_jjT7_P12ihipStream_tbENKUlT_T0_SI_SN_E_clISD_SD_SD_SD_EEDaS11_S12_SI_SN_EUlS11_E_NS1_11comp_targetILNS1_3genE0ELNS1_11target_archE4294967295ELNS1_3gpuE0ELNS1_3repE0EEENS1_47radix_sort_onesweep_sort_config_static_selectorELNS0_4arch9wavefront6targetE1EEEvSI_ ; -- Begin function _ZN7rocprim17ROCPRIM_400000_NS6detail17trampoline_kernelINS0_14default_configENS1_35radix_sort_onesweep_config_selectorIffEEZZNS1_29radix_sort_onesweep_iterationIS3_Lb0EN6thrust23THRUST_200600_302600_NS6detail15normal_iteratorINS8_10device_ptrIfEEEESD_SD_SD_jNS0_19identity_decomposerENS1_16block_id_wrapperIjLb0EEEEE10hipError_tT1_PNSt15iterator_traitsISI_E10value_typeET2_T3_PNSJ_ISO_E10value_typeET4_T5_PST_SU_PNS1_23onesweep_lookback_stateEbbT6_jjT7_P12ihipStream_tbENKUlT_T0_SI_SN_E_clISD_SD_SD_SD_EEDaS11_S12_SI_SN_EUlS11_E_NS1_11comp_targetILNS1_3genE0ELNS1_11target_archE4294967295ELNS1_3gpuE0ELNS1_3repE0EEENS1_47radix_sort_onesweep_sort_config_static_selectorELNS0_4arch9wavefront6targetE1EEEvSI_
	.globl	_ZN7rocprim17ROCPRIM_400000_NS6detail17trampoline_kernelINS0_14default_configENS1_35radix_sort_onesweep_config_selectorIffEEZZNS1_29radix_sort_onesweep_iterationIS3_Lb0EN6thrust23THRUST_200600_302600_NS6detail15normal_iteratorINS8_10device_ptrIfEEEESD_SD_SD_jNS0_19identity_decomposerENS1_16block_id_wrapperIjLb0EEEEE10hipError_tT1_PNSt15iterator_traitsISI_E10value_typeET2_T3_PNSJ_ISO_E10value_typeET4_T5_PST_SU_PNS1_23onesweep_lookback_stateEbbT6_jjT7_P12ihipStream_tbENKUlT_T0_SI_SN_E_clISD_SD_SD_SD_EEDaS11_S12_SI_SN_EUlS11_E_NS1_11comp_targetILNS1_3genE0ELNS1_11target_archE4294967295ELNS1_3gpuE0ELNS1_3repE0EEENS1_47radix_sort_onesweep_sort_config_static_selectorELNS0_4arch9wavefront6targetE1EEEvSI_
	.p2align	8
	.type	_ZN7rocprim17ROCPRIM_400000_NS6detail17trampoline_kernelINS0_14default_configENS1_35radix_sort_onesweep_config_selectorIffEEZZNS1_29radix_sort_onesweep_iterationIS3_Lb0EN6thrust23THRUST_200600_302600_NS6detail15normal_iteratorINS8_10device_ptrIfEEEESD_SD_SD_jNS0_19identity_decomposerENS1_16block_id_wrapperIjLb0EEEEE10hipError_tT1_PNSt15iterator_traitsISI_E10value_typeET2_T3_PNSJ_ISO_E10value_typeET4_T5_PST_SU_PNS1_23onesweep_lookback_stateEbbT6_jjT7_P12ihipStream_tbENKUlT_T0_SI_SN_E_clISD_SD_SD_SD_EEDaS11_S12_SI_SN_EUlS11_E_NS1_11comp_targetILNS1_3genE0ELNS1_11target_archE4294967295ELNS1_3gpuE0ELNS1_3repE0EEENS1_47radix_sort_onesweep_sort_config_static_selectorELNS0_4arch9wavefront6targetE1EEEvSI_,@function
_ZN7rocprim17ROCPRIM_400000_NS6detail17trampoline_kernelINS0_14default_configENS1_35radix_sort_onesweep_config_selectorIffEEZZNS1_29radix_sort_onesweep_iterationIS3_Lb0EN6thrust23THRUST_200600_302600_NS6detail15normal_iteratorINS8_10device_ptrIfEEEESD_SD_SD_jNS0_19identity_decomposerENS1_16block_id_wrapperIjLb0EEEEE10hipError_tT1_PNSt15iterator_traitsISI_E10value_typeET2_T3_PNSJ_ISO_E10value_typeET4_T5_PST_SU_PNS1_23onesweep_lookback_stateEbbT6_jjT7_P12ihipStream_tbENKUlT_T0_SI_SN_E_clISD_SD_SD_SD_EEDaS11_S12_SI_SN_EUlS11_E_NS1_11comp_targetILNS1_3genE0ELNS1_11target_archE4294967295ELNS1_3gpuE0ELNS1_3repE0EEENS1_47radix_sort_onesweep_sort_config_static_selectorELNS0_4arch9wavefront6targetE1EEEvSI_: ; @_ZN7rocprim17ROCPRIM_400000_NS6detail17trampoline_kernelINS0_14default_configENS1_35radix_sort_onesweep_config_selectorIffEEZZNS1_29radix_sort_onesweep_iterationIS3_Lb0EN6thrust23THRUST_200600_302600_NS6detail15normal_iteratorINS8_10device_ptrIfEEEESD_SD_SD_jNS0_19identity_decomposerENS1_16block_id_wrapperIjLb0EEEEE10hipError_tT1_PNSt15iterator_traitsISI_E10value_typeET2_T3_PNSJ_ISO_E10value_typeET4_T5_PST_SU_PNS1_23onesweep_lookback_stateEbbT6_jjT7_P12ihipStream_tbENKUlT_T0_SI_SN_E_clISD_SD_SD_SD_EEDaS11_S12_SI_SN_EUlS11_E_NS1_11comp_targetILNS1_3genE0ELNS1_11target_archE4294967295ELNS1_3gpuE0ELNS1_3repE0EEENS1_47radix_sort_onesweep_sort_config_static_selectorELNS0_4arch9wavefront6targetE1EEEvSI_
; %bb.0:
	.section	.rodata,"a",@progbits
	.p2align	6, 0x0
	.amdhsa_kernel _ZN7rocprim17ROCPRIM_400000_NS6detail17trampoline_kernelINS0_14default_configENS1_35radix_sort_onesweep_config_selectorIffEEZZNS1_29radix_sort_onesweep_iterationIS3_Lb0EN6thrust23THRUST_200600_302600_NS6detail15normal_iteratorINS8_10device_ptrIfEEEESD_SD_SD_jNS0_19identity_decomposerENS1_16block_id_wrapperIjLb0EEEEE10hipError_tT1_PNSt15iterator_traitsISI_E10value_typeET2_T3_PNSJ_ISO_E10value_typeET4_T5_PST_SU_PNS1_23onesweep_lookback_stateEbbT6_jjT7_P12ihipStream_tbENKUlT_T0_SI_SN_E_clISD_SD_SD_SD_EEDaS11_S12_SI_SN_EUlS11_E_NS1_11comp_targetILNS1_3genE0ELNS1_11target_archE4294967295ELNS1_3gpuE0ELNS1_3repE0EEENS1_47radix_sort_onesweep_sort_config_static_selectorELNS0_4arch9wavefront6targetE1EEEvSI_
		.amdhsa_group_segment_fixed_size 0
		.amdhsa_private_segment_fixed_size 0
		.amdhsa_kernarg_size 88
		.amdhsa_user_sgpr_count 2
		.amdhsa_user_sgpr_dispatch_ptr 0
		.amdhsa_user_sgpr_queue_ptr 0
		.amdhsa_user_sgpr_kernarg_segment_ptr 1
		.amdhsa_user_sgpr_dispatch_id 0
		.amdhsa_user_sgpr_kernarg_preload_length 0
		.amdhsa_user_sgpr_kernarg_preload_offset 0
		.amdhsa_user_sgpr_private_segment_size 0
		.amdhsa_uses_dynamic_stack 0
		.amdhsa_enable_private_segment 0
		.amdhsa_system_sgpr_workgroup_id_x 1
		.amdhsa_system_sgpr_workgroup_id_y 0
		.amdhsa_system_sgpr_workgroup_id_z 0
		.amdhsa_system_sgpr_workgroup_info 0
		.amdhsa_system_vgpr_workitem_id 0
		.amdhsa_next_free_vgpr 1
		.amdhsa_next_free_sgpr 0
		.amdhsa_accum_offset 4
		.amdhsa_reserve_vcc 0
		.amdhsa_float_round_mode_32 0
		.amdhsa_float_round_mode_16_64 0
		.amdhsa_float_denorm_mode_32 3
		.amdhsa_float_denorm_mode_16_64 3
		.amdhsa_dx10_clamp 1
		.amdhsa_ieee_mode 1
		.amdhsa_fp16_overflow 0
		.amdhsa_tg_split 0
		.amdhsa_exception_fp_ieee_invalid_op 0
		.amdhsa_exception_fp_denorm_src 0
		.amdhsa_exception_fp_ieee_div_zero 0
		.amdhsa_exception_fp_ieee_overflow 0
		.amdhsa_exception_fp_ieee_underflow 0
		.amdhsa_exception_fp_ieee_inexact 0
		.amdhsa_exception_int_div_zero 0
	.end_amdhsa_kernel
	.section	.text._ZN7rocprim17ROCPRIM_400000_NS6detail17trampoline_kernelINS0_14default_configENS1_35radix_sort_onesweep_config_selectorIffEEZZNS1_29radix_sort_onesweep_iterationIS3_Lb0EN6thrust23THRUST_200600_302600_NS6detail15normal_iteratorINS8_10device_ptrIfEEEESD_SD_SD_jNS0_19identity_decomposerENS1_16block_id_wrapperIjLb0EEEEE10hipError_tT1_PNSt15iterator_traitsISI_E10value_typeET2_T3_PNSJ_ISO_E10value_typeET4_T5_PST_SU_PNS1_23onesweep_lookback_stateEbbT6_jjT7_P12ihipStream_tbENKUlT_T0_SI_SN_E_clISD_SD_SD_SD_EEDaS11_S12_SI_SN_EUlS11_E_NS1_11comp_targetILNS1_3genE0ELNS1_11target_archE4294967295ELNS1_3gpuE0ELNS1_3repE0EEENS1_47radix_sort_onesweep_sort_config_static_selectorELNS0_4arch9wavefront6targetE1EEEvSI_,"axG",@progbits,_ZN7rocprim17ROCPRIM_400000_NS6detail17trampoline_kernelINS0_14default_configENS1_35radix_sort_onesweep_config_selectorIffEEZZNS1_29radix_sort_onesweep_iterationIS3_Lb0EN6thrust23THRUST_200600_302600_NS6detail15normal_iteratorINS8_10device_ptrIfEEEESD_SD_SD_jNS0_19identity_decomposerENS1_16block_id_wrapperIjLb0EEEEE10hipError_tT1_PNSt15iterator_traitsISI_E10value_typeET2_T3_PNSJ_ISO_E10value_typeET4_T5_PST_SU_PNS1_23onesweep_lookback_stateEbbT6_jjT7_P12ihipStream_tbENKUlT_T0_SI_SN_E_clISD_SD_SD_SD_EEDaS11_S12_SI_SN_EUlS11_E_NS1_11comp_targetILNS1_3genE0ELNS1_11target_archE4294967295ELNS1_3gpuE0ELNS1_3repE0EEENS1_47radix_sort_onesweep_sort_config_static_selectorELNS0_4arch9wavefront6targetE1EEEvSI_,comdat
.Lfunc_end332:
	.size	_ZN7rocprim17ROCPRIM_400000_NS6detail17trampoline_kernelINS0_14default_configENS1_35radix_sort_onesweep_config_selectorIffEEZZNS1_29radix_sort_onesweep_iterationIS3_Lb0EN6thrust23THRUST_200600_302600_NS6detail15normal_iteratorINS8_10device_ptrIfEEEESD_SD_SD_jNS0_19identity_decomposerENS1_16block_id_wrapperIjLb0EEEEE10hipError_tT1_PNSt15iterator_traitsISI_E10value_typeET2_T3_PNSJ_ISO_E10value_typeET4_T5_PST_SU_PNS1_23onesweep_lookback_stateEbbT6_jjT7_P12ihipStream_tbENKUlT_T0_SI_SN_E_clISD_SD_SD_SD_EEDaS11_S12_SI_SN_EUlS11_E_NS1_11comp_targetILNS1_3genE0ELNS1_11target_archE4294967295ELNS1_3gpuE0ELNS1_3repE0EEENS1_47radix_sort_onesweep_sort_config_static_selectorELNS0_4arch9wavefront6targetE1EEEvSI_, .Lfunc_end332-_ZN7rocprim17ROCPRIM_400000_NS6detail17trampoline_kernelINS0_14default_configENS1_35radix_sort_onesweep_config_selectorIffEEZZNS1_29radix_sort_onesweep_iterationIS3_Lb0EN6thrust23THRUST_200600_302600_NS6detail15normal_iteratorINS8_10device_ptrIfEEEESD_SD_SD_jNS0_19identity_decomposerENS1_16block_id_wrapperIjLb0EEEEE10hipError_tT1_PNSt15iterator_traitsISI_E10value_typeET2_T3_PNSJ_ISO_E10value_typeET4_T5_PST_SU_PNS1_23onesweep_lookback_stateEbbT6_jjT7_P12ihipStream_tbENKUlT_T0_SI_SN_E_clISD_SD_SD_SD_EEDaS11_S12_SI_SN_EUlS11_E_NS1_11comp_targetILNS1_3genE0ELNS1_11target_archE4294967295ELNS1_3gpuE0ELNS1_3repE0EEENS1_47radix_sort_onesweep_sort_config_static_selectorELNS0_4arch9wavefront6targetE1EEEvSI_
                                        ; -- End function
	.set _ZN7rocprim17ROCPRIM_400000_NS6detail17trampoline_kernelINS0_14default_configENS1_35radix_sort_onesweep_config_selectorIffEEZZNS1_29radix_sort_onesweep_iterationIS3_Lb0EN6thrust23THRUST_200600_302600_NS6detail15normal_iteratorINS8_10device_ptrIfEEEESD_SD_SD_jNS0_19identity_decomposerENS1_16block_id_wrapperIjLb0EEEEE10hipError_tT1_PNSt15iterator_traitsISI_E10value_typeET2_T3_PNSJ_ISO_E10value_typeET4_T5_PST_SU_PNS1_23onesweep_lookback_stateEbbT6_jjT7_P12ihipStream_tbENKUlT_T0_SI_SN_E_clISD_SD_SD_SD_EEDaS11_S12_SI_SN_EUlS11_E_NS1_11comp_targetILNS1_3genE0ELNS1_11target_archE4294967295ELNS1_3gpuE0ELNS1_3repE0EEENS1_47radix_sort_onesweep_sort_config_static_selectorELNS0_4arch9wavefront6targetE1EEEvSI_.num_vgpr, 0
	.set _ZN7rocprim17ROCPRIM_400000_NS6detail17trampoline_kernelINS0_14default_configENS1_35radix_sort_onesweep_config_selectorIffEEZZNS1_29radix_sort_onesweep_iterationIS3_Lb0EN6thrust23THRUST_200600_302600_NS6detail15normal_iteratorINS8_10device_ptrIfEEEESD_SD_SD_jNS0_19identity_decomposerENS1_16block_id_wrapperIjLb0EEEEE10hipError_tT1_PNSt15iterator_traitsISI_E10value_typeET2_T3_PNSJ_ISO_E10value_typeET4_T5_PST_SU_PNS1_23onesweep_lookback_stateEbbT6_jjT7_P12ihipStream_tbENKUlT_T0_SI_SN_E_clISD_SD_SD_SD_EEDaS11_S12_SI_SN_EUlS11_E_NS1_11comp_targetILNS1_3genE0ELNS1_11target_archE4294967295ELNS1_3gpuE0ELNS1_3repE0EEENS1_47radix_sort_onesweep_sort_config_static_selectorELNS0_4arch9wavefront6targetE1EEEvSI_.num_agpr, 0
	.set _ZN7rocprim17ROCPRIM_400000_NS6detail17trampoline_kernelINS0_14default_configENS1_35radix_sort_onesweep_config_selectorIffEEZZNS1_29radix_sort_onesweep_iterationIS3_Lb0EN6thrust23THRUST_200600_302600_NS6detail15normal_iteratorINS8_10device_ptrIfEEEESD_SD_SD_jNS0_19identity_decomposerENS1_16block_id_wrapperIjLb0EEEEE10hipError_tT1_PNSt15iterator_traitsISI_E10value_typeET2_T3_PNSJ_ISO_E10value_typeET4_T5_PST_SU_PNS1_23onesweep_lookback_stateEbbT6_jjT7_P12ihipStream_tbENKUlT_T0_SI_SN_E_clISD_SD_SD_SD_EEDaS11_S12_SI_SN_EUlS11_E_NS1_11comp_targetILNS1_3genE0ELNS1_11target_archE4294967295ELNS1_3gpuE0ELNS1_3repE0EEENS1_47radix_sort_onesweep_sort_config_static_selectorELNS0_4arch9wavefront6targetE1EEEvSI_.numbered_sgpr, 0
	.set _ZN7rocprim17ROCPRIM_400000_NS6detail17trampoline_kernelINS0_14default_configENS1_35radix_sort_onesweep_config_selectorIffEEZZNS1_29radix_sort_onesweep_iterationIS3_Lb0EN6thrust23THRUST_200600_302600_NS6detail15normal_iteratorINS8_10device_ptrIfEEEESD_SD_SD_jNS0_19identity_decomposerENS1_16block_id_wrapperIjLb0EEEEE10hipError_tT1_PNSt15iterator_traitsISI_E10value_typeET2_T3_PNSJ_ISO_E10value_typeET4_T5_PST_SU_PNS1_23onesweep_lookback_stateEbbT6_jjT7_P12ihipStream_tbENKUlT_T0_SI_SN_E_clISD_SD_SD_SD_EEDaS11_S12_SI_SN_EUlS11_E_NS1_11comp_targetILNS1_3genE0ELNS1_11target_archE4294967295ELNS1_3gpuE0ELNS1_3repE0EEENS1_47radix_sort_onesweep_sort_config_static_selectorELNS0_4arch9wavefront6targetE1EEEvSI_.num_named_barrier, 0
	.set _ZN7rocprim17ROCPRIM_400000_NS6detail17trampoline_kernelINS0_14default_configENS1_35radix_sort_onesweep_config_selectorIffEEZZNS1_29radix_sort_onesweep_iterationIS3_Lb0EN6thrust23THRUST_200600_302600_NS6detail15normal_iteratorINS8_10device_ptrIfEEEESD_SD_SD_jNS0_19identity_decomposerENS1_16block_id_wrapperIjLb0EEEEE10hipError_tT1_PNSt15iterator_traitsISI_E10value_typeET2_T3_PNSJ_ISO_E10value_typeET4_T5_PST_SU_PNS1_23onesweep_lookback_stateEbbT6_jjT7_P12ihipStream_tbENKUlT_T0_SI_SN_E_clISD_SD_SD_SD_EEDaS11_S12_SI_SN_EUlS11_E_NS1_11comp_targetILNS1_3genE0ELNS1_11target_archE4294967295ELNS1_3gpuE0ELNS1_3repE0EEENS1_47radix_sort_onesweep_sort_config_static_selectorELNS0_4arch9wavefront6targetE1EEEvSI_.private_seg_size, 0
	.set _ZN7rocprim17ROCPRIM_400000_NS6detail17trampoline_kernelINS0_14default_configENS1_35radix_sort_onesweep_config_selectorIffEEZZNS1_29radix_sort_onesweep_iterationIS3_Lb0EN6thrust23THRUST_200600_302600_NS6detail15normal_iteratorINS8_10device_ptrIfEEEESD_SD_SD_jNS0_19identity_decomposerENS1_16block_id_wrapperIjLb0EEEEE10hipError_tT1_PNSt15iterator_traitsISI_E10value_typeET2_T3_PNSJ_ISO_E10value_typeET4_T5_PST_SU_PNS1_23onesweep_lookback_stateEbbT6_jjT7_P12ihipStream_tbENKUlT_T0_SI_SN_E_clISD_SD_SD_SD_EEDaS11_S12_SI_SN_EUlS11_E_NS1_11comp_targetILNS1_3genE0ELNS1_11target_archE4294967295ELNS1_3gpuE0ELNS1_3repE0EEENS1_47radix_sort_onesweep_sort_config_static_selectorELNS0_4arch9wavefront6targetE1EEEvSI_.uses_vcc, 0
	.set _ZN7rocprim17ROCPRIM_400000_NS6detail17trampoline_kernelINS0_14default_configENS1_35radix_sort_onesweep_config_selectorIffEEZZNS1_29radix_sort_onesweep_iterationIS3_Lb0EN6thrust23THRUST_200600_302600_NS6detail15normal_iteratorINS8_10device_ptrIfEEEESD_SD_SD_jNS0_19identity_decomposerENS1_16block_id_wrapperIjLb0EEEEE10hipError_tT1_PNSt15iterator_traitsISI_E10value_typeET2_T3_PNSJ_ISO_E10value_typeET4_T5_PST_SU_PNS1_23onesweep_lookback_stateEbbT6_jjT7_P12ihipStream_tbENKUlT_T0_SI_SN_E_clISD_SD_SD_SD_EEDaS11_S12_SI_SN_EUlS11_E_NS1_11comp_targetILNS1_3genE0ELNS1_11target_archE4294967295ELNS1_3gpuE0ELNS1_3repE0EEENS1_47radix_sort_onesweep_sort_config_static_selectorELNS0_4arch9wavefront6targetE1EEEvSI_.uses_flat_scratch, 0
	.set _ZN7rocprim17ROCPRIM_400000_NS6detail17trampoline_kernelINS0_14default_configENS1_35radix_sort_onesweep_config_selectorIffEEZZNS1_29radix_sort_onesweep_iterationIS3_Lb0EN6thrust23THRUST_200600_302600_NS6detail15normal_iteratorINS8_10device_ptrIfEEEESD_SD_SD_jNS0_19identity_decomposerENS1_16block_id_wrapperIjLb0EEEEE10hipError_tT1_PNSt15iterator_traitsISI_E10value_typeET2_T3_PNSJ_ISO_E10value_typeET4_T5_PST_SU_PNS1_23onesweep_lookback_stateEbbT6_jjT7_P12ihipStream_tbENKUlT_T0_SI_SN_E_clISD_SD_SD_SD_EEDaS11_S12_SI_SN_EUlS11_E_NS1_11comp_targetILNS1_3genE0ELNS1_11target_archE4294967295ELNS1_3gpuE0ELNS1_3repE0EEENS1_47radix_sort_onesweep_sort_config_static_selectorELNS0_4arch9wavefront6targetE1EEEvSI_.has_dyn_sized_stack, 0
	.set _ZN7rocprim17ROCPRIM_400000_NS6detail17trampoline_kernelINS0_14default_configENS1_35radix_sort_onesweep_config_selectorIffEEZZNS1_29radix_sort_onesweep_iterationIS3_Lb0EN6thrust23THRUST_200600_302600_NS6detail15normal_iteratorINS8_10device_ptrIfEEEESD_SD_SD_jNS0_19identity_decomposerENS1_16block_id_wrapperIjLb0EEEEE10hipError_tT1_PNSt15iterator_traitsISI_E10value_typeET2_T3_PNSJ_ISO_E10value_typeET4_T5_PST_SU_PNS1_23onesweep_lookback_stateEbbT6_jjT7_P12ihipStream_tbENKUlT_T0_SI_SN_E_clISD_SD_SD_SD_EEDaS11_S12_SI_SN_EUlS11_E_NS1_11comp_targetILNS1_3genE0ELNS1_11target_archE4294967295ELNS1_3gpuE0ELNS1_3repE0EEENS1_47radix_sort_onesweep_sort_config_static_selectorELNS0_4arch9wavefront6targetE1EEEvSI_.has_recursion, 0
	.set _ZN7rocprim17ROCPRIM_400000_NS6detail17trampoline_kernelINS0_14default_configENS1_35radix_sort_onesweep_config_selectorIffEEZZNS1_29radix_sort_onesweep_iterationIS3_Lb0EN6thrust23THRUST_200600_302600_NS6detail15normal_iteratorINS8_10device_ptrIfEEEESD_SD_SD_jNS0_19identity_decomposerENS1_16block_id_wrapperIjLb0EEEEE10hipError_tT1_PNSt15iterator_traitsISI_E10value_typeET2_T3_PNSJ_ISO_E10value_typeET4_T5_PST_SU_PNS1_23onesweep_lookback_stateEbbT6_jjT7_P12ihipStream_tbENKUlT_T0_SI_SN_E_clISD_SD_SD_SD_EEDaS11_S12_SI_SN_EUlS11_E_NS1_11comp_targetILNS1_3genE0ELNS1_11target_archE4294967295ELNS1_3gpuE0ELNS1_3repE0EEENS1_47radix_sort_onesweep_sort_config_static_selectorELNS0_4arch9wavefront6targetE1EEEvSI_.has_indirect_call, 0
	.section	.AMDGPU.csdata,"",@progbits
; Kernel info:
; codeLenInByte = 0
; TotalNumSgprs: 6
; NumVgprs: 0
; NumAgprs: 0
; TotalNumVgprs: 0
; ScratchSize: 0
; MemoryBound: 0
; FloatMode: 240
; IeeeMode: 1
; LDSByteSize: 0 bytes/workgroup (compile time only)
; SGPRBlocks: 0
; VGPRBlocks: 0
; NumSGPRsForWavesPerEU: 6
; NumVGPRsForWavesPerEU: 1
; AccumOffset: 4
; Occupancy: 8
; WaveLimiterHint : 0
; COMPUTE_PGM_RSRC2:SCRATCH_EN: 0
; COMPUTE_PGM_RSRC2:USER_SGPR: 2
; COMPUTE_PGM_RSRC2:TRAP_HANDLER: 0
; COMPUTE_PGM_RSRC2:TGID_X_EN: 1
; COMPUTE_PGM_RSRC2:TGID_Y_EN: 0
; COMPUTE_PGM_RSRC2:TGID_Z_EN: 0
; COMPUTE_PGM_RSRC2:TIDIG_COMP_CNT: 0
; COMPUTE_PGM_RSRC3_GFX90A:ACCUM_OFFSET: 0
; COMPUTE_PGM_RSRC3_GFX90A:TG_SPLIT: 0
	.section	.text._ZN7rocprim17ROCPRIM_400000_NS6detail17trampoline_kernelINS0_14default_configENS1_35radix_sort_onesweep_config_selectorIffEEZZNS1_29radix_sort_onesweep_iterationIS3_Lb0EN6thrust23THRUST_200600_302600_NS6detail15normal_iteratorINS8_10device_ptrIfEEEESD_SD_SD_jNS0_19identity_decomposerENS1_16block_id_wrapperIjLb0EEEEE10hipError_tT1_PNSt15iterator_traitsISI_E10value_typeET2_T3_PNSJ_ISO_E10value_typeET4_T5_PST_SU_PNS1_23onesweep_lookback_stateEbbT6_jjT7_P12ihipStream_tbENKUlT_T0_SI_SN_E_clISD_SD_SD_SD_EEDaS11_S12_SI_SN_EUlS11_E_NS1_11comp_targetILNS1_3genE6ELNS1_11target_archE950ELNS1_3gpuE13ELNS1_3repE0EEENS1_47radix_sort_onesweep_sort_config_static_selectorELNS0_4arch9wavefront6targetE1EEEvSI_,"axG",@progbits,_ZN7rocprim17ROCPRIM_400000_NS6detail17trampoline_kernelINS0_14default_configENS1_35radix_sort_onesweep_config_selectorIffEEZZNS1_29radix_sort_onesweep_iterationIS3_Lb0EN6thrust23THRUST_200600_302600_NS6detail15normal_iteratorINS8_10device_ptrIfEEEESD_SD_SD_jNS0_19identity_decomposerENS1_16block_id_wrapperIjLb0EEEEE10hipError_tT1_PNSt15iterator_traitsISI_E10value_typeET2_T3_PNSJ_ISO_E10value_typeET4_T5_PST_SU_PNS1_23onesweep_lookback_stateEbbT6_jjT7_P12ihipStream_tbENKUlT_T0_SI_SN_E_clISD_SD_SD_SD_EEDaS11_S12_SI_SN_EUlS11_E_NS1_11comp_targetILNS1_3genE6ELNS1_11target_archE950ELNS1_3gpuE13ELNS1_3repE0EEENS1_47radix_sort_onesweep_sort_config_static_selectorELNS0_4arch9wavefront6targetE1EEEvSI_,comdat
	.protected	_ZN7rocprim17ROCPRIM_400000_NS6detail17trampoline_kernelINS0_14default_configENS1_35radix_sort_onesweep_config_selectorIffEEZZNS1_29radix_sort_onesweep_iterationIS3_Lb0EN6thrust23THRUST_200600_302600_NS6detail15normal_iteratorINS8_10device_ptrIfEEEESD_SD_SD_jNS0_19identity_decomposerENS1_16block_id_wrapperIjLb0EEEEE10hipError_tT1_PNSt15iterator_traitsISI_E10value_typeET2_T3_PNSJ_ISO_E10value_typeET4_T5_PST_SU_PNS1_23onesweep_lookback_stateEbbT6_jjT7_P12ihipStream_tbENKUlT_T0_SI_SN_E_clISD_SD_SD_SD_EEDaS11_S12_SI_SN_EUlS11_E_NS1_11comp_targetILNS1_3genE6ELNS1_11target_archE950ELNS1_3gpuE13ELNS1_3repE0EEENS1_47radix_sort_onesweep_sort_config_static_selectorELNS0_4arch9wavefront6targetE1EEEvSI_ ; -- Begin function _ZN7rocprim17ROCPRIM_400000_NS6detail17trampoline_kernelINS0_14default_configENS1_35radix_sort_onesweep_config_selectorIffEEZZNS1_29radix_sort_onesweep_iterationIS3_Lb0EN6thrust23THRUST_200600_302600_NS6detail15normal_iteratorINS8_10device_ptrIfEEEESD_SD_SD_jNS0_19identity_decomposerENS1_16block_id_wrapperIjLb0EEEEE10hipError_tT1_PNSt15iterator_traitsISI_E10value_typeET2_T3_PNSJ_ISO_E10value_typeET4_T5_PST_SU_PNS1_23onesweep_lookback_stateEbbT6_jjT7_P12ihipStream_tbENKUlT_T0_SI_SN_E_clISD_SD_SD_SD_EEDaS11_S12_SI_SN_EUlS11_E_NS1_11comp_targetILNS1_3genE6ELNS1_11target_archE950ELNS1_3gpuE13ELNS1_3repE0EEENS1_47radix_sort_onesweep_sort_config_static_selectorELNS0_4arch9wavefront6targetE1EEEvSI_
	.globl	_ZN7rocprim17ROCPRIM_400000_NS6detail17trampoline_kernelINS0_14default_configENS1_35radix_sort_onesweep_config_selectorIffEEZZNS1_29radix_sort_onesweep_iterationIS3_Lb0EN6thrust23THRUST_200600_302600_NS6detail15normal_iteratorINS8_10device_ptrIfEEEESD_SD_SD_jNS0_19identity_decomposerENS1_16block_id_wrapperIjLb0EEEEE10hipError_tT1_PNSt15iterator_traitsISI_E10value_typeET2_T3_PNSJ_ISO_E10value_typeET4_T5_PST_SU_PNS1_23onesweep_lookback_stateEbbT6_jjT7_P12ihipStream_tbENKUlT_T0_SI_SN_E_clISD_SD_SD_SD_EEDaS11_S12_SI_SN_EUlS11_E_NS1_11comp_targetILNS1_3genE6ELNS1_11target_archE950ELNS1_3gpuE13ELNS1_3repE0EEENS1_47radix_sort_onesweep_sort_config_static_selectorELNS0_4arch9wavefront6targetE1EEEvSI_
	.p2align	8
	.type	_ZN7rocprim17ROCPRIM_400000_NS6detail17trampoline_kernelINS0_14default_configENS1_35radix_sort_onesweep_config_selectorIffEEZZNS1_29radix_sort_onesweep_iterationIS3_Lb0EN6thrust23THRUST_200600_302600_NS6detail15normal_iteratorINS8_10device_ptrIfEEEESD_SD_SD_jNS0_19identity_decomposerENS1_16block_id_wrapperIjLb0EEEEE10hipError_tT1_PNSt15iterator_traitsISI_E10value_typeET2_T3_PNSJ_ISO_E10value_typeET4_T5_PST_SU_PNS1_23onesweep_lookback_stateEbbT6_jjT7_P12ihipStream_tbENKUlT_T0_SI_SN_E_clISD_SD_SD_SD_EEDaS11_S12_SI_SN_EUlS11_E_NS1_11comp_targetILNS1_3genE6ELNS1_11target_archE950ELNS1_3gpuE13ELNS1_3repE0EEENS1_47radix_sort_onesweep_sort_config_static_selectorELNS0_4arch9wavefront6targetE1EEEvSI_,@function
_ZN7rocprim17ROCPRIM_400000_NS6detail17trampoline_kernelINS0_14default_configENS1_35radix_sort_onesweep_config_selectorIffEEZZNS1_29radix_sort_onesweep_iterationIS3_Lb0EN6thrust23THRUST_200600_302600_NS6detail15normal_iteratorINS8_10device_ptrIfEEEESD_SD_SD_jNS0_19identity_decomposerENS1_16block_id_wrapperIjLb0EEEEE10hipError_tT1_PNSt15iterator_traitsISI_E10value_typeET2_T3_PNSJ_ISO_E10value_typeET4_T5_PST_SU_PNS1_23onesweep_lookback_stateEbbT6_jjT7_P12ihipStream_tbENKUlT_T0_SI_SN_E_clISD_SD_SD_SD_EEDaS11_S12_SI_SN_EUlS11_E_NS1_11comp_targetILNS1_3genE6ELNS1_11target_archE950ELNS1_3gpuE13ELNS1_3repE0EEENS1_47radix_sort_onesweep_sort_config_static_selectorELNS0_4arch9wavefront6targetE1EEEvSI_: ; @_ZN7rocprim17ROCPRIM_400000_NS6detail17trampoline_kernelINS0_14default_configENS1_35radix_sort_onesweep_config_selectorIffEEZZNS1_29radix_sort_onesweep_iterationIS3_Lb0EN6thrust23THRUST_200600_302600_NS6detail15normal_iteratorINS8_10device_ptrIfEEEESD_SD_SD_jNS0_19identity_decomposerENS1_16block_id_wrapperIjLb0EEEEE10hipError_tT1_PNSt15iterator_traitsISI_E10value_typeET2_T3_PNSJ_ISO_E10value_typeET4_T5_PST_SU_PNS1_23onesweep_lookback_stateEbbT6_jjT7_P12ihipStream_tbENKUlT_T0_SI_SN_E_clISD_SD_SD_SD_EEDaS11_S12_SI_SN_EUlS11_E_NS1_11comp_targetILNS1_3genE6ELNS1_11target_archE950ELNS1_3gpuE13ELNS1_3repE0EEENS1_47radix_sort_onesweep_sort_config_static_selectorELNS0_4arch9wavefront6targetE1EEEvSI_
; %bb.0:
	s_load_dwordx4 s[48:51], s[2:3], 0x44
	s_load_dwordx8 s[36:43], s[2:3], 0x0
	s_load_dwordx4 s[44:47], s[2:3], 0x28
	s_load_dwordx2 s[52:53], s[2:3], 0x38
	v_and_b32_e32 v8, 0x3ff, v0
	v_bfe_u32 v9, v0, 10, 10
	v_bfe_u32 v18, v0, 20, 10
	s_mov_b64 s[6:7], -1
	s_waitcnt lgkmcnt(0)
	s_cmp_ge_u32 s4, s50
	v_mbcnt_lo_u32_b32 v20, -1, 0
	v_lshlrev_b32_e32 v19, 3, v8
	s_cbranch_scc0 .LBB333_124
; %bb.1:
	s_load_dword s5, s[2:3], 0x20
	s_lshl_b32 s8, s50, 13
	s_lshl_b32 s6, s4, 13
	s_mov_b32 s7, 0
	s_lshl_b64 s[50:51], s[6:7], 2
	s_waitcnt lgkmcnt(0)
	s_sub_i32 s5, s5, s8
	v_mbcnt_hi_u32_b32 v21, -1, v20
	s_add_u32 s6, s36, s50
	v_and_b32_e32 v2, 63, v21
	s_addc_u32 s7, s37, s51
	v_and_b32_e32 v3, 0x1e00, v19
	v_mov_b32_e32 v11, 0
	v_lshlrev_b32_e32 v10, 2, v2
	v_lshl_add_u64 v[0:1], s[6:7], 0, v[10:11]
	v_lshlrev_b32_e32 v12, 2, v3
	v_mov_b32_e32 v13, v11
	v_lshl_add_u64 v[14:15], v[0:1], 0, v[12:13]
	v_or_b32_e32 v11, v2, v3
	v_bfrev_b32_e32 v0, -2
	v_cmp_gt_u32_e64 s[18:19], s5, v11
	v_mov_b32_e32 v1, v0
	v_mov_b32_e32 v2, v0
	;; [unrolled: 1-line block ×7, first 2 shown]
	s_and_saveexec_b64 s[6:7], s[18:19]
	s_cbranch_execz .LBB333_3
; %bb.2:
	global_load_dword v22, v[14:15], off
	v_mov_b32_e32 v23, v0
	v_mov_b32_e32 v24, v0
	;; [unrolled: 1-line block ×7, first 2 shown]
	s_waitcnt vmcnt(0)
	v_mov_b64_e32 v[0:1], v[22:23]
	v_mov_b64_e32 v[2:3], v[24:25]
	;; [unrolled: 1-line block ×4, first 2 shown]
.LBB333_3:
	s_or_b64 exec, exec, s[6:7]
	v_or_b32_e32 v13, 64, v11
	v_cmp_gt_u32_e64 s[26:27], s5, v13
	s_and_saveexec_b64 s[6:7], s[26:27]
	s_cbranch_execz .LBB333_5
; %bb.4:
	global_load_dword v1, v[14:15], off offset:256
.LBB333_5:
	s_or_b64 exec, exec, s[6:7]
	v_or_b32_e32 v13, 0x80, v11
	v_cmp_gt_u32_e64 s[6:7], s5, v13
	s_and_saveexec_b64 s[8:9], s[6:7]
	s_cbranch_execz .LBB333_7
; %bb.6:
	global_load_dword v2, v[14:15], off offset:512
.LBB333_7:
	;; [unrolled: 8-line block ×7, first 2 shown]
	s_or_b64 exec, exec, s[20:21]
	s_load_dword s20, s[2:3], 0x64
	s_load_dword s33, s[2:3], 0x58
	s_add_u32 s21, s2, 0x58
	s_addc_u32 s22, s3, 0
	v_mov_b32_e32 v15, 0
	s_waitcnt lgkmcnt(0)
	s_lshr_b32 s23, s20, 16
	s_cmp_lt_u32 s4, s33
	s_cselect_b32 s20, 12, 18
	s_add_u32 s20, s21, s20
	s_addc_u32 s21, s22, 0
	global_load_ushort v13, v15, s[20:21]
	v_bfrev_b32_e32 v24, 1
	v_cmp_lt_i32_e32 vcc, -1, v0
	s_brev_b32 s55, -2
	s_lshl_b32 s20, -1, s49
	v_cndmask_b32_e32 v11, -1, v24, vcc
	v_xor_b32_e32 v11, v11, v0
	v_cmp_ne_u32_e32 vcc, s55, v11
	v_mov_b32_e32 v16, v15
	v_mov_b32_e32 v28, v15
	v_cndmask_b32_e32 v0, v24, v11, vcc
	v_lshrrev_b32_e32 v0, s48, v0
	v_bitop3_b32 v0, v0, s20, v0 bitop3:0x30
	v_and_b32_e32 v14, 1, v0
	v_lshlrev_b32_e32 v17, 30, v0
	v_lshlrev_b32_e32 v27, 29, v0
	;; [unrolled: 1-line block ×3, first 2 shown]
	v_lshl_add_u64 v[36:37], v[14:15], 0, -1
	v_cmp_ne_u32_e32 vcc, 0, v14
	v_not_b32_e32 v14, v17
	v_mov_b32_e32 v26, v15
	v_mov_b32_e32 v30, v15
	s_not_b32 s54, s20
	v_lshlrev_b32_e32 v31, 27, v0
	v_cmp_gt_i64_e64 s[20:21], 0, v[16:17]
	v_not_b32_e32 v16, v27
	v_cmp_gt_i64_e64 s[24:25], 0, v[28:29]
	v_not_b32_e32 v17, v29
	v_xor_b32_e32 v29, vcc_hi, v37
	v_ashrrev_i32_e32 v14, 31, v14
	v_mov_b32_e32 v32, v15
	v_mad_u32_u24 v23, v18, s23, v9
	v_lshlrev_b32_e32 v33, 26, v0
	v_cmp_gt_i64_e64 s[22:23], 0, v[26:27]
	v_cmp_gt_i64_e64 s[28:29], 0, v[30:31]
	v_not_b32_e32 v26, v31
	v_xor_b32_e32 v30, vcc_lo, v36
	v_ashrrev_i32_e32 v16, 31, v16
	v_and_b32_e32 v29, exec_hi, v29
	v_xor_b32_e32 v31, s21, v14
	v_cmp_gt_i64_e64 s[30:31], 0, v[32:33]
	v_ashrrev_i32_e32 v17, 31, v17
	v_and_b32_e32 v30, exec_lo, v30
	v_xor_b32_e32 v14, s20, v14
	v_xor_b32_e32 v32, s23, v16
	v_and_b32_e32 v29, v29, v31
	v_mov_b32_e32 v34, v15
	v_lshlrev_b32_e32 v35, 25, v0
	v_not_b32_e32 v27, v33
	v_ashrrev_i32_e32 v26, 31, v26
	v_xor_b32_e32 v16, s22, v16
	v_xor_b32_e32 v33, s25, v17
	v_and_b32_e32 v14, v30, v14
	v_and_b32_e32 v29, v29, v32
	v_cmp_gt_i64_e64 s[34:35], 0, v[34:35]
	v_ashrrev_i32_e32 v27, 31, v27
	v_xor_b32_e32 v17, s24, v17
	v_xor_b32_e32 v34, s29, v26
	v_and_b32_e32 v14, v14, v16
	v_and_b32_e32 v16, v29, v33
	v_not_b32_e32 v28, v35
	v_xor_b32_e32 v26, s28, v26
	v_xor_b32_e32 v35, s31, v27
	v_and_b32_e32 v14, v14, v17
	v_and_b32_e32 v16, v16, v34
	v_ashrrev_i32_e32 v28, 31, v28
	v_xor_b32_e32 v27, s30, v27
	v_and_b32_e32 v14, v14, v26
	v_and_b32_e32 v26, v16, v35
	s_movk_i32 s56, 0x44
	v_and_b32_e32 v14, v14, v27
	v_mul_lo_u32 v25, v0, s56
	v_mul_u32_u24_e32 v22, 20, v8
	ds_write2_b32 v22, v15, v15 offset0:16 offset1:17
	ds_write2_b32 v22, v15, v15 offset0:18 offset1:19
	ds_write_b32 v22, v15 offset:80
	s_waitcnt lgkmcnt(0)
	s_barrier
	s_waitcnt vmcnt(0)
	; wave barrier
	v_mad_u64_u32 v[16:17], s[20:21], v23, v13, v[8:9]
	v_lshrrev_b32_e32 v13, 4, v16
	v_xor_b32_e32 v16, s34, v28
	v_lshlrev_b32_e32 v17, 24, v0
	v_and_b32_e32 v14, v14, v16
	v_mov_b32_e32 v16, v15
	v_not_b32_e32 v0, v17
	v_and_b32_e32 v34, 0xffffffc, v13
	v_xor_b32_e32 v13, s35, v28
	v_cmp_gt_i64_e32 vcc, 0, v[16:17]
	v_ashrrev_i32_e32 v0, 31, v0
	v_and_b32_e32 v13, v26, v13
	v_xor_b32_e32 v16, vcc_hi, v0
	v_xor_b32_e32 v0, vcc_lo, v0
	v_and_b32_e32 v17, v13, v16
	v_and_b32_e32 v16, v14, v0
	v_mbcnt_lo_u32_b32 v0, v16, 0
	v_mbcnt_hi_u32_b32 v23, v17, v0
	v_cmp_eq_u32_e32 vcc, 0, v23
	v_cmp_ne_u64_e64 s[20:21], 0, v[16:17]
	s_and_b64 s[22:23], s[20:21], vcc
	v_add_u32_e32 v26, v34, v25
	s_and_saveexec_b64 s[20:21], s[22:23]
; %bb.18:
	v_bcnt_u32_b32 v0, v16, 0
	v_bcnt_u32_b32 v0, v17, v0
	ds_write_b32 v26, v0 offset:64
; %bb.19:
	s_or_b64 exec, exec, s[20:21]
	v_cmp_lt_i32_e32 vcc, -1, v1
	; wave barrier
	s_nop 1
	v_cndmask_b32_e32 v0, -1, v24, vcc
	v_xor_b32_e32 v13, v0, v1
	v_cmp_ne_u32_e32 vcc, s55, v13
	s_nop 1
	v_cndmask_b32_e32 v0, v24, v13, vcc
	v_lshrrev_b32_e32 v0, s48, v0
	v_and_b32_e32 v16, s54, v0
	v_mul_lo_u32 v0, v16, s56
	v_and_b32_e32 v14, 1, v16
	v_add_u32_e32 v28, v34, v0
	v_lshl_add_u64 v[0:1], v[14:15], 0, -1
	v_cmp_ne_u32_e32 vcc, 0, v14
	ds_read_b32 v17, v28 offset:64
	s_nop 0
	v_xor_b32_e32 v1, vcc_hi, v1
	v_xor_b32_e32 v0, vcc_lo, v0
	v_and_b32_e32 v14, exec_hi, v1
	v_and_b32_e32 v24, exec_lo, v0
	v_lshlrev_b32_e32 v1, 30, v16
	v_mov_b32_e32 v0, v15
	v_cmp_gt_i64_e32 vcc, 0, v[0:1]
	v_not_b32_e32 v0, v1
	v_ashrrev_i32_e32 v0, 31, v0
	v_xor_b32_e32 v1, vcc_hi, v0
	v_xor_b32_e32 v0, vcc_lo, v0
	v_and_b32_e32 v14, v14, v1
	v_and_b32_e32 v24, v24, v0
	v_lshlrev_b32_e32 v1, 29, v16
	v_mov_b32_e32 v0, v15
	v_cmp_gt_i64_e32 vcc, 0, v[0:1]
	v_not_b32_e32 v0, v1
	v_ashrrev_i32_e32 v0, 31, v0
	v_xor_b32_e32 v1, vcc_hi, v0
	v_xor_b32_e32 v0, vcc_lo, v0
	v_and_b32_e32 v14, v14, v1
	v_and_b32_e32 v24, v24, v0
	;; [unrolled: 9-line block ×7, first 2 shown]
	v_mbcnt_lo_u32_b32 v14, v0, 0
	v_mbcnt_hi_u32_b32 v24, v1, v14
	v_cmp_eq_u32_e32 vcc, 0, v24
	v_cmp_ne_u64_e64 s[20:21], 0, v[0:1]
	s_and_b64 s[22:23], s[20:21], vcc
	; wave barrier
	s_and_saveexec_b64 s[20:21], s[22:23]
	s_cbranch_execz .LBB333_21
; %bb.20:
	v_bcnt_u32_b32 v0, v0, 0
	v_bcnt_u32_b32 v0, v1, v0
	s_waitcnt lgkmcnt(0)
	v_add_u32_e32 v0, v17, v0
	ds_write_b32 v28, v0 offset:64
.LBB333_21:
	s_or_b64 exec, exec, s[20:21]
	v_bfrev_b32_e32 v27, 1
	v_cmp_lt_i32_e32 vcc, -1, v2
	s_brev_b32 s22, -2
	s_movk_i32 s23, 0x44
	v_cndmask_b32_e32 v0, -1, v27, vcc
	v_xor_b32_e32 v16, v0, v2
	v_cmp_ne_u32_e32 vcc, s22, v16
	v_mov_b32_e32 v1, 0
	s_nop 0
	v_cndmask_b32_e32 v0, v27, v16, vcc
	v_lshrrev_b32_e32 v0, s48, v0
	v_and_b32_e32 v2, s54, v0
	v_mul_lo_u32 v0, v2, s23
	v_add_u32_e32 v32, v34, v0
	v_and_b32_e32 v0, 1, v2
	v_lshl_add_u64 v[14:15], v[0:1], 0, -1
	v_cmp_ne_u32_e32 vcc, 0, v0
	; wave barrier
	ds_read_b32 v25, v32 offset:64
	s_nop 0
	v_xor_b32_e32 v14, vcc_lo, v14
	v_xor_b32_e32 v0, vcc_hi, v15
	v_and_b32_e32 v29, exec_lo, v14
	v_lshlrev_b32_e32 v15, 30, v2
	v_mov_b32_e32 v14, v1
	v_cmp_gt_i64_e32 vcc, 0, v[14:15]
	v_not_b32_e32 v14, v15
	v_ashrrev_i32_e32 v14, 31, v14
	v_and_b32_e32 v0, exec_hi, v0
	v_xor_b32_e32 v15, vcc_hi, v14
	v_xor_b32_e32 v14, vcc_lo, v14
	v_and_b32_e32 v0, v0, v15
	v_and_b32_e32 v29, v29, v14
	v_lshlrev_b32_e32 v15, 29, v2
	v_mov_b32_e32 v14, v1
	v_cmp_gt_i64_e32 vcc, 0, v[14:15]
	v_not_b32_e32 v14, v15
	v_ashrrev_i32_e32 v14, 31, v14
	v_xor_b32_e32 v15, vcc_hi, v14
	v_xor_b32_e32 v14, vcc_lo, v14
	v_and_b32_e32 v0, v0, v15
	v_and_b32_e32 v29, v29, v14
	v_lshlrev_b32_e32 v15, 28, v2
	v_mov_b32_e32 v14, v1
	v_cmp_gt_i64_e32 vcc, 0, v[14:15]
	v_not_b32_e32 v14, v15
	v_ashrrev_i32_e32 v14, 31, v14
	v_xor_b32_e32 v15, vcc_hi, v14
	v_xor_b32_e32 v14, vcc_lo, v14
	v_and_b32_e32 v0, v0, v15
	v_and_b32_e32 v29, v29, v14
	v_lshlrev_b32_e32 v15, 27, v2
	v_mov_b32_e32 v14, v1
	v_cmp_gt_i64_e32 vcc, 0, v[14:15]
	v_not_b32_e32 v14, v15
	v_ashrrev_i32_e32 v14, 31, v14
	v_xor_b32_e32 v15, vcc_hi, v14
	v_xor_b32_e32 v14, vcc_lo, v14
	v_and_b32_e32 v0, v0, v15
	v_and_b32_e32 v29, v29, v14
	v_lshlrev_b32_e32 v15, 26, v2
	v_mov_b32_e32 v14, v1
	v_cmp_gt_i64_e32 vcc, 0, v[14:15]
	v_not_b32_e32 v14, v15
	v_ashrrev_i32_e32 v14, 31, v14
	v_xor_b32_e32 v15, vcc_hi, v14
	v_xor_b32_e32 v14, vcc_lo, v14
	v_and_b32_e32 v0, v0, v15
	v_and_b32_e32 v29, v29, v14
	v_lshlrev_b32_e32 v15, 25, v2
	v_mov_b32_e32 v14, v1
	v_cmp_gt_i64_e32 vcc, 0, v[14:15]
	v_not_b32_e32 v14, v15
	v_ashrrev_i32_e32 v14, 31, v14
	v_xor_b32_e32 v15, vcc_hi, v14
	v_xor_b32_e32 v14, vcc_lo, v14
	v_and_b32_e32 v0, v0, v15
	v_lshlrev_b32_e32 v15, 24, v2
	v_and_b32_e32 v29, v29, v14
	v_mov_b32_e32 v14, v1
	v_not_b32_e32 v2, v15
	v_cmp_gt_i64_e32 vcc, 0, v[14:15]
	v_ashrrev_i32_e32 v2, 31, v2
	s_nop 0
	v_xor_b32_e32 v14, vcc_hi, v2
	v_xor_b32_e32 v2, vcc_lo, v2
	v_and_b32_e32 v15, v0, v14
	v_and_b32_e32 v14, v29, v2
	v_mbcnt_lo_u32_b32 v0, v14, 0
	v_mbcnt_hi_u32_b32 v29, v15, v0
	v_cmp_eq_u32_e32 vcc, 0, v29
	v_cmp_ne_u64_e64 s[20:21], 0, v[14:15]
	s_and_b64 s[24:25], s[20:21], vcc
	; wave barrier
	s_and_saveexec_b64 s[20:21], s[24:25]
	s_cbranch_execz .LBB333_23
; %bb.22:
	v_bcnt_u32_b32 v0, v14, 0
	v_bcnt_u32_b32 v0, v15, v0
	s_waitcnt lgkmcnt(0)
	v_add_u32_e32 v0, v25, v0
	ds_write_b32 v32, v0 offset:64
.LBB333_23:
	s_or_b64 exec, exec, s[20:21]
	v_cmp_lt_i32_e32 vcc, -1, v3
	; wave barrier
	s_nop 1
	v_cndmask_b32_e32 v0, -1, v27, vcc
	v_xor_b32_e32 v14, v0, v3
	v_cmp_ne_u32_e32 vcc, s22, v14
	s_nop 1
	v_cndmask_b32_e32 v0, v27, v14, vcc
	v_lshrrev_b32_e32 v0, s48, v0
	v_and_b32_e32 v15, s54, v0
	v_mul_lo_u32 v0, v15, s23
	v_add_u32_e32 v37, v34, v0
	v_and_b32_e32 v0, 1, v15
	v_lshl_add_u64 v[2:3], v[0:1], 0, -1
	v_cmp_ne_u32_e32 vcc, 0, v0
	ds_read_b32 v30, v37 offset:64
	s_nop 0
	v_xor_b32_e32 v2, vcc_lo, v2
	v_xor_b32_e32 v0, vcc_hi, v3
	v_and_b32_e32 v27, exec_lo, v2
	v_lshlrev_b32_e32 v3, 30, v15
	v_mov_b32_e32 v2, v1
	v_cmp_gt_i64_e32 vcc, 0, v[2:3]
	v_not_b32_e32 v2, v3
	v_ashrrev_i32_e32 v2, 31, v2
	v_and_b32_e32 v0, exec_hi, v0
	v_xor_b32_e32 v3, vcc_hi, v2
	v_xor_b32_e32 v2, vcc_lo, v2
	v_and_b32_e32 v0, v0, v3
	v_and_b32_e32 v27, v27, v2
	v_lshlrev_b32_e32 v3, 29, v15
	v_mov_b32_e32 v2, v1
	v_cmp_gt_i64_e32 vcc, 0, v[2:3]
	v_not_b32_e32 v2, v3
	v_ashrrev_i32_e32 v2, 31, v2
	v_xor_b32_e32 v3, vcc_hi, v2
	v_xor_b32_e32 v2, vcc_lo, v2
	v_and_b32_e32 v0, v0, v3
	v_and_b32_e32 v27, v27, v2
	v_lshlrev_b32_e32 v3, 28, v15
	v_mov_b32_e32 v2, v1
	v_cmp_gt_i64_e32 vcc, 0, v[2:3]
	v_not_b32_e32 v2, v3
	v_ashrrev_i32_e32 v2, 31, v2
	;; [unrolled: 9-line block ×5, first 2 shown]
	v_xor_b32_e32 v3, vcc_hi, v2
	v_xor_b32_e32 v2, vcc_lo, v2
	v_and_b32_e32 v0, v0, v3
	v_lshlrev_b32_e32 v3, 24, v15
	v_and_b32_e32 v27, v27, v2
	v_mov_b32_e32 v2, v1
	v_not_b32_e32 v1, v3
	v_cmp_gt_i64_e32 vcc, 0, v[2:3]
	v_ashrrev_i32_e32 v1, 31, v1
	; wave barrier
	s_nop 0
	v_xor_b32_e32 v2, vcc_hi, v1
	v_xor_b32_e32 v3, vcc_lo, v1
	v_and_b32_e32 v1, v0, v2
	v_and_b32_e32 v0, v27, v3
	v_mbcnt_lo_u32_b32 v2, v0, 0
	v_mbcnt_hi_u32_b32 v33, v1, v2
	v_cmp_eq_u32_e32 vcc, 0, v33
	v_cmp_ne_u64_e64 s[20:21], 0, v[0:1]
	s_and_b64 s[22:23], s[20:21], vcc
	s_and_saveexec_b64 s[20:21], s[22:23]
	s_cbranch_execz .LBB333_25
; %bb.24:
	v_bcnt_u32_b32 v0, v0, 0
	v_bcnt_u32_b32 v0, v1, v0
	s_waitcnt lgkmcnt(0)
	v_add_u32_e32 v0, v30, v0
	ds_write_b32 v37, v0 offset:64
.LBB333_25:
	s_or_b64 exec, exec, s[20:21]
	v_bfrev_b32_e32 v31, 1
	v_cmp_lt_i32_e32 vcc, -1, v4
	s_brev_b32 s22, -2
	s_movk_i32 s23, 0x44
	v_cndmask_b32_e32 v0, -1, v31, vcc
	v_xor_b32_e32 v15, v0, v4
	v_cmp_ne_u32_e32 vcc, s22, v15
	v_mov_b32_e32 v1, 0
	s_nop 0
	v_cndmask_b32_e32 v0, v31, v15, vcc
	v_lshrrev_b32_e32 v0, s48, v0
	v_and_b32_e32 v27, s54, v0
	v_mul_lo_u32 v0, v27, s23
	v_add_u32_e32 v4, v34, v0
	v_and_b32_e32 v0, 1, v27
	v_lshl_add_u64 v[2:3], v[0:1], 0, -1
	v_cmp_ne_u32_e32 vcc, 0, v0
	; wave barrier
	ds_read_b32 v35, v4 offset:64
	s_nop 0
	v_xor_b32_e32 v2, vcc_lo, v2
	v_xor_b32_e32 v0, vcc_hi, v3
	v_and_b32_e32 v36, exec_lo, v2
	v_lshlrev_b32_e32 v3, 30, v27
	v_mov_b32_e32 v2, v1
	v_cmp_gt_i64_e32 vcc, 0, v[2:3]
	v_not_b32_e32 v2, v3
	v_ashrrev_i32_e32 v2, 31, v2
	v_and_b32_e32 v0, exec_hi, v0
	v_xor_b32_e32 v3, vcc_hi, v2
	v_xor_b32_e32 v2, vcc_lo, v2
	v_and_b32_e32 v0, v0, v3
	v_and_b32_e32 v36, v36, v2
	v_lshlrev_b32_e32 v3, 29, v27
	v_mov_b32_e32 v2, v1
	v_cmp_gt_i64_e32 vcc, 0, v[2:3]
	v_not_b32_e32 v2, v3
	v_ashrrev_i32_e32 v2, 31, v2
	v_xor_b32_e32 v3, vcc_hi, v2
	v_xor_b32_e32 v2, vcc_lo, v2
	v_and_b32_e32 v0, v0, v3
	v_and_b32_e32 v36, v36, v2
	v_lshlrev_b32_e32 v3, 28, v27
	v_mov_b32_e32 v2, v1
	v_cmp_gt_i64_e32 vcc, 0, v[2:3]
	v_not_b32_e32 v2, v3
	v_ashrrev_i32_e32 v2, 31, v2
	;; [unrolled: 9-line block ×6, first 2 shown]
	v_xor_b32_e32 v3, vcc_hi, v2
	v_xor_b32_e32 v2, vcc_lo, v2
	v_and_b32_e32 v2, v36, v2
	v_and_b32_e32 v3, v0, v3
	v_mbcnt_lo_u32_b32 v0, v2, 0
	v_mbcnt_hi_u32_b32 v38, v3, v0
	v_cmp_eq_u32_e32 vcc, 0, v38
	v_cmp_ne_u64_e64 s[20:21], 0, v[2:3]
	s_and_b64 s[24:25], s[20:21], vcc
	; wave barrier
	s_and_saveexec_b64 s[20:21], s[24:25]
	s_cbranch_execz .LBB333_27
; %bb.26:
	v_bcnt_u32_b32 v0, v2, 0
	v_bcnt_u32_b32 v0, v3, v0
	s_waitcnt lgkmcnt(0)
	v_add_u32_e32 v0, v35, v0
	ds_write_b32 v4, v0 offset:64
.LBB333_27:
	s_or_b64 exec, exec, s[20:21]
	v_cmp_lt_i32_e32 vcc, -1, v5
	; wave barrier
	s_nop 1
	v_cndmask_b32_e32 v0, -1, v31, vcc
	v_xor_b32_e32 v27, v0, v5
	v_cmp_ne_u32_e32 vcc, s22, v27
	s_nop 1
	v_cndmask_b32_e32 v0, v31, v27, vcc
	v_lshrrev_b32_e32 v0, s48, v0
	v_and_b32_e32 v31, s54, v0
	v_mul_lo_u32 v0, v31, s23
	v_add_u32_e32 v5, v34, v0
	v_and_b32_e32 v0, 1, v31
	v_lshl_add_u64 v[2:3], v[0:1], 0, -1
	v_cmp_ne_u32_e32 vcc, 0, v0
	ds_read_b32 v39, v5 offset:64
	s_nop 0
	v_xor_b32_e32 v2, vcc_lo, v2
	v_xor_b32_e32 v0, vcc_hi, v3
	v_and_b32_e32 v36, exec_lo, v2
	v_lshlrev_b32_e32 v3, 30, v31
	v_mov_b32_e32 v2, v1
	v_cmp_gt_i64_e32 vcc, 0, v[2:3]
	v_not_b32_e32 v2, v3
	v_ashrrev_i32_e32 v2, 31, v2
	v_and_b32_e32 v0, exec_hi, v0
	v_xor_b32_e32 v3, vcc_hi, v2
	v_xor_b32_e32 v2, vcc_lo, v2
	v_and_b32_e32 v0, v0, v3
	v_and_b32_e32 v36, v36, v2
	v_lshlrev_b32_e32 v3, 29, v31
	v_mov_b32_e32 v2, v1
	v_cmp_gt_i64_e32 vcc, 0, v[2:3]
	v_not_b32_e32 v2, v3
	v_ashrrev_i32_e32 v2, 31, v2
	v_xor_b32_e32 v3, vcc_hi, v2
	v_xor_b32_e32 v2, vcc_lo, v2
	v_and_b32_e32 v0, v0, v3
	v_and_b32_e32 v36, v36, v2
	v_lshlrev_b32_e32 v3, 28, v31
	v_mov_b32_e32 v2, v1
	v_cmp_gt_i64_e32 vcc, 0, v[2:3]
	v_not_b32_e32 v2, v3
	v_ashrrev_i32_e32 v2, 31, v2
	;; [unrolled: 9-line block ×5, first 2 shown]
	v_xor_b32_e32 v3, vcc_hi, v2
	v_xor_b32_e32 v2, vcc_lo, v2
	v_and_b32_e32 v0, v0, v3
	v_lshlrev_b32_e32 v3, 24, v31
	v_and_b32_e32 v36, v36, v2
	v_mov_b32_e32 v2, v1
	v_not_b32_e32 v1, v3
	v_cmp_gt_i64_e32 vcc, 0, v[2:3]
	v_ashrrev_i32_e32 v1, 31, v1
	; wave barrier
	s_nop 0
	v_xor_b32_e32 v2, vcc_hi, v1
	v_xor_b32_e32 v3, vcc_lo, v1
	v_and_b32_e32 v1, v0, v2
	v_and_b32_e32 v0, v36, v3
	v_mbcnt_lo_u32_b32 v2, v0, 0
	v_mbcnt_hi_u32_b32 v40, v1, v2
	v_cmp_eq_u32_e32 vcc, 0, v40
	v_cmp_ne_u64_e64 s[20:21], 0, v[0:1]
	s_and_b64 s[22:23], s[20:21], vcc
	s_and_saveexec_b64 s[20:21], s[22:23]
	s_cbranch_execz .LBB333_29
; %bb.28:
	v_bcnt_u32_b32 v0, v0, 0
	v_bcnt_u32_b32 v0, v1, v0
	s_waitcnt lgkmcnt(0)
	v_add_u32_e32 v0, v39, v0
	ds_write_b32 v5, v0 offset:64
.LBB333_29:
	s_or_b64 exec, exec, s[20:21]
	v_bfrev_b32_e32 v43, 1
	v_cmp_lt_i32_e32 vcc, -1, v6
	s_brev_b32 s22, -2
	s_movk_i32 s23, 0x44
	v_cndmask_b32_e32 v0, -1, v43, vcc
	v_xor_b32_e32 v31, v0, v6
	v_cmp_ne_u32_e32 vcc, s22, v31
	v_mov_b32_e32 v1, 0
	s_nop 0
	v_cndmask_b32_e32 v0, v43, v31, vcc
	v_lshrrev_b32_e32 v0, s48, v0
	v_and_b32_e32 v36, s54, v0
	v_mul_lo_u32 v0, v36, s23
	v_add_u32_e32 v6, v34, v0
	v_and_b32_e32 v0, 1, v36
	v_lshl_add_u64 v[2:3], v[0:1], 0, -1
	v_cmp_ne_u32_e32 vcc, 0, v0
	; wave barrier
	ds_read_b32 v41, v6 offset:64
	s_nop 0
	v_xor_b32_e32 v2, vcc_lo, v2
	v_xor_b32_e32 v0, vcc_hi, v3
	v_and_b32_e32 v42, exec_lo, v2
	v_lshlrev_b32_e32 v3, 30, v36
	v_mov_b32_e32 v2, v1
	v_cmp_gt_i64_e32 vcc, 0, v[2:3]
	v_not_b32_e32 v2, v3
	v_ashrrev_i32_e32 v2, 31, v2
	v_and_b32_e32 v0, exec_hi, v0
	v_xor_b32_e32 v3, vcc_hi, v2
	v_xor_b32_e32 v2, vcc_lo, v2
	v_and_b32_e32 v0, v0, v3
	v_and_b32_e32 v42, v42, v2
	v_lshlrev_b32_e32 v3, 29, v36
	v_mov_b32_e32 v2, v1
	v_cmp_gt_i64_e32 vcc, 0, v[2:3]
	v_not_b32_e32 v2, v3
	v_ashrrev_i32_e32 v2, 31, v2
	v_xor_b32_e32 v3, vcc_hi, v2
	v_xor_b32_e32 v2, vcc_lo, v2
	v_and_b32_e32 v0, v0, v3
	v_and_b32_e32 v42, v42, v2
	v_lshlrev_b32_e32 v3, 28, v36
	v_mov_b32_e32 v2, v1
	v_cmp_gt_i64_e32 vcc, 0, v[2:3]
	v_not_b32_e32 v2, v3
	v_ashrrev_i32_e32 v2, 31, v2
	;; [unrolled: 9-line block ×6, first 2 shown]
	v_xor_b32_e32 v3, vcc_hi, v2
	v_xor_b32_e32 v2, vcc_lo, v2
	v_and_b32_e32 v2, v42, v2
	v_and_b32_e32 v3, v0, v3
	v_mbcnt_lo_u32_b32 v0, v2, 0
	v_mbcnt_hi_u32_b32 v42, v3, v0
	v_cmp_eq_u32_e32 vcc, 0, v42
	v_cmp_ne_u64_e64 s[20:21], 0, v[2:3]
	s_and_b64 s[24:25], s[20:21], vcc
	; wave barrier
	s_and_saveexec_b64 s[20:21], s[24:25]
	s_cbranch_execz .LBB333_31
; %bb.30:
	v_bcnt_u32_b32 v0, v2, 0
	v_bcnt_u32_b32 v0, v3, v0
	s_waitcnt lgkmcnt(0)
	v_add_u32_e32 v0, v41, v0
	ds_write_b32 v6, v0 offset:64
.LBB333_31:
	s_or_b64 exec, exec, s[20:21]
	v_cmp_lt_i32_e32 vcc, -1, v7
	; wave barrier
	s_nop 1
	v_cndmask_b32_e32 v0, -1, v43, vcc
	v_xor_b32_e32 v36, v0, v7
	v_cmp_ne_u32_e32 vcc, s22, v36
	s_nop 1
	v_cndmask_b32_e32 v0, v43, v36, vcc
	v_lshrrev_b32_e32 v0, s48, v0
	v_and_b32_e32 v43, s54, v0
	v_mul_lo_u32 v0, v43, s23
	v_add_u32_e32 v7, v34, v0
	v_and_b32_e32 v0, 1, v43
	v_lshl_add_u64 v[2:3], v[0:1], 0, -1
	v_cmp_ne_u32_e32 vcc, 0, v0
	ds_read_b32 v34, v7 offset:64
	s_nop 0
	v_xor_b32_e32 v2, vcc_lo, v2
	v_xor_b32_e32 v0, vcc_hi, v3
	v_and_b32_e32 v44, exec_lo, v2
	v_lshlrev_b32_e32 v3, 30, v43
	v_mov_b32_e32 v2, v1
	v_cmp_gt_i64_e32 vcc, 0, v[2:3]
	v_not_b32_e32 v2, v3
	v_ashrrev_i32_e32 v2, 31, v2
	v_and_b32_e32 v0, exec_hi, v0
	v_xor_b32_e32 v3, vcc_hi, v2
	v_xor_b32_e32 v2, vcc_lo, v2
	v_and_b32_e32 v0, v0, v3
	v_and_b32_e32 v44, v44, v2
	v_lshlrev_b32_e32 v3, 29, v43
	v_mov_b32_e32 v2, v1
	v_cmp_gt_i64_e32 vcc, 0, v[2:3]
	v_not_b32_e32 v2, v3
	v_ashrrev_i32_e32 v2, 31, v2
	v_xor_b32_e32 v3, vcc_hi, v2
	v_xor_b32_e32 v2, vcc_lo, v2
	v_and_b32_e32 v0, v0, v3
	v_and_b32_e32 v44, v44, v2
	v_lshlrev_b32_e32 v3, 28, v43
	v_mov_b32_e32 v2, v1
	v_cmp_gt_i64_e32 vcc, 0, v[2:3]
	v_not_b32_e32 v2, v3
	v_ashrrev_i32_e32 v2, 31, v2
	;; [unrolled: 9-line block ×5, first 2 shown]
	v_xor_b32_e32 v3, vcc_hi, v2
	v_xor_b32_e32 v2, vcc_lo, v2
	v_and_b32_e32 v0, v0, v3
	v_lshlrev_b32_e32 v3, 24, v43
	v_and_b32_e32 v44, v44, v2
	v_mov_b32_e32 v2, v1
	v_not_b32_e32 v1, v3
	v_cmp_gt_i64_e32 vcc, 0, v[2:3]
	v_ashrrev_i32_e32 v1, 31, v1
	; wave barrier
	s_nop 0
	v_xor_b32_e32 v2, vcc_hi, v1
	v_xor_b32_e32 v3, vcc_lo, v1
	v_and_b32_e32 v1, v0, v2
	v_and_b32_e32 v0, v44, v3
	v_mbcnt_lo_u32_b32 v2, v0, 0
	v_mbcnt_hi_u32_b32 v43, v1, v2
	v_cmp_eq_u32_e32 vcc, 0, v43
	v_cmp_ne_u64_e64 s[20:21], 0, v[0:1]
	s_and_b64 s[22:23], s[20:21], vcc
	s_and_saveexec_b64 s[20:21], s[22:23]
	s_cbranch_execz .LBB333_33
; %bb.32:
	v_bcnt_u32_b32 v0, v0, 0
	v_bcnt_u32_b32 v0, v1, v0
	s_waitcnt lgkmcnt(0)
	v_add_u32_e32 v0, v34, v0
	ds_write_b32 v7, v0 offset:64
.LBB333_33:
	s_or_b64 exec, exec, s[20:21]
	; wave barrier
	s_waitcnt lgkmcnt(0)
	s_barrier
	ds_read2_b32 v[2:3], v22 offset0:16 offset1:17
	ds_read2_b32 v[0:1], v22 offset0:18 offset1:19
	ds_read_b32 v44, v22 offset:80
	v_cmp_lt_u32_e64 s[28:29], 31, v21
	s_waitcnt lgkmcnt(1)
	v_add3_u32 v45, v3, v2, v0
	s_waitcnt lgkmcnt(0)
	v_add3_u32 v44, v45, v1, v44
	v_and_b32_e32 v45, 15, v21
	v_cmp_eq_u32_e32 vcc, 0, v45
	v_mov_b32_dpp v46, v44 row_shr:1 row_mask:0xf bank_mask:0xf
	v_cmp_lt_u32_e64 s[20:21], 1, v45
	v_cndmask_b32_e64 v46, v46, 0, vcc
	v_add_u32_e32 v44, v46, v44
	v_cmp_lt_u32_e64 s[22:23], 3, v45
	v_cmp_lt_u32_e64 s[24:25], 7, v45
	v_mov_b32_dpp v46, v44 row_shr:2 row_mask:0xf bank_mask:0xf
	v_cndmask_b32_e64 v46, 0, v46, s[20:21]
	v_add_u32_e32 v44, v44, v46
	s_nop 1
	v_mov_b32_dpp v46, v44 row_shr:4 row_mask:0xf bank_mask:0xf
	v_cndmask_b32_e64 v46, 0, v46, s[22:23]
	v_add_u32_e32 v44, v44, v46
	s_nop 1
	v_mov_b32_dpp v46, v44 row_shr:8 row_mask:0xf bank_mask:0xf
	v_cndmask_b32_e64 v45, 0, v46, s[24:25]
	v_add_u32_e32 v44, v44, v45
	v_bfe_i32 v46, v21, 4, 1
	s_nop 0
	v_mov_b32_dpp v45, v44 row_bcast:15 row_mask:0xf bank_mask:0xf
	v_and_b32_e32 v45, v46, v45
	v_add_u32_e32 v44, v44, v45
	v_and_b32_e32 v46, 63, v8
	s_nop 0
	v_mov_b32_dpp v45, v44 row_bcast:31 row_mask:0xf bank_mask:0xf
	v_cndmask_b32_e64 v45, 0, v45, s[28:29]
	v_add_u32_e32 v44, v44, v45
	v_lshrrev_b32_e32 v45, 6, v8
	v_cmp_eq_u32_e64 s[28:29], 63, v46
	s_and_saveexec_b64 s[30:31], s[28:29]
; %bb.34:
	v_lshlrev_b32_e32 v46, 2, v45
	ds_write_b32 v46, v44
; %bb.35:
	s_or_b64 exec, exec, s[30:31]
	v_cmp_gt_u32_e64 s[28:29], 16, v8
	s_waitcnt lgkmcnt(0)
	s_barrier
	s_and_saveexec_b64 s[30:31], s[28:29]
	s_cbranch_execz .LBB333_37
; %bb.36:
	v_lshlrev_b32_e32 v46, 2, v8
	ds_read_b32 v47, v46
	s_waitcnt lgkmcnt(0)
	s_nop 0
	v_mov_b32_dpp v48, v47 row_shr:1 row_mask:0xf bank_mask:0xf
	v_cndmask_b32_e64 v48, v48, 0, vcc
	v_add_u32_e32 v47, v48, v47
	s_nop 1
	v_mov_b32_dpp v48, v47 row_shr:2 row_mask:0xf bank_mask:0xf
	v_cndmask_b32_e64 v48, 0, v48, s[20:21]
	v_add_u32_e32 v47, v47, v48
	s_nop 1
	v_mov_b32_dpp v48, v47 row_shr:4 row_mask:0xf bank_mask:0xf
	v_cndmask_b32_e64 v48, 0, v48, s[22:23]
	;; [unrolled: 4-line block ×3, first 2 shown]
	v_add_u32_e32 v47, v47, v48
	ds_write_b32 v46, v47
.LBB333_37:
	s_or_b64 exec, exec, s[30:31]
	v_cmp_lt_u32_e32 vcc, 63, v8
	v_mov_b32_e32 v46, 0
	s_waitcnt lgkmcnt(0)
	s_barrier
	s_and_saveexec_b64 s[20:21], vcc
; %bb.38:
	v_lshl_add_u32 v45, v45, 2, -4
	ds_read_b32 v46, v45
; %bb.39:
	s_or_b64 exec, exec, s[20:21]
	v_subrev_co_u32_e32 v45, vcc, 1, v21
	v_and_b32_e32 v47, 64, v21
	v_cmp_lt_i32_e64 s[20:21], v45, v47
	s_waitcnt lgkmcnt(0)
	v_add_u32_e32 v44, v46, v44
	s_movk_i32 s22, 0x100
	v_cndmask_b32_e64 v21, v45, v21, s[20:21]
	v_lshlrev_b32_e32 v21, 2, v21
	ds_bpermute_b32 v21, v21, v44
	s_movk_i32 s20, 0xff
	v_cmp_lt_u32_e64 s[20:21], s20, v8
	s_waitcnt lgkmcnt(0)
	v_cndmask_b32_e32 v21, v21, v46, vcc
	v_cmp_ne_u32_e32 vcc, 0, v8
	s_nop 1
	v_cndmask_b32_e32 v21, 0, v21, vcc
	v_add_u32_e32 v2, v21, v2
	v_add_u32_e32 v3, v2, v3
	;; [unrolled: 1-line block ×4, first 2 shown]
	ds_write2_b32 v22, v21, v2 offset0:16 offset1:17
	ds_write2_b32 v22, v3, v0 offset0:18 offset1:19
	ds_write_b32 v22, v1 offset:80
	s_waitcnt lgkmcnt(0)
	s_barrier
	ds_read_b32 v44, v26 offset:64
	ds_read_b32 v45, v28 offset:64
	;; [unrolled: 1-line block ×8, first 2 shown]
	v_cmp_gt_u32_e32 vcc, s22, v8
                                        ; implicit-def: $vgpr6
                                        ; implicit-def: $vgpr7
	s_and_saveexec_b64 s[24:25], vcc
	s_cbranch_execz .LBB333_43
; %bb.40:
	v_mul_u32_u24_e32 v0, 0x44, v8
	ds_read_b32 v6, v0 offset:64
	v_add_u32_e32 v1, 1, v8
	v_cmp_ne_u32_e64 s[22:23], s22, v1
	v_mov_b32_e32 v0, 0x2000
	s_and_saveexec_b64 s[28:29], s[22:23]
; %bb.41:
	v_mul_u32_u24_e32 v0, 0x44, v1
	ds_read_b32 v0, v0 offset:64
; %bb.42:
	s_or_b64 exec, exec, s[28:29]
	s_waitcnt lgkmcnt(0)
	v_sub_u32_e32 v7, v0, v6
.LBB333_43:
	s_or_b64 exec, exec, s[24:25]
	v_mov_b32_e32 v1, 0
	v_lshlrev_b32_e32 v21, 2, v8
	s_waitcnt lgkmcnt(0)
	s_barrier
	s_and_saveexec_b64 s[22:23], vcc
	s_cbranch_execz .LBB333_53
; %bb.44:
	v_lshl_add_u32 v0, s4, 8, v8
	v_lshl_add_u64 v[2:3], v[0:1], 2, s[52:53]
	v_or_b32_e32 v0, 2.0, v7
	s_mov_b64 s[24:25], 0
	s_brev_b32 s34, -4
	s_mov_b32 s35, s4
	v_mov_b32_e32 v47, 0
	global_store_dword v[2:3], v0, off sc1
                                        ; implicit-def: $sgpr28_sgpr29
	s_branch .LBB333_47
.LBB333_45:                             ;   in Loop: Header=BB333_47 Depth=1
	s_or_b64 exec, exec, s[30:31]
.LBB333_46:                             ;   in Loop: Header=BB333_47 Depth=1
	s_or_b64 exec, exec, s[28:29]
	v_and_b32_e32 v4, 0x3fffffff, v0
	v_add_u32_e32 v47, v4, v47
	v_cmp_gt_i32_e64 s[28:29], -2.0, v0
	s_and_b64 s[30:31], exec, s[28:29]
	s_or_b64 s[24:25], s[30:31], s[24:25]
	s_andn2_b64 exec, exec, s[24:25]
	s_cbranch_execz .LBB333_52
.LBB333_47:                             ; =>This Loop Header: Depth=1
                                        ;     Child Loop BB333_50 Depth 2
	s_or_b64 s[28:29], s[28:29], exec
	s_cmp_eq_u32 s35, 0
	s_cbranch_scc1 .LBB333_51
; %bb.48:                               ;   in Loop: Header=BB333_47 Depth=1
	s_add_i32 s35, s35, -1
	v_lshl_or_b32 v0, s35, 8, v8
	v_lshl_add_u64 v[4:5], v[0:1], 2, s[52:53]
	global_load_dword v0, v[4:5], off sc1
	s_waitcnt vmcnt(0)
	v_cmp_gt_u32_e32 vcc, 2.0, v0
	s_and_saveexec_b64 s[28:29], vcc
	s_cbranch_execz .LBB333_46
; %bb.49:                               ;   in Loop: Header=BB333_47 Depth=1
	s_mov_b64 s[30:31], 0
.LBB333_50:                             ;   Parent Loop BB333_47 Depth=1
                                        ; =>  This Inner Loop Header: Depth=2
	global_load_dword v0, v[4:5], off sc1
	s_waitcnt vmcnt(0)
	v_cmp_lt_u32_e32 vcc, s34, v0
	s_or_b64 s[30:31], vcc, s[30:31]
	s_andn2_b64 exec, exec, s[30:31]
	s_cbranch_execnz .LBB333_50
	s_branch .LBB333_45
.LBB333_51:                             ;   in Loop: Header=BB333_47 Depth=1
                                        ; implicit-def: $sgpr35
	s_and_b64 s[30:31], exec, s[28:29]
	s_or_b64 s[24:25], s[30:31], s[24:25]
	s_andn2_b64 exec, exec, s[24:25]
	s_cbranch_execnz .LBB333_47
.LBB333_52:
	s_or_b64 exec, exec, s[24:25]
	v_add_u32_e32 v0, v47, v7
	v_or_b32_e32 v0, 0x80000000, v0
	global_store_dword v[2:3], v0, off sc1
	global_load_dword v0, v21, s[44:45]
	v_sub_u32_e32 v1, v47, v6
	s_waitcnt vmcnt(0)
	v_add_u32_e32 v0, v1, v0
	ds_write_b32 v21, v0
.LBB333_53:
	s_or_b64 exec, exec, s[22:23]
	s_load_dwordx2 s[22:23], s[0:1], 0x4
	v_add_u32_e32 v2, v44, v23
	v_add3_u32 v3, v24, v17, v45
	v_add3_u32 v4, v29, v25, v46
	v_add3_u32 v5, v33, v30, v37
	s_waitcnt lgkmcnt(0)
	s_lshr_b32 s0, s22, 16
	s_mul_i32 s0, s0, s23
	v_mul_lo_u32 v0, s0, v8
	v_mad_u32_u24 v0, v9, s23, v0
	v_add_lshl_u32 v0, v0, v18, 5
	v_add3_u32 v17, v38, v35, v22
	v_add3_u32 v22, v40, v39, v26
	;; [unrolled: 1-line block ×4, first 2 shown]
	v_add_u32_e32 v37, 0x5050, v0
	v_add_u32_e32 v25, 0x5060, v0
	v_lshlrev_b32_e32 v26, 2, v24
	v_lshlrev_b32_e32 v28, 2, v23
	;; [unrolled: 1-line block ×8, first 2 shown]
	s_mov_b64 s[0:1], -1
	s_mov_b32 s24, 0
	s_brev_b32 s25, -2
	v_mov_b32_e32 v1, 0
	s_movk_i32 s28, 0x400
	s_movk_i32 s29, 0x800
	;; [unrolled: 1-line block ×3, first 2 shown]
	v_bfrev_b32_e32 v38, 1
	v_mov_b32_e32 v39, v2
	v_mov_b32_e32 v40, v3
	;; [unrolled: 1-line block ×10, first 2 shown]
	s_branch .LBB333_55
.LBB333_54:                             ;   in Loop: Header=BB333_55 Depth=1
	s_or_b64 exec, exec, s[22:23]
	s_xor_b64 s[22:23], s[0:1], -1
	v_add_u32_e32 v47, 0x1000, v47
	s_addk_i32 s24, 0xc000
	s_mov_b64 s[0:1], 0
	s_and_b64 vcc, exec, s[22:23]
	v_mov_b32_e32 v48, v25
	s_waitcnt lgkmcnt(0)
	s_barrier
	s_cbranch_vccnz .LBB333_79
.LBB333_55:                             ; =>This Inner Loop Header: Depth=1
	v_subrev_co_u32_e32 v39, vcc, 0x1000, v39
	s_and_saveexec_b64 s[22:23], vcc
	s_cbranch_execz .LBB333_63
; %bb.56:                               ;   in Loop: Header=BB333_55 Depth=1
	v_add_u32_e32 v0, s24, v35
	ds_write_b32 v0, v11 offset:1024
	s_or_b64 exec, exec, s[22:23]
	v_subrev_co_u32_e32 v40, vcc, 0x1000, v40
	s_and_saveexec_b64 s[22:23], vcc
	s_cbranch_execnz .LBB333_64
.LBB333_57:                             ;   in Loop: Header=BB333_55 Depth=1
	s_or_b64 exec, exec, s[22:23]
	v_subrev_co_u32_e32 v41, vcc, 0x1000, v41
	s_and_saveexec_b64 s[22:23], vcc
	s_cbranch_execz .LBB333_65
.LBB333_58:                             ;   in Loop: Header=BB333_55 Depth=1
	v_add_u32_e32 v0, s24, v33
	ds_write_b32 v0, v16 offset:1024
	s_or_b64 exec, exec, s[22:23]
	v_subrev_co_u32_e32 v42, vcc, 0x1000, v42
	s_and_saveexec_b64 s[22:23], vcc
	s_cbranch_execnz .LBB333_66
.LBB333_59:                             ;   in Loop: Header=BB333_55 Depth=1
	s_or_b64 exec, exec, s[22:23]
	v_subrev_co_u32_e32 v43, vcc, 0x1000, v43
	s_and_saveexec_b64 s[22:23], vcc
	s_cbranch_execz .LBB333_67
.LBB333_60:                             ;   in Loop: Header=BB333_55 Depth=1
	v_add_u32_e32 v0, s24, v30
	ds_write_b32 v0, v15 offset:1024
	s_or_b64 exec, exec, s[22:23]
	v_subrev_co_u32_e32 v44, vcc, 0x1000, v44
	s_and_saveexec_b64 s[22:23], vcc
	s_cbranch_execnz .LBB333_68
.LBB333_61:                             ;   in Loop: Header=BB333_55 Depth=1
	s_or_b64 exec, exec, s[22:23]
	v_subrev_co_u32_e32 v45, vcc, 0x1000, v45
	s_and_saveexec_b64 s[22:23], vcc
	s_cbranch_execz .LBB333_69
.LBB333_62:                             ;   in Loop: Header=BB333_55 Depth=1
	v_add_u32_e32 v0, s24, v28
	ds_write_b32 v0, v31 offset:1024
	s_or_b64 exec, exec, s[22:23]
	v_subrev_co_u32_e32 v46, vcc, 0x1000, v46
	s_and_saveexec_b64 s[22:23], vcc
	s_cbranch_execnz .LBB333_70
	s_branch .LBB333_71
.LBB333_63:                             ;   in Loop: Header=BB333_55 Depth=1
	s_or_b64 exec, exec, s[22:23]
	v_subrev_co_u32_e32 v40, vcc, 0x1000, v40
	s_and_saveexec_b64 s[22:23], vcc
	s_cbranch_execz .LBB333_57
.LBB333_64:                             ;   in Loop: Header=BB333_55 Depth=1
	v_add_u32_e32 v0, s24, v34
	ds_write_b32 v0, v13 offset:1024
	s_or_b64 exec, exec, s[22:23]
	v_subrev_co_u32_e32 v41, vcc, 0x1000, v41
	s_and_saveexec_b64 s[22:23], vcc
	s_cbranch_execnz .LBB333_58
.LBB333_65:                             ;   in Loop: Header=BB333_55 Depth=1
	s_or_b64 exec, exec, s[22:23]
	v_subrev_co_u32_e32 v42, vcc, 0x1000, v42
	s_and_saveexec_b64 s[22:23], vcc
	s_cbranch_execz .LBB333_59
.LBB333_66:                             ;   in Loop: Header=BB333_55 Depth=1
	v_add_u32_e32 v0, s24, v32
	ds_write_b32 v0, v14 offset:1024
	s_or_b64 exec, exec, s[22:23]
	v_subrev_co_u32_e32 v43, vcc, 0x1000, v43
	s_and_saveexec_b64 s[22:23], vcc
	s_cbranch_execnz .LBB333_60
.LBB333_67:                             ;   in Loop: Header=BB333_55 Depth=1
	s_or_b64 exec, exec, s[22:23]
	v_subrev_co_u32_e32 v44, vcc, 0x1000, v44
	s_and_saveexec_b64 s[22:23], vcc
	s_cbranch_execz .LBB333_61
.LBB333_68:                             ;   in Loop: Header=BB333_55 Depth=1
	v_add_u32_e32 v0, s24, v29
	ds_write_b32 v0, v27 offset:1024
	s_or_b64 exec, exec, s[22:23]
	v_subrev_co_u32_e32 v45, vcc, 0x1000, v45
	s_and_saveexec_b64 s[22:23], vcc
	s_cbranch_execnz .LBB333_62
.LBB333_69:                             ;   in Loop: Header=BB333_55 Depth=1
	s_or_b64 exec, exec, s[22:23]
	v_subrev_co_u32_e32 v46, vcc, 0x1000, v46
	s_and_saveexec_b64 s[22:23], vcc
.LBB333_70:                             ;   in Loop: Header=BB333_55 Depth=1
	v_add_u32_e32 v0, s24, v26
	ds_write_b32 v0, v36 offset:1024
.LBB333_71:                             ;   in Loop: Header=BB333_55 Depth=1
	s_or_b64 exec, exec, s[22:23]
	v_cmp_gt_u32_e32 vcc, s5, v47
	s_waitcnt lgkmcnt(0)
	s_barrier
	s_and_saveexec_b64 s[22:23], vcc
	s_cbranch_execz .LBB333_73
; %bb.72:                               ;   in Loop: Header=BB333_55 Depth=1
	ds_read_b32 v0, v21 offset:1024
	s_waitcnt lgkmcnt(0)
	v_cmp_ne_u32_e32 vcc, s25, v0
	s_nop 1
	v_cndmask_b32_e32 v49, v38, v0, vcc
	v_lshrrev_b32_e32 v49, s48, v49
	v_and_b32_e32 v49, s54, v49
	v_lshlrev_b32_e32 v50, 2, v49
	ds_read_b32 v50, v50
	v_cmp_lt_i32_e32 vcc, -1, v0
	ds_write_b32 v48, v49
	s_nop 0
	v_cndmask_b32_e64 v51, v38, -1, vcc
	v_xor_b32_e32 v52, v51, v0
	s_waitcnt lgkmcnt(1)
	v_add_u32_e32 v0, v47, v50
	v_lshl_add_u64 v[50:51], v[0:1], 2, s[38:39]
	global_store_dword v[50:51], v52, off
.LBB333_73:                             ;   in Loop: Header=BB333_55 Depth=1
	s_or_b64 exec, exec, s[22:23]
	v_add_u32_e32 v0, 0x400, v47
	v_cmp_gt_u32_e32 vcc, s5, v0
	s_and_saveexec_b64 s[22:23], vcc
	s_cbranch_execz .LBB333_75
; %bb.74:                               ;   in Loop: Header=BB333_55 Depth=1
	ds_read_b32 v0, v21 offset:5120
	s_waitcnt lgkmcnt(0)
	v_cmp_ne_u32_e32 vcc, s25, v0
	s_nop 1
	v_cndmask_b32_e32 v49, v38, v0, vcc
	v_lshrrev_b32_e32 v49, s48, v49
	v_and_b32_e32 v49, s54, v49
	v_lshlrev_b32_e32 v50, 2, v49
	ds_read_b32 v50, v50
	v_cmp_lt_i32_e32 vcc, -1, v0
	ds_write_b32 v48, v49 offset:4
	s_nop 0
	v_cndmask_b32_e64 v51, v38, -1, vcc
	v_xor_b32_e32 v52, v51, v0
	s_waitcnt lgkmcnt(1)
	v_add3_u32 v0, v47, v50, s28
	v_lshl_add_u64 v[50:51], v[0:1], 2, s[38:39]
	global_store_dword v[50:51], v52, off
.LBB333_75:                             ;   in Loop: Header=BB333_55 Depth=1
	s_or_b64 exec, exec, s[22:23]
	v_add_u32_e32 v0, 0x800, v47
	v_cmp_gt_u32_e32 vcc, s5, v0
	s_and_saveexec_b64 s[22:23], vcc
	s_cbranch_execz .LBB333_77
; %bb.76:                               ;   in Loop: Header=BB333_55 Depth=1
	ds_read_b32 v0, v21 offset:9216
	s_waitcnt lgkmcnt(0)
	v_cmp_ne_u32_e32 vcc, s25, v0
	s_nop 1
	v_cndmask_b32_e32 v49, v38, v0, vcc
	v_lshrrev_b32_e32 v49, s48, v49
	v_and_b32_e32 v49, s54, v49
	v_lshlrev_b32_e32 v50, 2, v49
	ds_read_b32 v50, v50
	v_cmp_lt_i32_e32 vcc, -1, v0
	ds_write_b32 v48, v49 offset:8
	s_nop 0
	v_cndmask_b32_e64 v51, v38, -1, vcc
	v_xor_b32_e32 v52, v51, v0
	s_waitcnt lgkmcnt(1)
	v_add3_u32 v0, v47, v50, s29
	v_lshl_add_u64 v[50:51], v[0:1], 2, s[38:39]
	global_store_dword v[50:51], v52, off
.LBB333_77:                             ;   in Loop: Header=BB333_55 Depth=1
	s_or_b64 exec, exec, s[22:23]
	v_add_u32_e32 v0, 0xc00, v47
	v_cmp_gt_u32_e32 vcc, s5, v0
	s_and_saveexec_b64 s[22:23], vcc
	s_cbranch_execz .LBB333_54
; %bb.78:                               ;   in Loop: Header=BB333_55 Depth=1
	ds_read_b32 v0, v21 offset:13312
	s_waitcnt lgkmcnt(0)
	v_cmp_ne_u32_e32 vcc, s25, v0
	s_nop 1
	v_cndmask_b32_e32 v49, v38, v0, vcc
	v_lshrrev_b32_e32 v49, s48, v49
	v_and_b32_e32 v49, s54, v49
	v_lshlrev_b32_e32 v50, 2, v49
	ds_read_b32 v50, v50
	v_cmp_lt_i32_e32 vcc, -1, v0
	ds_write_b32 v48, v49 offset:12
	s_nop 0
	v_cndmask_b32_e64 v51, v38, -1, vcc
	v_xor_b32_e32 v52, v51, v0
	s_waitcnt lgkmcnt(1)
	v_add3_u32 v0, v47, v50, s30
	v_lshl_add_u64 v[50:51], v[0:1], 2, s[38:39]
	global_store_dword v[50:51], v52, off
	s_branch .LBB333_54
.LBB333_79:
	s_add_u32 s0, s40, s50
	s_addc_u32 s1, s41, s51
	v_mov_b32_e32 v11, 0
	v_lshl_add_u64 v[0:1], s[0:1], 0, v[10:11]
	v_mov_b32_e32 v13, v11
	v_lshl_add_u64 v[0:1], v[0:1], 0, v[12:13]
                                        ; implicit-def: $vgpr10
	s_and_saveexec_b64 s[0:1], s[18:19]
	s_cbranch_execz .LBB333_87
; %bb.80:
	global_load_dword v10, v[0:1], off
	s_or_b64 exec, exec, s[0:1]
                                        ; implicit-def: $vgpr11
	s_and_saveexec_b64 s[0:1], s[26:27]
	s_cbranch_execnz .LBB333_88
.LBB333_81:
	s_or_b64 exec, exec, s[0:1]
                                        ; implicit-def: $vgpr12
	s_and_saveexec_b64 s[0:1], s[6:7]
	s_cbranch_execz .LBB333_89
.LBB333_82:
	global_load_dword v12, v[0:1], off offset:512
	s_or_b64 exec, exec, s[0:1]
                                        ; implicit-def: $vgpr13
	s_and_saveexec_b64 s[0:1], s[8:9]
	s_cbranch_execnz .LBB333_90
.LBB333_83:
	s_or_b64 exec, exec, s[0:1]
                                        ; implicit-def: $vgpr14
	s_and_saveexec_b64 s[0:1], s[10:11]
	s_cbranch_execz .LBB333_91
.LBB333_84:
	global_load_dword v14, v[0:1], off offset:1024
	s_or_b64 exec, exec, s[0:1]
                                        ; implicit-def: $vgpr15
	s_and_saveexec_b64 s[0:1], s[12:13]
	s_cbranch_execnz .LBB333_92
.LBB333_85:
	s_or_b64 exec, exec, s[0:1]
                                        ; implicit-def: $vgpr16
	s_and_saveexec_b64 s[0:1], s[14:15]
	s_cbranch_execz .LBB333_93
.LBB333_86:
	global_load_dword v16, v[0:1], off offset:1536
	s_or_b64 exec, exec, s[0:1]
                                        ; implicit-def: $vgpr27
	s_and_saveexec_b64 s[0:1], s[16:17]
	s_cbranch_execnz .LBB333_94
	s_branch .LBB333_95
.LBB333_87:
	s_or_b64 exec, exec, s[0:1]
                                        ; implicit-def: $vgpr11
	s_and_saveexec_b64 s[0:1], s[26:27]
	s_cbranch_execz .LBB333_81
.LBB333_88:
	global_load_dword v11, v[0:1], off offset:256
	s_or_b64 exec, exec, s[0:1]
                                        ; implicit-def: $vgpr12
	s_and_saveexec_b64 s[0:1], s[6:7]
	s_cbranch_execnz .LBB333_82
.LBB333_89:
	s_or_b64 exec, exec, s[0:1]
                                        ; implicit-def: $vgpr13
	s_and_saveexec_b64 s[0:1], s[8:9]
	s_cbranch_execz .LBB333_83
.LBB333_90:
	global_load_dword v13, v[0:1], off offset:768
	s_or_b64 exec, exec, s[0:1]
                                        ; implicit-def: $vgpr14
	s_and_saveexec_b64 s[0:1], s[10:11]
	s_cbranch_execnz .LBB333_84
.LBB333_91:
	s_or_b64 exec, exec, s[0:1]
                                        ; implicit-def: $vgpr15
	s_and_saveexec_b64 s[0:1], s[12:13]
	s_cbranch_execz .LBB333_85
.LBB333_92:
	global_load_dword v15, v[0:1], off offset:1280
	s_or_b64 exec, exec, s[0:1]
                                        ; implicit-def: $vgpr16
	s_and_saveexec_b64 s[0:1], s[14:15]
	s_cbranch_execnz .LBB333_86
.LBB333_93:
	s_or_b64 exec, exec, s[0:1]
                                        ; implicit-def: $vgpr27
	s_and_saveexec_b64 s[0:1], s[16:17]
	s_cbranch_execz .LBB333_95
.LBB333_94:
	global_load_dword v27, v[0:1], off offset:1792
.LBB333_95:
	s_or_b64 exec, exec, s[0:1]
	s_mov_b64 s[0:1], -1
	s_mov_b32 s8, 0
	v_mov_b32_e32 v1, 0
	s_movk_i32 s9, 0x400
	s_movk_i32 s10, 0x800
	;; [unrolled: 1-line block ×3, first 2 shown]
	v_mov_b32_e32 v31, v8
	s_waitcnt vmcnt(0)
	s_branch .LBB333_97
.LBB333_96:                             ;   in Loop: Header=BB333_97 Depth=1
	s_or_b64 exec, exec, s[6:7]
	s_xor_b64 s[6:7], s[0:1], -1
	v_add_u32_e32 v31, 0x1000, v31
	s_addk_i32 s8, 0xc000
	s_mov_b64 s[0:1], 0
	s_and_b64 vcc, exec, s[6:7]
	v_mov_b32_e32 v37, v25
	s_barrier
	s_cbranch_vccnz .LBB333_121
.LBB333_97:                             ; =>This Inner Loop Header: Depth=1
	v_subrev_co_u32_e32 v2, vcc, 0x1000, v2
	s_and_saveexec_b64 s[6:7], vcc
	s_cbranch_execz .LBB333_105
; %bb.98:                               ;   in Loop: Header=BB333_97 Depth=1
	v_add_u32_e32 v0, s8, v35
	ds_write_b32 v0, v10 offset:1024
	s_or_b64 exec, exec, s[6:7]
	v_subrev_co_u32_e32 v3, vcc, 0x1000, v3
	s_and_saveexec_b64 s[6:7], vcc
	s_cbranch_execnz .LBB333_106
.LBB333_99:                             ;   in Loop: Header=BB333_97 Depth=1
	s_or_b64 exec, exec, s[6:7]
	v_subrev_co_u32_e32 v4, vcc, 0x1000, v4
	s_and_saveexec_b64 s[6:7], vcc
	s_cbranch_execz .LBB333_107
.LBB333_100:                            ;   in Loop: Header=BB333_97 Depth=1
	v_add_u32_e32 v0, s8, v33
	ds_write_b32 v0, v12 offset:1024
	s_or_b64 exec, exec, s[6:7]
	v_subrev_co_u32_e32 v5, vcc, 0x1000, v5
	s_and_saveexec_b64 s[6:7], vcc
	s_cbranch_execnz .LBB333_108
.LBB333_101:                            ;   in Loop: Header=BB333_97 Depth=1
	s_or_b64 exec, exec, s[6:7]
	v_subrev_co_u32_e32 v17, vcc, 0x1000, v17
	s_and_saveexec_b64 s[6:7], vcc
	s_cbranch_execz .LBB333_109
.LBB333_102:                            ;   in Loop: Header=BB333_97 Depth=1
	v_add_u32_e32 v0, s8, v30
	ds_write_b32 v0, v14 offset:1024
	s_or_b64 exec, exec, s[6:7]
	v_subrev_co_u32_e32 v22, vcc, 0x1000, v22
	s_and_saveexec_b64 s[6:7], vcc
	s_cbranch_execnz .LBB333_110
.LBB333_103:                            ;   in Loop: Header=BB333_97 Depth=1
	s_or_b64 exec, exec, s[6:7]
	v_subrev_co_u32_e32 v23, vcc, 0x1000, v23
	s_and_saveexec_b64 s[6:7], vcc
	s_cbranch_execz .LBB333_111
.LBB333_104:                            ;   in Loop: Header=BB333_97 Depth=1
	v_add_u32_e32 v0, s8, v28
	ds_write_b32 v0, v16 offset:1024
	s_or_b64 exec, exec, s[6:7]
	v_subrev_co_u32_e32 v24, vcc, 0x1000, v24
	s_and_saveexec_b64 s[6:7], vcc
	s_cbranch_execnz .LBB333_112
	s_branch .LBB333_113
.LBB333_105:                            ;   in Loop: Header=BB333_97 Depth=1
	s_or_b64 exec, exec, s[6:7]
	v_subrev_co_u32_e32 v3, vcc, 0x1000, v3
	s_and_saveexec_b64 s[6:7], vcc
	s_cbranch_execz .LBB333_99
.LBB333_106:                            ;   in Loop: Header=BB333_97 Depth=1
	v_add_u32_e32 v0, s8, v34
	ds_write_b32 v0, v11 offset:1024
	s_or_b64 exec, exec, s[6:7]
	v_subrev_co_u32_e32 v4, vcc, 0x1000, v4
	s_and_saveexec_b64 s[6:7], vcc
	s_cbranch_execnz .LBB333_100
.LBB333_107:                            ;   in Loop: Header=BB333_97 Depth=1
	s_or_b64 exec, exec, s[6:7]
	v_subrev_co_u32_e32 v5, vcc, 0x1000, v5
	s_and_saveexec_b64 s[6:7], vcc
	s_cbranch_execz .LBB333_101
.LBB333_108:                            ;   in Loop: Header=BB333_97 Depth=1
	v_add_u32_e32 v0, s8, v32
	ds_write_b32 v0, v13 offset:1024
	s_or_b64 exec, exec, s[6:7]
	v_subrev_co_u32_e32 v17, vcc, 0x1000, v17
	s_and_saveexec_b64 s[6:7], vcc
	s_cbranch_execnz .LBB333_102
.LBB333_109:                            ;   in Loop: Header=BB333_97 Depth=1
	s_or_b64 exec, exec, s[6:7]
	v_subrev_co_u32_e32 v22, vcc, 0x1000, v22
	s_and_saveexec_b64 s[6:7], vcc
	s_cbranch_execz .LBB333_103
.LBB333_110:                            ;   in Loop: Header=BB333_97 Depth=1
	v_add_u32_e32 v0, s8, v29
	ds_write_b32 v0, v15 offset:1024
	s_or_b64 exec, exec, s[6:7]
	v_subrev_co_u32_e32 v23, vcc, 0x1000, v23
	s_and_saveexec_b64 s[6:7], vcc
	s_cbranch_execnz .LBB333_104
.LBB333_111:                            ;   in Loop: Header=BB333_97 Depth=1
	s_or_b64 exec, exec, s[6:7]
	v_subrev_co_u32_e32 v24, vcc, 0x1000, v24
	s_and_saveexec_b64 s[6:7], vcc
.LBB333_112:                            ;   in Loop: Header=BB333_97 Depth=1
	v_add_u32_e32 v0, s8, v26
	ds_write_b32 v0, v27 offset:1024
.LBB333_113:                            ;   in Loop: Header=BB333_97 Depth=1
	s_or_b64 exec, exec, s[6:7]
	v_cmp_gt_u32_e32 vcc, s5, v31
	s_waitcnt lgkmcnt(0)
	s_barrier
	s_and_saveexec_b64 s[6:7], vcc
	s_cbranch_execz .LBB333_115
; %bb.114:                              ;   in Loop: Header=BB333_97 Depth=1
	ds_read_b32 v0, v37
	s_waitcnt lgkmcnt(0)
	v_lshlrev_b32_e32 v0, 2, v0
	ds_read_b32 v0, v0
	ds_read_b32 v36, v21 offset:1024
	s_waitcnt lgkmcnt(1)
	v_add_u32_e32 v0, v31, v0
	v_lshl_add_u64 v[38:39], v[0:1], 2, s[42:43]
	s_waitcnt lgkmcnt(0)
	global_store_dword v[38:39], v36, off
.LBB333_115:                            ;   in Loop: Header=BB333_97 Depth=1
	s_or_b64 exec, exec, s[6:7]
	v_add_u32_e32 v0, 0x400, v31
	v_cmp_gt_u32_e32 vcc, s5, v0
	s_and_saveexec_b64 s[6:7], vcc
	s_cbranch_execz .LBB333_117
; %bb.116:                              ;   in Loop: Header=BB333_97 Depth=1
	ds_read_b32 v0, v37 offset:4
	s_waitcnt lgkmcnt(0)
	v_lshlrev_b32_e32 v0, 2, v0
	ds_read_b32 v0, v0
	ds_read_b32 v36, v21 offset:5120
	s_waitcnt lgkmcnt(1)
	v_add3_u32 v0, v31, v0, s9
	v_lshl_add_u64 v[38:39], v[0:1], 2, s[42:43]
	s_waitcnt lgkmcnt(0)
	global_store_dword v[38:39], v36, off
.LBB333_117:                            ;   in Loop: Header=BB333_97 Depth=1
	s_or_b64 exec, exec, s[6:7]
	v_add_u32_e32 v0, 0x800, v31
	v_cmp_gt_u32_e32 vcc, s5, v0
	s_and_saveexec_b64 s[6:7], vcc
	s_cbranch_execz .LBB333_119
; %bb.118:                              ;   in Loop: Header=BB333_97 Depth=1
	ds_read_b32 v0, v37 offset:8
	s_waitcnt lgkmcnt(0)
	v_lshlrev_b32_e32 v0, 2, v0
	ds_read_b32 v0, v0
	ds_read_b32 v36, v21 offset:9216
	s_waitcnt lgkmcnt(1)
	v_add3_u32 v0, v31, v0, s10
	v_lshl_add_u64 v[38:39], v[0:1], 2, s[42:43]
	s_waitcnt lgkmcnt(0)
	global_store_dword v[38:39], v36, off
.LBB333_119:                            ;   in Loop: Header=BB333_97 Depth=1
	s_or_b64 exec, exec, s[6:7]
	v_add_u32_e32 v0, 0xc00, v31
	v_cmp_gt_u32_e32 vcc, s5, v0
	s_and_saveexec_b64 s[6:7], vcc
	s_cbranch_execz .LBB333_96
; %bb.120:                              ;   in Loop: Header=BB333_97 Depth=1
	ds_read_b32 v0, v37 offset:12
	s_waitcnt lgkmcnt(0)
	v_lshlrev_b32_e32 v0, 2, v0
	ds_read_b32 v0, v0
	ds_read_b32 v38, v21 offset:13312
	s_waitcnt lgkmcnt(1)
	v_add3_u32 v0, v31, v0, s11
	v_lshl_add_u64 v[36:37], v[0:1], 2, s[42:43]
	s_waitcnt lgkmcnt(0)
	global_store_dword v[36:37], v38, off
	s_branch .LBB333_96
.LBB333_121:
	s_add_i32 s33, s33, -1
	s_cmp_eq_u32 s4, s33
	s_cselect_b64 s[0:1], -1, 0
	s_xor_b64 s[6:7], s[20:21], -1
	s_and_b64 s[6:7], s[6:7], s[0:1]
	s_and_saveexec_b64 s[0:1], s[6:7]
	s_cbranch_execz .LBB333_123
; %bb.122:
	ds_read_b32 v0, v21
	s_waitcnt lgkmcnt(0)
	v_add3_u32 v0, v6, v7, v0
	global_store_dword v21, v0, s[46:47]
.LBB333_123:
	s_or_b64 exec, exec, s[0:1]
	s_mov_b64 s[6:7], 0
.LBB333_124:
	s_and_b64 vcc, exec, s[6:7]
	s_cbranch_vccz .LBB333_199
; %bb.125:
	s_lshl_b32 s0, s4, 13
	s_mov_b32 s1, 0
	s_lshl_b64 s[10:11], s[0:1], 2
	v_mbcnt_hi_u32_b32 v10, -1, v20
	s_add_u32 s0, s36, s10
	v_and_b32_e32 v0, 63, v10
	v_mov_b32_e32 v5, 0
	s_addc_u32 s1, s37, s11
	v_lshlrev_b32_e32 v0, 2, v0
	v_mov_b32_e32 v1, v5
	v_lshl_add_u64 v[6:7], s[0:1], 0, v[0:1]
	s_load_dword s5, s[2:3], 0x58
	s_load_dword s0, s[2:3], 0x64
	v_and_b32_e32 v2, 0x1e00, v19
	v_lshlrev_b32_e32 v2, 2, v2
	v_mov_b32_e32 v3, v5
	v_lshl_add_u64 v[6:7], v[6:7], 0, v[2:3]
	global_load_dword v1, v[6:7], off
	s_add_u32 s1, s2, 0x58
	s_addc_u32 s2, s3, 0
	s_waitcnt lgkmcnt(0)
	s_lshr_b32 s3, s0, 16
	s_cmp_lt_u32 s4, s5
	s_cselect_b32 s0, 12, 18
	s_add_u32 s0, s1, s0
	s_addc_u32 s1, s2, 0
	global_load_ushort v4, v5, s[0:1]
	v_mul_u32_u24_e32 v11, 20, v8
	ds_write2_b32 v11, v5, v5 offset0:16 offset1:17
	ds_write2_b32 v11, v5, v5 offset0:18 offset1:19
	ds_write_b32 v11, v5 offset:80
	global_load_dword v3, v[6:7], off offset:256
	global_load_dword v20, v[6:7], off offset:512
	;; [unrolled: 1-line block ×7, first 2 shown]
	v_bfrev_b32_e32 v13, 1
	s_brev_b32 s12, -2
	v_mad_u32_u24 v6, v18, s3, v9
	s_lshl_b32 s2, -1, s49
	s_movk_i32 s13, 0x44
	v_mov_b32_e32 v28, v5
	v_mov_b32_e32 v30, v5
	;; [unrolled: 1-line block ×3, first 2 shown]
	s_not_b32 s14, s2
	v_mov_b32_e32 v34, v5
	s_waitcnt lgkmcnt(0)
	s_barrier
	s_waitcnt vmcnt(8)
	; wave barrier
	v_cmp_lt_i32_e32 vcc, -1, v1
	s_nop 1
	v_cndmask_b32_e32 v7, -1, v13, vcc
	v_xor_b32_e32 v1, v7, v1
	v_cmp_ne_u32_e32 vcc, s12, v1
	s_nop 1
	v_cndmask_b32_e32 v7, v13, v1, vcc
	v_lshrrev_b32_e32 v9, s48, v7
	s_waitcnt vmcnt(7)
	v_mad_u64_u32 v[6:7], s[0:1], v6, v4, v[8:9]
	v_bitop3_b32 v9, v9, s2, v9 bitop3:0x30
	v_lshrrev_b32_e32 v24, 6, v6
	v_mul_lo_u32 v6, v9, s13
	v_and_b32_e32 v4, 1, v9
	v_lshlrev_b32_e32 v29, 30, v9
	v_lshlrev_b32_e32 v31, 29, v9
	v_lshl_add_u32 v15, v24, 2, v6
	v_lshl_add_u64 v[6:7], v[4:5], 0, -1
	v_cmp_ne_u32_e32 vcc, 0, v4
	v_not_b32_e32 v4, v29
	v_lshlrev_b32_e32 v33, 28, v9
	v_cmp_gt_i64_e64 s[0:1], 0, v[28:29]
	v_not_b32_e32 v12, v31
	v_xor_b32_e32 v7, vcc_hi, v7
	v_xor_b32_e32 v6, vcc_lo, v6
	v_ashrrev_i32_e32 v4, 31, v4
	v_lshlrev_b32_e32 v35, 27, v9
	v_cmp_gt_i64_e64 s[2:3], 0, v[30:31]
	v_not_b32_e32 v16, v33
	v_ashrrev_i32_e32 v12, 31, v12
	v_and_b32_e32 v7, exec_hi, v7
	v_and_b32_e32 v6, exec_lo, v6
	v_xor_b32_e32 v19, s1, v4
	v_xor_b32_e32 v4, s0, v4
	v_cmp_gt_i64_e64 s[6:7], 0, v[32:33]
	v_not_b32_e32 v18, v35
	v_ashrrev_i32_e32 v16, 31, v16
	v_xor_b32_e32 v22, s3, v12
	v_xor_b32_e32 v12, s2, v12
	v_and_b32_e32 v7, v7, v19
	v_and_b32_e32 v4, v6, v4
	v_cmp_gt_i64_e64 s[8:9], 0, v[34:35]
	v_ashrrev_i32_e32 v18, 31, v18
	v_xor_b32_e32 v25, s7, v16
	v_xor_b32_e32 v16, s6, v16
	v_and_b32_e32 v6, v7, v22
	v_and_b32_e32 v4, v4, v12
	v_xor_b32_e32 v26, s9, v18
	v_and_b32_e32 v6, v6, v25
	v_and_b32_e32 v4, v4, v16
	;; [unrolled: 3-line block ×3, first 2 shown]
	v_lshlrev_b32_e32 v7, 26, v9
	v_mov_b32_e32 v6, v5
	v_cmp_gt_i64_e32 vcc, 0, v[6:7]
	v_not_b32_e32 v6, v7
	v_ashrrev_i32_e32 v6, 31, v6
	v_xor_b32_e32 v7, vcc_hi, v6
	v_xor_b32_e32 v6, vcc_lo, v6
	v_and_b32_e32 v12, v12, v7
	v_and_b32_e32 v4, v4, v6
	v_lshlrev_b32_e32 v7, 25, v9
	v_mov_b32_e32 v6, v5
	v_cmp_gt_i64_e32 vcc, 0, v[6:7]
	v_not_b32_e32 v6, v7
	v_ashrrev_i32_e32 v6, 31, v6
	v_xor_b32_e32 v7, vcc_hi, v6
	v_xor_b32_e32 v6, vcc_lo, v6
	v_and_b32_e32 v12, v12, v7
	v_and_b32_e32 v4, v4, v6
	v_lshlrev_b32_e32 v7, 24, v9
	v_mov_b32_e32 v6, v5
	v_cmp_gt_i64_e32 vcc, 0, v[6:7]
	v_not_b32_e32 v6, v7
	v_ashrrev_i32_e32 v6, 31, v6
	v_xor_b32_e32 v7, vcc_hi, v6
	v_xor_b32_e32 v6, vcc_lo, v6
	v_and_b32_e32 v6, v4, v6
	v_and_b32_e32 v7, v12, v7
	v_mbcnt_lo_u32_b32 v4, v6, 0
	v_mbcnt_hi_u32_b32 v12, v7, v4
	v_cmp_eq_u32_e32 vcc, 0, v12
	v_cmp_ne_u64_e64 s[0:1], 0, v[6:7]
	s_and_b64 s[2:3], s[0:1], vcc
	s_and_saveexec_b64 s[0:1], s[2:3]
; %bb.126:
	v_bcnt_u32_b32 v4, v6, 0
	v_bcnt_u32_b32 v4, v7, v4
	ds_write_b32 v15, v4 offset:64
; %bb.127:
	s_or_b64 exec, exec, s[0:1]
	s_waitcnt vmcnt(6)
	v_cmp_lt_i32_e32 vcc, -1, v3
	; wave barrier
	s_nop 1
	v_cndmask_b32_e32 v4, -1, v13, vcc
	v_xor_b32_e32 v3, v4, v3
	v_cmp_ne_u32_e32 vcc, s12, v3
	s_nop 1
	v_cndmask_b32_e32 v4, v13, v3, vcc
	v_lshrrev_b32_e32 v4, s48, v4
	v_and_b32_e32 v9, s14, v4
	v_mul_lo_u32 v4, v9, s13
	v_lshl_add_u32 v19, v24, 2, v4
	v_and_b32_e32 v4, 1, v9
	v_lshl_add_u64 v[6:7], v[4:5], 0, -1
	v_cmp_ne_u32_e32 vcc, 0, v4
	ds_read_b32 v13, v19 offset:64
	s_nop 0
	v_xor_b32_e32 v6, vcc_lo, v6
	v_xor_b32_e32 v4, vcc_hi, v7
	v_and_b32_e32 v16, exec_lo, v6
	v_lshlrev_b32_e32 v7, 30, v9
	v_mov_b32_e32 v6, v5
	v_cmp_gt_i64_e32 vcc, 0, v[6:7]
	v_not_b32_e32 v6, v7
	v_ashrrev_i32_e32 v6, 31, v6
	v_and_b32_e32 v4, exec_hi, v4
	v_xor_b32_e32 v7, vcc_hi, v6
	v_xor_b32_e32 v6, vcc_lo, v6
	v_and_b32_e32 v4, v4, v7
	v_and_b32_e32 v16, v16, v6
	v_lshlrev_b32_e32 v7, 29, v9
	v_mov_b32_e32 v6, v5
	v_cmp_gt_i64_e32 vcc, 0, v[6:7]
	v_not_b32_e32 v6, v7
	v_ashrrev_i32_e32 v6, 31, v6
	v_xor_b32_e32 v7, vcc_hi, v6
	v_xor_b32_e32 v6, vcc_lo, v6
	v_and_b32_e32 v4, v4, v7
	v_and_b32_e32 v16, v16, v6
	v_lshlrev_b32_e32 v7, 28, v9
	v_mov_b32_e32 v6, v5
	v_cmp_gt_i64_e32 vcc, 0, v[6:7]
	v_not_b32_e32 v6, v7
	v_ashrrev_i32_e32 v6, 31, v6
	;; [unrolled: 9-line block ×5, first 2 shown]
	v_xor_b32_e32 v7, vcc_hi, v6
	v_xor_b32_e32 v6, vcc_lo, v6
	v_and_b32_e32 v4, v4, v7
	v_lshlrev_b32_e32 v7, 24, v9
	v_and_b32_e32 v16, v16, v6
	v_mov_b32_e32 v6, v5
	v_not_b32_e32 v5, v7
	v_cmp_gt_i64_e32 vcc, 0, v[6:7]
	v_ashrrev_i32_e32 v5, 31, v5
	; wave barrier
	s_nop 0
	v_xor_b32_e32 v6, vcc_hi, v5
	v_xor_b32_e32 v7, vcc_lo, v5
	v_and_b32_e32 v5, v4, v6
	v_and_b32_e32 v4, v16, v7
	v_mbcnt_lo_u32_b32 v6, v4, 0
	v_mbcnt_hi_u32_b32 v16, v5, v6
	v_cmp_eq_u32_e32 vcc, 0, v16
	v_cmp_ne_u64_e64 s[0:1], 0, v[4:5]
	s_and_b64 s[2:3], s[0:1], vcc
	s_and_saveexec_b64 s[0:1], s[2:3]
	s_cbranch_execz .LBB333_129
; %bb.128:
	v_bcnt_u32_b32 v4, v4, 0
	v_bcnt_u32_b32 v4, v5, v4
	s_waitcnt lgkmcnt(0)
	v_add_u32_e32 v4, v13, v4
	ds_write_b32 v19, v4 offset:64
.LBB333_129:
	s_or_b64 exec, exec, s[0:1]
	v_bfrev_b32_e32 v22, 1
	s_waitcnt vmcnt(5)
	v_cmp_lt_i32_e32 vcc, -1, v20
	s_brev_b32 s2, -2
	s_movk_i32 s3, 0x44
	v_cndmask_b32_e32 v4, -1, v22, vcc
	v_xor_b32_e32 v9, v4, v20
	v_cmp_ne_u32_e32 vcc, s2, v9
	v_mov_b32_e32 v5, 0
	s_nop 0
	v_cndmask_b32_e32 v4, v22, v9, vcc
	v_lshrrev_b32_e32 v4, s48, v4
	v_and_b32_e32 v20, s14, v4
	v_mul_lo_u32 v4, v20, s3
	v_lshl_add_u32 v25, v24, 2, v4
	v_and_b32_e32 v4, 1, v20
	v_lshl_add_u64 v[6:7], v[4:5], 0, -1
	v_cmp_ne_u32_e32 vcc, 0, v4
	; wave barrier
	ds_read_b32 v18, v25 offset:64
	s_nop 0
	v_xor_b32_e32 v6, vcc_lo, v6
	v_xor_b32_e32 v4, vcc_hi, v7
	v_and_b32_e32 v26, exec_lo, v6
	v_lshlrev_b32_e32 v7, 30, v20
	v_mov_b32_e32 v6, v5
	v_cmp_gt_i64_e32 vcc, 0, v[6:7]
	v_not_b32_e32 v6, v7
	v_ashrrev_i32_e32 v6, 31, v6
	v_and_b32_e32 v4, exec_hi, v4
	v_xor_b32_e32 v7, vcc_hi, v6
	v_xor_b32_e32 v6, vcc_lo, v6
	v_and_b32_e32 v4, v4, v7
	v_and_b32_e32 v26, v26, v6
	v_lshlrev_b32_e32 v7, 29, v20
	v_mov_b32_e32 v6, v5
	v_cmp_gt_i64_e32 vcc, 0, v[6:7]
	v_not_b32_e32 v6, v7
	v_ashrrev_i32_e32 v6, 31, v6
	v_xor_b32_e32 v7, vcc_hi, v6
	v_xor_b32_e32 v6, vcc_lo, v6
	v_and_b32_e32 v4, v4, v7
	v_and_b32_e32 v26, v26, v6
	v_lshlrev_b32_e32 v7, 28, v20
	v_mov_b32_e32 v6, v5
	v_cmp_gt_i64_e32 vcc, 0, v[6:7]
	v_not_b32_e32 v6, v7
	v_ashrrev_i32_e32 v6, 31, v6
	;; [unrolled: 9-line block ×6, first 2 shown]
	v_xor_b32_e32 v7, vcc_hi, v6
	v_xor_b32_e32 v6, vcc_lo, v6
	v_and_b32_e32 v6, v26, v6
	v_and_b32_e32 v7, v4, v7
	v_mbcnt_lo_u32_b32 v4, v6, 0
	v_mbcnt_hi_u32_b32 v20, v7, v4
	v_cmp_eq_u32_e32 vcc, 0, v20
	v_cmp_ne_u64_e64 s[0:1], 0, v[6:7]
	s_and_b64 s[6:7], s[0:1], vcc
	; wave barrier
	s_and_saveexec_b64 s[0:1], s[6:7]
	s_cbranch_execz .LBB333_131
; %bb.130:
	v_bcnt_u32_b32 v4, v6, 0
	v_bcnt_u32_b32 v4, v7, v4
	s_waitcnt lgkmcnt(0)
	v_add_u32_e32 v4, v18, v4
	ds_write_b32 v25, v4 offset:64
.LBB333_131:
	s_or_b64 exec, exec, s[0:1]
	s_waitcnt vmcnt(4)
	v_cmp_lt_i32_e32 vcc, -1, v14
	; wave barrier
	s_nop 1
	v_cndmask_b32_e32 v4, -1, v22, vcc
	v_xor_b32_e32 v14, v4, v14
	v_cmp_ne_u32_e32 vcc, s2, v14
	s_nop 1
	v_cndmask_b32_e32 v4, v22, v14, vcc
	v_lshrrev_b32_e32 v4, s48, v4
	v_and_b32_e32 v26, s14, v4
	v_mul_lo_u32 v4, v26, s3
	v_lshl_add_u32 v29, v24, 2, v4
	v_and_b32_e32 v4, 1, v26
	v_lshl_add_u64 v[6:7], v[4:5], 0, -1
	v_cmp_ne_u32_e32 vcc, 0, v4
	ds_read_b32 v22, v29 offset:64
	s_nop 0
	v_xor_b32_e32 v6, vcc_lo, v6
	v_xor_b32_e32 v4, vcc_hi, v7
	v_and_b32_e32 v28, exec_lo, v6
	v_lshlrev_b32_e32 v7, 30, v26
	v_mov_b32_e32 v6, v5
	v_cmp_gt_i64_e32 vcc, 0, v[6:7]
	v_not_b32_e32 v6, v7
	v_ashrrev_i32_e32 v6, 31, v6
	v_and_b32_e32 v4, exec_hi, v4
	v_xor_b32_e32 v7, vcc_hi, v6
	v_xor_b32_e32 v6, vcc_lo, v6
	v_and_b32_e32 v4, v4, v7
	v_and_b32_e32 v28, v28, v6
	v_lshlrev_b32_e32 v7, 29, v26
	v_mov_b32_e32 v6, v5
	v_cmp_gt_i64_e32 vcc, 0, v[6:7]
	v_not_b32_e32 v6, v7
	v_ashrrev_i32_e32 v6, 31, v6
	v_xor_b32_e32 v7, vcc_hi, v6
	v_xor_b32_e32 v6, vcc_lo, v6
	v_and_b32_e32 v4, v4, v7
	v_and_b32_e32 v28, v28, v6
	v_lshlrev_b32_e32 v7, 28, v26
	v_mov_b32_e32 v6, v5
	v_cmp_gt_i64_e32 vcc, 0, v[6:7]
	v_not_b32_e32 v6, v7
	v_ashrrev_i32_e32 v6, 31, v6
	v_xor_b32_e32 v7, vcc_hi, v6
	v_xor_b32_e32 v6, vcc_lo, v6
	v_and_b32_e32 v4, v4, v7
	v_and_b32_e32 v28, v28, v6
	v_lshlrev_b32_e32 v7, 27, v26
	v_mov_b32_e32 v6, v5
	v_cmp_gt_i64_e32 vcc, 0, v[6:7]
	v_not_b32_e32 v6, v7
	v_ashrrev_i32_e32 v6, 31, v6
	v_xor_b32_e32 v7, vcc_hi, v6
	v_xor_b32_e32 v6, vcc_lo, v6
	v_and_b32_e32 v4, v4, v7
	v_and_b32_e32 v28, v28, v6
	v_lshlrev_b32_e32 v7, 26, v26
	v_mov_b32_e32 v6, v5
	v_cmp_gt_i64_e32 vcc, 0, v[6:7]
	v_not_b32_e32 v6, v7
	v_ashrrev_i32_e32 v6, 31, v6
	v_xor_b32_e32 v7, vcc_hi, v6
	v_xor_b32_e32 v6, vcc_lo, v6
	v_and_b32_e32 v4, v4, v7
	v_and_b32_e32 v28, v28, v6
	v_lshlrev_b32_e32 v7, 25, v26
	v_mov_b32_e32 v6, v5
	v_cmp_gt_i64_e32 vcc, 0, v[6:7]
	v_not_b32_e32 v6, v7
	v_ashrrev_i32_e32 v6, 31, v6
	v_xor_b32_e32 v7, vcc_hi, v6
	v_xor_b32_e32 v6, vcc_lo, v6
	v_and_b32_e32 v4, v4, v7
	v_lshlrev_b32_e32 v7, 24, v26
	v_and_b32_e32 v28, v28, v6
	v_mov_b32_e32 v6, v5
	v_not_b32_e32 v5, v7
	v_cmp_gt_i64_e32 vcc, 0, v[6:7]
	v_ashrrev_i32_e32 v5, 31, v5
	; wave barrier
	s_nop 0
	v_xor_b32_e32 v6, vcc_hi, v5
	v_xor_b32_e32 v7, vcc_lo, v5
	v_and_b32_e32 v5, v4, v6
	v_and_b32_e32 v4, v28, v7
	v_mbcnt_lo_u32_b32 v6, v4, 0
	v_mbcnt_hi_u32_b32 v26, v5, v6
	v_cmp_eq_u32_e32 vcc, 0, v26
	v_cmp_ne_u64_e64 s[0:1], 0, v[4:5]
	s_and_b64 s[2:3], s[0:1], vcc
	s_and_saveexec_b64 s[0:1], s[2:3]
	s_cbranch_execz .LBB333_133
; %bb.132:
	v_bcnt_u32_b32 v4, v4, 0
	v_bcnt_u32_b32 v4, v5, v4
	s_waitcnt lgkmcnt(0)
	v_add_u32_e32 v4, v22, v4
	ds_write_b32 v29, v4 offset:64
.LBB333_133:
	s_or_b64 exec, exec, s[0:1]
	v_bfrev_b32_e32 v31, 1
	s_waitcnt vmcnt(3)
	v_cmp_lt_i32_e32 vcc, -1, v17
	s_brev_b32 s2, -2
	s_movk_i32 s3, 0x44
	v_cndmask_b32_e32 v4, -1, v31, vcc
	v_xor_b32_e32 v17, v4, v17
	v_cmp_ne_u32_e32 vcc, s2, v17
	v_mov_b32_e32 v5, 0
	s_nop 0
	v_cndmask_b32_e32 v4, v31, v17, vcc
	v_lshrrev_b32_e32 v4, s48, v4
	v_and_b32_e32 v30, s14, v4
	v_mul_lo_u32 v4, v30, s3
	v_lshl_add_u32 v33, v24, 2, v4
	v_and_b32_e32 v4, 1, v30
	v_lshl_add_u64 v[6:7], v[4:5], 0, -1
	v_cmp_ne_u32_e32 vcc, 0, v4
	; wave barrier
	ds_read_b32 v28, v33 offset:64
	s_nop 0
	v_xor_b32_e32 v6, vcc_lo, v6
	v_xor_b32_e32 v4, vcc_hi, v7
	v_and_b32_e32 v32, exec_lo, v6
	v_lshlrev_b32_e32 v7, 30, v30
	v_mov_b32_e32 v6, v5
	v_cmp_gt_i64_e32 vcc, 0, v[6:7]
	v_not_b32_e32 v6, v7
	v_ashrrev_i32_e32 v6, 31, v6
	v_and_b32_e32 v4, exec_hi, v4
	v_xor_b32_e32 v7, vcc_hi, v6
	v_xor_b32_e32 v6, vcc_lo, v6
	v_and_b32_e32 v4, v4, v7
	v_and_b32_e32 v32, v32, v6
	v_lshlrev_b32_e32 v7, 29, v30
	v_mov_b32_e32 v6, v5
	v_cmp_gt_i64_e32 vcc, 0, v[6:7]
	v_not_b32_e32 v6, v7
	v_ashrrev_i32_e32 v6, 31, v6
	v_xor_b32_e32 v7, vcc_hi, v6
	v_xor_b32_e32 v6, vcc_lo, v6
	v_and_b32_e32 v4, v4, v7
	v_and_b32_e32 v32, v32, v6
	v_lshlrev_b32_e32 v7, 28, v30
	v_mov_b32_e32 v6, v5
	v_cmp_gt_i64_e32 vcc, 0, v[6:7]
	v_not_b32_e32 v6, v7
	v_ashrrev_i32_e32 v6, 31, v6
	;; [unrolled: 9-line block ×6, first 2 shown]
	v_xor_b32_e32 v7, vcc_hi, v6
	v_xor_b32_e32 v6, vcc_lo, v6
	v_and_b32_e32 v6, v32, v6
	v_and_b32_e32 v7, v4, v7
	v_mbcnt_lo_u32_b32 v4, v6, 0
	v_mbcnt_hi_u32_b32 v30, v7, v4
	v_cmp_eq_u32_e32 vcc, 0, v30
	v_cmp_ne_u64_e64 s[0:1], 0, v[6:7]
	s_and_b64 s[6:7], s[0:1], vcc
	; wave barrier
	s_and_saveexec_b64 s[0:1], s[6:7]
	s_cbranch_execz .LBB333_135
; %bb.134:
	v_bcnt_u32_b32 v4, v6, 0
	v_bcnt_u32_b32 v4, v7, v4
	s_waitcnt lgkmcnt(0)
	v_add_u32_e32 v4, v28, v4
	ds_write_b32 v33, v4 offset:64
.LBB333_135:
	s_or_b64 exec, exec, s[0:1]
	s_waitcnt vmcnt(2)
	v_cmp_lt_i32_e32 vcc, -1, v21
	; wave barrier
	s_nop 1
	v_cndmask_b32_e32 v4, -1, v31, vcc
	v_xor_b32_e32 v21, v4, v21
	v_cmp_ne_u32_e32 vcc, s2, v21
	s_nop 1
	v_cndmask_b32_e32 v4, v31, v21, vcc
	v_lshrrev_b32_e32 v4, s48, v4
	v_and_b32_e32 v31, s14, v4
	v_mul_lo_u32 v4, v31, s3
	v_lshl_add_u32 v36, v24, 2, v4
	v_and_b32_e32 v4, 1, v31
	v_lshl_add_u64 v[6:7], v[4:5], 0, -1
	v_cmp_ne_u32_e32 vcc, 0, v4
	ds_read_b32 v32, v36 offset:64
	s_nop 0
	v_xor_b32_e32 v6, vcc_lo, v6
	v_xor_b32_e32 v4, vcc_hi, v7
	v_and_b32_e32 v34, exec_lo, v6
	v_lshlrev_b32_e32 v7, 30, v31
	v_mov_b32_e32 v6, v5
	v_cmp_gt_i64_e32 vcc, 0, v[6:7]
	v_not_b32_e32 v6, v7
	v_ashrrev_i32_e32 v6, 31, v6
	v_and_b32_e32 v4, exec_hi, v4
	v_xor_b32_e32 v7, vcc_hi, v6
	v_xor_b32_e32 v6, vcc_lo, v6
	v_and_b32_e32 v4, v4, v7
	v_and_b32_e32 v34, v34, v6
	v_lshlrev_b32_e32 v7, 29, v31
	v_mov_b32_e32 v6, v5
	v_cmp_gt_i64_e32 vcc, 0, v[6:7]
	v_not_b32_e32 v6, v7
	v_ashrrev_i32_e32 v6, 31, v6
	v_xor_b32_e32 v7, vcc_hi, v6
	v_xor_b32_e32 v6, vcc_lo, v6
	v_and_b32_e32 v4, v4, v7
	v_and_b32_e32 v34, v34, v6
	v_lshlrev_b32_e32 v7, 28, v31
	v_mov_b32_e32 v6, v5
	v_cmp_gt_i64_e32 vcc, 0, v[6:7]
	v_not_b32_e32 v6, v7
	v_ashrrev_i32_e32 v6, 31, v6
	;; [unrolled: 9-line block ×5, first 2 shown]
	v_xor_b32_e32 v7, vcc_hi, v6
	v_xor_b32_e32 v6, vcc_lo, v6
	v_and_b32_e32 v4, v4, v7
	v_lshlrev_b32_e32 v7, 24, v31
	v_and_b32_e32 v34, v34, v6
	v_mov_b32_e32 v6, v5
	v_not_b32_e32 v5, v7
	v_cmp_gt_i64_e32 vcc, 0, v[6:7]
	v_ashrrev_i32_e32 v5, 31, v5
	; wave barrier
	s_nop 0
	v_xor_b32_e32 v6, vcc_hi, v5
	v_xor_b32_e32 v7, vcc_lo, v5
	v_and_b32_e32 v5, v4, v6
	v_and_b32_e32 v4, v34, v7
	v_mbcnt_lo_u32_b32 v6, v4, 0
	v_mbcnt_hi_u32_b32 v34, v5, v6
	v_cmp_eq_u32_e32 vcc, 0, v34
	v_cmp_ne_u64_e64 s[0:1], 0, v[4:5]
	s_and_b64 s[2:3], s[0:1], vcc
	s_and_saveexec_b64 s[0:1], s[2:3]
	s_cbranch_execz .LBB333_137
; %bb.136:
	v_bcnt_u32_b32 v4, v4, 0
	v_bcnt_u32_b32 v4, v5, v4
	s_waitcnt lgkmcnt(0)
	v_add_u32_e32 v4, v32, v4
	ds_write_b32 v36, v4 offset:64
.LBB333_137:
	s_or_b64 exec, exec, s[0:1]
	v_bfrev_b32_e32 v39, 1
	s_waitcnt vmcnt(1)
	v_cmp_lt_i32_e32 vcc, -1, v27
	s_brev_b32 s2, -2
	s_movk_i32 s3, 0x44
	v_cndmask_b32_e32 v4, -1, v39, vcc
	v_xor_b32_e32 v27, v4, v27
	v_cmp_ne_u32_e32 vcc, s2, v27
	v_mov_b32_e32 v5, 0
	s_nop 0
	v_cndmask_b32_e32 v4, v39, v27, vcc
	v_lshrrev_b32_e32 v4, s48, v4
	v_and_b32_e32 v31, s14, v4
	v_mul_lo_u32 v4, v31, s3
	v_lshl_add_u32 v38, v24, 2, v4
	v_and_b32_e32 v4, 1, v31
	v_lshl_add_u64 v[6:7], v[4:5], 0, -1
	v_cmp_ne_u32_e32 vcc, 0, v4
	; wave barrier
	ds_read_b32 v35, v38 offset:64
	s_nop 0
	v_xor_b32_e32 v6, vcc_lo, v6
	v_xor_b32_e32 v4, vcc_hi, v7
	v_and_b32_e32 v37, exec_lo, v6
	v_lshlrev_b32_e32 v7, 30, v31
	v_mov_b32_e32 v6, v5
	v_cmp_gt_i64_e32 vcc, 0, v[6:7]
	v_not_b32_e32 v6, v7
	v_ashrrev_i32_e32 v6, 31, v6
	v_and_b32_e32 v4, exec_hi, v4
	v_xor_b32_e32 v7, vcc_hi, v6
	v_xor_b32_e32 v6, vcc_lo, v6
	v_and_b32_e32 v4, v4, v7
	v_and_b32_e32 v37, v37, v6
	v_lshlrev_b32_e32 v7, 29, v31
	v_mov_b32_e32 v6, v5
	v_cmp_gt_i64_e32 vcc, 0, v[6:7]
	v_not_b32_e32 v6, v7
	v_ashrrev_i32_e32 v6, 31, v6
	v_xor_b32_e32 v7, vcc_hi, v6
	v_xor_b32_e32 v6, vcc_lo, v6
	v_and_b32_e32 v4, v4, v7
	v_and_b32_e32 v37, v37, v6
	v_lshlrev_b32_e32 v7, 28, v31
	v_mov_b32_e32 v6, v5
	v_cmp_gt_i64_e32 vcc, 0, v[6:7]
	v_not_b32_e32 v6, v7
	v_ashrrev_i32_e32 v6, 31, v6
	;; [unrolled: 9-line block ×6, first 2 shown]
	v_xor_b32_e32 v7, vcc_hi, v6
	v_xor_b32_e32 v6, vcc_lo, v6
	v_and_b32_e32 v6, v37, v6
	v_and_b32_e32 v7, v4, v7
	v_mbcnt_lo_u32_b32 v4, v6, 0
	v_mbcnt_hi_u32_b32 v37, v7, v4
	v_cmp_eq_u32_e32 vcc, 0, v37
	v_cmp_ne_u64_e64 s[0:1], 0, v[6:7]
	s_and_b64 s[6:7], s[0:1], vcc
	; wave barrier
	s_and_saveexec_b64 s[0:1], s[6:7]
	s_cbranch_execz .LBB333_139
; %bb.138:
	v_bcnt_u32_b32 v4, v6, 0
	v_bcnt_u32_b32 v4, v7, v4
	s_waitcnt lgkmcnt(0)
	v_add_u32_e32 v4, v35, v4
	ds_write_b32 v38, v4 offset:64
.LBB333_139:
	s_or_b64 exec, exec, s[0:1]
	s_waitcnt vmcnt(0)
	v_cmp_lt_i32_e32 vcc, -1, v23
	; wave barrier
	s_nop 1
	v_cndmask_b32_e32 v4, -1, v39, vcc
	v_xor_b32_e32 v31, v4, v23
	v_cmp_ne_u32_e32 vcc, s2, v31
	s_nop 1
	v_cndmask_b32_e32 v4, v39, v31, vcc
	v_lshrrev_b32_e32 v4, s48, v4
	v_and_b32_e32 v23, s14, v4
	v_mul_lo_u32 v4, v23, s3
	v_lshl_add_u32 v40, v24, 2, v4
	v_and_b32_e32 v4, 1, v23
	v_lshl_add_u64 v[6:7], v[4:5], 0, -1
	v_cmp_ne_u32_e32 vcc, 0, v4
	ds_read_b32 v24, v40 offset:64
	s_nop 0
	v_xor_b32_e32 v6, vcc_lo, v6
	v_xor_b32_e32 v4, vcc_hi, v7
	v_and_b32_e32 v39, exec_lo, v6
	v_lshlrev_b32_e32 v7, 30, v23
	v_mov_b32_e32 v6, v5
	v_cmp_gt_i64_e32 vcc, 0, v[6:7]
	v_not_b32_e32 v6, v7
	v_ashrrev_i32_e32 v6, 31, v6
	v_and_b32_e32 v4, exec_hi, v4
	v_xor_b32_e32 v7, vcc_hi, v6
	v_xor_b32_e32 v6, vcc_lo, v6
	v_and_b32_e32 v4, v4, v7
	v_and_b32_e32 v39, v39, v6
	v_lshlrev_b32_e32 v7, 29, v23
	v_mov_b32_e32 v6, v5
	v_cmp_gt_i64_e32 vcc, 0, v[6:7]
	v_not_b32_e32 v6, v7
	v_ashrrev_i32_e32 v6, 31, v6
	v_xor_b32_e32 v7, vcc_hi, v6
	v_xor_b32_e32 v6, vcc_lo, v6
	v_and_b32_e32 v4, v4, v7
	v_and_b32_e32 v39, v39, v6
	v_lshlrev_b32_e32 v7, 28, v23
	v_mov_b32_e32 v6, v5
	v_cmp_gt_i64_e32 vcc, 0, v[6:7]
	v_not_b32_e32 v6, v7
	v_ashrrev_i32_e32 v6, 31, v6
	;; [unrolled: 9-line block ×5, first 2 shown]
	v_xor_b32_e32 v7, vcc_hi, v6
	v_xor_b32_e32 v6, vcc_lo, v6
	v_and_b32_e32 v4, v4, v7
	v_lshlrev_b32_e32 v7, 24, v23
	v_and_b32_e32 v39, v39, v6
	v_mov_b32_e32 v6, v5
	v_not_b32_e32 v5, v7
	v_cmp_gt_i64_e32 vcc, 0, v[6:7]
	v_ashrrev_i32_e32 v5, 31, v5
	; wave barrier
	s_nop 0
	v_xor_b32_e32 v6, vcc_hi, v5
	v_xor_b32_e32 v7, vcc_lo, v5
	v_and_b32_e32 v5, v4, v6
	v_and_b32_e32 v4, v39, v7
	v_mbcnt_lo_u32_b32 v6, v4, 0
	v_mbcnt_hi_u32_b32 v39, v5, v6
	v_cmp_eq_u32_e32 vcc, 0, v39
	v_cmp_ne_u64_e64 s[0:1], 0, v[4:5]
	s_and_b64 s[2:3], s[0:1], vcc
	s_and_saveexec_b64 s[0:1], s[2:3]
	s_cbranch_execz .LBB333_141
; %bb.140:
	v_bcnt_u32_b32 v4, v4, 0
	v_bcnt_u32_b32 v4, v5, v4
	s_waitcnt lgkmcnt(0)
	v_add_u32_e32 v4, v24, v4
	ds_write_b32 v40, v4 offset:64
.LBB333_141:
	s_or_b64 exec, exec, s[0:1]
	; wave barrier
	s_waitcnt lgkmcnt(0)
	s_barrier
	ds_read2_b32 v[6:7], v11 offset0:16 offset1:17
	ds_read2_b32 v[4:5], v11 offset0:18 offset1:19
	ds_read_b32 v23, v11 offset:80
	v_cmp_lt_u32_e64 s[8:9], 31, v10
	s_waitcnt lgkmcnt(1)
	v_add3_u32 v41, v7, v6, v4
	s_waitcnt lgkmcnt(0)
	v_add3_u32 v23, v41, v5, v23
	v_and_b32_e32 v41, 15, v10
	v_cmp_eq_u32_e32 vcc, 0, v41
	v_mov_b32_dpp v42, v23 row_shr:1 row_mask:0xf bank_mask:0xf
	v_cmp_lt_u32_e64 s[0:1], 1, v41
	v_cndmask_b32_e64 v42, v42, 0, vcc
	v_add_u32_e32 v23, v42, v23
	v_cmp_lt_u32_e64 s[2:3], 3, v41
	v_cmp_lt_u32_e64 s[6:7], 7, v41
	v_mov_b32_dpp v42, v23 row_shr:2 row_mask:0xf bank_mask:0xf
	v_cndmask_b32_e64 v42, 0, v42, s[0:1]
	v_add_u32_e32 v23, v23, v42
	s_nop 1
	v_mov_b32_dpp v42, v23 row_shr:4 row_mask:0xf bank_mask:0xf
	v_cndmask_b32_e64 v42, 0, v42, s[2:3]
	v_add_u32_e32 v23, v23, v42
	s_nop 1
	v_mov_b32_dpp v42, v23 row_shr:8 row_mask:0xf bank_mask:0xf
	v_cndmask_b32_e64 v41, 0, v42, s[6:7]
	v_add_u32_e32 v23, v23, v41
	v_bfe_i32 v42, v10, 4, 1
	s_nop 0
	v_mov_b32_dpp v41, v23 row_bcast:15 row_mask:0xf bank_mask:0xf
	v_and_b32_e32 v41, v42, v41
	v_add_u32_e32 v23, v23, v41
	v_lshrrev_b32_e32 v42, 6, v8
	s_nop 0
	v_mov_b32_dpp v41, v23 row_bcast:31 row_mask:0xf bank_mask:0xf
	v_cndmask_b32_e64 v41, 0, v41, s[8:9]
	v_add_u32_e32 v41, v23, v41
	v_and_b32_e32 v23, 63, v8
	v_cmp_eq_u32_e64 s[8:9], 63, v23
	s_and_saveexec_b64 s[12:13], s[8:9]
; %bb.142:
	v_lshlrev_b32_e32 v23, 2, v42
	ds_write_b32 v23, v41
; %bb.143:
	s_or_b64 exec, exec, s[12:13]
	v_cmp_gt_u32_e64 s[8:9], 16, v8
	v_lshlrev_b32_e32 v23, 2, v8
	s_waitcnt lgkmcnt(0)
	s_barrier
	s_and_saveexec_b64 s[12:13], s[8:9]
	s_cbranch_execz .LBB333_145
; %bb.144:
	ds_read_b32 v43, v23
	s_waitcnt lgkmcnt(0)
	s_nop 0
	v_mov_b32_dpp v44, v43 row_shr:1 row_mask:0xf bank_mask:0xf
	v_cndmask_b32_e64 v44, v44, 0, vcc
	v_add_u32_e32 v43, v44, v43
	s_nop 1
	v_mov_b32_dpp v44, v43 row_shr:2 row_mask:0xf bank_mask:0xf
	v_cndmask_b32_e64 v44, 0, v44, s[0:1]
	v_add_u32_e32 v43, v43, v44
	s_nop 1
	v_mov_b32_dpp v44, v43 row_shr:4 row_mask:0xf bank_mask:0xf
	v_cndmask_b32_e64 v44, 0, v44, s[2:3]
	;; [unrolled: 4-line block ×3, first 2 shown]
	v_add_u32_e32 v43, v43, v44
	ds_write_b32 v23, v43
.LBB333_145:
	s_or_b64 exec, exec, s[12:13]
	v_cmp_lt_u32_e32 vcc, 63, v8
	v_mov_b32_e32 v43, 0
	s_waitcnt lgkmcnt(0)
	s_barrier
	s_and_saveexec_b64 s[0:1], vcc
; %bb.146:
	v_lshl_add_u32 v42, v42, 2, -4
	ds_read_b32 v43, v42
; %bb.147:
	s_or_b64 exec, exec, s[0:1]
	v_subrev_co_u32_e32 v42, vcc, 1, v10
	v_and_b32_e32 v44, 64, v10
	v_cmp_lt_i32_e64 s[0:1], v42, v44
	s_waitcnt lgkmcnt(0)
	v_add_u32_e32 v41, v43, v41
	s_movk_i32 s2, 0x100
	v_cndmask_b32_e64 v10, v42, v10, s[0:1]
	v_lshlrev_b32_e32 v10, 2, v10
	ds_bpermute_b32 v10, v10, v41
	s_movk_i32 s0, 0xff
	v_cmp_lt_u32_e64 s[0:1], s0, v8
	s_waitcnt lgkmcnt(0)
	v_cndmask_b32_e32 v10, v10, v43, vcc
	v_cmp_ne_u32_e32 vcc, 0, v8
	s_nop 1
	v_cndmask_b32_e32 v10, 0, v10, vcc
	v_add_u32_e32 v6, v10, v6
	v_add_u32_e32 v7, v6, v7
	;; [unrolled: 1-line block ×4, first 2 shown]
	ds_write2_b32 v11, v10, v6 offset0:16 offset1:17
	ds_write2_b32 v11, v7, v4 offset0:18 offset1:19
	ds_write_b32 v11, v5 offset:80
	s_waitcnt lgkmcnt(0)
	s_barrier
	ds_read_b32 v44, v15 offset:64
	ds_read_b32 v41, v19 offset:64
	;; [unrolled: 1-line block ×8, first 2 shown]
	v_cmp_gt_u32_e32 vcc, s2, v8
                                        ; implicit-def: $vgpr15
                                        ; implicit-def: $vgpr19
	s_and_saveexec_b64 s[6:7], vcc
	s_cbranch_execz .LBB333_151
; %bb.148:
	v_mul_u32_u24_e32 v4, 0x44, v8
	ds_read_b32 v15, v4 offset:64
	v_add_u32_e32 v5, 1, v8
	v_cmp_ne_u32_e64 s[2:3], s2, v5
	v_mov_b32_e32 v4, 0x2000
	s_and_saveexec_b64 s[8:9], s[2:3]
; %bb.149:
	v_mul_u32_u24_e32 v4, 0x44, v5
	ds_read_b32 v4, v4 offset:64
; %bb.150:
	s_or_b64 exec, exec, s[8:9]
	s_waitcnt lgkmcnt(0)
	v_sub_u32_e32 v19, v4, v15
.LBB333_151:
	s_or_b64 exec, exec, s[6:7]
	v_mov_b32_e32 v5, 0
	s_waitcnt lgkmcnt(0)
	s_barrier
	s_and_saveexec_b64 s[2:3], vcc
	s_cbranch_execz .LBB333_161
; %bb.152:
	v_lshl_add_u32 v4, s4, 8, v8
	v_lshl_add_u64 v[6:7], v[4:5], 2, s[52:53]
	v_or_b32_e32 v4, 2.0, v19
	s_mov_b64 s[6:7], 0
	s_brev_b32 s15, -4
	s_mov_b32 s16, s4
	v_mov_b32_e32 v38, 0
	global_store_dword v[6:7], v4, off sc1
                                        ; implicit-def: $sgpr8_sgpr9
	s_branch .LBB333_155
.LBB333_153:                            ;   in Loop: Header=BB333_155 Depth=1
	s_or_b64 exec, exec, s[12:13]
.LBB333_154:                            ;   in Loop: Header=BB333_155 Depth=1
	s_or_b64 exec, exec, s[8:9]
	v_and_b32_e32 v10, 0x3fffffff, v4
	v_add_u32_e32 v38, v10, v38
	v_cmp_gt_i32_e64 s[8:9], -2.0, v4
	s_and_b64 s[12:13], exec, s[8:9]
	s_or_b64 s[6:7], s[12:13], s[6:7]
	s_andn2_b64 exec, exec, s[6:7]
	s_cbranch_execz .LBB333_160
.LBB333_155:                            ; =>This Loop Header: Depth=1
                                        ;     Child Loop BB333_158 Depth 2
	s_or_b64 s[8:9], s[8:9], exec
	s_cmp_eq_u32 s16, 0
	s_cbranch_scc1 .LBB333_159
; %bb.156:                              ;   in Loop: Header=BB333_155 Depth=1
	s_add_i32 s16, s16, -1
	v_lshl_or_b32 v4, s16, 8, v8
	v_lshl_add_u64 v[10:11], v[4:5], 2, s[52:53]
	global_load_dword v4, v[10:11], off sc1
	s_waitcnt vmcnt(0)
	v_cmp_gt_u32_e32 vcc, 2.0, v4
	s_and_saveexec_b64 s[8:9], vcc
	s_cbranch_execz .LBB333_154
; %bb.157:                              ;   in Loop: Header=BB333_155 Depth=1
	s_mov_b64 s[12:13], 0
.LBB333_158:                            ;   Parent Loop BB333_155 Depth=1
                                        ; =>  This Inner Loop Header: Depth=2
	global_load_dword v4, v[10:11], off sc1
	s_waitcnt vmcnt(0)
	v_cmp_lt_u32_e32 vcc, s15, v4
	s_or_b64 s[12:13], vcc, s[12:13]
	s_andn2_b64 exec, exec, s[12:13]
	s_cbranch_execnz .LBB333_158
	s_branch .LBB333_153
.LBB333_159:                            ;   in Loop: Header=BB333_155 Depth=1
                                        ; implicit-def: $sgpr16
	s_and_b64 s[12:13], exec, s[8:9]
	s_or_b64 s[6:7], s[12:13], s[6:7]
	s_andn2_b64 exec, exec, s[6:7]
	s_cbranch_execnz .LBB333_155
.LBB333_160:
	s_or_b64 exec, exec, s[6:7]
	v_add_u32_e32 v4, v38, v19
	v_or_b32_e32 v4, 0x80000000, v4
	global_store_dword v[6:7], v4, off sc1
	global_load_dword v4, v23, s[44:45]
	v_sub_u32_e32 v5, v38, v15
	s_waitcnt vmcnt(0)
	v_add_u32_e32 v4, v5, v4
	ds_write_b32 v23, v4
.LBB333_161:
	s_or_b64 exec, exec, s[2:3]
	v_add_u32_e32 v4, v39, v24
	v_add_u32_e32 v5, v37, v35
	v_add_u32_e32 v38, v34, v32
	v_add_u32_e32 v40, v30, v28
	v_add_u32_e32 v45, v26, v22
	v_add_u32_e32 v46, v20, v18
	v_add_u32_e32 v47, v16, v13
	v_add_u32_e32 v6, v44, v12
	s_mov_b32 s8, 16
	s_mov_b32 s9, s48
	;; [unrolled: 1-line block ×3, first 2 shown]
	v_add_lshl_u32 v7, v4, v36, 2
	v_add3_u32 v10, v39, v36, v24
	v_add_lshl_u32 v11, v5, v29, 2
	v_add3_u32 v12, v37, v29, v35
	;; [unrolled: 2-line block ×7, first 2 shown]
	v_lshlrev_b32_e32 v16, 2, v6
	s_mov_b32 s21, 0
	s_mov_b64 s[2:3], -1
	s_mov_b32 s13, 0
	s_movk_i32 s15, 0x1000
	v_bfrev_b32_e32 v32, 1
	s_brev_b32 s16, -2
	v_mov_b32_e32 v5, 0
	s_movk_i32 s17, 0x400
	s_movk_i32 s18, 0x800
	;; [unrolled: 1-line block ×3, first 2 shown]
	s_mov_b32 s20, 0
	v_mov_b32_e32 v33, v8
	s_branch .LBB333_163
.LBB333_162:                            ;   in Loop: Header=BB333_163 Depth=1
	s_or_b64 exec, exec, s[6:7]
	s_waitcnt lgkmcnt(0)
	s_barrier
	ds_read2st64_b32 v[34:35], v23 offset0:4 offset1:20
	ds_read2st64_b32 v[38:39], v23 offset0:36 offset1:52
	s_xor_b64 s[6:7], s[2:3], -1
	s_addk_i32 s20, 0xc000
	s_addk_i32 s13, 0xf000
	s_waitcnt lgkmcnt(1)
	v_cmp_lt_i32_e32 vcc, -1, v34
	s_mov_b64 s[2:3], 0
	s_nop 0
	v_cndmask_b32_e64 v4, v32, -1, vcc
	v_cmp_lt_i32_e32 vcc, -1, v35
	v_xor_b32_e32 v42, v4, v34
	s_nop 0
	v_cndmask_b32_e64 v4, v32, -1, vcc
	v_cmp_ne_u32_e32 vcc, s16, v34
	v_xor_b32_e32 v43, v4, v35
	s_nop 0
	v_cndmask_b32_e32 v4, v32, v34, vcc
	v_cmp_ne_u32_e32 vcc, s16, v35
	v_lshrrev_b32_e32 v4, s48, v4
	s_nop 0
	v_cndmask_b32_e32 v34, v32, v35, vcc
	v_lshrrev_b32_e32 v34, s9, v34
	s_waitcnt lgkmcnt(0)
	v_cmp_ne_u32_e32 vcc, s16, v38
	v_and_b32_e32 v35, s12, v34
	v_and_b32_e32 v34, s14, v4
	v_cndmask_b32_e32 v36, v32, v38, vcc
	v_cmp_ne_u32_e32 vcc, s16, v39
	v_lshlrev_b32_e32 v4, 2, v34
	ds_read_b32 v4, v4
	v_cndmask_b32_e32 v37, v32, v39, vcc
	v_lshrrev_b32_e32 v37, s9, v37
	v_lshrrev_b32_e32 v36, s48, v36
	v_and_b32_e32 v37, s12, v37
	v_lshlrev_b32_e32 v40, 2, v35
	v_and_b32_e32 v36, s14, v36
	v_lshlrev_b32_e32 v44, 2, v37
	v_lshlrev_b32_e32 v41, 2, v36
	ds_read_b32 v45, v40
	ds_read_b32 v46, v41
	;; [unrolled: 1-line block ×3, first 2 shown]
	s_waitcnt lgkmcnt(3)
	v_add_u32_e32 v4, v33, v4
	v_lshl_add_u64 v[40:41], v[4:5], 2, s[38:39]
	s_waitcnt lgkmcnt(2)
	v_add3_u32 v4, v33, v45, s17
	v_cmp_lt_i32_e32 vcc, -1, v38
	global_store_dword v[40:41], v42, off
	v_lshl_add_u64 v[40:41], v[4:5], 2, s[38:39]
	v_cndmask_b32_e64 v4, v32, -1, vcc
	v_cmp_lt_i32_e32 vcc, -1, v39
	global_store_dword v[40:41], v43, off
	v_xor_b32_e32 v40, v4, v38
	v_cndmask_b32_e64 v4, v32, -1, vcc
	v_xor_b32_e32 v41, v4, v39
	s_waitcnt lgkmcnt(1)
	v_add3_u32 v4, v33, v46, s18
	v_lshl_add_u64 v[38:39], v[4:5], 2, s[38:39]
	s_waitcnt lgkmcnt(0)
	v_add3_u32 v4, v33, v44, s19
	global_store_dword v[38:39], v40, off
	v_lshl_add_u64 v[38:39], v[4:5], 2, s[38:39]
	global_store_dword v[38:39], v41, off
	scratch_store_dwordx4 off, v[34:37], s21
	v_add_u32_e32 v33, 0x1000, v33
	s_and_b64 vcc, exec, s[6:7]
	s_mov_b32 s21, s8
	s_barrier
	s_cbranch_vccnz .LBB333_179
.LBB333_163:                            ; =>This Inner Loop Header: Depth=1
	v_add_u32_e32 v4, s13, v6
	v_cmp_gt_u32_e32 vcc, s15, v4
	s_and_saveexec_b64 s[6:7], vcc
; %bb.164:                              ;   in Loop: Header=BB333_163 Depth=1
	v_add_u32_e32 v4, s20, v16
	ds_write_b32 v4, v1 offset:1024
; %bb.165:                              ;   in Loop: Header=BB333_163 Depth=1
	s_or_b64 exec, exec, s[6:7]
	v_add_u32_e32 v4, s13, v13
	v_cmp_gt_u32_e32 vcc, s15, v4
	s_and_saveexec_b64 s[6:7], vcc
; %bb.166:                              ;   in Loop: Header=BB333_163 Depth=1
	v_add_u32_e32 v4, s20, v20
	ds_write_b32 v4, v3 offset:1024
; %bb.167:                              ;   in Loop: Header=BB333_163 Depth=1
	s_or_b64 exec, exec, s[6:7]
	;; [unrolled: 8-line block ×7, first 2 shown]
	v_add_u32_e32 v4, s13, v10
	v_cmp_gt_u32_e32 vcc, s15, v4
	s_and_saveexec_b64 s[6:7], vcc
	s_cbranch_execz .LBB333_162
; %bb.178:                              ;   in Loop: Header=BB333_163 Depth=1
	v_add_u32_e32 v4, s20, v7
	ds_write_b32 v4, v31 offset:1024
	s_branch .LBB333_162
.LBB333_179:
	s_add_u32 s2, s40, s10
	s_addc_u32 s3, s41, s11
	v_mov_b32_e32 v1, 0
	v_lshl_add_u64 v[4:5], s[2:3], 0, v[0:1]
	v_mov_b32_e32 v3, v1
	v_lshl_add_u64 v[32:33], v[4:5], 0, v[2:3]
	global_load_dword v2, v[32:33], off
	global_load_dword v3, v[32:33], off offset:256
	global_load_dword v4, v[32:33], off offset:512
	;; [unrolled: 1-line block ×7, first 2 shown]
	s_mov_b32 s15, 0
	s_mov_b64 s[2:3], -1
	s_mov_b32 s9, 0
	s_movk_i32 s10, 0x1000
	s_movk_i32 s11, 0x400
	;; [unrolled: 1-line block ×4, first 2 shown]
	s_mov_b32 s14, 0
	s_branch .LBB333_181
.LBB333_180:                            ;   in Loop: Header=BB333_181 Depth=1
	s_or_b64 exec, exec, s[6:7]
	s_waitcnt lgkmcnt(0)
	s_barrier
	scratch_load_dwordx4 v[32:35], off, s15
	ds_read2st64_b32 v[36:37], v23 offset0:4 offset1:20
	ds_read2st64_b32 v[38:39], v23 offset0:36 offset1:52
	s_xor_b64 s[6:7], s[2:3], -1
	s_addk_i32 s14, 0xc000
	s_addk_i32 s9, 0xf000
	s_mov_b64 s[2:3], 0
	s_mov_b32 s15, s8
	s_and_b64 vcc, exec, s[6:7]
	s_waitcnt vmcnt(0)
	v_lshlrev_b32_e32 v0, 2, v32
	ds_read_b32 v0, v0
	v_lshlrev_b32_e32 v27, 2, v33
	v_lshlrev_b32_e32 v31, 2, v34
	;; [unrolled: 1-line block ×3, first 2 shown]
	ds_read_b32 v27, v27
	ds_read_b32 v31, v31
	;; [unrolled: 1-line block ×3, first 2 shown]
	s_waitcnt lgkmcnt(3)
	v_add_u32_e32 v0, v8, v0
	v_lshl_add_u64 v[32:33], v[0:1], 2, s[42:43]
	s_waitcnt lgkmcnt(2)
	v_add3_u32 v0, v8, v27, s11
	global_store_dword v[32:33], v36, off
	v_lshl_add_u64 v[32:33], v[0:1], 2, s[42:43]
	s_waitcnt lgkmcnt(1)
	v_add3_u32 v0, v8, v31, s12
	global_store_dword v[32:33], v37, off
	v_lshl_add_u64 v[32:33], v[0:1], 2, s[42:43]
	s_waitcnt lgkmcnt(0)
	v_add3_u32 v0, v8, v34, s13
	v_add_u32_e32 v8, 0x1000, v8
	global_store_dword v[32:33], v38, off
	v_lshl_add_u64 v[32:33], v[0:1], 2, s[42:43]
	global_store_dword v[32:33], v39, off
	s_barrier
	s_cbranch_vccnz .LBB333_197
.LBB333_181:                            ; =>This Inner Loop Header: Depth=1
	v_add_u32_e32 v0, s9, v6
	v_cmp_gt_u32_e32 vcc, s10, v0
	s_and_saveexec_b64 s[6:7], vcc
	s_cbranch_execz .LBB333_183
; %bb.182:                              ;   in Loop: Header=BB333_181 Depth=1
	v_add_u32_e32 v0, s14, v16
	s_waitcnt vmcnt(7)
	ds_write_b32 v0, v2 offset:1024
.LBB333_183:                            ;   in Loop: Header=BB333_181 Depth=1
	s_or_b64 exec, exec, s[6:7]
	v_add_u32_e32 v0, s9, v13
	v_cmp_gt_u32_e32 vcc, s10, v0
	s_and_saveexec_b64 s[6:7], vcc
	s_cbranch_execz .LBB333_185
; %bb.184:                              ;   in Loop: Header=BB333_181 Depth=1
	v_add_u32_e32 v0, s14, v20
	s_waitcnt vmcnt(6)
	ds_write_b32 v0, v3 offset:1024
.LBB333_185:                            ;   in Loop: Header=BB333_181 Depth=1
	s_or_b64 exec, exec, s[6:7]
	;; [unrolled: 10-line block ×7, first 2 shown]
	v_add_u32_e32 v0, s9, v10
	v_cmp_gt_u32_e32 vcc, s10, v0
	s_and_saveexec_b64 s[6:7], vcc
	s_cbranch_execz .LBB333_180
; %bb.196:                              ;   in Loop: Header=BB333_181 Depth=1
	v_add_u32_e32 v0, s14, v7
	s_waitcnt vmcnt(0)
	ds_write_b32 v0, v21 offset:1024
	s_branch .LBB333_180
.LBB333_197:
	s_add_i32 s5, s5, -1
	s_cmp_eq_u32 s4, s5
	s_cselect_b64 s[2:3], -1, 0
	s_xor_b64 s[0:1], s[0:1], -1
	s_and_b64 s[0:1], s[0:1], s[2:3]
	s_and_saveexec_b64 s[2:3], s[0:1]
	s_cbranch_execz .LBB333_199
; %bb.198:
	ds_read_b32 v0, v23
	s_waitcnt lgkmcnt(0)
	v_add3_u32 v0, v15, v19, v0
	global_store_dword v23, v0, s[46:47]
.LBB333_199:
	s_endpgm
	.section	.rodata,"a",@progbits
	.p2align	6, 0x0
	.amdhsa_kernel _ZN7rocprim17ROCPRIM_400000_NS6detail17trampoline_kernelINS0_14default_configENS1_35radix_sort_onesweep_config_selectorIffEEZZNS1_29radix_sort_onesweep_iterationIS3_Lb0EN6thrust23THRUST_200600_302600_NS6detail15normal_iteratorINS8_10device_ptrIfEEEESD_SD_SD_jNS0_19identity_decomposerENS1_16block_id_wrapperIjLb0EEEEE10hipError_tT1_PNSt15iterator_traitsISI_E10value_typeET2_T3_PNSJ_ISO_E10value_typeET4_T5_PST_SU_PNS1_23onesweep_lookback_stateEbbT6_jjT7_P12ihipStream_tbENKUlT_T0_SI_SN_E_clISD_SD_SD_SD_EEDaS11_S12_SI_SN_EUlS11_E_NS1_11comp_targetILNS1_3genE6ELNS1_11target_archE950ELNS1_3gpuE13ELNS1_3repE0EEENS1_47radix_sort_onesweep_sort_config_static_selectorELNS0_4arch9wavefront6targetE1EEEvSI_
		.amdhsa_group_segment_fixed_size 53328
		.amdhsa_private_segment_fixed_size 48
		.amdhsa_kernarg_size 344
		.amdhsa_user_sgpr_count 4
		.amdhsa_user_sgpr_dispatch_ptr 1
		.amdhsa_user_sgpr_queue_ptr 0
		.amdhsa_user_sgpr_kernarg_segment_ptr 1
		.amdhsa_user_sgpr_dispatch_id 0
		.amdhsa_user_sgpr_kernarg_preload_length 0
		.amdhsa_user_sgpr_kernarg_preload_offset 0
		.amdhsa_user_sgpr_private_segment_size 0
		.amdhsa_uses_dynamic_stack 0
		.amdhsa_enable_private_segment 1
		.amdhsa_system_sgpr_workgroup_id_x 1
		.amdhsa_system_sgpr_workgroup_id_y 0
		.amdhsa_system_sgpr_workgroup_id_z 0
		.amdhsa_system_sgpr_workgroup_info 0
		.amdhsa_system_vgpr_workitem_id 2
		.amdhsa_next_free_vgpr 53
		.amdhsa_next_free_sgpr 57
		.amdhsa_accum_offset 56
		.amdhsa_reserve_vcc 1
		.amdhsa_float_round_mode_32 0
		.amdhsa_float_round_mode_16_64 0
		.amdhsa_float_denorm_mode_32 3
		.amdhsa_float_denorm_mode_16_64 3
		.amdhsa_dx10_clamp 1
		.amdhsa_ieee_mode 1
		.amdhsa_fp16_overflow 0
		.amdhsa_tg_split 0
		.amdhsa_exception_fp_ieee_invalid_op 0
		.amdhsa_exception_fp_denorm_src 0
		.amdhsa_exception_fp_ieee_div_zero 0
		.amdhsa_exception_fp_ieee_overflow 0
		.amdhsa_exception_fp_ieee_underflow 0
		.amdhsa_exception_fp_ieee_inexact 0
		.amdhsa_exception_int_div_zero 0
	.end_amdhsa_kernel
	.section	.text._ZN7rocprim17ROCPRIM_400000_NS6detail17trampoline_kernelINS0_14default_configENS1_35radix_sort_onesweep_config_selectorIffEEZZNS1_29radix_sort_onesweep_iterationIS3_Lb0EN6thrust23THRUST_200600_302600_NS6detail15normal_iteratorINS8_10device_ptrIfEEEESD_SD_SD_jNS0_19identity_decomposerENS1_16block_id_wrapperIjLb0EEEEE10hipError_tT1_PNSt15iterator_traitsISI_E10value_typeET2_T3_PNSJ_ISO_E10value_typeET4_T5_PST_SU_PNS1_23onesweep_lookback_stateEbbT6_jjT7_P12ihipStream_tbENKUlT_T0_SI_SN_E_clISD_SD_SD_SD_EEDaS11_S12_SI_SN_EUlS11_E_NS1_11comp_targetILNS1_3genE6ELNS1_11target_archE950ELNS1_3gpuE13ELNS1_3repE0EEENS1_47radix_sort_onesweep_sort_config_static_selectorELNS0_4arch9wavefront6targetE1EEEvSI_,"axG",@progbits,_ZN7rocprim17ROCPRIM_400000_NS6detail17trampoline_kernelINS0_14default_configENS1_35radix_sort_onesweep_config_selectorIffEEZZNS1_29radix_sort_onesweep_iterationIS3_Lb0EN6thrust23THRUST_200600_302600_NS6detail15normal_iteratorINS8_10device_ptrIfEEEESD_SD_SD_jNS0_19identity_decomposerENS1_16block_id_wrapperIjLb0EEEEE10hipError_tT1_PNSt15iterator_traitsISI_E10value_typeET2_T3_PNSJ_ISO_E10value_typeET4_T5_PST_SU_PNS1_23onesweep_lookback_stateEbbT6_jjT7_P12ihipStream_tbENKUlT_T0_SI_SN_E_clISD_SD_SD_SD_EEDaS11_S12_SI_SN_EUlS11_E_NS1_11comp_targetILNS1_3genE6ELNS1_11target_archE950ELNS1_3gpuE13ELNS1_3repE0EEENS1_47radix_sort_onesweep_sort_config_static_selectorELNS0_4arch9wavefront6targetE1EEEvSI_,comdat
.Lfunc_end333:
	.size	_ZN7rocprim17ROCPRIM_400000_NS6detail17trampoline_kernelINS0_14default_configENS1_35radix_sort_onesweep_config_selectorIffEEZZNS1_29radix_sort_onesweep_iterationIS3_Lb0EN6thrust23THRUST_200600_302600_NS6detail15normal_iteratorINS8_10device_ptrIfEEEESD_SD_SD_jNS0_19identity_decomposerENS1_16block_id_wrapperIjLb0EEEEE10hipError_tT1_PNSt15iterator_traitsISI_E10value_typeET2_T3_PNSJ_ISO_E10value_typeET4_T5_PST_SU_PNS1_23onesweep_lookback_stateEbbT6_jjT7_P12ihipStream_tbENKUlT_T0_SI_SN_E_clISD_SD_SD_SD_EEDaS11_S12_SI_SN_EUlS11_E_NS1_11comp_targetILNS1_3genE6ELNS1_11target_archE950ELNS1_3gpuE13ELNS1_3repE0EEENS1_47radix_sort_onesweep_sort_config_static_selectorELNS0_4arch9wavefront6targetE1EEEvSI_, .Lfunc_end333-_ZN7rocprim17ROCPRIM_400000_NS6detail17trampoline_kernelINS0_14default_configENS1_35radix_sort_onesweep_config_selectorIffEEZZNS1_29radix_sort_onesweep_iterationIS3_Lb0EN6thrust23THRUST_200600_302600_NS6detail15normal_iteratorINS8_10device_ptrIfEEEESD_SD_SD_jNS0_19identity_decomposerENS1_16block_id_wrapperIjLb0EEEEE10hipError_tT1_PNSt15iterator_traitsISI_E10value_typeET2_T3_PNSJ_ISO_E10value_typeET4_T5_PST_SU_PNS1_23onesweep_lookback_stateEbbT6_jjT7_P12ihipStream_tbENKUlT_T0_SI_SN_E_clISD_SD_SD_SD_EEDaS11_S12_SI_SN_EUlS11_E_NS1_11comp_targetILNS1_3genE6ELNS1_11target_archE950ELNS1_3gpuE13ELNS1_3repE0EEENS1_47radix_sort_onesweep_sort_config_static_selectorELNS0_4arch9wavefront6targetE1EEEvSI_
                                        ; -- End function
	.set _ZN7rocprim17ROCPRIM_400000_NS6detail17trampoline_kernelINS0_14default_configENS1_35radix_sort_onesweep_config_selectorIffEEZZNS1_29radix_sort_onesweep_iterationIS3_Lb0EN6thrust23THRUST_200600_302600_NS6detail15normal_iteratorINS8_10device_ptrIfEEEESD_SD_SD_jNS0_19identity_decomposerENS1_16block_id_wrapperIjLb0EEEEE10hipError_tT1_PNSt15iterator_traitsISI_E10value_typeET2_T3_PNSJ_ISO_E10value_typeET4_T5_PST_SU_PNS1_23onesweep_lookback_stateEbbT6_jjT7_P12ihipStream_tbENKUlT_T0_SI_SN_E_clISD_SD_SD_SD_EEDaS11_S12_SI_SN_EUlS11_E_NS1_11comp_targetILNS1_3genE6ELNS1_11target_archE950ELNS1_3gpuE13ELNS1_3repE0EEENS1_47radix_sort_onesweep_sort_config_static_selectorELNS0_4arch9wavefront6targetE1EEEvSI_.num_vgpr, 53
	.set _ZN7rocprim17ROCPRIM_400000_NS6detail17trampoline_kernelINS0_14default_configENS1_35radix_sort_onesweep_config_selectorIffEEZZNS1_29radix_sort_onesweep_iterationIS3_Lb0EN6thrust23THRUST_200600_302600_NS6detail15normal_iteratorINS8_10device_ptrIfEEEESD_SD_SD_jNS0_19identity_decomposerENS1_16block_id_wrapperIjLb0EEEEE10hipError_tT1_PNSt15iterator_traitsISI_E10value_typeET2_T3_PNSJ_ISO_E10value_typeET4_T5_PST_SU_PNS1_23onesweep_lookback_stateEbbT6_jjT7_P12ihipStream_tbENKUlT_T0_SI_SN_E_clISD_SD_SD_SD_EEDaS11_S12_SI_SN_EUlS11_E_NS1_11comp_targetILNS1_3genE6ELNS1_11target_archE950ELNS1_3gpuE13ELNS1_3repE0EEENS1_47radix_sort_onesweep_sort_config_static_selectorELNS0_4arch9wavefront6targetE1EEEvSI_.num_agpr, 0
	.set _ZN7rocprim17ROCPRIM_400000_NS6detail17trampoline_kernelINS0_14default_configENS1_35radix_sort_onesweep_config_selectorIffEEZZNS1_29radix_sort_onesweep_iterationIS3_Lb0EN6thrust23THRUST_200600_302600_NS6detail15normal_iteratorINS8_10device_ptrIfEEEESD_SD_SD_jNS0_19identity_decomposerENS1_16block_id_wrapperIjLb0EEEEE10hipError_tT1_PNSt15iterator_traitsISI_E10value_typeET2_T3_PNSJ_ISO_E10value_typeET4_T5_PST_SU_PNS1_23onesweep_lookback_stateEbbT6_jjT7_P12ihipStream_tbENKUlT_T0_SI_SN_E_clISD_SD_SD_SD_EEDaS11_S12_SI_SN_EUlS11_E_NS1_11comp_targetILNS1_3genE6ELNS1_11target_archE950ELNS1_3gpuE13ELNS1_3repE0EEENS1_47radix_sort_onesweep_sort_config_static_selectorELNS0_4arch9wavefront6targetE1EEEvSI_.numbered_sgpr, 57
	.set _ZN7rocprim17ROCPRIM_400000_NS6detail17trampoline_kernelINS0_14default_configENS1_35radix_sort_onesweep_config_selectorIffEEZZNS1_29radix_sort_onesweep_iterationIS3_Lb0EN6thrust23THRUST_200600_302600_NS6detail15normal_iteratorINS8_10device_ptrIfEEEESD_SD_SD_jNS0_19identity_decomposerENS1_16block_id_wrapperIjLb0EEEEE10hipError_tT1_PNSt15iterator_traitsISI_E10value_typeET2_T3_PNSJ_ISO_E10value_typeET4_T5_PST_SU_PNS1_23onesweep_lookback_stateEbbT6_jjT7_P12ihipStream_tbENKUlT_T0_SI_SN_E_clISD_SD_SD_SD_EEDaS11_S12_SI_SN_EUlS11_E_NS1_11comp_targetILNS1_3genE6ELNS1_11target_archE950ELNS1_3gpuE13ELNS1_3repE0EEENS1_47radix_sort_onesweep_sort_config_static_selectorELNS0_4arch9wavefront6targetE1EEEvSI_.num_named_barrier, 0
	.set _ZN7rocprim17ROCPRIM_400000_NS6detail17trampoline_kernelINS0_14default_configENS1_35radix_sort_onesweep_config_selectorIffEEZZNS1_29radix_sort_onesweep_iterationIS3_Lb0EN6thrust23THRUST_200600_302600_NS6detail15normal_iteratorINS8_10device_ptrIfEEEESD_SD_SD_jNS0_19identity_decomposerENS1_16block_id_wrapperIjLb0EEEEE10hipError_tT1_PNSt15iterator_traitsISI_E10value_typeET2_T3_PNSJ_ISO_E10value_typeET4_T5_PST_SU_PNS1_23onesweep_lookback_stateEbbT6_jjT7_P12ihipStream_tbENKUlT_T0_SI_SN_E_clISD_SD_SD_SD_EEDaS11_S12_SI_SN_EUlS11_E_NS1_11comp_targetILNS1_3genE6ELNS1_11target_archE950ELNS1_3gpuE13ELNS1_3repE0EEENS1_47radix_sort_onesweep_sort_config_static_selectorELNS0_4arch9wavefront6targetE1EEEvSI_.private_seg_size, 48
	.set _ZN7rocprim17ROCPRIM_400000_NS6detail17trampoline_kernelINS0_14default_configENS1_35radix_sort_onesweep_config_selectorIffEEZZNS1_29radix_sort_onesweep_iterationIS3_Lb0EN6thrust23THRUST_200600_302600_NS6detail15normal_iteratorINS8_10device_ptrIfEEEESD_SD_SD_jNS0_19identity_decomposerENS1_16block_id_wrapperIjLb0EEEEE10hipError_tT1_PNSt15iterator_traitsISI_E10value_typeET2_T3_PNSJ_ISO_E10value_typeET4_T5_PST_SU_PNS1_23onesweep_lookback_stateEbbT6_jjT7_P12ihipStream_tbENKUlT_T0_SI_SN_E_clISD_SD_SD_SD_EEDaS11_S12_SI_SN_EUlS11_E_NS1_11comp_targetILNS1_3genE6ELNS1_11target_archE950ELNS1_3gpuE13ELNS1_3repE0EEENS1_47radix_sort_onesweep_sort_config_static_selectorELNS0_4arch9wavefront6targetE1EEEvSI_.uses_vcc, 1
	.set _ZN7rocprim17ROCPRIM_400000_NS6detail17trampoline_kernelINS0_14default_configENS1_35radix_sort_onesweep_config_selectorIffEEZZNS1_29radix_sort_onesweep_iterationIS3_Lb0EN6thrust23THRUST_200600_302600_NS6detail15normal_iteratorINS8_10device_ptrIfEEEESD_SD_SD_jNS0_19identity_decomposerENS1_16block_id_wrapperIjLb0EEEEE10hipError_tT1_PNSt15iterator_traitsISI_E10value_typeET2_T3_PNSJ_ISO_E10value_typeET4_T5_PST_SU_PNS1_23onesweep_lookback_stateEbbT6_jjT7_P12ihipStream_tbENKUlT_T0_SI_SN_E_clISD_SD_SD_SD_EEDaS11_S12_SI_SN_EUlS11_E_NS1_11comp_targetILNS1_3genE6ELNS1_11target_archE950ELNS1_3gpuE13ELNS1_3repE0EEENS1_47radix_sort_onesweep_sort_config_static_selectorELNS0_4arch9wavefront6targetE1EEEvSI_.uses_flat_scratch, 0
	.set _ZN7rocprim17ROCPRIM_400000_NS6detail17trampoline_kernelINS0_14default_configENS1_35radix_sort_onesweep_config_selectorIffEEZZNS1_29radix_sort_onesweep_iterationIS3_Lb0EN6thrust23THRUST_200600_302600_NS6detail15normal_iteratorINS8_10device_ptrIfEEEESD_SD_SD_jNS0_19identity_decomposerENS1_16block_id_wrapperIjLb0EEEEE10hipError_tT1_PNSt15iterator_traitsISI_E10value_typeET2_T3_PNSJ_ISO_E10value_typeET4_T5_PST_SU_PNS1_23onesweep_lookback_stateEbbT6_jjT7_P12ihipStream_tbENKUlT_T0_SI_SN_E_clISD_SD_SD_SD_EEDaS11_S12_SI_SN_EUlS11_E_NS1_11comp_targetILNS1_3genE6ELNS1_11target_archE950ELNS1_3gpuE13ELNS1_3repE0EEENS1_47radix_sort_onesweep_sort_config_static_selectorELNS0_4arch9wavefront6targetE1EEEvSI_.has_dyn_sized_stack, 0
	.set _ZN7rocprim17ROCPRIM_400000_NS6detail17trampoline_kernelINS0_14default_configENS1_35radix_sort_onesweep_config_selectorIffEEZZNS1_29radix_sort_onesweep_iterationIS3_Lb0EN6thrust23THRUST_200600_302600_NS6detail15normal_iteratorINS8_10device_ptrIfEEEESD_SD_SD_jNS0_19identity_decomposerENS1_16block_id_wrapperIjLb0EEEEE10hipError_tT1_PNSt15iterator_traitsISI_E10value_typeET2_T3_PNSJ_ISO_E10value_typeET4_T5_PST_SU_PNS1_23onesweep_lookback_stateEbbT6_jjT7_P12ihipStream_tbENKUlT_T0_SI_SN_E_clISD_SD_SD_SD_EEDaS11_S12_SI_SN_EUlS11_E_NS1_11comp_targetILNS1_3genE6ELNS1_11target_archE950ELNS1_3gpuE13ELNS1_3repE0EEENS1_47radix_sort_onesweep_sort_config_static_selectorELNS0_4arch9wavefront6targetE1EEEvSI_.has_recursion, 0
	.set _ZN7rocprim17ROCPRIM_400000_NS6detail17trampoline_kernelINS0_14default_configENS1_35radix_sort_onesweep_config_selectorIffEEZZNS1_29radix_sort_onesweep_iterationIS3_Lb0EN6thrust23THRUST_200600_302600_NS6detail15normal_iteratorINS8_10device_ptrIfEEEESD_SD_SD_jNS0_19identity_decomposerENS1_16block_id_wrapperIjLb0EEEEE10hipError_tT1_PNSt15iterator_traitsISI_E10value_typeET2_T3_PNSJ_ISO_E10value_typeET4_T5_PST_SU_PNS1_23onesweep_lookback_stateEbbT6_jjT7_P12ihipStream_tbENKUlT_T0_SI_SN_E_clISD_SD_SD_SD_EEDaS11_S12_SI_SN_EUlS11_E_NS1_11comp_targetILNS1_3genE6ELNS1_11target_archE950ELNS1_3gpuE13ELNS1_3repE0EEENS1_47radix_sort_onesweep_sort_config_static_selectorELNS0_4arch9wavefront6targetE1EEEvSI_.has_indirect_call, 0
	.section	.AMDGPU.csdata,"",@progbits
; Kernel info:
; codeLenInByte = 13748
; TotalNumSgprs: 63
; NumVgprs: 53
; NumAgprs: 0
; TotalNumVgprs: 53
; ScratchSize: 48
; MemoryBound: 0
; FloatMode: 240
; IeeeMode: 1
; LDSByteSize: 53328 bytes/workgroup (compile time only)
; SGPRBlocks: 7
; VGPRBlocks: 6
; NumSGPRsForWavesPerEU: 63
; NumVGPRsForWavesPerEU: 53
; AccumOffset: 56
; Occupancy: 8
; WaveLimiterHint : 1
; COMPUTE_PGM_RSRC2:SCRATCH_EN: 1
; COMPUTE_PGM_RSRC2:USER_SGPR: 4
; COMPUTE_PGM_RSRC2:TRAP_HANDLER: 0
; COMPUTE_PGM_RSRC2:TGID_X_EN: 1
; COMPUTE_PGM_RSRC2:TGID_Y_EN: 0
; COMPUTE_PGM_RSRC2:TGID_Z_EN: 0
; COMPUTE_PGM_RSRC2:TIDIG_COMP_CNT: 2
; COMPUTE_PGM_RSRC3_GFX90A:ACCUM_OFFSET: 13
; COMPUTE_PGM_RSRC3_GFX90A:TG_SPLIT: 0
	.section	.text._ZN7rocprim17ROCPRIM_400000_NS6detail17trampoline_kernelINS0_14default_configENS1_35radix_sort_onesweep_config_selectorIffEEZZNS1_29radix_sort_onesweep_iterationIS3_Lb0EN6thrust23THRUST_200600_302600_NS6detail15normal_iteratorINS8_10device_ptrIfEEEESD_SD_SD_jNS0_19identity_decomposerENS1_16block_id_wrapperIjLb0EEEEE10hipError_tT1_PNSt15iterator_traitsISI_E10value_typeET2_T3_PNSJ_ISO_E10value_typeET4_T5_PST_SU_PNS1_23onesweep_lookback_stateEbbT6_jjT7_P12ihipStream_tbENKUlT_T0_SI_SN_E_clISD_SD_SD_SD_EEDaS11_S12_SI_SN_EUlS11_E_NS1_11comp_targetILNS1_3genE5ELNS1_11target_archE942ELNS1_3gpuE9ELNS1_3repE0EEENS1_47radix_sort_onesweep_sort_config_static_selectorELNS0_4arch9wavefront6targetE1EEEvSI_,"axG",@progbits,_ZN7rocprim17ROCPRIM_400000_NS6detail17trampoline_kernelINS0_14default_configENS1_35radix_sort_onesweep_config_selectorIffEEZZNS1_29radix_sort_onesweep_iterationIS3_Lb0EN6thrust23THRUST_200600_302600_NS6detail15normal_iteratorINS8_10device_ptrIfEEEESD_SD_SD_jNS0_19identity_decomposerENS1_16block_id_wrapperIjLb0EEEEE10hipError_tT1_PNSt15iterator_traitsISI_E10value_typeET2_T3_PNSJ_ISO_E10value_typeET4_T5_PST_SU_PNS1_23onesweep_lookback_stateEbbT6_jjT7_P12ihipStream_tbENKUlT_T0_SI_SN_E_clISD_SD_SD_SD_EEDaS11_S12_SI_SN_EUlS11_E_NS1_11comp_targetILNS1_3genE5ELNS1_11target_archE942ELNS1_3gpuE9ELNS1_3repE0EEENS1_47radix_sort_onesweep_sort_config_static_selectorELNS0_4arch9wavefront6targetE1EEEvSI_,comdat
	.protected	_ZN7rocprim17ROCPRIM_400000_NS6detail17trampoline_kernelINS0_14default_configENS1_35radix_sort_onesweep_config_selectorIffEEZZNS1_29radix_sort_onesweep_iterationIS3_Lb0EN6thrust23THRUST_200600_302600_NS6detail15normal_iteratorINS8_10device_ptrIfEEEESD_SD_SD_jNS0_19identity_decomposerENS1_16block_id_wrapperIjLb0EEEEE10hipError_tT1_PNSt15iterator_traitsISI_E10value_typeET2_T3_PNSJ_ISO_E10value_typeET4_T5_PST_SU_PNS1_23onesweep_lookback_stateEbbT6_jjT7_P12ihipStream_tbENKUlT_T0_SI_SN_E_clISD_SD_SD_SD_EEDaS11_S12_SI_SN_EUlS11_E_NS1_11comp_targetILNS1_3genE5ELNS1_11target_archE942ELNS1_3gpuE9ELNS1_3repE0EEENS1_47radix_sort_onesweep_sort_config_static_selectorELNS0_4arch9wavefront6targetE1EEEvSI_ ; -- Begin function _ZN7rocprim17ROCPRIM_400000_NS6detail17trampoline_kernelINS0_14default_configENS1_35radix_sort_onesweep_config_selectorIffEEZZNS1_29radix_sort_onesweep_iterationIS3_Lb0EN6thrust23THRUST_200600_302600_NS6detail15normal_iteratorINS8_10device_ptrIfEEEESD_SD_SD_jNS0_19identity_decomposerENS1_16block_id_wrapperIjLb0EEEEE10hipError_tT1_PNSt15iterator_traitsISI_E10value_typeET2_T3_PNSJ_ISO_E10value_typeET4_T5_PST_SU_PNS1_23onesweep_lookback_stateEbbT6_jjT7_P12ihipStream_tbENKUlT_T0_SI_SN_E_clISD_SD_SD_SD_EEDaS11_S12_SI_SN_EUlS11_E_NS1_11comp_targetILNS1_3genE5ELNS1_11target_archE942ELNS1_3gpuE9ELNS1_3repE0EEENS1_47radix_sort_onesweep_sort_config_static_selectorELNS0_4arch9wavefront6targetE1EEEvSI_
	.globl	_ZN7rocprim17ROCPRIM_400000_NS6detail17trampoline_kernelINS0_14default_configENS1_35radix_sort_onesweep_config_selectorIffEEZZNS1_29radix_sort_onesweep_iterationIS3_Lb0EN6thrust23THRUST_200600_302600_NS6detail15normal_iteratorINS8_10device_ptrIfEEEESD_SD_SD_jNS0_19identity_decomposerENS1_16block_id_wrapperIjLb0EEEEE10hipError_tT1_PNSt15iterator_traitsISI_E10value_typeET2_T3_PNSJ_ISO_E10value_typeET4_T5_PST_SU_PNS1_23onesweep_lookback_stateEbbT6_jjT7_P12ihipStream_tbENKUlT_T0_SI_SN_E_clISD_SD_SD_SD_EEDaS11_S12_SI_SN_EUlS11_E_NS1_11comp_targetILNS1_3genE5ELNS1_11target_archE942ELNS1_3gpuE9ELNS1_3repE0EEENS1_47radix_sort_onesweep_sort_config_static_selectorELNS0_4arch9wavefront6targetE1EEEvSI_
	.p2align	8
	.type	_ZN7rocprim17ROCPRIM_400000_NS6detail17trampoline_kernelINS0_14default_configENS1_35radix_sort_onesweep_config_selectorIffEEZZNS1_29radix_sort_onesweep_iterationIS3_Lb0EN6thrust23THRUST_200600_302600_NS6detail15normal_iteratorINS8_10device_ptrIfEEEESD_SD_SD_jNS0_19identity_decomposerENS1_16block_id_wrapperIjLb0EEEEE10hipError_tT1_PNSt15iterator_traitsISI_E10value_typeET2_T3_PNSJ_ISO_E10value_typeET4_T5_PST_SU_PNS1_23onesweep_lookback_stateEbbT6_jjT7_P12ihipStream_tbENKUlT_T0_SI_SN_E_clISD_SD_SD_SD_EEDaS11_S12_SI_SN_EUlS11_E_NS1_11comp_targetILNS1_3genE5ELNS1_11target_archE942ELNS1_3gpuE9ELNS1_3repE0EEENS1_47radix_sort_onesweep_sort_config_static_selectorELNS0_4arch9wavefront6targetE1EEEvSI_,@function
_ZN7rocprim17ROCPRIM_400000_NS6detail17trampoline_kernelINS0_14default_configENS1_35radix_sort_onesweep_config_selectorIffEEZZNS1_29radix_sort_onesweep_iterationIS3_Lb0EN6thrust23THRUST_200600_302600_NS6detail15normal_iteratorINS8_10device_ptrIfEEEESD_SD_SD_jNS0_19identity_decomposerENS1_16block_id_wrapperIjLb0EEEEE10hipError_tT1_PNSt15iterator_traitsISI_E10value_typeET2_T3_PNSJ_ISO_E10value_typeET4_T5_PST_SU_PNS1_23onesweep_lookback_stateEbbT6_jjT7_P12ihipStream_tbENKUlT_T0_SI_SN_E_clISD_SD_SD_SD_EEDaS11_S12_SI_SN_EUlS11_E_NS1_11comp_targetILNS1_3genE5ELNS1_11target_archE942ELNS1_3gpuE9ELNS1_3repE0EEENS1_47radix_sort_onesweep_sort_config_static_selectorELNS0_4arch9wavefront6targetE1EEEvSI_: ; @_ZN7rocprim17ROCPRIM_400000_NS6detail17trampoline_kernelINS0_14default_configENS1_35radix_sort_onesweep_config_selectorIffEEZZNS1_29radix_sort_onesweep_iterationIS3_Lb0EN6thrust23THRUST_200600_302600_NS6detail15normal_iteratorINS8_10device_ptrIfEEEESD_SD_SD_jNS0_19identity_decomposerENS1_16block_id_wrapperIjLb0EEEEE10hipError_tT1_PNSt15iterator_traitsISI_E10value_typeET2_T3_PNSJ_ISO_E10value_typeET4_T5_PST_SU_PNS1_23onesweep_lookback_stateEbbT6_jjT7_P12ihipStream_tbENKUlT_T0_SI_SN_E_clISD_SD_SD_SD_EEDaS11_S12_SI_SN_EUlS11_E_NS1_11comp_targetILNS1_3genE5ELNS1_11target_archE942ELNS1_3gpuE9ELNS1_3repE0EEENS1_47radix_sort_onesweep_sort_config_static_selectorELNS0_4arch9wavefront6targetE1EEEvSI_
; %bb.0:
	.section	.rodata,"a",@progbits
	.p2align	6, 0x0
	.amdhsa_kernel _ZN7rocprim17ROCPRIM_400000_NS6detail17trampoline_kernelINS0_14default_configENS1_35radix_sort_onesweep_config_selectorIffEEZZNS1_29radix_sort_onesweep_iterationIS3_Lb0EN6thrust23THRUST_200600_302600_NS6detail15normal_iteratorINS8_10device_ptrIfEEEESD_SD_SD_jNS0_19identity_decomposerENS1_16block_id_wrapperIjLb0EEEEE10hipError_tT1_PNSt15iterator_traitsISI_E10value_typeET2_T3_PNSJ_ISO_E10value_typeET4_T5_PST_SU_PNS1_23onesweep_lookback_stateEbbT6_jjT7_P12ihipStream_tbENKUlT_T0_SI_SN_E_clISD_SD_SD_SD_EEDaS11_S12_SI_SN_EUlS11_E_NS1_11comp_targetILNS1_3genE5ELNS1_11target_archE942ELNS1_3gpuE9ELNS1_3repE0EEENS1_47radix_sort_onesweep_sort_config_static_selectorELNS0_4arch9wavefront6targetE1EEEvSI_
		.amdhsa_group_segment_fixed_size 0
		.amdhsa_private_segment_fixed_size 0
		.amdhsa_kernarg_size 88
		.amdhsa_user_sgpr_count 2
		.amdhsa_user_sgpr_dispatch_ptr 0
		.amdhsa_user_sgpr_queue_ptr 0
		.amdhsa_user_sgpr_kernarg_segment_ptr 1
		.amdhsa_user_sgpr_dispatch_id 0
		.amdhsa_user_sgpr_kernarg_preload_length 0
		.amdhsa_user_sgpr_kernarg_preload_offset 0
		.amdhsa_user_sgpr_private_segment_size 0
		.amdhsa_uses_dynamic_stack 0
		.amdhsa_enable_private_segment 0
		.amdhsa_system_sgpr_workgroup_id_x 1
		.amdhsa_system_sgpr_workgroup_id_y 0
		.amdhsa_system_sgpr_workgroup_id_z 0
		.amdhsa_system_sgpr_workgroup_info 0
		.amdhsa_system_vgpr_workitem_id 0
		.amdhsa_next_free_vgpr 1
		.amdhsa_next_free_sgpr 0
		.amdhsa_accum_offset 4
		.amdhsa_reserve_vcc 0
		.amdhsa_float_round_mode_32 0
		.amdhsa_float_round_mode_16_64 0
		.amdhsa_float_denorm_mode_32 3
		.amdhsa_float_denorm_mode_16_64 3
		.amdhsa_dx10_clamp 1
		.amdhsa_ieee_mode 1
		.amdhsa_fp16_overflow 0
		.amdhsa_tg_split 0
		.amdhsa_exception_fp_ieee_invalid_op 0
		.amdhsa_exception_fp_denorm_src 0
		.amdhsa_exception_fp_ieee_div_zero 0
		.amdhsa_exception_fp_ieee_overflow 0
		.amdhsa_exception_fp_ieee_underflow 0
		.amdhsa_exception_fp_ieee_inexact 0
		.amdhsa_exception_int_div_zero 0
	.end_amdhsa_kernel
	.section	.text._ZN7rocprim17ROCPRIM_400000_NS6detail17trampoline_kernelINS0_14default_configENS1_35radix_sort_onesweep_config_selectorIffEEZZNS1_29radix_sort_onesweep_iterationIS3_Lb0EN6thrust23THRUST_200600_302600_NS6detail15normal_iteratorINS8_10device_ptrIfEEEESD_SD_SD_jNS0_19identity_decomposerENS1_16block_id_wrapperIjLb0EEEEE10hipError_tT1_PNSt15iterator_traitsISI_E10value_typeET2_T3_PNSJ_ISO_E10value_typeET4_T5_PST_SU_PNS1_23onesweep_lookback_stateEbbT6_jjT7_P12ihipStream_tbENKUlT_T0_SI_SN_E_clISD_SD_SD_SD_EEDaS11_S12_SI_SN_EUlS11_E_NS1_11comp_targetILNS1_3genE5ELNS1_11target_archE942ELNS1_3gpuE9ELNS1_3repE0EEENS1_47radix_sort_onesweep_sort_config_static_selectorELNS0_4arch9wavefront6targetE1EEEvSI_,"axG",@progbits,_ZN7rocprim17ROCPRIM_400000_NS6detail17trampoline_kernelINS0_14default_configENS1_35radix_sort_onesweep_config_selectorIffEEZZNS1_29radix_sort_onesweep_iterationIS3_Lb0EN6thrust23THRUST_200600_302600_NS6detail15normal_iteratorINS8_10device_ptrIfEEEESD_SD_SD_jNS0_19identity_decomposerENS1_16block_id_wrapperIjLb0EEEEE10hipError_tT1_PNSt15iterator_traitsISI_E10value_typeET2_T3_PNSJ_ISO_E10value_typeET4_T5_PST_SU_PNS1_23onesweep_lookback_stateEbbT6_jjT7_P12ihipStream_tbENKUlT_T0_SI_SN_E_clISD_SD_SD_SD_EEDaS11_S12_SI_SN_EUlS11_E_NS1_11comp_targetILNS1_3genE5ELNS1_11target_archE942ELNS1_3gpuE9ELNS1_3repE0EEENS1_47radix_sort_onesweep_sort_config_static_selectorELNS0_4arch9wavefront6targetE1EEEvSI_,comdat
.Lfunc_end334:
	.size	_ZN7rocprim17ROCPRIM_400000_NS6detail17trampoline_kernelINS0_14default_configENS1_35radix_sort_onesweep_config_selectorIffEEZZNS1_29radix_sort_onesweep_iterationIS3_Lb0EN6thrust23THRUST_200600_302600_NS6detail15normal_iteratorINS8_10device_ptrIfEEEESD_SD_SD_jNS0_19identity_decomposerENS1_16block_id_wrapperIjLb0EEEEE10hipError_tT1_PNSt15iterator_traitsISI_E10value_typeET2_T3_PNSJ_ISO_E10value_typeET4_T5_PST_SU_PNS1_23onesweep_lookback_stateEbbT6_jjT7_P12ihipStream_tbENKUlT_T0_SI_SN_E_clISD_SD_SD_SD_EEDaS11_S12_SI_SN_EUlS11_E_NS1_11comp_targetILNS1_3genE5ELNS1_11target_archE942ELNS1_3gpuE9ELNS1_3repE0EEENS1_47radix_sort_onesweep_sort_config_static_selectorELNS0_4arch9wavefront6targetE1EEEvSI_, .Lfunc_end334-_ZN7rocprim17ROCPRIM_400000_NS6detail17trampoline_kernelINS0_14default_configENS1_35radix_sort_onesweep_config_selectorIffEEZZNS1_29radix_sort_onesweep_iterationIS3_Lb0EN6thrust23THRUST_200600_302600_NS6detail15normal_iteratorINS8_10device_ptrIfEEEESD_SD_SD_jNS0_19identity_decomposerENS1_16block_id_wrapperIjLb0EEEEE10hipError_tT1_PNSt15iterator_traitsISI_E10value_typeET2_T3_PNSJ_ISO_E10value_typeET4_T5_PST_SU_PNS1_23onesweep_lookback_stateEbbT6_jjT7_P12ihipStream_tbENKUlT_T0_SI_SN_E_clISD_SD_SD_SD_EEDaS11_S12_SI_SN_EUlS11_E_NS1_11comp_targetILNS1_3genE5ELNS1_11target_archE942ELNS1_3gpuE9ELNS1_3repE0EEENS1_47radix_sort_onesweep_sort_config_static_selectorELNS0_4arch9wavefront6targetE1EEEvSI_
                                        ; -- End function
	.set _ZN7rocprim17ROCPRIM_400000_NS6detail17trampoline_kernelINS0_14default_configENS1_35radix_sort_onesweep_config_selectorIffEEZZNS1_29radix_sort_onesweep_iterationIS3_Lb0EN6thrust23THRUST_200600_302600_NS6detail15normal_iteratorINS8_10device_ptrIfEEEESD_SD_SD_jNS0_19identity_decomposerENS1_16block_id_wrapperIjLb0EEEEE10hipError_tT1_PNSt15iterator_traitsISI_E10value_typeET2_T3_PNSJ_ISO_E10value_typeET4_T5_PST_SU_PNS1_23onesweep_lookback_stateEbbT6_jjT7_P12ihipStream_tbENKUlT_T0_SI_SN_E_clISD_SD_SD_SD_EEDaS11_S12_SI_SN_EUlS11_E_NS1_11comp_targetILNS1_3genE5ELNS1_11target_archE942ELNS1_3gpuE9ELNS1_3repE0EEENS1_47radix_sort_onesweep_sort_config_static_selectorELNS0_4arch9wavefront6targetE1EEEvSI_.num_vgpr, 0
	.set _ZN7rocprim17ROCPRIM_400000_NS6detail17trampoline_kernelINS0_14default_configENS1_35radix_sort_onesweep_config_selectorIffEEZZNS1_29radix_sort_onesweep_iterationIS3_Lb0EN6thrust23THRUST_200600_302600_NS6detail15normal_iteratorINS8_10device_ptrIfEEEESD_SD_SD_jNS0_19identity_decomposerENS1_16block_id_wrapperIjLb0EEEEE10hipError_tT1_PNSt15iterator_traitsISI_E10value_typeET2_T3_PNSJ_ISO_E10value_typeET4_T5_PST_SU_PNS1_23onesweep_lookback_stateEbbT6_jjT7_P12ihipStream_tbENKUlT_T0_SI_SN_E_clISD_SD_SD_SD_EEDaS11_S12_SI_SN_EUlS11_E_NS1_11comp_targetILNS1_3genE5ELNS1_11target_archE942ELNS1_3gpuE9ELNS1_3repE0EEENS1_47radix_sort_onesweep_sort_config_static_selectorELNS0_4arch9wavefront6targetE1EEEvSI_.num_agpr, 0
	.set _ZN7rocprim17ROCPRIM_400000_NS6detail17trampoline_kernelINS0_14default_configENS1_35radix_sort_onesweep_config_selectorIffEEZZNS1_29radix_sort_onesweep_iterationIS3_Lb0EN6thrust23THRUST_200600_302600_NS6detail15normal_iteratorINS8_10device_ptrIfEEEESD_SD_SD_jNS0_19identity_decomposerENS1_16block_id_wrapperIjLb0EEEEE10hipError_tT1_PNSt15iterator_traitsISI_E10value_typeET2_T3_PNSJ_ISO_E10value_typeET4_T5_PST_SU_PNS1_23onesweep_lookback_stateEbbT6_jjT7_P12ihipStream_tbENKUlT_T0_SI_SN_E_clISD_SD_SD_SD_EEDaS11_S12_SI_SN_EUlS11_E_NS1_11comp_targetILNS1_3genE5ELNS1_11target_archE942ELNS1_3gpuE9ELNS1_3repE0EEENS1_47radix_sort_onesweep_sort_config_static_selectorELNS0_4arch9wavefront6targetE1EEEvSI_.numbered_sgpr, 0
	.set _ZN7rocprim17ROCPRIM_400000_NS6detail17trampoline_kernelINS0_14default_configENS1_35radix_sort_onesweep_config_selectorIffEEZZNS1_29radix_sort_onesweep_iterationIS3_Lb0EN6thrust23THRUST_200600_302600_NS6detail15normal_iteratorINS8_10device_ptrIfEEEESD_SD_SD_jNS0_19identity_decomposerENS1_16block_id_wrapperIjLb0EEEEE10hipError_tT1_PNSt15iterator_traitsISI_E10value_typeET2_T3_PNSJ_ISO_E10value_typeET4_T5_PST_SU_PNS1_23onesweep_lookback_stateEbbT6_jjT7_P12ihipStream_tbENKUlT_T0_SI_SN_E_clISD_SD_SD_SD_EEDaS11_S12_SI_SN_EUlS11_E_NS1_11comp_targetILNS1_3genE5ELNS1_11target_archE942ELNS1_3gpuE9ELNS1_3repE0EEENS1_47radix_sort_onesweep_sort_config_static_selectorELNS0_4arch9wavefront6targetE1EEEvSI_.num_named_barrier, 0
	.set _ZN7rocprim17ROCPRIM_400000_NS6detail17trampoline_kernelINS0_14default_configENS1_35radix_sort_onesweep_config_selectorIffEEZZNS1_29radix_sort_onesweep_iterationIS3_Lb0EN6thrust23THRUST_200600_302600_NS6detail15normal_iteratorINS8_10device_ptrIfEEEESD_SD_SD_jNS0_19identity_decomposerENS1_16block_id_wrapperIjLb0EEEEE10hipError_tT1_PNSt15iterator_traitsISI_E10value_typeET2_T3_PNSJ_ISO_E10value_typeET4_T5_PST_SU_PNS1_23onesweep_lookback_stateEbbT6_jjT7_P12ihipStream_tbENKUlT_T0_SI_SN_E_clISD_SD_SD_SD_EEDaS11_S12_SI_SN_EUlS11_E_NS1_11comp_targetILNS1_3genE5ELNS1_11target_archE942ELNS1_3gpuE9ELNS1_3repE0EEENS1_47radix_sort_onesweep_sort_config_static_selectorELNS0_4arch9wavefront6targetE1EEEvSI_.private_seg_size, 0
	.set _ZN7rocprim17ROCPRIM_400000_NS6detail17trampoline_kernelINS0_14default_configENS1_35radix_sort_onesweep_config_selectorIffEEZZNS1_29radix_sort_onesweep_iterationIS3_Lb0EN6thrust23THRUST_200600_302600_NS6detail15normal_iteratorINS8_10device_ptrIfEEEESD_SD_SD_jNS0_19identity_decomposerENS1_16block_id_wrapperIjLb0EEEEE10hipError_tT1_PNSt15iterator_traitsISI_E10value_typeET2_T3_PNSJ_ISO_E10value_typeET4_T5_PST_SU_PNS1_23onesweep_lookback_stateEbbT6_jjT7_P12ihipStream_tbENKUlT_T0_SI_SN_E_clISD_SD_SD_SD_EEDaS11_S12_SI_SN_EUlS11_E_NS1_11comp_targetILNS1_3genE5ELNS1_11target_archE942ELNS1_3gpuE9ELNS1_3repE0EEENS1_47radix_sort_onesweep_sort_config_static_selectorELNS0_4arch9wavefront6targetE1EEEvSI_.uses_vcc, 0
	.set _ZN7rocprim17ROCPRIM_400000_NS6detail17trampoline_kernelINS0_14default_configENS1_35radix_sort_onesweep_config_selectorIffEEZZNS1_29radix_sort_onesweep_iterationIS3_Lb0EN6thrust23THRUST_200600_302600_NS6detail15normal_iteratorINS8_10device_ptrIfEEEESD_SD_SD_jNS0_19identity_decomposerENS1_16block_id_wrapperIjLb0EEEEE10hipError_tT1_PNSt15iterator_traitsISI_E10value_typeET2_T3_PNSJ_ISO_E10value_typeET4_T5_PST_SU_PNS1_23onesweep_lookback_stateEbbT6_jjT7_P12ihipStream_tbENKUlT_T0_SI_SN_E_clISD_SD_SD_SD_EEDaS11_S12_SI_SN_EUlS11_E_NS1_11comp_targetILNS1_3genE5ELNS1_11target_archE942ELNS1_3gpuE9ELNS1_3repE0EEENS1_47radix_sort_onesweep_sort_config_static_selectorELNS0_4arch9wavefront6targetE1EEEvSI_.uses_flat_scratch, 0
	.set _ZN7rocprim17ROCPRIM_400000_NS6detail17trampoline_kernelINS0_14default_configENS1_35radix_sort_onesweep_config_selectorIffEEZZNS1_29radix_sort_onesweep_iterationIS3_Lb0EN6thrust23THRUST_200600_302600_NS6detail15normal_iteratorINS8_10device_ptrIfEEEESD_SD_SD_jNS0_19identity_decomposerENS1_16block_id_wrapperIjLb0EEEEE10hipError_tT1_PNSt15iterator_traitsISI_E10value_typeET2_T3_PNSJ_ISO_E10value_typeET4_T5_PST_SU_PNS1_23onesweep_lookback_stateEbbT6_jjT7_P12ihipStream_tbENKUlT_T0_SI_SN_E_clISD_SD_SD_SD_EEDaS11_S12_SI_SN_EUlS11_E_NS1_11comp_targetILNS1_3genE5ELNS1_11target_archE942ELNS1_3gpuE9ELNS1_3repE0EEENS1_47radix_sort_onesweep_sort_config_static_selectorELNS0_4arch9wavefront6targetE1EEEvSI_.has_dyn_sized_stack, 0
	.set _ZN7rocprim17ROCPRIM_400000_NS6detail17trampoline_kernelINS0_14default_configENS1_35radix_sort_onesweep_config_selectorIffEEZZNS1_29radix_sort_onesweep_iterationIS3_Lb0EN6thrust23THRUST_200600_302600_NS6detail15normal_iteratorINS8_10device_ptrIfEEEESD_SD_SD_jNS0_19identity_decomposerENS1_16block_id_wrapperIjLb0EEEEE10hipError_tT1_PNSt15iterator_traitsISI_E10value_typeET2_T3_PNSJ_ISO_E10value_typeET4_T5_PST_SU_PNS1_23onesweep_lookback_stateEbbT6_jjT7_P12ihipStream_tbENKUlT_T0_SI_SN_E_clISD_SD_SD_SD_EEDaS11_S12_SI_SN_EUlS11_E_NS1_11comp_targetILNS1_3genE5ELNS1_11target_archE942ELNS1_3gpuE9ELNS1_3repE0EEENS1_47radix_sort_onesweep_sort_config_static_selectorELNS0_4arch9wavefront6targetE1EEEvSI_.has_recursion, 0
	.set _ZN7rocprim17ROCPRIM_400000_NS6detail17trampoline_kernelINS0_14default_configENS1_35radix_sort_onesweep_config_selectorIffEEZZNS1_29radix_sort_onesweep_iterationIS3_Lb0EN6thrust23THRUST_200600_302600_NS6detail15normal_iteratorINS8_10device_ptrIfEEEESD_SD_SD_jNS0_19identity_decomposerENS1_16block_id_wrapperIjLb0EEEEE10hipError_tT1_PNSt15iterator_traitsISI_E10value_typeET2_T3_PNSJ_ISO_E10value_typeET4_T5_PST_SU_PNS1_23onesweep_lookback_stateEbbT6_jjT7_P12ihipStream_tbENKUlT_T0_SI_SN_E_clISD_SD_SD_SD_EEDaS11_S12_SI_SN_EUlS11_E_NS1_11comp_targetILNS1_3genE5ELNS1_11target_archE942ELNS1_3gpuE9ELNS1_3repE0EEENS1_47radix_sort_onesweep_sort_config_static_selectorELNS0_4arch9wavefront6targetE1EEEvSI_.has_indirect_call, 0
	.section	.AMDGPU.csdata,"",@progbits
; Kernel info:
; codeLenInByte = 0
; TotalNumSgprs: 6
; NumVgprs: 0
; NumAgprs: 0
; TotalNumVgprs: 0
; ScratchSize: 0
; MemoryBound: 0
; FloatMode: 240
; IeeeMode: 1
; LDSByteSize: 0 bytes/workgroup (compile time only)
; SGPRBlocks: 0
; VGPRBlocks: 0
; NumSGPRsForWavesPerEU: 6
; NumVGPRsForWavesPerEU: 1
; AccumOffset: 4
; Occupancy: 8
; WaveLimiterHint : 0
; COMPUTE_PGM_RSRC2:SCRATCH_EN: 0
; COMPUTE_PGM_RSRC2:USER_SGPR: 2
; COMPUTE_PGM_RSRC2:TRAP_HANDLER: 0
; COMPUTE_PGM_RSRC2:TGID_X_EN: 1
; COMPUTE_PGM_RSRC2:TGID_Y_EN: 0
; COMPUTE_PGM_RSRC2:TGID_Z_EN: 0
; COMPUTE_PGM_RSRC2:TIDIG_COMP_CNT: 0
; COMPUTE_PGM_RSRC3_GFX90A:ACCUM_OFFSET: 0
; COMPUTE_PGM_RSRC3_GFX90A:TG_SPLIT: 0
	.section	.text._ZN7rocprim17ROCPRIM_400000_NS6detail17trampoline_kernelINS0_14default_configENS1_35radix_sort_onesweep_config_selectorIffEEZZNS1_29radix_sort_onesweep_iterationIS3_Lb0EN6thrust23THRUST_200600_302600_NS6detail15normal_iteratorINS8_10device_ptrIfEEEESD_SD_SD_jNS0_19identity_decomposerENS1_16block_id_wrapperIjLb0EEEEE10hipError_tT1_PNSt15iterator_traitsISI_E10value_typeET2_T3_PNSJ_ISO_E10value_typeET4_T5_PST_SU_PNS1_23onesweep_lookback_stateEbbT6_jjT7_P12ihipStream_tbENKUlT_T0_SI_SN_E_clISD_SD_SD_SD_EEDaS11_S12_SI_SN_EUlS11_E_NS1_11comp_targetILNS1_3genE2ELNS1_11target_archE906ELNS1_3gpuE6ELNS1_3repE0EEENS1_47radix_sort_onesweep_sort_config_static_selectorELNS0_4arch9wavefront6targetE1EEEvSI_,"axG",@progbits,_ZN7rocprim17ROCPRIM_400000_NS6detail17trampoline_kernelINS0_14default_configENS1_35radix_sort_onesweep_config_selectorIffEEZZNS1_29radix_sort_onesweep_iterationIS3_Lb0EN6thrust23THRUST_200600_302600_NS6detail15normal_iteratorINS8_10device_ptrIfEEEESD_SD_SD_jNS0_19identity_decomposerENS1_16block_id_wrapperIjLb0EEEEE10hipError_tT1_PNSt15iterator_traitsISI_E10value_typeET2_T3_PNSJ_ISO_E10value_typeET4_T5_PST_SU_PNS1_23onesweep_lookback_stateEbbT6_jjT7_P12ihipStream_tbENKUlT_T0_SI_SN_E_clISD_SD_SD_SD_EEDaS11_S12_SI_SN_EUlS11_E_NS1_11comp_targetILNS1_3genE2ELNS1_11target_archE906ELNS1_3gpuE6ELNS1_3repE0EEENS1_47radix_sort_onesweep_sort_config_static_selectorELNS0_4arch9wavefront6targetE1EEEvSI_,comdat
	.protected	_ZN7rocprim17ROCPRIM_400000_NS6detail17trampoline_kernelINS0_14default_configENS1_35radix_sort_onesweep_config_selectorIffEEZZNS1_29radix_sort_onesweep_iterationIS3_Lb0EN6thrust23THRUST_200600_302600_NS6detail15normal_iteratorINS8_10device_ptrIfEEEESD_SD_SD_jNS0_19identity_decomposerENS1_16block_id_wrapperIjLb0EEEEE10hipError_tT1_PNSt15iterator_traitsISI_E10value_typeET2_T3_PNSJ_ISO_E10value_typeET4_T5_PST_SU_PNS1_23onesweep_lookback_stateEbbT6_jjT7_P12ihipStream_tbENKUlT_T0_SI_SN_E_clISD_SD_SD_SD_EEDaS11_S12_SI_SN_EUlS11_E_NS1_11comp_targetILNS1_3genE2ELNS1_11target_archE906ELNS1_3gpuE6ELNS1_3repE0EEENS1_47radix_sort_onesweep_sort_config_static_selectorELNS0_4arch9wavefront6targetE1EEEvSI_ ; -- Begin function _ZN7rocprim17ROCPRIM_400000_NS6detail17trampoline_kernelINS0_14default_configENS1_35radix_sort_onesweep_config_selectorIffEEZZNS1_29radix_sort_onesweep_iterationIS3_Lb0EN6thrust23THRUST_200600_302600_NS6detail15normal_iteratorINS8_10device_ptrIfEEEESD_SD_SD_jNS0_19identity_decomposerENS1_16block_id_wrapperIjLb0EEEEE10hipError_tT1_PNSt15iterator_traitsISI_E10value_typeET2_T3_PNSJ_ISO_E10value_typeET4_T5_PST_SU_PNS1_23onesweep_lookback_stateEbbT6_jjT7_P12ihipStream_tbENKUlT_T0_SI_SN_E_clISD_SD_SD_SD_EEDaS11_S12_SI_SN_EUlS11_E_NS1_11comp_targetILNS1_3genE2ELNS1_11target_archE906ELNS1_3gpuE6ELNS1_3repE0EEENS1_47radix_sort_onesweep_sort_config_static_selectorELNS0_4arch9wavefront6targetE1EEEvSI_
	.globl	_ZN7rocprim17ROCPRIM_400000_NS6detail17trampoline_kernelINS0_14default_configENS1_35radix_sort_onesweep_config_selectorIffEEZZNS1_29radix_sort_onesweep_iterationIS3_Lb0EN6thrust23THRUST_200600_302600_NS6detail15normal_iteratorINS8_10device_ptrIfEEEESD_SD_SD_jNS0_19identity_decomposerENS1_16block_id_wrapperIjLb0EEEEE10hipError_tT1_PNSt15iterator_traitsISI_E10value_typeET2_T3_PNSJ_ISO_E10value_typeET4_T5_PST_SU_PNS1_23onesweep_lookback_stateEbbT6_jjT7_P12ihipStream_tbENKUlT_T0_SI_SN_E_clISD_SD_SD_SD_EEDaS11_S12_SI_SN_EUlS11_E_NS1_11comp_targetILNS1_3genE2ELNS1_11target_archE906ELNS1_3gpuE6ELNS1_3repE0EEENS1_47radix_sort_onesweep_sort_config_static_selectorELNS0_4arch9wavefront6targetE1EEEvSI_
	.p2align	8
	.type	_ZN7rocprim17ROCPRIM_400000_NS6detail17trampoline_kernelINS0_14default_configENS1_35radix_sort_onesweep_config_selectorIffEEZZNS1_29radix_sort_onesweep_iterationIS3_Lb0EN6thrust23THRUST_200600_302600_NS6detail15normal_iteratorINS8_10device_ptrIfEEEESD_SD_SD_jNS0_19identity_decomposerENS1_16block_id_wrapperIjLb0EEEEE10hipError_tT1_PNSt15iterator_traitsISI_E10value_typeET2_T3_PNSJ_ISO_E10value_typeET4_T5_PST_SU_PNS1_23onesweep_lookback_stateEbbT6_jjT7_P12ihipStream_tbENKUlT_T0_SI_SN_E_clISD_SD_SD_SD_EEDaS11_S12_SI_SN_EUlS11_E_NS1_11comp_targetILNS1_3genE2ELNS1_11target_archE906ELNS1_3gpuE6ELNS1_3repE0EEENS1_47radix_sort_onesweep_sort_config_static_selectorELNS0_4arch9wavefront6targetE1EEEvSI_,@function
_ZN7rocprim17ROCPRIM_400000_NS6detail17trampoline_kernelINS0_14default_configENS1_35radix_sort_onesweep_config_selectorIffEEZZNS1_29radix_sort_onesweep_iterationIS3_Lb0EN6thrust23THRUST_200600_302600_NS6detail15normal_iteratorINS8_10device_ptrIfEEEESD_SD_SD_jNS0_19identity_decomposerENS1_16block_id_wrapperIjLb0EEEEE10hipError_tT1_PNSt15iterator_traitsISI_E10value_typeET2_T3_PNSJ_ISO_E10value_typeET4_T5_PST_SU_PNS1_23onesweep_lookback_stateEbbT6_jjT7_P12ihipStream_tbENKUlT_T0_SI_SN_E_clISD_SD_SD_SD_EEDaS11_S12_SI_SN_EUlS11_E_NS1_11comp_targetILNS1_3genE2ELNS1_11target_archE906ELNS1_3gpuE6ELNS1_3repE0EEENS1_47radix_sort_onesweep_sort_config_static_selectorELNS0_4arch9wavefront6targetE1EEEvSI_: ; @_ZN7rocprim17ROCPRIM_400000_NS6detail17trampoline_kernelINS0_14default_configENS1_35radix_sort_onesweep_config_selectorIffEEZZNS1_29radix_sort_onesweep_iterationIS3_Lb0EN6thrust23THRUST_200600_302600_NS6detail15normal_iteratorINS8_10device_ptrIfEEEESD_SD_SD_jNS0_19identity_decomposerENS1_16block_id_wrapperIjLb0EEEEE10hipError_tT1_PNSt15iterator_traitsISI_E10value_typeET2_T3_PNSJ_ISO_E10value_typeET4_T5_PST_SU_PNS1_23onesweep_lookback_stateEbbT6_jjT7_P12ihipStream_tbENKUlT_T0_SI_SN_E_clISD_SD_SD_SD_EEDaS11_S12_SI_SN_EUlS11_E_NS1_11comp_targetILNS1_3genE2ELNS1_11target_archE906ELNS1_3gpuE6ELNS1_3repE0EEENS1_47radix_sort_onesweep_sort_config_static_selectorELNS0_4arch9wavefront6targetE1EEEvSI_
; %bb.0:
	.section	.rodata,"a",@progbits
	.p2align	6, 0x0
	.amdhsa_kernel _ZN7rocprim17ROCPRIM_400000_NS6detail17trampoline_kernelINS0_14default_configENS1_35radix_sort_onesweep_config_selectorIffEEZZNS1_29radix_sort_onesweep_iterationIS3_Lb0EN6thrust23THRUST_200600_302600_NS6detail15normal_iteratorINS8_10device_ptrIfEEEESD_SD_SD_jNS0_19identity_decomposerENS1_16block_id_wrapperIjLb0EEEEE10hipError_tT1_PNSt15iterator_traitsISI_E10value_typeET2_T3_PNSJ_ISO_E10value_typeET4_T5_PST_SU_PNS1_23onesweep_lookback_stateEbbT6_jjT7_P12ihipStream_tbENKUlT_T0_SI_SN_E_clISD_SD_SD_SD_EEDaS11_S12_SI_SN_EUlS11_E_NS1_11comp_targetILNS1_3genE2ELNS1_11target_archE906ELNS1_3gpuE6ELNS1_3repE0EEENS1_47radix_sort_onesweep_sort_config_static_selectorELNS0_4arch9wavefront6targetE1EEEvSI_
		.amdhsa_group_segment_fixed_size 0
		.amdhsa_private_segment_fixed_size 0
		.amdhsa_kernarg_size 88
		.amdhsa_user_sgpr_count 2
		.amdhsa_user_sgpr_dispatch_ptr 0
		.amdhsa_user_sgpr_queue_ptr 0
		.amdhsa_user_sgpr_kernarg_segment_ptr 1
		.amdhsa_user_sgpr_dispatch_id 0
		.amdhsa_user_sgpr_kernarg_preload_length 0
		.amdhsa_user_sgpr_kernarg_preload_offset 0
		.amdhsa_user_sgpr_private_segment_size 0
		.amdhsa_uses_dynamic_stack 0
		.amdhsa_enable_private_segment 0
		.amdhsa_system_sgpr_workgroup_id_x 1
		.amdhsa_system_sgpr_workgroup_id_y 0
		.amdhsa_system_sgpr_workgroup_id_z 0
		.amdhsa_system_sgpr_workgroup_info 0
		.amdhsa_system_vgpr_workitem_id 0
		.amdhsa_next_free_vgpr 1
		.amdhsa_next_free_sgpr 0
		.amdhsa_accum_offset 4
		.amdhsa_reserve_vcc 0
		.amdhsa_float_round_mode_32 0
		.amdhsa_float_round_mode_16_64 0
		.amdhsa_float_denorm_mode_32 3
		.amdhsa_float_denorm_mode_16_64 3
		.amdhsa_dx10_clamp 1
		.amdhsa_ieee_mode 1
		.amdhsa_fp16_overflow 0
		.amdhsa_tg_split 0
		.amdhsa_exception_fp_ieee_invalid_op 0
		.amdhsa_exception_fp_denorm_src 0
		.amdhsa_exception_fp_ieee_div_zero 0
		.amdhsa_exception_fp_ieee_overflow 0
		.amdhsa_exception_fp_ieee_underflow 0
		.amdhsa_exception_fp_ieee_inexact 0
		.amdhsa_exception_int_div_zero 0
	.end_amdhsa_kernel
	.section	.text._ZN7rocprim17ROCPRIM_400000_NS6detail17trampoline_kernelINS0_14default_configENS1_35radix_sort_onesweep_config_selectorIffEEZZNS1_29radix_sort_onesweep_iterationIS3_Lb0EN6thrust23THRUST_200600_302600_NS6detail15normal_iteratorINS8_10device_ptrIfEEEESD_SD_SD_jNS0_19identity_decomposerENS1_16block_id_wrapperIjLb0EEEEE10hipError_tT1_PNSt15iterator_traitsISI_E10value_typeET2_T3_PNSJ_ISO_E10value_typeET4_T5_PST_SU_PNS1_23onesweep_lookback_stateEbbT6_jjT7_P12ihipStream_tbENKUlT_T0_SI_SN_E_clISD_SD_SD_SD_EEDaS11_S12_SI_SN_EUlS11_E_NS1_11comp_targetILNS1_3genE2ELNS1_11target_archE906ELNS1_3gpuE6ELNS1_3repE0EEENS1_47radix_sort_onesweep_sort_config_static_selectorELNS0_4arch9wavefront6targetE1EEEvSI_,"axG",@progbits,_ZN7rocprim17ROCPRIM_400000_NS6detail17trampoline_kernelINS0_14default_configENS1_35radix_sort_onesweep_config_selectorIffEEZZNS1_29radix_sort_onesweep_iterationIS3_Lb0EN6thrust23THRUST_200600_302600_NS6detail15normal_iteratorINS8_10device_ptrIfEEEESD_SD_SD_jNS0_19identity_decomposerENS1_16block_id_wrapperIjLb0EEEEE10hipError_tT1_PNSt15iterator_traitsISI_E10value_typeET2_T3_PNSJ_ISO_E10value_typeET4_T5_PST_SU_PNS1_23onesweep_lookback_stateEbbT6_jjT7_P12ihipStream_tbENKUlT_T0_SI_SN_E_clISD_SD_SD_SD_EEDaS11_S12_SI_SN_EUlS11_E_NS1_11comp_targetILNS1_3genE2ELNS1_11target_archE906ELNS1_3gpuE6ELNS1_3repE0EEENS1_47radix_sort_onesweep_sort_config_static_selectorELNS0_4arch9wavefront6targetE1EEEvSI_,comdat
.Lfunc_end335:
	.size	_ZN7rocprim17ROCPRIM_400000_NS6detail17trampoline_kernelINS0_14default_configENS1_35radix_sort_onesweep_config_selectorIffEEZZNS1_29radix_sort_onesweep_iterationIS3_Lb0EN6thrust23THRUST_200600_302600_NS6detail15normal_iteratorINS8_10device_ptrIfEEEESD_SD_SD_jNS0_19identity_decomposerENS1_16block_id_wrapperIjLb0EEEEE10hipError_tT1_PNSt15iterator_traitsISI_E10value_typeET2_T3_PNSJ_ISO_E10value_typeET4_T5_PST_SU_PNS1_23onesweep_lookback_stateEbbT6_jjT7_P12ihipStream_tbENKUlT_T0_SI_SN_E_clISD_SD_SD_SD_EEDaS11_S12_SI_SN_EUlS11_E_NS1_11comp_targetILNS1_3genE2ELNS1_11target_archE906ELNS1_3gpuE6ELNS1_3repE0EEENS1_47radix_sort_onesweep_sort_config_static_selectorELNS0_4arch9wavefront6targetE1EEEvSI_, .Lfunc_end335-_ZN7rocprim17ROCPRIM_400000_NS6detail17trampoline_kernelINS0_14default_configENS1_35radix_sort_onesweep_config_selectorIffEEZZNS1_29radix_sort_onesweep_iterationIS3_Lb0EN6thrust23THRUST_200600_302600_NS6detail15normal_iteratorINS8_10device_ptrIfEEEESD_SD_SD_jNS0_19identity_decomposerENS1_16block_id_wrapperIjLb0EEEEE10hipError_tT1_PNSt15iterator_traitsISI_E10value_typeET2_T3_PNSJ_ISO_E10value_typeET4_T5_PST_SU_PNS1_23onesweep_lookback_stateEbbT6_jjT7_P12ihipStream_tbENKUlT_T0_SI_SN_E_clISD_SD_SD_SD_EEDaS11_S12_SI_SN_EUlS11_E_NS1_11comp_targetILNS1_3genE2ELNS1_11target_archE906ELNS1_3gpuE6ELNS1_3repE0EEENS1_47radix_sort_onesweep_sort_config_static_selectorELNS0_4arch9wavefront6targetE1EEEvSI_
                                        ; -- End function
	.set _ZN7rocprim17ROCPRIM_400000_NS6detail17trampoline_kernelINS0_14default_configENS1_35radix_sort_onesweep_config_selectorIffEEZZNS1_29radix_sort_onesweep_iterationIS3_Lb0EN6thrust23THRUST_200600_302600_NS6detail15normal_iteratorINS8_10device_ptrIfEEEESD_SD_SD_jNS0_19identity_decomposerENS1_16block_id_wrapperIjLb0EEEEE10hipError_tT1_PNSt15iterator_traitsISI_E10value_typeET2_T3_PNSJ_ISO_E10value_typeET4_T5_PST_SU_PNS1_23onesweep_lookback_stateEbbT6_jjT7_P12ihipStream_tbENKUlT_T0_SI_SN_E_clISD_SD_SD_SD_EEDaS11_S12_SI_SN_EUlS11_E_NS1_11comp_targetILNS1_3genE2ELNS1_11target_archE906ELNS1_3gpuE6ELNS1_3repE0EEENS1_47radix_sort_onesweep_sort_config_static_selectorELNS0_4arch9wavefront6targetE1EEEvSI_.num_vgpr, 0
	.set _ZN7rocprim17ROCPRIM_400000_NS6detail17trampoline_kernelINS0_14default_configENS1_35radix_sort_onesweep_config_selectorIffEEZZNS1_29radix_sort_onesweep_iterationIS3_Lb0EN6thrust23THRUST_200600_302600_NS6detail15normal_iteratorINS8_10device_ptrIfEEEESD_SD_SD_jNS0_19identity_decomposerENS1_16block_id_wrapperIjLb0EEEEE10hipError_tT1_PNSt15iterator_traitsISI_E10value_typeET2_T3_PNSJ_ISO_E10value_typeET4_T5_PST_SU_PNS1_23onesweep_lookback_stateEbbT6_jjT7_P12ihipStream_tbENKUlT_T0_SI_SN_E_clISD_SD_SD_SD_EEDaS11_S12_SI_SN_EUlS11_E_NS1_11comp_targetILNS1_3genE2ELNS1_11target_archE906ELNS1_3gpuE6ELNS1_3repE0EEENS1_47radix_sort_onesweep_sort_config_static_selectorELNS0_4arch9wavefront6targetE1EEEvSI_.num_agpr, 0
	.set _ZN7rocprim17ROCPRIM_400000_NS6detail17trampoline_kernelINS0_14default_configENS1_35radix_sort_onesweep_config_selectorIffEEZZNS1_29radix_sort_onesweep_iterationIS3_Lb0EN6thrust23THRUST_200600_302600_NS6detail15normal_iteratorINS8_10device_ptrIfEEEESD_SD_SD_jNS0_19identity_decomposerENS1_16block_id_wrapperIjLb0EEEEE10hipError_tT1_PNSt15iterator_traitsISI_E10value_typeET2_T3_PNSJ_ISO_E10value_typeET4_T5_PST_SU_PNS1_23onesweep_lookback_stateEbbT6_jjT7_P12ihipStream_tbENKUlT_T0_SI_SN_E_clISD_SD_SD_SD_EEDaS11_S12_SI_SN_EUlS11_E_NS1_11comp_targetILNS1_3genE2ELNS1_11target_archE906ELNS1_3gpuE6ELNS1_3repE0EEENS1_47radix_sort_onesweep_sort_config_static_selectorELNS0_4arch9wavefront6targetE1EEEvSI_.numbered_sgpr, 0
	.set _ZN7rocprim17ROCPRIM_400000_NS6detail17trampoline_kernelINS0_14default_configENS1_35radix_sort_onesweep_config_selectorIffEEZZNS1_29radix_sort_onesweep_iterationIS3_Lb0EN6thrust23THRUST_200600_302600_NS6detail15normal_iteratorINS8_10device_ptrIfEEEESD_SD_SD_jNS0_19identity_decomposerENS1_16block_id_wrapperIjLb0EEEEE10hipError_tT1_PNSt15iterator_traitsISI_E10value_typeET2_T3_PNSJ_ISO_E10value_typeET4_T5_PST_SU_PNS1_23onesweep_lookback_stateEbbT6_jjT7_P12ihipStream_tbENKUlT_T0_SI_SN_E_clISD_SD_SD_SD_EEDaS11_S12_SI_SN_EUlS11_E_NS1_11comp_targetILNS1_3genE2ELNS1_11target_archE906ELNS1_3gpuE6ELNS1_3repE0EEENS1_47radix_sort_onesweep_sort_config_static_selectorELNS0_4arch9wavefront6targetE1EEEvSI_.num_named_barrier, 0
	.set _ZN7rocprim17ROCPRIM_400000_NS6detail17trampoline_kernelINS0_14default_configENS1_35radix_sort_onesweep_config_selectorIffEEZZNS1_29radix_sort_onesweep_iterationIS3_Lb0EN6thrust23THRUST_200600_302600_NS6detail15normal_iteratorINS8_10device_ptrIfEEEESD_SD_SD_jNS0_19identity_decomposerENS1_16block_id_wrapperIjLb0EEEEE10hipError_tT1_PNSt15iterator_traitsISI_E10value_typeET2_T3_PNSJ_ISO_E10value_typeET4_T5_PST_SU_PNS1_23onesweep_lookback_stateEbbT6_jjT7_P12ihipStream_tbENKUlT_T0_SI_SN_E_clISD_SD_SD_SD_EEDaS11_S12_SI_SN_EUlS11_E_NS1_11comp_targetILNS1_3genE2ELNS1_11target_archE906ELNS1_3gpuE6ELNS1_3repE0EEENS1_47radix_sort_onesweep_sort_config_static_selectorELNS0_4arch9wavefront6targetE1EEEvSI_.private_seg_size, 0
	.set _ZN7rocprim17ROCPRIM_400000_NS6detail17trampoline_kernelINS0_14default_configENS1_35radix_sort_onesweep_config_selectorIffEEZZNS1_29radix_sort_onesweep_iterationIS3_Lb0EN6thrust23THRUST_200600_302600_NS6detail15normal_iteratorINS8_10device_ptrIfEEEESD_SD_SD_jNS0_19identity_decomposerENS1_16block_id_wrapperIjLb0EEEEE10hipError_tT1_PNSt15iterator_traitsISI_E10value_typeET2_T3_PNSJ_ISO_E10value_typeET4_T5_PST_SU_PNS1_23onesweep_lookback_stateEbbT6_jjT7_P12ihipStream_tbENKUlT_T0_SI_SN_E_clISD_SD_SD_SD_EEDaS11_S12_SI_SN_EUlS11_E_NS1_11comp_targetILNS1_3genE2ELNS1_11target_archE906ELNS1_3gpuE6ELNS1_3repE0EEENS1_47radix_sort_onesweep_sort_config_static_selectorELNS0_4arch9wavefront6targetE1EEEvSI_.uses_vcc, 0
	.set _ZN7rocprim17ROCPRIM_400000_NS6detail17trampoline_kernelINS0_14default_configENS1_35radix_sort_onesweep_config_selectorIffEEZZNS1_29radix_sort_onesweep_iterationIS3_Lb0EN6thrust23THRUST_200600_302600_NS6detail15normal_iteratorINS8_10device_ptrIfEEEESD_SD_SD_jNS0_19identity_decomposerENS1_16block_id_wrapperIjLb0EEEEE10hipError_tT1_PNSt15iterator_traitsISI_E10value_typeET2_T3_PNSJ_ISO_E10value_typeET4_T5_PST_SU_PNS1_23onesweep_lookback_stateEbbT6_jjT7_P12ihipStream_tbENKUlT_T0_SI_SN_E_clISD_SD_SD_SD_EEDaS11_S12_SI_SN_EUlS11_E_NS1_11comp_targetILNS1_3genE2ELNS1_11target_archE906ELNS1_3gpuE6ELNS1_3repE0EEENS1_47radix_sort_onesweep_sort_config_static_selectorELNS0_4arch9wavefront6targetE1EEEvSI_.uses_flat_scratch, 0
	.set _ZN7rocprim17ROCPRIM_400000_NS6detail17trampoline_kernelINS0_14default_configENS1_35radix_sort_onesweep_config_selectorIffEEZZNS1_29radix_sort_onesweep_iterationIS3_Lb0EN6thrust23THRUST_200600_302600_NS6detail15normal_iteratorINS8_10device_ptrIfEEEESD_SD_SD_jNS0_19identity_decomposerENS1_16block_id_wrapperIjLb0EEEEE10hipError_tT1_PNSt15iterator_traitsISI_E10value_typeET2_T3_PNSJ_ISO_E10value_typeET4_T5_PST_SU_PNS1_23onesweep_lookback_stateEbbT6_jjT7_P12ihipStream_tbENKUlT_T0_SI_SN_E_clISD_SD_SD_SD_EEDaS11_S12_SI_SN_EUlS11_E_NS1_11comp_targetILNS1_3genE2ELNS1_11target_archE906ELNS1_3gpuE6ELNS1_3repE0EEENS1_47radix_sort_onesweep_sort_config_static_selectorELNS0_4arch9wavefront6targetE1EEEvSI_.has_dyn_sized_stack, 0
	.set _ZN7rocprim17ROCPRIM_400000_NS6detail17trampoline_kernelINS0_14default_configENS1_35radix_sort_onesweep_config_selectorIffEEZZNS1_29radix_sort_onesweep_iterationIS3_Lb0EN6thrust23THRUST_200600_302600_NS6detail15normal_iteratorINS8_10device_ptrIfEEEESD_SD_SD_jNS0_19identity_decomposerENS1_16block_id_wrapperIjLb0EEEEE10hipError_tT1_PNSt15iterator_traitsISI_E10value_typeET2_T3_PNSJ_ISO_E10value_typeET4_T5_PST_SU_PNS1_23onesweep_lookback_stateEbbT6_jjT7_P12ihipStream_tbENKUlT_T0_SI_SN_E_clISD_SD_SD_SD_EEDaS11_S12_SI_SN_EUlS11_E_NS1_11comp_targetILNS1_3genE2ELNS1_11target_archE906ELNS1_3gpuE6ELNS1_3repE0EEENS1_47radix_sort_onesweep_sort_config_static_selectorELNS0_4arch9wavefront6targetE1EEEvSI_.has_recursion, 0
	.set _ZN7rocprim17ROCPRIM_400000_NS6detail17trampoline_kernelINS0_14default_configENS1_35radix_sort_onesweep_config_selectorIffEEZZNS1_29radix_sort_onesweep_iterationIS3_Lb0EN6thrust23THRUST_200600_302600_NS6detail15normal_iteratorINS8_10device_ptrIfEEEESD_SD_SD_jNS0_19identity_decomposerENS1_16block_id_wrapperIjLb0EEEEE10hipError_tT1_PNSt15iterator_traitsISI_E10value_typeET2_T3_PNSJ_ISO_E10value_typeET4_T5_PST_SU_PNS1_23onesweep_lookback_stateEbbT6_jjT7_P12ihipStream_tbENKUlT_T0_SI_SN_E_clISD_SD_SD_SD_EEDaS11_S12_SI_SN_EUlS11_E_NS1_11comp_targetILNS1_3genE2ELNS1_11target_archE906ELNS1_3gpuE6ELNS1_3repE0EEENS1_47radix_sort_onesweep_sort_config_static_selectorELNS0_4arch9wavefront6targetE1EEEvSI_.has_indirect_call, 0
	.section	.AMDGPU.csdata,"",@progbits
; Kernel info:
; codeLenInByte = 0
; TotalNumSgprs: 6
; NumVgprs: 0
; NumAgprs: 0
; TotalNumVgprs: 0
; ScratchSize: 0
; MemoryBound: 0
; FloatMode: 240
; IeeeMode: 1
; LDSByteSize: 0 bytes/workgroup (compile time only)
; SGPRBlocks: 0
; VGPRBlocks: 0
; NumSGPRsForWavesPerEU: 6
; NumVGPRsForWavesPerEU: 1
; AccumOffset: 4
; Occupancy: 8
; WaveLimiterHint : 0
; COMPUTE_PGM_RSRC2:SCRATCH_EN: 0
; COMPUTE_PGM_RSRC2:USER_SGPR: 2
; COMPUTE_PGM_RSRC2:TRAP_HANDLER: 0
; COMPUTE_PGM_RSRC2:TGID_X_EN: 1
; COMPUTE_PGM_RSRC2:TGID_Y_EN: 0
; COMPUTE_PGM_RSRC2:TGID_Z_EN: 0
; COMPUTE_PGM_RSRC2:TIDIG_COMP_CNT: 0
; COMPUTE_PGM_RSRC3_GFX90A:ACCUM_OFFSET: 0
; COMPUTE_PGM_RSRC3_GFX90A:TG_SPLIT: 0
	.section	.text._ZN7rocprim17ROCPRIM_400000_NS6detail17trampoline_kernelINS0_14default_configENS1_35radix_sort_onesweep_config_selectorIffEEZZNS1_29radix_sort_onesweep_iterationIS3_Lb0EN6thrust23THRUST_200600_302600_NS6detail15normal_iteratorINS8_10device_ptrIfEEEESD_SD_SD_jNS0_19identity_decomposerENS1_16block_id_wrapperIjLb0EEEEE10hipError_tT1_PNSt15iterator_traitsISI_E10value_typeET2_T3_PNSJ_ISO_E10value_typeET4_T5_PST_SU_PNS1_23onesweep_lookback_stateEbbT6_jjT7_P12ihipStream_tbENKUlT_T0_SI_SN_E_clISD_SD_SD_SD_EEDaS11_S12_SI_SN_EUlS11_E_NS1_11comp_targetILNS1_3genE4ELNS1_11target_archE910ELNS1_3gpuE8ELNS1_3repE0EEENS1_47radix_sort_onesweep_sort_config_static_selectorELNS0_4arch9wavefront6targetE1EEEvSI_,"axG",@progbits,_ZN7rocprim17ROCPRIM_400000_NS6detail17trampoline_kernelINS0_14default_configENS1_35radix_sort_onesweep_config_selectorIffEEZZNS1_29radix_sort_onesweep_iterationIS3_Lb0EN6thrust23THRUST_200600_302600_NS6detail15normal_iteratorINS8_10device_ptrIfEEEESD_SD_SD_jNS0_19identity_decomposerENS1_16block_id_wrapperIjLb0EEEEE10hipError_tT1_PNSt15iterator_traitsISI_E10value_typeET2_T3_PNSJ_ISO_E10value_typeET4_T5_PST_SU_PNS1_23onesweep_lookback_stateEbbT6_jjT7_P12ihipStream_tbENKUlT_T0_SI_SN_E_clISD_SD_SD_SD_EEDaS11_S12_SI_SN_EUlS11_E_NS1_11comp_targetILNS1_3genE4ELNS1_11target_archE910ELNS1_3gpuE8ELNS1_3repE0EEENS1_47radix_sort_onesweep_sort_config_static_selectorELNS0_4arch9wavefront6targetE1EEEvSI_,comdat
	.protected	_ZN7rocprim17ROCPRIM_400000_NS6detail17trampoline_kernelINS0_14default_configENS1_35radix_sort_onesweep_config_selectorIffEEZZNS1_29radix_sort_onesweep_iterationIS3_Lb0EN6thrust23THRUST_200600_302600_NS6detail15normal_iteratorINS8_10device_ptrIfEEEESD_SD_SD_jNS0_19identity_decomposerENS1_16block_id_wrapperIjLb0EEEEE10hipError_tT1_PNSt15iterator_traitsISI_E10value_typeET2_T3_PNSJ_ISO_E10value_typeET4_T5_PST_SU_PNS1_23onesweep_lookback_stateEbbT6_jjT7_P12ihipStream_tbENKUlT_T0_SI_SN_E_clISD_SD_SD_SD_EEDaS11_S12_SI_SN_EUlS11_E_NS1_11comp_targetILNS1_3genE4ELNS1_11target_archE910ELNS1_3gpuE8ELNS1_3repE0EEENS1_47radix_sort_onesweep_sort_config_static_selectorELNS0_4arch9wavefront6targetE1EEEvSI_ ; -- Begin function _ZN7rocprim17ROCPRIM_400000_NS6detail17trampoline_kernelINS0_14default_configENS1_35radix_sort_onesweep_config_selectorIffEEZZNS1_29radix_sort_onesweep_iterationIS3_Lb0EN6thrust23THRUST_200600_302600_NS6detail15normal_iteratorINS8_10device_ptrIfEEEESD_SD_SD_jNS0_19identity_decomposerENS1_16block_id_wrapperIjLb0EEEEE10hipError_tT1_PNSt15iterator_traitsISI_E10value_typeET2_T3_PNSJ_ISO_E10value_typeET4_T5_PST_SU_PNS1_23onesweep_lookback_stateEbbT6_jjT7_P12ihipStream_tbENKUlT_T0_SI_SN_E_clISD_SD_SD_SD_EEDaS11_S12_SI_SN_EUlS11_E_NS1_11comp_targetILNS1_3genE4ELNS1_11target_archE910ELNS1_3gpuE8ELNS1_3repE0EEENS1_47radix_sort_onesweep_sort_config_static_selectorELNS0_4arch9wavefront6targetE1EEEvSI_
	.globl	_ZN7rocprim17ROCPRIM_400000_NS6detail17trampoline_kernelINS0_14default_configENS1_35radix_sort_onesweep_config_selectorIffEEZZNS1_29radix_sort_onesweep_iterationIS3_Lb0EN6thrust23THRUST_200600_302600_NS6detail15normal_iteratorINS8_10device_ptrIfEEEESD_SD_SD_jNS0_19identity_decomposerENS1_16block_id_wrapperIjLb0EEEEE10hipError_tT1_PNSt15iterator_traitsISI_E10value_typeET2_T3_PNSJ_ISO_E10value_typeET4_T5_PST_SU_PNS1_23onesweep_lookback_stateEbbT6_jjT7_P12ihipStream_tbENKUlT_T0_SI_SN_E_clISD_SD_SD_SD_EEDaS11_S12_SI_SN_EUlS11_E_NS1_11comp_targetILNS1_3genE4ELNS1_11target_archE910ELNS1_3gpuE8ELNS1_3repE0EEENS1_47radix_sort_onesweep_sort_config_static_selectorELNS0_4arch9wavefront6targetE1EEEvSI_
	.p2align	8
	.type	_ZN7rocprim17ROCPRIM_400000_NS6detail17trampoline_kernelINS0_14default_configENS1_35radix_sort_onesweep_config_selectorIffEEZZNS1_29radix_sort_onesweep_iterationIS3_Lb0EN6thrust23THRUST_200600_302600_NS6detail15normal_iteratorINS8_10device_ptrIfEEEESD_SD_SD_jNS0_19identity_decomposerENS1_16block_id_wrapperIjLb0EEEEE10hipError_tT1_PNSt15iterator_traitsISI_E10value_typeET2_T3_PNSJ_ISO_E10value_typeET4_T5_PST_SU_PNS1_23onesweep_lookback_stateEbbT6_jjT7_P12ihipStream_tbENKUlT_T0_SI_SN_E_clISD_SD_SD_SD_EEDaS11_S12_SI_SN_EUlS11_E_NS1_11comp_targetILNS1_3genE4ELNS1_11target_archE910ELNS1_3gpuE8ELNS1_3repE0EEENS1_47radix_sort_onesweep_sort_config_static_selectorELNS0_4arch9wavefront6targetE1EEEvSI_,@function
_ZN7rocprim17ROCPRIM_400000_NS6detail17trampoline_kernelINS0_14default_configENS1_35radix_sort_onesweep_config_selectorIffEEZZNS1_29radix_sort_onesweep_iterationIS3_Lb0EN6thrust23THRUST_200600_302600_NS6detail15normal_iteratorINS8_10device_ptrIfEEEESD_SD_SD_jNS0_19identity_decomposerENS1_16block_id_wrapperIjLb0EEEEE10hipError_tT1_PNSt15iterator_traitsISI_E10value_typeET2_T3_PNSJ_ISO_E10value_typeET4_T5_PST_SU_PNS1_23onesweep_lookback_stateEbbT6_jjT7_P12ihipStream_tbENKUlT_T0_SI_SN_E_clISD_SD_SD_SD_EEDaS11_S12_SI_SN_EUlS11_E_NS1_11comp_targetILNS1_3genE4ELNS1_11target_archE910ELNS1_3gpuE8ELNS1_3repE0EEENS1_47radix_sort_onesweep_sort_config_static_selectorELNS0_4arch9wavefront6targetE1EEEvSI_: ; @_ZN7rocprim17ROCPRIM_400000_NS6detail17trampoline_kernelINS0_14default_configENS1_35radix_sort_onesweep_config_selectorIffEEZZNS1_29radix_sort_onesweep_iterationIS3_Lb0EN6thrust23THRUST_200600_302600_NS6detail15normal_iteratorINS8_10device_ptrIfEEEESD_SD_SD_jNS0_19identity_decomposerENS1_16block_id_wrapperIjLb0EEEEE10hipError_tT1_PNSt15iterator_traitsISI_E10value_typeET2_T3_PNSJ_ISO_E10value_typeET4_T5_PST_SU_PNS1_23onesweep_lookback_stateEbbT6_jjT7_P12ihipStream_tbENKUlT_T0_SI_SN_E_clISD_SD_SD_SD_EEDaS11_S12_SI_SN_EUlS11_E_NS1_11comp_targetILNS1_3genE4ELNS1_11target_archE910ELNS1_3gpuE8ELNS1_3repE0EEENS1_47radix_sort_onesweep_sort_config_static_selectorELNS0_4arch9wavefront6targetE1EEEvSI_
; %bb.0:
	.section	.rodata,"a",@progbits
	.p2align	6, 0x0
	.amdhsa_kernel _ZN7rocprim17ROCPRIM_400000_NS6detail17trampoline_kernelINS0_14default_configENS1_35radix_sort_onesweep_config_selectorIffEEZZNS1_29radix_sort_onesweep_iterationIS3_Lb0EN6thrust23THRUST_200600_302600_NS6detail15normal_iteratorINS8_10device_ptrIfEEEESD_SD_SD_jNS0_19identity_decomposerENS1_16block_id_wrapperIjLb0EEEEE10hipError_tT1_PNSt15iterator_traitsISI_E10value_typeET2_T3_PNSJ_ISO_E10value_typeET4_T5_PST_SU_PNS1_23onesweep_lookback_stateEbbT6_jjT7_P12ihipStream_tbENKUlT_T0_SI_SN_E_clISD_SD_SD_SD_EEDaS11_S12_SI_SN_EUlS11_E_NS1_11comp_targetILNS1_3genE4ELNS1_11target_archE910ELNS1_3gpuE8ELNS1_3repE0EEENS1_47radix_sort_onesweep_sort_config_static_selectorELNS0_4arch9wavefront6targetE1EEEvSI_
		.amdhsa_group_segment_fixed_size 0
		.amdhsa_private_segment_fixed_size 0
		.amdhsa_kernarg_size 88
		.amdhsa_user_sgpr_count 2
		.amdhsa_user_sgpr_dispatch_ptr 0
		.amdhsa_user_sgpr_queue_ptr 0
		.amdhsa_user_sgpr_kernarg_segment_ptr 1
		.amdhsa_user_sgpr_dispatch_id 0
		.amdhsa_user_sgpr_kernarg_preload_length 0
		.amdhsa_user_sgpr_kernarg_preload_offset 0
		.amdhsa_user_sgpr_private_segment_size 0
		.amdhsa_uses_dynamic_stack 0
		.amdhsa_enable_private_segment 0
		.amdhsa_system_sgpr_workgroup_id_x 1
		.amdhsa_system_sgpr_workgroup_id_y 0
		.amdhsa_system_sgpr_workgroup_id_z 0
		.amdhsa_system_sgpr_workgroup_info 0
		.amdhsa_system_vgpr_workitem_id 0
		.amdhsa_next_free_vgpr 1
		.amdhsa_next_free_sgpr 0
		.amdhsa_accum_offset 4
		.amdhsa_reserve_vcc 0
		.amdhsa_float_round_mode_32 0
		.amdhsa_float_round_mode_16_64 0
		.amdhsa_float_denorm_mode_32 3
		.amdhsa_float_denorm_mode_16_64 3
		.amdhsa_dx10_clamp 1
		.amdhsa_ieee_mode 1
		.amdhsa_fp16_overflow 0
		.amdhsa_tg_split 0
		.amdhsa_exception_fp_ieee_invalid_op 0
		.amdhsa_exception_fp_denorm_src 0
		.amdhsa_exception_fp_ieee_div_zero 0
		.amdhsa_exception_fp_ieee_overflow 0
		.amdhsa_exception_fp_ieee_underflow 0
		.amdhsa_exception_fp_ieee_inexact 0
		.amdhsa_exception_int_div_zero 0
	.end_amdhsa_kernel
	.section	.text._ZN7rocprim17ROCPRIM_400000_NS6detail17trampoline_kernelINS0_14default_configENS1_35radix_sort_onesweep_config_selectorIffEEZZNS1_29radix_sort_onesweep_iterationIS3_Lb0EN6thrust23THRUST_200600_302600_NS6detail15normal_iteratorINS8_10device_ptrIfEEEESD_SD_SD_jNS0_19identity_decomposerENS1_16block_id_wrapperIjLb0EEEEE10hipError_tT1_PNSt15iterator_traitsISI_E10value_typeET2_T3_PNSJ_ISO_E10value_typeET4_T5_PST_SU_PNS1_23onesweep_lookback_stateEbbT6_jjT7_P12ihipStream_tbENKUlT_T0_SI_SN_E_clISD_SD_SD_SD_EEDaS11_S12_SI_SN_EUlS11_E_NS1_11comp_targetILNS1_3genE4ELNS1_11target_archE910ELNS1_3gpuE8ELNS1_3repE0EEENS1_47radix_sort_onesweep_sort_config_static_selectorELNS0_4arch9wavefront6targetE1EEEvSI_,"axG",@progbits,_ZN7rocprim17ROCPRIM_400000_NS6detail17trampoline_kernelINS0_14default_configENS1_35radix_sort_onesweep_config_selectorIffEEZZNS1_29radix_sort_onesweep_iterationIS3_Lb0EN6thrust23THRUST_200600_302600_NS6detail15normal_iteratorINS8_10device_ptrIfEEEESD_SD_SD_jNS0_19identity_decomposerENS1_16block_id_wrapperIjLb0EEEEE10hipError_tT1_PNSt15iterator_traitsISI_E10value_typeET2_T3_PNSJ_ISO_E10value_typeET4_T5_PST_SU_PNS1_23onesweep_lookback_stateEbbT6_jjT7_P12ihipStream_tbENKUlT_T0_SI_SN_E_clISD_SD_SD_SD_EEDaS11_S12_SI_SN_EUlS11_E_NS1_11comp_targetILNS1_3genE4ELNS1_11target_archE910ELNS1_3gpuE8ELNS1_3repE0EEENS1_47radix_sort_onesweep_sort_config_static_selectorELNS0_4arch9wavefront6targetE1EEEvSI_,comdat
.Lfunc_end336:
	.size	_ZN7rocprim17ROCPRIM_400000_NS6detail17trampoline_kernelINS0_14default_configENS1_35radix_sort_onesweep_config_selectorIffEEZZNS1_29radix_sort_onesweep_iterationIS3_Lb0EN6thrust23THRUST_200600_302600_NS6detail15normal_iteratorINS8_10device_ptrIfEEEESD_SD_SD_jNS0_19identity_decomposerENS1_16block_id_wrapperIjLb0EEEEE10hipError_tT1_PNSt15iterator_traitsISI_E10value_typeET2_T3_PNSJ_ISO_E10value_typeET4_T5_PST_SU_PNS1_23onesweep_lookback_stateEbbT6_jjT7_P12ihipStream_tbENKUlT_T0_SI_SN_E_clISD_SD_SD_SD_EEDaS11_S12_SI_SN_EUlS11_E_NS1_11comp_targetILNS1_3genE4ELNS1_11target_archE910ELNS1_3gpuE8ELNS1_3repE0EEENS1_47radix_sort_onesweep_sort_config_static_selectorELNS0_4arch9wavefront6targetE1EEEvSI_, .Lfunc_end336-_ZN7rocprim17ROCPRIM_400000_NS6detail17trampoline_kernelINS0_14default_configENS1_35radix_sort_onesweep_config_selectorIffEEZZNS1_29radix_sort_onesweep_iterationIS3_Lb0EN6thrust23THRUST_200600_302600_NS6detail15normal_iteratorINS8_10device_ptrIfEEEESD_SD_SD_jNS0_19identity_decomposerENS1_16block_id_wrapperIjLb0EEEEE10hipError_tT1_PNSt15iterator_traitsISI_E10value_typeET2_T3_PNSJ_ISO_E10value_typeET4_T5_PST_SU_PNS1_23onesweep_lookback_stateEbbT6_jjT7_P12ihipStream_tbENKUlT_T0_SI_SN_E_clISD_SD_SD_SD_EEDaS11_S12_SI_SN_EUlS11_E_NS1_11comp_targetILNS1_3genE4ELNS1_11target_archE910ELNS1_3gpuE8ELNS1_3repE0EEENS1_47radix_sort_onesweep_sort_config_static_selectorELNS0_4arch9wavefront6targetE1EEEvSI_
                                        ; -- End function
	.set _ZN7rocprim17ROCPRIM_400000_NS6detail17trampoline_kernelINS0_14default_configENS1_35radix_sort_onesweep_config_selectorIffEEZZNS1_29radix_sort_onesweep_iterationIS3_Lb0EN6thrust23THRUST_200600_302600_NS6detail15normal_iteratorINS8_10device_ptrIfEEEESD_SD_SD_jNS0_19identity_decomposerENS1_16block_id_wrapperIjLb0EEEEE10hipError_tT1_PNSt15iterator_traitsISI_E10value_typeET2_T3_PNSJ_ISO_E10value_typeET4_T5_PST_SU_PNS1_23onesweep_lookback_stateEbbT6_jjT7_P12ihipStream_tbENKUlT_T0_SI_SN_E_clISD_SD_SD_SD_EEDaS11_S12_SI_SN_EUlS11_E_NS1_11comp_targetILNS1_3genE4ELNS1_11target_archE910ELNS1_3gpuE8ELNS1_3repE0EEENS1_47radix_sort_onesweep_sort_config_static_selectorELNS0_4arch9wavefront6targetE1EEEvSI_.num_vgpr, 0
	.set _ZN7rocprim17ROCPRIM_400000_NS6detail17trampoline_kernelINS0_14default_configENS1_35radix_sort_onesweep_config_selectorIffEEZZNS1_29radix_sort_onesweep_iterationIS3_Lb0EN6thrust23THRUST_200600_302600_NS6detail15normal_iteratorINS8_10device_ptrIfEEEESD_SD_SD_jNS0_19identity_decomposerENS1_16block_id_wrapperIjLb0EEEEE10hipError_tT1_PNSt15iterator_traitsISI_E10value_typeET2_T3_PNSJ_ISO_E10value_typeET4_T5_PST_SU_PNS1_23onesweep_lookback_stateEbbT6_jjT7_P12ihipStream_tbENKUlT_T0_SI_SN_E_clISD_SD_SD_SD_EEDaS11_S12_SI_SN_EUlS11_E_NS1_11comp_targetILNS1_3genE4ELNS1_11target_archE910ELNS1_3gpuE8ELNS1_3repE0EEENS1_47radix_sort_onesweep_sort_config_static_selectorELNS0_4arch9wavefront6targetE1EEEvSI_.num_agpr, 0
	.set _ZN7rocprim17ROCPRIM_400000_NS6detail17trampoline_kernelINS0_14default_configENS1_35radix_sort_onesweep_config_selectorIffEEZZNS1_29radix_sort_onesweep_iterationIS3_Lb0EN6thrust23THRUST_200600_302600_NS6detail15normal_iteratorINS8_10device_ptrIfEEEESD_SD_SD_jNS0_19identity_decomposerENS1_16block_id_wrapperIjLb0EEEEE10hipError_tT1_PNSt15iterator_traitsISI_E10value_typeET2_T3_PNSJ_ISO_E10value_typeET4_T5_PST_SU_PNS1_23onesweep_lookback_stateEbbT6_jjT7_P12ihipStream_tbENKUlT_T0_SI_SN_E_clISD_SD_SD_SD_EEDaS11_S12_SI_SN_EUlS11_E_NS1_11comp_targetILNS1_3genE4ELNS1_11target_archE910ELNS1_3gpuE8ELNS1_3repE0EEENS1_47radix_sort_onesweep_sort_config_static_selectorELNS0_4arch9wavefront6targetE1EEEvSI_.numbered_sgpr, 0
	.set _ZN7rocprim17ROCPRIM_400000_NS6detail17trampoline_kernelINS0_14default_configENS1_35radix_sort_onesweep_config_selectorIffEEZZNS1_29radix_sort_onesweep_iterationIS3_Lb0EN6thrust23THRUST_200600_302600_NS6detail15normal_iteratorINS8_10device_ptrIfEEEESD_SD_SD_jNS0_19identity_decomposerENS1_16block_id_wrapperIjLb0EEEEE10hipError_tT1_PNSt15iterator_traitsISI_E10value_typeET2_T3_PNSJ_ISO_E10value_typeET4_T5_PST_SU_PNS1_23onesweep_lookback_stateEbbT6_jjT7_P12ihipStream_tbENKUlT_T0_SI_SN_E_clISD_SD_SD_SD_EEDaS11_S12_SI_SN_EUlS11_E_NS1_11comp_targetILNS1_3genE4ELNS1_11target_archE910ELNS1_3gpuE8ELNS1_3repE0EEENS1_47radix_sort_onesweep_sort_config_static_selectorELNS0_4arch9wavefront6targetE1EEEvSI_.num_named_barrier, 0
	.set _ZN7rocprim17ROCPRIM_400000_NS6detail17trampoline_kernelINS0_14default_configENS1_35radix_sort_onesweep_config_selectorIffEEZZNS1_29radix_sort_onesweep_iterationIS3_Lb0EN6thrust23THRUST_200600_302600_NS6detail15normal_iteratorINS8_10device_ptrIfEEEESD_SD_SD_jNS0_19identity_decomposerENS1_16block_id_wrapperIjLb0EEEEE10hipError_tT1_PNSt15iterator_traitsISI_E10value_typeET2_T3_PNSJ_ISO_E10value_typeET4_T5_PST_SU_PNS1_23onesweep_lookback_stateEbbT6_jjT7_P12ihipStream_tbENKUlT_T0_SI_SN_E_clISD_SD_SD_SD_EEDaS11_S12_SI_SN_EUlS11_E_NS1_11comp_targetILNS1_3genE4ELNS1_11target_archE910ELNS1_3gpuE8ELNS1_3repE0EEENS1_47radix_sort_onesweep_sort_config_static_selectorELNS0_4arch9wavefront6targetE1EEEvSI_.private_seg_size, 0
	.set _ZN7rocprim17ROCPRIM_400000_NS6detail17trampoline_kernelINS0_14default_configENS1_35radix_sort_onesweep_config_selectorIffEEZZNS1_29radix_sort_onesweep_iterationIS3_Lb0EN6thrust23THRUST_200600_302600_NS6detail15normal_iteratorINS8_10device_ptrIfEEEESD_SD_SD_jNS0_19identity_decomposerENS1_16block_id_wrapperIjLb0EEEEE10hipError_tT1_PNSt15iterator_traitsISI_E10value_typeET2_T3_PNSJ_ISO_E10value_typeET4_T5_PST_SU_PNS1_23onesweep_lookback_stateEbbT6_jjT7_P12ihipStream_tbENKUlT_T0_SI_SN_E_clISD_SD_SD_SD_EEDaS11_S12_SI_SN_EUlS11_E_NS1_11comp_targetILNS1_3genE4ELNS1_11target_archE910ELNS1_3gpuE8ELNS1_3repE0EEENS1_47radix_sort_onesweep_sort_config_static_selectorELNS0_4arch9wavefront6targetE1EEEvSI_.uses_vcc, 0
	.set _ZN7rocprim17ROCPRIM_400000_NS6detail17trampoline_kernelINS0_14default_configENS1_35radix_sort_onesweep_config_selectorIffEEZZNS1_29radix_sort_onesweep_iterationIS3_Lb0EN6thrust23THRUST_200600_302600_NS6detail15normal_iteratorINS8_10device_ptrIfEEEESD_SD_SD_jNS0_19identity_decomposerENS1_16block_id_wrapperIjLb0EEEEE10hipError_tT1_PNSt15iterator_traitsISI_E10value_typeET2_T3_PNSJ_ISO_E10value_typeET4_T5_PST_SU_PNS1_23onesweep_lookback_stateEbbT6_jjT7_P12ihipStream_tbENKUlT_T0_SI_SN_E_clISD_SD_SD_SD_EEDaS11_S12_SI_SN_EUlS11_E_NS1_11comp_targetILNS1_3genE4ELNS1_11target_archE910ELNS1_3gpuE8ELNS1_3repE0EEENS1_47radix_sort_onesweep_sort_config_static_selectorELNS0_4arch9wavefront6targetE1EEEvSI_.uses_flat_scratch, 0
	.set _ZN7rocprim17ROCPRIM_400000_NS6detail17trampoline_kernelINS0_14default_configENS1_35radix_sort_onesweep_config_selectorIffEEZZNS1_29radix_sort_onesweep_iterationIS3_Lb0EN6thrust23THRUST_200600_302600_NS6detail15normal_iteratorINS8_10device_ptrIfEEEESD_SD_SD_jNS0_19identity_decomposerENS1_16block_id_wrapperIjLb0EEEEE10hipError_tT1_PNSt15iterator_traitsISI_E10value_typeET2_T3_PNSJ_ISO_E10value_typeET4_T5_PST_SU_PNS1_23onesweep_lookback_stateEbbT6_jjT7_P12ihipStream_tbENKUlT_T0_SI_SN_E_clISD_SD_SD_SD_EEDaS11_S12_SI_SN_EUlS11_E_NS1_11comp_targetILNS1_3genE4ELNS1_11target_archE910ELNS1_3gpuE8ELNS1_3repE0EEENS1_47radix_sort_onesweep_sort_config_static_selectorELNS0_4arch9wavefront6targetE1EEEvSI_.has_dyn_sized_stack, 0
	.set _ZN7rocprim17ROCPRIM_400000_NS6detail17trampoline_kernelINS0_14default_configENS1_35radix_sort_onesweep_config_selectorIffEEZZNS1_29radix_sort_onesweep_iterationIS3_Lb0EN6thrust23THRUST_200600_302600_NS6detail15normal_iteratorINS8_10device_ptrIfEEEESD_SD_SD_jNS0_19identity_decomposerENS1_16block_id_wrapperIjLb0EEEEE10hipError_tT1_PNSt15iterator_traitsISI_E10value_typeET2_T3_PNSJ_ISO_E10value_typeET4_T5_PST_SU_PNS1_23onesweep_lookback_stateEbbT6_jjT7_P12ihipStream_tbENKUlT_T0_SI_SN_E_clISD_SD_SD_SD_EEDaS11_S12_SI_SN_EUlS11_E_NS1_11comp_targetILNS1_3genE4ELNS1_11target_archE910ELNS1_3gpuE8ELNS1_3repE0EEENS1_47radix_sort_onesweep_sort_config_static_selectorELNS0_4arch9wavefront6targetE1EEEvSI_.has_recursion, 0
	.set _ZN7rocprim17ROCPRIM_400000_NS6detail17trampoline_kernelINS0_14default_configENS1_35radix_sort_onesweep_config_selectorIffEEZZNS1_29radix_sort_onesweep_iterationIS3_Lb0EN6thrust23THRUST_200600_302600_NS6detail15normal_iteratorINS8_10device_ptrIfEEEESD_SD_SD_jNS0_19identity_decomposerENS1_16block_id_wrapperIjLb0EEEEE10hipError_tT1_PNSt15iterator_traitsISI_E10value_typeET2_T3_PNSJ_ISO_E10value_typeET4_T5_PST_SU_PNS1_23onesweep_lookback_stateEbbT6_jjT7_P12ihipStream_tbENKUlT_T0_SI_SN_E_clISD_SD_SD_SD_EEDaS11_S12_SI_SN_EUlS11_E_NS1_11comp_targetILNS1_3genE4ELNS1_11target_archE910ELNS1_3gpuE8ELNS1_3repE0EEENS1_47radix_sort_onesweep_sort_config_static_selectorELNS0_4arch9wavefront6targetE1EEEvSI_.has_indirect_call, 0
	.section	.AMDGPU.csdata,"",@progbits
; Kernel info:
; codeLenInByte = 0
; TotalNumSgprs: 6
; NumVgprs: 0
; NumAgprs: 0
; TotalNumVgprs: 0
; ScratchSize: 0
; MemoryBound: 0
; FloatMode: 240
; IeeeMode: 1
; LDSByteSize: 0 bytes/workgroup (compile time only)
; SGPRBlocks: 0
; VGPRBlocks: 0
; NumSGPRsForWavesPerEU: 6
; NumVGPRsForWavesPerEU: 1
; AccumOffset: 4
; Occupancy: 8
; WaveLimiterHint : 0
; COMPUTE_PGM_RSRC2:SCRATCH_EN: 0
; COMPUTE_PGM_RSRC2:USER_SGPR: 2
; COMPUTE_PGM_RSRC2:TRAP_HANDLER: 0
; COMPUTE_PGM_RSRC2:TGID_X_EN: 1
; COMPUTE_PGM_RSRC2:TGID_Y_EN: 0
; COMPUTE_PGM_RSRC2:TGID_Z_EN: 0
; COMPUTE_PGM_RSRC2:TIDIG_COMP_CNT: 0
; COMPUTE_PGM_RSRC3_GFX90A:ACCUM_OFFSET: 0
; COMPUTE_PGM_RSRC3_GFX90A:TG_SPLIT: 0
	.section	.text._ZN7rocprim17ROCPRIM_400000_NS6detail17trampoline_kernelINS0_14default_configENS1_35radix_sort_onesweep_config_selectorIffEEZZNS1_29radix_sort_onesweep_iterationIS3_Lb0EN6thrust23THRUST_200600_302600_NS6detail15normal_iteratorINS8_10device_ptrIfEEEESD_SD_SD_jNS0_19identity_decomposerENS1_16block_id_wrapperIjLb0EEEEE10hipError_tT1_PNSt15iterator_traitsISI_E10value_typeET2_T3_PNSJ_ISO_E10value_typeET4_T5_PST_SU_PNS1_23onesweep_lookback_stateEbbT6_jjT7_P12ihipStream_tbENKUlT_T0_SI_SN_E_clISD_SD_SD_SD_EEDaS11_S12_SI_SN_EUlS11_E_NS1_11comp_targetILNS1_3genE3ELNS1_11target_archE908ELNS1_3gpuE7ELNS1_3repE0EEENS1_47radix_sort_onesweep_sort_config_static_selectorELNS0_4arch9wavefront6targetE1EEEvSI_,"axG",@progbits,_ZN7rocprim17ROCPRIM_400000_NS6detail17trampoline_kernelINS0_14default_configENS1_35radix_sort_onesweep_config_selectorIffEEZZNS1_29radix_sort_onesweep_iterationIS3_Lb0EN6thrust23THRUST_200600_302600_NS6detail15normal_iteratorINS8_10device_ptrIfEEEESD_SD_SD_jNS0_19identity_decomposerENS1_16block_id_wrapperIjLb0EEEEE10hipError_tT1_PNSt15iterator_traitsISI_E10value_typeET2_T3_PNSJ_ISO_E10value_typeET4_T5_PST_SU_PNS1_23onesweep_lookback_stateEbbT6_jjT7_P12ihipStream_tbENKUlT_T0_SI_SN_E_clISD_SD_SD_SD_EEDaS11_S12_SI_SN_EUlS11_E_NS1_11comp_targetILNS1_3genE3ELNS1_11target_archE908ELNS1_3gpuE7ELNS1_3repE0EEENS1_47radix_sort_onesweep_sort_config_static_selectorELNS0_4arch9wavefront6targetE1EEEvSI_,comdat
	.protected	_ZN7rocprim17ROCPRIM_400000_NS6detail17trampoline_kernelINS0_14default_configENS1_35radix_sort_onesweep_config_selectorIffEEZZNS1_29radix_sort_onesweep_iterationIS3_Lb0EN6thrust23THRUST_200600_302600_NS6detail15normal_iteratorINS8_10device_ptrIfEEEESD_SD_SD_jNS0_19identity_decomposerENS1_16block_id_wrapperIjLb0EEEEE10hipError_tT1_PNSt15iterator_traitsISI_E10value_typeET2_T3_PNSJ_ISO_E10value_typeET4_T5_PST_SU_PNS1_23onesweep_lookback_stateEbbT6_jjT7_P12ihipStream_tbENKUlT_T0_SI_SN_E_clISD_SD_SD_SD_EEDaS11_S12_SI_SN_EUlS11_E_NS1_11comp_targetILNS1_3genE3ELNS1_11target_archE908ELNS1_3gpuE7ELNS1_3repE0EEENS1_47radix_sort_onesweep_sort_config_static_selectorELNS0_4arch9wavefront6targetE1EEEvSI_ ; -- Begin function _ZN7rocprim17ROCPRIM_400000_NS6detail17trampoline_kernelINS0_14default_configENS1_35radix_sort_onesweep_config_selectorIffEEZZNS1_29radix_sort_onesweep_iterationIS3_Lb0EN6thrust23THRUST_200600_302600_NS6detail15normal_iteratorINS8_10device_ptrIfEEEESD_SD_SD_jNS0_19identity_decomposerENS1_16block_id_wrapperIjLb0EEEEE10hipError_tT1_PNSt15iterator_traitsISI_E10value_typeET2_T3_PNSJ_ISO_E10value_typeET4_T5_PST_SU_PNS1_23onesweep_lookback_stateEbbT6_jjT7_P12ihipStream_tbENKUlT_T0_SI_SN_E_clISD_SD_SD_SD_EEDaS11_S12_SI_SN_EUlS11_E_NS1_11comp_targetILNS1_3genE3ELNS1_11target_archE908ELNS1_3gpuE7ELNS1_3repE0EEENS1_47radix_sort_onesweep_sort_config_static_selectorELNS0_4arch9wavefront6targetE1EEEvSI_
	.globl	_ZN7rocprim17ROCPRIM_400000_NS6detail17trampoline_kernelINS0_14default_configENS1_35radix_sort_onesweep_config_selectorIffEEZZNS1_29radix_sort_onesweep_iterationIS3_Lb0EN6thrust23THRUST_200600_302600_NS6detail15normal_iteratorINS8_10device_ptrIfEEEESD_SD_SD_jNS0_19identity_decomposerENS1_16block_id_wrapperIjLb0EEEEE10hipError_tT1_PNSt15iterator_traitsISI_E10value_typeET2_T3_PNSJ_ISO_E10value_typeET4_T5_PST_SU_PNS1_23onesweep_lookback_stateEbbT6_jjT7_P12ihipStream_tbENKUlT_T0_SI_SN_E_clISD_SD_SD_SD_EEDaS11_S12_SI_SN_EUlS11_E_NS1_11comp_targetILNS1_3genE3ELNS1_11target_archE908ELNS1_3gpuE7ELNS1_3repE0EEENS1_47radix_sort_onesweep_sort_config_static_selectorELNS0_4arch9wavefront6targetE1EEEvSI_
	.p2align	8
	.type	_ZN7rocprim17ROCPRIM_400000_NS6detail17trampoline_kernelINS0_14default_configENS1_35radix_sort_onesweep_config_selectorIffEEZZNS1_29radix_sort_onesweep_iterationIS3_Lb0EN6thrust23THRUST_200600_302600_NS6detail15normal_iteratorINS8_10device_ptrIfEEEESD_SD_SD_jNS0_19identity_decomposerENS1_16block_id_wrapperIjLb0EEEEE10hipError_tT1_PNSt15iterator_traitsISI_E10value_typeET2_T3_PNSJ_ISO_E10value_typeET4_T5_PST_SU_PNS1_23onesweep_lookback_stateEbbT6_jjT7_P12ihipStream_tbENKUlT_T0_SI_SN_E_clISD_SD_SD_SD_EEDaS11_S12_SI_SN_EUlS11_E_NS1_11comp_targetILNS1_3genE3ELNS1_11target_archE908ELNS1_3gpuE7ELNS1_3repE0EEENS1_47radix_sort_onesweep_sort_config_static_selectorELNS0_4arch9wavefront6targetE1EEEvSI_,@function
_ZN7rocprim17ROCPRIM_400000_NS6detail17trampoline_kernelINS0_14default_configENS1_35radix_sort_onesweep_config_selectorIffEEZZNS1_29radix_sort_onesweep_iterationIS3_Lb0EN6thrust23THRUST_200600_302600_NS6detail15normal_iteratorINS8_10device_ptrIfEEEESD_SD_SD_jNS0_19identity_decomposerENS1_16block_id_wrapperIjLb0EEEEE10hipError_tT1_PNSt15iterator_traitsISI_E10value_typeET2_T3_PNSJ_ISO_E10value_typeET4_T5_PST_SU_PNS1_23onesweep_lookback_stateEbbT6_jjT7_P12ihipStream_tbENKUlT_T0_SI_SN_E_clISD_SD_SD_SD_EEDaS11_S12_SI_SN_EUlS11_E_NS1_11comp_targetILNS1_3genE3ELNS1_11target_archE908ELNS1_3gpuE7ELNS1_3repE0EEENS1_47radix_sort_onesweep_sort_config_static_selectorELNS0_4arch9wavefront6targetE1EEEvSI_: ; @_ZN7rocprim17ROCPRIM_400000_NS6detail17trampoline_kernelINS0_14default_configENS1_35radix_sort_onesweep_config_selectorIffEEZZNS1_29radix_sort_onesweep_iterationIS3_Lb0EN6thrust23THRUST_200600_302600_NS6detail15normal_iteratorINS8_10device_ptrIfEEEESD_SD_SD_jNS0_19identity_decomposerENS1_16block_id_wrapperIjLb0EEEEE10hipError_tT1_PNSt15iterator_traitsISI_E10value_typeET2_T3_PNSJ_ISO_E10value_typeET4_T5_PST_SU_PNS1_23onesweep_lookback_stateEbbT6_jjT7_P12ihipStream_tbENKUlT_T0_SI_SN_E_clISD_SD_SD_SD_EEDaS11_S12_SI_SN_EUlS11_E_NS1_11comp_targetILNS1_3genE3ELNS1_11target_archE908ELNS1_3gpuE7ELNS1_3repE0EEENS1_47radix_sort_onesweep_sort_config_static_selectorELNS0_4arch9wavefront6targetE1EEEvSI_
; %bb.0:
	.section	.rodata,"a",@progbits
	.p2align	6, 0x0
	.amdhsa_kernel _ZN7rocprim17ROCPRIM_400000_NS6detail17trampoline_kernelINS0_14default_configENS1_35radix_sort_onesweep_config_selectorIffEEZZNS1_29radix_sort_onesweep_iterationIS3_Lb0EN6thrust23THRUST_200600_302600_NS6detail15normal_iteratorINS8_10device_ptrIfEEEESD_SD_SD_jNS0_19identity_decomposerENS1_16block_id_wrapperIjLb0EEEEE10hipError_tT1_PNSt15iterator_traitsISI_E10value_typeET2_T3_PNSJ_ISO_E10value_typeET4_T5_PST_SU_PNS1_23onesweep_lookback_stateEbbT6_jjT7_P12ihipStream_tbENKUlT_T0_SI_SN_E_clISD_SD_SD_SD_EEDaS11_S12_SI_SN_EUlS11_E_NS1_11comp_targetILNS1_3genE3ELNS1_11target_archE908ELNS1_3gpuE7ELNS1_3repE0EEENS1_47radix_sort_onesweep_sort_config_static_selectorELNS0_4arch9wavefront6targetE1EEEvSI_
		.amdhsa_group_segment_fixed_size 0
		.amdhsa_private_segment_fixed_size 0
		.amdhsa_kernarg_size 88
		.amdhsa_user_sgpr_count 2
		.amdhsa_user_sgpr_dispatch_ptr 0
		.amdhsa_user_sgpr_queue_ptr 0
		.amdhsa_user_sgpr_kernarg_segment_ptr 1
		.amdhsa_user_sgpr_dispatch_id 0
		.amdhsa_user_sgpr_kernarg_preload_length 0
		.amdhsa_user_sgpr_kernarg_preload_offset 0
		.amdhsa_user_sgpr_private_segment_size 0
		.amdhsa_uses_dynamic_stack 0
		.amdhsa_enable_private_segment 0
		.amdhsa_system_sgpr_workgroup_id_x 1
		.amdhsa_system_sgpr_workgroup_id_y 0
		.amdhsa_system_sgpr_workgroup_id_z 0
		.amdhsa_system_sgpr_workgroup_info 0
		.amdhsa_system_vgpr_workitem_id 0
		.amdhsa_next_free_vgpr 1
		.amdhsa_next_free_sgpr 0
		.amdhsa_accum_offset 4
		.amdhsa_reserve_vcc 0
		.amdhsa_float_round_mode_32 0
		.amdhsa_float_round_mode_16_64 0
		.amdhsa_float_denorm_mode_32 3
		.amdhsa_float_denorm_mode_16_64 3
		.amdhsa_dx10_clamp 1
		.amdhsa_ieee_mode 1
		.amdhsa_fp16_overflow 0
		.amdhsa_tg_split 0
		.amdhsa_exception_fp_ieee_invalid_op 0
		.amdhsa_exception_fp_denorm_src 0
		.amdhsa_exception_fp_ieee_div_zero 0
		.amdhsa_exception_fp_ieee_overflow 0
		.amdhsa_exception_fp_ieee_underflow 0
		.amdhsa_exception_fp_ieee_inexact 0
		.amdhsa_exception_int_div_zero 0
	.end_amdhsa_kernel
	.section	.text._ZN7rocprim17ROCPRIM_400000_NS6detail17trampoline_kernelINS0_14default_configENS1_35radix_sort_onesweep_config_selectorIffEEZZNS1_29radix_sort_onesweep_iterationIS3_Lb0EN6thrust23THRUST_200600_302600_NS6detail15normal_iteratorINS8_10device_ptrIfEEEESD_SD_SD_jNS0_19identity_decomposerENS1_16block_id_wrapperIjLb0EEEEE10hipError_tT1_PNSt15iterator_traitsISI_E10value_typeET2_T3_PNSJ_ISO_E10value_typeET4_T5_PST_SU_PNS1_23onesweep_lookback_stateEbbT6_jjT7_P12ihipStream_tbENKUlT_T0_SI_SN_E_clISD_SD_SD_SD_EEDaS11_S12_SI_SN_EUlS11_E_NS1_11comp_targetILNS1_3genE3ELNS1_11target_archE908ELNS1_3gpuE7ELNS1_3repE0EEENS1_47radix_sort_onesweep_sort_config_static_selectorELNS0_4arch9wavefront6targetE1EEEvSI_,"axG",@progbits,_ZN7rocprim17ROCPRIM_400000_NS6detail17trampoline_kernelINS0_14default_configENS1_35radix_sort_onesweep_config_selectorIffEEZZNS1_29radix_sort_onesweep_iterationIS3_Lb0EN6thrust23THRUST_200600_302600_NS6detail15normal_iteratorINS8_10device_ptrIfEEEESD_SD_SD_jNS0_19identity_decomposerENS1_16block_id_wrapperIjLb0EEEEE10hipError_tT1_PNSt15iterator_traitsISI_E10value_typeET2_T3_PNSJ_ISO_E10value_typeET4_T5_PST_SU_PNS1_23onesweep_lookback_stateEbbT6_jjT7_P12ihipStream_tbENKUlT_T0_SI_SN_E_clISD_SD_SD_SD_EEDaS11_S12_SI_SN_EUlS11_E_NS1_11comp_targetILNS1_3genE3ELNS1_11target_archE908ELNS1_3gpuE7ELNS1_3repE0EEENS1_47radix_sort_onesweep_sort_config_static_selectorELNS0_4arch9wavefront6targetE1EEEvSI_,comdat
.Lfunc_end337:
	.size	_ZN7rocprim17ROCPRIM_400000_NS6detail17trampoline_kernelINS0_14default_configENS1_35radix_sort_onesweep_config_selectorIffEEZZNS1_29radix_sort_onesweep_iterationIS3_Lb0EN6thrust23THRUST_200600_302600_NS6detail15normal_iteratorINS8_10device_ptrIfEEEESD_SD_SD_jNS0_19identity_decomposerENS1_16block_id_wrapperIjLb0EEEEE10hipError_tT1_PNSt15iterator_traitsISI_E10value_typeET2_T3_PNSJ_ISO_E10value_typeET4_T5_PST_SU_PNS1_23onesweep_lookback_stateEbbT6_jjT7_P12ihipStream_tbENKUlT_T0_SI_SN_E_clISD_SD_SD_SD_EEDaS11_S12_SI_SN_EUlS11_E_NS1_11comp_targetILNS1_3genE3ELNS1_11target_archE908ELNS1_3gpuE7ELNS1_3repE0EEENS1_47radix_sort_onesweep_sort_config_static_selectorELNS0_4arch9wavefront6targetE1EEEvSI_, .Lfunc_end337-_ZN7rocprim17ROCPRIM_400000_NS6detail17trampoline_kernelINS0_14default_configENS1_35radix_sort_onesweep_config_selectorIffEEZZNS1_29radix_sort_onesweep_iterationIS3_Lb0EN6thrust23THRUST_200600_302600_NS6detail15normal_iteratorINS8_10device_ptrIfEEEESD_SD_SD_jNS0_19identity_decomposerENS1_16block_id_wrapperIjLb0EEEEE10hipError_tT1_PNSt15iterator_traitsISI_E10value_typeET2_T3_PNSJ_ISO_E10value_typeET4_T5_PST_SU_PNS1_23onesweep_lookback_stateEbbT6_jjT7_P12ihipStream_tbENKUlT_T0_SI_SN_E_clISD_SD_SD_SD_EEDaS11_S12_SI_SN_EUlS11_E_NS1_11comp_targetILNS1_3genE3ELNS1_11target_archE908ELNS1_3gpuE7ELNS1_3repE0EEENS1_47radix_sort_onesweep_sort_config_static_selectorELNS0_4arch9wavefront6targetE1EEEvSI_
                                        ; -- End function
	.set _ZN7rocprim17ROCPRIM_400000_NS6detail17trampoline_kernelINS0_14default_configENS1_35radix_sort_onesweep_config_selectorIffEEZZNS1_29radix_sort_onesweep_iterationIS3_Lb0EN6thrust23THRUST_200600_302600_NS6detail15normal_iteratorINS8_10device_ptrIfEEEESD_SD_SD_jNS0_19identity_decomposerENS1_16block_id_wrapperIjLb0EEEEE10hipError_tT1_PNSt15iterator_traitsISI_E10value_typeET2_T3_PNSJ_ISO_E10value_typeET4_T5_PST_SU_PNS1_23onesweep_lookback_stateEbbT6_jjT7_P12ihipStream_tbENKUlT_T0_SI_SN_E_clISD_SD_SD_SD_EEDaS11_S12_SI_SN_EUlS11_E_NS1_11comp_targetILNS1_3genE3ELNS1_11target_archE908ELNS1_3gpuE7ELNS1_3repE0EEENS1_47radix_sort_onesweep_sort_config_static_selectorELNS0_4arch9wavefront6targetE1EEEvSI_.num_vgpr, 0
	.set _ZN7rocprim17ROCPRIM_400000_NS6detail17trampoline_kernelINS0_14default_configENS1_35radix_sort_onesweep_config_selectorIffEEZZNS1_29radix_sort_onesweep_iterationIS3_Lb0EN6thrust23THRUST_200600_302600_NS6detail15normal_iteratorINS8_10device_ptrIfEEEESD_SD_SD_jNS0_19identity_decomposerENS1_16block_id_wrapperIjLb0EEEEE10hipError_tT1_PNSt15iterator_traitsISI_E10value_typeET2_T3_PNSJ_ISO_E10value_typeET4_T5_PST_SU_PNS1_23onesweep_lookback_stateEbbT6_jjT7_P12ihipStream_tbENKUlT_T0_SI_SN_E_clISD_SD_SD_SD_EEDaS11_S12_SI_SN_EUlS11_E_NS1_11comp_targetILNS1_3genE3ELNS1_11target_archE908ELNS1_3gpuE7ELNS1_3repE0EEENS1_47radix_sort_onesweep_sort_config_static_selectorELNS0_4arch9wavefront6targetE1EEEvSI_.num_agpr, 0
	.set _ZN7rocprim17ROCPRIM_400000_NS6detail17trampoline_kernelINS0_14default_configENS1_35radix_sort_onesweep_config_selectorIffEEZZNS1_29radix_sort_onesweep_iterationIS3_Lb0EN6thrust23THRUST_200600_302600_NS6detail15normal_iteratorINS8_10device_ptrIfEEEESD_SD_SD_jNS0_19identity_decomposerENS1_16block_id_wrapperIjLb0EEEEE10hipError_tT1_PNSt15iterator_traitsISI_E10value_typeET2_T3_PNSJ_ISO_E10value_typeET4_T5_PST_SU_PNS1_23onesweep_lookback_stateEbbT6_jjT7_P12ihipStream_tbENKUlT_T0_SI_SN_E_clISD_SD_SD_SD_EEDaS11_S12_SI_SN_EUlS11_E_NS1_11comp_targetILNS1_3genE3ELNS1_11target_archE908ELNS1_3gpuE7ELNS1_3repE0EEENS1_47radix_sort_onesweep_sort_config_static_selectorELNS0_4arch9wavefront6targetE1EEEvSI_.numbered_sgpr, 0
	.set _ZN7rocprim17ROCPRIM_400000_NS6detail17trampoline_kernelINS0_14default_configENS1_35radix_sort_onesweep_config_selectorIffEEZZNS1_29radix_sort_onesweep_iterationIS3_Lb0EN6thrust23THRUST_200600_302600_NS6detail15normal_iteratorINS8_10device_ptrIfEEEESD_SD_SD_jNS0_19identity_decomposerENS1_16block_id_wrapperIjLb0EEEEE10hipError_tT1_PNSt15iterator_traitsISI_E10value_typeET2_T3_PNSJ_ISO_E10value_typeET4_T5_PST_SU_PNS1_23onesweep_lookback_stateEbbT6_jjT7_P12ihipStream_tbENKUlT_T0_SI_SN_E_clISD_SD_SD_SD_EEDaS11_S12_SI_SN_EUlS11_E_NS1_11comp_targetILNS1_3genE3ELNS1_11target_archE908ELNS1_3gpuE7ELNS1_3repE0EEENS1_47radix_sort_onesweep_sort_config_static_selectorELNS0_4arch9wavefront6targetE1EEEvSI_.num_named_barrier, 0
	.set _ZN7rocprim17ROCPRIM_400000_NS6detail17trampoline_kernelINS0_14default_configENS1_35radix_sort_onesweep_config_selectorIffEEZZNS1_29radix_sort_onesweep_iterationIS3_Lb0EN6thrust23THRUST_200600_302600_NS6detail15normal_iteratorINS8_10device_ptrIfEEEESD_SD_SD_jNS0_19identity_decomposerENS1_16block_id_wrapperIjLb0EEEEE10hipError_tT1_PNSt15iterator_traitsISI_E10value_typeET2_T3_PNSJ_ISO_E10value_typeET4_T5_PST_SU_PNS1_23onesweep_lookback_stateEbbT6_jjT7_P12ihipStream_tbENKUlT_T0_SI_SN_E_clISD_SD_SD_SD_EEDaS11_S12_SI_SN_EUlS11_E_NS1_11comp_targetILNS1_3genE3ELNS1_11target_archE908ELNS1_3gpuE7ELNS1_3repE0EEENS1_47radix_sort_onesweep_sort_config_static_selectorELNS0_4arch9wavefront6targetE1EEEvSI_.private_seg_size, 0
	.set _ZN7rocprim17ROCPRIM_400000_NS6detail17trampoline_kernelINS0_14default_configENS1_35radix_sort_onesweep_config_selectorIffEEZZNS1_29radix_sort_onesweep_iterationIS3_Lb0EN6thrust23THRUST_200600_302600_NS6detail15normal_iteratorINS8_10device_ptrIfEEEESD_SD_SD_jNS0_19identity_decomposerENS1_16block_id_wrapperIjLb0EEEEE10hipError_tT1_PNSt15iterator_traitsISI_E10value_typeET2_T3_PNSJ_ISO_E10value_typeET4_T5_PST_SU_PNS1_23onesweep_lookback_stateEbbT6_jjT7_P12ihipStream_tbENKUlT_T0_SI_SN_E_clISD_SD_SD_SD_EEDaS11_S12_SI_SN_EUlS11_E_NS1_11comp_targetILNS1_3genE3ELNS1_11target_archE908ELNS1_3gpuE7ELNS1_3repE0EEENS1_47radix_sort_onesweep_sort_config_static_selectorELNS0_4arch9wavefront6targetE1EEEvSI_.uses_vcc, 0
	.set _ZN7rocprim17ROCPRIM_400000_NS6detail17trampoline_kernelINS0_14default_configENS1_35radix_sort_onesweep_config_selectorIffEEZZNS1_29radix_sort_onesweep_iterationIS3_Lb0EN6thrust23THRUST_200600_302600_NS6detail15normal_iteratorINS8_10device_ptrIfEEEESD_SD_SD_jNS0_19identity_decomposerENS1_16block_id_wrapperIjLb0EEEEE10hipError_tT1_PNSt15iterator_traitsISI_E10value_typeET2_T3_PNSJ_ISO_E10value_typeET4_T5_PST_SU_PNS1_23onesweep_lookback_stateEbbT6_jjT7_P12ihipStream_tbENKUlT_T0_SI_SN_E_clISD_SD_SD_SD_EEDaS11_S12_SI_SN_EUlS11_E_NS1_11comp_targetILNS1_3genE3ELNS1_11target_archE908ELNS1_3gpuE7ELNS1_3repE0EEENS1_47radix_sort_onesweep_sort_config_static_selectorELNS0_4arch9wavefront6targetE1EEEvSI_.uses_flat_scratch, 0
	.set _ZN7rocprim17ROCPRIM_400000_NS6detail17trampoline_kernelINS0_14default_configENS1_35radix_sort_onesweep_config_selectorIffEEZZNS1_29radix_sort_onesweep_iterationIS3_Lb0EN6thrust23THRUST_200600_302600_NS6detail15normal_iteratorINS8_10device_ptrIfEEEESD_SD_SD_jNS0_19identity_decomposerENS1_16block_id_wrapperIjLb0EEEEE10hipError_tT1_PNSt15iterator_traitsISI_E10value_typeET2_T3_PNSJ_ISO_E10value_typeET4_T5_PST_SU_PNS1_23onesweep_lookback_stateEbbT6_jjT7_P12ihipStream_tbENKUlT_T0_SI_SN_E_clISD_SD_SD_SD_EEDaS11_S12_SI_SN_EUlS11_E_NS1_11comp_targetILNS1_3genE3ELNS1_11target_archE908ELNS1_3gpuE7ELNS1_3repE0EEENS1_47radix_sort_onesweep_sort_config_static_selectorELNS0_4arch9wavefront6targetE1EEEvSI_.has_dyn_sized_stack, 0
	.set _ZN7rocprim17ROCPRIM_400000_NS6detail17trampoline_kernelINS0_14default_configENS1_35radix_sort_onesweep_config_selectorIffEEZZNS1_29radix_sort_onesweep_iterationIS3_Lb0EN6thrust23THRUST_200600_302600_NS6detail15normal_iteratorINS8_10device_ptrIfEEEESD_SD_SD_jNS0_19identity_decomposerENS1_16block_id_wrapperIjLb0EEEEE10hipError_tT1_PNSt15iterator_traitsISI_E10value_typeET2_T3_PNSJ_ISO_E10value_typeET4_T5_PST_SU_PNS1_23onesweep_lookback_stateEbbT6_jjT7_P12ihipStream_tbENKUlT_T0_SI_SN_E_clISD_SD_SD_SD_EEDaS11_S12_SI_SN_EUlS11_E_NS1_11comp_targetILNS1_3genE3ELNS1_11target_archE908ELNS1_3gpuE7ELNS1_3repE0EEENS1_47radix_sort_onesweep_sort_config_static_selectorELNS0_4arch9wavefront6targetE1EEEvSI_.has_recursion, 0
	.set _ZN7rocprim17ROCPRIM_400000_NS6detail17trampoline_kernelINS0_14default_configENS1_35radix_sort_onesweep_config_selectorIffEEZZNS1_29radix_sort_onesweep_iterationIS3_Lb0EN6thrust23THRUST_200600_302600_NS6detail15normal_iteratorINS8_10device_ptrIfEEEESD_SD_SD_jNS0_19identity_decomposerENS1_16block_id_wrapperIjLb0EEEEE10hipError_tT1_PNSt15iterator_traitsISI_E10value_typeET2_T3_PNSJ_ISO_E10value_typeET4_T5_PST_SU_PNS1_23onesweep_lookback_stateEbbT6_jjT7_P12ihipStream_tbENKUlT_T0_SI_SN_E_clISD_SD_SD_SD_EEDaS11_S12_SI_SN_EUlS11_E_NS1_11comp_targetILNS1_3genE3ELNS1_11target_archE908ELNS1_3gpuE7ELNS1_3repE0EEENS1_47radix_sort_onesweep_sort_config_static_selectorELNS0_4arch9wavefront6targetE1EEEvSI_.has_indirect_call, 0
	.section	.AMDGPU.csdata,"",@progbits
; Kernel info:
; codeLenInByte = 0
; TotalNumSgprs: 6
; NumVgprs: 0
; NumAgprs: 0
; TotalNumVgprs: 0
; ScratchSize: 0
; MemoryBound: 0
; FloatMode: 240
; IeeeMode: 1
; LDSByteSize: 0 bytes/workgroup (compile time only)
; SGPRBlocks: 0
; VGPRBlocks: 0
; NumSGPRsForWavesPerEU: 6
; NumVGPRsForWavesPerEU: 1
; AccumOffset: 4
; Occupancy: 8
; WaveLimiterHint : 0
; COMPUTE_PGM_RSRC2:SCRATCH_EN: 0
; COMPUTE_PGM_RSRC2:USER_SGPR: 2
; COMPUTE_PGM_RSRC2:TRAP_HANDLER: 0
; COMPUTE_PGM_RSRC2:TGID_X_EN: 1
; COMPUTE_PGM_RSRC2:TGID_Y_EN: 0
; COMPUTE_PGM_RSRC2:TGID_Z_EN: 0
; COMPUTE_PGM_RSRC2:TIDIG_COMP_CNT: 0
; COMPUTE_PGM_RSRC3_GFX90A:ACCUM_OFFSET: 0
; COMPUTE_PGM_RSRC3_GFX90A:TG_SPLIT: 0
	.section	.text._ZN7rocprim17ROCPRIM_400000_NS6detail17trampoline_kernelINS0_14default_configENS1_35radix_sort_onesweep_config_selectorIffEEZZNS1_29radix_sort_onesweep_iterationIS3_Lb0EN6thrust23THRUST_200600_302600_NS6detail15normal_iteratorINS8_10device_ptrIfEEEESD_SD_SD_jNS0_19identity_decomposerENS1_16block_id_wrapperIjLb0EEEEE10hipError_tT1_PNSt15iterator_traitsISI_E10value_typeET2_T3_PNSJ_ISO_E10value_typeET4_T5_PST_SU_PNS1_23onesweep_lookback_stateEbbT6_jjT7_P12ihipStream_tbENKUlT_T0_SI_SN_E_clISD_SD_SD_SD_EEDaS11_S12_SI_SN_EUlS11_E_NS1_11comp_targetILNS1_3genE10ELNS1_11target_archE1201ELNS1_3gpuE5ELNS1_3repE0EEENS1_47radix_sort_onesweep_sort_config_static_selectorELNS0_4arch9wavefront6targetE1EEEvSI_,"axG",@progbits,_ZN7rocprim17ROCPRIM_400000_NS6detail17trampoline_kernelINS0_14default_configENS1_35radix_sort_onesweep_config_selectorIffEEZZNS1_29radix_sort_onesweep_iterationIS3_Lb0EN6thrust23THRUST_200600_302600_NS6detail15normal_iteratorINS8_10device_ptrIfEEEESD_SD_SD_jNS0_19identity_decomposerENS1_16block_id_wrapperIjLb0EEEEE10hipError_tT1_PNSt15iterator_traitsISI_E10value_typeET2_T3_PNSJ_ISO_E10value_typeET4_T5_PST_SU_PNS1_23onesweep_lookback_stateEbbT6_jjT7_P12ihipStream_tbENKUlT_T0_SI_SN_E_clISD_SD_SD_SD_EEDaS11_S12_SI_SN_EUlS11_E_NS1_11comp_targetILNS1_3genE10ELNS1_11target_archE1201ELNS1_3gpuE5ELNS1_3repE0EEENS1_47radix_sort_onesweep_sort_config_static_selectorELNS0_4arch9wavefront6targetE1EEEvSI_,comdat
	.protected	_ZN7rocprim17ROCPRIM_400000_NS6detail17trampoline_kernelINS0_14default_configENS1_35radix_sort_onesweep_config_selectorIffEEZZNS1_29radix_sort_onesweep_iterationIS3_Lb0EN6thrust23THRUST_200600_302600_NS6detail15normal_iteratorINS8_10device_ptrIfEEEESD_SD_SD_jNS0_19identity_decomposerENS1_16block_id_wrapperIjLb0EEEEE10hipError_tT1_PNSt15iterator_traitsISI_E10value_typeET2_T3_PNSJ_ISO_E10value_typeET4_T5_PST_SU_PNS1_23onesweep_lookback_stateEbbT6_jjT7_P12ihipStream_tbENKUlT_T0_SI_SN_E_clISD_SD_SD_SD_EEDaS11_S12_SI_SN_EUlS11_E_NS1_11comp_targetILNS1_3genE10ELNS1_11target_archE1201ELNS1_3gpuE5ELNS1_3repE0EEENS1_47radix_sort_onesweep_sort_config_static_selectorELNS0_4arch9wavefront6targetE1EEEvSI_ ; -- Begin function _ZN7rocprim17ROCPRIM_400000_NS6detail17trampoline_kernelINS0_14default_configENS1_35radix_sort_onesweep_config_selectorIffEEZZNS1_29radix_sort_onesweep_iterationIS3_Lb0EN6thrust23THRUST_200600_302600_NS6detail15normal_iteratorINS8_10device_ptrIfEEEESD_SD_SD_jNS0_19identity_decomposerENS1_16block_id_wrapperIjLb0EEEEE10hipError_tT1_PNSt15iterator_traitsISI_E10value_typeET2_T3_PNSJ_ISO_E10value_typeET4_T5_PST_SU_PNS1_23onesweep_lookback_stateEbbT6_jjT7_P12ihipStream_tbENKUlT_T0_SI_SN_E_clISD_SD_SD_SD_EEDaS11_S12_SI_SN_EUlS11_E_NS1_11comp_targetILNS1_3genE10ELNS1_11target_archE1201ELNS1_3gpuE5ELNS1_3repE0EEENS1_47radix_sort_onesweep_sort_config_static_selectorELNS0_4arch9wavefront6targetE1EEEvSI_
	.globl	_ZN7rocprim17ROCPRIM_400000_NS6detail17trampoline_kernelINS0_14default_configENS1_35radix_sort_onesweep_config_selectorIffEEZZNS1_29radix_sort_onesweep_iterationIS3_Lb0EN6thrust23THRUST_200600_302600_NS6detail15normal_iteratorINS8_10device_ptrIfEEEESD_SD_SD_jNS0_19identity_decomposerENS1_16block_id_wrapperIjLb0EEEEE10hipError_tT1_PNSt15iterator_traitsISI_E10value_typeET2_T3_PNSJ_ISO_E10value_typeET4_T5_PST_SU_PNS1_23onesweep_lookback_stateEbbT6_jjT7_P12ihipStream_tbENKUlT_T0_SI_SN_E_clISD_SD_SD_SD_EEDaS11_S12_SI_SN_EUlS11_E_NS1_11comp_targetILNS1_3genE10ELNS1_11target_archE1201ELNS1_3gpuE5ELNS1_3repE0EEENS1_47radix_sort_onesweep_sort_config_static_selectorELNS0_4arch9wavefront6targetE1EEEvSI_
	.p2align	8
	.type	_ZN7rocprim17ROCPRIM_400000_NS6detail17trampoline_kernelINS0_14default_configENS1_35radix_sort_onesweep_config_selectorIffEEZZNS1_29radix_sort_onesweep_iterationIS3_Lb0EN6thrust23THRUST_200600_302600_NS6detail15normal_iteratorINS8_10device_ptrIfEEEESD_SD_SD_jNS0_19identity_decomposerENS1_16block_id_wrapperIjLb0EEEEE10hipError_tT1_PNSt15iterator_traitsISI_E10value_typeET2_T3_PNSJ_ISO_E10value_typeET4_T5_PST_SU_PNS1_23onesweep_lookback_stateEbbT6_jjT7_P12ihipStream_tbENKUlT_T0_SI_SN_E_clISD_SD_SD_SD_EEDaS11_S12_SI_SN_EUlS11_E_NS1_11comp_targetILNS1_3genE10ELNS1_11target_archE1201ELNS1_3gpuE5ELNS1_3repE0EEENS1_47radix_sort_onesweep_sort_config_static_selectorELNS0_4arch9wavefront6targetE1EEEvSI_,@function
_ZN7rocprim17ROCPRIM_400000_NS6detail17trampoline_kernelINS0_14default_configENS1_35radix_sort_onesweep_config_selectorIffEEZZNS1_29radix_sort_onesweep_iterationIS3_Lb0EN6thrust23THRUST_200600_302600_NS6detail15normal_iteratorINS8_10device_ptrIfEEEESD_SD_SD_jNS0_19identity_decomposerENS1_16block_id_wrapperIjLb0EEEEE10hipError_tT1_PNSt15iterator_traitsISI_E10value_typeET2_T3_PNSJ_ISO_E10value_typeET4_T5_PST_SU_PNS1_23onesweep_lookback_stateEbbT6_jjT7_P12ihipStream_tbENKUlT_T0_SI_SN_E_clISD_SD_SD_SD_EEDaS11_S12_SI_SN_EUlS11_E_NS1_11comp_targetILNS1_3genE10ELNS1_11target_archE1201ELNS1_3gpuE5ELNS1_3repE0EEENS1_47radix_sort_onesweep_sort_config_static_selectorELNS0_4arch9wavefront6targetE1EEEvSI_: ; @_ZN7rocprim17ROCPRIM_400000_NS6detail17trampoline_kernelINS0_14default_configENS1_35radix_sort_onesweep_config_selectorIffEEZZNS1_29radix_sort_onesweep_iterationIS3_Lb0EN6thrust23THRUST_200600_302600_NS6detail15normal_iteratorINS8_10device_ptrIfEEEESD_SD_SD_jNS0_19identity_decomposerENS1_16block_id_wrapperIjLb0EEEEE10hipError_tT1_PNSt15iterator_traitsISI_E10value_typeET2_T3_PNSJ_ISO_E10value_typeET4_T5_PST_SU_PNS1_23onesweep_lookback_stateEbbT6_jjT7_P12ihipStream_tbENKUlT_T0_SI_SN_E_clISD_SD_SD_SD_EEDaS11_S12_SI_SN_EUlS11_E_NS1_11comp_targetILNS1_3genE10ELNS1_11target_archE1201ELNS1_3gpuE5ELNS1_3repE0EEENS1_47radix_sort_onesweep_sort_config_static_selectorELNS0_4arch9wavefront6targetE1EEEvSI_
; %bb.0:
	.section	.rodata,"a",@progbits
	.p2align	6, 0x0
	.amdhsa_kernel _ZN7rocprim17ROCPRIM_400000_NS6detail17trampoline_kernelINS0_14default_configENS1_35radix_sort_onesweep_config_selectorIffEEZZNS1_29radix_sort_onesweep_iterationIS3_Lb0EN6thrust23THRUST_200600_302600_NS6detail15normal_iteratorINS8_10device_ptrIfEEEESD_SD_SD_jNS0_19identity_decomposerENS1_16block_id_wrapperIjLb0EEEEE10hipError_tT1_PNSt15iterator_traitsISI_E10value_typeET2_T3_PNSJ_ISO_E10value_typeET4_T5_PST_SU_PNS1_23onesweep_lookback_stateEbbT6_jjT7_P12ihipStream_tbENKUlT_T0_SI_SN_E_clISD_SD_SD_SD_EEDaS11_S12_SI_SN_EUlS11_E_NS1_11comp_targetILNS1_3genE10ELNS1_11target_archE1201ELNS1_3gpuE5ELNS1_3repE0EEENS1_47radix_sort_onesweep_sort_config_static_selectorELNS0_4arch9wavefront6targetE1EEEvSI_
		.amdhsa_group_segment_fixed_size 0
		.amdhsa_private_segment_fixed_size 0
		.amdhsa_kernarg_size 88
		.amdhsa_user_sgpr_count 2
		.amdhsa_user_sgpr_dispatch_ptr 0
		.amdhsa_user_sgpr_queue_ptr 0
		.amdhsa_user_sgpr_kernarg_segment_ptr 1
		.amdhsa_user_sgpr_dispatch_id 0
		.amdhsa_user_sgpr_kernarg_preload_length 0
		.amdhsa_user_sgpr_kernarg_preload_offset 0
		.amdhsa_user_sgpr_private_segment_size 0
		.amdhsa_uses_dynamic_stack 0
		.amdhsa_enable_private_segment 0
		.amdhsa_system_sgpr_workgroup_id_x 1
		.amdhsa_system_sgpr_workgroup_id_y 0
		.amdhsa_system_sgpr_workgroup_id_z 0
		.amdhsa_system_sgpr_workgroup_info 0
		.amdhsa_system_vgpr_workitem_id 0
		.amdhsa_next_free_vgpr 1
		.amdhsa_next_free_sgpr 0
		.amdhsa_accum_offset 4
		.amdhsa_reserve_vcc 0
		.amdhsa_float_round_mode_32 0
		.amdhsa_float_round_mode_16_64 0
		.amdhsa_float_denorm_mode_32 3
		.amdhsa_float_denorm_mode_16_64 3
		.amdhsa_dx10_clamp 1
		.amdhsa_ieee_mode 1
		.amdhsa_fp16_overflow 0
		.amdhsa_tg_split 0
		.amdhsa_exception_fp_ieee_invalid_op 0
		.amdhsa_exception_fp_denorm_src 0
		.amdhsa_exception_fp_ieee_div_zero 0
		.amdhsa_exception_fp_ieee_overflow 0
		.amdhsa_exception_fp_ieee_underflow 0
		.amdhsa_exception_fp_ieee_inexact 0
		.amdhsa_exception_int_div_zero 0
	.end_amdhsa_kernel
	.section	.text._ZN7rocprim17ROCPRIM_400000_NS6detail17trampoline_kernelINS0_14default_configENS1_35radix_sort_onesweep_config_selectorIffEEZZNS1_29radix_sort_onesweep_iterationIS3_Lb0EN6thrust23THRUST_200600_302600_NS6detail15normal_iteratorINS8_10device_ptrIfEEEESD_SD_SD_jNS0_19identity_decomposerENS1_16block_id_wrapperIjLb0EEEEE10hipError_tT1_PNSt15iterator_traitsISI_E10value_typeET2_T3_PNSJ_ISO_E10value_typeET4_T5_PST_SU_PNS1_23onesweep_lookback_stateEbbT6_jjT7_P12ihipStream_tbENKUlT_T0_SI_SN_E_clISD_SD_SD_SD_EEDaS11_S12_SI_SN_EUlS11_E_NS1_11comp_targetILNS1_3genE10ELNS1_11target_archE1201ELNS1_3gpuE5ELNS1_3repE0EEENS1_47radix_sort_onesweep_sort_config_static_selectorELNS0_4arch9wavefront6targetE1EEEvSI_,"axG",@progbits,_ZN7rocprim17ROCPRIM_400000_NS6detail17trampoline_kernelINS0_14default_configENS1_35radix_sort_onesweep_config_selectorIffEEZZNS1_29radix_sort_onesweep_iterationIS3_Lb0EN6thrust23THRUST_200600_302600_NS6detail15normal_iteratorINS8_10device_ptrIfEEEESD_SD_SD_jNS0_19identity_decomposerENS1_16block_id_wrapperIjLb0EEEEE10hipError_tT1_PNSt15iterator_traitsISI_E10value_typeET2_T3_PNSJ_ISO_E10value_typeET4_T5_PST_SU_PNS1_23onesweep_lookback_stateEbbT6_jjT7_P12ihipStream_tbENKUlT_T0_SI_SN_E_clISD_SD_SD_SD_EEDaS11_S12_SI_SN_EUlS11_E_NS1_11comp_targetILNS1_3genE10ELNS1_11target_archE1201ELNS1_3gpuE5ELNS1_3repE0EEENS1_47radix_sort_onesweep_sort_config_static_selectorELNS0_4arch9wavefront6targetE1EEEvSI_,comdat
.Lfunc_end338:
	.size	_ZN7rocprim17ROCPRIM_400000_NS6detail17trampoline_kernelINS0_14default_configENS1_35radix_sort_onesweep_config_selectorIffEEZZNS1_29radix_sort_onesweep_iterationIS3_Lb0EN6thrust23THRUST_200600_302600_NS6detail15normal_iteratorINS8_10device_ptrIfEEEESD_SD_SD_jNS0_19identity_decomposerENS1_16block_id_wrapperIjLb0EEEEE10hipError_tT1_PNSt15iterator_traitsISI_E10value_typeET2_T3_PNSJ_ISO_E10value_typeET4_T5_PST_SU_PNS1_23onesweep_lookback_stateEbbT6_jjT7_P12ihipStream_tbENKUlT_T0_SI_SN_E_clISD_SD_SD_SD_EEDaS11_S12_SI_SN_EUlS11_E_NS1_11comp_targetILNS1_3genE10ELNS1_11target_archE1201ELNS1_3gpuE5ELNS1_3repE0EEENS1_47radix_sort_onesweep_sort_config_static_selectorELNS0_4arch9wavefront6targetE1EEEvSI_, .Lfunc_end338-_ZN7rocprim17ROCPRIM_400000_NS6detail17trampoline_kernelINS0_14default_configENS1_35radix_sort_onesweep_config_selectorIffEEZZNS1_29radix_sort_onesweep_iterationIS3_Lb0EN6thrust23THRUST_200600_302600_NS6detail15normal_iteratorINS8_10device_ptrIfEEEESD_SD_SD_jNS0_19identity_decomposerENS1_16block_id_wrapperIjLb0EEEEE10hipError_tT1_PNSt15iterator_traitsISI_E10value_typeET2_T3_PNSJ_ISO_E10value_typeET4_T5_PST_SU_PNS1_23onesweep_lookback_stateEbbT6_jjT7_P12ihipStream_tbENKUlT_T0_SI_SN_E_clISD_SD_SD_SD_EEDaS11_S12_SI_SN_EUlS11_E_NS1_11comp_targetILNS1_3genE10ELNS1_11target_archE1201ELNS1_3gpuE5ELNS1_3repE0EEENS1_47radix_sort_onesweep_sort_config_static_selectorELNS0_4arch9wavefront6targetE1EEEvSI_
                                        ; -- End function
	.set _ZN7rocprim17ROCPRIM_400000_NS6detail17trampoline_kernelINS0_14default_configENS1_35radix_sort_onesweep_config_selectorIffEEZZNS1_29radix_sort_onesweep_iterationIS3_Lb0EN6thrust23THRUST_200600_302600_NS6detail15normal_iteratorINS8_10device_ptrIfEEEESD_SD_SD_jNS0_19identity_decomposerENS1_16block_id_wrapperIjLb0EEEEE10hipError_tT1_PNSt15iterator_traitsISI_E10value_typeET2_T3_PNSJ_ISO_E10value_typeET4_T5_PST_SU_PNS1_23onesweep_lookback_stateEbbT6_jjT7_P12ihipStream_tbENKUlT_T0_SI_SN_E_clISD_SD_SD_SD_EEDaS11_S12_SI_SN_EUlS11_E_NS1_11comp_targetILNS1_3genE10ELNS1_11target_archE1201ELNS1_3gpuE5ELNS1_3repE0EEENS1_47radix_sort_onesweep_sort_config_static_selectorELNS0_4arch9wavefront6targetE1EEEvSI_.num_vgpr, 0
	.set _ZN7rocprim17ROCPRIM_400000_NS6detail17trampoline_kernelINS0_14default_configENS1_35radix_sort_onesweep_config_selectorIffEEZZNS1_29radix_sort_onesweep_iterationIS3_Lb0EN6thrust23THRUST_200600_302600_NS6detail15normal_iteratorINS8_10device_ptrIfEEEESD_SD_SD_jNS0_19identity_decomposerENS1_16block_id_wrapperIjLb0EEEEE10hipError_tT1_PNSt15iterator_traitsISI_E10value_typeET2_T3_PNSJ_ISO_E10value_typeET4_T5_PST_SU_PNS1_23onesweep_lookback_stateEbbT6_jjT7_P12ihipStream_tbENKUlT_T0_SI_SN_E_clISD_SD_SD_SD_EEDaS11_S12_SI_SN_EUlS11_E_NS1_11comp_targetILNS1_3genE10ELNS1_11target_archE1201ELNS1_3gpuE5ELNS1_3repE0EEENS1_47radix_sort_onesweep_sort_config_static_selectorELNS0_4arch9wavefront6targetE1EEEvSI_.num_agpr, 0
	.set _ZN7rocprim17ROCPRIM_400000_NS6detail17trampoline_kernelINS0_14default_configENS1_35radix_sort_onesweep_config_selectorIffEEZZNS1_29radix_sort_onesweep_iterationIS3_Lb0EN6thrust23THRUST_200600_302600_NS6detail15normal_iteratorINS8_10device_ptrIfEEEESD_SD_SD_jNS0_19identity_decomposerENS1_16block_id_wrapperIjLb0EEEEE10hipError_tT1_PNSt15iterator_traitsISI_E10value_typeET2_T3_PNSJ_ISO_E10value_typeET4_T5_PST_SU_PNS1_23onesweep_lookback_stateEbbT6_jjT7_P12ihipStream_tbENKUlT_T0_SI_SN_E_clISD_SD_SD_SD_EEDaS11_S12_SI_SN_EUlS11_E_NS1_11comp_targetILNS1_3genE10ELNS1_11target_archE1201ELNS1_3gpuE5ELNS1_3repE0EEENS1_47radix_sort_onesweep_sort_config_static_selectorELNS0_4arch9wavefront6targetE1EEEvSI_.numbered_sgpr, 0
	.set _ZN7rocprim17ROCPRIM_400000_NS6detail17trampoline_kernelINS0_14default_configENS1_35radix_sort_onesweep_config_selectorIffEEZZNS1_29radix_sort_onesweep_iterationIS3_Lb0EN6thrust23THRUST_200600_302600_NS6detail15normal_iteratorINS8_10device_ptrIfEEEESD_SD_SD_jNS0_19identity_decomposerENS1_16block_id_wrapperIjLb0EEEEE10hipError_tT1_PNSt15iterator_traitsISI_E10value_typeET2_T3_PNSJ_ISO_E10value_typeET4_T5_PST_SU_PNS1_23onesweep_lookback_stateEbbT6_jjT7_P12ihipStream_tbENKUlT_T0_SI_SN_E_clISD_SD_SD_SD_EEDaS11_S12_SI_SN_EUlS11_E_NS1_11comp_targetILNS1_3genE10ELNS1_11target_archE1201ELNS1_3gpuE5ELNS1_3repE0EEENS1_47radix_sort_onesweep_sort_config_static_selectorELNS0_4arch9wavefront6targetE1EEEvSI_.num_named_barrier, 0
	.set _ZN7rocprim17ROCPRIM_400000_NS6detail17trampoline_kernelINS0_14default_configENS1_35radix_sort_onesweep_config_selectorIffEEZZNS1_29radix_sort_onesweep_iterationIS3_Lb0EN6thrust23THRUST_200600_302600_NS6detail15normal_iteratorINS8_10device_ptrIfEEEESD_SD_SD_jNS0_19identity_decomposerENS1_16block_id_wrapperIjLb0EEEEE10hipError_tT1_PNSt15iterator_traitsISI_E10value_typeET2_T3_PNSJ_ISO_E10value_typeET4_T5_PST_SU_PNS1_23onesweep_lookback_stateEbbT6_jjT7_P12ihipStream_tbENKUlT_T0_SI_SN_E_clISD_SD_SD_SD_EEDaS11_S12_SI_SN_EUlS11_E_NS1_11comp_targetILNS1_3genE10ELNS1_11target_archE1201ELNS1_3gpuE5ELNS1_3repE0EEENS1_47radix_sort_onesweep_sort_config_static_selectorELNS0_4arch9wavefront6targetE1EEEvSI_.private_seg_size, 0
	.set _ZN7rocprim17ROCPRIM_400000_NS6detail17trampoline_kernelINS0_14default_configENS1_35radix_sort_onesweep_config_selectorIffEEZZNS1_29radix_sort_onesweep_iterationIS3_Lb0EN6thrust23THRUST_200600_302600_NS6detail15normal_iteratorINS8_10device_ptrIfEEEESD_SD_SD_jNS0_19identity_decomposerENS1_16block_id_wrapperIjLb0EEEEE10hipError_tT1_PNSt15iterator_traitsISI_E10value_typeET2_T3_PNSJ_ISO_E10value_typeET4_T5_PST_SU_PNS1_23onesweep_lookback_stateEbbT6_jjT7_P12ihipStream_tbENKUlT_T0_SI_SN_E_clISD_SD_SD_SD_EEDaS11_S12_SI_SN_EUlS11_E_NS1_11comp_targetILNS1_3genE10ELNS1_11target_archE1201ELNS1_3gpuE5ELNS1_3repE0EEENS1_47radix_sort_onesweep_sort_config_static_selectorELNS0_4arch9wavefront6targetE1EEEvSI_.uses_vcc, 0
	.set _ZN7rocprim17ROCPRIM_400000_NS6detail17trampoline_kernelINS0_14default_configENS1_35radix_sort_onesweep_config_selectorIffEEZZNS1_29radix_sort_onesweep_iterationIS3_Lb0EN6thrust23THRUST_200600_302600_NS6detail15normal_iteratorINS8_10device_ptrIfEEEESD_SD_SD_jNS0_19identity_decomposerENS1_16block_id_wrapperIjLb0EEEEE10hipError_tT1_PNSt15iterator_traitsISI_E10value_typeET2_T3_PNSJ_ISO_E10value_typeET4_T5_PST_SU_PNS1_23onesweep_lookback_stateEbbT6_jjT7_P12ihipStream_tbENKUlT_T0_SI_SN_E_clISD_SD_SD_SD_EEDaS11_S12_SI_SN_EUlS11_E_NS1_11comp_targetILNS1_3genE10ELNS1_11target_archE1201ELNS1_3gpuE5ELNS1_3repE0EEENS1_47radix_sort_onesweep_sort_config_static_selectorELNS0_4arch9wavefront6targetE1EEEvSI_.uses_flat_scratch, 0
	.set _ZN7rocprim17ROCPRIM_400000_NS6detail17trampoline_kernelINS0_14default_configENS1_35radix_sort_onesweep_config_selectorIffEEZZNS1_29radix_sort_onesweep_iterationIS3_Lb0EN6thrust23THRUST_200600_302600_NS6detail15normal_iteratorINS8_10device_ptrIfEEEESD_SD_SD_jNS0_19identity_decomposerENS1_16block_id_wrapperIjLb0EEEEE10hipError_tT1_PNSt15iterator_traitsISI_E10value_typeET2_T3_PNSJ_ISO_E10value_typeET4_T5_PST_SU_PNS1_23onesweep_lookback_stateEbbT6_jjT7_P12ihipStream_tbENKUlT_T0_SI_SN_E_clISD_SD_SD_SD_EEDaS11_S12_SI_SN_EUlS11_E_NS1_11comp_targetILNS1_3genE10ELNS1_11target_archE1201ELNS1_3gpuE5ELNS1_3repE0EEENS1_47radix_sort_onesweep_sort_config_static_selectorELNS0_4arch9wavefront6targetE1EEEvSI_.has_dyn_sized_stack, 0
	.set _ZN7rocprim17ROCPRIM_400000_NS6detail17trampoline_kernelINS0_14default_configENS1_35radix_sort_onesweep_config_selectorIffEEZZNS1_29radix_sort_onesweep_iterationIS3_Lb0EN6thrust23THRUST_200600_302600_NS6detail15normal_iteratorINS8_10device_ptrIfEEEESD_SD_SD_jNS0_19identity_decomposerENS1_16block_id_wrapperIjLb0EEEEE10hipError_tT1_PNSt15iterator_traitsISI_E10value_typeET2_T3_PNSJ_ISO_E10value_typeET4_T5_PST_SU_PNS1_23onesweep_lookback_stateEbbT6_jjT7_P12ihipStream_tbENKUlT_T0_SI_SN_E_clISD_SD_SD_SD_EEDaS11_S12_SI_SN_EUlS11_E_NS1_11comp_targetILNS1_3genE10ELNS1_11target_archE1201ELNS1_3gpuE5ELNS1_3repE0EEENS1_47radix_sort_onesweep_sort_config_static_selectorELNS0_4arch9wavefront6targetE1EEEvSI_.has_recursion, 0
	.set _ZN7rocprim17ROCPRIM_400000_NS6detail17trampoline_kernelINS0_14default_configENS1_35radix_sort_onesweep_config_selectorIffEEZZNS1_29radix_sort_onesweep_iterationIS3_Lb0EN6thrust23THRUST_200600_302600_NS6detail15normal_iteratorINS8_10device_ptrIfEEEESD_SD_SD_jNS0_19identity_decomposerENS1_16block_id_wrapperIjLb0EEEEE10hipError_tT1_PNSt15iterator_traitsISI_E10value_typeET2_T3_PNSJ_ISO_E10value_typeET4_T5_PST_SU_PNS1_23onesweep_lookback_stateEbbT6_jjT7_P12ihipStream_tbENKUlT_T0_SI_SN_E_clISD_SD_SD_SD_EEDaS11_S12_SI_SN_EUlS11_E_NS1_11comp_targetILNS1_3genE10ELNS1_11target_archE1201ELNS1_3gpuE5ELNS1_3repE0EEENS1_47radix_sort_onesweep_sort_config_static_selectorELNS0_4arch9wavefront6targetE1EEEvSI_.has_indirect_call, 0
	.section	.AMDGPU.csdata,"",@progbits
; Kernel info:
; codeLenInByte = 0
; TotalNumSgprs: 6
; NumVgprs: 0
; NumAgprs: 0
; TotalNumVgprs: 0
; ScratchSize: 0
; MemoryBound: 0
; FloatMode: 240
; IeeeMode: 1
; LDSByteSize: 0 bytes/workgroup (compile time only)
; SGPRBlocks: 0
; VGPRBlocks: 0
; NumSGPRsForWavesPerEU: 6
; NumVGPRsForWavesPerEU: 1
; AccumOffset: 4
; Occupancy: 8
; WaveLimiterHint : 0
; COMPUTE_PGM_RSRC2:SCRATCH_EN: 0
; COMPUTE_PGM_RSRC2:USER_SGPR: 2
; COMPUTE_PGM_RSRC2:TRAP_HANDLER: 0
; COMPUTE_PGM_RSRC2:TGID_X_EN: 1
; COMPUTE_PGM_RSRC2:TGID_Y_EN: 0
; COMPUTE_PGM_RSRC2:TGID_Z_EN: 0
; COMPUTE_PGM_RSRC2:TIDIG_COMP_CNT: 0
; COMPUTE_PGM_RSRC3_GFX90A:ACCUM_OFFSET: 0
; COMPUTE_PGM_RSRC3_GFX90A:TG_SPLIT: 0
	.section	.text._ZN7rocprim17ROCPRIM_400000_NS6detail17trampoline_kernelINS0_14default_configENS1_35radix_sort_onesweep_config_selectorIffEEZZNS1_29radix_sort_onesweep_iterationIS3_Lb0EN6thrust23THRUST_200600_302600_NS6detail15normal_iteratorINS8_10device_ptrIfEEEESD_SD_SD_jNS0_19identity_decomposerENS1_16block_id_wrapperIjLb0EEEEE10hipError_tT1_PNSt15iterator_traitsISI_E10value_typeET2_T3_PNSJ_ISO_E10value_typeET4_T5_PST_SU_PNS1_23onesweep_lookback_stateEbbT6_jjT7_P12ihipStream_tbENKUlT_T0_SI_SN_E_clISD_SD_SD_SD_EEDaS11_S12_SI_SN_EUlS11_E_NS1_11comp_targetILNS1_3genE9ELNS1_11target_archE1100ELNS1_3gpuE3ELNS1_3repE0EEENS1_47radix_sort_onesweep_sort_config_static_selectorELNS0_4arch9wavefront6targetE1EEEvSI_,"axG",@progbits,_ZN7rocprim17ROCPRIM_400000_NS6detail17trampoline_kernelINS0_14default_configENS1_35radix_sort_onesweep_config_selectorIffEEZZNS1_29radix_sort_onesweep_iterationIS3_Lb0EN6thrust23THRUST_200600_302600_NS6detail15normal_iteratorINS8_10device_ptrIfEEEESD_SD_SD_jNS0_19identity_decomposerENS1_16block_id_wrapperIjLb0EEEEE10hipError_tT1_PNSt15iterator_traitsISI_E10value_typeET2_T3_PNSJ_ISO_E10value_typeET4_T5_PST_SU_PNS1_23onesweep_lookback_stateEbbT6_jjT7_P12ihipStream_tbENKUlT_T0_SI_SN_E_clISD_SD_SD_SD_EEDaS11_S12_SI_SN_EUlS11_E_NS1_11comp_targetILNS1_3genE9ELNS1_11target_archE1100ELNS1_3gpuE3ELNS1_3repE0EEENS1_47radix_sort_onesweep_sort_config_static_selectorELNS0_4arch9wavefront6targetE1EEEvSI_,comdat
	.protected	_ZN7rocprim17ROCPRIM_400000_NS6detail17trampoline_kernelINS0_14default_configENS1_35radix_sort_onesweep_config_selectorIffEEZZNS1_29radix_sort_onesweep_iterationIS3_Lb0EN6thrust23THRUST_200600_302600_NS6detail15normal_iteratorINS8_10device_ptrIfEEEESD_SD_SD_jNS0_19identity_decomposerENS1_16block_id_wrapperIjLb0EEEEE10hipError_tT1_PNSt15iterator_traitsISI_E10value_typeET2_T3_PNSJ_ISO_E10value_typeET4_T5_PST_SU_PNS1_23onesweep_lookback_stateEbbT6_jjT7_P12ihipStream_tbENKUlT_T0_SI_SN_E_clISD_SD_SD_SD_EEDaS11_S12_SI_SN_EUlS11_E_NS1_11comp_targetILNS1_3genE9ELNS1_11target_archE1100ELNS1_3gpuE3ELNS1_3repE0EEENS1_47radix_sort_onesweep_sort_config_static_selectorELNS0_4arch9wavefront6targetE1EEEvSI_ ; -- Begin function _ZN7rocprim17ROCPRIM_400000_NS6detail17trampoline_kernelINS0_14default_configENS1_35radix_sort_onesweep_config_selectorIffEEZZNS1_29radix_sort_onesweep_iterationIS3_Lb0EN6thrust23THRUST_200600_302600_NS6detail15normal_iteratorINS8_10device_ptrIfEEEESD_SD_SD_jNS0_19identity_decomposerENS1_16block_id_wrapperIjLb0EEEEE10hipError_tT1_PNSt15iterator_traitsISI_E10value_typeET2_T3_PNSJ_ISO_E10value_typeET4_T5_PST_SU_PNS1_23onesweep_lookback_stateEbbT6_jjT7_P12ihipStream_tbENKUlT_T0_SI_SN_E_clISD_SD_SD_SD_EEDaS11_S12_SI_SN_EUlS11_E_NS1_11comp_targetILNS1_3genE9ELNS1_11target_archE1100ELNS1_3gpuE3ELNS1_3repE0EEENS1_47radix_sort_onesweep_sort_config_static_selectorELNS0_4arch9wavefront6targetE1EEEvSI_
	.globl	_ZN7rocprim17ROCPRIM_400000_NS6detail17trampoline_kernelINS0_14default_configENS1_35radix_sort_onesweep_config_selectorIffEEZZNS1_29radix_sort_onesweep_iterationIS3_Lb0EN6thrust23THRUST_200600_302600_NS6detail15normal_iteratorINS8_10device_ptrIfEEEESD_SD_SD_jNS0_19identity_decomposerENS1_16block_id_wrapperIjLb0EEEEE10hipError_tT1_PNSt15iterator_traitsISI_E10value_typeET2_T3_PNSJ_ISO_E10value_typeET4_T5_PST_SU_PNS1_23onesweep_lookback_stateEbbT6_jjT7_P12ihipStream_tbENKUlT_T0_SI_SN_E_clISD_SD_SD_SD_EEDaS11_S12_SI_SN_EUlS11_E_NS1_11comp_targetILNS1_3genE9ELNS1_11target_archE1100ELNS1_3gpuE3ELNS1_3repE0EEENS1_47radix_sort_onesweep_sort_config_static_selectorELNS0_4arch9wavefront6targetE1EEEvSI_
	.p2align	8
	.type	_ZN7rocprim17ROCPRIM_400000_NS6detail17trampoline_kernelINS0_14default_configENS1_35radix_sort_onesweep_config_selectorIffEEZZNS1_29radix_sort_onesweep_iterationIS3_Lb0EN6thrust23THRUST_200600_302600_NS6detail15normal_iteratorINS8_10device_ptrIfEEEESD_SD_SD_jNS0_19identity_decomposerENS1_16block_id_wrapperIjLb0EEEEE10hipError_tT1_PNSt15iterator_traitsISI_E10value_typeET2_T3_PNSJ_ISO_E10value_typeET4_T5_PST_SU_PNS1_23onesweep_lookback_stateEbbT6_jjT7_P12ihipStream_tbENKUlT_T0_SI_SN_E_clISD_SD_SD_SD_EEDaS11_S12_SI_SN_EUlS11_E_NS1_11comp_targetILNS1_3genE9ELNS1_11target_archE1100ELNS1_3gpuE3ELNS1_3repE0EEENS1_47radix_sort_onesweep_sort_config_static_selectorELNS0_4arch9wavefront6targetE1EEEvSI_,@function
_ZN7rocprim17ROCPRIM_400000_NS6detail17trampoline_kernelINS0_14default_configENS1_35radix_sort_onesweep_config_selectorIffEEZZNS1_29radix_sort_onesweep_iterationIS3_Lb0EN6thrust23THRUST_200600_302600_NS6detail15normal_iteratorINS8_10device_ptrIfEEEESD_SD_SD_jNS0_19identity_decomposerENS1_16block_id_wrapperIjLb0EEEEE10hipError_tT1_PNSt15iterator_traitsISI_E10value_typeET2_T3_PNSJ_ISO_E10value_typeET4_T5_PST_SU_PNS1_23onesweep_lookback_stateEbbT6_jjT7_P12ihipStream_tbENKUlT_T0_SI_SN_E_clISD_SD_SD_SD_EEDaS11_S12_SI_SN_EUlS11_E_NS1_11comp_targetILNS1_3genE9ELNS1_11target_archE1100ELNS1_3gpuE3ELNS1_3repE0EEENS1_47radix_sort_onesweep_sort_config_static_selectorELNS0_4arch9wavefront6targetE1EEEvSI_: ; @_ZN7rocprim17ROCPRIM_400000_NS6detail17trampoline_kernelINS0_14default_configENS1_35radix_sort_onesweep_config_selectorIffEEZZNS1_29radix_sort_onesweep_iterationIS3_Lb0EN6thrust23THRUST_200600_302600_NS6detail15normal_iteratorINS8_10device_ptrIfEEEESD_SD_SD_jNS0_19identity_decomposerENS1_16block_id_wrapperIjLb0EEEEE10hipError_tT1_PNSt15iterator_traitsISI_E10value_typeET2_T3_PNSJ_ISO_E10value_typeET4_T5_PST_SU_PNS1_23onesweep_lookback_stateEbbT6_jjT7_P12ihipStream_tbENKUlT_T0_SI_SN_E_clISD_SD_SD_SD_EEDaS11_S12_SI_SN_EUlS11_E_NS1_11comp_targetILNS1_3genE9ELNS1_11target_archE1100ELNS1_3gpuE3ELNS1_3repE0EEENS1_47radix_sort_onesweep_sort_config_static_selectorELNS0_4arch9wavefront6targetE1EEEvSI_
; %bb.0:
	.section	.rodata,"a",@progbits
	.p2align	6, 0x0
	.amdhsa_kernel _ZN7rocprim17ROCPRIM_400000_NS6detail17trampoline_kernelINS0_14default_configENS1_35radix_sort_onesweep_config_selectorIffEEZZNS1_29radix_sort_onesweep_iterationIS3_Lb0EN6thrust23THRUST_200600_302600_NS6detail15normal_iteratorINS8_10device_ptrIfEEEESD_SD_SD_jNS0_19identity_decomposerENS1_16block_id_wrapperIjLb0EEEEE10hipError_tT1_PNSt15iterator_traitsISI_E10value_typeET2_T3_PNSJ_ISO_E10value_typeET4_T5_PST_SU_PNS1_23onesweep_lookback_stateEbbT6_jjT7_P12ihipStream_tbENKUlT_T0_SI_SN_E_clISD_SD_SD_SD_EEDaS11_S12_SI_SN_EUlS11_E_NS1_11comp_targetILNS1_3genE9ELNS1_11target_archE1100ELNS1_3gpuE3ELNS1_3repE0EEENS1_47radix_sort_onesweep_sort_config_static_selectorELNS0_4arch9wavefront6targetE1EEEvSI_
		.amdhsa_group_segment_fixed_size 0
		.amdhsa_private_segment_fixed_size 0
		.amdhsa_kernarg_size 88
		.amdhsa_user_sgpr_count 2
		.amdhsa_user_sgpr_dispatch_ptr 0
		.amdhsa_user_sgpr_queue_ptr 0
		.amdhsa_user_sgpr_kernarg_segment_ptr 1
		.amdhsa_user_sgpr_dispatch_id 0
		.amdhsa_user_sgpr_kernarg_preload_length 0
		.amdhsa_user_sgpr_kernarg_preload_offset 0
		.amdhsa_user_sgpr_private_segment_size 0
		.amdhsa_uses_dynamic_stack 0
		.amdhsa_enable_private_segment 0
		.amdhsa_system_sgpr_workgroup_id_x 1
		.amdhsa_system_sgpr_workgroup_id_y 0
		.amdhsa_system_sgpr_workgroup_id_z 0
		.amdhsa_system_sgpr_workgroup_info 0
		.amdhsa_system_vgpr_workitem_id 0
		.amdhsa_next_free_vgpr 1
		.amdhsa_next_free_sgpr 0
		.amdhsa_accum_offset 4
		.amdhsa_reserve_vcc 0
		.amdhsa_float_round_mode_32 0
		.amdhsa_float_round_mode_16_64 0
		.amdhsa_float_denorm_mode_32 3
		.amdhsa_float_denorm_mode_16_64 3
		.amdhsa_dx10_clamp 1
		.amdhsa_ieee_mode 1
		.amdhsa_fp16_overflow 0
		.amdhsa_tg_split 0
		.amdhsa_exception_fp_ieee_invalid_op 0
		.amdhsa_exception_fp_denorm_src 0
		.amdhsa_exception_fp_ieee_div_zero 0
		.amdhsa_exception_fp_ieee_overflow 0
		.amdhsa_exception_fp_ieee_underflow 0
		.amdhsa_exception_fp_ieee_inexact 0
		.amdhsa_exception_int_div_zero 0
	.end_amdhsa_kernel
	.section	.text._ZN7rocprim17ROCPRIM_400000_NS6detail17trampoline_kernelINS0_14default_configENS1_35radix_sort_onesweep_config_selectorIffEEZZNS1_29radix_sort_onesweep_iterationIS3_Lb0EN6thrust23THRUST_200600_302600_NS6detail15normal_iteratorINS8_10device_ptrIfEEEESD_SD_SD_jNS0_19identity_decomposerENS1_16block_id_wrapperIjLb0EEEEE10hipError_tT1_PNSt15iterator_traitsISI_E10value_typeET2_T3_PNSJ_ISO_E10value_typeET4_T5_PST_SU_PNS1_23onesweep_lookback_stateEbbT6_jjT7_P12ihipStream_tbENKUlT_T0_SI_SN_E_clISD_SD_SD_SD_EEDaS11_S12_SI_SN_EUlS11_E_NS1_11comp_targetILNS1_3genE9ELNS1_11target_archE1100ELNS1_3gpuE3ELNS1_3repE0EEENS1_47radix_sort_onesweep_sort_config_static_selectorELNS0_4arch9wavefront6targetE1EEEvSI_,"axG",@progbits,_ZN7rocprim17ROCPRIM_400000_NS6detail17trampoline_kernelINS0_14default_configENS1_35radix_sort_onesweep_config_selectorIffEEZZNS1_29radix_sort_onesweep_iterationIS3_Lb0EN6thrust23THRUST_200600_302600_NS6detail15normal_iteratorINS8_10device_ptrIfEEEESD_SD_SD_jNS0_19identity_decomposerENS1_16block_id_wrapperIjLb0EEEEE10hipError_tT1_PNSt15iterator_traitsISI_E10value_typeET2_T3_PNSJ_ISO_E10value_typeET4_T5_PST_SU_PNS1_23onesweep_lookback_stateEbbT6_jjT7_P12ihipStream_tbENKUlT_T0_SI_SN_E_clISD_SD_SD_SD_EEDaS11_S12_SI_SN_EUlS11_E_NS1_11comp_targetILNS1_3genE9ELNS1_11target_archE1100ELNS1_3gpuE3ELNS1_3repE0EEENS1_47radix_sort_onesweep_sort_config_static_selectorELNS0_4arch9wavefront6targetE1EEEvSI_,comdat
.Lfunc_end339:
	.size	_ZN7rocprim17ROCPRIM_400000_NS6detail17trampoline_kernelINS0_14default_configENS1_35radix_sort_onesweep_config_selectorIffEEZZNS1_29radix_sort_onesweep_iterationIS3_Lb0EN6thrust23THRUST_200600_302600_NS6detail15normal_iteratorINS8_10device_ptrIfEEEESD_SD_SD_jNS0_19identity_decomposerENS1_16block_id_wrapperIjLb0EEEEE10hipError_tT1_PNSt15iterator_traitsISI_E10value_typeET2_T3_PNSJ_ISO_E10value_typeET4_T5_PST_SU_PNS1_23onesweep_lookback_stateEbbT6_jjT7_P12ihipStream_tbENKUlT_T0_SI_SN_E_clISD_SD_SD_SD_EEDaS11_S12_SI_SN_EUlS11_E_NS1_11comp_targetILNS1_3genE9ELNS1_11target_archE1100ELNS1_3gpuE3ELNS1_3repE0EEENS1_47radix_sort_onesweep_sort_config_static_selectorELNS0_4arch9wavefront6targetE1EEEvSI_, .Lfunc_end339-_ZN7rocprim17ROCPRIM_400000_NS6detail17trampoline_kernelINS0_14default_configENS1_35radix_sort_onesweep_config_selectorIffEEZZNS1_29radix_sort_onesweep_iterationIS3_Lb0EN6thrust23THRUST_200600_302600_NS6detail15normal_iteratorINS8_10device_ptrIfEEEESD_SD_SD_jNS0_19identity_decomposerENS1_16block_id_wrapperIjLb0EEEEE10hipError_tT1_PNSt15iterator_traitsISI_E10value_typeET2_T3_PNSJ_ISO_E10value_typeET4_T5_PST_SU_PNS1_23onesweep_lookback_stateEbbT6_jjT7_P12ihipStream_tbENKUlT_T0_SI_SN_E_clISD_SD_SD_SD_EEDaS11_S12_SI_SN_EUlS11_E_NS1_11comp_targetILNS1_3genE9ELNS1_11target_archE1100ELNS1_3gpuE3ELNS1_3repE0EEENS1_47radix_sort_onesweep_sort_config_static_selectorELNS0_4arch9wavefront6targetE1EEEvSI_
                                        ; -- End function
	.set _ZN7rocprim17ROCPRIM_400000_NS6detail17trampoline_kernelINS0_14default_configENS1_35radix_sort_onesweep_config_selectorIffEEZZNS1_29radix_sort_onesweep_iterationIS3_Lb0EN6thrust23THRUST_200600_302600_NS6detail15normal_iteratorINS8_10device_ptrIfEEEESD_SD_SD_jNS0_19identity_decomposerENS1_16block_id_wrapperIjLb0EEEEE10hipError_tT1_PNSt15iterator_traitsISI_E10value_typeET2_T3_PNSJ_ISO_E10value_typeET4_T5_PST_SU_PNS1_23onesweep_lookback_stateEbbT6_jjT7_P12ihipStream_tbENKUlT_T0_SI_SN_E_clISD_SD_SD_SD_EEDaS11_S12_SI_SN_EUlS11_E_NS1_11comp_targetILNS1_3genE9ELNS1_11target_archE1100ELNS1_3gpuE3ELNS1_3repE0EEENS1_47radix_sort_onesweep_sort_config_static_selectorELNS0_4arch9wavefront6targetE1EEEvSI_.num_vgpr, 0
	.set _ZN7rocprim17ROCPRIM_400000_NS6detail17trampoline_kernelINS0_14default_configENS1_35radix_sort_onesweep_config_selectorIffEEZZNS1_29radix_sort_onesweep_iterationIS3_Lb0EN6thrust23THRUST_200600_302600_NS6detail15normal_iteratorINS8_10device_ptrIfEEEESD_SD_SD_jNS0_19identity_decomposerENS1_16block_id_wrapperIjLb0EEEEE10hipError_tT1_PNSt15iterator_traitsISI_E10value_typeET2_T3_PNSJ_ISO_E10value_typeET4_T5_PST_SU_PNS1_23onesweep_lookback_stateEbbT6_jjT7_P12ihipStream_tbENKUlT_T0_SI_SN_E_clISD_SD_SD_SD_EEDaS11_S12_SI_SN_EUlS11_E_NS1_11comp_targetILNS1_3genE9ELNS1_11target_archE1100ELNS1_3gpuE3ELNS1_3repE0EEENS1_47radix_sort_onesweep_sort_config_static_selectorELNS0_4arch9wavefront6targetE1EEEvSI_.num_agpr, 0
	.set _ZN7rocprim17ROCPRIM_400000_NS6detail17trampoline_kernelINS0_14default_configENS1_35radix_sort_onesweep_config_selectorIffEEZZNS1_29radix_sort_onesweep_iterationIS3_Lb0EN6thrust23THRUST_200600_302600_NS6detail15normal_iteratorINS8_10device_ptrIfEEEESD_SD_SD_jNS0_19identity_decomposerENS1_16block_id_wrapperIjLb0EEEEE10hipError_tT1_PNSt15iterator_traitsISI_E10value_typeET2_T3_PNSJ_ISO_E10value_typeET4_T5_PST_SU_PNS1_23onesweep_lookback_stateEbbT6_jjT7_P12ihipStream_tbENKUlT_T0_SI_SN_E_clISD_SD_SD_SD_EEDaS11_S12_SI_SN_EUlS11_E_NS1_11comp_targetILNS1_3genE9ELNS1_11target_archE1100ELNS1_3gpuE3ELNS1_3repE0EEENS1_47radix_sort_onesweep_sort_config_static_selectorELNS0_4arch9wavefront6targetE1EEEvSI_.numbered_sgpr, 0
	.set _ZN7rocprim17ROCPRIM_400000_NS6detail17trampoline_kernelINS0_14default_configENS1_35radix_sort_onesweep_config_selectorIffEEZZNS1_29radix_sort_onesweep_iterationIS3_Lb0EN6thrust23THRUST_200600_302600_NS6detail15normal_iteratorINS8_10device_ptrIfEEEESD_SD_SD_jNS0_19identity_decomposerENS1_16block_id_wrapperIjLb0EEEEE10hipError_tT1_PNSt15iterator_traitsISI_E10value_typeET2_T3_PNSJ_ISO_E10value_typeET4_T5_PST_SU_PNS1_23onesweep_lookback_stateEbbT6_jjT7_P12ihipStream_tbENKUlT_T0_SI_SN_E_clISD_SD_SD_SD_EEDaS11_S12_SI_SN_EUlS11_E_NS1_11comp_targetILNS1_3genE9ELNS1_11target_archE1100ELNS1_3gpuE3ELNS1_3repE0EEENS1_47radix_sort_onesweep_sort_config_static_selectorELNS0_4arch9wavefront6targetE1EEEvSI_.num_named_barrier, 0
	.set _ZN7rocprim17ROCPRIM_400000_NS6detail17trampoline_kernelINS0_14default_configENS1_35radix_sort_onesweep_config_selectorIffEEZZNS1_29radix_sort_onesweep_iterationIS3_Lb0EN6thrust23THRUST_200600_302600_NS6detail15normal_iteratorINS8_10device_ptrIfEEEESD_SD_SD_jNS0_19identity_decomposerENS1_16block_id_wrapperIjLb0EEEEE10hipError_tT1_PNSt15iterator_traitsISI_E10value_typeET2_T3_PNSJ_ISO_E10value_typeET4_T5_PST_SU_PNS1_23onesweep_lookback_stateEbbT6_jjT7_P12ihipStream_tbENKUlT_T0_SI_SN_E_clISD_SD_SD_SD_EEDaS11_S12_SI_SN_EUlS11_E_NS1_11comp_targetILNS1_3genE9ELNS1_11target_archE1100ELNS1_3gpuE3ELNS1_3repE0EEENS1_47radix_sort_onesweep_sort_config_static_selectorELNS0_4arch9wavefront6targetE1EEEvSI_.private_seg_size, 0
	.set _ZN7rocprim17ROCPRIM_400000_NS6detail17trampoline_kernelINS0_14default_configENS1_35radix_sort_onesweep_config_selectorIffEEZZNS1_29radix_sort_onesweep_iterationIS3_Lb0EN6thrust23THRUST_200600_302600_NS6detail15normal_iteratorINS8_10device_ptrIfEEEESD_SD_SD_jNS0_19identity_decomposerENS1_16block_id_wrapperIjLb0EEEEE10hipError_tT1_PNSt15iterator_traitsISI_E10value_typeET2_T3_PNSJ_ISO_E10value_typeET4_T5_PST_SU_PNS1_23onesweep_lookback_stateEbbT6_jjT7_P12ihipStream_tbENKUlT_T0_SI_SN_E_clISD_SD_SD_SD_EEDaS11_S12_SI_SN_EUlS11_E_NS1_11comp_targetILNS1_3genE9ELNS1_11target_archE1100ELNS1_3gpuE3ELNS1_3repE0EEENS1_47radix_sort_onesweep_sort_config_static_selectorELNS0_4arch9wavefront6targetE1EEEvSI_.uses_vcc, 0
	.set _ZN7rocprim17ROCPRIM_400000_NS6detail17trampoline_kernelINS0_14default_configENS1_35radix_sort_onesweep_config_selectorIffEEZZNS1_29radix_sort_onesweep_iterationIS3_Lb0EN6thrust23THRUST_200600_302600_NS6detail15normal_iteratorINS8_10device_ptrIfEEEESD_SD_SD_jNS0_19identity_decomposerENS1_16block_id_wrapperIjLb0EEEEE10hipError_tT1_PNSt15iterator_traitsISI_E10value_typeET2_T3_PNSJ_ISO_E10value_typeET4_T5_PST_SU_PNS1_23onesweep_lookback_stateEbbT6_jjT7_P12ihipStream_tbENKUlT_T0_SI_SN_E_clISD_SD_SD_SD_EEDaS11_S12_SI_SN_EUlS11_E_NS1_11comp_targetILNS1_3genE9ELNS1_11target_archE1100ELNS1_3gpuE3ELNS1_3repE0EEENS1_47radix_sort_onesweep_sort_config_static_selectorELNS0_4arch9wavefront6targetE1EEEvSI_.uses_flat_scratch, 0
	.set _ZN7rocprim17ROCPRIM_400000_NS6detail17trampoline_kernelINS0_14default_configENS1_35radix_sort_onesweep_config_selectorIffEEZZNS1_29radix_sort_onesweep_iterationIS3_Lb0EN6thrust23THRUST_200600_302600_NS6detail15normal_iteratorINS8_10device_ptrIfEEEESD_SD_SD_jNS0_19identity_decomposerENS1_16block_id_wrapperIjLb0EEEEE10hipError_tT1_PNSt15iterator_traitsISI_E10value_typeET2_T3_PNSJ_ISO_E10value_typeET4_T5_PST_SU_PNS1_23onesweep_lookback_stateEbbT6_jjT7_P12ihipStream_tbENKUlT_T0_SI_SN_E_clISD_SD_SD_SD_EEDaS11_S12_SI_SN_EUlS11_E_NS1_11comp_targetILNS1_3genE9ELNS1_11target_archE1100ELNS1_3gpuE3ELNS1_3repE0EEENS1_47radix_sort_onesweep_sort_config_static_selectorELNS0_4arch9wavefront6targetE1EEEvSI_.has_dyn_sized_stack, 0
	.set _ZN7rocprim17ROCPRIM_400000_NS6detail17trampoline_kernelINS0_14default_configENS1_35radix_sort_onesweep_config_selectorIffEEZZNS1_29radix_sort_onesweep_iterationIS3_Lb0EN6thrust23THRUST_200600_302600_NS6detail15normal_iteratorINS8_10device_ptrIfEEEESD_SD_SD_jNS0_19identity_decomposerENS1_16block_id_wrapperIjLb0EEEEE10hipError_tT1_PNSt15iterator_traitsISI_E10value_typeET2_T3_PNSJ_ISO_E10value_typeET4_T5_PST_SU_PNS1_23onesweep_lookback_stateEbbT6_jjT7_P12ihipStream_tbENKUlT_T0_SI_SN_E_clISD_SD_SD_SD_EEDaS11_S12_SI_SN_EUlS11_E_NS1_11comp_targetILNS1_3genE9ELNS1_11target_archE1100ELNS1_3gpuE3ELNS1_3repE0EEENS1_47radix_sort_onesweep_sort_config_static_selectorELNS0_4arch9wavefront6targetE1EEEvSI_.has_recursion, 0
	.set _ZN7rocprim17ROCPRIM_400000_NS6detail17trampoline_kernelINS0_14default_configENS1_35radix_sort_onesweep_config_selectorIffEEZZNS1_29radix_sort_onesweep_iterationIS3_Lb0EN6thrust23THRUST_200600_302600_NS6detail15normal_iteratorINS8_10device_ptrIfEEEESD_SD_SD_jNS0_19identity_decomposerENS1_16block_id_wrapperIjLb0EEEEE10hipError_tT1_PNSt15iterator_traitsISI_E10value_typeET2_T3_PNSJ_ISO_E10value_typeET4_T5_PST_SU_PNS1_23onesweep_lookback_stateEbbT6_jjT7_P12ihipStream_tbENKUlT_T0_SI_SN_E_clISD_SD_SD_SD_EEDaS11_S12_SI_SN_EUlS11_E_NS1_11comp_targetILNS1_3genE9ELNS1_11target_archE1100ELNS1_3gpuE3ELNS1_3repE0EEENS1_47radix_sort_onesweep_sort_config_static_selectorELNS0_4arch9wavefront6targetE1EEEvSI_.has_indirect_call, 0
	.section	.AMDGPU.csdata,"",@progbits
; Kernel info:
; codeLenInByte = 0
; TotalNumSgprs: 6
; NumVgprs: 0
; NumAgprs: 0
; TotalNumVgprs: 0
; ScratchSize: 0
; MemoryBound: 0
; FloatMode: 240
; IeeeMode: 1
; LDSByteSize: 0 bytes/workgroup (compile time only)
; SGPRBlocks: 0
; VGPRBlocks: 0
; NumSGPRsForWavesPerEU: 6
; NumVGPRsForWavesPerEU: 1
; AccumOffset: 4
; Occupancy: 8
; WaveLimiterHint : 0
; COMPUTE_PGM_RSRC2:SCRATCH_EN: 0
; COMPUTE_PGM_RSRC2:USER_SGPR: 2
; COMPUTE_PGM_RSRC2:TRAP_HANDLER: 0
; COMPUTE_PGM_RSRC2:TGID_X_EN: 1
; COMPUTE_PGM_RSRC2:TGID_Y_EN: 0
; COMPUTE_PGM_RSRC2:TGID_Z_EN: 0
; COMPUTE_PGM_RSRC2:TIDIG_COMP_CNT: 0
; COMPUTE_PGM_RSRC3_GFX90A:ACCUM_OFFSET: 0
; COMPUTE_PGM_RSRC3_GFX90A:TG_SPLIT: 0
	.section	.text._ZN7rocprim17ROCPRIM_400000_NS6detail17trampoline_kernelINS0_14default_configENS1_35radix_sort_onesweep_config_selectorIffEEZZNS1_29radix_sort_onesweep_iterationIS3_Lb0EN6thrust23THRUST_200600_302600_NS6detail15normal_iteratorINS8_10device_ptrIfEEEESD_SD_SD_jNS0_19identity_decomposerENS1_16block_id_wrapperIjLb0EEEEE10hipError_tT1_PNSt15iterator_traitsISI_E10value_typeET2_T3_PNSJ_ISO_E10value_typeET4_T5_PST_SU_PNS1_23onesweep_lookback_stateEbbT6_jjT7_P12ihipStream_tbENKUlT_T0_SI_SN_E_clISD_SD_SD_SD_EEDaS11_S12_SI_SN_EUlS11_E_NS1_11comp_targetILNS1_3genE8ELNS1_11target_archE1030ELNS1_3gpuE2ELNS1_3repE0EEENS1_47radix_sort_onesweep_sort_config_static_selectorELNS0_4arch9wavefront6targetE1EEEvSI_,"axG",@progbits,_ZN7rocprim17ROCPRIM_400000_NS6detail17trampoline_kernelINS0_14default_configENS1_35radix_sort_onesweep_config_selectorIffEEZZNS1_29radix_sort_onesweep_iterationIS3_Lb0EN6thrust23THRUST_200600_302600_NS6detail15normal_iteratorINS8_10device_ptrIfEEEESD_SD_SD_jNS0_19identity_decomposerENS1_16block_id_wrapperIjLb0EEEEE10hipError_tT1_PNSt15iterator_traitsISI_E10value_typeET2_T3_PNSJ_ISO_E10value_typeET4_T5_PST_SU_PNS1_23onesweep_lookback_stateEbbT6_jjT7_P12ihipStream_tbENKUlT_T0_SI_SN_E_clISD_SD_SD_SD_EEDaS11_S12_SI_SN_EUlS11_E_NS1_11comp_targetILNS1_3genE8ELNS1_11target_archE1030ELNS1_3gpuE2ELNS1_3repE0EEENS1_47radix_sort_onesweep_sort_config_static_selectorELNS0_4arch9wavefront6targetE1EEEvSI_,comdat
	.protected	_ZN7rocprim17ROCPRIM_400000_NS6detail17trampoline_kernelINS0_14default_configENS1_35radix_sort_onesweep_config_selectorIffEEZZNS1_29radix_sort_onesweep_iterationIS3_Lb0EN6thrust23THRUST_200600_302600_NS6detail15normal_iteratorINS8_10device_ptrIfEEEESD_SD_SD_jNS0_19identity_decomposerENS1_16block_id_wrapperIjLb0EEEEE10hipError_tT1_PNSt15iterator_traitsISI_E10value_typeET2_T3_PNSJ_ISO_E10value_typeET4_T5_PST_SU_PNS1_23onesweep_lookback_stateEbbT6_jjT7_P12ihipStream_tbENKUlT_T0_SI_SN_E_clISD_SD_SD_SD_EEDaS11_S12_SI_SN_EUlS11_E_NS1_11comp_targetILNS1_3genE8ELNS1_11target_archE1030ELNS1_3gpuE2ELNS1_3repE0EEENS1_47radix_sort_onesweep_sort_config_static_selectorELNS0_4arch9wavefront6targetE1EEEvSI_ ; -- Begin function _ZN7rocprim17ROCPRIM_400000_NS6detail17trampoline_kernelINS0_14default_configENS1_35radix_sort_onesweep_config_selectorIffEEZZNS1_29radix_sort_onesweep_iterationIS3_Lb0EN6thrust23THRUST_200600_302600_NS6detail15normal_iteratorINS8_10device_ptrIfEEEESD_SD_SD_jNS0_19identity_decomposerENS1_16block_id_wrapperIjLb0EEEEE10hipError_tT1_PNSt15iterator_traitsISI_E10value_typeET2_T3_PNSJ_ISO_E10value_typeET4_T5_PST_SU_PNS1_23onesweep_lookback_stateEbbT6_jjT7_P12ihipStream_tbENKUlT_T0_SI_SN_E_clISD_SD_SD_SD_EEDaS11_S12_SI_SN_EUlS11_E_NS1_11comp_targetILNS1_3genE8ELNS1_11target_archE1030ELNS1_3gpuE2ELNS1_3repE0EEENS1_47radix_sort_onesweep_sort_config_static_selectorELNS0_4arch9wavefront6targetE1EEEvSI_
	.globl	_ZN7rocprim17ROCPRIM_400000_NS6detail17trampoline_kernelINS0_14default_configENS1_35radix_sort_onesweep_config_selectorIffEEZZNS1_29radix_sort_onesweep_iterationIS3_Lb0EN6thrust23THRUST_200600_302600_NS6detail15normal_iteratorINS8_10device_ptrIfEEEESD_SD_SD_jNS0_19identity_decomposerENS1_16block_id_wrapperIjLb0EEEEE10hipError_tT1_PNSt15iterator_traitsISI_E10value_typeET2_T3_PNSJ_ISO_E10value_typeET4_T5_PST_SU_PNS1_23onesweep_lookback_stateEbbT6_jjT7_P12ihipStream_tbENKUlT_T0_SI_SN_E_clISD_SD_SD_SD_EEDaS11_S12_SI_SN_EUlS11_E_NS1_11comp_targetILNS1_3genE8ELNS1_11target_archE1030ELNS1_3gpuE2ELNS1_3repE0EEENS1_47radix_sort_onesweep_sort_config_static_selectorELNS0_4arch9wavefront6targetE1EEEvSI_
	.p2align	8
	.type	_ZN7rocprim17ROCPRIM_400000_NS6detail17trampoline_kernelINS0_14default_configENS1_35radix_sort_onesweep_config_selectorIffEEZZNS1_29radix_sort_onesweep_iterationIS3_Lb0EN6thrust23THRUST_200600_302600_NS6detail15normal_iteratorINS8_10device_ptrIfEEEESD_SD_SD_jNS0_19identity_decomposerENS1_16block_id_wrapperIjLb0EEEEE10hipError_tT1_PNSt15iterator_traitsISI_E10value_typeET2_T3_PNSJ_ISO_E10value_typeET4_T5_PST_SU_PNS1_23onesweep_lookback_stateEbbT6_jjT7_P12ihipStream_tbENKUlT_T0_SI_SN_E_clISD_SD_SD_SD_EEDaS11_S12_SI_SN_EUlS11_E_NS1_11comp_targetILNS1_3genE8ELNS1_11target_archE1030ELNS1_3gpuE2ELNS1_3repE0EEENS1_47radix_sort_onesweep_sort_config_static_selectorELNS0_4arch9wavefront6targetE1EEEvSI_,@function
_ZN7rocprim17ROCPRIM_400000_NS6detail17trampoline_kernelINS0_14default_configENS1_35radix_sort_onesweep_config_selectorIffEEZZNS1_29radix_sort_onesweep_iterationIS3_Lb0EN6thrust23THRUST_200600_302600_NS6detail15normal_iteratorINS8_10device_ptrIfEEEESD_SD_SD_jNS0_19identity_decomposerENS1_16block_id_wrapperIjLb0EEEEE10hipError_tT1_PNSt15iterator_traitsISI_E10value_typeET2_T3_PNSJ_ISO_E10value_typeET4_T5_PST_SU_PNS1_23onesweep_lookback_stateEbbT6_jjT7_P12ihipStream_tbENKUlT_T0_SI_SN_E_clISD_SD_SD_SD_EEDaS11_S12_SI_SN_EUlS11_E_NS1_11comp_targetILNS1_3genE8ELNS1_11target_archE1030ELNS1_3gpuE2ELNS1_3repE0EEENS1_47radix_sort_onesweep_sort_config_static_selectorELNS0_4arch9wavefront6targetE1EEEvSI_: ; @_ZN7rocprim17ROCPRIM_400000_NS6detail17trampoline_kernelINS0_14default_configENS1_35radix_sort_onesweep_config_selectorIffEEZZNS1_29radix_sort_onesweep_iterationIS3_Lb0EN6thrust23THRUST_200600_302600_NS6detail15normal_iteratorINS8_10device_ptrIfEEEESD_SD_SD_jNS0_19identity_decomposerENS1_16block_id_wrapperIjLb0EEEEE10hipError_tT1_PNSt15iterator_traitsISI_E10value_typeET2_T3_PNSJ_ISO_E10value_typeET4_T5_PST_SU_PNS1_23onesweep_lookback_stateEbbT6_jjT7_P12ihipStream_tbENKUlT_T0_SI_SN_E_clISD_SD_SD_SD_EEDaS11_S12_SI_SN_EUlS11_E_NS1_11comp_targetILNS1_3genE8ELNS1_11target_archE1030ELNS1_3gpuE2ELNS1_3repE0EEENS1_47radix_sort_onesweep_sort_config_static_selectorELNS0_4arch9wavefront6targetE1EEEvSI_
; %bb.0:
	.section	.rodata,"a",@progbits
	.p2align	6, 0x0
	.amdhsa_kernel _ZN7rocprim17ROCPRIM_400000_NS6detail17trampoline_kernelINS0_14default_configENS1_35radix_sort_onesweep_config_selectorIffEEZZNS1_29radix_sort_onesweep_iterationIS3_Lb0EN6thrust23THRUST_200600_302600_NS6detail15normal_iteratorINS8_10device_ptrIfEEEESD_SD_SD_jNS0_19identity_decomposerENS1_16block_id_wrapperIjLb0EEEEE10hipError_tT1_PNSt15iterator_traitsISI_E10value_typeET2_T3_PNSJ_ISO_E10value_typeET4_T5_PST_SU_PNS1_23onesweep_lookback_stateEbbT6_jjT7_P12ihipStream_tbENKUlT_T0_SI_SN_E_clISD_SD_SD_SD_EEDaS11_S12_SI_SN_EUlS11_E_NS1_11comp_targetILNS1_3genE8ELNS1_11target_archE1030ELNS1_3gpuE2ELNS1_3repE0EEENS1_47radix_sort_onesweep_sort_config_static_selectorELNS0_4arch9wavefront6targetE1EEEvSI_
		.amdhsa_group_segment_fixed_size 0
		.amdhsa_private_segment_fixed_size 0
		.amdhsa_kernarg_size 88
		.amdhsa_user_sgpr_count 2
		.amdhsa_user_sgpr_dispatch_ptr 0
		.amdhsa_user_sgpr_queue_ptr 0
		.amdhsa_user_sgpr_kernarg_segment_ptr 1
		.amdhsa_user_sgpr_dispatch_id 0
		.amdhsa_user_sgpr_kernarg_preload_length 0
		.amdhsa_user_sgpr_kernarg_preload_offset 0
		.amdhsa_user_sgpr_private_segment_size 0
		.amdhsa_uses_dynamic_stack 0
		.amdhsa_enable_private_segment 0
		.amdhsa_system_sgpr_workgroup_id_x 1
		.amdhsa_system_sgpr_workgroup_id_y 0
		.amdhsa_system_sgpr_workgroup_id_z 0
		.amdhsa_system_sgpr_workgroup_info 0
		.amdhsa_system_vgpr_workitem_id 0
		.amdhsa_next_free_vgpr 1
		.amdhsa_next_free_sgpr 0
		.amdhsa_accum_offset 4
		.amdhsa_reserve_vcc 0
		.amdhsa_float_round_mode_32 0
		.amdhsa_float_round_mode_16_64 0
		.amdhsa_float_denorm_mode_32 3
		.amdhsa_float_denorm_mode_16_64 3
		.amdhsa_dx10_clamp 1
		.amdhsa_ieee_mode 1
		.amdhsa_fp16_overflow 0
		.amdhsa_tg_split 0
		.amdhsa_exception_fp_ieee_invalid_op 0
		.amdhsa_exception_fp_denorm_src 0
		.amdhsa_exception_fp_ieee_div_zero 0
		.amdhsa_exception_fp_ieee_overflow 0
		.amdhsa_exception_fp_ieee_underflow 0
		.amdhsa_exception_fp_ieee_inexact 0
		.amdhsa_exception_int_div_zero 0
	.end_amdhsa_kernel
	.section	.text._ZN7rocprim17ROCPRIM_400000_NS6detail17trampoline_kernelINS0_14default_configENS1_35radix_sort_onesweep_config_selectorIffEEZZNS1_29radix_sort_onesweep_iterationIS3_Lb0EN6thrust23THRUST_200600_302600_NS6detail15normal_iteratorINS8_10device_ptrIfEEEESD_SD_SD_jNS0_19identity_decomposerENS1_16block_id_wrapperIjLb0EEEEE10hipError_tT1_PNSt15iterator_traitsISI_E10value_typeET2_T3_PNSJ_ISO_E10value_typeET4_T5_PST_SU_PNS1_23onesweep_lookback_stateEbbT6_jjT7_P12ihipStream_tbENKUlT_T0_SI_SN_E_clISD_SD_SD_SD_EEDaS11_S12_SI_SN_EUlS11_E_NS1_11comp_targetILNS1_3genE8ELNS1_11target_archE1030ELNS1_3gpuE2ELNS1_3repE0EEENS1_47radix_sort_onesweep_sort_config_static_selectorELNS0_4arch9wavefront6targetE1EEEvSI_,"axG",@progbits,_ZN7rocprim17ROCPRIM_400000_NS6detail17trampoline_kernelINS0_14default_configENS1_35radix_sort_onesweep_config_selectorIffEEZZNS1_29radix_sort_onesweep_iterationIS3_Lb0EN6thrust23THRUST_200600_302600_NS6detail15normal_iteratorINS8_10device_ptrIfEEEESD_SD_SD_jNS0_19identity_decomposerENS1_16block_id_wrapperIjLb0EEEEE10hipError_tT1_PNSt15iterator_traitsISI_E10value_typeET2_T3_PNSJ_ISO_E10value_typeET4_T5_PST_SU_PNS1_23onesweep_lookback_stateEbbT6_jjT7_P12ihipStream_tbENKUlT_T0_SI_SN_E_clISD_SD_SD_SD_EEDaS11_S12_SI_SN_EUlS11_E_NS1_11comp_targetILNS1_3genE8ELNS1_11target_archE1030ELNS1_3gpuE2ELNS1_3repE0EEENS1_47radix_sort_onesweep_sort_config_static_selectorELNS0_4arch9wavefront6targetE1EEEvSI_,comdat
.Lfunc_end340:
	.size	_ZN7rocprim17ROCPRIM_400000_NS6detail17trampoline_kernelINS0_14default_configENS1_35radix_sort_onesweep_config_selectorIffEEZZNS1_29radix_sort_onesweep_iterationIS3_Lb0EN6thrust23THRUST_200600_302600_NS6detail15normal_iteratorINS8_10device_ptrIfEEEESD_SD_SD_jNS0_19identity_decomposerENS1_16block_id_wrapperIjLb0EEEEE10hipError_tT1_PNSt15iterator_traitsISI_E10value_typeET2_T3_PNSJ_ISO_E10value_typeET4_T5_PST_SU_PNS1_23onesweep_lookback_stateEbbT6_jjT7_P12ihipStream_tbENKUlT_T0_SI_SN_E_clISD_SD_SD_SD_EEDaS11_S12_SI_SN_EUlS11_E_NS1_11comp_targetILNS1_3genE8ELNS1_11target_archE1030ELNS1_3gpuE2ELNS1_3repE0EEENS1_47radix_sort_onesweep_sort_config_static_selectorELNS0_4arch9wavefront6targetE1EEEvSI_, .Lfunc_end340-_ZN7rocprim17ROCPRIM_400000_NS6detail17trampoline_kernelINS0_14default_configENS1_35radix_sort_onesweep_config_selectorIffEEZZNS1_29radix_sort_onesweep_iterationIS3_Lb0EN6thrust23THRUST_200600_302600_NS6detail15normal_iteratorINS8_10device_ptrIfEEEESD_SD_SD_jNS0_19identity_decomposerENS1_16block_id_wrapperIjLb0EEEEE10hipError_tT1_PNSt15iterator_traitsISI_E10value_typeET2_T3_PNSJ_ISO_E10value_typeET4_T5_PST_SU_PNS1_23onesweep_lookback_stateEbbT6_jjT7_P12ihipStream_tbENKUlT_T0_SI_SN_E_clISD_SD_SD_SD_EEDaS11_S12_SI_SN_EUlS11_E_NS1_11comp_targetILNS1_3genE8ELNS1_11target_archE1030ELNS1_3gpuE2ELNS1_3repE0EEENS1_47radix_sort_onesweep_sort_config_static_selectorELNS0_4arch9wavefront6targetE1EEEvSI_
                                        ; -- End function
	.set _ZN7rocprim17ROCPRIM_400000_NS6detail17trampoline_kernelINS0_14default_configENS1_35radix_sort_onesweep_config_selectorIffEEZZNS1_29radix_sort_onesweep_iterationIS3_Lb0EN6thrust23THRUST_200600_302600_NS6detail15normal_iteratorINS8_10device_ptrIfEEEESD_SD_SD_jNS0_19identity_decomposerENS1_16block_id_wrapperIjLb0EEEEE10hipError_tT1_PNSt15iterator_traitsISI_E10value_typeET2_T3_PNSJ_ISO_E10value_typeET4_T5_PST_SU_PNS1_23onesweep_lookback_stateEbbT6_jjT7_P12ihipStream_tbENKUlT_T0_SI_SN_E_clISD_SD_SD_SD_EEDaS11_S12_SI_SN_EUlS11_E_NS1_11comp_targetILNS1_3genE8ELNS1_11target_archE1030ELNS1_3gpuE2ELNS1_3repE0EEENS1_47radix_sort_onesweep_sort_config_static_selectorELNS0_4arch9wavefront6targetE1EEEvSI_.num_vgpr, 0
	.set _ZN7rocprim17ROCPRIM_400000_NS6detail17trampoline_kernelINS0_14default_configENS1_35radix_sort_onesweep_config_selectorIffEEZZNS1_29radix_sort_onesweep_iterationIS3_Lb0EN6thrust23THRUST_200600_302600_NS6detail15normal_iteratorINS8_10device_ptrIfEEEESD_SD_SD_jNS0_19identity_decomposerENS1_16block_id_wrapperIjLb0EEEEE10hipError_tT1_PNSt15iterator_traitsISI_E10value_typeET2_T3_PNSJ_ISO_E10value_typeET4_T5_PST_SU_PNS1_23onesweep_lookback_stateEbbT6_jjT7_P12ihipStream_tbENKUlT_T0_SI_SN_E_clISD_SD_SD_SD_EEDaS11_S12_SI_SN_EUlS11_E_NS1_11comp_targetILNS1_3genE8ELNS1_11target_archE1030ELNS1_3gpuE2ELNS1_3repE0EEENS1_47radix_sort_onesweep_sort_config_static_selectorELNS0_4arch9wavefront6targetE1EEEvSI_.num_agpr, 0
	.set _ZN7rocprim17ROCPRIM_400000_NS6detail17trampoline_kernelINS0_14default_configENS1_35radix_sort_onesweep_config_selectorIffEEZZNS1_29radix_sort_onesweep_iterationIS3_Lb0EN6thrust23THRUST_200600_302600_NS6detail15normal_iteratorINS8_10device_ptrIfEEEESD_SD_SD_jNS0_19identity_decomposerENS1_16block_id_wrapperIjLb0EEEEE10hipError_tT1_PNSt15iterator_traitsISI_E10value_typeET2_T3_PNSJ_ISO_E10value_typeET4_T5_PST_SU_PNS1_23onesweep_lookback_stateEbbT6_jjT7_P12ihipStream_tbENKUlT_T0_SI_SN_E_clISD_SD_SD_SD_EEDaS11_S12_SI_SN_EUlS11_E_NS1_11comp_targetILNS1_3genE8ELNS1_11target_archE1030ELNS1_3gpuE2ELNS1_3repE0EEENS1_47radix_sort_onesweep_sort_config_static_selectorELNS0_4arch9wavefront6targetE1EEEvSI_.numbered_sgpr, 0
	.set _ZN7rocprim17ROCPRIM_400000_NS6detail17trampoline_kernelINS0_14default_configENS1_35radix_sort_onesweep_config_selectorIffEEZZNS1_29radix_sort_onesweep_iterationIS3_Lb0EN6thrust23THRUST_200600_302600_NS6detail15normal_iteratorINS8_10device_ptrIfEEEESD_SD_SD_jNS0_19identity_decomposerENS1_16block_id_wrapperIjLb0EEEEE10hipError_tT1_PNSt15iterator_traitsISI_E10value_typeET2_T3_PNSJ_ISO_E10value_typeET4_T5_PST_SU_PNS1_23onesweep_lookback_stateEbbT6_jjT7_P12ihipStream_tbENKUlT_T0_SI_SN_E_clISD_SD_SD_SD_EEDaS11_S12_SI_SN_EUlS11_E_NS1_11comp_targetILNS1_3genE8ELNS1_11target_archE1030ELNS1_3gpuE2ELNS1_3repE0EEENS1_47radix_sort_onesweep_sort_config_static_selectorELNS0_4arch9wavefront6targetE1EEEvSI_.num_named_barrier, 0
	.set _ZN7rocprim17ROCPRIM_400000_NS6detail17trampoline_kernelINS0_14default_configENS1_35radix_sort_onesweep_config_selectorIffEEZZNS1_29radix_sort_onesweep_iterationIS3_Lb0EN6thrust23THRUST_200600_302600_NS6detail15normal_iteratorINS8_10device_ptrIfEEEESD_SD_SD_jNS0_19identity_decomposerENS1_16block_id_wrapperIjLb0EEEEE10hipError_tT1_PNSt15iterator_traitsISI_E10value_typeET2_T3_PNSJ_ISO_E10value_typeET4_T5_PST_SU_PNS1_23onesweep_lookback_stateEbbT6_jjT7_P12ihipStream_tbENKUlT_T0_SI_SN_E_clISD_SD_SD_SD_EEDaS11_S12_SI_SN_EUlS11_E_NS1_11comp_targetILNS1_3genE8ELNS1_11target_archE1030ELNS1_3gpuE2ELNS1_3repE0EEENS1_47radix_sort_onesweep_sort_config_static_selectorELNS0_4arch9wavefront6targetE1EEEvSI_.private_seg_size, 0
	.set _ZN7rocprim17ROCPRIM_400000_NS6detail17trampoline_kernelINS0_14default_configENS1_35radix_sort_onesweep_config_selectorIffEEZZNS1_29radix_sort_onesweep_iterationIS3_Lb0EN6thrust23THRUST_200600_302600_NS6detail15normal_iteratorINS8_10device_ptrIfEEEESD_SD_SD_jNS0_19identity_decomposerENS1_16block_id_wrapperIjLb0EEEEE10hipError_tT1_PNSt15iterator_traitsISI_E10value_typeET2_T3_PNSJ_ISO_E10value_typeET4_T5_PST_SU_PNS1_23onesweep_lookback_stateEbbT6_jjT7_P12ihipStream_tbENKUlT_T0_SI_SN_E_clISD_SD_SD_SD_EEDaS11_S12_SI_SN_EUlS11_E_NS1_11comp_targetILNS1_3genE8ELNS1_11target_archE1030ELNS1_3gpuE2ELNS1_3repE0EEENS1_47radix_sort_onesweep_sort_config_static_selectorELNS0_4arch9wavefront6targetE1EEEvSI_.uses_vcc, 0
	.set _ZN7rocprim17ROCPRIM_400000_NS6detail17trampoline_kernelINS0_14default_configENS1_35radix_sort_onesweep_config_selectorIffEEZZNS1_29radix_sort_onesweep_iterationIS3_Lb0EN6thrust23THRUST_200600_302600_NS6detail15normal_iteratorINS8_10device_ptrIfEEEESD_SD_SD_jNS0_19identity_decomposerENS1_16block_id_wrapperIjLb0EEEEE10hipError_tT1_PNSt15iterator_traitsISI_E10value_typeET2_T3_PNSJ_ISO_E10value_typeET4_T5_PST_SU_PNS1_23onesweep_lookback_stateEbbT6_jjT7_P12ihipStream_tbENKUlT_T0_SI_SN_E_clISD_SD_SD_SD_EEDaS11_S12_SI_SN_EUlS11_E_NS1_11comp_targetILNS1_3genE8ELNS1_11target_archE1030ELNS1_3gpuE2ELNS1_3repE0EEENS1_47radix_sort_onesweep_sort_config_static_selectorELNS0_4arch9wavefront6targetE1EEEvSI_.uses_flat_scratch, 0
	.set _ZN7rocprim17ROCPRIM_400000_NS6detail17trampoline_kernelINS0_14default_configENS1_35radix_sort_onesweep_config_selectorIffEEZZNS1_29radix_sort_onesweep_iterationIS3_Lb0EN6thrust23THRUST_200600_302600_NS6detail15normal_iteratorINS8_10device_ptrIfEEEESD_SD_SD_jNS0_19identity_decomposerENS1_16block_id_wrapperIjLb0EEEEE10hipError_tT1_PNSt15iterator_traitsISI_E10value_typeET2_T3_PNSJ_ISO_E10value_typeET4_T5_PST_SU_PNS1_23onesweep_lookback_stateEbbT6_jjT7_P12ihipStream_tbENKUlT_T0_SI_SN_E_clISD_SD_SD_SD_EEDaS11_S12_SI_SN_EUlS11_E_NS1_11comp_targetILNS1_3genE8ELNS1_11target_archE1030ELNS1_3gpuE2ELNS1_3repE0EEENS1_47radix_sort_onesweep_sort_config_static_selectorELNS0_4arch9wavefront6targetE1EEEvSI_.has_dyn_sized_stack, 0
	.set _ZN7rocprim17ROCPRIM_400000_NS6detail17trampoline_kernelINS0_14default_configENS1_35radix_sort_onesweep_config_selectorIffEEZZNS1_29radix_sort_onesweep_iterationIS3_Lb0EN6thrust23THRUST_200600_302600_NS6detail15normal_iteratorINS8_10device_ptrIfEEEESD_SD_SD_jNS0_19identity_decomposerENS1_16block_id_wrapperIjLb0EEEEE10hipError_tT1_PNSt15iterator_traitsISI_E10value_typeET2_T3_PNSJ_ISO_E10value_typeET4_T5_PST_SU_PNS1_23onesweep_lookback_stateEbbT6_jjT7_P12ihipStream_tbENKUlT_T0_SI_SN_E_clISD_SD_SD_SD_EEDaS11_S12_SI_SN_EUlS11_E_NS1_11comp_targetILNS1_3genE8ELNS1_11target_archE1030ELNS1_3gpuE2ELNS1_3repE0EEENS1_47radix_sort_onesweep_sort_config_static_selectorELNS0_4arch9wavefront6targetE1EEEvSI_.has_recursion, 0
	.set _ZN7rocprim17ROCPRIM_400000_NS6detail17trampoline_kernelINS0_14default_configENS1_35radix_sort_onesweep_config_selectorIffEEZZNS1_29radix_sort_onesweep_iterationIS3_Lb0EN6thrust23THRUST_200600_302600_NS6detail15normal_iteratorINS8_10device_ptrIfEEEESD_SD_SD_jNS0_19identity_decomposerENS1_16block_id_wrapperIjLb0EEEEE10hipError_tT1_PNSt15iterator_traitsISI_E10value_typeET2_T3_PNSJ_ISO_E10value_typeET4_T5_PST_SU_PNS1_23onesweep_lookback_stateEbbT6_jjT7_P12ihipStream_tbENKUlT_T0_SI_SN_E_clISD_SD_SD_SD_EEDaS11_S12_SI_SN_EUlS11_E_NS1_11comp_targetILNS1_3genE8ELNS1_11target_archE1030ELNS1_3gpuE2ELNS1_3repE0EEENS1_47radix_sort_onesweep_sort_config_static_selectorELNS0_4arch9wavefront6targetE1EEEvSI_.has_indirect_call, 0
	.section	.AMDGPU.csdata,"",@progbits
; Kernel info:
; codeLenInByte = 0
; TotalNumSgprs: 6
; NumVgprs: 0
; NumAgprs: 0
; TotalNumVgprs: 0
; ScratchSize: 0
; MemoryBound: 0
; FloatMode: 240
; IeeeMode: 1
; LDSByteSize: 0 bytes/workgroup (compile time only)
; SGPRBlocks: 0
; VGPRBlocks: 0
; NumSGPRsForWavesPerEU: 6
; NumVGPRsForWavesPerEU: 1
; AccumOffset: 4
; Occupancy: 8
; WaveLimiterHint : 0
; COMPUTE_PGM_RSRC2:SCRATCH_EN: 0
; COMPUTE_PGM_RSRC2:USER_SGPR: 2
; COMPUTE_PGM_RSRC2:TRAP_HANDLER: 0
; COMPUTE_PGM_RSRC2:TGID_X_EN: 1
; COMPUTE_PGM_RSRC2:TGID_Y_EN: 0
; COMPUTE_PGM_RSRC2:TGID_Z_EN: 0
; COMPUTE_PGM_RSRC2:TIDIG_COMP_CNT: 0
; COMPUTE_PGM_RSRC3_GFX90A:ACCUM_OFFSET: 0
; COMPUTE_PGM_RSRC3_GFX90A:TG_SPLIT: 0
	.section	.text._ZN7rocprim17ROCPRIM_400000_NS6detail17trampoline_kernelINS0_14default_configENS1_35radix_sort_onesweep_config_selectorIffEEZZNS1_29radix_sort_onesweep_iterationIS3_Lb0EN6thrust23THRUST_200600_302600_NS6detail15normal_iteratorINS8_10device_ptrIfEEEESD_SD_SD_jNS0_19identity_decomposerENS1_16block_id_wrapperIjLb0EEEEE10hipError_tT1_PNSt15iterator_traitsISI_E10value_typeET2_T3_PNSJ_ISO_E10value_typeET4_T5_PST_SU_PNS1_23onesweep_lookback_stateEbbT6_jjT7_P12ihipStream_tbENKUlT_T0_SI_SN_E_clISD_PfSD_S15_EEDaS11_S12_SI_SN_EUlS11_E_NS1_11comp_targetILNS1_3genE0ELNS1_11target_archE4294967295ELNS1_3gpuE0ELNS1_3repE0EEENS1_47radix_sort_onesweep_sort_config_static_selectorELNS0_4arch9wavefront6targetE1EEEvSI_,"axG",@progbits,_ZN7rocprim17ROCPRIM_400000_NS6detail17trampoline_kernelINS0_14default_configENS1_35radix_sort_onesweep_config_selectorIffEEZZNS1_29radix_sort_onesweep_iterationIS3_Lb0EN6thrust23THRUST_200600_302600_NS6detail15normal_iteratorINS8_10device_ptrIfEEEESD_SD_SD_jNS0_19identity_decomposerENS1_16block_id_wrapperIjLb0EEEEE10hipError_tT1_PNSt15iterator_traitsISI_E10value_typeET2_T3_PNSJ_ISO_E10value_typeET4_T5_PST_SU_PNS1_23onesweep_lookback_stateEbbT6_jjT7_P12ihipStream_tbENKUlT_T0_SI_SN_E_clISD_PfSD_S15_EEDaS11_S12_SI_SN_EUlS11_E_NS1_11comp_targetILNS1_3genE0ELNS1_11target_archE4294967295ELNS1_3gpuE0ELNS1_3repE0EEENS1_47radix_sort_onesweep_sort_config_static_selectorELNS0_4arch9wavefront6targetE1EEEvSI_,comdat
	.protected	_ZN7rocprim17ROCPRIM_400000_NS6detail17trampoline_kernelINS0_14default_configENS1_35radix_sort_onesweep_config_selectorIffEEZZNS1_29radix_sort_onesweep_iterationIS3_Lb0EN6thrust23THRUST_200600_302600_NS6detail15normal_iteratorINS8_10device_ptrIfEEEESD_SD_SD_jNS0_19identity_decomposerENS1_16block_id_wrapperIjLb0EEEEE10hipError_tT1_PNSt15iterator_traitsISI_E10value_typeET2_T3_PNSJ_ISO_E10value_typeET4_T5_PST_SU_PNS1_23onesweep_lookback_stateEbbT6_jjT7_P12ihipStream_tbENKUlT_T0_SI_SN_E_clISD_PfSD_S15_EEDaS11_S12_SI_SN_EUlS11_E_NS1_11comp_targetILNS1_3genE0ELNS1_11target_archE4294967295ELNS1_3gpuE0ELNS1_3repE0EEENS1_47radix_sort_onesweep_sort_config_static_selectorELNS0_4arch9wavefront6targetE1EEEvSI_ ; -- Begin function _ZN7rocprim17ROCPRIM_400000_NS6detail17trampoline_kernelINS0_14default_configENS1_35radix_sort_onesweep_config_selectorIffEEZZNS1_29radix_sort_onesweep_iterationIS3_Lb0EN6thrust23THRUST_200600_302600_NS6detail15normal_iteratorINS8_10device_ptrIfEEEESD_SD_SD_jNS0_19identity_decomposerENS1_16block_id_wrapperIjLb0EEEEE10hipError_tT1_PNSt15iterator_traitsISI_E10value_typeET2_T3_PNSJ_ISO_E10value_typeET4_T5_PST_SU_PNS1_23onesweep_lookback_stateEbbT6_jjT7_P12ihipStream_tbENKUlT_T0_SI_SN_E_clISD_PfSD_S15_EEDaS11_S12_SI_SN_EUlS11_E_NS1_11comp_targetILNS1_3genE0ELNS1_11target_archE4294967295ELNS1_3gpuE0ELNS1_3repE0EEENS1_47radix_sort_onesweep_sort_config_static_selectorELNS0_4arch9wavefront6targetE1EEEvSI_
	.globl	_ZN7rocprim17ROCPRIM_400000_NS6detail17trampoline_kernelINS0_14default_configENS1_35radix_sort_onesweep_config_selectorIffEEZZNS1_29radix_sort_onesweep_iterationIS3_Lb0EN6thrust23THRUST_200600_302600_NS6detail15normal_iteratorINS8_10device_ptrIfEEEESD_SD_SD_jNS0_19identity_decomposerENS1_16block_id_wrapperIjLb0EEEEE10hipError_tT1_PNSt15iterator_traitsISI_E10value_typeET2_T3_PNSJ_ISO_E10value_typeET4_T5_PST_SU_PNS1_23onesweep_lookback_stateEbbT6_jjT7_P12ihipStream_tbENKUlT_T0_SI_SN_E_clISD_PfSD_S15_EEDaS11_S12_SI_SN_EUlS11_E_NS1_11comp_targetILNS1_3genE0ELNS1_11target_archE4294967295ELNS1_3gpuE0ELNS1_3repE0EEENS1_47radix_sort_onesweep_sort_config_static_selectorELNS0_4arch9wavefront6targetE1EEEvSI_
	.p2align	8
	.type	_ZN7rocprim17ROCPRIM_400000_NS6detail17trampoline_kernelINS0_14default_configENS1_35radix_sort_onesweep_config_selectorIffEEZZNS1_29radix_sort_onesweep_iterationIS3_Lb0EN6thrust23THRUST_200600_302600_NS6detail15normal_iteratorINS8_10device_ptrIfEEEESD_SD_SD_jNS0_19identity_decomposerENS1_16block_id_wrapperIjLb0EEEEE10hipError_tT1_PNSt15iterator_traitsISI_E10value_typeET2_T3_PNSJ_ISO_E10value_typeET4_T5_PST_SU_PNS1_23onesweep_lookback_stateEbbT6_jjT7_P12ihipStream_tbENKUlT_T0_SI_SN_E_clISD_PfSD_S15_EEDaS11_S12_SI_SN_EUlS11_E_NS1_11comp_targetILNS1_3genE0ELNS1_11target_archE4294967295ELNS1_3gpuE0ELNS1_3repE0EEENS1_47radix_sort_onesweep_sort_config_static_selectorELNS0_4arch9wavefront6targetE1EEEvSI_,@function
_ZN7rocprim17ROCPRIM_400000_NS6detail17trampoline_kernelINS0_14default_configENS1_35radix_sort_onesweep_config_selectorIffEEZZNS1_29radix_sort_onesweep_iterationIS3_Lb0EN6thrust23THRUST_200600_302600_NS6detail15normal_iteratorINS8_10device_ptrIfEEEESD_SD_SD_jNS0_19identity_decomposerENS1_16block_id_wrapperIjLb0EEEEE10hipError_tT1_PNSt15iterator_traitsISI_E10value_typeET2_T3_PNSJ_ISO_E10value_typeET4_T5_PST_SU_PNS1_23onesweep_lookback_stateEbbT6_jjT7_P12ihipStream_tbENKUlT_T0_SI_SN_E_clISD_PfSD_S15_EEDaS11_S12_SI_SN_EUlS11_E_NS1_11comp_targetILNS1_3genE0ELNS1_11target_archE4294967295ELNS1_3gpuE0ELNS1_3repE0EEENS1_47radix_sort_onesweep_sort_config_static_selectorELNS0_4arch9wavefront6targetE1EEEvSI_: ; @_ZN7rocprim17ROCPRIM_400000_NS6detail17trampoline_kernelINS0_14default_configENS1_35radix_sort_onesweep_config_selectorIffEEZZNS1_29radix_sort_onesweep_iterationIS3_Lb0EN6thrust23THRUST_200600_302600_NS6detail15normal_iteratorINS8_10device_ptrIfEEEESD_SD_SD_jNS0_19identity_decomposerENS1_16block_id_wrapperIjLb0EEEEE10hipError_tT1_PNSt15iterator_traitsISI_E10value_typeET2_T3_PNSJ_ISO_E10value_typeET4_T5_PST_SU_PNS1_23onesweep_lookback_stateEbbT6_jjT7_P12ihipStream_tbENKUlT_T0_SI_SN_E_clISD_PfSD_S15_EEDaS11_S12_SI_SN_EUlS11_E_NS1_11comp_targetILNS1_3genE0ELNS1_11target_archE4294967295ELNS1_3gpuE0ELNS1_3repE0EEENS1_47radix_sort_onesweep_sort_config_static_selectorELNS0_4arch9wavefront6targetE1EEEvSI_
; %bb.0:
	.section	.rodata,"a",@progbits
	.p2align	6, 0x0
	.amdhsa_kernel _ZN7rocprim17ROCPRIM_400000_NS6detail17trampoline_kernelINS0_14default_configENS1_35radix_sort_onesweep_config_selectorIffEEZZNS1_29radix_sort_onesweep_iterationIS3_Lb0EN6thrust23THRUST_200600_302600_NS6detail15normal_iteratorINS8_10device_ptrIfEEEESD_SD_SD_jNS0_19identity_decomposerENS1_16block_id_wrapperIjLb0EEEEE10hipError_tT1_PNSt15iterator_traitsISI_E10value_typeET2_T3_PNSJ_ISO_E10value_typeET4_T5_PST_SU_PNS1_23onesweep_lookback_stateEbbT6_jjT7_P12ihipStream_tbENKUlT_T0_SI_SN_E_clISD_PfSD_S15_EEDaS11_S12_SI_SN_EUlS11_E_NS1_11comp_targetILNS1_3genE0ELNS1_11target_archE4294967295ELNS1_3gpuE0ELNS1_3repE0EEENS1_47radix_sort_onesweep_sort_config_static_selectorELNS0_4arch9wavefront6targetE1EEEvSI_
		.amdhsa_group_segment_fixed_size 0
		.amdhsa_private_segment_fixed_size 0
		.amdhsa_kernarg_size 88
		.amdhsa_user_sgpr_count 2
		.amdhsa_user_sgpr_dispatch_ptr 0
		.amdhsa_user_sgpr_queue_ptr 0
		.amdhsa_user_sgpr_kernarg_segment_ptr 1
		.amdhsa_user_sgpr_dispatch_id 0
		.amdhsa_user_sgpr_kernarg_preload_length 0
		.amdhsa_user_sgpr_kernarg_preload_offset 0
		.amdhsa_user_sgpr_private_segment_size 0
		.amdhsa_uses_dynamic_stack 0
		.amdhsa_enable_private_segment 0
		.amdhsa_system_sgpr_workgroup_id_x 1
		.amdhsa_system_sgpr_workgroup_id_y 0
		.amdhsa_system_sgpr_workgroup_id_z 0
		.amdhsa_system_sgpr_workgroup_info 0
		.amdhsa_system_vgpr_workitem_id 0
		.amdhsa_next_free_vgpr 1
		.amdhsa_next_free_sgpr 0
		.amdhsa_accum_offset 4
		.amdhsa_reserve_vcc 0
		.amdhsa_float_round_mode_32 0
		.amdhsa_float_round_mode_16_64 0
		.amdhsa_float_denorm_mode_32 3
		.amdhsa_float_denorm_mode_16_64 3
		.amdhsa_dx10_clamp 1
		.amdhsa_ieee_mode 1
		.amdhsa_fp16_overflow 0
		.amdhsa_tg_split 0
		.amdhsa_exception_fp_ieee_invalid_op 0
		.amdhsa_exception_fp_denorm_src 0
		.amdhsa_exception_fp_ieee_div_zero 0
		.amdhsa_exception_fp_ieee_overflow 0
		.amdhsa_exception_fp_ieee_underflow 0
		.amdhsa_exception_fp_ieee_inexact 0
		.amdhsa_exception_int_div_zero 0
	.end_amdhsa_kernel
	.section	.text._ZN7rocprim17ROCPRIM_400000_NS6detail17trampoline_kernelINS0_14default_configENS1_35radix_sort_onesweep_config_selectorIffEEZZNS1_29radix_sort_onesweep_iterationIS3_Lb0EN6thrust23THRUST_200600_302600_NS6detail15normal_iteratorINS8_10device_ptrIfEEEESD_SD_SD_jNS0_19identity_decomposerENS1_16block_id_wrapperIjLb0EEEEE10hipError_tT1_PNSt15iterator_traitsISI_E10value_typeET2_T3_PNSJ_ISO_E10value_typeET4_T5_PST_SU_PNS1_23onesweep_lookback_stateEbbT6_jjT7_P12ihipStream_tbENKUlT_T0_SI_SN_E_clISD_PfSD_S15_EEDaS11_S12_SI_SN_EUlS11_E_NS1_11comp_targetILNS1_3genE0ELNS1_11target_archE4294967295ELNS1_3gpuE0ELNS1_3repE0EEENS1_47radix_sort_onesweep_sort_config_static_selectorELNS0_4arch9wavefront6targetE1EEEvSI_,"axG",@progbits,_ZN7rocprim17ROCPRIM_400000_NS6detail17trampoline_kernelINS0_14default_configENS1_35radix_sort_onesweep_config_selectorIffEEZZNS1_29radix_sort_onesweep_iterationIS3_Lb0EN6thrust23THRUST_200600_302600_NS6detail15normal_iteratorINS8_10device_ptrIfEEEESD_SD_SD_jNS0_19identity_decomposerENS1_16block_id_wrapperIjLb0EEEEE10hipError_tT1_PNSt15iterator_traitsISI_E10value_typeET2_T3_PNSJ_ISO_E10value_typeET4_T5_PST_SU_PNS1_23onesweep_lookback_stateEbbT6_jjT7_P12ihipStream_tbENKUlT_T0_SI_SN_E_clISD_PfSD_S15_EEDaS11_S12_SI_SN_EUlS11_E_NS1_11comp_targetILNS1_3genE0ELNS1_11target_archE4294967295ELNS1_3gpuE0ELNS1_3repE0EEENS1_47radix_sort_onesweep_sort_config_static_selectorELNS0_4arch9wavefront6targetE1EEEvSI_,comdat
.Lfunc_end341:
	.size	_ZN7rocprim17ROCPRIM_400000_NS6detail17trampoline_kernelINS0_14default_configENS1_35radix_sort_onesweep_config_selectorIffEEZZNS1_29radix_sort_onesweep_iterationIS3_Lb0EN6thrust23THRUST_200600_302600_NS6detail15normal_iteratorINS8_10device_ptrIfEEEESD_SD_SD_jNS0_19identity_decomposerENS1_16block_id_wrapperIjLb0EEEEE10hipError_tT1_PNSt15iterator_traitsISI_E10value_typeET2_T3_PNSJ_ISO_E10value_typeET4_T5_PST_SU_PNS1_23onesweep_lookback_stateEbbT6_jjT7_P12ihipStream_tbENKUlT_T0_SI_SN_E_clISD_PfSD_S15_EEDaS11_S12_SI_SN_EUlS11_E_NS1_11comp_targetILNS1_3genE0ELNS1_11target_archE4294967295ELNS1_3gpuE0ELNS1_3repE0EEENS1_47radix_sort_onesweep_sort_config_static_selectorELNS0_4arch9wavefront6targetE1EEEvSI_, .Lfunc_end341-_ZN7rocprim17ROCPRIM_400000_NS6detail17trampoline_kernelINS0_14default_configENS1_35radix_sort_onesweep_config_selectorIffEEZZNS1_29radix_sort_onesweep_iterationIS3_Lb0EN6thrust23THRUST_200600_302600_NS6detail15normal_iteratorINS8_10device_ptrIfEEEESD_SD_SD_jNS0_19identity_decomposerENS1_16block_id_wrapperIjLb0EEEEE10hipError_tT1_PNSt15iterator_traitsISI_E10value_typeET2_T3_PNSJ_ISO_E10value_typeET4_T5_PST_SU_PNS1_23onesweep_lookback_stateEbbT6_jjT7_P12ihipStream_tbENKUlT_T0_SI_SN_E_clISD_PfSD_S15_EEDaS11_S12_SI_SN_EUlS11_E_NS1_11comp_targetILNS1_3genE0ELNS1_11target_archE4294967295ELNS1_3gpuE0ELNS1_3repE0EEENS1_47radix_sort_onesweep_sort_config_static_selectorELNS0_4arch9wavefront6targetE1EEEvSI_
                                        ; -- End function
	.set _ZN7rocprim17ROCPRIM_400000_NS6detail17trampoline_kernelINS0_14default_configENS1_35radix_sort_onesweep_config_selectorIffEEZZNS1_29radix_sort_onesweep_iterationIS3_Lb0EN6thrust23THRUST_200600_302600_NS6detail15normal_iteratorINS8_10device_ptrIfEEEESD_SD_SD_jNS0_19identity_decomposerENS1_16block_id_wrapperIjLb0EEEEE10hipError_tT1_PNSt15iterator_traitsISI_E10value_typeET2_T3_PNSJ_ISO_E10value_typeET4_T5_PST_SU_PNS1_23onesweep_lookback_stateEbbT6_jjT7_P12ihipStream_tbENKUlT_T0_SI_SN_E_clISD_PfSD_S15_EEDaS11_S12_SI_SN_EUlS11_E_NS1_11comp_targetILNS1_3genE0ELNS1_11target_archE4294967295ELNS1_3gpuE0ELNS1_3repE0EEENS1_47radix_sort_onesweep_sort_config_static_selectorELNS0_4arch9wavefront6targetE1EEEvSI_.num_vgpr, 0
	.set _ZN7rocprim17ROCPRIM_400000_NS6detail17trampoline_kernelINS0_14default_configENS1_35radix_sort_onesweep_config_selectorIffEEZZNS1_29radix_sort_onesweep_iterationIS3_Lb0EN6thrust23THRUST_200600_302600_NS6detail15normal_iteratorINS8_10device_ptrIfEEEESD_SD_SD_jNS0_19identity_decomposerENS1_16block_id_wrapperIjLb0EEEEE10hipError_tT1_PNSt15iterator_traitsISI_E10value_typeET2_T3_PNSJ_ISO_E10value_typeET4_T5_PST_SU_PNS1_23onesweep_lookback_stateEbbT6_jjT7_P12ihipStream_tbENKUlT_T0_SI_SN_E_clISD_PfSD_S15_EEDaS11_S12_SI_SN_EUlS11_E_NS1_11comp_targetILNS1_3genE0ELNS1_11target_archE4294967295ELNS1_3gpuE0ELNS1_3repE0EEENS1_47radix_sort_onesweep_sort_config_static_selectorELNS0_4arch9wavefront6targetE1EEEvSI_.num_agpr, 0
	.set _ZN7rocprim17ROCPRIM_400000_NS6detail17trampoline_kernelINS0_14default_configENS1_35radix_sort_onesweep_config_selectorIffEEZZNS1_29radix_sort_onesweep_iterationIS3_Lb0EN6thrust23THRUST_200600_302600_NS6detail15normal_iteratorINS8_10device_ptrIfEEEESD_SD_SD_jNS0_19identity_decomposerENS1_16block_id_wrapperIjLb0EEEEE10hipError_tT1_PNSt15iterator_traitsISI_E10value_typeET2_T3_PNSJ_ISO_E10value_typeET4_T5_PST_SU_PNS1_23onesweep_lookback_stateEbbT6_jjT7_P12ihipStream_tbENKUlT_T0_SI_SN_E_clISD_PfSD_S15_EEDaS11_S12_SI_SN_EUlS11_E_NS1_11comp_targetILNS1_3genE0ELNS1_11target_archE4294967295ELNS1_3gpuE0ELNS1_3repE0EEENS1_47radix_sort_onesweep_sort_config_static_selectorELNS0_4arch9wavefront6targetE1EEEvSI_.numbered_sgpr, 0
	.set _ZN7rocprim17ROCPRIM_400000_NS6detail17trampoline_kernelINS0_14default_configENS1_35radix_sort_onesweep_config_selectorIffEEZZNS1_29radix_sort_onesweep_iterationIS3_Lb0EN6thrust23THRUST_200600_302600_NS6detail15normal_iteratorINS8_10device_ptrIfEEEESD_SD_SD_jNS0_19identity_decomposerENS1_16block_id_wrapperIjLb0EEEEE10hipError_tT1_PNSt15iterator_traitsISI_E10value_typeET2_T3_PNSJ_ISO_E10value_typeET4_T5_PST_SU_PNS1_23onesweep_lookback_stateEbbT6_jjT7_P12ihipStream_tbENKUlT_T0_SI_SN_E_clISD_PfSD_S15_EEDaS11_S12_SI_SN_EUlS11_E_NS1_11comp_targetILNS1_3genE0ELNS1_11target_archE4294967295ELNS1_3gpuE0ELNS1_3repE0EEENS1_47radix_sort_onesweep_sort_config_static_selectorELNS0_4arch9wavefront6targetE1EEEvSI_.num_named_barrier, 0
	.set _ZN7rocprim17ROCPRIM_400000_NS6detail17trampoline_kernelINS0_14default_configENS1_35radix_sort_onesweep_config_selectorIffEEZZNS1_29radix_sort_onesweep_iterationIS3_Lb0EN6thrust23THRUST_200600_302600_NS6detail15normal_iteratorINS8_10device_ptrIfEEEESD_SD_SD_jNS0_19identity_decomposerENS1_16block_id_wrapperIjLb0EEEEE10hipError_tT1_PNSt15iterator_traitsISI_E10value_typeET2_T3_PNSJ_ISO_E10value_typeET4_T5_PST_SU_PNS1_23onesweep_lookback_stateEbbT6_jjT7_P12ihipStream_tbENKUlT_T0_SI_SN_E_clISD_PfSD_S15_EEDaS11_S12_SI_SN_EUlS11_E_NS1_11comp_targetILNS1_3genE0ELNS1_11target_archE4294967295ELNS1_3gpuE0ELNS1_3repE0EEENS1_47radix_sort_onesweep_sort_config_static_selectorELNS0_4arch9wavefront6targetE1EEEvSI_.private_seg_size, 0
	.set _ZN7rocprim17ROCPRIM_400000_NS6detail17trampoline_kernelINS0_14default_configENS1_35radix_sort_onesweep_config_selectorIffEEZZNS1_29radix_sort_onesweep_iterationIS3_Lb0EN6thrust23THRUST_200600_302600_NS6detail15normal_iteratorINS8_10device_ptrIfEEEESD_SD_SD_jNS0_19identity_decomposerENS1_16block_id_wrapperIjLb0EEEEE10hipError_tT1_PNSt15iterator_traitsISI_E10value_typeET2_T3_PNSJ_ISO_E10value_typeET4_T5_PST_SU_PNS1_23onesweep_lookback_stateEbbT6_jjT7_P12ihipStream_tbENKUlT_T0_SI_SN_E_clISD_PfSD_S15_EEDaS11_S12_SI_SN_EUlS11_E_NS1_11comp_targetILNS1_3genE0ELNS1_11target_archE4294967295ELNS1_3gpuE0ELNS1_3repE0EEENS1_47radix_sort_onesweep_sort_config_static_selectorELNS0_4arch9wavefront6targetE1EEEvSI_.uses_vcc, 0
	.set _ZN7rocprim17ROCPRIM_400000_NS6detail17trampoline_kernelINS0_14default_configENS1_35radix_sort_onesweep_config_selectorIffEEZZNS1_29radix_sort_onesweep_iterationIS3_Lb0EN6thrust23THRUST_200600_302600_NS6detail15normal_iteratorINS8_10device_ptrIfEEEESD_SD_SD_jNS0_19identity_decomposerENS1_16block_id_wrapperIjLb0EEEEE10hipError_tT1_PNSt15iterator_traitsISI_E10value_typeET2_T3_PNSJ_ISO_E10value_typeET4_T5_PST_SU_PNS1_23onesweep_lookback_stateEbbT6_jjT7_P12ihipStream_tbENKUlT_T0_SI_SN_E_clISD_PfSD_S15_EEDaS11_S12_SI_SN_EUlS11_E_NS1_11comp_targetILNS1_3genE0ELNS1_11target_archE4294967295ELNS1_3gpuE0ELNS1_3repE0EEENS1_47radix_sort_onesweep_sort_config_static_selectorELNS0_4arch9wavefront6targetE1EEEvSI_.uses_flat_scratch, 0
	.set _ZN7rocprim17ROCPRIM_400000_NS6detail17trampoline_kernelINS0_14default_configENS1_35radix_sort_onesweep_config_selectorIffEEZZNS1_29radix_sort_onesweep_iterationIS3_Lb0EN6thrust23THRUST_200600_302600_NS6detail15normal_iteratorINS8_10device_ptrIfEEEESD_SD_SD_jNS0_19identity_decomposerENS1_16block_id_wrapperIjLb0EEEEE10hipError_tT1_PNSt15iterator_traitsISI_E10value_typeET2_T3_PNSJ_ISO_E10value_typeET4_T5_PST_SU_PNS1_23onesweep_lookback_stateEbbT6_jjT7_P12ihipStream_tbENKUlT_T0_SI_SN_E_clISD_PfSD_S15_EEDaS11_S12_SI_SN_EUlS11_E_NS1_11comp_targetILNS1_3genE0ELNS1_11target_archE4294967295ELNS1_3gpuE0ELNS1_3repE0EEENS1_47radix_sort_onesweep_sort_config_static_selectorELNS0_4arch9wavefront6targetE1EEEvSI_.has_dyn_sized_stack, 0
	.set _ZN7rocprim17ROCPRIM_400000_NS6detail17trampoline_kernelINS0_14default_configENS1_35radix_sort_onesweep_config_selectorIffEEZZNS1_29radix_sort_onesweep_iterationIS3_Lb0EN6thrust23THRUST_200600_302600_NS6detail15normal_iteratorINS8_10device_ptrIfEEEESD_SD_SD_jNS0_19identity_decomposerENS1_16block_id_wrapperIjLb0EEEEE10hipError_tT1_PNSt15iterator_traitsISI_E10value_typeET2_T3_PNSJ_ISO_E10value_typeET4_T5_PST_SU_PNS1_23onesweep_lookback_stateEbbT6_jjT7_P12ihipStream_tbENKUlT_T0_SI_SN_E_clISD_PfSD_S15_EEDaS11_S12_SI_SN_EUlS11_E_NS1_11comp_targetILNS1_3genE0ELNS1_11target_archE4294967295ELNS1_3gpuE0ELNS1_3repE0EEENS1_47radix_sort_onesweep_sort_config_static_selectorELNS0_4arch9wavefront6targetE1EEEvSI_.has_recursion, 0
	.set _ZN7rocprim17ROCPRIM_400000_NS6detail17trampoline_kernelINS0_14default_configENS1_35radix_sort_onesweep_config_selectorIffEEZZNS1_29radix_sort_onesweep_iterationIS3_Lb0EN6thrust23THRUST_200600_302600_NS6detail15normal_iteratorINS8_10device_ptrIfEEEESD_SD_SD_jNS0_19identity_decomposerENS1_16block_id_wrapperIjLb0EEEEE10hipError_tT1_PNSt15iterator_traitsISI_E10value_typeET2_T3_PNSJ_ISO_E10value_typeET4_T5_PST_SU_PNS1_23onesweep_lookback_stateEbbT6_jjT7_P12ihipStream_tbENKUlT_T0_SI_SN_E_clISD_PfSD_S15_EEDaS11_S12_SI_SN_EUlS11_E_NS1_11comp_targetILNS1_3genE0ELNS1_11target_archE4294967295ELNS1_3gpuE0ELNS1_3repE0EEENS1_47radix_sort_onesweep_sort_config_static_selectorELNS0_4arch9wavefront6targetE1EEEvSI_.has_indirect_call, 0
	.section	.AMDGPU.csdata,"",@progbits
; Kernel info:
; codeLenInByte = 0
; TotalNumSgprs: 6
; NumVgprs: 0
; NumAgprs: 0
; TotalNumVgprs: 0
; ScratchSize: 0
; MemoryBound: 0
; FloatMode: 240
; IeeeMode: 1
; LDSByteSize: 0 bytes/workgroup (compile time only)
; SGPRBlocks: 0
; VGPRBlocks: 0
; NumSGPRsForWavesPerEU: 6
; NumVGPRsForWavesPerEU: 1
; AccumOffset: 4
; Occupancy: 8
; WaveLimiterHint : 0
; COMPUTE_PGM_RSRC2:SCRATCH_EN: 0
; COMPUTE_PGM_RSRC2:USER_SGPR: 2
; COMPUTE_PGM_RSRC2:TRAP_HANDLER: 0
; COMPUTE_PGM_RSRC2:TGID_X_EN: 1
; COMPUTE_PGM_RSRC2:TGID_Y_EN: 0
; COMPUTE_PGM_RSRC2:TGID_Z_EN: 0
; COMPUTE_PGM_RSRC2:TIDIG_COMP_CNT: 0
; COMPUTE_PGM_RSRC3_GFX90A:ACCUM_OFFSET: 0
; COMPUTE_PGM_RSRC3_GFX90A:TG_SPLIT: 0
	.section	.text._ZN7rocprim17ROCPRIM_400000_NS6detail17trampoline_kernelINS0_14default_configENS1_35radix_sort_onesweep_config_selectorIffEEZZNS1_29radix_sort_onesweep_iterationIS3_Lb0EN6thrust23THRUST_200600_302600_NS6detail15normal_iteratorINS8_10device_ptrIfEEEESD_SD_SD_jNS0_19identity_decomposerENS1_16block_id_wrapperIjLb0EEEEE10hipError_tT1_PNSt15iterator_traitsISI_E10value_typeET2_T3_PNSJ_ISO_E10value_typeET4_T5_PST_SU_PNS1_23onesweep_lookback_stateEbbT6_jjT7_P12ihipStream_tbENKUlT_T0_SI_SN_E_clISD_PfSD_S15_EEDaS11_S12_SI_SN_EUlS11_E_NS1_11comp_targetILNS1_3genE6ELNS1_11target_archE950ELNS1_3gpuE13ELNS1_3repE0EEENS1_47radix_sort_onesweep_sort_config_static_selectorELNS0_4arch9wavefront6targetE1EEEvSI_,"axG",@progbits,_ZN7rocprim17ROCPRIM_400000_NS6detail17trampoline_kernelINS0_14default_configENS1_35radix_sort_onesweep_config_selectorIffEEZZNS1_29radix_sort_onesweep_iterationIS3_Lb0EN6thrust23THRUST_200600_302600_NS6detail15normal_iteratorINS8_10device_ptrIfEEEESD_SD_SD_jNS0_19identity_decomposerENS1_16block_id_wrapperIjLb0EEEEE10hipError_tT1_PNSt15iterator_traitsISI_E10value_typeET2_T3_PNSJ_ISO_E10value_typeET4_T5_PST_SU_PNS1_23onesweep_lookback_stateEbbT6_jjT7_P12ihipStream_tbENKUlT_T0_SI_SN_E_clISD_PfSD_S15_EEDaS11_S12_SI_SN_EUlS11_E_NS1_11comp_targetILNS1_3genE6ELNS1_11target_archE950ELNS1_3gpuE13ELNS1_3repE0EEENS1_47radix_sort_onesweep_sort_config_static_selectorELNS0_4arch9wavefront6targetE1EEEvSI_,comdat
	.protected	_ZN7rocprim17ROCPRIM_400000_NS6detail17trampoline_kernelINS0_14default_configENS1_35radix_sort_onesweep_config_selectorIffEEZZNS1_29radix_sort_onesweep_iterationIS3_Lb0EN6thrust23THRUST_200600_302600_NS6detail15normal_iteratorINS8_10device_ptrIfEEEESD_SD_SD_jNS0_19identity_decomposerENS1_16block_id_wrapperIjLb0EEEEE10hipError_tT1_PNSt15iterator_traitsISI_E10value_typeET2_T3_PNSJ_ISO_E10value_typeET4_T5_PST_SU_PNS1_23onesweep_lookback_stateEbbT6_jjT7_P12ihipStream_tbENKUlT_T0_SI_SN_E_clISD_PfSD_S15_EEDaS11_S12_SI_SN_EUlS11_E_NS1_11comp_targetILNS1_3genE6ELNS1_11target_archE950ELNS1_3gpuE13ELNS1_3repE0EEENS1_47radix_sort_onesweep_sort_config_static_selectorELNS0_4arch9wavefront6targetE1EEEvSI_ ; -- Begin function _ZN7rocprim17ROCPRIM_400000_NS6detail17trampoline_kernelINS0_14default_configENS1_35radix_sort_onesweep_config_selectorIffEEZZNS1_29radix_sort_onesweep_iterationIS3_Lb0EN6thrust23THRUST_200600_302600_NS6detail15normal_iteratorINS8_10device_ptrIfEEEESD_SD_SD_jNS0_19identity_decomposerENS1_16block_id_wrapperIjLb0EEEEE10hipError_tT1_PNSt15iterator_traitsISI_E10value_typeET2_T3_PNSJ_ISO_E10value_typeET4_T5_PST_SU_PNS1_23onesweep_lookback_stateEbbT6_jjT7_P12ihipStream_tbENKUlT_T0_SI_SN_E_clISD_PfSD_S15_EEDaS11_S12_SI_SN_EUlS11_E_NS1_11comp_targetILNS1_3genE6ELNS1_11target_archE950ELNS1_3gpuE13ELNS1_3repE0EEENS1_47radix_sort_onesweep_sort_config_static_selectorELNS0_4arch9wavefront6targetE1EEEvSI_
	.globl	_ZN7rocprim17ROCPRIM_400000_NS6detail17trampoline_kernelINS0_14default_configENS1_35radix_sort_onesweep_config_selectorIffEEZZNS1_29radix_sort_onesweep_iterationIS3_Lb0EN6thrust23THRUST_200600_302600_NS6detail15normal_iteratorINS8_10device_ptrIfEEEESD_SD_SD_jNS0_19identity_decomposerENS1_16block_id_wrapperIjLb0EEEEE10hipError_tT1_PNSt15iterator_traitsISI_E10value_typeET2_T3_PNSJ_ISO_E10value_typeET4_T5_PST_SU_PNS1_23onesweep_lookback_stateEbbT6_jjT7_P12ihipStream_tbENKUlT_T0_SI_SN_E_clISD_PfSD_S15_EEDaS11_S12_SI_SN_EUlS11_E_NS1_11comp_targetILNS1_3genE6ELNS1_11target_archE950ELNS1_3gpuE13ELNS1_3repE0EEENS1_47radix_sort_onesweep_sort_config_static_selectorELNS0_4arch9wavefront6targetE1EEEvSI_
	.p2align	8
	.type	_ZN7rocprim17ROCPRIM_400000_NS6detail17trampoline_kernelINS0_14default_configENS1_35radix_sort_onesweep_config_selectorIffEEZZNS1_29radix_sort_onesweep_iterationIS3_Lb0EN6thrust23THRUST_200600_302600_NS6detail15normal_iteratorINS8_10device_ptrIfEEEESD_SD_SD_jNS0_19identity_decomposerENS1_16block_id_wrapperIjLb0EEEEE10hipError_tT1_PNSt15iterator_traitsISI_E10value_typeET2_T3_PNSJ_ISO_E10value_typeET4_T5_PST_SU_PNS1_23onesweep_lookback_stateEbbT6_jjT7_P12ihipStream_tbENKUlT_T0_SI_SN_E_clISD_PfSD_S15_EEDaS11_S12_SI_SN_EUlS11_E_NS1_11comp_targetILNS1_3genE6ELNS1_11target_archE950ELNS1_3gpuE13ELNS1_3repE0EEENS1_47radix_sort_onesweep_sort_config_static_selectorELNS0_4arch9wavefront6targetE1EEEvSI_,@function
_ZN7rocprim17ROCPRIM_400000_NS6detail17trampoline_kernelINS0_14default_configENS1_35radix_sort_onesweep_config_selectorIffEEZZNS1_29radix_sort_onesweep_iterationIS3_Lb0EN6thrust23THRUST_200600_302600_NS6detail15normal_iteratorINS8_10device_ptrIfEEEESD_SD_SD_jNS0_19identity_decomposerENS1_16block_id_wrapperIjLb0EEEEE10hipError_tT1_PNSt15iterator_traitsISI_E10value_typeET2_T3_PNSJ_ISO_E10value_typeET4_T5_PST_SU_PNS1_23onesweep_lookback_stateEbbT6_jjT7_P12ihipStream_tbENKUlT_T0_SI_SN_E_clISD_PfSD_S15_EEDaS11_S12_SI_SN_EUlS11_E_NS1_11comp_targetILNS1_3genE6ELNS1_11target_archE950ELNS1_3gpuE13ELNS1_3repE0EEENS1_47radix_sort_onesweep_sort_config_static_selectorELNS0_4arch9wavefront6targetE1EEEvSI_: ; @_ZN7rocprim17ROCPRIM_400000_NS6detail17trampoline_kernelINS0_14default_configENS1_35radix_sort_onesweep_config_selectorIffEEZZNS1_29radix_sort_onesweep_iterationIS3_Lb0EN6thrust23THRUST_200600_302600_NS6detail15normal_iteratorINS8_10device_ptrIfEEEESD_SD_SD_jNS0_19identity_decomposerENS1_16block_id_wrapperIjLb0EEEEE10hipError_tT1_PNSt15iterator_traitsISI_E10value_typeET2_T3_PNSJ_ISO_E10value_typeET4_T5_PST_SU_PNS1_23onesweep_lookback_stateEbbT6_jjT7_P12ihipStream_tbENKUlT_T0_SI_SN_E_clISD_PfSD_S15_EEDaS11_S12_SI_SN_EUlS11_E_NS1_11comp_targetILNS1_3genE6ELNS1_11target_archE950ELNS1_3gpuE13ELNS1_3repE0EEENS1_47radix_sort_onesweep_sort_config_static_selectorELNS0_4arch9wavefront6targetE1EEEvSI_
; %bb.0:
	s_load_dwordx4 s[48:51], s[2:3], 0x44
	s_load_dwordx8 s[36:43], s[2:3], 0x0
	s_load_dwordx4 s[44:47], s[2:3], 0x28
	s_load_dwordx2 s[52:53], s[2:3], 0x38
	v_and_b32_e32 v8, 0x3ff, v0
	v_bfe_u32 v9, v0, 10, 10
	v_bfe_u32 v18, v0, 20, 10
	s_mov_b64 s[6:7], -1
	s_waitcnt lgkmcnt(0)
	s_cmp_ge_u32 s4, s50
	v_mbcnt_lo_u32_b32 v20, -1, 0
	v_lshlrev_b32_e32 v19, 3, v8
	s_cbranch_scc0 .LBB342_124
; %bb.1:
	s_load_dword s5, s[2:3], 0x20
	s_lshl_b32 s8, s50, 13
	s_lshl_b32 s6, s4, 13
	s_mov_b32 s7, 0
	s_lshl_b64 s[50:51], s[6:7], 2
	s_waitcnt lgkmcnt(0)
	s_sub_i32 s5, s5, s8
	v_mbcnt_hi_u32_b32 v21, -1, v20
	s_add_u32 s6, s36, s50
	v_and_b32_e32 v2, 63, v21
	s_addc_u32 s7, s37, s51
	v_and_b32_e32 v3, 0x1e00, v19
	v_mov_b32_e32 v11, 0
	v_lshlrev_b32_e32 v10, 2, v2
	v_lshl_add_u64 v[0:1], s[6:7], 0, v[10:11]
	v_lshlrev_b32_e32 v12, 2, v3
	v_mov_b32_e32 v13, v11
	v_lshl_add_u64 v[14:15], v[0:1], 0, v[12:13]
	v_or_b32_e32 v11, v2, v3
	v_bfrev_b32_e32 v0, -2
	v_cmp_gt_u32_e64 s[18:19], s5, v11
	v_mov_b32_e32 v1, v0
	v_mov_b32_e32 v2, v0
	;; [unrolled: 1-line block ×7, first 2 shown]
	s_and_saveexec_b64 s[6:7], s[18:19]
	s_cbranch_execz .LBB342_3
; %bb.2:
	global_load_dword v22, v[14:15], off
	v_mov_b32_e32 v23, v0
	v_mov_b32_e32 v24, v0
	v_mov_b32_e32 v25, v0
	v_mov_b32_e32 v26, v0
	v_mov_b32_e32 v27, v0
	v_mov_b32_e32 v28, v0
	v_mov_b32_e32 v29, v0
	s_waitcnt vmcnt(0)
	v_mov_b64_e32 v[0:1], v[22:23]
	v_mov_b64_e32 v[2:3], v[24:25]
	;; [unrolled: 1-line block ×4, first 2 shown]
.LBB342_3:
	s_or_b64 exec, exec, s[6:7]
	v_or_b32_e32 v13, 64, v11
	v_cmp_gt_u32_e64 s[26:27], s5, v13
	s_and_saveexec_b64 s[6:7], s[26:27]
	s_cbranch_execz .LBB342_5
; %bb.4:
	global_load_dword v1, v[14:15], off offset:256
.LBB342_5:
	s_or_b64 exec, exec, s[6:7]
	v_or_b32_e32 v13, 0x80, v11
	v_cmp_gt_u32_e64 s[6:7], s5, v13
	s_and_saveexec_b64 s[8:9], s[6:7]
	s_cbranch_execz .LBB342_7
; %bb.6:
	global_load_dword v2, v[14:15], off offset:512
.LBB342_7:
	;; [unrolled: 8-line block ×7, first 2 shown]
	s_or_b64 exec, exec, s[20:21]
	s_load_dword s20, s[2:3], 0x64
	s_load_dword s33, s[2:3], 0x58
	s_add_u32 s21, s2, 0x58
	s_addc_u32 s22, s3, 0
	v_mov_b32_e32 v15, 0
	s_waitcnt lgkmcnt(0)
	s_lshr_b32 s23, s20, 16
	s_cmp_lt_u32 s4, s33
	s_cselect_b32 s20, 12, 18
	s_add_u32 s20, s21, s20
	s_addc_u32 s21, s22, 0
	global_load_ushort v13, v15, s[20:21]
	v_bfrev_b32_e32 v24, 1
	v_cmp_lt_i32_e32 vcc, -1, v0
	s_brev_b32 s55, -2
	s_lshl_b32 s20, -1, s49
	v_cndmask_b32_e32 v11, -1, v24, vcc
	v_xor_b32_e32 v11, v11, v0
	v_cmp_ne_u32_e32 vcc, s55, v11
	v_mov_b32_e32 v16, v15
	v_mov_b32_e32 v28, v15
	v_cndmask_b32_e32 v0, v24, v11, vcc
	v_lshrrev_b32_e32 v0, s48, v0
	v_bitop3_b32 v0, v0, s20, v0 bitop3:0x30
	v_and_b32_e32 v14, 1, v0
	v_lshlrev_b32_e32 v17, 30, v0
	v_lshlrev_b32_e32 v27, 29, v0
	;; [unrolled: 1-line block ×3, first 2 shown]
	v_lshl_add_u64 v[36:37], v[14:15], 0, -1
	v_cmp_ne_u32_e32 vcc, 0, v14
	v_not_b32_e32 v14, v17
	v_mov_b32_e32 v26, v15
	v_mov_b32_e32 v30, v15
	s_not_b32 s54, s20
	v_lshlrev_b32_e32 v31, 27, v0
	v_cmp_gt_i64_e64 s[20:21], 0, v[16:17]
	v_not_b32_e32 v16, v27
	v_cmp_gt_i64_e64 s[24:25], 0, v[28:29]
	v_not_b32_e32 v17, v29
	v_xor_b32_e32 v29, vcc_hi, v37
	v_ashrrev_i32_e32 v14, 31, v14
	v_mov_b32_e32 v32, v15
	v_mad_u32_u24 v23, v18, s23, v9
	v_lshlrev_b32_e32 v33, 26, v0
	v_cmp_gt_i64_e64 s[22:23], 0, v[26:27]
	v_cmp_gt_i64_e64 s[28:29], 0, v[30:31]
	v_not_b32_e32 v26, v31
	v_xor_b32_e32 v30, vcc_lo, v36
	v_ashrrev_i32_e32 v16, 31, v16
	v_and_b32_e32 v29, exec_hi, v29
	v_xor_b32_e32 v31, s21, v14
	v_cmp_gt_i64_e64 s[30:31], 0, v[32:33]
	v_ashrrev_i32_e32 v17, 31, v17
	v_and_b32_e32 v30, exec_lo, v30
	v_xor_b32_e32 v14, s20, v14
	v_xor_b32_e32 v32, s23, v16
	v_and_b32_e32 v29, v29, v31
	v_mov_b32_e32 v34, v15
	v_lshlrev_b32_e32 v35, 25, v0
	v_not_b32_e32 v27, v33
	v_ashrrev_i32_e32 v26, 31, v26
	v_xor_b32_e32 v16, s22, v16
	v_xor_b32_e32 v33, s25, v17
	v_and_b32_e32 v14, v30, v14
	v_and_b32_e32 v29, v29, v32
	v_cmp_gt_i64_e64 s[34:35], 0, v[34:35]
	v_ashrrev_i32_e32 v27, 31, v27
	v_xor_b32_e32 v17, s24, v17
	v_xor_b32_e32 v34, s29, v26
	v_and_b32_e32 v14, v14, v16
	v_and_b32_e32 v16, v29, v33
	v_not_b32_e32 v28, v35
	v_xor_b32_e32 v26, s28, v26
	v_xor_b32_e32 v35, s31, v27
	v_and_b32_e32 v14, v14, v17
	v_and_b32_e32 v16, v16, v34
	v_ashrrev_i32_e32 v28, 31, v28
	v_xor_b32_e32 v27, s30, v27
	v_and_b32_e32 v14, v14, v26
	v_and_b32_e32 v26, v16, v35
	s_movk_i32 s56, 0x44
	v_and_b32_e32 v14, v14, v27
	v_mul_lo_u32 v25, v0, s56
	v_mul_u32_u24_e32 v22, 20, v8
	ds_write2_b32 v22, v15, v15 offset0:16 offset1:17
	ds_write2_b32 v22, v15, v15 offset0:18 offset1:19
	ds_write_b32 v22, v15 offset:80
	s_waitcnt lgkmcnt(0)
	s_barrier
	s_waitcnt vmcnt(0)
	; wave barrier
	v_mad_u64_u32 v[16:17], s[20:21], v23, v13, v[8:9]
	v_lshrrev_b32_e32 v13, 4, v16
	v_xor_b32_e32 v16, s34, v28
	v_lshlrev_b32_e32 v17, 24, v0
	v_and_b32_e32 v14, v14, v16
	v_mov_b32_e32 v16, v15
	v_not_b32_e32 v0, v17
	v_and_b32_e32 v34, 0xffffffc, v13
	v_xor_b32_e32 v13, s35, v28
	v_cmp_gt_i64_e32 vcc, 0, v[16:17]
	v_ashrrev_i32_e32 v0, 31, v0
	v_and_b32_e32 v13, v26, v13
	v_xor_b32_e32 v16, vcc_hi, v0
	v_xor_b32_e32 v0, vcc_lo, v0
	v_and_b32_e32 v17, v13, v16
	v_and_b32_e32 v16, v14, v0
	v_mbcnt_lo_u32_b32 v0, v16, 0
	v_mbcnt_hi_u32_b32 v23, v17, v0
	v_cmp_eq_u32_e32 vcc, 0, v23
	v_cmp_ne_u64_e64 s[20:21], 0, v[16:17]
	s_and_b64 s[22:23], s[20:21], vcc
	v_add_u32_e32 v26, v34, v25
	s_and_saveexec_b64 s[20:21], s[22:23]
; %bb.18:
	v_bcnt_u32_b32 v0, v16, 0
	v_bcnt_u32_b32 v0, v17, v0
	ds_write_b32 v26, v0 offset:64
; %bb.19:
	s_or_b64 exec, exec, s[20:21]
	v_cmp_lt_i32_e32 vcc, -1, v1
	; wave barrier
	s_nop 1
	v_cndmask_b32_e32 v0, -1, v24, vcc
	v_xor_b32_e32 v13, v0, v1
	v_cmp_ne_u32_e32 vcc, s55, v13
	s_nop 1
	v_cndmask_b32_e32 v0, v24, v13, vcc
	v_lshrrev_b32_e32 v0, s48, v0
	v_and_b32_e32 v16, s54, v0
	v_mul_lo_u32 v0, v16, s56
	v_and_b32_e32 v14, 1, v16
	v_add_u32_e32 v28, v34, v0
	v_lshl_add_u64 v[0:1], v[14:15], 0, -1
	v_cmp_ne_u32_e32 vcc, 0, v14
	ds_read_b32 v17, v28 offset:64
	s_nop 0
	v_xor_b32_e32 v1, vcc_hi, v1
	v_xor_b32_e32 v0, vcc_lo, v0
	v_and_b32_e32 v14, exec_hi, v1
	v_and_b32_e32 v24, exec_lo, v0
	v_lshlrev_b32_e32 v1, 30, v16
	v_mov_b32_e32 v0, v15
	v_cmp_gt_i64_e32 vcc, 0, v[0:1]
	v_not_b32_e32 v0, v1
	v_ashrrev_i32_e32 v0, 31, v0
	v_xor_b32_e32 v1, vcc_hi, v0
	v_xor_b32_e32 v0, vcc_lo, v0
	v_and_b32_e32 v14, v14, v1
	v_and_b32_e32 v24, v24, v0
	v_lshlrev_b32_e32 v1, 29, v16
	v_mov_b32_e32 v0, v15
	v_cmp_gt_i64_e32 vcc, 0, v[0:1]
	v_not_b32_e32 v0, v1
	v_ashrrev_i32_e32 v0, 31, v0
	v_xor_b32_e32 v1, vcc_hi, v0
	v_xor_b32_e32 v0, vcc_lo, v0
	v_and_b32_e32 v14, v14, v1
	v_and_b32_e32 v24, v24, v0
	;; [unrolled: 9-line block ×7, first 2 shown]
	v_mbcnt_lo_u32_b32 v14, v0, 0
	v_mbcnt_hi_u32_b32 v24, v1, v14
	v_cmp_eq_u32_e32 vcc, 0, v24
	v_cmp_ne_u64_e64 s[20:21], 0, v[0:1]
	s_and_b64 s[22:23], s[20:21], vcc
	; wave barrier
	s_and_saveexec_b64 s[20:21], s[22:23]
	s_cbranch_execz .LBB342_21
; %bb.20:
	v_bcnt_u32_b32 v0, v0, 0
	v_bcnt_u32_b32 v0, v1, v0
	s_waitcnt lgkmcnt(0)
	v_add_u32_e32 v0, v17, v0
	ds_write_b32 v28, v0 offset:64
.LBB342_21:
	s_or_b64 exec, exec, s[20:21]
	v_bfrev_b32_e32 v27, 1
	v_cmp_lt_i32_e32 vcc, -1, v2
	s_brev_b32 s22, -2
	s_movk_i32 s23, 0x44
	v_cndmask_b32_e32 v0, -1, v27, vcc
	v_xor_b32_e32 v16, v0, v2
	v_cmp_ne_u32_e32 vcc, s22, v16
	v_mov_b32_e32 v1, 0
	s_nop 0
	v_cndmask_b32_e32 v0, v27, v16, vcc
	v_lshrrev_b32_e32 v0, s48, v0
	v_and_b32_e32 v2, s54, v0
	v_mul_lo_u32 v0, v2, s23
	v_add_u32_e32 v32, v34, v0
	v_and_b32_e32 v0, 1, v2
	v_lshl_add_u64 v[14:15], v[0:1], 0, -1
	v_cmp_ne_u32_e32 vcc, 0, v0
	; wave barrier
	ds_read_b32 v25, v32 offset:64
	s_nop 0
	v_xor_b32_e32 v14, vcc_lo, v14
	v_xor_b32_e32 v0, vcc_hi, v15
	v_and_b32_e32 v29, exec_lo, v14
	v_lshlrev_b32_e32 v15, 30, v2
	v_mov_b32_e32 v14, v1
	v_cmp_gt_i64_e32 vcc, 0, v[14:15]
	v_not_b32_e32 v14, v15
	v_ashrrev_i32_e32 v14, 31, v14
	v_and_b32_e32 v0, exec_hi, v0
	v_xor_b32_e32 v15, vcc_hi, v14
	v_xor_b32_e32 v14, vcc_lo, v14
	v_and_b32_e32 v0, v0, v15
	v_and_b32_e32 v29, v29, v14
	v_lshlrev_b32_e32 v15, 29, v2
	v_mov_b32_e32 v14, v1
	v_cmp_gt_i64_e32 vcc, 0, v[14:15]
	v_not_b32_e32 v14, v15
	v_ashrrev_i32_e32 v14, 31, v14
	v_xor_b32_e32 v15, vcc_hi, v14
	v_xor_b32_e32 v14, vcc_lo, v14
	v_and_b32_e32 v0, v0, v15
	v_and_b32_e32 v29, v29, v14
	v_lshlrev_b32_e32 v15, 28, v2
	v_mov_b32_e32 v14, v1
	v_cmp_gt_i64_e32 vcc, 0, v[14:15]
	v_not_b32_e32 v14, v15
	v_ashrrev_i32_e32 v14, 31, v14
	;; [unrolled: 9-line block ×5, first 2 shown]
	v_xor_b32_e32 v15, vcc_hi, v14
	v_xor_b32_e32 v14, vcc_lo, v14
	v_and_b32_e32 v0, v0, v15
	v_lshlrev_b32_e32 v15, 24, v2
	v_and_b32_e32 v29, v29, v14
	v_mov_b32_e32 v14, v1
	v_not_b32_e32 v2, v15
	v_cmp_gt_i64_e32 vcc, 0, v[14:15]
	v_ashrrev_i32_e32 v2, 31, v2
	s_nop 0
	v_xor_b32_e32 v14, vcc_hi, v2
	v_xor_b32_e32 v2, vcc_lo, v2
	v_and_b32_e32 v15, v0, v14
	v_and_b32_e32 v14, v29, v2
	v_mbcnt_lo_u32_b32 v0, v14, 0
	v_mbcnt_hi_u32_b32 v29, v15, v0
	v_cmp_eq_u32_e32 vcc, 0, v29
	v_cmp_ne_u64_e64 s[20:21], 0, v[14:15]
	s_and_b64 s[24:25], s[20:21], vcc
	; wave barrier
	s_and_saveexec_b64 s[20:21], s[24:25]
	s_cbranch_execz .LBB342_23
; %bb.22:
	v_bcnt_u32_b32 v0, v14, 0
	v_bcnt_u32_b32 v0, v15, v0
	s_waitcnt lgkmcnt(0)
	v_add_u32_e32 v0, v25, v0
	ds_write_b32 v32, v0 offset:64
.LBB342_23:
	s_or_b64 exec, exec, s[20:21]
	v_cmp_lt_i32_e32 vcc, -1, v3
	; wave barrier
	s_nop 1
	v_cndmask_b32_e32 v0, -1, v27, vcc
	v_xor_b32_e32 v14, v0, v3
	v_cmp_ne_u32_e32 vcc, s22, v14
	s_nop 1
	v_cndmask_b32_e32 v0, v27, v14, vcc
	v_lshrrev_b32_e32 v0, s48, v0
	v_and_b32_e32 v15, s54, v0
	v_mul_lo_u32 v0, v15, s23
	v_add_u32_e32 v37, v34, v0
	v_and_b32_e32 v0, 1, v15
	v_lshl_add_u64 v[2:3], v[0:1], 0, -1
	v_cmp_ne_u32_e32 vcc, 0, v0
	ds_read_b32 v30, v37 offset:64
	s_nop 0
	v_xor_b32_e32 v2, vcc_lo, v2
	v_xor_b32_e32 v0, vcc_hi, v3
	v_and_b32_e32 v27, exec_lo, v2
	v_lshlrev_b32_e32 v3, 30, v15
	v_mov_b32_e32 v2, v1
	v_cmp_gt_i64_e32 vcc, 0, v[2:3]
	v_not_b32_e32 v2, v3
	v_ashrrev_i32_e32 v2, 31, v2
	v_and_b32_e32 v0, exec_hi, v0
	v_xor_b32_e32 v3, vcc_hi, v2
	v_xor_b32_e32 v2, vcc_lo, v2
	v_and_b32_e32 v0, v0, v3
	v_and_b32_e32 v27, v27, v2
	v_lshlrev_b32_e32 v3, 29, v15
	v_mov_b32_e32 v2, v1
	v_cmp_gt_i64_e32 vcc, 0, v[2:3]
	v_not_b32_e32 v2, v3
	v_ashrrev_i32_e32 v2, 31, v2
	v_xor_b32_e32 v3, vcc_hi, v2
	v_xor_b32_e32 v2, vcc_lo, v2
	v_and_b32_e32 v0, v0, v3
	v_and_b32_e32 v27, v27, v2
	v_lshlrev_b32_e32 v3, 28, v15
	v_mov_b32_e32 v2, v1
	v_cmp_gt_i64_e32 vcc, 0, v[2:3]
	v_not_b32_e32 v2, v3
	v_ashrrev_i32_e32 v2, 31, v2
	;; [unrolled: 9-line block ×5, first 2 shown]
	v_xor_b32_e32 v3, vcc_hi, v2
	v_xor_b32_e32 v2, vcc_lo, v2
	v_and_b32_e32 v0, v0, v3
	v_lshlrev_b32_e32 v3, 24, v15
	v_and_b32_e32 v27, v27, v2
	v_mov_b32_e32 v2, v1
	v_not_b32_e32 v1, v3
	v_cmp_gt_i64_e32 vcc, 0, v[2:3]
	v_ashrrev_i32_e32 v1, 31, v1
	; wave barrier
	s_nop 0
	v_xor_b32_e32 v2, vcc_hi, v1
	v_xor_b32_e32 v3, vcc_lo, v1
	v_and_b32_e32 v1, v0, v2
	v_and_b32_e32 v0, v27, v3
	v_mbcnt_lo_u32_b32 v2, v0, 0
	v_mbcnt_hi_u32_b32 v33, v1, v2
	v_cmp_eq_u32_e32 vcc, 0, v33
	v_cmp_ne_u64_e64 s[20:21], 0, v[0:1]
	s_and_b64 s[22:23], s[20:21], vcc
	s_and_saveexec_b64 s[20:21], s[22:23]
	s_cbranch_execz .LBB342_25
; %bb.24:
	v_bcnt_u32_b32 v0, v0, 0
	v_bcnt_u32_b32 v0, v1, v0
	s_waitcnt lgkmcnt(0)
	v_add_u32_e32 v0, v30, v0
	ds_write_b32 v37, v0 offset:64
.LBB342_25:
	s_or_b64 exec, exec, s[20:21]
	v_bfrev_b32_e32 v31, 1
	v_cmp_lt_i32_e32 vcc, -1, v4
	s_brev_b32 s22, -2
	s_movk_i32 s23, 0x44
	v_cndmask_b32_e32 v0, -1, v31, vcc
	v_xor_b32_e32 v15, v0, v4
	v_cmp_ne_u32_e32 vcc, s22, v15
	v_mov_b32_e32 v1, 0
	s_nop 0
	v_cndmask_b32_e32 v0, v31, v15, vcc
	v_lshrrev_b32_e32 v0, s48, v0
	v_and_b32_e32 v27, s54, v0
	v_mul_lo_u32 v0, v27, s23
	v_add_u32_e32 v4, v34, v0
	v_and_b32_e32 v0, 1, v27
	v_lshl_add_u64 v[2:3], v[0:1], 0, -1
	v_cmp_ne_u32_e32 vcc, 0, v0
	; wave barrier
	ds_read_b32 v35, v4 offset:64
	s_nop 0
	v_xor_b32_e32 v2, vcc_lo, v2
	v_xor_b32_e32 v0, vcc_hi, v3
	v_and_b32_e32 v36, exec_lo, v2
	v_lshlrev_b32_e32 v3, 30, v27
	v_mov_b32_e32 v2, v1
	v_cmp_gt_i64_e32 vcc, 0, v[2:3]
	v_not_b32_e32 v2, v3
	v_ashrrev_i32_e32 v2, 31, v2
	v_and_b32_e32 v0, exec_hi, v0
	v_xor_b32_e32 v3, vcc_hi, v2
	v_xor_b32_e32 v2, vcc_lo, v2
	v_and_b32_e32 v0, v0, v3
	v_and_b32_e32 v36, v36, v2
	v_lshlrev_b32_e32 v3, 29, v27
	v_mov_b32_e32 v2, v1
	v_cmp_gt_i64_e32 vcc, 0, v[2:3]
	v_not_b32_e32 v2, v3
	v_ashrrev_i32_e32 v2, 31, v2
	v_xor_b32_e32 v3, vcc_hi, v2
	v_xor_b32_e32 v2, vcc_lo, v2
	v_and_b32_e32 v0, v0, v3
	v_and_b32_e32 v36, v36, v2
	v_lshlrev_b32_e32 v3, 28, v27
	v_mov_b32_e32 v2, v1
	v_cmp_gt_i64_e32 vcc, 0, v[2:3]
	v_not_b32_e32 v2, v3
	v_ashrrev_i32_e32 v2, 31, v2
	;; [unrolled: 9-line block ×6, first 2 shown]
	v_xor_b32_e32 v3, vcc_hi, v2
	v_xor_b32_e32 v2, vcc_lo, v2
	v_and_b32_e32 v2, v36, v2
	v_and_b32_e32 v3, v0, v3
	v_mbcnt_lo_u32_b32 v0, v2, 0
	v_mbcnt_hi_u32_b32 v38, v3, v0
	v_cmp_eq_u32_e32 vcc, 0, v38
	v_cmp_ne_u64_e64 s[20:21], 0, v[2:3]
	s_and_b64 s[24:25], s[20:21], vcc
	; wave barrier
	s_and_saveexec_b64 s[20:21], s[24:25]
	s_cbranch_execz .LBB342_27
; %bb.26:
	v_bcnt_u32_b32 v0, v2, 0
	v_bcnt_u32_b32 v0, v3, v0
	s_waitcnt lgkmcnt(0)
	v_add_u32_e32 v0, v35, v0
	ds_write_b32 v4, v0 offset:64
.LBB342_27:
	s_or_b64 exec, exec, s[20:21]
	v_cmp_lt_i32_e32 vcc, -1, v5
	; wave barrier
	s_nop 1
	v_cndmask_b32_e32 v0, -1, v31, vcc
	v_xor_b32_e32 v27, v0, v5
	v_cmp_ne_u32_e32 vcc, s22, v27
	s_nop 1
	v_cndmask_b32_e32 v0, v31, v27, vcc
	v_lshrrev_b32_e32 v0, s48, v0
	v_and_b32_e32 v31, s54, v0
	v_mul_lo_u32 v0, v31, s23
	v_add_u32_e32 v5, v34, v0
	v_and_b32_e32 v0, 1, v31
	v_lshl_add_u64 v[2:3], v[0:1], 0, -1
	v_cmp_ne_u32_e32 vcc, 0, v0
	ds_read_b32 v39, v5 offset:64
	s_nop 0
	v_xor_b32_e32 v2, vcc_lo, v2
	v_xor_b32_e32 v0, vcc_hi, v3
	v_and_b32_e32 v36, exec_lo, v2
	v_lshlrev_b32_e32 v3, 30, v31
	v_mov_b32_e32 v2, v1
	v_cmp_gt_i64_e32 vcc, 0, v[2:3]
	v_not_b32_e32 v2, v3
	v_ashrrev_i32_e32 v2, 31, v2
	v_and_b32_e32 v0, exec_hi, v0
	v_xor_b32_e32 v3, vcc_hi, v2
	v_xor_b32_e32 v2, vcc_lo, v2
	v_and_b32_e32 v0, v0, v3
	v_and_b32_e32 v36, v36, v2
	v_lshlrev_b32_e32 v3, 29, v31
	v_mov_b32_e32 v2, v1
	v_cmp_gt_i64_e32 vcc, 0, v[2:3]
	v_not_b32_e32 v2, v3
	v_ashrrev_i32_e32 v2, 31, v2
	v_xor_b32_e32 v3, vcc_hi, v2
	v_xor_b32_e32 v2, vcc_lo, v2
	v_and_b32_e32 v0, v0, v3
	v_and_b32_e32 v36, v36, v2
	v_lshlrev_b32_e32 v3, 28, v31
	v_mov_b32_e32 v2, v1
	v_cmp_gt_i64_e32 vcc, 0, v[2:3]
	v_not_b32_e32 v2, v3
	v_ashrrev_i32_e32 v2, 31, v2
	;; [unrolled: 9-line block ×5, first 2 shown]
	v_xor_b32_e32 v3, vcc_hi, v2
	v_xor_b32_e32 v2, vcc_lo, v2
	v_and_b32_e32 v0, v0, v3
	v_lshlrev_b32_e32 v3, 24, v31
	v_and_b32_e32 v36, v36, v2
	v_mov_b32_e32 v2, v1
	v_not_b32_e32 v1, v3
	v_cmp_gt_i64_e32 vcc, 0, v[2:3]
	v_ashrrev_i32_e32 v1, 31, v1
	; wave barrier
	s_nop 0
	v_xor_b32_e32 v2, vcc_hi, v1
	v_xor_b32_e32 v3, vcc_lo, v1
	v_and_b32_e32 v1, v0, v2
	v_and_b32_e32 v0, v36, v3
	v_mbcnt_lo_u32_b32 v2, v0, 0
	v_mbcnt_hi_u32_b32 v40, v1, v2
	v_cmp_eq_u32_e32 vcc, 0, v40
	v_cmp_ne_u64_e64 s[20:21], 0, v[0:1]
	s_and_b64 s[22:23], s[20:21], vcc
	s_and_saveexec_b64 s[20:21], s[22:23]
	s_cbranch_execz .LBB342_29
; %bb.28:
	v_bcnt_u32_b32 v0, v0, 0
	v_bcnt_u32_b32 v0, v1, v0
	s_waitcnt lgkmcnt(0)
	v_add_u32_e32 v0, v39, v0
	ds_write_b32 v5, v0 offset:64
.LBB342_29:
	s_or_b64 exec, exec, s[20:21]
	v_bfrev_b32_e32 v43, 1
	v_cmp_lt_i32_e32 vcc, -1, v6
	s_brev_b32 s22, -2
	s_movk_i32 s23, 0x44
	v_cndmask_b32_e32 v0, -1, v43, vcc
	v_xor_b32_e32 v31, v0, v6
	v_cmp_ne_u32_e32 vcc, s22, v31
	v_mov_b32_e32 v1, 0
	s_nop 0
	v_cndmask_b32_e32 v0, v43, v31, vcc
	v_lshrrev_b32_e32 v0, s48, v0
	v_and_b32_e32 v36, s54, v0
	v_mul_lo_u32 v0, v36, s23
	v_add_u32_e32 v6, v34, v0
	v_and_b32_e32 v0, 1, v36
	v_lshl_add_u64 v[2:3], v[0:1], 0, -1
	v_cmp_ne_u32_e32 vcc, 0, v0
	; wave barrier
	ds_read_b32 v41, v6 offset:64
	s_nop 0
	v_xor_b32_e32 v2, vcc_lo, v2
	v_xor_b32_e32 v0, vcc_hi, v3
	v_and_b32_e32 v42, exec_lo, v2
	v_lshlrev_b32_e32 v3, 30, v36
	v_mov_b32_e32 v2, v1
	v_cmp_gt_i64_e32 vcc, 0, v[2:3]
	v_not_b32_e32 v2, v3
	v_ashrrev_i32_e32 v2, 31, v2
	v_and_b32_e32 v0, exec_hi, v0
	v_xor_b32_e32 v3, vcc_hi, v2
	v_xor_b32_e32 v2, vcc_lo, v2
	v_and_b32_e32 v0, v0, v3
	v_and_b32_e32 v42, v42, v2
	v_lshlrev_b32_e32 v3, 29, v36
	v_mov_b32_e32 v2, v1
	v_cmp_gt_i64_e32 vcc, 0, v[2:3]
	v_not_b32_e32 v2, v3
	v_ashrrev_i32_e32 v2, 31, v2
	v_xor_b32_e32 v3, vcc_hi, v2
	v_xor_b32_e32 v2, vcc_lo, v2
	v_and_b32_e32 v0, v0, v3
	v_and_b32_e32 v42, v42, v2
	v_lshlrev_b32_e32 v3, 28, v36
	v_mov_b32_e32 v2, v1
	v_cmp_gt_i64_e32 vcc, 0, v[2:3]
	v_not_b32_e32 v2, v3
	v_ashrrev_i32_e32 v2, 31, v2
	;; [unrolled: 9-line block ×6, first 2 shown]
	v_xor_b32_e32 v3, vcc_hi, v2
	v_xor_b32_e32 v2, vcc_lo, v2
	v_and_b32_e32 v2, v42, v2
	v_and_b32_e32 v3, v0, v3
	v_mbcnt_lo_u32_b32 v0, v2, 0
	v_mbcnt_hi_u32_b32 v42, v3, v0
	v_cmp_eq_u32_e32 vcc, 0, v42
	v_cmp_ne_u64_e64 s[20:21], 0, v[2:3]
	s_and_b64 s[24:25], s[20:21], vcc
	; wave barrier
	s_and_saveexec_b64 s[20:21], s[24:25]
	s_cbranch_execz .LBB342_31
; %bb.30:
	v_bcnt_u32_b32 v0, v2, 0
	v_bcnt_u32_b32 v0, v3, v0
	s_waitcnt lgkmcnt(0)
	v_add_u32_e32 v0, v41, v0
	ds_write_b32 v6, v0 offset:64
.LBB342_31:
	s_or_b64 exec, exec, s[20:21]
	v_cmp_lt_i32_e32 vcc, -1, v7
	; wave barrier
	s_nop 1
	v_cndmask_b32_e32 v0, -1, v43, vcc
	v_xor_b32_e32 v36, v0, v7
	v_cmp_ne_u32_e32 vcc, s22, v36
	s_nop 1
	v_cndmask_b32_e32 v0, v43, v36, vcc
	v_lshrrev_b32_e32 v0, s48, v0
	v_and_b32_e32 v43, s54, v0
	v_mul_lo_u32 v0, v43, s23
	v_add_u32_e32 v7, v34, v0
	v_and_b32_e32 v0, 1, v43
	v_lshl_add_u64 v[2:3], v[0:1], 0, -1
	v_cmp_ne_u32_e32 vcc, 0, v0
	ds_read_b32 v34, v7 offset:64
	s_nop 0
	v_xor_b32_e32 v2, vcc_lo, v2
	v_xor_b32_e32 v0, vcc_hi, v3
	v_and_b32_e32 v44, exec_lo, v2
	v_lshlrev_b32_e32 v3, 30, v43
	v_mov_b32_e32 v2, v1
	v_cmp_gt_i64_e32 vcc, 0, v[2:3]
	v_not_b32_e32 v2, v3
	v_ashrrev_i32_e32 v2, 31, v2
	v_and_b32_e32 v0, exec_hi, v0
	v_xor_b32_e32 v3, vcc_hi, v2
	v_xor_b32_e32 v2, vcc_lo, v2
	v_and_b32_e32 v0, v0, v3
	v_and_b32_e32 v44, v44, v2
	v_lshlrev_b32_e32 v3, 29, v43
	v_mov_b32_e32 v2, v1
	v_cmp_gt_i64_e32 vcc, 0, v[2:3]
	v_not_b32_e32 v2, v3
	v_ashrrev_i32_e32 v2, 31, v2
	v_xor_b32_e32 v3, vcc_hi, v2
	v_xor_b32_e32 v2, vcc_lo, v2
	v_and_b32_e32 v0, v0, v3
	v_and_b32_e32 v44, v44, v2
	v_lshlrev_b32_e32 v3, 28, v43
	v_mov_b32_e32 v2, v1
	v_cmp_gt_i64_e32 vcc, 0, v[2:3]
	v_not_b32_e32 v2, v3
	v_ashrrev_i32_e32 v2, 31, v2
	v_xor_b32_e32 v3, vcc_hi, v2
	v_xor_b32_e32 v2, vcc_lo, v2
	v_and_b32_e32 v0, v0, v3
	v_and_b32_e32 v44, v44, v2
	v_lshlrev_b32_e32 v3, 27, v43
	v_mov_b32_e32 v2, v1
	v_cmp_gt_i64_e32 vcc, 0, v[2:3]
	v_not_b32_e32 v2, v3
	v_ashrrev_i32_e32 v2, 31, v2
	v_xor_b32_e32 v3, vcc_hi, v2
	v_xor_b32_e32 v2, vcc_lo, v2
	v_and_b32_e32 v0, v0, v3
	v_and_b32_e32 v44, v44, v2
	v_lshlrev_b32_e32 v3, 26, v43
	v_mov_b32_e32 v2, v1
	v_cmp_gt_i64_e32 vcc, 0, v[2:3]
	v_not_b32_e32 v2, v3
	v_ashrrev_i32_e32 v2, 31, v2
	v_xor_b32_e32 v3, vcc_hi, v2
	v_xor_b32_e32 v2, vcc_lo, v2
	v_and_b32_e32 v0, v0, v3
	v_and_b32_e32 v44, v44, v2
	v_lshlrev_b32_e32 v3, 25, v43
	v_mov_b32_e32 v2, v1
	v_cmp_gt_i64_e32 vcc, 0, v[2:3]
	v_not_b32_e32 v2, v3
	v_ashrrev_i32_e32 v2, 31, v2
	v_xor_b32_e32 v3, vcc_hi, v2
	v_xor_b32_e32 v2, vcc_lo, v2
	v_and_b32_e32 v0, v0, v3
	v_lshlrev_b32_e32 v3, 24, v43
	v_and_b32_e32 v44, v44, v2
	v_mov_b32_e32 v2, v1
	v_not_b32_e32 v1, v3
	v_cmp_gt_i64_e32 vcc, 0, v[2:3]
	v_ashrrev_i32_e32 v1, 31, v1
	; wave barrier
	s_nop 0
	v_xor_b32_e32 v2, vcc_hi, v1
	v_xor_b32_e32 v3, vcc_lo, v1
	v_and_b32_e32 v1, v0, v2
	v_and_b32_e32 v0, v44, v3
	v_mbcnt_lo_u32_b32 v2, v0, 0
	v_mbcnt_hi_u32_b32 v43, v1, v2
	v_cmp_eq_u32_e32 vcc, 0, v43
	v_cmp_ne_u64_e64 s[20:21], 0, v[0:1]
	s_and_b64 s[22:23], s[20:21], vcc
	s_and_saveexec_b64 s[20:21], s[22:23]
	s_cbranch_execz .LBB342_33
; %bb.32:
	v_bcnt_u32_b32 v0, v0, 0
	v_bcnt_u32_b32 v0, v1, v0
	s_waitcnt lgkmcnt(0)
	v_add_u32_e32 v0, v34, v0
	ds_write_b32 v7, v0 offset:64
.LBB342_33:
	s_or_b64 exec, exec, s[20:21]
	; wave barrier
	s_waitcnt lgkmcnt(0)
	s_barrier
	ds_read2_b32 v[2:3], v22 offset0:16 offset1:17
	ds_read2_b32 v[0:1], v22 offset0:18 offset1:19
	ds_read_b32 v44, v22 offset:80
	v_cmp_lt_u32_e64 s[28:29], 31, v21
	s_waitcnt lgkmcnt(1)
	v_add3_u32 v45, v3, v2, v0
	s_waitcnt lgkmcnt(0)
	v_add3_u32 v44, v45, v1, v44
	v_and_b32_e32 v45, 15, v21
	v_cmp_eq_u32_e32 vcc, 0, v45
	v_mov_b32_dpp v46, v44 row_shr:1 row_mask:0xf bank_mask:0xf
	v_cmp_lt_u32_e64 s[20:21], 1, v45
	v_cndmask_b32_e64 v46, v46, 0, vcc
	v_add_u32_e32 v44, v46, v44
	v_cmp_lt_u32_e64 s[22:23], 3, v45
	v_cmp_lt_u32_e64 s[24:25], 7, v45
	v_mov_b32_dpp v46, v44 row_shr:2 row_mask:0xf bank_mask:0xf
	v_cndmask_b32_e64 v46, 0, v46, s[20:21]
	v_add_u32_e32 v44, v44, v46
	s_nop 1
	v_mov_b32_dpp v46, v44 row_shr:4 row_mask:0xf bank_mask:0xf
	v_cndmask_b32_e64 v46, 0, v46, s[22:23]
	v_add_u32_e32 v44, v44, v46
	s_nop 1
	v_mov_b32_dpp v46, v44 row_shr:8 row_mask:0xf bank_mask:0xf
	v_cndmask_b32_e64 v45, 0, v46, s[24:25]
	v_add_u32_e32 v44, v44, v45
	v_bfe_i32 v46, v21, 4, 1
	s_nop 0
	v_mov_b32_dpp v45, v44 row_bcast:15 row_mask:0xf bank_mask:0xf
	v_and_b32_e32 v45, v46, v45
	v_add_u32_e32 v44, v44, v45
	v_and_b32_e32 v46, 63, v8
	s_nop 0
	v_mov_b32_dpp v45, v44 row_bcast:31 row_mask:0xf bank_mask:0xf
	v_cndmask_b32_e64 v45, 0, v45, s[28:29]
	v_add_u32_e32 v44, v44, v45
	v_lshrrev_b32_e32 v45, 6, v8
	v_cmp_eq_u32_e64 s[28:29], 63, v46
	s_and_saveexec_b64 s[30:31], s[28:29]
; %bb.34:
	v_lshlrev_b32_e32 v46, 2, v45
	ds_write_b32 v46, v44
; %bb.35:
	s_or_b64 exec, exec, s[30:31]
	v_cmp_gt_u32_e64 s[28:29], 16, v8
	s_waitcnt lgkmcnt(0)
	s_barrier
	s_and_saveexec_b64 s[30:31], s[28:29]
	s_cbranch_execz .LBB342_37
; %bb.36:
	v_lshlrev_b32_e32 v46, 2, v8
	ds_read_b32 v47, v46
	s_waitcnt lgkmcnt(0)
	s_nop 0
	v_mov_b32_dpp v48, v47 row_shr:1 row_mask:0xf bank_mask:0xf
	v_cndmask_b32_e64 v48, v48, 0, vcc
	v_add_u32_e32 v47, v48, v47
	s_nop 1
	v_mov_b32_dpp v48, v47 row_shr:2 row_mask:0xf bank_mask:0xf
	v_cndmask_b32_e64 v48, 0, v48, s[20:21]
	v_add_u32_e32 v47, v47, v48
	s_nop 1
	v_mov_b32_dpp v48, v47 row_shr:4 row_mask:0xf bank_mask:0xf
	v_cndmask_b32_e64 v48, 0, v48, s[22:23]
	;; [unrolled: 4-line block ×3, first 2 shown]
	v_add_u32_e32 v47, v47, v48
	ds_write_b32 v46, v47
.LBB342_37:
	s_or_b64 exec, exec, s[30:31]
	v_cmp_lt_u32_e32 vcc, 63, v8
	v_mov_b32_e32 v46, 0
	s_waitcnt lgkmcnt(0)
	s_barrier
	s_and_saveexec_b64 s[20:21], vcc
; %bb.38:
	v_lshl_add_u32 v45, v45, 2, -4
	ds_read_b32 v46, v45
; %bb.39:
	s_or_b64 exec, exec, s[20:21]
	v_subrev_co_u32_e32 v45, vcc, 1, v21
	v_and_b32_e32 v47, 64, v21
	v_cmp_lt_i32_e64 s[20:21], v45, v47
	s_waitcnt lgkmcnt(0)
	v_add_u32_e32 v44, v46, v44
	s_movk_i32 s22, 0x100
	v_cndmask_b32_e64 v21, v45, v21, s[20:21]
	v_lshlrev_b32_e32 v21, 2, v21
	ds_bpermute_b32 v21, v21, v44
	s_movk_i32 s20, 0xff
	v_cmp_lt_u32_e64 s[20:21], s20, v8
	s_waitcnt lgkmcnt(0)
	v_cndmask_b32_e32 v21, v21, v46, vcc
	v_cmp_ne_u32_e32 vcc, 0, v8
	s_nop 1
	v_cndmask_b32_e32 v21, 0, v21, vcc
	v_add_u32_e32 v2, v21, v2
	v_add_u32_e32 v3, v2, v3
	;; [unrolled: 1-line block ×4, first 2 shown]
	ds_write2_b32 v22, v21, v2 offset0:16 offset1:17
	ds_write2_b32 v22, v3, v0 offset0:18 offset1:19
	ds_write_b32 v22, v1 offset:80
	s_waitcnt lgkmcnt(0)
	s_barrier
	ds_read_b32 v44, v26 offset:64
	ds_read_b32 v45, v28 offset:64
	;; [unrolled: 1-line block ×8, first 2 shown]
	v_cmp_gt_u32_e32 vcc, s22, v8
                                        ; implicit-def: $vgpr6
                                        ; implicit-def: $vgpr7
	s_and_saveexec_b64 s[24:25], vcc
	s_cbranch_execz .LBB342_43
; %bb.40:
	v_mul_u32_u24_e32 v0, 0x44, v8
	ds_read_b32 v6, v0 offset:64
	v_add_u32_e32 v1, 1, v8
	v_cmp_ne_u32_e64 s[22:23], s22, v1
	v_mov_b32_e32 v0, 0x2000
	s_and_saveexec_b64 s[28:29], s[22:23]
; %bb.41:
	v_mul_u32_u24_e32 v0, 0x44, v1
	ds_read_b32 v0, v0 offset:64
; %bb.42:
	s_or_b64 exec, exec, s[28:29]
	s_waitcnt lgkmcnt(0)
	v_sub_u32_e32 v7, v0, v6
.LBB342_43:
	s_or_b64 exec, exec, s[24:25]
	v_mov_b32_e32 v1, 0
	v_lshlrev_b32_e32 v21, 2, v8
	s_waitcnt lgkmcnt(0)
	s_barrier
	s_and_saveexec_b64 s[22:23], vcc
	s_cbranch_execz .LBB342_53
; %bb.44:
	v_lshl_add_u32 v0, s4, 8, v8
	v_lshl_add_u64 v[2:3], v[0:1], 2, s[52:53]
	v_or_b32_e32 v0, 2.0, v7
	s_mov_b64 s[24:25], 0
	s_brev_b32 s34, -4
	s_mov_b32 s35, s4
	v_mov_b32_e32 v47, 0
	global_store_dword v[2:3], v0, off sc1
                                        ; implicit-def: $sgpr28_sgpr29
	s_branch .LBB342_47
.LBB342_45:                             ;   in Loop: Header=BB342_47 Depth=1
	s_or_b64 exec, exec, s[30:31]
.LBB342_46:                             ;   in Loop: Header=BB342_47 Depth=1
	s_or_b64 exec, exec, s[28:29]
	v_and_b32_e32 v4, 0x3fffffff, v0
	v_add_u32_e32 v47, v4, v47
	v_cmp_gt_i32_e64 s[28:29], -2.0, v0
	s_and_b64 s[30:31], exec, s[28:29]
	s_or_b64 s[24:25], s[30:31], s[24:25]
	s_andn2_b64 exec, exec, s[24:25]
	s_cbranch_execz .LBB342_52
.LBB342_47:                             ; =>This Loop Header: Depth=1
                                        ;     Child Loop BB342_50 Depth 2
	s_or_b64 s[28:29], s[28:29], exec
	s_cmp_eq_u32 s35, 0
	s_cbranch_scc1 .LBB342_51
; %bb.48:                               ;   in Loop: Header=BB342_47 Depth=1
	s_add_i32 s35, s35, -1
	v_lshl_or_b32 v0, s35, 8, v8
	v_lshl_add_u64 v[4:5], v[0:1], 2, s[52:53]
	global_load_dword v0, v[4:5], off sc1
	s_waitcnt vmcnt(0)
	v_cmp_gt_u32_e32 vcc, 2.0, v0
	s_and_saveexec_b64 s[28:29], vcc
	s_cbranch_execz .LBB342_46
; %bb.49:                               ;   in Loop: Header=BB342_47 Depth=1
	s_mov_b64 s[30:31], 0
.LBB342_50:                             ;   Parent Loop BB342_47 Depth=1
                                        ; =>  This Inner Loop Header: Depth=2
	global_load_dword v0, v[4:5], off sc1
	s_waitcnt vmcnt(0)
	v_cmp_lt_u32_e32 vcc, s34, v0
	s_or_b64 s[30:31], vcc, s[30:31]
	s_andn2_b64 exec, exec, s[30:31]
	s_cbranch_execnz .LBB342_50
	s_branch .LBB342_45
.LBB342_51:                             ;   in Loop: Header=BB342_47 Depth=1
                                        ; implicit-def: $sgpr35
	s_and_b64 s[30:31], exec, s[28:29]
	s_or_b64 s[24:25], s[30:31], s[24:25]
	s_andn2_b64 exec, exec, s[24:25]
	s_cbranch_execnz .LBB342_47
.LBB342_52:
	s_or_b64 exec, exec, s[24:25]
	v_add_u32_e32 v0, v47, v7
	v_or_b32_e32 v0, 0x80000000, v0
	global_store_dword v[2:3], v0, off sc1
	global_load_dword v0, v21, s[44:45]
	v_sub_u32_e32 v1, v47, v6
	s_waitcnt vmcnt(0)
	v_add_u32_e32 v0, v1, v0
	ds_write_b32 v21, v0
.LBB342_53:
	s_or_b64 exec, exec, s[22:23]
	s_load_dwordx2 s[22:23], s[0:1], 0x4
	v_add_u32_e32 v2, v44, v23
	v_add3_u32 v3, v24, v17, v45
	v_add3_u32 v4, v29, v25, v46
	;; [unrolled: 1-line block ×3, first 2 shown]
	s_waitcnt lgkmcnt(0)
	s_lshr_b32 s0, s22, 16
	s_mul_i32 s0, s0, s23
	v_mul_lo_u32 v0, s0, v8
	v_mad_u32_u24 v0, v9, s23, v0
	v_add_lshl_u32 v0, v0, v18, 5
	v_add3_u32 v17, v38, v35, v22
	v_add3_u32 v22, v40, v39, v26
	;; [unrolled: 1-line block ×4, first 2 shown]
	v_add_u32_e32 v37, 0x5050, v0
	v_add_u32_e32 v25, 0x5060, v0
	v_lshlrev_b32_e32 v26, 2, v24
	v_lshlrev_b32_e32 v28, 2, v23
	;; [unrolled: 1-line block ×8, first 2 shown]
	s_mov_b64 s[0:1], -1
	s_mov_b32 s24, 0
	s_brev_b32 s25, -2
	v_mov_b32_e32 v1, 0
	s_movk_i32 s28, 0x400
	s_movk_i32 s29, 0x800
	;; [unrolled: 1-line block ×3, first 2 shown]
	v_bfrev_b32_e32 v38, 1
	v_mov_b32_e32 v39, v2
	v_mov_b32_e32 v40, v3
	;; [unrolled: 1-line block ×10, first 2 shown]
	s_branch .LBB342_55
.LBB342_54:                             ;   in Loop: Header=BB342_55 Depth=1
	s_or_b64 exec, exec, s[22:23]
	s_xor_b64 s[22:23], s[0:1], -1
	v_add_u32_e32 v47, 0x1000, v47
	s_addk_i32 s24, 0xc000
	s_mov_b64 s[0:1], 0
	s_and_b64 vcc, exec, s[22:23]
	v_mov_b32_e32 v48, v25
	s_waitcnt lgkmcnt(0)
	s_barrier
	s_cbranch_vccnz .LBB342_79
.LBB342_55:                             ; =>This Inner Loop Header: Depth=1
	v_subrev_co_u32_e32 v39, vcc, 0x1000, v39
	s_and_saveexec_b64 s[22:23], vcc
	s_cbranch_execz .LBB342_63
; %bb.56:                               ;   in Loop: Header=BB342_55 Depth=1
	v_add_u32_e32 v0, s24, v35
	ds_write_b32 v0, v11 offset:1024
	s_or_b64 exec, exec, s[22:23]
	v_subrev_co_u32_e32 v40, vcc, 0x1000, v40
	s_and_saveexec_b64 s[22:23], vcc
	s_cbranch_execnz .LBB342_64
.LBB342_57:                             ;   in Loop: Header=BB342_55 Depth=1
	s_or_b64 exec, exec, s[22:23]
	v_subrev_co_u32_e32 v41, vcc, 0x1000, v41
	s_and_saveexec_b64 s[22:23], vcc
	s_cbranch_execz .LBB342_65
.LBB342_58:                             ;   in Loop: Header=BB342_55 Depth=1
	v_add_u32_e32 v0, s24, v33
	ds_write_b32 v0, v16 offset:1024
	s_or_b64 exec, exec, s[22:23]
	v_subrev_co_u32_e32 v42, vcc, 0x1000, v42
	s_and_saveexec_b64 s[22:23], vcc
	s_cbranch_execnz .LBB342_66
.LBB342_59:                             ;   in Loop: Header=BB342_55 Depth=1
	s_or_b64 exec, exec, s[22:23]
	v_subrev_co_u32_e32 v43, vcc, 0x1000, v43
	s_and_saveexec_b64 s[22:23], vcc
	s_cbranch_execz .LBB342_67
.LBB342_60:                             ;   in Loop: Header=BB342_55 Depth=1
	v_add_u32_e32 v0, s24, v30
	ds_write_b32 v0, v15 offset:1024
	s_or_b64 exec, exec, s[22:23]
	v_subrev_co_u32_e32 v44, vcc, 0x1000, v44
	s_and_saveexec_b64 s[22:23], vcc
	s_cbranch_execnz .LBB342_68
.LBB342_61:                             ;   in Loop: Header=BB342_55 Depth=1
	s_or_b64 exec, exec, s[22:23]
	v_subrev_co_u32_e32 v45, vcc, 0x1000, v45
	s_and_saveexec_b64 s[22:23], vcc
	s_cbranch_execz .LBB342_69
.LBB342_62:                             ;   in Loop: Header=BB342_55 Depth=1
	v_add_u32_e32 v0, s24, v28
	ds_write_b32 v0, v31 offset:1024
	s_or_b64 exec, exec, s[22:23]
	v_subrev_co_u32_e32 v46, vcc, 0x1000, v46
	s_and_saveexec_b64 s[22:23], vcc
	s_cbranch_execnz .LBB342_70
	s_branch .LBB342_71
.LBB342_63:                             ;   in Loop: Header=BB342_55 Depth=1
	s_or_b64 exec, exec, s[22:23]
	v_subrev_co_u32_e32 v40, vcc, 0x1000, v40
	s_and_saveexec_b64 s[22:23], vcc
	s_cbranch_execz .LBB342_57
.LBB342_64:                             ;   in Loop: Header=BB342_55 Depth=1
	v_add_u32_e32 v0, s24, v34
	ds_write_b32 v0, v13 offset:1024
	s_or_b64 exec, exec, s[22:23]
	v_subrev_co_u32_e32 v41, vcc, 0x1000, v41
	s_and_saveexec_b64 s[22:23], vcc
	s_cbranch_execnz .LBB342_58
.LBB342_65:                             ;   in Loop: Header=BB342_55 Depth=1
	s_or_b64 exec, exec, s[22:23]
	v_subrev_co_u32_e32 v42, vcc, 0x1000, v42
	s_and_saveexec_b64 s[22:23], vcc
	s_cbranch_execz .LBB342_59
.LBB342_66:                             ;   in Loop: Header=BB342_55 Depth=1
	v_add_u32_e32 v0, s24, v32
	ds_write_b32 v0, v14 offset:1024
	s_or_b64 exec, exec, s[22:23]
	v_subrev_co_u32_e32 v43, vcc, 0x1000, v43
	s_and_saveexec_b64 s[22:23], vcc
	s_cbranch_execnz .LBB342_60
.LBB342_67:                             ;   in Loop: Header=BB342_55 Depth=1
	s_or_b64 exec, exec, s[22:23]
	v_subrev_co_u32_e32 v44, vcc, 0x1000, v44
	s_and_saveexec_b64 s[22:23], vcc
	s_cbranch_execz .LBB342_61
.LBB342_68:                             ;   in Loop: Header=BB342_55 Depth=1
	v_add_u32_e32 v0, s24, v29
	ds_write_b32 v0, v27 offset:1024
	s_or_b64 exec, exec, s[22:23]
	v_subrev_co_u32_e32 v45, vcc, 0x1000, v45
	s_and_saveexec_b64 s[22:23], vcc
	s_cbranch_execnz .LBB342_62
.LBB342_69:                             ;   in Loop: Header=BB342_55 Depth=1
	s_or_b64 exec, exec, s[22:23]
	v_subrev_co_u32_e32 v46, vcc, 0x1000, v46
	s_and_saveexec_b64 s[22:23], vcc
.LBB342_70:                             ;   in Loop: Header=BB342_55 Depth=1
	v_add_u32_e32 v0, s24, v26
	ds_write_b32 v0, v36 offset:1024
.LBB342_71:                             ;   in Loop: Header=BB342_55 Depth=1
	s_or_b64 exec, exec, s[22:23]
	v_cmp_gt_u32_e32 vcc, s5, v47
	s_waitcnt lgkmcnt(0)
	s_barrier
	s_and_saveexec_b64 s[22:23], vcc
	s_cbranch_execz .LBB342_73
; %bb.72:                               ;   in Loop: Header=BB342_55 Depth=1
	ds_read_b32 v0, v21 offset:1024
	s_waitcnt lgkmcnt(0)
	v_cmp_ne_u32_e32 vcc, s25, v0
	s_nop 1
	v_cndmask_b32_e32 v49, v38, v0, vcc
	v_lshrrev_b32_e32 v49, s48, v49
	v_and_b32_e32 v49, s54, v49
	v_lshlrev_b32_e32 v50, 2, v49
	ds_read_b32 v50, v50
	v_cmp_lt_i32_e32 vcc, -1, v0
	ds_write_b32 v48, v49
	s_nop 0
	v_cndmask_b32_e64 v51, v38, -1, vcc
	v_xor_b32_e32 v52, v51, v0
	s_waitcnt lgkmcnt(1)
	v_add_u32_e32 v0, v47, v50
	v_lshl_add_u64 v[50:51], v[0:1], 2, s[38:39]
	global_store_dword v[50:51], v52, off
.LBB342_73:                             ;   in Loop: Header=BB342_55 Depth=1
	s_or_b64 exec, exec, s[22:23]
	v_add_u32_e32 v0, 0x400, v47
	v_cmp_gt_u32_e32 vcc, s5, v0
	s_and_saveexec_b64 s[22:23], vcc
	s_cbranch_execz .LBB342_75
; %bb.74:                               ;   in Loop: Header=BB342_55 Depth=1
	ds_read_b32 v0, v21 offset:5120
	s_waitcnt lgkmcnt(0)
	v_cmp_ne_u32_e32 vcc, s25, v0
	s_nop 1
	v_cndmask_b32_e32 v49, v38, v0, vcc
	v_lshrrev_b32_e32 v49, s48, v49
	v_and_b32_e32 v49, s54, v49
	v_lshlrev_b32_e32 v50, 2, v49
	ds_read_b32 v50, v50
	v_cmp_lt_i32_e32 vcc, -1, v0
	ds_write_b32 v48, v49 offset:4
	s_nop 0
	v_cndmask_b32_e64 v51, v38, -1, vcc
	v_xor_b32_e32 v52, v51, v0
	s_waitcnt lgkmcnt(1)
	v_add3_u32 v0, v47, v50, s28
	v_lshl_add_u64 v[50:51], v[0:1], 2, s[38:39]
	global_store_dword v[50:51], v52, off
.LBB342_75:                             ;   in Loop: Header=BB342_55 Depth=1
	s_or_b64 exec, exec, s[22:23]
	v_add_u32_e32 v0, 0x800, v47
	v_cmp_gt_u32_e32 vcc, s5, v0
	s_and_saveexec_b64 s[22:23], vcc
	s_cbranch_execz .LBB342_77
; %bb.76:                               ;   in Loop: Header=BB342_55 Depth=1
	ds_read_b32 v0, v21 offset:9216
	s_waitcnt lgkmcnt(0)
	v_cmp_ne_u32_e32 vcc, s25, v0
	s_nop 1
	v_cndmask_b32_e32 v49, v38, v0, vcc
	v_lshrrev_b32_e32 v49, s48, v49
	v_and_b32_e32 v49, s54, v49
	v_lshlrev_b32_e32 v50, 2, v49
	ds_read_b32 v50, v50
	v_cmp_lt_i32_e32 vcc, -1, v0
	ds_write_b32 v48, v49 offset:8
	s_nop 0
	v_cndmask_b32_e64 v51, v38, -1, vcc
	v_xor_b32_e32 v52, v51, v0
	s_waitcnt lgkmcnt(1)
	v_add3_u32 v0, v47, v50, s29
	v_lshl_add_u64 v[50:51], v[0:1], 2, s[38:39]
	global_store_dword v[50:51], v52, off
.LBB342_77:                             ;   in Loop: Header=BB342_55 Depth=1
	s_or_b64 exec, exec, s[22:23]
	v_add_u32_e32 v0, 0xc00, v47
	v_cmp_gt_u32_e32 vcc, s5, v0
	s_and_saveexec_b64 s[22:23], vcc
	s_cbranch_execz .LBB342_54
; %bb.78:                               ;   in Loop: Header=BB342_55 Depth=1
	ds_read_b32 v0, v21 offset:13312
	s_waitcnt lgkmcnt(0)
	v_cmp_ne_u32_e32 vcc, s25, v0
	s_nop 1
	v_cndmask_b32_e32 v49, v38, v0, vcc
	v_lshrrev_b32_e32 v49, s48, v49
	v_and_b32_e32 v49, s54, v49
	v_lshlrev_b32_e32 v50, 2, v49
	ds_read_b32 v50, v50
	v_cmp_lt_i32_e32 vcc, -1, v0
	ds_write_b32 v48, v49 offset:12
	s_nop 0
	v_cndmask_b32_e64 v51, v38, -1, vcc
	v_xor_b32_e32 v52, v51, v0
	s_waitcnt lgkmcnt(1)
	v_add3_u32 v0, v47, v50, s30
	v_lshl_add_u64 v[50:51], v[0:1], 2, s[38:39]
	global_store_dword v[50:51], v52, off
	s_branch .LBB342_54
.LBB342_79:
	s_add_u32 s0, s40, s50
	s_addc_u32 s1, s41, s51
	v_mov_b32_e32 v11, 0
	v_lshl_add_u64 v[0:1], s[0:1], 0, v[10:11]
	v_mov_b32_e32 v13, v11
	v_lshl_add_u64 v[0:1], v[0:1], 0, v[12:13]
                                        ; implicit-def: $vgpr10
	s_and_saveexec_b64 s[0:1], s[18:19]
	s_cbranch_execz .LBB342_87
; %bb.80:
	global_load_dword v10, v[0:1], off
	s_or_b64 exec, exec, s[0:1]
                                        ; implicit-def: $vgpr11
	s_and_saveexec_b64 s[0:1], s[26:27]
	s_cbranch_execnz .LBB342_88
.LBB342_81:
	s_or_b64 exec, exec, s[0:1]
                                        ; implicit-def: $vgpr12
	s_and_saveexec_b64 s[0:1], s[6:7]
	s_cbranch_execz .LBB342_89
.LBB342_82:
	global_load_dword v12, v[0:1], off offset:512
	s_or_b64 exec, exec, s[0:1]
                                        ; implicit-def: $vgpr13
	s_and_saveexec_b64 s[0:1], s[8:9]
	s_cbranch_execnz .LBB342_90
.LBB342_83:
	s_or_b64 exec, exec, s[0:1]
                                        ; implicit-def: $vgpr14
	s_and_saveexec_b64 s[0:1], s[10:11]
	s_cbranch_execz .LBB342_91
.LBB342_84:
	global_load_dword v14, v[0:1], off offset:1024
	s_or_b64 exec, exec, s[0:1]
                                        ; implicit-def: $vgpr15
	s_and_saveexec_b64 s[0:1], s[12:13]
	s_cbranch_execnz .LBB342_92
.LBB342_85:
	s_or_b64 exec, exec, s[0:1]
                                        ; implicit-def: $vgpr16
	s_and_saveexec_b64 s[0:1], s[14:15]
	s_cbranch_execz .LBB342_93
.LBB342_86:
	global_load_dword v16, v[0:1], off offset:1536
	s_or_b64 exec, exec, s[0:1]
                                        ; implicit-def: $vgpr27
	s_and_saveexec_b64 s[0:1], s[16:17]
	s_cbranch_execnz .LBB342_94
	s_branch .LBB342_95
.LBB342_87:
	s_or_b64 exec, exec, s[0:1]
                                        ; implicit-def: $vgpr11
	s_and_saveexec_b64 s[0:1], s[26:27]
	s_cbranch_execz .LBB342_81
.LBB342_88:
	global_load_dword v11, v[0:1], off offset:256
	s_or_b64 exec, exec, s[0:1]
                                        ; implicit-def: $vgpr12
	s_and_saveexec_b64 s[0:1], s[6:7]
	s_cbranch_execnz .LBB342_82
.LBB342_89:
	s_or_b64 exec, exec, s[0:1]
                                        ; implicit-def: $vgpr13
	s_and_saveexec_b64 s[0:1], s[8:9]
	s_cbranch_execz .LBB342_83
.LBB342_90:
	global_load_dword v13, v[0:1], off offset:768
	s_or_b64 exec, exec, s[0:1]
                                        ; implicit-def: $vgpr14
	s_and_saveexec_b64 s[0:1], s[10:11]
	s_cbranch_execnz .LBB342_84
.LBB342_91:
	s_or_b64 exec, exec, s[0:1]
                                        ; implicit-def: $vgpr15
	s_and_saveexec_b64 s[0:1], s[12:13]
	s_cbranch_execz .LBB342_85
.LBB342_92:
	global_load_dword v15, v[0:1], off offset:1280
	s_or_b64 exec, exec, s[0:1]
                                        ; implicit-def: $vgpr16
	s_and_saveexec_b64 s[0:1], s[14:15]
	s_cbranch_execnz .LBB342_86
.LBB342_93:
	s_or_b64 exec, exec, s[0:1]
                                        ; implicit-def: $vgpr27
	s_and_saveexec_b64 s[0:1], s[16:17]
	s_cbranch_execz .LBB342_95
.LBB342_94:
	global_load_dword v27, v[0:1], off offset:1792
.LBB342_95:
	s_or_b64 exec, exec, s[0:1]
	s_mov_b64 s[0:1], -1
	s_mov_b32 s8, 0
	v_mov_b32_e32 v1, 0
	s_movk_i32 s9, 0x400
	s_movk_i32 s10, 0x800
	;; [unrolled: 1-line block ×3, first 2 shown]
	v_mov_b32_e32 v31, v8
	s_waitcnt vmcnt(0)
	s_branch .LBB342_97
.LBB342_96:                             ;   in Loop: Header=BB342_97 Depth=1
	s_or_b64 exec, exec, s[6:7]
	s_xor_b64 s[6:7], s[0:1], -1
	v_add_u32_e32 v31, 0x1000, v31
	s_addk_i32 s8, 0xc000
	s_mov_b64 s[0:1], 0
	s_and_b64 vcc, exec, s[6:7]
	v_mov_b32_e32 v37, v25
	s_barrier
	s_cbranch_vccnz .LBB342_121
.LBB342_97:                             ; =>This Inner Loop Header: Depth=1
	v_subrev_co_u32_e32 v2, vcc, 0x1000, v2
	s_and_saveexec_b64 s[6:7], vcc
	s_cbranch_execz .LBB342_105
; %bb.98:                               ;   in Loop: Header=BB342_97 Depth=1
	v_add_u32_e32 v0, s8, v35
	ds_write_b32 v0, v10 offset:1024
	s_or_b64 exec, exec, s[6:7]
	v_subrev_co_u32_e32 v3, vcc, 0x1000, v3
	s_and_saveexec_b64 s[6:7], vcc
	s_cbranch_execnz .LBB342_106
.LBB342_99:                             ;   in Loop: Header=BB342_97 Depth=1
	s_or_b64 exec, exec, s[6:7]
	v_subrev_co_u32_e32 v4, vcc, 0x1000, v4
	s_and_saveexec_b64 s[6:7], vcc
	s_cbranch_execz .LBB342_107
.LBB342_100:                            ;   in Loop: Header=BB342_97 Depth=1
	v_add_u32_e32 v0, s8, v33
	ds_write_b32 v0, v12 offset:1024
	s_or_b64 exec, exec, s[6:7]
	v_subrev_co_u32_e32 v5, vcc, 0x1000, v5
	s_and_saveexec_b64 s[6:7], vcc
	s_cbranch_execnz .LBB342_108
.LBB342_101:                            ;   in Loop: Header=BB342_97 Depth=1
	s_or_b64 exec, exec, s[6:7]
	v_subrev_co_u32_e32 v17, vcc, 0x1000, v17
	s_and_saveexec_b64 s[6:7], vcc
	s_cbranch_execz .LBB342_109
.LBB342_102:                            ;   in Loop: Header=BB342_97 Depth=1
	v_add_u32_e32 v0, s8, v30
	ds_write_b32 v0, v14 offset:1024
	s_or_b64 exec, exec, s[6:7]
	v_subrev_co_u32_e32 v22, vcc, 0x1000, v22
	s_and_saveexec_b64 s[6:7], vcc
	s_cbranch_execnz .LBB342_110
.LBB342_103:                            ;   in Loop: Header=BB342_97 Depth=1
	s_or_b64 exec, exec, s[6:7]
	v_subrev_co_u32_e32 v23, vcc, 0x1000, v23
	s_and_saveexec_b64 s[6:7], vcc
	s_cbranch_execz .LBB342_111
.LBB342_104:                            ;   in Loop: Header=BB342_97 Depth=1
	v_add_u32_e32 v0, s8, v28
	ds_write_b32 v0, v16 offset:1024
	s_or_b64 exec, exec, s[6:7]
	v_subrev_co_u32_e32 v24, vcc, 0x1000, v24
	s_and_saveexec_b64 s[6:7], vcc
	s_cbranch_execnz .LBB342_112
	s_branch .LBB342_113
.LBB342_105:                            ;   in Loop: Header=BB342_97 Depth=1
	s_or_b64 exec, exec, s[6:7]
	v_subrev_co_u32_e32 v3, vcc, 0x1000, v3
	s_and_saveexec_b64 s[6:7], vcc
	s_cbranch_execz .LBB342_99
.LBB342_106:                            ;   in Loop: Header=BB342_97 Depth=1
	v_add_u32_e32 v0, s8, v34
	ds_write_b32 v0, v11 offset:1024
	s_or_b64 exec, exec, s[6:7]
	v_subrev_co_u32_e32 v4, vcc, 0x1000, v4
	s_and_saveexec_b64 s[6:7], vcc
	s_cbranch_execnz .LBB342_100
.LBB342_107:                            ;   in Loop: Header=BB342_97 Depth=1
	s_or_b64 exec, exec, s[6:7]
	v_subrev_co_u32_e32 v5, vcc, 0x1000, v5
	s_and_saveexec_b64 s[6:7], vcc
	s_cbranch_execz .LBB342_101
.LBB342_108:                            ;   in Loop: Header=BB342_97 Depth=1
	v_add_u32_e32 v0, s8, v32
	ds_write_b32 v0, v13 offset:1024
	s_or_b64 exec, exec, s[6:7]
	v_subrev_co_u32_e32 v17, vcc, 0x1000, v17
	s_and_saveexec_b64 s[6:7], vcc
	s_cbranch_execnz .LBB342_102
.LBB342_109:                            ;   in Loop: Header=BB342_97 Depth=1
	s_or_b64 exec, exec, s[6:7]
	v_subrev_co_u32_e32 v22, vcc, 0x1000, v22
	s_and_saveexec_b64 s[6:7], vcc
	s_cbranch_execz .LBB342_103
.LBB342_110:                            ;   in Loop: Header=BB342_97 Depth=1
	v_add_u32_e32 v0, s8, v29
	ds_write_b32 v0, v15 offset:1024
	s_or_b64 exec, exec, s[6:7]
	v_subrev_co_u32_e32 v23, vcc, 0x1000, v23
	s_and_saveexec_b64 s[6:7], vcc
	s_cbranch_execnz .LBB342_104
.LBB342_111:                            ;   in Loop: Header=BB342_97 Depth=1
	s_or_b64 exec, exec, s[6:7]
	v_subrev_co_u32_e32 v24, vcc, 0x1000, v24
	s_and_saveexec_b64 s[6:7], vcc
.LBB342_112:                            ;   in Loop: Header=BB342_97 Depth=1
	v_add_u32_e32 v0, s8, v26
	ds_write_b32 v0, v27 offset:1024
.LBB342_113:                            ;   in Loop: Header=BB342_97 Depth=1
	s_or_b64 exec, exec, s[6:7]
	v_cmp_gt_u32_e32 vcc, s5, v31
	s_waitcnt lgkmcnt(0)
	s_barrier
	s_and_saveexec_b64 s[6:7], vcc
	s_cbranch_execz .LBB342_115
; %bb.114:                              ;   in Loop: Header=BB342_97 Depth=1
	ds_read_b32 v0, v37
	s_waitcnt lgkmcnt(0)
	v_lshlrev_b32_e32 v0, 2, v0
	ds_read_b32 v0, v0
	ds_read_b32 v36, v21 offset:1024
	s_waitcnt lgkmcnt(1)
	v_add_u32_e32 v0, v31, v0
	v_lshl_add_u64 v[38:39], v[0:1], 2, s[42:43]
	s_waitcnt lgkmcnt(0)
	global_store_dword v[38:39], v36, off
.LBB342_115:                            ;   in Loop: Header=BB342_97 Depth=1
	s_or_b64 exec, exec, s[6:7]
	v_add_u32_e32 v0, 0x400, v31
	v_cmp_gt_u32_e32 vcc, s5, v0
	s_and_saveexec_b64 s[6:7], vcc
	s_cbranch_execz .LBB342_117
; %bb.116:                              ;   in Loop: Header=BB342_97 Depth=1
	ds_read_b32 v0, v37 offset:4
	s_waitcnt lgkmcnt(0)
	v_lshlrev_b32_e32 v0, 2, v0
	ds_read_b32 v0, v0
	ds_read_b32 v36, v21 offset:5120
	s_waitcnt lgkmcnt(1)
	v_add3_u32 v0, v31, v0, s9
	v_lshl_add_u64 v[38:39], v[0:1], 2, s[42:43]
	s_waitcnt lgkmcnt(0)
	global_store_dword v[38:39], v36, off
.LBB342_117:                            ;   in Loop: Header=BB342_97 Depth=1
	s_or_b64 exec, exec, s[6:7]
	v_add_u32_e32 v0, 0x800, v31
	v_cmp_gt_u32_e32 vcc, s5, v0
	s_and_saveexec_b64 s[6:7], vcc
	s_cbranch_execz .LBB342_119
; %bb.118:                              ;   in Loop: Header=BB342_97 Depth=1
	ds_read_b32 v0, v37 offset:8
	s_waitcnt lgkmcnt(0)
	v_lshlrev_b32_e32 v0, 2, v0
	ds_read_b32 v0, v0
	ds_read_b32 v36, v21 offset:9216
	s_waitcnt lgkmcnt(1)
	v_add3_u32 v0, v31, v0, s10
	v_lshl_add_u64 v[38:39], v[0:1], 2, s[42:43]
	s_waitcnt lgkmcnt(0)
	global_store_dword v[38:39], v36, off
.LBB342_119:                            ;   in Loop: Header=BB342_97 Depth=1
	s_or_b64 exec, exec, s[6:7]
	v_add_u32_e32 v0, 0xc00, v31
	v_cmp_gt_u32_e32 vcc, s5, v0
	s_and_saveexec_b64 s[6:7], vcc
	s_cbranch_execz .LBB342_96
; %bb.120:                              ;   in Loop: Header=BB342_97 Depth=1
	ds_read_b32 v0, v37 offset:12
	s_waitcnt lgkmcnt(0)
	v_lshlrev_b32_e32 v0, 2, v0
	ds_read_b32 v0, v0
	ds_read_b32 v38, v21 offset:13312
	s_waitcnt lgkmcnt(1)
	v_add3_u32 v0, v31, v0, s11
	v_lshl_add_u64 v[36:37], v[0:1], 2, s[42:43]
	s_waitcnt lgkmcnt(0)
	global_store_dword v[36:37], v38, off
	s_branch .LBB342_96
.LBB342_121:
	s_add_i32 s33, s33, -1
	s_cmp_eq_u32 s4, s33
	s_cselect_b64 s[0:1], -1, 0
	s_xor_b64 s[6:7], s[20:21], -1
	s_and_b64 s[6:7], s[6:7], s[0:1]
	s_and_saveexec_b64 s[0:1], s[6:7]
	s_cbranch_execz .LBB342_123
; %bb.122:
	ds_read_b32 v0, v21
	s_waitcnt lgkmcnt(0)
	v_add3_u32 v0, v6, v7, v0
	global_store_dword v21, v0, s[46:47]
.LBB342_123:
	s_or_b64 exec, exec, s[0:1]
	s_mov_b64 s[6:7], 0
.LBB342_124:
	s_and_b64 vcc, exec, s[6:7]
	s_cbranch_vccz .LBB342_199
; %bb.125:
	s_lshl_b32 s0, s4, 13
	s_mov_b32 s1, 0
	s_lshl_b64 s[10:11], s[0:1], 2
	v_mbcnt_hi_u32_b32 v10, -1, v20
	s_add_u32 s0, s36, s10
	v_and_b32_e32 v0, 63, v10
	v_mov_b32_e32 v5, 0
	s_addc_u32 s1, s37, s11
	v_lshlrev_b32_e32 v0, 2, v0
	v_mov_b32_e32 v1, v5
	v_lshl_add_u64 v[6:7], s[0:1], 0, v[0:1]
	s_load_dword s5, s[2:3], 0x58
	s_load_dword s0, s[2:3], 0x64
	v_and_b32_e32 v2, 0x1e00, v19
	v_lshlrev_b32_e32 v2, 2, v2
	v_mov_b32_e32 v3, v5
	v_lshl_add_u64 v[6:7], v[6:7], 0, v[2:3]
	global_load_dword v1, v[6:7], off
	s_add_u32 s1, s2, 0x58
	s_addc_u32 s2, s3, 0
	s_waitcnt lgkmcnt(0)
	s_lshr_b32 s3, s0, 16
	s_cmp_lt_u32 s4, s5
	s_cselect_b32 s0, 12, 18
	s_add_u32 s0, s1, s0
	s_addc_u32 s1, s2, 0
	global_load_ushort v4, v5, s[0:1]
	v_mul_u32_u24_e32 v11, 20, v8
	ds_write2_b32 v11, v5, v5 offset0:16 offset1:17
	ds_write2_b32 v11, v5, v5 offset0:18 offset1:19
	ds_write_b32 v11, v5 offset:80
	global_load_dword v3, v[6:7], off offset:256
	global_load_dword v20, v[6:7], off offset:512
	;; [unrolled: 1-line block ×7, first 2 shown]
	v_bfrev_b32_e32 v13, 1
	s_brev_b32 s12, -2
	v_mad_u32_u24 v6, v18, s3, v9
	s_lshl_b32 s2, -1, s49
	s_movk_i32 s13, 0x44
	v_mov_b32_e32 v28, v5
	v_mov_b32_e32 v30, v5
	;; [unrolled: 1-line block ×3, first 2 shown]
	s_not_b32 s14, s2
	v_mov_b32_e32 v34, v5
	s_waitcnt lgkmcnt(0)
	s_barrier
	s_waitcnt vmcnt(8)
	; wave barrier
	v_cmp_lt_i32_e32 vcc, -1, v1
	s_nop 1
	v_cndmask_b32_e32 v7, -1, v13, vcc
	v_xor_b32_e32 v1, v7, v1
	v_cmp_ne_u32_e32 vcc, s12, v1
	s_nop 1
	v_cndmask_b32_e32 v7, v13, v1, vcc
	v_lshrrev_b32_e32 v9, s48, v7
	s_waitcnt vmcnt(7)
	v_mad_u64_u32 v[6:7], s[0:1], v6, v4, v[8:9]
	v_bitop3_b32 v9, v9, s2, v9 bitop3:0x30
	v_lshrrev_b32_e32 v24, 6, v6
	v_mul_lo_u32 v6, v9, s13
	v_and_b32_e32 v4, 1, v9
	v_lshlrev_b32_e32 v29, 30, v9
	v_lshlrev_b32_e32 v31, 29, v9
	v_lshl_add_u32 v15, v24, 2, v6
	v_lshl_add_u64 v[6:7], v[4:5], 0, -1
	v_cmp_ne_u32_e32 vcc, 0, v4
	v_not_b32_e32 v4, v29
	v_lshlrev_b32_e32 v33, 28, v9
	v_cmp_gt_i64_e64 s[0:1], 0, v[28:29]
	v_not_b32_e32 v12, v31
	v_xor_b32_e32 v7, vcc_hi, v7
	v_xor_b32_e32 v6, vcc_lo, v6
	v_ashrrev_i32_e32 v4, 31, v4
	v_lshlrev_b32_e32 v35, 27, v9
	v_cmp_gt_i64_e64 s[2:3], 0, v[30:31]
	v_not_b32_e32 v16, v33
	v_ashrrev_i32_e32 v12, 31, v12
	v_and_b32_e32 v7, exec_hi, v7
	v_and_b32_e32 v6, exec_lo, v6
	v_xor_b32_e32 v19, s1, v4
	v_xor_b32_e32 v4, s0, v4
	v_cmp_gt_i64_e64 s[6:7], 0, v[32:33]
	v_not_b32_e32 v18, v35
	v_ashrrev_i32_e32 v16, 31, v16
	v_xor_b32_e32 v22, s3, v12
	v_xor_b32_e32 v12, s2, v12
	v_and_b32_e32 v7, v7, v19
	v_and_b32_e32 v4, v6, v4
	v_cmp_gt_i64_e64 s[8:9], 0, v[34:35]
	v_ashrrev_i32_e32 v18, 31, v18
	v_xor_b32_e32 v25, s7, v16
	v_xor_b32_e32 v16, s6, v16
	v_and_b32_e32 v6, v7, v22
	v_and_b32_e32 v4, v4, v12
	v_xor_b32_e32 v26, s9, v18
	v_and_b32_e32 v6, v6, v25
	v_and_b32_e32 v4, v4, v16
	;; [unrolled: 3-line block ×3, first 2 shown]
	v_lshlrev_b32_e32 v7, 26, v9
	v_mov_b32_e32 v6, v5
	v_cmp_gt_i64_e32 vcc, 0, v[6:7]
	v_not_b32_e32 v6, v7
	v_ashrrev_i32_e32 v6, 31, v6
	v_xor_b32_e32 v7, vcc_hi, v6
	v_xor_b32_e32 v6, vcc_lo, v6
	v_and_b32_e32 v12, v12, v7
	v_and_b32_e32 v4, v4, v6
	v_lshlrev_b32_e32 v7, 25, v9
	v_mov_b32_e32 v6, v5
	v_cmp_gt_i64_e32 vcc, 0, v[6:7]
	v_not_b32_e32 v6, v7
	v_ashrrev_i32_e32 v6, 31, v6
	v_xor_b32_e32 v7, vcc_hi, v6
	v_xor_b32_e32 v6, vcc_lo, v6
	v_and_b32_e32 v12, v12, v7
	v_and_b32_e32 v4, v4, v6
	;; [unrolled: 9-line block ×3, first 2 shown]
	v_mbcnt_lo_u32_b32 v4, v6, 0
	v_mbcnt_hi_u32_b32 v12, v7, v4
	v_cmp_eq_u32_e32 vcc, 0, v12
	v_cmp_ne_u64_e64 s[0:1], 0, v[6:7]
	s_and_b64 s[2:3], s[0:1], vcc
	s_and_saveexec_b64 s[0:1], s[2:3]
; %bb.126:
	v_bcnt_u32_b32 v4, v6, 0
	v_bcnt_u32_b32 v4, v7, v4
	ds_write_b32 v15, v4 offset:64
; %bb.127:
	s_or_b64 exec, exec, s[0:1]
	s_waitcnt vmcnt(6)
	v_cmp_lt_i32_e32 vcc, -1, v3
	; wave barrier
	s_nop 1
	v_cndmask_b32_e32 v4, -1, v13, vcc
	v_xor_b32_e32 v3, v4, v3
	v_cmp_ne_u32_e32 vcc, s12, v3
	s_nop 1
	v_cndmask_b32_e32 v4, v13, v3, vcc
	v_lshrrev_b32_e32 v4, s48, v4
	v_and_b32_e32 v9, s14, v4
	v_mul_lo_u32 v4, v9, s13
	v_lshl_add_u32 v19, v24, 2, v4
	v_and_b32_e32 v4, 1, v9
	v_lshl_add_u64 v[6:7], v[4:5], 0, -1
	v_cmp_ne_u32_e32 vcc, 0, v4
	ds_read_b32 v13, v19 offset:64
	s_nop 0
	v_xor_b32_e32 v6, vcc_lo, v6
	v_xor_b32_e32 v4, vcc_hi, v7
	v_and_b32_e32 v16, exec_lo, v6
	v_lshlrev_b32_e32 v7, 30, v9
	v_mov_b32_e32 v6, v5
	v_cmp_gt_i64_e32 vcc, 0, v[6:7]
	v_not_b32_e32 v6, v7
	v_ashrrev_i32_e32 v6, 31, v6
	v_and_b32_e32 v4, exec_hi, v4
	v_xor_b32_e32 v7, vcc_hi, v6
	v_xor_b32_e32 v6, vcc_lo, v6
	v_and_b32_e32 v4, v4, v7
	v_and_b32_e32 v16, v16, v6
	v_lshlrev_b32_e32 v7, 29, v9
	v_mov_b32_e32 v6, v5
	v_cmp_gt_i64_e32 vcc, 0, v[6:7]
	v_not_b32_e32 v6, v7
	v_ashrrev_i32_e32 v6, 31, v6
	v_xor_b32_e32 v7, vcc_hi, v6
	v_xor_b32_e32 v6, vcc_lo, v6
	v_and_b32_e32 v4, v4, v7
	v_and_b32_e32 v16, v16, v6
	v_lshlrev_b32_e32 v7, 28, v9
	v_mov_b32_e32 v6, v5
	v_cmp_gt_i64_e32 vcc, 0, v[6:7]
	v_not_b32_e32 v6, v7
	v_ashrrev_i32_e32 v6, 31, v6
	;; [unrolled: 9-line block ×5, first 2 shown]
	v_xor_b32_e32 v7, vcc_hi, v6
	v_xor_b32_e32 v6, vcc_lo, v6
	v_and_b32_e32 v4, v4, v7
	v_lshlrev_b32_e32 v7, 24, v9
	v_and_b32_e32 v16, v16, v6
	v_mov_b32_e32 v6, v5
	v_not_b32_e32 v5, v7
	v_cmp_gt_i64_e32 vcc, 0, v[6:7]
	v_ashrrev_i32_e32 v5, 31, v5
	; wave barrier
	s_nop 0
	v_xor_b32_e32 v6, vcc_hi, v5
	v_xor_b32_e32 v7, vcc_lo, v5
	v_and_b32_e32 v5, v4, v6
	v_and_b32_e32 v4, v16, v7
	v_mbcnt_lo_u32_b32 v6, v4, 0
	v_mbcnt_hi_u32_b32 v16, v5, v6
	v_cmp_eq_u32_e32 vcc, 0, v16
	v_cmp_ne_u64_e64 s[0:1], 0, v[4:5]
	s_and_b64 s[2:3], s[0:1], vcc
	s_and_saveexec_b64 s[0:1], s[2:3]
	s_cbranch_execz .LBB342_129
; %bb.128:
	v_bcnt_u32_b32 v4, v4, 0
	v_bcnt_u32_b32 v4, v5, v4
	s_waitcnt lgkmcnt(0)
	v_add_u32_e32 v4, v13, v4
	ds_write_b32 v19, v4 offset:64
.LBB342_129:
	s_or_b64 exec, exec, s[0:1]
	v_bfrev_b32_e32 v22, 1
	s_waitcnt vmcnt(5)
	v_cmp_lt_i32_e32 vcc, -1, v20
	s_brev_b32 s2, -2
	s_movk_i32 s3, 0x44
	v_cndmask_b32_e32 v4, -1, v22, vcc
	v_xor_b32_e32 v9, v4, v20
	v_cmp_ne_u32_e32 vcc, s2, v9
	v_mov_b32_e32 v5, 0
	s_nop 0
	v_cndmask_b32_e32 v4, v22, v9, vcc
	v_lshrrev_b32_e32 v4, s48, v4
	v_and_b32_e32 v20, s14, v4
	v_mul_lo_u32 v4, v20, s3
	v_lshl_add_u32 v25, v24, 2, v4
	v_and_b32_e32 v4, 1, v20
	v_lshl_add_u64 v[6:7], v[4:5], 0, -1
	v_cmp_ne_u32_e32 vcc, 0, v4
	; wave barrier
	ds_read_b32 v18, v25 offset:64
	s_nop 0
	v_xor_b32_e32 v6, vcc_lo, v6
	v_xor_b32_e32 v4, vcc_hi, v7
	v_and_b32_e32 v26, exec_lo, v6
	v_lshlrev_b32_e32 v7, 30, v20
	v_mov_b32_e32 v6, v5
	v_cmp_gt_i64_e32 vcc, 0, v[6:7]
	v_not_b32_e32 v6, v7
	v_ashrrev_i32_e32 v6, 31, v6
	v_and_b32_e32 v4, exec_hi, v4
	v_xor_b32_e32 v7, vcc_hi, v6
	v_xor_b32_e32 v6, vcc_lo, v6
	v_and_b32_e32 v4, v4, v7
	v_and_b32_e32 v26, v26, v6
	v_lshlrev_b32_e32 v7, 29, v20
	v_mov_b32_e32 v6, v5
	v_cmp_gt_i64_e32 vcc, 0, v[6:7]
	v_not_b32_e32 v6, v7
	v_ashrrev_i32_e32 v6, 31, v6
	v_xor_b32_e32 v7, vcc_hi, v6
	v_xor_b32_e32 v6, vcc_lo, v6
	v_and_b32_e32 v4, v4, v7
	v_and_b32_e32 v26, v26, v6
	v_lshlrev_b32_e32 v7, 28, v20
	v_mov_b32_e32 v6, v5
	v_cmp_gt_i64_e32 vcc, 0, v[6:7]
	v_not_b32_e32 v6, v7
	v_ashrrev_i32_e32 v6, 31, v6
	;; [unrolled: 9-line block ×6, first 2 shown]
	v_xor_b32_e32 v7, vcc_hi, v6
	v_xor_b32_e32 v6, vcc_lo, v6
	v_and_b32_e32 v6, v26, v6
	v_and_b32_e32 v7, v4, v7
	v_mbcnt_lo_u32_b32 v4, v6, 0
	v_mbcnt_hi_u32_b32 v20, v7, v4
	v_cmp_eq_u32_e32 vcc, 0, v20
	v_cmp_ne_u64_e64 s[0:1], 0, v[6:7]
	s_and_b64 s[6:7], s[0:1], vcc
	; wave barrier
	s_and_saveexec_b64 s[0:1], s[6:7]
	s_cbranch_execz .LBB342_131
; %bb.130:
	v_bcnt_u32_b32 v4, v6, 0
	v_bcnt_u32_b32 v4, v7, v4
	s_waitcnt lgkmcnt(0)
	v_add_u32_e32 v4, v18, v4
	ds_write_b32 v25, v4 offset:64
.LBB342_131:
	s_or_b64 exec, exec, s[0:1]
	s_waitcnt vmcnt(4)
	v_cmp_lt_i32_e32 vcc, -1, v14
	; wave barrier
	s_nop 1
	v_cndmask_b32_e32 v4, -1, v22, vcc
	v_xor_b32_e32 v14, v4, v14
	v_cmp_ne_u32_e32 vcc, s2, v14
	s_nop 1
	v_cndmask_b32_e32 v4, v22, v14, vcc
	v_lshrrev_b32_e32 v4, s48, v4
	v_and_b32_e32 v26, s14, v4
	v_mul_lo_u32 v4, v26, s3
	v_lshl_add_u32 v29, v24, 2, v4
	v_and_b32_e32 v4, 1, v26
	v_lshl_add_u64 v[6:7], v[4:5], 0, -1
	v_cmp_ne_u32_e32 vcc, 0, v4
	ds_read_b32 v22, v29 offset:64
	s_nop 0
	v_xor_b32_e32 v6, vcc_lo, v6
	v_xor_b32_e32 v4, vcc_hi, v7
	v_and_b32_e32 v28, exec_lo, v6
	v_lshlrev_b32_e32 v7, 30, v26
	v_mov_b32_e32 v6, v5
	v_cmp_gt_i64_e32 vcc, 0, v[6:7]
	v_not_b32_e32 v6, v7
	v_ashrrev_i32_e32 v6, 31, v6
	v_and_b32_e32 v4, exec_hi, v4
	v_xor_b32_e32 v7, vcc_hi, v6
	v_xor_b32_e32 v6, vcc_lo, v6
	v_and_b32_e32 v4, v4, v7
	v_and_b32_e32 v28, v28, v6
	v_lshlrev_b32_e32 v7, 29, v26
	v_mov_b32_e32 v6, v5
	v_cmp_gt_i64_e32 vcc, 0, v[6:7]
	v_not_b32_e32 v6, v7
	v_ashrrev_i32_e32 v6, 31, v6
	v_xor_b32_e32 v7, vcc_hi, v6
	v_xor_b32_e32 v6, vcc_lo, v6
	v_and_b32_e32 v4, v4, v7
	v_and_b32_e32 v28, v28, v6
	v_lshlrev_b32_e32 v7, 28, v26
	v_mov_b32_e32 v6, v5
	v_cmp_gt_i64_e32 vcc, 0, v[6:7]
	v_not_b32_e32 v6, v7
	v_ashrrev_i32_e32 v6, 31, v6
	;; [unrolled: 9-line block ×5, first 2 shown]
	v_xor_b32_e32 v7, vcc_hi, v6
	v_xor_b32_e32 v6, vcc_lo, v6
	v_and_b32_e32 v4, v4, v7
	v_lshlrev_b32_e32 v7, 24, v26
	v_and_b32_e32 v28, v28, v6
	v_mov_b32_e32 v6, v5
	v_not_b32_e32 v5, v7
	v_cmp_gt_i64_e32 vcc, 0, v[6:7]
	v_ashrrev_i32_e32 v5, 31, v5
	; wave barrier
	s_nop 0
	v_xor_b32_e32 v6, vcc_hi, v5
	v_xor_b32_e32 v7, vcc_lo, v5
	v_and_b32_e32 v5, v4, v6
	v_and_b32_e32 v4, v28, v7
	v_mbcnt_lo_u32_b32 v6, v4, 0
	v_mbcnt_hi_u32_b32 v26, v5, v6
	v_cmp_eq_u32_e32 vcc, 0, v26
	v_cmp_ne_u64_e64 s[0:1], 0, v[4:5]
	s_and_b64 s[2:3], s[0:1], vcc
	s_and_saveexec_b64 s[0:1], s[2:3]
	s_cbranch_execz .LBB342_133
; %bb.132:
	v_bcnt_u32_b32 v4, v4, 0
	v_bcnt_u32_b32 v4, v5, v4
	s_waitcnt lgkmcnt(0)
	v_add_u32_e32 v4, v22, v4
	ds_write_b32 v29, v4 offset:64
.LBB342_133:
	s_or_b64 exec, exec, s[0:1]
	v_bfrev_b32_e32 v31, 1
	s_waitcnt vmcnt(3)
	v_cmp_lt_i32_e32 vcc, -1, v17
	s_brev_b32 s2, -2
	s_movk_i32 s3, 0x44
	v_cndmask_b32_e32 v4, -1, v31, vcc
	v_xor_b32_e32 v17, v4, v17
	v_cmp_ne_u32_e32 vcc, s2, v17
	v_mov_b32_e32 v5, 0
	s_nop 0
	v_cndmask_b32_e32 v4, v31, v17, vcc
	v_lshrrev_b32_e32 v4, s48, v4
	v_and_b32_e32 v30, s14, v4
	v_mul_lo_u32 v4, v30, s3
	v_lshl_add_u32 v33, v24, 2, v4
	v_and_b32_e32 v4, 1, v30
	v_lshl_add_u64 v[6:7], v[4:5], 0, -1
	v_cmp_ne_u32_e32 vcc, 0, v4
	; wave barrier
	ds_read_b32 v28, v33 offset:64
	s_nop 0
	v_xor_b32_e32 v6, vcc_lo, v6
	v_xor_b32_e32 v4, vcc_hi, v7
	v_and_b32_e32 v32, exec_lo, v6
	v_lshlrev_b32_e32 v7, 30, v30
	v_mov_b32_e32 v6, v5
	v_cmp_gt_i64_e32 vcc, 0, v[6:7]
	v_not_b32_e32 v6, v7
	v_ashrrev_i32_e32 v6, 31, v6
	v_and_b32_e32 v4, exec_hi, v4
	v_xor_b32_e32 v7, vcc_hi, v6
	v_xor_b32_e32 v6, vcc_lo, v6
	v_and_b32_e32 v4, v4, v7
	v_and_b32_e32 v32, v32, v6
	v_lshlrev_b32_e32 v7, 29, v30
	v_mov_b32_e32 v6, v5
	v_cmp_gt_i64_e32 vcc, 0, v[6:7]
	v_not_b32_e32 v6, v7
	v_ashrrev_i32_e32 v6, 31, v6
	v_xor_b32_e32 v7, vcc_hi, v6
	v_xor_b32_e32 v6, vcc_lo, v6
	v_and_b32_e32 v4, v4, v7
	v_and_b32_e32 v32, v32, v6
	v_lshlrev_b32_e32 v7, 28, v30
	v_mov_b32_e32 v6, v5
	v_cmp_gt_i64_e32 vcc, 0, v[6:7]
	v_not_b32_e32 v6, v7
	v_ashrrev_i32_e32 v6, 31, v6
	;; [unrolled: 9-line block ×6, first 2 shown]
	v_xor_b32_e32 v7, vcc_hi, v6
	v_xor_b32_e32 v6, vcc_lo, v6
	v_and_b32_e32 v6, v32, v6
	v_and_b32_e32 v7, v4, v7
	v_mbcnt_lo_u32_b32 v4, v6, 0
	v_mbcnt_hi_u32_b32 v30, v7, v4
	v_cmp_eq_u32_e32 vcc, 0, v30
	v_cmp_ne_u64_e64 s[0:1], 0, v[6:7]
	s_and_b64 s[6:7], s[0:1], vcc
	; wave barrier
	s_and_saveexec_b64 s[0:1], s[6:7]
	s_cbranch_execz .LBB342_135
; %bb.134:
	v_bcnt_u32_b32 v4, v6, 0
	v_bcnt_u32_b32 v4, v7, v4
	s_waitcnt lgkmcnt(0)
	v_add_u32_e32 v4, v28, v4
	ds_write_b32 v33, v4 offset:64
.LBB342_135:
	s_or_b64 exec, exec, s[0:1]
	s_waitcnt vmcnt(2)
	v_cmp_lt_i32_e32 vcc, -1, v21
	; wave barrier
	s_nop 1
	v_cndmask_b32_e32 v4, -1, v31, vcc
	v_xor_b32_e32 v21, v4, v21
	v_cmp_ne_u32_e32 vcc, s2, v21
	s_nop 1
	v_cndmask_b32_e32 v4, v31, v21, vcc
	v_lshrrev_b32_e32 v4, s48, v4
	v_and_b32_e32 v31, s14, v4
	v_mul_lo_u32 v4, v31, s3
	v_lshl_add_u32 v36, v24, 2, v4
	v_and_b32_e32 v4, 1, v31
	v_lshl_add_u64 v[6:7], v[4:5], 0, -1
	v_cmp_ne_u32_e32 vcc, 0, v4
	ds_read_b32 v32, v36 offset:64
	s_nop 0
	v_xor_b32_e32 v6, vcc_lo, v6
	v_xor_b32_e32 v4, vcc_hi, v7
	v_and_b32_e32 v34, exec_lo, v6
	v_lshlrev_b32_e32 v7, 30, v31
	v_mov_b32_e32 v6, v5
	v_cmp_gt_i64_e32 vcc, 0, v[6:7]
	v_not_b32_e32 v6, v7
	v_ashrrev_i32_e32 v6, 31, v6
	v_and_b32_e32 v4, exec_hi, v4
	v_xor_b32_e32 v7, vcc_hi, v6
	v_xor_b32_e32 v6, vcc_lo, v6
	v_and_b32_e32 v4, v4, v7
	v_and_b32_e32 v34, v34, v6
	v_lshlrev_b32_e32 v7, 29, v31
	v_mov_b32_e32 v6, v5
	v_cmp_gt_i64_e32 vcc, 0, v[6:7]
	v_not_b32_e32 v6, v7
	v_ashrrev_i32_e32 v6, 31, v6
	v_xor_b32_e32 v7, vcc_hi, v6
	v_xor_b32_e32 v6, vcc_lo, v6
	v_and_b32_e32 v4, v4, v7
	v_and_b32_e32 v34, v34, v6
	v_lshlrev_b32_e32 v7, 28, v31
	v_mov_b32_e32 v6, v5
	v_cmp_gt_i64_e32 vcc, 0, v[6:7]
	v_not_b32_e32 v6, v7
	v_ashrrev_i32_e32 v6, 31, v6
	;; [unrolled: 9-line block ×5, first 2 shown]
	v_xor_b32_e32 v7, vcc_hi, v6
	v_xor_b32_e32 v6, vcc_lo, v6
	v_and_b32_e32 v4, v4, v7
	v_lshlrev_b32_e32 v7, 24, v31
	v_and_b32_e32 v34, v34, v6
	v_mov_b32_e32 v6, v5
	v_not_b32_e32 v5, v7
	v_cmp_gt_i64_e32 vcc, 0, v[6:7]
	v_ashrrev_i32_e32 v5, 31, v5
	; wave barrier
	s_nop 0
	v_xor_b32_e32 v6, vcc_hi, v5
	v_xor_b32_e32 v7, vcc_lo, v5
	v_and_b32_e32 v5, v4, v6
	v_and_b32_e32 v4, v34, v7
	v_mbcnt_lo_u32_b32 v6, v4, 0
	v_mbcnt_hi_u32_b32 v34, v5, v6
	v_cmp_eq_u32_e32 vcc, 0, v34
	v_cmp_ne_u64_e64 s[0:1], 0, v[4:5]
	s_and_b64 s[2:3], s[0:1], vcc
	s_and_saveexec_b64 s[0:1], s[2:3]
	s_cbranch_execz .LBB342_137
; %bb.136:
	v_bcnt_u32_b32 v4, v4, 0
	v_bcnt_u32_b32 v4, v5, v4
	s_waitcnt lgkmcnt(0)
	v_add_u32_e32 v4, v32, v4
	ds_write_b32 v36, v4 offset:64
.LBB342_137:
	s_or_b64 exec, exec, s[0:1]
	v_bfrev_b32_e32 v39, 1
	s_waitcnt vmcnt(1)
	v_cmp_lt_i32_e32 vcc, -1, v27
	s_brev_b32 s2, -2
	s_movk_i32 s3, 0x44
	v_cndmask_b32_e32 v4, -1, v39, vcc
	v_xor_b32_e32 v27, v4, v27
	v_cmp_ne_u32_e32 vcc, s2, v27
	v_mov_b32_e32 v5, 0
	s_nop 0
	v_cndmask_b32_e32 v4, v39, v27, vcc
	v_lshrrev_b32_e32 v4, s48, v4
	v_and_b32_e32 v31, s14, v4
	v_mul_lo_u32 v4, v31, s3
	v_lshl_add_u32 v38, v24, 2, v4
	v_and_b32_e32 v4, 1, v31
	v_lshl_add_u64 v[6:7], v[4:5], 0, -1
	v_cmp_ne_u32_e32 vcc, 0, v4
	; wave barrier
	ds_read_b32 v35, v38 offset:64
	s_nop 0
	v_xor_b32_e32 v6, vcc_lo, v6
	v_xor_b32_e32 v4, vcc_hi, v7
	v_and_b32_e32 v37, exec_lo, v6
	v_lshlrev_b32_e32 v7, 30, v31
	v_mov_b32_e32 v6, v5
	v_cmp_gt_i64_e32 vcc, 0, v[6:7]
	v_not_b32_e32 v6, v7
	v_ashrrev_i32_e32 v6, 31, v6
	v_and_b32_e32 v4, exec_hi, v4
	v_xor_b32_e32 v7, vcc_hi, v6
	v_xor_b32_e32 v6, vcc_lo, v6
	v_and_b32_e32 v4, v4, v7
	v_and_b32_e32 v37, v37, v6
	v_lshlrev_b32_e32 v7, 29, v31
	v_mov_b32_e32 v6, v5
	v_cmp_gt_i64_e32 vcc, 0, v[6:7]
	v_not_b32_e32 v6, v7
	v_ashrrev_i32_e32 v6, 31, v6
	v_xor_b32_e32 v7, vcc_hi, v6
	v_xor_b32_e32 v6, vcc_lo, v6
	v_and_b32_e32 v4, v4, v7
	v_and_b32_e32 v37, v37, v6
	v_lshlrev_b32_e32 v7, 28, v31
	v_mov_b32_e32 v6, v5
	v_cmp_gt_i64_e32 vcc, 0, v[6:7]
	v_not_b32_e32 v6, v7
	v_ashrrev_i32_e32 v6, 31, v6
	;; [unrolled: 9-line block ×6, first 2 shown]
	v_xor_b32_e32 v7, vcc_hi, v6
	v_xor_b32_e32 v6, vcc_lo, v6
	v_and_b32_e32 v6, v37, v6
	v_and_b32_e32 v7, v4, v7
	v_mbcnt_lo_u32_b32 v4, v6, 0
	v_mbcnt_hi_u32_b32 v37, v7, v4
	v_cmp_eq_u32_e32 vcc, 0, v37
	v_cmp_ne_u64_e64 s[0:1], 0, v[6:7]
	s_and_b64 s[6:7], s[0:1], vcc
	; wave barrier
	s_and_saveexec_b64 s[0:1], s[6:7]
	s_cbranch_execz .LBB342_139
; %bb.138:
	v_bcnt_u32_b32 v4, v6, 0
	v_bcnt_u32_b32 v4, v7, v4
	s_waitcnt lgkmcnt(0)
	v_add_u32_e32 v4, v35, v4
	ds_write_b32 v38, v4 offset:64
.LBB342_139:
	s_or_b64 exec, exec, s[0:1]
	s_waitcnt vmcnt(0)
	v_cmp_lt_i32_e32 vcc, -1, v23
	; wave barrier
	s_nop 1
	v_cndmask_b32_e32 v4, -1, v39, vcc
	v_xor_b32_e32 v31, v4, v23
	v_cmp_ne_u32_e32 vcc, s2, v31
	s_nop 1
	v_cndmask_b32_e32 v4, v39, v31, vcc
	v_lshrrev_b32_e32 v4, s48, v4
	v_and_b32_e32 v23, s14, v4
	v_mul_lo_u32 v4, v23, s3
	v_lshl_add_u32 v40, v24, 2, v4
	v_and_b32_e32 v4, 1, v23
	v_lshl_add_u64 v[6:7], v[4:5], 0, -1
	v_cmp_ne_u32_e32 vcc, 0, v4
	ds_read_b32 v24, v40 offset:64
	s_nop 0
	v_xor_b32_e32 v6, vcc_lo, v6
	v_xor_b32_e32 v4, vcc_hi, v7
	v_and_b32_e32 v39, exec_lo, v6
	v_lshlrev_b32_e32 v7, 30, v23
	v_mov_b32_e32 v6, v5
	v_cmp_gt_i64_e32 vcc, 0, v[6:7]
	v_not_b32_e32 v6, v7
	v_ashrrev_i32_e32 v6, 31, v6
	v_and_b32_e32 v4, exec_hi, v4
	v_xor_b32_e32 v7, vcc_hi, v6
	v_xor_b32_e32 v6, vcc_lo, v6
	v_and_b32_e32 v4, v4, v7
	v_and_b32_e32 v39, v39, v6
	v_lshlrev_b32_e32 v7, 29, v23
	v_mov_b32_e32 v6, v5
	v_cmp_gt_i64_e32 vcc, 0, v[6:7]
	v_not_b32_e32 v6, v7
	v_ashrrev_i32_e32 v6, 31, v6
	v_xor_b32_e32 v7, vcc_hi, v6
	v_xor_b32_e32 v6, vcc_lo, v6
	v_and_b32_e32 v4, v4, v7
	v_and_b32_e32 v39, v39, v6
	v_lshlrev_b32_e32 v7, 28, v23
	v_mov_b32_e32 v6, v5
	v_cmp_gt_i64_e32 vcc, 0, v[6:7]
	v_not_b32_e32 v6, v7
	v_ashrrev_i32_e32 v6, 31, v6
	;; [unrolled: 9-line block ×5, first 2 shown]
	v_xor_b32_e32 v7, vcc_hi, v6
	v_xor_b32_e32 v6, vcc_lo, v6
	v_and_b32_e32 v4, v4, v7
	v_lshlrev_b32_e32 v7, 24, v23
	v_and_b32_e32 v39, v39, v6
	v_mov_b32_e32 v6, v5
	v_not_b32_e32 v5, v7
	v_cmp_gt_i64_e32 vcc, 0, v[6:7]
	v_ashrrev_i32_e32 v5, 31, v5
	; wave barrier
	s_nop 0
	v_xor_b32_e32 v6, vcc_hi, v5
	v_xor_b32_e32 v7, vcc_lo, v5
	v_and_b32_e32 v5, v4, v6
	v_and_b32_e32 v4, v39, v7
	v_mbcnt_lo_u32_b32 v6, v4, 0
	v_mbcnt_hi_u32_b32 v39, v5, v6
	v_cmp_eq_u32_e32 vcc, 0, v39
	v_cmp_ne_u64_e64 s[0:1], 0, v[4:5]
	s_and_b64 s[2:3], s[0:1], vcc
	s_and_saveexec_b64 s[0:1], s[2:3]
	s_cbranch_execz .LBB342_141
; %bb.140:
	v_bcnt_u32_b32 v4, v4, 0
	v_bcnt_u32_b32 v4, v5, v4
	s_waitcnt lgkmcnt(0)
	v_add_u32_e32 v4, v24, v4
	ds_write_b32 v40, v4 offset:64
.LBB342_141:
	s_or_b64 exec, exec, s[0:1]
	; wave barrier
	s_waitcnt lgkmcnt(0)
	s_barrier
	ds_read2_b32 v[6:7], v11 offset0:16 offset1:17
	ds_read2_b32 v[4:5], v11 offset0:18 offset1:19
	ds_read_b32 v23, v11 offset:80
	v_cmp_lt_u32_e64 s[8:9], 31, v10
	s_waitcnt lgkmcnt(1)
	v_add3_u32 v41, v7, v6, v4
	s_waitcnt lgkmcnt(0)
	v_add3_u32 v23, v41, v5, v23
	v_and_b32_e32 v41, 15, v10
	v_cmp_eq_u32_e32 vcc, 0, v41
	v_mov_b32_dpp v42, v23 row_shr:1 row_mask:0xf bank_mask:0xf
	v_cmp_lt_u32_e64 s[0:1], 1, v41
	v_cndmask_b32_e64 v42, v42, 0, vcc
	v_add_u32_e32 v23, v42, v23
	v_cmp_lt_u32_e64 s[2:3], 3, v41
	v_cmp_lt_u32_e64 s[6:7], 7, v41
	v_mov_b32_dpp v42, v23 row_shr:2 row_mask:0xf bank_mask:0xf
	v_cndmask_b32_e64 v42, 0, v42, s[0:1]
	v_add_u32_e32 v23, v23, v42
	s_nop 1
	v_mov_b32_dpp v42, v23 row_shr:4 row_mask:0xf bank_mask:0xf
	v_cndmask_b32_e64 v42, 0, v42, s[2:3]
	v_add_u32_e32 v23, v23, v42
	s_nop 1
	v_mov_b32_dpp v42, v23 row_shr:8 row_mask:0xf bank_mask:0xf
	v_cndmask_b32_e64 v41, 0, v42, s[6:7]
	v_add_u32_e32 v23, v23, v41
	v_bfe_i32 v42, v10, 4, 1
	s_nop 0
	v_mov_b32_dpp v41, v23 row_bcast:15 row_mask:0xf bank_mask:0xf
	v_and_b32_e32 v41, v42, v41
	v_add_u32_e32 v23, v23, v41
	v_lshrrev_b32_e32 v42, 6, v8
	s_nop 0
	v_mov_b32_dpp v41, v23 row_bcast:31 row_mask:0xf bank_mask:0xf
	v_cndmask_b32_e64 v41, 0, v41, s[8:9]
	v_add_u32_e32 v41, v23, v41
	v_and_b32_e32 v23, 63, v8
	v_cmp_eq_u32_e64 s[8:9], 63, v23
	s_and_saveexec_b64 s[12:13], s[8:9]
; %bb.142:
	v_lshlrev_b32_e32 v23, 2, v42
	ds_write_b32 v23, v41
; %bb.143:
	s_or_b64 exec, exec, s[12:13]
	v_cmp_gt_u32_e64 s[8:9], 16, v8
	v_lshlrev_b32_e32 v23, 2, v8
	s_waitcnt lgkmcnt(0)
	s_barrier
	s_and_saveexec_b64 s[12:13], s[8:9]
	s_cbranch_execz .LBB342_145
; %bb.144:
	ds_read_b32 v43, v23
	s_waitcnt lgkmcnt(0)
	s_nop 0
	v_mov_b32_dpp v44, v43 row_shr:1 row_mask:0xf bank_mask:0xf
	v_cndmask_b32_e64 v44, v44, 0, vcc
	v_add_u32_e32 v43, v44, v43
	s_nop 1
	v_mov_b32_dpp v44, v43 row_shr:2 row_mask:0xf bank_mask:0xf
	v_cndmask_b32_e64 v44, 0, v44, s[0:1]
	v_add_u32_e32 v43, v43, v44
	s_nop 1
	v_mov_b32_dpp v44, v43 row_shr:4 row_mask:0xf bank_mask:0xf
	v_cndmask_b32_e64 v44, 0, v44, s[2:3]
	;; [unrolled: 4-line block ×3, first 2 shown]
	v_add_u32_e32 v43, v43, v44
	ds_write_b32 v23, v43
.LBB342_145:
	s_or_b64 exec, exec, s[12:13]
	v_cmp_lt_u32_e32 vcc, 63, v8
	v_mov_b32_e32 v43, 0
	s_waitcnt lgkmcnt(0)
	s_barrier
	s_and_saveexec_b64 s[0:1], vcc
; %bb.146:
	v_lshl_add_u32 v42, v42, 2, -4
	ds_read_b32 v43, v42
; %bb.147:
	s_or_b64 exec, exec, s[0:1]
	v_subrev_co_u32_e32 v42, vcc, 1, v10
	v_and_b32_e32 v44, 64, v10
	v_cmp_lt_i32_e64 s[0:1], v42, v44
	s_waitcnt lgkmcnt(0)
	v_add_u32_e32 v41, v43, v41
	s_movk_i32 s2, 0x100
	v_cndmask_b32_e64 v10, v42, v10, s[0:1]
	v_lshlrev_b32_e32 v10, 2, v10
	ds_bpermute_b32 v10, v10, v41
	s_movk_i32 s0, 0xff
	v_cmp_lt_u32_e64 s[0:1], s0, v8
	s_waitcnt lgkmcnt(0)
	v_cndmask_b32_e32 v10, v10, v43, vcc
	v_cmp_ne_u32_e32 vcc, 0, v8
	s_nop 1
	v_cndmask_b32_e32 v10, 0, v10, vcc
	v_add_u32_e32 v6, v10, v6
	v_add_u32_e32 v7, v6, v7
	;; [unrolled: 1-line block ×4, first 2 shown]
	ds_write2_b32 v11, v10, v6 offset0:16 offset1:17
	ds_write2_b32 v11, v7, v4 offset0:18 offset1:19
	ds_write_b32 v11, v5 offset:80
	s_waitcnt lgkmcnt(0)
	s_barrier
	ds_read_b32 v44, v15 offset:64
	ds_read_b32 v41, v19 offset:64
	;; [unrolled: 1-line block ×8, first 2 shown]
	v_cmp_gt_u32_e32 vcc, s2, v8
                                        ; implicit-def: $vgpr15
                                        ; implicit-def: $vgpr19
	s_and_saveexec_b64 s[6:7], vcc
	s_cbranch_execz .LBB342_151
; %bb.148:
	v_mul_u32_u24_e32 v4, 0x44, v8
	ds_read_b32 v15, v4 offset:64
	v_add_u32_e32 v5, 1, v8
	v_cmp_ne_u32_e64 s[2:3], s2, v5
	v_mov_b32_e32 v4, 0x2000
	s_and_saveexec_b64 s[8:9], s[2:3]
; %bb.149:
	v_mul_u32_u24_e32 v4, 0x44, v5
	ds_read_b32 v4, v4 offset:64
; %bb.150:
	s_or_b64 exec, exec, s[8:9]
	s_waitcnt lgkmcnt(0)
	v_sub_u32_e32 v19, v4, v15
.LBB342_151:
	s_or_b64 exec, exec, s[6:7]
	v_mov_b32_e32 v5, 0
	s_waitcnt lgkmcnt(0)
	s_barrier
	s_and_saveexec_b64 s[2:3], vcc
	s_cbranch_execz .LBB342_161
; %bb.152:
	v_lshl_add_u32 v4, s4, 8, v8
	v_lshl_add_u64 v[6:7], v[4:5], 2, s[52:53]
	v_or_b32_e32 v4, 2.0, v19
	s_mov_b64 s[6:7], 0
	s_brev_b32 s15, -4
	s_mov_b32 s16, s4
	v_mov_b32_e32 v38, 0
	global_store_dword v[6:7], v4, off sc1
                                        ; implicit-def: $sgpr8_sgpr9
	s_branch .LBB342_155
.LBB342_153:                            ;   in Loop: Header=BB342_155 Depth=1
	s_or_b64 exec, exec, s[12:13]
.LBB342_154:                            ;   in Loop: Header=BB342_155 Depth=1
	s_or_b64 exec, exec, s[8:9]
	v_and_b32_e32 v10, 0x3fffffff, v4
	v_add_u32_e32 v38, v10, v38
	v_cmp_gt_i32_e64 s[8:9], -2.0, v4
	s_and_b64 s[12:13], exec, s[8:9]
	s_or_b64 s[6:7], s[12:13], s[6:7]
	s_andn2_b64 exec, exec, s[6:7]
	s_cbranch_execz .LBB342_160
.LBB342_155:                            ; =>This Loop Header: Depth=1
                                        ;     Child Loop BB342_158 Depth 2
	s_or_b64 s[8:9], s[8:9], exec
	s_cmp_eq_u32 s16, 0
	s_cbranch_scc1 .LBB342_159
; %bb.156:                              ;   in Loop: Header=BB342_155 Depth=1
	s_add_i32 s16, s16, -1
	v_lshl_or_b32 v4, s16, 8, v8
	v_lshl_add_u64 v[10:11], v[4:5], 2, s[52:53]
	global_load_dword v4, v[10:11], off sc1
	s_waitcnt vmcnt(0)
	v_cmp_gt_u32_e32 vcc, 2.0, v4
	s_and_saveexec_b64 s[8:9], vcc
	s_cbranch_execz .LBB342_154
; %bb.157:                              ;   in Loop: Header=BB342_155 Depth=1
	s_mov_b64 s[12:13], 0
.LBB342_158:                            ;   Parent Loop BB342_155 Depth=1
                                        ; =>  This Inner Loop Header: Depth=2
	global_load_dword v4, v[10:11], off sc1
	s_waitcnt vmcnt(0)
	v_cmp_lt_u32_e32 vcc, s15, v4
	s_or_b64 s[12:13], vcc, s[12:13]
	s_andn2_b64 exec, exec, s[12:13]
	s_cbranch_execnz .LBB342_158
	s_branch .LBB342_153
.LBB342_159:                            ;   in Loop: Header=BB342_155 Depth=1
                                        ; implicit-def: $sgpr16
	s_and_b64 s[12:13], exec, s[8:9]
	s_or_b64 s[6:7], s[12:13], s[6:7]
	s_andn2_b64 exec, exec, s[6:7]
	s_cbranch_execnz .LBB342_155
.LBB342_160:
	s_or_b64 exec, exec, s[6:7]
	v_add_u32_e32 v4, v38, v19
	v_or_b32_e32 v4, 0x80000000, v4
	global_store_dword v[6:7], v4, off sc1
	global_load_dword v4, v23, s[44:45]
	v_sub_u32_e32 v5, v38, v15
	s_waitcnt vmcnt(0)
	v_add_u32_e32 v4, v5, v4
	ds_write_b32 v23, v4
.LBB342_161:
	s_or_b64 exec, exec, s[2:3]
	v_add_u32_e32 v4, v39, v24
	v_add_u32_e32 v5, v37, v35
	v_add_u32_e32 v38, v34, v32
	v_add_u32_e32 v40, v30, v28
	v_add_u32_e32 v45, v26, v22
	v_add_u32_e32 v46, v20, v18
	v_add_u32_e32 v47, v16, v13
	v_add_u32_e32 v6, v44, v12
	s_mov_b32 s8, 16
	s_mov_b32 s9, s48
	;; [unrolled: 1-line block ×3, first 2 shown]
	v_add_lshl_u32 v7, v4, v36, 2
	v_add3_u32 v10, v39, v36, v24
	v_add_lshl_u32 v11, v5, v29, 2
	v_add3_u32 v12, v37, v29, v35
	;; [unrolled: 2-line block ×7, first 2 shown]
	v_lshlrev_b32_e32 v16, 2, v6
	s_mov_b32 s21, 0
	s_mov_b64 s[2:3], -1
	s_mov_b32 s13, 0
	s_movk_i32 s15, 0x1000
	v_bfrev_b32_e32 v32, 1
	s_brev_b32 s16, -2
	v_mov_b32_e32 v5, 0
	s_movk_i32 s17, 0x400
	s_movk_i32 s18, 0x800
	;; [unrolled: 1-line block ×3, first 2 shown]
	s_mov_b32 s20, 0
	v_mov_b32_e32 v33, v8
	s_branch .LBB342_163
.LBB342_162:                            ;   in Loop: Header=BB342_163 Depth=1
	s_or_b64 exec, exec, s[6:7]
	s_waitcnt lgkmcnt(0)
	s_barrier
	ds_read2st64_b32 v[34:35], v23 offset0:4 offset1:20
	ds_read2st64_b32 v[38:39], v23 offset0:36 offset1:52
	s_xor_b64 s[6:7], s[2:3], -1
	s_addk_i32 s20, 0xc000
	s_addk_i32 s13, 0xf000
	s_waitcnt lgkmcnt(1)
	v_cmp_lt_i32_e32 vcc, -1, v34
	s_mov_b64 s[2:3], 0
	s_nop 0
	v_cndmask_b32_e64 v4, v32, -1, vcc
	v_cmp_lt_i32_e32 vcc, -1, v35
	v_xor_b32_e32 v42, v4, v34
	s_nop 0
	v_cndmask_b32_e64 v4, v32, -1, vcc
	v_cmp_ne_u32_e32 vcc, s16, v34
	v_xor_b32_e32 v43, v4, v35
	s_nop 0
	v_cndmask_b32_e32 v4, v32, v34, vcc
	v_cmp_ne_u32_e32 vcc, s16, v35
	v_lshrrev_b32_e32 v4, s48, v4
	s_nop 0
	v_cndmask_b32_e32 v34, v32, v35, vcc
	v_lshrrev_b32_e32 v34, s9, v34
	s_waitcnt lgkmcnt(0)
	v_cmp_ne_u32_e32 vcc, s16, v38
	v_and_b32_e32 v35, s12, v34
	v_and_b32_e32 v34, s14, v4
	v_cndmask_b32_e32 v36, v32, v38, vcc
	v_cmp_ne_u32_e32 vcc, s16, v39
	v_lshlrev_b32_e32 v4, 2, v34
	ds_read_b32 v4, v4
	v_cndmask_b32_e32 v37, v32, v39, vcc
	v_lshrrev_b32_e32 v37, s9, v37
	v_lshrrev_b32_e32 v36, s48, v36
	v_and_b32_e32 v37, s12, v37
	v_lshlrev_b32_e32 v40, 2, v35
	v_and_b32_e32 v36, s14, v36
	v_lshlrev_b32_e32 v44, 2, v37
	v_lshlrev_b32_e32 v41, 2, v36
	ds_read_b32 v45, v40
	ds_read_b32 v46, v41
	;; [unrolled: 1-line block ×3, first 2 shown]
	s_waitcnt lgkmcnt(3)
	v_add_u32_e32 v4, v33, v4
	v_lshl_add_u64 v[40:41], v[4:5], 2, s[38:39]
	s_waitcnt lgkmcnt(2)
	v_add3_u32 v4, v33, v45, s17
	v_cmp_lt_i32_e32 vcc, -1, v38
	global_store_dword v[40:41], v42, off
	v_lshl_add_u64 v[40:41], v[4:5], 2, s[38:39]
	v_cndmask_b32_e64 v4, v32, -1, vcc
	v_cmp_lt_i32_e32 vcc, -1, v39
	global_store_dword v[40:41], v43, off
	v_xor_b32_e32 v40, v4, v38
	v_cndmask_b32_e64 v4, v32, -1, vcc
	v_xor_b32_e32 v41, v4, v39
	s_waitcnt lgkmcnt(1)
	v_add3_u32 v4, v33, v46, s18
	v_lshl_add_u64 v[38:39], v[4:5], 2, s[38:39]
	s_waitcnt lgkmcnt(0)
	v_add3_u32 v4, v33, v44, s19
	global_store_dword v[38:39], v40, off
	v_lshl_add_u64 v[38:39], v[4:5], 2, s[38:39]
	global_store_dword v[38:39], v41, off
	scratch_store_dwordx4 off, v[34:37], s21
	v_add_u32_e32 v33, 0x1000, v33
	s_and_b64 vcc, exec, s[6:7]
	s_mov_b32 s21, s8
	s_barrier
	s_cbranch_vccnz .LBB342_179
.LBB342_163:                            ; =>This Inner Loop Header: Depth=1
	v_add_u32_e32 v4, s13, v6
	v_cmp_gt_u32_e32 vcc, s15, v4
	s_and_saveexec_b64 s[6:7], vcc
; %bb.164:                              ;   in Loop: Header=BB342_163 Depth=1
	v_add_u32_e32 v4, s20, v16
	ds_write_b32 v4, v1 offset:1024
; %bb.165:                              ;   in Loop: Header=BB342_163 Depth=1
	s_or_b64 exec, exec, s[6:7]
	v_add_u32_e32 v4, s13, v13
	v_cmp_gt_u32_e32 vcc, s15, v4
	s_and_saveexec_b64 s[6:7], vcc
; %bb.166:                              ;   in Loop: Header=BB342_163 Depth=1
	v_add_u32_e32 v4, s20, v20
	ds_write_b32 v4, v3 offset:1024
; %bb.167:                              ;   in Loop: Header=BB342_163 Depth=1
	s_or_b64 exec, exec, s[6:7]
	;; [unrolled: 8-line block ×7, first 2 shown]
	v_add_u32_e32 v4, s13, v10
	v_cmp_gt_u32_e32 vcc, s15, v4
	s_and_saveexec_b64 s[6:7], vcc
	s_cbranch_execz .LBB342_162
; %bb.178:                              ;   in Loop: Header=BB342_163 Depth=1
	v_add_u32_e32 v4, s20, v7
	ds_write_b32 v4, v31 offset:1024
	s_branch .LBB342_162
.LBB342_179:
	s_add_u32 s2, s40, s10
	s_addc_u32 s3, s41, s11
	v_mov_b32_e32 v1, 0
	v_lshl_add_u64 v[4:5], s[2:3], 0, v[0:1]
	v_mov_b32_e32 v3, v1
	v_lshl_add_u64 v[32:33], v[4:5], 0, v[2:3]
	global_load_dword v2, v[32:33], off
	global_load_dword v3, v[32:33], off offset:256
	global_load_dword v4, v[32:33], off offset:512
	;; [unrolled: 1-line block ×7, first 2 shown]
	s_mov_b32 s15, 0
	s_mov_b64 s[2:3], -1
	s_mov_b32 s9, 0
	s_movk_i32 s10, 0x1000
	s_movk_i32 s11, 0x400
	;; [unrolled: 1-line block ×4, first 2 shown]
	s_mov_b32 s14, 0
	s_branch .LBB342_181
.LBB342_180:                            ;   in Loop: Header=BB342_181 Depth=1
	s_or_b64 exec, exec, s[6:7]
	s_waitcnt lgkmcnt(0)
	s_barrier
	scratch_load_dwordx4 v[32:35], off, s15
	ds_read2st64_b32 v[36:37], v23 offset0:4 offset1:20
	ds_read2st64_b32 v[38:39], v23 offset0:36 offset1:52
	s_xor_b64 s[6:7], s[2:3], -1
	s_addk_i32 s14, 0xc000
	s_addk_i32 s9, 0xf000
	s_mov_b64 s[2:3], 0
	s_mov_b32 s15, s8
	s_and_b64 vcc, exec, s[6:7]
	s_waitcnt vmcnt(0)
	v_lshlrev_b32_e32 v0, 2, v32
	ds_read_b32 v0, v0
	v_lshlrev_b32_e32 v27, 2, v33
	v_lshlrev_b32_e32 v31, 2, v34
	;; [unrolled: 1-line block ×3, first 2 shown]
	ds_read_b32 v27, v27
	ds_read_b32 v31, v31
	ds_read_b32 v34, v32
	s_waitcnt lgkmcnt(3)
	v_add_u32_e32 v0, v8, v0
	v_lshl_add_u64 v[32:33], v[0:1], 2, s[42:43]
	s_waitcnt lgkmcnt(2)
	v_add3_u32 v0, v8, v27, s11
	global_store_dword v[32:33], v36, off
	v_lshl_add_u64 v[32:33], v[0:1], 2, s[42:43]
	s_waitcnt lgkmcnt(1)
	v_add3_u32 v0, v8, v31, s12
	global_store_dword v[32:33], v37, off
	v_lshl_add_u64 v[32:33], v[0:1], 2, s[42:43]
	s_waitcnt lgkmcnt(0)
	v_add3_u32 v0, v8, v34, s13
	v_add_u32_e32 v8, 0x1000, v8
	global_store_dword v[32:33], v38, off
	v_lshl_add_u64 v[32:33], v[0:1], 2, s[42:43]
	global_store_dword v[32:33], v39, off
	s_barrier
	s_cbranch_vccnz .LBB342_197
.LBB342_181:                            ; =>This Inner Loop Header: Depth=1
	v_add_u32_e32 v0, s9, v6
	v_cmp_gt_u32_e32 vcc, s10, v0
	s_and_saveexec_b64 s[6:7], vcc
	s_cbranch_execz .LBB342_183
; %bb.182:                              ;   in Loop: Header=BB342_181 Depth=1
	v_add_u32_e32 v0, s14, v16
	s_waitcnt vmcnt(7)
	ds_write_b32 v0, v2 offset:1024
.LBB342_183:                            ;   in Loop: Header=BB342_181 Depth=1
	s_or_b64 exec, exec, s[6:7]
	v_add_u32_e32 v0, s9, v13
	v_cmp_gt_u32_e32 vcc, s10, v0
	s_and_saveexec_b64 s[6:7], vcc
	s_cbranch_execz .LBB342_185
; %bb.184:                              ;   in Loop: Header=BB342_181 Depth=1
	v_add_u32_e32 v0, s14, v20
	s_waitcnt vmcnt(6)
	ds_write_b32 v0, v3 offset:1024
.LBB342_185:                            ;   in Loop: Header=BB342_181 Depth=1
	s_or_b64 exec, exec, s[6:7]
	;; [unrolled: 10-line block ×7, first 2 shown]
	v_add_u32_e32 v0, s9, v10
	v_cmp_gt_u32_e32 vcc, s10, v0
	s_and_saveexec_b64 s[6:7], vcc
	s_cbranch_execz .LBB342_180
; %bb.196:                              ;   in Loop: Header=BB342_181 Depth=1
	v_add_u32_e32 v0, s14, v7
	s_waitcnt vmcnt(0)
	ds_write_b32 v0, v21 offset:1024
	s_branch .LBB342_180
.LBB342_197:
	s_add_i32 s5, s5, -1
	s_cmp_eq_u32 s4, s5
	s_cselect_b64 s[2:3], -1, 0
	s_xor_b64 s[0:1], s[0:1], -1
	s_and_b64 s[0:1], s[0:1], s[2:3]
	s_and_saveexec_b64 s[2:3], s[0:1]
	s_cbranch_execz .LBB342_199
; %bb.198:
	ds_read_b32 v0, v23
	s_waitcnt lgkmcnt(0)
	v_add3_u32 v0, v15, v19, v0
	global_store_dword v23, v0, s[46:47]
.LBB342_199:
	s_endpgm
	.section	.rodata,"a",@progbits
	.p2align	6, 0x0
	.amdhsa_kernel _ZN7rocprim17ROCPRIM_400000_NS6detail17trampoline_kernelINS0_14default_configENS1_35radix_sort_onesweep_config_selectorIffEEZZNS1_29radix_sort_onesweep_iterationIS3_Lb0EN6thrust23THRUST_200600_302600_NS6detail15normal_iteratorINS8_10device_ptrIfEEEESD_SD_SD_jNS0_19identity_decomposerENS1_16block_id_wrapperIjLb0EEEEE10hipError_tT1_PNSt15iterator_traitsISI_E10value_typeET2_T3_PNSJ_ISO_E10value_typeET4_T5_PST_SU_PNS1_23onesweep_lookback_stateEbbT6_jjT7_P12ihipStream_tbENKUlT_T0_SI_SN_E_clISD_PfSD_S15_EEDaS11_S12_SI_SN_EUlS11_E_NS1_11comp_targetILNS1_3genE6ELNS1_11target_archE950ELNS1_3gpuE13ELNS1_3repE0EEENS1_47radix_sort_onesweep_sort_config_static_selectorELNS0_4arch9wavefront6targetE1EEEvSI_
		.amdhsa_group_segment_fixed_size 53328
		.amdhsa_private_segment_fixed_size 48
		.amdhsa_kernarg_size 344
		.amdhsa_user_sgpr_count 4
		.amdhsa_user_sgpr_dispatch_ptr 1
		.amdhsa_user_sgpr_queue_ptr 0
		.amdhsa_user_sgpr_kernarg_segment_ptr 1
		.amdhsa_user_sgpr_dispatch_id 0
		.amdhsa_user_sgpr_kernarg_preload_length 0
		.amdhsa_user_sgpr_kernarg_preload_offset 0
		.amdhsa_user_sgpr_private_segment_size 0
		.amdhsa_uses_dynamic_stack 0
		.amdhsa_enable_private_segment 1
		.amdhsa_system_sgpr_workgroup_id_x 1
		.amdhsa_system_sgpr_workgroup_id_y 0
		.amdhsa_system_sgpr_workgroup_id_z 0
		.amdhsa_system_sgpr_workgroup_info 0
		.amdhsa_system_vgpr_workitem_id 2
		.amdhsa_next_free_vgpr 53
		.amdhsa_next_free_sgpr 57
		.amdhsa_accum_offset 56
		.amdhsa_reserve_vcc 1
		.amdhsa_float_round_mode_32 0
		.amdhsa_float_round_mode_16_64 0
		.amdhsa_float_denorm_mode_32 3
		.amdhsa_float_denorm_mode_16_64 3
		.amdhsa_dx10_clamp 1
		.amdhsa_ieee_mode 1
		.amdhsa_fp16_overflow 0
		.amdhsa_tg_split 0
		.amdhsa_exception_fp_ieee_invalid_op 0
		.amdhsa_exception_fp_denorm_src 0
		.amdhsa_exception_fp_ieee_div_zero 0
		.amdhsa_exception_fp_ieee_overflow 0
		.amdhsa_exception_fp_ieee_underflow 0
		.amdhsa_exception_fp_ieee_inexact 0
		.amdhsa_exception_int_div_zero 0
	.end_amdhsa_kernel
	.section	.text._ZN7rocprim17ROCPRIM_400000_NS6detail17trampoline_kernelINS0_14default_configENS1_35radix_sort_onesweep_config_selectorIffEEZZNS1_29radix_sort_onesweep_iterationIS3_Lb0EN6thrust23THRUST_200600_302600_NS6detail15normal_iteratorINS8_10device_ptrIfEEEESD_SD_SD_jNS0_19identity_decomposerENS1_16block_id_wrapperIjLb0EEEEE10hipError_tT1_PNSt15iterator_traitsISI_E10value_typeET2_T3_PNSJ_ISO_E10value_typeET4_T5_PST_SU_PNS1_23onesweep_lookback_stateEbbT6_jjT7_P12ihipStream_tbENKUlT_T0_SI_SN_E_clISD_PfSD_S15_EEDaS11_S12_SI_SN_EUlS11_E_NS1_11comp_targetILNS1_3genE6ELNS1_11target_archE950ELNS1_3gpuE13ELNS1_3repE0EEENS1_47radix_sort_onesweep_sort_config_static_selectorELNS0_4arch9wavefront6targetE1EEEvSI_,"axG",@progbits,_ZN7rocprim17ROCPRIM_400000_NS6detail17trampoline_kernelINS0_14default_configENS1_35radix_sort_onesweep_config_selectorIffEEZZNS1_29radix_sort_onesweep_iterationIS3_Lb0EN6thrust23THRUST_200600_302600_NS6detail15normal_iteratorINS8_10device_ptrIfEEEESD_SD_SD_jNS0_19identity_decomposerENS1_16block_id_wrapperIjLb0EEEEE10hipError_tT1_PNSt15iterator_traitsISI_E10value_typeET2_T3_PNSJ_ISO_E10value_typeET4_T5_PST_SU_PNS1_23onesweep_lookback_stateEbbT6_jjT7_P12ihipStream_tbENKUlT_T0_SI_SN_E_clISD_PfSD_S15_EEDaS11_S12_SI_SN_EUlS11_E_NS1_11comp_targetILNS1_3genE6ELNS1_11target_archE950ELNS1_3gpuE13ELNS1_3repE0EEENS1_47radix_sort_onesweep_sort_config_static_selectorELNS0_4arch9wavefront6targetE1EEEvSI_,comdat
.Lfunc_end342:
	.size	_ZN7rocprim17ROCPRIM_400000_NS6detail17trampoline_kernelINS0_14default_configENS1_35radix_sort_onesweep_config_selectorIffEEZZNS1_29radix_sort_onesweep_iterationIS3_Lb0EN6thrust23THRUST_200600_302600_NS6detail15normal_iteratorINS8_10device_ptrIfEEEESD_SD_SD_jNS0_19identity_decomposerENS1_16block_id_wrapperIjLb0EEEEE10hipError_tT1_PNSt15iterator_traitsISI_E10value_typeET2_T3_PNSJ_ISO_E10value_typeET4_T5_PST_SU_PNS1_23onesweep_lookback_stateEbbT6_jjT7_P12ihipStream_tbENKUlT_T0_SI_SN_E_clISD_PfSD_S15_EEDaS11_S12_SI_SN_EUlS11_E_NS1_11comp_targetILNS1_3genE6ELNS1_11target_archE950ELNS1_3gpuE13ELNS1_3repE0EEENS1_47radix_sort_onesweep_sort_config_static_selectorELNS0_4arch9wavefront6targetE1EEEvSI_, .Lfunc_end342-_ZN7rocprim17ROCPRIM_400000_NS6detail17trampoline_kernelINS0_14default_configENS1_35radix_sort_onesweep_config_selectorIffEEZZNS1_29radix_sort_onesweep_iterationIS3_Lb0EN6thrust23THRUST_200600_302600_NS6detail15normal_iteratorINS8_10device_ptrIfEEEESD_SD_SD_jNS0_19identity_decomposerENS1_16block_id_wrapperIjLb0EEEEE10hipError_tT1_PNSt15iterator_traitsISI_E10value_typeET2_T3_PNSJ_ISO_E10value_typeET4_T5_PST_SU_PNS1_23onesweep_lookback_stateEbbT6_jjT7_P12ihipStream_tbENKUlT_T0_SI_SN_E_clISD_PfSD_S15_EEDaS11_S12_SI_SN_EUlS11_E_NS1_11comp_targetILNS1_3genE6ELNS1_11target_archE950ELNS1_3gpuE13ELNS1_3repE0EEENS1_47radix_sort_onesweep_sort_config_static_selectorELNS0_4arch9wavefront6targetE1EEEvSI_
                                        ; -- End function
	.set _ZN7rocprim17ROCPRIM_400000_NS6detail17trampoline_kernelINS0_14default_configENS1_35radix_sort_onesweep_config_selectorIffEEZZNS1_29radix_sort_onesweep_iterationIS3_Lb0EN6thrust23THRUST_200600_302600_NS6detail15normal_iteratorINS8_10device_ptrIfEEEESD_SD_SD_jNS0_19identity_decomposerENS1_16block_id_wrapperIjLb0EEEEE10hipError_tT1_PNSt15iterator_traitsISI_E10value_typeET2_T3_PNSJ_ISO_E10value_typeET4_T5_PST_SU_PNS1_23onesweep_lookback_stateEbbT6_jjT7_P12ihipStream_tbENKUlT_T0_SI_SN_E_clISD_PfSD_S15_EEDaS11_S12_SI_SN_EUlS11_E_NS1_11comp_targetILNS1_3genE6ELNS1_11target_archE950ELNS1_3gpuE13ELNS1_3repE0EEENS1_47radix_sort_onesweep_sort_config_static_selectorELNS0_4arch9wavefront6targetE1EEEvSI_.num_vgpr, 53
	.set _ZN7rocprim17ROCPRIM_400000_NS6detail17trampoline_kernelINS0_14default_configENS1_35radix_sort_onesweep_config_selectorIffEEZZNS1_29radix_sort_onesweep_iterationIS3_Lb0EN6thrust23THRUST_200600_302600_NS6detail15normal_iteratorINS8_10device_ptrIfEEEESD_SD_SD_jNS0_19identity_decomposerENS1_16block_id_wrapperIjLb0EEEEE10hipError_tT1_PNSt15iterator_traitsISI_E10value_typeET2_T3_PNSJ_ISO_E10value_typeET4_T5_PST_SU_PNS1_23onesweep_lookback_stateEbbT6_jjT7_P12ihipStream_tbENKUlT_T0_SI_SN_E_clISD_PfSD_S15_EEDaS11_S12_SI_SN_EUlS11_E_NS1_11comp_targetILNS1_3genE6ELNS1_11target_archE950ELNS1_3gpuE13ELNS1_3repE0EEENS1_47radix_sort_onesweep_sort_config_static_selectorELNS0_4arch9wavefront6targetE1EEEvSI_.num_agpr, 0
	.set _ZN7rocprim17ROCPRIM_400000_NS6detail17trampoline_kernelINS0_14default_configENS1_35radix_sort_onesweep_config_selectorIffEEZZNS1_29radix_sort_onesweep_iterationIS3_Lb0EN6thrust23THRUST_200600_302600_NS6detail15normal_iteratorINS8_10device_ptrIfEEEESD_SD_SD_jNS0_19identity_decomposerENS1_16block_id_wrapperIjLb0EEEEE10hipError_tT1_PNSt15iterator_traitsISI_E10value_typeET2_T3_PNSJ_ISO_E10value_typeET4_T5_PST_SU_PNS1_23onesweep_lookback_stateEbbT6_jjT7_P12ihipStream_tbENKUlT_T0_SI_SN_E_clISD_PfSD_S15_EEDaS11_S12_SI_SN_EUlS11_E_NS1_11comp_targetILNS1_3genE6ELNS1_11target_archE950ELNS1_3gpuE13ELNS1_3repE0EEENS1_47radix_sort_onesweep_sort_config_static_selectorELNS0_4arch9wavefront6targetE1EEEvSI_.numbered_sgpr, 57
	.set _ZN7rocprim17ROCPRIM_400000_NS6detail17trampoline_kernelINS0_14default_configENS1_35radix_sort_onesweep_config_selectorIffEEZZNS1_29radix_sort_onesweep_iterationIS3_Lb0EN6thrust23THRUST_200600_302600_NS6detail15normal_iteratorINS8_10device_ptrIfEEEESD_SD_SD_jNS0_19identity_decomposerENS1_16block_id_wrapperIjLb0EEEEE10hipError_tT1_PNSt15iterator_traitsISI_E10value_typeET2_T3_PNSJ_ISO_E10value_typeET4_T5_PST_SU_PNS1_23onesweep_lookback_stateEbbT6_jjT7_P12ihipStream_tbENKUlT_T0_SI_SN_E_clISD_PfSD_S15_EEDaS11_S12_SI_SN_EUlS11_E_NS1_11comp_targetILNS1_3genE6ELNS1_11target_archE950ELNS1_3gpuE13ELNS1_3repE0EEENS1_47radix_sort_onesweep_sort_config_static_selectorELNS0_4arch9wavefront6targetE1EEEvSI_.num_named_barrier, 0
	.set _ZN7rocprim17ROCPRIM_400000_NS6detail17trampoline_kernelINS0_14default_configENS1_35radix_sort_onesweep_config_selectorIffEEZZNS1_29radix_sort_onesweep_iterationIS3_Lb0EN6thrust23THRUST_200600_302600_NS6detail15normal_iteratorINS8_10device_ptrIfEEEESD_SD_SD_jNS0_19identity_decomposerENS1_16block_id_wrapperIjLb0EEEEE10hipError_tT1_PNSt15iterator_traitsISI_E10value_typeET2_T3_PNSJ_ISO_E10value_typeET4_T5_PST_SU_PNS1_23onesweep_lookback_stateEbbT6_jjT7_P12ihipStream_tbENKUlT_T0_SI_SN_E_clISD_PfSD_S15_EEDaS11_S12_SI_SN_EUlS11_E_NS1_11comp_targetILNS1_3genE6ELNS1_11target_archE950ELNS1_3gpuE13ELNS1_3repE0EEENS1_47radix_sort_onesweep_sort_config_static_selectorELNS0_4arch9wavefront6targetE1EEEvSI_.private_seg_size, 48
	.set _ZN7rocprim17ROCPRIM_400000_NS6detail17trampoline_kernelINS0_14default_configENS1_35radix_sort_onesweep_config_selectorIffEEZZNS1_29radix_sort_onesweep_iterationIS3_Lb0EN6thrust23THRUST_200600_302600_NS6detail15normal_iteratorINS8_10device_ptrIfEEEESD_SD_SD_jNS0_19identity_decomposerENS1_16block_id_wrapperIjLb0EEEEE10hipError_tT1_PNSt15iterator_traitsISI_E10value_typeET2_T3_PNSJ_ISO_E10value_typeET4_T5_PST_SU_PNS1_23onesweep_lookback_stateEbbT6_jjT7_P12ihipStream_tbENKUlT_T0_SI_SN_E_clISD_PfSD_S15_EEDaS11_S12_SI_SN_EUlS11_E_NS1_11comp_targetILNS1_3genE6ELNS1_11target_archE950ELNS1_3gpuE13ELNS1_3repE0EEENS1_47radix_sort_onesweep_sort_config_static_selectorELNS0_4arch9wavefront6targetE1EEEvSI_.uses_vcc, 1
	.set _ZN7rocprim17ROCPRIM_400000_NS6detail17trampoline_kernelINS0_14default_configENS1_35radix_sort_onesweep_config_selectorIffEEZZNS1_29radix_sort_onesweep_iterationIS3_Lb0EN6thrust23THRUST_200600_302600_NS6detail15normal_iteratorINS8_10device_ptrIfEEEESD_SD_SD_jNS0_19identity_decomposerENS1_16block_id_wrapperIjLb0EEEEE10hipError_tT1_PNSt15iterator_traitsISI_E10value_typeET2_T3_PNSJ_ISO_E10value_typeET4_T5_PST_SU_PNS1_23onesweep_lookback_stateEbbT6_jjT7_P12ihipStream_tbENKUlT_T0_SI_SN_E_clISD_PfSD_S15_EEDaS11_S12_SI_SN_EUlS11_E_NS1_11comp_targetILNS1_3genE6ELNS1_11target_archE950ELNS1_3gpuE13ELNS1_3repE0EEENS1_47radix_sort_onesweep_sort_config_static_selectorELNS0_4arch9wavefront6targetE1EEEvSI_.uses_flat_scratch, 0
	.set _ZN7rocprim17ROCPRIM_400000_NS6detail17trampoline_kernelINS0_14default_configENS1_35radix_sort_onesweep_config_selectorIffEEZZNS1_29radix_sort_onesweep_iterationIS3_Lb0EN6thrust23THRUST_200600_302600_NS6detail15normal_iteratorINS8_10device_ptrIfEEEESD_SD_SD_jNS0_19identity_decomposerENS1_16block_id_wrapperIjLb0EEEEE10hipError_tT1_PNSt15iterator_traitsISI_E10value_typeET2_T3_PNSJ_ISO_E10value_typeET4_T5_PST_SU_PNS1_23onesweep_lookback_stateEbbT6_jjT7_P12ihipStream_tbENKUlT_T0_SI_SN_E_clISD_PfSD_S15_EEDaS11_S12_SI_SN_EUlS11_E_NS1_11comp_targetILNS1_3genE6ELNS1_11target_archE950ELNS1_3gpuE13ELNS1_3repE0EEENS1_47radix_sort_onesweep_sort_config_static_selectorELNS0_4arch9wavefront6targetE1EEEvSI_.has_dyn_sized_stack, 0
	.set _ZN7rocprim17ROCPRIM_400000_NS6detail17trampoline_kernelINS0_14default_configENS1_35radix_sort_onesweep_config_selectorIffEEZZNS1_29radix_sort_onesweep_iterationIS3_Lb0EN6thrust23THRUST_200600_302600_NS6detail15normal_iteratorINS8_10device_ptrIfEEEESD_SD_SD_jNS0_19identity_decomposerENS1_16block_id_wrapperIjLb0EEEEE10hipError_tT1_PNSt15iterator_traitsISI_E10value_typeET2_T3_PNSJ_ISO_E10value_typeET4_T5_PST_SU_PNS1_23onesweep_lookback_stateEbbT6_jjT7_P12ihipStream_tbENKUlT_T0_SI_SN_E_clISD_PfSD_S15_EEDaS11_S12_SI_SN_EUlS11_E_NS1_11comp_targetILNS1_3genE6ELNS1_11target_archE950ELNS1_3gpuE13ELNS1_3repE0EEENS1_47radix_sort_onesweep_sort_config_static_selectorELNS0_4arch9wavefront6targetE1EEEvSI_.has_recursion, 0
	.set _ZN7rocprim17ROCPRIM_400000_NS6detail17trampoline_kernelINS0_14default_configENS1_35radix_sort_onesweep_config_selectorIffEEZZNS1_29radix_sort_onesweep_iterationIS3_Lb0EN6thrust23THRUST_200600_302600_NS6detail15normal_iteratorINS8_10device_ptrIfEEEESD_SD_SD_jNS0_19identity_decomposerENS1_16block_id_wrapperIjLb0EEEEE10hipError_tT1_PNSt15iterator_traitsISI_E10value_typeET2_T3_PNSJ_ISO_E10value_typeET4_T5_PST_SU_PNS1_23onesweep_lookback_stateEbbT6_jjT7_P12ihipStream_tbENKUlT_T0_SI_SN_E_clISD_PfSD_S15_EEDaS11_S12_SI_SN_EUlS11_E_NS1_11comp_targetILNS1_3genE6ELNS1_11target_archE950ELNS1_3gpuE13ELNS1_3repE0EEENS1_47radix_sort_onesweep_sort_config_static_selectorELNS0_4arch9wavefront6targetE1EEEvSI_.has_indirect_call, 0
	.section	.AMDGPU.csdata,"",@progbits
; Kernel info:
; codeLenInByte = 13748
; TotalNumSgprs: 63
; NumVgprs: 53
; NumAgprs: 0
; TotalNumVgprs: 53
; ScratchSize: 48
; MemoryBound: 0
; FloatMode: 240
; IeeeMode: 1
; LDSByteSize: 53328 bytes/workgroup (compile time only)
; SGPRBlocks: 7
; VGPRBlocks: 6
; NumSGPRsForWavesPerEU: 63
; NumVGPRsForWavesPerEU: 53
; AccumOffset: 56
; Occupancy: 8
; WaveLimiterHint : 1
; COMPUTE_PGM_RSRC2:SCRATCH_EN: 1
; COMPUTE_PGM_RSRC2:USER_SGPR: 4
; COMPUTE_PGM_RSRC2:TRAP_HANDLER: 0
; COMPUTE_PGM_RSRC2:TGID_X_EN: 1
; COMPUTE_PGM_RSRC2:TGID_Y_EN: 0
; COMPUTE_PGM_RSRC2:TGID_Z_EN: 0
; COMPUTE_PGM_RSRC2:TIDIG_COMP_CNT: 2
; COMPUTE_PGM_RSRC3_GFX90A:ACCUM_OFFSET: 13
; COMPUTE_PGM_RSRC3_GFX90A:TG_SPLIT: 0
	.section	.text._ZN7rocprim17ROCPRIM_400000_NS6detail17trampoline_kernelINS0_14default_configENS1_35radix_sort_onesweep_config_selectorIffEEZZNS1_29radix_sort_onesweep_iterationIS3_Lb0EN6thrust23THRUST_200600_302600_NS6detail15normal_iteratorINS8_10device_ptrIfEEEESD_SD_SD_jNS0_19identity_decomposerENS1_16block_id_wrapperIjLb0EEEEE10hipError_tT1_PNSt15iterator_traitsISI_E10value_typeET2_T3_PNSJ_ISO_E10value_typeET4_T5_PST_SU_PNS1_23onesweep_lookback_stateEbbT6_jjT7_P12ihipStream_tbENKUlT_T0_SI_SN_E_clISD_PfSD_S15_EEDaS11_S12_SI_SN_EUlS11_E_NS1_11comp_targetILNS1_3genE5ELNS1_11target_archE942ELNS1_3gpuE9ELNS1_3repE0EEENS1_47radix_sort_onesweep_sort_config_static_selectorELNS0_4arch9wavefront6targetE1EEEvSI_,"axG",@progbits,_ZN7rocprim17ROCPRIM_400000_NS6detail17trampoline_kernelINS0_14default_configENS1_35radix_sort_onesweep_config_selectorIffEEZZNS1_29radix_sort_onesweep_iterationIS3_Lb0EN6thrust23THRUST_200600_302600_NS6detail15normal_iteratorINS8_10device_ptrIfEEEESD_SD_SD_jNS0_19identity_decomposerENS1_16block_id_wrapperIjLb0EEEEE10hipError_tT1_PNSt15iterator_traitsISI_E10value_typeET2_T3_PNSJ_ISO_E10value_typeET4_T5_PST_SU_PNS1_23onesweep_lookback_stateEbbT6_jjT7_P12ihipStream_tbENKUlT_T0_SI_SN_E_clISD_PfSD_S15_EEDaS11_S12_SI_SN_EUlS11_E_NS1_11comp_targetILNS1_3genE5ELNS1_11target_archE942ELNS1_3gpuE9ELNS1_3repE0EEENS1_47radix_sort_onesweep_sort_config_static_selectorELNS0_4arch9wavefront6targetE1EEEvSI_,comdat
	.protected	_ZN7rocprim17ROCPRIM_400000_NS6detail17trampoline_kernelINS0_14default_configENS1_35radix_sort_onesweep_config_selectorIffEEZZNS1_29radix_sort_onesweep_iterationIS3_Lb0EN6thrust23THRUST_200600_302600_NS6detail15normal_iteratorINS8_10device_ptrIfEEEESD_SD_SD_jNS0_19identity_decomposerENS1_16block_id_wrapperIjLb0EEEEE10hipError_tT1_PNSt15iterator_traitsISI_E10value_typeET2_T3_PNSJ_ISO_E10value_typeET4_T5_PST_SU_PNS1_23onesweep_lookback_stateEbbT6_jjT7_P12ihipStream_tbENKUlT_T0_SI_SN_E_clISD_PfSD_S15_EEDaS11_S12_SI_SN_EUlS11_E_NS1_11comp_targetILNS1_3genE5ELNS1_11target_archE942ELNS1_3gpuE9ELNS1_3repE0EEENS1_47radix_sort_onesweep_sort_config_static_selectorELNS0_4arch9wavefront6targetE1EEEvSI_ ; -- Begin function _ZN7rocprim17ROCPRIM_400000_NS6detail17trampoline_kernelINS0_14default_configENS1_35radix_sort_onesweep_config_selectorIffEEZZNS1_29radix_sort_onesweep_iterationIS3_Lb0EN6thrust23THRUST_200600_302600_NS6detail15normal_iteratorINS8_10device_ptrIfEEEESD_SD_SD_jNS0_19identity_decomposerENS1_16block_id_wrapperIjLb0EEEEE10hipError_tT1_PNSt15iterator_traitsISI_E10value_typeET2_T3_PNSJ_ISO_E10value_typeET4_T5_PST_SU_PNS1_23onesweep_lookback_stateEbbT6_jjT7_P12ihipStream_tbENKUlT_T0_SI_SN_E_clISD_PfSD_S15_EEDaS11_S12_SI_SN_EUlS11_E_NS1_11comp_targetILNS1_3genE5ELNS1_11target_archE942ELNS1_3gpuE9ELNS1_3repE0EEENS1_47radix_sort_onesweep_sort_config_static_selectorELNS0_4arch9wavefront6targetE1EEEvSI_
	.globl	_ZN7rocprim17ROCPRIM_400000_NS6detail17trampoline_kernelINS0_14default_configENS1_35radix_sort_onesweep_config_selectorIffEEZZNS1_29radix_sort_onesweep_iterationIS3_Lb0EN6thrust23THRUST_200600_302600_NS6detail15normal_iteratorINS8_10device_ptrIfEEEESD_SD_SD_jNS0_19identity_decomposerENS1_16block_id_wrapperIjLb0EEEEE10hipError_tT1_PNSt15iterator_traitsISI_E10value_typeET2_T3_PNSJ_ISO_E10value_typeET4_T5_PST_SU_PNS1_23onesweep_lookback_stateEbbT6_jjT7_P12ihipStream_tbENKUlT_T0_SI_SN_E_clISD_PfSD_S15_EEDaS11_S12_SI_SN_EUlS11_E_NS1_11comp_targetILNS1_3genE5ELNS1_11target_archE942ELNS1_3gpuE9ELNS1_3repE0EEENS1_47radix_sort_onesweep_sort_config_static_selectorELNS0_4arch9wavefront6targetE1EEEvSI_
	.p2align	8
	.type	_ZN7rocprim17ROCPRIM_400000_NS6detail17trampoline_kernelINS0_14default_configENS1_35radix_sort_onesweep_config_selectorIffEEZZNS1_29radix_sort_onesweep_iterationIS3_Lb0EN6thrust23THRUST_200600_302600_NS6detail15normal_iteratorINS8_10device_ptrIfEEEESD_SD_SD_jNS0_19identity_decomposerENS1_16block_id_wrapperIjLb0EEEEE10hipError_tT1_PNSt15iterator_traitsISI_E10value_typeET2_T3_PNSJ_ISO_E10value_typeET4_T5_PST_SU_PNS1_23onesweep_lookback_stateEbbT6_jjT7_P12ihipStream_tbENKUlT_T0_SI_SN_E_clISD_PfSD_S15_EEDaS11_S12_SI_SN_EUlS11_E_NS1_11comp_targetILNS1_3genE5ELNS1_11target_archE942ELNS1_3gpuE9ELNS1_3repE0EEENS1_47radix_sort_onesweep_sort_config_static_selectorELNS0_4arch9wavefront6targetE1EEEvSI_,@function
_ZN7rocprim17ROCPRIM_400000_NS6detail17trampoline_kernelINS0_14default_configENS1_35radix_sort_onesweep_config_selectorIffEEZZNS1_29radix_sort_onesweep_iterationIS3_Lb0EN6thrust23THRUST_200600_302600_NS6detail15normal_iteratorINS8_10device_ptrIfEEEESD_SD_SD_jNS0_19identity_decomposerENS1_16block_id_wrapperIjLb0EEEEE10hipError_tT1_PNSt15iterator_traitsISI_E10value_typeET2_T3_PNSJ_ISO_E10value_typeET4_T5_PST_SU_PNS1_23onesweep_lookback_stateEbbT6_jjT7_P12ihipStream_tbENKUlT_T0_SI_SN_E_clISD_PfSD_S15_EEDaS11_S12_SI_SN_EUlS11_E_NS1_11comp_targetILNS1_3genE5ELNS1_11target_archE942ELNS1_3gpuE9ELNS1_3repE0EEENS1_47radix_sort_onesweep_sort_config_static_selectorELNS0_4arch9wavefront6targetE1EEEvSI_: ; @_ZN7rocprim17ROCPRIM_400000_NS6detail17trampoline_kernelINS0_14default_configENS1_35radix_sort_onesweep_config_selectorIffEEZZNS1_29radix_sort_onesweep_iterationIS3_Lb0EN6thrust23THRUST_200600_302600_NS6detail15normal_iteratorINS8_10device_ptrIfEEEESD_SD_SD_jNS0_19identity_decomposerENS1_16block_id_wrapperIjLb0EEEEE10hipError_tT1_PNSt15iterator_traitsISI_E10value_typeET2_T3_PNSJ_ISO_E10value_typeET4_T5_PST_SU_PNS1_23onesweep_lookback_stateEbbT6_jjT7_P12ihipStream_tbENKUlT_T0_SI_SN_E_clISD_PfSD_S15_EEDaS11_S12_SI_SN_EUlS11_E_NS1_11comp_targetILNS1_3genE5ELNS1_11target_archE942ELNS1_3gpuE9ELNS1_3repE0EEENS1_47radix_sort_onesweep_sort_config_static_selectorELNS0_4arch9wavefront6targetE1EEEvSI_
; %bb.0:
	.section	.rodata,"a",@progbits
	.p2align	6, 0x0
	.amdhsa_kernel _ZN7rocprim17ROCPRIM_400000_NS6detail17trampoline_kernelINS0_14default_configENS1_35radix_sort_onesweep_config_selectorIffEEZZNS1_29radix_sort_onesweep_iterationIS3_Lb0EN6thrust23THRUST_200600_302600_NS6detail15normal_iteratorINS8_10device_ptrIfEEEESD_SD_SD_jNS0_19identity_decomposerENS1_16block_id_wrapperIjLb0EEEEE10hipError_tT1_PNSt15iterator_traitsISI_E10value_typeET2_T3_PNSJ_ISO_E10value_typeET4_T5_PST_SU_PNS1_23onesweep_lookback_stateEbbT6_jjT7_P12ihipStream_tbENKUlT_T0_SI_SN_E_clISD_PfSD_S15_EEDaS11_S12_SI_SN_EUlS11_E_NS1_11comp_targetILNS1_3genE5ELNS1_11target_archE942ELNS1_3gpuE9ELNS1_3repE0EEENS1_47radix_sort_onesweep_sort_config_static_selectorELNS0_4arch9wavefront6targetE1EEEvSI_
		.amdhsa_group_segment_fixed_size 0
		.amdhsa_private_segment_fixed_size 0
		.amdhsa_kernarg_size 88
		.amdhsa_user_sgpr_count 2
		.amdhsa_user_sgpr_dispatch_ptr 0
		.amdhsa_user_sgpr_queue_ptr 0
		.amdhsa_user_sgpr_kernarg_segment_ptr 1
		.amdhsa_user_sgpr_dispatch_id 0
		.amdhsa_user_sgpr_kernarg_preload_length 0
		.amdhsa_user_sgpr_kernarg_preload_offset 0
		.amdhsa_user_sgpr_private_segment_size 0
		.amdhsa_uses_dynamic_stack 0
		.amdhsa_enable_private_segment 0
		.amdhsa_system_sgpr_workgroup_id_x 1
		.amdhsa_system_sgpr_workgroup_id_y 0
		.amdhsa_system_sgpr_workgroup_id_z 0
		.amdhsa_system_sgpr_workgroup_info 0
		.amdhsa_system_vgpr_workitem_id 0
		.amdhsa_next_free_vgpr 1
		.amdhsa_next_free_sgpr 0
		.amdhsa_accum_offset 4
		.amdhsa_reserve_vcc 0
		.amdhsa_float_round_mode_32 0
		.amdhsa_float_round_mode_16_64 0
		.amdhsa_float_denorm_mode_32 3
		.amdhsa_float_denorm_mode_16_64 3
		.amdhsa_dx10_clamp 1
		.amdhsa_ieee_mode 1
		.amdhsa_fp16_overflow 0
		.amdhsa_tg_split 0
		.amdhsa_exception_fp_ieee_invalid_op 0
		.amdhsa_exception_fp_denorm_src 0
		.amdhsa_exception_fp_ieee_div_zero 0
		.amdhsa_exception_fp_ieee_overflow 0
		.amdhsa_exception_fp_ieee_underflow 0
		.amdhsa_exception_fp_ieee_inexact 0
		.amdhsa_exception_int_div_zero 0
	.end_amdhsa_kernel
	.section	.text._ZN7rocprim17ROCPRIM_400000_NS6detail17trampoline_kernelINS0_14default_configENS1_35radix_sort_onesweep_config_selectorIffEEZZNS1_29radix_sort_onesweep_iterationIS3_Lb0EN6thrust23THRUST_200600_302600_NS6detail15normal_iteratorINS8_10device_ptrIfEEEESD_SD_SD_jNS0_19identity_decomposerENS1_16block_id_wrapperIjLb0EEEEE10hipError_tT1_PNSt15iterator_traitsISI_E10value_typeET2_T3_PNSJ_ISO_E10value_typeET4_T5_PST_SU_PNS1_23onesweep_lookback_stateEbbT6_jjT7_P12ihipStream_tbENKUlT_T0_SI_SN_E_clISD_PfSD_S15_EEDaS11_S12_SI_SN_EUlS11_E_NS1_11comp_targetILNS1_3genE5ELNS1_11target_archE942ELNS1_3gpuE9ELNS1_3repE0EEENS1_47radix_sort_onesweep_sort_config_static_selectorELNS0_4arch9wavefront6targetE1EEEvSI_,"axG",@progbits,_ZN7rocprim17ROCPRIM_400000_NS6detail17trampoline_kernelINS0_14default_configENS1_35radix_sort_onesweep_config_selectorIffEEZZNS1_29radix_sort_onesweep_iterationIS3_Lb0EN6thrust23THRUST_200600_302600_NS6detail15normal_iteratorINS8_10device_ptrIfEEEESD_SD_SD_jNS0_19identity_decomposerENS1_16block_id_wrapperIjLb0EEEEE10hipError_tT1_PNSt15iterator_traitsISI_E10value_typeET2_T3_PNSJ_ISO_E10value_typeET4_T5_PST_SU_PNS1_23onesweep_lookback_stateEbbT6_jjT7_P12ihipStream_tbENKUlT_T0_SI_SN_E_clISD_PfSD_S15_EEDaS11_S12_SI_SN_EUlS11_E_NS1_11comp_targetILNS1_3genE5ELNS1_11target_archE942ELNS1_3gpuE9ELNS1_3repE0EEENS1_47radix_sort_onesweep_sort_config_static_selectorELNS0_4arch9wavefront6targetE1EEEvSI_,comdat
.Lfunc_end343:
	.size	_ZN7rocprim17ROCPRIM_400000_NS6detail17trampoline_kernelINS0_14default_configENS1_35radix_sort_onesweep_config_selectorIffEEZZNS1_29radix_sort_onesweep_iterationIS3_Lb0EN6thrust23THRUST_200600_302600_NS6detail15normal_iteratorINS8_10device_ptrIfEEEESD_SD_SD_jNS0_19identity_decomposerENS1_16block_id_wrapperIjLb0EEEEE10hipError_tT1_PNSt15iterator_traitsISI_E10value_typeET2_T3_PNSJ_ISO_E10value_typeET4_T5_PST_SU_PNS1_23onesweep_lookback_stateEbbT6_jjT7_P12ihipStream_tbENKUlT_T0_SI_SN_E_clISD_PfSD_S15_EEDaS11_S12_SI_SN_EUlS11_E_NS1_11comp_targetILNS1_3genE5ELNS1_11target_archE942ELNS1_3gpuE9ELNS1_3repE0EEENS1_47radix_sort_onesweep_sort_config_static_selectorELNS0_4arch9wavefront6targetE1EEEvSI_, .Lfunc_end343-_ZN7rocprim17ROCPRIM_400000_NS6detail17trampoline_kernelINS0_14default_configENS1_35radix_sort_onesweep_config_selectorIffEEZZNS1_29radix_sort_onesweep_iterationIS3_Lb0EN6thrust23THRUST_200600_302600_NS6detail15normal_iteratorINS8_10device_ptrIfEEEESD_SD_SD_jNS0_19identity_decomposerENS1_16block_id_wrapperIjLb0EEEEE10hipError_tT1_PNSt15iterator_traitsISI_E10value_typeET2_T3_PNSJ_ISO_E10value_typeET4_T5_PST_SU_PNS1_23onesweep_lookback_stateEbbT6_jjT7_P12ihipStream_tbENKUlT_T0_SI_SN_E_clISD_PfSD_S15_EEDaS11_S12_SI_SN_EUlS11_E_NS1_11comp_targetILNS1_3genE5ELNS1_11target_archE942ELNS1_3gpuE9ELNS1_3repE0EEENS1_47radix_sort_onesweep_sort_config_static_selectorELNS0_4arch9wavefront6targetE1EEEvSI_
                                        ; -- End function
	.set _ZN7rocprim17ROCPRIM_400000_NS6detail17trampoline_kernelINS0_14default_configENS1_35radix_sort_onesweep_config_selectorIffEEZZNS1_29radix_sort_onesweep_iterationIS3_Lb0EN6thrust23THRUST_200600_302600_NS6detail15normal_iteratorINS8_10device_ptrIfEEEESD_SD_SD_jNS0_19identity_decomposerENS1_16block_id_wrapperIjLb0EEEEE10hipError_tT1_PNSt15iterator_traitsISI_E10value_typeET2_T3_PNSJ_ISO_E10value_typeET4_T5_PST_SU_PNS1_23onesweep_lookback_stateEbbT6_jjT7_P12ihipStream_tbENKUlT_T0_SI_SN_E_clISD_PfSD_S15_EEDaS11_S12_SI_SN_EUlS11_E_NS1_11comp_targetILNS1_3genE5ELNS1_11target_archE942ELNS1_3gpuE9ELNS1_3repE0EEENS1_47radix_sort_onesweep_sort_config_static_selectorELNS0_4arch9wavefront6targetE1EEEvSI_.num_vgpr, 0
	.set _ZN7rocprim17ROCPRIM_400000_NS6detail17trampoline_kernelINS0_14default_configENS1_35radix_sort_onesweep_config_selectorIffEEZZNS1_29radix_sort_onesweep_iterationIS3_Lb0EN6thrust23THRUST_200600_302600_NS6detail15normal_iteratorINS8_10device_ptrIfEEEESD_SD_SD_jNS0_19identity_decomposerENS1_16block_id_wrapperIjLb0EEEEE10hipError_tT1_PNSt15iterator_traitsISI_E10value_typeET2_T3_PNSJ_ISO_E10value_typeET4_T5_PST_SU_PNS1_23onesweep_lookback_stateEbbT6_jjT7_P12ihipStream_tbENKUlT_T0_SI_SN_E_clISD_PfSD_S15_EEDaS11_S12_SI_SN_EUlS11_E_NS1_11comp_targetILNS1_3genE5ELNS1_11target_archE942ELNS1_3gpuE9ELNS1_3repE0EEENS1_47radix_sort_onesweep_sort_config_static_selectorELNS0_4arch9wavefront6targetE1EEEvSI_.num_agpr, 0
	.set _ZN7rocprim17ROCPRIM_400000_NS6detail17trampoline_kernelINS0_14default_configENS1_35radix_sort_onesweep_config_selectorIffEEZZNS1_29radix_sort_onesweep_iterationIS3_Lb0EN6thrust23THRUST_200600_302600_NS6detail15normal_iteratorINS8_10device_ptrIfEEEESD_SD_SD_jNS0_19identity_decomposerENS1_16block_id_wrapperIjLb0EEEEE10hipError_tT1_PNSt15iterator_traitsISI_E10value_typeET2_T3_PNSJ_ISO_E10value_typeET4_T5_PST_SU_PNS1_23onesweep_lookback_stateEbbT6_jjT7_P12ihipStream_tbENKUlT_T0_SI_SN_E_clISD_PfSD_S15_EEDaS11_S12_SI_SN_EUlS11_E_NS1_11comp_targetILNS1_3genE5ELNS1_11target_archE942ELNS1_3gpuE9ELNS1_3repE0EEENS1_47radix_sort_onesweep_sort_config_static_selectorELNS0_4arch9wavefront6targetE1EEEvSI_.numbered_sgpr, 0
	.set _ZN7rocprim17ROCPRIM_400000_NS6detail17trampoline_kernelINS0_14default_configENS1_35radix_sort_onesweep_config_selectorIffEEZZNS1_29radix_sort_onesweep_iterationIS3_Lb0EN6thrust23THRUST_200600_302600_NS6detail15normal_iteratorINS8_10device_ptrIfEEEESD_SD_SD_jNS0_19identity_decomposerENS1_16block_id_wrapperIjLb0EEEEE10hipError_tT1_PNSt15iterator_traitsISI_E10value_typeET2_T3_PNSJ_ISO_E10value_typeET4_T5_PST_SU_PNS1_23onesweep_lookback_stateEbbT6_jjT7_P12ihipStream_tbENKUlT_T0_SI_SN_E_clISD_PfSD_S15_EEDaS11_S12_SI_SN_EUlS11_E_NS1_11comp_targetILNS1_3genE5ELNS1_11target_archE942ELNS1_3gpuE9ELNS1_3repE0EEENS1_47radix_sort_onesweep_sort_config_static_selectorELNS0_4arch9wavefront6targetE1EEEvSI_.num_named_barrier, 0
	.set _ZN7rocprim17ROCPRIM_400000_NS6detail17trampoline_kernelINS0_14default_configENS1_35radix_sort_onesweep_config_selectorIffEEZZNS1_29radix_sort_onesweep_iterationIS3_Lb0EN6thrust23THRUST_200600_302600_NS6detail15normal_iteratorINS8_10device_ptrIfEEEESD_SD_SD_jNS0_19identity_decomposerENS1_16block_id_wrapperIjLb0EEEEE10hipError_tT1_PNSt15iterator_traitsISI_E10value_typeET2_T3_PNSJ_ISO_E10value_typeET4_T5_PST_SU_PNS1_23onesweep_lookback_stateEbbT6_jjT7_P12ihipStream_tbENKUlT_T0_SI_SN_E_clISD_PfSD_S15_EEDaS11_S12_SI_SN_EUlS11_E_NS1_11comp_targetILNS1_3genE5ELNS1_11target_archE942ELNS1_3gpuE9ELNS1_3repE0EEENS1_47radix_sort_onesweep_sort_config_static_selectorELNS0_4arch9wavefront6targetE1EEEvSI_.private_seg_size, 0
	.set _ZN7rocprim17ROCPRIM_400000_NS6detail17trampoline_kernelINS0_14default_configENS1_35radix_sort_onesweep_config_selectorIffEEZZNS1_29radix_sort_onesweep_iterationIS3_Lb0EN6thrust23THRUST_200600_302600_NS6detail15normal_iteratorINS8_10device_ptrIfEEEESD_SD_SD_jNS0_19identity_decomposerENS1_16block_id_wrapperIjLb0EEEEE10hipError_tT1_PNSt15iterator_traitsISI_E10value_typeET2_T3_PNSJ_ISO_E10value_typeET4_T5_PST_SU_PNS1_23onesweep_lookback_stateEbbT6_jjT7_P12ihipStream_tbENKUlT_T0_SI_SN_E_clISD_PfSD_S15_EEDaS11_S12_SI_SN_EUlS11_E_NS1_11comp_targetILNS1_3genE5ELNS1_11target_archE942ELNS1_3gpuE9ELNS1_3repE0EEENS1_47radix_sort_onesweep_sort_config_static_selectorELNS0_4arch9wavefront6targetE1EEEvSI_.uses_vcc, 0
	.set _ZN7rocprim17ROCPRIM_400000_NS6detail17trampoline_kernelINS0_14default_configENS1_35radix_sort_onesweep_config_selectorIffEEZZNS1_29radix_sort_onesweep_iterationIS3_Lb0EN6thrust23THRUST_200600_302600_NS6detail15normal_iteratorINS8_10device_ptrIfEEEESD_SD_SD_jNS0_19identity_decomposerENS1_16block_id_wrapperIjLb0EEEEE10hipError_tT1_PNSt15iterator_traitsISI_E10value_typeET2_T3_PNSJ_ISO_E10value_typeET4_T5_PST_SU_PNS1_23onesweep_lookback_stateEbbT6_jjT7_P12ihipStream_tbENKUlT_T0_SI_SN_E_clISD_PfSD_S15_EEDaS11_S12_SI_SN_EUlS11_E_NS1_11comp_targetILNS1_3genE5ELNS1_11target_archE942ELNS1_3gpuE9ELNS1_3repE0EEENS1_47radix_sort_onesweep_sort_config_static_selectorELNS0_4arch9wavefront6targetE1EEEvSI_.uses_flat_scratch, 0
	.set _ZN7rocprim17ROCPRIM_400000_NS6detail17trampoline_kernelINS0_14default_configENS1_35radix_sort_onesweep_config_selectorIffEEZZNS1_29radix_sort_onesweep_iterationIS3_Lb0EN6thrust23THRUST_200600_302600_NS6detail15normal_iteratorINS8_10device_ptrIfEEEESD_SD_SD_jNS0_19identity_decomposerENS1_16block_id_wrapperIjLb0EEEEE10hipError_tT1_PNSt15iterator_traitsISI_E10value_typeET2_T3_PNSJ_ISO_E10value_typeET4_T5_PST_SU_PNS1_23onesweep_lookback_stateEbbT6_jjT7_P12ihipStream_tbENKUlT_T0_SI_SN_E_clISD_PfSD_S15_EEDaS11_S12_SI_SN_EUlS11_E_NS1_11comp_targetILNS1_3genE5ELNS1_11target_archE942ELNS1_3gpuE9ELNS1_3repE0EEENS1_47radix_sort_onesweep_sort_config_static_selectorELNS0_4arch9wavefront6targetE1EEEvSI_.has_dyn_sized_stack, 0
	.set _ZN7rocprim17ROCPRIM_400000_NS6detail17trampoline_kernelINS0_14default_configENS1_35radix_sort_onesweep_config_selectorIffEEZZNS1_29radix_sort_onesweep_iterationIS3_Lb0EN6thrust23THRUST_200600_302600_NS6detail15normal_iteratorINS8_10device_ptrIfEEEESD_SD_SD_jNS0_19identity_decomposerENS1_16block_id_wrapperIjLb0EEEEE10hipError_tT1_PNSt15iterator_traitsISI_E10value_typeET2_T3_PNSJ_ISO_E10value_typeET4_T5_PST_SU_PNS1_23onesweep_lookback_stateEbbT6_jjT7_P12ihipStream_tbENKUlT_T0_SI_SN_E_clISD_PfSD_S15_EEDaS11_S12_SI_SN_EUlS11_E_NS1_11comp_targetILNS1_3genE5ELNS1_11target_archE942ELNS1_3gpuE9ELNS1_3repE0EEENS1_47radix_sort_onesweep_sort_config_static_selectorELNS0_4arch9wavefront6targetE1EEEvSI_.has_recursion, 0
	.set _ZN7rocprim17ROCPRIM_400000_NS6detail17trampoline_kernelINS0_14default_configENS1_35radix_sort_onesweep_config_selectorIffEEZZNS1_29radix_sort_onesweep_iterationIS3_Lb0EN6thrust23THRUST_200600_302600_NS6detail15normal_iteratorINS8_10device_ptrIfEEEESD_SD_SD_jNS0_19identity_decomposerENS1_16block_id_wrapperIjLb0EEEEE10hipError_tT1_PNSt15iterator_traitsISI_E10value_typeET2_T3_PNSJ_ISO_E10value_typeET4_T5_PST_SU_PNS1_23onesweep_lookback_stateEbbT6_jjT7_P12ihipStream_tbENKUlT_T0_SI_SN_E_clISD_PfSD_S15_EEDaS11_S12_SI_SN_EUlS11_E_NS1_11comp_targetILNS1_3genE5ELNS1_11target_archE942ELNS1_3gpuE9ELNS1_3repE0EEENS1_47radix_sort_onesweep_sort_config_static_selectorELNS0_4arch9wavefront6targetE1EEEvSI_.has_indirect_call, 0
	.section	.AMDGPU.csdata,"",@progbits
; Kernel info:
; codeLenInByte = 0
; TotalNumSgprs: 6
; NumVgprs: 0
; NumAgprs: 0
; TotalNumVgprs: 0
; ScratchSize: 0
; MemoryBound: 0
; FloatMode: 240
; IeeeMode: 1
; LDSByteSize: 0 bytes/workgroup (compile time only)
; SGPRBlocks: 0
; VGPRBlocks: 0
; NumSGPRsForWavesPerEU: 6
; NumVGPRsForWavesPerEU: 1
; AccumOffset: 4
; Occupancy: 8
; WaveLimiterHint : 0
; COMPUTE_PGM_RSRC2:SCRATCH_EN: 0
; COMPUTE_PGM_RSRC2:USER_SGPR: 2
; COMPUTE_PGM_RSRC2:TRAP_HANDLER: 0
; COMPUTE_PGM_RSRC2:TGID_X_EN: 1
; COMPUTE_PGM_RSRC2:TGID_Y_EN: 0
; COMPUTE_PGM_RSRC2:TGID_Z_EN: 0
; COMPUTE_PGM_RSRC2:TIDIG_COMP_CNT: 0
; COMPUTE_PGM_RSRC3_GFX90A:ACCUM_OFFSET: 0
; COMPUTE_PGM_RSRC3_GFX90A:TG_SPLIT: 0
	.section	.text._ZN7rocprim17ROCPRIM_400000_NS6detail17trampoline_kernelINS0_14default_configENS1_35radix_sort_onesweep_config_selectorIffEEZZNS1_29radix_sort_onesweep_iterationIS3_Lb0EN6thrust23THRUST_200600_302600_NS6detail15normal_iteratorINS8_10device_ptrIfEEEESD_SD_SD_jNS0_19identity_decomposerENS1_16block_id_wrapperIjLb0EEEEE10hipError_tT1_PNSt15iterator_traitsISI_E10value_typeET2_T3_PNSJ_ISO_E10value_typeET4_T5_PST_SU_PNS1_23onesweep_lookback_stateEbbT6_jjT7_P12ihipStream_tbENKUlT_T0_SI_SN_E_clISD_PfSD_S15_EEDaS11_S12_SI_SN_EUlS11_E_NS1_11comp_targetILNS1_3genE2ELNS1_11target_archE906ELNS1_3gpuE6ELNS1_3repE0EEENS1_47radix_sort_onesweep_sort_config_static_selectorELNS0_4arch9wavefront6targetE1EEEvSI_,"axG",@progbits,_ZN7rocprim17ROCPRIM_400000_NS6detail17trampoline_kernelINS0_14default_configENS1_35radix_sort_onesweep_config_selectorIffEEZZNS1_29radix_sort_onesweep_iterationIS3_Lb0EN6thrust23THRUST_200600_302600_NS6detail15normal_iteratorINS8_10device_ptrIfEEEESD_SD_SD_jNS0_19identity_decomposerENS1_16block_id_wrapperIjLb0EEEEE10hipError_tT1_PNSt15iterator_traitsISI_E10value_typeET2_T3_PNSJ_ISO_E10value_typeET4_T5_PST_SU_PNS1_23onesweep_lookback_stateEbbT6_jjT7_P12ihipStream_tbENKUlT_T0_SI_SN_E_clISD_PfSD_S15_EEDaS11_S12_SI_SN_EUlS11_E_NS1_11comp_targetILNS1_3genE2ELNS1_11target_archE906ELNS1_3gpuE6ELNS1_3repE0EEENS1_47radix_sort_onesweep_sort_config_static_selectorELNS0_4arch9wavefront6targetE1EEEvSI_,comdat
	.protected	_ZN7rocprim17ROCPRIM_400000_NS6detail17trampoline_kernelINS0_14default_configENS1_35radix_sort_onesweep_config_selectorIffEEZZNS1_29radix_sort_onesweep_iterationIS3_Lb0EN6thrust23THRUST_200600_302600_NS6detail15normal_iteratorINS8_10device_ptrIfEEEESD_SD_SD_jNS0_19identity_decomposerENS1_16block_id_wrapperIjLb0EEEEE10hipError_tT1_PNSt15iterator_traitsISI_E10value_typeET2_T3_PNSJ_ISO_E10value_typeET4_T5_PST_SU_PNS1_23onesweep_lookback_stateEbbT6_jjT7_P12ihipStream_tbENKUlT_T0_SI_SN_E_clISD_PfSD_S15_EEDaS11_S12_SI_SN_EUlS11_E_NS1_11comp_targetILNS1_3genE2ELNS1_11target_archE906ELNS1_3gpuE6ELNS1_3repE0EEENS1_47radix_sort_onesweep_sort_config_static_selectorELNS0_4arch9wavefront6targetE1EEEvSI_ ; -- Begin function _ZN7rocprim17ROCPRIM_400000_NS6detail17trampoline_kernelINS0_14default_configENS1_35radix_sort_onesweep_config_selectorIffEEZZNS1_29radix_sort_onesweep_iterationIS3_Lb0EN6thrust23THRUST_200600_302600_NS6detail15normal_iteratorINS8_10device_ptrIfEEEESD_SD_SD_jNS0_19identity_decomposerENS1_16block_id_wrapperIjLb0EEEEE10hipError_tT1_PNSt15iterator_traitsISI_E10value_typeET2_T3_PNSJ_ISO_E10value_typeET4_T5_PST_SU_PNS1_23onesweep_lookback_stateEbbT6_jjT7_P12ihipStream_tbENKUlT_T0_SI_SN_E_clISD_PfSD_S15_EEDaS11_S12_SI_SN_EUlS11_E_NS1_11comp_targetILNS1_3genE2ELNS1_11target_archE906ELNS1_3gpuE6ELNS1_3repE0EEENS1_47radix_sort_onesweep_sort_config_static_selectorELNS0_4arch9wavefront6targetE1EEEvSI_
	.globl	_ZN7rocprim17ROCPRIM_400000_NS6detail17trampoline_kernelINS0_14default_configENS1_35radix_sort_onesweep_config_selectorIffEEZZNS1_29radix_sort_onesweep_iterationIS3_Lb0EN6thrust23THRUST_200600_302600_NS6detail15normal_iteratorINS8_10device_ptrIfEEEESD_SD_SD_jNS0_19identity_decomposerENS1_16block_id_wrapperIjLb0EEEEE10hipError_tT1_PNSt15iterator_traitsISI_E10value_typeET2_T3_PNSJ_ISO_E10value_typeET4_T5_PST_SU_PNS1_23onesweep_lookback_stateEbbT6_jjT7_P12ihipStream_tbENKUlT_T0_SI_SN_E_clISD_PfSD_S15_EEDaS11_S12_SI_SN_EUlS11_E_NS1_11comp_targetILNS1_3genE2ELNS1_11target_archE906ELNS1_3gpuE6ELNS1_3repE0EEENS1_47radix_sort_onesweep_sort_config_static_selectorELNS0_4arch9wavefront6targetE1EEEvSI_
	.p2align	8
	.type	_ZN7rocprim17ROCPRIM_400000_NS6detail17trampoline_kernelINS0_14default_configENS1_35radix_sort_onesweep_config_selectorIffEEZZNS1_29radix_sort_onesweep_iterationIS3_Lb0EN6thrust23THRUST_200600_302600_NS6detail15normal_iteratorINS8_10device_ptrIfEEEESD_SD_SD_jNS0_19identity_decomposerENS1_16block_id_wrapperIjLb0EEEEE10hipError_tT1_PNSt15iterator_traitsISI_E10value_typeET2_T3_PNSJ_ISO_E10value_typeET4_T5_PST_SU_PNS1_23onesweep_lookback_stateEbbT6_jjT7_P12ihipStream_tbENKUlT_T0_SI_SN_E_clISD_PfSD_S15_EEDaS11_S12_SI_SN_EUlS11_E_NS1_11comp_targetILNS1_3genE2ELNS1_11target_archE906ELNS1_3gpuE6ELNS1_3repE0EEENS1_47radix_sort_onesweep_sort_config_static_selectorELNS0_4arch9wavefront6targetE1EEEvSI_,@function
_ZN7rocprim17ROCPRIM_400000_NS6detail17trampoline_kernelINS0_14default_configENS1_35radix_sort_onesweep_config_selectorIffEEZZNS1_29radix_sort_onesweep_iterationIS3_Lb0EN6thrust23THRUST_200600_302600_NS6detail15normal_iteratorINS8_10device_ptrIfEEEESD_SD_SD_jNS0_19identity_decomposerENS1_16block_id_wrapperIjLb0EEEEE10hipError_tT1_PNSt15iterator_traitsISI_E10value_typeET2_T3_PNSJ_ISO_E10value_typeET4_T5_PST_SU_PNS1_23onesweep_lookback_stateEbbT6_jjT7_P12ihipStream_tbENKUlT_T0_SI_SN_E_clISD_PfSD_S15_EEDaS11_S12_SI_SN_EUlS11_E_NS1_11comp_targetILNS1_3genE2ELNS1_11target_archE906ELNS1_3gpuE6ELNS1_3repE0EEENS1_47radix_sort_onesweep_sort_config_static_selectorELNS0_4arch9wavefront6targetE1EEEvSI_: ; @_ZN7rocprim17ROCPRIM_400000_NS6detail17trampoline_kernelINS0_14default_configENS1_35radix_sort_onesweep_config_selectorIffEEZZNS1_29radix_sort_onesweep_iterationIS3_Lb0EN6thrust23THRUST_200600_302600_NS6detail15normal_iteratorINS8_10device_ptrIfEEEESD_SD_SD_jNS0_19identity_decomposerENS1_16block_id_wrapperIjLb0EEEEE10hipError_tT1_PNSt15iterator_traitsISI_E10value_typeET2_T3_PNSJ_ISO_E10value_typeET4_T5_PST_SU_PNS1_23onesweep_lookback_stateEbbT6_jjT7_P12ihipStream_tbENKUlT_T0_SI_SN_E_clISD_PfSD_S15_EEDaS11_S12_SI_SN_EUlS11_E_NS1_11comp_targetILNS1_3genE2ELNS1_11target_archE906ELNS1_3gpuE6ELNS1_3repE0EEENS1_47radix_sort_onesweep_sort_config_static_selectorELNS0_4arch9wavefront6targetE1EEEvSI_
; %bb.0:
	.section	.rodata,"a",@progbits
	.p2align	6, 0x0
	.amdhsa_kernel _ZN7rocprim17ROCPRIM_400000_NS6detail17trampoline_kernelINS0_14default_configENS1_35radix_sort_onesweep_config_selectorIffEEZZNS1_29radix_sort_onesweep_iterationIS3_Lb0EN6thrust23THRUST_200600_302600_NS6detail15normal_iteratorINS8_10device_ptrIfEEEESD_SD_SD_jNS0_19identity_decomposerENS1_16block_id_wrapperIjLb0EEEEE10hipError_tT1_PNSt15iterator_traitsISI_E10value_typeET2_T3_PNSJ_ISO_E10value_typeET4_T5_PST_SU_PNS1_23onesweep_lookback_stateEbbT6_jjT7_P12ihipStream_tbENKUlT_T0_SI_SN_E_clISD_PfSD_S15_EEDaS11_S12_SI_SN_EUlS11_E_NS1_11comp_targetILNS1_3genE2ELNS1_11target_archE906ELNS1_3gpuE6ELNS1_3repE0EEENS1_47radix_sort_onesweep_sort_config_static_selectorELNS0_4arch9wavefront6targetE1EEEvSI_
		.amdhsa_group_segment_fixed_size 0
		.amdhsa_private_segment_fixed_size 0
		.amdhsa_kernarg_size 88
		.amdhsa_user_sgpr_count 2
		.amdhsa_user_sgpr_dispatch_ptr 0
		.amdhsa_user_sgpr_queue_ptr 0
		.amdhsa_user_sgpr_kernarg_segment_ptr 1
		.amdhsa_user_sgpr_dispatch_id 0
		.amdhsa_user_sgpr_kernarg_preload_length 0
		.amdhsa_user_sgpr_kernarg_preload_offset 0
		.amdhsa_user_sgpr_private_segment_size 0
		.amdhsa_uses_dynamic_stack 0
		.amdhsa_enable_private_segment 0
		.amdhsa_system_sgpr_workgroup_id_x 1
		.amdhsa_system_sgpr_workgroup_id_y 0
		.amdhsa_system_sgpr_workgroup_id_z 0
		.amdhsa_system_sgpr_workgroup_info 0
		.amdhsa_system_vgpr_workitem_id 0
		.amdhsa_next_free_vgpr 1
		.amdhsa_next_free_sgpr 0
		.amdhsa_accum_offset 4
		.amdhsa_reserve_vcc 0
		.amdhsa_float_round_mode_32 0
		.amdhsa_float_round_mode_16_64 0
		.amdhsa_float_denorm_mode_32 3
		.amdhsa_float_denorm_mode_16_64 3
		.amdhsa_dx10_clamp 1
		.amdhsa_ieee_mode 1
		.amdhsa_fp16_overflow 0
		.amdhsa_tg_split 0
		.amdhsa_exception_fp_ieee_invalid_op 0
		.amdhsa_exception_fp_denorm_src 0
		.amdhsa_exception_fp_ieee_div_zero 0
		.amdhsa_exception_fp_ieee_overflow 0
		.amdhsa_exception_fp_ieee_underflow 0
		.amdhsa_exception_fp_ieee_inexact 0
		.amdhsa_exception_int_div_zero 0
	.end_amdhsa_kernel
	.section	.text._ZN7rocprim17ROCPRIM_400000_NS6detail17trampoline_kernelINS0_14default_configENS1_35radix_sort_onesweep_config_selectorIffEEZZNS1_29radix_sort_onesweep_iterationIS3_Lb0EN6thrust23THRUST_200600_302600_NS6detail15normal_iteratorINS8_10device_ptrIfEEEESD_SD_SD_jNS0_19identity_decomposerENS1_16block_id_wrapperIjLb0EEEEE10hipError_tT1_PNSt15iterator_traitsISI_E10value_typeET2_T3_PNSJ_ISO_E10value_typeET4_T5_PST_SU_PNS1_23onesweep_lookback_stateEbbT6_jjT7_P12ihipStream_tbENKUlT_T0_SI_SN_E_clISD_PfSD_S15_EEDaS11_S12_SI_SN_EUlS11_E_NS1_11comp_targetILNS1_3genE2ELNS1_11target_archE906ELNS1_3gpuE6ELNS1_3repE0EEENS1_47radix_sort_onesweep_sort_config_static_selectorELNS0_4arch9wavefront6targetE1EEEvSI_,"axG",@progbits,_ZN7rocprim17ROCPRIM_400000_NS6detail17trampoline_kernelINS0_14default_configENS1_35radix_sort_onesweep_config_selectorIffEEZZNS1_29radix_sort_onesweep_iterationIS3_Lb0EN6thrust23THRUST_200600_302600_NS6detail15normal_iteratorINS8_10device_ptrIfEEEESD_SD_SD_jNS0_19identity_decomposerENS1_16block_id_wrapperIjLb0EEEEE10hipError_tT1_PNSt15iterator_traitsISI_E10value_typeET2_T3_PNSJ_ISO_E10value_typeET4_T5_PST_SU_PNS1_23onesweep_lookback_stateEbbT6_jjT7_P12ihipStream_tbENKUlT_T0_SI_SN_E_clISD_PfSD_S15_EEDaS11_S12_SI_SN_EUlS11_E_NS1_11comp_targetILNS1_3genE2ELNS1_11target_archE906ELNS1_3gpuE6ELNS1_3repE0EEENS1_47radix_sort_onesweep_sort_config_static_selectorELNS0_4arch9wavefront6targetE1EEEvSI_,comdat
.Lfunc_end344:
	.size	_ZN7rocprim17ROCPRIM_400000_NS6detail17trampoline_kernelINS0_14default_configENS1_35radix_sort_onesweep_config_selectorIffEEZZNS1_29radix_sort_onesweep_iterationIS3_Lb0EN6thrust23THRUST_200600_302600_NS6detail15normal_iteratorINS8_10device_ptrIfEEEESD_SD_SD_jNS0_19identity_decomposerENS1_16block_id_wrapperIjLb0EEEEE10hipError_tT1_PNSt15iterator_traitsISI_E10value_typeET2_T3_PNSJ_ISO_E10value_typeET4_T5_PST_SU_PNS1_23onesweep_lookback_stateEbbT6_jjT7_P12ihipStream_tbENKUlT_T0_SI_SN_E_clISD_PfSD_S15_EEDaS11_S12_SI_SN_EUlS11_E_NS1_11comp_targetILNS1_3genE2ELNS1_11target_archE906ELNS1_3gpuE6ELNS1_3repE0EEENS1_47radix_sort_onesweep_sort_config_static_selectorELNS0_4arch9wavefront6targetE1EEEvSI_, .Lfunc_end344-_ZN7rocprim17ROCPRIM_400000_NS6detail17trampoline_kernelINS0_14default_configENS1_35radix_sort_onesweep_config_selectorIffEEZZNS1_29radix_sort_onesweep_iterationIS3_Lb0EN6thrust23THRUST_200600_302600_NS6detail15normal_iteratorINS8_10device_ptrIfEEEESD_SD_SD_jNS0_19identity_decomposerENS1_16block_id_wrapperIjLb0EEEEE10hipError_tT1_PNSt15iterator_traitsISI_E10value_typeET2_T3_PNSJ_ISO_E10value_typeET4_T5_PST_SU_PNS1_23onesweep_lookback_stateEbbT6_jjT7_P12ihipStream_tbENKUlT_T0_SI_SN_E_clISD_PfSD_S15_EEDaS11_S12_SI_SN_EUlS11_E_NS1_11comp_targetILNS1_3genE2ELNS1_11target_archE906ELNS1_3gpuE6ELNS1_3repE0EEENS1_47radix_sort_onesweep_sort_config_static_selectorELNS0_4arch9wavefront6targetE1EEEvSI_
                                        ; -- End function
	.set _ZN7rocprim17ROCPRIM_400000_NS6detail17trampoline_kernelINS0_14default_configENS1_35radix_sort_onesweep_config_selectorIffEEZZNS1_29radix_sort_onesweep_iterationIS3_Lb0EN6thrust23THRUST_200600_302600_NS6detail15normal_iteratorINS8_10device_ptrIfEEEESD_SD_SD_jNS0_19identity_decomposerENS1_16block_id_wrapperIjLb0EEEEE10hipError_tT1_PNSt15iterator_traitsISI_E10value_typeET2_T3_PNSJ_ISO_E10value_typeET4_T5_PST_SU_PNS1_23onesweep_lookback_stateEbbT6_jjT7_P12ihipStream_tbENKUlT_T0_SI_SN_E_clISD_PfSD_S15_EEDaS11_S12_SI_SN_EUlS11_E_NS1_11comp_targetILNS1_3genE2ELNS1_11target_archE906ELNS1_3gpuE6ELNS1_3repE0EEENS1_47radix_sort_onesweep_sort_config_static_selectorELNS0_4arch9wavefront6targetE1EEEvSI_.num_vgpr, 0
	.set _ZN7rocprim17ROCPRIM_400000_NS6detail17trampoline_kernelINS0_14default_configENS1_35radix_sort_onesweep_config_selectorIffEEZZNS1_29radix_sort_onesweep_iterationIS3_Lb0EN6thrust23THRUST_200600_302600_NS6detail15normal_iteratorINS8_10device_ptrIfEEEESD_SD_SD_jNS0_19identity_decomposerENS1_16block_id_wrapperIjLb0EEEEE10hipError_tT1_PNSt15iterator_traitsISI_E10value_typeET2_T3_PNSJ_ISO_E10value_typeET4_T5_PST_SU_PNS1_23onesweep_lookback_stateEbbT6_jjT7_P12ihipStream_tbENKUlT_T0_SI_SN_E_clISD_PfSD_S15_EEDaS11_S12_SI_SN_EUlS11_E_NS1_11comp_targetILNS1_3genE2ELNS1_11target_archE906ELNS1_3gpuE6ELNS1_3repE0EEENS1_47radix_sort_onesweep_sort_config_static_selectorELNS0_4arch9wavefront6targetE1EEEvSI_.num_agpr, 0
	.set _ZN7rocprim17ROCPRIM_400000_NS6detail17trampoline_kernelINS0_14default_configENS1_35radix_sort_onesweep_config_selectorIffEEZZNS1_29radix_sort_onesweep_iterationIS3_Lb0EN6thrust23THRUST_200600_302600_NS6detail15normal_iteratorINS8_10device_ptrIfEEEESD_SD_SD_jNS0_19identity_decomposerENS1_16block_id_wrapperIjLb0EEEEE10hipError_tT1_PNSt15iterator_traitsISI_E10value_typeET2_T3_PNSJ_ISO_E10value_typeET4_T5_PST_SU_PNS1_23onesweep_lookback_stateEbbT6_jjT7_P12ihipStream_tbENKUlT_T0_SI_SN_E_clISD_PfSD_S15_EEDaS11_S12_SI_SN_EUlS11_E_NS1_11comp_targetILNS1_3genE2ELNS1_11target_archE906ELNS1_3gpuE6ELNS1_3repE0EEENS1_47radix_sort_onesweep_sort_config_static_selectorELNS0_4arch9wavefront6targetE1EEEvSI_.numbered_sgpr, 0
	.set _ZN7rocprim17ROCPRIM_400000_NS6detail17trampoline_kernelINS0_14default_configENS1_35radix_sort_onesweep_config_selectorIffEEZZNS1_29radix_sort_onesweep_iterationIS3_Lb0EN6thrust23THRUST_200600_302600_NS6detail15normal_iteratorINS8_10device_ptrIfEEEESD_SD_SD_jNS0_19identity_decomposerENS1_16block_id_wrapperIjLb0EEEEE10hipError_tT1_PNSt15iterator_traitsISI_E10value_typeET2_T3_PNSJ_ISO_E10value_typeET4_T5_PST_SU_PNS1_23onesweep_lookback_stateEbbT6_jjT7_P12ihipStream_tbENKUlT_T0_SI_SN_E_clISD_PfSD_S15_EEDaS11_S12_SI_SN_EUlS11_E_NS1_11comp_targetILNS1_3genE2ELNS1_11target_archE906ELNS1_3gpuE6ELNS1_3repE0EEENS1_47radix_sort_onesweep_sort_config_static_selectorELNS0_4arch9wavefront6targetE1EEEvSI_.num_named_barrier, 0
	.set _ZN7rocprim17ROCPRIM_400000_NS6detail17trampoline_kernelINS0_14default_configENS1_35radix_sort_onesweep_config_selectorIffEEZZNS1_29radix_sort_onesweep_iterationIS3_Lb0EN6thrust23THRUST_200600_302600_NS6detail15normal_iteratorINS8_10device_ptrIfEEEESD_SD_SD_jNS0_19identity_decomposerENS1_16block_id_wrapperIjLb0EEEEE10hipError_tT1_PNSt15iterator_traitsISI_E10value_typeET2_T3_PNSJ_ISO_E10value_typeET4_T5_PST_SU_PNS1_23onesweep_lookback_stateEbbT6_jjT7_P12ihipStream_tbENKUlT_T0_SI_SN_E_clISD_PfSD_S15_EEDaS11_S12_SI_SN_EUlS11_E_NS1_11comp_targetILNS1_3genE2ELNS1_11target_archE906ELNS1_3gpuE6ELNS1_3repE0EEENS1_47radix_sort_onesweep_sort_config_static_selectorELNS0_4arch9wavefront6targetE1EEEvSI_.private_seg_size, 0
	.set _ZN7rocprim17ROCPRIM_400000_NS6detail17trampoline_kernelINS0_14default_configENS1_35radix_sort_onesweep_config_selectorIffEEZZNS1_29radix_sort_onesweep_iterationIS3_Lb0EN6thrust23THRUST_200600_302600_NS6detail15normal_iteratorINS8_10device_ptrIfEEEESD_SD_SD_jNS0_19identity_decomposerENS1_16block_id_wrapperIjLb0EEEEE10hipError_tT1_PNSt15iterator_traitsISI_E10value_typeET2_T3_PNSJ_ISO_E10value_typeET4_T5_PST_SU_PNS1_23onesweep_lookback_stateEbbT6_jjT7_P12ihipStream_tbENKUlT_T0_SI_SN_E_clISD_PfSD_S15_EEDaS11_S12_SI_SN_EUlS11_E_NS1_11comp_targetILNS1_3genE2ELNS1_11target_archE906ELNS1_3gpuE6ELNS1_3repE0EEENS1_47radix_sort_onesweep_sort_config_static_selectorELNS0_4arch9wavefront6targetE1EEEvSI_.uses_vcc, 0
	.set _ZN7rocprim17ROCPRIM_400000_NS6detail17trampoline_kernelINS0_14default_configENS1_35radix_sort_onesweep_config_selectorIffEEZZNS1_29radix_sort_onesweep_iterationIS3_Lb0EN6thrust23THRUST_200600_302600_NS6detail15normal_iteratorINS8_10device_ptrIfEEEESD_SD_SD_jNS0_19identity_decomposerENS1_16block_id_wrapperIjLb0EEEEE10hipError_tT1_PNSt15iterator_traitsISI_E10value_typeET2_T3_PNSJ_ISO_E10value_typeET4_T5_PST_SU_PNS1_23onesweep_lookback_stateEbbT6_jjT7_P12ihipStream_tbENKUlT_T0_SI_SN_E_clISD_PfSD_S15_EEDaS11_S12_SI_SN_EUlS11_E_NS1_11comp_targetILNS1_3genE2ELNS1_11target_archE906ELNS1_3gpuE6ELNS1_3repE0EEENS1_47radix_sort_onesweep_sort_config_static_selectorELNS0_4arch9wavefront6targetE1EEEvSI_.uses_flat_scratch, 0
	.set _ZN7rocprim17ROCPRIM_400000_NS6detail17trampoline_kernelINS0_14default_configENS1_35radix_sort_onesweep_config_selectorIffEEZZNS1_29radix_sort_onesweep_iterationIS3_Lb0EN6thrust23THRUST_200600_302600_NS6detail15normal_iteratorINS8_10device_ptrIfEEEESD_SD_SD_jNS0_19identity_decomposerENS1_16block_id_wrapperIjLb0EEEEE10hipError_tT1_PNSt15iterator_traitsISI_E10value_typeET2_T3_PNSJ_ISO_E10value_typeET4_T5_PST_SU_PNS1_23onesweep_lookback_stateEbbT6_jjT7_P12ihipStream_tbENKUlT_T0_SI_SN_E_clISD_PfSD_S15_EEDaS11_S12_SI_SN_EUlS11_E_NS1_11comp_targetILNS1_3genE2ELNS1_11target_archE906ELNS1_3gpuE6ELNS1_3repE0EEENS1_47radix_sort_onesweep_sort_config_static_selectorELNS0_4arch9wavefront6targetE1EEEvSI_.has_dyn_sized_stack, 0
	.set _ZN7rocprim17ROCPRIM_400000_NS6detail17trampoline_kernelINS0_14default_configENS1_35radix_sort_onesweep_config_selectorIffEEZZNS1_29radix_sort_onesweep_iterationIS3_Lb0EN6thrust23THRUST_200600_302600_NS6detail15normal_iteratorINS8_10device_ptrIfEEEESD_SD_SD_jNS0_19identity_decomposerENS1_16block_id_wrapperIjLb0EEEEE10hipError_tT1_PNSt15iterator_traitsISI_E10value_typeET2_T3_PNSJ_ISO_E10value_typeET4_T5_PST_SU_PNS1_23onesweep_lookback_stateEbbT6_jjT7_P12ihipStream_tbENKUlT_T0_SI_SN_E_clISD_PfSD_S15_EEDaS11_S12_SI_SN_EUlS11_E_NS1_11comp_targetILNS1_3genE2ELNS1_11target_archE906ELNS1_3gpuE6ELNS1_3repE0EEENS1_47radix_sort_onesweep_sort_config_static_selectorELNS0_4arch9wavefront6targetE1EEEvSI_.has_recursion, 0
	.set _ZN7rocprim17ROCPRIM_400000_NS6detail17trampoline_kernelINS0_14default_configENS1_35radix_sort_onesweep_config_selectorIffEEZZNS1_29radix_sort_onesweep_iterationIS3_Lb0EN6thrust23THRUST_200600_302600_NS6detail15normal_iteratorINS8_10device_ptrIfEEEESD_SD_SD_jNS0_19identity_decomposerENS1_16block_id_wrapperIjLb0EEEEE10hipError_tT1_PNSt15iterator_traitsISI_E10value_typeET2_T3_PNSJ_ISO_E10value_typeET4_T5_PST_SU_PNS1_23onesweep_lookback_stateEbbT6_jjT7_P12ihipStream_tbENKUlT_T0_SI_SN_E_clISD_PfSD_S15_EEDaS11_S12_SI_SN_EUlS11_E_NS1_11comp_targetILNS1_3genE2ELNS1_11target_archE906ELNS1_3gpuE6ELNS1_3repE0EEENS1_47radix_sort_onesweep_sort_config_static_selectorELNS0_4arch9wavefront6targetE1EEEvSI_.has_indirect_call, 0
	.section	.AMDGPU.csdata,"",@progbits
; Kernel info:
; codeLenInByte = 0
; TotalNumSgprs: 6
; NumVgprs: 0
; NumAgprs: 0
; TotalNumVgprs: 0
; ScratchSize: 0
; MemoryBound: 0
; FloatMode: 240
; IeeeMode: 1
; LDSByteSize: 0 bytes/workgroup (compile time only)
; SGPRBlocks: 0
; VGPRBlocks: 0
; NumSGPRsForWavesPerEU: 6
; NumVGPRsForWavesPerEU: 1
; AccumOffset: 4
; Occupancy: 8
; WaveLimiterHint : 0
; COMPUTE_PGM_RSRC2:SCRATCH_EN: 0
; COMPUTE_PGM_RSRC2:USER_SGPR: 2
; COMPUTE_PGM_RSRC2:TRAP_HANDLER: 0
; COMPUTE_PGM_RSRC2:TGID_X_EN: 1
; COMPUTE_PGM_RSRC2:TGID_Y_EN: 0
; COMPUTE_PGM_RSRC2:TGID_Z_EN: 0
; COMPUTE_PGM_RSRC2:TIDIG_COMP_CNT: 0
; COMPUTE_PGM_RSRC3_GFX90A:ACCUM_OFFSET: 0
; COMPUTE_PGM_RSRC3_GFX90A:TG_SPLIT: 0
	.section	.text._ZN7rocprim17ROCPRIM_400000_NS6detail17trampoline_kernelINS0_14default_configENS1_35radix_sort_onesweep_config_selectorIffEEZZNS1_29radix_sort_onesweep_iterationIS3_Lb0EN6thrust23THRUST_200600_302600_NS6detail15normal_iteratorINS8_10device_ptrIfEEEESD_SD_SD_jNS0_19identity_decomposerENS1_16block_id_wrapperIjLb0EEEEE10hipError_tT1_PNSt15iterator_traitsISI_E10value_typeET2_T3_PNSJ_ISO_E10value_typeET4_T5_PST_SU_PNS1_23onesweep_lookback_stateEbbT6_jjT7_P12ihipStream_tbENKUlT_T0_SI_SN_E_clISD_PfSD_S15_EEDaS11_S12_SI_SN_EUlS11_E_NS1_11comp_targetILNS1_3genE4ELNS1_11target_archE910ELNS1_3gpuE8ELNS1_3repE0EEENS1_47radix_sort_onesweep_sort_config_static_selectorELNS0_4arch9wavefront6targetE1EEEvSI_,"axG",@progbits,_ZN7rocprim17ROCPRIM_400000_NS6detail17trampoline_kernelINS0_14default_configENS1_35radix_sort_onesweep_config_selectorIffEEZZNS1_29radix_sort_onesweep_iterationIS3_Lb0EN6thrust23THRUST_200600_302600_NS6detail15normal_iteratorINS8_10device_ptrIfEEEESD_SD_SD_jNS0_19identity_decomposerENS1_16block_id_wrapperIjLb0EEEEE10hipError_tT1_PNSt15iterator_traitsISI_E10value_typeET2_T3_PNSJ_ISO_E10value_typeET4_T5_PST_SU_PNS1_23onesweep_lookback_stateEbbT6_jjT7_P12ihipStream_tbENKUlT_T0_SI_SN_E_clISD_PfSD_S15_EEDaS11_S12_SI_SN_EUlS11_E_NS1_11comp_targetILNS1_3genE4ELNS1_11target_archE910ELNS1_3gpuE8ELNS1_3repE0EEENS1_47radix_sort_onesweep_sort_config_static_selectorELNS0_4arch9wavefront6targetE1EEEvSI_,comdat
	.protected	_ZN7rocprim17ROCPRIM_400000_NS6detail17trampoline_kernelINS0_14default_configENS1_35radix_sort_onesweep_config_selectorIffEEZZNS1_29radix_sort_onesweep_iterationIS3_Lb0EN6thrust23THRUST_200600_302600_NS6detail15normal_iteratorINS8_10device_ptrIfEEEESD_SD_SD_jNS0_19identity_decomposerENS1_16block_id_wrapperIjLb0EEEEE10hipError_tT1_PNSt15iterator_traitsISI_E10value_typeET2_T3_PNSJ_ISO_E10value_typeET4_T5_PST_SU_PNS1_23onesweep_lookback_stateEbbT6_jjT7_P12ihipStream_tbENKUlT_T0_SI_SN_E_clISD_PfSD_S15_EEDaS11_S12_SI_SN_EUlS11_E_NS1_11comp_targetILNS1_3genE4ELNS1_11target_archE910ELNS1_3gpuE8ELNS1_3repE0EEENS1_47radix_sort_onesweep_sort_config_static_selectorELNS0_4arch9wavefront6targetE1EEEvSI_ ; -- Begin function _ZN7rocprim17ROCPRIM_400000_NS6detail17trampoline_kernelINS0_14default_configENS1_35radix_sort_onesweep_config_selectorIffEEZZNS1_29radix_sort_onesweep_iterationIS3_Lb0EN6thrust23THRUST_200600_302600_NS6detail15normal_iteratorINS8_10device_ptrIfEEEESD_SD_SD_jNS0_19identity_decomposerENS1_16block_id_wrapperIjLb0EEEEE10hipError_tT1_PNSt15iterator_traitsISI_E10value_typeET2_T3_PNSJ_ISO_E10value_typeET4_T5_PST_SU_PNS1_23onesweep_lookback_stateEbbT6_jjT7_P12ihipStream_tbENKUlT_T0_SI_SN_E_clISD_PfSD_S15_EEDaS11_S12_SI_SN_EUlS11_E_NS1_11comp_targetILNS1_3genE4ELNS1_11target_archE910ELNS1_3gpuE8ELNS1_3repE0EEENS1_47radix_sort_onesweep_sort_config_static_selectorELNS0_4arch9wavefront6targetE1EEEvSI_
	.globl	_ZN7rocprim17ROCPRIM_400000_NS6detail17trampoline_kernelINS0_14default_configENS1_35radix_sort_onesweep_config_selectorIffEEZZNS1_29radix_sort_onesweep_iterationIS3_Lb0EN6thrust23THRUST_200600_302600_NS6detail15normal_iteratorINS8_10device_ptrIfEEEESD_SD_SD_jNS0_19identity_decomposerENS1_16block_id_wrapperIjLb0EEEEE10hipError_tT1_PNSt15iterator_traitsISI_E10value_typeET2_T3_PNSJ_ISO_E10value_typeET4_T5_PST_SU_PNS1_23onesweep_lookback_stateEbbT6_jjT7_P12ihipStream_tbENKUlT_T0_SI_SN_E_clISD_PfSD_S15_EEDaS11_S12_SI_SN_EUlS11_E_NS1_11comp_targetILNS1_3genE4ELNS1_11target_archE910ELNS1_3gpuE8ELNS1_3repE0EEENS1_47radix_sort_onesweep_sort_config_static_selectorELNS0_4arch9wavefront6targetE1EEEvSI_
	.p2align	8
	.type	_ZN7rocprim17ROCPRIM_400000_NS6detail17trampoline_kernelINS0_14default_configENS1_35radix_sort_onesweep_config_selectorIffEEZZNS1_29radix_sort_onesweep_iterationIS3_Lb0EN6thrust23THRUST_200600_302600_NS6detail15normal_iteratorINS8_10device_ptrIfEEEESD_SD_SD_jNS0_19identity_decomposerENS1_16block_id_wrapperIjLb0EEEEE10hipError_tT1_PNSt15iterator_traitsISI_E10value_typeET2_T3_PNSJ_ISO_E10value_typeET4_T5_PST_SU_PNS1_23onesweep_lookback_stateEbbT6_jjT7_P12ihipStream_tbENKUlT_T0_SI_SN_E_clISD_PfSD_S15_EEDaS11_S12_SI_SN_EUlS11_E_NS1_11comp_targetILNS1_3genE4ELNS1_11target_archE910ELNS1_3gpuE8ELNS1_3repE0EEENS1_47radix_sort_onesweep_sort_config_static_selectorELNS0_4arch9wavefront6targetE1EEEvSI_,@function
_ZN7rocprim17ROCPRIM_400000_NS6detail17trampoline_kernelINS0_14default_configENS1_35radix_sort_onesweep_config_selectorIffEEZZNS1_29radix_sort_onesweep_iterationIS3_Lb0EN6thrust23THRUST_200600_302600_NS6detail15normal_iteratorINS8_10device_ptrIfEEEESD_SD_SD_jNS0_19identity_decomposerENS1_16block_id_wrapperIjLb0EEEEE10hipError_tT1_PNSt15iterator_traitsISI_E10value_typeET2_T3_PNSJ_ISO_E10value_typeET4_T5_PST_SU_PNS1_23onesweep_lookback_stateEbbT6_jjT7_P12ihipStream_tbENKUlT_T0_SI_SN_E_clISD_PfSD_S15_EEDaS11_S12_SI_SN_EUlS11_E_NS1_11comp_targetILNS1_3genE4ELNS1_11target_archE910ELNS1_3gpuE8ELNS1_3repE0EEENS1_47radix_sort_onesweep_sort_config_static_selectorELNS0_4arch9wavefront6targetE1EEEvSI_: ; @_ZN7rocprim17ROCPRIM_400000_NS6detail17trampoline_kernelINS0_14default_configENS1_35radix_sort_onesweep_config_selectorIffEEZZNS1_29radix_sort_onesweep_iterationIS3_Lb0EN6thrust23THRUST_200600_302600_NS6detail15normal_iteratorINS8_10device_ptrIfEEEESD_SD_SD_jNS0_19identity_decomposerENS1_16block_id_wrapperIjLb0EEEEE10hipError_tT1_PNSt15iterator_traitsISI_E10value_typeET2_T3_PNSJ_ISO_E10value_typeET4_T5_PST_SU_PNS1_23onesweep_lookback_stateEbbT6_jjT7_P12ihipStream_tbENKUlT_T0_SI_SN_E_clISD_PfSD_S15_EEDaS11_S12_SI_SN_EUlS11_E_NS1_11comp_targetILNS1_3genE4ELNS1_11target_archE910ELNS1_3gpuE8ELNS1_3repE0EEENS1_47radix_sort_onesweep_sort_config_static_selectorELNS0_4arch9wavefront6targetE1EEEvSI_
; %bb.0:
	.section	.rodata,"a",@progbits
	.p2align	6, 0x0
	.amdhsa_kernel _ZN7rocprim17ROCPRIM_400000_NS6detail17trampoline_kernelINS0_14default_configENS1_35radix_sort_onesweep_config_selectorIffEEZZNS1_29radix_sort_onesweep_iterationIS3_Lb0EN6thrust23THRUST_200600_302600_NS6detail15normal_iteratorINS8_10device_ptrIfEEEESD_SD_SD_jNS0_19identity_decomposerENS1_16block_id_wrapperIjLb0EEEEE10hipError_tT1_PNSt15iterator_traitsISI_E10value_typeET2_T3_PNSJ_ISO_E10value_typeET4_T5_PST_SU_PNS1_23onesweep_lookback_stateEbbT6_jjT7_P12ihipStream_tbENKUlT_T0_SI_SN_E_clISD_PfSD_S15_EEDaS11_S12_SI_SN_EUlS11_E_NS1_11comp_targetILNS1_3genE4ELNS1_11target_archE910ELNS1_3gpuE8ELNS1_3repE0EEENS1_47radix_sort_onesweep_sort_config_static_selectorELNS0_4arch9wavefront6targetE1EEEvSI_
		.amdhsa_group_segment_fixed_size 0
		.amdhsa_private_segment_fixed_size 0
		.amdhsa_kernarg_size 88
		.amdhsa_user_sgpr_count 2
		.amdhsa_user_sgpr_dispatch_ptr 0
		.amdhsa_user_sgpr_queue_ptr 0
		.amdhsa_user_sgpr_kernarg_segment_ptr 1
		.amdhsa_user_sgpr_dispatch_id 0
		.amdhsa_user_sgpr_kernarg_preload_length 0
		.amdhsa_user_sgpr_kernarg_preload_offset 0
		.amdhsa_user_sgpr_private_segment_size 0
		.amdhsa_uses_dynamic_stack 0
		.amdhsa_enable_private_segment 0
		.amdhsa_system_sgpr_workgroup_id_x 1
		.amdhsa_system_sgpr_workgroup_id_y 0
		.amdhsa_system_sgpr_workgroup_id_z 0
		.amdhsa_system_sgpr_workgroup_info 0
		.amdhsa_system_vgpr_workitem_id 0
		.amdhsa_next_free_vgpr 1
		.amdhsa_next_free_sgpr 0
		.amdhsa_accum_offset 4
		.amdhsa_reserve_vcc 0
		.amdhsa_float_round_mode_32 0
		.amdhsa_float_round_mode_16_64 0
		.amdhsa_float_denorm_mode_32 3
		.amdhsa_float_denorm_mode_16_64 3
		.amdhsa_dx10_clamp 1
		.amdhsa_ieee_mode 1
		.amdhsa_fp16_overflow 0
		.amdhsa_tg_split 0
		.amdhsa_exception_fp_ieee_invalid_op 0
		.amdhsa_exception_fp_denorm_src 0
		.amdhsa_exception_fp_ieee_div_zero 0
		.amdhsa_exception_fp_ieee_overflow 0
		.amdhsa_exception_fp_ieee_underflow 0
		.amdhsa_exception_fp_ieee_inexact 0
		.amdhsa_exception_int_div_zero 0
	.end_amdhsa_kernel
	.section	.text._ZN7rocprim17ROCPRIM_400000_NS6detail17trampoline_kernelINS0_14default_configENS1_35radix_sort_onesweep_config_selectorIffEEZZNS1_29radix_sort_onesweep_iterationIS3_Lb0EN6thrust23THRUST_200600_302600_NS6detail15normal_iteratorINS8_10device_ptrIfEEEESD_SD_SD_jNS0_19identity_decomposerENS1_16block_id_wrapperIjLb0EEEEE10hipError_tT1_PNSt15iterator_traitsISI_E10value_typeET2_T3_PNSJ_ISO_E10value_typeET4_T5_PST_SU_PNS1_23onesweep_lookback_stateEbbT6_jjT7_P12ihipStream_tbENKUlT_T0_SI_SN_E_clISD_PfSD_S15_EEDaS11_S12_SI_SN_EUlS11_E_NS1_11comp_targetILNS1_3genE4ELNS1_11target_archE910ELNS1_3gpuE8ELNS1_3repE0EEENS1_47radix_sort_onesweep_sort_config_static_selectorELNS0_4arch9wavefront6targetE1EEEvSI_,"axG",@progbits,_ZN7rocprim17ROCPRIM_400000_NS6detail17trampoline_kernelINS0_14default_configENS1_35radix_sort_onesweep_config_selectorIffEEZZNS1_29radix_sort_onesweep_iterationIS3_Lb0EN6thrust23THRUST_200600_302600_NS6detail15normal_iteratorINS8_10device_ptrIfEEEESD_SD_SD_jNS0_19identity_decomposerENS1_16block_id_wrapperIjLb0EEEEE10hipError_tT1_PNSt15iterator_traitsISI_E10value_typeET2_T3_PNSJ_ISO_E10value_typeET4_T5_PST_SU_PNS1_23onesweep_lookback_stateEbbT6_jjT7_P12ihipStream_tbENKUlT_T0_SI_SN_E_clISD_PfSD_S15_EEDaS11_S12_SI_SN_EUlS11_E_NS1_11comp_targetILNS1_3genE4ELNS1_11target_archE910ELNS1_3gpuE8ELNS1_3repE0EEENS1_47radix_sort_onesweep_sort_config_static_selectorELNS0_4arch9wavefront6targetE1EEEvSI_,comdat
.Lfunc_end345:
	.size	_ZN7rocprim17ROCPRIM_400000_NS6detail17trampoline_kernelINS0_14default_configENS1_35radix_sort_onesweep_config_selectorIffEEZZNS1_29radix_sort_onesweep_iterationIS3_Lb0EN6thrust23THRUST_200600_302600_NS6detail15normal_iteratorINS8_10device_ptrIfEEEESD_SD_SD_jNS0_19identity_decomposerENS1_16block_id_wrapperIjLb0EEEEE10hipError_tT1_PNSt15iterator_traitsISI_E10value_typeET2_T3_PNSJ_ISO_E10value_typeET4_T5_PST_SU_PNS1_23onesweep_lookback_stateEbbT6_jjT7_P12ihipStream_tbENKUlT_T0_SI_SN_E_clISD_PfSD_S15_EEDaS11_S12_SI_SN_EUlS11_E_NS1_11comp_targetILNS1_3genE4ELNS1_11target_archE910ELNS1_3gpuE8ELNS1_3repE0EEENS1_47radix_sort_onesweep_sort_config_static_selectorELNS0_4arch9wavefront6targetE1EEEvSI_, .Lfunc_end345-_ZN7rocprim17ROCPRIM_400000_NS6detail17trampoline_kernelINS0_14default_configENS1_35radix_sort_onesweep_config_selectorIffEEZZNS1_29radix_sort_onesweep_iterationIS3_Lb0EN6thrust23THRUST_200600_302600_NS6detail15normal_iteratorINS8_10device_ptrIfEEEESD_SD_SD_jNS0_19identity_decomposerENS1_16block_id_wrapperIjLb0EEEEE10hipError_tT1_PNSt15iterator_traitsISI_E10value_typeET2_T3_PNSJ_ISO_E10value_typeET4_T5_PST_SU_PNS1_23onesweep_lookback_stateEbbT6_jjT7_P12ihipStream_tbENKUlT_T0_SI_SN_E_clISD_PfSD_S15_EEDaS11_S12_SI_SN_EUlS11_E_NS1_11comp_targetILNS1_3genE4ELNS1_11target_archE910ELNS1_3gpuE8ELNS1_3repE0EEENS1_47radix_sort_onesweep_sort_config_static_selectorELNS0_4arch9wavefront6targetE1EEEvSI_
                                        ; -- End function
	.set _ZN7rocprim17ROCPRIM_400000_NS6detail17trampoline_kernelINS0_14default_configENS1_35radix_sort_onesweep_config_selectorIffEEZZNS1_29radix_sort_onesweep_iterationIS3_Lb0EN6thrust23THRUST_200600_302600_NS6detail15normal_iteratorINS8_10device_ptrIfEEEESD_SD_SD_jNS0_19identity_decomposerENS1_16block_id_wrapperIjLb0EEEEE10hipError_tT1_PNSt15iterator_traitsISI_E10value_typeET2_T3_PNSJ_ISO_E10value_typeET4_T5_PST_SU_PNS1_23onesweep_lookback_stateEbbT6_jjT7_P12ihipStream_tbENKUlT_T0_SI_SN_E_clISD_PfSD_S15_EEDaS11_S12_SI_SN_EUlS11_E_NS1_11comp_targetILNS1_3genE4ELNS1_11target_archE910ELNS1_3gpuE8ELNS1_3repE0EEENS1_47radix_sort_onesweep_sort_config_static_selectorELNS0_4arch9wavefront6targetE1EEEvSI_.num_vgpr, 0
	.set _ZN7rocprim17ROCPRIM_400000_NS6detail17trampoline_kernelINS0_14default_configENS1_35radix_sort_onesweep_config_selectorIffEEZZNS1_29radix_sort_onesweep_iterationIS3_Lb0EN6thrust23THRUST_200600_302600_NS6detail15normal_iteratorINS8_10device_ptrIfEEEESD_SD_SD_jNS0_19identity_decomposerENS1_16block_id_wrapperIjLb0EEEEE10hipError_tT1_PNSt15iterator_traitsISI_E10value_typeET2_T3_PNSJ_ISO_E10value_typeET4_T5_PST_SU_PNS1_23onesweep_lookback_stateEbbT6_jjT7_P12ihipStream_tbENKUlT_T0_SI_SN_E_clISD_PfSD_S15_EEDaS11_S12_SI_SN_EUlS11_E_NS1_11comp_targetILNS1_3genE4ELNS1_11target_archE910ELNS1_3gpuE8ELNS1_3repE0EEENS1_47radix_sort_onesweep_sort_config_static_selectorELNS0_4arch9wavefront6targetE1EEEvSI_.num_agpr, 0
	.set _ZN7rocprim17ROCPRIM_400000_NS6detail17trampoline_kernelINS0_14default_configENS1_35radix_sort_onesweep_config_selectorIffEEZZNS1_29radix_sort_onesweep_iterationIS3_Lb0EN6thrust23THRUST_200600_302600_NS6detail15normal_iteratorINS8_10device_ptrIfEEEESD_SD_SD_jNS0_19identity_decomposerENS1_16block_id_wrapperIjLb0EEEEE10hipError_tT1_PNSt15iterator_traitsISI_E10value_typeET2_T3_PNSJ_ISO_E10value_typeET4_T5_PST_SU_PNS1_23onesweep_lookback_stateEbbT6_jjT7_P12ihipStream_tbENKUlT_T0_SI_SN_E_clISD_PfSD_S15_EEDaS11_S12_SI_SN_EUlS11_E_NS1_11comp_targetILNS1_3genE4ELNS1_11target_archE910ELNS1_3gpuE8ELNS1_3repE0EEENS1_47radix_sort_onesweep_sort_config_static_selectorELNS0_4arch9wavefront6targetE1EEEvSI_.numbered_sgpr, 0
	.set _ZN7rocprim17ROCPRIM_400000_NS6detail17trampoline_kernelINS0_14default_configENS1_35radix_sort_onesweep_config_selectorIffEEZZNS1_29radix_sort_onesweep_iterationIS3_Lb0EN6thrust23THRUST_200600_302600_NS6detail15normal_iteratorINS8_10device_ptrIfEEEESD_SD_SD_jNS0_19identity_decomposerENS1_16block_id_wrapperIjLb0EEEEE10hipError_tT1_PNSt15iterator_traitsISI_E10value_typeET2_T3_PNSJ_ISO_E10value_typeET4_T5_PST_SU_PNS1_23onesweep_lookback_stateEbbT6_jjT7_P12ihipStream_tbENKUlT_T0_SI_SN_E_clISD_PfSD_S15_EEDaS11_S12_SI_SN_EUlS11_E_NS1_11comp_targetILNS1_3genE4ELNS1_11target_archE910ELNS1_3gpuE8ELNS1_3repE0EEENS1_47radix_sort_onesweep_sort_config_static_selectorELNS0_4arch9wavefront6targetE1EEEvSI_.num_named_barrier, 0
	.set _ZN7rocprim17ROCPRIM_400000_NS6detail17trampoline_kernelINS0_14default_configENS1_35radix_sort_onesweep_config_selectorIffEEZZNS1_29radix_sort_onesweep_iterationIS3_Lb0EN6thrust23THRUST_200600_302600_NS6detail15normal_iteratorINS8_10device_ptrIfEEEESD_SD_SD_jNS0_19identity_decomposerENS1_16block_id_wrapperIjLb0EEEEE10hipError_tT1_PNSt15iterator_traitsISI_E10value_typeET2_T3_PNSJ_ISO_E10value_typeET4_T5_PST_SU_PNS1_23onesweep_lookback_stateEbbT6_jjT7_P12ihipStream_tbENKUlT_T0_SI_SN_E_clISD_PfSD_S15_EEDaS11_S12_SI_SN_EUlS11_E_NS1_11comp_targetILNS1_3genE4ELNS1_11target_archE910ELNS1_3gpuE8ELNS1_3repE0EEENS1_47radix_sort_onesweep_sort_config_static_selectorELNS0_4arch9wavefront6targetE1EEEvSI_.private_seg_size, 0
	.set _ZN7rocprim17ROCPRIM_400000_NS6detail17trampoline_kernelINS0_14default_configENS1_35radix_sort_onesweep_config_selectorIffEEZZNS1_29radix_sort_onesweep_iterationIS3_Lb0EN6thrust23THRUST_200600_302600_NS6detail15normal_iteratorINS8_10device_ptrIfEEEESD_SD_SD_jNS0_19identity_decomposerENS1_16block_id_wrapperIjLb0EEEEE10hipError_tT1_PNSt15iterator_traitsISI_E10value_typeET2_T3_PNSJ_ISO_E10value_typeET4_T5_PST_SU_PNS1_23onesweep_lookback_stateEbbT6_jjT7_P12ihipStream_tbENKUlT_T0_SI_SN_E_clISD_PfSD_S15_EEDaS11_S12_SI_SN_EUlS11_E_NS1_11comp_targetILNS1_3genE4ELNS1_11target_archE910ELNS1_3gpuE8ELNS1_3repE0EEENS1_47radix_sort_onesweep_sort_config_static_selectorELNS0_4arch9wavefront6targetE1EEEvSI_.uses_vcc, 0
	.set _ZN7rocprim17ROCPRIM_400000_NS6detail17trampoline_kernelINS0_14default_configENS1_35radix_sort_onesweep_config_selectorIffEEZZNS1_29radix_sort_onesweep_iterationIS3_Lb0EN6thrust23THRUST_200600_302600_NS6detail15normal_iteratorINS8_10device_ptrIfEEEESD_SD_SD_jNS0_19identity_decomposerENS1_16block_id_wrapperIjLb0EEEEE10hipError_tT1_PNSt15iterator_traitsISI_E10value_typeET2_T3_PNSJ_ISO_E10value_typeET4_T5_PST_SU_PNS1_23onesweep_lookback_stateEbbT6_jjT7_P12ihipStream_tbENKUlT_T0_SI_SN_E_clISD_PfSD_S15_EEDaS11_S12_SI_SN_EUlS11_E_NS1_11comp_targetILNS1_3genE4ELNS1_11target_archE910ELNS1_3gpuE8ELNS1_3repE0EEENS1_47radix_sort_onesweep_sort_config_static_selectorELNS0_4arch9wavefront6targetE1EEEvSI_.uses_flat_scratch, 0
	.set _ZN7rocprim17ROCPRIM_400000_NS6detail17trampoline_kernelINS0_14default_configENS1_35radix_sort_onesweep_config_selectorIffEEZZNS1_29radix_sort_onesweep_iterationIS3_Lb0EN6thrust23THRUST_200600_302600_NS6detail15normal_iteratorINS8_10device_ptrIfEEEESD_SD_SD_jNS0_19identity_decomposerENS1_16block_id_wrapperIjLb0EEEEE10hipError_tT1_PNSt15iterator_traitsISI_E10value_typeET2_T3_PNSJ_ISO_E10value_typeET4_T5_PST_SU_PNS1_23onesweep_lookback_stateEbbT6_jjT7_P12ihipStream_tbENKUlT_T0_SI_SN_E_clISD_PfSD_S15_EEDaS11_S12_SI_SN_EUlS11_E_NS1_11comp_targetILNS1_3genE4ELNS1_11target_archE910ELNS1_3gpuE8ELNS1_3repE0EEENS1_47radix_sort_onesweep_sort_config_static_selectorELNS0_4arch9wavefront6targetE1EEEvSI_.has_dyn_sized_stack, 0
	.set _ZN7rocprim17ROCPRIM_400000_NS6detail17trampoline_kernelINS0_14default_configENS1_35radix_sort_onesweep_config_selectorIffEEZZNS1_29radix_sort_onesweep_iterationIS3_Lb0EN6thrust23THRUST_200600_302600_NS6detail15normal_iteratorINS8_10device_ptrIfEEEESD_SD_SD_jNS0_19identity_decomposerENS1_16block_id_wrapperIjLb0EEEEE10hipError_tT1_PNSt15iterator_traitsISI_E10value_typeET2_T3_PNSJ_ISO_E10value_typeET4_T5_PST_SU_PNS1_23onesweep_lookback_stateEbbT6_jjT7_P12ihipStream_tbENKUlT_T0_SI_SN_E_clISD_PfSD_S15_EEDaS11_S12_SI_SN_EUlS11_E_NS1_11comp_targetILNS1_3genE4ELNS1_11target_archE910ELNS1_3gpuE8ELNS1_3repE0EEENS1_47radix_sort_onesweep_sort_config_static_selectorELNS0_4arch9wavefront6targetE1EEEvSI_.has_recursion, 0
	.set _ZN7rocprim17ROCPRIM_400000_NS6detail17trampoline_kernelINS0_14default_configENS1_35radix_sort_onesweep_config_selectorIffEEZZNS1_29radix_sort_onesweep_iterationIS3_Lb0EN6thrust23THRUST_200600_302600_NS6detail15normal_iteratorINS8_10device_ptrIfEEEESD_SD_SD_jNS0_19identity_decomposerENS1_16block_id_wrapperIjLb0EEEEE10hipError_tT1_PNSt15iterator_traitsISI_E10value_typeET2_T3_PNSJ_ISO_E10value_typeET4_T5_PST_SU_PNS1_23onesweep_lookback_stateEbbT6_jjT7_P12ihipStream_tbENKUlT_T0_SI_SN_E_clISD_PfSD_S15_EEDaS11_S12_SI_SN_EUlS11_E_NS1_11comp_targetILNS1_3genE4ELNS1_11target_archE910ELNS1_3gpuE8ELNS1_3repE0EEENS1_47radix_sort_onesweep_sort_config_static_selectorELNS0_4arch9wavefront6targetE1EEEvSI_.has_indirect_call, 0
	.section	.AMDGPU.csdata,"",@progbits
; Kernel info:
; codeLenInByte = 0
; TotalNumSgprs: 6
; NumVgprs: 0
; NumAgprs: 0
; TotalNumVgprs: 0
; ScratchSize: 0
; MemoryBound: 0
; FloatMode: 240
; IeeeMode: 1
; LDSByteSize: 0 bytes/workgroup (compile time only)
; SGPRBlocks: 0
; VGPRBlocks: 0
; NumSGPRsForWavesPerEU: 6
; NumVGPRsForWavesPerEU: 1
; AccumOffset: 4
; Occupancy: 8
; WaveLimiterHint : 0
; COMPUTE_PGM_RSRC2:SCRATCH_EN: 0
; COMPUTE_PGM_RSRC2:USER_SGPR: 2
; COMPUTE_PGM_RSRC2:TRAP_HANDLER: 0
; COMPUTE_PGM_RSRC2:TGID_X_EN: 1
; COMPUTE_PGM_RSRC2:TGID_Y_EN: 0
; COMPUTE_PGM_RSRC2:TGID_Z_EN: 0
; COMPUTE_PGM_RSRC2:TIDIG_COMP_CNT: 0
; COMPUTE_PGM_RSRC3_GFX90A:ACCUM_OFFSET: 0
; COMPUTE_PGM_RSRC3_GFX90A:TG_SPLIT: 0
	.section	.text._ZN7rocprim17ROCPRIM_400000_NS6detail17trampoline_kernelINS0_14default_configENS1_35radix_sort_onesweep_config_selectorIffEEZZNS1_29radix_sort_onesweep_iterationIS3_Lb0EN6thrust23THRUST_200600_302600_NS6detail15normal_iteratorINS8_10device_ptrIfEEEESD_SD_SD_jNS0_19identity_decomposerENS1_16block_id_wrapperIjLb0EEEEE10hipError_tT1_PNSt15iterator_traitsISI_E10value_typeET2_T3_PNSJ_ISO_E10value_typeET4_T5_PST_SU_PNS1_23onesweep_lookback_stateEbbT6_jjT7_P12ihipStream_tbENKUlT_T0_SI_SN_E_clISD_PfSD_S15_EEDaS11_S12_SI_SN_EUlS11_E_NS1_11comp_targetILNS1_3genE3ELNS1_11target_archE908ELNS1_3gpuE7ELNS1_3repE0EEENS1_47radix_sort_onesweep_sort_config_static_selectorELNS0_4arch9wavefront6targetE1EEEvSI_,"axG",@progbits,_ZN7rocprim17ROCPRIM_400000_NS6detail17trampoline_kernelINS0_14default_configENS1_35radix_sort_onesweep_config_selectorIffEEZZNS1_29radix_sort_onesweep_iterationIS3_Lb0EN6thrust23THRUST_200600_302600_NS6detail15normal_iteratorINS8_10device_ptrIfEEEESD_SD_SD_jNS0_19identity_decomposerENS1_16block_id_wrapperIjLb0EEEEE10hipError_tT1_PNSt15iterator_traitsISI_E10value_typeET2_T3_PNSJ_ISO_E10value_typeET4_T5_PST_SU_PNS1_23onesweep_lookback_stateEbbT6_jjT7_P12ihipStream_tbENKUlT_T0_SI_SN_E_clISD_PfSD_S15_EEDaS11_S12_SI_SN_EUlS11_E_NS1_11comp_targetILNS1_3genE3ELNS1_11target_archE908ELNS1_3gpuE7ELNS1_3repE0EEENS1_47radix_sort_onesweep_sort_config_static_selectorELNS0_4arch9wavefront6targetE1EEEvSI_,comdat
	.protected	_ZN7rocprim17ROCPRIM_400000_NS6detail17trampoline_kernelINS0_14default_configENS1_35radix_sort_onesweep_config_selectorIffEEZZNS1_29radix_sort_onesweep_iterationIS3_Lb0EN6thrust23THRUST_200600_302600_NS6detail15normal_iteratorINS8_10device_ptrIfEEEESD_SD_SD_jNS0_19identity_decomposerENS1_16block_id_wrapperIjLb0EEEEE10hipError_tT1_PNSt15iterator_traitsISI_E10value_typeET2_T3_PNSJ_ISO_E10value_typeET4_T5_PST_SU_PNS1_23onesweep_lookback_stateEbbT6_jjT7_P12ihipStream_tbENKUlT_T0_SI_SN_E_clISD_PfSD_S15_EEDaS11_S12_SI_SN_EUlS11_E_NS1_11comp_targetILNS1_3genE3ELNS1_11target_archE908ELNS1_3gpuE7ELNS1_3repE0EEENS1_47radix_sort_onesweep_sort_config_static_selectorELNS0_4arch9wavefront6targetE1EEEvSI_ ; -- Begin function _ZN7rocprim17ROCPRIM_400000_NS6detail17trampoline_kernelINS0_14default_configENS1_35radix_sort_onesweep_config_selectorIffEEZZNS1_29radix_sort_onesweep_iterationIS3_Lb0EN6thrust23THRUST_200600_302600_NS6detail15normal_iteratorINS8_10device_ptrIfEEEESD_SD_SD_jNS0_19identity_decomposerENS1_16block_id_wrapperIjLb0EEEEE10hipError_tT1_PNSt15iterator_traitsISI_E10value_typeET2_T3_PNSJ_ISO_E10value_typeET4_T5_PST_SU_PNS1_23onesweep_lookback_stateEbbT6_jjT7_P12ihipStream_tbENKUlT_T0_SI_SN_E_clISD_PfSD_S15_EEDaS11_S12_SI_SN_EUlS11_E_NS1_11comp_targetILNS1_3genE3ELNS1_11target_archE908ELNS1_3gpuE7ELNS1_3repE0EEENS1_47radix_sort_onesweep_sort_config_static_selectorELNS0_4arch9wavefront6targetE1EEEvSI_
	.globl	_ZN7rocprim17ROCPRIM_400000_NS6detail17trampoline_kernelINS0_14default_configENS1_35radix_sort_onesweep_config_selectorIffEEZZNS1_29radix_sort_onesweep_iterationIS3_Lb0EN6thrust23THRUST_200600_302600_NS6detail15normal_iteratorINS8_10device_ptrIfEEEESD_SD_SD_jNS0_19identity_decomposerENS1_16block_id_wrapperIjLb0EEEEE10hipError_tT1_PNSt15iterator_traitsISI_E10value_typeET2_T3_PNSJ_ISO_E10value_typeET4_T5_PST_SU_PNS1_23onesweep_lookback_stateEbbT6_jjT7_P12ihipStream_tbENKUlT_T0_SI_SN_E_clISD_PfSD_S15_EEDaS11_S12_SI_SN_EUlS11_E_NS1_11comp_targetILNS1_3genE3ELNS1_11target_archE908ELNS1_3gpuE7ELNS1_3repE0EEENS1_47radix_sort_onesweep_sort_config_static_selectorELNS0_4arch9wavefront6targetE1EEEvSI_
	.p2align	8
	.type	_ZN7rocprim17ROCPRIM_400000_NS6detail17trampoline_kernelINS0_14default_configENS1_35radix_sort_onesweep_config_selectorIffEEZZNS1_29radix_sort_onesweep_iterationIS3_Lb0EN6thrust23THRUST_200600_302600_NS6detail15normal_iteratorINS8_10device_ptrIfEEEESD_SD_SD_jNS0_19identity_decomposerENS1_16block_id_wrapperIjLb0EEEEE10hipError_tT1_PNSt15iterator_traitsISI_E10value_typeET2_T3_PNSJ_ISO_E10value_typeET4_T5_PST_SU_PNS1_23onesweep_lookback_stateEbbT6_jjT7_P12ihipStream_tbENKUlT_T0_SI_SN_E_clISD_PfSD_S15_EEDaS11_S12_SI_SN_EUlS11_E_NS1_11comp_targetILNS1_3genE3ELNS1_11target_archE908ELNS1_3gpuE7ELNS1_3repE0EEENS1_47radix_sort_onesweep_sort_config_static_selectorELNS0_4arch9wavefront6targetE1EEEvSI_,@function
_ZN7rocprim17ROCPRIM_400000_NS6detail17trampoline_kernelINS0_14default_configENS1_35radix_sort_onesweep_config_selectorIffEEZZNS1_29radix_sort_onesweep_iterationIS3_Lb0EN6thrust23THRUST_200600_302600_NS6detail15normal_iteratorINS8_10device_ptrIfEEEESD_SD_SD_jNS0_19identity_decomposerENS1_16block_id_wrapperIjLb0EEEEE10hipError_tT1_PNSt15iterator_traitsISI_E10value_typeET2_T3_PNSJ_ISO_E10value_typeET4_T5_PST_SU_PNS1_23onesweep_lookback_stateEbbT6_jjT7_P12ihipStream_tbENKUlT_T0_SI_SN_E_clISD_PfSD_S15_EEDaS11_S12_SI_SN_EUlS11_E_NS1_11comp_targetILNS1_3genE3ELNS1_11target_archE908ELNS1_3gpuE7ELNS1_3repE0EEENS1_47radix_sort_onesweep_sort_config_static_selectorELNS0_4arch9wavefront6targetE1EEEvSI_: ; @_ZN7rocprim17ROCPRIM_400000_NS6detail17trampoline_kernelINS0_14default_configENS1_35radix_sort_onesweep_config_selectorIffEEZZNS1_29radix_sort_onesweep_iterationIS3_Lb0EN6thrust23THRUST_200600_302600_NS6detail15normal_iteratorINS8_10device_ptrIfEEEESD_SD_SD_jNS0_19identity_decomposerENS1_16block_id_wrapperIjLb0EEEEE10hipError_tT1_PNSt15iterator_traitsISI_E10value_typeET2_T3_PNSJ_ISO_E10value_typeET4_T5_PST_SU_PNS1_23onesweep_lookback_stateEbbT6_jjT7_P12ihipStream_tbENKUlT_T0_SI_SN_E_clISD_PfSD_S15_EEDaS11_S12_SI_SN_EUlS11_E_NS1_11comp_targetILNS1_3genE3ELNS1_11target_archE908ELNS1_3gpuE7ELNS1_3repE0EEENS1_47radix_sort_onesweep_sort_config_static_selectorELNS0_4arch9wavefront6targetE1EEEvSI_
; %bb.0:
	.section	.rodata,"a",@progbits
	.p2align	6, 0x0
	.amdhsa_kernel _ZN7rocprim17ROCPRIM_400000_NS6detail17trampoline_kernelINS0_14default_configENS1_35radix_sort_onesweep_config_selectorIffEEZZNS1_29radix_sort_onesweep_iterationIS3_Lb0EN6thrust23THRUST_200600_302600_NS6detail15normal_iteratorINS8_10device_ptrIfEEEESD_SD_SD_jNS0_19identity_decomposerENS1_16block_id_wrapperIjLb0EEEEE10hipError_tT1_PNSt15iterator_traitsISI_E10value_typeET2_T3_PNSJ_ISO_E10value_typeET4_T5_PST_SU_PNS1_23onesweep_lookback_stateEbbT6_jjT7_P12ihipStream_tbENKUlT_T0_SI_SN_E_clISD_PfSD_S15_EEDaS11_S12_SI_SN_EUlS11_E_NS1_11comp_targetILNS1_3genE3ELNS1_11target_archE908ELNS1_3gpuE7ELNS1_3repE0EEENS1_47radix_sort_onesweep_sort_config_static_selectorELNS0_4arch9wavefront6targetE1EEEvSI_
		.amdhsa_group_segment_fixed_size 0
		.amdhsa_private_segment_fixed_size 0
		.amdhsa_kernarg_size 88
		.amdhsa_user_sgpr_count 2
		.amdhsa_user_sgpr_dispatch_ptr 0
		.amdhsa_user_sgpr_queue_ptr 0
		.amdhsa_user_sgpr_kernarg_segment_ptr 1
		.amdhsa_user_sgpr_dispatch_id 0
		.amdhsa_user_sgpr_kernarg_preload_length 0
		.amdhsa_user_sgpr_kernarg_preload_offset 0
		.amdhsa_user_sgpr_private_segment_size 0
		.amdhsa_uses_dynamic_stack 0
		.amdhsa_enable_private_segment 0
		.amdhsa_system_sgpr_workgroup_id_x 1
		.amdhsa_system_sgpr_workgroup_id_y 0
		.amdhsa_system_sgpr_workgroup_id_z 0
		.amdhsa_system_sgpr_workgroup_info 0
		.amdhsa_system_vgpr_workitem_id 0
		.amdhsa_next_free_vgpr 1
		.amdhsa_next_free_sgpr 0
		.amdhsa_accum_offset 4
		.amdhsa_reserve_vcc 0
		.amdhsa_float_round_mode_32 0
		.amdhsa_float_round_mode_16_64 0
		.amdhsa_float_denorm_mode_32 3
		.amdhsa_float_denorm_mode_16_64 3
		.amdhsa_dx10_clamp 1
		.amdhsa_ieee_mode 1
		.amdhsa_fp16_overflow 0
		.amdhsa_tg_split 0
		.amdhsa_exception_fp_ieee_invalid_op 0
		.amdhsa_exception_fp_denorm_src 0
		.amdhsa_exception_fp_ieee_div_zero 0
		.amdhsa_exception_fp_ieee_overflow 0
		.amdhsa_exception_fp_ieee_underflow 0
		.amdhsa_exception_fp_ieee_inexact 0
		.amdhsa_exception_int_div_zero 0
	.end_amdhsa_kernel
	.section	.text._ZN7rocprim17ROCPRIM_400000_NS6detail17trampoline_kernelINS0_14default_configENS1_35radix_sort_onesweep_config_selectorIffEEZZNS1_29radix_sort_onesweep_iterationIS3_Lb0EN6thrust23THRUST_200600_302600_NS6detail15normal_iteratorINS8_10device_ptrIfEEEESD_SD_SD_jNS0_19identity_decomposerENS1_16block_id_wrapperIjLb0EEEEE10hipError_tT1_PNSt15iterator_traitsISI_E10value_typeET2_T3_PNSJ_ISO_E10value_typeET4_T5_PST_SU_PNS1_23onesweep_lookback_stateEbbT6_jjT7_P12ihipStream_tbENKUlT_T0_SI_SN_E_clISD_PfSD_S15_EEDaS11_S12_SI_SN_EUlS11_E_NS1_11comp_targetILNS1_3genE3ELNS1_11target_archE908ELNS1_3gpuE7ELNS1_3repE0EEENS1_47radix_sort_onesweep_sort_config_static_selectorELNS0_4arch9wavefront6targetE1EEEvSI_,"axG",@progbits,_ZN7rocprim17ROCPRIM_400000_NS6detail17trampoline_kernelINS0_14default_configENS1_35radix_sort_onesweep_config_selectorIffEEZZNS1_29radix_sort_onesweep_iterationIS3_Lb0EN6thrust23THRUST_200600_302600_NS6detail15normal_iteratorINS8_10device_ptrIfEEEESD_SD_SD_jNS0_19identity_decomposerENS1_16block_id_wrapperIjLb0EEEEE10hipError_tT1_PNSt15iterator_traitsISI_E10value_typeET2_T3_PNSJ_ISO_E10value_typeET4_T5_PST_SU_PNS1_23onesweep_lookback_stateEbbT6_jjT7_P12ihipStream_tbENKUlT_T0_SI_SN_E_clISD_PfSD_S15_EEDaS11_S12_SI_SN_EUlS11_E_NS1_11comp_targetILNS1_3genE3ELNS1_11target_archE908ELNS1_3gpuE7ELNS1_3repE0EEENS1_47radix_sort_onesweep_sort_config_static_selectorELNS0_4arch9wavefront6targetE1EEEvSI_,comdat
.Lfunc_end346:
	.size	_ZN7rocprim17ROCPRIM_400000_NS6detail17trampoline_kernelINS0_14default_configENS1_35radix_sort_onesweep_config_selectorIffEEZZNS1_29radix_sort_onesweep_iterationIS3_Lb0EN6thrust23THRUST_200600_302600_NS6detail15normal_iteratorINS8_10device_ptrIfEEEESD_SD_SD_jNS0_19identity_decomposerENS1_16block_id_wrapperIjLb0EEEEE10hipError_tT1_PNSt15iterator_traitsISI_E10value_typeET2_T3_PNSJ_ISO_E10value_typeET4_T5_PST_SU_PNS1_23onesweep_lookback_stateEbbT6_jjT7_P12ihipStream_tbENKUlT_T0_SI_SN_E_clISD_PfSD_S15_EEDaS11_S12_SI_SN_EUlS11_E_NS1_11comp_targetILNS1_3genE3ELNS1_11target_archE908ELNS1_3gpuE7ELNS1_3repE0EEENS1_47radix_sort_onesweep_sort_config_static_selectorELNS0_4arch9wavefront6targetE1EEEvSI_, .Lfunc_end346-_ZN7rocprim17ROCPRIM_400000_NS6detail17trampoline_kernelINS0_14default_configENS1_35radix_sort_onesweep_config_selectorIffEEZZNS1_29radix_sort_onesweep_iterationIS3_Lb0EN6thrust23THRUST_200600_302600_NS6detail15normal_iteratorINS8_10device_ptrIfEEEESD_SD_SD_jNS0_19identity_decomposerENS1_16block_id_wrapperIjLb0EEEEE10hipError_tT1_PNSt15iterator_traitsISI_E10value_typeET2_T3_PNSJ_ISO_E10value_typeET4_T5_PST_SU_PNS1_23onesweep_lookback_stateEbbT6_jjT7_P12ihipStream_tbENKUlT_T0_SI_SN_E_clISD_PfSD_S15_EEDaS11_S12_SI_SN_EUlS11_E_NS1_11comp_targetILNS1_3genE3ELNS1_11target_archE908ELNS1_3gpuE7ELNS1_3repE0EEENS1_47radix_sort_onesweep_sort_config_static_selectorELNS0_4arch9wavefront6targetE1EEEvSI_
                                        ; -- End function
	.set _ZN7rocprim17ROCPRIM_400000_NS6detail17trampoline_kernelINS0_14default_configENS1_35radix_sort_onesweep_config_selectorIffEEZZNS1_29radix_sort_onesweep_iterationIS3_Lb0EN6thrust23THRUST_200600_302600_NS6detail15normal_iteratorINS8_10device_ptrIfEEEESD_SD_SD_jNS0_19identity_decomposerENS1_16block_id_wrapperIjLb0EEEEE10hipError_tT1_PNSt15iterator_traitsISI_E10value_typeET2_T3_PNSJ_ISO_E10value_typeET4_T5_PST_SU_PNS1_23onesweep_lookback_stateEbbT6_jjT7_P12ihipStream_tbENKUlT_T0_SI_SN_E_clISD_PfSD_S15_EEDaS11_S12_SI_SN_EUlS11_E_NS1_11comp_targetILNS1_3genE3ELNS1_11target_archE908ELNS1_3gpuE7ELNS1_3repE0EEENS1_47radix_sort_onesweep_sort_config_static_selectorELNS0_4arch9wavefront6targetE1EEEvSI_.num_vgpr, 0
	.set _ZN7rocprim17ROCPRIM_400000_NS6detail17trampoline_kernelINS0_14default_configENS1_35radix_sort_onesweep_config_selectorIffEEZZNS1_29radix_sort_onesweep_iterationIS3_Lb0EN6thrust23THRUST_200600_302600_NS6detail15normal_iteratorINS8_10device_ptrIfEEEESD_SD_SD_jNS0_19identity_decomposerENS1_16block_id_wrapperIjLb0EEEEE10hipError_tT1_PNSt15iterator_traitsISI_E10value_typeET2_T3_PNSJ_ISO_E10value_typeET4_T5_PST_SU_PNS1_23onesweep_lookback_stateEbbT6_jjT7_P12ihipStream_tbENKUlT_T0_SI_SN_E_clISD_PfSD_S15_EEDaS11_S12_SI_SN_EUlS11_E_NS1_11comp_targetILNS1_3genE3ELNS1_11target_archE908ELNS1_3gpuE7ELNS1_3repE0EEENS1_47radix_sort_onesweep_sort_config_static_selectorELNS0_4arch9wavefront6targetE1EEEvSI_.num_agpr, 0
	.set _ZN7rocprim17ROCPRIM_400000_NS6detail17trampoline_kernelINS0_14default_configENS1_35radix_sort_onesweep_config_selectorIffEEZZNS1_29radix_sort_onesweep_iterationIS3_Lb0EN6thrust23THRUST_200600_302600_NS6detail15normal_iteratorINS8_10device_ptrIfEEEESD_SD_SD_jNS0_19identity_decomposerENS1_16block_id_wrapperIjLb0EEEEE10hipError_tT1_PNSt15iterator_traitsISI_E10value_typeET2_T3_PNSJ_ISO_E10value_typeET4_T5_PST_SU_PNS1_23onesweep_lookback_stateEbbT6_jjT7_P12ihipStream_tbENKUlT_T0_SI_SN_E_clISD_PfSD_S15_EEDaS11_S12_SI_SN_EUlS11_E_NS1_11comp_targetILNS1_3genE3ELNS1_11target_archE908ELNS1_3gpuE7ELNS1_3repE0EEENS1_47radix_sort_onesweep_sort_config_static_selectorELNS0_4arch9wavefront6targetE1EEEvSI_.numbered_sgpr, 0
	.set _ZN7rocprim17ROCPRIM_400000_NS6detail17trampoline_kernelINS0_14default_configENS1_35radix_sort_onesweep_config_selectorIffEEZZNS1_29radix_sort_onesweep_iterationIS3_Lb0EN6thrust23THRUST_200600_302600_NS6detail15normal_iteratorINS8_10device_ptrIfEEEESD_SD_SD_jNS0_19identity_decomposerENS1_16block_id_wrapperIjLb0EEEEE10hipError_tT1_PNSt15iterator_traitsISI_E10value_typeET2_T3_PNSJ_ISO_E10value_typeET4_T5_PST_SU_PNS1_23onesweep_lookback_stateEbbT6_jjT7_P12ihipStream_tbENKUlT_T0_SI_SN_E_clISD_PfSD_S15_EEDaS11_S12_SI_SN_EUlS11_E_NS1_11comp_targetILNS1_3genE3ELNS1_11target_archE908ELNS1_3gpuE7ELNS1_3repE0EEENS1_47radix_sort_onesweep_sort_config_static_selectorELNS0_4arch9wavefront6targetE1EEEvSI_.num_named_barrier, 0
	.set _ZN7rocprim17ROCPRIM_400000_NS6detail17trampoline_kernelINS0_14default_configENS1_35radix_sort_onesweep_config_selectorIffEEZZNS1_29radix_sort_onesweep_iterationIS3_Lb0EN6thrust23THRUST_200600_302600_NS6detail15normal_iteratorINS8_10device_ptrIfEEEESD_SD_SD_jNS0_19identity_decomposerENS1_16block_id_wrapperIjLb0EEEEE10hipError_tT1_PNSt15iterator_traitsISI_E10value_typeET2_T3_PNSJ_ISO_E10value_typeET4_T5_PST_SU_PNS1_23onesweep_lookback_stateEbbT6_jjT7_P12ihipStream_tbENKUlT_T0_SI_SN_E_clISD_PfSD_S15_EEDaS11_S12_SI_SN_EUlS11_E_NS1_11comp_targetILNS1_3genE3ELNS1_11target_archE908ELNS1_3gpuE7ELNS1_3repE0EEENS1_47radix_sort_onesweep_sort_config_static_selectorELNS0_4arch9wavefront6targetE1EEEvSI_.private_seg_size, 0
	.set _ZN7rocprim17ROCPRIM_400000_NS6detail17trampoline_kernelINS0_14default_configENS1_35radix_sort_onesweep_config_selectorIffEEZZNS1_29radix_sort_onesweep_iterationIS3_Lb0EN6thrust23THRUST_200600_302600_NS6detail15normal_iteratorINS8_10device_ptrIfEEEESD_SD_SD_jNS0_19identity_decomposerENS1_16block_id_wrapperIjLb0EEEEE10hipError_tT1_PNSt15iterator_traitsISI_E10value_typeET2_T3_PNSJ_ISO_E10value_typeET4_T5_PST_SU_PNS1_23onesweep_lookback_stateEbbT6_jjT7_P12ihipStream_tbENKUlT_T0_SI_SN_E_clISD_PfSD_S15_EEDaS11_S12_SI_SN_EUlS11_E_NS1_11comp_targetILNS1_3genE3ELNS1_11target_archE908ELNS1_3gpuE7ELNS1_3repE0EEENS1_47radix_sort_onesweep_sort_config_static_selectorELNS0_4arch9wavefront6targetE1EEEvSI_.uses_vcc, 0
	.set _ZN7rocprim17ROCPRIM_400000_NS6detail17trampoline_kernelINS0_14default_configENS1_35radix_sort_onesweep_config_selectorIffEEZZNS1_29radix_sort_onesweep_iterationIS3_Lb0EN6thrust23THRUST_200600_302600_NS6detail15normal_iteratorINS8_10device_ptrIfEEEESD_SD_SD_jNS0_19identity_decomposerENS1_16block_id_wrapperIjLb0EEEEE10hipError_tT1_PNSt15iterator_traitsISI_E10value_typeET2_T3_PNSJ_ISO_E10value_typeET4_T5_PST_SU_PNS1_23onesweep_lookback_stateEbbT6_jjT7_P12ihipStream_tbENKUlT_T0_SI_SN_E_clISD_PfSD_S15_EEDaS11_S12_SI_SN_EUlS11_E_NS1_11comp_targetILNS1_3genE3ELNS1_11target_archE908ELNS1_3gpuE7ELNS1_3repE0EEENS1_47radix_sort_onesweep_sort_config_static_selectorELNS0_4arch9wavefront6targetE1EEEvSI_.uses_flat_scratch, 0
	.set _ZN7rocprim17ROCPRIM_400000_NS6detail17trampoline_kernelINS0_14default_configENS1_35radix_sort_onesweep_config_selectorIffEEZZNS1_29radix_sort_onesweep_iterationIS3_Lb0EN6thrust23THRUST_200600_302600_NS6detail15normal_iteratorINS8_10device_ptrIfEEEESD_SD_SD_jNS0_19identity_decomposerENS1_16block_id_wrapperIjLb0EEEEE10hipError_tT1_PNSt15iterator_traitsISI_E10value_typeET2_T3_PNSJ_ISO_E10value_typeET4_T5_PST_SU_PNS1_23onesweep_lookback_stateEbbT6_jjT7_P12ihipStream_tbENKUlT_T0_SI_SN_E_clISD_PfSD_S15_EEDaS11_S12_SI_SN_EUlS11_E_NS1_11comp_targetILNS1_3genE3ELNS1_11target_archE908ELNS1_3gpuE7ELNS1_3repE0EEENS1_47radix_sort_onesweep_sort_config_static_selectorELNS0_4arch9wavefront6targetE1EEEvSI_.has_dyn_sized_stack, 0
	.set _ZN7rocprim17ROCPRIM_400000_NS6detail17trampoline_kernelINS0_14default_configENS1_35radix_sort_onesweep_config_selectorIffEEZZNS1_29radix_sort_onesweep_iterationIS3_Lb0EN6thrust23THRUST_200600_302600_NS6detail15normal_iteratorINS8_10device_ptrIfEEEESD_SD_SD_jNS0_19identity_decomposerENS1_16block_id_wrapperIjLb0EEEEE10hipError_tT1_PNSt15iterator_traitsISI_E10value_typeET2_T3_PNSJ_ISO_E10value_typeET4_T5_PST_SU_PNS1_23onesweep_lookback_stateEbbT6_jjT7_P12ihipStream_tbENKUlT_T0_SI_SN_E_clISD_PfSD_S15_EEDaS11_S12_SI_SN_EUlS11_E_NS1_11comp_targetILNS1_3genE3ELNS1_11target_archE908ELNS1_3gpuE7ELNS1_3repE0EEENS1_47radix_sort_onesweep_sort_config_static_selectorELNS0_4arch9wavefront6targetE1EEEvSI_.has_recursion, 0
	.set _ZN7rocprim17ROCPRIM_400000_NS6detail17trampoline_kernelINS0_14default_configENS1_35radix_sort_onesweep_config_selectorIffEEZZNS1_29radix_sort_onesweep_iterationIS3_Lb0EN6thrust23THRUST_200600_302600_NS6detail15normal_iteratorINS8_10device_ptrIfEEEESD_SD_SD_jNS0_19identity_decomposerENS1_16block_id_wrapperIjLb0EEEEE10hipError_tT1_PNSt15iterator_traitsISI_E10value_typeET2_T3_PNSJ_ISO_E10value_typeET4_T5_PST_SU_PNS1_23onesweep_lookback_stateEbbT6_jjT7_P12ihipStream_tbENKUlT_T0_SI_SN_E_clISD_PfSD_S15_EEDaS11_S12_SI_SN_EUlS11_E_NS1_11comp_targetILNS1_3genE3ELNS1_11target_archE908ELNS1_3gpuE7ELNS1_3repE0EEENS1_47radix_sort_onesweep_sort_config_static_selectorELNS0_4arch9wavefront6targetE1EEEvSI_.has_indirect_call, 0
	.section	.AMDGPU.csdata,"",@progbits
; Kernel info:
; codeLenInByte = 0
; TotalNumSgprs: 6
; NumVgprs: 0
; NumAgprs: 0
; TotalNumVgprs: 0
; ScratchSize: 0
; MemoryBound: 0
; FloatMode: 240
; IeeeMode: 1
; LDSByteSize: 0 bytes/workgroup (compile time only)
; SGPRBlocks: 0
; VGPRBlocks: 0
; NumSGPRsForWavesPerEU: 6
; NumVGPRsForWavesPerEU: 1
; AccumOffset: 4
; Occupancy: 8
; WaveLimiterHint : 0
; COMPUTE_PGM_RSRC2:SCRATCH_EN: 0
; COMPUTE_PGM_RSRC2:USER_SGPR: 2
; COMPUTE_PGM_RSRC2:TRAP_HANDLER: 0
; COMPUTE_PGM_RSRC2:TGID_X_EN: 1
; COMPUTE_PGM_RSRC2:TGID_Y_EN: 0
; COMPUTE_PGM_RSRC2:TGID_Z_EN: 0
; COMPUTE_PGM_RSRC2:TIDIG_COMP_CNT: 0
; COMPUTE_PGM_RSRC3_GFX90A:ACCUM_OFFSET: 0
; COMPUTE_PGM_RSRC3_GFX90A:TG_SPLIT: 0
	.section	.text._ZN7rocprim17ROCPRIM_400000_NS6detail17trampoline_kernelINS0_14default_configENS1_35radix_sort_onesweep_config_selectorIffEEZZNS1_29radix_sort_onesweep_iterationIS3_Lb0EN6thrust23THRUST_200600_302600_NS6detail15normal_iteratorINS8_10device_ptrIfEEEESD_SD_SD_jNS0_19identity_decomposerENS1_16block_id_wrapperIjLb0EEEEE10hipError_tT1_PNSt15iterator_traitsISI_E10value_typeET2_T3_PNSJ_ISO_E10value_typeET4_T5_PST_SU_PNS1_23onesweep_lookback_stateEbbT6_jjT7_P12ihipStream_tbENKUlT_T0_SI_SN_E_clISD_PfSD_S15_EEDaS11_S12_SI_SN_EUlS11_E_NS1_11comp_targetILNS1_3genE10ELNS1_11target_archE1201ELNS1_3gpuE5ELNS1_3repE0EEENS1_47radix_sort_onesweep_sort_config_static_selectorELNS0_4arch9wavefront6targetE1EEEvSI_,"axG",@progbits,_ZN7rocprim17ROCPRIM_400000_NS6detail17trampoline_kernelINS0_14default_configENS1_35radix_sort_onesweep_config_selectorIffEEZZNS1_29radix_sort_onesweep_iterationIS3_Lb0EN6thrust23THRUST_200600_302600_NS6detail15normal_iteratorINS8_10device_ptrIfEEEESD_SD_SD_jNS0_19identity_decomposerENS1_16block_id_wrapperIjLb0EEEEE10hipError_tT1_PNSt15iterator_traitsISI_E10value_typeET2_T3_PNSJ_ISO_E10value_typeET4_T5_PST_SU_PNS1_23onesweep_lookback_stateEbbT6_jjT7_P12ihipStream_tbENKUlT_T0_SI_SN_E_clISD_PfSD_S15_EEDaS11_S12_SI_SN_EUlS11_E_NS1_11comp_targetILNS1_3genE10ELNS1_11target_archE1201ELNS1_3gpuE5ELNS1_3repE0EEENS1_47radix_sort_onesweep_sort_config_static_selectorELNS0_4arch9wavefront6targetE1EEEvSI_,comdat
	.protected	_ZN7rocprim17ROCPRIM_400000_NS6detail17trampoline_kernelINS0_14default_configENS1_35radix_sort_onesweep_config_selectorIffEEZZNS1_29radix_sort_onesweep_iterationIS3_Lb0EN6thrust23THRUST_200600_302600_NS6detail15normal_iteratorINS8_10device_ptrIfEEEESD_SD_SD_jNS0_19identity_decomposerENS1_16block_id_wrapperIjLb0EEEEE10hipError_tT1_PNSt15iterator_traitsISI_E10value_typeET2_T3_PNSJ_ISO_E10value_typeET4_T5_PST_SU_PNS1_23onesweep_lookback_stateEbbT6_jjT7_P12ihipStream_tbENKUlT_T0_SI_SN_E_clISD_PfSD_S15_EEDaS11_S12_SI_SN_EUlS11_E_NS1_11comp_targetILNS1_3genE10ELNS1_11target_archE1201ELNS1_3gpuE5ELNS1_3repE0EEENS1_47radix_sort_onesweep_sort_config_static_selectorELNS0_4arch9wavefront6targetE1EEEvSI_ ; -- Begin function _ZN7rocprim17ROCPRIM_400000_NS6detail17trampoline_kernelINS0_14default_configENS1_35radix_sort_onesweep_config_selectorIffEEZZNS1_29radix_sort_onesweep_iterationIS3_Lb0EN6thrust23THRUST_200600_302600_NS6detail15normal_iteratorINS8_10device_ptrIfEEEESD_SD_SD_jNS0_19identity_decomposerENS1_16block_id_wrapperIjLb0EEEEE10hipError_tT1_PNSt15iterator_traitsISI_E10value_typeET2_T3_PNSJ_ISO_E10value_typeET4_T5_PST_SU_PNS1_23onesweep_lookback_stateEbbT6_jjT7_P12ihipStream_tbENKUlT_T0_SI_SN_E_clISD_PfSD_S15_EEDaS11_S12_SI_SN_EUlS11_E_NS1_11comp_targetILNS1_3genE10ELNS1_11target_archE1201ELNS1_3gpuE5ELNS1_3repE0EEENS1_47radix_sort_onesweep_sort_config_static_selectorELNS0_4arch9wavefront6targetE1EEEvSI_
	.globl	_ZN7rocprim17ROCPRIM_400000_NS6detail17trampoline_kernelINS0_14default_configENS1_35radix_sort_onesweep_config_selectorIffEEZZNS1_29radix_sort_onesweep_iterationIS3_Lb0EN6thrust23THRUST_200600_302600_NS6detail15normal_iteratorINS8_10device_ptrIfEEEESD_SD_SD_jNS0_19identity_decomposerENS1_16block_id_wrapperIjLb0EEEEE10hipError_tT1_PNSt15iterator_traitsISI_E10value_typeET2_T3_PNSJ_ISO_E10value_typeET4_T5_PST_SU_PNS1_23onesweep_lookback_stateEbbT6_jjT7_P12ihipStream_tbENKUlT_T0_SI_SN_E_clISD_PfSD_S15_EEDaS11_S12_SI_SN_EUlS11_E_NS1_11comp_targetILNS1_3genE10ELNS1_11target_archE1201ELNS1_3gpuE5ELNS1_3repE0EEENS1_47radix_sort_onesweep_sort_config_static_selectorELNS0_4arch9wavefront6targetE1EEEvSI_
	.p2align	8
	.type	_ZN7rocprim17ROCPRIM_400000_NS6detail17trampoline_kernelINS0_14default_configENS1_35radix_sort_onesweep_config_selectorIffEEZZNS1_29radix_sort_onesweep_iterationIS3_Lb0EN6thrust23THRUST_200600_302600_NS6detail15normal_iteratorINS8_10device_ptrIfEEEESD_SD_SD_jNS0_19identity_decomposerENS1_16block_id_wrapperIjLb0EEEEE10hipError_tT1_PNSt15iterator_traitsISI_E10value_typeET2_T3_PNSJ_ISO_E10value_typeET4_T5_PST_SU_PNS1_23onesweep_lookback_stateEbbT6_jjT7_P12ihipStream_tbENKUlT_T0_SI_SN_E_clISD_PfSD_S15_EEDaS11_S12_SI_SN_EUlS11_E_NS1_11comp_targetILNS1_3genE10ELNS1_11target_archE1201ELNS1_3gpuE5ELNS1_3repE0EEENS1_47radix_sort_onesweep_sort_config_static_selectorELNS0_4arch9wavefront6targetE1EEEvSI_,@function
_ZN7rocprim17ROCPRIM_400000_NS6detail17trampoline_kernelINS0_14default_configENS1_35radix_sort_onesweep_config_selectorIffEEZZNS1_29radix_sort_onesweep_iterationIS3_Lb0EN6thrust23THRUST_200600_302600_NS6detail15normal_iteratorINS8_10device_ptrIfEEEESD_SD_SD_jNS0_19identity_decomposerENS1_16block_id_wrapperIjLb0EEEEE10hipError_tT1_PNSt15iterator_traitsISI_E10value_typeET2_T3_PNSJ_ISO_E10value_typeET4_T5_PST_SU_PNS1_23onesweep_lookback_stateEbbT6_jjT7_P12ihipStream_tbENKUlT_T0_SI_SN_E_clISD_PfSD_S15_EEDaS11_S12_SI_SN_EUlS11_E_NS1_11comp_targetILNS1_3genE10ELNS1_11target_archE1201ELNS1_3gpuE5ELNS1_3repE0EEENS1_47radix_sort_onesweep_sort_config_static_selectorELNS0_4arch9wavefront6targetE1EEEvSI_: ; @_ZN7rocprim17ROCPRIM_400000_NS6detail17trampoline_kernelINS0_14default_configENS1_35radix_sort_onesweep_config_selectorIffEEZZNS1_29radix_sort_onesweep_iterationIS3_Lb0EN6thrust23THRUST_200600_302600_NS6detail15normal_iteratorINS8_10device_ptrIfEEEESD_SD_SD_jNS0_19identity_decomposerENS1_16block_id_wrapperIjLb0EEEEE10hipError_tT1_PNSt15iterator_traitsISI_E10value_typeET2_T3_PNSJ_ISO_E10value_typeET4_T5_PST_SU_PNS1_23onesweep_lookback_stateEbbT6_jjT7_P12ihipStream_tbENKUlT_T0_SI_SN_E_clISD_PfSD_S15_EEDaS11_S12_SI_SN_EUlS11_E_NS1_11comp_targetILNS1_3genE10ELNS1_11target_archE1201ELNS1_3gpuE5ELNS1_3repE0EEENS1_47radix_sort_onesweep_sort_config_static_selectorELNS0_4arch9wavefront6targetE1EEEvSI_
; %bb.0:
	.section	.rodata,"a",@progbits
	.p2align	6, 0x0
	.amdhsa_kernel _ZN7rocprim17ROCPRIM_400000_NS6detail17trampoline_kernelINS0_14default_configENS1_35radix_sort_onesweep_config_selectorIffEEZZNS1_29radix_sort_onesweep_iterationIS3_Lb0EN6thrust23THRUST_200600_302600_NS6detail15normal_iteratorINS8_10device_ptrIfEEEESD_SD_SD_jNS0_19identity_decomposerENS1_16block_id_wrapperIjLb0EEEEE10hipError_tT1_PNSt15iterator_traitsISI_E10value_typeET2_T3_PNSJ_ISO_E10value_typeET4_T5_PST_SU_PNS1_23onesweep_lookback_stateEbbT6_jjT7_P12ihipStream_tbENKUlT_T0_SI_SN_E_clISD_PfSD_S15_EEDaS11_S12_SI_SN_EUlS11_E_NS1_11comp_targetILNS1_3genE10ELNS1_11target_archE1201ELNS1_3gpuE5ELNS1_3repE0EEENS1_47radix_sort_onesweep_sort_config_static_selectorELNS0_4arch9wavefront6targetE1EEEvSI_
		.amdhsa_group_segment_fixed_size 0
		.amdhsa_private_segment_fixed_size 0
		.amdhsa_kernarg_size 88
		.amdhsa_user_sgpr_count 2
		.amdhsa_user_sgpr_dispatch_ptr 0
		.amdhsa_user_sgpr_queue_ptr 0
		.amdhsa_user_sgpr_kernarg_segment_ptr 1
		.amdhsa_user_sgpr_dispatch_id 0
		.amdhsa_user_sgpr_kernarg_preload_length 0
		.amdhsa_user_sgpr_kernarg_preload_offset 0
		.amdhsa_user_sgpr_private_segment_size 0
		.amdhsa_uses_dynamic_stack 0
		.amdhsa_enable_private_segment 0
		.amdhsa_system_sgpr_workgroup_id_x 1
		.amdhsa_system_sgpr_workgroup_id_y 0
		.amdhsa_system_sgpr_workgroup_id_z 0
		.amdhsa_system_sgpr_workgroup_info 0
		.amdhsa_system_vgpr_workitem_id 0
		.amdhsa_next_free_vgpr 1
		.amdhsa_next_free_sgpr 0
		.amdhsa_accum_offset 4
		.amdhsa_reserve_vcc 0
		.amdhsa_float_round_mode_32 0
		.amdhsa_float_round_mode_16_64 0
		.amdhsa_float_denorm_mode_32 3
		.amdhsa_float_denorm_mode_16_64 3
		.amdhsa_dx10_clamp 1
		.amdhsa_ieee_mode 1
		.amdhsa_fp16_overflow 0
		.amdhsa_tg_split 0
		.amdhsa_exception_fp_ieee_invalid_op 0
		.amdhsa_exception_fp_denorm_src 0
		.amdhsa_exception_fp_ieee_div_zero 0
		.amdhsa_exception_fp_ieee_overflow 0
		.amdhsa_exception_fp_ieee_underflow 0
		.amdhsa_exception_fp_ieee_inexact 0
		.amdhsa_exception_int_div_zero 0
	.end_amdhsa_kernel
	.section	.text._ZN7rocprim17ROCPRIM_400000_NS6detail17trampoline_kernelINS0_14default_configENS1_35radix_sort_onesweep_config_selectorIffEEZZNS1_29radix_sort_onesweep_iterationIS3_Lb0EN6thrust23THRUST_200600_302600_NS6detail15normal_iteratorINS8_10device_ptrIfEEEESD_SD_SD_jNS0_19identity_decomposerENS1_16block_id_wrapperIjLb0EEEEE10hipError_tT1_PNSt15iterator_traitsISI_E10value_typeET2_T3_PNSJ_ISO_E10value_typeET4_T5_PST_SU_PNS1_23onesweep_lookback_stateEbbT6_jjT7_P12ihipStream_tbENKUlT_T0_SI_SN_E_clISD_PfSD_S15_EEDaS11_S12_SI_SN_EUlS11_E_NS1_11comp_targetILNS1_3genE10ELNS1_11target_archE1201ELNS1_3gpuE5ELNS1_3repE0EEENS1_47radix_sort_onesweep_sort_config_static_selectorELNS0_4arch9wavefront6targetE1EEEvSI_,"axG",@progbits,_ZN7rocprim17ROCPRIM_400000_NS6detail17trampoline_kernelINS0_14default_configENS1_35radix_sort_onesweep_config_selectorIffEEZZNS1_29radix_sort_onesweep_iterationIS3_Lb0EN6thrust23THRUST_200600_302600_NS6detail15normal_iteratorINS8_10device_ptrIfEEEESD_SD_SD_jNS0_19identity_decomposerENS1_16block_id_wrapperIjLb0EEEEE10hipError_tT1_PNSt15iterator_traitsISI_E10value_typeET2_T3_PNSJ_ISO_E10value_typeET4_T5_PST_SU_PNS1_23onesweep_lookback_stateEbbT6_jjT7_P12ihipStream_tbENKUlT_T0_SI_SN_E_clISD_PfSD_S15_EEDaS11_S12_SI_SN_EUlS11_E_NS1_11comp_targetILNS1_3genE10ELNS1_11target_archE1201ELNS1_3gpuE5ELNS1_3repE0EEENS1_47radix_sort_onesweep_sort_config_static_selectorELNS0_4arch9wavefront6targetE1EEEvSI_,comdat
.Lfunc_end347:
	.size	_ZN7rocprim17ROCPRIM_400000_NS6detail17trampoline_kernelINS0_14default_configENS1_35radix_sort_onesweep_config_selectorIffEEZZNS1_29radix_sort_onesweep_iterationIS3_Lb0EN6thrust23THRUST_200600_302600_NS6detail15normal_iteratorINS8_10device_ptrIfEEEESD_SD_SD_jNS0_19identity_decomposerENS1_16block_id_wrapperIjLb0EEEEE10hipError_tT1_PNSt15iterator_traitsISI_E10value_typeET2_T3_PNSJ_ISO_E10value_typeET4_T5_PST_SU_PNS1_23onesweep_lookback_stateEbbT6_jjT7_P12ihipStream_tbENKUlT_T0_SI_SN_E_clISD_PfSD_S15_EEDaS11_S12_SI_SN_EUlS11_E_NS1_11comp_targetILNS1_3genE10ELNS1_11target_archE1201ELNS1_3gpuE5ELNS1_3repE0EEENS1_47radix_sort_onesweep_sort_config_static_selectorELNS0_4arch9wavefront6targetE1EEEvSI_, .Lfunc_end347-_ZN7rocprim17ROCPRIM_400000_NS6detail17trampoline_kernelINS0_14default_configENS1_35radix_sort_onesweep_config_selectorIffEEZZNS1_29radix_sort_onesweep_iterationIS3_Lb0EN6thrust23THRUST_200600_302600_NS6detail15normal_iteratorINS8_10device_ptrIfEEEESD_SD_SD_jNS0_19identity_decomposerENS1_16block_id_wrapperIjLb0EEEEE10hipError_tT1_PNSt15iterator_traitsISI_E10value_typeET2_T3_PNSJ_ISO_E10value_typeET4_T5_PST_SU_PNS1_23onesweep_lookback_stateEbbT6_jjT7_P12ihipStream_tbENKUlT_T0_SI_SN_E_clISD_PfSD_S15_EEDaS11_S12_SI_SN_EUlS11_E_NS1_11comp_targetILNS1_3genE10ELNS1_11target_archE1201ELNS1_3gpuE5ELNS1_3repE0EEENS1_47radix_sort_onesweep_sort_config_static_selectorELNS0_4arch9wavefront6targetE1EEEvSI_
                                        ; -- End function
	.set _ZN7rocprim17ROCPRIM_400000_NS6detail17trampoline_kernelINS0_14default_configENS1_35radix_sort_onesweep_config_selectorIffEEZZNS1_29radix_sort_onesweep_iterationIS3_Lb0EN6thrust23THRUST_200600_302600_NS6detail15normal_iteratorINS8_10device_ptrIfEEEESD_SD_SD_jNS0_19identity_decomposerENS1_16block_id_wrapperIjLb0EEEEE10hipError_tT1_PNSt15iterator_traitsISI_E10value_typeET2_T3_PNSJ_ISO_E10value_typeET4_T5_PST_SU_PNS1_23onesweep_lookback_stateEbbT6_jjT7_P12ihipStream_tbENKUlT_T0_SI_SN_E_clISD_PfSD_S15_EEDaS11_S12_SI_SN_EUlS11_E_NS1_11comp_targetILNS1_3genE10ELNS1_11target_archE1201ELNS1_3gpuE5ELNS1_3repE0EEENS1_47radix_sort_onesweep_sort_config_static_selectorELNS0_4arch9wavefront6targetE1EEEvSI_.num_vgpr, 0
	.set _ZN7rocprim17ROCPRIM_400000_NS6detail17trampoline_kernelINS0_14default_configENS1_35radix_sort_onesweep_config_selectorIffEEZZNS1_29radix_sort_onesweep_iterationIS3_Lb0EN6thrust23THRUST_200600_302600_NS6detail15normal_iteratorINS8_10device_ptrIfEEEESD_SD_SD_jNS0_19identity_decomposerENS1_16block_id_wrapperIjLb0EEEEE10hipError_tT1_PNSt15iterator_traitsISI_E10value_typeET2_T3_PNSJ_ISO_E10value_typeET4_T5_PST_SU_PNS1_23onesweep_lookback_stateEbbT6_jjT7_P12ihipStream_tbENKUlT_T0_SI_SN_E_clISD_PfSD_S15_EEDaS11_S12_SI_SN_EUlS11_E_NS1_11comp_targetILNS1_3genE10ELNS1_11target_archE1201ELNS1_3gpuE5ELNS1_3repE0EEENS1_47radix_sort_onesweep_sort_config_static_selectorELNS0_4arch9wavefront6targetE1EEEvSI_.num_agpr, 0
	.set _ZN7rocprim17ROCPRIM_400000_NS6detail17trampoline_kernelINS0_14default_configENS1_35radix_sort_onesweep_config_selectorIffEEZZNS1_29radix_sort_onesweep_iterationIS3_Lb0EN6thrust23THRUST_200600_302600_NS6detail15normal_iteratorINS8_10device_ptrIfEEEESD_SD_SD_jNS0_19identity_decomposerENS1_16block_id_wrapperIjLb0EEEEE10hipError_tT1_PNSt15iterator_traitsISI_E10value_typeET2_T3_PNSJ_ISO_E10value_typeET4_T5_PST_SU_PNS1_23onesweep_lookback_stateEbbT6_jjT7_P12ihipStream_tbENKUlT_T0_SI_SN_E_clISD_PfSD_S15_EEDaS11_S12_SI_SN_EUlS11_E_NS1_11comp_targetILNS1_3genE10ELNS1_11target_archE1201ELNS1_3gpuE5ELNS1_3repE0EEENS1_47radix_sort_onesweep_sort_config_static_selectorELNS0_4arch9wavefront6targetE1EEEvSI_.numbered_sgpr, 0
	.set _ZN7rocprim17ROCPRIM_400000_NS6detail17trampoline_kernelINS0_14default_configENS1_35radix_sort_onesweep_config_selectorIffEEZZNS1_29radix_sort_onesweep_iterationIS3_Lb0EN6thrust23THRUST_200600_302600_NS6detail15normal_iteratorINS8_10device_ptrIfEEEESD_SD_SD_jNS0_19identity_decomposerENS1_16block_id_wrapperIjLb0EEEEE10hipError_tT1_PNSt15iterator_traitsISI_E10value_typeET2_T3_PNSJ_ISO_E10value_typeET4_T5_PST_SU_PNS1_23onesweep_lookback_stateEbbT6_jjT7_P12ihipStream_tbENKUlT_T0_SI_SN_E_clISD_PfSD_S15_EEDaS11_S12_SI_SN_EUlS11_E_NS1_11comp_targetILNS1_3genE10ELNS1_11target_archE1201ELNS1_3gpuE5ELNS1_3repE0EEENS1_47radix_sort_onesweep_sort_config_static_selectorELNS0_4arch9wavefront6targetE1EEEvSI_.num_named_barrier, 0
	.set _ZN7rocprim17ROCPRIM_400000_NS6detail17trampoline_kernelINS0_14default_configENS1_35radix_sort_onesweep_config_selectorIffEEZZNS1_29radix_sort_onesweep_iterationIS3_Lb0EN6thrust23THRUST_200600_302600_NS6detail15normal_iteratorINS8_10device_ptrIfEEEESD_SD_SD_jNS0_19identity_decomposerENS1_16block_id_wrapperIjLb0EEEEE10hipError_tT1_PNSt15iterator_traitsISI_E10value_typeET2_T3_PNSJ_ISO_E10value_typeET4_T5_PST_SU_PNS1_23onesweep_lookback_stateEbbT6_jjT7_P12ihipStream_tbENKUlT_T0_SI_SN_E_clISD_PfSD_S15_EEDaS11_S12_SI_SN_EUlS11_E_NS1_11comp_targetILNS1_3genE10ELNS1_11target_archE1201ELNS1_3gpuE5ELNS1_3repE0EEENS1_47radix_sort_onesweep_sort_config_static_selectorELNS0_4arch9wavefront6targetE1EEEvSI_.private_seg_size, 0
	.set _ZN7rocprim17ROCPRIM_400000_NS6detail17trampoline_kernelINS0_14default_configENS1_35radix_sort_onesweep_config_selectorIffEEZZNS1_29radix_sort_onesweep_iterationIS3_Lb0EN6thrust23THRUST_200600_302600_NS6detail15normal_iteratorINS8_10device_ptrIfEEEESD_SD_SD_jNS0_19identity_decomposerENS1_16block_id_wrapperIjLb0EEEEE10hipError_tT1_PNSt15iterator_traitsISI_E10value_typeET2_T3_PNSJ_ISO_E10value_typeET4_T5_PST_SU_PNS1_23onesweep_lookback_stateEbbT6_jjT7_P12ihipStream_tbENKUlT_T0_SI_SN_E_clISD_PfSD_S15_EEDaS11_S12_SI_SN_EUlS11_E_NS1_11comp_targetILNS1_3genE10ELNS1_11target_archE1201ELNS1_3gpuE5ELNS1_3repE0EEENS1_47radix_sort_onesweep_sort_config_static_selectorELNS0_4arch9wavefront6targetE1EEEvSI_.uses_vcc, 0
	.set _ZN7rocprim17ROCPRIM_400000_NS6detail17trampoline_kernelINS0_14default_configENS1_35radix_sort_onesweep_config_selectorIffEEZZNS1_29radix_sort_onesweep_iterationIS3_Lb0EN6thrust23THRUST_200600_302600_NS6detail15normal_iteratorINS8_10device_ptrIfEEEESD_SD_SD_jNS0_19identity_decomposerENS1_16block_id_wrapperIjLb0EEEEE10hipError_tT1_PNSt15iterator_traitsISI_E10value_typeET2_T3_PNSJ_ISO_E10value_typeET4_T5_PST_SU_PNS1_23onesweep_lookback_stateEbbT6_jjT7_P12ihipStream_tbENKUlT_T0_SI_SN_E_clISD_PfSD_S15_EEDaS11_S12_SI_SN_EUlS11_E_NS1_11comp_targetILNS1_3genE10ELNS1_11target_archE1201ELNS1_3gpuE5ELNS1_3repE0EEENS1_47radix_sort_onesweep_sort_config_static_selectorELNS0_4arch9wavefront6targetE1EEEvSI_.uses_flat_scratch, 0
	.set _ZN7rocprim17ROCPRIM_400000_NS6detail17trampoline_kernelINS0_14default_configENS1_35radix_sort_onesweep_config_selectorIffEEZZNS1_29radix_sort_onesweep_iterationIS3_Lb0EN6thrust23THRUST_200600_302600_NS6detail15normal_iteratorINS8_10device_ptrIfEEEESD_SD_SD_jNS0_19identity_decomposerENS1_16block_id_wrapperIjLb0EEEEE10hipError_tT1_PNSt15iterator_traitsISI_E10value_typeET2_T3_PNSJ_ISO_E10value_typeET4_T5_PST_SU_PNS1_23onesweep_lookback_stateEbbT6_jjT7_P12ihipStream_tbENKUlT_T0_SI_SN_E_clISD_PfSD_S15_EEDaS11_S12_SI_SN_EUlS11_E_NS1_11comp_targetILNS1_3genE10ELNS1_11target_archE1201ELNS1_3gpuE5ELNS1_3repE0EEENS1_47radix_sort_onesweep_sort_config_static_selectorELNS0_4arch9wavefront6targetE1EEEvSI_.has_dyn_sized_stack, 0
	.set _ZN7rocprim17ROCPRIM_400000_NS6detail17trampoline_kernelINS0_14default_configENS1_35radix_sort_onesweep_config_selectorIffEEZZNS1_29radix_sort_onesweep_iterationIS3_Lb0EN6thrust23THRUST_200600_302600_NS6detail15normal_iteratorINS8_10device_ptrIfEEEESD_SD_SD_jNS0_19identity_decomposerENS1_16block_id_wrapperIjLb0EEEEE10hipError_tT1_PNSt15iterator_traitsISI_E10value_typeET2_T3_PNSJ_ISO_E10value_typeET4_T5_PST_SU_PNS1_23onesweep_lookback_stateEbbT6_jjT7_P12ihipStream_tbENKUlT_T0_SI_SN_E_clISD_PfSD_S15_EEDaS11_S12_SI_SN_EUlS11_E_NS1_11comp_targetILNS1_3genE10ELNS1_11target_archE1201ELNS1_3gpuE5ELNS1_3repE0EEENS1_47radix_sort_onesweep_sort_config_static_selectorELNS0_4arch9wavefront6targetE1EEEvSI_.has_recursion, 0
	.set _ZN7rocprim17ROCPRIM_400000_NS6detail17trampoline_kernelINS0_14default_configENS1_35radix_sort_onesweep_config_selectorIffEEZZNS1_29radix_sort_onesweep_iterationIS3_Lb0EN6thrust23THRUST_200600_302600_NS6detail15normal_iteratorINS8_10device_ptrIfEEEESD_SD_SD_jNS0_19identity_decomposerENS1_16block_id_wrapperIjLb0EEEEE10hipError_tT1_PNSt15iterator_traitsISI_E10value_typeET2_T3_PNSJ_ISO_E10value_typeET4_T5_PST_SU_PNS1_23onesweep_lookback_stateEbbT6_jjT7_P12ihipStream_tbENKUlT_T0_SI_SN_E_clISD_PfSD_S15_EEDaS11_S12_SI_SN_EUlS11_E_NS1_11comp_targetILNS1_3genE10ELNS1_11target_archE1201ELNS1_3gpuE5ELNS1_3repE0EEENS1_47radix_sort_onesweep_sort_config_static_selectorELNS0_4arch9wavefront6targetE1EEEvSI_.has_indirect_call, 0
	.section	.AMDGPU.csdata,"",@progbits
; Kernel info:
; codeLenInByte = 0
; TotalNumSgprs: 6
; NumVgprs: 0
; NumAgprs: 0
; TotalNumVgprs: 0
; ScratchSize: 0
; MemoryBound: 0
; FloatMode: 240
; IeeeMode: 1
; LDSByteSize: 0 bytes/workgroup (compile time only)
; SGPRBlocks: 0
; VGPRBlocks: 0
; NumSGPRsForWavesPerEU: 6
; NumVGPRsForWavesPerEU: 1
; AccumOffset: 4
; Occupancy: 8
; WaveLimiterHint : 0
; COMPUTE_PGM_RSRC2:SCRATCH_EN: 0
; COMPUTE_PGM_RSRC2:USER_SGPR: 2
; COMPUTE_PGM_RSRC2:TRAP_HANDLER: 0
; COMPUTE_PGM_RSRC2:TGID_X_EN: 1
; COMPUTE_PGM_RSRC2:TGID_Y_EN: 0
; COMPUTE_PGM_RSRC2:TGID_Z_EN: 0
; COMPUTE_PGM_RSRC2:TIDIG_COMP_CNT: 0
; COMPUTE_PGM_RSRC3_GFX90A:ACCUM_OFFSET: 0
; COMPUTE_PGM_RSRC3_GFX90A:TG_SPLIT: 0
	.section	.text._ZN7rocprim17ROCPRIM_400000_NS6detail17trampoline_kernelINS0_14default_configENS1_35radix_sort_onesweep_config_selectorIffEEZZNS1_29radix_sort_onesweep_iterationIS3_Lb0EN6thrust23THRUST_200600_302600_NS6detail15normal_iteratorINS8_10device_ptrIfEEEESD_SD_SD_jNS0_19identity_decomposerENS1_16block_id_wrapperIjLb0EEEEE10hipError_tT1_PNSt15iterator_traitsISI_E10value_typeET2_T3_PNSJ_ISO_E10value_typeET4_T5_PST_SU_PNS1_23onesweep_lookback_stateEbbT6_jjT7_P12ihipStream_tbENKUlT_T0_SI_SN_E_clISD_PfSD_S15_EEDaS11_S12_SI_SN_EUlS11_E_NS1_11comp_targetILNS1_3genE9ELNS1_11target_archE1100ELNS1_3gpuE3ELNS1_3repE0EEENS1_47radix_sort_onesweep_sort_config_static_selectorELNS0_4arch9wavefront6targetE1EEEvSI_,"axG",@progbits,_ZN7rocprim17ROCPRIM_400000_NS6detail17trampoline_kernelINS0_14default_configENS1_35radix_sort_onesweep_config_selectorIffEEZZNS1_29radix_sort_onesweep_iterationIS3_Lb0EN6thrust23THRUST_200600_302600_NS6detail15normal_iteratorINS8_10device_ptrIfEEEESD_SD_SD_jNS0_19identity_decomposerENS1_16block_id_wrapperIjLb0EEEEE10hipError_tT1_PNSt15iterator_traitsISI_E10value_typeET2_T3_PNSJ_ISO_E10value_typeET4_T5_PST_SU_PNS1_23onesweep_lookback_stateEbbT6_jjT7_P12ihipStream_tbENKUlT_T0_SI_SN_E_clISD_PfSD_S15_EEDaS11_S12_SI_SN_EUlS11_E_NS1_11comp_targetILNS1_3genE9ELNS1_11target_archE1100ELNS1_3gpuE3ELNS1_3repE0EEENS1_47radix_sort_onesweep_sort_config_static_selectorELNS0_4arch9wavefront6targetE1EEEvSI_,comdat
	.protected	_ZN7rocprim17ROCPRIM_400000_NS6detail17trampoline_kernelINS0_14default_configENS1_35radix_sort_onesweep_config_selectorIffEEZZNS1_29radix_sort_onesweep_iterationIS3_Lb0EN6thrust23THRUST_200600_302600_NS6detail15normal_iteratorINS8_10device_ptrIfEEEESD_SD_SD_jNS0_19identity_decomposerENS1_16block_id_wrapperIjLb0EEEEE10hipError_tT1_PNSt15iterator_traitsISI_E10value_typeET2_T3_PNSJ_ISO_E10value_typeET4_T5_PST_SU_PNS1_23onesweep_lookback_stateEbbT6_jjT7_P12ihipStream_tbENKUlT_T0_SI_SN_E_clISD_PfSD_S15_EEDaS11_S12_SI_SN_EUlS11_E_NS1_11comp_targetILNS1_3genE9ELNS1_11target_archE1100ELNS1_3gpuE3ELNS1_3repE0EEENS1_47radix_sort_onesweep_sort_config_static_selectorELNS0_4arch9wavefront6targetE1EEEvSI_ ; -- Begin function _ZN7rocprim17ROCPRIM_400000_NS6detail17trampoline_kernelINS0_14default_configENS1_35radix_sort_onesweep_config_selectorIffEEZZNS1_29radix_sort_onesweep_iterationIS3_Lb0EN6thrust23THRUST_200600_302600_NS6detail15normal_iteratorINS8_10device_ptrIfEEEESD_SD_SD_jNS0_19identity_decomposerENS1_16block_id_wrapperIjLb0EEEEE10hipError_tT1_PNSt15iterator_traitsISI_E10value_typeET2_T3_PNSJ_ISO_E10value_typeET4_T5_PST_SU_PNS1_23onesweep_lookback_stateEbbT6_jjT7_P12ihipStream_tbENKUlT_T0_SI_SN_E_clISD_PfSD_S15_EEDaS11_S12_SI_SN_EUlS11_E_NS1_11comp_targetILNS1_3genE9ELNS1_11target_archE1100ELNS1_3gpuE3ELNS1_3repE0EEENS1_47radix_sort_onesweep_sort_config_static_selectorELNS0_4arch9wavefront6targetE1EEEvSI_
	.globl	_ZN7rocprim17ROCPRIM_400000_NS6detail17trampoline_kernelINS0_14default_configENS1_35radix_sort_onesweep_config_selectorIffEEZZNS1_29radix_sort_onesweep_iterationIS3_Lb0EN6thrust23THRUST_200600_302600_NS6detail15normal_iteratorINS8_10device_ptrIfEEEESD_SD_SD_jNS0_19identity_decomposerENS1_16block_id_wrapperIjLb0EEEEE10hipError_tT1_PNSt15iterator_traitsISI_E10value_typeET2_T3_PNSJ_ISO_E10value_typeET4_T5_PST_SU_PNS1_23onesweep_lookback_stateEbbT6_jjT7_P12ihipStream_tbENKUlT_T0_SI_SN_E_clISD_PfSD_S15_EEDaS11_S12_SI_SN_EUlS11_E_NS1_11comp_targetILNS1_3genE9ELNS1_11target_archE1100ELNS1_3gpuE3ELNS1_3repE0EEENS1_47radix_sort_onesweep_sort_config_static_selectorELNS0_4arch9wavefront6targetE1EEEvSI_
	.p2align	8
	.type	_ZN7rocprim17ROCPRIM_400000_NS6detail17trampoline_kernelINS0_14default_configENS1_35radix_sort_onesweep_config_selectorIffEEZZNS1_29radix_sort_onesweep_iterationIS3_Lb0EN6thrust23THRUST_200600_302600_NS6detail15normal_iteratorINS8_10device_ptrIfEEEESD_SD_SD_jNS0_19identity_decomposerENS1_16block_id_wrapperIjLb0EEEEE10hipError_tT1_PNSt15iterator_traitsISI_E10value_typeET2_T3_PNSJ_ISO_E10value_typeET4_T5_PST_SU_PNS1_23onesweep_lookback_stateEbbT6_jjT7_P12ihipStream_tbENKUlT_T0_SI_SN_E_clISD_PfSD_S15_EEDaS11_S12_SI_SN_EUlS11_E_NS1_11comp_targetILNS1_3genE9ELNS1_11target_archE1100ELNS1_3gpuE3ELNS1_3repE0EEENS1_47radix_sort_onesweep_sort_config_static_selectorELNS0_4arch9wavefront6targetE1EEEvSI_,@function
_ZN7rocprim17ROCPRIM_400000_NS6detail17trampoline_kernelINS0_14default_configENS1_35radix_sort_onesweep_config_selectorIffEEZZNS1_29radix_sort_onesweep_iterationIS3_Lb0EN6thrust23THRUST_200600_302600_NS6detail15normal_iteratorINS8_10device_ptrIfEEEESD_SD_SD_jNS0_19identity_decomposerENS1_16block_id_wrapperIjLb0EEEEE10hipError_tT1_PNSt15iterator_traitsISI_E10value_typeET2_T3_PNSJ_ISO_E10value_typeET4_T5_PST_SU_PNS1_23onesweep_lookback_stateEbbT6_jjT7_P12ihipStream_tbENKUlT_T0_SI_SN_E_clISD_PfSD_S15_EEDaS11_S12_SI_SN_EUlS11_E_NS1_11comp_targetILNS1_3genE9ELNS1_11target_archE1100ELNS1_3gpuE3ELNS1_3repE0EEENS1_47radix_sort_onesweep_sort_config_static_selectorELNS0_4arch9wavefront6targetE1EEEvSI_: ; @_ZN7rocprim17ROCPRIM_400000_NS6detail17trampoline_kernelINS0_14default_configENS1_35radix_sort_onesweep_config_selectorIffEEZZNS1_29radix_sort_onesweep_iterationIS3_Lb0EN6thrust23THRUST_200600_302600_NS6detail15normal_iteratorINS8_10device_ptrIfEEEESD_SD_SD_jNS0_19identity_decomposerENS1_16block_id_wrapperIjLb0EEEEE10hipError_tT1_PNSt15iterator_traitsISI_E10value_typeET2_T3_PNSJ_ISO_E10value_typeET4_T5_PST_SU_PNS1_23onesweep_lookback_stateEbbT6_jjT7_P12ihipStream_tbENKUlT_T0_SI_SN_E_clISD_PfSD_S15_EEDaS11_S12_SI_SN_EUlS11_E_NS1_11comp_targetILNS1_3genE9ELNS1_11target_archE1100ELNS1_3gpuE3ELNS1_3repE0EEENS1_47radix_sort_onesweep_sort_config_static_selectorELNS0_4arch9wavefront6targetE1EEEvSI_
; %bb.0:
	.section	.rodata,"a",@progbits
	.p2align	6, 0x0
	.amdhsa_kernel _ZN7rocprim17ROCPRIM_400000_NS6detail17trampoline_kernelINS0_14default_configENS1_35radix_sort_onesweep_config_selectorIffEEZZNS1_29radix_sort_onesweep_iterationIS3_Lb0EN6thrust23THRUST_200600_302600_NS6detail15normal_iteratorINS8_10device_ptrIfEEEESD_SD_SD_jNS0_19identity_decomposerENS1_16block_id_wrapperIjLb0EEEEE10hipError_tT1_PNSt15iterator_traitsISI_E10value_typeET2_T3_PNSJ_ISO_E10value_typeET4_T5_PST_SU_PNS1_23onesweep_lookback_stateEbbT6_jjT7_P12ihipStream_tbENKUlT_T0_SI_SN_E_clISD_PfSD_S15_EEDaS11_S12_SI_SN_EUlS11_E_NS1_11comp_targetILNS1_3genE9ELNS1_11target_archE1100ELNS1_3gpuE3ELNS1_3repE0EEENS1_47radix_sort_onesweep_sort_config_static_selectorELNS0_4arch9wavefront6targetE1EEEvSI_
		.amdhsa_group_segment_fixed_size 0
		.amdhsa_private_segment_fixed_size 0
		.amdhsa_kernarg_size 88
		.amdhsa_user_sgpr_count 2
		.amdhsa_user_sgpr_dispatch_ptr 0
		.amdhsa_user_sgpr_queue_ptr 0
		.amdhsa_user_sgpr_kernarg_segment_ptr 1
		.amdhsa_user_sgpr_dispatch_id 0
		.amdhsa_user_sgpr_kernarg_preload_length 0
		.amdhsa_user_sgpr_kernarg_preload_offset 0
		.amdhsa_user_sgpr_private_segment_size 0
		.amdhsa_uses_dynamic_stack 0
		.amdhsa_enable_private_segment 0
		.amdhsa_system_sgpr_workgroup_id_x 1
		.amdhsa_system_sgpr_workgroup_id_y 0
		.amdhsa_system_sgpr_workgroup_id_z 0
		.amdhsa_system_sgpr_workgroup_info 0
		.amdhsa_system_vgpr_workitem_id 0
		.amdhsa_next_free_vgpr 1
		.amdhsa_next_free_sgpr 0
		.amdhsa_accum_offset 4
		.amdhsa_reserve_vcc 0
		.amdhsa_float_round_mode_32 0
		.amdhsa_float_round_mode_16_64 0
		.amdhsa_float_denorm_mode_32 3
		.amdhsa_float_denorm_mode_16_64 3
		.amdhsa_dx10_clamp 1
		.amdhsa_ieee_mode 1
		.amdhsa_fp16_overflow 0
		.amdhsa_tg_split 0
		.amdhsa_exception_fp_ieee_invalid_op 0
		.amdhsa_exception_fp_denorm_src 0
		.amdhsa_exception_fp_ieee_div_zero 0
		.amdhsa_exception_fp_ieee_overflow 0
		.amdhsa_exception_fp_ieee_underflow 0
		.amdhsa_exception_fp_ieee_inexact 0
		.amdhsa_exception_int_div_zero 0
	.end_amdhsa_kernel
	.section	.text._ZN7rocprim17ROCPRIM_400000_NS6detail17trampoline_kernelINS0_14default_configENS1_35radix_sort_onesweep_config_selectorIffEEZZNS1_29radix_sort_onesweep_iterationIS3_Lb0EN6thrust23THRUST_200600_302600_NS6detail15normal_iteratorINS8_10device_ptrIfEEEESD_SD_SD_jNS0_19identity_decomposerENS1_16block_id_wrapperIjLb0EEEEE10hipError_tT1_PNSt15iterator_traitsISI_E10value_typeET2_T3_PNSJ_ISO_E10value_typeET4_T5_PST_SU_PNS1_23onesweep_lookback_stateEbbT6_jjT7_P12ihipStream_tbENKUlT_T0_SI_SN_E_clISD_PfSD_S15_EEDaS11_S12_SI_SN_EUlS11_E_NS1_11comp_targetILNS1_3genE9ELNS1_11target_archE1100ELNS1_3gpuE3ELNS1_3repE0EEENS1_47radix_sort_onesweep_sort_config_static_selectorELNS0_4arch9wavefront6targetE1EEEvSI_,"axG",@progbits,_ZN7rocprim17ROCPRIM_400000_NS6detail17trampoline_kernelINS0_14default_configENS1_35radix_sort_onesweep_config_selectorIffEEZZNS1_29radix_sort_onesweep_iterationIS3_Lb0EN6thrust23THRUST_200600_302600_NS6detail15normal_iteratorINS8_10device_ptrIfEEEESD_SD_SD_jNS0_19identity_decomposerENS1_16block_id_wrapperIjLb0EEEEE10hipError_tT1_PNSt15iterator_traitsISI_E10value_typeET2_T3_PNSJ_ISO_E10value_typeET4_T5_PST_SU_PNS1_23onesweep_lookback_stateEbbT6_jjT7_P12ihipStream_tbENKUlT_T0_SI_SN_E_clISD_PfSD_S15_EEDaS11_S12_SI_SN_EUlS11_E_NS1_11comp_targetILNS1_3genE9ELNS1_11target_archE1100ELNS1_3gpuE3ELNS1_3repE0EEENS1_47radix_sort_onesweep_sort_config_static_selectorELNS0_4arch9wavefront6targetE1EEEvSI_,comdat
.Lfunc_end348:
	.size	_ZN7rocprim17ROCPRIM_400000_NS6detail17trampoline_kernelINS0_14default_configENS1_35radix_sort_onesweep_config_selectorIffEEZZNS1_29radix_sort_onesweep_iterationIS3_Lb0EN6thrust23THRUST_200600_302600_NS6detail15normal_iteratorINS8_10device_ptrIfEEEESD_SD_SD_jNS0_19identity_decomposerENS1_16block_id_wrapperIjLb0EEEEE10hipError_tT1_PNSt15iterator_traitsISI_E10value_typeET2_T3_PNSJ_ISO_E10value_typeET4_T5_PST_SU_PNS1_23onesweep_lookback_stateEbbT6_jjT7_P12ihipStream_tbENKUlT_T0_SI_SN_E_clISD_PfSD_S15_EEDaS11_S12_SI_SN_EUlS11_E_NS1_11comp_targetILNS1_3genE9ELNS1_11target_archE1100ELNS1_3gpuE3ELNS1_3repE0EEENS1_47radix_sort_onesweep_sort_config_static_selectorELNS0_4arch9wavefront6targetE1EEEvSI_, .Lfunc_end348-_ZN7rocprim17ROCPRIM_400000_NS6detail17trampoline_kernelINS0_14default_configENS1_35radix_sort_onesweep_config_selectorIffEEZZNS1_29radix_sort_onesweep_iterationIS3_Lb0EN6thrust23THRUST_200600_302600_NS6detail15normal_iteratorINS8_10device_ptrIfEEEESD_SD_SD_jNS0_19identity_decomposerENS1_16block_id_wrapperIjLb0EEEEE10hipError_tT1_PNSt15iterator_traitsISI_E10value_typeET2_T3_PNSJ_ISO_E10value_typeET4_T5_PST_SU_PNS1_23onesweep_lookback_stateEbbT6_jjT7_P12ihipStream_tbENKUlT_T0_SI_SN_E_clISD_PfSD_S15_EEDaS11_S12_SI_SN_EUlS11_E_NS1_11comp_targetILNS1_3genE9ELNS1_11target_archE1100ELNS1_3gpuE3ELNS1_3repE0EEENS1_47radix_sort_onesweep_sort_config_static_selectorELNS0_4arch9wavefront6targetE1EEEvSI_
                                        ; -- End function
	.set _ZN7rocprim17ROCPRIM_400000_NS6detail17trampoline_kernelINS0_14default_configENS1_35radix_sort_onesweep_config_selectorIffEEZZNS1_29radix_sort_onesweep_iterationIS3_Lb0EN6thrust23THRUST_200600_302600_NS6detail15normal_iteratorINS8_10device_ptrIfEEEESD_SD_SD_jNS0_19identity_decomposerENS1_16block_id_wrapperIjLb0EEEEE10hipError_tT1_PNSt15iterator_traitsISI_E10value_typeET2_T3_PNSJ_ISO_E10value_typeET4_T5_PST_SU_PNS1_23onesweep_lookback_stateEbbT6_jjT7_P12ihipStream_tbENKUlT_T0_SI_SN_E_clISD_PfSD_S15_EEDaS11_S12_SI_SN_EUlS11_E_NS1_11comp_targetILNS1_3genE9ELNS1_11target_archE1100ELNS1_3gpuE3ELNS1_3repE0EEENS1_47radix_sort_onesweep_sort_config_static_selectorELNS0_4arch9wavefront6targetE1EEEvSI_.num_vgpr, 0
	.set _ZN7rocprim17ROCPRIM_400000_NS6detail17trampoline_kernelINS0_14default_configENS1_35radix_sort_onesweep_config_selectorIffEEZZNS1_29radix_sort_onesweep_iterationIS3_Lb0EN6thrust23THRUST_200600_302600_NS6detail15normal_iteratorINS8_10device_ptrIfEEEESD_SD_SD_jNS0_19identity_decomposerENS1_16block_id_wrapperIjLb0EEEEE10hipError_tT1_PNSt15iterator_traitsISI_E10value_typeET2_T3_PNSJ_ISO_E10value_typeET4_T5_PST_SU_PNS1_23onesweep_lookback_stateEbbT6_jjT7_P12ihipStream_tbENKUlT_T0_SI_SN_E_clISD_PfSD_S15_EEDaS11_S12_SI_SN_EUlS11_E_NS1_11comp_targetILNS1_3genE9ELNS1_11target_archE1100ELNS1_3gpuE3ELNS1_3repE0EEENS1_47radix_sort_onesweep_sort_config_static_selectorELNS0_4arch9wavefront6targetE1EEEvSI_.num_agpr, 0
	.set _ZN7rocprim17ROCPRIM_400000_NS6detail17trampoline_kernelINS0_14default_configENS1_35radix_sort_onesweep_config_selectorIffEEZZNS1_29radix_sort_onesweep_iterationIS3_Lb0EN6thrust23THRUST_200600_302600_NS6detail15normal_iteratorINS8_10device_ptrIfEEEESD_SD_SD_jNS0_19identity_decomposerENS1_16block_id_wrapperIjLb0EEEEE10hipError_tT1_PNSt15iterator_traitsISI_E10value_typeET2_T3_PNSJ_ISO_E10value_typeET4_T5_PST_SU_PNS1_23onesweep_lookback_stateEbbT6_jjT7_P12ihipStream_tbENKUlT_T0_SI_SN_E_clISD_PfSD_S15_EEDaS11_S12_SI_SN_EUlS11_E_NS1_11comp_targetILNS1_3genE9ELNS1_11target_archE1100ELNS1_3gpuE3ELNS1_3repE0EEENS1_47radix_sort_onesweep_sort_config_static_selectorELNS0_4arch9wavefront6targetE1EEEvSI_.numbered_sgpr, 0
	.set _ZN7rocprim17ROCPRIM_400000_NS6detail17trampoline_kernelINS0_14default_configENS1_35radix_sort_onesweep_config_selectorIffEEZZNS1_29radix_sort_onesweep_iterationIS3_Lb0EN6thrust23THRUST_200600_302600_NS6detail15normal_iteratorINS8_10device_ptrIfEEEESD_SD_SD_jNS0_19identity_decomposerENS1_16block_id_wrapperIjLb0EEEEE10hipError_tT1_PNSt15iterator_traitsISI_E10value_typeET2_T3_PNSJ_ISO_E10value_typeET4_T5_PST_SU_PNS1_23onesweep_lookback_stateEbbT6_jjT7_P12ihipStream_tbENKUlT_T0_SI_SN_E_clISD_PfSD_S15_EEDaS11_S12_SI_SN_EUlS11_E_NS1_11comp_targetILNS1_3genE9ELNS1_11target_archE1100ELNS1_3gpuE3ELNS1_3repE0EEENS1_47radix_sort_onesweep_sort_config_static_selectorELNS0_4arch9wavefront6targetE1EEEvSI_.num_named_barrier, 0
	.set _ZN7rocprim17ROCPRIM_400000_NS6detail17trampoline_kernelINS0_14default_configENS1_35radix_sort_onesweep_config_selectorIffEEZZNS1_29radix_sort_onesweep_iterationIS3_Lb0EN6thrust23THRUST_200600_302600_NS6detail15normal_iteratorINS8_10device_ptrIfEEEESD_SD_SD_jNS0_19identity_decomposerENS1_16block_id_wrapperIjLb0EEEEE10hipError_tT1_PNSt15iterator_traitsISI_E10value_typeET2_T3_PNSJ_ISO_E10value_typeET4_T5_PST_SU_PNS1_23onesweep_lookback_stateEbbT6_jjT7_P12ihipStream_tbENKUlT_T0_SI_SN_E_clISD_PfSD_S15_EEDaS11_S12_SI_SN_EUlS11_E_NS1_11comp_targetILNS1_3genE9ELNS1_11target_archE1100ELNS1_3gpuE3ELNS1_3repE0EEENS1_47radix_sort_onesweep_sort_config_static_selectorELNS0_4arch9wavefront6targetE1EEEvSI_.private_seg_size, 0
	.set _ZN7rocprim17ROCPRIM_400000_NS6detail17trampoline_kernelINS0_14default_configENS1_35radix_sort_onesweep_config_selectorIffEEZZNS1_29radix_sort_onesweep_iterationIS3_Lb0EN6thrust23THRUST_200600_302600_NS6detail15normal_iteratorINS8_10device_ptrIfEEEESD_SD_SD_jNS0_19identity_decomposerENS1_16block_id_wrapperIjLb0EEEEE10hipError_tT1_PNSt15iterator_traitsISI_E10value_typeET2_T3_PNSJ_ISO_E10value_typeET4_T5_PST_SU_PNS1_23onesweep_lookback_stateEbbT6_jjT7_P12ihipStream_tbENKUlT_T0_SI_SN_E_clISD_PfSD_S15_EEDaS11_S12_SI_SN_EUlS11_E_NS1_11comp_targetILNS1_3genE9ELNS1_11target_archE1100ELNS1_3gpuE3ELNS1_3repE0EEENS1_47radix_sort_onesweep_sort_config_static_selectorELNS0_4arch9wavefront6targetE1EEEvSI_.uses_vcc, 0
	.set _ZN7rocprim17ROCPRIM_400000_NS6detail17trampoline_kernelINS0_14default_configENS1_35radix_sort_onesweep_config_selectorIffEEZZNS1_29radix_sort_onesweep_iterationIS3_Lb0EN6thrust23THRUST_200600_302600_NS6detail15normal_iteratorINS8_10device_ptrIfEEEESD_SD_SD_jNS0_19identity_decomposerENS1_16block_id_wrapperIjLb0EEEEE10hipError_tT1_PNSt15iterator_traitsISI_E10value_typeET2_T3_PNSJ_ISO_E10value_typeET4_T5_PST_SU_PNS1_23onesweep_lookback_stateEbbT6_jjT7_P12ihipStream_tbENKUlT_T0_SI_SN_E_clISD_PfSD_S15_EEDaS11_S12_SI_SN_EUlS11_E_NS1_11comp_targetILNS1_3genE9ELNS1_11target_archE1100ELNS1_3gpuE3ELNS1_3repE0EEENS1_47radix_sort_onesweep_sort_config_static_selectorELNS0_4arch9wavefront6targetE1EEEvSI_.uses_flat_scratch, 0
	.set _ZN7rocprim17ROCPRIM_400000_NS6detail17trampoline_kernelINS0_14default_configENS1_35radix_sort_onesweep_config_selectorIffEEZZNS1_29radix_sort_onesweep_iterationIS3_Lb0EN6thrust23THRUST_200600_302600_NS6detail15normal_iteratorINS8_10device_ptrIfEEEESD_SD_SD_jNS0_19identity_decomposerENS1_16block_id_wrapperIjLb0EEEEE10hipError_tT1_PNSt15iterator_traitsISI_E10value_typeET2_T3_PNSJ_ISO_E10value_typeET4_T5_PST_SU_PNS1_23onesweep_lookback_stateEbbT6_jjT7_P12ihipStream_tbENKUlT_T0_SI_SN_E_clISD_PfSD_S15_EEDaS11_S12_SI_SN_EUlS11_E_NS1_11comp_targetILNS1_3genE9ELNS1_11target_archE1100ELNS1_3gpuE3ELNS1_3repE0EEENS1_47radix_sort_onesweep_sort_config_static_selectorELNS0_4arch9wavefront6targetE1EEEvSI_.has_dyn_sized_stack, 0
	.set _ZN7rocprim17ROCPRIM_400000_NS6detail17trampoline_kernelINS0_14default_configENS1_35radix_sort_onesweep_config_selectorIffEEZZNS1_29radix_sort_onesweep_iterationIS3_Lb0EN6thrust23THRUST_200600_302600_NS6detail15normal_iteratorINS8_10device_ptrIfEEEESD_SD_SD_jNS0_19identity_decomposerENS1_16block_id_wrapperIjLb0EEEEE10hipError_tT1_PNSt15iterator_traitsISI_E10value_typeET2_T3_PNSJ_ISO_E10value_typeET4_T5_PST_SU_PNS1_23onesweep_lookback_stateEbbT6_jjT7_P12ihipStream_tbENKUlT_T0_SI_SN_E_clISD_PfSD_S15_EEDaS11_S12_SI_SN_EUlS11_E_NS1_11comp_targetILNS1_3genE9ELNS1_11target_archE1100ELNS1_3gpuE3ELNS1_3repE0EEENS1_47radix_sort_onesweep_sort_config_static_selectorELNS0_4arch9wavefront6targetE1EEEvSI_.has_recursion, 0
	.set _ZN7rocprim17ROCPRIM_400000_NS6detail17trampoline_kernelINS0_14default_configENS1_35radix_sort_onesweep_config_selectorIffEEZZNS1_29radix_sort_onesweep_iterationIS3_Lb0EN6thrust23THRUST_200600_302600_NS6detail15normal_iteratorINS8_10device_ptrIfEEEESD_SD_SD_jNS0_19identity_decomposerENS1_16block_id_wrapperIjLb0EEEEE10hipError_tT1_PNSt15iterator_traitsISI_E10value_typeET2_T3_PNSJ_ISO_E10value_typeET4_T5_PST_SU_PNS1_23onesweep_lookback_stateEbbT6_jjT7_P12ihipStream_tbENKUlT_T0_SI_SN_E_clISD_PfSD_S15_EEDaS11_S12_SI_SN_EUlS11_E_NS1_11comp_targetILNS1_3genE9ELNS1_11target_archE1100ELNS1_3gpuE3ELNS1_3repE0EEENS1_47radix_sort_onesweep_sort_config_static_selectorELNS0_4arch9wavefront6targetE1EEEvSI_.has_indirect_call, 0
	.section	.AMDGPU.csdata,"",@progbits
; Kernel info:
; codeLenInByte = 0
; TotalNumSgprs: 6
; NumVgprs: 0
; NumAgprs: 0
; TotalNumVgprs: 0
; ScratchSize: 0
; MemoryBound: 0
; FloatMode: 240
; IeeeMode: 1
; LDSByteSize: 0 bytes/workgroup (compile time only)
; SGPRBlocks: 0
; VGPRBlocks: 0
; NumSGPRsForWavesPerEU: 6
; NumVGPRsForWavesPerEU: 1
; AccumOffset: 4
; Occupancy: 8
; WaveLimiterHint : 0
; COMPUTE_PGM_RSRC2:SCRATCH_EN: 0
; COMPUTE_PGM_RSRC2:USER_SGPR: 2
; COMPUTE_PGM_RSRC2:TRAP_HANDLER: 0
; COMPUTE_PGM_RSRC2:TGID_X_EN: 1
; COMPUTE_PGM_RSRC2:TGID_Y_EN: 0
; COMPUTE_PGM_RSRC2:TGID_Z_EN: 0
; COMPUTE_PGM_RSRC2:TIDIG_COMP_CNT: 0
; COMPUTE_PGM_RSRC3_GFX90A:ACCUM_OFFSET: 0
; COMPUTE_PGM_RSRC3_GFX90A:TG_SPLIT: 0
	.section	.text._ZN7rocprim17ROCPRIM_400000_NS6detail17trampoline_kernelINS0_14default_configENS1_35radix_sort_onesweep_config_selectorIffEEZZNS1_29radix_sort_onesweep_iterationIS3_Lb0EN6thrust23THRUST_200600_302600_NS6detail15normal_iteratorINS8_10device_ptrIfEEEESD_SD_SD_jNS0_19identity_decomposerENS1_16block_id_wrapperIjLb0EEEEE10hipError_tT1_PNSt15iterator_traitsISI_E10value_typeET2_T3_PNSJ_ISO_E10value_typeET4_T5_PST_SU_PNS1_23onesweep_lookback_stateEbbT6_jjT7_P12ihipStream_tbENKUlT_T0_SI_SN_E_clISD_PfSD_S15_EEDaS11_S12_SI_SN_EUlS11_E_NS1_11comp_targetILNS1_3genE8ELNS1_11target_archE1030ELNS1_3gpuE2ELNS1_3repE0EEENS1_47radix_sort_onesweep_sort_config_static_selectorELNS0_4arch9wavefront6targetE1EEEvSI_,"axG",@progbits,_ZN7rocprim17ROCPRIM_400000_NS6detail17trampoline_kernelINS0_14default_configENS1_35radix_sort_onesweep_config_selectorIffEEZZNS1_29radix_sort_onesweep_iterationIS3_Lb0EN6thrust23THRUST_200600_302600_NS6detail15normal_iteratorINS8_10device_ptrIfEEEESD_SD_SD_jNS0_19identity_decomposerENS1_16block_id_wrapperIjLb0EEEEE10hipError_tT1_PNSt15iterator_traitsISI_E10value_typeET2_T3_PNSJ_ISO_E10value_typeET4_T5_PST_SU_PNS1_23onesweep_lookback_stateEbbT6_jjT7_P12ihipStream_tbENKUlT_T0_SI_SN_E_clISD_PfSD_S15_EEDaS11_S12_SI_SN_EUlS11_E_NS1_11comp_targetILNS1_3genE8ELNS1_11target_archE1030ELNS1_3gpuE2ELNS1_3repE0EEENS1_47radix_sort_onesweep_sort_config_static_selectorELNS0_4arch9wavefront6targetE1EEEvSI_,comdat
	.protected	_ZN7rocprim17ROCPRIM_400000_NS6detail17trampoline_kernelINS0_14default_configENS1_35radix_sort_onesweep_config_selectorIffEEZZNS1_29radix_sort_onesweep_iterationIS3_Lb0EN6thrust23THRUST_200600_302600_NS6detail15normal_iteratorINS8_10device_ptrIfEEEESD_SD_SD_jNS0_19identity_decomposerENS1_16block_id_wrapperIjLb0EEEEE10hipError_tT1_PNSt15iterator_traitsISI_E10value_typeET2_T3_PNSJ_ISO_E10value_typeET4_T5_PST_SU_PNS1_23onesweep_lookback_stateEbbT6_jjT7_P12ihipStream_tbENKUlT_T0_SI_SN_E_clISD_PfSD_S15_EEDaS11_S12_SI_SN_EUlS11_E_NS1_11comp_targetILNS1_3genE8ELNS1_11target_archE1030ELNS1_3gpuE2ELNS1_3repE0EEENS1_47radix_sort_onesweep_sort_config_static_selectorELNS0_4arch9wavefront6targetE1EEEvSI_ ; -- Begin function _ZN7rocprim17ROCPRIM_400000_NS6detail17trampoline_kernelINS0_14default_configENS1_35radix_sort_onesweep_config_selectorIffEEZZNS1_29radix_sort_onesweep_iterationIS3_Lb0EN6thrust23THRUST_200600_302600_NS6detail15normal_iteratorINS8_10device_ptrIfEEEESD_SD_SD_jNS0_19identity_decomposerENS1_16block_id_wrapperIjLb0EEEEE10hipError_tT1_PNSt15iterator_traitsISI_E10value_typeET2_T3_PNSJ_ISO_E10value_typeET4_T5_PST_SU_PNS1_23onesweep_lookback_stateEbbT6_jjT7_P12ihipStream_tbENKUlT_T0_SI_SN_E_clISD_PfSD_S15_EEDaS11_S12_SI_SN_EUlS11_E_NS1_11comp_targetILNS1_3genE8ELNS1_11target_archE1030ELNS1_3gpuE2ELNS1_3repE0EEENS1_47radix_sort_onesweep_sort_config_static_selectorELNS0_4arch9wavefront6targetE1EEEvSI_
	.globl	_ZN7rocprim17ROCPRIM_400000_NS6detail17trampoline_kernelINS0_14default_configENS1_35radix_sort_onesweep_config_selectorIffEEZZNS1_29radix_sort_onesweep_iterationIS3_Lb0EN6thrust23THRUST_200600_302600_NS6detail15normal_iteratorINS8_10device_ptrIfEEEESD_SD_SD_jNS0_19identity_decomposerENS1_16block_id_wrapperIjLb0EEEEE10hipError_tT1_PNSt15iterator_traitsISI_E10value_typeET2_T3_PNSJ_ISO_E10value_typeET4_T5_PST_SU_PNS1_23onesweep_lookback_stateEbbT6_jjT7_P12ihipStream_tbENKUlT_T0_SI_SN_E_clISD_PfSD_S15_EEDaS11_S12_SI_SN_EUlS11_E_NS1_11comp_targetILNS1_3genE8ELNS1_11target_archE1030ELNS1_3gpuE2ELNS1_3repE0EEENS1_47radix_sort_onesweep_sort_config_static_selectorELNS0_4arch9wavefront6targetE1EEEvSI_
	.p2align	8
	.type	_ZN7rocprim17ROCPRIM_400000_NS6detail17trampoline_kernelINS0_14default_configENS1_35radix_sort_onesweep_config_selectorIffEEZZNS1_29radix_sort_onesweep_iterationIS3_Lb0EN6thrust23THRUST_200600_302600_NS6detail15normal_iteratorINS8_10device_ptrIfEEEESD_SD_SD_jNS0_19identity_decomposerENS1_16block_id_wrapperIjLb0EEEEE10hipError_tT1_PNSt15iterator_traitsISI_E10value_typeET2_T3_PNSJ_ISO_E10value_typeET4_T5_PST_SU_PNS1_23onesweep_lookback_stateEbbT6_jjT7_P12ihipStream_tbENKUlT_T0_SI_SN_E_clISD_PfSD_S15_EEDaS11_S12_SI_SN_EUlS11_E_NS1_11comp_targetILNS1_3genE8ELNS1_11target_archE1030ELNS1_3gpuE2ELNS1_3repE0EEENS1_47radix_sort_onesweep_sort_config_static_selectorELNS0_4arch9wavefront6targetE1EEEvSI_,@function
_ZN7rocprim17ROCPRIM_400000_NS6detail17trampoline_kernelINS0_14default_configENS1_35radix_sort_onesweep_config_selectorIffEEZZNS1_29radix_sort_onesweep_iterationIS3_Lb0EN6thrust23THRUST_200600_302600_NS6detail15normal_iteratorINS8_10device_ptrIfEEEESD_SD_SD_jNS0_19identity_decomposerENS1_16block_id_wrapperIjLb0EEEEE10hipError_tT1_PNSt15iterator_traitsISI_E10value_typeET2_T3_PNSJ_ISO_E10value_typeET4_T5_PST_SU_PNS1_23onesweep_lookback_stateEbbT6_jjT7_P12ihipStream_tbENKUlT_T0_SI_SN_E_clISD_PfSD_S15_EEDaS11_S12_SI_SN_EUlS11_E_NS1_11comp_targetILNS1_3genE8ELNS1_11target_archE1030ELNS1_3gpuE2ELNS1_3repE0EEENS1_47radix_sort_onesweep_sort_config_static_selectorELNS0_4arch9wavefront6targetE1EEEvSI_: ; @_ZN7rocprim17ROCPRIM_400000_NS6detail17trampoline_kernelINS0_14default_configENS1_35radix_sort_onesweep_config_selectorIffEEZZNS1_29radix_sort_onesweep_iterationIS3_Lb0EN6thrust23THRUST_200600_302600_NS6detail15normal_iteratorINS8_10device_ptrIfEEEESD_SD_SD_jNS0_19identity_decomposerENS1_16block_id_wrapperIjLb0EEEEE10hipError_tT1_PNSt15iterator_traitsISI_E10value_typeET2_T3_PNSJ_ISO_E10value_typeET4_T5_PST_SU_PNS1_23onesweep_lookback_stateEbbT6_jjT7_P12ihipStream_tbENKUlT_T0_SI_SN_E_clISD_PfSD_S15_EEDaS11_S12_SI_SN_EUlS11_E_NS1_11comp_targetILNS1_3genE8ELNS1_11target_archE1030ELNS1_3gpuE2ELNS1_3repE0EEENS1_47radix_sort_onesweep_sort_config_static_selectorELNS0_4arch9wavefront6targetE1EEEvSI_
; %bb.0:
	.section	.rodata,"a",@progbits
	.p2align	6, 0x0
	.amdhsa_kernel _ZN7rocprim17ROCPRIM_400000_NS6detail17trampoline_kernelINS0_14default_configENS1_35radix_sort_onesweep_config_selectorIffEEZZNS1_29radix_sort_onesweep_iterationIS3_Lb0EN6thrust23THRUST_200600_302600_NS6detail15normal_iteratorINS8_10device_ptrIfEEEESD_SD_SD_jNS0_19identity_decomposerENS1_16block_id_wrapperIjLb0EEEEE10hipError_tT1_PNSt15iterator_traitsISI_E10value_typeET2_T3_PNSJ_ISO_E10value_typeET4_T5_PST_SU_PNS1_23onesweep_lookback_stateEbbT6_jjT7_P12ihipStream_tbENKUlT_T0_SI_SN_E_clISD_PfSD_S15_EEDaS11_S12_SI_SN_EUlS11_E_NS1_11comp_targetILNS1_3genE8ELNS1_11target_archE1030ELNS1_3gpuE2ELNS1_3repE0EEENS1_47radix_sort_onesweep_sort_config_static_selectorELNS0_4arch9wavefront6targetE1EEEvSI_
		.amdhsa_group_segment_fixed_size 0
		.amdhsa_private_segment_fixed_size 0
		.amdhsa_kernarg_size 88
		.amdhsa_user_sgpr_count 2
		.amdhsa_user_sgpr_dispatch_ptr 0
		.amdhsa_user_sgpr_queue_ptr 0
		.amdhsa_user_sgpr_kernarg_segment_ptr 1
		.amdhsa_user_sgpr_dispatch_id 0
		.amdhsa_user_sgpr_kernarg_preload_length 0
		.amdhsa_user_sgpr_kernarg_preload_offset 0
		.amdhsa_user_sgpr_private_segment_size 0
		.amdhsa_uses_dynamic_stack 0
		.amdhsa_enable_private_segment 0
		.amdhsa_system_sgpr_workgroup_id_x 1
		.amdhsa_system_sgpr_workgroup_id_y 0
		.amdhsa_system_sgpr_workgroup_id_z 0
		.amdhsa_system_sgpr_workgroup_info 0
		.amdhsa_system_vgpr_workitem_id 0
		.amdhsa_next_free_vgpr 1
		.amdhsa_next_free_sgpr 0
		.amdhsa_accum_offset 4
		.amdhsa_reserve_vcc 0
		.amdhsa_float_round_mode_32 0
		.amdhsa_float_round_mode_16_64 0
		.amdhsa_float_denorm_mode_32 3
		.amdhsa_float_denorm_mode_16_64 3
		.amdhsa_dx10_clamp 1
		.amdhsa_ieee_mode 1
		.amdhsa_fp16_overflow 0
		.amdhsa_tg_split 0
		.amdhsa_exception_fp_ieee_invalid_op 0
		.amdhsa_exception_fp_denorm_src 0
		.amdhsa_exception_fp_ieee_div_zero 0
		.amdhsa_exception_fp_ieee_overflow 0
		.amdhsa_exception_fp_ieee_underflow 0
		.amdhsa_exception_fp_ieee_inexact 0
		.amdhsa_exception_int_div_zero 0
	.end_amdhsa_kernel
	.section	.text._ZN7rocprim17ROCPRIM_400000_NS6detail17trampoline_kernelINS0_14default_configENS1_35radix_sort_onesweep_config_selectorIffEEZZNS1_29radix_sort_onesweep_iterationIS3_Lb0EN6thrust23THRUST_200600_302600_NS6detail15normal_iteratorINS8_10device_ptrIfEEEESD_SD_SD_jNS0_19identity_decomposerENS1_16block_id_wrapperIjLb0EEEEE10hipError_tT1_PNSt15iterator_traitsISI_E10value_typeET2_T3_PNSJ_ISO_E10value_typeET4_T5_PST_SU_PNS1_23onesweep_lookback_stateEbbT6_jjT7_P12ihipStream_tbENKUlT_T0_SI_SN_E_clISD_PfSD_S15_EEDaS11_S12_SI_SN_EUlS11_E_NS1_11comp_targetILNS1_3genE8ELNS1_11target_archE1030ELNS1_3gpuE2ELNS1_3repE0EEENS1_47radix_sort_onesweep_sort_config_static_selectorELNS0_4arch9wavefront6targetE1EEEvSI_,"axG",@progbits,_ZN7rocprim17ROCPRIM_400000_NS6detail17trampoline_kernelINS0_14default_configENS1_35radix_sort_onesweep_config_selectorIffEEZZNS1_29radix_sort_onesweep_iterationIS3_Lb0EN6thrust23THRUST_200600_302600_NS6detail15normal_iteratorINS8_10device_ptrIfEEEESD_SD_SD_jNS0_19identity_decomposerENS1_16block_id_wrapperIjLb0EEEEE10hipError_tT1_PNSt15iterator_traitsISI_E10value_typeET2_T3_PNSJ_ISO_E10value_typeET4_T5_PST_SU_PNS1_23onesweep_lookback_stateEbbT6_jjT7_P12ihipStream_tbENKUlT_T0_SI_SN_E_clISD_PfSD_S15_EEDaS11_S12_SI_SN_EUlS11_E_NS1_11comp_targetILNS1_3genE8ELNS1_11target_archE1030ELNS1_3gpuE2ELNS1_3repE0EEENS1_47radix_sort_onesweep_sort_config_static_selectorELNS0_4arch9wavefront6targetE1EEEvSI_,comdat
.Lfunc_end349:
	.size	_ZN7rocprim17ROCPRIM_400000_NS6detail17trampoline_kernelINS0_14default_configENS1_35radix_sort_onesweep_config_selectorIffEEZZNS1_29radix_sort_onesweep_iterationIS3_Lb0EN6thrust23THRUST_200600_302600_NS6detail15normal_iteratorINS8_10device_ptrIfEEEESD_SD_SD_jNS0_19identity_decomposerENS1_16block_id_wrapperIjLb0EEEEE10hipError_tT1_PNSt15iterator_traitsISI_E10value_typeET2_T3_PNSJ_ISO_E10value_typeET4_T5_PST_SU_PNS1_23onesweep_lookback_stateEbbT6_jjT7_P12ihipStream_tbENKUlT_T0_SI_SN_E_clISD_PfSD_S15_EEDaS11_S12_SI_SN_EUlS11_E_NS1_11comp_targetILNS1_3genE8ELNS1_11target_archE1030ELNS1_3gpuE2ELNS1_3repE0EEENS1_47radix_sort_onesweep_sort_config_static_selectorELNS0_4arch9wavefront6targetE1EEEvSI_, .Lfunc_end349-_ZN7rocprim17ROCPRIM_400000_NS6detail17trampoline_kernelINS0_14default_configENS1_35radix_sort_onesweep_config_selectorIffEEZZNS1_29radix_sort_onesweep_iterationIS3_Lb0EN6thrust23THRUST_200600_302600_NS6detail15normal_iteratorINS8_10device_ptrIfEEEESD_SD_SD_jNS0_19identity_decomposerENS1_16block_id_wrapperIjLb0EEEEE10hipError_tT1_PNSt15iterator_traitsISI_E10value_typeET2_T3_PNSJ_ISO_E10value_typeET4_T5_PST_SU_PNS1_23onesweep_lookback_stateEbbT6_jjT7_P12ihipStream_tbENKUlT_T0_SI_SN_E_clISD_PfSD_S15_EEDaS11_S12_SI_SN_EUlS11_E_NS1_11comp_targetILNS1_3genE8ELNS1_11target_archE1030ELNS1_3gpuE2ELNS1_3repE0EEENS1_47radix_sort_onesweep_sort_config_static_selectorELNS0_4arch9wavefront6targetE1EEEvSI_
                                        ; -- End function
	.set _ZN7rocprim17ROCPRIM_400000_NS6detail17trampoline_kernelINS0_14default_configENS1_35radix_sort_onesweep_config_selectorIffEEZZNS1_29radix_sort_onesweep_iterationIS3_Lb0EN6thrust23THRUST_200600_302600_NS6detail15normal_iteratorINS8_10device_ptrIfEEEESD_SD_SD_jNS0_19identity_decomposerENS1_16block_id_wrapperIjLb0EEEEE10hipError_tT1_PNSt15iterator_traitsISI_E10value_typeET2_T3_PNSJ_ISO_E10value_typeET4_T5_PST_SU_PNS1_23onesweep_lookback_stateEbbT6_jjT7_P12ihipStream_tbENKUlT_T0_SI_SN_E_clISD_PfSD_S15_EEDaS11_S12_SI_SN_EUlS11_E_NS1_11comp_targetILNS1_3genE8ELNS1_11target_archE1030ELNS1_3gpuE2ELNS1_3repE0EEENS1_47radix_sort_onesweep_sort_config_static_selectorELNS0_4arch9wavefront6targetE1EEEvSI_.num_vgpr, 0
	.set _ZN7rocprim17ROCPRIM_400000_NS6detail17trampoline_kernelINS0_14default_configENS1_35radix_sort_onesweep_config_selectorIffEEZZNS1_29radix_sort_onesweep_iterationIS3_Lb0EN6thrust23THRUST_200600_302600_NS6detail15normal_iteratorINS8_10device_ptrIfEEEESD_SD_SD_jNS0_19identity_decomposerENS1_16block_id_wrapperIjLb0EEEEE10hipError_tT1_PNSt15iterator_traitsISI_E10value_typeET2_T3_PNSJ_ISO_E10value_typeET4_T5_PST_SU_PNS1_23onesweep_lookback_stateEbbT6_jjT7_P12ihipStream_tbENKUlT_T0_SI_SN_E_clISD_PfSD_S15_EEDaS11_S12_SI_SN_EUlS11_E_NS1_11comp_targetILNS1_3genE8ELNS1_11target_archE1030ELNS1_3gpuE2ELNS1_3repE0EEENS1_47radix_sort_onesweep_sort_config_static_selectorELNS0_4arch9wavefront6targetE1EEEvSI_.num_agpr, 0
	.set _ZN7rocprim17ROCPRIM_400000_NS6detail17trampoline_kernelINS0_14default_configENS1_35radix_sort_onesweep_config_selectorIffEEZZNS1_29radix_sort_onesweep_iterationIS3_Lb0EN6thrust23THRUST_200600_302600_NS6detail15normal_iteratorINS8_10device_ptrIfEEEESD_SD_SD_jNS0_19identity_decomposerENS1_16block_id_wrapperIjLb0EEEEE10hipError_tT1_PNSt15iterator_traitsISI_E10value_typeET2_T3_PNSJ_ISO_E10value_typeET4_T5_PST_SU_PNS1_23onesweep_lookback_stateEbbT6_jjT7_P12ihipStream_tbENKUlT_T0_SI_SN_E_clISD_PfSD_S15_EEDaS11_S12_SI_SN_EUlS11_E_NS1_11comp_targetILNS1_3genE8ELNS1_11target_archE1030ELNS1_3gpuE2ELNS1_3repE0EEENS1_47radix_sort_onesweep_sort_config_static_selectorELNS0_4arch9wavefront6targetE1EEEvSI_.numbered_sgpr, 0
	.set _ZN7rocprim17ROCPRIM_400000_NS6detail17trampoline_kernelINS0_14default_configENS1_35radix_sort_onesweep_config_selectorIffEEZZNS1_29radix_sort_onesweep_iterationIS3_Lb0EN6thrust23THRUST_200600_302600_NS6detail15normal_iteratorINS8_10device_ptrIfEEEESD_SD_SD_jNS0_19identity_decomposerENS1_16block_id_wrapperIjLb0EEEEE10hipError_tT1_PNSt15iterator_traitsISI_E10value_typeET2_T3_PNSJ_ISO_E10value_typeET4_T5_PST_SU_PNS1_23onesweep_lookback_stateEbbT6_jjT7_P12ihipStream_tbENKUlT_T0_SI_SN_E_clISD_PfSD_S15_EEDaS11_S12_SI_SN_EUlS11_E_NS1_11comp_targetILNS1_3genE8ELNS1_11target_archE1030ELNS1_3gpuE2ELNS1_3repE0EEENS1_47radix_sort_onesweep_sort_config_static_selectorELNS0_4arch9wavefront6targetE1EEEvSI_.num_named_barrier, 0
	.set _ZN7rocprim17ROCPRIM_400000_NS6detail17trampoline_kernelINS0_14default_configENS1_35radix_sort_onesweep_config_selectorIffEEZZNS1_29radix_sort_onesweep_iterationIS3_Lb0EN6thrust23THRUST_200600_302600_NS6detail15normal_iteratorINS8_10device_ptrIfEEEESD_SD_SD_jNS0_19identity_decomposerENS1_16block_id_wrapperIjLb0EEEEE10hipError_tT1_PNSt15iterator_traitsISI_E10value_typeET2_T3_PNSJ_ISO_E10value_typeET4_T5_PST_SU_PNS1_23onesweep_lookback_stateEbbT6_jjT7_P12ihipStream_tbENKUlT_T0_SI_SN_E_clISD_PfSD_S15_EEDaS11_S12_SI_SN_EUlS11_E_NS1_11comp_targetILNS1_3genE8ELNS1_11target_archE1030ELNS1_3gpuE2ELNS1_3repE0EEENS1_47radix_sort_onesweep_sort_config_static_selectorELNS0_4arch9wavefront6targetE1EEEvSI_.private_seg_size, 0
	.set _ZN7rocprim17ROCPRIM_400000_NS6detail17trampoline_kernelINS0_14default_configENS1_35radix_sort_onesweep_config_selectorIffEEZZNS1_29radix_sort_onesweep_iterationIS3_Lb0EN6thrust23THRUST_200600_302600_NS6detail15normal_iteratorINS8_10device_ptrIfEEEESD_SD_SD_jNS0_19identity_decomposerENS1_16block_id_wrapperIjLb0EEEEE10hipError_tT1_PNSt15iterator_traitsISI_E10value_typeET2_T3_PNSJ_ISO_E10value_typeET4_T5_PST_SU_PNS1_23onesweep_lookback_stateEbbT6_jjT7_P12ihipStream_tbENKUlT_T0_SI_SN_E_clISD_PfSD_S15_EEDaS11_S12_SI_SN_EUlS11_E_NS1_11comp_targetILNS1_3genE8ELNS1_11target_archE1030ELNS1_3gpuE2ELNS1_3repE0EEENS1_47radix_sort_onesweep_sort_config_static_selectorELNS0_4arch9wavefront6targetE1EEEvSI_.uses_vcc, 0
	.set _ZN7rocprim17ROCPRIM_400000_NS6detail17trampoline_kernelINS0_14default_configENS1_35radix_sort_onesweep_config_selectorIffEEZZNS1_29radix_sort_onesweep_iterationIS3_Lb0EN6thrust23THRUST_200600_302600_NS6detail15normal_iteratorINS8_10device_ptrIfEEEESD_SD_SD_jNS0_19identity_decomposerENS1_16block_id_wrapperIjLb0EEEEE10hipError_tT1_PNSt15iterator_traitsISI_E10value_typeET2_T3_PNSJ_ISO_E10value_typeET4_T5_PST_SU_PNS1_23onesweep_lookback_stateEbbT6_jjT7_P12ihipStream_tbENKUlT_T0_SI_SN_E_clISD_PfSD_S15_EEDaS11_S12_SI_SN_EUlS11_E_NS1_11comp_targetILNS1_3genE8ELNS1_11target_archE1030ELNS1_3gpuE2ELNS1_3repE0EEENS1_47radix_sort_onesweep_sort_config_static_selectorELNS0_4arch9wavefront6targetE1EEEvSI_.uses_flat_scratch, 0
	.set _ZN7rocprim17ROCPRIM_400000_NS6detail17trampoline_kernelINS0_14default_configENS1_35radix_sort_onesweep_config_selectorIffEEZZNS1_29radix_sort_onesweep_iterationIS3_Lb0EN6thrust23THRUST_200600_302600_NS6detail15normal_iteratorINS8_10device_ptrIfEEEESD_SD_SD_jNS0_19identity_decomposerENS1_16block_id_wrapperIjLb0EEEEE10hipError_tT1_PNSt15iterator_traitsISI_E10value_typeET2_T3_PNSJ_ISO_E10value_typeET4_T5_PST_SU_PNS1_23onesweep_lookback_stateEbbT6_jjT7_P12ihipStream_tbENKUlT_T0_SI_SN_E_clISD_PfSD_S15_EEDaS11_S12_SI_SN_EUlS11_E_NS1_11comp_targetILNS1_3genE8ELNS1_11target_archE1030ELNS1_3gpuE2ELNS1_3repE0EEENS1_47radix_sort_onesweep_sort_config_static_selectorELNS0_4arch9wavefront6targetE1EEEvSI_.has_dyn_sized_stack, 0
	.set _ZN7rocprim17ROCPRIM_400000_NS6detail17trampoline_kernelINS0_14default_configENS1_35radix_sort_onesweep_config_selectorIffEEZZNS1_29radix_sort_onesweep_iterationIS3_Lb0EN6thrust23THRUST_200600_302600_NS6detail15normal_iteratorINS8_10device_ptrIfEEEESD_SD_SD_jNS0_19identity_decomposerENS1_16block_id_wrapperIjLb0EEEEE10hipError_tT1_PNSt15iterator_traitsISI_E10value_typeET2_T3_PNSJ_ISO_E10value_typeET4_T5_PST_SU_PNS1_23onesweep_lookback_stateEbbT6_jjT7_P12ihipStream_tbENKUlT_T0_SI_SN_E_clISD_PfSD_S15_EEDaS11_S12_SI_SN_EUlS11_E_NS1_11comp_targetILNS1_3genE8ELNS1_11target_archE1030ELNS1_3gpuE2ELNS1_3repE0EEENS1_47radix_sort_onesweep_sort_config_static_selectorELNS0_4arch9wavefront6targetE1EEEvSI_.has_recursion, 0
	.set _ZN7rocprim17ROCPRIM_400000_NS6detail17trampoline_kernelINS0_14default_configENS1_35radix_sort_onesweep_config_selectorIffEEZZNS1_29radix_sort_onesweep_iterationIS3_Lb0EN6thrust23THRUST_200600_302600_NS6detail15normal_iteratorINS8_10device_ptrIfEEEESD_SD_SD_jNS0_19identity_decomposerENS1_16block_id_wrapperIjLb0EEEEE10hipError_tT1_PNSt15iterator_traitsISI_E10value_typeET2_T3_PNSJ_ISO_E10value_typeET4_T5_PST_SU_PNS1_23onesweep_lookback_stateEbbT6_jjT7_P12ihipStream_tbENKUlT_T0_SI_SN_E_clISD_PfSD_S15_EEDaS11_S12_SI_SN_EUlS11_E_NS1_11comp_targetILNS1_3genE8ELNS1_11target_archE1030ELNS1_3gpuE2ELNS1_3repE0EEENS1_47radix_sort_onesweep_sort_config_static_selectorELNS0_4arch9wavefront6targetE1EEEvSI_.has_indirect_call, 0
	.section	.AMDGPU.csdata,"",@progbits
; Kernel info:
; codeLenInByte = 0
; TotalNumSgprs: 6
; NumVgprs: 0
; NumAgprs: 0
; TotalNumVgprs: 0
; ScratchSize: 0
; MemoryBound: 0
; FloatMode: 240
; IeeeMode: 1
; LDSByteSize: 0 bytes/workgroup (compile time only)
; SGPRBlocks: 0
; VGPRBlocks: 0
; NumSGPRsForWavesPerEU: 6
; NumVGPRsForWavesPerEU: 1
; AccumOffset: 4
; Occupancy: 8
; WaveLimiterHint : 0
; COMPUTE_PGM_RSRC2:SCRATCH_EN: 0
; COMPUTE_PGM_RSRC2:USER_SGPR: 2
; COMPUTE_PGM_RSRC2:TRAP_HANDLER: 0
; COMPUTE_PGM_RSRC2:TGID_X_EN: 1
; COMPUTE_PGM_RSRC2:TGID_Y_EN: 0
; COMPUTE_PGM_RSRC2:TGID_Z_EN: 0
; COMPUTE_PGM_RSRC2:TIDIG_COMP_CNT: 0
; COMPUTE_PGM_RSRC3_GFX90A:ACCUM_OFFSET: 0
; COMPUTE_PGM_RSRC3_GFX90A:TG_SPLIT: 0
	.section	.text._ZN7rocprim17ROCPRIM_400000_NS6detail17trampoline_kernelINS0_14default_configENS1_35radix_sort_onesweep_config_selectorIffEEZZNS1_29radix_sort_onesweep_iterationIS3_Lb0EN6thrust23THRUST_200600_302600_NS6detail15normal_iteratorINS8_10device_ptrIfEEEESD_SD_SD_jNS0_19identity_decomposerENS1_16block_id_wrapperIjLb0EEEEE10hipError_tT1_PNSt15iterator_traitsISI_E10value_typeET2_T3_PNSJ_ISO_E10value_typeET4_T5_PST_SU_PNS1_23onesweep_lookback_stateEbbT6_jjT7_P12ihipStream_tbENKUlT_T0_SI_SN_E_clIPfSD_S15_SD_EEDaS11_S12_SI_SN_EUlS11_E_NS1_11comp_targetILNS1_3genE0ELNS1_11target_archE4294967295ELNS1_3gpuE0ELNS1_3repE0EEENS1_47radix_sort_onesweep_sort_config_static_selectorELNS0_4arch9wavefront6targetE1EEEvSI_,"axG",@progbits,_ZN7rocprim17ROCPRIM_400000_NS6detail17trampoline_kernelINS0_14default_configENS1_35radix_sort_onesweep_config_selectorIffEEZZNS1_29radix_sort_onesweep_iterationIS3_Lb0EN6thrust23THRUST_200600_302600_NS6detail15normal_iteratorINS8_10device_ptrIfEEEESD_SD_SD_jNS0_19identity_decomposerENS1_16block_id_wrapperIjLb0EEEEE10hipError_tT1_PNSt15iterator_traitsISI_E10value_typeET2_T3_PNSJ_ISO_E10value_typeET4_T5_PST_SU_PNS1_23onesweep_lookback_stateEbbT6_jjT7_P12ihipStream_tbENKUlT_T0_SI_SN_E_clIPfSD_S15_SD_EEDaS11_S12_SI_SN_EUlS11_E_NS1_11comp_targetILNS1_3genE0ELNS1_11target_archE4294967295ELNS1_3gpuE0ELNS1_3repE0EEENS1_47radix_sort_onesweep_sort_config_static_selectorELNS0_4arch9wavefront6targetE1EEEvSI_,comdat
	.protected	_ZN7rocprim17ROCPRIM_400000_NS6detail17trampoline_kernelINS0_14default_configENS1_35radix_sort_onesweep_config_selectorIffEEZZNS1_29radix_sort_onesweep_iterationIS3_Lb0EN6thrust23THRUST_200600_302600_NS6detail15normal_iteratorINS8_10device_ptrIfEEEESD_SD_SD_jNS0_19identity_decomposerENS1_16block_id_wrapperIjLb0EEEEE10hipError_tT1_PNSt15iterator_traitsISI_E10value_typeET2_T3_PNSJ_ISO_E10value_typeET4_T5_PST_SU_PNS1_23onesweep_lookback_stateEbbT6_jjT7_P12ihipStream_tbENKUlT_T0_SI_SN_E_clIPfSD_S15_SD_EEDaS11_S12_SI_SN_EUlS11_E_NS1_11comp_targetILNS1_3genE0ELNS1_11target_archE4294967295ELNS1_3gpuE0ELNS1_3repE0EEENS1_47radix_sort_onesweep_sort_config_static_selectorELNS0_4arch9wavefront6targetE1EEEvSI_ ; -- Begin function _ZN7rocprim17ROCPRIM_400000_NS6detail17trampoline_kernelINS0_14default_configENS1_35radix_sort_onesweep_config_selectorIffEEZZNS1_29radix_sort_onesweep_iterationIS3_Lb0EN6thrust23THRUST_200600_302600_NS6detail15normal_iteratorINS8_10device_ptrIfEEEESD_SD_SD_jNS0_19identity_decomposerENS1_16block_id_wrapperIjLb0EEEEE10hipError_tT1_PNSt15iterator_traitsISI_E10value_typeET2_T3_PNSJ_ISO_E10value_typeET4_T5_PST_SU_PNS1_23onesweep_lookback_stateEbbT6_jjT7_P12ihipStream_tbENKUlT_T0_SI_SN_E_clIPfSD_S15_SD_EEDaS11_S12_SI_SN_EUlS11_E_NS1_11comp_targetILNS1_3genE0ELNS1_11target_archE4294967295ELNS1_3gpuE0ELNS1_3repE0EEENS1_47radix_sort_onesweep_sort_config_static_selectorELNS0_4arch9wavefront6targetE1EEEvSI_
	.globl	_ZN7rocprim17ROCPRIM_400000_NS6detail17trampoline_kernelINS0_14default_configENS1_35radix_sort_onesweep_config_selectorIffEEZZNS1_29radix_sort_onesweep_iterationIS3_Lb0EN6thrust23THRUST_200600_302600_NS6detail15normal_iteratorINS8_10device_ptrIfEEEESD_SD_SD_jNS0_19identity_decomposerENS1_16block_id_wrapperIjLb0EEEEE10hipError_tT1_PNSt15iterator_traitsISI_E10value_typeET2_T3_PNSJ_ISO_E10value_typeET4_T5_PST_SU_PNS1_23onesweep_lookback_stateEbbT6_jjT7_P12ihipStream_tbENKUlT_T0_SI_SN_E_clIPfSD_S15_SD_EEDaS11_S12_SI_SN_EUlS11_E_NS1_11comp_targetILNS1_3genE0ELNS1_11target_archE4294967295ELNS1_3gpuE0ELNS1_3repE0EEENS1_47radix_sort_onesweep_sort_config_static_selectorELNS0_4arch9wavefront6targetE1EEEvSI_
	.p2align	8
	.type	_ZN7rocprim17ROCPRIM_400000_NS6detail17trampoline_kernelINS0_14default_configENS1_35radix_sort_onesweep_config_selectorIffEEZZNS1_29radix_sort_onesweep_iterationIS3_Lb0EN6thrust23THRUST_200600_302600_NS6detail15normal_iteratorINS8_10device_ptrIfEEEESD_SD_SD_jNS0_19identity_decomposerENS1_16block_id_wrapperIjLb0EEEEE10hipError_tT1_PNSt15iterator_traitsISI_E10value_typeET2_T3_PNSJ_ISO_E10value_typeET4_T5_PST_SU_PNS1_23onesweep_lookback_stateEbbT6_jjT7_P12ihipStream_tbENKUlT_T0_SI_SN_E_clIPfSD_S15_SD_EEDaS11_S12_SI_SN_EUlS11_E_NS1_11comp_targetILNS1_3genE0ELNS1_11target_archE4294967295ELNS1_3gpuE0ELNS1_3repE0EEENS1_47radix_sort_onesweep_sort_config_static_selectorELNS0_4arch9wavefront6targetE1EEEvSI_,@function
_ZN7rocprim17ROCPRIM_400000_NS6detail17trampoline_kernelINS0_14default_configENS1_35radix_sort_onesweep_config_selectorIffEEZZNS1_29radix_sort_onesweep_iterationIS3_Lb0EN6thrust23THRUST_200600_302600_NS6detail15normal_iteratorINS8_10device_ptrIfEEEESD_SD_SD_jNS0_19identity_decomposerENS1_16block_id_wrapperIjLb0EEEEE10hipError_tT1_PNSt15iterator_traitsISI_E10value_typeET2_T3_PNSJ_ISO_E10value_typeET4_T5_PST_SU_PNS1_23onesweep_lookback_stateEbbT6_jjT7_P12ihipStream_tbENKUlT_T0_SI_SN_E_clIPfSD_S15_SD_EEDaS11_S12_SI_SN_EUlS11_E_NS1_11comp_targetILNS1_3genE0ELNS1_11target_archE4294967295ELNS1_3gpuE0ELNS1_3repE0EEENS1_47radix_sort_onesweep_sort_config_static_selectorELNS0_4arch9wavefront6targetE1EEEvSI_: ; @_ZN7rocprim17ROCPRIM_400000_NS6detail17trampoline_kernelINS0_14default_configENS1_35radix_sort_onesweep_config_selectorIffEEZZNS1_29radix_sort_onesweep_iterationIS3_Lb0EN6thrust23THRUST_200600_302600_NS6detail15normal_iteratorINS8_10device_ptrIfEEEESD_SD_SD_jNS0_19identity_decomposerENS1_16block_id_wrapperIjLb0EEEEE10hipError_tT1_PNSt15iterator_traitsISI_E10value_typeET2_T3_PNSJ_ISO_E10value_typeET4_T5_PST_SU_PNS1_23onesweep_lookback_stateEbbT6_jjT7_P12ihipStream_tbENKUlT_T0_SI_SN_E_clIPfSD_S15_SD_EEDaS11_S12_SI_SN_EUlS11_E_NS1_11comp_targetILNS1_3genE0ELNS1_11target_archE4294967295ELNS1_3gpuE0ELNS1_3repE0EEENS1_47radix_sort_onesweep_sort_config_static_selectorELNS0_4arch9wavefront6targetE1EEEvSI_
; %bb.0:
	.section	.rodata,"a",@progbits
	.p2align	6, 0x0
	.amdhsa_kernel _ZN7rocprim17ROCPRIM_400000_NS6detail17trampoline_kernelINS0_14default_configENS1_35radix_sort_onesweep_config_selectorIffEEZZNS1_29radix_sort_onesweep_iterationIS3_Lb0EN6thrust23THRUST_200600_302600_NS6detail15normal_iteratorINS8_10device_ptrIfEEEESD_SD_SD_jNS0_19identity_decomposerENS1_16block_id_wrapperIjLb0EEEEE10hipError_tT1_PNSt15iterator_traitsISI_E10value_typeET2_T3_PNSJ_ISO_E10value_typeET4_T5_PST_SU_PNS1_23onesweep_lookback_stateEbbT6_jjT7_P12ihipStream_tbENKUlT_T0_SI_SN_E_clIPfSD_S15_SD_EEDaS11_S12_SI_SN_EUlS11_E_NS1_11comp_targetILNS1_3genE0ELNS1_11target_archE4294967295ELNS1_3gpuE0ELNS1_3repE0EEENS1_47radix_sort_onesweep_sort_config_static_selectorELNS0_4arch9wavefront6targetE1EEEvSI_
		.amdhsa_group_segment_fixed_size 0
		.amdhsa_private_segment_fixed_size 0
		.amdhsa_kernarg_size 88
		.amdhsa_user_sgpr_count 2
		.amdhsa_user_sgpr_dispatch_ptr 0
		.amdhsa_user_sgpr_queue_ptr 0
		.amdhsa_user_sgpr_kernarg_segment_ptr 1
		.amdhsa_user_sgpr_dispatch_id 0
		.amdhsa_user_sgpr_kernarg_preload_length 0
		.amdhsa_user_sgpr_kernarg_preload_offset 0
		.amdhsa_user_sgpr_private_segment_size 0
		.amdhsa_uses_dynamic_stack 0
		.amdhsa_enable_private_segment 0
		.amdhsa_system_sgpr_workgroup_id_x 1
		.amdhsa_system_sgpr_workgroup_id_y 0
		.amdhsa_system_sgpr_workgroup_id_z 0
		.amdhsa_system_sgpr_workgroup_info 0
		.amdhsa_system_vgpr_workitem_id 0
		.amdhsa_next_free_vgpr 1
		.amdhsa_next_free_sgpr 0
		.amdhsa_accum_offset 4
		.amdhsa_reserve_vcc 0
		.amdhsa_float_round_mode_32 0
		.amdhsa_float_round_mode_16_64 0
		.amdhsa_float_denorm_mode_32 3
		.amdhsa_float_denorm_mode_16_64 3
		.amdhsa_dx10_clamp 1
		.amdhsa_ieee_mode 1
		.amdhsa_fp16_overflow 0
		.amdhsa_tg_split 0
		.amdhsa_exception_fp_ieee_invalid_op 0
		.amdhsa_exception_fp_denorm_src 0
		.amdhsa_exception_fp_ieee_div_zero 0
		.amdhsa_exception_fp_ieee_overflow 0
		.amdhsa_exception_fp_ieee_underflow 0
		.amdhsa_exception_fp_ieee_inexact 0
		.amdhsa_exception_int_div_zero 0
	.end_amdhsa_kernel
	.section	.text._ZN7rocprim17ROCPRIM_400000_NS6detail17trampoline_kernelINS0_14default_configENS1_35radix_sort_onesweep_config_selectorIffEEZZNS1_29radix_sort_onesweep_iterationIS3_Lb0EN6thrust23THRUST_200600_302600_NS6detail15normal_iteratorINS8_10device_ptrIfEEEESD_SD_SD_jNS0_19identity_decomposerENS1_16block_id_wrapperIjLb0EEEEE10hipError_tT1_PNSt15iterator_traitsISI_E10value_typeET2_T3_PNSJ_ISO_E10value_typeET4_T5_PST_SU_PNS1_23onesweep_lookback_stateEbbT6_jjT7_P12ihipStream_tbENKUlT_T0_SI_SN_E_clIPfSD_S15_SD_EEDaS11_S12_SI_SN_EUlS11_E_NS1_11comp_targetILNS1_3genE0ELNS1_11target_archE4294967295ELNS1_3gpuE0ELNS1_3repE0EEENS1_47radix_sort_onesweep_sort_config_static_selectorELNS0_4arch9wavefront6targetE1EEEvSI_,"axG",@progbits,_ZN7rocprim17ROCPRIM_400000_NS6detail17trampoline_kernelINS0_14default_configENS1_35radix_sort_onesweep_config_selectorIffEEZZNS1_29radix_sort_onesweep_iterationIS3_Lb0EN6thrust23THRUST_200600_302600_NS6detail15normal_iteratorINS8_10device_ptrIfEEEESD_SD_SD_jNS0_19identity_decomposerENS1_16block_id_wrapperIjLb0EEEEE10hipError_tT1_PNSt15iterator_traitsISI_E10value_typeET2_T3_PNSJ_ISO_E10value_typeET4_T5_PST_SU_PNS1_23onesweep_lookback_stateEbbT6_jjT7_P12ihipStream_tbENKUlT_T0_SI_SN_E_clIPfSD_S15_SD_EEDaS11_S12_SI_SN_EUlS11_E_NS1_11comp_targetILNS1_3genE0ELNS1_11target_archE4294967295ELNS1_3gpuE0ELNS1_3repE0EEENS1_47radix_sort_onesweep_sort_config_static_selectorELNS0_4arch9wavefront6targetE1EEEvSI_,comdat
.Lfunc_end350:
	.size	_ZN7rocprim17ROCPRIM_400000_NS6detail17trampoline_kernelINS0_14default_configENS1_35radix_sort_onesweep_config_selectorIffEEZZNS1_29radix_sort_onesweep_iterationIS3_Lb0EN6thrust23THRUST_200600_302600_NS6detail15normal_iteratorINS8_10device_ptrIfEEEESD_SD_SD_jNS0_19identity_decomposerENS1_16block_id_wrapperIjLb0EEEEE10hipError_tT1_PNSt15iterator_traitsISI_E10value_typeET2_T3_PNSJ_ISO_E10value_typeET4_T5_PST_SU_PNS1_23onesweep_lookback_stateEbbT6_jjT7_P12ihipStream_tbENKUlT_T0_SI_SN_E_clIPfSD_S15_SD_EEDaS11_S12_SI_SN_EUlS11_E_NS1_11comp_targetILNS1_3genE0ELNS1_11target_archE4294967295ELNS1_3gpuE0ELNS1_3repE0EEENS1_47radix_sort_onesweep_sort_config_static_selectorELNS0_4arch9wavefront6targetE1EEEvSI_, .Lfunc_end350-_ZN7rocprim17ROCPRIM_400000_NS6detail17trampoline_kernelINS0_14default_configENS1_35radix_sort_onesweep_config_selectorIffEEZZNS1_29radix_sort_onesweep_iterationIS3_Lb0EN6thrust23THRUST_200600_302600_NS6detail15normal_iteratorINS8_10device_ptrIfEEEESD_SD_SD_jNS0_19identity_decomposerENS1_16block_id_wrapperIjLb0EEEEE10hipError_tT1_PNSt15iterator_traitsISI_E10value_typeET2_T3_PNSJ_ISO_E10value_typeET4_T5_PST_SU_PNS1_23onesweep_lookback_stateEbbT6_jjT7_P12ihipStream_tbENKUlT_T0_SI_SN_E_clIPfSD_S15_SD_EEDaS11_S12_SI_SN_EUlS11_E_NS1_11comp_targetILNS1_3genE0ELNS1_11target_archE4294967295ELNS1_3gpuE0ELNS1_3repE0EEENS1_47radix_sort_onesweep_sort_config_static_selectorELNS0_4arch9wavefront6targetE1EEEvSI_
                                        ; -- End function
	.set _ZN7rocprim17ROCPRIM_400000_NS6detail17trampoline_kernelINS0_14default_configENS1_35radix_sort_onesweep_config_selectorIffEEZZNS1_29radix_sort_onesweep_iterationIS3_Lb0EN6thrust23THRUST_200600_302600_NS6detail15normal_iteratorINS8_10device_ptrIfEEEESD_SD_SD_jNS0_19identity_decomposerENS1_16block_id_wrapperIjLb0EEEEE10hipError_tT1_PNSt15iterator_traitsISI_E10value_typeET2_T3_PNSJ_ISO_E10value_typeET4_T5_PST_SU_PNS1_23onesweep_lookback_stateEbbT6_jjT7_P12ihipStream_tbENKUlT_T0_SI_SN_E_clIPfSD_S15_SD_EEDaS11_S12_SI_SN_EUlS11_E_NS1_11comp_targetILNS1_3genE0ELNS1_11target_archE4294967295ELNS1_3gpuE0ELNS1_3repE0EEENS1_47radix_sort_onesweep_sort_config_static_selectorELNS0_4arch9wavefront6targetE1EEEvSI_.num_vgpr, 0
	.set _ZN7rocprim17ROCPRIM_400000_NS6detail17trampoline_kernelINS0_14default_configENS1_35radix_sort_onesweep_config_selectorIffEEZZNS1_29radix_sort_onesweep_iterationIS3_Lb0EN6thrust23THRUST_200600_302600_NS6detail15normal_iteratorINS8_10device_ptrIfEEEESD_SD_SD_jNS0_19identity_decomposerENS1_16block_id_wrapperIjLb0EEEEE10hipError_tT1_PNSt15iterator_traitsISI_E10value_typeET2_T3_PNSJ_ISO_E10value_typeET4_T5_PST_SU_PNS1_23onesweep_lookback_stateEbbT6_jjT7_P12ihipStream_tbENKUlT_T0_SI_SN_E_clIPfSD_S15_SD_EEDaS11_S12_SI_SN_EUlS11_E_NS1_11comp_targetILNS1_3genE0ELNS1_11target_archE4294967295ELNS1_3gpuE0ELNS1_3repE0EEENS1_47radix_sort_onesweep_sort_config_static_selectorELNS0_4arch9wavefront6targetE1EEEvSI_.num_agpr, 0
	.set _ZN7rocprim17ROCPRIM_400000_NS6detail17trampoline_kernelINS0_14default_configENS1_35radix_sort_onesweep_config_selectorIffEEZZNS1_29radix_sort_onesweep_iterationIS3_Lb0EN6thrust23THRUST_200600_302600_NS6detail15normal_iteratorINS8_10device_ptrIfEEEESD_SD_SD_jNS0_19identity_decomposerENS1_16block_id_wrapperIjLb0EEEEE10hipError_tT1_PNSt15iterator_traitsISI_E10value_typeET2_T3_PNSJ_ISO_E10value_typeET4_T5_PST_SU_PNS1_23onesweep_lookback_stateEbbT6_jjT7_P12ihipStream_tbENKUlT_T0_SI_SN_E_clIPfSD_S15_SD_EEDaS11_S12_SI_SN_EUlS11_E_NS1_11comp_targetILNS1_3genE0ELNS1_11target_archE4294967295ELNS1_3gpuE0ELNS1_3repE0EEENS1_47radix_sort_onesweep_sort_config_static_selectorELNS0_4arch9wavefront6targetE1EEEvSI_.numbered_sgpr, 0
	.set _ZN7rocprim17ROCPRIM_400000_NS6detail17trampoline_kernelINS0_14default_configENS1_35radix_sort_onesweep_config_selectorIffEEZZNS1_29radix_sort_onesweep_iterationIS3_Lb0EN6thrust23THRUST_200600_302600_NS6detail15normal_iteratorINS8_10device_ptrIfEEEESD_SD_SD_jNS0_19identity_decomposerENS1_16block_id_wrapperIjLb0EEEEE10hipError_tT1_PNSt15iterator_traitsISI_E10value_typeET2_T3_PNSJ_ISO_E10value_typeET4_T5_PST_SU_PNS1_23onesweep_lookback_stateEbbT6_jjT7_P12ihipStream_tbENKUlT_T0_SI_SN_E_clIPfSD_S15_SD_EEDaS11_S12_SI_SN_EUlS11_E_NS1_11comp_targetILNS1_3genE0ELNS1_11target_archE4294967295ELNS1_3gpuE0ELNS1_3repE0EEENS1_47radix_sort_onesweep_sort_config_static_selectorELNS0_4arch9wavefront6targetE1EEEvSI_.num_named_barrier, 0
	.set _ZN7rocprim17ROCPRIM_400000_NS6detail17trampoline_kernelINS0_14default_configENS1_35radix_sort_onesweep_config_selectorIffEEZZNS1_29radix_sort_onesweep_iterationIS3_Lb0EN6thrust23THRUST_200600_302600_NS6detail15normal_iteratorINS8_10device_ptrIfEEEESD_SD_SD_jNS0_19identity_decomposerENS1_16block_id_wrapperIjLb0EEEEE10hipError_tT1_PNSt15iterator_traitsISI_E10value_typeET2_T3_PNSJ_ISO_E10value_typeET4_T5_PST_SU_PNS1_23onesweep_lookback_stateEbbT6_jjT7_P12ihipStream_tbENKUlT_T0_SI_SN_E_clIPfSD_S15_SD_EEDaS11_S12_SI_SN_EUlS11_E_NS1_11comp_targetILNS1_3genE0ELNS1_11target_archE4294967295ELNS1_3gpuE0ELNS1_3repE0EEENS1_47radix_sort_onesweep_sort_config_static_selectorELNS0_4arch9wavefront6targetE1EEEvSI_.private_seg_size, 0
	.set _ZN7rocprim17ROCPRIM_400000_NS6detail17trampoline_kernelINS0_14default_configENS1_35radix_sort_onesweep_config_selectorIffEEZZNS1_29radix_sort_onesweep_iterationIS3_Lb0EN6thrust23THRUST_200600_302600_NS6detail15normal_iteratorINS8_10device_ptrIfEEEESD_SD_SD_jNS0_19identity_decomposerENS1_16block_id_wrapperIjLb0EEEEE10hipError_tT1_PNSt15iterator_traitsISI_E10value_typeET2_T3_PNSJ_ISO_E10value_typeET4_T5_PST_SU_PNS1_23onesweep_lookback_stateEbbT6_jjT7_P12ihipStream_tbENKUlT_T0_SI_SN_E_clIPfSD_S15_SD_EEDaS11_S12_SI_SN_EUlS11_E_NS1_11comp_targetILNS1_3genE0ELNS1_11target_archE4294967295ELNS1_3gpuE0ELNS1_3repE0EEENS1_47radix_sort_onesweep_sort_config_static_selectorELNS0_4arch9wavefront6targetE1EEEvSI_.uses_vcc, 0
	.set _ZN7rocprim17ROCPRIM_400000_NS6detail17trampoline_kernelINS0_14default_configENS1_35radix_sort_onesweep_config_selectorIffEEZZNS1_29radix_sort_onesweep_iterationIS3_Lb0EN6thrust23THRUST_200600_302600_NS6detail15normal_iteratorINS8_10device_ptrIfEEEESD_SD_SD_jNS0_19identity_decomposerENS1_16block_id_wrapperIjLb0EEEEE10hipError_tT1_PNSt15iterator_traitsISI_E10value_typeET2_T3_PNSJ_ISO_E10value_typeET4_T5_PST_SU_PNS1_23onesweep_lookback_stateEbbT6_jjT7_P12ihipStream_tbENKUlT_T0_SI_SN_E_clIPfSD_S15_SD_EEDaS11_S12_SI_SN_EUlS11_E_NS1_11comp_targetILNS1_3genE0ELNS1_11target_archE4294967295ELNS1_3gpuE0ELNS1_3repE0EEENS1_47radix_sort_onesweep_sort_config_static_selectorELNS0_4arch9wavefront6targetE1EEEvSI_.uses_flat_scratch, 0
	.set _ZN7rocprim17ROCPRIM_400000_NS6detail17trampoline_kernelINS0_14default_configENS1_35radix_sort_onesweep_config_selectorIffEEZZNS1_29radix_sort_onesweep_iterationIS3_Lb0EN6thrust23THRUST_200600_302600_NS6detail15normal_iteratorINS8_10device_ptrIfEEEESD_SD_SD_jNS0_19identity_decomposerENS1_16block_id_wrapperIjLb0EEEEE10hipError_tT1_PNSt15iterator_traitsISI_E10value_typeET2_T3_PNSJ_ISO_E10value_typeET4_T5_PST_SU_PNS1_23onesweep_lookback_stateEbbT6_jjT7_P12ihipStream_tbENKUlT_T0_SI_SN_E_clIPfSD_S15_SD_EEDaS11_S12_SI_SN_EUlS11_E_NS1_11comp_targetILNS1_3genE0ELNS1_11target_archE4294967295ELNS1_3gpuE0ELNS1_3repE0EEENS1_47radix_sort_onesweep_sort_config_static_selectorELNS0_4arch9wavefront6targetE1EEEvSI_.has_dyn_sized_stack, 0
	.set _ZN7rocprim17ROCPRIM_400000_NS6detail17trampoline_kernelINS0_14default_configENS1_35radix_sort_onesweep_config_selectorIffEEZZNS1_29radix_sort_onesweep_iterationIS3_Lb0EN6thrust23THRUST_200600_302600_NS6detail15normal_iteratorINS8_10device_ptrIfEEEESD_SD_SD_jNS0_19identity_decomposerENS1_16block_id_wrapperIjLb0EEEEE10hipError_tT1_PNSt15iterator_traitsISI_E10value_typeET2_T3_PNSJ_ISO_E10value_typeET4_T5_PST_SU_PNS1_23onesweep_lookback_stateEbbT6_jjT7_P12ihipStream_tbENKUlT_T0_SI_SN_E_clIPfSD_S15_SD_EEDaS11_S12_SI_SN_EUlS11_E_NS1_11comp_targetILNS1_3genE0ELNS1_11target_archE4294967295ELNS1_3gpuE0ELNS1_3repE0EEENS1_47radix_sort_onesweep_sort_config_static_selectorELNS0_4arch9wavefront6targetE1EEEvSI_.has_recursion, 0
	.set _ZN7rocprim17ROCPRIM_400000_NS6detail17trampoline_kernelINS0_14default_configENS1_35radix_sort_onesweep_config_selectorIffEEZZNS1_29radix_sort_onesweep_iterationIS3_Lb0EN6thrust23THRUST_200600_302600_NS6detail15normal_iteratorINS8_10device_ptrIfEEEESD_SD_SD_jNS0_19identity_decomposerENS1_16block_id_wrapperIjLb0EEEEE10hipError_tT1_PNSt15iterator_traitsISI_E10value_typeET2_T3_PNSJ_ISO_E10value_typeET4_T5_PST_SU_PNS1_23onesweep_lookback_stateEbbT6_jjT7_P12ihipStream_tbENKUlT_T0_SI_SN_E_clIPfSD_S15_SD_EEDaS11_S12_SI_SN_EUlS11_E_NS1_11comp_targetILNS1_3genE0ELNS1_11target_archE4294967295ELNS1_3gpuE0ELNS1_3repE0EEENS1_47radix_sort_onesweep_sort_config_static_selectorELNS0_4arch9wavefront6targetE1EEEvSI_.has_indirect_call, 0
	.section	.AMDGPU.csdata,"",@progbits
; Kernel info:
; codeLenInByte = 0
; TotalNumSgprs: 6
; NumVgprs: 0
; NumAgprs: 0
; TotalNumVgprs: 0
; ScratchSize: 0
; MemoryBound: 0
; FloatMode: 240
; IeeeMode: 1
; LDSByteSize: 0 bytes/workgroup (compile time only)
; SGPRBlocks: 0
; VGPRBlocks: 0
; NumSGPRsForWavesPerEU: 6
; NumVGPRsForWavesPerEU: 1
; AccumOffset: 4
; Occupancy: 8
; WaveLimiterHint : 0
; COMPUTE_PGM_RSRC2:SCRATCH_EN: 0
; COMPUTE_PGM_RSRC2:USER_SGPR: 2
; COMPUTE_PGM_RSRC2:TRAP_HANDLER: 0
; COMPUTE_PGM_RSRC2:TGID_X_EN: 1
; COMPUTE_PGM_RSRC2:TGID_Y_EN: 0
; COMPUTE_PGM_RSRC2:TGID_Z_EN: 0
; COMPUTE_PGM_RSRC2:TIDIG_COMP_CNT: 0
; COMPUTE_PGM_RSRC3_GFX90A:ACCUM_OFFSET: 0
; COMPUTE_PGM_RSRC3_GFX90A:TG_SPLIT: 0
	.section	.text._ZN7rocprim17ROCPRIM_400000_NS6detail17trampoline_kernelINS0_14default_configENS1_35radix_sort_onesweep_config_selectorIffEEZZNS1_29radix_sort_onesweep_iterationIS3_Lb0EN6thrust23THRUST_200600_302600_NS6detail15normal_iteratorINS8_10device_ptrIfEEEESD_SD_SD_jNS0_19identity_decomposerENS1_16block_id_wrapperIjLb0EEEEE10hipError_tT1_PNSt15iterator_traitsISI_E10value_typeET2_T3_PNSJ_ISO_E10value_typeET4_T5_PST_SU_PNS1_23onesweep_lookback_stateEbbT6_jjT7_P12ihipStream_tbENKUlT_T0_SI_SN_E_clIPfSD_S15_SD_EEDaS11_S12_SI_SN_EUlS11_E_NS1_11comp_targetILNS1_3genE6ELNS1_11target_archE950ELNS1_3gpuE13ELNS1_3repE0EEENS1_47radix_sort_onesweep_sort_config_static_selectorELNS0_4arch9wavefront6targetE1EEEvSI_,"axG",@progbits,_ZN7rocprim17ROCPRIM_400000_NS6detail17trampoline_kernelINS0_14default_configENS1_35radix_sort_onesweep_config_selectorIffEEZZNS1_29radix_sort_onesweep_iterationIS3_Lb0EN6thrust23THRUST_200600_302600_NS6detail15normal_iteratorINS8_10device_ptrIfEEEESD_SD_SD_jNS0_19identity_decomposerENS1_16block_id_wrapperIjLb0EEEEE10hipError_tT1_PNSt15iterator_traitsISI_E10value_typeET2_T3_PNSJ_ISO_E10value_typeET4_T5_PST_SU_PNS1_23onesweep_lookback_stateEbbT6_jjT7_P12ihipStream_tbENKUlT_T0_SI_SN_E_clIPfSD_S15_SD_EEDaS11_S12_SI_SN_EUlS11_E_NS1_11comp_targetILNS1_3genE6ELNS1_11target_archE950ELNS1_3gpuE13ELNS1_3repE0EEENS1_47radix_sort_onesweep_sort_config_static_selectorELNS0_4arch9wavefront6targetE1EEEvSI_,comdat
	.protected	_ZN7rocprim17ROCPRIM_400000_NS6detail17trampoline_kernelINS0_14default_configENS1_35radix_sort_onesweep_config_selectorIffEEZZNS1_29radix_sort_onesweep_iterationIS3_Lb0EN6thrust23THRUST_200600_302600_NS6detail15normal_iteratorINS8_10device_ptrIfEEEESD_SD_SD_jNS0_19identity_decomposerENS1_16block_id_wrapperIjLb0EEEEE10hipError_tT1_PNSt15iterator_traitsISI_E10value_typeET2_T3_PNSJ_ISO_E10value_typeET4_T5_PST_SU_PNS1_23onesweep_lookback_stateEbbT6_jjT7_P12ihipStream_tbENKUlT_T0_SI_SN_E_clIPfSD_S15_SD_EEDaS11_S12_SI_SN_EUlS11_E_NS1_11comp_targetILNS1_3genE6ELNS1_11target_archE950ELNS1_3gpuE13ELNS1_3repE0EEENS1_47radix_sort_onesweep_sort_config_static_selectorELNS0_4arch9wavefront6targetE1EEEvSI_ ; -- Begin function _ZN7rocprim17ROCPRIM_400000_NS6detail17trampoline_kernelINS0_14default_configENS1_35radix_sort_onesweep_config_selectorIffEEZZNS1_29radix_sort_onesweep_iterationIS3_Lb0EN6thrust23THRUST_200600_302600_NS6detail15normal_iteratorINS8_10device_ptrIfEEEESD_SD_SD_jNS0_19identity_decomposerENS1_16block_id_wrapperIjLb0EEEEE10hipError_tT1_PNSt15iterator_traitsISI_E10value_typeET2_T3_PNSJ_ISO_E10value_typeET4_T5_PST_SU_PNS1_23onesweep_lookback_stateEbbT6_jjT7_P12ihipStream_tbENKUlT_T0_SI_SN_E_clIPfSD_S15_SD_EEDaS11_S12_SI_SN_EUlS11_E_NS1_11comp_targetILNS1_3genE6ELNS1_11target_archE950ELNS1_3gpuE13ELNS1_3repE0EEENS1_47radix_sort_onesweep_sort_config_static_selectorELNS0_4arch9wavefront6targetE1EEEvSI_
	.globl	_ZN7rocprim17ROCPRIM_400000_NS6detail17trampoline_kernelINS0_14default_configENS1_35radix_sort_onesweep_config_selectorIffEEZZNS1_29radix_sort_onesweep_iterationIS3_Lb0EN6thrust23THRUST_200600_302600_NS6detail15normal_iteratorINS8_10device_ptrIfEEEESD_SD_SD_jNS0_19identity_decomposerENS1_16block_id_wrapperIjLb0EEEEE10hipError_tT1_PNSt15iterator_traitsISI_E10value_typeET2_T3_PNSJ_ISO_E10value_typeET4_T5_PST_SU_PNS1_23onesweep_lookback_stateEbbT6_jjT7_P12ihipStream_tbENKUlT_T0_SI_SN_E_clIPfSD_S15_SD_EEDaS11_S12_SI_SN_EUlS11_E_NS1_11comp_targetILNS1_3genE6ELNS1_11target_archE950ELNS1_3gpuE13ELNS1_3repE0EEENS1_47radix_sort_onesweep_sort_config_static_selectorELNS0_4arch9wavefront6targetE1EEEvSI_
	.p2align	8
	.type	_ZN7rocprim17ROCPRIM_400000_NS6detail17trampoline_kernelINS0_14default_configENS1_35radix_sort_onesweep_config_selectorIffEEZZNS1_29radix_sort_onesweep_iterationIS3_Lb0EN6thrust23THRUST_200600_302600_NS6detail15normal_iteratorINS8_10device_ptrIfEEEESD_SD_SD_jNS0_19identity_decomposerENS1_16block_id_wrapperIjLb0EEEEE10hipError_tT1_PNSt15iterator_traitsISI_E10value_typeET2_T3_PNSJ_ISO_E10value_typeET4_T5_PST_SU_PNS1_23onesweep_lookback_stateEbbT6_jjT7_P12ihipStream_tbENKUlT_T0_SI_SN_E_clIPfSD_S15_SD_EEDaS11_S12_SI_SN_EUlS11_E_NS1_11comp_targetILNS1_3genE6ELNS1_11target_archE950ELNS1_3gpuE13ELNS1_3repE0EEENS1_47radix_sort_onesweep_sort_config_static_selectorELNS0_4arch9wavefront6targetE1EEEvSI_,@function
_ZN7rocprim17ROCPRIM_400000_NS6detail17trampoline_kernelINS0_14default_configENS1_35radix_sort_onesweep_config_selectorIffEEZZNS1_29radix_sort_onesweep_iterationIS3_Lb0EN6thrust23THRUST_200600_302600_NS6detail15normal_iteratorINS8_10device_ptrIfEEEESD_SD_SD_jNS0_19identity_decomposerENS1_16block_id_wrapperIjLb0EEEEE10hipError_tT1_PNSt15iterator_traitsISI_E10value_typeET2_T3_PNSJ_ISO_E10value_typeET4_T5_PST_SU_PNS1_23onesweep_lookback_stateEbbT6_jjT7_P12ihipStream_tbENKUlT_T0_SI_SN_E_clIPfSD_S15_SD_EEDaS11_S12_SI_SN_EUlS11_E_NS1_11comp_targetILNS1_3genE6ELNS1_11target_archE950ELNS1_3gpuE13ELNS1_3repE0EEENS1_47radix_sort_onesweep_sort_config_static_selectorELNS0_4arch9wavefront6targetE1EEEvSI_: ; @_ZN7rocprim17ROCPRIM_400000_NS6detail17trampoline_kernelINS0_14default_configENS1_35radix_sort_onesweep_config_selectorIffEEZZNS1_29radix_sort_onesweep_iterationIS3_Lb0EN6thrust23THRUST_200600_302600_NS6detail15normal_iteratorINS8_10device_ptrIfEEEESD_SD_SD_jNS0_19identity_decomposerENS1_16block_id_wrapperIjLb0EEEEE10hipError_tT1_PNSt15iterator_traitsISI_E10value_typeET2_T3_PNSJ_ISO_E10value_typeET4_T5_PST_SU_PNS1_23onesweep_lookback_stateEbbT6_jjT7_P12ihipStream_tbENKUlT_T0_SI_SN_E_clIPfSD_S15_SD_EEDaS11_S12_SI_SN_EUlS11_E_NS1_11comp_targetILNS1_3genE6ELNS1_11target_archE950ELNS1_3gpuE13ELNS1_3repE0EEENS1_47radix_sort_onesweep_sort_config_static_selectorELNS0_4arch9wavefront6targetE1EEEvSI_
; %bb.0:
	s_load_dwordx4 s[48:51], s[2:3], 0x44
	s_load_dwordx8 s[36:43], s[2:3], 0x0
	s_load_dwordx4 s[44:47], s[2:3], 0x28
	s_load_dwordx2 s[52:53], s[2:3], 0x38
	v_and_b32_e32 v8, 0x3ff, v0
	v_bfe_u32 v9, v0, 10, 10
	v_bfe_u32 v18, v0, 20, 10
	s_mov_b64 s[6:7], -1
	s_waitcnt lgkmcnt(0)
	s_cmp_ge_u32 s4, s50
	v_mbcnt_lo_u32_b32 v20, -1, 0
	v_lshlrev_b32_e32 v19, 3, v8
	s_cbranch_scc0 .LBB351_124
; %bb.1:
	s_load_dword s5, s[2:3], 0x20
	s_lshl_b32 s8, s50, 13
	s_lshl_b32 s6, s4, 13
	s_mov_b32 s7, 0
	s_lshl_b64 s[50:51], s[6:7], 2
	s_waitcnt lgkmcnt(0)
	s_sub_i32 s5, s5, s8
	v_mbcnt_hi_u32_b32 v21, -1, v20
	s_add_u32 s6, s36, s50
	v_and_b32_e32 v2, 63, v21
	s_addc_u32 s7, s37, s51
	v_and_b32_e32 v3, 0x1e00, v19
	v_mov_b32_e32 v11, 0
	v_lshlrev_b32_e32 v10, 2, v2
	v_lshl_add_u64 v[0:1], s[6:7], 0, v[10:11]
	v_lshlrev_b32_e32 v12, 2, v3
	v_mov_b32_e32 v13, v11
	v_lshl_add_u64 v[14:15], v[0:1], 0, v[12:13]
	v_or_b32_e32 v11, v2, v3
	v_bfrev_b32_e32 v0, -2
	v_cmp_gt_u32_e64 s[18:19], s5, v11
	v_mov_b32_e32 v1, v0
	v_mov_b32_e32 v2, v0
	;; [unrolled: 1-line block ×7, first 2 shown]
	s_and_saveexec_b64 s[6:7], s[18:19]
	s_cbranch_execz .LBB351_3
; %bb.2:
	global_load_dword v22, v[14:15], off
	v_mov_b32_e32 v23, v0
	v_mov_b32_e32 v24, v0
	;; [unrolled: 1-line block ×7, first 2 shown]
	s_waitcnt vmcnt(0)
	v_mov_b64_e32 v[0:1], v[22:23]
	v_mov_b64_e32 v[2:3], v[24:25]
	;; [unrolled: 1-line block ×4, first 2 shown]
.LBB351_3:
	s_or_b64 exec, exec, s[6:7]
	v_or_b32_e32 v13, 64, v11
	v_cmp_gt_u32_e64 s[26:27], s5, v13
	s_and_saveexec_b64 s[6:7], s[26:27]
	s_cbranch_execz .LBB351_5
; %bb.4:
	global_load_dword v1, v[14:15], off offset:256
.LBB351_5:
	s_or_b64 exec, exec, s[6:7]
	v_or_b32_e32 v13, 0x80, v11
	v_cmp_gt_u32_e64 s[6:7], s5, v13
	s_and_saveexec_b64 s[8:9], s[6:7]
	s_cbranch_execz .LBB351_7
; %bb.6:
	global_load_dword v2, v[14:15], off offset:512
.LBB351_7:
	;; [unrolled: 8-line block ×7, first 2 shown]
	s_or_b64 exec, exec, s[20:21]
	s_load_dword s20, s[2:3], 0x64
	s_load_dword s33, s[2:3], 0x58
	s_add_u32 s21, s2, 0x58
	s_addc_u32 s22, s3, 0
	v_mov_b32_e32 v15, 0
	s_waitcnt lgkmcnt(0)
	s_lshr_b32 s23, s20, 16
	s_cmp_lt_u32 s4, s33
	s_cselect_b32 s20, 12, 18
	s_add_u32 s20, s21, s20
	s_addc_u32 s21, s22, 0
	global_load_ushort v13, v15, s[20:21]
	v_bfrev_b32_e32 v24, 1
	v_cmp_lt_i32_e32 vcc, -1, v0
	s_brev_b32 s55, -2
	s_lshl_b32 s20, -1, s49
	v_cndmask_b32_e32 v11, -1, v24, vcc
	v_xor_b32_e32 v11, v11, v0
	v_cmp_ne_u32_e32 vcc, s55, v11
	v_mov_b32_e32 v16, v15
	v_mov_b32_e32 v28, v15
	v_cndmask_b32_e32 v0, v24, v11, vcc
	v_lshrrev_b32_e32 v0, s48, v0
	v_bitop3_b32 v0, v0, s20, v0 bitop3:0x30
	v_and_b32_e32 v14, 1, v0
	v_lshlrev_b32_e32 v17, 30, v0
	v_lshlrev_b32_e32 v27, 29, v0
	;; [unrolled: 1-line block ×3, first 2 shown]
	v_lshl_add_u64 v[36:37], v[14:15], 0, -1
	v_cmp_ne_u32_e32 vcc, 0, v14
	v_not_b32_e32 v14, v17
	v_mov_b32_e32 v26, v15
	v_mov_b32_e32 v30, v15
	s_not_b32 s54, s20
	v_lshlrev_b32_e32 v31, 27, v0
	v_cmp_gt_i64_e64 s[20:21], 0, v[16:17]
	v_not_b32_e32 v16, v27
	v_cmp_gt_i64_e64 s[24:25], 0, v[28:29]
	v_not_b32_e32 v17, v29
	v_xor_b32_e32 v29, vcc_hi, v37
	v_ashrrev_i32_e32 v14, 31, v14
	v_mov_b32_e32 v32, v15
	v_mad_u32_u24 v23, v18, s23, v9
	v_lshlrev_b32_e32 v33, 26, v0
	v_cmp_gt_i64_e64 s[22:23], 0, v[26:27]
	v_cmp_gt_i64_e64 s[28:29], 0, v[30:31]
	v_not_b32_e32 v26, v31
	v_xor_b32_e32 v30, vcc_lo, v36
	v_ashrrev_i32_e32 v16, 31, v16
	v_and_b32_e32 v29, exec_hi, v29
	v_xor_b32_e32 v31, s21, v14
	v_cmp_gt_i64_e64 s[30:31], 0, v[32:33]
	v_ashrrev_i32_e32 v17, 31, v17
	v_and_b32_e32 v30, exec_lo, v30
	v_xor_b32_e32 v14, s20, v14
	v_xor_b32_e32 v32, s23, v16
	v_and_b32_e32 v29, v29, v31
	v_mov_b32_e32 v34, v15
	v_lshlrev_b32_e32 v35, 25, v0
	v_not_b32_e32 v27, v33
	v_ashrrev_i32_e32 v26, 31, v26
	v_xor_b32_e32 v16, s22, v16
	v_xor_b32_e32 v33, s25, v17
	v_and_b32_e32 v14, v30, v14
	v_and_b32_e32 v29, v29, v32
	v_cmp_gt_i64_e64 s[34:35], 0, v[34:35]
	v_ashrrev_i32_e32 v27, 31, v27
	v_xor_b32_e32 v17, s24, v17
	v_xor_b32_e32 v34, s29, v26
	v_and_b32_e32 v14, v14, v16
	v_and_b32_e32 v16, v29, v33
	v_not_b32_e32 v28, v35
	v_xor_b32_e32 v26, s28, v26
	v_xor_b32_e32 v35, s31, v27
	v_and_b32_e32 v14, v14, v17
	v_and_b32_e32 v16, v16, v34
	v_ashrrev_i32_e32 v28, 31, v28
	v_xor_b32_e32 v27, s30, v27
	v_and_b32_e32 v14, v14, v26
	v_and_b32_e32 v26, v16, v35
	s_movk_i32 s56, 0x44
	v_and_b32_e32 v14, v14, v27
	v_mul_lo_u32 v25, v0, s56
	v_mul_u32_u24_e32 v22, 20, v8
	ds_write2_b32 v22, v15, v15 offset0:16 offset1:17
	ds_write2_b32 v22, v15, v15 offset0:18 offset1:19
	ds_write_b32 v22, v15 offset:80
	s_waitcnt lgkmcnt(0)
	s_barrier
	s_waitcnt vmcnt(0)
	; wave barrier
	v_mad_u64_u32 v[16:17], s[20:21], v23, v13, v[8:9]
	v_lshrrev_b32_e32 v13, 4, v16
	v_xor_b32_e32 v16, s34, v28
	v_lshlrev_b32_e32 v17, 24, v0
	v_and_b32_e32 v14, v14, v16
	v_mov_b32_e32 v16, v15
	v_not_b32_e32 v0, v17
	v_and_b32_e32 v34, 0xffffffc, v13
	v_xor_b32_e32 v13, s35, v28
	v_cmp_gt_i64_e32 vcc, 0, v[16:17]
	v_ashrrev_i32_e32 v0, 31, v0
	v_and_b32_e32 v13, v26, v13
	v_xor_b32_e32 v16, vcc_hi, v0
	v_xor_b32_e32 v0, vcc_lo, v0
	v_and_b32_e32 v17, v13, v16
	v_and_b32_e32 v16, v14, v0
	v_mbcnt_lo_u32_b32 v0, v16, 0
	v_mbcnt_hi_u32_b32 v23, v17, v0
	v_cmp_eq_u32_e32 vcc, 0, v23
	v_cmp_ne_u64_e64 s[20:21], 0, v[16:17]
	s_and_b64 s[22:23], s[20:21], vcc
	v_add_u32_e32 v26, v34, v25
	s_and_saveexec_b64 s[20:21], s[22:23]
; %bb.18:
	v_bcnt_u32_b32 v0, v16, 0
	v_bcnt_u32_b32 v0, v17, v0
	ds_write_b32 v26, v0 offset:64
; %bb.19:
	s_or_b64 exec, exec, s[20:21]
	v_cmp_lt_i32_e32 vcc, -1, v1
	; wave barrier
	s_nop 1
	v_cndmask_b32_e32 v0, -1, v24, vcc
	v_xor_b32_e32 v13, v0, v1
	v_cmp_ne_u32_e32 vcc, s55, v13
	s_nop 1
	v_cndmask_b32_e32 v0, v24, v13, vcc
	v_lshrrev_b32_e32 v0, s48, v0
	v_and_b32_e32 v16, s54, v0
	v_mul_lo_u32 v0, v16, s56
	v_and_b32_e32 v14, 1, v16
	v_add_u32_e32 v28, v34, v0
	v_lshl_add_u64 v[0:1], v[14:15], 0, -1
	v_cmp_ne_u32_e32 vcc, 0, v14
	ds_read_b32 v17, v28 offset:64
	s_nop 0
	v_xor_b32_e32 v1, vcc_hi, v1
	v_xor_b32_e32 v0, vcc_lo, v0
	v_and_b32_e32 v14, exec_hi, v1
	v_and_b32_e32 v24, exec_lo, v0
	v_lshlrev_b32_e32 v1, 30, v16
	v_mov_b32_e32 v0, v15
	v_cmp_gt_i64_e32 vcc, 0, v[0:1]
	v_not_b32_e32 v0, v1
	v_ashrrev_i32_e32 v0, 31, v0
	v_xor_b32_e32 v1, vcc_hi, v0
	v_xor_b32_e32 v0, vcc_lo, v0
	v_and_b32_e32 v14, v14, v1
	v_and_b32_e32 v24, v24, v0
	v_lshlrev_b32_e32 v1, 29, v16
	v_mov_b32_e32 v0, v15
	v_cmp_gt_i64_e32 vcc, 0, v[0:1]
	v_not_b32_e32 v0, v1
	v_ashrrev_i32_e32 v0, 31, v0
	v_xor_b32_e32 v1, vcc_hi, v0
	v_xor_b32_e32 v0, vcc_lo, v0
	v_and_b32_e32 v14, v14, v1
	v_and_b32_e32 v24, v24, v0
	;; [unrolled: 9-line block ×7, first 2 shown]
	v_mbcnt_lo_u32_b32 v14, v0, 0
	v_mbcnt_hi_u32_b32 v24, v1, v14
	v_cmp_eq_u32_e32 vcc, 0, v24
	v_cmp_ne_u64_e64 s[20:21], 0, v[0:1]
	s_and_b64 s[22:23], s[20:21], vcc
	; wave barrier
	s_and_saveexec_b64 s[20:21], s[22:23]
	s_cbranch_execz .LBB351_21
; %bb.20:
	v_bcnt_u32_b32 v0, v0, 0
	v_bcnt_u32_b32 v0, v1, v0
	s_waitcnt lgkmcnt(0)
	v_add_u32_e32 v0, v17, v0
	ds_write_b32 v28, v0 offset:64
.LBB351_21:
	s_or_b64 exec, exec, s[20:21]
	v_bfrev_b32_e32 v27, 1
	v_cmp_lt_i32_e32 vcc, -1, v2
	s_brev_b32 s22, -2
	s_movk_i32 s23, 0x44
	v_cndmask_b32_e32 v0, -1, v27, vcc
	v_xor_b32_e32 v16, v0, v2
	v_cmp_ne_u32_e32 vcc, s22, v16
	v_mov_b32_e32 v1, 0
	s_nop 0
	v_cndmask_b32_e32 v0, v27, v16, vcc
	v_lshrrev_b32_e32 v0, s48, v0
	v_and_b32_e32 v2, s54, v0
	v_mul_lo_u32 v0, v2, s23
	v_add_u32_e32 v32, v34, v0
	v_and_b32_e32 v0, 1, v2
	v_lshl_add_u64 v[14:15], v[0:1], 0, -1
	v_cmp_ne_u32_e32 vcc, 0, v0
	; wave barrier
	ds_read_b32 v25, v32 offset:64
	s_nop 0
	v_xor_b32_e32 v14, vcc_lo, v14
	v_xor_b32_e32 v0, vcc_hi, v15
	v_and_b32_e32 v29, exec_lo, v14
	v_lshlrev_b32_e32 v15, 30, v2
	v_mov_b32_e32 v14, v1
	v_cmp_gt_i64_e32 vcc, 0, v[14:15]
	v_not_b32_e32 v14, v15
	v_ashrrev_i32_e32 v14, 31, v14
	v_and_b32_e32 v0, exec_hi, v0
	v_xor_b32_e32 v15, vcc_hi, v14
	v_xor_b32_e32 v14, vcc_lo, v14
	v_and_b32_e32 v0, v0, v15
	v_and_b32_e32 v29, v29, v14
	v_lshlrev_b32_e32 v15, 29, v2
	v_mov_b32_e32 v14, v1
	v_cmp_gt_i64_e32 vcc, 0, v[14:15]
	v_not_b32_e32 v14, v15
	v_ashrrev_i32_e32 v14, 31, v14
	v_xor_b32_e32 v15, vcc_hi, v14
	v_xor_b32_e32 v14, vcc_lo, v14
	v_and_b32_e32 v0, v0, v15
	v_and_b32_e32 v29, v29, v14
	v_lshlrev_b32_e32 v15, 28, v2
	v_mov_b32_e32 v14, v1
	v_cmp_gt_i64_e32 vcc, 0, v[14:15]
	v_not_b32_e32 v14, v15
	v_ashrrev_i32_e32 v14, 31, v14
	v_xor_b32_e32 v15, vcc_hi, v14
	v_xor_b32_e32 v14, vcc_lo, v14
	v_and_b32_e32 v0, v0, v15
	v_and_b32_e32 v29, v29, v14
	v_lshlrev_b32_e32 v15, 27, v2
	v_mov_b32_e32 v14, v1
	v_cmp_gt_i64_e32 vcc, 0, v[14:15]
	v_not_b32_e32 v14, v15
	v_ashrrev_i32_e32 v14, 31, v14
	v_xor_b32_e32 v15, vcc_hi, v14
	v_xor_b32_e32 v14, vcc_lo, v14
	v_and_b32_e32 v0, v0, v15
	v_and_b32_e32 v29, v29, v14
	v_lshlrev_b32_e32 v15, 26, v2
	v_mov_b32_e32 v14, v1
	v_cmp_gt_i64_e32 vcc, 0, v[14:15]
	v_not_b32_e32 v14, v15
	v_ashrrev_i32_e32 v14, 31, v14
	v_xor_b32_e32 v15, vcc_hi, v14
	v_xor_b32_e32 v14, vcc_lo, v14
	v_and_b32_e32 v0, v0, v15
	v_and_b32_e32 v29, v29, v14
	v_lshlrev_b32_e32 v15, 25, v2
	v_mov_b32_e32 v14, v1
	v_cmp_gt_i64_e32 vcc, 0, v[14:15]
	v_not_b32_e32 v14, v15
	v_ashrrev_i32_e32 v14, 31, v14
	v_xor_b32_e32 v15, vcc_hi, v14
	v_xor_b32_e32 v14, vcc_lo, v14
	v_and_b32_e32 v0, v0, v15
	v_lshlrev_b32_e32 v15, 24, v2
	v_and_b32_e32 v29, v29, v14
	v_mov_b32_e32 v14, v1
	v_not_b32_e32 v2, v15
	v_cmp_gt_i64_e32 vcc, 0, v[14:15]
	v_ashrrev_i32_e32 v2, 31, v2
	s_nop 0
	v_xor_b32_e32 v14, vcc_hi, v2
	v_xor_b32_e32 v2, vcc_lo, v2
	v_and_b32_e32 v15, v0, v14
	v_and_b32_e32 v14, v29, v2
	v_mbcnt_lo_u32_b32 v0, v14, 0
	v_mbcnt_hi_u32_b32 v29, v15, v0
	v_cmp_eq_u32_e32 vcc, 0, v29
	v_cmp_ne_u64_e64 s[20:21], 0, v[14:15]
	s_and_b64 s[24:25], s[20:21], vcc
	; wave barrier
	s_and_saveexec_b64 s[20:21], s[24:25]
	s_cbranch_execz .LBB351_23
; %bb.22:
	v_bcnt_u32_b32 v0, v14, 0
	v_bcnt_u32_b32 v0, v15, v0
	s_waitcnt lgkmcnt(0)
	v_add_u32_e32 v0, v25, v0
	ds_write_b32 v32, v0 offset:64
.LBB351_23:
	s_or_b64 exec, exec, s[20:21]
	v_cmp_lt_i32_e32 vcc, -1, v3
	; wave barrier
	s_nop 1
	v_cndmask_b32_e32 v0, -1, v27, vcc
	v_xor_b32_e32 v14, v0, v3
	v_cmp_ne_u32_e32 vcc, s22, v14
	s_nop 1
	v_cndmask_b32_e32 v0, v27, v14, vcc
	v_lshrrev_b32_e32 v0, s48, v0
	v_and_b32_e32 v15, s54, v0
	v_mul_lo_u32 v0, v15, s23
	v_add_u32_e32 v37, v34, v0
	v_and_b32_e32 v0, 1, v15
	v_lshl_add_u64 v[2:3], v[0:1], 0, -1
	v_cmp_ne_u32_e32 vcc, 0, v0
	ds_read_b32 v30, v37 offset:64
	s_nop 0
	v_xor_b32_e32 v2, vcc_lo, v2
	v_xor_b32_e32 v0, vcc_hi, v3
	v_and_b32_e32 v27, exec_lo, v2
	v_lshlrev_b32_e32 v3, 30, v15
	v_mov_b32_e32 v2, v1
	v_cmp_gt_i64_e32 vcc, 0, v[2:3]
	v_not_b32_e32 v2, v3
	v_ashrrev_i32_e32 v2, 31, v2
	v_and_b32_e32 v0, exec_hi, v0
	v_xor_b32_e32 v3, vcc_hi, v2
	v_xor_b32_e32 v2, vcc_lo, v2
	v_and_b32_e32 v0, v0, v3
	v_and_b32_e32 v27, v27, v2
	v_lshlrev_b32_e32 v3, 29, v15
	v_mov_b32_e32 v2, v1
	v_cmp_gt_i64_e32 vcc, 0, v[2:3]
	v_not_b32_e32 v2, v3
	v_ashrrev_i32_e32 v2, 31, v2
	v_xor_b32_e32 v3, vcc_hi, v2
	v_xor_b32_e32 v2, vcc_lo, v2
	v_and_b32_e32 v0, v0, v3
	v_and_b32_e32 v27, v27, v2
	v_lshlrev_b32_e32 v3, 28, v15
	v_mov_b32_e32 v2, v1
	v_cmp_gt_i64_e32 vcc, 0, v[2:3]
	v_not_b32_e32 v2, v3
	v_ashrrev_i32_e32 v2, 31, v2
	;; [unrolled: 9-line block ×5, first 2 shown]
	v_xor_b32_e32 v3, vcc_hi, v2
	v_xor_b32_e32 v2, vcc_lo, v2
	v_and_b32_e32 v0, v0, v3
	v_lshlrev_b32_e32 v3, 24, v15
	v_and_b32_e32 v27, v27, v2
	v_mov_b32_e32 v2, v1
	v_not_b32_e32 v1, v3
	v_cmp_gt_i64_e32 vcc, 0, v[2:3]
	v_ashrrev_i32_e32 v1, 31, v1
	; wave barrier
	s_nop 0
	v_xor_b32_e32 v2, vcc_hi, v1
	v_xor_b32_e32 v3, vcc_lo, v1
	v_and_b32_e32 v1, v0, v2
	v_and_b32_e32 v0, v27, v3
	v_mbcnt_lo_u32_b32 v2, v0, 0
	v_mbcnt_hi_u32_b32 v33, v1, v2
	v_cmp_eq_u32_e32 vcc, 0, v33
	v_cmp_ne_u64_e64 s[20:21], 0, v[0:1]
	s_and_b64 s[22:23], s[20:21], vcc
	s_and_saveexec_b64 s[20:21], s[22:23]
	s_cbranch_execz .LBB351_25
; %bb.24:
	v_bcnt_u32_b32 v0, v0, 0
	v_bcnt_u32_b32 v0, v1, v0
	s_waitcnt lgkmcnt(0)
	v_add_u32_e32 v0, v30, v0
	ds_write_b32 v37, v0 offset:64
.LBB351_25:
	s_or_b64 exec, exec, s[20:21]
	v_bfrev_b32_e32 v31, 1
	v_cmp_lt_i32_e32 vcc, -1, v4
	s_brev_b32 s22, -2
	s_movk_i32 s23, 0x44
	v_cndmask_b32_e32 v0, -1, v31, vcc
	v_xor_b32_e32 v15, v0, v4
	v_cmp_ne_u32_e32 vcc, s22, v15
	v_mov_b32_e32 v1, 0
	s_nop 0
	v_cndmask_b32_e32 v0, v31, v15, vcc
	v_lshrrev_b32_e32 v0, s48, v0
	v_and_b32_e32 v27, s54, v0
	v_mul_lo_u32 v0, v27, s23
	v_add_u32_e32 v4, v34, v0
	v_and_b32_e32 v0, 1, v27
	v_lshl_add_u64 v[2:3], v[0:1], 0, -1
	v_cmp_ne_u32_e32 vcc, 0, v0
	; wave barrier
	ds_read_b32 v35, v4 offset:64
	s_nop 0
	v_xor_b32_e32 v2, vcc_lo, v2
	v_xor_b32_e32 v0, vcc_hi, v3
	v_and_b32_e32 v36, exec_lo, v2
	v_lshlrev_b32_e32 v3, 30, v27
	v_mov_b32_e32 v2, v1
	v_cmp_gt_i64_e32 vcc, 0, v[2:3]
	v_not_b32_e32 v2, v3
	v_ashrrev_i32_e32 v2, 31, v2
	v_and_b32_e32 v0, exec_hi, v0
	v_xor_b32_e32 v3, vcc_hi, v2
	v_xor_b32_e32 v2, vcc_lo, v2
	v_and_b32_e32 v0, v0, v3
	v_and_b32_e32 v36, v36, v2
	v_lshlrev_b32_e32 v3, 29, v27
	v_mov_b32_e32 v2, v1
	v_cmp_gt_i64_e32 vcc, 0, v[2:3]
	v_not_b32_e32 v2, v3
	v_ashrrev_i32_e32 v2, 31, v2
	v_xor_b32_e32 v3, vcc_hi, v2
	v_xor_b32_e32 v2, vcc_lo, v2
	v_and_b32_e32 v0, v0, v3
	v_and_b32_e32 v36, v36, v2
	v_lshlrev_b32_e32 v3, 28, v27
	v_mov_b32_e32 v2, v1
	v_cmp_gt_i64_e32 vcc, 0, v[2:3]
	v_not_b32_e32 v2, v3
	v_ashrrev_i32_e32 v2, 31, v2
	;; [unrolled: 9-line block ×6, first 2 shown]
	v_xor_b32_e32 v3, vcc_hi, v2
	v_xor_b32_e32 v2, vcc_lo, v2
	v_and_b32_e32 v2, v36, v2
	v_and_b32_e32 v3, v0, v3
	v_mbcnt_lo_u32_b32 v0, v2, 0
	v_mbcnt_hi_u32_b32 v38, v3, v0
	v_cmp_eq_u32_e32 vcc, 0, v38
	v_cmp_ne_u64_e64 s[20:21], 0, v[2:3]
	s_and_b64 s[24:25], s[20:21], vcc
	; wave barrier
	s_and_saveexec_b64 s[20:21], s[24:25]
	s_cbranch_execz .LBB351_27
; %bb.26:
	v_bcnt_u32_b32 v0, v2, 0
	v_bcnt_u32_b32 v0, v3, v0
	s_waitcnt lgkmcnt(0)
	v_add_u32_e32 v0, v35, v0
	ds_write_b32 v4, v0 offset:64
.LBB351_27:
	s_or_b64 exec, exec, s[20:21]
	v_cmp_lt_i32_e32 vcc, -1, v5
	; wave barrier
	s_nop 1
	v_cndmask_b32_e32 v0, -1, v31, vcc
	v_xor_b32_e32 v27, v0, v5
	v_cmp_ne_u32_e32 vcc, s22, v27
	s_nop 1
	v_cndmask_b32_e32 v0, v31, v27, vcc
	v_lshrrev_b32_e32 v0, s48, v0
	v_and_b32_e32 v31, s54, v0
	v_mul_lo_u32 v0, v31, s23
	v_add_u32_e32 v5, v34, v0
	v_and_b32_e32 v0, 1, v31
	v_lshl_add_u64 v[2:3], v[0:1], 0, -1
	v_cmp_ne_u32_e32 vcc, 0, v0
	ds_read_b32 v39, v5 offset:64
	s_nop 0
	v_xor_b32_e32 v2, vcc_lo, v2
	v_xor_b32_e32 v0, vcc_hi, v3
	v_and_b32_e32 v36, exec_lo, v2
	v_lshlrev_b32_e32 v3, 30, v31
	v_mov_b32_e32 v2, v1
	v_cmp_gt_i64_e32 vcc, 0, v[2:3]
	v_not_b32_e32 v2, v3
	v_ashrrev_i32_e32 v2, 31, v2
	v_and_b32_e32 v0, exec_hi, v0
	v_xor_b32_e32 v3, vcc_hi, v2
	v_xor_b32_e32 v2, vcc_lo, v2
	v_and_b32_e32 v0, v0, v3
	v_and_b32_e32 v36, v36, v2
	v_lshlrev_b32_e32 v3, 29, v31
	v_mov_b32_e32 v2, v1
	v_cmp_gt_i64_e32 vcc, 0, v[2:3]
	v_not_b32_e32 v2, v3
	v_ashrrev_i32_e32 v2, 31, v2
	v_xor_b32_e32 v3, vcc_hi, v2
	v_xor_b32_e32 v2, vcc_lo, v2
	v_and_b32_e32 v0, v0, v3
	v_and_b32_e32 v36, v36, v2
	v_lshlrev_b32_e32 v3, 28, v31
	v_mov_b32_e32 v2, v1
	v_cmp_gt_i64_e32 vcc, 0, v[2:3]
	v_not_b32_e32 v2, v3
	v_ashrrev_i32_e32 v2, 31, v2
	;; [unrolled: 9-line block ×5, first 2 shown]
	v_xor_b32_e32 v3, vcc_hi, v2
	v_xor_b32_e32 v2, vcc_lo, v2
	v_and_b32_e32 v0, v0, v3
	v_lshlrev_b32_e32 v3, 24, v31
	v_and_b32_e32 v36, v36, v2
	v_mov_b32_e32 v2, v1
	v_not_b32_e32 v1, v3
	v_cmp_gt_i64_e32 vcc, 0, v[2:3]
	v_ashrrev_i32_e32 v1, 31, v1
	; wave barrier
	s_nop 0
	v_xor_b32_e32 v2, vcc_hi, v1
	v_xor_b32_e32 v3, vcc_lo, v1
	v_and_b32_e32 v1, v0, v2
	v_and_b32_e32 v0, v36, v3
	v_mbcnt_lo_u32_b32 v2, v0, 0
	v_mbcnt_hi_u32_b32 v40, v1, v2
	v_cmp_eq_u32_e32 vcc, 0, v40
	v_cmp_ne_u64_e64 s[20:21], 0, v[0:1]
	s_and_b64 s[22:23], s[20:21], vcc
	s_and_saveexec_b64 s[20:21], s[22:23]
	s_cbranch_execz .LBB351_29
; %bb.28:
	v_bcnt_u32_b32 v0, v0, 0
	v_bcnt_u32_b32 v0, v1, v0
	s_waitcnt lgkmcnt(0)
	v_add_u32_e32 v0, v39, v0
	ds_write_b32 v5, v0 offset:64
.LBB351_29:
	s_or_b64 exec, exec, s[20:21]
	v_bfrev_b32_e32 v43, 1
	v_cmp_lt_i32_e32 vcc, -1, v6
	s_brev_b32 s22, -2
	s_movk_i32 s23, 0x44
	v_cndmask_b32_e32 v0, -1, v43, vcc
	v_xor_b32_e32 v31, v0, v6
	v_cmp_ne_u32_e32 vcc, s22, v31
	v_mov_b32_e32 v1, 0
	s_nop 0
	v_cndmask_b32_e32 v0, v43, v31, vcc
	v_lshrrev_b32_e32 v0, s48, v0
	v_and_b32_e32 v36, s54, v0
	v_mul_lo_u32 v0, v36, s23
	v_add_u32_e32 v6, v34, v0
	v_and_b32_e32 v0, 1, v36
	v_lshl_add_u64 v[2:3], v[0:1], 0, -1
	v_cmp_ne_u32_e32 vcc, 0, v0
	; wave barrier
	ds_read_b32 v41, v6 offset:64
	s_nop 0
	v_xor_b32_e32 v2, vcc_lo, v2
	v_xor_b32_e32 v0, vcc_hi, v3
	v_and_b32_e32 v42, exec_lo, v2
	v_lshlrev_b32_e32 v3, 30, v36
	v_mov_b32_e32 v2, v1
	v_cmp_gt_i64_e32 vcc, 0, v[2:3]
	v_not_b32_e32 v2, v3
	v_ashrrev_i32_e32 v2, 31, v2
	v_and_b32_e32 v0, exec_hi, v0
	v_xor_b32_e32 v3, vcc_hi, v2
	v_xor_b32_e32 v2, vcc_lo, v2
	v_and_b32_e32 v0, v0, v3
	v_and_b32_e32 v42, v42, v2
	v_lshlrev_b32_e32 v3, 29, v36
	v_mov_b32_e32 v2, v1
	v_cmp_gt_i64_e32 vcc, 0, v[2:3]
	v_not_b32_e32 v2, v3
	v_ashrrev_i32_e32 v2, 31, v2
	v_xor_b32_e32 v3, vcc_hi, v2
	v_xor_b32_e32 v2, vcc_lo, v2
	v_and_b32_e32 v0, v0, v3
	v_and_b32_e32 v42, v42, v2
	v_lshlrev_b32_e32 v3, 28, v36
	v_mov_b32_e32 v2, v1
	v_cmp_gt_i64_e32 vcc, 0, v[2:3]
	v_not_b32_e32 v2, v3
	v_ashrrev_i32_e32 v2, 31, v2
	;; [unrolled: 9-line block ×6, first 2 shown]
	v_xor_b32_e32 v3, vcc_hi, v2
	v_xor_b32_e32 v2, vcc_lo, v2
	v_and_b32_e32 v2, v42, v2
	v_and_b32_e32 v3, v0, v3
	v_mbcnt_lo_u32_b32 v0, v2, 0
	v_mbcnt_hi_u32_b32 v42, v3, v0
	v_cmp_eq_u32_e32 vcc, 0, v42
	v_cmp_ne_u64_e64 s[20:21], 0, v[2:3]
	s_and_b64 s[24:25], s[20:21], vcc
	; wave barrier
	s_and_saveexec_b64 s[20:21], s[24:25]
	s_cbranch_execz .LBB351_31
; %bb.30:
	v_bcnt_u32_b32 v0, v2, 0
	v_bcnt_u32_b32 v0, v3, v0
	s_waitcnt lgkmcnt(0)
	v_add_u32_e32 v0, v41, v0
	ds_write_b32 v6, v0 offset:64
.LBB351_31:
	s_or_b64 exec, exec, s[20:21]
	v_cmp_lt_i32_e32 vcc, -1, v7
	; wave barrier
	s_nop 1
	v_cndmask_b32_e32 v0, -1, v43, vcc
	v_xor_b32_e32 v36, v0, v7
	v_cmp_ne_u32_e32 vcc, s22, v36
	s_nop 1
	v_cndmask_b32_e32 v0, v43, v36, vcc
	v_lshrrev_b32_e32 v0, s48, v0
	v_and_b32_e32 v43, s54, v0
	v_mul_lo_u32 v0, v43, s23
	v_add_u32_e32 v7, v34, v0
	v_and_b32_e32 v0, 1, v43
	v_lshl_add_u64 v[2:3], v[0:1], 0, -1
	v_cmp_ne_u32_e32 vcc, 0, v0
	ds_read_b32 v34, v7 offset:64
	s_nop 0
	v_xor_b32_e32 v2, vcc_lo, v2
	v_xor_b32_e32 v0, vcc_hi, v3
	v_and_b32_e32 v44, exec_lo, v2
	v_lshlrev_b32_e32 v3, 30, v43
	v_mov_b32_e32 v2, v1
	v_cmp_gt_i64_e32 vcc, 0, v[2:3]
	v_not_b32_e32 v2, v3
	v_ashrrev_i32_e32 v2, 31, v2
	v_and_b32_e32 v0, exec_hi, v0
	v_xor_b32_e32 v3, vcc_hi, v2
	v_xor_b32_e32 v2, vcc_lo, v2
	v_and_b32_e32 v0, v0, v3
	v_and_b32_e32 v44, v44, v2
	v_lshlrev_b32_e32 v3, 29, v43
	v_mov_b32_e32 v2, v1
	v_cmp_gt_i64_e32 vcc, 0, v[2:3]
	v_not_b32_e32 v2, v3
	v_ashrrev_i32_e32 v2, 31, v2
	v_xor_b32_e32 v3, vcc_hi, v2
	v_xor_b32_e32 v2, vcc_lo, v2
	v_and_b32_e32 v0, v0, v3
	v_and_b32_e32 v44, v44, v2
	v_lshlrev_b32_e32 v3, 28, v43
	v_mov_b32_e32 v2, v1
	v_cmp_gt_i64_e32 vcc, 0, v[2:3]
	v_not_b32_e32 v2, v3
	v_ashrrev_i32_e32 v2, 31, v2
	;; [unrolled: 9-line block ×5, first 2 shown]
	v_xor_b32_e32 v3, vcc_hi, v2
	v_xor_b32_e32 v2, vcc_lo, v2
	v_and_b32_e32 v0, v0, v3
	v_lshlrev_b32_e32 v3, 24, v43
	v_and_b32_e32 v44, v44, v2
	v_mov_b32_e32 v2, v1
	v_not_b32_e32 v1, v3
	v_cmp_gt_i64_e32 vcc, 0, v[2:3]
	v_ashrrev_i32_e32 v1, 31, v1
	; wave barrier
	s_nop 0
	v_xor_b32_e32 v2, vcc_hi, v1
	v_xor_b32_e32 v3, vcc_lo, v1
	v_and_b32_e32 v1, v0, v2
	v_and_b32_e32 v0, v44, v3
	v_mbcnt_lo_u32_b32 v2, v0, 0
	v_mbcnt_hi_u32_b32 v43, v1, v2
	v_cmp_eq_u32_e32 vcc, 0, v43
	v_cmp_ne_u64_e64 s[20:21], 0, v[0:1]
	s_and_b64 s[22:23], s[20:21], vcc
	s_and_saveexec_b64 s[20:21], s[22:23]
	s_cbranch_execz .LBB351_33
; %bb.32:
	v_bcnt_u32_b32 v0, v0, 0
	v_bcnt_u32_b32 v0, v1, v0
	s_waitcnt lgkmcnt(0)
	v_add_u32_e32 v0, v34, v0
	ds_write_b32 v7, v0 offset:64
.LBB351_33:
	s_or_b64 exec, exec, s[20:21]
	; wave barrier
	s_waitcnt lgkmcnt(0)
	s_barrier
	ds_read2_b32 v[2:3], v22 offset0:16 offset1:17
	ds_read2_b32 v[0:1], v22 offset0:18 offset1:19
	ds_read_b32 v44, v22 offset:80
	v_cmp_lt_u32_e64 s[28:29], 31, v21
	s_waitcnt lgkmcnt(1)
	v_add3_u32 v45, v3, v2, v0
	s_waitcnt lgkmcnt(0)
	v_add3_u32 v44, v45, v1, v44
	v_and_b32_e32 v45, 15, v21
	v_cmp_eq_u32_e32 vcc, 0, v45
	v_mov_b32_dpp v46, v44 row_shr:1 row_mask:0xf bank_mask:0xf
	v_cmp_lt_u32_e64 s[20:21], 1, v45
	v_cndmask_b32_e64 v46, v46, 0, vcc
	v_add_u32_e32 v44, v46, v44
	v_cmp_lt_u32_e64 s[22:23], 3, v45
	v_cmp_lt_u32_e64 s[24:25], 7, v45
	v_mov_b32_dpp v46, v44 row_shr:2 row_mask:0xf bank_mask:0xf
	v_cndmask_b32_e64 v46, 0, v46, s[20:21]
	v_add_u32_e32 v44, v44, v46
	s_nop 1
	v_mov_b32_dpp v46, v44 row_shr:4 row_mask:0xf bank_mask:0xf
	v_cndmask_b32_e64 v46, 0, v46, s[22:23]
	v_add_u32_e32 v44, v44, v46
	s_nop 1
	v_mov_b32_dpp v46, v44 row_shr:8 row_mask:0xf bank_mask:0xf
	v_cndmask_b32_e64 v45, 0, v46, s[24:25]
	v_add_u32_e32 v44, v44, v45
	v_bfe_i32 v46, v21, 4, 1
	s_nop 0
	v_mov_b32_dpp v45, v44 row_bcast:15 row_mask:0xf bank_mask:0xf
	v_and_b32_e32 v45, v46, v45
	v_add_u32_e32 v44, v44, v45
	v_and_b32_e32 v46, 63, v8
	s_nop 0
	v_mov_b32_dpp v45, v44 row_bcast:31 row_mask:0xf bank_mask:0xf
	v_cndmask_b32_e64 v45, 0, v45, s[28:29]
	v_add_u32_e32 v44, v44, v45
	v_lshrrev_b32_e32 v45, 6, v8
	v_cmp_eq_u32_e64 s[28:29], 63, v46
	s_and_saveexec_b64 s[30:31], s[28:29]
; %bb.34:
	v_lshlrev_b32_e32 v46, 2, v45
	ds_write_b32 v46, v44
; %bb.35:
	s_or_b64 exec, exec, s[30:31]
	v_cmp_gt_u32_e64 s[28:29], 16, v8
	s_waitcnt lgkmcnt(0)
	s_barrier
	s_and_saveexec_b64 s[30:31], s[28:29]
	s_cbranch_execz .LBB351_37
; %bb.36:
	v_lshlrev_b32_e32 v46, 2, v8
	ds_read_b32 v47, v46
	s_waitcnt lgkmcnt(0)
	s_nop 0
	v_mov_b32_dpp v48, v47 row_shr:1 row_mask:0xf bank_mask:0xf
	v_cndmask_b32_e64 v48, v48, 0, vcc
	v_add_u32_e32 v47, v48, v47
	s_nop 1
	v_mov_b32_dpp v48, v47 row_shr:2 row_mask:0xf bank_mask:0xf
	v_cndmask_b32_e64 v48, 0, v48, s[20:21]
	v_add_u32_e32 v47, v47, v48
	s_nop 1
	v_mov_b32_dpp v48, v47 row_shr:4 row_mask:0xf bank_mask:0xf
	v_cndmask_b32_e64 v48, 0, v48, s[22:23]
	;; [unrolled: 4-line block ×3, first 2 shown]
	v_add_u32_e32 v47, v47, v48
	ds_write_b32 v46, v47
.LBB351_37:
	s_or_b64 exec, exec, s[30:31]
	v_cmp_lt_u32_e32 vcc, 63, v8
	v_mov_b32_e32 v46, 0
	s_waitcnt lgkmcnt(0)
	s_barrier
	s_and_saveexec_b64 s[20:21], vcc
; %bb.38:
	v_lshl_add_u32 v45, v45, 2, -4
	ds_read_b32 v46, v45
; %bb.39:
	s_or_b64 exec, exec, s[20:21]
	v_subrev_co_u32_e32 v45, vcc, 1, v21
	v_and_b32_e32 v47, 64, v21
	v_cmp_lt_i32_e64 s[20:21], v45, v47
	s_waitcnt lgkmcnt(0)
	v_add_u32_e32 v44, v46, v44
	s_movk_i32 s22, 0x100
	v_cndmask_b32_e64 v21, v45, v21, s[20:21]
	v_lshlrev_b32_e32 v21, 2, v21
	ds_bpermute_b32 v21, v21, v44
	s_movk_i32 s20, 0xff
	v_cmp_lt_u32_e64 s[20:21], s20, v8
	s_waitcnt lgkmcnt(0)
	v_cndmask_b32_e32 v21, v21, v46, vcc
	v_cmp_ne_u32_e32 vcc, 0, v8
	s_nop 1
	v_cndmask_b32_e32 v21, 0, v21, vcc
	v_add_u32_e32 v2, v21, v2
	v_add_u32_e32 v3, v2, v3
	;; [unrolled: 1-line block ×4, first 2 shown]
	ds_write2_b32 v22, v21, v2 offset0:16 offset1:17
	ds_write2_b32 v22, v3, v0 offset0:18 offset1:19
	ds_write_b32 v22, v1 offset:80
	s_waitcnt lgkmcnt(0)
	s_barrier
	ds_read_b32 v44, v26 offset:64
	ds_read_b32 v45, v28 offset:64
	;; [unrolled: 1-line block ×8, first 2 shown]
	v_cmp_gt_u32_e32 vcc, s22, v8
                                        ; implicit-def: $vgpr6
                                        ; implicit-def: $vgpr7
	s_and_saveexec_b64 s[24:25], vcc
	s_cbranch_execz .LBB351_43
; %bb.40:
	v_mul_u32_u24_e32 v0, 0x44, v8
	ds_read_b32 v6, v0 offset:64
	v_add_u32_e32 v1, 1, v8
	v_cmp_ne_u32_e64 s[22:23], s22, v1
	v_mov_b32_e32 v0, 0x2000
	s_and_saveexec_b64 s[28:29], s[22:23]
; %bb.41:
	v_mul_u32_u24_e32 v0, 0x44, v1
	ds_read_b32 v0, v0 offset:64
; %bb.42:
	s_or_b64 exec, exec, s[28:29]
	s_waitcnt lgkmcnt(0)
	v_sub_u32_e32 v7, v0, v6
.LBB351_43:
	s_or_b64 exec, exec, s[24:25]
	v_mov_b32_e32 v1, 0
	v_lshlrev_b32_e32 v21, 2, v8
	s_waitcnt lgkmcnt(0)
	s_barrier
	s_and_saveexec_b64 s[22:23], vcc
	s_cbranch_execz .LBB351_53
; %bb.44:
	v_lshl_add_u32 v0, s4, 8, v8
	v_lshl_add_u64 v[2:3], v[0:1], 2, s[52:53]
	v_or_b32_e32 v0, 2.0, v7
	s_mov_b64 s[24:25], 0
	s_brev_b32 s34, -4
	s_mov_b32 s35, s4
	v_mov_b32_e32 v47, 0
	global_store_dword v[2:3], v0, off sc1
                                        ; implicit-def: $sgpr28_sgpr29
	s_branch .LBB351_47
.LBB351_45:                             ;   in Loop: Header=BB351_47 Depth=1
	s_or_b64 exec, exec, s[30:31]
.LBB351_46:                             ;   in Loop: Header=BB351_47 Depth=1
	s_or_b64 exec, exec, s[28:29]
	v_and_b32_e32 v4, 0x3fffffff, v0
	v_add_u32_e32 v47, v4, v47
	v_cmp_gt_i32_e64 s[28:29], -2.0, v0
	s_and_b64 s[30:31], exec, s[28:29]
	s_or_b64 s[24:25], s[30:31], s[24:25]
	s_andn2_b64 exec, exec, s[24:25]
	s_cbranch_execz .LBB351_52
.LBB351_47:                             ; =>This Loop Header: Depth=1
                                        ;     Child Loop BB351_50 Depth 2
	s_or_b64 s[28:29], s[28:29], exec
	s_cmp_eq_u32 s35, 0
	s_cbranch_scc1 .LBB351_51
; %bb.48:                               ;   in Loop: Header=BB351_47 Depth=1
	s_add_i32 s35, s35, -1
	v_lshl_or_b32 v0, s35, 8, v8
	v_lshl_add_u64 v[4:5], v[0:1], 2, s[52:53]
	global_load_dword v0, v[4:5], off sc1
	s_waitcnt vmcnt(0)
	v_cmp_gt_u32_e32 vcc, 2.0, v0
	s_and_saveexec_b64 s[28:29], vcc
	s_cbranch_execz .LBB351_46
; %bb.49:                               ;   in Loop: Header=BB351_47 Depth=1
	s_mov_b64 s[30:31], 0
.LBB351_50:                             ;   Parent Loop BB351_47 Depth=1
                                        ; =>  This Inner Loop Header: Depth=2
	global_load_dword v0, v[4:5], off sc1
	s_waitcnt vmcnt(0)
	v_cmp_lt_u32_e32 vcc, s34, v0
	s_or_b64 s[30:31], vcc, s[30:31]
	s_andn2_b64 exec, exec, s[30:31]
	s_cbranch_execnz .LBB351_50
	s_branch .LBB351_45
.LBB351_51:                             ;   in Loop: Header=BB351_47 Depth=1
                                        ; implicit-def: $sgpr35
	s_and_b64 s[30:31], exec, s[28:29]
	s_or_b64 s[24:25], s[30:31], s[24:25]
	s_andn2_b64 exec, exec, s[24:25]
	s_cbranch_execnz .LBB351_47
.LBB351_52:
	s_or_b64 exec, exec, s[24:25]
	v_add_u32_e32 v0, v47, v7
	v_or_b32_e32 v0, 0x80000000, v0
	global_store_dword v[2:3], v0, off sc1
	global_load_dword v0, v21, s[44:45]
	v_sub_u32_e32 v1, v47, v6
	s_waitcnt vmcnt(0)
	v_add_u32_e32 v0, v1, v0
	ds_write_b32 v21, v0
.LBB351_53:
	s_or_b64 exec, exec, s[22:23]
	s_load_dwordx2 s[22:23], s[0:1], 0x4
	v_add_u32_e32 v2, v44, v23
	v_add3_u32 v3, v24, v17, v45
	v_add3_u32 v4, v29, v25, v46
	;; [unrolled: 1-line block ×3, first 2 shown]
	s_waitcnt lgkmcnt(0)
	s_lshr_b32 s0, s22, 16
	s_mul_i32 s0, s0, s23
	v_mul_lo_u32 v0, s0, v8
	v_mad_u32_u24 v0, v9, s23, v0
	v_add_lshl_u32 v0, v0, v18, 5
	v_add3_u32 v17, v38, v35, v22
	v_add3_u32 v22, v40, v39, v26
	;; [unrolled: 1-line block ×4, first 2 shown]
	v_add_u32_e32 v37, 0x5050, v0
	v_add_u32_e32 v25, 0x5060, v0
	v_lshlrev_b32_e32 v26, 2, v24
	v_lshlrev_b32_e32 v28, 2, v23
	;; [unrolled: 1-line block ×8, first 2 shown]
	s_mov_b64 s[0:1], -1
	s_mov_b32 s24, 0
	s_brev_b32 s25, -2
	v_mov_b32_e32 v1, 0
	s_movk_i32 s28, 0x400
	s_movk_i32 s29, 0x800
	;; [unrolled: 1-line block ×3, first 2 shown]
	v_bfrev_b32_e32 v38, 1
	v_mov_b32_e32 v39, v2
	v_mov_b32_e32 v40, v3
	;; [unrolled: 1-line block ×10, first 2 shown]
	s_branch .LBB351_55
.LBB351_54:                             ;   in Loop: Header=BB351_55 Depth=1
	s_or_b64 exec, exec, s[22:23]
	s_xor_b64 s[22:23], s[0:1], -1
	v_add_u32_e32 v47, 0x1000, v47
	s_addk_i32 s24, 0xc000
	s_mov_b64 s[0:1], 0
	s_and_b64 vcc, exec, s[22:23]
	v_mov_b32_e32 v48, v25
	s_waitcnt lgkmcnt(0)
	s_barrier
	s_cbranch_vccnz .LBB351_79
.LBB351_55:                             ; =>This Inner Loop Header: Depth=1
	v_subrev_co_u32_e32 v39, vcc, 0x1000, v39
	s_and_saveexec_b64 s[22:23], vcc
	s_cbranch_execz .LBB351_63
; %bb.56:                               ;   in Loop: Header=BB351_55 Depth=1
	v_add_u32_e32 v0, s24, v35
	ds_write_b32 v0, v11 offset:1024
	s_or_b64 exec, exec, s[22:23]
	v_subrev_co_u32_e32 v40, vcc, 0x1000, v40
	s_and_saveexec_b64 s[22:23], vcc
	s_cbranch_execnz .LBB351_64
.LBB351_57:                             ;   in Loop: Header=BB351_55 Depth=1
	s_or_b64 exec, exec, s[22:23]
	v_subrev_co_u32_e32 v41, vcc, 0x1000, v41
	s_and_saveexec_b64 s[22:23], vcc
	s_cbranch_execz .LBB351_65
.LBB351_58:                             ;   in Loop: Header=BB351_55 Depth=1
	v_add_u32_e32 v0, s24, v33
	ds_write_b32 v0, v16 offset:1024
	s_or_b64 exec, exec, s[22:23]
	v_subrev_co_u32_e32 v42, vcc, 0x1000, v42
	s_and_saveexec_b64 s[22:23], vcc
	s_cbranch_execnz .LBB351_66
.LBB351_59:                             ;   in Loop: Header=BB351_55 Depth=1
	s_or_b64 exec, exec, s[22:23]
	v_subrev_co_u32_e32 v43, vcc, 0x1000, v43
	s_and_saveexec_b64 s[22:23], vcc
	s_cbranch_execz .LBB351_67
.LBB351_60:                             ;   in Loop: Header=BB351_55 Depth=1
	v_add_u32_e32 v0, s24, v30
	ds_write_b32 v0, v15 offset:1024
	s_or_b64 exec, exec, s[22:23]
	v_subrev_co_u32_e32 v44, vcc, 0x1000, v44
	s_and_saveexec_b64 s[22:23], vcc
	s_cbranch_execnz .LBB351_68
.LBB351_61:                             ;   in Loop: Header=BB351_55 Depth=1
	s_or_b64 exec, exec, s[22:23]
	v_subrev_co_u32_e32 v45, vcc, 0x1000, v45
	s_and_saveexec_b64 s[22:23], vcc
	s_cbranch_execz .LBB351_69
.LBB351_62:                             ;   in Loop: Header=BB351_55 Depth=1
	v_add_u32_e32 v0, s24, v28
	ds_write_b32 v0, v31 offset:1024
	s_or_b64 exec, exec, s[22:23]
	v_subrev_co_u32_e32 v46, vcc, 0x1000, v46
	s_and_saveexec_b64 s[22:23], vcc
	s_cbranch_execnz .LBB351_70
	s_branch .LBB351_71
.LBB351_63:                             ;   in Loop: Header=BB351_55 Depth=1
	s_or_b64 exec, exec, s[22:23]
	v_subrev_co_u32_e32 v40, vcc, 0x1000, v40
	s_and_saveexec_b64 s[22:23], vcc
	s_cbranch_execz .LBB351_57
.LBB351_64:                             ;   in Loop: Header=BB351_55 Depth=1
	v_add_u32_e32 v0, s24, v34
	ds_write_b32 v0, v13 offset:1024
	s_or_b64 exec, exec, s[22:23]
	v_subrev_co_u32_e32 v41, vcc, 0x1000, v41
	s_and_saveexec_b64 s[22:23], vcc
	s_cbranch_execnz .LBB351_58
.LBB351_65:                             ;   in Loop: Header=BB351_55 Depth=1
	s_or_b64 exec, exec, s[22:23]
	v_subrev_co_u32_e32 v42, vcc, 0x1000, v42
	s_and_saveexec_b64 s[22:23], vcc
	s_cbranch_execz .LBB351_59
.LBB351_66:                             ;   in Loop: Header=BB351_55 Depth=1
	v_add_u32_e32 v0, s24, v32
	ds_write_b32 v0, v14 offset:1024
	s_or_b64 exec, exec, s[22:23]
	v_subrev_co_u32_e32 v43, vcc, 0x1000, v43
	s_and_saveexec_b64 s[22:23], vcc
	s_cbranch_execnz .LBB351_60
.LBB351_67:                             ;   in Loop: Header=BB351_55 Depth=1
	s_or_b64 exec, exec, s[22:23]
	v_subrev_co_u32_e32 v44, vcc, 0x1000, v44
	s_and_saveexec_b64 s[22:23], vcc
	s_cbranch_execz .LBB351_61
.LBB351_68:                             ;   in Loop: Header=BB351_55 Depth=1
	v_add_u32_e32 v0, s24, v29
	ds_write_b32 v0, v27 offset:1024
	s_or_b64 exec, exec, s[22:23]
	v_subrev_co_u32_e32 v45, vcc, 0x1000, v45
	s_and_saveexec_b64 s[22:23], vcc
	s_cbranch_execnz .LBB351_62
.LBB351_69:                             ;   in Loop: Header=BB351_55 Depth=1
	s_or_b64 exec, exec, s[22:23]
	v_subrev_co_u32_e32 v46, vcc, 0x1000, v46
	s_and_saveexec_b64 s[22:23], vcc
.LBB351_70:                             ;   in Loop: Header=BB351_55 Depth=1
	v_add_u32_e32 v0, s24, v26
	ds_write_b32 v0, v36 offset:1024
.LBB351_71:                             ;   in Loop: Header=BB351_55 Depth=1
	s_or_b64 exec, exec, s[22:23]
	v_cmp_gt_u32_e32 vcc, s5, v47
	s_waitcnt lgkmcnt(0)
	s_barrier
	s_and_saveexec_b64 s[22:23], vcc
	s_cbranch_execz .LBB351_73
; %bb.72:                               ;   in Loop: Header=BB351_55 Depth=1
	ds_read_b32 v0, v21 offset:1024
	s_waitcnt lgkmcnt(0)
	v_cmp_ne_u32_e32 vcc, s25, v0
	s_nop 1
	v_cndmask_b32_e32 v49, v38, v0, vcc
	v_lshrrev_b32_e32 v49, s48, v49
	v_and_b32_e32 v49, s54, v49
	v_lshlrev_b32_e32 v50, 2, v49
	ds_read_b32 v50, v50
	v_cmp_lt_i32_e32 vcc, -1, v0
	ds_write_b32 v48, v49
	s_nop 0
	v_cndmask_b32_e64 v51, v38, -1, vcc
	v_xor_b32_e32 v52, v51, v0
	s_waitcnt lgkmcnt(1)
	v_add_u32_e32 v0, v47, v50
	v_lshl_add_u64 v[50:51], v[0:1], 2, s[38:39]
	global_store_dword v[50:51], v52, off
.LBB351_73:                             ;   in Loop: Header=BB351_55 Depth=1
	s_or_b64 exec, exec, s[22:23]
	v_add_u32_e32 v0, 0x400, v47
	v_cmp_gt_u32_e32 vcc, s5, v0
	s_and_saveexec_b64 s[22:23], vcc
	s_cbranch_execz .LBB351_75
; %bb.74:                               ;   in Loop: Header=BB351_55 Depth=1
	ds_read_b32 v0, v21 offset:5120
	s_waitcnt lgkmcnt(0)
	v_cmp_ne_u32_e32 vcc, s25, v0
	s_nop 1
	v_cndmask_b32_e32 v49, v38, v0, vcc
	v_lshrrev_b32_e32 v49, s48, v49
	v_and_b32_e32 v49, s54, v49
	v_lshlrev_b32_e32 v50, 2, v49
	ds_read_b32 v50, v50
	v_cmp_lt_i32_e32 vcc, -1, v0
	ds_write_b32 v48, v49 offset:4
	s_nop 0
	v_cndmask_b32_e64 v51, v38, -1, vcc
	v_xor_b32_e32 v52, v51, v0
	s_waitcnt lgkmcnt(1)
	v_add3_u32 v0, v47, v50, s28
	v_lshl_add_u64 v[50:51], v[0:1], 2, s[38:39]
	global_store_dword v[50:51], v52, off
.LBB351_75:                             ;   in Loop: Header=BB351_55 Depth=1
	s_or_b64 exec, exec, s[22:23]
	v_add_u32_e32 v0, 0x800, v47
	v_cmp_gt_u32_e32 vcc, s5, v0
	s_and_saveexec_b64 s[22:23], vcc
	s_cbranch_execz .LBB351_77
; %bb.76:                               ;   in Loop: Header=BB351_55 Depth=1
	ds_read_b32 v0, v21 offset:9216
	s_waitcnt lgkmcnt(0)
	v_cmp_ne_u32_e32 vcc, s25, v0
	s_nop 1
	v_cndmask_b32_e32 v49, v38, v0, vcc
	v_lshrrev_b32_e32 v49, s48, v49
	v_and_b32_e32 v49, s54, v49
	v_lshlrev_b32_e32 v50, 2, v49
	ds_read_b32 v50, v50
	v_cmp_lt_i32_e32 vcc, -1, v0
	ds_write_b32 v48, v49 offset:8
	s_nop 0
	v_cndmask_b32_e64 v51, v38, -1, vcc
	v_xor_b32_e32 v52, v51, v0
	s_waitcnt lgkmcnt(1)
	v_add3_u32 v0, v47, v50, s29
	v_lshl_add_u64 v[50:51], v[0:1], 2, s[38:39]
	global_store_dword v[50:51], v52, off
.LBB351_77:                             ;   in Loop: Header=BB351_55 Depth=1
	s_or_b64 exec, exec, s[22:23]
	v_add_u32_e32 v0, 0xc00, v47
	v_cmp_gt_u32_e32 vcc, s5, v0
	s_and_saveexec_b64 s[22:23], vcc
	s_cbranch_execz .LBB351_54
; %bb.78:                               ;   in Loop: Header=BB351_55 Depth=1
	ds_read_b32 v0, v21 offset:13312
	s_waitcnt lgkmcnt(0)
	v_cmp_ne_u32_e32 vcc, s25, v0
	s_nop 1
	v_cndmask_b32_e32 v49, v38, v0, vcc
	v_lshrrev_b32_e32 v49, s48, v49
	v_and_b32_e32 v49, s54, v49
	v_lshlrev_b32_e32 v50, 2, v49
	ds_read_b32 v50, v50
	v_cmp_lt_i32_e32 vcc, -1, v0
	ds_write_b32 v48, v49 offset:12
	s_nop 0
	v_cndmask_b32_e64 v51, v38, -1, vcc
	v_xor_b32_e32 v52, v51, v0
	s_waitcnt lgkmcnt(1)
	v_add3_u32 v0, v47, v50, s30
	v_lshl_add_u64 v[50:51], v[0:1], 2, s[38:39]
	global_store_dword v[50:51], v52, off
	s_branch .LBB351_54
.LBB351_79:
	s_add_u32 s0, s40, s50
	s_addc_u32 s1, s41, s51
	v_mov_b32_e32 v11, 0
	v_lshl_add_u64 v[0:1], s[0:1], 0, v[10:11]
	v_mov_b32_e32 v13, v11
	v_lshl_add_u64 v[0:1], v[0:1], 0, v[12:13]
                                        ; implicit-def: $vgpr10
	s_and_saveexec_b64 s[0:1], s[18:19]
	s_cbranch_execz .LBB351_87
; %bb.80:
	global_load_dword v10, v[0:1], off
	s_or_b64 exec, exec, s[0:1]
                                        ; implicit-def: $vgpr11
	s_and_saveexec_b64 s[0:1], s[26:27]
	s_cbranch_execnz .LBB351_88
.LBB351_81:
	s_or_b64 exec, exec, s[0:1]
                                        ; implicit-def: $vgpr12
	s_and_saveexec_b64 s[0:1], s[6:7]
	s_cbranch_execz .LBB351_89
.LBB351_82:
	global_load_dword v12, v[0:1], off offset:512
	s_or_b64 exec, exec, s[0:1]
                                        ; implicit-def: $vgpr13
	s_and_saveexec_b64 s[0:1], s[8:9]
	s_cbranch_execnz .LBB351_90
.LBB351_83:
	s_or_b64 exec, exec, s[0:1]
                                        ; implicit-def: $vgpr14
	s_and_saveexec_b64 s[0:1], s[10:11]
	s_cbranch_execz .LBB351_91
.LBB351_84:
	global_load_dword v14, v[0:1], off offset:1024
	s_or_b64 exec, exec, s[0:1]
                                        ; implicit-def: $vgpr15
	s_and_saveexec_b64 s[0:1], s[12:13]
	s_cbranch_execnz .LBB351_92
.LBB351_85:
	s_or_b64 exec, exec, s[0:1]
                                        ; implicit-def: $vgpr16
	s_and_saveexec_b64 s[0:1], s[14:15]
	s_cbranch_execz .LBB351_93
.LBB351_86:
	global_load_dword v16, v[0:1], off offset:1536
	s_or_b64 exec, exec, s[0:1]
                                        ; implicit-def: $vgpr27
	s_and_saveexec_b64 s[0:1], s[16:17]
	s_cbranch_execnz .LBB351_94
	s_branch .LBB351_95
.LBB351_87:
	s_or_b64 exec, exec, s[0:1]
                                        ; implicit-def: $vgpr11
	s_and_saveexec_b64 s[0:1], s[26:27]
	s_cbranch_execz .LBB351_81
.LBB351_88:
	global_load_dword v11, v[0:1], off offset:256
	s_or_b64 exec, exec, s[0:1]
                                        ; implicit-def: $vgpr12
	s_and_saveexec_b64 s[0:1], s[6:7]
	s_cbranch_execnz .LBB351_82
.LBB351_89:
	s_or_b64 exec, exec, s[0:1]
                                        ; implicit-def: $vgpr13
	s_and_saveexec_b64 s[0:1], s[8:9]
	s_cbranch_execz .LBB351_83
.LBB351_90:
	global_load_dword v13, v[0:1], off offset:768
	s_or_b64 exec, exec, s[0:1]
                                        ; implicit-def: $vgpr14
	s_and_saveexec_b64 s[0:1], s[10:11]
	s_cbranch_execnz .LBB351_84
.LBB351_91:
	s_or_b64 exec, exec, s[0:1]
                                        ; implicit-def: $vgpr15
	s_and_saveexec_b64 s[0:1], s[12:13]
	s_cbranch_execz .LBB351_85
.LBB351_92:
	global_load_dword v15, v[0:1], off offset:1280
	s_or_b64 exec, exec, s[0:1]
                                        ; implicit-def: $vgpr16
	s_and_saveexec_b64 s[0:1], s[14:15]
	s_cbranch_execnz .LBB351_86
.LBB351_93:
	s_or_b64 exec, exec, s[0:1]
                                        ; implicit-def: $vgpr27
	s_and_saveexec_b64 s[0:1], s[16:17]
	s_cbranch_execz .LBB351_95
.LBB351_94:
	global_load_dword v27, v[0:1], off offset:1792
.LBB351_95:
	s_or_b64 exec, exec, s[0:1]
	s_mov_b64 s[0:1], -1
	s_mov_b32 s8, 0
	v_mov_b32_e32 v1, 0
	s_movk_i32 s9, 0x400
	s_movk_i32 s10, 0x800
	;; [unrolled: 1-line block ×3, first 2 shown]
	v_mov_b32_e32 v31, v8
	s_waitcnt vmcnt(0)
	s_branch .LBB351_97
.LBB351_96:                             ;   in Loop: Header=BB351_97 Depth=1
	s_or_b64 exec, exec, s[6:7]
	s_xor_b64 s[6:7], s[0:1], -1
	v_add_u32_e32 v31, 0x1000, v31
	s_addk_i32 s8, 0xc000
	s_mov_b64 s[0:1], 0
	s_and_b64 vcc, exec, s[6:7]
	v_mov_b32_e32 v37, v25
	s_barrier
	s_cbranch_vccnz .LBB351_121
.LBB351_97:                             ; =>This Inner Loop Header: Depth=1
	v_subrev_co_u32_e32 v2, vcc, 0x1000, v2
	s_and_saveexec_b64 s[6:7], vcc
	s_cbranch_execz .LBB351_105
; %bb.98:                               ;   in Loop: Header=BB351_97 Depth=1
	v_add_u32_e32 v0, s8, v35
	ds_write_b32 v0, v10 offset:1024
	s_or_b64 exec, exec, s[6:7]
	v_subrev_co_u32_e32 v3, vcc, 0x1000, v3
	s_and_saveexec_b64 s[6:7], vcc
	s_cbranch_execnz .LBB351_106
.LBB351_99:                             ;   in Loop: Header=BB351_97 Depth=1
	s_or_b64 exec, exec, s[6:7]
	v_subrev_co_u32_e32 v4, vcc, 0x1000, v4
	s_and_saveexec_b64 s[6:7], vcc
	s_cbranch_execz .LBB351_107
.LBB351_100:                            ;   in Loop: Header=BB351_97 Depth=1
	v_add_u32_e32 v0, s8, v33
	ds_write_b32 v0, v12 offset:1024
	s_or_b64 exec, exec, s[6:7]
	v_subrev_co_u32_e32 v5, vcc, 0x1000, v5
	s_and_saveexec_b64 s[6:7], vcc
	s_cbranch_execnz .LBB351_108
.LBB351_101:                            ;   in Loop: Header=BB351_97 Depth=1
	s_or_b64 exec, exec, s[6:7]
	v_subrev_co_u32_e32 v17, vcc, 0x1000, v17
	s_and_saveexec_b64 s[6:7], vcc
	s_cbranch_execz .LBB351_109
.LBB351_102:                            ;   in Loop: Header=BB351_97 Depth=1
	v_add_u32_e32 v0, s8, v30
	ds_write_b32 v0, v14 offset:1024
	s_or_b64 exec, exec, s[6:7]
	v_subrev_co_u32_e32 v22, vcc, 0x1000, v22
	s_and_saveexec_b64 s[6:7], vcc
	s_cbranch_execnz .LBB351_110
.LBB351_103:                            ;   in Loop: Header=BB351_97 Depth=1
	s_or_b64 exec, exec, s[6:7]
	v_subrev_co_u32_e32 v23, vcc, 0x1000, v23
	s_and_saveexec_b64 s[6:7], vcc
	s_cbranch_execz .LBB351_111
.LBB351_104:                            ;   in Loop: Header=BB351_97 Depth=1
	v_add_u32_e32 v0, s8, v28
	ds_write_b32 v0, v16 offset:1024
	s_or_b64 exec, exec, s[6:7]
	v_subrev_co_u32_e32 v24, vcc, 0x1000, v24
	s_and_saveexec_b64 s[6:7], vcc
	s_cbranch_execnz .LBB351_112
	s_branch .LBB351_113
.LBB351_105:                            ;   in Loop: Header=BB351_97 Depth=1
	s_or_b64 exec, exec, s[6:7]
	v_subrev_co_u32_e32 v3, vcc, 0x1000, v3
	s_and_saveexec_b64 s[6:7], vcc
	s_cbranch_execz .LBB351_99
.LBB351_106:                            ;   in Loop: Header=BB351_97 Depth=1
	v_add_u32_e32 v0, s8, v34
	ds_write_b32 v0, v11 offset:1024
	s_or_b64 exec, exec, s[6:7]
	v_subrev_co_u32_e32 v4, vcc, 0x1000, v4
	s_and_saveexec_b64 s[6:7], vcc
	s_cbranch_execnz .LBB351_100
.LBB351_107:                            ;   in Loop: Header=BB351_97 Depth=1
	s_or_b64 exec, exec, s[6:7]
	v_subrev_co_u32_e32 v5, vcc, 0x1000, v5
	s_and_saveexec_b64 s[6:7], vcc
	s_cbranch_execz .LBB351_101
.LBB351_108:                            ;   in Loop: Header=BB351_97 Depth=1
	v_add_u32_e32 v0, s8, v32
	ds_write_b32 v0, v13 offset:1024
	s_or_b64 exec, exec, s[6:7]
	v_subrev_co_u32_e32 v17, vcc, 0x1000, v17
	s_and_saveexec_b64 s[6:7], vcc
	s_cbranch_execnz .LBB351_102
.LBB351_109:                            ;   in Loop: Header=BB351_97 Depth=1
	s_or_b64 exec, exec, s[6:7]
	v_subrev_co_u32_e32 v22, vcc, 0x1000, v22
	s_and_saveexec_b64 s[6:7], vcc
	s_cbranch_execz .LBB351_103
.LBB351_110:                            ;   in Loop: Header=BB351_97 Depth=1
	v_add_u32_e32 v0, s8, v29
	ds_write_b32 v0, v15 offset:1024
	s_or_b64 exec, exec, s[6:7]
	v_subrev_co_u32_e32 v23, vcc, 0x1000, v23
	s_and_saveexec_b64 s[6:7], vcc
	s_cbranch_execnz .LBB351_104
.LBB351_111:                            ;   in Loop: Header=BB351_97 Depth=1
	s_or_b64 exec, exec, s[6:7]
	v_subrev_co_u32_e32 v24, vcc, 0x1000, v24
	s_and_saveexec_b64 s[6:7], vcc
.LBB351_112:                            ;   in Loop: Header=BB351_97 Depth=1
	v_add_u32_e32 v0, s8, v26
	ds_write_b32 v0, v27 offset:1024
.LBB351_113:                            ;   in Loop: Header=BB351_97 Depth=1
	s_or_b64 exec, exec, s[6:7]
	v_cmp_gt_u32_e32 vcc, s5, v31
	s_waitcnt lgkmcnt(0)
	s_barrier
	s_and_saveexec_b64 s[6:7], vcc
	s_cbranch_execz .LBB351_115
; %bb.114:                              ;   in Loop: Header=BB351_97 Depth=1
	ds_read_b32 v0, v37
	s_waitcnt lgkmcnt(0)
	v_lshlrev_b32_e32 v0, 2, v0
	ds_read_b32 v0, v0
	ds_read_b32 v36, v21 offset:1024
	s_waitcnt lgkmcnt(1)
	v_add_u32_e32 v0, v31, v0
	v_lshl_add_u64 v[38:39], v[0:1], 2, s[42:43]
	s_waitcnt lgkmcnt(0)
	global_store_dword v[38:39], v36, off
.LBB351_115:                            ;   in Loop: Header=BB351_97 Depth=1
	s_or_b64 exec, exec, s[6:7]
	v_add_u32_e32 v0, 0x400, v31
	v_cmp_gt_u32_e32 vcc, s5, v0
	s_and_saveexec_b64 s[6:7], vcc
	s_cbranch_execz .LBB351_117
; %bb.116:                              ;   in Loop: Header=BB351_97 Depth=1
	ds_read_b32 v0, v37 offset:4
	s_waitcnt lgkmcnt(0)
	v_lshlrev_b32_e32 v0, 2, v0
	ds_read_b32 v0, v0
	ds_read_b32 v36, v21 offset:5120
	s_waitcnt lgkmcnt(1)
	v_add3_u32 v0, v31, v0, s9
	v_lshl_add_u64 v[38:39], v[0:1], 2, s[42:43]
	s_waitcnt lgkmcnt(0)
	global_store_dword v[38:39], v36, off
.LBB351_117:                            ;   in Loop: Header=BB351_97 Depth=1
	s_or_b64 exec, exec, s[6:7]
	v_add_u32_e32 v0, 0x800, v31
	v_cmp_gt_u32_e32 vcc, s5, v0
	s_and_saveexec_b64 s[6:7], vcc
	s_cbranch_execz .LBB351_119
; %bb.118:                              ;   in Loop: Header=BB351_97 Depth=1
	ds_read_b32 v0, v37 offset:8
	s_waitcnt lgkmcnt(0)
	v_lshlrev_b32_e32 v0, 2, v0
	ds_read_b32 v0, v0
	ds_read_b32 v36, v21 offset:9216
	s_waitcnt lgkmcnt(1)
	v_add3_u32 v0, v31, v0, s10
	v_lshl_add_u64 v[38:39], v[0:1], 2, s[42:43]
	s_waitcnt lgkmcnt(0)
	global_store_dword v[38:39], v36, off
.LBB351_119:                            ;   in Loop: Header=BB351_97 Depth=1
	s_or_b64 exec, exec, s[6:7]
	v_add_u32_e32 v0, 0xc00, v31
	v_cmp_gt_u32_e32 vcc, s5, v0
	s_and_saveexec_b64 s[6:7], vcc
	s_cbranch_execz .LBB351_96
; %bb.120:                              ;   in Loop: Header=BB351_97 Depth=1
	ds_read_b32 v0, v37 offset:12
	s_waitcnt lgkmcnt(0)
	v_lshlrev_b32_e32 v0, 2, v0
	ds_read_b32 v0, v0
	ds_read_b32 v38, v21 offset:13312
	s_waitcnt lgkmcnt(1)
	v_add3_u32 v0, v31, v0, s11
	v_lshl_add_u64 v[36:37], v[0:1], 2, s[42:43]
	s_waitcnt lgkmcnt(0)
	global_store_dword v[36:37], v38, off
	s_branch .LBB351_96
.LBB351_121:
	s_add_i32 s33, s33, -1
	s_cmp_eq_u32 s4, s33
	s_cselect_b64 s[0:1], -1, 0
	s_xor_b64 s[6:7], s[20:21], -1
	s_and_b64 s[6:7], s[6:7], s[0:1]
	s_and_saveexec_b64 s[0:1], s[6:7]
	s_cbranch_execz .LBB351_123
; %bb.122:
	ds_read_b32 v0, v21
	s_waitcnt lgkmcnt(0)
	v_add3_u32 v0, v6, v7, v0
	global_store_dword v21, v0, s[46:47]
.LBB351_123:
	s_or_b64 exec, exec, s[0:1]
	s_mov_b64 s[6:7], 0
.LBB351_124:
	s_and_b64 vcc, exec, s[6:7]
	s_cbranch_vccz .LBB351_199
; %bb.125:
	s_lshl_b32 s0, s4, 13
	s_mov_b32 s1, 0
	s_lshl_b64 s[10:11], s[0:1], 2
	v_mbcnt_hi_u32_b32 v10, -1, v20
	s_add_u32 s0, s36, s10
	v_and_b32_e32 v0, 63, v10
	v_mov_b32_e32 v5, 0
	s_addc_u32 s1, s37, s11
	v_lshlrev_b32_e32 v0, 2, v0
	v_mov_b32_e32 v1, v5
	v_lshl_add_u64 v[6:7], s[0:1], 0, v[0:1]
	s_load_dword s5, s[2:3], 0x58
	s_load_dword s0, s[2:3], 0x64
	v_and_b32_e32 v2, 0x1e00, v19
	v_lshlrev_b32_e32 v2, 2, v2
	v_mov_b32_e32 v3, v5
	v_lshl_add_u64 v[6:7], v[6:7], 0, v[2:3]
	global_load_dword v1, v[6:7], off
	s_add_u32 s1, s2, 0x58
	s_addc_u32 s2, s3, 0
	s_waitcnt lgkmcnt(0)
	s_lshr_b32 s3, s0, 16
	s_cmp_lt_u32 s4, s5
	s_cselect_b32 s0, 12, 18
	s_add_u32 s0, s1, s0
	s_addc_u32 s1, s2, 0
	global_load_ushort v4, v5, s[0:1]
	v_mul_u32_u24_e32 v11, 20, v8
	ds_write2_b32 v11, v5, v5 offset0:16 offset1:17
	ds_write2_b32 v11, v5, v5 offset0:18 offset1:19
	ds_write_b32 v11, v5 offset:80
	global_load_dword v3, v[6:7], off offset:256
	global_load_dword v20, v[6:7], off offset:512
	;; [unrolled: 1-line block ×7, first 2 shown]
	v_bfrev_b32_e32 v13, 1
	s_brev_b32 s12, -2
	v_mad_u32_u24 v6, v18, s3, v9
	s_lshl_b32 s2, -1, s49
	s_movk_i32 s13, 0x44
	v_mov_b32_e32 v28, v5
	v_mov_b32_e32 v30, v5
	v_mov_b32_e32 v32, v5
	s_not_b32 s14, s2
	v_mov_b32_e32 v34, v5
	s_waitcnt lgkmcnt(0)
	s_barrier
	s_waitcnt vmcnt(8)
	; wave barrier
	v_cmp_lt_i32_e32 vcc, -1, v1
	s_nop 1
	v_cndmask_b32_e32 v7, -1, v13, vcc
	v_xor_b32_e32 v1, v7, v1
	v_cmp_ne_u32_e32 vcc, s12, v1
	s_nop 1
	v_cndmask_b32_e32 v7, v13, v1, vcc
	v_lshrrev_b32_e32 v9, s48, v7
	s_waitcnt vmcnt(7)
	v_mad_u64_u32 v[6:7], s[0:1], v6, v4, v[8:9]
	v_bitop3_b32 v9, v9, s2, v9 bitop3:0x30
	v_lshrrev_b32_e32 v24, 6, v6
	v_mul_lo_u32 v6, v9, s13
	v_and_b32_e32 v4, 1, v9
	v_lshlrev_b32_e32 v29, 30, v9
	v_lshlrev_b32_e32 v31, 29, v9
	v_lshl_add_u32 v15, v24, 2, v6
	v_lshl_add_u64 v[6:7], v[4:5], 0, -1
	v_cmp_ne_u32_e32 vcc, 0, v4
	v_not_b32_e32 v4, v29
	v_lshlrev_b32_e32 v33, 28, v9
	v_cmp_gt_i64_e64 s[0:1], 0, v[28:29]
	v_not_b32_e32 v12, v31
	v_xor_b32_e32 v7, vcc_hi, v7
	v_xor_b32_e32 v6, vcc_lo, v6
	v_ashrrev_i32_e32 v4, 31, v4
	v_lshlrev_b32_e32 v35, 27, v9
	v_cmp_gt_i64_e64 s[2:3], 0, v[30:31]
	v_not_b32_e32 v16, v33
	v_ashrrev_i32_e32 v12, 31, v12
	v_and_b32_e32 v7, exec_hi, v7
	v_and_b32_e32 v6, exec_lo, v6
	v_xor_b32_e32 v19, s1, v4
	v_xor_b32_e32 v4, s0, v4
	v_cmp_gt_i64_e64 s[6:7], 0, v[32:33]
	v_not_b32_e32 v18, v35
	v_ashrrev_i32_e32 v16, 31, v16
	v_xor_b32_e32 v22, s3, v12
	v_xor_b32_e32 v12, s2, v12
	v_and_b32_e32 v7, v7, v19
	v_and_b32_e32 v4, v6, v4
	v_cmp_gt_i64_e64 s[8:9], 0, v[34:35]
	v_ashrrev_i32_e32 v18, 31, v18
	v_xor_b32_e32 v25, s7, v16
	v_xor_b32_e32 v16, s6, v16
	v_and_b32_e32 v6, v7, v22
	v_and_b32_e32 v4, v4, v12
	v_xor_b32_e32 v26, s9, v18
	v_and_b32_e32 v6, v6, v25
	v_and_b32_e32 v4, v4, v16
	;; [unrolled: 3-line block ×3, first 2 shown]
	v_lshlrev_b32_e32 v7, 26, v9
	v_mov_b32_e32 v6, v5
	v_cmp_gt_i64_e32 vcc, 0, v[6:7]
	v_not_b32_e32 v6, v7
	v_ashrrev_i32_e32 v6, 31, v6
	v_xor_b32_e32 v7, vcc_hi, v6
	v_xor_b32_e32 v6, vcc_lo, v6
	v_and_b32_e32 v12, v12, v7
	v_and_b32_e32 v4, v4, v6
	v_lshlrev_b32_e32 v7, 25, v9
	v_mov_b32_e32 v6, v5
	v_cmp_gt_i64_e32 vcc, 0, v[6:7]
	v_not_b32_e32 v6, v7
	v_ashrrev_i32_e32 v6, 31, v6
	v_xor_b32_e32 v7, vcc_hi, v6
	v_xor_b32_e32 v6, vcc_lo, v6
	v_and_b32_e32 v12, v12, v7
	v_and_b32_e32 v4, v4, v6
	;; [unrolled: 9-line block ×3, first 2 shown]
	v_mbcnt_lo_u32_b32 v4, v6, 0
	v_mbcnt_hi_u32_b32 v12, v7, v4
	v_cmp_eq_u32_e32 vcc, 0, v12
	v_cmp_ne_u64_e64 s[0:1], 0, v[6:7]
	s_and_b64 s[2:3], s[0:1], vcc
	s_and_saveexec_b64 s[0:1], s[2:3]
; %bb.126:
	v_bcnt_u32_b32 v4, v6, 0
	v_bcnt_u32_b32 v4, v7, v4
	ds_write_b32 v15, v4 offset:64
; %bb.127:
	s_or_b64 exec, exec, s[0:1]
	s_waitcnt vmcnt(6)
	v_cmp_lt_i32_e32 vcc, -1, v3
	; wave barrier
	s_nop 1
	v_cndmask_b32_e32 v4, -1, v13, vcc
	v_xor_b32_e32 v3, v4, v3
	v_cmp_ne_u32_e32 vcc, s12, v3
	s_nop 1
	v_cndmask_b32_e32 v4, v13, v3, vcc
	v_lshrrev_b32_e32 v4, s48, v4
	v_and_b32_e32 v9, s14, v4
	v_mul_lo_u32 v4, v9, s13
	v_lshl_add_u32 v19, v24, 2, v4
	v_and_b32_e32 v4, 1, v9
	v_lshl_add_u64 v[6:7], v[4:5], 0, -1
	v_cmp_ne_u32_e32 vcc, 0, v4
	ds_read_b32 v13, v19 offset:64
	s_nop 0
	v_xor_b32_e32 v6, vcc_lo, v6
	v_xor_b32_e32 v4, vcc_hi, v7
	v_and_b32_e32 v16, exec_lo, v6
	v_lshlrev_b32_e32 v7, 30, v9
	v_mov_b32_e32 v6, v5
	v_cmp_gt_i64_e32 vcc, 0, v[6:7]
	v_not_b32_e32 v6, v7
	v_ashrrev_i32_e32 v6, 31, v6
	v_and_b32_e32 v4, exec_hi, v4
	v_xor_b32_e32 v7, vcc_hi, v6
	v_xor_b32_e32 v6, vcc_lo, v6
	v_and_b32_e32 v4, v4, v7
	v_and_b32_e32 v16, v16, v6
	v_lshlrev_b32_e32 v7, 29, v9
	v_mov_b32_e32 v6, v5
	v_cmp_gt_i64_e32 vcc, 0, v[6:7]
	v_not_b32_e32 v6, v7
	v_ashrrev_i32_e32 v6, 31, v6
	v_xor_b32_e32 v7, vcc_hi, v6
	v_xor_b32_e32 v6, vcc_lo, v6
	v_and_b32_e32 v4, v4, v7
	v_and_b32_e32 v16, v16, v6
	v_lshlrev_b32_e32 v7, 28, v9
	v_mov_b32_e32 v6, v5
	v_cmp_gt_i64_e32 vcc, 0, v[6:7]
	v_not_b32_e32 v6, v7
	v_ashrrev_i32_e32 v6, 31, v6
	;; [unrolled: 9-line block ×5, first 2 shown]
	v_xor_b32_e32 v7, vcc_hi, v6
	v_xor_b32_e32 v6, vcc_lo, v6
	v_and_b32_e32 v4, v4, v7
	v_lshlrev_b32_e32 v7, 24, v9
	v_and_b32_e32 v16, v16, v6
	v_mov_b32_e32 v6, v5
	v_not_b32_e32 v5, v7
	v_cmp_gt_i64_e32 vcc, 0, v[6:7]
	v_ashrrev_i32_e32 v5, 31, v5
	; wave barrier
	s_nop 0
	v_xor_b32_e32 v6, vcc_hi, v5
	v_xor_b32_e32 v7, vcc_lo, v5
	v_and_b32_e32 v5, v4, v6
	v_and_b32_e32 v4, v16, v7
	v_mbcnt_lo_u32_b32 v6, v4, 0
	v_mbcnt_hi_u32_b32 v16, v5, v6
	v_cmp_eq_u32_e32 vcc, 0, v16
	v_cmp_ne_u64_e64 s[0:1], 0, v[4:5]
	s_and_b64 s[2:3], s[0:1], vcc
	s_and_saveexec_b64 s[0:1], s[2:3]
	s_cbranch_execz .LBB351_129
; %bb.128:
	v_bcnt_u32_b32 v4, v4, 0
	v_bcnt_u32_b32 v4, v5, v4
	s_waitcnt lgkmcnt(0)
	v_add_u32_e32 v4, v13, v4
	ds_write_b32 v19, v4 offset:64
.LBB351_129:
	s_or_b64 exec, exec, s[0:1]
	v_bfrev_b32_e32 v22, 1
	s_waitcnt vmcnt(5)
	v_cmp_lt_i32_e32 vcc, -1, v20
	s_brev_b32 s2, -2
	s_movk_i32 s3, 0x44
	v_cndmask_b32_e32 v4, -1, v22, vcc
	v_xor_b32_e32 v9, v4, v20
	v_cmp_ne_u32_e32 vcc, s2, v9
	v_mov_b32_e32 v5, 0
	s_nop 0
	v_cndmask_b32_e32 v4, v22, v9, vcc
	v_lshrrev_b32_e32 v4, s48, v4
	v_and_b32_e32 v20, s14, v4
	v_mul_lo_u32 v4, v20, s3
	v_lshl_add_u32 v25, v24, 2, v4
	v_and_b32_e32 v4, 1, v20
	v_lshl_add_u64 v[6:7], v[4:5], 0, -1
	v_cmp_ne_u32_e32 vcc, 0, v4
	; wave barrier
	ds_read_b32 v18, v25 offset:64
	s_nop 0
	v_xor_b32_e32 v6, vcc_lo, v6
	v_xor_b32_e32 v4, vcc_hi, v7
	v_and_b32_e32 v26, exec_lo, v6
	v_lshlrev_b32_e32 v7, 30, v20
	v_mov_b32_e32 v6, v5
	v_cmp_gt_i64_e32 vcc, 0, v[6:7]
	v_not_b32_e32 v6, v7
	v_ashrrev_i32_e32 v6, 31, v6
	v_and_b32_e32 v4, exec_hi, v4
	v_xor_b32_e32 v7, vcc_hi, v6
	v_xor_b32_e32 v6, vcc_lo, v6
	v_and_b32_e32 v4, v4, v7
	v_and_b32_e32 v26, v26, v6
	v_lshlrev_b32_e32 v7, 29, v20
	v_mov_b32_e32 v6, v5
	v_cmp_gt_i64_e32 vcc, 0, v[6:7]
	v_not_b32_e32 v6, v7
	v_ashrrev_i32_e32 v6, 31, v6
	v_xor_b32_e32 v7, vcc_hi, v6
	v_xor_b32_e32 v6, vcc_lo, v6
	v_and_b32_e32 v4, v4, v7
	v_and_b32_e32 v26, v26, v6
	v_lshlrev_b32_e32 v7, 28, v20
	v_mov_b32_e32 v6, v5
	v_cmp_gt_i64_e32 vcc, 0, v[6:7]
	v_not_b32_e32 v6, v7
	v_ashrrev_i32_e32 v6, 31, v6
	;; [unrolled: 9-line block ×6, first 2 shown]
	v_xor_b32_e32 v7, vcc_hi, v6
	v_xor_b32_e32 v6, vcc_lo, v6
	v_and_b32_e32 v6, v26, v6
	v_and_b32_e32 v7, v4, v7
	v_mbcnt_lo_u32_b32 v4, v6, 0
	v_mbcnt_hi_u32_b32 v20, v7, v4
	v_cmp_eq_u32_e32 vcc, 0, v20
	v_cmp_ne_u64_e64 s[0:1], 0, v[6:7]
	s_and_b64 s[6:7], s[0:1], vcc
	; wave barrier
	s_and_saveexec_b64 s[0:1], s[6:7]
	s_cbranch_execz .LBB351_131
; %bb.130:
	v_bcnt_u32_b32 v4, v6, 0
	v_bcnt_u32_b32 v4, v7, v4
	s_waitcnt lgkmcnt(0)
	v_add_u32_e32 v4, v18, v4
	ds_write_b32 v25, v4 offset:64
.LBB351_131:
	s_or_b64 exec, exec, s[0:1]
	s_waitcnt vmcnt(4)
	v_cmp_lt_i32_e32 vcc, -1, v14
	; wave barrier
	s_nop 1
	v_cndmask_b32_e32 v4, -1, v22, vcc
	v_xor_b32_e32 v14, v4, v14
	v_cmp_ne_u32_e32 vcc, s2, v14
	s_nop 1
	v_cndmask_b32_e32 v4, v22, v14, vcc
	v_lshrrev_b32_e32 v4, s48, v4
	v_and_b32_e32 v26, s14, v4
	v_mul_lo_u32 v4, v26, s3
	v_lshl_add_u32 v29, v24, 2, v4
	v_and_b32_e32 v4, 1, v26
	v_lshl_add_u64 v[6:7], v[4:5], 0, -1
	v_cmp_ne_u32_e32 vcc, 0, v4
	ds_read_b32 v22, v29 offset:64
	s_nop 0
	v_xor_b32_e32 v6, vcc_lo, v6
	v_xor_b32_e32 v4, vcc_hi, v7
	v_and_b32_e32 v28, exec_lo, v6
	v_lshlrev_b32_e32 v7, 30, v26
	v_mov_b32_e32 v6, v5
	v_cmp_gt_i64_e32 vcc, 0, v[6:7]
	v_not_b32_e32 v6, v7
	v_ashrrev_i32_e32 v6, 31, v6
	v_and_b32_e32 v4, exec_hi, v4
	v_xor_b32_e32 v7, vcc_hi, v6
	v_xor_b32_e32 v6, vcc_lo, v6
	v_and_b32_e32 v4, v4, v7
	v_and_b32_e32 v28, v28, v6
	v_lshlrev_b32_e32 v7, 29, v26
	v_mov_b32_e32 v6, v5
	v_cmp_gt_i64_e32 vcc, 0, v[6:7]
	v_not_b32_e32 v6, v7
	v_ashrrev_i32_e32 v6, 31, v6
	v_xor_b32_e32 v7, vcc_hi, v6
	v_xor_b32_e32 v6, vcc_lo, v6
	v_and_b32_e32 v4, v4, v7
	v_and_b32_e32 v28, v28, v6
	v_lshlrev_b32_e32 v7, 28, v26
	v_mov_b32_e32 v6, v5
	v_cmp_gt_i64_e32 vcc, 0, v[6:7]
	v_not_b32_e32 v6, v7
	v_ashrrev_i32_e32 v6, 31, v6
	;; [unrolled: 9-line block ×5, first 2 shown]
	v_xor_b32_e32 v7, vcc_hi, v6
	v_xor_b32_e32 v6, vcc_lo, v6
	v_and_b32_e32 v4, v4, v7
	v_lshlrev_b32_e32 v7, 24, v26
	v_and_b32_e32 v28, v28, v6
	v_mov_b32_e32 v6, v5
	v_not_b32_e32 v5, v7
	v_cmp_gt_i64_e32 vcc, 0, v[6:7]
	v_ashrrev_i32_e32 v5, 31, v5
	; wave barrier
	s_nop 0
	v_xor_b32_e32 v6, vcc_hi, v5
	v_xor_b32_e32 v7, vcc_lo, v5
	v_and_b32_e32 v5, v4, v6
	v_and_b32_e32 v4, v28, v7
	v_mbcnt_lo_u32_b32 v6, v4, 0
	v_mbcnt_hi_u32_b32 v26, v5, v6
	v_cmp_eq_u32_e32 vcc, 0, v26
	v_cmp_ne_u64_e64 s[0:1], 0, v[4:5]
	s_and_b64 s[2:3], s[0:1], vcc
	s_and_saveexec_b64 s[0:1], s[2:3]
	s_cbranch_execz .LBB351_133
; %bb.132:
	v_bcnt_u32_b32 v4, v4, 0
	v_bcnt_u32_b32 v4, v5, v4
	s_waitcnt lgkmcnt(0)
	v_add_u32_e32 v4, v22, v4
	ds_write_b32 v29, v4 offset:64
.LBB351_133:
	s_or_b64 exec, exec, s[0:1]
	v_bfrev_b32_e32 v31, 1
	s_waitcnt vmcnt(3)
	v_cmp_lt_i32_e32 vcc, -1, v17
	s_brev_b32 s2, -2
	s_movk_i32 s3, 0x44
	v_cndmask_b32_e32 v4, -1, v31, vcc
	v_xor_b32_e32 v17, v4, v17
	v_cmp_ne_u32_e32 vcc, s2, v17
	v_mov_b32_e32 v5, 0
	s_nop 0
	v_cndmask_b32_e32 v4, v31, v17, vcc
	v_lshrrev_b32_e32 v4, s48, v4
	v_and_b32_e32 v30, s14, v4
	v_mul_lo_u32 v4, v30, s3
	v_lshl_add_u32 v33, v24, 2, v4
	v_and_b32_e32 v4, 1, v30
	v_lshl_add_u64 v[6:7], v[4:5], 0, -1
	v_cmp_ne_u32_e32 vcc, 0, v4
	; wave barrier
	ds_read_b32 v28, v33 offset:64
	s_nop 0
	v_xor_b32_e32 v6, vcc_lo, v6
	v_xor_b32_e32 v4, vcc_hi, v7
	v_and_b32_e32 v32, exec_lo, v6
	v_lshlrev_b32_e32 v7, 30, v30
	v_mov_b32_e32 v6, v5
	v_cmp_gt_i64_e32 vcc, 0, v[6:7]
	v_not_b32_e32 v6, v7
	v_ashrrev_i32_e32 v6, 31, v6
	v_and_b32_e32 v4, exec_hi, v4
	v_xor_b32_e32 v7, vcc_hi, v6
	v_xor_b32_e32 v6, vcc_lo, v6
	v_and_b32_e32 v4, v4, v7
	v_and_b32_e32 v32, v32, v6
	v_lshlrev_b32_e32 v7, 29, v30
	v_mov_b32_e32 v6, v5
	v_cmp_gt_i64_e32 vcc, 0, v[6:7]
	v_not_b32_e32 v6, v7
	v_ashrrev_i32_e32 v6, 31, v6
	v_xor_b32_e32 v7, vcc_hi, v6
	v_xor_b32_e32 v6, vcc_lo, v6
	v_and_b32_e32 v4, v4, v7
	v_and_b32_e32 v32, v32, v6
	v_lshlrev_b32_e32 v7, 28, v30
	v_mov_b32_e32 v6, v5
	v_cmp_gt_i64_e32 vcc, 0, v[6:7]
	v_not_b32_e32 v6, v7
	v_ashrrev_i32_e32 v6, 31, v6
	;; [unrolled: 9-line block ×6, first 2 shown]
	v_xor_b32_e32 v7, vcc_hi, v6
	v_xor_b32_e32 v6, vcc_lo, v6
	v_and_b32_e32 v6, v32, v6
	v_and_b32_e32 v7, v4, v7
	v_mbcnt_lo_u32_b32 v4, v6, 0
	v_mbcnt_hi_u32_b32 v30, v7, v4
	v_cmp_eq_u32_e32 vcc, 0, v30
	v_cmp_ne_u64_e64 s[0:1], 0, v[6:7]
	s_and_b64 s[6:7], s[0:1], vcc
	; wave barrier
	s_and_saveexec_b64 s[0:1], s[6:7]
	s_cbranch_execz .LBB351_135
; %bb.134:
	v_bcnt_u32_b32 v4, v6, 0
	v_bcnt_u32_b32 v4, v7, v4
	s_waitcnt lgkmcnt(0)
	v_add_u32_e32 v4, v28, v4
	ds_write_b32 v33, v4 offset:64
.LBB351_135:
	s_or_b64 exec, exec, s[0:1]
	s_waitcnt vmcnt(2)
	v_cmp_lt_i32_e32 vcc, -1, v21
	; wave barrier
	s_nop 1
	v_cndmask_b32_e32 v4, -1, v31, vcc
	v_xor_b32_e32 v21, v4, v21
	v_cmp_ne_u32_e32 vcc, s2, v21
	s_nop 1
	v_cndmask_b32_e32 v4, v31, v21, vcc
	v_lshrrev_b32_e32 v4, s48, v4
	v_and_b32_e32 v31, s14, v4
	v_mul_lo_u32 v4, v31, s3
	v_lshl_add_u32 v36, v24, 2, v4
	v_and_b32_e32 v4, 1, v31
	v_lshl_add_u64 v[6:7], v[4:5], 0, -1
	v_cmp_ne_u32_e32 vcc, 0, v4
	ds_read_b32 v32, v36 offset:64
	s_nop 0
	v_xor_b32_e32 v6, vcc_lo, v6
	v_xor_b32_e32 v4, vcc_hi, v7
	v_and_b32_e32 v34, exec_lo, v6
	v_lshlrev_b32_e32 v7, 30, v31
	v_mov_b32_e32 v6, v5
	v_cmp_gt_i64_e32 vcc, 0, v[6:7]
	v_not_b32_e32 v6, v7
	v_ashrrev_i32_e32 v6, 31, v6
	v_and_b32_e32 v4, exec_hi, v4
	v_xor_b32_e32 v7, vcc_hi, v6
	v_xor_b32_e32 v6, vcc_lo, v6
	v_and_b32_e32 v4, v4, v7
	v_and_b32_e32 v34, v34, v6
	v_lshlrev_b32_e32 v7, 29, v31
	v_mov_b32_e32 v6, v5
	v_cmp_gt_i64_e32 vcc, 0, v[6:7]
	v_not_b32_e32 v6, v7
	v_ashrrev_i32_e32 v6, 31, v6
	v_xor_b32_e32 v7, vcc_hi, v6
	v_xor_b32_e32 v6, vcc_lo, v6
	v_and_b32_e32 v4, v4, v7
	v_and_b32_e32 v34, v34, v6
	v_lshlrev_b32_e32 v7, 28, v31
	v_mov_b32_e32 v6, v5
	v_cmp_gt_i64_e32 vcc, 0, v[6:7]
	v_not_b32_e32 v6, v7
	v_ashrrev_i32_e32 v6, 31, v6
	;; [unrolled: 9-line block ×5, first 2 shown]
	v_xor_b32_e32 v7, vcc_hi, v6
	v_xor_b32_e32 v6, vcc_lo, v6
	v_and_b32_e32 v4, v4, v7
	v_lshlrev_b32_e32 v7, 24, v31
	v_and_b32_e32 v34, v34, v6
	v_mov_b32_e32 v6, v5
	v_not_b32_e32 v5, v7
	v_cmp_gt_i64_e32 vcc, 0, v[6:7]
	v_ashrrev_i32_e32 v5, 31, v5
	; wave barrier
	s_nop 0
	v_xor_b32_e32 v6, vcc_hi, v5
	v_xor_b32_e32 v7, vcc_lo, v5
	v_and_b32_e32 v5, v4, v6
	v_and_b32_e32 v4, v34, v7
	v_mbcnt_lo_u32_b32 v6, v4, 0
	v_mbcnt_hi_u32_b32 v34, v5, v6
	v_cmp_eq_u32_e32 vcc, 0, v34
	v_cmp_ne_u64_e64 s[0:1], 0, v[4:5]
	s_and_b64 s[2:3], s[0:1], vcc
	s_and_saveexec_b64 s[0:1], s[2:3]
	s_cbranch_execz .LBB351_137
; %bb.136:
	v_bcnt_u32_b32 v4, v4, 0
	v_bcnt_u32_b32 v4, v5, v4
	s_waitcnt lgkmcnt(0)
	v_add_u32_e32 v4, v32, v4
	ds_write_b32 v36, v4 offset:64
.LBB351_137:
	s_or_b64 exec, exec, s[0:1]
	v_bfrev_b32_e32 v39, 1
	s_waitcnt vmcnt(1)
	v_cmp_lt_i32_e32 vcc, -1, v27
	s_brev_b32 s2, -2
	s_movk_i32 s3, 0x44
	v_cndmask_b32_e32 v4, -1, v39, vcc
	v_xor_b32_e32 v27, v4, v27
	v_cmp_ne_u32_e32 vcc, s2, v27
	v_mov_b32_e32 v5, 0
	s_nop 0
	v_cndmask_b32_e32 v4, v39, v27, vcc
	v_lshrrev_b32_e32 v4, s48, v4
	v_and_b32_e32 v31, s14, v4
	v_mul_lo_u32 v4, v31, s3
	v_lshl_add_u32 v38, v24, 2, v4
	v_and_b32_e32 v4, 1, v31
	v_lshl_add_u64 v[6:7], v[4:5], 0, -1
	v_cmp_ne_u32_e32 vcc, 0, v4
	; wave barrier
	ds_read_b32 v35, v38 offset:64
	s_nop 0
	v_xor_b32_e32 v6, vcc_lo, v6
	v_xor_b32_e32 v4, vcc_hi, v7
	v_and_b32_e32 v37, exec_lo, v6
	v_lshlrev_b32_e32 v7, 30, v31
	v_mov_b32_e32 v6, v5
	v_cmp_gt_i64_e32 vcc, 0, v[6:7]
	v_not_b32_e32 v6, v7
	v_ashrrev_i32_e32 v6, 31, v6
	v_and_b32_e32 v4, exec_hi, v4
	v_xor_b32_e32 v7, vcc_hi, v6
	v_xor_b32_e32 v6, vcc_lo, v6
	v_and_b32_e32 v4, v4, v7
	v_and_b32_e32 v37, v37, v6
	v_lshlrev_b32_e32 v7, 29, v31
	v_mov_b32_e32 v6, v5
	v_cmp_gt_i64_e32 vcc, 0, v[6:7]
	v_not_b32_e32 v6, v7
	v_ashrrev_i32_e32 v6, 31, v6
	v_xor_b32_e32 v7, vcc_hi, v6
	v_xor_b32_e32 v6, vcc_lo, v6
	v_and_b32_e32 v4, v4, v7
	v_and_b32_e32 v37, v37, v6
	v_lshlrev_b32_e32 v7, 28, v31
	v_mov_b32_e32 v6, v5
	v_cmp_gt_i64_e32 vcc, 0, v[6:7]
	v_not_b32_e32 v6, v7
	v_ashrrev_i32_e32 v6, 31, v6
	;; [unrolled: 9-line block ×6, first 2 shown]
	v_xor_b32_e32 v7, vcc_hi, v6
	v_xor_b32_e32 v6, vcc_lo, v6
	v_and_b32_e32 v6, v37, v6
	v_and_b32_e32 v7, v4, v7
	v_mbcnt_lo_u32_b32 v4, v6, 0
	v_mbcnt_hi_u32_b32 v37, v7, v4
	v_cmp_eq_u32_e32 vcc, 0, v37
	v_cmp_ne_u64_e64 s[0:1], 0, v[6:7]
	s_and_b64 s[6:7], s[0:1], vcc
	; wave barrier
	s_and_saveexec_b64 s[0:1], s[6:7]
	s_cbranch_execz .LBB351_139
; %bb.138:
	v_bcnt_u32_b32 v4, v6, 0
	v_bcnt_u32_b32 v4, v7, v4
	s_waitcnt lgkmcnt(0)
	v_add_u32_e32 v4, v35, v4
	ds_write_b32 v38, v4 offset:64
.LBB351_139:
	s_or_b64 exec, exec, s[0:1]
	s_waitcnt vmcnt(0)
	v_cmp_lt_i32_e32 vcc, -1, v23
	; wave barrier
	s_nop 1
	v_cndmask_b32_e32 v4, -1, v39, vcc
	v_xor_b32_e32 v31, v4, v23
	v_cmp_ne_u32_e32 vcc, s2, v31
	s_nop 1
	v_cndmask_b32_e32 v4, v39, v31, vcc
	v_lshrrev_b32_e32 v4, s48, v4
	v_and_b32_e32 v23, s14, v4
	v_mul_lo_u32 v4, v23, s3
	v_lshl_add_u32 v40, v24, 2, v4
	v_and_b32_e32 v4, 1, v23
	v_lshl_add_u64 v[6:7], v[4:5], 0, -1
	v_cmp_ne_u32_e32 vcc, 0, v4
	ds_read_b32 v24, v40 offset:64
	s_nop 0
	v_xor_b32_e32 v6, vcc_lo, v6
	v_xor_b32_e32 v4, vcc_hi, v7
	v_and_b32_e32 v39, exec_lo, v6
	v_lshlrev_b32_e32 v7, 30, v23
	v_mov_b32_e32 v6, v5
	v_cmp_gt_i64_e32 vcc, 0, v[6:7]
	v_not_b32_e32 v6, v7
	v_ashrrev_i32_e32 v6, 31, v6
	v_and_b32_e32 v4, exec_hi, v4
	v_xor_b32_e32 v7, vcc_hi, v6
	v_xor_b32_e32 v6, vcc_lo, v6
	v_and_b32_e32 v4, v4, v7
	v_and_b32_e32 v39, v39, v6
	v_lshlrev_b32_e32 v7, 29, v23
	v_mov_b32_e32 v6, v5
	v_cmp_gt_i64_e32 vcc, 0, v[6:7]
	v_not_b32_e32 v6, v7
	v_ashrrev_i32_e32 v6, 31, v6
	v_xor_b32_e32 v7, vcc_hi, v6
	v_xor_b32_e32 v6, vcc_lo, v6
	v_and_b32_e32 v4, v4, v7
	v_and_b32_e32 v39, v39, v6
	v_lshlrev_b32_e32 v7, 28, v23
	v_mov_b32_e32 v6, v5
	v_cmp_gt_i64_e32 vcc, 0, v[6:7]
	v_not_b32_e32 v6, v7
	v_ashrrev_i32_e32 v6, 31, v6
	v_xor_b32_e32 v7, vcc_hi, v6
	v_xor_b32_e32 v6, vcc_lo, v6
	v_and_b32_e32 v4, v4, v7
	v_and_b32_e32 v39, v39, v6
	v_lshlrev_b32_e32 v7, 27, v23
	v_mov_b32_e32 v6, v5
	v_cmp_gt_i64_e32 vcc, 0, v[6:7]
	v_not_b32_e32 v6, v7
	v_ashrrev_i32_e32 v6, 31, v6
	v_xor_b32_e32 v7, vcc_hi, v6
	v_xor_b32_e32 v6, vcc_lo, v6
	v_and_b32_e32 v4, v4, v7
	v_and_b32_e32 v39, v39, v6
	v_lshlrev_b32_e32 v7, 26, v23
	v_mov_b32_e32 v6, v5
	v_cmp_gt_i64_e32 vcc, 0, v[6:7]
	v_not_b32_e32 v6, v7
	v_ashrrev_i32_e32 v6, 31, v6
	v_xor_b32_e32 v7, vcc_hi, v6
	v_xor_b32_e32 v6, vcc_lo, v6
	v_and_b32_e32 v4, v4, v7
	v_and_b32_e32 v39, v39, v6
	v_lshlrev_b32_e32 v7, 25, v23
	v_mov_b32_e32 v6, v5
	v_cmp_gt_i64_e32 vcc, 0, v[6:7]
	v_not_b32_e32 v6, v7
	v_ashrrev_i32_e32 v6, 31, v6
	v_xor_b32_e32 v7, vcc_hi, v6
	v_xor_b32_e32 v6, vcc_lo, v6
	v_and_b32_e32 v4, v4, v7
	v_lshlrev_b32_e32 v7, 24, v23
	v_and_b32_e32 v39, v39, v6
	v_mov_b32_e32 v6, v5
	v_not_b32_e32 v5, v7
	v_cmp_gt_i64_e32 vcc, 0, v[6:7]
	v_ashrrev_i32_e32 v5, 31, v5
	; wave barrier
	s_nop 0
	v_xor_b32_e32 v6, vcc_hi, v5
	v_xor_b32_e32 v7, vcc_lo, v5
	v_and_b32_e32 v5, v4, v6
	v_and_b32_e32 v4, v39, v7
	v_mbcnt_lo_u32_b32 v6, v4, 0
	v_mbcnt_hi_u32_b32 v39, v5, v6
	v_cmp_eq_u32_e32 vcc, 0, v39
	v_cmp_ne_u64_e64 s[0:1], 0, v[4:5]
	s_and_b64 s[2:3], s[0:1], vcc
	s_and_saveexec_b64 s[0:1], s[2:3]
	s_cbranch_execz .LBB351_141
; %bb.140:
	v_bcnt_u32_b32 v4, v4, 0
	v_bcnt_u32_b32 v4, v5, v4
	s_waitcnt lgkmcnt(0)
	v_add_u32_e32 v4, v24, v4
	ds_write_b32 v40, v4 offset:64
.LBB351_141:
	s_or_b64 exec, exec, s[0:1]
	; wave barrier
	s_waitcnt lgkmcnt(0)
	s_barrier
	ds_read2_b32 v[6:7], v11 offset0:16 offset1:17
	ds_read2_b32 v[4:5], v11 offset0:18 offset1:19
	ds_read_b32 v23, v11 offset:80
	v_cmp_lt_u32_e64 s[8:9], 31, v10
	s_waitcnt lgkmcnt(1)
	v_add3_u32 v41, v7, v6, v4
	s_waitcnt lgkmcnt(0)
	v_add3_u32 v23, v41, v5, v23
	v_and_b32_e32 v41, 15, v10
	v_cmp_eq_u32_e32 vcc, 0, v41
	v_mov_b32_dpp v42, v23 row_shr:1 row_mask:0xf bank_mask:0xf
	v_cmp_lt_u32_e64 s[0:1], 1, v41
	v_cndmask_b32_e64 v42, v42, 0, vcc
	v_add_u32_e32 v23, v42, v23
	v_cmp_lt_u32_e64 s[2:3], 3, v41
	v_cmp_lt_u32_e64 s[6:7], 7, v41
	v_mov_b32_dpp v42, v23 row_shr:2 row_mask:0xf bank_mask:0xf
	v_cndmask_b32_e64 v42, 0, v42, s[0:1]
	v_add_u32_e32 v23, v23, v42
	s_nop 1
	v_mov_b32_dpp v42, v23 row_shr:4 row_mask:0xf bank_mask:0xf
	v_cndmask_b32_e64 v42, 0, v42, s[2:3]
	v_add_u32_e32 v23, v23, v42
	s_nop 1
	v_mov_b32_dpp v42, v23 row_shr:8 row_mask:0xf bank_mask:0xf
	v_cndmask_b32_e64 v41, 0, v42, s[6:7]
	v_add_u32_e32 v23, v23, v41
	v_bfe_i32 v42, v10, 4, 1
	s_nop 0
	v_mov_b32_dpp v41, v23 row_bcast:15 row_mask:0xf bank_mask:0xf
	v_and_b32_e32 v41, v42, v41
	v_add_u32_e32 v23, v23, v41
	v_lshrrev_b32_e32 v42, 6, v8
	s_nop 0
	v_mov_b32_dpp v41, v23 row_bcast:31 row_mask:0xf bank_mask:0xf
	v_cndmask_b32_e64 v41, 0, v41, s[8:9]
	v_add_u32_e32 v41, v23, v41
	v_and_b32_e32 v23, 63, v8
	v_cmp_eq_u32_e64 s[8:9], 63, v23
	s_and_saveexec_b64 s[12:13], s[8:9]
; %bb.142:
	v_lshlrev_b32_e32 v23, 2, v42
	ds_write_b32 v23, v41
; %bb.143:
	s_or_b64 exec, exec, s[12:13]
	v_cmp_gt_u32_e64 s[8:9], 16, v8
	v_lshlrev_b32_e32 v23, 2, v8
	s_waitcnt lgkmcnt(0)
	s_barrier
	s_and_saveexec_b64 s[12:13], s[8:9]
	s_cbranch_execz .LBB351_145
; %bb.144:
	ds_read_b32 v43, v23
	s_waitcnt lgkmcnt(0)
	s_nop 0
	v_mov_b32_dpp v44, v43 row_shr:1 row_mask:0xf bank_mask:0xf
	v_cndmask_b32_e64 v44, v44, 0, vcc
	v_add_u32_e32 v43, v44, v43
	s_nop 1
	v_mov_b32_dpp v44, v43 row_shr:2 row_mask:0xf bank_mask:0xf
	v_cndmask_b32_e64 v44, 0, v44, s[0:1]
	v_add_u32_e32 v43, v43, v44
	s_nop 1
	v_mov_b32_dpp v44, v43 row_shr:4 row_mask:0xf bank_mask:0xf
	v_cndmask_b32_e64 v44, 0, v44, s[2:3]
	;; [unrolled: 4-line block ×3, first 2 shown]
	v_add_u32_e32 v43, v43, v44
	ds_write_b32 v23, v43
.LBB351_145:
	s_or_b64 exec, exec, s[12:13]
	v_cmp_lt_u32_e32 vcc, 63, v8
	v_mov_b32_e32 v43, 0
	s_waitcnt lgkmcnt(0)
	s_barrier
	s_and_saveexec_b64 s[0:1], vcc
; %bb.146:
	v_lshl_add_u32 v42, v42, 2, -4
	ds_read_b32 v43, v42
; %bb.147:
	s_or_b64 exec, exec, s[0:1]
	v_subrev_co_u32_e32 v42, vcc, 1, v10
	v_and_b32_e32 v44, 64, v10
	v_cmp_lt_i32_e64 s[0:1], v42, v44
	s_waitcnt lgkmcnt(0)
	v_add_u32_e32 v41, v43, v41
	s_movk_i32 s2, 0x100
	v_cndmask_b32_e64 v10, v42, v10, s[0:1]
	v_lshlrev_b32_e32 v10, 2, v10
	ds_bpermute_b32 v10, v10, v41
	s_movk_i32 s0, 0xff
	v_cmp_lt_u32_e64 s[0:1], s0, v8
	s_waitcnt lgkmcnt(0)
	v_cndmask_b32_e32 v10, v10, v43, vcc
	v_cmp_ne_u32_e32 vcc, 0, v8
	s_nop 1
	v_cndmask_b32_e32 v10, 0, v10, vcc
	v_add_u32_e32 v6, v10, v6
	v_add_u32_e32 v7, v6, v7
	;; [unrolled: 1-line block ×4, first 2 shown]
	ds_write2_b32 v11, v10, v6 offset0:16 offset1:17
	ds_write2_b32 v11, v7, v4 offset0:18 offset1:19
	ds_write_b32 v11, v5 offset:80
	s_waitcnt lgkmcnt(0)
	s_barrier
	ds_read_b32 v44, v15 offset:64
	ds_read_b32 v41, v19 offset:64
	;; [unrolled: 1-line block ×8, first 2 shown]
	v_cmp_gt_u32_e32 vcc, s2, v8
                                        ; implicit-def: $vgpr15
                                        ; implicit-def: $vgpr19
	s_and_saveexec_b64 s[6:7], vcc
	s_cbranch_execz .LBB351_151
; %bb.148:
	v_mul_u32_u24_e32 v4, 0x44, v8
	ds_read_b32 v15, v4 offset:64
	v_add_u32_e32 v5, 1, v8
	v_cmp_ne_u32_e64 s[2:3], s2, v5
	v_mov_b32_e32 v4, 0x2000
	s_and_saveexec_b64 s[8:9], s[2:3]
; %bb.149:
	v_mul_u32_u24_e32 v4, 0x44, v5
	ds_read_b32 v4, v4 offset:64
; %bb.150:
	s_or_b64 exec, exec, s[8:9]
	s_waitcnt lgkmcnt(0)
	v_sub_u32_e32 v19, v4, v15
.LBB351_151:
	s_or_b64 exec, exec, s[6:7]
	v_mov_b32_e32 v5, 0
	s_waitcnt lgkmcnt(0)
	s_barrier
	s_and_saveexec_b64 s[2:3], vcc
	s_cbranch_execz .LBB351_161
; %bb.152:
	v_lshl_add_u32 v4, s4, 8, v8
	v_lshl_add_u64 v[6:7], v[4:5], 2, s[52:53]
	v_or_b32_e32 v4, 2.0, v19
	s_mov_b64 s[6:7], 0
	s_brev_b32 s15, -4
	s_mov_b32 s16, s4
	v_mov_b32_e32 v38, 0
	global_store_dword v[6:7], v4, off sc1
                                        ; implicit-def: $sgpr8_sgpr9
	s_branch .LBB351_155
.LBB351_153:                            ;   in Loop: Header=BB351_155 Depth=1
	s_or_b64 exec, exec, s[12:13]
.LBB351_154:                            ;   in Loop: Header=BB351_155 Depth=1
	s_or_b64 exec, exec, s[8:9]
	v_and_b32_e32 v10, 0x3fffffff, v4
	v_add_u32_e32 v38, v10, v38
	v_cmp_gt_i32_e64 s[8:9], -2.0, v4
	s_and_b64 s[12:13], exec, s[8:9]
	s_or_b64 s[6:7], s[12:13], s[6:7]
	s_andn2_b64 exec, exec, s[6:7]
	s_cbranch_execz .LBB351_160
.LBB351_155:                            ; =>This Loop Header: Depth=1
                                        ;     Child Loop BB351_158 Depth 2
	s_or_b64 s[8:9], s[8:9], exec
	s_cmp_eq_u32 s16, 0
	s_cbranch_scc1 .LBB351_159
; %bb.156:                              ;   in Loop: Header=BB351_155 Depth=1
	s_add_i32 s16, s16, -1
	v_lshl_or_b32 v4, s16, 8, v8
	v_lshl_add_u64 v[10:11], v[4:5], 2, s[52:53]
	global_load_dword v4, v[10:11], off sc1
	s_waitcnt vmcnt(0)
	v_cmp_gt_u32_e32 vcc, 2.0, v4
	s_and_saveexec_b64 s[8:9], vcc
	s_cbranch_execz .LBB351_154
; %bb.157:                              ;   in Loop: Header=BB351_155 Depth=1
	s_mov_b64 s[12:13], 0
.LBB351_158:                            ;   Parent Loop BB351_155 Depth=1
                                        ; =>  This Inner Loop Header: Depth=2
	global_load_dword v4, v[10:11], off sc1
	s_waitcnt vmcnt(0)
	v_cmp_lt_u32_e32 vcc, s15, v4
	s_or_b64 s[12:13], vcc, s[12:13]
	s_andn2_b64 exec, exec, s[12:13]
	s_cbranch_execnz .LBB351_158
	s_branch .LBB351_153
.LBB351_159:                            ;   in Loop: Header=BB351_155 Depth=1
                                        ; implicit-def: $sgpr16
	s_and_b64 s[12:13], exec, s[8:9]
	s_or_b64 s[6:7], s[12:13], s[6:7]
	s_andn2_b64 exec, exec, s[6:7]
	s_cbranch_execnz .LBB351_155
.LBB351_160:
	s_or_b64 exec, exec, s[6:7]
	v_add_u32_e32 v4, v38, v19
	v_or_b32_e32 v4, 0x80000000, v4
	global_store_dword v[6:7], v4, off sc1
	global_load_dword v4, v23, s[44:45]
	v_sub_u32_e32 v5, v38, v15
	s_waitcnt vmcnt(0)
	v_add_u32_e32 v4, v5, v4
	ds_write_b32 v23, v4
.LBB351_161:
	s_or_b64 exec, exec, s[2:3]
	v_add_u32_e32 v4, v39, v24
	v_add_u32_e32 v5, v37, v35
	;; [unrolled: 1-line block ×8, first 2 shown]
	s_mov_b32 s8, 16
	s_mov_b32 s9, s48
	;; [unrolled: 1-line block ×3, first 2 shown]
	v_add_lshl_u32 v7, v4, v36, 2
	v_add3_u32 v10, v39, v36, v24
	v_add_lshl_u32 v11, v5, v29, 2
	v_add3_u32 v12, v37, v29, v35
	;; [unrolled: 2-line block ×7, first 2 shown]
	v_lshlrev_b32_e32 v16, 2, v6
	s_mov_b32 s21, 0
	s_mov_b64 s[2:3], -1
	s_mov_b32 s13, 0
	s_movk_i32 s15, 0x1000
	v_bfrev_b32_e32 v32, 1
	s_brev_b32 s16, -2
	v_mov_b32_e32 v5, 0
	s_movk_i32 s17, 0x400
	s_movk_i32 s18, 0x800
	;; [unrolled: 1-line block ×3, first 2 shown]
	s_mov_b32 s20, 0
	v_mov_b32_e32 v33, v8
	s_branch .LBB351_163
.LBB351_162:                            ;   in Loop: Header=BB351_163 Depth=1
	s_or_b64 exec, exec, s[6:7]
	s_waitcnt lgkmcnt(0)
	s_barrier
	ds_read2st64_b32 v[34:35], v23 offset0:4 offset1:20
	ds_read2st64_b32 v[38:39], v23 offset0:36 offset1:52
	s_xor_b64 s[6:7], s[2:3], -1
	s_addk_i32 s20, 0xc000
	s_addk_i32 s13, 0xf000
	s_waitcnt lgkmcnt(1)
	v_cmp_lt_i32_e32 vcc, -1, v34
	s_mov_b64 s[2:3], 0
	s_nop 0
	v_cndmask_b32_e64 v4, v32, -1, vcc
	v_cmp_lt_i32_e32 vcc, -1, v35
	v_xor_b32_e32 v42, v4, v34
	s_nop 0
	v_cndmask_b32_e64 v4, v32, -1, vcc
	v_cmp_ne_u32_e32 vcc, s16, v34
	v_xor_b32_e32 v43, v4, v35
	s_nop 0
	v_cndmask_b32_e32 v4, v32, v34, vcc
	v_cmp_ne_u32_e32 vcc, s16, v35
	v_lshrrev_b32_e32 v4, s48, v4
	s_nop 0
	v_cndmask_b32_e32 v34, v32, v35, vcc
	v_lshrrev_b32_e32 v34, s9, v34
	s_waitcnt lgkmcnt(0)
	v_cmp_ne_u32_e32 vcc, s16, v38
	v_and_b32_e32 v35, s12, v34
	v_and_b32_e32 v34, s14, v4
	v_cndmask_b32_e32 v36, v32, v38, vcc
	v_cmp_ne_u32_e32 vcc, s16, v39
	v_lshlrev_b32_e32 v4, 2, v34
	ds_read_b32 v4, v4
	v_cndmask_b32_e32 v37, v32, v39, vcc
	v_lshrrev_b32_e32 v37, s9, v37
	v_lshrrev_b32_e32 v36, s48, v36
	v_and_b32_e32 v37, s12, v37
	v_lshlrev_b32_e32 v40, 2, v35
	v_and_b32_e32 v36, s14, v36
	v_lshlrev_b32_e32 v44, 2, v37
	v_lshlrev_b32_e32 v41, 2, v36
	ds_read_b32 v45, v40
	ds_read_b32 v46, v41
	;; [unrolled: 1-line block ×3, first 2 shown]
	s_waitcnt lgkmcnt(3)
	v_add_u32_e32 v4, v33, v4
	v_lshl_add_u64 v[40:41], v[4:5], 2, s[38:39]
	s_waitcnt lgkmcnt(2)
	v_add3_u32 v4, v33, v45, s17
	v_cmp_lt_i32_e32 vcc, -1, v38
	global_store_dword v[40:41], v42, off
	v_lshl_add_u64 v[40:41], v[4:5], 2, s[38:39]
	v_cndmask_b32_e64 v4, v32, -1, vcc
	v_cmp_lt_i32_e32 vcc, -1, v39
	global_store_dword v[40:41], v43, off
	v_xor_b32_e32 v40, v4, v38
	v_cndmask_b32_e64 v4, v32, -1, vcc
	v_xor_b32_e32 v41, v4, v39
	s_waitcnt lgkmcnt(1)
	v_add3_u32 v4, v33, v46, s18
	v_lshl_add_u64 v[38:39], v[4:5], 2, s[38:39]
	s_waitcnt lgkmcnt(0)
	v_add3_u32 v4, v33, v44, s19
	global_store_dword v[38:39], v40, off
	v_lshl_add_u64 v[38:39], v[4:5], 2, s[38:39]
	global_store_dword v[38:39], v41, off
	scratch_store_dwordx4 off, v[34:37], s21
	v_add_u32_e32 v33, 0x1000, v33
	s_and_b64 vcc, exec, s[6:7]
	s_mov_b32 s21, s8
	s_barrier
	s_cbranch_vccnz .LBB351_179
.LBB351_163:                            ; =>This Inner Loop Header: Depth=1
	v_add_u32_e32 v4, s13, v6
	v_cmp_gt_u32_e32 vcc, s15, v4
	s_and_saveexec_b64 s[6:7], vcc
; %bb.164:                              ;   in Loop: Header=BB351_163 Depth=1
	v_add_u32_e32 v4, s20, v16
	ds_write_b32 v4, v1 offset:1024
; %bb.165:                              ;   in Loop: Header=BB351_163 Depth=1
	s_or_b64 exec, exec, s[6:7]
	v_add_u32_e32 v4, s13, v13
	v_cmp_gt_u32_e32 vcc, s15, v4
	s_and_saveexec_b64 s[6:7], vcc
; %bb.166:                              ;   in Loop: Header=BB351_163 Depth=1
	v_add_u32_e32 v4, s20, v20
	ds_write_b32 v4, v3 offset:1024
; %bb.167:                              ;   in Loop: Header=BB351_163 Depth=1
	s_or_b64 exec, exec, s[6:7]
	;; [unrolled: 8-line block ×7, first 2 shown]
	v_add_u32_e32 v4, s13, v10
	v_cmp_gt_u32_e32 vcc, s15, v4
	s_and_saveexec_b64 s[6:7], vcc
	s_cbranch_execz .LBB351_162
; %bb.178:                              ;   in Loop: Header=BB351_163 Depth=1
	v_add_u32_e32 v4, s20, v7
	ds_write_b32 v4, v31 offset:1024
	s_branch .LBB351_162
.LBB351_179:
	s_add_u32 s2, s40, s10
	s_addc_u32 s3, s41, s11
	v_mov_b32_e32 v1, 0
	v_lshl_add_u64 v[4:5], s[2:3], 0, v[0:1]
	v_mov_b32_e32 v3, v1
	v_lshl_add_u64 v[32:33], v[4:5], 0, v[2:3]
	global_load_dword v2, v[32:33], off
	global_load_dword v3, v[32:33], off offset:256
	global_load_dword v4, v[32:33], off offset:512
	;; [unrolled: 1-line block ×7, first 2 shown]
	s_mov_b32 s15, 0
	s_mov_b64 s[2:3], -1
	s_mov_b32 s9, 0
	s_movk_i32 s10, 0x1000
	s_movk_i32 s11, 0x400
	s_movk_i32 s12, 0x800
	s_movk_i32 s13, 0xc00
	s_mov_b32 s14, 0
	s_branch .LBB351_181
.LBB351_180:                            ;   in Loop: Header=BB351_181 Depth=1
	s_or_b64 exec, exec, s[6:7]
	s_waitcnt lgkmcnt(0)
	s_barrier
	scratch_load_dwordx4 v[32:35], off, s15
	ds_read2st64_b32 v[36:37], v23 offset0:4 offset1:20
	ds_read2st64_b32 v[38:39], v23 offset0:36 offset1:52
	s_xor_b64 s[6:7], s[2:3], -1
	s_addk_i32 s14, 0xc000
	s_addk_i32 s9, 0xf000
	s_mov_b64 s[2:3], 0
	s_mov_b32 s15, s8
	s_and_b64 vcc, exec, s[6:7]
	s_waitcnt vmcnt(0)
	v_lshlrev_b32_e32 v0, 2, v32
	ds_read_b32 v0, v0
	v_lshlrev_b32_e32 v27, 2, v33
	v_lshlrev_b32_e32 v31, 2, v34
	;; [unrolled: 1-line block ×3, first 2 shown]
	ds_read_b32 v27, v27
	ds_read_b32 v31, v31
	;; [unrolled: 1-line block ×3, first 2 shown]
	s_waitcnt lgkmcnt(3)
	v_add_u32_e32 v0, v8, v0
	v_lshl_add_u64 v[32:33], v[0:1], 2, s[42:43]
	s_waitcnt lgkmcnt(2)
	v_add3_u32 v0, v8, v27, s11
	global_store_dword v[32:33], v36, off
	v_lshl_add_u64 v[32:33], v[0:1], 2, s[42:43]
	s_waitcnt lgkmcnt(1)
	v_add3_u32 v0, v8, v31, s12
	global_store_dword v[32:33], v37, off
	v_lshl_add_u64 v[32:33], v[0:1], 2, s[42:43]
	s_waitcnt lgkmcnt(0)
	v_add3_u32 v0, v8, v34, s13
	v_add_u32_e32 v8, 0x1000, v8
	global_store_dword v[32:33], v38, off
	v_lshl_add_u64 v[32:33], v[0:1], 2, s[42:43]
	global_store_dword v[32:33], v39, off
	s_barrier
	s_cbranch_vccnz .LBB351_197
.LBB351_181:                            ; =>This Inner Loop Header: Depth=1
	v_add_u32_e32 v0, s9, v6
	v_cmp_gt_u32_e32 vcc, s10, v0
	s_and_saveexec_b64 s[6:7], vcc
	s_cbranch_execz .LBB351_183
; %bb.182:                              ;   in Loop: Header=BB351_181 Depth=1
	v_add_u32_e32 v0, s14, v16
	s_waitcnt vmcnt(7)
	ds_write_b32 v0, v2 offset:1024
.LBB351_183:                            ;   in Loop: Header=BB351_181 Depth=1
	s_or_b64 exec, exec, s[6:7]
	v_add_u32_e32 v0, s9, v13
	v_cmp_gt_u32_e32 vcc, s10, v0
	s_and_saveexec_b64 s[6:7], vcc
	s_cbranch_execz .LBB351_185
; %bb.184:                              ;   in Loop: Header=BB351_181 Depth=1
	v_add_u32_e32 v0, s14, v20
	s_waitcnt vmcnt(6)
	ds_write_b32 v0, v3 offset:1024
.LBB351_185:                            ;   in Loop: Header=BB351_181 Depth=1
	s_or_b64 exec, exec, s[6:7]
	v_add_u32_e32 v0, s9, v18
	v_cmp_gt_u32_e32 vcc, s10, v0
	s_and_saveexec_b64 s[6:7], vcc
	s_cbranch_execz .LBB351_187
; %bb.186:                              ;   in Loop: Header=BB351_181 Depth=1
	v_add_u32_e32 v0, s14, v26
	s_waitcnt vmcnt(5)
	ds_write_b32 v0, v4 offset:1024
.LBB351_187:                            ;   in Loop: Header=BB351_181 Depth=1
	s_or_b64 exec, exec, s[6:7]
	v_add_u32_e32 v0, s9, v22
	v_cmp_gt_u32_e32 vcc, s10, v0
	s_and_saveexec_b64 s[6:7], vcc
	s_cbranch_execz .LBB351_189
; %bb.188:                              ;   in Loop: Header=BB351_181 Depth=1
	v_add_u32_e32 v0, s14, v30
	s_waitcnt vmcnt(4)
	ds_write_b32 v0, v5 offset:1024
.LBB351_189:                            ;   in Loop: Header=BB351_181 Depth=1
	s_or_b64 exec, exec, s[6:7]
	v_add_u32_e32 v0, s9, v28
	v_cmp_gt_u32_e32 vcc, s10, v0
	s_and_saveexec_b64 s[6:7], vcc
	s_cbranch_execz .LBB351_191
; %bb.190:                              ;   in Loop: Header=BB351_181 Depth=1
	v_add_u32_e32 v0, s14, v29
	s_waitcnt vmcnt(3)
	ds_write_b32 v0, v9 offset:1024
.LBB351_191:                            ;   in Loop: Header=BB351_181 Depth=1
	s_or_b64 exec, exec, s[6:7]
	v_add_u32_e32 v0, s9, v25
	v_cmp_gt_u32_e32 vcc, s10, v0
	s_and_saveexec_b64 s[6:7], vcc
	s_cbranch_execz .LBB351_193
; %bb.192:                              ;   in Loop: Header=BB351_181 Depth=1
	v_add_u32_e32 v0, s14, v24
	s_waitcnt vmcnt(2)
	ds_write_b32 v0, v14 offset:1024
.LBB351_193:                            ;   in Loop: Header=BB351_181 Depth=1
	s_or_b64 exec, exec, s[6:7]
	v_add_u32_e32 v0, s9, v12
	v_cmp_gt_u32_e32 vcc, s10, v0
	s_and_saveexec_b64 s[6:7], vcc
	s_cbranch_execz .LBB351_195
; %bb.194:                              ;   in Loop: Header=BB351_181 Depth=1
	v_add_u32_e32 v0, s14, v11
	s_waitcnt vmcnt(1)
	ds_write_b32 v0, v17 offset:1024
.LBB351_195:                            ;   in Loop: Header=BB351_181 Depth=1
	s_or_b64 exec, exec, s[6:7]
	v_add_u32_e32 v0, s9, v10
	v_cmp_gt_u32_e32 vcc, s10, v0
	s_and_saveexec_b64 s[6:7], vcc
	s_cbranch_execz .LBB351_180
; %bb.196:                              ;   in Loop: Header=BB351_181 Depth=1
	v_add_u32_e32 v0, s14, v7
	s_waitcnt vmcnt(0)
	ds_write_b32 v0, v21 offset:1024
	s_branch .LBB351_180
.LBB351_197:
	s_add_i32 s5, s5, -1
	s_cmp_eq_u32 s4, s5
	s_cselect_b64 s[2:3], -1, 0
	s_xor_b64 s[0:1], s[0:1], -1
	s_and_b64 s[0:1], s[0:1], s[2:3]
	s_and_saveexec_b64 s[2:3], s[0:1]
	s_cbranch_execz .LBB351_199
; %bb.198:
	ds_read_b32 v0, v23
	s_waitcnt lgkmcnt(0)
	v_add3_u32 v0, v15, v19, v0
	global_store_dword v23, v0, s[46:47]
.LBB351_199:
	s_endpgm
	.section	.rodata,"a",@progbits
	.p2align	6, 0x0
	.amdhsa_kernel _ZN7rocprim17ROCPRIM_400000_NS6detail17trampoline_kernelINS0_14default_configENS1_35radix_sort_onesweep_config_selectorIffEEZZNS1_29radix_sort_onesweep_iterationIS3_Lb0EN6thrust23THRUST_200600_302600_NS6detail15normal_iteratorINS8_10device_ptrIfEEEESD_SD_SD_jNS0_19identity_decomposerENS1_16block_id_wrapperIjLb0EEEEE10hipError_tT1_PNSt15iterator_traitsISI_E10value_typeET2_T3_PNSJ_ISO_E10value_typeET4_T5_PST_SU_PNS1_23onesweep_lookback_stateEbbT6_jjT7_P12ihipStream_tbENKUlT_T0_SI_SN_E_clIPfSD_S15_SD_EEDaS11_S12_SI_SN_EUlS11_E_NS1_11comp_targetILNS1_3genE6ELNS1_11target_archE950ELNS1_3gpuE13ELNS1_3repE0EEENS1_47radix_sort_onesweep_sort_config_static_selectorELNS0_4arch9wavefront6targetE1EEEvSI_
		.amdhsa_group_segment_fixed_size 53328
		.amdhsa_private_segment_fixed_size 48
		.amdhsa_kernarg_size 344
		.amdhsa_user_sgpr_count 4
		.amdhsa_user_sgpr_dispatch_ptr 1
		.amdhsa_user_sgpr_queue_ptr 0
		.amdhsa_user_sgpr_kernarg_segment_ptr 1
		.amdhsa_user_sgpr_dispatch_id 0
		.amdhsa_user_sgpr_kernarg_preload_length 0
		.amdhsa_user_sgpr_kernarg_preload_offset 0
		.amdhsa_user_sgpr_private_segment_size 0
		.amdhsa_uses_dynamic_stack 0
		.amdhsa_enable_private_segment 1
		.amdhsa_system_sgpr_workgroup_id_x 1
		.amdhsa_system_sgpr_workgroup_id_y 0
		.amdhsa_system_sgpr_workgroup_id_z 0
		.amdhsa_system_sgpr_workgroup_info 0
		.amdhsa_system_vgpr_workitem_id 2
		.amdhsa_next_free_vgpr 53
		.amdhsa_next_free_sgpr 57
		.amdhsa_accum_offset 56
		.amdhsa_reserve_vcc 1
		.amdhsa_float_round_mode_32 0
		.amdhsa_float_round_mode_16_64 0
		.amdhsa_float_denorm_mode_32 3
		.amdhsa_float_denorm_mode_16_64 3
		.amdhsa_dx10_clamp 1
		.amdhsa_ieee_mode 1
		.amdhsa_fp16_overflow 0
		.amdhsa_tg_split 0
		.amdhsa_exception_fp_ieee_invalid_op 0
		.amdhsa_exception_fp_denorm_src 0
		.amdhsa_exception_fp_ieee_div_zero 0
		.amdhsa_exception_fp_ieee_overflow 0
		.amdhsa_exception_fp_ieee_underflow 0
		.amdhsa_exception_fp_ieee_inexact 0
		.amdhsa_exception_int_div_zero 0
	.end_amdhsa_kernel
	.section	.text._ZN7rocprim17ROCPRIM_400000_NS6detail17trampoline_kernelINS0_14default_configENS1_35radix_sort_onesweep_config_selectorIffEEZZNS1_29radix_sort_onesweep_iterationIS3_Lb0EN6thrust23THRUST_200600_302600_NS6detail15normal_iteratorINS8_10device_ptrIfEEEESD_SD_SD_jNS0_19identity_decomposerENS1_16block_id_wrapperIjLb0EEEEE10hipError_tT1_PNSt15iterator_traitsISI_E10value_typeET2_T3_PNSJ_ISO_E10value_typeET4_T5_PST_SU_PNS1_23onesweep_lookback_stateEbbT6_jjT7_P12ihipStream_tbENKUlT_T0_SI_SN_E_clIPfSD_S15_SD_EEDaS11_S12_SI_SN_EUlS11_E_NS1_11comp_targetILNS1_3genE6ELNS1_11target_archE950ELNS1_3gpuE13ELNS1_3repE0EEENS1_47radix_sort_onesweep_sort_config_static_selectorELNS0_4arch9wavefront6targetE1EEEvSI_,"axG",@progbits,_ZN7rocprim17ROCPRIM_400000_NS6detail17trampoline_kernelINS0_14default_configENS1_35radix_sort_onesweep_config_selectorIffEEZZNS1_29radix_sort_onesweep_iterationIS3_Lb0EN6thrust23THRUST_200600_302600_NS6detail15normal_iteratorINS8_10device_ptrIfEEEESD_SD_SD_jNS0_19identity_decomposerENS1_16block_id_wrapperIjLb0EEEEE10hipError_tT1_PNSt15iterator_traitsISI_E10value_typeET2_T3_PNSJ_ISO_E10value_typeET4_T5_PST_SU_PNS1_23onesweep_lookback_stateEbbT6_jjT7_P12ihipStream_tbENKUlT_T0_SI_SN_E_clIPfSD_S15_SD_EEDaS11_S12_SI_SN_EUlS11_E_NS1_11comp_targetILNS1_3genE6ELNS1_11target_archE950ELNS1_3gpuE13ELNS1_3repE0EEENS1_47radix_sort_onesweep_sort_config_static_selectorELNS0_4arch9wavefront6targetE1EEEvSI_,comdat
.Lfunc_end351:
	.size	_ZN7rocprim17ROCPRIM_400000_NS6detail17trampoline_kernelINS0_14default_configENS1_35radix_sort_onesweep_config_selectorIffEEZZNS1_29radix_sort_onesweep_iterationIS3_Lb0EN6thrust23THRUST_200600_302600_NS6detail15normal_iteratorINS8_10device_ptrIfEEEESD_SD_SD_jNS0_19identity_decomposerENS1_16block_id_wrapperIjLb0EEEEE10hipError_tT1_PNSt15iterator_traitsISI_E10value_typeET2_T3_PNSJ_ISO_E10value_typeET4_T5_PST_SU_PNS1_23onesweep_lookback_stateEbbT6_jjT7_P12ihipStream_tbENKUlT_T0_SI_SN_E_clIPfSD_S15_SD_EEDaS11_S12_SI_SN_EUlS11_E_NS1_11comp_targetILNS1_3genE6ELNS1_11target_archE950ELNS1_3gpuE13ELNS1_3repE0EEENS1_47radix_sort_onesweep_sort_config_static_selectorELNS0_4arch9wavefront6targetE1EEEvSI_, .Lfunc_end351-_ZN7rocprim17ROCPRIM_400000_NS6detail17trampoline_kernelINS0_14default_configENS1_35radix_sort_onesweep_config_selectorIffEEZZNS1_29radix_sort_onesweep_iterationIS3_Lb0EN6thrust23THRUST_200600_302600_NS6detail15normal_iteratorINS8_10device_ptrIfEEEESD_SD_SD_jNS0_19identity_decomposerENS1_16block_id_wrapperIjLb0EEEEE10hipError_tT1_PNSt15iterator_traitsISI_E10value_typeET2_T3_PNSJ_ISO_E10value_typeET4_T5_PST_SU_PNS1_23onesweep_lookback_stateEbbT6_jjT7_P12ihipStream_tbENKUlT_T0_SI_SN_E_clIPfSD_S15_SD_EEDaS11_S12_SI_SN_EUlS11_E_NS1_11comp_targetILNS1_3genE6ELNS1_11target_archE950ELNS1_3gpuE13ELNS1_3repE0EEENS1_47radix_sort_onesweep_sort_config_static_selectorELNS0_4arch9wavefront6targetE1EEEvSI_
                                        ; -- End function
	.set _ZN7rocprim17ROCPRIM_400000_NS6detail17trampoline_kernelINS0_14default_configENS1_35radix_sort_onesweep_config_selectorIffEEZZNS1_29radix_sort_onesweep_iterationIS3_Lb0EN6thrust23THRUST_200600_302600_NS6detail15normal_iteratorINS8_10device_ptrIfEEEESD_SD_SD_jNS0_19identity_decomposerENS1_16block_id_wrapperIjLb0EEEEE10hipError_tT1_PNSt15iterator_traitsISI_E10value_typeET2_T3_PNSJ_ISO_E10value_typeET4_T5_PST_SU_PNS1_23onesweep_lookback_stateEbbT6_jjT7_P12ihipStream_tbENKUlT_T0_SI_SN_E_clIPfSD_S15_SD_EEDaS11_S12_SI_SN_EUlS11_E_NS1_11comp_targetILNS1_3genE6ELNS1_11target_archE950ELNS1_3gpuE13ELNS1_3repE0EEENS1_47radix_sort_onesweep_sort_config_static_selectorELNS0_4arch9wavefront6targetE1EEEvSI_.num_vgpr, 53
	.set _ZN7rocprim17ROCPRIM_400000_NS6detail17trampoline_kernelINS0_14default_configENS1_35radix_sort_onesweep_config_selectorIffEEZZNS1_29radix_sort_onesweep_iterationIS3_Lb0EN6thrust23THRUST_200600_302600_NS6detail15normal_iteratorINS8_10device_ptrIfEEEESD_SD_SD_jNS0_19identity_decomposerENS1_16block_id_wrapperIjLb0EEEEE10hipError_tT1_PNSt15iterator_traitsISI_E10value_typeET2_T3_PNSJ_ISO_E10value_typeET4_T5_PST_SU_PNS1_23onesweep_lookback_stateEbbT6_jjT7_P12ihipStream_tbENKUlT_T0_SI_SN_E_clIPfSD_S15_SD_EEDaS11_S12_SI_SN_EUlS11_E_NS1_11comp_targetILNS1_3genE6ELNS1_11target_archE950ELNS1_3gpuE13ELNS1_3repE0EEENS1_47radix_sort_onesweep_sort_config_static_selectorELNS0_4arch9wavefront6targetE1EEEvSI_.num_agpr, 0
	.set _ZN7rocprim17ROCPRIM_400000_NS6detail17trampoline_kernelINS0_14default_configENS1_35radix_sort_onesweep_config_selectorIffEEZZNS1_29radix_sort_onesweep_iterationIS3_Lb0EN6thrust23THRUST_200600_302600_NS6detail15normal_iteratorINS8_10device_ptrIfEEEESD_SD_SD_jNS0_19identity_decomposerENS1_16block_id_wrapperIjLb0EEEEE10hipError_tT1_PNSt15iterator_traitsISI_E10value_typeET2_T3_PNSJ_ISO_E10value_typeET4_T5_PST_SU_PNS1_23onesweep_lookback_stateEbbT6_jjT7_P12ihipStream_tbENKUlT_T0_SI_SN_E_clIPfSD_S15_SD_EEDaS11_S12_SI_SN_EUlS11_E_NS1_11comp_targetILNS1_3genE6ELNS1_11target_archE950ELNS1_3gpuE13ELNS1_3repE0EEENS1_47radix_sort_onesweep_sort_config_static_selectorELNS0_4arch9wavefront6targetE1EEEvSI_.numbered_sgpr, 57
	.set _ZN7rocprim17ROCPRIM_400000_NS6detail17trampoline_kernelINS0_14default_configENS1_35radix_sort_onesweep_config_selectorIffEEZZNS1_29radix_sort_onesweep_iterationIS3_Lb0EN6thrust23THRUST_200600_302600_NS6detail15normal_iteratorINS8_10device_ptrIfEEEESD_SD_SD_jNS0_19identity_decomposerENS1_16block_id_wrapperIjLb0EEEEE10hipError_tT1_PNSt15iterator_traitsISI_E10value_typeET2_T3_PNSJ_ISO_E10value_typeET4_T5_PST_SU_PNS1_23onesweep_lookback_stateEbbT6_jjT7_P12ihipStream_tbENKUlT_T0_SI_SN_E_clIPfSD_S15_SD_EEDaS11_S12_SI_SN_EUlS11_E_NS1_11comp_targetILNS1_3genE6ELNS1_11target_archE950ELNS1_3gpuE13ELNS1_3repE0EEENS1_47radix_sort_onesweep_sort_config_static_selectorELNS0_4arch9wavefront6targetE1EEEvSI_.num_named_barrier, 0
	.set _ZN7rocprim17ROCPRIM_400000_NS6detail17trampoline_kernelINS0_14default_configENS1_35radix_sort_onesweep_config_selectorIffEEZZNS1_29radix_sort_onesweep_iterationIS3_Lb0EN6thrust23THRUST_200600_302600_NS6detail15normal_iteratorINS8_10device_ptrIfEEEESD_SD_SD_jNS0_19identity_decomposerENS1_16block_id_wrapperIjLb0EEEEE10hipError_tT1_PNSt15iterator_traitsISI_E10value_typeET2_T3_PNSJ_ISO_E10value_typeET4_T5_PST_SU_PNS1_23onesweep_lookback_stateEbbT6_jjT7_P12ihipStream_tbENKUlT_T0_SI_SN_E_clIPfSD_S15_SD_EEDaS11_S12_SI_SN_EUlS11_E_NS1_11comp_targetILNS1_3genE6ELNS1_11target_archE950ELNS1_3gpuE13ELNS1_3repE0EEENS1_47radix_sort_onesweep_sort_config_static_selectorELNS0_4arch9wavefront6targetE1EEEvSI_.private_seg_size, 48
	.set _ZN7rocprim17ROCPRIM_400000_NS6detail17trampoline_kernelINS0_14default_configENS1_35radix_sort_onesweep_config_selectorIffEEZZNS1_29radix_sort_onesweep_iterationIS3_Lb0EN6thrust23THRUST_200600_302600_NS6detail15normal_iteratorINS8_10device_ptrIfEEEESD_SD_SD_jNS0_19identity_decomposerENS1_16block_id_wrapperIjLb0EEEEE10hipError_tT1_PNSt15iterator_traitsISI_E10value_typeET2_T3_PNSJ_ISO_E10value_typeET4_T5_PST_SU_PNS1_23onesweep_lookback_stateEbbT6_jjT7_P12ihipStream_tbENKUlT_T0_SI_SN_E_clIPfSD_S15_SD_EEDaS11_S12_SI_SN_EUlS11_E_NS1_11comp_targetILNS1_3genE6ELNS1_11target_archE950ELNS1_3gpuE13ELNS1_3repE0EEENS1_47radix_sort_onesweep_sort_config_static_selectorELNS0_4arch9wavefront6targetE1EEEvSI_.uses_vcc, 1
	.set _ZN7rocprim17ROCPRIM_400000_NS6detail17trampoline_kernelINS0_14default_configENS1_35radix_sort_onesweep_config_selectorIffEEZZNS1_29radix_sort_onesweep_iterationIS3_Lb0EN6thrust23THRUST_200600_302600_NS6detail15normal_iteratorINS8_10device_ptrIfEEEESD_SD_SD_jNS0_19identity_decomposerENS1_16block_id_wrapperIjLb0EEEEE10hipError_tT1_PNSt15iterator_traitsISI_E10value_typeET2_T3_PNSJ_ISO_E10value_typeET4_T5_PST_SU_PNS1_23onesweep_lookback_stateEbbT6_jjT7_P12ihipStream_tbENKUlT_T0_SI_SN_E_clIPfSD_S15_SD_EEDaS11_S12_SI_SN_EUlS11_E_NS1_11comp_targetILNS1_3genE6ELNS1_11target_archE950ELNS1_3gpuE13ELNS1_3repE0EEENS1_47radix_sort_onesweep_sort_config_static_selectorELNS0_4arch9wavefront6targetE1EEEvSI_.uses_flat_scratch, 0
	.set _ZN7rocprim17ROCPRIM_400000_NS6detail17trampoline_kernelINS0_14default_configENS1_35radix_sort_onesweep_config_selectorIffEEZZNS1_29radix_sort_onesweep_iterationIS3_Lb0EN6thrust23THRUST_200600_302600_NS6detail15normal_iteratorINS8_10device_ptrIfEEEESD_SD_SD_jNS0_19identity_decomposerENS1_16block_id_wrapperIjLb0EEEEE10hipError_tT1_PNSt15iterator_traitsISI_E10value_typeET2_T3_PNSJ_ISO_E10value_typeET4_T5_PST_SU_PNS1_23onesweep_lookback_stateEbbT6_jjT7_P12ihipStream_tbENKUlT_T0_SI_SN_E_clIPfSD_S15_SD_EEDaS11_S12_SI_SN_EUlS11_E_NS1_11comp_targetILNS1_3genE6ELNS1_11target_archE950ELNS1_3gpuE13ELNS1_3repE0EEENS1_47radix_sort_onesweep_sort_config_static_selectorELNS0_4arch9wavefront6targetE1EEEvSI_.has_dyn_sized_stack, 0
	.set _ZN7rocprim17ROCPRIM_400000_NS6detail17trampoline_kernelINS0_14default_configENS1_35radix_sort_onesweep_config_selectorIffEEZZNS1_29radix_sort_onesweep_iterationIS3_Lb0EN6thrust23THRUST_200600_302600_NS6detail15normal_iteratorINS8_10device_ptrIfEEEESD_SD_SD_jNS0_19identity_decomposerENS1_16block_id_wrapperIjLb0EEEEE10hipError_tT1_PNSt15iterator_traitsISI_E10value_typeET2_T3_PNSJ_ISO_E10value_typeET4_T5_PST_SU_PNS1_23onesweep_lookback_stateEbbT6_jjT7_P12ihipStream_tbENKUlT_T0_SI_SN_E_clIPfSD_S15_SD_EEDaS11_S12_SI_SN_EUlS11_E_NS1_11comp_targetILNS1_3genE6ELNS1_11target_archE950ELNS1_3gpuE13ELNS1_3repE0EEENS1_47radix_sort_onesweep_sort_config_static_selectorELNS0_4arch9wavefront6targetE1EEEvSI_.has_recursion, 0
	.set _ZN7rocprim17ROCPRIM_400000_NS6detail17trampoline_kernelINS0_14default_configENS1_35radix_sort_onesweep_config_selectorIffEEZZNS1_29radix_sort_onesweep_iterationIS3_Lb0EN6thrust23THRUST_200600_302600_NS6detail15normal_iteratorINS8_10device_ptrIfEEEESD_SD_SD_jNS0_19identity_decomposerENS1_16block_id_wrapperIjLb0EEEEE10hipError_tT1_PNSt15iterator_traitsISI_E10value_typeET2_T3_PNSJ_ISO_E10value_typeET4_T5_PST_SU_PNS1_23onesweep_lookback_stateEbbT6_jjT7_P12ihipStream_tbENKUlT_T0_SI_SN_E_clIPfSD_S15_SD_EEDaS11_S12_SI_SN_EUlS11_E_NS1_11comp_targetILNS1_3genE6ELNS1_11target_archE950ELNS1_3gpuE13ELNS1_3repE0EEENS1_47radix_sort_onesweep_sort_config_static_selectorELNS0_4arch9wavefront6targetE1EEEvSI_.has_indirect_call, 0
	.section	.AMDGPU.csdata,"",@progbits
; Kernel info:
; codeLenInByte = 13748
; TotalNumSgprs: 63
; NumVgprs: 53
; NumAgprs: 0
; TotalNumVgprs: 53
; ScratchSize: 48
; MemoryBound: 0
; FloatMode: 240
; IeeeMode: 1
; LDSByteSize: 53328 bytes/workgroup (compile time only)
; SGPRBlocks: 7
; VGPRBlocks: 6
; NumSGPRsForWavesPerEU: 63
; NumVGPRsForWavesPerEU: 53
; AccumOffset: 56
; Occupancy: 8
; WaveLimiterHint : 1
; COMPUTE_PGM_RSRC2:SCRATCH_EN: 1
; COMPUTE_PGM_RSRC2:USER_SGPR: 4
; COMPUTE_PGM_RSRC2:TRAP_HANDLER: 0
; COMPUTE_PGM_RSRC2:TGID_X_EN: 1
; COMPUTE_PGM_RSRC2:TGID_Y_EN: 0
; COMPUTE_PGM_RSRC2:TGID_Z_EN: 0
; COMPUTE_PGM_RSRC2:TIDIG_COMP_CNT: 2
; COMPUTE_PGM_RSRC3_GFX90A:ACCUM_OFFSET: 13
; COMPUTE_PGM_RSRC3_GFX90A:TG_SPLIT: 0
	.section	.text._ZN7rocprim17ROCPRIM_400000_NS6detail17trampoline_kernelINS0_14default_configENS1_35radix_sort_onesweep_config_selectorIffEEZZNS1_29radix_sort_onesweep_iterationIS3_Lb0EN6thrust23THRUST_200600_302600_NS6detail15normal_iteratorINS8_10device_ptrIfEEEESD_SD_SD_jNS0_19identity_decomposerENS1_16block_id_wrapperIjLb0EEEEE10hipError_tT1_PNSt15iterator_traitsISI_E10value_typeET2_T3_PNSJ_ISO_E10value_typeET4_T5_PST_SU_PNS1_23onesweep_lookback_stateEbbT6_jjT7_P12ihipStream_tbENKUlT_T0_SI_SN_E_clIPfSD_S15_SD_EEDaS11_S12_SI_SN_EUlS11_E_NS1_11comp_targetILNS1_3genE5ELNS1_11target_archE942ELNS1_3gpuE9ELNS1_3repE0EEENS1_47radix_sort_onesweep_sort_config_static_selectorELNS0_4arch9wavefront6targetE1EEEvSI_,"axG",@progbits,_ZN7rocprim17ROCPRIM_400000_NS6detail17trampoline_kernelINS0_14default_configENS1_35radix_sort_onesweep_config_selectorIffEEZZNS1_29radix_sort_onesweep_iterationIS3_Lb0EN6thrust23THRUST_200600_302600_NS6detail15normal_iteratorINS8_10device_ptrIfEEEESD_SD_SD_jNS0_19identity_decomposerENS1_16block_id_wrapperIjLb0EEEEE10hipError_tT1_PNSt15iterator_traitsISI_E10value_typeET2_T3_PNSJ_ISO_E10value_typeET4_T5_PST_SU_PNS1_23onesweep_lookback_stateEbbT6_jjT7_P12ihipStream_tbENKUlT_T0_SI_SN_E_clIPfSD_S15_SD_EEDaS11_S12_SI_SN_EUlS11_E_NS1_11comp_targetILNS1_3genE5ELNS1_11target_archE942ELNS1_3gpuE9ELNS1_3repE0EEENS1_47radix_sort_onesweep_sort_config_static_selectorELNS0_4arch9wavefront6targetE1EEEvSI_,comdat
	.protected	_ZN7rocprim17ROCPRIM_400000_NS6detail17trampoline_kernelINS0_14default_configENS1_35radix_sort_onesweep_config_selectorIffEEZZNS1_29radix_sort_onesweep_iterationIS3_Lb0EN6thrust23THRUST_200600_302600_NS6detail15normal_iteratorINS8_10device_ptrIfEEEESD_SD_SD_jNS0_19identity_decomposerENS1_16block_id_wrapperIjLb0EEEEE10hipError_tT1_PNSt15iterator_traitsISI_E10value_typeET2_T3_PNSJ_ISO_E10value_typeET4_T5_PST_SU_PNS1_23onesweep_lookback_stateEbbT6_jjT7_P12ihipStream_tbENKUlT_T0_SI_SN_E_clIPfSD_S15_SD_EEDaS11_S12_SI_SN_EUlS11_E_NS1_11comp_targetILNS1_3genE5ELNS1_11target_archE942ELNS1_3gpuE9ELNS1_3repE0EEENS1_47radix_sort_onesweep_sort_config_static_selectorELNS0_4arch9wavefront6targetE1EEEvSI_ ; -- Begin function _ZN7rocprim17ROCPRIM_400000_NS6detail17trampoline_kernelINS0_14default_configENS1_35radix_sort_onesweep_config_selectorIffEEZZNS1_29radix_sort_onesweep_iterationIS3_Lb0EN6thrust23THRUST_200600_302600_NS6detail15normal_iteratorINS8_10device_ptrIfEEEESD_SD_SD_jNS0_19identity_decomposerENS1_16block_id_wrapperIjLb0EEEEE10hipError_tT1_PNSt15iterator_traitsISI_E10value_typeET2_T3_PNSJ_ISO_E10value_typeET4_T5_PST_SU_PNS1_23onesweep_lookback_stateEbbT6_jjT7_P12ihipStream_tbENKUlT_T0_SI_SN_E_clIPfSD_S15_SD_EEDaS11_S12_SI_SN_EUlS11_E_NS1_11comp_targetILNS1_3genE5ELNS1_11target_archE942ELNS1_3gpuE9ELNS1_3repE0EEENS1_47radix_sort_onesweep_sort_config_static_selectorELNS0_4arch9wavefront6targetE1EEEvSI_
	.globl	_ZN7rocprim17ROCPRIM_400000_NS6detail17trampoline_kernelINS0_14default_configENS1_35radix_sort_onesweep_config_selectorIffEEZZNS1_29radix_sort_onesweep_iterationIS3_Lb0EN6thrust23THRUST_200600_302600_NS6detail15normal_iteratorINS8_10device_ptrIfEEEESD_SD_SD_jNS0_19identity_decomposerENS1_16block_id_wrapperIjLb0EEEEE10hipError_tT1_PNSt15iterator_traitsISI_E10value_typeET2_T3_PNSJ_ISO_E10value_typeET4_T5_PST_SU_PNS1_23onesweep_lookback_stateEbbT6_jjT7_P12ihipStream_tbENKUlT_T0_SI_SN_E_clIPfSD_S15_SD_EEDaS11_S12_SI_SN_EUlS11_E_NS1_11comp_targetILNS1_3genE5ELNS1_11target_archE942ELNS1_3gpuE9ELNS1_3repE0EEENS1_47radix_sort_onesweep_sort_config_static_selectorELNS0_4arch9wavefront6targetE1EEEvSI_
	.p2align	8
	.type	_ZN7rocprim17ROCPRIM_400000_NS6detail17trampoline_kernelINS0_14default_configENS1_35radix_sort_onesweep_config_selectorIffEEZZNS1_29radix_sort_onesweep_iterationIS3_Lb0EN6thrust23THRUST_200600_302600_NS6detail15normal_iteratorINS8_10device_ptrIfEEEESD_SD_SD_jNS0_19identity_decomposerENS1_16block_id_wrapperIjLb0EEEEE10hipError_tT1_PNSt15iterator_traitsISI_E10value_typeET2_T3_PNSJ_ISO_E10value_typeET4_T5_PST_SU_PNS1_23onesweep_lookback_stateEbbT6_jjT7_P12ihipStream_tbENKUlT_T0_SI_SN_E_clIPfSD_S15_SD_EEDaS11_S12_SI_SN_EUlS11_E_NS1_11comp_targetILNS1_3genE5ELNS1_11target_archE942ELNS1_3gpuE9ELNS1_3repE0EEENS1_47radix_sort_onesweep_sort_config_static_selectorELNS0_4arch9wavefront6targetE1EEEvSI_,@function
_ZN7rocprim17ROCPRIM_400000_NS6detail17trampoline_kernelINS0_14default_configENS1_35radix_sort_onesweep_config_selectorIffEEZZNS1_29radix_sort_onesweep_iterationIS3_Lb0EN6thrust23THRUST_200600_302600_NS6detail15normal_iteratorINS8_10device_ptrIfEEEESD_SD_SD_jNS0_19identity_decomposerENS1_16block_id_wrapperIjLb0EEEEE10hipError_tT1_PNSt15iterator_traitsISI_E10value_typeET2_T3_PNSJ_ISO_E10value_typeET4_T5_PST_SU_PNS1_23onesweep_lookback_stateEbbT6_jjT7_P12ihipStream_tbENKUlT_T0_SI_SN_E_clIPfSD_S15_SD_EEDaS11_S12_SI_SN_EUlS11_E_NS1_11comp_targetILNS1_3genE5ELNS1_11target_archE942ELNS1_3gpuE9ELNS1_3repE0EEENS1_47radix_sort_onesweep_sort_config_static_selectorELNS0_4arch9wavefront6targetE1EEEvSI_: ; @_ZN7rocprim17ROCPRIM_400000_NS6detail17trampoline_kernelINS0_14default_configENS1_35radix_sort_onesweep_config_selectorIffEEZZNS1_29radix_sort_onesweep_iterationIS3_Lb0EN6thrust23THRUST_200600_302600_NS6detail15normal_iteratorINS8_10device_ptrIfEEEESD_SD_SD_jNS0_19identity_decomposerENS1_16block_id_wrapperIjLb0EEEEE10hipError_tT1_PNSt15iterator_traitsISI_E10value_typeET2_T3_PNSJ_ISO_E10value_typeET4_T5_PST_SU_PNS1_23onesweep_lookback_stateEbbT6_jjT7_P12ihipStream_tbENKUlT_T0_SI_SN_E_clIPfSD_S15_SD_EEDaS11_S12_SI_SN_EUlS11_E_NS1_11comp_targetILNS1_3genE5ELNS1_11target_archE942ELNS1_3gpuE9ELNS1_3repE0EEENS1_47radix_sort_onesweep_sort_config_static_selectorELNS0_4arch9wavefront6targetE1EEEvSI_
; %bb.0:
	.section	.rodata,"a",@progbits
	.p2align	6, 0x0
	.amdhsa_kernel _ZN7rocprim17ROCPRIM_400000_NS6detail17trampoline_kernelINS0_14default_configENS1_35radix_sort_onesweep_config_selectorIffEEZZNS1_29radix_sort_onesweep_iterationIS3_Lb0EN6thrust23THRUST_200600_302600_NS6detail15normal_iteratorINS8_10device_ptrIfEEEESD_SD_SD_jNS0_19identity_decomposerENS1_16block_id_wrapperIjLb0EEEEE10hipError_tT1_PNSt15iterator_traitsISI_E10value_typeET2_T3_PNSJ_ISO_E10value_typeET4_T5_PST_SU_PNS1_23onesweep_lookback_stateEbbT6_jjT7_P12ihipStream_tbENKUlT_T0_SI_SN_E_clIPfSD_S15_SD_EEDaS11_S12_SI_SN_EUlS11_E_NS1_11comp_targetILNS1_3genE5ELNS1_11target_archE942ELNS1_3gpuE9ELNS1_3repE0EEENS1_47radix_sort_onesweep_sort_config_static_selectorELNS0_4arch9wavefront6targetE1EEEvSI_
		.amdhsa_group_segment_fixed_size 0
		.amdhsa_private_segment_fixed_size 0
		.amdhsa_kernarg_size 88
		.amdhsa_user_sgpr_count 2
		.amdhsa_user_sgpr_dispatch_ptr 0
		.amdhsa_user_sgpr_queue_ptr 0
		.amdhsa_user_sgpr_kernarg_segment_ptr 1
		.amdhsa_user_sgpr_dispatch_id 0
		.amdhsa_user_sgpr_kernarg_preload_length 0
		.amdhsa_user_sgpr_kernarg_preload_offset 0
		.amdhsa_user_sgpr_private_segment_size 0
		.amdhsa_uses_dynamic_stack 0
		.amdhsa_enable_private_segment 0
		.amdhsa_system_sgpr_workgroup_id_x 1
		.amdhsa_system_sgpr_workgroup_id_y 0
		.amdhsa_system_sgpr_workgroup_id_z 0
		.amdhsa_system_sgpr_workgroup_info 0
		.amdhsa_system_vgpr_workitem_id 0
		.amdhsa_next_free_vgpr 1
		.amdhsa_next_free_sgpr 0
		.amdhsa_accum_offset 4
		.amdhsa_reserve_vcc 0
		.amdhsa_float_round_mode_32 0
		.amdhsa_float_round_mode_16_64 0
		.amdhsa_float_denorm_mode_32 3
		.amdhsa_float_denorm_mode_16_64 3
		.amdhsa_dx10_clamp 1
		.amdhsa_ieee_mode 1
		.amdhsa_fp16_overflow 0
		.amdhsa_tg_split 0
		.amdhsa_exception_fp_ieee_invalid_op 0
		.amdhsa_exception_fp_denorm_src 0
		.amdhsa_exception_fp_ieee_div_zero 0
		.amdhsa_exception_fp_ieee_overflow 0
		.amdhsa_exception_fp_ieee_underflow 0
		.amdhsa_exception_fp_ieee_inexact 0
		.amdhsa_exception_int_div_zero 0
	.end_amdhsa_kernel
	.section	.text._ZN7rocprim17ROCPRIM_400000_NS6detail17trampoline_kernelINS0_14default_configENS1_35radix_sort_onesweep_config_selectorIffEEZZNS1_29radix_sort_onesweep_iterationIS3_Lb0EN6thrust23THRUST_200600_302600_NS6detail15normal_iteratorINS8_10device_ptrIfEEEESD_SD_SD_jNS0_19identity_decomposerENS1_16block_id_wrapperIjLb0EEEEE10hipError_tT1_PNSt15iterator_traitsISI_E10value_typeET2_T3_PNSJ_ISO_E10value_typeET4_T5_PST_SU_PNS1_23onesweep_lookback_stateEbbT6_jjT7_P12ihipStream_tbENKUlT_T0_SI_SN_E_clIPfSD_S15_SD_EEDaS11_S12_SI_SN_EUlS11_E_NS1_11comp_targetILNS1_3genE5ELNS1_11target_archE942ELNS1_3gpuE9ELNS1_3repE0EEENS1_47radix_sort_onesweep_sort_config_static_selectorELNS0_4arch9wavefront6targetE1EEEvSI_,"axG",@progbits,_ZN7rocprim17ROCPRIM_400000_NS6detail17trampoline_kernelINS0_14default_configENS1_35radix_sort_onesweep_config_selectorIffEEZZNS1_29radix_sort_onesweep_iterationIS3_Lb0EN6thrust23THRUST_200600_302600_NS6detail15normal_iteratorINS8_10device_ptrIfEEEESD_SD_SD_jNS0_19identity_decomposerENS1_16block_id_wrapperIjLb0EEEEE10hipError_tT1_PNSt15iterator_traitsISI_E10value_typeET2_T3_PNSJ_ISO_E10value_typeET4_T5_PST_SU_PNS1_23onesweep_lookback_stateEbbT6_jjT7_P12ihipStream_tbENKUlT_T0_SI_SN_E_clIPfSD_S15_SD_EEDaS11_S12_SI_SN_EUlS11_E_NS1_11comp_targetILNS1_3genE5ELNS1_11target_archE942ELNS1_3gpuE9ELNS1_3repE0EEENS1_47radix_sort_onesweep_sort_config_static_selectorELNS0_4arch9wavefront6targetE1EEEvSI_,comdat
.Lfunc_end352:
	.size	_ZN7rocprim17ROCPRIM_400000_NS6detail17trampoline_kernelINS0_14default_configENS1_35radix_sort_onesweep_config_selectorIffEEZZNS1_29radix_sort_onesweep_iterationIS3_Lb0EN6thrust23THRUST_200600_302600_NS6detail15normal_iteratorINS8_10device_ptrIfEEEESD_SD_SD_jNS0_19identity_decomposerENS1_16block_id_wrapperIjLb0EEEEE10hipError_tT1_PNSt15iterator_traitsISI_E10value_typeET2_T3_PNSJ_ISO_E10value_typeET4_T5_PST_SU_PNS1_23onesweep_lookback_stateEbbT6_jjT7_P12ihipStream_tbENKUlT_T0_SI_SN_E_clIPfSD_S15_SD_EEDaS11_S12_SI_SN_EUlS11_E_NS1_11comp_targetILNS1_3genE5ELNS1_11target_archE942ELNS1_3gpuE9ELNS1_3repE0EEENS1_47radix_sort_onesweep_sort_config_static_selectorELNS0_4arch9wavefront6targetE1EEEvSI_, .Lfunc_end352-_ZN7rocprim17ROCPRIM_400000_NS6detail17trampoline_kernelINS0_14default_configENS1_35radix_sort_onesweep_config_selectorIffEEZZNS1_29radix_sort_onesweep_iterationIS3_Lb0EN6thrust23THRUST_200600_302600_NS6detail15normal_iteratorINS8_10device_ptrIfEEEESD_SD_SD_jNS0_19identity_decomposerENS1_16block_id_wrapperIjLb0EEEEE10hipError_tT1_PNSt15iterator_traitsISI_E10value_typeET2_T3_PNSJ_ISO_E10value_typeET4_T5_PST_SU_PNS1_23onesweep_lookback_stateEbbT6_jjT7_P12ihipStream_tbENKUlT_T0_SI_SN_E_clIPfSD_S15_SD_EEDaS11_S12_SI_SN_EUlS11_E_NS1_11comp_targetILNS1_3genE5ELNS1_11target_archE942ELNS1_3gpuE9ELNS1_3repE0EEENS1_47radix_sort_onesweep_sort_config_static_selectorELNS0_4arch9wavefront6targetE1EEEvSI_
                                        ; -- End function
	.set _ZN7rocprim17ROCPRIM_400000_NS6detail17trampoline_kernelINS0_14default_configENS1_35radix_sort_onesweep_config_selectorIffEEZZNS1_29radix_sort_onesweep_iterationIS3_Lb0EN6thrust23THRUST_200600_302600_NS6detail15normal_iteratorINS8_10device_ptrIfEEEESD_SD_SD_jNS0_19identity_decomposerENS1_16block_id_wrapperIjLb0EEEEE10hipError_tT1_PNSt15iterator_traitsISI_E10value_typeET2_T3_PNSJ_ISO_E10value_typeET4_T5_PST_SU_PNS1_23onesweep_lookback_stateEbbT6_jjT7_P12ihipStream_tbENKUlT_T0_SI_SN_E_clIPfSD_S15_SD_EEDaS11_S12_SI_SN_EUlS11_E_NS1_11comp_targetILNS1_3genE5ELNS1_11target_archE942ELNS1_3gpuE9ELNS1_3repE0EEENS1_47radix_sort_onesweep_sort_config_static_selectorELNS0_4arch9wavefront6targetE1EEEvSI_.num_vgpr, 0
	.set _ZN7rocprim17ROCPRIM_400000_NS6detail17trampoline_kernelINS0_14default_configENS1_35radix_sort_onesweep_config_selectorIffEEZZNS1_29radix_sort_onesweep_iterationIS3_Lb0EN6thrust23THRUST_200600_302600_NS6detail15normal_iteratorINS8_10device_ptrIfEEEESD_SD_SD_jNS0_19identity_decomposerENS1_16block_id_wrapperIjLb0EEEEE10hipError_tT1_PNSt15iterator_traitsISI_E10value_typeET2_T3_PNSJ_ISO_E10value_typeET4_T5_PST_SU_PNS1_23onesweep_lookback_stateEbbT6_jjT7_P12ihipStream_tbENKUlT_T0_SI_SN_E_clIPfSD_S15_SD_EEDaS11_S12_SI_SN_EUlS11_E_NS1_11comp_targetILNS1_3genE5ELNS1_11target_archE942ELNS1_3gpuE9ELNS1_3repE0EEENS1_47radix_sort_onesweep_sort_config_static_selectorELNS0_4arch9wavefront6targetE1EEEvSI_.num_agpr, 0
	.set _ZN7rocprim17ROCPRIM_400000_NS6detail17trampoline_kernelINS0_14default_configENS1_35radix_sort_onesweep_config_selectorIffEEZZNS1_29radix_sort_onesweep_iterationIS3_Lb0EN6thrust23THRUST_200600_302600_NS6detail15normal_iteratorINS8_10device_ptrIfEEEESD_SD_SD_jNS0_19identity_decomposerENS1_16block_id_wrapperIjLb0EEEEE10hipError_tT1_PNSt15iterator_traitsISI_E10value_typeET2_T3_PNSJ_ISO_E10value_typeET4_T5_PST_SU_PNS1_23onesweep_lookback_stateEbbT6_jjT7_P12ihipStream_tbENKUlT_T0_SI_SN_E_clIPfSD_S15_SD_EEDaS11_S12_SI_SN_EUlS11_E_NS1_11comp_targetILNS1_3genE5ELNS1_11target_archE942ELNS1_3gpuE9ELNS1_3repE0EEENS1_47radix_sort_onesweep_sort_config_static_selectorELNS0_4arch9wavefront6targetE1EEEvSI_.numbered_sgpr, 0
	.set _ZN7rocprim17ROCPRIM_400000_NS6detail17trampoline_kernelINS0_14default_configENS1_35radix_sort_onesweep_config_selectorIffEEZZNS1_29radix_sort_onesweep_iterationIS3_Lb0EN6thrust23THRUST_200600_302600_NS6detail15normal_iteratorINS8_10device_ptrIfEEEESD_SD_SD_jNS0_19identity_decomposerENS1_16block_id_wrapperIjLb0EEEEE10hipError_tT1_PNSt15iterator_traitsISI_E10value_typeET2_T3_PNSJ_ISO_E10value_typeET4_T5_PST_SU_PNS1_23onesweep_lookback_stateEbbT6_jjT7_P12ihipStream_tbENKUlT_T0_SI_SN_E_clIPfSD_S15_SD_EEDaS11_S12_SI_SN_EUlS11_E_NS1_11comp_targetILNS1_3genE5ELNS1_11target_archE942ELNS1_3gpuE9ELNS1_3repE0EEENS1_47radix_sort_onesweep_sort_config_static_selectorELNS0_4arch9wavefront6targetE1EEEvSI_.num_named_barrier, 0
	.set _ZN7rocprim17ROCPRIM_400000_NS6detail17trampoline_kernelINS0_14default_configENS1_35radix_sort_onesweep_config_selectorIffEEZZNS1_29radix_sort_onesweep_iterationIS3_Lb0EN6thrust23THRUST_200600_302600_NS6detail15normal_iteratorINS8_10device_ptrIfEEEESD_SD_SD_jNS0_19identity_decomposerENS1_16block_id_wrapperIjLb0EEEEE10hipError_tT1_PNSt15iterator_traitsISI_E10value_typeET2_T3_PNSJ_ISO_E10value_typeET4_T5_PST_SU_PNS1_23onesweep_lookback_stateEbbT6_jjT7_P12ihipStream_tbENKUlT_T0_SI_SN_E_clIPfSD_S15_SD_EEDaS11_S12_SI_SN_EUlS11_E_NS1_11comp_targetILNS1_3genE5ELNS1_11target_archE942ELNS1_3gpuE9ELNS1_3repE0EEENS1_47radix_sort_onesweep_sort_config_static_selectorELNS0_4arch9wavefront6targetE1EEEvSI_.private_seg_size, 0
	.set _ZN7rocprim17ROCPRIM_400000_NS6detail17trampoline_kernelINS0_14default_configENS1_35radix_sort_onesweep_config_selectorIffEEZZNS1_29radix_sort_onesweep_iterationIS3_Lb0EN6thrust23THRUST_200600_302600_NS6detail15normal_iteratorINS8_10device_ptrIfEEEESD_SD_SD_jNS0_19identity_decomposerENS1_16block_id_wrapperIjLb0EEEEE10hipError_tT1_PNSt15iterator_traitsISI_E10value_typeET2_T3_PNSJ_ISO_E10value_typeET4_T5_PST_SU_PNS1_23onesweep_lookback_stateEbbT6_jjT7_P12ihipStream_tbENKUlT_T0_SI_SN_E_clIPfSD_S15_SD_EEDaS11_S12_SI_SN_EUlS11_E_NS1_11comp_targetILNS1_3genE5ELNS1_11target_archE942ELNS1_3gpuE9ELNS1_3repE0EEENS1_47radix_sort_onesweep_sort_config_static_selectorELNS0_4arch9wavefront6targetE1EEEvSI_.uses_vcc, 0
	.set _ZN7rocprim17ROCPRIM_400000_NS6detail17trampoline_kernelINS0_14default_configENS1_35radix_sort_onesweep_config_selectorIffEEZZNS1_29radix_sort_onesweep_iterationIS3_Lb0EN6thrust23THRUST_200600_302600_NS6detail15normal_iteratorINS8_10device_ptrIfEEEESD_SD_SD_jNS0_19identity_decomposerENS1_16block_id_wrapperIjLb0EEEEE10hipError_tT1_PNSt15iterator_traitsISI_E10value_typeET2_T3_PNSJ_ISO_E10value_typeET4_T5_PST_SU_PNS1_23onesweep_lookback_stateEbbT6_jjT7_P12ihipStream_tbENKUlT_T0_SI_SN_E_clIPfSD_S15_SD_EEDaS11_S12_SI_SN_EUlS11_E_NS1_11comp_targetILNS1_3genE5ELNS1_11target_archE942ELNS1_3gpuE9ELNS1_3repE0EEENS1_47radix_sort_onesweep_sort_config_static_selectorELNS0_4arch9wavefront6targetE1EEEvSI_.uses_flat_scratch, 0
	.set _ZN7rocprim17ROCPRIM_400000_NS6detail17trampoline_kernelINS0_14default_configENS1_35radix_sort_onesweep_config_selectorIffEEZZNS1_29radix_sort_onesweep_iterationIS3_Lb0EN6thrust23THRUST_200600_302600_NS6detail15normal_iteratorINS8_10device_ptrIfEEEESD_SD_SD_jNS0_19identity_decomposerENS1_16block_id_wrapperIjLb0EEEEE10hipError_tT1_PNSt15iterator_traitsISI_E10value_typeET2_T3_PNSJ_ISO_E10value_typeET4_T5_PST_SU_PNS1_23onesweep_lookback_stateEbbT6_jjT7_P12ihipStream_tbENKUlT_T0_SI_SN_E_clIPfSD_S15_SD_EEDaS11_S12_SI_SN_EUlS11_E_NS1_11comp_targetILNS1_3genE5ELNS1_11target_archE942ELNS1_3gpuE9ELNS1_3repE0EEENS1_47radix_sort_onesweep_sort_config_static_selectorELNS0_4arch9wavefront6targetE1EEEvSI_.has_dyn_sized_stack, 0
	.set _ZN7rocprim17ROCPRIM_400000_NS6detail17trampoline_kernelINS0_14default_configENS1_35radix_sort_onesweep_config_selectorIffEEZZNS1_29radix_sort_onesweep_iterationIS3_Lb0EN6thrust23THRUST_200600_302600_NS6detail15normal_iteratorINS8_10device_ptrIfEEEESD_SD_SD_jNS0_19identity_decomposerENS1_16block_id_wrapperIjLb0EEEEE10hipError_tT1_PNSt15iterator_traitsISI_E10value_typeET2_T3_PNSJ_ISO_E10value_typeET4_T5_PST_SU_PNS1_23onesweep_lookback_stateEbbT6_jjT7_P12ihipStream_tbENKUlT_T0_SI_SN_E_clIPfSD_S15_SD_EEDaS11_S12_SI_SN_EUlS11_E_NS1_11comp_targetILNS1_3genE5ELNS1_11target_archE942ELNS1_3gpuE9ELNS1_3repE0EEENS1_47radix_sort_onesweep_sort_config_static_selectorELNS0_4arch9wavefront6targetE1EEEvSI_.has_recursion, 0
	.set _ZN7rocprim17ROCPRIM_400000_NS6detail17trampoline_kernelINS0_14default_configENS1_35radix_sort_onesweep_config_selectorIffEEZZNS1_29radix_sort_onesweep_iterationIS3_Lb0EN6thrust23THRUST_200600_302600_NS6detail15normal_iteratorINS8_10device_ptrIfEEEESD_SD_SD_jNS0_19identity_decomposerENS1_16block_id_wrapperIjLb0EEEEE10hipError_tT1_PNSt15iterator_traitsISI_E10value_typeET2_T3_PNSJ_ISO_E10value_typeET4_T5_PST_SU_PNS1_23onesweep_lookback_stateEbbT6_jjT7_P12ihipStream_tbENKUlT_T0_SI_SN_E_clIPfSD_S15_SD_EEDaS11_S12_SI_SN_EUlS11_E_NS1_11comp_targetILNS1_3genE5ELNS1_11target_archE942ELNS1_3gpuE9ELNS1_3repE0EEENS1_47radix_sort_onesweep_sort_config_static_selectorELNS0_4arch9wavefront6targetE1EEEvSI_.has_indirect_call, 0
	.section	.AMDGPU.csdata,"",@progbits
; Kernel info:
; codeLenInByte = 0
; TotalNumSgprs: 6
; NumVgprs: 0
; NumAgprs: 0
; TotalNumVgprs: 0
; ScratchSize: 0
; MemoryBound: 0
; FloatMode: 240
; IeeeMode: 1
; LDSByteSize: 0 bytes/workgroup (compile time only)
; SGPRBlocks: 0
; VGPRBlocks: 0
; NumSGPRsForWavesPerEU: 6
; NumVGPRsForWavesPerEU: 1
; AccumOffset: 4
; Occupancy: 8
; WaveLimiterHint : 0
; COMPUTE_PGM_RSRC2:SCRATCH_EN: 0
; COMPUTE_PGM_RSRC2:USER_SGPR: 2
; COMPUTE_PGM_RSRC2:TRAP_HANDLER: 0
; COMPUTE_PGM_RSRC2:TGID_X_EN: 1
; COMPUTE_PGM_RSRC2:TGID_Y_EN: 0
; COMPUTE_PGM_RSRC2:TGID_Z_EN: 0
; COMPUTE_PGM_RSRC2:TIDIG_COMP_CNT: 0
; COMPUTE_PGM_RSRC3_GFX90A:ACCUM_OFFSET: 0
; COMPUTE_PGM_RSRC3_GFX90A:TG_SPLIT: 0
	.section	.text._ZN7rocprim17ROCPRIM_400000_NS6detail17trampoline_kernelINS0_14default_configENS1_35radix_sort_onesweep_config_selectorIffEEZZNS1_29radix_sort_onesweep_iterationIS3_Lb0EN6thrust23THRUST_200600_302600_NS6detail15normal_iteratorINS8_10device_ptrIfEEEESD_SD_SD_jNS0_19identity_decomposerENS1_16block_id_wrapperIjLb0EEEEE10hipError_tT1_PNSt15iterator_traitsISI_E10value_typeET2_T3_PNSJ_ISO_E10value_typeET4_T5_PST_SU_PNS1_23onesweep_lookback_stateEbbT6_jjT7_P12ihipStream_tbENKUlT_T0_SI_SN_E_clIPfSD_S15_SD_EEDaS11_S12_SI_SN_EUlS11_E_NS1_11comp_targetILNS1_3genE2ELNS1_11target_archE906ELNS1_3gpuE6ELNS1_3repE0EEENS1_47radix_sort_onesweep_sort_config_static_selectorELNS0_4arch9wavefront6targetE1EEEvSI_,"axG",@progbits,_ZN7rocprim17ROCPRIM_400000_NS6detail17trampoline_kernelINS0_14default_configENS1_35radix_sort_onesweep_config_selectorIffEEZZNS1_29radix_sort_onesweep_iterationIS3_Lb0EN6thrust23THRUST_200600_302600_NS6detail15normal_iteratorINS8_10device_ptrIfEEEESD_SD_SD_jNS0_19identity_decomposerENS1_16block_id_wrapperIjLb0EEEEE10hipError_tT1_PNSt15iterator_traitsISI_E10value_typeET2_T3_PNSJ_ISO_E10value_typeET4_T5_PST_SU_PNS1_23onesweep_lookback_stateEbbT6_jjT7_P12ihipStream_tbENKUlT_T0_SI_SN_E_clIPfSD_S15_SD_EEDaS11_S12_SI_SN_EUlS11_E_NS1_11comp_targetILNS1_3genE2ELNS1_11target_archE906ELNS1_3gpuE6ELNS1_3repE0EEENS1_47radix_sort_onesweep_sort_config_static_selectorELNS0_4arch9wavefront6targetE1EEEvSI_,comdat
	.protected	_ZN7rocprim17ROCPRIM_400000_NS6detail17trampoline_kernelINS0_14default_configENS1_35radix_sort_onesweep_config_selectorIffEEZZNS1_29radix_sort_onesweep_iterationIS3_Lb0EN6thrust23THRUST_200600_302600_NS6detail15normal_iteratorINS8_10device_ptrIfEEEESD_SD_SD_jNS0_19identity_decomposerENS1_16block_id_wrapperIjLb0EEEEE10hipError_tT1_PNSt15iterator_traitsISI_E10value_typeET2_T3_PNSJ_ISO_E10value_typeET4_T5_PST_SU_PNS1_23onesweep_lookback_stateEbbT6_jjT7_P12ihipStream_tbENKUlT_T0_SI_SN_E_clIPfSD_S15_SD_EEDaS11_S12_SI_SN_EUlS11_E_NS1_11comp_targetILNS1_3genE2ELNS1_11target_archE906ELNS1_3gpuE6ELNS1_3repE0EEENS1_47radix_sort_onesweep_sort_config_static_selectorELNS0_4arch9wavefront6targetE1EEEvSI_ ; -- Begin function _ZN7rocprim17ROCPRIM_400000_NS6detail17trampoline_kernelINS0_14default_configENS1_35radix_sort_onesweep_config_selectorIffEEZZNS1_29radix_sort_onesweep_iterationIS3_Lb0EN6thrust23THRUST_200600_302600_NS6detail15normal_iteratorINS8_10device_ptrIfEEEESD_SD_SD_jNS0_19identity_decomposerENS1_16block_id_wrapperIjLb0EEEEE10hipError_tT1_PNSt15iterator_traitsISI_E10value_typeET2_T3_PNSJ_ISO_E10value_typeET4_T5_PST_SU_PNS1_23onesweep_lookback_stateEbbT6_jjT7_P12ihipStream_tbENKUlT_T0_SI_SN_E_clIPfSD_S15_SD_EEDaS11_S12_SI_SN_EUlS11_E_NS1_11comp_targetILNS1_3genE2ELNS1_11target_archE906ELNS1_3gpuE6ELNS1_3repE0EEENS1_47radix_sort_onesweep_sort_config_static_selectorELNS0_4arch9wavefront6targetE1EEEvSI_
	.globl	_ZN7rocprim17ROCPRIM_400000_NS6detail17trampoline_kernelINS0_14default_configENS1_35radix_sort_onesweep_config_selectorIffEEZZNS1_29radix_sort_onesweep_iterationIS3_Lb0EN6thrust23THRUST_200600_302600_NS6detail15normal_iteratorINS8_10device_ptrIfEEEESD_SD_SD_jNS0_19identity_decomposerENS1_16block_id_wrapperIjLb0EEEEE10hipError_tT1_PNSt15iterator_traitsISI_E10value_typeET2_T3_PNSJ_ISO_E10value_typeET4_T5_PST_SU_PNS1_23onesweep_lookback_stateEbbT6_jjT7_P12ihipStream_tbENKUlT_T0_SI_SN_E_clIPfSD_S15_SD_EEDaS11_S12_SI_SN_EUlS11_E_NS1_11comp_targetILNS1_3genE2ELNS1_11target_archE906ELNS1_3gpuE6ELNS1_3repE0EEENS1_47radix_sort_onesweep_sort_config_static_selectorELNS0_4arch9wavefront6targetE1EEEvSI_
	.p2align	8
	.type	_ZN7rocprim17ROCPRIM_400000_NS6detail17trampoline_kernelINS0_14default_configENS1_35radix_sort_onesweep_config_selectorIffEEZZNS1_29radix_sort_onesweep_iterationIS3_Lb0EN6thrust23THRUST_200600_302600_NS6detail15normal_iteratorINS8_10device_ptrIfEEEESD_SD_SD_jNS0_19identity_decomposerENS1_16block_id_wrapperIjLb0EEEEE10hipError_tT1_PNSt15iterator_traitsISI_E10value_typeET2_T3_PNSJ_ISO_E10value_typeET4_T5_PST_SU_PNS1_23onesweep_lookback_stateEbbT6_jjT7_P12ihipStream_tbENKUlT_T0_SI_SN_E_clIPfSD_S15_SD_EEDaS11_S12_SI_SN_EUlS11_E_NS1_11comp_targetILNS1_3genE2ELNS1_11target_archE906ELNS1_3gpuE6ELNS1_3repE0EEENS1_47radix_sort_onesweep_sort_config_static_selectorELNS0_4arch9wavefront6targetE1EEEvSI_,@function
_ZN7rocprim17ROCPRIM_400000_NS6detail17trampoline_kernelINS0_14default_configENS1_35radix_sort_onesweep_config_selectorIffEEZZNS1_29radix_sort_onesweep_iterationIS3_Lb0EN6thrust23THRUST_200600_302600_NS6detail15normal_iteratorINS8_10device_ptrIfEEEESD_SD_SD_jNS0_19identity_decomposerENS1_16block_id_wrapperIjLb0EEEEE10hipError_tT1_PNSt15iterator_traitsISI_E10value_typeET2_T3_PNSJ_ISO_E10value_typeET4_T5_PST_SU_PNS1_23onesweep_lookback_stateEbbT6_jjT7_P12ihipStream_tbENKUlT_T0_SI_SN_E_clIPfSD_S15_SD_EEDaS11_S12_SI_SN_EUlS11_E_NS1_11comp_targetILNS1_3genE2ELNS1_11target_archE906ELNS1_3gpuE6ELNS1_3repE0EEENS1_47radix_sort_onesweep_sort_config_static_selectorELNS0_4arch9wavefront6targetE1EEEvSI_: ; @_ZN7rocprim17ROCPRIM_400000_NS6detail17trampoline_kernelINS0_14default_configENS1_35radix_sort_onesweep_config_selectorIffEEZZNS1_29radix_sort_onesweep_iterationIS3_Lb0EN6thrust23THRUST_200600_302600_NS6detail15normal_iteratorINS8_10device_ptrIfEEEESD_SD_SD_jNS0_19identity_decomposerENS1_16block_id_wrapperIjLb0EEEEE10hipError_tT1_PNSt15iterator_traitsISI_E10value_typeET2_T3_PNSJ_ISO_E10value_typeET4_T5_PST_SU_PNS1_23onesweep_lookback_stateEbbT6_jjT7_P12ihipStream_tbENKUlT_T0_SI_SN_E_clIPfSD_S15_SD_EEDaS11_S12_SI_SN_EUlS11_E_NS1_11comp_targetILNS1_3genE2ELNS1_11target_archE906ELNS1_3gpuE6ELNS1_3repE0EEENS1_47radix_sort_onesweep_sort_config_static_selectorELNS0_4arch9wavefront6targetE1EEEvSI_
; %bb.0:
	.section	.rodata,"a",@progbits
	.p2align	6, 0x0
	.amdhsa_kernel _ZN7rocprim17ROCPRIM_400000_NS6detail17trampoline_kernelINS0_14default_configENS1_35radix_sort_onesweep_config_selectorIffEEZZNS1_29radix_sort_onesweep_iterationIS3_Lb0EN6thrust23THRUST_200600_302600_NS6detail15normal_iteratorINS8_10device_ptrIfEEEESD_SD_SD_jNS0_19identity_decomposerENS1_16block_id_wrapperIjLb0EEEEE10hipError_tT1_PNSt15iterator_traitsISI_E10value_typeET2_T3_PNSJ_ISO_E10value_typeET4_T5_PST_SU_PNS1_23onesweep_lookback_stateEbbT6_jjT7_P12ihipStream_tbENKUlT_T0_SI_SN_E_clIPfSD_S15_SD_EEDaS11_S12_SI_SN_EUlS11_E_NS1_11comp_targetILNS1_3genE2ELNS1_11target_archE906ELNS1_3gpuE6ELNS1_3repE0EEENS1_47radix_sort_onesweep_sort_config_static_selectorELNS0_4arch9wavefront6targetE1EEEvSI_
		.amdhsa_group_segment_fixed_size 0
		.amdhsa_private_segment_fixed_size 0
		.amdhsa_kernarg_size 88
		.amdhsa_user_sgpr_count 2
		.amdhsa_user_sgpr_dispatch_ptr 0
		.amdhsa_user_sgpr_queue_ptr 0
		.amdhsa_user_sgpr_kernarg_segment_ptr 1
		.amdhsa_user_sgpr_dispatch_id 0
		.amdhsa_user_sgpr_kernarg_preload_length 0
		.amdhsa_user_sgpr_kernarg_preload_offset 0
		.amdhsa_user_sgpr_private_segment_size 0
		.amdhsa_uses_dynamic_stack 0
		.amdhsa_enable_private_segment 0
		.amdhsa_system_sgpr_workgroup_id_x 1
		.amdhsa_system_sgpr_workgroup_id_y 0
		.amdhsa_system_sgpr_workgroup_id_z 0
		.amdhsa_system_sgpr_workgroup_info 0
		.amdhsa_system_vgpr_workitem_id 0
		.amdhsa_next_free_vgpr 1
		.amdhsa_next_free_sgpr 0
		.amdhsa_accum_offset 4
		.amdhsa_reserve_vcc 0
		.amdhsa_float_round_mode_32 0
		.amdhsa_float_round_mode_16_64 0
		.amdhsa_float_denorm_mode_32 3
		.amdhsa_float_denorm_mode_16_64 3
		.amdhsa_dx10_clamp 1
		.amdhsa_ieee_mode 1
		.amdhsa_fp16_overflow 0
		.amdhsa_tg_split 0
		.amdhsa_exception_fp_ieee_invalid_op 0
		.amdhsa_exception_fp_denorm_src 0
		.amdhsa_exception_fp_ieee_div_zero 0
		.amdhsa_exception_fp_ieee_overflow 0
		.amdhsa_exception_fp_ieee_underflow 0
		.amdhsa_exception_fp_ieee_inexact 0
		.amdhsa_exception_int_div_zero 0
	.end_amdhsa_kernel
	.section	.text._ZN7rocprim17ROCPRIM_400000_NS6detail17trampoline_kernelINS0_14default_configENS1_35radix_sort_onesweep_config_selectorIffEEZZNS1_29radix_sort_onesweep_iterationIS3_Lb0EN6thrust23THRUST_200600_302600_NS6detail15normal_iteratorINS8_10device_ptrIfEEEESD_SD_SD_jNS0_19identity_decomposerENS1_16block_id_wrapperIjLb0EEEEE10hipError_tT1_PNSt15iterator_traitsISI_E10value_typeET2_T3_PNSJ_ISO_E10value_typeET4_T5_PST_SU_PNS1_23onesweep_lookback_stateEbbT6_jjT7_P12ihipStream_tbENKUlT_T0_SI_SN_E_clIPfSD_S15_SD_EEDaS11_S12_SI_SN_EUlS11_E_NS1_11comp_targetILNS1_3genE2ELNS1_11target_archE906ELNS1_3gpuE6ELNS1_3repE0EEENS1_47radix_sort_onesweep_sort_config_static_selectorELNS0_4arch9wavefront6targetE1EEEvSI_,"axG",@progbits,_ZN7rocprim17ROCPRIM_400000_NS6detail17trampoline_kernelINS0_14default_configENS1_35radix_sort_onesweep_config_selectorIffEEZZNS1_29radix_sort_onesweep_iterationIS3_Lb0EN6thrust23THRUST_200600_302600_NS6detail15normal_iteratorINS8_10device_ptrIfEEEESD_SD_SD_jNS0_19identity_decomposerENS1_16block_id_wrapperIjLb0EEEEE10hipError_tT1_PNSt15iterator_traitsISI_E10value_typeET2_T3_PNSJ_ISO_E10value_typeET4_T5_PST_SU_PNS1_23onesweep_lookback_stateEbbT6_jjT7_P12ihipStream_tbENKUlT_T0_SI_SN_E_clIPfSD_S15_SD_EEDaS11_S12_SI_SN_EUlS11_E_NS1_11comp_targetILNS1_3genE2ELNS1_11target_archE906ELNS1_3gpuE6ELNS1_3repE0EEENS1_47radix_sort_onesweep_sort_config_static_selectorELNS0_4arch9wavefront6targetE1EEEvSI_,comdat
.Lfunc_end353:
	.size	_ZN7rocprim17ROCPRIM_400000_NS6detail17trampoline_kernelINS0_14default_configENS1_35radix_sort_onesweep_config_selectorIffEEZZNS1_29radix_sort_onesweep_iterationIS3_Lb0EN6thrust23THRUST_200600_302600_NS6detail15normal_iteratorINS8_10device_ptrIfEEEESD_SD_SD_jNS0_19identity_decomposerENS1_16block_id_wrapperIjLb0EEEEE10hipError_tT1_PNSt15iterator_traitsISI_E10value_typeET2_T3_PNSJ_ISO_E10value_typeET4_T5_PST_SU_PNS1_23onesweep_lookback_stateEbbT6_jjT7_P12ihipStream_tbENKUlT_T0_SI_SN_E_clIPfSD_S15_SD_EEDaS11_S12_SI_SN_EUlS11_E_NS1_11comp_targetILNS1_3genE2ELNS1_11target_archE906ELNS1_3gpuE6ELNS1_3repE0EEENS1_47radix_sort_onesweep_sort_config_static_selectorELNS0_4arch9wavefront6targetE1EEEvSI_, .Lfunc_end353-_ZN7rocprim17ROCPRIM_400000_NS6detail17trampoline_kernelINS0_14default_configENS1_35radix_sort_onesweep_config_selectorIffEEZZNS1_29radix_sort_onesweep_iterationIS3_Lb0EN6thrust23THRUST_200600_302600_NS6detail15normal_iteratorINS8_10device_ptrIfEEEESD_SD_SD_jNS0_19identity_decomposerENS1_16block_id_wrapperIjLb0EEEEE10hipError_tT1_PNSt15iterator_traitsISI_E10value_typeET2_T3_PNSJ_ISO_E10value_typeET4_T5_PST_SU_PNS1_23onesweep_lookback_stateEbbT6_jjT7_P12ihipStream_tbENKUlT_T0_SI_SN_E_clIPfSD_S15_SD_EEDaS11_S12_SI_SN_EUlS11_E_NS1_11comp_targetILNS1_3genE2ELNS1_11target_archE906ELNS1_3gpuE6ELNS1_3repE0EEENS1_47radix_sort_onesweep_sort_config_static_selectorELNS0_4arch9wavefront6targetE1EEEvSI_
                                        ; -- End function
	.set _ZN7rocprim17ROCPRIM_400000_NS6detail17trampoline_kernelINS0_14default_configENS1_35radix_sort_onesweep_config_selectorIffEEZZNS1_29radix_sort_onesweep_iterationIS3_Lb0EN6thrust23THRUST_200600_302600_NS6detail15normal_iteratorINS8_10device_ptrIfEEEESD_SD_SD_jNS0_19identity_decomposerENS1_16block_id_wrapperIjLb0EEEEE10hipError_tT1_PNSt15iterator_traitsISI_E10value_typeET2_T3_PNSJ_ISO_E10value_typeET4_T5_PST_SU_PNS1_23onesweep_lookback_stateEbbT6_jjT7_P12ihipStream_tbENKUlT_T0_SI_SN_E_clIPfSD_S15_SD_EEDaS11_S12_SI_SN_EUlS11_E_NS1_11comp_targetILNS1_3genE2ELNS1_11target_archE906ELNS1_3gpuE6ELNS1_3repE0EEENS1_47radix_sort_onesweep_sort_config_static_selectorELNS0_4arch9wavefront6targetE1EEEvSI_.num_vgpr, 0
	.set _ZN7rocprim17ROCPRIM_400000_NS6detail17trampoline_kernelINS0_14default_configENS1_35radix_sort_onesweep_config_selectorIffEEZZNS1_29radix_sort_onesweep_iterationIS3_Lb0EN6thrust23THRUST_200600_302600_NS6detail15normal_iteratorINS8_10device_ptrIfEEEESD_SD_SD_jNS0_19identity_decomposerENS1_16block_id_wrapperIjLb0EEEEE10hipError_tT1_PNSt15iterator_traitsISI_E10value_typeET2_T3_PNSJ_ISO_E10value_typeET4_T5_PST_SU_PNS1_23onesweep_lookback_stateEbbT6_jjT7_P12ihipStream_tbENKUlT_T0_SI_SN_E_clIPfSD_S15_SD_EEDaS11_S12_SI_SN_EUlS11_E_NS1_11comp_targetILNS1_3genE2ELNS1_11target_archE906ELNS1_3gpuE6ELNS1_3repE0EEENS1_47radix_sort_onesweep_sort_config_static_selectorELNS0_4arch9wavefront6targetE1EEEvSI_.num_agpr, 0
	.set _ZN7rocprim17ROCPRIM_400000_NS6detail17trampoline_kernelINS0_14default_configENS1_35radix_sort_onesweep_config_selectorIffEEZZNS1_29radix_sort_onesweep_iterationIS3_Lb0EN6thrust23THRUST_200600_302600_NS6detail15normal_iteratorINS8_10device_ptrIfEEEESD_SD_SD_jNS0_19identity_decomposerENS1_16block_id_wrapperIjLb0EEEEE10hipError_tT1_PNSt15iterator_traitsISI_E10value_typeET2_T3_PNSJ_ISO_E10value_typeET4_T5_PST_SU_PNS1_23onesweep_lookback_stateEbbT6_jjT7_P12ihipStream_tbENKUlT_T0_SI_SN_E_clIPfSD_S15_SD_EEDaS11_S12_SI_SN_EUlS11_E_NS1_11comp_targetILNS1_3genE2ELNS1_11target_archE906ELNS1_3gpuE6ELNS1_3repE0EEENS1_47radix_sort_onesweep_sort_config_static_selectorELNS0_4arch9wavefront6targetE1EEEvSI_.numbered_sgpr, 0
	.set _ZN7rocprim17ROCPRIM_400000_NS6detail17trampoline_kernelINS0_14default_configENS1_35radix_sort_onesweep_config_selectorIffEEZZNS1_29radix_sort_onesweep_iterationIS3_Lb0EN6thrust23THRUST_200600_302600_NS6detail15normal_iteratorINS8_10device_ptrIfEEEESD_SD_SD_jNS0_19identity_decomposerENS1_16block_id_wrapperIjLb0EEEEE10hipError_tT1_PNSt15iterator_traitsISI_E10value_typeET2_T3_PNSJ_ISO_E10value_typeET4_T5_PST_SU_PNS1_23onesweep_lookback_stateEbbT6_jjT7_P12ihipStream_tbENKUlT_T0_SI_SN_E_clIPfSD_S15_SD_EEDaS11_S12_SI_SN_EUlS11_E_NS1_11comp_targetILNS1_3genE2ELNS1_11target_archE906ELNS1_3gpuE6ELNS1_3repE0EEENS1_47radix_sort_onesweep_sort_config_static_selectorELNS0_4arch9wavefront6targetE1EEEvSI_.num_named_barrier, 0
	.set _ZN7rocprim17ROCPRIM_400000_NS6detail17trampoline_kernelINS0_14default_configENS1_35radix_sort_onesweep_config_selectorIffEEZZNS1_29radix_sort_onesweep_iterationIS3_Lb0EN6thrust23THRUST_200600_302600_NS6detail15normal_iteratorINS8_10device_ptrIfEEEESD_SD_SD_jNS0_19identity_decomposerENS1_16block_id_wrapperIjLb0EEEEE10hipError_tT1_PNSt15iterator_traitsISI_E10value_typeET2_T3_PNSJ_ISO_E10value_typeET4_T5_PST_SU_PNS1_23onesweep_lookback_stateEbbT6_jjT7_P12ihipStream_tbENKUlT_T0_SI_SN_E_clIPfSD_S15_SD_EEDaS11_S12_SI_SN_EUlS11_E_NS1_11comp_targetILNS1_3genE2ELNS1_11target_archE906ELNS1_3gpuE6ELNS1_3repE0EEENS1_47radix_sort_onesweep_sort_config_static_selectorELNS0_4arch9wavefront6targetE1EEEvSI_.private_seg_size, 0
	.set _ZN7rocprim17ROCPRIM_400000_NS6detail17trampoline_kernelINS0_14default_configENS1_35radix_sort_onesweep_config_selectorIffEEZZNS1_29radix_sort_onesweep_iterationIS3_Lb0EN6thrust23THRUST_200600_302600_NS6detail15normal_iteratorINS8_10device_ptrIfEEEESD_SD_SD_jNS0_19identity_decomposerENS1_16block_id_wrapperIjLb0EEEEE10hipError_tT1_PNSt15iterator_traitsISI_E10value_typeET2_T3_PNSJ_ISO_E10value_typeET4_T5_PST_SU_PNS1_23onesweep_lookback_stateEbbT6_jjT7_P12ihipStream_tbENKUlT_T0_SI_SN_E_clIPfSD_S15_SD_EEDaS11_S12_SI_SN_EUlS11_E_NS1_11comp_targetILNS1_3genE2ELNS1_11target_archE906ELNS1_3gpuE6ELNS1_3repE0EEENS1_47radix_sort_onesweep_sort_config_static_selectorELNS0_4arch9wavefront6targetE1EEEvSI_.uses_vcc, 0
	.set _ZN7rocprim17ROCPRIM_400000_NS6detail17trampoline_kernelINS0_14default_configENS1_35radix_sort_onesweep_config_selectorIffEEZZNS1_29radix_sort_onesweep_iterationIS3_Lb0EN6thrust23THRUST_200600_302600_NS6detail15normal_iteratorINS8_10device_ptrIfEEEESD_SD_SD_jNS0_19identity_decomposerENS1_16block_id_wrapperIjLb0EEEEE10hipError_tT1_PNSt15iterator_traitsISI_E10value_typeET2_T3_PNSJ_ISO_E10value_typeET4_T5_PST_SU_PNS1_23onesweep_lookback_stateEbbT6_jjT7_P12ihipStream_tbENKUlT_T0_SI_SN_E_clIPfSD_S15_SD_EEDaS11_S12_SI_SN_EUlS11_E_NS1_11comp_targetILNS1_3genE2ELNS1_11target_archE906ELNS1_3gpuE6ELNS1_3repE0EEENS1_47radix_sort_onesweep_sort_config_static_selectorELNS0_4arch9wavefront6targetE1EEEvSI_.uses_flat_scratch, 0
	.set _ZN7rocprim17ROCPRIM_400000_NS6detail17trampoline_kernelINS0_14default_configENS1_35radix_sort_onesweep_config_selectorIffEEZZNS1_29radix_sort_onesweep_iterationIS3_Lb0EN6thrust23THRUST_200600_302600_NS6detail15normal_iteratorINS8_10device_ptrIfEEEESD_SD_SD_jNS0_19identity_decomposerENS1_16block_id_wrapperIjLb0EEEEE10hipError_tT1_PNSt15iterator_traitsISI_E10value_typeET2_T3_PNSJ_ISO_E10value_typeET4_T5_PST_SU_PNS1_23onesweep_lookback_stateEbbT6_jjT7_P12ihipStream_tbENKUlT_T0_SI_SN_E_clIPfSD_S15_SD_EEDaS11_S12_SI_SN_EUlS11_E_NS1_11comp_targetILNS1_3genE2ELNS1_11target_archE906ELNS1_3gpuE6ELNS1_3repE0EEENS1_47radix_sort_onesweep_sort_config_static_selectorELNS0_4arch9wavefront6targetE1EEEvSI_.has_dyn_sized_stack, 0
	.set _ZN7rocprim17ROCPRIM_400000_NS6detail17trampoline_kernelINS0_14default_configENS1_35radix_sort_onesweep_config_selectorIffEEZZNS1_29radix_sort_onesweep_iterationIS3_Lb0EN6thrust23THRUST_200600_302600_NS6detail15normal_iteratorINS8_10device_ptrIfEEEESD_SD_SD_jNS0_19identity_decomposerENS1_16block_id_wrapperIjLb0EEEEE10hipError_tT1_PNSt15iterator_traitsISI_E10value_typeET2_T3_PNSJ_ISO_E10value_typeET4_T5_PST_SU_PNS1_23onesweep_lookback_stateEbbT6_jjT7_P12ihipStream_tbENKUlT_T0_SI_SN_E_clIPfSD_S15_SD_EEDaS11_S12_SI_SN_EUlS11_E_NS1_11comp_targetILNS1_3genE2ELNS1_11target_archE906ELNS1_3gpuE6ELNS1_3repE0EEENS1_47radix_sort_onesweep_sort_config_static_selectorELNS0_4arch9wavefront6targetE1EEEvSI_.has_recursion, 0
	.set _ZN7rocprim17ROCPRIM_400000_NS6detail17trampoline_kernelINS0_14default_configENS1_35radix_sort_onesweep_config_selectorIffEEZZNS1_29radix_sort_onesweep_iterationIS3_Lb0EN6thrust23THRUST_200600_302600_NS6detail15normal_iteratorINS8_10device_ptrIfEEEESD_SD_SD_jNS0_19identity_decomposerENS1_16block_id_wrapperIjLb0EEEEE10hipError_tT1_PNSt15iterator_traitsISI_E10value_typeET2_T3_PNSJ_ISO_E10value_typeET4_T5_PST_SU_PNS1_23onesweep_lookback_stateEbbT6_jjT7_P12ihipStream_tbENKUlT_T0_SI_SN_E_clIPfSD_S15_SD_EEDaS11_S12_SI_SN_EUlS11_E_NS1_11comp_targetILNS1_3genE2ELNS1_11target_archE906ELNS1_3gpuE6ELNS1_3repE0EEENS1_47radix_sort_onesweep_sort_config_static_selectorELNS0_4arch9wavefront6targetE1EEEvSI_.has_indirect_call, 0
	.section	.AMDGPU.csdata,"",@progbits
; Kernel info:
; codeLenInByte = 0
; TotalNumSgprs: 6
; NumVgprs: 0
; NumAgprs: 0
; TotalNumVgprs: 0
; ScratchSize: 0
; MemoryBound: 0
; FloatMode: 240
; IeeeMode: 1
; LDSByteSize: 0 bytes/workgroup (compile time only)
; SGPRBlocks: 0
; VGPRBlocks: 0
; NumSGPRsForWavesPerEU: 6
; NumVGPRsForWavesPerEU: 1
; AccumOffset: 4
; Occupancy: 8
; WaveLimiterHint : 0
; COMPUTE_PGM_RSRC2:SCRATCH_EN: 0
; COMPUTE_PGM_RSRC2:USER_SGPR: 2
; COMPUTE_PGM_RSRC2:TRAP_HANDLER: 0
; COMPUTE_PGM_RSRC2:TGID_X_EN: 1
; COMPUTE_PGM_RSRC2:TGID_Y_EN: 0
; COMPUTE_PGM_RSRC2:TGID_Z_EN: 0
; COMPUTE_PGM_RSRC2:TIDIG_COMP_CNT: 0
; COMPUTE_PGM_RSRC3_GFX90A:ACCUM_OFFSET: 0
; COMPUTE_PGM_RSRC3_GFX90A:TG_SPLIT: 0
	.section	.text._ZN7rocprim17ROCPRIM_400000_NS6detail17trampoline_kernelINS0_14default_configENS1_35radix_sort_onesweep_config_selectorIffEEZZNS1_29radix_sort_onesweep_iterationIS3_Lb0EN6thrust23THRUST_200600_302600_NS6detail15normal_iteratorINS8_10device_ptrIfEEEESD_SD_SD_jNS0_19identity_decomposerENS1_16block_id_wrapperIjLb0EEEEE10hipError_tT1_PNSt15iterator_traitsISI_E10value_typeET2_T3_PNSJ_ISO_E10value_typeET4_T5_PST_SU_PNS1_23onesweep_lookback_stateEbbT6_jjT7_P12ihipStream_tbENKUlT_T0_SI_SN_E_clIPfSD_S15_SD_EEDaS11_S12_SI_SN_EUlS11_E_NS1_11comp_targetILNS1_3genE4ELNS1_11target_archE910ELNS1_3gpuE8ELNS1_3repE0EEENS1_47radix_sort_onesweep_sort_config_static_selectorELNS0_4arch9wavefront6targetE1EEEvSI_,"axG",@progbits,_ZN7rocprim17ROCPRIM_400000_NS6detail17trampoline_kernelINS0_14default_configENS1_35radix_sort_onesweep_config_selectorIffEEZZNS1_29radix_sort_onesweep_iterationIS3_Lb0EN6thrust23THRUST_200600_302600_NS6detail15normal_iteratorINS8_10device_ptrIfEEEESD_SD_SD_jNS0_19identity_decomposerENS1_16block_id_wrapperIjLb0EEEEE10hipError_tT1_PNSt15iterator_traitsISI_E10value_typeET2_T3_PNSJ_ISO_E10value_typeET4_T5_PST_SU_PNS1_23onesweep_lookback_stateEbbT6_jjT7_P12ihipStream_tbENKUlT_T0_SI_SN_E_clIPfSD_S15_SD_EEDaS11_S12_SI_SN_EUlS11_E_NS1_11comp_targetILNS1_3genE4ELNS1_11target_archE910ELNS1_3gpuE8ELNS1_3repE0EEENS1_47radix_sort_onesweep_sort_config_static_selectorELNS0_4arch9wavefront6targetE1EEEvSI_,comdat
	.protected	_ZN7rocprim17ROCPRIM_400000_NS6detail17trampoline_kernelINS0_14default_configENS1_35radix_sort_onesweep_config_selectorIffEEZZNS1_29radix_sort_onesweep_iterationIS3_Lb0EN6thrust23THRUST_200600_302600_NS6detail15normal_iteratorINS8_10device_ptrIfEEEESD_SD_SD_jNS0_19identity_decomposerENS1_16block_id_wrapperIjLb0EEEEE10hipError_tT1_PNSt15iterator_traitsISI_E10value_typeET2_T3_PNSJ_ISO_E10value_typeET4_T5_PST_SU_PNS1_23onesweep_lookback_stateEbbT6_jjT7_P12ihipStream_tbENKUlT_T0_SI_SN_E_clIPfSD_S15_SD_EEDaS11_S12_SI_SN_EUlS11_E_NS1_11comp_targetILNS1_3genE4ELNS1_11target_archE910ELNS1_3gpuE8ELNS1_3repE0EEENS1_47radix_sort_onesweep_sort_config_static_selectorELNS0_4arch9wavefront6targetE1EEEvSI_ ; -- Begin function _ZN7rocprim17ROCPRIM_400000_NS6detail17trampoline_kernelINS0_14default_configENS1_35radix_sort_onesweep_config_selectorIffEEZZNS1_29radix_sort_onesweep_iterationIS3_Lb0EN6thrust23THRUST_200600_302600_NS6detail15normal_iteratorINS8_10device_ptrIfEEEESD_SD_SD_jNS0_19identity_decomposerENS1_16block_id_wrapperIjLb0EEEEE10hipError_tT1_PNSt15iterator_traitsISI_E10value_typeET2_T3_PNSJ_ISO_E10value_typeET4_T5_PST_SU_PNS1_23onesweep_lookback_stateEbbT6_jjT7_P12ihipStream_tbENKUlT_T0_SI_SN_E_clIPfSD_S15_SD_EEDaS11_S12_SI_SN_EUlS11_E_NS1_11comp_targetILNS1_3genE4ELNS1_11target_archE910ELNS1_3gpuE8ELNS1_3repE0EEENS1_47radix_sort_onesweep_sort_config_static_selectorELNS0_4arch9wavefront6targetE1EEEvSI_
	.globl	_ZN7rocprim17ROCPRIM_400000_NS6detail17trampoline_kernelINS0_14default_configENS1_35radix_sort_onesweep_config_selectorIffEEZZNS1_29radix_sort_onesweep_iterationIS3_Lb0EN6thrust23THRUST_200600_302600_NS6detail15normal_iteratorINS8_10device_ptrIfEEEESD_SD_SD_jNS0_19identity_decomposerENS1_16block_id_wrapperIjLb0EEEEE10hipError_tT1_PNSt15iterator_traitsISI_E10value_typeET2_T3_PNSJ_ISO_E10value_typeET4_T5_PST_SU_PNS1_23onesweep_lookback_stateEbbT6_jjT7_P12ihipStream_tbENKUlT_T0_SI_SN_E_clIPfSD_S15_SD_EEDaS11_S12_SI_SN_EUlS11_E_NS1_11comp_targetILNS1_3genE4ELNS1_11target_archE910ELNS1_3gpuE8ELNS1_3repE0EEENS1_47radix_sort_onesweep_sort_config_static_selectorELNS0_4arch9wavefront6targetE1EEEvSI_
	.p2align	8
	.type	_ZN7rocprim17ROCPRIM_400000_NS6detail17trampoline_kernelINS0_14default_configENS1_35radix_sort_onesweep_config_selectorIffEEZZNS1_29radix_sort_onesweep_iterationIS3_Lb0EN6thrust23THRUST_200600_302600_NS6detail15normal_iteratorINS8_10device_ptrIfEEEESD_SD_SD_jNS0_19identity_decomposerENS1_16block_id_wrapperIjLb0EEEEE10hipError_tT1_PNSt15iterator_traitsISI_E10value_typeET2_T3_PNSJ_ISO_E10value_typeET4_T5_PST_SU_PNS1_23onesweep_lookback_stateEbbT6_jjT7_P12ihipStream_tbENKUlT_T0_SI_SN_E_clIPfSD_S15_SD_EEDaS11_S12_SI_SN_EUlS11_E_NS1_11comp_targetILNS1_3genE4ELNS1_11target_archE910ELNS1_3gpuE8ELNS1_3repE0EEENS1_47radix_sort_onesweep_sort_config_static_selectorELNS0_4arch9wavefront6targetE1EEEvSI_,@function
_ZN7rocprim17ROCPRIM_400000_NS6detail17trampoline_kernelINS0_14default_configENS1_35radix_sort_onesweep_config_selectorIffEEZZNS1_29radix_sort_onesweep_iterationIS3_Lb0EN6thrust23THRUST_200600_302600_NS6detail15normal_iteratorINS8_10device_ptrIfEEEESD_SD_SD_jNS0_19identity_decomposerENS1_16block_id_wrapperIjLb0EEEEE10hipError_tT1_PNSt15iterator_traitsISI_E10value_typeET2_T3_PNSJ_ISO_E10value_typeET4_T5_PST_SU_PNS1_23onesweep_lookback_stateEbbT6_jjT7_P12ihipStream_tbENKUlT_T0_SI_SN_E_clIPfSD_S15_SD_EEDaS11_S12_SI_SN_EUlS11_E_NS1_11comp_targetILNS1_3genE4ELNS1_11target_archE910ELNS1_3gpuE8ELNS1_3repE0EEENS1_47radix_sort_onesweep_sort_config_static_selectorELNS0_4arch9wavefront6targetE1EEEvSI_: ; @_ZN7rocprim17ROCPRIM_400000_NS6detail17trampoline_kernelINS0_14default_configENS1_35radix_sort_onesweep_config_selectorIffEEZZNS1_29radix_sort_onesweep_iterationIS3_Lb0EN6thrust23THRUST_200600_302600_NS6detail15normal_iteratorINS8_10device_ptrIfEEEESD_SD_SD_jNS0_19identity_decomposerENS1_16block_id_wrapperIjLb0EEEEE10hipError_tT1_PNSt15iterator_traitsISI_E10value_typeET2_T3_PNSJ_ISO_E10value_typeET4_T5_PST_SU_PNS1_23onesweep_lookback_stateEbbT6_jjT7_P12ihipStream_tbENKUlT_T0_SI_SN_E_clIPfSD_S15_SD_EEDaS11_S12_SI_SN_EUlS11_E_NS1_11comp_targetILNS1_3genE4ELNS1_11target_archE910ELNS1_3gpuE8ELNS1_3repE0EEENS1_47radix_sort_onesweep_sort_config_static_selectorELNS0_4arch9wavefront6targetE1EEEvSI_
; %bb.0:
	.section	.rodata,"a",@progbits
	.p2align	6, 0x0
	.amdhsa_kernel _ZN7rocprim17ROCPRIM_400000_NS6detail17trampoline_kernelINS0_14default_configENS1_35radix_sort_onesweep_config_selectorIffEEZZNS1_29radix_sort_onesweep_iterationIS3_Lb0EN6thrust23THRUST_200600_302600_NS6detail15normal_iteratorINS8_10device_ptrIfEEEESD_SD_SD_jNS0_19identity_decomposerENS1_16block_id_wrapperIjLb0EEEEE10hipError_tT1_PNSt15iterator_traitsISI_E10value_typeET2_T3_PNSJ_ISO_E10value_typeET4_T5_PST_SU_PNS1_23onesweep_lookback_stateEbbT6_jjT7_P12ihipStream_tbENKUlT_T0_SI_SN_E_clIPfSD_S15_SD_EEDaS11_S12_SI_SN_EUlS11_E_NS1_11comp_targetILNS1_3genE4ELNS1_11target_archE910ELNS1_3gpuE8ELNS1_3repE0EEENS1_47radix_sort_onesweep_sort_config_static_selectorELNS0_4arch9wavefront6targetE1EEEvSI_
		.amdhsa_group_segment_fixed_size 0
		.amdhsa_private_segment_fixed_size 0
		.amdhsa_kernarg_size 88
		.amdhsa_user_sgpr_count 2
		.amdhsa_user_sgpr_dispatch_ptr 0
		.amdhsa_user_sgpr_queue_ptr 0
		.amdhsa_user_sgpr_kernarg_segment_ptr 1
		.amdhsa_user_sgpr_dispatch_id 0
		.amdhsa_user_sgpr_kernarg_preload_length 0
		.amdhsa_user_sgpr_kernarg_preload_offset 0
		.amdhsa_user_sgpr_private_segment_size 0
		.amdhsa_uses_dynamic_stack 0
		.amdhsa_enable_private_segment 0
		.amdhsa_system_sgpr_workgroup_id_x 1
		.amdhsa_system_sgpr_workgroup_id_y 0
		.amdhsa_system_sgpr_workgroup_id_z 0
		.amdhsa_system_sgpr_workgroup_info 0
		.amdhsa_system_vgpr_workitem_id 0
		.amdhsa_next_free_vgpr 1
		.amdhsa_next_free_sgpr 0
		.amdhsa_accum_offset 4
		.amdhsa_reserve_vcc 0
		.amdhsa_float_round_mode_32 0
		.amdhsa_float_round_mode_16_64 0
		.amdhsa_float_denorm_mode_32 3
		.amdhsa_float_denorm_mode_16_64 3
		.amdhsa_dx10_clamp 1
		.amdhsa_ieee_mode 1
		.amdhsa_fp16_overflow 0
		.amdhsa_tg_split 0
		.amdhsa_exception_fp_ieee_invalid_op 0
		.amdhsa_exception_fp_denorm_src 0
		.amdhsa_exception_fp_ieee_div_zero 0
		.amdhsa_exception_fp_ieee_overflow 0
		.amdhsa_exception_fp_ieee_underflow 0
		.amdhsa_exception_fp_ieee_inexact 0
		.amdhsa_exception_int_div_zero 0
	.end_amdhsa_kernel
	.section	.text._ZN7rocprim17ROCPRIM_400000_NS6detail17trampoline_kernelINS0_14default_configENS1_35radix_sort_onesweep_config_selectorIffEEZZNS1_29radix_sort_onesweep_iterationIS3_Lb0EN6thrust23THRUST_200600_302600_NS6detail15normal_iteratorINS8_10device_ptrIfEEEESD_SD_SD_jNS0_19identity_decomposerENS1_16block_id_wrapperIjLb0EEEEE10hipError_tT1_PNSt15iterator_traitsISI_E10value_typeET2_T3_PNSJ_ISO_E10value_typeET4_T5_PST_SU_PNS1_23onesweep_lookback_stateEbbT6_jjT7_P12ihipStream_tbENKUlT_T0_SI_SN_E_clIPfSD_S15_SD_EEDaS11_S12_SI_SN_EUlS11_E_NS1_11comp_targetILNS1_3genE4ELNS1_11target_archE910ELNS1_3gpuE8ELNS1_3repE0EEENS1_47radix_sort_onesweep_sort_config_static_selectorELNS0_4arch9wavefront6targetE1EEEvSI_,"axG",@progbits,_ZN7rocprim17ROCPRIM_400000_NS6detail17trampoline_kernelINS0_14default_configENS1_35radix_sort_onesweep_config_selectorIffEEZZNS1_29radix_sort_onesweep_iterationIS3_Lb0EN6thrust23THRUST_200600_302600_NS6detail15normal_iteratorINS8_10device_ptrIfEEEESD_SD_SD_jNS0_19identity_decomposerENS1_16block_id_wrapperIjLb0EEEEE10hipError_tT1_PNSt15iterator_traitsISI_E10value_typeET2_T3_PNSJ_ISO_E10value_typeET4_T5_PST_SU_PNS1_23onesweep_lookback_stateEbbT6_jjT7_P12ihipStream_tbENKUlT_T0_SI_SN_E_clIPfSD_S15_SD_EEDaS11_S12_SI_SN_EUlS11_E_NS1_11comp_targetILNS1_3genE4ELNS1_11target_archE910ELNS1_3gpuE8ELNS1_3repE0EEENS1_47radix_sort_onesweep_sort_config_static_selectorELNS0_4arch9wavefront6targetE1EEEvSI_,comdat
.Lfunc_end354:
	.size	_ZN7rocprim17ROCPRIM_400000_NS6detail17trampoline_kernelINS0_14default_configENS1_35radix_sort_onesweep_config_selectorIffEEZZNS1_29radix_sort_onesweep_iterationIS3_Lb0EN6thrust23THRUST_200600_302600_NS6detail15normal_iteratorINS8_10device_ptrIfEEEESD_SD_SD_jNS0_19identity_decomposerENS1_16block_id_wrapperIjLb0EEEEE10hipError_tT1_PNSt15iterator_traitsISI_E10value_typeET2_T3_PNSJ_ISO_E10value_typeET4_T5_PST_SU_PNS1_23onesweep_lookback_stateEbbT6_jjT7_P12ihipStream_tbENKUlT_T0_SI_SN_E_clIPfSD_S15_SD_EEDaS11_S12_SI_SN_EUlS11_E_NS1_11comp_targetILNS1_3genE4ELNS1_11target_archE910ELNS1_3gpuE8ELNS1_3repE0EEENS1_47radix_sort_onesweep_sort_config_static_selectorELNS0_4arch9wavefront6targetE1EEEvSI_, .Lfunc_end354-_ZN7rocprim17ROCPRIM_400000_NS6detail17trampoline_kernelINS0_14default_configENS1_35radix_sort_onesweep_config_selectorIffEEZZNS1_29radix_sort_onesweep_iterationIS3_Lb0EN6thrust23THRUST_200600_302600_NS6detail15normal_iteratorINS8_10device_ptrIfEEEESD_SD_SD_jNS0_19identity_decomposerENS1_16block_id_wrapperIjLb0EEEEE10hipError_tT1_PNSt15iterator_traitsISI_E10value_typeET2_T3_PNSJ_ISO_E10value_typeET4_T5_PST_SU_PNS1_23onesweep_lookback_stateEbbT6_jjT7_P12ihipStream_tbENKUlT_T0_SI_SN_E_clIPfSD_S15_SD_EEDaS11_S12_SI_SN_EUlS11_E_NS1_11comp_targetILNS1_3genE4ELNS1_11target_archE910ELNS1_3gpuE8ELNS1_3repE0EEENS1_47radix_sort_onesweep_sort_config_static_selectorELNS0_4arch9wavefront6targetE1EEEvSI_
                                        ; -- End function
	.set _ZN7rocprim17ROCPRIM_400000_NS6detail17trampoline_kernelINS0_14default_configENS1_35radix_sort_onesweep_config_selectorIffEEZZNS1_29radix_sort_onesweep_iterationIS3_Lb0EN6thrust23THRUST_200600_302600_NS6detail15normal_iteratorINS8_10device_ptrIfEEEESD_SD_SD_jNS0_19identity_decomposerENS1_16block_id_wrapperIjLb0EEEEE10hipError_tT1_PNSt15iterator_traitsISI_E10value_typeET2_T3_PNSJ_ISO_E10value_typeET4_T5_PST_SU_PNS1_23onesweep_lookback_stateEbbT6_jjT7_P12ihipStream_tbENKUlT_T0_SI_SN_E_clIPfSD_S15_SD_EEDaS11_S12_SI_SN_EUlS11_E_NS1_11comp_targetILNS1_3genE4ELNS1_11target_archE910ELNS1_3gpuE8ELNS1_3repE0EEENS1_47radix_sort_onesweep_sort_config_static_selectorELNS0_4arch9wavefront6targetE1EEEvSI_.num_vgpr, 0
	.set _ZN7rocprim17ROCPRIM_400000_NS6detail17trampoline_kernelINS0_14default_configENS1_35radix_sort_onesweep_config_selectorIffEEZZNS1_29radix_sort_onesweep_iterationIS3_Lb0EN6thrust23THRUST_200600_302600_NS6detail15normal_iteratorINS8_10device_ptrIfEEEESD_SD_SD_jNS0_19identity_decomposerENS1_16block_id_wrapperIjLb0EEEEE10hipError_tT1_PNSt15iterator_traitsISI_E10value_typeET2_T3_PNSJ_ISO_E10value_typeET4_T5_PST_SU_PNS1_23onesweep_lookback_stateEbbT6_jjT7_P12ihipStream_tbENKUlT_T0_SI_SN_E_clIPfSD_S15_SD_EEDaS11_S12_SI_SN_EUlS11_E_NS1_11comp_targetILNS1_3genE4ELNS1_11target_archE910ELNS1_3gpuE8ELNS1_3repE0EEENS1_47radix_sort_onesweep_sort_config_static_selectorELNS0_4arch9wavefront6targetE1EEEvSI_.num_agpr, 0
	.set _ZN7rocprim17ROCPRIM_400000_NS6detail17trampoline_kernelINS0_14default_configENS1_35radix_sort_onesweep_config_selectorIffEEZZNS1_29radix_sort_onesweep_iterationIS3_Lb0EN6thrust23THRUST_200600_302600_NS6detail15normal_iteratorINS8_10device_ptrIfEEEESD_SD_SD_jNS0_19identity_decomposerENS1_16block_id_wrapperIjLb0EEEEE10hipError_tT1_PNSt15iterator_traitsISI_E10value_typeET2_T3_PNSJ_ISO_E10value_typeET4_T5_PST_SU_PNS1_23onesweep_lookback_stateEbbT6_jjT7_P12ihipStream_tbENKUlT_T0_SI_SN_E_clIPfSD_S15_SD_EEDaS11_S12_SI_SN_EUlS11_E_NS1_11comp_targetILNS1_3genE4ELNS1_11target_archE910ELNS1_3gpuE8ELNS1_3repE0EEENS1_47radix_sort_onesweep_sort_config_static_selectorELNS0_4arch9wavefront6targetE1EEEvSI_.numbered_sgpr, 0
	.set _ZN7rocprim17ROCPRIM_400000_NS6detail17trampoline_kernelINS0_14default_configENS1_35radix_sort_onesweep_config_selectorIffEEZZNS1_29radix_sort_onesweep_iterationIS3_Lb0EN6thrust23THRUST_200600_302600_NS6detail15normal_iteratorINS8_10device_ptrIfEEEESD_SD_SD_jNS0_19identity_decomposerENS1_16block_id_wrapperIjLb0EEEEE10hipError_tT1_PNSt15iterator_traitsISI_E10value_typeET2_T3_PNSJ_ISO_E10value_typeET4_T5_PST_SU_PNS1_23onesweep_lookback_stateEbbT6_jjT7_P12ihipStream_tbENKUlT_T0_SI_SN_E_clIPfSD_S15_SD_EEDaS11_S12_SI_SN_EUlS11_E_NS1_11comp_targetILNS1_3genE4ELNS1_11target_archE910ELNS1_3gpuE8ELNS1_3repE0EEENS1_47radix_sort_onesweep_sort_config_static_selectorELNS0_4arch9wavefront6targetE1EEEvSI_.num_named_barrier, 0
	.set _ZN7rocprim17ROCPRIM_400000_NS6detail17trampoline_kernelINS0_14default_configENS1_35radix_sort_onesweep_config_selectorIffEEZZNS1_29radix_sort_onesweep_iterationIS3_Lb0EN6thrust23THRUST_200600_302600_NS6detail15normal_iteratorINS8_10device_ptrIfEEEESD_SD_SD_jNS0_19identity_decomposerENS1_16block_id_wrapperIjLb0EEEEE10hipError_tT1_PNSt15iterator_traitsISI_E10value_typeET2_T3_PNSJ_ISO_E10value_typeET4_T5_PST_SU_PNS1_23onesweep_lookback_stateEbbT6_jjT7_P12ihipStream_tbENKUlT_T0_SI_SN_E_clIPfSD_S15_SD_EEDaS11_S12_SI_SN_EUlS11_E_NS1_11comp_targetILNS1_3genE4ELNS1_11target_archE910ELNS1_3gpuE8ELNS1_3repE0EEENS1_47radix_sort_onesweep_sort_config_static_selectorELNS0_4arch9wavefront6targetE1EEEvSI_.private_seg_size, 0
	.set _ZN7rocprim17ROCPRIM_400000_NS6detail17trampoline_kernelINS0_14default_configENS1_35radix_sort_onesweep_config_selectorIffEEZZNS1_29radix_sort_onesweep_iterationIS3_Lb0EN6thrust23THRUST_200600_302600_NS6detail15normal_iteratorINS8_10device_ptrIfEEEESD_SD_SD_jNS0_19identity_decomposerENS1_16block_id_wrapperIjLb0EEEEE10hipError_tT1_PNSt15iterator_traitsISI_E10value_typeET2_T3_PNSJ_ISO_E10value_typeET4_T5_PST_SU_PNS1_23onesweep_lookback_stateEbbT6_jjT7_P12ihipStream_tbENKUlT_T0_SI_SN_E_clIPfSD_S15_SD_EEDaS11_S12_SI_SN_EUlS11_E_NS1_11comp_targetILNS1_3genE4ELNS1_11target_archE910ELNS1_3gpuE8ELNS1_3repE0EEENS1_47radix_sort_onesweep_sort_config_static_selectorELNS0_4arch9wavefront6targetE1EEEvSI_.uses_vcc, 0
	.set _ZN7rocprim17ROCPRIM_400000_NS6detail17trampoline_kernelINS0_14default_configENS1_35radix_sort_onesweep_config_selectorIffEEZZNS1_29radix_sort_onesweep_iterationIS3_Lb0EN6thrust23THRUST_200600_302600_NS6detail15normal_iteratorINS8_10device_ptrIfEEEESD_SD_SD_jNS0_19identity_decomposerENS1_16block_id_wrapperIjLb0EEEEE10hipError_tT1_PNSt15iterator_traitsISI_E10value_typeET2_T3_PNSJ_ISO_E10value_typeET4_T5_PST_SU_PNS1_23onesweep_lookback_stateEbbT6_jjT7_P12ihipStream_tbENKUlT_T0_SI_SN_E_clIPfSD_S15_SD_EEDaS11_S12_SI_SN_EUlS11_E_NS1_11comp_targetILNS1_3genE4ELNS1_11target_archE910ELNS1_3gpuE8ELNS1_3repE0EEENS1_47radix_sort_onesweep_sort_config_static_selectorELNS0_4arch9wavefront6targetE1EEEvSI_.uses_flat_scratch, 0
	.set _ZN7rocprim17ROCPRIM_400000_NS6detail17trampoline_kernelINS0_14default_configENS1_35radix_sort_onesweep_config_selectorIffEEZZNS1_29radix_sort_onesweep_iterationIS3_Lb0EN6thrust23THRUST_200600_302600_NS6detail15normal_iteratorINS8_10device_ptrIfEEEESD_SD_SD_jNS0_19identity_decomposerENS1_16block_id_wrapperIjLb0EEEEE10hipError_tT1_PNSt15iterator_traitsISI_E10value_typeET2_T3_PNSJ_ISO_E10value_typeET4_T5_PST_SU_PNS1_23onesweep_lookback_stateEbbT6_jjT7_P12ihipStream_tbENKUlT_T0_SI_SN_E_clIPfSD_S15_SD_EEDaS11_S12_SI_SN_EUlS11_E_NS1_11comp_targetILNS1_3genE4ELNS1_11target_archE910ELNS1_3gpuE8ELNS1_3repE0EEENS1_47radix_sort_onesweep_sort_config_static_selectorELNS0_4arch9wavefront6targetE1EEEvSI_.has_dyn_sized_stack, 0
	.set _ZN7rocprim17ROCPRIM_400000_NS6detail17trampoline_kernelINS0_14default_configENS1_35radix_sort_onesweep_config_selectorIffEEZZNS1_29radix_sort_onesweep_iterationIS3_Lb0EN6thrust23THRUST_200600_302600_NS6detail15normal_iteratorINS8_10device_ptrIfEEEESD_SD_SD_jNS0_19identity_decomposerENS1_16block_id_wrapperIjLb0EEEEE10hipError_tT1_PNSt15iterator_traitsISI_E10value_typeET2_T3_PNSJ_ISO_E10value_typeET4_T5_PST_SU_PNS1_23onesweep_lookback_stateEbbT6_jjT7_P12ihipStream_tbENKUlT_T0_SI_SN_E_clIPfSD_S15_SD_EEDaS11_S12_SI_SN_EUlS11_E_NS1_11comp_targetILNS1_3genE4ELNS1_11target_archE910ELNS1_3gpuE8ELNS1_3repE0EEENS1_47radix_sort_onesweep_sort_config_static_selectorELNS0_4arch9wavefront6targetE1EEEvSI_.has_recursion, 0
	.set _ZN7rocprim17ROCPRIM_400000_NS6detail17trampoline_kernelINS0_14default_configENS1_35radix_sort_onesweep_config_selectorIffEEZZNS1_29radix_sort_onesweep_iterationIS3_Lb0EN6thrust23THRUST_200600_302600_NS6detail15normal_iteratorINS8_10device_ptrIfEEEESD_SD_SD_jNS0_19identity_decomposerENS1_16block_id_wrapperIjLb0EEEEE10hipError_tT1_PNSt15iterator_traitsISI_E10value_typeET2_T3_PNSJ_ISO_E10value_typeET4_T5_PST_SU_PNS1_23onesweep_lookback_stateEbbT6_jjT7_P12ihipStream_tbENKUlT_T0_SI_SN_E_clIPfSD_S15_SD_EEDaS11_S12_SI_SN_EUlS11_E_NS1_11comp_targetILNS1_3genE4ELNS1_11target_archE910ELNS1_3gpuE8ELNS1_3repE0EEENS1_47radix_sort_onesweep_sort_config_static_selectorELNS0_4arch9wavefront6targetE1EEEvSI_.has_indirect_call, 0
	.section	.AMDGPU.csdata,"",@progbits
; Kernel info:
; codeLenInByte = 0
; TotalNumSgprs: 6
; NumVgprs: 0
; NumAgprs: 0
; TotalNumVgprs: 0
; ScratchSize: 0
; MemoryBound: 0
; FloatMode: 240
; IeeeMode: 1
; LDSByteSize: 0 bytes/workgroup (compile time only)
; SGPRBlocks: 0
; VGPRBlocks: 0
; NumSGPRsForWavesPerEU: 6
; NumVGPRsForWavesPerEU: 1
; AccumOffset: 4
; Occupancy: 8
; WaveLimiterHint : 0
; COMPUTE_PGM_RSRC2:SCRATCH_EN: 0
; COMPUTE_PGM_RSRC2:USER_SGPR: 2
; COMPUTE_PGM_RSRC2:TRAP_HANDLER: 0
; COMPUTE_PGM_RSRC2:TGID_X_EN: 1
; COMPUTE_PGM_RSRC2:TGID_Y_EN: 0
; COMPUTE_PGM_RSRC2:TGID_Z_EN: 0
; COMPUTE_PGM_RSRC2:TIDIG_COMP_CNT: 0
; COMPUTE_PGM_RSRC3_GFX90A:ACCUM_OFFSET: 0
; COMPUTE_PGM_RSRC3_GFX90A:TG_SPLIT: 0
	.section	.text._ZN7rocprim17ROCPRIM_400000_NS6detail17trampoline_kernelINS0_14default_configENS1_35radix_sort_onesweep_config_selectorIffEEZZNS1_29radix_sort_onesweep_iterationIS3_Lb0EN6thrust23THRUST_200600_302600_NS6detail15normal_iteratorINS8_10device_ptrIfEEEESD_SD_SD_jNS0_19identity_decomposerENS1_16block_id_wrapperIjLb0EEEEE10hipError_tT1_PNSt15iterator_traitsISI_E10value_typeET2_T3_PNSJ_ISO_E10value_typeET4_T5_PST_SU_PNS1_23onesweep_lookback_stateEbbT6_jjT7_P12ihipStream_tbENKUlT_T0_SI_SN_E_clIPfSD_S15_SD_EEDaS11_S12_SI_SN_EUlS11_E_NS1_11comp_targetILNS1_3genE3ELNS1_11target_archE908ELNS1_3gpuE7ELNS1_3repE0EEENS1_47radix_sort_onesweep_sort_config_static_selectorELNS0_4arch9wavefront6targetE1EEEvSI_,"axG",@progbits,_ZN7rocprim17ROCPRIM_400000_NS6detail17trampoline_kernelINS0_14default_configENS1_35radix_sort_onesweep_config_selectorIffEEZZNS1_29radix_sort_onesweep_iterationIS3_Lb0EN6thrust23THRUST_200600_302600_NS6detail15normal_iteratorINS8_10device_ptrIfEEEESD_SD_SD_jNS0_19identity_decomposerENS1_16block_id_wrapperIjLb0EEEEE10hipError_tT1_PNSt15iterator_traitsISI_E10value_typeET2_T3_PNSJ_ISO_E10value_typeET4_T5_PST_SU_PNS1_23onesweep_lookback_stateEbbT6_jjT7_P12ihipStream_tbENKUlT_T0_SI_SN_E_clIPfSD_S15_SD_EEDaS11_S12_SI_SN_EUlS11_E_NS1_11comp_targetILNS1_3genE3ELNS1_11target_archE908ELNS1_3gpuE7ELNS1_3repE0EEENS1_47radix_sort_onesweep_sort_config_static_selectorELNS0_4arch9wavefront6targetE1EEEvSI_,comdat
	.protected	_ZN7rocprim17ROCPRIM_400000_NS6detail17trampoline_kernelINS0_14default_configENS1_35radix_sort_onesweep_config_selectorIffEEZZNS1_29radix_sort_onesweep_iterationIS3_Lb0EN6thrust23THRUST_200600_302600_NS6detail15normal_iteratorINS8_10device_ptrIfEEEESD_SD_SD_jNS0_19identity_decomposerENS1_16block_id_wrapperIjLb0EEEEE10hipError_tT1_PNSt15iterator_traitsISI_E10value_typeET2_T3_PNSJ_ISO_E10value_typeET4_T5_PST_SU_PNS1_23onesweep_lookback_stateEbbT6_jjT7_P12ihipStream_tbENKUlT_T0_SI_SN_E_clIPfSD_S15_SD_EEDaS11_S12_SI_SN_EUlS11_E_NS1_11comp_targetILNS1_3genE3ELNS1_11target_archE908ELNS1_3gpuE7ELNS1_3repE0EEENS1_47radix_sort_onesweep_sort_config_static_selectorELNS0_4arch9wavefront6targetE1EEEvSI_ ; -- Begin function _ZN7rocprim17ROCPRIM_400000_NS6detail17trampoline_kernelINS0_14default_configENS1_35radix_sort_onesweep_config_selectorIffEEZZNS1_29radix_sort_onesweep_iterationIS3_Lb0EN6thrust23THRUST_200600_302600_NS6detail15normal_iteratorINS8_10device_ptrIfEEEESD_SD_SD_jNS0_19identity_decomposerENS1_16block_id_wrapperIjLb0EEEEE10hipError_tT1_PNSt15iterator_traitsISI_E10value_typeET2_T3_PNSJ_ISO_E10value_typeET4_T5_PST_SU_PNS1_23onesweep_lookback_stateEbbT6_jjT7_P12ihipStream_tbENKUlT_T0_SI_SN_E_clIPfSD_S15_SD_EEDaS11_S12_SI_SN_EUlS11_E_NS1_11comp_targetILNS1_3genE3ELNS1_11target_archE908ELNS1_3gpuE7ELNS1_3repE0EEENS1_47radix_sort_onesweep_sort_config_static_selectorELNS0_4arch9wavefront6targetE1EEEvSI_
	.globl	_ZN7rocprim17ROCPRIM_400000_NS6detail17trampoline_kernelINS0_14default_configENS1_35radix_sort_onesweep_config_selectorIffEEZZNS1_29radix_sort_onesweep_iterationIS3_Lb0EN6thrust23THRUST_200600_302600_NS6detail15normal_iteratorINS8_10device_ptrIfEEEESD_SD_SD_jNS0_19identity_decomposerENS1_16block_id_wrapperIjLb0EEEEE10hipError_tT1_PNSt15iterator_traitsISI_E10value_typeET2_T3_PNSJ_ISO_E10value_typeET4_T5_PST_SU_PNS1_23onesweep_lookback_stateEbbT6_jjT7_P12ihipStream_tbENKUlT_T0_SI_SN_E_clIPfSD_S15_SD_EEDaS11_S12_SI_SN_EUlS11_E_NS1_11comp_targetILNS1_3genE3ELNS1_11target_archE908ELNS1_3gpuE7ELNS1_3repE0EEENS1_47radix_sort_onesweep_sort_config_static_selectorELNS0_4arch9wavefront6targetE1EEEvSI_
	.p2align	8
	.type	_ZN7rocprim17ROCPRIM_400000_NS6detail17trampoline_kernelINS0_14default_configENS1_35radix_sort_onesweep_config_selectorIffEEZZNS1_29radix_sort_onesweep_iterationIS3_Lb0EN6thrust23THRUST_200600_302600_NS6detail15normal_iteratorINS8_10device_ptrIfEEEESD_SD_SD_jNS0_19identity_decomposerENS1_16block_id_wrapperIjLb0EEEEE10hipError_tT1_PNSt15iterator_traitsISI_E10value_typeET2_T3_PNSJ_ISO_E10value_typeET4_T5_PST_SU_PNS1_23onesweep_lookback_stateEbbT6_jjT7_P12ihipStream_tbENKUlT_T0_SI_SN_E_clIPfSD_S15_SD_EEDaS11_S12_SI_SN_EUlS11_E_NS1_11comp_targetILNS1_3genE3ELNS1_11target_archE908ELNS1_3gpuE7ELNS1_3repE0EEENS1_47radix_sort_onesweep_sort_config_static_selectorELNS0_4arch9wavefront6targetE1EEEvSI_,@function
_ZN7rocprim17ROCPRIM_400000_NS6detail17trampoline_kernelINS0_14default_configENS1_35radix_sort_onesweep_config_selectorIffEEZZNS1_29radix_sort_onesweep_iterationIS3_Lb0EN6thrust23THRUST_200600_302600_NS6detail15normal_iteratorINS8_10device_ptrIfEEEESD_SD_SD_jNS0_19identity_decomposerENS1_16block_id_wrapperIjLb0EEEEE10hipError_tT1_PNSt15iterator_traitsISI_E10value_typeET2_T3_PNSJ_ISO_E10value_typeET4_T5_PST_SU_PNS1_23onesweep_lookback_stateEbbT6_jjT7_P12ihipStream_tbENKUlT_T0_SI_SN_E_clIPfSD_S15_SD_EEDaS11_S12_SI_SN_EUlS11_E_NS1_11comp_targetILNS1_3genE3ELNS1_11target_archE908ELNS1_3gpuE7ELNS1_3repE0EEENS1_47radix_sort_onesweep_sort_config_static_selectorELNS0_4arch9wavefront6targetE1EEEvSI_: ; @_ZN7rocprim17ROCPRIM_400000_NS6detail17trampoline_kernelINS0_14default_configENS1_35radix_sort_onesweep_config_selectorIffEEZZNS1_29radix_sort_onesweep_iterationIS3_Lb0EN6thrust23THRUST_200600_302600_NS6detail15normal_iteratorINS8_10device_ptrIfEEEESD_SD_SD_jNS0_19identity_decomposerENS1_16block_id_wrapperIjLb0EEEEE10hipError_tT1_PNSt15iterator_traitsISI_E10value_typeET2_T3_PNSJ_ISO_E10value_typeET4_T5_PST_SU_PNS1_23onesweep_lookback_stateEbbT6_jjT7_P12ihipStream_tbENKUlT_T0_SI_SN_E_clIPfSD_S15_SD_EEDaS11_S12_SI_SN_EUlS11_E_NS1_11comp_targetILNS1_3genE3ELNS1_11target_archE908ELNS1_3gpuE7ELNS1_3repE0EEENS1_47radix_sort_onesweep_sort_config_static_selectorELNS0_4arch9wavefront6targetE1EEEvSI_
; %bb.0:
	.section	.rodata,"a",@progbits
	.p2align	6, 0x0
	.amdhsa_kernel _ZN7rocprim17ROCPRIM_400000_NS6detail17trampoline_kernelINS0_14default_configENS1_35radix_sort_onesweep_config_selectorIffEEZZNS1_29radix_sort_onesweep_iterationIS3_Lb0EN6thrust23THRUST_200600_302600_NS6detail15normal_iteratorINS8_10device_ptrIfEEEESD_SD_SD_jNS0_19identity_decomposerENS1_16block_id_wrapperIjLb0EEEEE10hipError_tT1_PNSt15iterator_traitsISI_E10value_typeET2_T3_PNSJ_ISO_E10value_typeET4_T5_PST_SU_PNS1_23onesweep_lookback_stateEbbT6_jjT7_P12ihipStream_tbENKUlT_T0_SI_SN_E_clIPfSD_S15_SD_EEDaS11_S12_SI_SN_EUlS11_E_NS1_11comp_targetILNS1_3genE3ELNS1_11target_archE908ELNS1_3gpuE7ELNS1_3repE0EEENS1_47radix_sort_onesweep_sort_config_static_selectorELNS0_4arch9wavefront6targetE1EEEvSI_
		.amdhsa_group_segment_fixed_size 0
		.amdhsa_private_segment_fixed_size 0
		.amdhsa_kernarg_size 88
		.amdhsa_user_sgpr_count 2
		.amdhsa_user_sgpr_dispatch_ptr 0
		.amdhsa_user_sgpr_queue_ptr 0
		.amdhsa_user_sgpr_kernarg_segment_ptr 1
		.amdhsa_user_sgpr_dispatch_id 0
		.amdhsa_user_sgpr_kernarg_preload_length 0
		.amdhsa_user_sgpr_kernarg_preload_offset 0
		.amdhsa_user_sgpr_private_segment_size 0
		.amdhsa_uses_dynamic_stack 0
		.amdhsa_enable_private_segment 0
		.amdhsa_system_sgpr_workgroup_id_x 1
		.amdhsa_system_sgpr_workgroup_id_y 0
		.amdhsa_system_sgpr_workgroup_id_z 0
		.amdhsa_system_sgpr_workgroup_info 0
		.amdhsa_system_vgpr_workitem_id 0
		.amdhsa_next_free_vgpr 1
		.amdhsa_next_free_sgpr 0
		.amdhsa_accum_offset 4
		.amdhsa_reserve_vcc 0
		.amdhsa_float_round_mode_32 0
		.amdhsa_float_round_mode_16_64 0
		.amdhsa_float_denorm_mode_32 3
		.amdhsa_float_denorm_mode_16_64 3
		.amdhsa_dx10_clamp 1
		.amdhsa_ieee_mode 1
		.amdhsa_fp16_overflow 0
		.amdhsa_tg_split 0
		.amdhsa_exception_fp_ieee_invalid_op 0
		.amdhsa_exception_fp_denorm_src 0
		.amdhsa_exception_fp_ieee_div_zero 0
		.amdhsa_exception_fp_ieee_overflow 0
		.amdhsa_exception_fp_ieee_underflow 0
		.amdhsa_exception_fp_ieee_inexact 0
		.amdhsa_exception_int_div_zero 0
	.end_amdhsa_kernel
	.section	.text._ZN7rocprim17ROCPRIM_400000_NS6detail17trampoline_kernelINS0_14default_configENS1_35radix_sort_onesweep_config_selectorIffEEZZNS1_29radix_sort_onesweep_iterationIS3_Lb0EN6thrust23THRUST_200600_302600_NS6detail15normal_iteratorINS8_10device_ptrIfEEEESD_SD_SD_jNS0_19identity_decomposerENS1_16block_id_wrapperIjLb0EEEEE10hipError_tT1_PNSt15iterator_traitsISI_E10value_typeET2_T3_PNSJ_ISO_E10value_typeET4_T5_PST_SU_PNS1_23onesweep_lookback_stateEbbT6_jjT7_P12ihipStream_tbENKUlT_T0_SI_SN_E_clIPfSD_S15_SD_EEDaS11_S12_SI_SN_EUlS11_E_NS1_11comp_targetILNS1_3genE3ELNS1_11target_archE908ELNS1_3gpuE7ELNS1_3repE0EEENS1_47radix_sort_onesweep_sort_config_static_selectorELNS0_4arch9wavefront6targetE1EEEvSI_,"axG",@progbits,_ZN7rocprim17ROCPRIM_400000_NS6detail17trampoline_kernelINS0_14default_configENS1_35radix_sort_onesweep_config_selectorIffEEZZNS1_29radix_sort_onesweep_iterationIS3_Lb0EN6thrust23THRUST_200600_302600_NS6detail15normal_iteratorINS8_10device_ptrIfEEEESD_SD_SD_jNS0_19identity_decomposerENS1_16block_id_wrapperIjLb0EEEEE10hipError_tT1_PNSt15iterator_traitsISI_E10value_typeET2_T3_PNSJ_ISO_E10value_typeET4_T5_PST_SU_PNS1_23onesweep_lookback_stateEbbT6_jjT7_P12ihipStream_tbENKUlT_T0_SI_SN_E_clIPfSD_S15_SD_EEDaS11_S12_SI_SN_EUlS11_E_NS1_11comp_targetILNS1_3genE3ELNS1_11target_archE908ELNS1_3gpuE7ELNS1_3repE0EEENS1_47radix_sort_onesweep_sort_config_static_selectorELNS0_4arch9wavefront6targetE1EEEvSI_,comdat
.Lfunc_end355:
	.size	_ZN7rocprim17ROCPRIM_400000_NS6detail17trampoline_kernelINS0_14default_configENS1_35radix_sort_onesweep_config_selectorIffEEZZNS1_29radix_sort_onesweep_iterationIS3_Lb0EN6thrust23THRUST_200600_302600_NS6detail15normal_iteratorINS8_10device_ptrIfEEEESD_SD_SD_jNS0_19identity_decomposerENS1_16block_id_wrapperIjLb0EEEEE10hipError_tT1_PNSt15iterator_traitsISI_E10value_typeET2_T3_PNSJ_ISO_E10value_typeET4_T5_PST_SU_PNS1_23onesweep_lookback_stateEbbT6_jjT7_P12ihipStream_tbENKUlT_T0_SI_SN_E_clIPfSD_S15_SD_EEDaS11_S12_SI_SN_EUlS11_E_NS1_11comp_targetILNS1_3genE3ELNS1_11target_archE908ELNS1_3gpuE7ELNS1_3repE0EEENS1_47radix_sort_onesweep_sort_config_static_selectorELNS0_4arch9wavefront6targetE1EEEvSI_, .Lfunc_end355-_ZN7rocprim17ROCPRIM_400000_NS6detail17trampoline_kernelINS0_14default_configENS1_35radix_sort_onesweep_config_selectorIffEEZZNS1_29radix_sort_onesweep_iterationIS3_Lb0EN6thrust23THRUST_200600_302600_NS6detail15normal_iteratorINS8_10device_ptrIfEEEESD_SD_SD_jNS0_19identity_decomposerENS1_16block_id_wrapperIjLb0EEEEE10hipError_tT1_PNSt15iterator_traitsISI_E10value_typeET2_T3_PNSJ_ISO_E10value_typeET4_T5_PST_SU_PNS1_23onesweep_lookback_stateEbbT6_jjT7_P12ihipStream_tbENKUlT_T0_SI_SN_E_clIPfSD_S15_SD_EEDaS11_S12_SI_SN_EUlS11_E_NS1_11comp_targetILNS1_3genE3ELNS1_11target_archE908ELNS1_3gpuE7ELNS1_3repE0EEENS1_47radix_sort_onesweep_sort_config_static_selectorELNS0_4arch9wavefront6targetE1EEEvSI_
                                        ; -- End function
	.set _ZN7rocprim17ROCPRIM_400000_NS6detail17trampoline_kernelINS0_14default_configENS1_35radix_sort_onesweep_config_selectorIffEEZZNS1_29radix_sort_onesweep_iterationIS3_Lb0EN6thrust23THRUST_200600_302600_NS6detail15normal_iteratorINS8_10device_ptrIfEEEESD_SD_SD_jNS0_19identity_decomposerENS1_16block_id_wrapperIjLb0EEEEE10hipError_tT1_PNSt15iterator_traitsISI_E10value_typeET2_T3_PNSJ_ISO_E10value_typeET4_T5_PST_SU_PNS1_23onesweep_lookback_stateEbbT6_jjT7_P12ihipStream_tbENKUlT_T0_SI_SN_E_clIPfSD_S15_SD_EEDaS11_S12_SI_SN_EUlS11_E_NS1_11comp_targetILNS1_3genE3ELNS1_11target_archE908ELNS1_3gpuE7ELNS1_3repE0EEENS1_47radix_sort_onesweep_sort_config_static_selectorELNS0_4arch9wavefront6targetE1EEEvSI_.num_vgpr, 0
	.set _ZN7rocprim17ROCPRIM_400000_NS6detail17trampoline_kernelINS0_14default_configENS1_35radix_sort_onesweep_config_selectorIffEEZZNS1_29radix_sort_onesweep_iterationIS3_Lb0EN6thrust23THRUST_200600_302600_NS6detail15normal_iteratorINS8_10device_ptrIfEEEESD_SD_SD_jNS0_19identity_decomposerENS1_16block_id_wrapperIjLb0EEEEE10hipError_tT1_PNSt15iterator_traitsISI_E10value_typeET2_T3_PNSJ_ISO_E10value_typeET4_T5_PST_SU_PNS1_23onesweep_lookback_stateEbbT6_jjT7_P12ihipStream_tbENKUlT_T0_SI_SN_E_clIPfSD_S15_SD_EEDaS11_S12_SI_SN_EUlS11_E_NS1_11comp_targetILNS1_3genE3ELNS1_11target_archE908ELNS1_3gpuE7ELNS1_3repE0EEENS1_47radix_sort_onesweep_sort_config_static_selectorELNS0_4arch9wavefront6targetE1EEEvSI_.num_agpr, 0
	.set _ZN7rocprim17ROCPRIM_400000_NS6detail17trampoline_kernelINS0_14default_configENS1_35radix_sort_onesweep_config_selectorIffEEZZNS1_29radix_sort_onesweep_iterationIS3_Lb0EN6thrust23THRUST_200600_302600_NS6detail15normal_iteratorINS8_10device_ptrIfEEEESD_SD_SD_jNS0_19identity_decomposerENS1_16block_id_wrapperIjLb0EEEEE10hipError_tT1_PNSt15iterator_traitsISI_E10value_typeET2_T3_PNSJ_ISO_E10value_typeET4_T5_PST_SU_PNS1_23onesweep_lookback_stateEbbT6_jjT7_P12ihipStream_tbENKUlT_T0_SI_SN_E_clIPfSD_S15_SD_EEDaS11_S12_SI_SN_EUlS11_E_NS1_11comp_targetILNS1_3genE3ELNS1_11target_archE908ELNS1_3gpuE7ELNS1_3repE0EEENS1_47radix_sort_onesweep_sort_config_static_selectorELNS0_4arch9wavefront6targetE1EEEvSI_.numbered_sgpr, 0
	.set _ZN7rocprim17ROCPRIM_400000_NS6detail17trampoline_kernelINS0_14default_configENS1_35radix_sort_onesweep_config_selectorIffEEZZNS1_29radix_sort_onesweep_iterationIS3_Lb0EN6thrust23THRUST_200600_302600_NS6detail15normal_iteratorINS8_10device_ptrIfEEEESD_SD_SD_jNS0_19identity_decomposerENS1_16block_id_wrapperIjLb0EEEEE10hipError_tT1_PNSt15iterator_traitsISI_E10value_typeET2_T3_PNSJ_ISO_E10value_typeET4_T5_PST_SU_PNS1_23onesweep_lookback_stateEbbT6_jjT7_P12ihipStream_tbENKUlT_T0_SI_SN_E_clIPfSD_S15_SD_EEDaS11_S12_SI_SN_EUlS11_E_NS1_11comp_targetILNS1_3genE3ELNS1_11target_archE908ELNS1_3gpuE7ELNS1_3repE0EEENS1_47radix_sort_onesweep_sort_config_static_selectorELNS0_4arch9wavefront6targetE1EEEvSI_.num_named_barrier, 0
	.set _ZN7rocprim17ROCPRIM_400000_NS6detail17trampoline_kernelINS0_14default_configENS1_35radix_sort_onesweep_config_selectorIffEEZZNS1_29radix_sort_onesweep_iterationIS3_Lb0EN6thrust23THRUST_200600_302600_NS6detail15normal_iteratorINS8_10device_ptrIfEEEESD_SD_SD_jNS0_19identity_decomposerENS1_16block_id_wrapperIjLb0EEEEE10hipError_tT1_PNSt15iterator_traitsISI_E10value_typeET2_T3_PNSJ_ISO_E10value_typeET4_T5_PST_SU_PNS1_23onesweep_lookback_stateEbbT6_jjT7_P12ihipStream_tbENKUlT_T0_SI_SN_E_clIPfSD_S15_SD_EEDaS11_S12_SI_SN_EUlS11_E_NS1_11comp_targetILNS1_3genE3ELNS1_11target_archE908ELNS1_3gpuE7ELNS1_3repE0EEENS1_47radix_sort_onesweep_sort_config_static_selectorELNS0_4arch9wavefront6targetE1EEEvSI_.private_seg_size, 0
	.set _ZN7rocprim17ROCPRIM_400000_NS6detail17trampoline_kernelINS0_14default_configENS1_35radix_sort_onesweep_config_selectorIffEEZZNS1_29radix_sort_onesweep_iterationIS3_Lb0EN6thrust23THRUST_200600_302600_NS6detail15normal_iteratorINS8_10device_ptrIfEEEESD_SD_SD_jNS0_19identity_decomposerENS1_16block_id_wrapperIjLb0EEEEE10hipError_tT1_PNSt15iterator_traitsISI_E10value_typeET2_T3_PNSJ_ISO_E10value_typeET4_T5_PST_SU_PNS1_23onesweep_lookback_stateEbbT6_jjT7_P12ihipStream_tbENKUlT_T0_SI_SN_E_clIPfSD_S15_SD_EEDaS11_S12_SI_SN_EUlS11_E_NS1_11comp_targetILNS1_3genE3ELNS1_11target_archE908ELNS1_3gpuE7ELNS1_3repE0EEENS1_47radix_sort_onesweep_sort_config_static_selectorELNS0_4arch9wavefront6targetE1EEEvSI_.uses_vcc, 0
	.set _ZN7rocprim17ROCPRIM_400000_NS6detail17trampoline_kernelINS0_14default_configENS1_35radix_sort_onesweep_config_selectorIffEEZZNS1_29radix_sort_onesweep_iterationIS3_Lb0EN6thrust23THRUST_200600_302600_NS6detail15normal_iteratorINS8_10device_ptrIfEEEESD_SD_SD_jNS0_19identity_decomposerENS1_16block_id_wrapperIjLb0EEEEE10hipError_tT1_PNSt15iterator_traitsISI_E10value_typeET2_T3_PNSJ_ISO_E10value_typeET4_T5_PST_SU_PNS1_23onesweep_lookback_stateEbbT6_jjT7_P12ihipStream_tbENKUlT_T0_SI_SN_E_clIPfSD_S15_SD_EEDaS11_S12_SI_SN_EUlS11_E_NS1_11comp_targetILNS1_3genE3ELNS1_11target_archE908ELNS1_3gpuE7ELNS1_3repE0EEENS1_47radix_sort_onesweep_sort_config_static_selectorELNS0_4arch9wavefront6targetE1EEEvSI_.uses_flat_scratch, 0
	.set _ZN7rocprim17ROCPRIM_400000_NS6detail17trampoline_kernelINS0_14default_configENS1_35radix_sort_onesweep_config_selectorIffEEZZNS1_29radix_sort_onesweep_iterationIS3_Lb0EN6thrust23THRUST_200600_302600_NS6detail15normal_iteratorINS8_10device_ptrIfEEEESD_SD_SD_jNS0_19identity_decomposerENS1_16block_id_wrapperIjLb0EEEEE10hipError_tT1_PNSt15iterator_traitsISI_E10value_typeET2_T3_PNSJ_ISO_E10value_typeET4_T5_PST_SU_PNS1_23onesweep_lookback_stateEbbT6_jjT7_P12ihipStream_tbENKUlT_T0_SI_SN_E_clIPfSD_S15_SD_EEDaS11_S12_SI_SN_EUlS11_E_NS1_11comp_targetILNS1_3genE3ELNS1_11target_archE908ELNS1_3gpuE7ELNS1_3repE0EEENS1_47radix_sort_onesweep_sort_config_static_selectorELNS0_4arch9wavefront6targetE1EEEvSI_.has_dyn_sized_stack, 0
	.set _ZN7rocprim17ROCPRIM_400000_NS6detail17trampoline_kernelINS0_14default_configENS1_35radix_sort_onesweep_config_selectorIffEEZZNS1_29radix_sort_onesweep_iterationIS3_Lb0EN6thrust23THRUST_200600_302600_NS6detail15normal_iteratorINS8_10device_ptrIfEEEESD_SD_SD_jNS0_19identity_decomposerENS1_16block_id_wrapperIjLb0EEEEE10hipError_tT1_PNSt15iterator_traitsISI_E10value_typeET2_T3_PNSJ_ISO_E10value_typeET4_T5_PST_SU_PNS1_23onesweep_lookback_stateEbbT6_jjT7_P12ihipStream_tbENKUlT_T0_SI_SN_E_clIPfSD_S15_SD_EEDaS11_S12_SI_SN_EUlS11_E_NS1_11comp_targetILNS1_3genE3ELNS1_11target_archE908ELNS1_3gpuE7ELNS1_3repE0EEENS1_47radix_sort_onesweep_sort_config_static_selectorELNS0_4arch9wavefront6targetE1EEEvSI_.has_recursion, 0
	.set _ZN7rocprim17ROCPRIM_400000_NS6detail17trampoline_kernelINS0_14default_configENS1_35radix_sort_onesweep_config_selectorIffEEZZNS1_29radix_sort_onesweep_iterationIS3_Lb0EN6thrust23THRUST_200600_302600_NS6detail15normal_iteratorINS8_10device_ptrIfEEEESD_SD_SD_jNS0_19identity_decomposerENS1_16block_id_wrapperIjLb0EEEEE10hipError_tT1_PNSt15iterator_traitsISI_E10value_typeET2_T3_PNSJ_ISO_E10value_typeET4_T5_PST_SU_PNS1_23onesweep_lookback_stateEbbT6_jjT7_P12ihipStream_tbENKUlT_T0_SI_SN_E_clIPfSD_S15_SD_EEDaS11_S12_SI_SN_EUlS11_E_NS1_11comp_targetILNS1_3genE3ELNS1_11target_archE908ELNS1_3gpuE7ELNS1_3repE0EEENS1_47radix_sort_onesweep_sort_config_static_selectorELNS0_4arch9wavefront6targetE1EEEvSI_.has_indirect_call, 0
	.section	.AMDGPU.csdata,"",@progbits
; Kernel info:
; codeLenInByte = 0
; TotalNumSgprs: 6
; NumVgprs: 0
; NumAgprs: 0
; TotalNumVgprs: 0
; ScratchSize: 0
; MemoryBound: 0
; FloatMode: 240
; IeeeMode: 1
; LDSByteSize: 0 bytes/workgroup (compile time only)
; SGPRBlocks: 0
; VGPRBlocks: 0
; NumSGPRsForWavesPerEU: 6
; NumVGPRsForWavesPerEU: 1
; AccumOffset: 4
; Occupancy: 8
; WaveLimiterHint : 0
; COMPUTE_PGM_RSRC2:SCRATCH_EN: 0
; COMPUTE_PGM_RSRC2:USER_SGPR: 2
; COMPUTE_PGM_RSRC2:TRAP_HANDLER: 0
; COMPUTE_PGM_RSRC2:TGID_X_EN: 1
; COMPUTE_PGM_RSRC2:TGID_Y_EN: 0
; COMPUTE_PGM_RSRC2:TGID_Z_EN: 0
; COMPUTE_PGM_RSRC2:TIDIG_COMP_CNT: 0
; COMPUTE_PGM_RSRC3_GFX90A:ACCUM_OFFSET: 0
; COMPUTE_PGM_RSRC3_GFX90A:TG_SPLIT: 0
	.section	.text._ZN7rocprim17ROCPRIM_400000_NS6detail17trampoline_kernelINS0_14default_configENS1_35radix_sort_onesweep_config_selectorIffEEZZNS1_29radix_sort_onesweep_iterationIS3_Lb0EN6thrust23THRUST_200600_302600_NS6detail15normal_iteratorINS8_10device_ptrIfEEEESD_SD_SD_jNS0_19identity_decomposerENS1_16block_id_wrapperIjLb0EEEEE10hipError_tT1_PNSt15iterator_traitsISI_E10value_typeET2_T3_PNSJ_ISO_E10value_typeET4_T5_PST_SU_PNS1_23onesweep_lookback_stateEbbT6_jjT7_P12ihipStream_tbENKUlT_T0_SI_SN_E_clIPfSD_S15_SD_EEDaS11_S12_SI_SN_EUlS11_E_NS1_11comp_targetILNS1_3genE10ELNS1_11target_archE1201ELNS1_3gpuE5ELNS1_3repE0EEENS1_47radix_sort_onesweep_sort_config_static_selectorELNS0_4arch9wavefront6targetE1EEEvSI_,"axG",@progbits,_ZN7rocprim17ROCPRIM_400000_NS6detail17trampoline_kernelINS0_14default_configENS1_35radix_sort_onesweep_config_selectorIffEEZZNS1_29radix_sort_onesweep_iterationIS3_Lb0EN6thrust23THRUST_200600_302600_NS6detail15normal_iteratorINS8_10device_ptrIfEEEESD_SD_SD_jNS0_19identity_decomposerENS1_16block_id_wrapperIjLb0EEEEE10hipError_tT1_PNSt15iterator_traitsISI_E10value_typeET2_T3_PNSJ_ISO_E10value_typeET4_T5_PST_SU_PNS1_23onesweep_lookback_stateEbbT6_jjT7_P12ihipStream_tbENKUlT_T0_SI_SN_E_clIPfSD_S15_SD_EEDaS11_S12_SI_SN_EUlS11_E_NS1_11comp_targetILNS1_3genE10ELNS1_11target_archE1201ELNS1_3gpuE5ELNS1_3repE0EEENS1_47radix_sort_onesweep_sort_config_static_selectorELNS0_4arch9wavefront6targetE1EEEvSI_,comdat
	.protected	_ZN7rocprim17ROCPRIM_400000_NS6detail17trampoline_kernelINS0_14default_configENS1_35radix_sort_onesweep_config_selectorIffEEZZNS1_29radix_sort_onesweep_iterationIS3_Lb0EN6thrust23THRUST_200600_302600_NS6detail15normal_iteratorINS8_10device_ptrIfEEEESD_SD_SD_jNS0_19identity_decomposerENS1_16block_id_wrapperIjLb0EEEEE10hipError_tT1_PNSt15iterator_traitsISI_E10value_typeET2_T3_PNSJ_ISO_E10value_typeET4_T5_PST_SU_PNS1_23onesweep_lookback_stateEbbT6_jjT7_P12ihipStream_tbENKUlT_T0_SI_SN_E_clIPfSD_S15_SD_EEDaS11_S12_SI_SN_EUlS11_E_NS1_11comp_targetILNS1_3genE10ELNS1_11target_archE1201ELNS1_3gpuE5ELNS1_3repE0EEENS1_47radix_sort_onesweep_sort_config_static_selectorELNS0_4arch9wavefront6targetE1EEEvSI_ ; -- Begin function _ZN7rocprim17ROCPRIM_400000_NS6detail17trampoline_kernelINS0_14default_configENS1_35radix_sort_onesweep_config_selectorIffEEZZNS1_29radix_sort_onesweep_iterationIS3_Lb0EN6thrust23THRUST_200600_302600_NS6detail15normal_iteratorINS8_10device_ptrIfEEEESD_SD_SD_jNS0_19identity_decomposerENS1_16block_id_wrapperIjLb0EEEEE10hipError_tT1_PNSt15iterator_traitsISI_E10value_typeET2_T3_PNSJ_ISO_E10value_typeET4_T5_PST_SU_PNS1_23onesweep_lookback_stateEbbT6_jjT7_P12ihipStream_tbENKUlT_T0_SI_SN_E_clIPfSD_S15_SD_EEDaS11_S12_SI_SN_EUlS11_E_NS1_11comp_targetILNS1_3genE10ELNS1_11target_archE1201ELNS1_3gpuE5ELNS1_3repE0EEENS1_47radix_sort_onesweep_sort_config_static_selectorELNS0_4arch9wavefront6targetE1EEEvSI_
	.globl	_ZN7rocprim17ROCPRIM_400000_NS6detail17trampoline_kernelINS0_14default_configENS1_35radix_sort_onesweep_config_selectorIffEEZZNS1_29radix_sort_onesweep_iterationIS3_Lb0EN6thrust23THRUST_200600_302600_NS6detail15normal_iteratorINS8_10device_ptrIfEEEESD_SD_SD_jNS0_19identity_decomposerENS1_16block_id_wrapperIjLb0EEEEE10hipError_tT1_PNSt15iterator_traitsISI_E10value_typeET2_T3_PNSJ_ISO_E10value_typeET4_T5_PST_SU_PNS1_23onesweep_lookback_stateEbbT6_jjT7_P12ihipStream_tbENKUlT_T0_SI_SN_E_clIPfSD_S15_SD_EEDaS11_S12_SI_SN_EUlS11_E_NS1_11comp_targetILNS1_3genE10ELNS1_11target_archE1201ELNS1_3gpuE5ELNS1_3repE0EEENS1_47radix_sort_onesweep_sort_config_static_selectorELNS0_4arch9wavefront6targetE1EEEvSI_
	.p2align	8
	.type	_ZN7rocprim17ROCPRIM_400000_NS6detail17trampoline_kernelINS0_14default_configENS1_35radix_sort_onesweep_config_selectorIffEEZZNS1_29radix_sort_onesweep_iterationIS3_Lb0EN6thrust23THRUST_200600_302600_NS6detail15normal_iteratorINS8_10device_ptrIfEEEESD_SD_SD_jNS0_19identity_decomposerENS1_16block_id_wrapperIjLb0EEEEE10hipError_tT1_PNSt15iterator_traitsISI_E10value_typeET2_T3_PNSJ_ISO_E10value_typeET4_T5_PST_SU_PNS1_23onesweep_lookback_stateEbbT6_jjT7_P12ihipStream_tbENKUlT_T0_SI_SN_E_clIPfSD_S15_SD_EEDaS11_S12_SI_SN_EUlS11_E_NS1_11comp_targetILNS1_3genE10ELNS1_11target_archE1201ELNS1_3gpuE5ELNS1_3repE0EEENS1_47radix_sort_onesweep_sort_config_static_selectorELNS0_4arch9wavefront6targetE1EEEvSI_,@function
_ZN7rocprim17ROCPRIM_400000_NS6detail17trampoline_kernelINS0_14default_configENS1_35radix_sort_onesweep_config_selectorIffEEZZNS1_29radix_sort_onesweep_iterationIS3_Lb0EN6thrust23THRUST_200600_302600_NS6detail15normal_iteratorINS8_10device_ptrIfEEEESD_SD_SD_jNS0_19identity_decomposerENS1_16block_id_wrapperIjLb0EEEEE10hipError_tT1_PNSt15iterator_traitsISI_E10value_typeET2_T3_PNSJ_ISO_E10value_typeET4_T5_PST_SU_PNS1_23onesweep_lookback_stateEbbT6_jjT7_P12ihipStream_tbENKUlT_T0_SI_SN_E_clIPfSD_S15_SD_EEDaS11_S12_SI_SN_EUlS11_E_NS1_11comp_targetILNS1_3genE10ELNS1_11target_archE1201ELNS1_3gpuE5ELNS1_3repE0EEENS1_47radix_sort_onesweep_sort_config_static_selectorELNS0_4arch9wavefront6targetE1EEEvSI_: ; @_ZN7rocprim17ROCPRIM_400000_NS6detail17trampoline_kernelINS0_14default_configENS1_35radix_sort_onesweep_config_selectorIffEEZZNS1_29radix_sort_onesweep_iterationIS3_Lb0EN6thrust23THRUST_200600_302600_NS6detail15normal_iteratorINS8_10device_ptrIfEEEESD_SD_SD_jNS0_19identity_decomposerENS1_16block_id_wrapperIjLb0EEEEE10hipError_tT1_PNSt15iterator_traitsISI_E10value_typeET2_T3_PNSJ_ISO_E10value_typeET4_T5_PST_SU_PNS1_23onesweep_lookback_stateEbbT6_jjT7_P12ihipStream_tbENKUlT_T0_SI_SN_E_clIPfSD_S15_SD_EEDaS11_S12_SI_SN_EUlS11_E_NS1_11comp_targetILNS1_3genE10ELNS1_11target_archE1201ELNS1_3gpuE5ELNS1_3repE0EEENS1_47radix_sort_onesweep_sort_config_static_selectorELNS0_4arch9wavefront6targetE1EEEvSI_
; %bb.0:
	.section	.rodata,"a",@progbits
	.p2align	6, 0x0
	.amdhsa_kernel _ZN7rocprim17ROCPRIM_400000_NS6detail17trampoline_kernelINS0_14default_configENS1_35radix_sort_onesweep_config_selectorIffEEZZNS1_29radix_sort_onesweep_iterationIS3_Lb0EN6thrust23THRUST_200600_302600_NS6detail15normal_iteratorINS8_10device_ptrIfEEEESD_SD_SD_jNS0_19identity_decomposerENS1_16block_id_wrapperIjLb0EEEEE10hipError_tT1_PNSt15iterator_traitsISI_E10value_typeET2_T3_PNSJ_ISO_E10value_typeET4_T5_PST_SU_PNS1_23onesweep_lookback_stateEbbT6_jjT7_P12ihipStream_tbENKUlT_T0_SI_SN_E_clIPfSD_S15_SD_EEDaS11_S12_SI_SN_EUlS11_E_NS1_11comp_targetILNS1_3genE10ELNS1_11target_archE1201ELNS1_3gpuE5ELNS1_3repE0EEENS1_47radix_sort_onesweep_sort_config_static_selectorELNS0_4arch9wavefront6targetE1EEEvSI_
		.amdhsa_group_segment_fixed_size 0
		.amdhsa_private_segment_fixed_size 0
		.amdhsa_kernarg_size 88
		.amdhsa_user_sgpr_count 2
		.amdhsa_user_sgpr_dispatch_ptr 0
		.amdhsa_user_sgpr_queue_ptr 0
		.amdhsa_user_sgpr_kernarg_segment_ptr 1
		.amdhsa_user_sgpr_dispatch_id 0
		.amdhsa_user_sgpr_kernarg_preload_length 0
		.amdhsa_user_sgpr_kernarg_preload_offset 0
		.amdhsa_user_sgpr_private_segment_size 0
		.amdhsa_uses_dynamic_stack 0
		.amdhsa_enable_private_segment 0
		.amdhsa_system_sgpr_workgroup_id_x 1
		.amdhsa_system_sgpr_workgroup_id_y 0
		.amdhsa_system_sgpr_workgroup_id_z 0
		.amdhsa_system_sgpr_workgroup_info 0
		.amdhsa_system_vgpr_workitem_id 0
		.amdhsa_next_free_vgpr 1
		.amdhsa_next_free_sgpr 0
		.amdhsa_accum_offset 4
		.amdhsa_reserve_vcc 0
		.amdhsa_float_round_mode_32 0
		.amdhsa_float_round_mode_16_64 0
		.amdhsa_float_denorm_mode_32 3
		.amdhsa_float_denorm_mode_16_64 3
		.amdhsa_dx10_clamp 1
		.amdhsa_ieee_mode 1
		.amdhsa_fp16_overflow 0
		.amdhsa_tg_split 0
		.amdhsa_exception_fp_ieee_invalid_op 0
		.amdhsa_exception_fp_denorm_src 0
		.amdhsa_exception_fp_ieee_div_zero 0
		.amdhsa_exception_fp_ieee_overflow 0
		.amdhsa_exception_fp_ieee_underflow 0
		.amdhsa_exception_fp_ieee_inexact 0
		.amdhsa_exception_int_div_zero 0
	.end_amdhsa_kernel
	.section	.text._ZN7rocprim17ROCPRIM_400000_NS6detail17trampoline_kernelINS0_14default_configENS1_35radix_sort_onesweep_config_selectorIffEEZZNS1_29radix_sort_onesweep_iterationIS3_Lb0EN6thrust23THRUST_200600_302600_NS6detail15normal_iteratorINS8_10device_ptrIfEEEESD_SD_SD_jNS0_19identity_decomposerENS1_16block_id_wrapperIjLb0EEEEE10hipError_tT1_PNSt15iterator_traitsISI_E10value_typeET2_T3_PNSJ_ISO_E10value_typeET4_T5_PST_SU_PNS1_23onesweep_lookback_stateEbbT6_jjT7_P12ihipStream_tbENKUlT_T0_SI_SN_E_clIPfSD_S15_SD_EEDaS11_S12_SI_SN_EUlS11_E_NS1_11comp_targetILNS1_3genE10ELNS1_11target_archE1201ELNS1_3gpuE5ELNS1_3repE0EEENS1_47radix_sort_onesweep_sort_config_static_selectorELNS0_4arch9wavefront6targetE1EEEvSI_,"axG",@progbits,_ZN7rocprim17ROCPRIM_400000_NS6detail17trampoline_kernelINS0_14default_configENS1_35radix_sort_onesweep_config_selectorIffEEZZNS1_29radix_sort_onesweep_iterationIS3_Lb0EN6thrust23THRUST_200600_302600_NS6detail15normal_iteratorINS8_10device_ptrIfEEEESD_SD_SD_jNS0_19identity_decomposerENS1_16block_id_wrapperIjLb0EEEEE10hipError_tT1_PNSt15iterator_traitsISI_E10value_typeET2_T3_PNSJ_ISO_E10value_typeET4_T5_PST_SU_PNS1_23onesweep_lookback_stateEbbT6_jjT7_P12ihipStream_tbENKUlT_T0_SI_SN_E_clIPfSD_S15_SD_EEDaS11_S12_SI_SN_EUlS11_E_NS1_11comp_targetILNS1_3genE10ELNS1_11target_archE1201ELNS1_3gpuE5ELNS1_3repE0EEENS1_47radix_sort_onesweep_sort_config_static_selectorELNS0_4arch9wavefront6targetE1EEEvSI_,comdat
.Lfunc_end356:
	.size	_ZN7rocprim17ROCPRIM_400000_NS6detail17trampoline_kernelINS0_14default_configENS1_35radix_sort_onesweep_config_selectorIffEEZZNS1_29radix_sort_onesweep_iterationIS3_Lb0EN6thrust23THRUST_200600_302600_NS6detail15normal_iteratorINS8_10device_ptrIfEEEESD_SD_SD_jNS0_19identity_decomposerENS1_16block_id_wrapperIjLb0EEEEE10hipError_tT1_PNSt15iterator_traitsISI_E10value_typeET2_T3_PNSJ_ISO_E10value_typeET4_T5_PST_SU_PNS1_23onesweep_lookback_stateEbbT6_jjT7_P12ihipStream_tbENKUlT_T0_SI_SN_E_clIPfSD_S15_SD_EEDaS11_S12_SI_SN_EUlS11_E_NS1_11comp_targetILNS1_3genE10ELNS1_11target_archE1201ELNS1_3gpuE5ELNS1_3repE0EEENS1_47radix_sort_onesweep_sort_config_static_selectorELNS0_4arch9wavefront6targetE1EEEvSI_, .Lfunc_end356-_ZN7rocprim17ROCPRIM_400000_NS6detail17trampoline_kernelINS0_14default_configENS1_35radix_sort_onesweep_config_selectorIffEEZZNS1_29radix_sort_onesweep_iterationIS3_Lb0EN6thrust23THRUST_200600_302600_NS6detail15normal_iteratorINS8_10device_ptrIfEEEESD_SD_SD_jNS0_19identity_decomposerENS1_16block_id_wrapperIjLb0EEEEE10hipError_tT1_PNSt15iterator_traitsISI_E10value_typeET2_T3_PNSJ_ISO_E10value_typeET4_T5_PST_SU_PNS1_23onesweep_lookback_stateEbbT6_jjT7_P12ihipStream_tbENKUlT_T0_SI_SN_E_clIPfSD_S15_SD_EEDaS11_S12_SI_SN_EUlS11_E_NS1_11comp_targetILNS1_3genE10ELNS1_11target_archE1201ELNS1_3gpuE5ELNS1_3repE0EEENS1_47radix_sort_onesweep_sort_config_static_selectorELNS0_4arch9wavefront6targetE1EEEvSI_
                                        ; -- End function
	.set _ZN7rocprim17ROCPRIM_400000_NS6detail17trampoline_kernelINS0_14default_configENS1_35radix_sort_onesweep_config_selectorIffEEZZNS1_29radix_sort_onesweep_iterationIS3_Lb0EN6thrust23THRUST_200600_302600_NS6detail15normal_iteratorINS8_10device_ptrIfEEEESD_SD_SD_jNS0_19identity_decomposerENS1_16block_id_wrapperIjLb0EEEEE10hipError_tT1_PNSt15iterator_traitsISI_E10value_typeET2_T3_PNSJ_ISO_E10value_typeET4_T5_PST_SU_PNS1_23onesweep_lookback_stateEbbT6_jjT7_P12ihipStream_tbENKUlT_T0_SI_SN_E_clIPfSD_S15_SD_EEDaS11_S12_SI_SN_EUlS11_E_NS1_11comp_targetILNS1_3genE10ELNS1_11target_archE1201ELNS1_3gpuE5ELNS1_3repE0EEENS1_47radix_sort_onesweep_sort_config_static_selectorELNS0_4arch9wavefront6targetE1EEEvSI_.num_vgpr, 0
	.set _ZN7rocprim17ROCPRIM_400000_NS6detail17trampoline_kernelINS0_14default_configENS1_35radix_sort_onesweep_config_selectorIffEEZZNS1_29radix_sort_onesweep_iterationIS3_Lb0EN6thrust23THRUST_200600_302600_NS6detail15normal_iteratorINS8_10device_ptrIfEEEESD_SD_SD_jNS0_19identity_decomposerENS1_16block_id_wrapperIjLb0EEEEE10hipError_tT1_PNSt15iterator_traitsISI_E10value_typeET2_T3_PNSJ_ISO_E10value_typeET4_T5_PST_SU_PNS1_23onesweep_lookback_stateEbbT6_jjT7_P12ihipStream_tbENKUlT_T0_SI_SN_E_clIPfSD_S15_SD_EEDaS11_S12_SI_SN_EUlS11_E_NS1_11comp_targetILNS1_3genE10ELNS1_11target_archE1201ELNS1_3gpuE5ELNS1_3repE0EEENS1_47radix_sort_onesweep_sort_config_static_selectorELNS0_4arch9wavefront6targetE1EEEvSI_.num_agpr, 0
	.set _ZN7rocprim17ROCPRIM_400000_NS6detail17trampoline_kernelINS0_14default_configENS1_35radix_sort_onesweep_config_selectorIffEEZZNS1_29radix_sort_onesweep_iterationIS3_Lb0EN6thrust23THRUST_200600_302600_NS6detail15normal_iteratorINS8_10device_ptrIfEEEESD_SD_SD_jNS0_19identity_decomposerENS1_16block_id_wrapperIjLb0EEEEE10hipError_tT1_PNSt15iterator_traitsISI_E10value_typeET2_T3_PNSJ_ISO_E10value_typeET4_T5_PST_SU_PNS1_23onesweep_lookback_stateEbbT6_jjT7_P12ihipStream_tbENKUlT_T0_SI_SN_E_clIPfSD_S15_SD_EEDaS11_S12_SI_SN_EUlS11_E_NS1_11comp_targetILNS1_3genE10ELNS1_11target_archE1201ELNS1_3gpuE5ELNS1_3repE0EEENS1_47radix_sort_onesweep_sort_config_static_selectorELNS0_4arch9wavefront6targetE1EEEvSI_.numbered_sgpr, 0
	.set _ZN7rocprim17ROCPRIM_400000_NS6detail17trampoline_kernelINS0_14default_configENS1_35radix_sort_onesweep_config_selectorIffEEZZNS1_29radix_sort_onesweep_iterationIS3_Lb0EN6thrust23THRUST_200600_302600_NS6detail15normal_iteratorINS8_10device_ptrIfEEEESD_SD_SD_jNS0_19identity_decomposerENS1_16block_id_wrapperIjLb0EEEEE10hipError_tT1_PNSt15iterator_traitsISI_E10value_typeET2_T3_PNSJ_ISO_E10value_typeET4_T5_PST_SU_PNS1_23onesweep_lookback_stateEbbT6_jjT7_P12ihipStream_tbENKUlT_T0_SI_SN_E_clIPfSD_S15_SD_EEDaS11_S12_SI_SN_EUlS11_E_NS1_11comp_targetILNS1_3genE10ELNS1_11target_archE1201ELNS1_3gpuE5ELNS1_3repE0EEENS1_47radix_sort_onesweep_sort_config_static_selectorELNS0_4arch9wavefront6targetE1EEEvSI_.num_named_barrier, 0
	.set _ZN7rocprim17ROCPRIM_400000_NS6detail17trampoline_kernelINS0_14default_configENS1_35radix_sort_onesweep_config_selectorIffEEZZNS1_29radix_sort_onesweep_iterationIS3_Lb0EN6thrust23THRUST_200600_302600_NS6detail15normal_iteratorINS8_10device_ptrIfEEEESD_SD_SD_jNS0_19identity_decomposerENS1_16block_id_wrapperIjLb0EEEEE10hipError_tT1_PNSt15iterator_traitsISI_E10value_typeET2_T3_PNSJ_ISO_E10value_typeET4_T5_PST_SU_PNS1_23onesweep_lookback_stateEbbT6_jjT7_P12ihipStream_tbENKUlT_T0_SI_SN_E_clIPfSD_S15_SD_EEDaS11_S12_SI_SN_EUlS11_E_NS1_11comp_targetILNS1_3genE10ELNS1_11target_archE1201ELNS1_3gpuE5ELNS1_3repE0EEENS1_47radix_sort_onesweep_sort_config_static_selectorELNS0_4arch9wavefront6targetE1EEEvSI_.private_seg_size, 0
	.set _ZN7rocprim17ROCPRIM_400000_NS6detail17trampoline_kernelINS0_14default_configENS1_35radix_sort_onesweep_config_selectorIffEEZZNS1_29radix_sort_onesweep_iterationIS3_Lb0EN6thrust23THRUST_200600_302600_NS6detail15normal_iteratorINS8_10device_ptrIfEEEESD_SD_SD_jNS0_19identity_decomposerENS1_16block_id_wrapperIjLb0EEEEE10hipError_tT1_PNSt15iterator_traitsISI_E10value_typeET2_T3_PNSJ_ISO_E10value_typeET4_T5_PST_SU_PNS1_23onesweep_lookback_stateEbbT6_jjT7_P12ihipStream_tbENKUlT_T0_SI_SN_E_clIPfSD_S15_SD_EEDaS11_S12_SI_SN_EUlS11_E_NS1_11comp_targetILNS1_3genE10ELNS1_11target_archE1201ELNS1_3gpuE5ELNS1_3repE0EEENS1_47radix_sort_onesweep_sort_config_static_selectorELNS0_4arch9wavefront6targetE1EEEvSI_.uses_vcc, 0
	.set _ZN7rocprim17ROCPRIM_400000_NS6detail17trampoline_kernelINS0_14default_configENS1_35radix_sort_onesweep_config_selectorIffEEZZNS1_29radix_sort_onesweep_iterationIS3_Lb0EN6thrust23THRUST_200600_302600_NS6detail15normal_iteratorINS8_10device_ptrIfEEEESD_SD_SD_jNS0_19identity_decomposerENS1_16block_id_wrapperIjLb0EEEEE10hipError_tT1_PNSt15iterator_traitsISI_E10value_typeET2_T3_PNSJ_ISO_E10value_typeET4_T5_PST_SU_PNS1_23onesweep_lookback_stateEbbT6_jjT7_P12ihipStream_tbENKUlT_T0_SI_SN_E_clIPfSD_S15_SD_EEDaS11_S12_SI_SN_EUlS11_E_NS1_11comp_targetILNS1_3genE10ELNS1_11target_archE1201ELNS1_3gpuE5ELNS1_3repE0EEENS1_47radix_sort_onesweep_sort_config_static_selectorELNS0_4arch9wavefront6targetE1EEEvSI_.uses_flat_scratch, 0
	.set _ZN7rocprim17ROCPRIM_400000_NS6detail17trampoline_kernelINS0_14default_configENS1_35radix_sort_onesweep_config_selectorIffEEZZNS1_29radix_sort_onesweep_iterationIS3_Lb0EN6thrust23THRUST_200600_302600_NS6detail15normal_iteratorINS8_10device_ptrIfEEEESD_SD_SD_jNS0_19identity_decomposerENS1_16block_id_wrapperIjLb0EEEEE10hipError_tT1_PNSt15iterator_traitsISI_E10value_typeET2_T3_PNSJ_ISO_E10value_typeET4_T5_PST_SU_PNS1_23onesweep_lookback_stateEbbT6_jjT7_P12ihipStream_tbENKUlT_T0_SI_SN_E_clIPfSD_S15_SD_EEDaS11_S12_SI_SN_EUlS11_E_NS1_11comp_targetILNS1_3genE10ELNS1_11target_archE1201ELNS1_3gpuE5ELNS1_3repE0EEENS1_47radix_sort_onesweep_sort_config_static_selectorELNS0_4arch9wavefront6targetE1EEEvSI_.has_dyn_sized_stack, 0
	.set _ZN7rocprim17ROCPRIM_400000_NS6detail17trampoline_kernelINS0_14default_configENS1_35radix_sort_onesweep_config_selectorIffEEZZNS1_29radix_sort_onesweep_iterationIS3_Lb0EN6thrust23THRUST_200600_302600_NS6detail15normal_iteratorINS8_10device_ptrIfEEEESD_SD_SD_jNS0_19identity_decomposerENS1_16block_id_wrapperIjLb0EEEEE10hipError_tT1_PNSt15iterator_traitsISI_E10value_typeET2_T3_PNSJ_ISO_E10value_typeET4_T5_PST_SU_PNS1_23onesweep_lookback_stateEbbT6_jjT7_P12ihipStream_tbENKUlT_T0_SI_SN_E_clIPfSD_S15_SD_EEDaS11_S12_SI_SN_EUlS11_E_NS1_11comp_targetILNS1_3genE10ELNS1_11target_archE1201ELNS1_3gpuE5ELNS1_3repE0EEENS1_47radix_sort_onesweep_sort_config_static_selectorELNS0_4arch9wavefront6targetE1EEEvSI_.has_recursion, 0
	.set _ZN7rocprim17ROCPRIM_400000_NS6detail17trampoline_kernelINS0_14default_configENS1_35radix_sort_onesweep_config_selectorIffEEZZNS1_29radix_sort_onesweep_iterationIS3_Lb0EN6thrust23THRUST_200600_302600_NS6detail15normal_iteratorINS8_10device_ptrIfEEEESD_SD_SD_jNS0_19identity_decomposerENS1_16block_id_wrapperIjLb0EEEEE10hipError_tT1_PNSt15iterator_traitsISI_E10value_typeET2_T3_PNSJ_ISO_E10value_typeET4_T5_PST_SU_PNS1_23onesweep_lookback_stateEbbT6_jjT7_P12ihipStream_tbENKUlT_T0_SI_SN_E_clIPfSD_S15_SD_EEDaS11_S12_SI_SN_EUlS11_E_NS1_11comp_targetILNS1_3genE10ELNS1_11target_archE1201ELNS1_3gpuE5ELNS1_3repE0EEENS1_47radix_sort_onesweep_sort_config_static_selectorELNS0_4arch9wavefront6targetE1EEEvSI_.has_indirect_call, 0
	.section	.AMDGPU.csdata,"",@progbits
; Kernel info:
; codeLenInByte = 0
; TotalNumSgprs: 6
; NumVgprs: 0
; NumAgprs: 0
; TotalNumVgprs: 0
; ScratchSize: 0
; MemoryBound: 0
; FloatMode: 240
; IeeeMode: 1
; LDSByteSize: 0 bytes/workgroup (compile time only)
; SGPRBlocks: 0
; VGPRBlocks: 0
; NumSGPRsForWavesPerEU: 6
; NumVGPRsForWavesPerEU: 1
; AccumOffset: 4
; Occupancy: 8
; WaveLimiterHint : 0
; COMPUTE_PGM_RSRC2:SCRATCH_EN: 0
; COMPUTE_PGM_RSRC2:USER_SGPR: 2
; COMPUTE_PGM_RSRC2:TRAP_HANDLER: 0
; COMPUTE_PGM_RSRC2:TGID_X_EN: 1
; COMPUTE_PGM_RSRC2:TGID_Y_EN: 0
; COMPUTE_PGM_RSRC2:TGID_Z_EN: 0
; COMPUTE_PGM_RSRC2:TIDIG_COMP_CNT: 0
; COMPUTE_PGM_RSRC3_GFX90A:ACCUM_OFFSET: 0
; COMPUTE_PGM_RSRC3_GFX90A:TG_SPLIT: 0
	.section	.text._ZN7rocprim17ROCPRIM_400000_NS6detail17trampoline_kernelINS0_14default_configENS1_35radix_sort_onesweep_config_selectorIffEEZZNS1_29radix_sort_onesweep_iterationIS3_Lb0EN6thrust23THRUST_200600_302600_NS6detail15normal_iteratorINS8_10device_ptrIfEEEESD_SD_SD_jNS0_19identity_decomposerENS1_16block_id_wrapperIjLb0EEEEE10hipError_tT1_PNSt15iterator_traitsISI_E10value_typeET2_T3_PNSJ_ISO_E10value_typeET4_T5_PST_SU_PNS1_23onesweep_lookback_stateEbbT6_jjT7_P12ihipStream_tbENKUlT_T0_SI_SN_E_clIPfSD_S15_SD_EEDaS11_S12_SI_SN_EUlS11_E_NS1_11comp_targetILNS1_3genE9ELNS1_11target_archE1100ELNS1_3gpuE3ELNS1_3repE0EEENS1_47radix_sort_onesweep_sort_config_static_selectorELNS0_4arch9wavefront6targetE1EEEvSI_,"axG",@progbits,_ZN7rocprim17ROCPRIM_400000_NS6detail17trampoline_kernelINS0_14default_configENS1_35radix_sort_onesweep_config_selectorIffEEZZNS1_29radix_sort_onesweep_iterationIS3_Lb0EN6thrust23THRUST_200600_302600_NS6detail15normal_iteratorINS8_10device_ptrIfEEEESD_SD_SD_jNS0_19identity_decomposerENS1_16block_id_wrapperIjLb0EEEEE10hipError_tT1_PNSt15iterator_traitsISI_E10value_typeET2_T3_PNSJ_ISO_E10value_typeET4_T5_PST_SU_PNS1_23onesweep_lookback_stateEbbT6_jjT7_P12ihipStream_tbENKUlT_T0_SI_SN_E_clIPfSD_S15_SD_EEDaS11_S12_SI_SN_EUlS11_E_NS1_11comp_targetILNS1_3genE9ELNS1_11target_archE1100ELNS1_3gpuE3ELNS1_3repE0EEENS1_47radix_sort_onesweep_sort_config_static_selectorELNS0_4arch9wavefront6targetE1EEEvSI_,comdat
	.protected	_ZN7rocprim17ROCPRIM_400000_NS6detail17trampoline_kernelINS0_14default_configENS1_35radix_sort_onesweep_config_selectorIffEEZZNS1_29radix_sort_onesweep_iterationIS3_Lb0EN6thrust23THRUST_200600_302600_NS6detail15normal_iteratorINS8_10device_ptrIfEEEESD_SD_SD_jNS0_19identity_decomposerENS1_16block_id_wrapperIjLb0EEEEE10hipError_tT1_PNSt15iterator_traitsISI_E10value_typeET2_T3_PNSJ_ISO_E10value_typeET4_T5_PST_SU_PNS1_23onesweep_lookback_stateEbbT6_jjT7_P12ihipStream_tbENKUlT_T0_SI_SN_E_clIPfSD_S15_SD_EEDaS11_S12_SI_SN_EUlS11_E_NS1_11comp_targetILNS1_3genE9ELNS1_11target_archE1100ELNS1_3gpuE3ELNS1_3repE0EEENS1_47radix_sort_onesweep_sort_config_static_selectorELNS0_4arch9wavefront6targetE1EEEvSI_ ; -- Begin function _ZN7rocprim17ROCPRIM_400000_NS6detail17trampoline_kernelINS0_14default_configENS1_35radix_sort_onesweep_config_selectorIffEEZZNS1_29radix_sort_onesweep_iterationIS3_Lb0EN6thrust23THRUST_200600_302600_NS6detail15normal_iteratorINS8_10device_ptrIfEEEESD_SD_SD_jNS0_19identity_decomposerENS1_16block_id_wrapperIjLb0EEEEE10hipError_tT1_PNSt15iterator_traitsISI_E10value_typeET2_T3_PNSJ_ISO_E10value_typeET4_T5_PST_SU_PNS1_23onesweep_lookback_stateEbbT6_jjT7_P12ihipStream_tbENKUlT_T0_SI_SN_E_clIPfSD_S15_SD_EEDaS11_S12_SI_SN_EUlS11_E_NS1_11comp_targetILNS1_3genE9ELNS1_11target_archE1100ELNS1_3gpuE3ELNS1_3repE0EEENS1_47radix_sort_onesweep_sort_config_static_selectorELNS0_4arch9wavefront6targetE1EEEvSI_
	.globl	_ZN7rocprim17ROCPRIM_400000_NS6detail17trampoline_kernelINS0_14default_configENS1_35radix_sort_onesweep_config_selectorIffEEZZNS1_29radix_sort_onesweep_iterationIS3_Lb0EN6thrust23THRUST_200600_302600_NS6detail15normal_iteratorINS8_10device_ptrIfEEEESD_SD_SD_jNS0_19identity_decomposerENS1_16block_id_wrapperIjLb0EEEEE10hipError_tT1_PNSt15iterator_traitsISI_E10value_typeET2_T3_PNSJ_ISO_E10value_typeET4_T5_PST_SU_PNS1_23onesweep_lookback_stateEbbT6_jjT7_P12ihipStream_tbENKUlT_T0_SI_SN_E_clIPfSD_S15_SD_EEDaS11_S12_SI_SN_EUlS11_E_NS1_11comp_targetILNS1_3genE9ELNS1_11target_archE1100ELNS1_3gpuE3ELNS1_3repE0EEENS1_47radix_sort_onesweep_sort_config_static_selectorELNS0_4arch9wavefront6targetE1EEEvSI_
	.p2align	8
	.type	_ZN7rocprim17ROCPRIM_400000_NS6detail17trampoline_kernelINS0_14default_configENS1_35radix_sort_onesweep_config_selectorIffEEZZNS1_29radix_sort_onesweep_iterationIS3_Lb0EN6thrust23THRUST_200600_302600_NS6detail15normal_iteratorINS8_10device_ptrIfEEEESD_SD_SD_jNS0_19identity_decomposerENS1_16block_id_wrapperIjLb0EEEEE10hipError_tT1_PNSt15iterator_traitsISI_E10value_typeET2_T3_PNSJ_ISO_E10value_typeET4_T5_PST_SU_PNS1_23onesweep_lookback_stateEbbT6_jjT7_P12ihipStream_tbENKUlT_T0_SI_SN_E_clIPfSD_S15_SD_EEDaS11_S12_SI_SN_EUlS11_E_NS1_11comp_targetILNS1_3genE9ELNS1_11target_archE1100ELNS1_3gpuE3ELNS1_3repE0EEENS1_47radix_sort_onesweep_sort_config_static_selectorELNS0_4arch9wavefront6targetE1EEEvSI_,@function
_ZN7rocprim17ROCPRIM_400000_NS6detail17trampoline_kernelINS0_14default_configENS1_35radix_sort_onesweep_config_selectorIffEEZZNS1_29radix_sort_onesweep_iterationIS3_Lb0EN6thrust23THRUST_200600_302600_NS6detail15normal_iteratorINS8_10device_ptrIfEEEESD_SD_SD_jNS0_19identity_decomposerENS1_16block_id_wrapperIjLb0EEEEE10hipError_tT1_PNSt15iterator_traitsISI_E10value_typeET2_T3_PNSJ_ISO_E10value_typeET4_T5_PST_SU_PNS1_23onesweep_lookback_stateEbbT6_jjT7_P12ihipStream_tbENKUlT_T0_SI_SN_E_clIPfSD_S15_SD_EEDaS11_S12_SI_SN_EUlS11_E_NS1_11comp_targetILNS1_3genE9ELNS1_11target_archE1100ELNS1_3gpuE3ELNS1_3repE0EEENS1_47radix_sort_onesweep_sort_config_static_selectorELNS0_4arch9wavefront6targetE1EEEvSI_: ; @_ZN7rocprim17ROCPRIM_400000_NS6detail17trampoline_kernelINS0_14default_configENS1_35radix_sort_onesweep_config_selectorIffEEZZNS1_29radix_sort_onesweep_iterationIS3_Lb0EN6thrust23THRUST_200600_302600_NS6detail15normal_iteratorINS8_10device_ptrIfEEEESD_SD_SD_jNS0_19identity_decomposerENS1_16block_id_wrapperIjLb0EEEEE10hipError_tT1_PNSt15iterator_traitsISI_E10value_typeET2_T3_PNSJ_ISO_E10value_typeET4_T5_PST_SU_PNS1_23onesweep_lookback_stateEbbT6_jjT7_P12ihipStream_tbENKUlT_T0_SI_SN_E_clIPfSD_S15_SD_EEDaS11_S12_SI_SN_EUlS11_E_NS1_11comp_targetILNS1_3genE9ELNS1_11target_archE1100ELNS1_3gpuE3ELNS1_3repE0EEENS1_47radix_sort_onesweep_sort_config_static_selectorELNS0_4arch9wavefront6targetE1EEEvSI_
; %bb.0:
	.section	.rodata,"a",@progbits
	.p2align	6, 0x0
	.amdhsa_kernel _ZN7rocprim17ROCPRIM_400000_NS6detail17trampoline_kernelINS0_14default_configENS1_35radix_sort_onesweep_config_selectorIffEEZZNS1_29radix_sort_onesweep_iterationIS3_Lb0EN6thrust23THRUST_200600_302600_NS6detail15normal_iteratorINS8_10device_ptrIfEEEESD_SD_SD_jNS0_19identity_decomposerENS1_16block_id_wrapperIjLb0EEEEE10hipError_tT1_PNSt15iterator_traitsISI_E10value_typeET2_T3_PNSJ_ISO_E10value_typeET4_T5_PST_SU_PNS1_23onesweep_lookback_stateEbbT6_jjT7_P12ihipStream_tbENKUlT_T0_SI_SN_E_clIPfSD_S15_SD_EEDaS11_S12_SI_SN_EUlS11_E_NS1_11comp_targetILNS1_3genE9ELNS1_11target_archE1100ELNS1_3gpuE3ELNS1_3repE0EEENS1_47radix_sort_onesweep_sort_config_static_selectorELNS0_4arch9wavefront6targetE1EEEvSI_
		.amdhsa_group_segment_fixed_size 0
		.amdhsa_private_segment_fixed_size 0
		.amdhsa_kernarg_size 88
		.amdhsa_user_sgpr_count 2
		.amdhsa_user_sgpr_dispatch_ptr 0
		.amdhsa_user_sgpr_queue_ptr 0
		.amdhsa_user_sgpr_kernarg_segment_ptr 1
		.amdhsa_user_sgpr_dispatch_id 0
		.amdhsa_user_sgpr_kernarg_preload_length 0
		.amdhsa_user_sgpr_kernarg_preload_offset 0
		.amdhsa_user_sgpr_private_segment_size 0
		.amdhsa_uses_dynamic_stack 0
		.amdhsa_enable_private_segment 0
		.amdhsa_system_sgpr_workgroup_id_x 1
		.amdhsa_system_sgpr_workgroup_id_y 0
		.amdhsa_system_sgpr_workgroup_id_z 0
		.amdhsa_system_sgpr_workgroup_info 0
		.amdhsa_system_vgpr_workitem_id 0
		.amdhsa_next_free_vgpr 1
		.amdhsa_next_free_sgpr 0
		.amdhsa_accum_offset 4
		.amdhsa_reserve_vcc 0
		.amdhsa_float_round_mode_32 0
		.amdhsa_float_round_mode_16_64 0
		.amdhsa_float_denorm_mode_32 3
		.amdhsa_float_denorm_mode_16_64 3
		.amdhsa_dx10_clamp 1
		.amdhsa_ieee_mode 1
		.amdhsa_fp16_overflow 0
		.amdhsa_tg_split 0
		.amdhsa_exception_fp_ieee_invalid_op 0
		.amdhsa_exception_fp_denorm_src 0
		.amdhsa_exception_fp_ieee_div_zero 0
		.amdhsa_exception_fp_ieee_overflow 0
		.amdhsa_exception_fp_ieee_underflow 0
		.amdhsa_exception_fp_ieee_inexact 0
		.amdhsa_exception_int_div_zero 0
	.end_amdhsa_kernel
	.section	.text._ZN7rocprim17ROCPRIM_400000_NS6detail17trampoline_kernelINS0_14default_configENS1_35radix_sort_onesweep_config_selectorIffEEZZNS1_29radix_sort_onesweep_iterationIS3_Lb0EN6thrust23THRUST_200600_302600_NS6detail15normal_iteratorINS8_10device_ptrIfEEEESD_SD_SD_jNS0_19identity_decomposerENS1_16block_id_wrapperIjLb0EEEEE10hipError_tT1_PNSt15iterator_traitsISI_E10value_typeET2_T3_PNSJ_ISO_E10value_typeET4_T5_PST_SU_PNS1_23onesweep_lookback_stateEbbT6_jjT7_P12ihipStream_tbENKUlT_T0_SI_SN_E_clIPfSD_S15_SD_EEDaS11_S12_SI_SN_EUlS11_E_NS1_11comp_targetILNS1_3genE9ELNS1_11target_archE1100ELNS1_3gpuE3ELNS1_3repE0EEENS1_47radix_sort_onesweep_sort_config_static_selectorELNS0_4arch9wavefront6targetE1EEEvSI_,"axG",@progbits,_ZN7rocprim17ROCPRIM_400000_NS6detail17trampoline_kernelINS0_14default_configENS1_35radix_sort_onesweep_config_selectorIffEEZZNS1_29radix_sort_onesweep_iterationIS3_Lb0EN6thrust23THRUST_200600_302600_NS6detail15normal_iteratorINS8_10device_ptrIfEEEESD_SD_SD_jNS0_19identity_decomposerENS1_16block_id_wrapperIjLb0EEEEE10hipError_tT1_PNSt15iterator_traitsISI_E10value_typeET2_T3_PNSJ_ISO_E10value_typeET4_T5_PST_SU_PNS1_23onesweep_lookback_stateEbbT6_jjT7_P12ihipStream_tbENKUlT_T0_SI_SN_E_clIPfSD_S15_SD_EEDaS11_S12_SI_SN_EUlS11_E_NS1_11comp_targetILNS1_3genE9ELNS1_11target_archE1100ELNS1_3gpuE3ELNS1_3repE0EEENS1_47radix_sort_onesweep_sort_config_static_selectorELNS0_4arch9wavefront6targetE1EEEvSI_,comdat
.Lfunc_end357:
	.size	_ZN7rocprim17ROCPRIM_400000_NS6detail17trampoline_kernelINS0_14default_configENS1_35radix_sort_onesweep_config_selectorIffEEZZNS1_29radix_sort_onesweep_iterationIS3_Lb0EN6thrust23THRUST_200600_302600_NS6detail15normal_iteratorINS8_10device_ptrIfEEEESD_SD_SD_jNS0_19identity_decomposerENS1_16block_id_wrapperIjLb0EEEEE10hipError_tT1_PNSt15iterator_traitsISI_E10value_typeET2_T3_PNSJ_ISO_E10value_typeET4_T5_PST_SU_PNS1_23onesweep_lookback_stateEbbT6_jjT7_P12ihipStream_tbENKUlT_T0_SI_SN_E_clIPfSD_S15_SD_EEDaS11_S12_SI_SN_EUlS11_E_NS1_11comp_targetILNS1_3genE9ELNS1_11target_archE1100ELNS1_3gpuE3ELNS1_3repE0EEENS1_47radix_sort_onesweep_sort_config_static_selectorELNS0_4arch9wavefront6targetE1EEEvSI_, .Lfunc_end357-_ZN7rocprim17ROCPRIM_400000_NS6detail17trampoline_kernelINS0_14default_configENS1_35radix_sort_onesweep_config_selectorIffEEZZNS1_29radix_sort_onesweep_iterationIS3_Lb0EN6thrust23THRUST_200600_302600_NS6detail15normal_iteratorINS8_10device_ptrIfEEEESD_SD_SD_jNS0_19identity_decomposerENS1_16block_id_wrapperIjLb0EEEEE10hipError_tT1_PNSt15iterator_traitsISI_E10value_typeET2_T3_PNSJ_ISO_E10value_typeET4_T5_PST_SU_PNS1_23onesweep_lookback_stateEbbT6_jjT7_P12ihipStream_tbENKUlT_T0_SI_SN_E_clIPfSD_S15_SD_EEDaS11_S12_SI_SN_EUlS11_E_NS1_11comp_targetILNS1_3genE9ELNS1_11target_archE1100ELNS1_3gpuE3ELNS1_3repE0EEENS1_47radix_sort_onesweep_sort_config_static_selectorELNS0_4arch9wavefront6targetE1EEEvSI_
                                        ; -- End function
	.set _ZN7rocprim17ROCPRIM_400000_NS6detail17trampoline_kernelINS0_14default_configENS1_35radix_sort_onesweep_config_selectorIffEEZZNS1_29radix_sort_onesweep_iterationIS3_Lb0EN6thrust23THRUST_200600_302600_NS6detail15normal_iteratorINS8_10device_ptrIfEEEESD_SD_SD_jNS0_19identity_decomposerENS1_16block_id_wrapperIjLb0EEEEE10hipError_tT1_PNSt15iterator_traitsISI_E10value_typeET2_T3_PNSJ_ISO_E10value_typeET4_T5_PST_SU_PNS1_23onesweep_lookback_stateEbbT6_jjT7_P12ihipStream_tbENKUlT_T0_SI_SN_E_clIPfSD_S15_SD_EEDaS11_S12_SI_SN_EUlS11_E_NS1_11comp_targetILNS1_3genE9ELNS1_11target_archE1100ELNS1_3gpuE3ELNS1_3repE0EEENS1_47radix_sort_onesweep_sort_config_static_selectorELNS0_4arch9wavefront6targetE1EEEvSI_.num_vgpr, 0
	.set _ZN7rocprim17ROCPRIM_400000_NS6detail17trampoline_kernelINS0_14default_configENS1_35radix_sort_onesweep_config_selectorIffEEZZNS1_29radix_sort_onesweep_iterationIS3_Lb0EN6thrust23THRUST_200600_302600_NS6detail15normal_iteratorINS8_10device_ptrIfEEEESD_SD_SD_jNS0_19identity_decomposerENS1_16block_id_wrapperIjLb0EEEEE10hipError_tT1_PNSt15iterator_traitsISI_E10value_typeET2_T3_PNSJ_ISO_E10value_typeET4_T5_PST_SU_PNS1_23onesweep_lookback_stateEbbT6_jjT7_P12ihipStream_tbENKUlT_T0_SI_SN_E_clIPfSD_S15_SD_EEDaS11_S12_SI_SN_EUlS11_E_NS1_11comp_targetILNS1_3genE9ELNS1_11target_archE1100ELNS1_3gpuE3ELNS1_3repE0EEENS1_47radix_sort_onesweep_sort_config_static_selectorELNS0_4arch9wavefront6targetE1EEEvSI_.num_agpr, 0
	.set _ZN7rocprim17ROCPRIM_400000_NS6detail17trampoline_kernelINS0_14default_configENS1_35radix_sort_onesweep_config_selectorIffEEZZNS1_29radix_sort_onesweep_iterationIS3_Lb0EN6thrust23THRUST_200600_302600_NS6detail15normal_iteratorINS8_10device_ptrIfEEEESD_SD_SD_jNS0_19identity_decomposerENS1_16block_id_wrapperIjLb0EEEEE10hipError_tT1_PNSt15iterator_traitsISI_E10value_typeET2_T3_PNSJ_ISO_E10value_typeET4_T5_PST_SU_PNS1_23onesweep_lookback_stateEbbT6_jjT7_P12ihipStream_tbENKUlT_T0_SI_SN_E_clIPfSD_S15_SD_EEDaS11_S12_SI_SN_EUlS11_E_NS1_11comp_targetILNS1_3genE9ELNS1_11target_archE1100ELNS1_3gpuE3ELNS1_3repE0EEENS1_47radix_sort_onesweep_sort_config_static_selectorELNS0_4arch9wavefront6targetE1EEEvSI_.numbered_sgpr, 0
	.set _ZN7rocprim17ROCPRIM_400000_NS6detail17trampoline_kernelINS0_14default_configENS1_35radix_sort_onesweep_config_selectorIffEEZZNS1_29radix_sort_onesweep_iterationIS3_Lb0EN6thrust23THRUST_200600_302600_NS6detail15normal_iteratorINS8_10device_ptrIfEEEESD_SD_SD_jNS0_19identity_decomposerENS1_16block_id_wrapperIjLb0EEEEE10hipError_tT1_PNSt15iterator_traitsISI_E10value_typeET2_T3_PNSJ_ISO_E10value_typeET4_T5_PST_SU_PNS1_23onesweep_lookback_stateEbbT6_jjT7_P12ihipStream_tbENKUlT_T0_SI_SN_E_clIPfSD_S15_SD_EEDaS11_S12_SI_SN_EUlS11_E_NS1_11comp_targetILNS1_3genE9ELNS1_11target_archE1100ELNS1_3gpuE3ELNS1_3repE0EEENS1_47radix_sort_onesweep_sort_config_static_selectorELNS0_4arch9wavefront6targetE1EEEvSI_.num_named_barrier, 0
	.set _ZN7rocprim17ROCPRIM_400000_NS6detail17trampoline_kernelINS0_14default_configENS1_35radix_sort_onesweep_config_selectorIffEEZZNS1_29radix_sort_onesweep_iterationIS3_Lb0EN6thrust23THRUST_200600_302600_NS6detail15normal_iteratorINS8_10device_ptrIfEEEESD_SD_SD_jNS0_19identity_decomposerENS1_16block_id_wrapperIjLb0EEEEE10hipError_tT1_PNSt15iterator_traitsISI_E10value_typeET2_T3_PNSJ_ISO_E10value_typeET4_T5_PST_SU_PNS1_23onesweep_lookback_stateEbbT6_jjT7_P12ihipStream_tbENKUlT_T0_SI_SN_E_clIPfSD_S15_SD_EEDaS11_S12_SI_SN_EUlS11_E_NS1_11comp_targetILNS1_3genE9ELNS1_11target_archE1100ELNS1_3gpuE3ELNS1_3repE0EEENS1_47radix_sort_onesweep_sort_config_static_selectorELNS0_4arch9wavefront6targetE1EEEvSI_.private_seg_size, 0
	.set _ZN7rocprim17ROCPRIM_400000_NS6detail17trampoline_kernelINS0_14default_configENS1_35radix_sort_onesweep_config_selectorIffEEZZNS1_29radix_sort_onesweep_iterationIS3_Lb0EN6thrust23THRUST_200600_302600_NS6detail15normal_iteratorINS8_10device_ptrIfEEEESD_SD_SD_jNS0_19identity_decomposerENS1_16block_id_wrapperIjLb0EEEEE10hipError_tT1_PNSt15iterator_traitsISI_E10value_typeET2_T3_PNSJ_ISO_E10value_typeET4_T5_PST_SU_PNS1_23onesweep_lookback_stateEbbT6_jjT7_P12ihipStream_tbENKUlT_T0_SI_SN_E_clIPfSD_S15_SD_EEDaS11_S12_SI_SN_EUlS11_E_NS1_11comp_targetILNS1_3genE9ELNS1_11target_archE1100ELNS1_3gpuE3ELNS1_3repE0EEENS1_47radix_sort_onesweep_sort_config_static_selectorELNS0_4arch9wavefront6targetE1EEEvSI_.uses_vcc, 0
	.set _ZN7rocprim17ROCPRIM_400000_NS6detail17trampoline_kernelINS0_14default_configENS1_35radix_sort_onesweep_config_selectorIffEEZZNS1_29radix_sort_onesweep_iterationIS3_Lb0EN6thrust23THRUST_200600_302600_NS6detail15normal_iteratorINS8_10device_ptrIfEEEESD_SD_SD_jNS0_19identity_decomposerENS1_16block_id_wrapperIjLb0EEEEE10hipError_tT1_PNSt15iterator_traitsISI_E10value_typeET2_T3_PNSJ_ISO_E10value_typeET4_T5_PST_SU_PNS1_23onesweep_lookback_stateEbbT6_jjT7_P12ihipStream_tbENKUlT_T0_SI_SN_E_clIPfSD_S15_SD_EEDaS11_S12_SI_SN_EUlS11_E_NS1_11comp_targetILNS1_3genE9ELNS1_11target_archE1100ELNS1_3gpuE3ELNS1_3repE0EEENS1_47radix_sort_onesweep_sort_config_static_selectorELNS0_4arch9wavefront6targetE1EEEvSI_.uses_flat_scratch, 0
	.set _ZN7rocprim17ROCPRIM_400000_NS6detail17trampoline_kernelINS0_14default_configENS1_35radix_sort_onesweep_config_selectorIffEEZZNS1_29radix_sort_onesweep_iterationIS3_Lb0EN6thrust23THRUST_200600_302600_NS6detail15normal_iteratorINS8_10device_ptrIfEEEESD_SD_SD_jNS0_19identity_decomposerENS1_16block_id_wrapperIjLb0EEEEE10hipError_tT1_PNSt15iterator_traitsISI_E10value_typeET2_T3_PNSJ_ISO_E10value_typeET4_T5_PST_SU_PNS1_23onesweep_lookback_stateEbbT6_jjT7_P12ihipStream_tbENKUlT_T0_SI_SN_E_clIPfSD_S15_SD_EEDaS11_S12_SI_SN_EUlS11_E_NS1_11comp_targetILNS1_3genE9ELNS1_11target_archE1100ELNS1_3gpuE3ELNS1_3repE0EEENS1_47radix_sort_onesweep_sort_config_static_selectorELNS0_4arch9wavefront6targetE1EEEvSI_.has_dyn_sized_stack, 0
	.set _ZN7rocprim17ROCPRIM_400000_NS6detail17trampoline_kernelINS0_14default_configENS1_35radix_sort_onesweep_config_selectorIffEEZZNS1_29radix_sort_onesweep_iterationIS3_Lb0EN6thrust23THRUST_200600_302600_NS6detail15normal_iteratorINS8_10device_ptrIfEEEESD_SD_SD_jNS0_19identity_decomposerENS1_16block_id_wrapperIjLb0EEEEE10hipError_tT1_PNSt15iterator_traitsISI_E10value_typeET2_T3_PNSJ_ISO_E10value_typeET4_T5_PST_SU_PNS1_23onesweep_lookback_stateEbbT6_jjT7_P12ihipStream_tbENKUlT_T0_SI_SN_E_clIPfSD_S15_SD_EEDaS11_S12_SI_SN_EUlS11_E_NS1_11comp_targetILNS1_3genE9ELNS1_11target_archE1100ELNS1_3gpuE3ELNS1_3repE0EEENS1_47radix_sort_onesweep_sort_config_static_selectorELNS0_4arch9wavefront6targetE1EEEvSI_.has_recursion, 0
	.set _ZN7rocprim17ROCPRIM_400000_NS6detail17trampoline_kernelINS0_14default_configENS1_35radix_sort_onesweep_config_selectorIffEEZZNS1_29radix_sort_onesweep_iterationIS3_Lb0EN6thrust23THRUST_200600_302600_NS6detail15normal_iteratorINS8_10device_ptrIfEEEESD_SD_SD_jNS0_19identity_decomposerENS1_16block_id_wrapperIjLb0EEEEE10hipError_tT1_PNSt15iterator_traitsISI_E10value_typeET2_T3_PNSJ_ISO_E10value_typeET4_T5_PST_SU_PNS1_23onesweep_lookback_stateEbbT6_jjT7_P12ihipStream_tbENKUlT_T0_SI_SN_E_clIPfSD_S15_SD_EEDaS11_S12_SI_SN_EUlS11_E_NS1_11comp_targetILNS1_3genE9ELNS1_11target_archE1100ELNS1_3gpuE3ELNS1_3repE0EEENS1_47radix_sort_onesweep_sort_config_static_selectorELNS0_4arch9wavefront6targetE1EEEvSI_.has_indirect_call, 0
	.section	.AMDGPU.csdata,"",@progbits
; Kernel info:
; codeLenInByte = 0
; TotalNumSgprs: 6
; NumVgprs: 0
; NumAgprs: 0
; TotalNumVgprs: 0
; ScratchSize: 0
; MemoryBound: 0
; FloatMode: 240
; IeeeMode: 1
; LDSByteSize: 0 bytes/workgroup (compile time only)
; SGPRBlocks: 0
; VGPRBlocks: 0
; NumSGPRsForWavesPerEU: 6
; NumVGPRsForWavesPerEU: 1
; AccumOffset: 4
; Occupancy: 8
; WaveLimiterHint : 0
; COMPUTE_PGM_RSRC2:SCRATCH_EN: 0
; COMPUTE_PGM_RSRC2:USER_SGPR: 2
; COMPUTE_PGM_RSRC2:TRAP_HANDLER: 0
; COMPUTE_PGM_RSRC2:TGID_X_EN: 1
; COMPUTE_PGM_RSRC2:TGID_Y_EN: 0
; COMPUTE_PGM_RSRC2:TGID_Z_EN: 0
; COMPUTE_PGM_RSRC2:TIDIG_COMP_CNT: 0
; COMPUTE_PGM_RSRC3_GFX90A:ACCUM_OFFSET: 0
; COMPUTE_PGM_RSRC3_GFX90A:TG_SPLIT: 0
	.section	.text._ZN7rocprim17ROCPRIM_400000_NS6detail17trampoline_kernelINS0_14default_configENS1_35radix_sort_onesweep_config_selectorIffEEZZNS1_29radix_sort_onesweep_iterationIS3_Lb0EN6thrust23THRUST_200600_302600_NS6detail15normal_iteratorINS8_10device_ptrIfEEEESD_SD_SD_jNS0_19identity_decomposerENS1_16block_id_wrapperIjLb0EEEEE10hipError_tT1_PNSt15iterator_traitsISI_E10value_typeET2_T3_PNSJ_ISO_E10value_typeET4_T5_PST_SU_PNS1_23onesweep_lookback_stateEbbT6_jjT7_P12ihipStream_tbENKUlT_T0_SI_SN_E_clIPfSD_S15_SD_EEDaS11_S12_SI_SN_EUlS11_E_NS1_11comp_targetILNS1_3genE8ELNS1_11target_archE1030ELNS1_3gpuE2ELNS1_3repE0EEENS1_47radix_sort_onesweep_sort_config_static_selectorELNS0_4arch9wavefront6targetE1EEEvSI_,"axG",@progbits,_ZN7rocprim17ROCPRIM_400000_NS6detail17trampoline_kernelINS0_14default_configENS1_35radix_sort_onesweep_config_selectorIffEEZZNS1_29radix_sort_onesweep_iterationIS3_Lb0EN6thrust23THRUST_200600_302600_NS6detail15normal_iteratorINS8_10device_ptrIfEEEESD_SD_SD_jNS0_19identity_decomposerENS1_16block_id_wrapperIjLb0EEEEE10hipError_tT1_PNSt15iterator_traitsISI_E10value_typeET2_T3_PNSJ_ISO_E10value_typeET4_T5_PST_SU_PNS1_23onesweep_lookback_stateEbbT6_jjT7_P12ihipStream_tbENKUlT_T0_SI_SN_E_clIPfSD_S15_SD_EEDaS11_S12_SI_SN_EUlS11_E_NS1_11comp_targetILNS1_3genE8ELNS1_11target_archE1030ELNS1_3gpuE2ELNS1_3repE0EEENS1_47radix_sort_onesweep_sort_config_static_selectorELNS0_4arch9wavefront6targetE1EEEvSI_,comdat
	.protected	_ZN7rocprim17ROCPRIM_400000_NS6detail17trampoline_kernelINS0_14default_configENS1_35radix_sort_onesweep_config_selectorIffEEZZNS1_29radix_sort_onesweep_iterationIS3_Lb0EN6thrust23THRUST_200600_302600_NS6detail15normal_iteratorINS8_10device_ptrIfEEEESD_SD_SD_jNS0_19identity_decomposerENS1_16block_id_wrapperIjLb0EEEEE10hipError_tT1_PNSt15iterator_traitsISI_E10value_typeET2_T3_PNSJ_ISO_E10value_typeET4_T5_PST_SU_PNS1_23onesweep_lookback_stateEbbT6_jjT7_P12ihipStream_tbENKUlT_T0_SI_SN_E_clIPfSD_S15_SD_EEDaS11_S12_SI_SN_EUlS11_E_NS1_11comp_targetILNS1_3genE8ELNS1_11target_archE1030ELNS1_3gpuE2ELNS1_3repE0EEENS1_47radix_sort_onesweep_sort_config_static_selectorELNS0_4arch9wavefront6targetE1EEEvSI_ ; -- Begin function _ZN7rocprim17ROCPRIM_400000_NS6detail17trampoline_kernelINS0_14default_configENS1_35radix_sort_onesweep_config_selectorIffEEZZNS1_29radix_sort_onesweep_iterationIS3_Lb0EN6thrust23THRUST_200600_302600_NS6detail15normal_iteratorINS8_10device_ptrIfEEEESD_SD_SD_jNS0_19identity_decomposerENS1_16block_id_wrapperIjLb0EEEEE10hipError_tT1_PNSt15iterator_traitsISI_E10value_typeET2_T3_PNSJ_ISO_E10value_typeET4_T5_PST_SU_PNS1_23onesweep_lookback_stateEbbT6_jjT7_P12ihipStream_tbENKUlT_T0_SI_SN_E_clIPfSD_S15_SD_EEDaS11_S12_SI_SN_EUlS11_E_NS1_11comp_targetILNS1_3genE8ELNS1_11target_archE1030ELNS1_3gpuE2ELNS1_3repE0EEENS1_47radix_sort_onesweep_sort_config_static_selectorELNS0_4arch9wavefront6targetE1EEEvSI_
	.globl	_ZN7rocprim17ROCPRIM_400000_NS6detail17trampoline_kernelINS0_14default_configENS1_35radix_sort_onesweep_config_selectorIffEEZZNS1_29radix_sort_onesweep_iterationIS3_Lb0EN6thrust23THRUST_200600_302600_NS6detail15normal_iteratorINS8_10device_ptrIfEEEESD_SD_SD_jNS0_19identity_decomposerENS1_16block_id_wrapperIjLb0EEEEE10hipError_tT1_PNSt15iterator_traitsISI_E10value_typeET2_T3_PNSJ_ISO_E10value_typeET4_T5_PST_SU_PNS1_23onesweep_lookback_stateEbbT6_jjT7_P12ihipStream_tbENKUlT_T0_SI_SN_E_clIPfSD_S15_SD_EEDaS11_S12_SI_SN_EUlS11_E_NS1_11comp_targetILNS1_3genE8ELNS1_11target_archE1030ELNS1_3gpuE2ELNS1_3repE0EEENS1_47radix_sort_onesweep_sort_config_static_selectorELNS0_4arch9wavefront6targetE1EEEvSI_
	.p2align	8
	.type	_ZN7rocprim17ROCPRIM_400000_NS6detail17trampoline_kernelINS0_14default_configENS1_35radix_sort_onesweep_config_selectorIffEEZZNS1_29radix_sort_onesweep_iterationIS3_Lb0EN6thrust23THRUST_200600_302600_NS6detail15normal_iteratorINS8_10device_ptrIfEEEESD_SD_SD_jNS0_19identity_decomposerENS1_16block_id_wrapperIjLb0EEEEE10hipError_tT1_PNSt15iterator_traitsISI_E10value_typeET2_T3_PNSJ_ISO_E10value_typeET4_T5_PST_SU_PNS1_23onesweep_lookback_stateEbbT6_jjT7_P12ihipStream_tbENKUlT_T0_SI_SN_E_clIPfSD_S15_SD_EEDaS11_S12_SI_SN_EUlS11_E_NS1_11comp_targetILNS1_3genE8ELNS1_11target_archE1030ELNS1_3gpuE2ELNS1_3repE0EEENS1_47radix_sort_onesweep_sort_config_static_selectorELNS0_4arch9wavefront6targetE1EEEvSI_,@function
_ZN7rocprim17ROCPRIM_400000_NS6detail17trampoline_kernelINS0_14default_configENS1_35radix_sort_onesweep_config_selectorIffEEZZNS1_29radix_sort_onesweep_iterationIS3_Lb0EN6thrust23THRUST_200600_302600_NS6detail15normal_iteratorINS8_10device_ptrIfEEEESD_SD_SD_jNS0_19identity_decomposerENS1_16block_id_wrapperIjLb0EEEEE10hipError_tT1_PNSt15iterator_traitsISI_E10value_typeET2_T3_PNSJ_ISO_E10value_typeET4_T5_PST_SU_PNS1_23onesweep_lookback_stateEbbT6_jjT7_P12ihipStream_tbENKUlT_T0_SI_SN_E_clIPfSD_S15_SD_EEDaS11_S12_SI_SN_EUlS11_E_NS1_11comp_targetILNS1_3genE8ELNS1_11target_archE1030ELNS1_3gpuE2ELNS1_3repE0EEENS1_47radix_sort_onesweep_sort_config_static_selectorELNS0_4arch9wavefront6targetE1EEEvSI_: ; @_ZN7rocprim17ROCPRIM_400000_NS6detail17trampoline_kernelINS0_14default_configENS1_35radix_sort_onesweep_config_selectorIffEEZZNS1_29radix_sort_onesweep_iterationIS3_Lb0EN6thrust23THRUST_200600_302600_NS6detail15normal_iteratorINS8_10device_ptrIfEEEESD_SD_SD_jNS0_19identity_decomposerENS1_16block_id_wrapperIjLb0EEEEE10hipError_tT1_PNSt15iterator_traitsISI_E10value_typeET2_T3_PNSJ_ISO_E10value_typeET4_T5_PST_SU_PNS1_23onesweep_lookback_stateEbbT6_jjT7_P12ihipStream_tbENKUlT_T0_SI_SN_E_clIPfSD_S15_SD_EEDaS11_S12_SI_SN_EUlS11_E_NS1_11comp_targetILNS1_3genE8ELNS1_11target_archE1030ELNS1_3gpuE2ELNS1_3repE0EEENS1_47radix_sort_onesweep_sort_config_static_selectorELNS0_4arch9wavefront6targetE1EEEvSI_
; %bb.0:
	.section	.rodata,"a",@progbits
	.p2align	6, 0x0
	.amdhsa_kernel _ZN7rocprim17ROCPRIM_400000_NS6detail17trampoline_kernelINS0_14default_configENS1_35radix_sort_onesweep_config_selectorIffEEZZNS1_29radix_sort_onesweep_iterationIS3_Lb0EN6thrust23THRUST_200600_302600_NS6detail15normal_iteratorINS8_10device_ptrIfEEEESD_SD_SD_jNS0_19identity_decomposerENS1_16block_id_wrapperIjLb0EEEEE10hipError_tT1_PNSt15iterator_traitsISI_E10value_typeET2_T3_PNSJ_ISO_E10value_typeET4_T5_PST_SU_PNS1_23onesweep_lookback_stateEbbT6_jjT7_P12ihipStream_tbENKUlT_T0_SI_SN_E_clIPfSD_S15_SD_EEDaS11_S12_SI_SN_EUlS11_E_NS1_11comp_targetILNS1_3genE8ELNS1_11target_archE1030ELNS1_3gpuE2ELNS1_3repE0EEENS1_47radix_sort_onesweep_sort_config_static_selectorELNS0_4arch9wavefront6targetE1EEEvSI_
		.amdhsa_group_segment_fixed_size 0
		.amdhsa_private_segment_fixed_size 0
		.amdhsa_kernarg_size 88
		.amdhsa_user_sgpr_count 2
		.amdhsa_user_sgpr_dispatch_ptr 0
		.amdhsa_user_sgpr_queue_ptr 0
		.amdhsa_user_sgpr_kernarg_segment_ptr 1
		.amdhsa_user_sgpr_dispatch_id 0
		.amdhsa_user_sgpr_kernarg_preload_length 0
		.amdhsa_user_sgpr_kernarg_preload_offset 0
		.amdhsa_user_sgpr_private_segment_size 0
		.amdhsa_uses_dynamic_stack 0
		.amdhsa_enable_private_segment 0
		.amdhsa_system_sgpr_workgroup_id_x 1
		.amdhsa_system_sgpr_workgroup_id_y 0
		.amdhsa_system_sgpr_workgroup_id_z 0
		.amdhsa_system_sgpr_workgroup_info 0
		.amdhsa_system_vgpr_workitem_id 0
		.amdhsa_next_free_vgpr 1
		.amdhsa_next_free_sgpr 0
		.amdhsa_accum_offset 4
		.amdhsa_reserve_vcc 0
		.amdhsa_float_round_mode_32 0
		.amdhsa_float_round_mode_16_64 0
		.amdhsa_float_denorm_mode_32 3
		.amdhsa_float_denorm_mode_16_64 3
		.amdhsa_dx10_clamp 1
		.amdhsa_ieee_mode 1
		.amdhsa_fp16_overflow 0
		.amdhsa_tg_split 0
		.amdhsa_exception_fp_ieee_invalid_op 0
		.amdhsa_exception_fp_denorm_src 0
		.amdhsa_exception_fp_ieee_div_zero 0
		.amdhsa_exception_fp_ieee_overflow 0
		.amdhsa_exception_fp_ieee_underflow 0
		.amdhsa_exception_fp_ieee_inexact 0
		.amdhsa_exception_int_div_zero 0
	.end_amdhsa_kernel
	.section	.text._ZN7rocprim17ROCPRIM_400000_NS6detail17trampoline_kernelINS0_14default_configENS1_35radix_sort_onesweep_config_selectorIffEEZZNS1_29radix_sort_onesweep_iterationIS3_Lb0EN6thrust23THRUST_200600_302600_NS6detail15normal_iteratorINS8_10device_ptrIfEEEESD_SD_SD_jNS0_19identity_decomposerENS1_16block_id_wrapperIjLb0EEEEE10hipError_tT1_PNSt15iterator_traitsISI_E10value_typeET2_T3_PNSJ_ISO_E10value_typeET4_T5_PST_SU_PNS1_23onesweep_lookback_stateEbbT6_jjT7_P12ihipStream_tbENKUlT_T0_SI_SN_E_clIPfSD_S15_SD_EEDaS11_S12_SI_SN_EUlS11_E_NS1_11comp_targetILNS1_3genE8ELNS1_11target_archE1030ELNS1_3gpuE2ELNS1_3repE0EEENS1_47radix_sort_onesweep_sort_config_static_selectorELNS0_4arch9wavefront6targetE1EEEvSI_,"axG",@progbits,_ZN7rocprim17ROCPRIM_400000_NS6detail17trampoline_kernelINS0_14default_configENS1_35radix_sort_onesweep_config_selectorIffEEZZNS1_29radix_sort_onesweep_iterationIS3_Lb0EN6thrust23THRUST_200600_302600_NS6detail15normal_iteratorINS8_10device_ptrIfEEEESD_SD_SD_jNS0_19identity_decomposerENS1_16block_id_wrapperIjLb0EEEEE10hipError_tT1_PNSt15iterator_traitsISI_E10value_typeET2_T3_PNSJ_ISO_E10value_typeET4_T5_PST_SU_PNS1_23onesweep_lookback_stateEbbT6_jjT7_P12ihipStream_tbENKUlT_T0_SI_SN_E_clIPfSD_S15_SD_EEDaS11_S12_SI_SN_EUlS11_E_NS1_11comp_targetILNS1_3genE8ELNS1_11target_archE1030ELNS1_3gpuE2ELNS1_3repE0EEENS1_47radix_sort_onesweep_sort_config_static_selectorELNS0_4arch9wavefront6targetE1EEEvSI_,comdat
.Lfunc_end358:
	.size	_ZN7rocprim17ROCPRIM_400000_NS6detail17trampoline_kernelINS0_14default_configENS1_35radix_sort_onesweep_config_selectorIffEEZZNS1_29radix_sort_onesweep_iterationIS3_Lb0EN6thrust23THRUST_200600_302600_NS6detail15normal_iteratorINS8_10device_ptrIfEEEESD_SD_SD_jNS0_19identity_decomposerENS1_16block_id_wrapperIjLb0EEEEE10hipError_tT1_PNSt15iterator_traitsISI_E10value_typeET2_T3_PNSJ_ISO_E10value_typeET4_T5_PST_SU_PNS1_23onesweep_lookback_stateEbbT6_jjT7_P12ihipStream_tbENKUlT_T0_SI_SN_E_clIPfSD_S15_SD_EEDaS11_S12_SI_SN_EUlS11_E_NS1_11comp_targetILNS1_3genE8ELNS1_11target_archE1030ELNS1_3gpuE2ELNS1_3repE0EEENS1_47radix_sort_onesweep_sort_config_static_selectorELNS0_4arch9wavefront6targetE1EEEvSI_, .Lfunc_end358-_ZN7rocprim17ROCPRIM_400000_NS6detail17trampoline_kernelINS0_14default_configENS1_35radix_sort_onesweep_config_selectorIffEEZZNS1_29radix_sort_onesweep_iterationIS3_Lb0EN6thrust23THRUST_200600_302600_NS6detail15normal_iteratorINS8_10device_ptrIfEEEESD_SD_SD_jNS0_19identity_decomposerENS1_16block_id_wrapperIjLb0EEEEE10hipError_tT1_PNSt15iterator_traitsISI_E10value_typeET2_T3_PNSJ_ISO_E10value_typeET4_T5_PST_SU_PNS1_23onesweep_lookback_stateEbbT6_jjT7_P12ihipStream_tbENKUlT_T0_SI_SN_E_clIPfSD_S15_SD_EEDaS11_S12_SI_SN_EUlS11_E_NS1_11comp_targetILNS1_3genE8ELNS1_11target_archE1030ELNS1_3gpuE2ELNS1_3repE0EEENS1_47radix_sort_onesweep_sort_config_static_selectorELNS0_4arch9wavefront6targetE1EEEvSI_
                                        ; -- End function
	.set _ZN7rocprim17ROCPRIM_400000_NS6detail17trampoline_kernelINS0_14default_configENS1_35radix_sort_onesweep_config_selectorIffEEZZNS1_29radix_sort_onesweep_iterationIS3_Lb0EN6thrust23THRUST_200600_302600_NS6detail15normal_iteratorINS8_10device_ptrIfEEEESD_SD_SD_jNS0_19identity_decomposerENS1_16block_id_wrapperIjLb0EEEEE10hipError_tT1_PNSt15iterator_traitsISI_E10value_typeET2_T3_PNSJ_ISO_E10value_typeET4_T5_PST_SU_PNS1_23onesweep_lookback_stateEbbT6_jjT7_P12ihipStream_tbENKUlT_T0_SI_SN_E_clIPfSD_S15_SD_EEDaS11_S12_SI_SN_EUlS11_E_NS1_11comp_targetILNS1_3genE8ELNS1_11target_archE1030ELNS1_3gpuE2ELNS1_3repE0EEENS1_47radix_sort_onesweep_sort_config_static_selectorELNS0_4arch9wavefront6targetE1EEEvSI_.num_vgpr, 0
	.set _ZN7rocprim17ROCPRIM_400000_NS6detail17trampoline_kernelINS0_14default_configENS1_35radix_sort_onesweep_config_selectorIffEEZZNS1_29radix_sort_onesweep_iterationIS3_Lb0EN6thrust23THRUST_200600_302600_NS6detail15normal_iteratorINS8_10device_ptrIfEEEESD_SD_SD_jNS0_19identity_decomposerENS1_16block_id_wrapperIjLb0EEEEE10hipError_tT1_PNSt15iterator_traitsISI_E10value_typeET2_T3_PNSJ_ISO_E10value_typeET4_T5_PST_SU_PNS1_23onesweep_lookback_stateEbbT6_jjT7_P12ihipStream_tbENKUlT_T0_SI_SN_E_clIPfSD_S15_SD_EEDaS11_S12_SI_SN_EUlS11_E_NS1_11comp_targetILNS1_3genE8ELNS1_11target_archE1030ELNS1_3gpuE2ELNS1_3repE0EEENS1_47radix_sort_onesweep_sort_config_static_selectorELNS0_4arch9wavefront6targetE1EEEvSI_.num_agpr, 0
	.set _ZN7rocprim17ROCPRIM_400000_NS6detail17trampoline_kernelINS0_14default_configENS1_35radix_sort_onesweep_config_selectorIffEEZZNS1_29radix_sort_onesweep_iterationIS3_Lb0EN6thrust23THRUST_200600_302600_NS6detail15normal_iteratorINS8_10device_ptrIfEEEESD_SD_SD_jNS0_19identity_decomposerENS1_16block_id_wrapperIjLb0EEEEE10hipError_tT1_PNSt15iterator_traitsISI_E10value_typeET2_T3_PNSJ_ISO_E10value_typeET4_T5_PST_SU_PNS1_23onesweep_lookback_stateEbbT6_jjT7_P12ihipStream_tbENKUlT_T0_SI_SN_E_clIPfSD_S15_SD_EEDaS11_S12_SI_SN_EUlS11_E_NS1_11comp_targetILNS1_3genE8ELNS1_11target_archE1030ELNS1_3gpuE2ELNS1_3repE0EEENS1_47radix_sort_onesweep_sort_config_static_selectorELNS0_4arch9wavefront6targetE1EEEvSI_.numbered_sgpr, 0
	.set _ZN7rocprim17ROCPRIM_400000_NS6detail17trampoline_kernelINS0_14default_configENS1_35radix_sort_onesweep_config_selectorIffEEZZNS1_29radix_sort_onesweep_iterationIS3_Lb0EN6thrust23THRUST_200600_302600_NS6detail15normal_iteratorINS8_10device_ptrIfEEEESD_SD_SD_jNS0_19identity_decomposerENS1_16block_id_wrapperIjLb0EEEEE10hipError_tT1_PNSt15iterator_traitsISI_E10value_typeET2_T3_PNSJ_ISO_E10value_typeET4_T5_PST_SU_PNS1_23onesweep_lookback_stateEbbT6_jjT7_P12ihipStream_tbENKUlT_T0_SI_SN_E_clIPfSD_S15_SD_EEDaS11_S12_SI_SN_EUlS11_E_NS1_11comp_targetILNS1_3genE8ELNS1_11target_archE1030ELNS1_3gpuE2ELNS1_3repE0EEENS1_47radix_sort_onesweep_sort_config_static_selectorELNS0_4arch9wavefront6targetE1EEEvSI_.num_named_barrier, 0
	.set _ZN7rocprim17ROCPRIM_400000_NS6detail17trampoline_kernelINS0_14default_configENS1_35radix_sort_onesweep_config_selectorIffEEZZNS1_29radix_sort_onesweep_iterationIS3_Lb0EN6thrust23THRUST_200600_302600_NS6detail15normal_iteratorINS8_10device_ptrIfEEEESD_SD_SD_jNS0_19identity_decomposerENS1_16block_id_wrapperIjLb0EEEEE10hipError_tT1_PNSt15iterator_traitsISI_E10value_typeET2_T3_PNSJ_ISO_E10value_typeET4_T5_PST_SU_PNS1_23onesweep_lookback_stateEbbT6_jjT7_P12ihipStream_tbENKUlT_T0_SI_SN_E_clIPfSD_S15_SD_EEDaS11_S12_SI_SN_EUlS11_E_NS1_11comp_targetILNS1_3genE8ELNS1_11target_archE1030ELNS1_3gpuE2ELNS1_3repE0EEENS1_47radix_sort_onesweep_sort_config_static_selectorELNS0_4arch9wavefront6targetE1EEEvSI_.private_seg_size, 0
	.set _ZN7rocprim17ROCPRIM_400000_NS6detail17trampoline_kernelINS0_14default_configENS1_35radix_sort_onesweep_config_selectorIffEEZZNS1_29radix_sort_onesweep_iterationIS3_Lb0EN6thrust23THRUST_200600_302600_NS6detail15normal_iteratorINS8_10device_ptrIfEEEESD_SD_SD_jNS0_19identity_decomposerENS1_16block_id_wrapperIjLb0EEEEE10hipError_tT1_PNSt15iterator_traitsISI_E10value_typeET2_T3_PNSJ_ISO_E10value_typeET4_T5_PST_SU_PNS1_23onesweep_lookback_stateEbbT6_jjT7_P12ihipStream_tbENKUlT_T0_SI_SN_E_clIPfSD_S15_SD_EEDaS11_S12_SI_SN_EUlS11_E_NS1_11comp_targetILNS1_3genE8ELNS1_11target_archE1030ELNS1_3gpuE2ELNS1_3repE0EEENS1_47radix_sort_onesweep_sort_config_static_selectorELNS0_4arch9wavefront6targetE1EEEvSI_.uses_vcc, 0
	.set _ZN7rocprim17ROCPRIM_400000_NS6detail17trampoline_kernelINS0_14default_configENS1_35radix_sort_onesweep_config_selectorIffEEZZNS1_29radix_sort_onesweep_iterationIS3_Lb0EN6thrust23THRUST_200600_302600_NS6detail15normal_iteratorINS8_10device_ptrIfEEEESD_SD_SD_jNS0_19identity_decomposerENS1_16block_id_wrapperIjLb0EEEEE10hipError_tT1_PNSt15iterator_traitsISI_E10value_typeET2_T3_PNSJ_ISO_E10value_typeET4_T5_PST_SU_PNS1_23onesweep_lookback_stateEbbT6_jjT7_P12ihipStream_tbENKUlT_T0_SI_SN_E_clIPfSD_S15_SD_EEDaS11_S12_SI_SN_EUlS11_E_NS1_11comp_targetILNS1_3genE8ELNS1_11target_archE1030ELNS1_3gpuE2ELNS1_3repE0EEENS1_47radix_sort_onesweep_sort_config_static_selectorELNS0_4arch9wavefront6targetE1EEEvSI_.uses_flat_scratch, 0
	.set _ZN7rocprim17ROCPRIM_400000_NS6detail17trampoline_kernelINS0_14default_configENS1_35radix_sort_onesweep_config_selectorIffEEZZNS1_29radix_sort_onesweep_iterationIS3_Lb0EN6thrust23THRUST_200600_302600_NS6detail15normal_iteratorINS8_10device_ptrIfEEEESD_SD_SD_jNS0_19identity_decomposerENS1_16block_id_wrapperIjLb0EEEEE10hipError_tT1_PNSt15iterator_traitsISI_E10value_typeET2_T3_PNSJ_ISO_E10value_typeET4_T5_PST_SU_PNS1_23onesweep_lookback_stateEbbT6_jjT7_P12ihipStream_tbENKUlT_T0_SI_SN_E_clIPfSD_S15_SD_EEDaS11_S12_SI_SN_EUlS11_E_NS1_11comp_targetILNS1_3genE8ELNS1_11target_archE1030ELNS1_3gpuE2ELNS1_3repE0EEENS1_47radix_sort_onesweep_sort_config_static_selectorELNS0_4arch9wavefront6targetE1EEEvSI_.has_dyn_sized_stack, 0
	.set _ZN7rocprim17ROCPRIM_400000_NS6detail17trampoline_kernelINS0_14default_configENS1_35radix_sort_onesweep_config_selectorIffEEZZNS1_29radix_sort_onesweep_iterationIS3_Lb0EN6thrust23THRUST_200600_302600_NS6detail15normal_iteratorINS8_10device_ptrIfEEEESD_SD_SD_jNS0_19identity_decomposerENS1_16block_id_wrapperIjLb0EEEEE10hipError_tT1_PNSt15iterator_traitsISI_E10value_typeET2_T3_PNSJ_ISO_E10value_typeET4_T5_PST_SU_PNS1_23onesweep_lookback_stateEbbT6_jjT7_P12ihipStream_tbENKUlT_T0_SI_SN_E_clIPfSD_S15_SD_EEDaS11_S12_SI_SN_EUlS11_E_NS1_11comp_targetILNS1_3genE8ELNS1_11target_archE1030ELNS1_3gpuE2ELNS1_3repE0EEENS1_47radix_sort_onesweep_sort_config_static_selectorELNS0_4arch9wavefront6targetE1EEEvSI_.has_recursion, 0
	.set _ZN7rocprim17ROCPRIM_400000_NS6detail17trampoline_kernelINS0_14default_configENS1_35radix_sort_onesweep_config_selectorIffEEZZNS1_29radix_sort_onesweep_iterationIS3_Lb0EN6thrust23THRUST_200600_302600_NS6detail15normal_iteratorINS8_10device_ptrIfEEEESD_SD_SD_jNS0_19identity_decomposerENS1_16block_id_wrapperIjLb0EEEEE10hipError_tT1_PNSt15iterator_traitsISI_E10value_typeET2_T3_PNSJ_ISO_E10value_typeET4_T5_PST_SU_PNS1_23onesweep_lookback_stateEbbT6_jjT7_P12ihipStream_tbENKUlT_T0_SI_SN_E_clIPfSD_S15_SD_EEDaS11_S12_SI_SN_EUlS11_E_NS1_11comp_targetILNS1_3genE8ELNS1_11target_archE1030ELNS1_3gpuE2ELNS1_3repE0EEENS1_47radix_sort_onesweep_sort_config_static_selectorELNS0_4arch9wavefront6targetE1EEEvSI_.has_indirect_call, 0
	.section	.AMDGPU.csdata,"",@progbits
; Kernel info:
; codeLenInByte = 0
; TotalNumSgprs: 6
; NumVgprs: 0
; NumAgprs: 0
; TotalNumVgprs: 0
; ScratchSize: 0
; MemoryBound: 0
; FloatMode: 240
; IeeeMode: 1
; LDSByteSize: 0 bytes/workgroup (compile time only)
; SGPRBlocks: 0
; VGPRBlocks: 0
; NumSGPRsForWavesPerEU: 6
; NumVGPRsForWavesPerEU: 1
; AccumOffset: 4
; Occupancy: 8
; WaveLimiterHint : 0
; COMPUTE_PGM_RSRC2:SCRATCH_EN: 0
; COMPUTE_PGM_RSRC2:USER_SGPR: 2
; COMPUTE_PGM_RSRC2:TRAP_HANDLER: 0
; COMPUTE_PGM_RSRC2:TGID_X_EN: 1
; COMPUTE_PGM_RSRC2:TGID_Y_EN: 0
; COMPUTE_PGM_RSRC2:TGID_Z_EN: 0
; COMPUTE_PGM_RSRC2:TIDIG_COMP_CNT: 0
; COMPUTE_PGM_RSRC3_GFX90A:ACCUM_OFFSET: 0
; COMPUTE_PGM_RSRC3_GFX90A:TG_SPLIT: 0
	.section	.text._ZN7rocprim17ROCPRIM_400000_NS6detail17trampoline_kernelINS0_14default_configENS1_22reduce_config_selectorIN6thrust23THRUST_200600_302600_NS5tupleIblNS6_9null_typeES8_S8_S8_S8_S8_S8_S8_EEEEZNS1_11reduce_implILb1ES3_NS6_12zip_iteratorINS7_INS6_11hip_rocprim26transform_input_iterator_tIbNSD_35transform_pair_of_input_iterators_tIbNS6_6detail15normal_iteratorINS6_10device_ptrIKfEEEESL_NS6_8equal_toIfEEEENSG_9not_fun_tINSD_8identityEEEEENSD_19counting_iterator_tIlEES8_S8_S8_S8_S8_S8_S8_S8_EEEEPS9_S9_NSD_9__find_if7functorIS9_EEEE10hipError_tPvRmT1_T2_T3_mT4_P12ihipStream_tbEUlT_E0_NS1_11comp_targetILNS1_3genE0ELNS1_11target_archE4294967295ELNS1_3gpuE0ELNS1_3repE0EEENS1_30default_config_static_selectorELNS0_4arch9wavefront6targetE1EEEvS14_,"axG",@progbits,_ZN7rocprim17ROCPRIM_400000_NS6detail17trampoline_kernelINS0_14default_configENS1_22reduce_config_selectorIN6thrust23THRUST_200600_302600_NS5tupleIblNS6_9null_typeES8_S8_S8_S8_S8_S8_S8_EEEEZNS1_11reduce_implILb1ES3_NS6_12zip_iteratorINS7_INS6_11hip_rocprim26transform_input_iterator_tIbNSD_35transform_pair_of_input_iterators_tIbNS6_6detail15normal_iteratorINS6_10device_ptrIKfEEEESL_NS6_8equal_toIfEEEENSG_9not_fun_tINSD_8identityEEEEENSD_19counting_iterator_tIlEES8_S8_S8_S8_S8_S8_S8_S8_EEEEPS9_S9_NSD_9__find_if7functorIS9_EEEE10hipError_tPvRmT1_T2_T3_mT4_P12ihipStream_tbEUlT_E0_NS1_11comp_targetILNS1_3genE0ELNS1_11target_archE4294967295ELNS1_3gpuE0ELNS1_3repE0EEENS1_30default_config_static_selectorELNS0_4arch9wavefront6targetE1EEEvS14_,comdat
	.protected	_ZN7rocprim17ROCPRIM_400000_NS6detail17trampoline_kernelINS0_14default_configENS1_22reduce_config_selectorIN6thrust23THRUST_200600_302600_NS5tupleIblNS6_9null_typeES8_S8_S8_S8_S8_S8_S8_EEEEZNS1_11reduce_implILb1ES3_NS6_12zip_iteratorINS7_INS6_11hip_rocprim26transform_input_iterator_tIbNSD_35transform_pair_of_input_iterators_tIbNS6_6detail15normal_iteratorINS6_10device_ptrIKfEEEESL_NS6_8equal_toIfEEEENSG_9not_fun_tINSD_8identityEEEEENSD_19counting_iterator_tIlEES8_S8_S8_S8_S8_S8_S8_S8_EEEEPS9_S9_NSD_9__find_if7functorIS9_EEEE10hipError_tPvRmT1_T2_T3_mT4_P12ihipStream_tbEUlT_E0_NS1_11comp_targetILNS1_3genE0ELNS1_11target_archE4294967295ELNS1_3gpuE0ELNS1_3repE0EEENS1_30default_config_static_selectorELNS0_4arch9wavefront6targetE1EEEvS14_ ; -- Begin function _ZN7rocprim17ROCPRIM_400000_NS6detail17trampoline_kernelINS0_14default_configENS1_22reduce_config_selectorIN6thrust23THRUST_200600_302600_NS5tupleIblNS6_9null_typeES8_S8_S8_S8_S8_S8_S8_EEEEZNS1_11reduce_implILb1ES3_NS6_12zip_iteratorINS7_INS6_11hip_rocprim26transform_input_iterator_tIbNSD_35transform_pair_of_input_iterators_tIbNS6_6detail15normal_iteratorINS6_10device_ptrIKfEEEESL_NS6_8equal_toIfEEEENSG_9not_fun_tINSD_8identityEEEEENSD_19counting_iterator_tIlEES8_S8_S8_S8_S8_S8_S8_S8_EEEEPS9_S9_NSD_9__find_if7functorIS9_EEEE10hipError_tPvRmT1_T2_T3_mT4_P12ihipStream_tbEUlT_E0_NS1_11comp_targetILNS1_3genE0ELNS1_11target_archE4294967295ELNS1_3gpuE0ELNS1_3repE0EEENS1_30default_config_static_selectorELNS0_4arch9wavefront6targetE1EEEvS14_
	.globl	_ZN7rocprim17ROCPRIM_400000_NS6detail17trampoline_kernelINS0_14default_configENS1_22reduce_config_selectorIN6thrust23THRUST_200600_302600_NS5tupleIblNS6_9null_typeES8_S8_S8_S8_S8_S8_S8_EEEEZNS1_11reduce_implILb1ES3_NS6_12zip_iteratorINS7_INS6_11hip_rocprim26transform_input_iterator_tIbNSD_35transform_pair_of_input_iterators_tIbNS6_6detail15normal_iteratorINS6_10device_ptrIKfEEEESL_NS6_8equal_toIfEEEENSG_9not_fun_tINSD_8identityEEEEENSD_19counting_iterator_tIlEES8_S8_S8_S8_S8_S8_S8_S8_EEEEPS9_S9_NSD_9__find_if7functorIS9_EEEE10hipError_tPvRmT1_T2_T3_mT4_P12ihipStream_tbEUlT_E0_NS1_11comp_targetILNS1_3genE0ELNS1_11target_archE4294967295ELNS1_3gpuE0ELNS1_3repE0EEENS1_30default_config_static_selectorELNS0_4arch9wavefront6targetE1EEEvS14_
	.p2align	8
	.type	_ZN7rocprim17ROCPRIM_400000_NS6detail17trampoline_kernelINS0_14default_configENS1_22reduce_config_selectorIN6thrust23THRUST_200600_302600_NS5tupleIblNS6_9null_typeES8_S8_S8_S8_S8_S8_S8_EEEEZNS1_11reduce_implILb1ES3_NS6_12zip_iteratorINS7_INS6_11hip_rocprim26transform_input_iterator_tIbNSD_35transform_pair_of_input_iterators_tIbNS6_6detail15normal_iteratorINS6_10device_ptrIKfEEEESL_NS6_8equal_toIfEEEENSG_9not_fun_tINSD_8identityEEEEENSD_19counting_iterator_tIlEES8_S8_S8_S8_S8_S8_S8_S8_EEEEPS9_S9_NSD_9__find_if7functorIS9_EEEE10hipError_tPvRmT1_T2_T3_mT4_P12ihipStream_tbEUlT_E0_NS1_11comp_targetILNS1_3genE0ELNS1_11target_archE4294967295ELNS1_3gpuE0ELNS1_3repE0EEENS1_30default_config_static_selectorELNS0_4arch9wavefront6targetE1EEEvS14_,@function
_ZN7rocprim17ROCPRIM_400000_NS6detail17trampoline_kernelINS0_14default_configENS1_22reduce_config_selectorIN6thrust23THRUST_200600_302600_NS5tupleIblNS6_9null_typeES8_S8_S8_S8_S8_S8_S8_EEEEZNS1_11reduce_implILb1ES3_NS6_12zip_iteratorINS7_INS6_11hip_rocprim26transform_input_iterator_tIbNSD_35transform_pair_of_input_iterators_tIbNS6_6detail15normal_iteratorINS6_10device_ptrIKfEEEESL_NS6_8equal_toIfEEEENSG_9not_fun_tINSD_8identityEEEEENSD_19counting_iterator_tIlEES8_S8_S8_S8_S8_S8_S8_S8_EEEEPS9_S9_NSD_9__find_if7functorIS9_EEEE10hipError_tPvRmT1_T2_T3_mT4_P12ihipStream_tbEUlT_E0_NS1_11comp_targetILNS1_3genE0ELNS1_11target_archE4294967295ELNS1_3gpuE0ELNS1_3repE0EEENS1_30default_config_static_selectorELNS0_4arch9wavefront6targetE1EEEvS14_: ; @_ZN7rocprim17ROCPRIM_400000_NS6detail17trampoline_kernelINS0_14default_configENS1_22reduce_config_selectorIN6thrust23THRUST_200600_302600_NS5tupleIblNS6_9null_typeES8_S8_S8_S8_S8_S8_S8_EEEEZNS1_11reduce_implILb1ES3_NS6_12zip_iteratorINS7_INS6_11hip_rocprim26transform_input_iterator_tIbNSD_35transform_pair_of_input_iterators_tIbNS6_6detail15normal_iteratorINS6_10device_ptrIKfEEEESL_NS6_8equal_toIfEEEENSG_9not_fun_tINSD_8identityEEEEENSD_19counting_iterator_tIlEES8_S8_S8_S8_S8_S8_S8_S8_EEEEPS9_S9_NSD_9__find_if7functorIS9_EEEE10hipError_tPvRmT1_T2_T3_mT4_P12ihipStream_tbEUlT_E0_NS1_11comp_targetILNS1_3genE0ELNS1_11target_archE4294967295ELNS1_3gpuE0ELNS1_3repE0EEENS1_30default_config_static_selectorELNS0_4arch9wavefront6targetE1EEEvS14_
; %bb.0:
	s_load_dwordx8 s[8:15], s[0:1], 0x20
	s_load_dwordx4 s[4:7], s[0:1], 0x0
	s_load_dwordx4 s[16:19], s[0:1], 0x40
	s_mov_b32 s27, 0
	s_mov_b32 s3, s27
	s_waitcnt lgkmcnt(0)
	s_lshl_b64 s[20:21], s[10:11], 2
	s_add_u32 s22, s4, s20
	s_addc_u32 s23, s5, s21
	s_add_u32 s24, s6, s20
	s_addc_u32 s25, s7, s21
	s_lshl_b32 s26, s2, 8
	s_lshr_b64 s[4:5], s[12:13], 8
	s_lshl_b64 s[6:7], s[26:27], 2
	s_add_u32 s20, s22, s6
	s_addc_u32 s21, s23, s7
	s_add_u32 s22, s24, s6
	s_addc_u32 s23, s25, s7
	;; [unrolled: 2-line block ×4, first 2 shown]
	s_cmp_lg_u64 s[4:5], s[2:3]
	v_lshlrev_b32_e32 v10, 2, v0
	v_mbcnt_lo_u32_b32 v9, -1, 0
	s_cbranch_scc0 .LBB359_10
; %bb.1:
	global_load_dword v5, v10, s[22:23]
	global_load_dword v8, v10, s[22:23] offset:512
	global_load_dword v11, v10, s[20:21] offset:512
	global_load_dword v12, v10, s[20:21]
	v_mov_b32_e32 v1, 0
	s_mov_b64 s[4:5], 0x80
	v_lshl_add_u64 v[2:3], s[24:25], 0, v[0:1]
	v_lshl_add_u64 v[6:7], v[2:3], 0, s[4:5]
	v_mbcnt_hi_u32_b32 v4, -1, v9
	v_lshlrev_b32_e32 v1, 2, v4
	v_or_b32_e32 v13, 0xfc, v1
	s_waitcnt vmcnt(1)
	v_cmp_neq_f32_e32 vcc, v11, v8
	s_waitcnt vmcnt(0)
	v_cmp_neq_f32_e64 s[4:5], v12, v5
	s_nop 1
	v_cndmask_b32_e64 v3, v7, v3, s[4:5]
	v_cndmask_b32_e64 v2, v6, v2, s[4:5]
	s_or_b64 s[4:5], s[4:5], vcc
	v_cndmask_b32_e64 v5, 0, 1, s[4:5]
	v_mov_b32_dpp v7, v3 quad_perm:[1,0,3,2] row_mask:0xf bank_mask:0xf bound_ctrl:1
	v_mov_b32_dpp v6, v2 quad_perm:[1,0,3,2] row_mask:0xf bank_mask:0xf bound_ctrl:1
	;; [unrolled: 1-line block ×3, first 2 shown]
	v_cmp_lt_i64_e32 vcc, v[2:3], v[6:7]
	v_and_b32_e32 v8, 1, v8
	s_and_b64 vcc, s[4:5], vcc
	v_cndmask_b32_e32 v6, v6, v2, vcc
	v_cndmask_b32_e32 v7, v7, v3, vcc
	v_cmp_eq_u32_e32 vcc, 1, v8
	s_nop 1
	v_cndmask_b32_e64 v5, v5, 1, vcc
	v_cndmask_b32_e32 v3, v3, v7, vcc
	v_cndmask_b32_e32 v2, v2, v6, vcc
	v_mov_b32_dpp v8, v5 quad_perm:[2,3,0,1] row_mask:0xf bank_mask:0xf bound_ctrl:1
	v_and_b32_e32 v8, 1, v8
	v_mov_b32_dpp v6, v2 quad_perm:[2,3,0,1] row_mask:0xf bank_mask:0xf bound_ctrl:1
	v_mov_b32_dpp v7, v3 quad_perm:[2,3,0,1] row_mask:0xf bank_mask:0xf bound_ctrl:1
	v_and_b32_e32 v11, 1, v5
	v_cmp_eq_u32_e64 s[6:7], 1, v8
	v_cmp_eq_u32_e32 vcc, 1, v11
	v_cmp_lt_i64_e64 s[4:5], v[2:3], v[6:7]
	v_cndmask_b32_e64 v5, v5, 1, s[6:7]
	s_and_b64 vcc, vcc, s[4:5]
	v_cndmask_b32_e32 v6, v6, v2, vcc
	v_mov_b32_dpp v8, v5 row_ror:4 row_mask:0xf bank_mask:0xf bound_ctrl:1
	v_cndmask_b32_e32 v7, v7, v3, vcc
	v_and_b32_e32 v8, 1, v8
	v_cndmask_b32_e64 v2, v2, v6, s[6:7]
	v_cndmask_b32_e64 v3, v3, v7, s[6:7]
	v_cmp_eq_u32_e64 s[4:5], 1, v8
	v_and_b32_e32 v11, 1, v5
	v_mov_b32_dpp v6, v2 row_ror:4 row_mask:0xf bank_mask:0xf bound_ctrl:1
	v_mov_b32_dpp v7, v3 row_ror:4 row_mask:0xf bank_mask:0xf bound_ctrl:1
	v_cndmask_b32_e64 v5, v5, 1, s[4:5]
	v_cmp_eq_u32_e32 vcc, 1, v11
	v_cmp_lt_i64_e64 s[6:7], v[2:3], v[6:7]
	v_mov_b32_dpp v8, v5 row_ror:8 row_mask:0xf bank_mask:0xf bound_ctrl:1
	s_and_b64 vcc, vcc, s[6:7]
	v_and_b32_e32 v8, 1, v8
	v_cndmask_b32_e32 v6, v6, v2, vcc
	v_cndmask_b32_e32 v7, v7, v3, vcc
	v_cmp_eq_u32_e32 vcc, 1, v8
	v_and_b32_e32 v11, 1, v5
	v_cndmask_b32_e64 v2, v2, v6, s[4:5]
	v_cndmask_b32_e64 v5, v5, 1, vcc
	v_cndmask_b32_e64 v3, v3, v7, s[4:5]
	v_mov_b32_dpp v6, v2 row_ror:8 row_mask:0xf bank_mask:0xf bound_ctrl:1
	v_mov_b32_dpp v8, v5 row_bcast:15 row_mask:0xf bank_mask:0xf bound_ctrl:1
	v_mov_b32_dpp v7, v3 row_ror:8 row_mask:0xf bank_mask:0xf bound_ctrl:1
	v_cmp_eq_u32_e64 s[6:7], 1, v11
	v_and_b32_e32 v8, 1, v8
	v_cmp_lt_i64_e64 s[8:9], v[2:3], v[6:7]
	v_cmp_eq_u32_e64 s[10:11], 1, v8
	s_and_b64 s[6:7], s[6:7], s[8:9]
	v_and_b32_e32 v11, 1, v5
	v_cndmask_b32_e64 v5, v5, 1, s[10:11]
	v_cndmask_b32_e64 v6, v6, v2, s[6:7]
	;; [unrolled: 1-line block ×3, first 2 shown]
	v_mov_b32_dpp v8, v5 row_bcast:31 row_mask:0xf bank_mask:0xf bound_ctrl:1
	v_cndmask_b32_e32 v2, v2, v6, vcc
	v_cndmask_b32_e32 v3, v3, v7, vcc
	v_and_b32_e32 v8, 1, v8
	v_mov_b32_dpp v6, v2 row_bcast:15 row_mask:0xf bank_mask:0xf bound_ctrl:1
	v_mov_b32_dpp v7, v3 row_bcast:15 row_mask:0xf bank_mask:0xf bound_ctrl:1
	v_cmp_eq_u32_e64 s[4:5], 1, v11
	v_cmp_eq_u32_e32 vcc, 1, v8
	v_cmp_lt_i64_e64 s[8:9], v[2:3], v[6:7]
	v_and_b32_e32 v11, 1, v5
	v_cndmask_b32_e64 v5, v5, 1, vcc
	s_and_b64 s[4:5], s[4:5], s[8:9]
	ds_bpermute_b32 v8, v13, v5
	v_cndmask_b32_e64 v5, v6, v2, s[4:5]
	v_cndmask_b32_e64 v6, v7, v3, s[4:5]
	;; [unrolled: 1-line block ×4, first 2 shown]
	v_cmp_eq_u32_e64 s[6:7], 1, v11
	v_mov_b32_dpp v6, v2 row_bcast:31 row_mask:0xf bank_mask:0xf bound_ctrl:1
	v_mov_b32_dpp v7, v3 row_bcast:31 row_mask:0xf bank_mask:0xf bound_ctrl:1
	v_cmp_lt_i64_e64 s[4:5], v[2:3], v[6:7]
	s_and_b64 s[4:5], s[6:7], s[4:5]
	s_nop 0
	v_cndmask_b32_e64 v5, v6, v2, s[4:5]
	v_cndmask_b32_e64 v6, v7, v3, s[4:5]
	v_cndmask_b32_e32 v2, v2, v5, vcc
	v_cndmask_b32_e32 v3, v3, v6, vcc
	ds_bpermute_b32 v2, v13, v2
	ds_bpermute_b32 v3, v13, v3
	v_cmp_eq_u32_e32 vcc, 0, v4
	s_and_saveexec_b64 s[4:5], vcc
	s_cbranch_execz .LBB359_3
; %bb.2:
	v_lshrrev_b32_e32 v5, 2, v0
	v_and_b32_e32 v5, 16, v5
	s_waitcnt lgkmcnt(2)
	ds_write_b8 v5, v8
	s_waitcnt lgkmcnt(1)
	ds_write_b64 v5, v[2:3] offset:8
.LBB359_3:
	s_or_b64 exec, exec, s[4:5]
	v_cmp_gt_u32_e32 vcc, 64, v0
	s_waitcnt lgkmcnt(0)
	s_barrier
	s_and_saveexec_b64 s[4:5], vcc
	s_cbranch_execz .LBB359_9
; %bb.4:
	v_and_b32_e32 v2, 1, v4
	v_lshlrev_b32_e32 v2, 4, v2
	ds_read_u8 v11, v2
	ds_read_b64 v[4:5], v2 offset:8
	v_or_b32_e32 v3, 4, v1
	s_waitcnt lgkmcnt(1)
	v_and_b32_e32 v2, 0xff, v11
	ds_bpermute_b32 v1, v3, v2
	s_waitcnt lgkmcnt(1)
	ds_bpermute_b32 v6, v3, v4
	ds_bpermute_b32 v7, v3, v5
	s_waitcnt lgkmcnt(2)
	v_and_b32_e32 v2, v11, v1
	v_and_b32_e32 v2, 1, v2
	v_cmp_eq_u32_e32 vcc, 1, v2
                                        ; implicit-def: $vgpr2_vgpr3
	s_and_saveexec_b64 s[6:7], vcc
	s_xor_b64 s[6:7], exec, s[6:7]
	s_cbranch_execz .LBB359_6
; %bb.5:
	s_waitcnt lgkmcnt(0)
	v_cmp_lt_i64_e32 vcc, v[6:7], v[4:5]
                                        ; implicit-def: $vgpr11
                                        ; implicit-def: $vgpr1
	s_nop 1
	v_cndmask_b32_e32 v3, v5, v7, vcc
	v_cndmask_b32_e32 v2, v4, v6, vcc
                                        ; implicit-def: $vgpr6_vgpr7
                                        ; implicit-def: $vgpr4_vgpr5
.LBB359_6:
	s_or_saveexec_b64 s[6:7], s[6:7]
	v_mov_b32_e32 v8, 1
	s_xor_b64 exec, exec, s[6:7]
	s_cbranch_execz .LBB359_8
; %bb.7:
	v_and_b32_e32 v2, 1, v11
	v_cmp_eq_u32_e32 vcc, 1, v2
	s_waitcnt lgkmcnt(0)
	s_nop 0
	v_cndmask_b32_e32 v3, v7, v5, vcc
	v_cndmask_b32_e32 v2, v6, v4, vcc
	v_cndmask_b32_e64 v8, v1, 1, vcc
.LBB359_8:
	s_or_b64 exec, exec, s[6:7]
.LBB359_9:
	s_or_b64 exec, exec, s[4:5]
	s_load_dword s10, s[0:1], 0x50
	s_load_dwordx2 s[8:9], s[0:1], 0x58
	s_branch .LBB359_62
.LBB359_10:
                                        ; implicit-def: $vgpr2_vgpr3
                                        ; implicit-def: $vgpr8
	s_load_dword s10, s[0:1], 0x50
	s_load_dwordx2 s[8:9], s[0:1], 0x58
	s_cbranch_execz .LBB359_62
; %bb.11:
	s_sub_i32 s11, s12, s26
	v_cmp_gt_u32_e32 vcc, s11, v0
	s_waitcnt lgkmcnt(0)
	v_mov_b32_e32 v7, 0
	v_mov_b64_e32 v[4:5], 0
	v_mov_b64_e32 v[2:3], 0
	v_mov_b32_e32 v1, 0
	s_and_saveexec_b64 s[0:1], vcc
	s_cbranch_execz .LBB359_13
; %bb.12:
	global_load_dword v6, v10, s[20:21]
	global_load_dword v8, v10, s[22:23]
	v_mov_b32_e32 v1, 0
	v_lshl_add_u64 v[2:3], s[24:25], 0, v[0:1]
	s_waitcnt vmcnt(0)
	v_cmp_neq_f32_e32 vcc, v6, v8
	s_nop 1
	v_cndmask_b32_e64 v1, 0, 1, vcc
.LBB359_13:
	s_or_b64 exec, exec, s[0:1]
	v_or_b32_e32 v6, 0x80, v0
	v_cmp_gt_u32_e32 vcc, s11, v6
	s_and_saveexec_b64 s[4:5], vcc
	s_cbranch_execz .LBB359_15
; %bb.14:
	global_load_dword v8, v10, s[20:21] offset:512
	global_load_dword v11, v10, s[22:23] offset:512
	v_mov_b32_e32 v7, 0
	v_lshl_add_u64 v[4:5], s[24:25], 0, v[6:7]
	s_waitcnt vmcnt(0)
	v_cmp_neq_f32_e64 s[0:1], v8, v11
	s_nop 1
	v_cndmask_b32_e64 v7, 0, 1, s[0:1]
.LBB359_15:
	s_or_b64 exec, exec, s[4:5]
	v_and_b32_e32 v8, 0xffff, v7
	v_and_b32_e32 v7, 1, v7
	;; [unrolled: 1-line block ×3, first 2 shown]
	v_cmp_eq_u32_e64 s[0:1], 1, v7
	v_and_b32_e32 v1, 1, v1
	v_cmp_lt_i64_e64 s[4:5], v[4:5], v[2:3]
	v_cmp_eq_u32_e64 s[6:7], 1, v1
	s_and_b64 s[0:1], s[0:1], s[4:5]
	v_cndmask_b32_e64 v7, v3, v5, s[0:1]
	v_cndmask_b32_e64 v1, v8, 1, s[6:7]
	;; [unrolled: 1-line block ×4, first 2 shown]
	v_cndmask_b32_e32 v8, v6, v1, vcc
	v_mbcnt_hi_u32_b32 v1, -1, v9
	v_cndmask_b32_e64 v5, v5, v7, s[6:7]
	v_and_b32_e32 v6, 63, v1
	v_cndmask_b32_e32 v3, v3, v5, vcc
	v_cndmask_b32_e32 v2, v2, v4, vcc
	v_cmp_ne_u32_e32 vcc, 63, v6
	s_min_u32 s6, s11, 0x80
	v_and_b32_e32 v7, 64, v0
	v_addc_co_u32_e32 v4, vcc, 0, v1, vcc
	v_lshlrev_b32_e32 v5, 2, v4
	ds_bpermute_b32 v9, v5, v8
	ds_bpermute_b32 v4, v5, v2
	;; [unrolled: 1-line block ×3, first 2 shown]
	v_sub_u32_e64 v7, s6, v7 clamp
	v_add_u32_e32 v10, 1, v6
	v_cmp_lt_u32_e32 vcc, v10, v7
	s_and_saveexec_b64 s[0:1], vcc
	s_cbranch_execz .LBB359_21
; %bb.16:
	s_waitcnt lgkmcnt(2)
	v_and_b32_e32 v10, v9, v8
	v_cmp_ne_u32_e32 vcc, 0, v10
	s_and_saveexec_b64 s[4:5], vcc
	s_xor_b64 s[4:5], exec, s[4:5]
	s_cbranch_execz .LBB359_18
; %bb.17:
	s_waitcnt lgkmcnt(0)
	v_cmp_lt_i64_e32 vcc, v[4:5], v[2:3]
                                        ; implicit-def: $vgpr8
                                        ; implicit-def: $vgpr9
	s_nop 1
	v_cndmask_b32_e32 v3, v3, v5, vcc
	v_cndmask_b32_e32 v2, v2, v4, vcc
                                        ; implicit-def: $vgpr4_vgpr5
.LBB359_18:
	s_or_saveexec_b64 s[4:5], s[4:5]
	v_mov_b32_e32 v10, 1
	s_xor_b64 exec, exec, s[4:5]
	s_cbranch_execz .LBB359_20
; %bb.19:
	v_and_b32_e32 v8, 1, v8
	v_cmp_eq_u32_e32 vcc, 1, v8
	s_waitcnt lgkmcnt(1)
	s_nop 0
	v_cndmask_b32_e32 v2, v4, v2, vcc
	v_and_b32_e32 v4, 0xff, v9
	s_waitcnt lgkmcnt(0)
	v_cndmask_b32_e32 v3, v5, v3, vcc
	v_cndmask_b32_e64 v10, v4, 1, vcc
.LBB359_20:
	s_or_b64 exec, exec, s[4:5]
	v_mov_b32_e32 v8, v10
.LBB359_21:
	s_or_b64 exec, exec, s[0:1]
	v_cmp_gt_u32_e32 vcc, 62, v6
	v_add_u32_e32 v10, 2, v6
	s_waitcnt lgkmcnt(1)
	v_cndmask_b32_e64 v4, 0, 2, vcc
	s_waitcnt lgkmcnt(0)
	v_add_lshl_u32 v5, v4, v1, 2
	ds_bpermute_b32 v9, v5, v8
	ds_bpermute_b32 v4, v5, v2
	ds_bpermute_b32 v5, v5, v3
	v_cmp_lt_u32_e32 vcc, v10, v7
	s_and_saveexec_b64 s[0:1], vcc
	s_cbranch_execz .LBB359_27
; %bb.22:
	s_waitcnt lgkmcnt(2)
	v_and_b32_e32 v10, v8, v9
	v_and_b32_e32 v10, 1, v10
	v_cmp_eq_u32_e32 vcc, 1, v10
	s_and_saveexec_b64 s[4:5], vcc
	s_xor_b64 s[4:5], exec, s[4:5]
	s_cbranch_execz .LBB359_24
; %bb.23:
	s_waitcnt lgkmcnt(0)
	v_cmp_lt_i64_e32 vcc, v[4:5], v[2:3]
                                        ; implicit-def: $vgpr8
                                        ; implicit-def: $vgpr9
	s_nop 1
	v_cndmask_b32_e32 v3, v3, v5, vcc
	v_cndmask_b32_e32 v2, v2, v4, vcc
                                        ; implicit-def: $vgpr4_vgpr5
.LBB359_24:
	s_or_saveexec_b64 s[4:5], s[4:5]
	v_mov_b32_e32 v10, 1
	s_xor_b64 exec, exec, s[4:5]
	s_cbranch_execz .LBB359_26
; %bb.25:
	v_and_b32_e32 v8, 1, v8
	v_cmp_eq_u32_e32 vcc, 1, v8
	s_waitcnt lgkmcnt(1)
	s_nop 0
	v_cndmask_b32_e32 v2, v4, v2, vcc
	v_and_b32_e32 v4, 0xff, v9
	s_waitcnt lgkmcnt(0)
	v_cndmask_b32_e32 v3, v5, v3, vcc
	v_cndmask_b32_e64 v10, v4, 1, vcc
.LBB359_26:
	s_or_b64 exec, exec, s[4:5]
	v_mov_b32_e32 v8, v10
.LBB359_27:
	s_or_b64 exec, exec, s[0:1]
	v_cmp_gt_u32_e32 vcc, 60, v6
	v_add_u32_e32 v10, 4, v6
	s_waitcnt lgkmcnt(1)
	v_cndmask_b32_e64 v4, 0, 4, vcc
	s_waitcnt lgkmcnt(0)
	v_add_lshl_u32 v5, v4, v1, 2
	ds_bpermute_b32 v9, v5, v8
	ds_bpermute_b32 v4, v5, v2
	ds_bpermute_b32 v5, v5, v3
	v_cmp_lt_u32_e32 vcc, v10, v7
	s_and_saveexec_b64 s[0:1], vcc
	s_cbranch_execz .LBB359_33
; %bb.28:
	s_waitcnt lgkmcnt(2)
	v_and_b32_e32 v10, v8, v9
	v_and_b32_e32 v10, 1, v10
	v_cmp_eq_u32_e32 vcc, 1, v10
	s_and_saveexec_b64 s[4:5], vcc
	s_xor_b64 s[4:5], exec, s[4:5]
	s_cbranch_execz .LBB359_30
; %bb.29:
	s_waitcnt lgkmcnt(0)
	v_cmp_lt_i64_e32 vcc, v[4:5], v[2:3]
                                        ; implicit-def: $vgpr8
                                        ; implicit-def: $vgpr9
	s_nop 1
	v_cndmask_b32_e32 v3, v3, v5, vcc
	v_cndmask_b32_e32 v2, v2, v4, vcc
                                        ; implicit-def: $vgpr4_vgpr5
.LBB359_30:
	s_or_saveexec_b64 s[4:5], s[4:5]
	v_mov_b32_e32 v10, 1
	s_xor_b64 exec, exec, s[4:5]
	s_cbranch_execz .LBB359_32
; %bb.31:
	v_and_b32_e32 v8, 1, v8
	v_cmp_eq_u32_e32 vcc, 1, v8
	s_waitcnt lgkmcnt(1)
	s_nop 0
	v_cndmask_b32_e32 v2, v4, v2, vcc
	v_and_b32_e32 v4, 0xff, v9
	s_waitcnt lgkmcnt(0)
	v_cndmask_b32_e32 v3, v5, v3, vcc
	v_cndmask_b32_e64 v10, v4, 1, vcc
.LBB359_32:
	s_or_b64 exec, exec, s[4:5]
	v_mov_b32_e32 v8, v10
.LBB359_33:
	;; [unrolled: 49-line block ×4, first 2 shown]
	s_or_b64 exec, exec, s[0:1]
	s_waitcnt lgkmcnt(2)
	v_lshlrev_b32_e32 v9, 2, v1
	s_waitcnt lgkmcnt(0)
	v_or_b32_e32 v5, 0x80, v9
	ds_bpermute_b32 v10, v5, v8
	ds_bpermute_b32 v4, v5, v2
	;; [unrolled: 1-line block ×3, first 2 shown]
	v_add_u32_e32 v6, 32, v6
	v_cmp_lt_u32_e32 vcc, v6, v7
	v_mov_b32_e32 v6, v8
	s_and_saveexec_b64 s[0:1], vcc
	s_cbranch_execz .LBB359_51
; %bb.46:
	s_waitcnt lgkmcnt(2)
	v_and_b32_e32 v6, v8, v10
	v_and_b32_e32 v6, 1, v6
	v_cmp_eq_u32_e32 vcc, 1, v6
	s_and_saveexec_b64 s[4:5], vcc
	s_xor_b64 s[4:5], exec, s[4:5]
	s_cbranch_execz .LBB359_48
; %bb.47:
	s_waitcnt lgkmcnt(0)
	v_cmp_lt_i64_e32 vcc, v[4:5], v[2:3]
                                        ; implicit-def: $vgpr8
                                        ; implicit-def: $vgpr10
	s_nop 1
	v_cndmask_b32_e32 v3, v3, v5, vcc
	v_cndmask_b32_e32 v2, v2, v4, vcc
                                        ; implicit-def: $vgpr4_vgpr5
.LBB359_48:
	s_or_saveexec_b64 s[4:5], s[4:5]
	v_mov_b32_e32 v6, 1
	s_xor_b64 exec, exec, s[4:5]
	s_cbranch_execz .LBB359_50
; %bb.49:
	v_and_b32_e32 v6, 1, v8
	v_cmp_eq_u32_e32 vcc, 1, v6
	s_nop 1
	v_cndmask_b32_e64 v6, v10, 1, vcc
	s_waitcnt lgkmcnt(0)
	v_cndmask_b32_e32 v3, v5, v3, vcc
	v_cndmask_b32_e32 v2, v4, v2, vcc
.LBB359_50:
	s_or_b64 exec, exec, s[4:5]
	v_and_b32_e32 v8, 0xff, v6
.LBB359_51:
	s_or_b64 exec, exec, s[0:1]
	v_cmp_eq_u32_e32 vcc, 0, v1
	s_and_saveexec_b64 s[0:1], vcc
	s_cbranch_execz .LBB359_53
; %bb.52:
	s_waitcnt lgkmcnt(1)
	v_lshrrev_b32_e32 v4, 2, v0
	v_and_b32_e32 v4, 16, v4
	ds_write_b8 v4, v6 offset:32
	ds_write_b64 v4, v[2:3] offset:40
.LBB359_53:
	s_or_b64 exec, exec, s[0:1]
	v_cmp_gt_u32_e32 vcc, 2, v0
	s_waitcnt lgkmcnt(0)
	s_barrier
	s_and_saveexec_b64 s[0:1], vcc
	s_cbranch_execz .LBB359_61
; %bb.54:
	v_lshlrev_b32_e32 v2, 4, v1
	ds_read_u8 v6, v2 offset:32
	ds_read_b64 v[2:3], v2 offset:40
	v_or_b32_e32 v5, 4, v9
	s_add_i32 s6, s6, 63
	v_and_b32_e32 v1, 1, v1
	s_waitcnt lgkmcnt(1)
	v_and_b32_e32 v8, 0xff, v6
	s_waitcnt lgkmcnt(0)
	ds_bpermute_b32 v4, v5, v2
	ds_bpermute_b32 v7, v5, v8
	;; [unrolled: 1-line block ×3, first 2 shown]
	s_lshr_b32 s4, s6, 6
	v_add_u32_e32 v1, 1, v1
	v_cmp_gt_u32_e32 vcc, s4, v1
	s_and_saveexec_b64 s[4:5], vcc
	s_cbranch_execz .LBB359_60
; %bb.55:
	s_waitcnt lgkmcnt(1)
	v_and_b32_e32 v1, v8, v7
	v_and_b32_e32 v1, 1, v1
	v_cmp_eq_u32_e32 vcc, 1, v1
	s_and_saveexec_b64 s[6:7], vcc
	s_xor_b64 s[6:7], exec, s[6:7]
	s_cbranch_execz .LBB359_57
; %bb.56:
	s_waitcnt lgkmcnt(0)
	v_cmp_lt_i64_e32 vcc, v[4:5], v[2:3]
                                        ; implicit-def: $vgpr6
                                        ; implicit-def: $vgpr7
	s_nop 1
	v_cndmask_b32_e32 v3, v3, v5, vcc
	v_cndmask_b32_e32 v2, v2, v4, vcc
                                        ; implicit-def: $vgpr4_vgpr5
.LBB359_57:
	s_or_saveexec_b64 s[6:7], s[6:7]
	v_mov_b32_e32 v8, 1
	s_xor_b64 exec, exec, s[6:7]
	s_cbranch_execz .LBB359_59
; %bb.58:
	v_and_b32_e32 v1, 1, v6
	v_cmp_eq_u32_e32 vcc, 1, v1
	s_waitcnt lgkmcnt(0)
	s_nop 0
	v_cndmask_b32_e32 v3, v5, v3, vcc
	v_cndmask_b32_e32 v2, v4, v2, vcc
	v_cndmask_b32_e64 v8, v7, 1, vcc
.LBB359_59:
	s_or_b64 exec, exec, s[6:7]
.LBB359_60:
	s_or_b64 exec, exec, s[4:5]
.LBB359_61:
	s_or_b64 exec, exec, s[0:1]
.LBB359_62:
	v_cmp_eq_u32_e32 vcc, 0, v0
	s_and_saveexec_b64 s[0:1], vcc
	s_cbranch_execnz .LBB359_64
; %bb.63:
	s_endpgm
.LBB359_64:
	s_mul_i32 s0, s18, s17
	s_mul_hi_u32 s1, s18, s16
	s_add_i32 s0, s1, s0
	s_mul_i32 s1, s19, s16
	s_add_i32 s1, s0, s1
	s_mul_i32 s0, s18, s16
	s_lshl_b64 s[0:1], s[0:1], 4
	s_add_u32 s4, s14, s0
	s_addc_u32 s5, s15, s1
	s_cmp_eq_u64 s[12:13], 0
	s_waitcnt lgkmcnt(0)
	v_mov_b32_e32 v0, s9
	s_cselect_b64 vcc, -1, 0
	v_cndmask_b32_e32 v1, v3, v0, vcc
	v_mov_b32_e32 v0, s8
	s_lshl_b64 s[0:1], s[2:3], 4
	v_cndmask_b32_e32 v0, v2, v0, vcc
	v_mov_b32_e32 v2, s10
	s_add_u32 s0, s4, s0
	v_cndmask_b32_e32 v2, v8, v2, vcc
	s_addc_u32 s1, s5, s1
	v_mov_b32_e32 v3, 0
	global_store_byte v3, v2, s[0:1]
	global_store_dwordx2 v3, v[0:1], s[0:1] offset:8
	s_endpgm
	.section	.rodata,"a",@progbits
	.p2align	6, 0x0
	.amdhsa_kernel _ZN7rocprim17ROCPRIM_400000_NS6detail17trampoline_kernelINS0_14default_configENS1_22reduce_config_selectorIN6thrust23THRUST_200600_302600_NS5tupleIblNS6_9null_typeES8_S8_S8_S8_S8_S8_S8_EEEEZNS1_11reduce_implILb1ES3_NS6_12zip_iteratorINS7_INS6_11hip_rocprim26transform_input_iterator_tIbNSD_35transform_pair_of_input_iterators_tIbNS6_6detail15normal_iteratorINS6_10device_ptrIKfEEEESL_NS6_8equal_toIfEEEENSG_9not_fun_tINSD_8identityEEEEENSD_19counting_iterator_tIlEES8_S8_S8_S8_S8_S8_S8_S8_EEEEPS9_S9_NSD_9__find_if7functorIS9_EEEE10hipError_tPvRmT1_T2_T3_mT4_P12ihipStream_tbEUlT_E0_NS1_11comp_targetILNS1_3genE0ELNS1_11target_archE4294967295ELNS1_3gpuE0ELNS1_3repE0EEENS1_30default_config_static_selectorELNS0_4arch9wavefront6targetE1EEEvS14_
		.amdhsa_group_segment_fixed_size 64
		.amdhsa_private_segment_fixed_size 0
		.amdhsa_kernarg_size 104
		.amdhsa_user_sgpr_count 2
		.amdhsa_user_sgpr_dispatch_ptr 0
		.amdhsa_user_sgpr_queue_ptr 0
		.amdhsa_user_sgpr_kernarg_segment_ptr 1
		.amdhsa_user_sgpr_dispatch_id 0
		.amdhsa_user_sgpr_kernarg_preload_length 0
		.amdhsa_user_sgpr_kernarg_preload_offset 0
		.amdhsa_user_sgpr_private_segment_size 0
		.amdhsa_uses_dynamic_stack 0
		.amdhsa_enable_private_segment 0
		.amdhsa_system_sgpr_workgroup_id_x 1
		.amdhsa_system_sgpr_workgroup_id_y 0
		.amdhsa_system_sgpr_workgroup_id_z 0
		.amdhsa_system_sgpr_workgroup_info 0
		.amdhsa_system_vgpr_workitem_id 0
		.amdhsa_next_free_vgpr 14
		.amdhsa_next_free_sgpr 28
		.amdhsa_accum_offset 16
		.amdhsa_reserve_vcc 1
		.amdhsa_float_round_mode_32 0
		.amdhsa_float_round_mode_16_64 0
		.amdhsa_float_denorm_mode_32 3
		.amdhsa_float_denorm_mode_16_64 3
		.amdhsa_dx10_clamp 1
		.amdhsa_ieee_mode 1
		.amdhsa_fp16_overflow 0
		.amdhsa_tg_split 0
		.amdhsa_exception_fp_ieee_invalid_op 0
		.amdhsa_exception_fp_denorm_src 0
		.amdhsa_exception_fp_ieee_div_zero 0
		.amdhsa_exception_fp_ieee_overflow 0
		.amdhsa_exception_fp_ieee_underflow 0
		.amdhsa_exception_fp_ieee_inexact 0
		.amdhsa_exception_int_div_zero 0
	.end_amdhsa_kernel
	.section	.text._ZN7rocprim17ROCPRIM_400000_NS6detail17trampoline_kernelINS0_14default_configENS1_22reduce_config_selectorIN6thrust23THRUST_200600_302600_NS5tupleIblNS6_9null_typeES8_S8_S8_S8_S8_S8_S8_EEEEZNS1_11reduce_implILb1ES3_NS6_12zip_iteratorINS7_INS6_11hip_rocprim26transform_input_iterator_tIbNSD_35transform_pair_of_input_iterators_tIbNS6_6detail15normal_iteratorINS6_10device_ptrIKfEEEESL_NS6_8equal_toIfEEEENSG_9not_fun_tINSD_8identityEEEEENSD_19counting_iterator_tIlEES8_S8_S8_S8_S8_S8_S8_S8_EEEEPS9_S9_NSD_9__find_if7functorIS9_EEEE10hipError_tPvRmT1_T2_T3_mT4_P12ihipStream_tbEUlT_E0_NS1_11comp_targetILNS1_3genE0ELNS1_11target_archE4294967295ELNS1_3gpuE0ELNS1_3repE0EEENS1_30default_config_static_selectorELNS0_4arch9wavefront6targetE1EEEvS14_,"axG",@progbits,_ZN7rocprim17ROCPRIM_400000_NS6detail17trampoline_kernelINS0_14default_configENS1_22reduce_config_selectorIN6thrust23THRUST_200600_302600_NS5tupleIblNS6_9null_typeES8_S8_S8_S8_S8_S8_S8_EEEEZNS1_11reduce_implILb1ES3_NS6_12zip_iteratorINS7_INS6_11hip_rocprim26transform_input_iterator_tIbNSD_35transform_pair_of_input_iterators_tIbNS6_6detail15normal_iteratorINS6_10device_ptrIKfEEEESL_NS6_8equal_toIfEEEENSG_9not_fun_tINSD_8identityEEEEENSD_19counting_iterator_tIlEES8_S8_S8_S8_S8_S8_S8_S8_EEEEPS9_S9_NSD_9__find_if7functorIS9_EEEE10hipError_tPvRmT1_T2_T3_mT4_P12ihipStream_tbEUlT_E0_NS1_11comp_targetILNS1_3genE0ELNS1_11target_archE4294967295ELNS1_3gpuE0ELNS1_3repE0EEENS1_30default_config_static_selectorELNS0_4arch9wavefront6targetE1EEEvS14_,comdat
.Lfunc_end359:
	.size	_ZN7rocprim17ROCPRIM_400000_NS6detail17trampoline_kernelINS0_14default_configENS1_22reduce_config_selectorIN6thrust23THRUST_200600_302600_NS5tupleIblNS6_9null_typeES8_S8_S8_S8_S8_S8_S8_EEEEZNS1_11reduce_implILb1ES3_NS6_12zip_iteratorINS7_INS6_11hip_rocprim26transform_input_iterator_tIbNSD_35transform_pair_of_input_iterators_tIbNS6_6detail15normal_iteratorINS6_10device_ptrIKfEEEESL_NS6_8equal_toIfEEEENSG_9not_fun_tINSD_8identityEEEEENSD_19counting_iterator_tIlEES8_S8_S8_S8_S8_S8_S8_S8_EEEEPS9_S9_NSD_9__find_if7functorIS9_EEEE10hipError_tPvRmT1_T2_T3_mT4_P12ihipStream_tbEUlT_E0_NS1_11comp_targetILNS1_3genE0ELNS1_11target_archE4294967295ELNS1_3gpuE0ELNS1_3repE0EEENS1_30default_config_static_selectorELNS0_4arch9wavefront6targetE1EEEvS14_, .Lfunc_end359-_ZN7rocprim17ROCPRIM_400000_NS6detail17trampoline_kernelINS0_14default_configENS1_22reduce_config_selectorIN6thrust23THRUST_200600_302600_NS5tupleIblNS6_9null_typeES8_S8_S8_S8_S8_S8_S8_EEEEZNS1_11reduce_implILb1ES3_NS6_12zip_iteratorINS7_INS6_11hip_rocprim26transform_input_iterator_tIbNSD_35transform_pair_of_input_iterators_tIbNS6_6detail15normal_iteratorINS6_10device_ptrIKfEEEESL_NS6_8equal_toIfEEEENSG_9not_fun_tINSD_8identityEEEEENSD_19counting_iterator_tIlEES8_S8_S8_S8_S8_S8_S8_S8_EEEEPS9_S9_NSD_9__find_if7functorIS9_EEEE10hipError_tPvRmT1_T2_T3_mT4_P12ihipStream_tbEUlT_E0_NS1_11comp_targetILNS1_3genE0ELNS1_11target_archE4294967295ELNS1_3gpuE0ELNS1_3repE0EEENS1_30default_config_static_selectorELNS0_4arch9wavefront6targetE1EEEvS14_
                                        ; -- End function
	.set _ZN7rocprim17ROCPRIM_400000_NS6detail17trampoline_kernelINS0_14default_configENS1_22reduce_config_selectorIN6thrust23THRUST_200600_302600_NS5tupleIblNS6_9null_typeES8_S8_S8_S8_S8_S8_S8_EEEEZNS1_11reduce_implILb1ES3_NS6_12zip_iteratorINS7_INS6_11hip_rocprim26transform_input_iterator_tIbNSD_35transform_pair_of_input_iterators_tIbNS6_6detail15normal_iteratorINS6_10device_ptrIKfEEEESL_NS6_8equal_toIfEEEENSG_9not_fun_tINSD_8identityEEEEENSD_19counting_iterator_tIlEES8_S8_S8_S8_S8_S8_S8_S8_EEEEPS9_S9_NSD_9__find_if7functorIS9_EEEE10hipError_tPvRmT1_T2_T3_mT4_P12ihipStream_tbEUlT_E0_NS1_11comp_targetILNS1_3genE0ELNS1_11target_archE4294967295ELNS1_3gpuE0ELNS1_3repE0EEENS1_30default_config_static_selectorELNS0_4arch9wavefront6targetE1EEEvS14_.num_vgpr, 14
	.set _ZN7rocprim17ROCPRIM_400000_NS6detail17trampoline_kernelINS0_14default_configENS1_22reduce_config_selectorIN6thrust23THRUST_200600_302600_NS5tupleIblNS6_9null_typeES8_S8_S8_S8_S8_S8_S8_EEEEZNS1_11reduce_implILb1ES3_NS6_12zip_iteratorINS7_INS6_11hip_rocprim26transform_input_iterator_tIbNSD_35transform_pair_of_input_iterators_tIbNS6_6detail15normal_iteratorINS6_10device_ptrIKfEEEESL_NS6_8equal_toIfEEEENSG_9not_fun_tINSD_8identityEEEEENSD_19counting_iterator_tIlEES8_S8_S8_S8_S8_S8_S8_S8_EEEEPS9_S9_NSD_9__find_if7functorIS9_EEEE10hipError_tPvRmT1_T2_T3_mT4_P12ihipStream_tbEUlT_E0_NS1_11comp_targetILNS1_3genE0ELNS1_11target_archE4294967295ELNS1_3gpuE0ELNS1_3repE0EEENS1_30default_config_static_selectorELNS0_4arch9wavefront6targetE1EEEvS14_.num_agpr, 0
	.set _ZN7rocprim17ROCPRIM_400000_NS6detail17trampoline_kernelINS0_14default_configENS1_22reduce_config_selectorIN6thrust23THRUST_200600_302600_NS5tupleIblNS6_9null_typeES8_S8_S8_S8_S8_S8_S8_EEEEZNS1_11reduce_implILb1ES3_NS6_12zip_iteratorINS7_INS6_11hip_rocprim26transform_input_iterator_tIbNSD_35transform_pair_of_input_iterators_tIbNS6_6detail15normal_iteratorINS6_10device_ptrIKfEEEESL_NS6_8equal_toIfEEEENSG_9not_fun_tINSD_8identityEEEEENSD_19counting_iterator_tIlEES8_S8_S8_S8_S8_S8_S8_S8_EEEEPS9_S9_NSD_9__find_if7functorIS9_EEEE10hipError_tPvRmT1_T2_T3_mT4_P12ihipStream_tbEUlT_E0_NS1_11comp_targetILNS1_3genE0ELNS1_11target_archE4294967295ELNS1_3gpuE0ELNS1_3repE0EEENS1_30default_config_static_selectorELNS0_4arch9wavefront6targetE1EEEvS14_.numbered_sgpr, 28
	.set _ZN7rocprim17ROCPRIM_400000_NS6detail17trampoline_kernelINS0_14default_configENS1_22reduce_config_selectorIN6thrust23THRUST_200600_302600_NS5tupleIblNS6_9null_typeES8_S8_S8_S8_S8_S8_S8_EEEEZNS1_11reduce_implILb1ES3_NS6_12zip_iteratorINS7_INS6_11hip_rocprim26transform_input_iterator_tIbNSD_35transform_pair_of_input_iterators_tIbNS6_6detail15normal_iteratorINS6_10device_ptrIKfEEEESL_NS6_8equal_toIfEEEENSG_9not_fun_tINSD_8identityEEEEENSD_19counting_iterator_tIlEES8_S8_S8_S8_S8_S8_S8_S8_EEEEPS9_S9_NSD_9__find_if7functorIS9_EEEE10hipError_tPvRmT1_T2_T3_mT4_P12ihipStream_tbEUlT_E0_NS1_11comp_targetILNS1_3genE0ELNS1_11target_archE4294967295ELNS1_3gpuE0ELNS1_3repE0EEENS1_30default_config_static_selectorELNS0_4arch9wavefront6targetE1EEEvS14_.num_named_barrier, 0
	.set _ZN7rocprim17ROCPRIM_400000_NS6detail17trampoline_kernelINS0_14default_configENS1_22reduce_config_selectorIN6thrust23THRUST_200600_302600_NS5tupleIblNS6_9null_typeES8_S8_S8_S8_S8_S8_S8_EEEEZNS1_11reduce_implILb1ES3_NS6_12zip_iteratorINS7_INS6_11hip_rocprim26transform_input_iterator_tIbNSD_35transform_pair_of_input_iterators_tIbNS6_6detail15normal_iteratorINS6_10device_ptrIKfEEEESL_NS6_8equal_toIfEEEENSG_9not_fun_tINSD_8identityEEEEENSD_19counting_iterator_tIlEES8_S8_S8_S8_S8_S8_S8_S8_EEEEPS9_S9_NSD_9__find_if7functorIS9_EEEE10hipError_tPvRmT1_T2_T3_mT4_P12ihipStream_tbEUlT_E0_NS1_11comp_targetILNS1_3genE0ELNS1_11target_archE4294967295ELNS1_3gpuE0ELNS1_3repE0EEENS1_30default_config_static_selectorELNS0_4arch9wavefront6targetE1EEEvS14_.private_seg_size, 0
	.set _ZN7rocprim17ROCPRIM_400000_NS6detail17trampoline_kernelINS0_14default_configENS1_22reduce_config_selectorIN6thrust23THRUST_200600_302600_NS5tupleIblNS6_9null_typeES8_S8_S8_S8_S8_S8_S8_EEEEZNS1_11reduce_implILb1ES3_NS6_12zip_iteratorINS7_INS6_11hip_rocprim26transform_input_iterator_tIbNSD_35transform_pair_of_input_iterators_tIbNS6_6detail15normal_iteratorINS6_10device_ptrIKfEEEESL_NS6_8equal_toIfEEEENSG_9not_fun_tINSD_8identityEEEEENSD_19counting_iterator_tIlEES8_S8_S8_S8_S8_S8_S8_S8_EEEEPS9_S9_NSD_9__find_if7functorIS9_EEEE10hipError_tPvRmT1_T2_T3_mT4_P12ihipStream_tbEUlT_E0_NS1_11comp_targetILNS1_3genE0ELNS1_11target_archE4294967295ELNS1_3gpuE0ELNS1_3repE0EEENS1_30default_config_static_selectorELNS0_4arch9wavefront6targetE1EEEvS14_.uses_vcc, 1
	.set _ZN7rocprim17ROCPRIM_400000_NS6detail17trampoline_kernelINS0_14default_configENS1_22reduce_config_selectorIN6thrust23THRUST_200600_302600_NS5tupleIblNS6_9null_typeES8_S8_S8_S8_S8_S8_S8_EEEEZNS1_11reduce_implILb1ES3_NS6_12zip_iteratorINS7_INS6_11hip_rocprim26transform_input_iterator_tIbNSD_35transform_pair_of_input_iterators_tIbNS6_6detail15normal_iteratorINS6_10device_ptrIKfEEEESL_NS6_8equal_toIfEEEENSG_9not_fun_tINSD_8identityEEEEENSD_19counting_iterator_tIlEES8_S8_S8_S8_S8_S8_S8_S8_EEEEPS9_S9_NSD_9__find_if7functorIS9_EEEE10hipError_tPvRmT1_T2_T3_mT4_P12ihipStream_tbEUlT_E0_NS1_11comp_targetILNS1_3genE0ELNS1_11target_archE4294967295ELNS1_3gpuE0ELNS1_3repE0EEENS1_30default_config_static_selectorELNS0_4arch9wavefront6targetE1EEEvS14_.uses_flat_scratch, 0
	.set _ZN7rocprim17ROCPRIM_400000_NS6detail17trampoline_kernelINS0_14default_configENS1_22reduce_config_selectorIN6thrust23THRUST_200600_302600_NS5tupleIblNS6_9null_typeES8_S8_S8_S8_S8_S8_S8_EEEEZNS1_11reduce_implILb1ES3_NS6_12zip_iteratorINS7_INS6_11hip_rocprim26transform_input_iterator_tIbNSD_35transform_pair_of_input_iterators_tIbNS6_6detail15normal_iteratorINS6_10device_ptrIKfEEEESL_NS6_8equal_toIfEEEENSG_9not_fun_tINSD_8identityEEEEENSD_19counting_iterator_tIlEES8_S8_S8_S8_S8_S8_S8_S8_EEEEPS9_S9_NSD_9__find_if7functorIS9_EEEE10hipError_tPvRmT1_T2_T3_mT4_P12ihipStream_tbEUlT_E0_NS1_11comp_targetILNS1_3genE0ELNS1_11target_archE4294967295ELNS1_3gpuE0ELNS1_3repE0EEENS1_30default_config_static_selectorELNS0_4arch9wavefront6targetE1EEEvS14_.has_dyn_sized_stack, 0
	.set _ZN7rocprim17ROCPRIM_400000_NS6detail17trampoline_kernelINS0_14default_configENS1_22reduce_config_selectorIN6thrust23THRUST_200600_302600_NS5tupleIblNS6_9null_typeES8_S8_S8_S8_S8_S8_S8_EEEEZNS1_11reduce_implILb1ES3_NS6_12zip_iteratorINS7_INS6_11hip_rocprim26transform_input_iterator_tIbNSD_35transform_pair_of_input_iterators_tIbNS6_6detail15normal_iteratorINS6_10device_ptrIKfEEEESL_NS6_8equal_toIfEEEENSG_9not_fun_tINSD_8identityEEEEENSD_19counting_iterator_tIlEES8_S8_S8_S8_S8_S8_S8_S8_EEEEPS9_S9_NSD_9__find_if7functorIS9_EEEE10hipError_tPvRmT1_T2_T3_mT4_P12ihipStream_tbEUlT_E0_NS1_11comp_targetILNS1_3genE0ELNS1_11target_archE4294967295ELNS1_3gpuE0ELNS1_3repE0EEENS1_30default_config_static_selectorELNS0_4arch9wavefront6targetE1EEEvS14_.has_recursion, 0
	.set _ZN7rocprim17ROCPRIM_400000_NS6detail17trampoline_kernelINS0_14default_configENS1_22reduce_config_selectorIN6thrust23THRUST_200600_302600_NS5tupleIblNS6_9null_typeES8_S8_S8_S8_S8_S8_S8_EEEEZNS1_11reduce_implILb1ES3_NS6_12zip_iteratorINS7_INS6_11hip_rocprim26transform_input_iterator_tIbNSD_35transform_pair_of_input_iterators_tIbNS6_6detail15normal_iteratorINS6_10device_ptrIKfEEEESL_NS6_8equal_toIfEEEENSG_9not_fun_tINSD_8identityEEEEENSD_19counting_iterator_tIlEES8_S8_S8_S8_S8_S8_S8_S8_EEEEPS9_S9_NSD_9__find_if7functorIS9_EEEE10hipError_tPvRmT1_T2_T3_mT4_P12ihipStream_tbEUlT_E0_NS1_11comp_targetILNS1_3genE0ELNS1_11target_archE4294967295ELNS1_3gpuE0ELNS1_3repE0EEENS1_30default_config_static_selectorELNS0_4arch9wavefront6targetE1EEEvS14_.has_indirect_call, 0
	.section	.AMDGPU.csdata,"",@progbits
; Kernel info:
; codeLenInByte = 2864
; TotalNumSgprs: 34
; NumVgprs: 14
; NumAgprs: 0
; TotalNumVgprs: 14
; ScratchSize: 0
; MemoryBound: 0
; FloatMode: 240
; IeeeMode: 1
; LDSByteSize: 64 bytes/workgroup (compile time only)
; SGPRBlocks: 4
; VGPRBlocks: 1
; NumSGPRsForWavesPerEU: 34
; NumVGPRsForWavesPerEU: 14
; AccumOffset: 16
; Occupancy: 8
; WaveLimiterHint : 0
; COMPUTE_PGM_RSRC2:SCRATCH_EN: 0
; COMPUTE_PGM_RSRC2:USER_SGPR: 2
; COMPUTE_PGM_RSRC2:TRAP_HANDLER: 0
; COMPUTE_PGM_RSRC2:TGID_X_EN: 1
; COMPUTE_PGM_RSRC2:TGID_Y_EN: 0
; COMPUTE_PGM_RSRC2:TGID_Z_EN: 0
; COMPUTE_PGM_RSRC2:TIDIG_COMP_CNT: 0
; COMPUTE_PGM_RSRC3_GFX90A:ACCUM_OFFSET: 3
; COMPUTE_PGM_RSRC3_GFX90A:TG_SPLIT: 0
	.section	.text._ZN7rocprim17ROCPRIM_400000_NS6detail17trampoline_kernelINS0_14default_configENS1_22reduce_config_selectorIN6thrust23THRUST_200600_302600_NS5tupleIblNS6_9null_typeES8_S8_S8_S8_S8_S8_S8_EEEEZNS1_11reduce_implILb1ES3_NS6_12zip_iteratorINS7_INS6_11hip_rocprim26transform_input_iterator_tIbNSD_35transform_pair_of_input_iterators_tIbNS6_6detail15normal_iteratorINS6_10device_ptrIKfEEEESL_NS6_8equal_toIfEEEENSG_9not_fun_tINSD_8identityEEEEENSD_19counting_iterator_tIlEES8_S8_S8_S8_S8_S8_S8_S8_EEEEPS9_S9_NSD_9__find_if7functorIS9_EEEE10hipError_tPvRmT1_T2_T3_mT4_P12ihipStream_tbEUlT_E0_NS1_11comp_targetILNS1_3genE5ELNS1_11target_archE942ELNS1_3gpuE9ELNS1_3repE0EEENS1_30default_config_static_selectorELNS0_4arch9wavefront6targetE1EEEvS14_,"axG",@progbits,_ZN7rocprim17ROCPRIM_400000_NS6detail17trampoline_kernelINS0_14default_configENS1_22reduce_config_selectorIN6thrust23THRUST_200600_302600_NS5tupleIblNS6_9null_typeES8_S8_S8_S8_S8_S8_S8_EEEEZNS1_11reduce_implILb1ES3_NS6_12zip_iteratorINS7_INS6_11hip_rocprim26transform_input_iterator_tIbNSD_35transform_pair_of_input_iterators_tIbNS6_6detail15normal_iteratorINS6_10device_ptrIKfEEEESL_NS6_8equal_toIfEEEENSG_9not_fun_tINSD_8identityEEEEENSD_19counting_iterator_tIlEES8_S8_S8_S8_S8_S8_S8_S8_EEEEPS9_S9_NSD_9__find_if7functorIS9_EEEE10hipError_tPvRmT1_T2_T3_mT4_P12ihipStream_tbEUlT_E0_NS1_11comp_targetILNS1_3genE5ELNS1_11target_archE942ELNS1_3gpuE9ELNS1_3repE0EEENS1_30default_config_static_selectorELNS0_4arch9wavefront6targetE1EEEvS14_,comdat
	.protected	_ZN7rocprim17ROCPRIM_400000_NS6detail17trampoline_kernelINS0_14default_configENS1_22reduce_config_selectorIN6thrust23THRUST_200600_302600_NS5tupleIblNS6_9null_typeES8_S8_S8_S8_S8_S8_S8_EEEEZNS1_11reduce_implILb1ES3_NS6_12zip_iteratorINS7_INS6_11hip_rocprim26transform_input_iterator_tIbNSD_35transform_pair_of_input_iterators_tIbNS6_6detail15normal_iteratorINS6_10device_ptrIKfEEEESL_NS6_8equal_toIfEEEENSG_9not_fun_tINSD_8identityEEEEENSD_19counting_iterator_tIlEES8_S8_S8_S8_S8_S8_S8_S8_EEEEPS9_S9_NSD_9__find_if7functorIS9_EEEE10hipError_tPvRmT1_T2_T3_mT4_P12ihipStream_tbEUlT_E0_NS1_11comp_targetILNS1_3genE5ELNS1_11target_archE942ELNS1_3gpuE9ELNS1_3repE0EEENS1_30default_config_static_selectorELNS0_4arch9wavefront6targetE1EEEvS14_ ; -- Begin function _ZN7rocprim17ROCPRIM_400000_NS6detail17trampoline_kernelINS0_14default_configENS1_22reduce_config_selectorIN6thrust23THRUST_200600_302600_NS5tupleIblNS6_9null_typeES8_S8_S8_S8_S8_S8_S8_EEEEZNS1_11reduce_implILb1ES3_NS6_12zip_iteratorINS7_INS6_11hip_rocprim26transform_input_iterator_tIbNSD_35transform_pair_of_input_iterators_tIbNS6_6detail15normal_iteratorINS6_10device_ptrIKfEEEESL_NS6_8equal_toIfEEEENSG_9not_fun_tINSD_8identityEEEEENSD_19counting_iterator_tIlEES8_S8_S8_S8_S8_S8_S8_S8_EEEEPS9_S9_NSD_9__find_if7functorIS9_EEEE10hipError_tPvRmT1_T2_T3_mT4_P12ihipStream_tbEUlT_E0_NS1_11comp_targetILNS1_3genE5ELNS1_11target_archE942ELNS1_3gpuE9ELNS1_3repE0EEENS1_30default_config_static_selectorELNS0_4arch9wavefront6targetE1EEEvS14_
	.globl	_ZN7rocprim17ROCPRIM_400000_NS6detail17trampoline_kernelINS0_14default_configENS1_22reduce_config_selectorIN6thrust23THRUST_200600_302600_NS5tupleIblNS6_9null_typeES8_S8_S8_S8_S8_S8_S8_EEEEZNS1_11reduce_implILb1ES3_NS6_12zip_iteratorINS7_INS6_11hip_rocprim26transform_input_iterator_tIbNSD_35transform_pair_of_input_iterators_tIbNS6_6detail15normal_iteratorINS6_10device_ptrIKfEEEESL_NS6_8equal_toIfEEEENSG_9not_fun_tINSD_8identityEEEEENSD_19counting_iterator_tIlEES8_S8_S8_S8_S8_S8_S8_S8_EEEEPS9_S9_NSD_9__find_if7functorIS9_EEEE10hipError_tPvRmT1_T2_T3_mT4_P12ihipStream_tbEUlT_E0_NS1_11comp_targetILNS1_3genE5ELNS1_11target_archE942ELNS1_3gpuE9ELNS1_3repE0EEENS1_30default_config_static_selectorELNS0_4arch9wavefront6targetE1EEEvS14_
	.p2align	8
	.type	_ZN7rocprim17ROCPRIM_400000_NS6detail17trampoline_kernelINS0_14default_configENS1_22reduce_config_selectorIN6thrust23THRUST_200600_302600_NS5tupleIblNS6_9null_typeES8_S8_S8_S8_S8_S8_S8_EEEEZNS1_11reduce_implILb1ES3_NS6_12zip_iteratorINS7_INS6_11hip_rocprim26transform_input_iterator_tIbNSD_35transform_pair_of_input_iterators_tIbNS6_6detail15normal_iteratorINS6_10device_ptrIKfEEEESL_NS6_8equal_toIfEEEENSG_9not_fun_tINSD_8identityEEEEENSD_19counting_iterator_tIlEES8_S8_S8_S8_S8_S8_S8_S8_EEEEPS9_S9_NSD_9__find_if7functorIS9_EEEE10hipError_tPvRmT1_T2_T3_mT4_P12ihipStream_tbEUlT_E0_NS1_11comp_targetILNS1_3genE5ELNS1_11target_archE942ELNS1_3gpuE9ELNS1_3repE0EEENS1_30default_config_static_selectorELNS0_4arch9wavefront6targetE1EEEvS14_,@function
_ZN7rocprim17ROCPRIM_400000_NS6detail17trampoline_kernelINS0_14default_configENS1_22reduce_config_selectorIN6thrust23THRUST_200600_302600_NS5tupleIblNS6_9null_typeES8_S8_S8_S8_S8_S8_S8_EEEEZNS1_11reduce_implILb1ES3_NS6_12zip_iteratorINS7_INS6_11hip_rocprim26transform_input_iterator_tIbNSD_35transform_pair_of_input_iterators_tIbNS6_6detail15normal_iteratorINS6_10device_ptrIKfEEEESL_NS6_8equal_toIfEEEENSG_9not_fun_tINSD_8identityEEEEENSD_19counting_iterator_tIlEES8_S8_S8_S8_S8_S8_S8_S8_EEEEPS9_S9_NSD_9__find_if7functorIS9_EEEE10hipError_tPvRmT1_T2_T3_mT4_P12ihipStream_tbEUlT_E0_NS1_11comp_targetILNS1_3genE5ELNS1_11target_archE942ELNS1_3gpuE9ELNS1_3repE0EEENS1_30default_config_static_selectorELNS0_4arch9wavefront6targetE1EEEvS14_: ; @_ZN7rocprim17ROCPRIM_400000_NS6detail17trampoline_kernelINS0_14default_configENS1_22reduce_config_selectorIN6thrust23THRUST_200600_302600_NS5tupleIblNS6_9null_typeES8_S8_S8_S8_S8_S8_S8_EEEEZNS1_11reduce_implILb1ES3_NS6_12zip_iteratorINS7_INS6_11hip_rocprim26transform_input_iterator_tIbNSD_35transform_pair_of_input_iterators_tIbNS6_6detail15normal_iteratorINS6_10device_ptrIKfEEEESL_NS6_8equal_toIfEEEENSG_9not_fun_tINSD_8identityEEEEENSD_19counting_iterator_tIlEES8_S8_S8_S8_S8_S8_S8_S8_EEEEPS9_S9_NSD_9__find_if7functorIS9_EEEE10hipError_tPvRmT1_T2_T3_mT4_P12ihipStream_tbEUlT_E0_NS1_11comp_targetILNS1_3genE5ELNS1_11target_archE942ELNS1_3gpuE9ELNS1_3repE0EEENS1_30default_config_static_selectorELNS0_4arch9wavefront6targetE1EEEvS14_
; %bb.0:
	.section	.rodata,"a",@progbits
	.p2align	6, 0x0
	.amdhsa_kernel _ZN7rocprim17ROCPRIM_400000_NS6detail17trampoline_kernelINS0_14default_configENS1_22reduce_config_selectorIN6thrust23THRUST_200600_302600_NS5tupleIblNS6_9null_typeES8_S8_S8_S8_S8_S8_S8_EEEEZNS1_11reduce_implILb1ES3_NS6_12zip_iteratorINS7_INS6_11hip_rocprim26transform_input_iterator_tIbNSD_35transform_pair_of_input_iterators_tIbNS6_6detail15normal_iteratorINS6_10device_ptrIKfEEEESL_NS6_8equal_toIfEEEENSG_9not_fun_tINSD_8identityEEEEENSD_19counting_iterator_tIlEES8_S8_S8_S8_S8_S8_S8_S8_EEEEPS9_S9_NSD_9__find_if7functorIS9_EEEE10hipError_tPvRmT1_T2_T3_mT4_P12ihipStream_tbEUlT_E0_NS1_11comp_targetILNS1_3genE5ELNS1_11target_archE942ELNS1_3gpuE9ELNS1_3repE0EEENS1_30default_config_static_selectorELNS0_4arch9wavefront6targetE1EEEvS14_
		.amdhsa_group_segment_fixed_size 0
		.amdhsa_private_segment_fixed_size 0
		.amdhsa_kernarg_size 104
		.amdhsa_user_sgpr_count 2
		.amdhsa_user_sgpr_dispatch_ptr 0
		.amdhsa_user_sgpr_queue_ptr 0
		.amdhsa_user_sgpr_kernarg_segment_ptr 1
		.amdhsa_user_sgpr_dispatch_id 0
		.amdhsa_user_sgpr_kernarg_preload_length 0
		.amdhsa_user_sgpr_kernarg_preload_offset 0
		.amdhsa_user_sgpr_private_segment_size 0
		.amdhsa_uses_dynamic_stack 0
		.amdhsa_enable_private_segment 0
		.amdhsa_system_sgpr_workgroup_id_x 1
		.amdhsa_system_sgpr_workgroup_id_y 0
		.amdhsa_system_sgpr_workgroup_id_z 0
		.amdhsa_system_sgpr_workgroup_info 0
		.amdhsa_system_vgpr_workitem_id 0
		.amdhsa_next_free_vgpr 1
		.amdhsa_next_free_sgpr 0
		.amdhsa_accum_offset 4
		.amdhsa_reserve_vcc 0
		.amdhsa_float_round_mode_32 0
		.amdhsa_float_round_mode_16_64 0
		.amdhsa_float_denorm_mode_32 3
		.amdhsa_float_denorm_mode_16_64 3
		.amdhsa_dx10_clamp 1
		.amdhsa_ieee_mode 1
		.amdhsa_fp16_overflow 0
		.amdhsa_tg_split 0
		.amdhsa_exception_fp_ieee_invalid_op 0
		.amdhsa_exception_fp_denorm_src 0
		.amdhsa_exception_fp_ieee_div_zero 0
		.amdhsa_exception_fp_ieee_overflow 0
		.amdhsa_exception_fp_ieee_underflow 0
		.amdhsa_exception_fp_ieee_inexact 0
		.amdhsa_exception_int_div_zero 0
	.end_amdhsa_kernel
	.section	.text._ZN7rocprim17ROCPRIM_400000_NS6detail17trampoline_kernelINS0_14default_configENS1_22reduce_config_selectorIN6thrust23THRUST_200600_302600_NS5tupleIblNS6_9null_typeES8_S8_S8_S8_S8_S8_S8_EEEEZNS1_11reduce_implILb1ES3_NS6_12zip_iteratorINS7_INS6_11hip_rocprim26transform_input_iterator_tIbNSD_35transform_pair_of_input_iterators_tIbNS6_6detail15normal_iteratorINS6_10device_ptrIKfEEEESL_NS6_8equal_toIfEEEENSG_9not_fun_tINSD_8identityEEEEENSD_19counting_iterator_tIlEES8_S8_S8_S8_S8_S8_S8_S8_EEEEPS9_S9_NSD_9__find_if7functorIS9_EEEE10hipError_tPvRmT1_T2_T3_mT4_P12ihipStream_tbEUlT_E0_NS1_11comp_targetILNS1_3genE5ELNS1_11target_archE942ELNS1_3gpuE9ELNS1_3repE0EEENS1_30default_config_static_selectorELNS0_4arch9wavefront6targetE1EEEvS14_,"axG",@progbits,_ZN7rocprim17ROCPRIM_400000_NS6detail17trampoline_kernelINS0_14default_configENS1_22reduce_config_selectorIN6thrust23THRUST_200600_302600_NS5tupleIblNS6_9null_typeES8_S8_S8_S8_S8_S8_S8_EEEEZNS1_11reduce_implILb1ES3_NS6_12zip_iteratorINS7_INS6_11hip_rocprim26transform_input_iterator_tIbNSD_35transform_pair_of_input_iterators_tIbNS6_6detail15normal_iteratorINS6_10device_ptrIKfEEEESL_NS6_8equal_toIfEEEENSG_9not_fun_tINSD_8identityEEEEENSD_19counting_iterator_tIlEES8_S8_S8_S8_S8_S8_S8_S8_EEEEPS9_S9_NSD_9__find_if7functorIS9_EEEE10hipError_tPvRmT1_T2_T3_mT4_P12ihipStream_tbEUlT_E0_NS1_11comp_targetILNS1_3genE5ELNS1_11target_archE942ELNS1_3gpuE9ELNS1_3repE0EEENS1_30default_config_static_selectorELNS0_4arch9wavefront6targetE1EEEvS14_,comdat
.Lfunc_end360:
	.size	_ZN7rocprim17ROCPRIM_400000_NS6detail17trampoline_kernelINS0_14default_configENS1_22reduce_config_selectorIN6thrust23THRUST_200600_302600_NS5tupleIblNS6_9null_typeES8_S8_S8_S8_S8_S8_S8_EEEEZNS1_11reduce_implILb1ES3_NS6_12zip_iteratorINS7_INS6_11hip_rocprim26transform_input_iterator_tIbNSD_35transform_pair_of_input_iterators_tIbNS6_6detail15normal_iteratorINS6_10device_ptrIKfEEEESL_NS6_8equal_toIfEEEENSG_9not_fun_tINSD_8identityEEEEENSD_19counting_iterator_tIlEES8_S8_S8_S8_S8_S8_S8_S8_EEEEPS9_S9_NSD_9__find_if7functorIS9_EEEE10hipError_tPvRmT1_T2_T3_mT4_P12ihipStream_tbEUlT_E0_NS1_11comp_targetILNS1_3genE5ELNS1_11target_archE942ELNS1_3gpuE9ELNS1_3repE0EEENS1_30default_config_static_selectorELNS0_4arch9wavefront6targetE1EEEvS14_, .Lfunc_end360-_ZN7rocprim17ROCPRIM_400000_NS6detail17trampoline_kernelINS0_14default_configENS1_22reduce_config_selectorIN6thrust23THRUST_200600_302600_NS5tupleIblNS6_9null_typeES8_S8_S8_S8_S8_S8_S8_EEEEZNS1_11reduce_implILb1ES3_NS6_12zip_iteratorINS7_INS6_11hip_rocprim26transform_input_iterator_tIbNSD_35transform_pair_of_input_iterators_tIbNS6_6detail15normal_iteratorINS6_10device_ptrIKfEEEESL_NS6_8equal_toIfEEEENSG_9not_fun_tINSD_8identityEEEEENSD_19counting_iterator_tIlEES8_S8_S8_S8_S8_S8_S8_S8_EEEEPS9_S9_NSD_9__find_if7functorIS9_EEEE10hipError_tPvRmT1_T2_T3_mT4_P12ihipStream_tbEUlT_E0_NS1_11comp_targetILNS1_3genE5ELNS1_11target_archE942ELNS1_3gpuE9ELNS1_3repE0EEENS1_30default_config_static_selectorELNS0_4arch9wavefront6targetE1EEEvS14_
                                        ; -- End function
	.set _ZN7rocprim17ROCPRIM_400000_NS6detail17trampoline_kernelINS0_14default_configENS1_22reduce_config_selectorIN6thrust23THRUST_200600_302600_NS5tupleIblNS6_9null_typeES8_S8_S8_S8_S8_S8_S8_EEEEZNS1_11reduce_implILb1ES3_NS6_12zip_iteratorINS7_INS6_11hip_rocprim26transform_input_iterator_tIbNSD_35transform_pair_of_input_iterators_tIbNS6_6detail15normal_iteratorINS6_10device_ptrIKfEEEESL_NS6_8equal_toIfEEEENSG_9not_fun_tINSD_8identityEEEEENSD_19counting_iterator_tIlEES8_S8_S8_S8_S8_S8_S8_S8_EEEEPS9_S9_NSD_9__find_if7functorIS9_EEEE10hipError_tPvRmT1_T2_T3_mT4_P12ihipStream_tbEUlT_E0_NS1_11comp_targetILNS1_3genE5ELNS1_11target_archE942ELNS1_3gpuE9ELNS1_3repE0EEENS1_30default_config_static_selectorELNS0_4arch9wavefront6targetE1EEEvS14_.num_vgpr, 0
	.set _ZN7rocprim17ROCPRIM_400000_NS6detail17trampoline_kernelINS0_14default_configENS1_22reduce_config_selectorIN6thrust23THRUST_200600_302600_NS5tupleIblNS6_9null_typeES8_S8_S8_S8_S8_S8_S8_EEEEZNS1_11reduce_implILb1ES3_NS6_12zip_iteratorINS7_INS6_11hip_rocprim26transform_input_iterator_tIbNSD_35transform_pair_of_input_iterators_tIbNS6_6detail15normal_iteratorINS6_10device_ptrIKfEEEESL_NS6_8equal_toIfEEEENSG_9not_fun_tINSD_8identityEEEEENSD_19counting_iterator_tIlEES8_S8_S8_S8_S8_S8_S8_S8_EEEEPS9_S9_NSD_9__find_if7functorIS9_EEEE10hipError_tPvRmT1_T2_T3_mT4_P12ihipStream_tbEUlT_E0_NS1_11comp_targetILNS1_3genE5ELNS1_11target_archE942ELNS1_3gpuE9ELNS1_3repE0EEENS1_30default_config_static_selectorELNS0_4arch9wavefront6targetE1EEEvS14_.num_agpr, 0
	.set _ZN7rocprim17ROCPRIM_400000_NS6detail17trampoline_kernelINS0_14default_configENS1_22reduce_config_selectorIN6thrust23THRUST_200600_302600_NS5tupleIblNS6_9null_typeES8_S8_S8_S8_S8_S8_S8_EEEEZNS1_11reduce_implILb1ES3_NS6_12zip_iteratorINS7_INS6_11hip_rocprim26transform_input_iterator_tIbNSD_35transform_pair_of_input_iterators_tIbNS6_6detail15normal_iteratorINS6_10device_ptrIKfEEEESL_NS6_8equal_toIfEEEENSG_9not_fun_tINSD_8identityEEEEENSD_19counting_iterator_tIlEES8_S8_S8_S8_S8_S8_S8_S8_EEEEPS9_S9_NSD_9__find_if7functorIS9_EEEE10hipError_tPvRmT1_T2_T3_mT4_P12ihipStream_tbEUlT_E0_NS1_11comp_targetILNS1_3genE5ELNS1_11target_archE942ELNS1_3gpuE9ELNS1_3repE0EEENS1_30default_config_static_selectorELNS0_4arch9wavefront6targetE1EEEvS14_.numbered_sgpr, 0
	.set _ZN7rocprim17ROCPRIM_400000_NS6detail17trampoline_kernelINS0_14default_configENS1_22reduce_config_selectorIN6thrust23THRUST_200600_302600_NS5tupleIblNS6_9null_typeES8_S8_S8_S8_S8_S8_S8_EEEEZNS1_11reduce_implILb1ES3_NS6_12zip_iteratorINS7_INS6_11hip_rocprim26transform_input_iterator_tIbNSD_35transform_pair_of_input_iterators_tIbNS6_6detail15normal_iteratorINS6_10device_ptrIKfEEEESL_NS6_8equal_toIfEEEENSG_9not_fun_tINSD_8identityEEEEENSD_19counting_iterator_tIlEES8_S8_S8_S8_S8_S8_S8_S8_EEEEPS9_S9_NSD_9__find_if7functorIS9_EEEE10hipError_tPvRmT1_T2_T3_mT4_P12ihipStream_tbEUlT_E0_NS1_11comp_targetILNS1_3genE5ELNS1_11target_archE942ELNS1_3gpuE9ELNS1_3repE0EEENS1_30default_config_static_selectorELNS0_4arch9wavefront6targetE1EEEvS14_.num_named_barrier, 0
	.set _ZN7rocprim17ROCPRIM_400000_NS6detail17trampoline_kernelINS0_14default_configENS1_22reduce_config_selectorIN6thrust23THRUST_200600_302600_NS5tupleIblNS6_9null_typeES8_S8_S8_S8_S8_S8_S8_EEEEZNS1_11reduce_implILb1ES3_NS6_12zip_iteratorINS7_INS6_11hip_rocprim26transform_input_iterator_tIbNSD_35transform_pair_of_input_iterators_tIbNS6_6detail15normal_iteratorINS6_10device_ptrIKfEEEESL_NS6_8equal_toIfEEEENSG_9not_fun_tINSD_8identityEEEEENSD_19counting_iterator_tIlEES8_S8_S8_S8_S8_S8_S8_S8_EEEEPS9_S9_NSD_9__find_if7functorIS9_EEEE10hipError_tPvRmT1_T2_T3_mT4_P12ihipStream_tbEUlT_E0_NS1_11comp_targetILNS1_3genE5ELNS1_11target_archE942ELNS1_3gpuE9ELNS1_3repE0EEENS1_30default_config_static_selectorELNS0_4arch9wavefront6targetE1EEEvS14_.private_seg_size, 0
	.set _ZN7rocprim17ROCPRIM_400000_NS6detail17trampoline_kernelINS0_14default_configENS1_22reduce_config_selectorIN6thrust23THRUST_200600_302600_NS5tupleIblNS6_9null_typeES8_S8_S8_S8_S8_S8_S8_EEEEZNS1_11reduce_implILb1ES3_NS6_12zip_iteratorINS7_INS6_11hip_rocprim26transform_input_iterator_tIbNSD_35transform_pair_of_input_iterators_tIbNS6_6detail15normal_iteratorINS6_10device_ptrIKfEEEESL_NS6_8equal_toIfEEEENSG_9not_fun_tINSD_8identityEEEEENSD_19counting_iterator_tIlEES8_S8_S8_S8_S8_S8_S8_S8_EEEEPS9_S9_NSD_9__find_if7functorIS9_EEEE10hipError_tPvRmT1_T2_T3_mT4_P12ihipStream_tbEUlT_E0_NS1_11comp_targetILNS1_3genE5ELNS1_11target_archE942ELNS1_3gpuE9ELNS1_3repE0EEENS1_30default_config_static_selectorELNS0_4arch9wavefront6targetE1EEEvS14_.uses_vcc, 0
	.set _ZN7rocprim17ROCPRIM_400000_NS6detail17trampoline_kernelINS0_14default_configENS1_22reduce_config_selectorIN6thrust23THRUST_200600_302600_NS5tupleIblNS6_9null_typeES8_S8_S8_S8_S8_S8_S8_EEEEZNS1_11reduce_implILb1ES3_NS6_12zip_iteratorINS7_INS6_11hip_rocprim26transform_input_iterator_tIbNSD_35transform_pair_of_input_iterators_tIbNS6_6detail15normal_iteratorINS6_10device_ptrIKfEEEESL_NS6_8equal_toIfEEEENSG_9not_fun_tINSD_8identityEEEEENSD_19counting_iterator_tIlEES8_S8_S8_S8_S8_S8_S8_S8_EEEEPS9_S9_NSD_9__find_if7functorIS9_EEEE10hipError_tPvRmT1_T2_T3_mT4_P12ihipStream_tbEUlT_E0_NS1_11comp_targetILNS1_3genE5ELNS1_11target_archE942ELNS1_3gpuE9ELNS1_3repE0EEENS1_30default_config_static_selectorELNS0_4arch9wavefront6targetE1EEEvS14_.uses_flat_scratch, 0
	.set _ZN7rocprim17ROCPRIM_400000_NS6detail17trampoline_kernelINS0_14default_configENS1_22reduce_config_selectorIN6thrust23THRUST_200600_302600_NS5tupleIblNS6_9null_typeES8_S8_S8_S8_S8_S8_S8_EEEEZNS1_11reduce_implILb1ES3_NS6_12zip_iteratorINS7_INS6_11hip_rocprim26transform_input_iterator_tIbNSD_35transform_pair_of_input_iterators_tIbNS6_6detail15normal_iteratorINS6_10device_ptrIKfEEEESL_NS6_8equal_toIfEEEENSG_9not_fun_tINSD_8identityEEEEENSD_19counting_iterator_tIlEES8_S8_S8_S8_S8_S8_S8_S8_EEEEPS9_S9_NSD_9__find_if7functorIS9_EEEE10hipError_tPvRmT1_T2_T3_mT4_P12ihipStream_tbEUlT_E0_NS1_11comp_targetILNS1_3genE5ELNS1_11target_archE942ELNS1_3gpuE9ELNS1_3repE0EEENS1_30default_config_static_selectorELNS0_4arch9wavefront6targetE1EEEvS14_.has_dyn_sized_stack, 0
	.set _ZN7rocprim17ROCPRIM_400000_NS6detail17trampoline_kernelINS0_14default_configENS1_22reduce_config_selectorIN6thrust23THRUST_200600_302600_NS5tupleIblNS6_9null_typeES8_S8_S8_S8_S8_S8_S8_EEEEZNS1_11reduce_implILb1ES3_NS6_12zip_iteratorINS7_INS6_11hip_rocprim26transform_input_iterator_tIbNSD_35transform_pair_of_input_iterators_tIbNS6_6detail15normal_iteratorINS6_10device_ptrIKfEEEESL_NS6_8equal_toIfEEEENSG_9not_fun_tINSD_8identityEEEEENSD_19counting_iterator_tIlEES8_S8_S8_S8_S8_S8_S8_S8_EEEEPS9_S9_NSD_9__find_if7functorIS9_EEEE10hipError_tPvRmT1_T2_T3_mT4_P12ihipStream_tbEUlT_E0_NS1_11comp_targetILNS1_3genE5ELNS1_11target_archE942ELNS1_3gpuE9ELNS1_3repE0EEENS1_30default_config_static_selectorELNS0_4arch9wavefront6targetE1EEEvS14_.has_recursion, 0
	.set _ZN7rocprim17ROCPRIM_400000_NS6detail17trampoline_kernelINS0_14default_configENS1_22reduce_config_selectorIN6thrust23THRUST_200600_302600_NS5tupleIblNS6_9null_typeES8_S8_S8_S8_S8_S8_S8_EEEEZNS1_11reduce_implILb1ES3_NS6_12zip_iteratorINS7_INS6_11hip_rocprim26transform_input_iterator_tIbNSD_35transform_pair_of_input_iterators_tIbNS6_6detail15normal_iteratorINS6_10device_ptrIKfEEEESL_NS6_8equal_toIfEEEENSG_9not_fun_tINSD_8identityEEEEENSD_19counting_iterator_tIlEES8_S8_S8_S8_S8_S8_S8_S8_EEEEPS9_S9_NSD_9__find_if7functorIS9_EEEE10hipError_tPvRmT1_T2_T3_mT4_P12ihipStream_tbEUlT_E0_NS1_11comp_targetILNS1_3genE5ELNS1_11target_archE942ELNS1_3gpuE9ELNS1_3repE0EEENS1_30default_config_static_selectorELNS0_4arch9wavefront6targetE1EEEvS14_.has_indirect_call, 0
	.section	.AMDGPU.csdata,"",@progbits
; Kernel info:
; codeLenInByte = 0
; TotalNumSgprs: 6
; NumVgprs: 0
; NumAgprs: 0
; TotalNumVgprs: 0
; ScratchSize: 0
; MemoryBound: 0
; FloatMode: 240
; IeeeMode: 1
; LDSByteSize: 0 bytes/workgroup (compile time only)
; SGPRBlocks: 0
; VGPRBlocks: 0
; NumSGPRsForWavesPerEU: 6
; NumVGPRsForWavesPerEU: 1
; AccumOffset: 4
; Occupancy: 8
; WaveLimiterHint : 0
; COMPUTE_PGM_RSRC2:SCRATCH_EN: 0
; COMPUTE_PGM_RSRC2:USER_SGPR: 2
; COMPUTE_PGM_RSRC2:TRAP_HANDLER: 0
; COMPUTE_PGM_RSRC2:TGID_X_EN: 1
; COMPUTE_PGM_RSRC2:TGID_Y_EN: 0
; COMPUTE_PGM_RSRC2:TGID_Z_EN: 0
; COMPUTE_PGM_RSRC2:TIDIG_COMP_CNT: 0
; COMPUTE_PGM_RSRC3_GFX90A:ACCUM_OFFSET: 0
; COMPUTE_PGM_RSRC3_GFX90A:TG_SPLIT: 0
	.section	.text._ZN7rocprim17ROCPRIM_400000_NS6detail17trampoline_kernelINS0_14default_configENS1_22reduce_config_selectorIN6thrust23THRUST_200600_302600_NS5tupleIblNS6_9null_typeES8_S8_S8_S8_S8_S8_S8_EEEEZNS1_11reduce_implILb1ES3_NS6_12zip_iteratorINS7_INS6_11hip_rocprim26transform_input_iterator_tIbNSD_35transform_pair_of_input_iterators_tIbNS6_6detail15normal_iteratorINS6_10device_ptrIKfEEEESL_NS6_8equal_toIfEEEENSG_9not_fun_tINSD_8identityEEEEENSD_19counting_iterator_tIlEES8_S8_S8_S8_S8_S8_S8_S8_EEEEPS9_S9_NSD_9__find_if7functorIS9_EEEE10hipError_tPvRmT1_T2_T3_mT4_P12ihipStream_tbEUlT_E0_NS1_11comp_targetILNS1_3genE4ELNS1_11target_archE910ELNS1_3gpuE8ELNS1_3repE0EEENS1_30default_config_static_selectorELNS0_4arch9wavefront6targetE1EEEvS14_,"axG",@progbits,_ZN7rocprim17ROCPRIM_400000_NS6detail17trampoline_kernelINS0_14default_configENS1_22reduce_config_selectorIN6thrust23THRUST_200600_302600_NS5tupleIblNS6_9null_typeES8_S8_S8_S8_S8_S8_S8_EEEEZNS1_11reduce_implILb1ES3_NS6_12zip_iteratorINS7_INS6_11hip_rocprim26transform_input_iterator_tIbNSD_35transform_pair_of_input_iterators_tIbNS6_6detail15normal_iteratorINS6_10device_ptrIKfEEEESL_NS6_8equal_toIfEEEENSG_9not_fun_tINSD_8identityEEEEENSD_19counting_iterator_tIlEES8_S8_S8_S8_S8_S8_S8_S8_EEEEPS9_S9_NSD_9__find_if7functorIS9_EEEE10hipError_tPvRmT1_T2_T3_mT4_P12ihipStream_tbEUlT_E0_NS1_11comp_targetILNS1_3genE4ELNS1_11target_archE910ELNS1_3gpuE8ELNS1_3repE0EEENS1_30default_config_static_selectorELNS0_4arch9wavefront6targetE1EEEvS14_,comdat
	.protected	_ZN7rocprim17ROCPRIM_400000_NS6detail17trampoline_kernelINS0_14default_configENS1_22reduce_config_selectorIN6thrust23THRUST_200600_302600_NS5tupleIblNS6_9null_typeES8_S8_S8_S8_S8_S8_S8_EEEEZNS1_11reduce_implILb1ES3_NS6_12zip_iteratorINS7_INS6_11hip_rocprim26transform_input_iterator_tIbNSD_35transform_pair_of_input_iterators_tIbNS6_6detail15normal_iteratorINS6_10device_ptrIKfEEEESL_NS6_8equal_toIfEEEENSG_9not_fun_tINSD_8identityEEEEENSD_19counting_iterator_tIlEES8_S8_S8_S8_S8_S8_S8_S8_EEEEPS9_S9_NSD_9__find_if7functorIS9_EEEE10hipError_tPvRmT1_T2_T3_mT4_P12ihipStream_tbEUlT_E0_NS1_11comp_targetILNS1_3genE4ELNS1_11target_archE910ELNS1_3gpuE8ELNS1_3repE0EEENS1_30default_config_static_selectorELNS0_4arch9wavefront6targetE1EEEvS14_ ; -- Begin function _ZN7rocprim17ROCPRIM_400000_NS6detail17trampoline_kernelINS0_14default_configENS1_22reduce_config_selectorIN6thrust23THRUST_200600_302600_NS5tupleIblNS6_9null_typeES8_S8_S8_S8_S8_S8_S8_EEEEZNS1_11reduce_implILb1ES3_NS6_12zip_iteratorINS7_INS6_11hip_rocprim26transform_input_iterator_tIbNSD_35transform_pair_of_input_iterators_tIbNS6_6detail15normal_iteratorINS6_10device_ptrIKfEEEESL_NS6_8equal_toIfEEEENSG_9not_fun_tINSD_8identityEEEEENSD_19counting_iterator_tIlEES8_S8_S8_S8_S8_S8_S8_S8_EEEEPS9_S9_NSD_9__find_if7functorIS9_EEEE10hipError_tPvRmT1_T2_T3_mT4_P12ihipStream_tbEUlT_E0_NS1_11comp_targetILNS1_3genE4ELNS1_11target_archE910ELNS1_3gpuE8ELNS1_3repE0EEENS1_30default_config_static_selectorELNS0_4arch9wavefront6targetE1EEEvS14_
	.globl	_ZN7rocprim17ROCPRIM_400000_NS6detail17trampoline_kernelINS0_14default_configENS1_22reduce_config_selectorIN6thrust23THRUST_200600_302600_NS5tupleIblNS6_9null_typeES8_S8_S8_S8_S8_S8_S8_EEEEZNS1_11reduce_implILb1ES3_NS6_12zip_iteratorINS7_INS6_11hip_rocprim26transform_input_iterator_tIbNSD_35transform_pair_of_input_iterators_tIbNS6_6detail15normal_iteratorINS6_10device_ptrIKfEEEESL_NS6_8equal_toIfEEEENSG_9not_fun_tINSD_8identityEEEEENSD_19counting_iterator_tIlEES8_S8_S8_S8_S8_S8_S8_S8_EEEEPS9_S9_NSD_9__find_if7functorIS9_EEEE10hipError_tPvRmT1_T2_T3_mT4_P12ihipStream_tbEUlT_E0_NS1_11comp_targetILNS1_3genE4ELNS1_11target_archE910ELNS1_3gpuE8ELNS1_3repE0EEENS1_30default_config_static_selectorELNS0_4arch9wavefront6targetE1EEEvS14_
	.p2align	8
	.type	_ZN7rocprim17ROCPRIM_400000_NS6detail17trampoline_kernelINS0_14default_configENS1_22reduce_config_selectorIN6thrust23THRUST_200600_302600_NS5tupleIblNS6_9null_typeES8_S8_S8_S8_S8_S8_S8_EEEEZNS1_11reduce_implILb1ES3_NS6_12zip_iteratorINS7_INS6_11hip_rocprim26transform_input_iterator_tIbNSD_35transform_pair_of_input_iterators_tIbNS6_6detail15normal_iteratorINS6_10device_ptrIKfEEEESL_NS6_8equal_toIfEEEENSG_9not_fun_tINSD_8identityEEEEENSD_19counting_iterator_tIlEES8_S8_S8_S8_S8_S8_S8_S8_EEEEPS9_S9_NSD_9__find_if7functorIS9_EEEE10hipError_tPvRmT1_T2_T3_mT4_P12ihipStream_tbEUlT_E0_NS1_11comp_targetILNS1_3genE4ELNS1_11target_archE910ELNS1_3gpuE8ELNS1_3repE0EEENS1_30default_config_static_selectorELNS0_4arch9wavefront6targetE1EEEvS14_,@function
_ZN7rocprim17ROCPRIM_400000_NS6detail17trampoline_kernelINS0_14default_configENS1_22reduce_config_selectorIN6thrust23THRUST_200600_302600_NS5tupleIblNS6_9null_typeES8_S8_S8_S8_S8_S8_S8_EEEEZNS1_11reduce_implILb1ES3_NS6_12zip_iteratorINS7_INS6_11hip_rocprim26transform_input_iterator_tIbNSD_35transform_pair_of_input_iterators_tIbNS6_6detail15normal_iteratorINS6_10device_ptrIKfEEEESL_NS6_8equal_toIfEEEENSG_9not_fun_tINSD_8identityEEEEENSD_19counting_iterator_tIlEES8_S8_S8_S8_S8_S8_S8_S8_EEEEPS9_S9_NSD_9__find_if7functorIS9_EEEE10hipError_tPvRmT1_T2_T3_mT4_P12ihipStream_tbEUlT_E0_NS1_11comp_targetILNS1_3genE4ELNS1_11target_archE910ELNS1_3gpuE8ELNS1_3repE0EEENS1_30default_config_static_selectorELNS0_4arch9wavefront6targetE1EEEvS14_: ; @_ZN7rocprim17ROCPRIM_400000_NS6detail17trampoline_kernelINS0_14default_configENS1_22reduce_config_selectorIN6thrust23THRUST_200600_302600_NS5tupleIblNS6_9null_typeES8_S8_S8_S8_S8_S8_S8_EEEEZNS1_11reduce_implILb1ES3_NS6_12zip_iteratorINS7_INS6_11hip_rocprim26transform_input_iterator_tIbNSD_35transform_pair_of_input_iterators_tIbNS6_6detail15normal_iteratorINS6_10device_ptrIKfEEEESL_NS6_8equal_toIfEEEENSG_9not_fun_tINSD_8identityEEEEENSD_19counting_iterator_tIlEES8_S8_S8_S8_S8_S8_S8_S8_EEEEPS9_S9_NSD_9__find_if7functorIS9_EEEE10hipError_tPvRmT1_T2_T3_mT4_P12ihipStream_tbEUlT_E0_NS1_11comp_targetILNS1_3genE4ELNS1_11target_archE910ELNS1_3gpuE8ELNS1_3repE0EEENS1_30default_config_static_selectorELNS0_4arch9wavefront6targetE1EEEvS14_
; %bb.0:
	.section	.rodata,"a",@progbits
	.p2align	6, 0x0
	.amdhsa_kernel _ZN7rocprim17ROCPRIM_400000_NS6detail17trampoline_kernelINS0_14default_configENS1_22reduce_config_selectorIN6thrust23THRUST_200600_302600_NS5tupleIblNS6_9null_typeES8_S8_S8_S8_S8_S8_S8_EEEEZNS1_11reduce_implILb1ES3_NS6_12zip_iteratorINS7_INS6_11hip_rocprim26transform_input_iterator_tIbNSD_35transform_pair_of_input_iterators_tIbNS6_6detail15normal_iteratorINS6_10device_ptrIKfEEEESL_NS6_8equal_toIfEEEENSG_9not_fun_tINSD_8identityEEEEENSD_19counting_iterator_tIlEES8_S8_S8_S8_S8_S8_S8_S8_EEEEPS9_S9_NSD_9__find_if7functorIS9_EEEE10hipError_tPvRmT1_T2_T3_mT4_P12ihipStream_tbEUlT_E0_NS1_11comp_targetILNS1_3genE4ELNS1_11target_archE910ELNS1_3gpuE8ELNS1_3repE0EEENS1_30default_config_static_selectorELNS0_4arch9wavefront6targetE1EEEvS14_
		.amdhsa_group_segment_fixed_size 0
		.amdhsa_private_segment_fixed_size 0
		.amdhsa_kernarg_size 104
		.amdhsa_user_sgpr_count 2
		.amdhsa_user_sgpr_dispatch_ptr 0
		.amdhsa_user_sgpr_queue_ptr 0
		.amdhsa_user_sgpr_kernarg_segment_ptr 1
		.amdhsa_user_sgpr_dispatch_id 0
		.amdhsa_user_sgpr_kernarg_preload_length 0
		.amdhsa_user_sgpr_kernarg_preload_offset 0
		.amdhsa_user_sgpr_private_segment_size 0
		.amdhsa_uses_dynamic_stack 0
		.amdhsa_enable_private_segment 0
		.amdhsa_system_sgpr_workgroup_id_x 1
		.amdhsa_system_sgpr_workgroup_id_y 0
		.amdhsa_system_sgpr_workgroup_id_z 0
		.amdhsa_system_sgpr_workgroup_info 0
		.amdhsa_system_vgpr_workitem_id 0
		.amdhsa_next_free_vgpr 1
		.amdhsa_next_free_sgpr 0
		.amdhsa_accum_offset 4
		.amdhsa_reserve_vcc 0
		.amdhsa_float_round_mode_32 0
		.amdhsa_float_round_mode_16_64 0
		.amdhsa_float_denorm_mode_32 3
		.amdhsa_float_denorm_mode_16_64 3
		.amdhsa_dx10_clamp 1
		.amdhsa_ieee_mode 1
		.amdhsa_fp16_overflow 0
		.amdhsa_tg_split 0
		.amdhsa_exception_fp_ieee_invalid_op 0
		.amdhsa_exception_fp_denorm_src 0
		.amdhsa_exception_fp_ieee_div_zero 0
		.amdhsa_exception_fp_ieee_overflow 0
		.amdhsa_exception_fp_ieee_underflow 0
		.amdhsa_exception_fp_ieee_inexact 0
		.amdhsa_exception_int_div_zero 0
	.end_amdhsa_kernel
	.section	.text._ZN7rocprim17ROCPRIM_400000_NS6detail17trampoline_kernelINS0_14default_configENS1_22reduce_config_selectorIN6thrust23THRUST_200600_302600_NS5tupleIblNS6_9null_typeES8_S8_S8_S8_S8_S8_S8_EEEEZNS1_11reduce_implILb1ES3_NS6_12zip_iteratorINS7_INS6_11hip_rocprim26transform_input_iterator_tIbNSD_35transform_pair_of_input_iterators_tIbNS6_6detail15normal_iteratorINS6_10device_ptrIKfEEEESL_NS6_8equal_toIfEEEENSG_9not_fun_tINSD_8identityEEEEENSD_19counting_iterator_tIlEES8_S8_S8_S8_S8_S8_S8_S8_EEEEPS9_S9_NSD_9__find_if7functorIS9_EEEE10hipError_tPvRmT1_T2_T3_mT4_P12ihipStream_tbEUlT_E0_NS1_11comp_targetILNS1_3genE4ELNS1_11target_archE910ELNS1_3gpuE8ELNS1_3repE0EEENS1_30default_config_static_selectorELNS0_4arch9wavefront6targetE1EEEvS14_,"axG",@progbits,_ZN7rocprim17ROCPRIM_400000_NS6detail17trampoline_kernelINS0_14default_configENS1_22reduce_config_selectorIN6thrust23THRUST_200600_302600_NS5tupleIblNS6_9null_typeES8_S8_S8_S8_S8_S8_S8_EEEEZNS1_11reduce_implILb1ES3_NS6_12zip_iteratorINS7_INS6_11hip_rocprim26transform_input_iterator_tIbNSD_35transform_pair_of_input_iterators_tIbNS6_6detail15normal_iteratorINS6_10device_ptrIKfEEEESL_NS6_8equal_toIfEEEENSG_9not_fun_tINSD_8identityEEEEENSD_19counting_iterator_tIlEES8_S8_S8_S8_S8_S8_S8_S8_EEEEPS9_S9_NSD_9__find_if7functorIS9_EEEE10hipError_tPvRmT1_T2_T3_mT4_P12ihipStream_tbEUlT_E0_NS1_11comp_targetILNS1_3genE4ELNS1_11target_archE910ELNS1_3gpuE8ELNS1_3repE0EEENS1_30default_config_static_selectorELNS0_4arch9wavefront6targetE1EEEvS14_,comdat
.Lfunc_end361:
	.size	_ZN7rocprim17ROCPRIM_400000_NS6detail17trampoline_kernelINS0_14default_configENS1_22reduce_config_selectorIN6thrust23THRUST_200600_302600_NS5tupleIblNS6_9null_typeES8_S8_S8_S8_S8_S8_S8_EEEEZNS1_11reduce_implILb1ES3_NS6_12zip_iteratorINS7_INS6_11hip_rocprim26transform_input_iterator_tIbNSD_35transform_pair_of_input_iterators_tIbNS6_6detail15normal_iteratorINS6_10device_ptrIKfEEEESL_NS6_8equal_toIfEEEENSG_9not_fun_tINSD_8identityEEEEENSD_19counting_iterator_tIlEES8_S8_S8_S8_S8_S8_S8_S8_EEEEPS9_S9_NSD_9__find_if7functorIS9_EEEE10hipError_tPvRmT1_T2_T3_mT4_P12ihipStream_tbEUlT_E0_NS1_11comp_targetILNS1_3genE4ELNS1_11target_archE910ELNS1_3gpuE8ELNS1_3repE0EEENS1_30default_config_static_selectorELNS0_4arch9wavefront6targetE1EEEvS14_, .Lfunc_end361-_ZN7rocprim17ROCPRIM_400000_NS6detail17trampoline_kernelINS0_14default_configENS1_22reduce_config_selectorIN6thrust23THRUST_200600_302600_NS5tupleIblNS6_9null_typeES8_S8_S8_S8_S8_S8_S8_EEEEZNS1_11reduce_implILb1ES3_NS6_12zip_iteratorINS7_INS6_11hip_rocprim26transform_input_iterator_tIbNSD_35transform_pair_of_input_iterators_tIbNS6_6detail15normal_iteratorINS6_10device_ptrIKfEEEESL_NS6_8equal_toIfEEEENSG_9not_fun_tINSD_8identityEEEEENSD_19counting_iterator_tIlEES8_S8_S8_S8_S8_S8_S8_S8_EEEEPS9_S9_NSD_9__find_if7functorIS9_EEEE10hipError_tPvRmT1_T2_T3_mT4_P12ihipStream_tbEUlT_E0_NS1_11comp_targetILNS1_3genE4ELNS1_11target_archE910ELNS1_3gpuE8ELNS1_3repE0EEENS1_30default_config_static_selectorELNS0_4arch9wavefront6targetE1EEEvS14_
                                        ; -- End function
	.set _ZN7rocprim17ROCPRIM_400000_NS6detail17trampoline_kernelINS0_14default_configENS1_22reduce_config_selectorIN6thrust23THRUST_200600_302600_NS5tupleIblNS6_9null_typeES8_S8_S8_S8_S8_S8_S8_EEEEZNS1_11reduce_implILb1ES3_NS6_12zip_iteratorINS7_INS6_11hip_rocprim26transform_input_iterator_tIbNSD_35transform_pair_of_input_iterators_tIbNS6_6detail15normal_iteratorINS6_10device_ptrIKfEEEESL_NS6_8equal_toIfEEEENSG_9not_fun_tINSD_8identityEEEEENSD_19counting_iterator_tIlEES8_S8_S8_S8_S8_S8_S8_S8_EEEEPS9_S9_NSD_9__find_if7functorIS9_EEEE10hipError_tPvRmT1_T2_T3_mT4_P12ihipStream_tbEUlT_E0_NS1_11comp_targetILNS1_3genE4ELNS1_11target_archE910ELNS1_3gpuE8ELNS1_3repE0EEENS1_30default_config_static_selectorELNS0_4arch9wavefront6targetE1EEEvS14_.num_vgpr, 0
	.set _ZN7rocprim17ROCPRIM_400000_NS6detail17trampoline_kernelINS0_14default_configENS1_22reduce_config_selectorIN6thrust23THRUST_200600_302600_NS5tupleIblNS6_9null_typeES8_S8_S8_S8_S8_S8_S8_EEEEZNS1_11reduce_implILb1ES3_NS6_12zip_iteratorINS7_INS6_11hip_rocprim26transform_input_iterator_tIbNSD_35transform_pair_of_input_iterators_tIbNS6_6detail15normal_iteratorINS6_10device_ptrIKfEEEESL_NS6_8equal_toIfEEEENSG_9not_fun_tINSD_8identityEEEEENSD_19counting_iterator_tIlEES8_S8_S8_S8_S8_S8_S8_S8_EEEEPS9_S9_NSD_9__find_if7functorIS9_EEEE10hipError_tPvRmT1_T2_T3_mT4_P12ihipStream_tbEUlT_E0_NS1_11comp_targetILNS1_3genE4ELNS1_11target_archE910ELNS1_3gpuE8ELNS1_3repE0EEENS1_30default_config_static_selectorELNS0_4arch9wavefront6targetE1EEEvS14_.num_agpr, 0
	.set _ZN7rocprim17ROCPRIM_400000_NS6detail17trampoline_kernelINS0_14default_configENS1_22reduce_config_selectorIN6thrust23THRUST_200600_302600_NS5tupleIblNS6_9null_typeES8_S8_S8_S8_S8_S8_S8_EEEEZNS1_11reduce_implILb1ES3_NS6_12zip_iteratorINS7_INS6_11hip_rocprim26transform_input_iterator_tIbNSD_35transform_pair_of_input_iterators_tIbNS6_6detail15normal_iteratorINS6_10device_ptrIKfEEEESL_NS6_8equal_toIfEEEENSG_9not_fun_tINSD_8identityEEEEENSD_19counting_iterator_tIlEES8_S8_S8_S8_S8_S8_S8_S8_EEEEPS9_S9_NSD_9__find_if7functorIS9_EEEE10hipError_tPvRmT1_T2_T3_mT4_P12ihipStream_tbEUlT_E0_NS1_11comp_targetILNS1_3genE4ELNS1_11target_archE910ELNS1_3gpuE8ELNS1_3repE0EEENS1_30default_config_static_selectorELNS0_4arch9wavefront6targetE1EEEvS14_.numbered_sgpr, 0
	.set _ZN7rocprim17ROCPRIM_400000_NS6detail17trampoline_kernelINS0_14default_configENS1_22reduce_config_selectorIN6thrust23THRUST_200600_302600_NS5tupleIblNS6_9null_typeES8_S8_S8_S8_S8_S8_S8_EEEEZNS1_11reduce_implILb1ES3_NS6_12zip_iteratorINS7_INS6_11hip_rocprim26transform_input_iterator_tIbNSD_35transform_pair_of_input_iterators_tIbNS6_6detail15normal_iteratorINS6_10device_ptrIKfEEEESL_NS6_8equal_toIfEEEENSG_9not_fun_tINSD_8identityEEEEENSD_19counting_iterator_tIlEES8_S8_S8_S8_S8_S8_S8_S8_EEEEPS9_S9_NSD_9__find_if7functorIS9_EEEE10hipError_tPvRmT1_T2_T3_mT4_P12ihipStream_tbEUlT_E0_NS1_11comp_targetILNS1_3genE4ELNS1_11target_archE910ELNS1_3gpuE8ELNS1_3repE0EEENS1_30default_config_static_selectorELNS0_4arch9wavefront6targetE1EEEvS14_.num_named_barrier, 0
	.set _ZN7rocprim17ROCPRIM_400000_NS6detail17trampoline_kernelINS0_14default_configENS1_22reduce_config_selectorIN6thrust23THRUST_200600_302600_NS5tupleIblNS6_9null_typeES8_S8_S8_S8_S8_S8_S8_EEEEZNS1_11reduce_implILb1ES3_NS6_12zip_iteratorINS7_INS6_11hip_rocprim26transform_input_iterator_tIbNSD_35transform_pair_of_input_iterators_tIbNS6_6detail15normal_iteratorINS6_10device_ptrIKfEEEESL_NS6_8equal_toIfEEEENSG_9not_fun_tINSD_8identityEEEEENSD_19counting_iterator_tIlEES8_S8_S8_S8_S8_S8_S8_S8_EEEEPS9_S9_NSD_9__find_if7functorIS9_EEEE10hipError_tPvRmT1_T2_T3_mT4_P12ihipStream_tbEUlT_E0_NS1_11comp_targetILNS1_3genE4ELNS1_11target_archE910ELNS1_3gpuE8ELNS1_3repE0EEENS1_30default_config_static_selectorELNS0_4arch9wavefront6targetE1EEEvS14_.private_seg_size, 0
	.set _ZN7rocprim17ROCPRIM_400000_NS6detail17trampoline_kernelINS0_14default_configENS1_22reduce_config_selectorIN6thrust23THRUST_200600_302600_NS5tupleIblNS6_9null_typeES8_S8_S8_S8_S8_S8_S8_EEEEZNS1_11reduce_implILb1ES3_NS6_12zip_iteratorINS7_INS6_11hip_rocprim26transform_input_iterator_tIbNSD_35transform_pair_of_input_iterators_tIbNS6_6detail15normal_iteratorINS6_10device_ptrIKfEEEESL_NS6_8equal_toIfEEEENSG_9not_fun_tINSD_8identityEEEEENSD_19counting_iterator_tIlEES8_S8_S8_S8_S8_S8_S8_S8_EEEEPS9_S9_NSD_9__find_if7functorIS9_EEEE10hipError_tPvRmT1_T2_T3_mT4_P12ihipStream_tbEUlT_E0_NS1_11comp_targetILNS1_3genE4ELNS1_11target_archE910ELNS1_3gpuE8ELNS1_3repE0EEENS1_30default_config_static_selectorELNS0_4arch9wavefront6targetE1EEEvS14_.uses_vcc, 0
	.set _ZN7rocprim17ROCPRIM_400000_NS6detail17trampoline_kernelINS0_14default_configENS1_22reduce_config_selectorIN6thrust23THRUST_200600_302600_NS5tupleIblNS6_9null_typeES8_S8_S8_S8_S8_S8_S8_EEEEZNS1_11reduce_implILb1ES3_NS6_12zip_iteratorINS7_INS6_11hip_rocprim26transform_input_iterator_tIbNSD_35transform_pair_of_input_iterators_tIbNS6_6detail15normal_iteratorINS6_10device_ptrIKfEEEESL_NS6_8equal_toIfEEEENSG_9not_fun_tINSD_8identityEEEEENSD_19counting_iterator_tIlEES8_S8_S8_S8_S8_S8_S8_S8_EEEEPS9_S9_NSD_9__find_if7functorIS9_EEEE10hipError_tPvRmT1_T2_T3_mT4_P12ihipStream_tbEUlT_E0_NS1_11comp_targetILNS1_3genE4ELNS1_11target_archE910ELNS1_3gpuE8ELNS1_3repE0EEENS1_30default_config_static_selectorELNS0_4arch9wavefront6targetE1EEEvS14_.uses_flat_scratch, 0
	.set _ZN7rocprim17ROCPRIM_400000_NS6detail17trampoline_kernelINS0_14default_configENS1_22reduce_config_selectorIN6thrust23THRUST_200600_302600_NS5tupleIblNS6_9null_typeES8_S8_S8_S8_S8_S8_S8_EEEEZNS1_11reduce_implILb1ES3_NS6_12zip_iteratorINS7_INS6_11hip_rocprim26transform_input_iterator_tIbNSD_35transform_pair_of_input_iterators_tIbNS6_6detail15normal_iteratorINS6_10device_ptrIKfEEEESL_NS6_8equal_toIfEEEENSG_9not_fun_tINSD_8identityEEEEENSD_19counting_iterator_tIlEES8_S8_S8_S8_S8_S8_S8_S8_EEEEPS9_S9_NSD_9__find_if7functorIS9_EEEE10hipError_tPvRmT1_T2_T3_mT4_P12ihipStream_tbEUlT_E0_NS1_11comp_targetILNS1_3genE4ELNS1_11target_archE910ELNS1_3gpuE8ELNS1_3repE0EEENS1_30default_config_static_selectorELNS0_4arch9wavefront6targetE1EEEvS14_.has_dyn_sized_stack, 0
	.set _ZN7rocprim17ROCPRIM_400000_NS6detail17trampoline_kernelINS0_14default_configENS1_22reduce_config_selectorIN6thrust23THRUST_200600_302600_NS5tupleIblNS6_9null_typeES8_S8_S8_S8_S8_S8_S8_EEEEZNS1_11reduce_implILb1ES3_NS6_12zip_iteratorINS7_INS6_11hip_rocprim26transform_input_iterator_tIbNSD_35transform_pair_of_input_iterators_tIbNS6_6detail15normal_iteratorINS6_10device_ptrIKfEEEESL_NS6_8equal_toIfEEEENSG_9not_fun_tINSD_8identityEEEEENSD_19counting_iterator_tIlEES8_S8_S8_S8_S8_S8_S8_S8_EEEEPS9_S9_NSD_9__find_if7functorIS9_EEEE10hipError_tPvRmT1_T2_T3_mT4_P12ihipStream_tbEUlT_E0_NS1_11comp_targetILNS1_3genE4ELNS1_11target_archE910ELNS1_3gpuE8ELNS1_3repE0EEENS1_30default_config_static_selectorELNS0_4arch9wavefront6targetE1EEEvS14_.has_recursion, 0
	.set _ZN7rocprim17ROCPRIM_400000_NS6detail17trampoline_kernelINS0_14default_configENS1_22reduce_config_selectorIN6thrust23THRUST_200600_302600_NS5tupleIblNS6_9null_typeES8_S8_S8_S8_S8_S8_S8_EEEEZNS1_11reduce_implILb1ES3_NS6_12zip_iteratorINS7_INS6_11hip_rocprim26transform_input_iterator_tIbNSD_35transform_pair_of_input_iterators_tIbNS6_6detail15normal_iteratorINS6_10device_ptrIKfEEEESL_NS6_8equal_toIfEEEENSG_9not_fun_tINSD_8identityEEEEENSD_19counting_iterator_tIlEES8_S8_S8_S8_S8_S8_S8_S8_EEEEPS9_S9_NSD_9__find_if7functorIS9_EEEE10hipError_tPvRmT1_T2_T3_mT4_P12ihipStream_tbEUlT_E0_NS1_11comp_targetILNS1_3genE4ELNS1_11target_archE910ELNS1_3gpuE8ELNS1_3repE0EEENS1_30default_config_static_selectorELNS0_4arch9wavefront6targetE1EEEvS14_.has_indirect_call, 0
	.section	.AMDGPU.csdata,"",@progbits
; Kernel info:
; codeLenInByte = 0
; TotalNumSgprs: 6
; NumVgprs: 0
; NumAgprs: 0
; TotalNumVgprs: 0
; ScratchSize: 0
; MemoryBound: 0
; FloatMode: 240
; IeeeMode: 1
; LDSByteSize: 0 bytes/workgroup (compile time only)
; SGPRBlocks: 0
; VGPRBlocks: 0
; NumSGPRsForWavesPerEU: 6
; NumVGPRsForWavesPerEU: 1
; AccumOffset: 4
; Occupancy: 8
; WaveLimiterHint : 0
; COMPUTE_PGM_RSRC2:SCRATCH_EN: 0
; COMPUTE_PGM_RSRC2:USER_SGPR: 2
; COMPUTE_PGM_RSRC2:TRAP_HANDLER: 0
; COMPUTE_PGM_RSRC2:TGID_X_EN: 1
; COMPUTE_PGM_RSRC2:TGID_Y_EN: 0
; COMPUTE_PGM_RSRC2:TGID_Z_EN: 0
; COMPUTE_PGM_RSRC2:TIDIG_COMP_CNT: 0
; COMPUTE_PGM_RSRC3_GFX90A:ACCUM_OFFSET: 0
; COMPUTE_PGM_RSRC3_GFX90A:TG_SPLIT: 0
	.section	.text._ZN7rocprim17ROCPRIM_400000_NS6detail17trampoline_kernelINS0_14default_configENS1_22reduce_config_selectorIN6thrust23THRUST_200600_302600_NS5tupleIblNS6_9null_typeES8_S8_S8_S8_S8_S8_S8_EEEEZNS1_11reduce_implILb1ES3_NS6_12zip_iteratorINS7_INS6_11hip_rocprim26transform_input_iterator_tIbNSD_35transform_pair_of_input_iterators_tIbNS6_6detail15normal_iteratorINS6_10device_ptrIKfEEEESL_NS6_8equal_toIfEEEENSG_9not_fun_tINSD_8identityEEEEENSD_19counting_iterator_tIlEES8_S8_S8_S8_S8_S8_S8_S8_EEEEPS9_S9_NSD_9__find_if7functorIS9_EEEE10hipError_tPvRmT1_T2_T3_mT4_P12ihipStream_tbEUlT_E0_NS1_11comp_targetILNS1_3genE3ELNS1_11target_archE908ELNS1_3gpuE7ELNS1_3repE0EEENS1_30default_config_static_selectorELNS0_4arch9wavefront6targetE1EEEvS14_,"axG",@progbits,_ZN7rocprim17ROCPRIM_400000_NS6detail17trampoline_kernelINS0_14default_configENS1_22reduce_config_selectorIN6thrust23THRUST_200600_302600_NS5tupleIblNS6_9null_typeES8_S8_S8_S8_S8_S8_S8_EEEEZNS1_11reduce_implILb1ES3_NS6_12zip_iteratorINS7_INS6_11hip_rocprim26transform_input_iterator_tIbNSD_35transform_pair_of_input_iterators_tIbNS6_6detail15normal_iteratorINS6_10device_ptrIKfEEEESL_NS6_8equal_toIfEEEENSG_9not_fun_tINSD_8identityEEEEENSD_19counting_iterator_tIlEES8_S8_S8_S8_S8_S8_S8_S8_EEEEPS9_S9_NSD_9__find_if7functorIS9_EEEE10hipError_tPvRmT1_T2_T3_mT4_P12ihipStream_tbEUlT_E0_NS1_11comp_targetILNS1_3genE3ELNS1_11target_archE908ELNS1_3gpuE7ELNS1_3repE0EEENS1_30default_config_static_selectorELNS0_4arch9wavefront6targetE1EEEvS14_,comdat
	.protected	_ZN7rocprim17ROCPRIM_400000_NS6detail17trampoline_kernelINS0_14default_configENS1_22reduce_config_selectorIN6thrust23THRUST_200600_302600_NS5tupleIblNS6_9null_typeES8_S8_S8_S8_S8_S8_S8_EEEEZNS1_11reduce_implILb1ES3_NS6_12zip_iteratorINS7_INS6_11hip_rocprim26transform_input_iterator_tIbNSD_35transform_pair_of_input_iterators_tIbNS6_6detail15normal_iteratorINS6_10device_ptrIKfEEEESL_NS6_8equal_toIfEEEENSG_9not_fun_tINSD_8identityEEEEENSD_19counting_iterator_tIlEES8_S8_S8_S8_S8_S8_S8_S8_EEEEPS9_S9_NSD_9__find_if7functorIS9_EEEE10hipError_tPvRmT1_T2_T3_mT4_P12ihipStream_tbEUlT_E0_NS1_11comp_targetILNS1_3genE3ELNS1_11target_archE908ELNS1_3gpuE7ELNS1_3repE0EEENS1_30default_config_static_selectorELNS0_4arch9wavefront6targetE1EEEvS14_ ; -- Begin function _ZN7rocprim17ROCPRIM_400000_NS6detail17trampoline_kernelINS0_14default_configENS1_22reduce_config_selectorIN6thrust23THRUST_200600_302600_NS5tupleIblNS6_9null_typeES8_S8_S8_S8_S8_S8_S8_EEEEZNS1_11reduce_implILb1ES3_NS6_12zip_iteratorINS7_INS6_11hip_rocprim26transform_input_iterator_tIbNSD_35transform_pair_of_input_iterators_tIbNS6_6detail15normal_iteratorINS6_10device_ptrIKfEEEESL_NS6_8equal_toIfEEEENSG_9not_fun_tINSD_8identityEEEEENSD_19counting_iterator_tIlEES8_S8_S8_S8_S8_S8_S8_S8_EEEEPS9_S9_NSD_9__find_if7functorIS9_EEEE10hipError_tPvRmT1_T2_T3_mT4_P12ihipStream_tbEUlT_E0_NS1_11comp_targetILNS1_3genE3ELNS1_11target_archE908ELNS1_3gpuE7ELNS1_3repE0EEENS1_30default_config_static_selectorELNS0_4arch9wavefront6targetE1EEEvS14_
	.globl	_ZN7rocprim17ROCPRIM_400000_NS6detail17trampoline_kernelINS0_14default_configENS1_22reduce_config_selectorIN6thrust23THRUST_200600_302600_NS5tupleIblNS6_9null_typeES8_S8_S8_S8_S8_S8_S8_EEEEZNS1_11reduce_implILb1ES3_NS6_12zip_iteratorINS7_INS6_11hip_rocprim26transform_input_iterator_tIbNSD_35transform_pair_of_input_iterators_tIbNS6_6detail15normal_iteratorINS6_10device_ptrIKfEEEESL_NS6_8equal_toIfEEEENSG_9not_fun_tINSD_8identityEEEEENSD_19counting_iterator_tIlEES8_S8_S8_S8_S8_S8_S8_S8_EEEEPS9_S9_NSD_9__find_if7functorIS9_EEEE10hipError_tPvRmT1_T2_T3_mT4_P12ihipStream_tbEUlT_E0_NS1_11comp_targetILNS1_3genE3ELNS1_11target_archE908ELNS1_3gpuE7ELNS1_3repE0EEENS1_30default_config_static_selectorELNS0_4arch9wavefront6targetE1EEEvS14_
	.p2align	8
	.type	_ZN7rocprim17ROCPRIM_400000_NS6detail17trampoline_kernelINS0_14default_configENS1_22reduce_config_selectorIN6thrust23THRUST_200600_302600_NS5tupleIblNS6_9null_typeES8_S8_S8_S8_S8_S8_S8_EEEEZNS1_11reduce_implILb1ES3_NS6_12zip_iteratorINS7_INS6_11hip_rocprim26transform_input_iterator_tIbNSD_35transform_pair_of_input_iterators_tIbNS6_6detail15normal_iteratorINS6_10device_ptrIKfEEEESL_NS6_8equal_toIfEEEENSG_9not_fun_tINSD_8identityEEEEENSD_19counting_iterator_tIlEES8_S8_S8_S8_S8_S8_S8_S8_EEEEPS9_S9_NSD_9__find_if7functorIS9_EEEE10hipError_tPvRmT1_T2_T3_mT4_P12ihipStream_tbEUlT_E0_NS1_11comp_targetILNS1_3genE3ELNS1_11target_archE908ELNS1_3gpuE7ELNS1_3repE0EEENS1_30default_config_static_selectorELNS0_4arch9wavefront6targetE1EEEvS14_,@function
_ZN7rocprim17ROCPRIM_400000_NS6detail17trampoline_kernelINS0_14default_configENS1_22reduce_config_selectorIN6thrust23THRUST_200600_302600_NS5tupleIblNS6_9null_typeES8_S8_S8_S8_S8_S8_S8_EEEEZNS1_11reduce_implILb1ES3_NS6_12zip_iteratorINS7_INS6_11hip_rocprim26transform_input_iterator_tIbNSD_35transform_pair_of_input_iterators_tIbNS6_6detail15normal_iteratorINS6_10device_ptrIKfEEEESL_NS6_8equal_toIfEEEENSG_9not_fun_tINSD_8identityEEEEENSD_19counting_iterator_tIlEES8_S8_S8_S8_S8_S8_S8_S8_EEEEPS9_S9_NSD_9__find_if7functorIS9_EEEE10hipError_tPvRmT1_T2_T3_mT4_P12ihipStream_tbEUlT_E0_NS1_11comp_targetILNS1_3genE3ELNS1_11target_archE908ELNS1_3gpuE7ELNS1_3repE0EEENS1_30default_config_static_selectorELNS0_4arch9wavefront6targetE1EEEvS14_: ; @_ZN7rocprim17ROCPRIM_400000_NS6detail17trampoline_kernelINS0_14default_configENS1_22reduce_config_selectorIN6thrust23THRUST_200600_302600_NS5tupleIblNS6_9null_typeES8_S8_S8_S8_S8_S8_S8_EEEEZNS1_11reduce_implILb1ES3_NS6_12zip_iteratorINS7_INS6_11hip_rocprim26transform_input_iterator_tIbNSD_35transform_pair_of_input_iterators_tIbNS6_6detail15normal_iteratorINS6_10device_ptrIKfEEEESL_NS6_8equal_toIfEEEENSG_9not_fun_tINSD_8identityEEEEENSD_19counting_iterator_tIlEES8_S8_S8_S8_S8_S8_S8_S8_EEEEPS9_S9_NSD_9__find_if7functorIS9_EEEE10hipError_tPvRmT1_T2_T3_mT4_P12ihipStream_tbEUlT_E0_NS1_11comp_targetILNS1_3genE3ELNS1_11target_archE908ELNS1_3gpuE7ELNS1_3repE0EEENS1_30default_config_static_selectorELNS0_4arch9wavefront6targetE1EEEvS14_
; %bb.0:
	.section	.rodata,"a",@progbits
	.p2align	6, 0x0
	.amdhsa_kernel _ZN7rocprim17ROCPRIM_400000_NS6detail17trampoline_kernelINS0_14default_configENS1_22reduce_config_selectorIN6thrust23THRUST_200600_302600_NS5tupleIblNS6_9null_typeES8_S8_S8_S8_S8_S8_S8_EEEEZNS1_11reduce_implILb1ES3_NS6_12zip_iteratorINS7_INS6_11hip_rocprim26transform_input_iterator_tIbNSD_35transform_pair_of_input_iterators_tIbNS6_6detail15normal_iteratorINS6_10device_ptrIKfEEEESL_NS6_8equal_toIfEEEENSG_9not_fun_tINSD_8identityEEEEENSD_19counting_iterator_tIlEES8_S8_S8_S8_S8_S8_S8_S8_EEEEPS9_S9_NSD_9__find_if7functorIS9_EEEE10hipError_tPvRmT1_T2_T3_mT4_P12ihipStream_tbEUlT_E0_NS1_11comp_targetILNS1_3genE3ELNS1_11target_archE908ELNS1_3gpuE7ELNS1_3repE0EEENS1_30default_config_static_selectorELNS0_4arch9wavefront6targetE1EEEvS14_
		.amdhsa_group_segment_fixed_size 0
		.amdhsa_private_segment_fixed_size 0
		.amdhsa_kernarg_size 104
		.amdhsa_user_sgpr_count 2
		.amdhsa_user_sgpr_dispatch_ptr 0
		.amdhsa_user_sgpr_queue_ptr 0
		.amdhsa_user_sgpr_kernarg_segment_ptr 1
		.amdhsa_user_sgpr_dispatch_id 0
		.amdhsa_user_sgpr_kernarg_preload_length 0
		.amdhsa_user_sgpr_kernarg_preload_offset 0
		.amdhsa_user_sgpr_private_segment_size 0
		.amdhsa_uses_dynamic_stack 0
		.amdhsa_enable_private_segment 0
		.amdhsa_system_sgpr_workgroup_id_x 1
		.amdhsa_system_sgpr_workgroup_id_y 0
		.amdhsa_system_sgpr_workgroup_id_z 0
		.amdhsa_system_sgpr_workgroup_info 0
		.amdhsa_system_vgpr_workitem_id 0
		.amdhsa_next_free_vgpr 1
		.amdhsa_next_free_sgpr 0
		.amdhsa_accum_offset 4
		.amdhsa_reserve_vcc 0
		.amdhsa_float_round_mode_32 0
		.amdhsa_float_round_mode_16_64 0
		.amdhsa_float_denorm_mode_32 3
		.amdhsa_float_denorm_mode_16_64 3
		.amdhsa_dx10_clamp 1
		.amdhsa_ieee_mode 1
		.amdhsa_fp16_overflow 0
		.amdhsa_tg_split 0
		.amdhsa_exception_fp_ieee_invalid_op 0
		.amdhsa_exception_fp_denorm_src 0
		.amdhsa_exception_fp_ieee_div_zero 0
		.amdhsa_exception_fp_ieee_overflow 0
		.amdhsa_exception_fp_ieee_underflow 0
		.amdhsa_exception_fp_ieee_inexact 0
		.amdhsa_exception_int_div_zero 0
	.end_amdhsa_kernel
	.section	.text._ZN7rocprim17ROCPRIM_400000_NS6detail17trampoline_kernelINS0_14default_configENS1_22reduce_config_selectorIN6thrust23THRUST_200600_302600_NS5tupleIblNS6_9null_typeES8_S8_S8_S8_S8_S8_S8_EEEEZNS1_11reduce_implILb1ES3_NS6_12zip_iteratorINS7_INS6_11hip_rocprim26transform_input_iterator_tIbNSD_35transform_pair_of_input_iterators_tIbNS6_6detail15normal_iteratorINS6_10device_ptrIKfEEEESL_NS6_8equal_toIfEEEENSG_9not_fun_tINSD_8identityEEEEENSD_19counting_iterator_tIlEES8_S8_S8_S8_S8_S8_S8_S8_EEEEPS9_S9_NSD_9__find_if7functorIS9_EEEE10hipError_tPvRmT1_T2_T3_mT4_P12ihipStream_tbEUlT_E0_NS1_11comp_targetILNS1_3genE3ELNS1_11target_archE908ELNS1_3gpuE7ELNS1_3repE0EEENS1_30default_config_static_selectorELNS0_4arch9wavefront6targetE1EEEvS14_,"axG",@progbits,_ZN7rocprim17ROCPRIM_400000_NS6detail17trampoline_kernelINS0_14default_configENS1_22reduce_config_selectorIN6thrust23THRUST_200600_302600_NS5tupleIblNS6_9null_typeES8_S8_S8_S8_S8_S8_S8_EEEEZNS1_11reduce_implILb1ES3_NS6_12zip_iteratorINS7_INS6_11hip_rocprim26transform_input_iterator_tIbNSD_35transform_pair_of_input_iterators_tIbNS6_6detail15normal_iteratorINS6_10device_ptrIKfEEEESL_NS6_8equal_toIfEEEENSG_9not_fun_tINSD_8identityEEEEENSD_19counting_iterator_tIlEES8_S8_S8_S8_S8_S8_S8_S8_EEEEPS9_S9_NSD_9__find_if7functorIS9_EEEE10hipError_tPvRmT1_T2_T3_mT4_P12ihipStream_tbEUlT_E0_NS1_11comp_targetILNS1_3genE3ELNS1_11target_archE908ELNS1_3gpuE7ELNS1_3repE0EEENS1_30default_config_static_selectorELNS0_4arch9wavefront6targetE1EEEvS14_,comdat
.Lfunc_end362:
	.size	_ZN7rocprim17ROCPRIM_400000_NS6detail17trampoline_kernelINS0_14default_configENS1_22reduce_config_selectorIN6thrust23THRUST_200600_302600_NS5tupleIblNS6_9null_typeES8_S8_S8_S8_S8_S8_S8_EEEEZNS1_11reduce_implILb1ES3_NS6_12zip_iteratorINS7_INS6_11hip_rocprim26transform_input_iterator_tIbNSD_35transform_pair_of_input_iterators_tIbNS6_6detail15normal_iteratorINS6_10device_ptrIKfEEEESL_NS6_8equal_toIfEEEENSG_9not_fun_tINSD_8identityEEEEENSD_19counting_iterator_tIlEES8_S8_S8_S8_S8_S8_S8_S8_EEEEPS9_S9_NSD_9__find_if7functorIS9_EEEE10hipError_tPvRmT1_T2_T3_mT4_P12ihipStream_tbEUlT_E0_NS1_11comp_targetILNS1_3genE3ELNS1_11target_archE908ELNS1_3gpuE7ELNS1_3repE0EEENS1_30default_config_static_selectorELNS0_4arch9wavefront6targetE1EEEvS14_, .Lfunc_end362-_ZN7rocprim17ROCPRIM_400000_NS6detail17trampoline_kernelINS0_14default_configENS1_22reduce_config_selectorIN6thrust23THRUST_200600_302600_NS5tupleIblNS6_9null_typeES8_S8_S8_S8_S8_S8_S8_EEEEZNS1_11reduce_implILb1ES3_NS6_12zip_iteratorINS7_INS6_11hip_rocprim26transform_input_iterator_tIbNSD_35transform_pair_of_input_iterators_tIbNS6_6detail15normal_iteratorINS6_10device_ptrIKfEEEESL_NS6_8equal_toIfEEEENSG_9not_fun_tINSD_8identityEEEEENSD_19counting_iterator_tIlEES8_S8_S8_S8_S8_S8_S8_S8_EEEEPS9_S9_NSD_9__find_if7functorIS9_EEEE10hipError_tPvRmT1_T2_T3_mT4_P12ihipStream_tbEUlT_E0_NS1_11comp_targetILNS1_3genE3ELNS1_11target_archE908ELNS1_3gpuE7ELNS1_3repE0EEENS1_30default_config_static_selectorELNS0_4arch9wavefront6targetE1EEEvS14_
                                        ; -- End function
	.set _ZN7rocprim17ROCPRIM_400000_NS6detail17trampoline_kernelINS0_14default_configENS1_22reduce_config_selectorIN6thrust23THRUST_200600_302600_NS5tupleIblNS6_9null_typeES8_S8_S8_S8_S8_S8_S8_EEEEZNS1_11reduce_implILb1ES3_NS6_12zip_iteratorINS7_INS6_11hip_rocprim26transform_input_iterator_tIbNSD_35transform_pair_of_input_iterators_tIbNS6_6detail15normal_iteratorINS6_10device_ptrIKfEEEESL_NS6_8equal_toIfEEEENSG_9not_fun_tINSD_8identityEEEEENSD_19counting_iterator_tIlEES8_S8_S8_S8_S8_S8_S8_S8_EEEEPS9_S9_NSD_9__find_if7functorIS9_EEEE10hipError_tPvRmT1_T2_T3_mT4_P12ihipStream_tbEUlT_E0_NS1_11comp_targetILNS1_3genE3ELNS1_11target_archE908ELNS1_3gpuE7ELNS1_3repE0EEENS1_30default_config_static_selectorELNS0_4arch9wavefront6targetE1EEEvS14_.num_vgpr, 0
	.set _ZN7rocprim17ROCPRIM_400000_NS6detail17trampoline_kernelINS0_14default_configENS1_22reduce_config_selectorIN6thrust23THRUST_200600_302600_NS5tupleIblNS6_9null_typeES8_S8_S8_S8_S8_S8_S8_EEEEZNS1_11reduce_implILb1ES3_NS6_12zip_iteratorINS7_INS6_11hip_rocprim26transform_input_iterator_tIbNSD_35transform_pair_of_input_iterators_tIbNS6_6detail15normal_iteratorINS6_10device_ptrIKfEEEESL_NS6_8equal_toIfEEEENSG_9not_fun_tINSD_8identityEEEEENSD_19counting_iterator_tIlEES8_S8_S8_S8_S8_S8_S8_S8_EEEEPS9_S9_NSD_9__find_if7functorIS9_EEEE10hipError_tPvRmT1_T2_T3_mT4_P12ihipStream_tbEUlT_E0_NS1_11comp_targetILNS1_3genE3ELNS1_11target_archE908ELNS1_3gpuE7ELNS1_3repE0EEENS1_30default_config_static_selectorELNS0_4arch9wavefront6targetE1EEEvS14_.num_agpr, 0
	.set _ZN7rocprim17ROCPRIM_400000_NS6detail17trampoline_kernelINS0_14default_configENS1_22reduce_config_selectorIN6thrust23THRUST_200600_302600_NS5tupleIblNS6_9null_typeES8_S8_S8_S8_S8_S8_S8_EEEEZNS1_11reduce_implILb1ES3_NS6_12zip_iteratorINS7_INS6_11hip_rocprim26transform_input_iterator_tIbNSD_35transform_pair_of_input_iterators_tIbNS6_6detail15normal_iteratorINS6_10device_ptrIKfEEEESL_NS6_8equal_toIfEEEENSG_9not_fun_tINSD_8identityEEEEENSD_19counting_iterator_tIlEES8_S8_S8_S8_S8_S8_S8_S8_EEEEPS9_S9_NSD_9__find_if7functorIS9_EEEE10hipError_tPvRmT1_T2_T3_mT4_P12ihipStream_tbEUlT_E0_NS1_11comp_targetILNS1_3genE3ELNS1_11target_archE908ELNS1_3gpuE7ELNS1_3repE0EEENS1_30default_config_static_selectorELNS0_4arch9wavefront6targetE1EEEvS14_.numbered_sgpr, 0
	.set _ZN7rocprim17ROCPRIM_400000_NS6detail17trampoline_kernelINS0_14default_configENS1_22reduce_config_selectorIN6thrust23THRUST_200600_302600_NS5tupleIblNS6_9null_typeES8_S8_S8_S8_S8_S8_S8_EEEEZNS1_11reduce_implILb1ES3_NS6_12zip_iteratorINS7_INS6_11hip_rocprim26transform_input_iterator_tIbNSD_35transform_pair_of_input_iterators_tIbNS6_6detail15normal_iteratorINS6_10device_ptrIKfEEEESL_NS6_8equal_toIfEEEENSG_9not_fun_tINSD_8identityEEEEENSD_19counting_iterator_tIlEES8_S8_S8_S8_S8_S8_S8_S8_EEEEPS9_S9_NSD_9__find_if7functorIS9_EEEE10hipError_tPvRmT1_T2_T3_mT4_P12ihipStream_tbEUlT_E0_NS1_11comp_targetILNS1_3genE3ELNS1_11target_archE908ELNS1_3gpuE7ELNS1_3repE0EEENS1_30default_config_static_selectorELNS0_4arch9wavefront6targetE1EEEvS14_.num_named_barrier, 0
	.set _ZN7rocprim17ROCPRIM_400000_NS6detail17trampoline_kernelINS0_14default_configENS1_22reduce_config_selectorIN6thrust23THRUST_200600_302600_NS5tupleIblNS6_9null_typeES8_S8_S8_S8_S8_S8_S8_EEEEZNS1_11reduce_implILb1ES3_NS6_12zip_iteratorINS7_INS6_11hip_rocprim26transform_input_iterator_tIbNSD_35transform_pair_of_input_iterators_tIbNS6_6detail15normal_iteratorINS6_10device_ptrIKfEEEESL_NS6_8equal_toIfEEEENSG_9not_fun_tINSD_8identityEEEEENSD_19counting_iterator_tIlEES8_S8_S8_S8_S8_S8_S8_S8_EEEEPS9_S9_NSD_9__find_if7functorIS9_EEEE10hipError_tPvRmT1_T2_T3_mT4_P12ihipStream_tbEUlT_E0_NS1_11comp_targetILNS1_3genE3ELNS1_11target_archE908ELNS1_3gpuE7ELNS1_3repE0EEENS1_30default_config_static_selectorELNS0_4arch9wavefront6targetE1EEEvS14_.private_seg_size, 0
	.set _ZN7rocprim17ROCPRIM_400000_NS6detail17trampoline_kernelINS0_14default_configENS1_22reduce_config_selectorIN6thrust23THRUST_200600_302600_NS5tupleIblNS6_9null_typeES8_S8_S8_S8_S8_S8_S8_EEEEZNS1_11reduce_implILb1ES3_NS6_12zip_iteratorINS7_INS6_11hip_rocprim26transform_input_iterator_tIbNSD_35transform_pair_of_input_iterators_tIbNS6_6detail15normal_iteratorINS6_10device_ptrIKfEEEESL_NS6_8equal_toIfEEEENSG_9not_fun_tINSD_8identityEEEEENSD_19counting_iterator_tIlEES8_S8_S8_S8_S8_S8_S8_S8_EEEEPS9_S9_NSD_9__find_if7functorIS9_EEEE10hipError_tPvRmT1_T2_T3_mT4_P12ihipStream_tbEUlT_E0_NS1_11comp_targetILNS1_3genE3ELNS1_11target_archE908ELNS1_3gpuE7ELNS1_3repE0EEENS1_30default_config_static_selectorELNS0_4arch9wavefront6targetE1EEEvS14_.uses_vcc, 0
	.set _ZN7rocprim17ROCPRIM_400000_NS6detail17trampoline_kernelINS0_14default_configENS1_22reduce_config_selectorIN6thrust23THRUST_200600_302600_NS5tupleIblNS6_9null_typeES8_S8_S8_S8_S8_S8_S8_EEEEZNS1_11reduce_implILb1ES3_NS6_12zip_iteratorINS7_INS6_11hip_rocprim26transform_input_iterator_tIbNSD_35transform_pair_of_input_iterators_tIbNS6_6detail15normal_iteratorINS6_10device_ptrIKfEEEESL_NS6_8equal_toIfEEEENSG_9not_fun_tINSD_8identityEEEEENSD_19counting_iterator_tIlEES8_S8_S8_S8_S8_S8_S8_S8_EEEEPS9_S9_NSD_9__find_if7functorIS9_EEEE10hipError_tPvRmT1_T2_T3_mT4_P12ihipStream_tbEUlT_E0_NS1_11comp_targetILNS1_3genE3ELNS1_11target_archE908ELNS1_3gpuE7ELNS1_3repE0EEENS1_30default_config_static_selectorELNS0_4arch9wavefront6targetE1EEEvS14_.uses_flat_scratch, 0
	.set _ZN7rocprim17ROCPRIM_400000_NS6detail17trampoline_kernelINS0_14default_configENS1_22reduce_config_selectorIN6thrust23THRUST_200600_302600_NS5tupleIblNS6_9null_typeES8_S8_S8_S8_S8_S8_S8_EEEEZNS1_11reduce_implILb1ES3_NS6_12zip_iteratorINS7_INS6_11hip_rocprim26transform_input_iterator_tIbNSD_35transform_pair_of_input_iterators_tIbNS6_6detail15normal_iteratorINS6_10device_ptrIKfEEEESL_NS6_8equal_toIfEEEENSG_9not_fun_tINSD_8identityEEEEENSD_19counting_iterator_tIlEES8_S8_S8_S8_S8_S8_S8_S8_EEEEPS9_S9_NSD_9__find_if7functorIS9_EEEE10hipError_tPvRmT1_T2_T3_mT4_P12ihipStream_tbEUlT_E0_NS1_11comp_targetILNS1_3genE3ELNS1_11target_archE908ELNS1_3gpuE7ELNS1_3repE0EEENS1_30default_config_static_selectorELNS0_4arch9wavefront6targetE1EEEvS14_.has_dyn_sized_stack, 0
	.set _ZN7rocprim17ROCPRIM_400000_NS6detail17trampoline_kernelINS0_14default_configENS1_22reduce_config_selectorIN6thrust23THRUST_200600_302600_NS5tupleIblNS6_9null_typeES8_S8_S8_S8_S8_S8_S8_EEEEZNS1_11reduce_implILb1ES3_NS6_12zip_iteratorINS7_INS6_11hip_rocprim26transform_input_iterator_tIbNSD_35transform_pair_of_input_iterators_tIbNS6_6detail15normal_iteratorINS6_10device_ptrIKfEEEESL_NS6_8equal_toIfEEEENSG_9not_fun_tINSD_8identityEEEEENSD_19counting_iterator_tIlEES8_S8_S8_S8_S8_S8_S8_S8_EEEEPS9_S9_NSD_9__find_if7functorIS9_EEEE10hipError_tPvRmT1_T2_T3_mT4_P12ihipStream_tbEUlT_E0_NS1_11comp_targetILNS1_3genE3ELNS1_11target_archE908ELNS1_3gpuE7ELNS1_3repE0EEENS1_30default_config_static_selectorELNS0_4arch9wavefront6targetE1EEEvS14_.has_recursion, 0
	.set _ZN7rocprim17ROCPRIM_400000_NS6detail17trampoline_kernelINS0_14default_configENS1_22reduce_config_selectorIN6thrust23THRUST_200600_302600_NS5tupleIblNS6_9null_typeES8_S8_S8_S8_S8_S8_S8_EEEEZNS1_11reduce_implILb1ES3_NS6_12zip_iteratorINS7_INS6_11hip_rocprim26transform_input_iterator_tIbNSD_35transform_pair_of_input_iterators_tIbNS6_6detail15normal_iteratorINS6_10device_ptrIKfEEEESL_NS6_8equal_toIfEEEENSG_9not_fun_tINSD_8identityEEEEENSD_19counting_iterator_tIlEES8_S8_S8_S8_S8_S8_S8_S8_EEEEPS9_S9_NSD_9__find_if7functorIS9_EEEE10hipError_tPvRmT1_T2_T3_mT4_P12ihipStream_tbEUlT_E0_NS1_11comp_targetILNS1_3genE3ELNS1_11target_archE908ELNS1_3gpuE7ELNS1_3repE0EEENS1_30default_config_static_selectorELNS0_4arch9wavefront6targetE1EEEvS14_.has_indirect_call, 0
	.section	.AMDGPU.csdata,"",@progbits
; Kernel info:
; codeLenInByte = 0
; TotalNumSgprs: 6
; NumVgprs: 0
; NumAgprs: 0
; TotalNumVgprs: 0
; ScratchSize: 0
; MemoryBound: 0
; FloatMode: 240
; IeeeMode: 1
; LDSByteSize: 0 bytes/workgroup (compile time only)
; SGPRBlocks: 0
; VGPRBlocks: 0
; NumSGPRsForWavesPerEU: 6
; NumVGPRsForWavesPerEU: 1
; AccumOffset: 4
; Occupancy: 8
; WaveLimiterHint : 0
; COMPUTE_PGM_RSRC2:SCRATCH_EN: 0
; COMPUTE_PGM_RSRC2:USER_SGPR: 2
; COMPUTE_PGM_RSRC2:TRAP_HANDLER: 0
; COMPUTE_PGM_RSRC2:TGID_X_EN: 1
; COMPUTE_PGM_RSRC2:TGID_Y_EN: 0
; COMPUTE_PGM_RSRC2:TGID_Z_EN: 0
; COMPUTE_PGM_RSRC2:TIDIG_COMP_CNT: 0
; COMPUTE_PGM_RSRC3_GFX90A:ACCUM_OFFSET: 0
; COMPUTE_PGM_RSRC3_GFX90A:TG_SPLIT: 0
	.section	.text._ZN7rocprim17ROCPRIM_400000_NS6detail17trampoline_kernelINS0_14default_configENS1_22reduce_config_selectorIN6thrust23THRUST_200600_302600_NS5tupleIblNS6_9null_typeES8_S8_S8_S8_S8_S8_S8_EEEEZNS1_11reduce_implILb1ES3_NS6_12zip_iteratorINS7_INS6_11hip_rocprim26transform_input_iterator_tIbNSD_35transform_pair_of_input_iterators_tIbNS6_6detail15normal_iteratorINS6_10device_ptrIKfEEEESL_NS6_8equal_toIfEEEENSG_9not_fun_tINSD_8identityEEEEENSD_19counting_iterator_tIlEES8_S8_S8_S8_S8_S8_S8_S8_EEEEPS9_S9_NSD_9__find_if7functorIS9_EEEE10hipError_tPvRmT1_T2_T3_mT4_P12ihipStream_tbEUlT_E0_NS1_11comp_targetILNS1_3genE2ELNS1_11target_archE906ELNS1_3gpuE6ELNS1_3repE0EEENS1_30default_config_static_selectorELNS0_4arch9wavefront6targetE1EEEvS14_,"axG",@progbits,_ZN7rocprim17ROCPRIM_400000_NS6detail17trampoline_kernelINS0_14default_configENS1_22reduce_config_selectorIN6thrust23THRUST_200600_302600_NS5tupleIblNS6_9null_typeES8_S8_S8_S8_S8_S8_S8_EEEEZNS1_11reduce_implILb1ES3_NS6_12zip_iteratorINS7_INS6_11hip_rocprim26transform_input_iterator_tIbNSD_35transform_pair_of_input_iterators_tIbNS6_6detail15normal_iteratorINS6_10device_ptrIKfEEEESL_NS6_8equal_toIfEEEENSG_9not_fun_tINSD_8identityEEEEENSD_19counting_iterator_tIlEES8_S8_S8_S8_S8_S8_S8_S8_EEEEPS9_S9_NSD_9__find_if7functorIS9_EEEE10hipError_tPvRmT1_T2_T3_mT4_P12ihipStream_tbEUlT_E0_NS1_11comp_targetILNS1_3genE2ELNS1_11target_archE906ELNS1_3gpuE6ELNS1_3repE0EEENS1_30default_config_static_selectorELNS0_4arch9wavefront6targetE1EEEvS14_,comdat
	.protected	_ZN7rocprim17ROCPRIM_400000_NS6detail17trampoline_kernelINS0_14default_configENS1_22reduce_config_selectorIN6thrust23THRUST_200600_302600_NS5tupleIblNS6_9null_typeES8_S8_S8_S8_S8_S8_S8_EEEEZNS1_11reduce_implILb1ES3_NS6_12zip_iteratorINS7_INS6_11hip_rocprim26transform_input_iterator_tIbNSD_35transform_pair_of_input_iterators_tIbNS6_6detail15normal_iteratorINS6_10device_ptrIKfEEEESL_NS6_8equal_toIfEEEENSG_9not_fun_tINSD_8identityEEEEENSD_19counting_iterator_tIlEES8_S8_S8_S8_S8_S8_S8_S8_EEEEPS9_S9_NSD_9__find_if7functorIS9_EEEE10hipError_tPvRmT1_T2_T3_mT4_P12ihipStream_tbEUlT_E0_NS1_11comp_targetILNS1_3genE2ELNS1_11target_archE906ELNS1_3gpuE6ELNS1_3repE0EEENS1_30default_config_static_selectorELNS0_4arch9wavefront6targetE1EEEvS14_ ; -- Begin function _ZN7rocprim17ROCPRIM_400000_NS6detail17trampoline_kernelINS0_14default_configENS1_22reduce_config_selectorIN6thrust23THRUST_200600_302600_NS5tupleIblNS6_9null_typeES8_S8_S8_S8_S8_S8_S8_EEEEZNS1_11reduce_implILb1ES3_NS6_12zip_iteratorINS7_INS6_11hip_rocprim26transform_input_iterator_tIbNSD_35transform_pair_of_input_iterators_tIbNS6_6detail15normal_iteratorINS6_10device_ptrIKfEEEESL_NS6_8equal_toIfEEEENSG_9not_fun_tINSD_8identityEEEEENSD_19counting_iterator_tIlEES8_S8_S8_S8_S8_S8_S8_S8_EEEEPS9_S9_NSD_9__find_if7functorIS9_EEEE10hipError_tPvRmT1_T2_T3_mT4_P12ihipStream_tbEUlT_E0_NS1_11comp_targetILNS1_3genE2ELNS1_11target_archE906ELNS1_3gpuE6ELNS1_3repE0EEENS1_30default_config_static_selectorELNS0_4arch9wavefront6targetE1EEEvS14_
	.globl	_ZN7rocprim17ROCPRIM_400000_NS6detail17trampoline_kernelINS0_14default_configENS1_22reduce_config_selectorIN6thrust23THRUST_200600_302600_NS5tupleIblNS6_9null_typeES8_S8_S8_S8_S8_S8_S8_EEEEZNS1_11reduce_implILb1ES3_NS6_12zip_iteratorINS7_INS6_11hip_rocprim26transform_input_iterator_tIbNSD_35transform_pair_of_input_iterators_tIbNS6_6detail15normal_iteratorINS6_10device_ptrIKfEEEESL_NS6_8equal_toIfEEEENSG_9not_fun_tINSD_8identityEEEEENSD_19counting_iterator_tIlEES8_S8_S8_S8_S8_S8_S8_S8_EEEEPS9_S9_NSD_9__find_if7functorIS9_EEEE10hipError_tPvRmT1_T2_T3_mT4_P12ihipStream_tbEUlT_E0_NS1_11comp_targetILNS1_3genE2ELNS1_11target_archE906ELNS1_3gpuE6ELNS1_3repE0EEENS1_30default_config_static_selectorELNS0_4arch9wavefront6targetE1EEEvS14_
	.p2align	8
	.type	_ZN7rocprim17ROCPRIM_400000_NS6detail17trampoline_kernelINS0_14default_configENS1_22reduce_config_selectorIN6thrust23THRUST_200600_302600_NS5tupleIblNS6_9null_typeES8_S8_S8_S8_S8_S8_S8_EEEEZNS1_11reduce_implILb1ES3_NS6_12zip_iteratorINS7_INS6_11hip_rocprim26transform_input_iterator_tIbNSD_35transform_pair_of_input_iterators_tIbNS6_6detail15normal_iteratorINS6_10device_ptrIKfEEEESL_NS6_8equal_toIfEEEENSG_9not_fun_tINSD_8identityEEEEENSD_19counting_iterator_tIlEES8_S8_S8_S8_S8_S8_S8_S8_EEEEPS9_S9_NSD_9__find_if7functorIS9_EEEE10hipError_tPvRmT1_T2_T3_mT4_P12ihipStream_tbEUlT_E0_NS1_11comp_targetILNS1_3genE2ELNS1_11target_archE906ELNS1_3gpuE6ELNS1_3repE0EEENS1_30default_config_static_selectorELNS0_4arch9wavefront6targetE1EEEvS14_,@function
_ZN7rocprim17ROCPRIM_400000_NS6detail17trampoline_kernelINS0_14default_configENS1_22reduce_config_selectorIN6thrust23THRUST_200600_302600_NS5tupleIblNS6_9null_typeES8_S8_S8_S8_S8_S8_S8_EEEEZNS1_11reduce_implILb1ES3_NS6_12zip_iteratorINS7_INS6_11hip_rocprim26transform_input_iterator_tIbNSD_35transform_pair_of_input_iterators_tIbNS6_6detail15normal_iteratorINS6_10device_ptrIKfEEEESL_NS6_8equal_toIfEEEENSG_9not_fun_tINSD_8identityEEEEENSD_19counting_iterator_tIlEES8_S8_S8_S8_S8_S8_S8_S8_EEEEPS9_S9_NSD_9__find_if7functorIS9_EEEE10hipError_tPvRmT1_T2_T3_mT4_P12ihipStream_tbEUlT_E0_NS1_11comp_targetILNS1_3genE2ELNS1_11target_archE906ELNS1_3gpuE6ELNS1_3repE0EEENS1_30default_config_static_selectorELNS0_4arch9wavefront6targetE1EEEvS14_: ; @_ZN7rocprim17ROCPRIM_400000_NS6detail17trampoline_kernelINS0_14default_configENS1_22reduce_config_selectorIN6thrust23THRUST_200600_302600_NS5tupleIblNS6_9null_typeES8_S8_S8_S8_S8_S8_S8_EEEEZNS1_11reduce_implILb1ES3_NS6_12zip_iteratorINS7_INS6_11hip_rocprim26transform_input_iterator_tIbNSD_35transform_pair_of_input_iterators_tIbNS6_6detail15normal_iteratorINS6_10device_ptrIKfEEEESL_NS6_8equal_toIfEEEENSG_9not_fun_tINSD_8identityEEEEENSD_19counting_iterator_tIlEES8_S8_S8_S8_S8_S8_S8_S8_EEEEPS9_S9_NSD_9__find_if7functorIS9_EEEE10hipError_tPvRmT1_T2_T3_mT4_P12ihipStream_tbEUlT_E0_NS1_11comp_targetILNS1_3genE2ELNS1_11target_archE906ELNS1_3gpuE6ELNS1_3repE0EEENS1_30default_config_static_selectorELNS0_4arch9wavefront6targetE1EEEvS14_
; %bb.0:
	.section	.rodata,"a",@progbits
	.p2align	6, 0x0
	.amdhsa_kernel _ZN7rocprim17ROCPRIM_400000_NS6detail17trampoline_kernelINS0_14default_configENS1_22reduce_config_selectorIN6thrust23THRUST_200600_302600_NS5tupleIblNS6_9null_typeES8_S8_S8_S8_S8_S8_S8_EEEEZNS1_11reduce_implILb1ES3_NS6_12zip_iteratorINS7_INS6_11hip_rocprim26transform_input_iterator_tIbNSD_35transform_pair_of_input_iterators_tIbNS6_6detail15normal_iteratorINS6_10device_ptrIKfEEEESL_NS6_8equal_toIfEEEENSG_9not_fun_tINSD_8identityEEEEENSD_19counting_iterator_tIlEES8_S8_S8_S8_S8_S8_S8_S8_EEEEPS9_S9_NSD_9__find_if7functorIS9_EEEE10hipError_tPvRmT1_T2_T3_mT4_P12ihipStream_tbEUlT_E0_NS1_11comp_targetILNS1_3genE2ELNS1_11target_archE906ELNS1_3gpuE6ELNS1_3repE0EEENS1_30default_config_static_selectorELNS0_4arch9wavefront6targetE1EEEvS14_
		.amdhsa_group_segment_fixed_size 0
		.amdhsa_private_segment_fixed_size 0
		.amdhsa_kernarg_size 104
		.amdhsa_user_sgpr_count 2
		.amdhsa_user_sgpr_dispatch_ptr 0
		.amdhsa_user_sgpr_queue_ptr 0
		.amdhsa_user_sgpr_kernarg_segment_ptr 1
		.amdhsa_user_sgpr_dispatch_id 0
		.amdhsa_user_sgpr_kernarg_preload_length 0
		.amdhsa_user_sgpr_kernarg_preload_offset 0
		.amdhsa_user_sgpr_private_segment_size 0
		.amdhsa_uses_dynamic_stack 0
		.amdhsa_enable_private_segment 0
		.amdhsa_system_sgpr_workgroup_id_x 1
		.amdhsa_system_sgpr_workgroup_id_y 0
		.amdhsa_system_sgpr_workgroup_id_z 0
		.amdhsa_system_sgpr_workgroup_info 0
		.amdhsa_system_vgpr_workitem_id 0
		.amdhsa_next_free_vgpr 1
		.amdhsa_next_free_sgpr 0
		.amdhsa_accum_offset 4
		.amdhsa_reserve_vcc 0
		.amdhsa_float_round_mode_32 0
		.amdhsa_float_round_mode_16_64 0
		.amdhsa_float_denorm_mode_32 3
		.amdhsa_float_denorm_mode_16_64 3
		.amdhsa_dx10_clamp 1
		.amdhsa_ieee_mode 1
		.amdhsa_fp16_overflow 0
		.amdhsa_tg_split 0
		.amdhsa_exception_fp_ieee_invalid_op 0
		.amdhsa_exception_fp_denorm_src 0
		.amdhsa_exception_fp_ieee_div_zero 0
		.amdhsa_exception_fp_ieee_overflow 0
		.amdhsa_exception_fp_ieee_underflow 0
		.amdhsa_exception_fp_ieee_inexact 0
		.amdhsa_exception_int_div_zero 0
	.end_amdhsa_kernel
	.section	.text._ZN7rocprim17ROCPRIM_400000_NS6detail17trampoline_kernelINS0_14default_configENS1_22reduce_config_selectorIN6thrust23THRUST_200600_302600_NS5tupleIblNS6_9null_typeES8_S8_S8_S8_S8_S8_S8_EEEEZNS1_11reduce_implILb1ES3_NS6_12zip_iteratorINS7_INS6_11hip_rocprim26transform_input_iterator_tIbNSD_35transform_pair_of_input_iterators_tIbNS6_6detail15normal_iteratorINS6_10device_ptrIKfEEEESL_NS6_8equal_toIfEEEENSG_9not_fun_tINSD_8identityEEEEENSD_19counting_iterator_tIlEES8_S8_S8_S8_S8_S8_S8_S8_EEEEPS9_S9_NSD_9__find_if7functorIS9_EEEE10hipError_tPvRmT1_T2_T3_mT4_P12ihipStream_tbEUlT_E0_NS1_11comp_targetILNS1_3genE2ELNS1_11target_archE906ELNS1_3gpuE6ELNS1_3repE0EEENS1_30default_config_static_selectorELNS0_4arch9wavefront6targetE1EEEvS14_,"axG",@progbits,_ZN7rocprim17ROCPRIM_400000_NS6detail17trampoline_kernelINS0_14default_configENS1_22reduce_config_selectorIN6thrust23THRUST_200600_302600_NS5tupleIblNS6_9null_typeES8_S8_S8_S8_S8_S8_S8_EEEEZNS1_11reduce_implILb1ES3_NS6_12zip_iteratorINS7_INS6_11hip_rocprim26transform_input_iterator_tIbNSD_35transform_pair_of_input_iterators_tIbNS6_6detail15normal_iteratorINS6_10device_ptrIKfEEEESL_NS6_8equal_toIfEEEENSG_9not_fun_tINSD_8identityEEEEENSD_19counting_iterator_tIlEES8_S8_S8_S8_S8_S8_S8_S8_EEEEPS9_S9_NSD_9__find_if7functorIS9_EEEE10hipError_tPvRmT1_T2_T3_mT4_P12ihipStream_tbEUlT_E0_NS1_11comp_targetILNS1_3genE2ELNS1_11target_archE906ELNS1_3gpuE6ELNS1_3repE0EEENS1_30default_config_static_selectorELNS0_4arch9wavefront6targetE1EEEvS14_,comdat
.Lfunc_end363:
	.size	_ZN7rocprim17ROCPRIM_400000_NS6detail17trampoline_kernelINS0_14default_configENS1_22reduce_config_selectorIN6thrust23THRUST_200600_302600_NS5tupleIblNS6_9null_typeES8_S8_S8_S8_S8_S8_S8_EEEEZNS1_11reduce_implILb1ES3_NS6_12zip_iteratorINS7_INS6_11hip_rocprim26transform_input_iterator_tIbNSD_35transform_pair_of_input_iterators_tIbNS6_6detail15normal_iteratorINS6_10device_ptrIKfEEEESL_NS6_8equal_toIfEEEENSG_9not_fun_tINSD_8identityEEEEENSD_19counting_iterator_tIlEES8_S8_S8_S8_S8_S8_S8_S8_EEEEPS9_S9_NSD_9__find_if7functorIS9_EEEE10hipError_tPvRmT1_T2_T3_mT4_P12ihipStream_tbEUlT_E0_NS1_11comp_targetILNS1_3genE2ELNS1_11target_archE906ELNS1_3gpuE6ELNS1_3repE0EEENS1_30default_config_static_selectorELNS0_4arch9wavefront6targetE1EEEvS14_, .Lfunc_end363-_ZN7rocprim17ROCPRIM_400000_NS6detail17trampoline_kernelINS0_14default_configENS1_22reduce_config_selectorIN6thrust23THRUST_200600_302600_NS5tupleIblNS6_9null_typeES8_S8_S8_S8_S8_S8_S8_EEEEZNS1_11reduce_implILb1ES3_NS6_12zip_iteratorINS7_INS6_11hip_rocprim26transform_input_iterator_tIbNSD_35transform_pair_of_input_iterators_tIbNS6_6detail15normal_iteratorINS6_10device_ptrIKfEEEESL_NS6_8equal_toIfEEEENSG_9not_fun_tINSD_8identityEEEEENSD_19counting_iterator_tIlEES8_S8_S8_S8_S8_S8_S8_S8_EEEEPS9_S9_NSD_9__find_if7functorIS9_EEEE10hipError_tPvRmT1_T2_T3_mT4_P12ihipStream_tbEUlT_E0_NS1_11comp_targetILNS1_3genE2ELNS1_11target_archE906ELNS1_3gpuE6ELNS1_3repE0EEENS1_30default_config_static_selectorELNS0_4arch9wavefront6targetE1EEEvS14_
                                        ; -- End function
	.set _ZN7rocprim17ROCPRIM_400000_NS6detail17trampoline_kernelINS0_14default_configENS1_22reduce_config_selectorIN6thrust23THRUST_200600_302600_NS5tupleIblNS6_9null_typeES8_S8_S8_S8_S8_S8_S8_EEEEZNS1_11reduce_implILb1ES3_NS6_12zip_iteratorINS7_INS6_11hip_rocprim26transform_input_iterator_tIbNSD_35transform_pair_of_input_iterators_tIbNS6_6detail15normal_iteratorINS6_10device_ptrIKfEEEESL_NS6_8equal_toIfEEEENSG_9not_fun_tINSD_8identityEEEEENSD_19counting_iterator_tIlEES8_S8_S8_S8_S8_S8_S8_S8_EEEEPS9_S9_NSD_9__find_if7functorIS9_EEEE10hipError_tPvRmT1_T2_T3_mT4_P12ihipStream_tbEUlT_E0_NS1_11comp_targetILNS1_3genE2ELNS1_11target_archE906ELNS1_3gpuE6ELNS1_3repE0EEENS1_30default_config_static_selectorELNS0_4arch9wavefront6targetE1EEEvS14_.num_vgpr, 0
	.set _ZN7rocprim17ROCPRIM_400000_NS6detail17trampoline_kernelINS0_14default_configENS1_22reduce_config_selectorIN6thrust23THRUST_200600_302600_NS5tupleIblNS6_9null_typeES8_S8_S8_S8_S8_S8_S8_EEEEZNS1_11reduce_implILb1ES3_NS6_12zip_iteratorINS7_INS6_11hip_rocprim26transform_input_iterator_tIbNSD_35transform_pair_of_input_iterators_tIbNS6_6detail15normal_iteratorINS6_10device_ptrIKfEEEESL_NS6_8equal_toIfEEEENSG_9not_fun_tINSD_8identityEEEEENSD_19counting_iterator_tIlEES8_S8_S8_S8_S8_S8_S8_S8_EEEEPS9_S9_NSD_9__find_if7functorIS9_EEEE10hipError_tPvRmT1_T2_T3_mT4_P12ihipStream_tbEUlT_E0_NS1_11comp_targetILNS1_3genE2ELNS1_11target_archE906ELNS1_3gpuE6ELNS1_3repE0EEENS1_30default_config_static_selectorELNS0_4arch9wavefront6targetE1EEEvS14_.num_agpr, 0
	.set _ZN7rocprim17ROCPRIM_400000_NS6detail17trampoline_kernelINS0_14default_configENS1_22reduce_config_selectorIN6thrust23THRUST_200600_302600_NS5tupleIblNS6_9null_typeES8_S8_S8_S8_S8_S8_S8_EEEEZNS1_11reduce_implILb1ES3_NS6_12zip_iteratorINS7_INS6_11hip_rocprim26transform_input_iterator_tIbNSD_35transform_pair_of_input_iterators_tIbNS6_6detail15normal_iteratorINS6_10device_ptrIKfEEEESL_NS6_8equal_toIfEEEENSG_9not_fun_tINSD_8identityEEEEENSD_19counting_iterator_tIlEES8_S8_S8_S8_S8_S8_S8_S8_EEEEPS9_S9_NSD_9__find_if7functorIS9_EEEE10hipError_tPvRmT1_T2_T3_mT4_P12ihipStream_tbEUlT_E0_NS1_11comp_targetILNS1_3genE2ELNS1_11target_archE906ELNS1_3gpuE6ELNS1_3repE0EEENS1_30default_config_static_selectorELNS0_4arch9wavefront6targetE1EEEvS14_.numbered_sgpr, 0
	.set _ZN7rocprim17ROCPRIM_400000_NS6detail17trampoline_kernelINS0_14default_configENS1_22reduce_config_selectorIN6thrust23THRUST_200600_302600_NS5tupleIblNS6_9null_typeES8_S8_S8_S8_S8_S8_S8_EEEEZNS1_11reduce_implILb1ES3_NS6_12zip_iteratorINS7_INS6_11hip_rocprim26transform_input_iterator_tIbNSD_35transform_pair_of_input_iterators_tIbNS6_6detail15normal_iteratorINS6_10device_ptrIKfEEEESL_NS6_8equal_toIfEEEENSG_9not_fun_tINSD_8identityEEEEENSD_19counting_iterator_tIlEES8_S8_S8_S8_S8_S8_S8_S8_EEEEPS9_S9_NSD_9__find_if7functorIS9_EEEE10hipError_tPvRmT1_T2_T3_mT4_P12ihipStream_tbEUlT_E0_NS1_11comp_targetILNS1_3genE2ELNS1_11target_archE906ELNS1_3gpuE6ELNS1_3repE0EEENS1_30default_config_static_selectorELNS0_4arch9wavefront6targetE1EEEvS14_.num_named_barrier, 0
	.set _ZN7rocprim17ROCPRIM_400000_NS6detail17trampoline_kernelINS0_14default_configENS1_22reduce_config_selectorIN6thrust23THRUST_200600_302600_NS5tupleIblNS6_9null_typeES8_S8_S8_S8_S8_S8_S8_EEEEZNS1_11reduce_implILb1ES3_NS6_12zip_iteratorINS7_INS6_11hip_rocprim26transform_input_iterator_tIbNSD_35transform_pair_of_input_iterators_tIbNS6_6detail15normal_iteratorINS6_10device_ptrIKfEEEESL_NS6_8equal_toIfEEEENSG_9not_fun_tINSD_8identityEEEEENSD_19counting_iterator_tIlEES8_S8_S8_S8_S8_S8_S8_S8_EEEEPS9_S9_NSD_9__find_if7functorIS9_EEEE10hipError_tPvRmT1_T2_T3_mT4_P12ihipStream_tbEUlT_E0_NS1_11comp_targetILNS1_3genE2ELNS1_11target_archE906ELNS1_3gpuE6ELNS1_3repE0EEENS1_30default_config_static_selectorELNS0_4arch9wavefront6targetE1EEEvS14_.private_seg_size, 0
	.set _ZN7rocprim17ROCPRIM_400000_NS6detail17trampoline_kernelINS0_14default_configENS1_22reduce_config_selectorIN6thrust23THRUST_200600_302600_NS5tupleIblNS6_9null_typeES8_S8_S8_S8_S8_S8_S8_EEEEZNS1_11reduce_implILb1ES3_NS6_12zip_iteratorINS7_INS6_11hip_rocprim26transform_input_iterator_tIbNSD_35transform_pair_of_input_iterators_tIbNS6_6detail15normal_iteratorINS6_10device_ptrIKfEEEESL_NS6_8equal_toIfEEEENSG_9not_fun_tINSD_8identityEEEEENSD_19counting_iterator_tIlEES8_S8_S8_S8_S8_S8_S8_S8_EEEEPS9_S9_NSD_9__find_if7functorIS9_EEEE10hipError_tPvRmT1_T2_T3_mT4_P12ihipStream_tbEUlT_E0_NS1_11comp_targetILNS1_3genE2ELNS1_11target_archE906ELNS1_3gpuE6ELNS1_3repE0EEENS1_30default_config_static_selectorELNS0_4arch9wavefront6targetE1EEEvS14_.uses_vcc, 0
	.set _ZN7rocprim17ROCPRIM_400000_NS6detail17trampoline_kernelINS0_14default_configENS1_22reduce_config_selectorIN6thrust23THRUST_200600_302600_NS5tupleIblNS6_9null_typeES8_S8_S8_S8_S8_S8_S8_EEEEZNS1_11reduce_implILb1ES3_NS6_12zip_iteratorINS7_INS6_11hip_rocprim26transform_input_iterator_tIbNSD_35transform_pair_of_input_iterators_tIbNS6_6detail15normal_iteratorINS6_10device_ptrIKfEEEESL_NS6_8equal_toIfEEEENSG_9not_fun_tINSD_8identityEEEEENSD_19counting_iterator_tIlEES8_S8_S8_S8_S8_S8_S8_S8_EEEEPS9_S9_NSD_9__find_if7functorIS9_EEEE10hipError_tPvRmT1_T2_T3_mT4_P12ihipStream_tbEUlT_E0_NS1_11comp_targetILNS1_3genE2ELNS1_11target_archE906ELNS1_3gpuE6ELNS1_3repE0EEENS1_30default_config_static_selectorELNS0_4arch9wavefront6targetE1EEEvS14_.uses_flat_scratch, 0
	.set _ZN7rocprim17ROCPRIM_400000_NS6detail17trampoline_kernelINS0_14default_configENS1_22reduce_config_selectorIN6thrust23THRUST_200600_302600_NS5tupleIblNS6_9null_typeES8_S8_S8_S8_S8_S8_S8_EEEEZNS1_11reduce_implILb1ES3_NS6_12zip_iteratorINS7_INS6_11hip_rocprim26transform_input_iterator_tIbNSD_35transform_pair_of_input_iterators_tIbNS6_6detail15normal_iteratorINS6_10device_ptrIKfEEEESL_NS6_8equal_toIfEEEENSG_9not_fun_tINSD_8identityEEEEENSD_19counting_iterator_tIlEES8_S8_S8_S8_S8_S8_S8_S8_EEEEPS9_S9_NSD_9__find_if7functorIS9_EEEE10hipError_tPvRmT1_T2_T3_mT4_P12ihipStream_tbEUlT_E0_NS1_11comp_targetILNS1_3genE2ELNS1_11target_archE906ELNS1_3gpuE6ELNS1_3repE0EEENS1_30default_config_static_selectorELNS0_4arch9wavefront6targetE1EEEvS14_.has_dyn_sized_stack, 0
	.set _ZN7rocprim17ROCPRIM_400000_NS6detail17trampoline_kernelINS0_14default_configENS1_22reduce_config_selectorIN6thrust23THRUST_200600_302600_NS5tupleIblNS6_9null_typeES8_S8_S8_S8_S8_S8_S8_EEEEZNS1_11reduce_implILb1ES3_NS6_12zip_iteratorINS7_INS6_11hip_rocprim26transform_input_iterator_tIbNSD_35transform_pair_of_input_iterators_tIbNS6_6detail15normal_iteratorINS6_10device_ptrIKfEEEESL_NS6_8equal_toIfEEEENSG_9not_fun_tINSD_8identityEEEEENSD_19counting_iterator_tIlEES8_S8_S8_S8_S8_S8_S8_S8_EEEEPS9_S9_NSD_9__find_if7functorIS9_EEEE10hipError_tPvRmT1_T2_T3_mT4_P12ihipStream_tbEUlT_E0_NS1_11comp_targetILNS1_3genE2ELNS1_11target_archE906ELNS1_3gpuE6ELNS1_3repE0EEENS1_30default_config_static_selectorELNS0_4arch9wavefront6targetE1EEEvS14_.has_recursion, 0
	.set _ZN7rocprim17ROCPRIM_400000_NS6detail17trampoline_kernelINS0_14default_configENS1_22reduce_config_selectorIN6thrust23THRUST_200600_302600_NS5tupleIblNS6_9null_typeES8_S8_S8_S8_S8_S8_S8_EEEEZNS1_11reduce_implILb1ES3_NS6_12zip_iteratorINS7_INS6_11hip_rocprim26transform_input_iterator_tIbNSD_35transform_pair_of_input_iterators_tIbNS6_6detail15normal_iteratorINS6_10device_ptrIKfEEEESL_NS6_8equal_toIfEEEENSG_9not_fun_tINSD_8identityEEEEENSD_19counting_iterator_tIlEES8_S8_S8_S8_S8_S8_S8_S8_EEEEPS9_S9_NSD_9__find_if7functorIS9_EEEE10hipError_tPvRmT1_T2_T3_mT4_P12ihipStream_tbEUlT_E0_NS1_11comp_targetILNS1_3genE2ELNS1_11target_archE906ELNS1_3gpuE6ELNS1_3repE0EEENS1_30default_config_static_selectorELNS0_4arch9wavefront6targetE1EEEvS14_.has_indirect_call, 0
	.section	.AMDGPU.csdata,"",@progbits
; Kernel info:
; codeLenInByte = 0
; TotalNumSgprs: 6
; NumVgprs: 0
; NumAgprs: 0
; TotalNumVgprs: 0
; ScratchSize: 0
; MemoryBound: 0
; FloatMode: 240
; IeeeMode: 1
; LDSByteSize: 0 bytes/workgroup (compile time only)
; SGPRBlocks: 0
; VGPRBlocks: 0
; NumSGPRsForWavesPerEU: 6
; NumVGPRsForWavesPerEU: 1
; AccumOffset: 4
; Occupancy: 8
; WaveLimiterHint : 0
; COMPUTE_PGM_RSRC2:SCRATCH_EN: 0
; COMPUTE_PGM_RSRC2:USER_SGPR: 2
; COMPUTE_PGM_RSRC2:TRAP_HANDLER: 0
; COMPUTE_PGM_RSRC2:TGID_X_EN: 1
; COMPUTE_PGM_RSRC2:TGID_Y_EN: 0
; COMPUTE_PGM_RSRC2:TGID_Z_EN: 0
; COMPUTE_PGM_RSRC2:TIDIG_COMP_CNT: 0
; COMPUTE_PGM_RSRC3_GFX90A:ACCUM_OFFSET: 0
; COMPUTE_PGM_RSRC3_GFX90A:TG_SPLIT: 0
	.section	.text._ZN7rocprim17ROCPRIM_400000_NS6detail17trampoline_kernelINS0_14default_configENS1_22reduce_config_selectorIN6thrust23THRUST_200600_302600_NS5tupleIblNS6_9null_typeES8_S8_S8_S8_S8_S8_S8_EEEEZNS1_11reduce_implILb1ES3_NS6_12zip_iteratorINS7_INS6_11hip_rocprim26transform_input_iterator_tIbNSD_35transform_pair_of_input_iterators_tIbNS6_6detail15normal_iteratorINS6_10device_ptrIKfEEEESL_NS6_8equal_toIfEEEENSG_9not_fun_tINSD_8identityEEEEENSD_19counting_iterator_tIlEES8_S8_S8_S8_S8_S8_S8_S8_EEEEPS9_S9_NSD_9__find_if7functorIS9_EEEE10hipError_tPvRmT1_T2_T3_mT4_P12ihipStream_tbEUlT_E0_NS1_11comp_targetILNS1_3genE10ELNS1_11target_archE1201ELNS1_3gpuE5ELNS1_3repE0EEENS1_30default_config_static_selectorELNS0_4arch9wavefront6targetE1EEEvS14_,"axG",@progbits,_ZN7rocprim17ROCPRIM_400000_NS6detail17trampoline_kernelINS0_14default_configENS1_22reduce_config_selectorIN6thrust23THRUST_200600_302600_NS5tupleIblNS6_9null_typeES8_S8_S8_S8_S8_S8_S8_EEEEZNS1_11reduce_implILb1ES3_NS6_12zip_iteratorINS7_INS6_11hip_rocprim26transform_input_iterator_tIbNSD_35transform_pair_of_input_iterators_tIbNS6_6detail15normal_iteratorINS6_10device_ptrIKfEEEESL_NS6_8equal_toIfEEEENSG_9not_fun_tINSD_8identityEEEEENSD_19counting_iterator_tIlEES8_S8_S8_S8_S8_S8_S8_S8_EEEEPS9_S9_NSD_9__find_if7functorIS9_EEEE10hipError_tPvRmT1_T2_T3_mT4_P12ihipStream_tbEUlT_E0_NS1_11comp_targetILNS1_3genE10ELNS1_11target_archE1201ELNS1_3gpuE5ELNS1_3repE0EEENS1_30default_config_static_selectorELNS0_4arch9wavefront6targetE1EEEvS14_,comdat
	.protected	_ZN7rocprim17ROCPRIM_400000_NS6detail17trampoline_kernelINS0_14default_configENS1_22reduce_config_selectorIN6thrust23THRUST_200600_302600_NS5tupleIblNS6_9null_typeES8_S8_S8_S8_S8_S8_S8_EEEEZNS1_11reduce_implILb1ES3_NS6_12zip_iteratorINS7_INS6_11hip_rocprim26transform_input_iterator_tIbNSD_35transform_pair_of_input_iterators_tIbNS6_6detail15normal_iteratorINS6_10device_ptrIKfEEEESL_NS6_8equal_toIfEEEENSG_9not_fun_tINSD_8identityEEEEENSD_19counting_iterator_tIlEES8_S8_S8_S8_S8_S8_S8_S8_EEEEPS9_S9_NSD_9__find_if7functorIS9_EEEE10hipError_tPvRmT1_T2_T3_mT4_P12ihipStream_tbEUlT_E0_NS1_11comp_targetILNS1_3genE10ELNS1_11target_archE1201ELNS1_3gpuE5ELNS1_3repE0EEENS1_30default_config_static_selectorELNS0_4arch9wavefront6targetE1EEEvS14_ ; -- Begin function _ZN7rocprim17ROCPRIM_400000_NS6detail17trampoline_kernelINS0_14default_configENS1_22reduce_config_selectorIN6thrust23THRUST_200600_302600_NS5tupleIblNS6_9null_typeES8_S8_S8_S8_S8_S8_S8_EEEEZNS1_11reduce_implILb1ES3_NS6_12zip_iteratorINS7_INS6_11hip_rocprim26transform_input_iterator_tIbNSD_35transform_pair_of_input_iterators_tIbNS6_6detail15normal_iteratorINS6_10device_ptrIKfEEEESL_NS6_8equal_toIfEEEENSG_9not_fun_tINSD_8identityEEEEENSD_19counting_iterator_tIlEES8_S8_S8_S8_S8_S8_S8_S8_EEEEPS9_S9_NSD_9__find_if7functorIS9_EEEE10hipError_tPvRmT1_T2_T3_mT4_P12ihipStream_tbEUlT_E0_NS1_11comp_targetILNS1_3genE10ELNS1_11target_archE1201ELNS1_3gpuE5ELNS1_3repE0EEENS1_30default_config_static_selectorELNS0_4arch9wavefront6targetE1EEEvS14_
	.globl	_ZN7rocprim17ROCPRIM_400000_NS6detail17trampoline_kernelINS0_14default_configENS1_22reduce_config_selectorIN6thrust23THRUST_200600_302600_NS5tupleIblNS6_9null_typeES8_S8_S8_S8_S8_S8_S8_EEEEZNS1_11reduce_implILb1ES3_NS6_12zip_iteratorINS7_INS6_11hip_rocprim26transform_input_iterator_tIbNSD_35transform_pair_of_input_iterators_tIbNS6_6detail15normal_iteratorINS6_10device_ptrIKfEEEESL_NS6_8equal_toIfEEEENSG_9not_fun_tINSD_8identityEEEEENSD_19counting_iterator_tIlEES8_S8_S8_S8_S8_S8_S8_S8_EEEEPS9_S9_NSD_9__find_if7functorIS9_EEEE10hipError_tPvRmT1_T2_T3_mT4_P12ihipStream_tbEUlT_E0_NS1_11comp_targetILNS1_3genE10ELNS1_11target_archE1201ELNS1_3gpuE5ELNS1_3repE0EEENS1_30default_config_static_selectorELNS0_4arch9wavefront6targetE1EEEvS14_
	.p2align	8
	.type	_ZN7rocprim17ROCPRIM_400000_NS6detail17trampoline_kernelINS0_14default_configENS1_22reduce_config_selectorIN6thrust23THRUST_200600_302600_NS5tupleIblNS6_9null_typeES8_S8_S8_S8_S8_S8_S8_EEEEZNS1_11reduce_implILb1ES3_NS6_12zip_iteratorINS7_INS6_11hip_rocprim26transform_input_iterator_tIbNSD_35transform_pair_of_input_iterators_tIbNS6_6detail15normal_iteratorINS6_10device_ptrIKfEEEESL_NS6_8equal_toIfEEEENSG_9not_fun_tINSD_8identityEEEEENSD_19counting_iterator_tIlEES8_S8_S8_S8_S8_S8_S8_S8_EEEEPS9_S9_NSD_9__find_if7functorIS9_EEEE10hipError_tPvRmT1_T2_T3_mT4_P12ihipStream_tbEUlT_E0_NS1_11comp_targetILNS1_3genE10ELNS1_11target_archE1201ELNS1_3gpuE5ELNS1_3repE0EEENS1_30default_config_static_selectorELNS0_4arch9wavefront6targetE1EEEvS14_,@function
_ZN7rocprim17ROCPRIM_400000_NS6detail17trampoline_kernelINS0_14default_configENS1_22reduce_config_selectorIN6thrust23THRUST_200600_302600_NS5tupleIblNS6_9null_typeES8_S8_S8_S8_S8_S8_S8_EEEEZNS1_11reduce_implILb1ES3_NS6_12zip_iteratorINS7_INS6_11hip_rocprim26transform_input_iterator_tIbNSD_35transform_pair_of_input_iterators_tIbNS6_6detail15normal_iteratorINS6_10device_ptrIKfEEEESL_NS6_8equal_toIfEEEENSG_9not_fun_tINSD_8identityEEEEENSD_19counting_iterator_tIlEES8_S8_S8_S8_S8_S8_S8_S8_EEEEPS9_S9_NSD_9__find_if7functorIS9_EEEE10hipError_tPvRmT1_T2_T3_mT4_P12ihipStream_tbEUlT_E0_NS1_11comp_targetILNS1_3genE10ELNS1_11target_archE1201ELNS1_3gpuE5ELNS1_3repE0EEENS1_30default_config_static_selectorELNS0_4arch9wavefront6targetE1EEEvS14_: ; @_ZN7rocprim17ROCPRIM_400000_NS6detail17trampoline_kernelINS0_14default_configENS1_22reduce_config_selectorIN6thrust23THRUST_200600_302600_NS5tupleIblNS6_9null_typeES8_S8_S8_S8_S8_S8_S8_EEEEZNS1_11reduce_implILb1ES3_NS6_12zip_iteratorINS7_INS6_11hip_rocprim26transform_input_iterator_tIbNSD_35transform_pair_of_input_iterators_tIbNS6_6detail15normal_iteratorINS6_10device_ptrIKfEEEESL_NS6_8equal_toIfEEEENSG_9not_fun_tINSD_8identityEEEEENSD_19counting_iterator_tIlEES8_S8_S8_S8_S8_S8_S8_S8_EEEEPS9_S9_NSD_9__find_if7functorIS9_EEEE10hipError_tPvRmT1_T2_T3_mT4_P12ihipStream_tbEUlT_E0_NS1_11comp_targetILNS1_3genE10ELNS1_11target_archE1201ELNS1_3gpuE5ELNS1_3repE0EEENS1_30default_config_static_selectorELNS0_4arch9wavefront6targetE1EEEvS14_
; %bb.0:
	.section	.rodata,"a",@progbits
	.p2align	6, 0x0
	.amdhsa_kernel _ZN7rocprim17ROCPRIM_400000_NS6detail17trampoline_kernelINS0_14default_configENS1_22reduce_config_selectorIN6thrust23THRUST_200600_302600_NS5tupleIblNS6_9null_typeES8_S8_S8_S8_S8_S8_S8_EEEEZNS1_11reduce_implILb1ES3_NS6_12zip_iteratorINS7_INS6_11hip_rocprim26transform_input_iterator_tIbNSD_35transform_pair_of_input_iterators_tIbNS6_6detail15normal_iteratorINS6_10device_ptrIKfEEEESL_NS6_8equal_toIfEEEENSG_9not_fun_tINSD_8identityEEEEENSD_19counting_iterator_tIlEES8_S8_S8_S8_S8_S8_S8_S8_EEEEPS9_S9_NSD_9__find_if7functorIS9_EEEE10hipError_tPvRmT1_T2_T3_mT4_P12ihipStream_tbEUlT_E0_NS1_11comp_targetILNS1_3genE10ELNS1_11target_archE1201ELNS1_3gpuE5ELNS1_3repE0EEENS1_30default_config_static_selectorELNS0_4arch9wavefront6targetE1EEEvS14_
		.amdhsa_group_segment_fixed_size 0
		.amdhsa_private_segment_fixed_size 0
		.amdhsa_kernarg_size 104
		.amdhsa_user_sgpr_count 2
		.amdhsa_user_sgpr_dispatch_ptr 0
		.amdhsa_user_sgpr_queue_ptr 0
		.amdhsa_user_sgpr_kernarg_segment_ptr 1
		.amdhsa_user_sgpr_dispatch_id 0
		.amdhsa_user_sgpr_kernarg_preload_length 0
		.amdhsa_user_sgpr_kernarg_preload_offset 0
		.amdhsa_user_sgpr_private_segment_size 0
		.amdhsa_uses_dynamic_stack 0
		.amdhsa_enable_private_segment 0
		.amdhsa_system_sgpr_workgroup_id_x 1
		.amdhsa_system_sgpr_workgroup_id_y 0
		.amdhsa_system_sgpr_workgroup_id_z 0
		.amdhsa_system_sgpr_workgroup_info 0
		.amdhsa_system_vgpr_workitem_id 0
		.amdhsa_next_free_vgpr 1
		.amdhsa_next_free_sgpr 0
		.amdhsa_accum_offset 4
		.amdhsa_reserve_vcc 0
		.amdhsa_float_round_mode_32 0
		.amdhsa_float_round_mode_16_64 0
		.amdhsa_float_denorm_mode_32 3
		.amdhsa_float_denorm_mode_16_64 3
		.amdhsa_dx10_clamp 1
		.amdhsa_ieee_mode 1
		.amdhsa_fp16_overflow 0
		.amdhsa_tg_split 0
		.amdhsa_exception_fp_ieee_invalid_op 0
		.amdhsa_exception_fp_denorm_src 0
		.amdhsa_exception_fp_ieee_div_zero 0
		.amdhsa_exception_fp_ieee_overflow 0
		.amdhsa_exception_fp_ieee_underflow 0
		.amdhsa_exception_fp_ieee_inexact 0
		.amdhsa_exception_int_div_zero 0
	.end_amdhsa_kernel
	.section	.text._ZN7rocprim17ROCPRIM_400000_NS6detail17trampoline_kernelINS0_14default_configENS1_22reduce_config_selectorIN6thrust23THRUST_200600_302600_NS5tupleIblNS6_9null_typeES8_S8_S8_S8_S8_S8_S8_EEEEZNS1_11reduce_implILb1ES3_NS6_12zip_iteratorINS7_INS6_11hip_rocprim26transform_input_iterator_tIbNSD_35transform_pair_of_input_iterators_tIbNS6_6detail15normal_iteratorINS6_10device_ptrIKfEEEESL_NS6_8equal_toIfEEEENSG_9not_fun_tINSD_8identityEEEEENSD_19counting_iterator_tIlEES8_S8_S8_S8_S8_S8_S8_S8_EEEEPS9_S9_NSD_9__find_if7functorIS9_EEEE10hipError_tPvRmT1_T2_T3_mT4_P12ihipStream_tbEUlT_E0_NS1_11comp_targetILNS1_3genE10ELNS1_11target_archE1201ELNS1_3gpuE5ELNS1_3repE0EEENS1_30default_config_static_selectorELNS0_4arch9wavefront6targetE1EEEvS14_,"axG",@progbits,_ZN7rocprim17ROCPRIM_400000_NS6detail17trampoline_kernelINS0_14default_configENS1_22reduce_config_selectorIN6thrust23THRUST_200600_302600_NS5tupleIblNS6_9null_typeES8_S8_S8_S8_S8_S8_S8_EEEEZNS1_11reduce_implILb1ES3_NS6_12zip_iteratorINS7_INS6_11hip_rocprim26transform_input_iterator_tIbNSD_35transform_pair_of_input_iterators_tIbNS6_6detail15normal_iteratorINS6_10device_ptrIKfEEEESL_NS6_8equal_toIfEEEENSG_9not_fun_tINSD_8identityEEEEENSD_19counting_iterator_tIlEES8_S8_S8_S8_S8_S8_S8_S8_EEEEPS9_S9_NSD_9__find_if7functorIS9_EEEE10hipError_tPvRmT1_T2_T3_mT4_P12ihipStream_tbEUlT_E0_NS1_11comp_targetILNS1_3genE10ELNS1_11target_archE1201ELNS1_3gpuE5ELNS1_3repE0EEENS1_30default_config_static_selectorELNS0_4arch9wavefront6targetE1EEEvS14_,comdat
.Lfunc_end364:
	.size	_ZN7rocprim17ROCPRIM_400000_NS6detail17trampoline_kernelINS0_14default_configENS1_22reduce_config_selectorIN6thrust23THRUST_200600_302600_NS5tupleIblNS6_9null_typeES8_S8_S8_S8_S8_S8_S8_EEEEZNS1_11reduce_implILb1ES3_NS6_12zip_iteratorINS7_INS6_11hip_rocprim26transform_input_iterator_tIbNSD_35transform_pair_of_input_iterators_tIbNS6_6detail15normal_iteratorINS6_10device_ptrIKfEEEESL_NS6_8equal_toIfEEEENSG_9not_fun_tINSD_8identityEEEEENSD_19counting_iterator_tIlEES8_S8_S8_S8_S8_S8_S8_S8_EEEEPS9_S9_NSD_9__find_if7functorIS9_EEEE10hipError_tPvRmT1_T2_T3_mT4_P12ihipStream_tbEUlT_E0_NS1_11comp_targetILNS1_3genE10ELNS1_11target_archE1201ELNS1_3gpuE5ELNS1_3repE0EEENS1_30default_config_static_selectorELNS0_4arch9wavefront6targetE1EEEvS14_, .Lfunc_end364-_ZN7rocprim17ROCPRIM_400000_NS6detail17trampoline_kernelINS0_14default_configENS1_22reduce_config_selectorIN6thrust23THRUST_200600_302600_NS5tupleIblNS6_9null_typeES8_S8_S8_S8_S8_S8_S8_EEEEZNS1_11reduce_implILb1ES3_NS6_12zip_iteratorINS7_INS6_11hip_rocprim26transform_input_iterator_tIbNSD_35transform_pair_of_input_iterators_tIbNS6_6detail15normal_iteratorINS6_10device_ptrIKfEEEESL_NS6_8equal_toIfEEEENSG_9not_fun_tINSD_8identityEEEEENSD_19counting_iterator_tIlEES8_S8_S8_S8_S8_S8_S8_S8_EEEEPS9_S9_NSD_9__find_if7functorIS9_EEEE10hipError_tPvRmT1_T2_T3_mT4_P12ihipStream_tbEUlT_E0_NS1_11comp_targetILNS1_3genE10ELNS1_11target_archE1201ELNS1_3gpuE5ELNS1_3repE0EEENS1_30default_config_static_selectorELNS0_4arch9wavefront6targetE1EEEvS14_
                                        ; -- End function
	.set _ZN7rocprim17ROCPRIM_400000_NS6detail17trampoline_kernelINS0_14default_configENS1_22reduce_config_selectorIN6thrust23THRUST_200600_302600_NS5tupleIblNS6_9null_typeES8_S8_S8_S8_S8_S8_S8_EEEEZNS1_11reduce_implILb1ES3_NS6_12zip_iteratorINS7_INS6_11hip_rocprim26transform_input_iterator_tIbNSD_35transform_pair_of_input_iterators_tIbNS6_6detail15normal_iteratorINS6_10device_ptrIKfEEEESL_NS6_8equal_toIfEEEENSG_9not_fun_tINSD_8identityEEEEENSD_19counting_iterator_tIlEES8_S8_S8_S8_S8_S8_S8_S8_EEEEPS9_S9_NSD_9__find_if7functorIS9_EEEE10hipError_tPvRmT1_T2_T3_mT4_P12ihipStream_tbEUlT_E0_NS1_11comp_targetILNS1_3genE10ELNS1_11target_archE1201ELNS1_3gpuE5ELNS1_3repE0EEENS1_30default_config_static_selectorELNS0_4arch9wavefront6targetE1EEEvS14_.num_vgpr, 0
	.set _ZN7rocprim17ROCPRIM_400000_NS6detail17trampoline_kernelINS0_14default_configENS1_22reduce_config_selectorIN6thrust23THRUST_200600_302600_NS5tupleIblNS6_9null_typeES8_S8_S8_S8_S8_S8_S8_EEEEZNS1_11reduce_implILb1ES3_NS6_12zip_iteratorINS7_INS6_11hip_rocprim26transform_input_iterator_tIbNSD_35transform_pair_of_input_iterators_tIbNS6_6detail15normal_iteratorINS6_10device_ptrIKfEEEESL_NS6_8equal_toIfEEEENSG_9not_fun_tINSD_8identityEEEEENSD_19counting_iterator_tIlEES8_S8_S8_S8_S8_S8_S8_S8_EEEEPS9_S9_NSD_9__find_if7functorIS9_EEEE10hipError_tPvRmT1_T2_T3_mT4_P12ihipStream_tbEUlT_E0_NS1_11comp_targetILNS1_3genE10ELNS1_11target_archE1201ELNS1_3gpuE5ELNS1_3repE0EEENS1_30default_config_static_selectorELNS0_4arch9wavefront6targetE1EEEvS14_.num_agpr, 0
	.set _ZN7rocprim17ROCPRIM_400000_NS6detail17trampoline_kernelINS0_14default_configENS1_22reduce_config_selectorIN6thrust23THRUST_200600_302600_NS5tupleIblNS6_9null_typeES8_S8_S8_S8_S8_S8_S8_EEEEZNS1_11reduce_implILb1ES3_NS6_12zip_iteratorINS7_INS6_11hip_rocprim26transform_input_iterator_tIbNSD_35transform_pair_of_input_iterators_tIbNS6_6detail15normal_iteratorINS6_10device_ptrIKfEEEESL_NS6_8equal_toIfEEEENSG_9not_fun_tINSD_8identityEEEEENSD_19counting_iterator_tIlEES8_S8_S8_S8_S8_S8_S8_S8_EEEEPS9_S9_NSD_9__find_if7functorIS9_EEEE10hipError_tPvRmT1_T2_T3_mT4_P12ihipStream_tbEUlT_E0_NS1_11comp_targetILNS1_3genE10ELNS1_11target_archE1201ELNS1_3gpuE5ELNS1_3repE0EEENS1_30default_config_static_selectorELNS0_4arch9wavefront6targetE1EEEvS14_.numbered_sgpr, 0
	.set _ZN7rocprim17ROCPRIM_400000_NS6detail17trampoline_kernelINS0_14default_configENS1_22reduce_config_selectorIN6thrust23THRUST_200600_302600_NS5tupleIblNS6_9null_typeES8_S8_S8_S8_S8_S8_S8_EEEEZNS1_11reduce_implILb1ES3_NS6_12zip_iteratorINS7_INS6_11hip_rocprim26transform_input_iterator_tIbNSD_35transform_pair_of_input_iterators_tIbNS6_6detail15normal_iteratorINS6_10device_ptrIKfEEEESL_NS6_8equal_toIfEEEENSG_9not_fun_tINSD_8identityEEEEENSD_19counting_iterator_tIlEES8_S8_S8_S8_S8_S8_S8_S8_EEEEPS9_S9_NSD_9__find_if7functorIS9_EEEE10hipError_tPvRmT1_T2_T3_mT4_P12ihipStream_tbEUlT_E0_NS1_11comp_targetILNS1_3genE10ELNS1_11target_archE1201ELNS1_3gpuE5ELNS1_3repE0EEENS1_30default_config_static_selectorELNS0_4arch9wavefront6targetE1EEEvS14_.num_named_barrier, 0
	.set _ZN7rocprim17ROCPRIM_400000_NS6detail17trampoline_kernelINS0_14default_configENS1_22reduce_config_selectorIN6thrust23THRUST_200600_302600_NS5tupleIblNS6_9null_typeES8_S8_S8_S8_S8_S8_S8_EEEEZNS1_11reduce_implILb1ES3_NS6_12zip_iteratorINS7_INS6_11hip_rocprim26transform_input_iterator_tIbNSD_35transform_pair_of_input_iterators_tIbNS6_6detail15normal_iteratorINS6_10device_ptrIKfEEEESL_NS6_8equal_toIfEEEENSG_9not_fun_tINSD_8identityEEEEENSD_19counting_iterator_tIlEES8_S8_S8_S8_S8_S8_S8_S8_EEEEPS9_S9_NSD_9__find_if7functorIS9_EEEE10hipError_tPvRmT1_T2_T3_mT4_P12ihipStream_tbEUlT_E0_NS1_11comp_targetILNS1_3genE10ELNS1_11target_archE1201ELNS1_3gpuE5ELNS1_3repE0EEENS1_30default_config_static_selectorELNS0_4arch9wavefront6targetE1EEEvS14_.private_seg_size, 0
	.set _ZN7rocprim17ROCPRIM_400000_NS6detail17trampoline_kernelINS0_14default_configENS1_22reduce_config_selectorIN6thrust23THRUST_200600_302600_NS5tupleIblNS6_9null_typeES8_S8_S8_S8_S8_S8_S8_EEEEZNS1_11reduce_implILb1ES3_NS6_12zip_iteratorINS7_INS6_11hip_rocprim26transform_input_iterator_tIbNSD_35transform_pair_of_input_iterators_tIbNS6_6detail15normal_iteratorINS6_10device_ptrIKfEEEESL_NS6_8equal_toIfEEEENSG_9not_fun_tINSD_8identityEEEEENSD_19counting_iterator_tIlEES8_S8_S8_S8_S8_S8_S8_S8_EEEEPS9_S9_NSD_9__find_if7functorIS9_EEEE10hipError_tPvRmT1_T2_T3_mT4_P12ihipStream_tbEUlT_E0_NS1_11comp_targetILNS1_3genE10ELNS1_11target_archE1201ELNS1_3gpuE5ELNS1_3repE0EEENS1_30default_config_static_selectorELNS0_4arch9wavefront6targetE1EEEvS14_.uses_vcc, 0
	.set _ZN7rocprim17ROCPRIM_400000_NS6detail17trampoline_kernelINS0_14default_configENS1_22reduce_config_selectorIN6thrust23THRUST_200600_302600_NS5tupleIblNS6_9null_typeES8_S8_S8_S8_S8_S8_S8_EEEEZNS1_11reduce_implILb1ES3_NS6_12zip_iteratorINS7_INS6_11hip_rocprim26transform_input_iterator_tIbNSD_35transform_pair_of_input_iterators_tIbNS6_6detail15normal_iteratorINS6_10device_ptrIKfEEEESL_NS6_8equal_toIfEEEENSG_9not_fun_tINSD_8identityEEEEENSD_19counting_iterator_tIlEES8_S8_S8_S8_S8_S8_S8_S8_EEEEPS9_S9_NSD_9__find_if7functorIS9_EEEE10hipError_tPvRmT1_T2_T3_mT4_P12ihipStream_tbEUlT_E0_NS1_11comp_targetILNS1_3genE10ELNS1_11target_archE1201ELNS1_3gpuE5ELNS1_3repE0EEENS1_30default_config_static_selectorELNS0_4arch9wavefront6targetE1EEEvS14_.uses_flat_scratch, 0
	.set _ZN7rocprim17ROCPRIM_400000_NS6detail17trampoline_kernelINS0_14default_configENS1_22reduce_config_selectorIN6thrust23THRUST_200600_302600_NS5tupleIblNS6_9null_typeES8_S8_S8_S8_S8_S8_S8_EEEEZNS1_11reduce_implILb1ES3_NS6_12zip_iteratorINS7_INS6_11hip_rocprim26transform_input_iterator_tIbNSD_35transform_pair_of_input_iterators_tIbNS6_6detail15normal_iteratorINS6_10device_ptrIKfEEEESL_NS6_8equal_toIfEEEENSG_9not_fun_tINSD_8identityEEEEENSD_19counting_iterator_tIlEES8_S8_S8_S8_S8_S8_S8_S8_EEEEPS9_S9_NSD_9__find_if7functorIS9_EEEE10hipError_tPvRmT1_T2_T3_mT4_P12ihipStream_tbEUlT_E0_NS1_11comp_targetILNS1_3genE10ELNS1_11target_archE1201ELNS1_3gpuE5ELNS1_3repE0EEENS1_30default_config_static_selectorELNS0_4arch9wavefront6targetE1EEEvS14_.has_dyn_sized_stack, 0
	.set _ZN7rocprim17ROCPRIM_400000_NS6detail17trampoline_kernelINS0_14default_configENS1_22reduce_config_selectorIN6thrust23THRUST_200600_302600_NS5tupleIblNS6_9null_typeES8_S8_S8_S8_S8_S8_S8_EEEEZNS1_11reduce_implILb1ES3_NS6_12zip_iteratorINS7_INS6_11hip_rocprim26transform_input_iterator_tIbNSD_35transform_pair_of_input_iterators_tIbNS6_6detail15normal_iteratorINS6_10device_ptrIKfEEEESL_NS6_8equal_toIfEEEENSG_9not_fun_tINSD_8identityEEEEENSD_19counting_iterator_tIlEES8_S8_S8_S8_S8_S8_S8_S8_EEEEPS9_S9_NSD_9__find_if7functorIS9_EEEE10hipError_tPvRmT1_T2_T3_mT4_P12ihipStream_tbEUlT_E0_NS1_11comp_targetILNS1_3genE10ELNS1_11target_archE1201ELNS1_3gpuE5ELNS1_3repE0EEENS1_30default_config_static_selectorELNS0_4arch9wavefront6targetE1EEEvS14_.has_recursion, 0
	.set _ZN7rocprim17ROCPRIM_400000_NS6detail17trampoline_kernelINS0_14default_configENS1_22reduce_config_selectorIN6thrust23THRUST_200600_302600_NS5tupleIblNS6_9null_typeES8_S8_S8_S8_S8_S8_S8_EEEEZNS1_11reduce_implILb1ES3_NS6_12zip_iteratorINS7_INS6_11hip_rocprim26transform_input_iterator_tIbNSD_35transform_pair_of_input_iterators_tIbNS6_6detail15normal_iteratorINS6_10device_ptrIKfEEEESL_NS6_8equal_toIfEEEENSG_9not_fun_tINSD_8identityEEEEENSD_19counting_iterator_tIlEES8_S8_S8_S8_S8_S8_S8_S8_EEEEPS9_S9_NSD_9__find_if7functorIS9_EEEE10hipError_tPvRmT1_T2_T3_mT4_P12ihipStream_tbEUlT_E0_NS1_11comp_targetILNS1_3genE10ELNS1_11target_archE1201ELNS1_3gpuE5ELNS1_3repE0EEENS1_30default_config_static_selectorELNS0_4arch9wavefront6targetE1EEEvS14_.has_indirect_call, 0
	.section	.AMDGPU.csdata,"",@progbits
; Kernel info:
; codeLenInByte = 0
; TotalNumSgprs: 6
; NumVgprs: 0
; NumAgprs: 0
; TotalNumVgprs: 0
; ScratchSize: 0
; MemoryBound: 0
; FloatMode: 240
; IeeeMode: 1
; LDSByteSize: 0 bytes/workgroup (compile time only)
; SGPRBlocks: 0
; VGPRBlocks: 0
; NumSGPRsForWavesPerEU: 6
; NumVGPRsForWavesPerEU: 1
; AccumOffset: 4
; Occupancy: 8
; WaveLimiterHint : 0
; COMPUTE_PGM_RSRC2:SCRATCH_EN: 0
; COMPUTE_PGM_RSRC2:USER_SGPR: 2
; COMPUTE_PGM_RSRC2:TRAP_HANDLER: 0
; COMPUTE_PGM_RSRC2:TGID_X_EN: 1
; COMPUTE_PGM_RSRC2:TGID_Y_EN: 0
; COMPUTE_PGM_RSRC2:TGID_Z_EN: 0
; COMPUTE_PGM_RSRC2:TIDIG_COMP_CNT: 0
; COMPUTE_PGM_RSRC3_GFX90A:ACCUM_OFFSET: 0
; COMPUTE_PGM_RSRC3_GFX90A:TG_SPLIT: 0
	.section	.text._ZN7rocprim17ROCPRIM_400000_NS6detail17trampoline_kernelINS0_14default_configENS1_22reduce_config_selectorIN6thrust23THRUST_200600_302600_NS5tupleIblNS6_9null_typeES8_S8_S8_S8_S8_S8_S8_EEEEZNS1_11reduce_implILb1ES3_NS6_12zip_iteratorINS7_INS6_11hip_rocprim26transform_input_iterator_tIbNSD_35transform_pair_of_input_iterators_tIbNS6_6detail15normal_iteratorINS6_10device_ptrIKfEEEESL_NS6_8equal_toIfEEEENSG_9not_fun_tINSD_8identityEEEEENSD_19counting_iterator_tIlEES8_S8_S8_S8_S8_S8_S8_S8_EEEEPS9_S9_NSD_9__find_if7functorIS9_EEEE10hipError_tPvRmT1_T2_T3_mT4_P12ihipStream_tbEUlT_E0_NS1_11comp_targetILNS1_3genE10ELNS1_11target_archE1200ELNS1_3gpuE4ELNS1_3repE0EEENS1_30default_config_static_selectorELNS0_4arch9wavefront6targetE1EEEvS14_,"axG",@progbits,_ZN7rocprim17ROCPRIM_400000_NS6detail17trampoline_kernelINS0_14default_configENS1_22reduce_config_selectorIN6thrust23THRUST_200600_302600_NS5tupleIblNS6_9null_typeES8_S8_S8_S8_S8_S8_S8_EEEEZNS1_11reduce_implILb1ES3_NS6_12zip_iteratorINS7_INS6_11hip_rocprim26transform_input_iterator_tIbNSD_35transform_pair_of_input_iterators_tIbNS6_6detail15normal_iteratorINS6_10device_ptrIKfEEEESL_NS6_8equal_toIfEEEENSG_9not_fun_tINSD_8identityEEEEENSD_19counting_iterator_tIlEES8_S8_S8_S8_S8_S8_S8_S8_EEEEPS9_S9_NSD_9__find_if7functorIS9_EEEE10hipError_tPvRmT1_T2_T3_mT4_P12ihipStream_tbEUlT_E0_NS1_11comp_targetILNS1_3genE10ELNS1_11target_archE1200ELNS1_3gpuE4ELNS1_3repE0EEENS1_30default_config_static_selectorELNS0_4arch9wavefront6targetE1EEEvS14_,comdat
	.protected	_ZN7rocprim17ROCPRIM_400000_NS6detail17trampoline_kernelINS0_14default_configENS1_22reduce_config_selectorIN6thrust23THRUST_200600_302600_NS5tupleIblNS6_9null_typeES8_S8_S8_S8_S8_S8_S8_EEEEZNS1_11reduce_implILb1ES3_NS6_12zip_iteratorINS7_INS6_11hip_rocprim26transform_input_iterator_tIbNSD_35transform_pair_of_input_iterators_tIbNS6_6detail15normal_iteratorINS6_10device_ptrIKfEEEESL_NS6_8equal_toIfEEEENSG_9not_fun_tINSD_8identityEEEEENSD_19counting_iterator_tIlEES8_S8_S8_S8_S8_S8_S8_S8_EEEEPS9_S9_NSD_9__find_if7functorIS9_EEEE10hipError_tPvRmT1_T2_T3_mT4_P12ihipStream_tbEUlT_E0_NS1_11comp_targetILNS1_3genE10ELNS1_11target_archE1200ELNS1_3gpuE4ELNS1_3repE0EEENS1_30default_config_static_selectorELNS0_4arch9wavefront6targetE1EEEvS14_ ; -- Begin function _ZN7rocprim17ROCPRIM_400000_NS6detail17trampoline_kernelINS0_14default_configENS1_22reduce_config_selectorIN6thrust23THRUST_200600_302600_NS5tupleIblNS6_9null_typeES8_S8_S8_S8_S8_S8_S8_EEEEZNS1_11reduce_implILb1ES3_NS6_12zip_iteratorINS7_INS6_11hip_rocprim26transform_input_iterator_tIbNSD_35transform_pair_of_input_iterators_tIbNS6_6detail15normal_iteratorINS6_10device_ptrIKfEEEESL_NS6_8equal_toIfEEEENSG_9not_fun_tINSD_8identityEEEEENSD_19counting_iterator_tIlEES8_S8_S8_S8_S8_S8_S8_S8_EEEEPS9_S9_NSD_9__find_if7functorIS9_EEEE10hipError_tPvRmT1_T2_T3_mT4_P12ihipStream_tbEUlT_E0_NS1_11comp_targetILNS1_3genE10ELNS1_11target_archE1200ELNS1_3gpuE4ELNS1_3repE0EEENS1_30default_config_static_selectorELNS0_4arch9wavefront6targetE1EEEvS14_
	.globl	_ZN7rocprim17ROCPRIM_400000_NS6detail17trampoline_kernelINS0_14default_configENS1_22reduce_config_selectorIN6thrust23THRUST_200600_302600_NS5tupleIblNS6_9null_typeES8_S8_S8_S8_S8_S8_S8_EEEEZNS1_11reduce_implILb1ES3_NS6_12zip_iteratorINS7_INS6_11hip_rocprim26transform_input_iterator_tIbNSD_35transform_pair_of_input_iterators_tIbNS6_6detail15normal_iteratorINS6_10device_ptrIKfEEEESL_NS6_8equal_toIfEEEENSG_9not_fun_tINSD_8identityEEEEENSD_19counting_iterator_tIlEES8_S8_S8_S8_S8_S8_S8_S8_EEEEPS9_S9_NSD_9__find_if7functorIS9_EEEE10hipError_tPvRmT1_T2_T3_mT4_P12ihipStream_tbEUlT_E0_NS1_11comp_targetILNS1_3genE10ELNS1_11target_archE1200ELNS1_3gpuE4ELNS1_3repE0EEENS1_30default_config_static_selectorELNS0_4arch9wavefront6targetE1EEEvS14_
	.p2align	8
	.type	_ZN7rocprim17ROCPRIM_400000_NS6detail17trampoline_kernelINS0_14default_configENS1_22reduce_config_selectorIN6thrust23THRUST_200600_302600_NS5tupleIblNS6_9null_typeES8_S8_S8_S8_S8_S8_S8_EEEEZNS1_11reduce_implILb1ES3_NS6_12zip_iteratorINS7_INS6_11hip_rocprim26transform_input_iterator_tIbNSD_35transform_pair_of_input_iterators_tIbNS6_6detail15normal_iteratorINS6_10device_ptrIKfEEEESL_NS6_8equal_toIfEEEENSG_9not_fun_tINSD_8identityEEEEENSD_19counting_iterator_tIlEES8_S8_S8_S8_S8_S8_S8_S8_EEEEPS9_S9_NSD_9__find_if7functorIS9_EEEE10hipError_tPvRmT1_T2_T3_mT4_P12ihipStream_tbEUlT_E0_NS1_11comp_targetILNS1_3genE10ELNS1_11target_archE1200ELNS1_3gpuE4ELNS1_3repE0EEENS1_30default_config_static_selectorELNS0_4arch9wavefront6targetE1EEEvS14_,@function
_ZN7rocprim17ROCPRIM_400000_NS6detail17trampoline_kernelINS0_14default_configENS1_22reduce_config_selectorIN6thrust23THRUST_200600_302600_NS5tupleIblNS6_9null_typeES8_S8_S8_S8_S8_S8_S8_EEEEZNS1_11reduce_implILb1ES3_NS6_12zip_iteratorINS7_INS6_11hip_rocprim26transform_input_iterator_tIbNSD_35transform_pair_of_input_iterators_tIbNS6_6detail15normal_iteratorINS6_10device_ptrIKfEEEESL_NS6_8equal_toIfEEEENSG_9not_fun_tINSD_8identityEEEEENSD_19counting_iterator_tIlEES8_S8_S8_S8_S8_S8_S8_S8_EEEEPS9_S9_NSD_9__find_if7functorIS9_EEEE10hipError_tPvRmT1_T2_T3_mT4_P12ihipStream_tbEUlT_E0_NS1_11comp_targetILNS1_3genE10ELNS1_11target_archE1200ELNS1_3gpuE4ELNS1_3repE0EEENS1_30default_config_static_selectorELNS0_4arch9wavefront6targetE1EEEvS14_: ; @_ZN7rocprim17ROCPRIM_400000_NS6detail17trampoline_kernelINS0_14default_configENS1_22reduce_config_selectorIN6thrust23THRUST_200600_302600_NS5tupleIblNS6_9null_typeES8_S8_S8_S8_S8_S8_S8_EEEEZNS1_11reduce_implILb1ES3_NS6_12zip_iteratorINS7_INS6_11hip_rocprim26transform_input_iterator_tIbNSD_35transform_pair_of_input_iterators_tIbNS6_6detail15normal_iteratorINS6_10device_ptrIKfEEEESL_NS6_8equal_toIfEEEENSG_9not_fun_tINSD_8identityEEEEENSD_19counting_iterator_tIlEES8_S8_S8_S8_S8_S8_S8_S8_EEEEPS9_S9_NSD_9__find_if7functorIS9_EEEE10hipError_tPvRmT1_T2_T3_mT4_P12ihipStream_tbEUlT_E0_NS1_11comp_targetILNS1_3genE10ELNS1_11target_archE1200ELNS1_3gpuE4ELNS1_3repE0EEENS1_30default_config_static_selectorELNS0_4arch9wavefront6targetE1EEEvS14_
; %bb.0:
	.section	.rodata,"a",@progbits
	.p2align	6, 0x0
	.amdhsa_kernel _ZN7rocprim17ROCPRIM_400000_NS6detail17trampoline_kernelINS0_14default_configENS1_22reduce_config_selectorIN6thrust23THRUST_200600_302600_NS5tupleIblNS6_9null_typeES8_S8_S8_S8_S8_S8_S8_EEEEZNS1_11reduce_implILb1ES3_NS6_12zip_iteratorINS7_INS6_11hip_rocprim26transform_input_iterator_tIbNSD_35transform_pair_of_input_iterators_tIbNS6_6detail15normal_iteratorINS6_10device_ptrIKfEEEESL_NS6_8equal_toIfEEEENSG_9not_fun_tINSD_8identityEEEEENSD_19counting_iterator_tIlEES8_S8_S8_S8_S8_S8_S8_S8_EEEEPS9_S9_NSD_9__find_if7functorIS9_EEEE10hipError_tPvRmT1_T2_T3_mT4_P12ihipStream_tbEUlT_E0_NS1_11comp_targetILNS1_3genE10ELNS1_11target_archE1200ELNS1_3gpuE4ELNS1_3repE0EEENS1_30default_config_static_selectorELNS0_4arch9wavefront6targetE1EEEvS14_
		.amdhsa_group_segment_fixed_size 0
		.amdhsa_private_segment_fixed_size 0
		.amdhsa_kernarg_size 104
		.amdhsa_user_sgpr_count 2
		.amdhsa_user_sgpr_dispatch_ptr 0
		.amdhsa_user_sgpr_queue_ptr 0
		.amdhsa_user_sgpr_kernarg_segment_ptr 1
		.amdhsa_user_sgpr_dispatch_id 0
		.amdhsa_user_sgpr_kernarg_preload_length 0
		.amdhsa_user_sgpr_kernarg_preload_offset 0
		.amdhsa_user_sgpr_private_segment_size 0
		.amdhsa_uses_dynamic_stack 0
		.amdhsa_enable_private_segment 0
		.amdhsa_system_sgpr_workgroup_id_x 1
		.amdhsa_system_sgpr_workgroup_id_y 0
		.amdhsa_system_sgpr_workgroup_id_z 0
		.amdhsa_system_sgpr_workgroup_info 0
		.amdhsa_system_vgpr_workitem_id 0
		.amdhsa_next_free_vgpr 1
		.amdhsa_next_free_sgpr 0
		.amdhsa_accum_offset 4
		.amdhsa_reserve_vcc 0
		.amdhsa_float_round_mode_32 0
		.amdhsa_float_round_mode_16_64 0
		.amdhsa_float_denorm_mode_32 3
		.amdhsa_float_denorm_mode_16_64 3
		.amdhsa_dx10_clamp 1
		.amdhsa_ieee_mode 1
		.amdhsa_fp16_overflow 0
		.amdhsa_tg_split 0
		.amdhsa_exception_fp_ieee_invalid_op 0
		.amdhsa_exception_fp_denorm_src 0
		.amdhsa_exception_fp_ieee_div_zero 0
		.amdhsa_exception_fp_ieee_overflow 0
		.amdhsa_exception_fp_ieee_underflow 0
		.amdhsa_exception_fp_ieee_inexact 0
		.amdhsa_exception_int_div_zero 0
	.end_amdhsa_kernel
	.section	.text._ZN7rocprim17ROCPRIM_400000_NS6detail17trampoline_kernelINS0_14default_configENS1_22reduce_config_selectorIN6thrust23THRUST_200600_302600_NS5tupleIblNS6_9null_typeES8_S8_S8_S8_S8_S8_S8_EEEEZNS1_11reduce_implILb1ES3_NS6_12zip_iteratorINS7_INS6_11hip_rocprim26transform_input_iterator_tIbNSD_35transform_pair_of_input_iterators_tIbNS6_6detail15normal_iteratorINS6_10device_ptrIKfEEEESL_NS6_8equal_toIfEEEENSG_9not_fun_tINSD_8identityEEEEENSD_19counting_iterator_tIlEES8_S8_S8_S8_S8_S8_S8_S8_EEEEPS9_S9_NSD_9__find_if7functorIS9_EEEE10hipError_tPvRmT1_T2_T3_mT4_P12ihipStream_tbEUlT_E0_NS1_11comp_targetILNS1_3genE10ELNS1_11target_archE1200ELNS1_3gpuE4ELNS1_3repE0EEENS1_30default_config_static_selectorELNS0_4arch9wavefront6targetE1EEEvS14_,"axG",@progbits,_ZN7rocprim17ROCPRIM_400000_NS6detail17trampoline_kernelINS0_14default_configENS1_22reduce_config_selectorIN6thrust23THRUST_200600_302600_NS5tupleIblNS6_9null_typeES8_S8_S8_S8_S8_S8_S8_EEEEZNS1_11reduce_implILb1ES3_NS6_12zip_iteratorINS7_INS6_11hip_rocprim26transform_input_iterator_tIbNSD_35transform_pair_of_input_iterators_tIbNS6_6detail15normal_iteratorINS6_10device_ptrIKfEEEESL_NS6_8equal_toIfEEEENSG_9not_fun_tINSD_8identityEEEEENSD_19counting_iterator_tIlEES8_S8_S8_S8_S8_S8_S8_S8_EEEEPS9_S9_NSD_9__find_if7functorIS9_EEEE10hipError_tPvRmT1_T2_T3_mT4_P12ihipStream_tbEUlT_E0_NS1_11comp_targetILNS1_3genE10ELNS1_11target_archE1200ELNS1_3gpuE4ELNS1_3repE0EEENS1_30default_config_static_selectorELNS0_4arch9wavefront6targetE1EEEvS14_,comdat
.Lfunc_end365:
	.size	_ZN7rocprim17ROCPRIM_400000_NS6detail17trampoline_kernelINS0_14default_configENS1_22reduce_config_selectorIN6thrust23THRUST_200600_302600_NS5tupleIblNS6_9null_typeES8_S8_S8_S8_S8_S8_S8_EEEEZNS1_11reduce_implILb1ES3_NS6_12zip_iteratorINS7_INS6_11hip_rocprim26transform_input_iterator_tIbNSD_35transform_pair_of_input_iterators_tIbNS6_6detail15normal_iteratorINS6_10device_ptrIKfEEEESL_NS6_8equal_toIfEEEENSG_9not_fun_tINSD_8identityEEEEENSD_19counting_iterator_tIlEES8_S8_S8_S8_S8_S8_S8_S8_EEEEPS9_S9_NSD_9__find_if7functorIS9_EEEE10hipError_tPvRmT1_T2_T3_mT4_P12ihipStream_tbEUlT_E0_NS1_11comp_targetILNS1_3genE10ELNS1_11target_archE1200ELNS1_3gpuE4ELNS1_3repE0EEENS1_30default_config_static_selectorELNS0_4arch9wavefront6targetE1EEEvS14_, .Lfunc_end365-_ZN7rocprim17ROCPRIM_400000_NS6detail17trampoline_kernelINS0_14default_configENS1_22reduce_config_selectorIN6thrust23THRUST_200600_302600_NS5tupleIblNS6_9null_typeES8_S8_S8_S8_S8_S8_S8_EEEEZNS1_11reduce_implILb1ES3_NS6_12zip_iteratorINS7_INS6_11hip_rocprim26transform_input_iterator_tIbNSD_35transform_pair_of_input_iterators_tIbNS6_6detail15normal_iteratorINS6_10device_ptrIKfEEEESL_NS6_8equal_toIfEEEENSG_9not_fun_tINSD_8identityEEEEENSD_19counting_iterator_tIlEES8_S8_S8_S8_S8_S8_S8_S8_EEEEPS9_S9_NSD_9__find_if7functorIS9_EEEE10hipError_tPvRmT1_T2_T3_mT4_P12ihipStream_tbEUlT_E0_NS1_11comp_targetILNS1_3genE10ELNS1_11target_archE1200ELNS1_3gpuE4ELNS1_3repE0EEENS1_30default_config_static_selectorELNS0_4arch9wavefront6targetE1EEEvS14_
                                        ; -- End function
	.set _ZN7rocprim17ROCPRIM_400000_NS6detail17trampoline_kernelINS0_14default_configENS1_22reduce_config_selectorIN6thrust23THRUST_200600_302600_NS5tupleIblNS6_9null_typeES8_S8_S8_S8_S8_S8_S8_EEEEZNS1_11reduce_implILb1ES3_NS6_12zip_iteratorINS7_INS6_11hip_rocprim26transform_input_iterator_tIbNSD_35transform_pair_of_input_iterators_tIbNS6_6detail15normal_iteratorINS6_10device_ptrIKfEEEESL_NS6_8equal_toIfEEEENSG_9not_fun_tINSD_8identityEEEEENSD_19counting_iterator_tIlEES8_S8_S8_S8_S8_S8_S8_S8_EEEEPS9_S9_NSD_9__find_if7functorIS9_EEEE10hipError_tPvRmT1_T2_T3_mT4_P12ihipStream_tbEUlT_E0_NS1_11comp_targetILNS1_3genE10ELNS1_11target_archE1200ELNS1_3gpuE4ELNS1_3repE0EEENS1_30default_config_static_selectorELNS0_4arch9wavefront6targetE1EEEvS14_.num_vgpr, 0
	.set _ZN7rocprim17ROCPRIM_400000_NS6detail17trampoline_kernelINS0_14default_configENS1_22reduce_config_selectorIN6thrust23THRUST_200600_302600_NS5tupleIblNS6_9null_typeES8_S8_S8_S8_S8_S8_S8_EEEEZNS1_11reduce_implILb1ES3_NS6_12zip_iteratorINS7_INS6_11hip_rocprim26transform_input_iterator_tIbNSD_35transform_pair_of_input_iterators_tIbNS6_6detail15normal_iteratorINS6_10device_ptrIKfEEEESL_NS6_8equal_toIfEEEENSG_9not_fun_tINSD_8identityEEEEENSD_19counting_iterator_tIlEES8_S8_S8_S8_S8_S8_S8_S8_EEEEPS9_S9_NSD_9__find_if7functorIS9_EEEE10hipError_tPvRmT1_T2_T3_mT4_P12ihipStream_tbEUlT_E0_NS1_11comp_targetILNS1_3genE10ELNS1_11target_archE1200ELNS1_3gpuE4ELNS1_3repE0EEENS1_30default_config_static_selectorELNS0_4arch9wavefront6targetE1EEEvS14_.num_agpr, 0
	.set _ZN7rocprim17ROCPRIM_400000_NS6detail17trampoline_kernelINS0_14default_configENS1_22reduce_config_selectorIN6thrust23THRUST_200600_302600_NS5tupleIblNS6_9null_typeES8_S8_S8_S8_S8_S8_S8_EEEEZNS1_11reduce_implILb1ES3_NS6_12zip_iteratorINS7_INS6_11hip_rocprim26transform_input_iterator_tIbNSD_35transform_pair_of_input_iterators_tIbNS6_6detail15normal_iteratorINS6_10device_ptrIKfEEEESL_NS6_8equal_toIfEEEENSG_9not_fun_tINSD_8identityEEEEENSD_19counting_iterator_tIlEES8_S8_S8_S8_S8_S8_S8_S8_EEEEPS9_S9_NSD_9__find_if7functorIS9_EEEE10hipError_tPvRmT1_T2_T3_mT4_P12ihipStream_tbEUlT_E0_NS1_11comp_targetILNS1_3genE10ELNS1_11target_archE1200ELNS1_3gpuE4ELNS1_3repE0EEENS1_30default_config_static_selectorELNS0_4arch9wavefront6targetE1EEEvS14_.numbered_sgpr, 0
	.set _ZN7rocprim17ROCPRIM_400000_NS6detail17trampoline_kernelINS0_14default_configENS1_22reduce_config_selectorIN6thrust23THRUST_200600_302600_NS5tupleIblNS6_9null_typeES8_S8_S8_S8_S8_S8_S8_EEEEZNS1_11reduce_implILb1ES3_NS6_12zip_iteratorINS7_INS6_11hip_rocprim26transform_input_iterator_tIbNSD_35transform_pair_of_input_iterators_tIbNS6_6detail15normal_iteratorINS6_10device_ptrIKfEEEESL_NS6_8equal_toIfEEEENSG_9not_fun_tINSD_8identityEEEEENSD_19counting_iterator_tIlEES8_S8_S8_S8_S8_S8_S8_S8_EEEEPS9_S9_NSD_9__find_if7functorIS9_EEEE10hipError_tPvRmT1_T2_T3_mT4_P12ihipStream_tbEUlT_E0_NS1_11comp_targetILNS1_3genE10ELNS1_11target_archE1200ELNS1_3gpuE4ELNS1_3repE0EEENS1_30default_config_static_selectorELNS0_4arch9wavefront6targetE1EEEvS14_.num_named_barrier, 0
	.set _ZN7rocprim17ROCPRIM_400000_NS6detail17trampoline_kernelINS0_14default_configENS1_22reduce_config_selectorIN6thrust23THRUST_200600_302600_NS5tupleIblNS6_9null_typeES8_S8_S8_S8_S8_S8_S8_EEEEZNS1_11reduce_implILb1ES3_NS6_12zip_iteratorINS7_INS6_11hip_rocprim26transform_input_iterator_tIbNSD_35transform_pair_of_input_iterators_tIbNS6_6detail15normal_iteratorINS6_10device_ptrIKfEEEESL_NS6_8equal_toIfEEEENSG_9not_fun_tINSD_8identityEEEEENSD_19counting_iterator_tIlEES8_S8_S8_S8_S8_S8_S8_S8_EEEEPS9_S9_NSD_9__find_if7functorIS9_EEEE10hipError_tPvRmT1_T2_T3_mT4_P12ihipStream_tbEUlT_E0_NS1_11comp_targetILNS1_3genE10ELNS1_11target_archE1200ELNS1_3gpuE4ELNS1_3repE0EEENS1_30default_config_static_selectorELNS0_4arch9wavefront6targetE1EEEvS14_.private_seg_size, 0
	.set _ZN7rocprim17ROCPRIM_400000_NS6detail17trampoline_kernelINS0_14default_configENS1_22reduce_config_selectorIN6thrust23THRUST_200600_302600_NS5tupleIblNS6_9null_typeES8_S8_S8_S8_S8_S8_S8_EEEEZNS1_11reduce_implILb1ES3_NS6_12zip_iteratorINS7_INS6_11hip_rocprim26transform_input_iterator_tIbNSD_35transform_pair_of_input_iterators_tIbNS6_6detail15normal_iteratorINS6_10device_ptrIKfEEEESL_NS6_8equal_toIfEEEENSG_9not_fun_tINSD_8identityEEEEENSD_19counting_iterator_tIlEES8_S8_S8_S8_S8_S8_S8_S8_EEEEPS9_S9_NSD_9__find_if7functorIS9_EEEE10hipError_tPvRmT1_T2_T3_mT4_P12ihipStream_tbEUlT_E0_NS1_11comp_targetILNS1_3genE10ELNS1_11target_archE1200ELNS1_3gpuE4ELNS1_3repE0EEENS1_30default_config_static_selectorELNS0_4arch9wavefront6targetE1EEEvS14_.uses_vcc, 0
	.set _ZN7rocprim17ROCPRIM_400000_NS6detail17trampoline_kernelINS0_14default_configENS1_22reduce_config_selectorIN6thrust23THRUST_200600_302600_NS5tupleIblNS6_9null_typeES8_S8_S8_S8_S8_S8_S8_EEEEZNS1_11reduce_implILb1ES3_NS6_12zip_iteratorINS7_INS6_11hip_rocprim26transform_input_iterator_tIbNSD_35transform_pair_of_input_iterators_tIbNS6_6detail15normal_iteratorINS6_10device_ptrIKfEEEESL_NS6_8equal_toIfEEEENSG_9not_fun_tINSD_8identityEEEEENSD_19counting_iterator_tIlEES8_S8_S8_S8_S8_S8_S8_S8_EEEEPS9_S9_NSD_9__find_if7functorIS9_EEEE10hipError_tPvRmT1_T2_T3_mT4_P12ihipStream_tbEUlT_E0_NS1_11comp_targetILNS1_3genE10ELNS1_11target_archE1200ELNS1_3gpuE4ELNS1_3repE0EEENS1_30default_config_static_selectorELNS0_4arch9wavefront6targetE1EEEvS14_.uses_flat_scratch, 0
	.set _ZN7rocprim17ROCPRIM_400000_NS6detail17trampoline_kernelINS0_14default_configENS1_22reduce_config_selectorIN6thrust23THRUST_200600_302600_NS5tupleIblNS6_9null_typeES8_S8_S8_S8_S8_S8_S8_EEEEZNS1_11reduce_implILb1ES3_NS6_12zip_iteratorINS7_INS6_11hip_rocprim26transform_input_iterator_tIbNSD_35transform_pair_of_input_iterators_tIbNS6_6detail15normal_iteratorINS6_10device_ptrIKfEEEESL_NS6_8equal_toIfEEEENSG_9not_fun_tINSD_8identityEEEEENSD_19counting_iterator_tIlEES8_S8_S8_S8_S8_S8_S8_S8_EEEEPS9_S9_NSD_9__find_if7functorIS9_EEEE10hipError_tPvRmT1_T2_T3_mT4_P12ihipStream_tbEUlT_E0_NS1_11comp_targetILNS1_3genE10ELNS1_11target_archE1200ELNS1_3gpuE4ELNS1_3repE0EEENS1_30default_config_static_selectorELNS0_4arch9wavefront6targetE1EEEvS14_.has_dyn_sized_stack, 0
	.set _ZN7rocprim17ROCPRIM_400000_NS6detail17trampoline_kernelINS0_14default_configENS1_22reduce_config_selectorIN6thrust23THRUST_200600_302600_NS5tupleIblNS6_9null_typeES8_S8_S8_S8_S8_S8_S8_EEEEZNS1_11reduce_implILb1ES3_NS6_12zip_iteratorINS7_INS6_11hip_rocprim26transform_input_iterator_tIbNSD_35transform_pair_of_input_iterators_tIbNS6_6detail15normal_iteratorINS6_10device_ptrIKfEEEESL_NS6_8equal_toIfEEEENSG_9not_fun_tINSD_8identityEEEEENSD_19counting_iterator_tIlEES8_S8_S8_S8_S8_S8_S8_S8_EEEEPS9_S9_NSD_9__find_if7functorIS9_EEEE10hipError_tPvRmT1_T2_T3_mT4_P12ihipStream_tbEUlT_E0_NS1_11comp_targetILNS1_3genE10ELNS1_11target_archE1200ELNS1_3gpuE4ELNS1_3repE0EEENS1_30default_config_static_selectorELNS0_4arch9wavefront6targetE1EEEvS14_.has_recursion, 0
	.set _ZN7rocprim17ROCPRIM_400000_NS6detail17trampoline_kernelINS0_14default_configENS1_22reduce_config_selectorIN6thrust23THRUST_200600_302600_NS5tupleIblNS6_9null_typeES8_S8_S8_S8_S8_S8_S8_EEEEZNS1_11reduce_implILb1ES3_NS6_12zip_iteratorINS7_INS6_11hip_rocprim26transform_input_iterator_tIbNSD_35transform_pair_of_input_iterators_tIbNS6_6detail15normal_iteratorINS6_10device_ptrIKfEEEESL_NS6_8equal_toIfEEEENSG_9not_fun_tINSD_8identityEEEEENSD_19counting_iterator_tIlEES8_S8_S8_S8_S8_S8_S8_S8_EEEEPS9_S9_NSD_9__find_if7functorIS9_EEEE10hipError_tPvRmT1_T2_T3_mT4_P12ihipStream_tbEUlT_E0_NS1_11comp_targetILNS1_3genE10ELNS1_11target_archE1200ELNS1_3gpuE4ELNS1_3repE0EEENS1_30default_config_static_selectorELNS0_4arch9wavefront6targetE1EEEvS14_.has_indirect_call, 0
	.section	.AMDGPU.csdata,"",@progbits
; Kernel info:
; codeLenInByte = 0
; TotalNumSgprs: 6
; NumVgprs: 0
; NumAgprs: 0
; TotalNumVgprs: 0
; ScratchSize: 0
; MemoryBound: 0
; FloatMode: 240
; IeeeMode: 1
; LDSByteSize: 0 bytes/workgroup (compile time only)
; SGPRBlocks: 0
; VGPRBlocks: 0
; NumSGPRsForWavesPerEU: 6
; NumVGPRsForWavesPerEU: 1
; AccumOffset: 4
; Occupancy: 8
; WaveLimiterHint : 0
; COMPUTE_PGM_RSRC2:SCRATCH_EN: 0
; COMPUTE_PGM_RSRC2:USER_SGPR: 2
; COMPUTE_PGM_RSRC2:TRAP_HANDLER: 0
; COMPUTE_PGM_RSRC2:TGID_X_EN: 1
; COMPUTE_PGM_RSRC2:TGID_Y_EN: 0
; COMPUTE_PGM_RSRC2:TGID_Z_EN: 0
; COMPUTE_PGM_RSRC2:TIDIG_COMP_CNT: 0
; COMPUTE_PGM_RSRC3_GFX90A:ACCUM_OFFSET: 0
; COMPUTE_PGM_RSRC3_GFX90A:TG_SPLIT: 0
	.section	.text._ZN7rocprim17ROCPRIM_400000_NS6detail17trampoline_kernelINS0_14default_configENS1_22reduce_config_selectorIN6thrust23THRUST_200600_302600_NS5tupleIblNS6_9null_typeES8_S8_S8_S8_S8_S8_S8_EEEEZNS1_11reduce_implILb1ES3_NS6_12zip_iteratorINS7_INS6_11hip_rocprim26transform_input_iterator_tIbNSD_35transform_pair_of_input_iterators_tIbNS6_6detail15normal_iteratorINS6_10device_ptrIKfEEEESL_NS6_8equal_toIfEEEENSG_9not_fun_tINSD_8identityEEEEENSD_19counting_iterator_tIlEES8_S8_S8_S8_S8_S8_S8_S8_EEEEPS9_S9_NSD_9__find_if7functorIS9_EEEE10hipError_tPvRmT1_T2_T3_mT4_P12ihipStream_tbEUlT_E0_NS1_11comp_targetILNS1_3genE9ELNS1_11target_archE1100ELNS1_3gpuE3ELNS1_3repE0EEENS1_30default_config_static_selectorELNS0_4arch9wavefront6targetE1EEEvS14_,"axG",@progbits,_ZN7rocprim17ROCPRIM_400000_NS6detail17trampoline_kernelINS0_14default_configENS1_22reduce_config_selectorIN6thrust23THRUST_200600_302600_NS5tupleIblNS6_9null_typeES8_S8_S8_S8_S8_S8_S8_EEEEZNS1_11reduce_implILb1ES3_NS6_12zip_iteratorINS7_INS6_11hip_rocprim26transform_input_iterator_tIbNSD_35transform_pair_of_input_iterators_tIbNS6_6detail15normal_iteratorINS6_10device_ptrIKfEEEESL_NS6_8equal_toIfEEEENSG_9not_fun_tINSD_8identityEEEEENSD_19counting_iterator_tIlEES8_S8_S8_S8_S8_S8_S8_S8_EEEEPS9_S9_NSD_9__find_if7functorIS9_EEEE10hipError_tPvRmT1_T2_T3_mT4_P12ihipStream_tbEUlT_E0_NS1_11comp_targetILNS1_3genE9ELNS1_11target_archE1100ELNS1_3gpuE3ELNS1_3repE0EEENS1_30default_config_static_selectorELNS0_4arch9wavefront6targetE1EEEvS14_,comdat
	.protected	_ZN7rocprim17ROCPRIM_400000_NS6detail17trampoline_kernelINS0_14default_configENS1_22reduce_config_selectorIN6thrust23THRUST_200600_302600_NS5tupleIblNS6_9null_typeES8_S8_S8_S8_S8_S8_S8_EEEEZNS1_11reduce_implILb1ES3_NS6_12zip_iteratorINS7_INS6_11hip_rocprim26transform_input_iterator_tIbNSD_35transform_pair_of_input_iterators_tIbNS6_6detail15normal_iteratorINS6_10device_ptrIKfEEEESL_NS6_8equal_toIfEEEENSG_9not_fun_tINSD_8identityEEEEENSD_19counting_iterator_tIlEES8_S8_S8_S8_S8_S8_S8_S8_EEEEPS9_S9_NSD_9__find_if7functorIS9_EEEE10hipError_tPvRmT1_T2_T3_mT4_P12ihipStream_tbEUlT_E0_NS1_11comp_targetILNS1_3genE9ELNS1_11target_archE1100ELNS1_3gpuE3ELNS1_3repE0EEENS1_30default_config_static_selectorELNS0_4arch9wavefront6targetE1EEEvS14_ ; -- Begin function _ZN7rocprim17ROCPRIM_400000_NS6detail17trampoline_kernelINS0_14default_configENS1_22reduce_config_selectorIN6thrust23THRUST_200600_302600_NS5tupleIblNS6_9null_typeES8_S8_S8_S8_S8_S8_S8_EEEEZNS1_11reduce_implILb1ES3_NS6_12zip_iteratorINS7_INS6_11hip_rocprim26transform_input_iterator_tIbNSD_35transform_pair_of_input_iterators_tIbNS6_6detail15normal_iteratorINS6_10device_ptrIKfEEEESL_NS6_8equal_toIfEEEENSG_9not_fun_tINSD_8identityEEEEENSD_19counting_iterator_tIlEES8_S8_S8_S8_S8_S8_S8_S8_EEEEPS9_S9_NSD_9__find_if7functorIS9_EEEE10hipError_tPvRmT1_T2_T3_mT4_P12ihipStream_tbEUlT_E0_NS1_11comp_targetILNS1_3genE9ELNS1_11target_archE1100ELNS1_3gpuE3ELNS1_3repE0EEENS1_30default_config_static_selectorELNS0_4arch9wavefront6targetE1EEEvS14_
	.globl	_ZN7rocprim17ROCPRIM_400000_NS6detail17trampoline_kernelINS0_14default_configENS1_22reduce_config_selectorIN6thrust23THRUST_200600_302600_NS5tupleIblNS6_9null_typeES8_S8_S8_S8_S8_S8_S8_EEEEZNS1_11reduce_implILb1ES3_NS6_12zip_iteratorINS7_INS6_11hip_rocprim26transform_input_iterator_tIbNSD_35transform_pair_of_input_iterators_tIbNS6_6detail15normal_iteratorINS6_10device_ptrIKfEEEESL_NS6_8equal_toIfEEEENSG_9not_fun_tINSD_8identityEEEEENSD_19counting_iterator_tIlEES8_S8_S8_S8_S8_S8_S8_S8_EEEEPS9_S9_NSD_9__find_if7functorIS9_EEEE10hipError_tPvRmT1_T2_T3_mT4_P12ihipStream_tbEUlT_E0_NS1_11comp_targetILNS1_3genE9ELNS1_11target_archE1100ELNS1_3gpuE3ELNS1_3repE0EEENS1_30default_config_static_selectorELNS0_4arch9wavefront6targetE1EEEvS14_
	.p2align	8
	.type	_ZN7rocprim17ROCPRIM_400000_NS6detail17trampoline_kernelINS0_14default_configENS1_22reduce_config_selectorIN6thrust23THRUST_200600_302600_NS5tupleIblNS6_9null_typeES8_S8_S8_S8_S8_S8_S8_EEEEZNS1_11reduce_implILb1ES3_NS6_12zip_iteratorINS7_INS6_11hip_rocprim26transform_input_iterator_tIbNSD_35transform_pair_of_input_iterators_tIbNS6_6detail15normal_iteratorINS6_10device_ptrIKfEEEESL_NS6_8equal_toIfEEEENSG_9not_fun_tINSD_8identityEEEEENSD_19counting_iterator_tIlEES8_S8_S8_S8_S8_S8_S8_S8_EEEEPS9_S9_NSD_9__find_if7functorIS9_EEEE10hipError_tPvRmT1_T2_T3_mT4_P12ihipStream_tbEUlT_E0_NS1_11comp_targetILNS1_3genE9ELNS1_11target_archE1100ELNS1_3gpuE3ELNS1_3repE0EEENS1_30default_config_static_selectorELNS0_4arch9wavefront6targetE1EEEvS14_,@function
_ZN7rocprim17ROCPRIM_400000_NS6detail17trampoline_kernelINS0_14default_configENS1_22reduce_config_selectorIN6thrust23THRUST_200600_302600_NS5tupleIblNS6_9null_typeES8_S8_S8_S8_S8_S8_S8_EEEEZNS1_11reduce_implILb1ES3_NS6_12zip_iteratorINS7_INS6_11hip_rocprim26transform_input_iterator_tIbNSD_35transform_pair_of_input_iterators_tIbNS6_6detail15normal_iteratorINS6_10device_ptrIKfEEEESL_NS6_8equal_toIfEEEENSG_9not_fun_tINSD_8identityEEEEENSD_19counting_iterator_tIlEES8_S8_S8_S8_S8_S8_S8_S8_EEEEPS9_S9_NSD_9__find_if7functorIS9_EEEE10hipError_tPvRmT1_T2_T3_mT4_P12ihipStream_tbEUlT_E0_NS1_11comp_targetILNS1_3genE9ELNS1_11target_archE1100ELNS1_3gpuE3ELNS1_3repE0EEENS1_30default_config_static_selectorELNS0_4arch9wavefront6targetE1EEEvS14_: ; @_ZN7rocprim17ROCPRIM_400000_NS6detail17trampoline_kernelINS0_14default_configENS1_22reduce_config_selectorIN6thrust23THRUST_200600_302600_NS5tupleIblNS6_9null_typeES8_S8_S8_S8_S8_S8_S8_EEEEZNS1_11reduce_implILb1ES3_NS6_12zip_iteratorINS7_INS6_11hip_rocprim26transform_input_iterator_tIbNSD_35transform_pair_of_input_iterators_tIbNS6_6detail15normal_iteratorINS6_10device_ptrIKfEEEESL_NS6_8equal_toIfEEEENSG_9not_fun_tINSD_8identityEEEEENSD_19counting_iterator_tIlEES8_S8_S8_S8_S8_S8_S8_S8_EEEEPS9_S9_NSD_9__find_if7functorIS9_EEEE10hipError_tPvRmT1_T2_T3_mT4_P12ihipStream_tbEUlT_E0_NS1_11comp_targetILNS1_3genE9ELNS1_11target_archE1100ELNS1_3gpuE3ELNS1_3repE0EEENS1_30default_config_static_selectorELNS0_4arch9wavefront6targetE1EEEvS14_
; %bb.0:
	.section	.rodata,"a",@progbits
	.p2align	6, 0x0
	.amdhsa_kernel _ZN7rocprim17ROCPRIM_400000_NS6detail17trampoline_kernelINS0_14default_configENS1_22reduce_config_selectorIN6thrust23THRUST_200600_302600_NS5tupleIblNS6_9null_typeES8_S8_S8_S8_S8_S8_S8_EEEEZNS1_11reduce_implILb1ES3_NS6_12zip_iteratorINS7_INS6_11hip_rocprim26transform_input_iterator_tIbNSD_35transform_pair_of_input_iterators_tIbNS6_6detail15normal_iteratorINS6_10device_ptrIKfEEEESL_NS6_8equal_toIfEEEENSG_9not_fun_tINSD_8identityEEEEENSD_19counting_iterator_tIlEES8_S8_S8_S8_S8_S8_S8_S8_EEEEPS9_S9_NSD_9__find_if7functorIS9_EEEE10hipError_tPvRmT1_T2_T3_mT4_P12ihipStream_tbEUlT_E0_NS1_11comp_targetILNS1_3genE9ELNS1_11target_archE1100ELNS1_3gpuE3ELNS1_3repE0EEENS1_30default_config_static_selectorELNS0_4arch9wavefront6targetE1EEEvS14_
		.amdhsa_group_segment_fixed_size 0
		.amdhsa_private_segment_fixed_size 0
		.amdhsa_kernarg_size 104
		.amdhsa_user_sgpr_count 2
		.amdhsa_user_sgpr_dispatch_ptr 0
		.amdhsa_user_sgpr_queue_ptr 0
		.amdhsa_user_sgpr_kernarg_segment_ptr 1
		.amdhsa_user_sgpr_dispatch_id 0
		.amdhsa_user_sgpr_kernarg_preload_length 0
		.amdhsa_user_sgpr_kernarg_preload_offset 0
		.amdhsa_user_sgpr_private_segment_size 0
		.amdhsa_uses_dynamic_stack 0
		.amdhsa_enable_private_segment 0
		.amdhsa_system_sgpr_workgroup_id_x 1
		.amdhsa_system_sgpr_workgroup_id_y 0
		.amdhsa_system_sgpr_workgroup_id_z 0
		.amdhsa_system_sgpr_workgroup_info 0
		.amdhsa_system_vgpr_workitem_id 0
		.amdhsa_next_free_vgpr 1
		.amdhsa_next_free_sgpr 0
		.amdhsa_accum_offset 4
		.amdhsa_reserve_vcc 0
		.amdhsa_float_round_mode_32 0
		.amdhsa_float_round_mode_16_64 0
		.amdhsa_float_denorm_mode_32 3
		.amdhsa_float_denorm_mode_16_64 3
		.amdhsa_dx10_clamp 1
		.amdhsa_ieee_mode 1
		.amdhsa_fp16_overflow 0
		.amdhsa_tg_split 0
		.amdhsa_exception_fp_ieee_invalid_op 0
		.amdhsa_exception_fp_denorm_src 0
		.amdhsa_exception_fp_ieee_div_zero 0
		.amdhsa_exception_fp_ieee_overflow 0
		.amdhsa_exception_fp_ieee_underflow 0
		.amdhsa_exception_fp_ieee_inexact 0
		.amdhsa_exception_int_div_zero 0
	.end_amdhsa_kernel
	.section	.text._ZN7rocprim17ROCPRIM_400000_NS6detail17trampoline_kernelINS0_14default_configENS1_22reduce_config_selectorIN6thrust23THRUST_200600_302600_NS5tupleIblNS6_9null_typeES8_S8_S8_S8_S8_S8_S8_EEEEZNS1_11reduce_implILb1ES3_NS6_12zip_iteratorINS7_INS6_11hip_rocprim26transform_input_iterator_tIbNSD_35transform_pair_of_input_iterators_tIbNS6_6detail15normal_iteratorINS6_10device_ptrIKfEEEESL_NS6_8equal_toIfEEEENSG_9not_fun_tINSD_8identityEEEEENSD_19counting_iterator_tIlEES8_S8_S8_S8_S8_S8_S8_S8_EEEEPS9_S9_NSD_9__find_if7functorIS9_EEEE10hipError_tPvRmT1_T2_T3_mT4_P12ihipStream_tbEUlT_E0_NS1_11comp_targetILNS1_3genE9ELNS1_11target_archE1100ELNS1_3gpuE3ELNS1_3repE0EEENS1_30default_config_static_selectorELNS0_4arch9wavefront6targetE1EEEvS14_,"axG",@progbits,_ZN7rocprim17ROCPRIM_400000_NS6detail17trampoline_kernelINS0_14default_configENS1_22reduce_config_selectorIN6thrust23THRUST_200600_302600_NS5tupleIblNS6_9null_typeES8_S8_S8_S8_S8_S8_S8_EEEEZNS1_11reduce_implILb1ES3_NS6_12zip_iteratorINS7_INS6_11hip_rocprim26transform_input_iterator_tIbNSD_35transform_pair_of_input_iterators_tIbNS6_6detail15normal_iteratorINS6_10device_ptrIKfEEEESL_NS6_8equal_toIfEEEENSG_9not_fun_tINSD_8identityEEEEENSD_19counting_iterator_tIlEES8_S8_S8_S8_S8_S8_S8_S8_EEEEPS9_S9_NSD_9__find_if7functorIS9_EEEE10hipError_tPvRmT1_T2_T3_mT4_P12ihipStream_tbEUlT_E0_NS1_11comp_targetILNS1_3genE9ELNS1_11target_archE1100ELNS1_3gpuE3ELNS1_3repE0EEENS1_30default_config_static_selectorELNS0_4arch9wavefront6targetE1EEEvS14_,comdat
.Lfunc_end366:
	.size	_ZN7rocprim17ROCPRIM_400000_NS6detail17trampoline_kernelINS0_14default_configENS1_22reduce_config_selectorIN6thrust23THRUST_200600_302600_NS5tupleIblNS6_9null_typeES8_S8_S8_S8_S8_S8_S8_EEEEZNS1_11reduce_implILb1ES3_NS6_12zip_iteratorINS7_INS6_11hip_rocprim26transform_input_iterator_tIbNSD_35transform_pair_of_input_iterators_tIbNS6_6detail15normal_iteratorINS6_10device_ptrIKfEEEESL_NS6_8equal_toIfEEEENSG_9not_fun_tINSD_8identityEEEEENSD_19counting_iterator_tIlEES8_S8_S8_S8_S8_S8_S8_S8_EEEEPS9_S9_NSD_9__find_if7functorIS9_EEEE10hipError_tPvRmT1_T2_T3_mT4_P12ihipStream_tbEUlT_E0_NS1_11comp_targetILNS1_3genE9ELNS1_11target_archE1100ELNS1_3gpuE3ELNS1_3repE0EEENS1_30default_config_static_selectorELNS0_4arch9wavefront6targetE1EEEvS14_, .Lfunc_end366-_ZN7rocprim17ROCPRIM_400000_NS6detail17trampoline_kernelINS0_14default_configENS1_22reduce_config_selectorIN6thrust23THRUST_200600_302600_NS5tupleIblNS6_9null_typeES8_S8_S8_S8_S8_S8_S8_EEEEZNS1_11reduce_implILb1ES3_NS6_12zip_iteratorINS7_INS6_11hip_rocprim26transform_input_iterator_tIbNSD_35transform_pair_of_input_iterators_tIbNS6_6detail15normal_iteratorINS6_10device_ptrIKfEEEESL_NS6_8equal_toIfEEEENSG_9not_fun_tINSD_8identityEEEEENSD_19counting_iterator_tIlEES8_S8_S8_S8_S8_S8_S8_S8_EEEEPS9_S9_NSD_9__find_if7functorIS9_EEEE10hipError_tPvRmT1_T2_T3_mT4_P12ihipStream_tbEUlT_E0_NS1_11comp_targetILNS1_3genE9ELNS1_11target_archE1100ELNS1_3gpuE3ELNS1_3repE0EEENS1_30default_config_static_selectorELNS0_4arch9wavefront6targetE1EEEvS14_
                                        ; -- End function
	.set _ZN7rocprim17ROCPRIM_400000_NS6detail17trampoline_kernelINS0_14default_configENS1_22reduce_config_selectorIN6thrust23THRUST_200600_302600_NS5tupleIblNS6_9null_typeES8_S8_S8_S8_S8_S8_S8_EEEEZNS1_11reduce_implILb1ES3_NS6_12zip_iteratorINS7_INS6_11hip_rocprim26transform_input_iterator_tIbNSD_35transform_pair_of_input_iterators_tIbNS6_6detail15normal_iteratorINS6_10device_ptrIKfEEEESL_NS6_8equal_toIfEEEENSG_9not_fun_tINSD_8identityEEEEENSD_19counting_iterator_tIlEES8_S8_S8_S8_S8_S8_S8_S8_EEEEPS9_S9_NSD_9__find_if7functorIS9_EEEE10hipError_tPvRmT1_T2_T3_mT4_P12ihipStream_tbEUlT_E0_NS1_11comp_targetILNS1_3genE9ELNS1_11target_archE1100ELNS1_3gpuE3ELNS1_3repE0EEENS1_30default_config_static_selectorELNS0_4arch9wavefront6targetE1EEEvS14_.num_vgpr, 0
	.set _ZN7rocprim17ROCPRIM_400000_NS6detail17trampoline_kernelINS0_14default_configENS1_22reduce_config_selectorIN6thrust23THRUST_200600_302600_NS5tupleIblNS6_9null_typeES8_S8_S8_S8_S8_S8_S8_EEEEZNS1_11reduce_implILb1ES3_NS6_12zip_iteratorINS7_INS6_11hip_rocprim26transform_input_iterator_tIbNSD_35transform_pair_of_input_iterators_tIbNS6_6detail15normal_iteratorINS6_10device_ptrIKfEEEESL_NS6_8equal_toIfEEEENSG_9not_fun_tINSD_8identityEEEEENSD_19counting_iterator_tIlEES8_S8_S8_S8_S8_S8_S8_S8_EEEEPS9_S9_NSD_9__find_if7functorIS9_EEEE10hipError_tPvRmT1_T2_T3_mT4_P12ihipStream_tbEUlT_E0_NS1_11comp_targetILNS1_3genE9ELNS1_11target_archE1100ELNS1_3gpuE3ELNS1_3repE0EEENS1_30default_config_static_selectorELNS0_4arch9wavefront6targetE1EEEvS14_.num_agpr, 0
	.set _ZN7rocprim17ROCPRIM_400000_NS6detail17trampoline_kernelINS0_14default_configENS1_22reduce_config_selectorIN6thrust23THRUST_200600_302600_NS5tupleIblNS6_9null_typeES8_S8_S8_S8_S8_S8_S8_EEEEZNS1_11reduce_implILb1ES3_NS6_12zip_iteratorINS7_INS6_11hip_rocprim26transform_input_iterator_tIbNSD_35transform_pair_of_input_iterators_tIbNS6_6detail15normal_iteratorINS6_10device_ptrIKfEEEESL_NS6_8equal_toIfEEEENSG_9not_fun_tINSD_8identityEEEEENSD_19counting_iterator_tIlEES8_S8_S8_S8_S8_S8_S8_S8_EEEEPS9_S9_NSD_9__find_if7functorIS9_EEEE10hipError_tPvRmT1_T2_T3_mT4_P12ihipStream_tbEUlT_E0_NS1_11comp_targetILNS1_3genE9ELNS1_11target_archE1100ELNS1_3gpuE3ELNS1_3repE0EEENS1_30default_config_static_selectorELNS0_4arch9wavefront6targetE1EEEvS14_.numbered_sgpr, 0
	.set _ZN7rocprim17ROCPRIM_400000_NS6detail17trampoline_kernelINS0_14default_configENS1_22reduce_config_selectorIN6thrust23THRUST_200600_302600_NS5tupleIblNS6_9null_typeES8_S8_S8_S8_S8_S8_S8_EEEEZNS1_11reduce_implILb1ES3_NS6_12zip_iteratorINS7_INS6_11hip_rocprim26transform_input_iterator_tIbNSD_35transform_pair_of_input_iterators_tIbNS6_6detail15normal_iteratorINS6_10device_ptrIKfEEEESL_NS6_8equal_toIfEEEENSG_9not_fun_tINSD_8identityEEEEENSD_19counting_iterator_tIlEES8_S8_S8_S8_S8_S8_S8_S8_EEEEPS9_S9_NSD_9__find_if7functorIS9_EEEE10hipError_tPvRmT1_T2_T3_mT4_P12ihipStream_tbEUlT_E0_NS1_11comp_targetILNS1_3genE9ELNS1_11target_archE1100ELNS1_3gpuE3ELNS1_3repE0EEENS1_30default_config_static_selectorELNS0_4arch9wavefront6targetE1EEEvS14_.num_named_barrier, 0
	.set _ZN7rocprim17ROCPRIM_400000_NS6detail17trampoline_kernelINS0_14default_configENS1_22reduce_config_selectorIN6thrust23THRUST_200600_302600_NS5tupleIblNS6_9null_typeES8_S8_S8_S8_S8_S8_S8_EEEEZNS1_11reduce_implILb1ES3_NS6_12zip_iteratorINS7_INS6_11hip_rocprim26transform_input_iterator_tIbNSD_35transform_pair_of_input_iterators_tIbNS6_6detail15normal_iteratorINS6_10device_ptrIKfEEEESL_NS6_8equal_toIfEEEENSG_9not_fun_tINSD_8identityEEEEENSD_19counting_iterator_tIlEES8_S8_S8_S8_S8_S8_S8_S8_EEEEPS9_S9_NSD_9__find_if7functorIS9_EEEE10hipError_tPvRmT1_T2_T3_mT4_P12ihipStream_tbEUlT_E0_NS1_11comp_targetILNS1_3genE9ELNS1_11target_archE1100ELNS1_3gpuE3ELNS1_3repE0EEENS1_30default_config_static_selectorELNS0_4arch9wavefront6targetE1EEEvS14_.private_seg_size, 0
	.set _ZN7rocprim17ROCPRIM_400000_NS6detail17trampoline_kernelINS0_14default_configENS1_22reduce_config_selectorIN6thrust23THRUST_200600_302600_NS5tupleIblNS6_9null_typeES8_S8_S8_S8_S8_S8_S8_EEEEZNS1_11reduce_implILb1ES3_NS6_12zip_iteratorINS7_INS6_11hip_rocprim26transform_input_iterator_tIbNSD_35transform_pair_of_input_iterators_tIbNS6_6detail15normal_iteratorINS6_10device_ptrIKfEEEESL_NS6_8equal_toIfEEEENSG_9not_fun_tINSD_8identityEEEEENSD_19counting_iterator_tIlEES8_S8_S8_S8_S8_S8_S8_S8_EEEEPS9_S9_NSD_9__find_if7functorIS9_EEEE10hipError_tPvRmT1_T2_T3_mT4_P12ihipStream_tbEUlT_E0_NS1_11comp_targetILNS1_3genE9ELNS1_11target_archE1100ELNS1_3gpuE3ELNS1_3repE0EEENS1_30default_config_static_selectorELNS0_4arch9wavefront6targetE1EEEvS14_.uses_vcc, 0
	.set _ZN7rocprim17ROCPRIM_400000_NS6detail17trampoline_kernelINS0_14default_configENS1_22reduce_config_selectorIN6thrust23THRUST_200600_302600_NS5tupleIblNS6_9null_typeES8_S8_S8_S8_S8_S8_S8_EEEEZNS1_11reduce_implILb1ES3_NS6_12zip_iteratorINS7_INS6_11hip_rocprim26transform_input_iterator_tIbNSD_35transform_pair_of_input_iterators_tIbNS6_6detail15normal_iteratorINS6_10device_ptrIKfEEEESL_NS6_8equal_toIfEEEENSG_9not_fun_tINSD_8identityEEEEENSD_19counting_iterator_tIlEES8_S8_S8_S8_S8_S8_S8_S8_EEEEPS9_S9_NSD_9__find_if7functorIS9_EEEE10hipError_tPvRmT1_T2_T3_mT4_P12ihipStream_tbEUlT_E0_NS1_11comp_targetILNS1_3genE9ELNS1_11target_archE1100ELNS1_3gpuE3ELNS1_3repE0EEENS1_30default_config_static_selectorELNS0_4arch9wavefront6targetE1EEEvS14_.uses_flat_scratch, 0
	.set _ZN7rocprim17ROCPRIM_400000_NS6detail17trampoline_kernelINS0_14default_configENS1_22reduce_config_selectorIN6thrust23THRUST_200600_302600_NS5tupleIblNS6_9null_typeES8_S8_S8_S8_S8_S8_S8_EEEEZNS1_11reduce_implILb1ES3_NS6_12zip_iteratorINS7_INS6_11hip_rocprim26transform_input_iterator_tIbNSD_35transform_pair_of_input_iterators_tIbNS6_6detail15normal_iteratorINS6_10device_ptrIKfEEEESL_NS6_8equal_toIfEEEENSG_9not_fun_tINSD_8identityEEEEENSD_19counting_iterator_tIlEES8_S8_S8_S8_S8_S8_S8_S8_EEEEPS9_S9_NSD_9__find_if7functorIS9_EEEE10hipError_tPvRmT1_T2_T3_mT4_P12ihipStream_tbEUlT_E0_NS1_11comp_targetILNS1_3genE9ELNS1_11target_archE1100ELNS1_3gpuE3ELNS1_3repE0EEENS1_30default_config_static_selectorELNS0_4arch9wavefront6targetE1EEEvS14_.has_dyn_sized_stack, 0
	.set _ZN7rocprim17ROCPRIM_400000_NS6detail17trampoline_kernelINS0_14default_configENS1_22reduce_config_selectorIN6thrust23THRUST_200600_302600_NS5tupleIblNS6_9null_typeES8_S8_S8_S8_S8_S8_S8_EEEEZNS1_11reduce_implILb1ES3_NS6_12zip_iteratorINS7_INS6_11hip_rocprim26transform_input_iterator_tIbNSD_35transform_pair_of_input_iterators_tIbNS6_6detail15normal_iteratorINS6_10device_ptrIKfEEEESL_NS6_8equal_toIfEEEENSG_9not_fun_tINSD_8identityEEEEENSD_19counting_iterator_tIlEES8_S8_S8_S8_S8_S8_S8_S8_EEEEPS9_S9_NSD_9__find_if7functorIS9_EEEE10hipError_tPvRmT1_T2_T3_mT4_P12ihipStream_tbEUlT_E0_NS1_11comp_targetILNS1_3genE9ELNS1_11target_archE1100ELNS1_3gpuE3ELNS1_3repE0EEENS1_30default_config_static_selectorELNS0_4arch9wavefront6targetE1EEEvS14_.has_recursion, 0
	.set _ZN7rocprim17ROCPRIM_400000_NS6detail17trampoline_kernelINS0_14default_configENS1_22reduce_config_selectorIN6thrust23THRUST_200600_302600_NS5tupleIblNS6_9null_typeES8_S8_S8_S8_S8_S8_S8_EEEEZNS1_11reduce_implILb1ES3_NS6_12zip_iteratorINS7_INS6_11hip_rocprim26transform_input_iterator_tIbNSD_35transform_pair_of_input_iterators_tIbNS6_6detail15normal_iteratorINS6_10device_ptrIKfEEEESL_NS6_8equal_toIfEEEENSG_9not_fun_tINSD_8identityEEEEENSD_19counting_iterator_tIlEES8_S8_S8_S8_S8_S8_S8_S8_EEEEPS9_S9_NSD_9__find_if7functorIS9_EEEE10hipError_tPvRmT1_T2_T3_mT4_P12ihipStream_tbEUlT_E0_NS1_11comp_targetILNS1_3genE9ELNS1_11target_archE1100ELNS1_3gpuE3ELNS1_3repE0EEENS1_30default_config_static_selectorELNS0_4arch9wavefront6targetE1EEEvS14_.has_indirect_call, 0
	.section	.AMDGPU.csdata,"",@progbits
; Kernel info:
; codeLenInByte = 0
; TotalNumSgprs: 6
; NumVgprs: 0
; NumAgprs: 0
; TotalNumVgprs: 0
; ScratchSize: 0
; MemoryBound: 0
; FloatMode: 240
; IeeeMode: 1
; LDSByteSize: 0 bytes/workgroup (compile time only)
; SGPRBlocks: 0
; VGPRBlocks: 0
; NumSGPRsForWavesPerEU: 6
; NumVGPRsForWavesPerEU: 1
; AccumOffset: 4
; Occupancy: 8
; WaveLimiterHint : 0
; COMPUTE_PGM_RSRC2:SCRATCH_EN: 0
; COMPUTE_PGM_RSRC2:USER_SGPR: 2
; COMPUTE_PGM_RSRC2:TRAP_HANDLER: 0
; COMPUTE_PGM_RSRC2:TGID_X_EN: 1
; COMPUTE_PGM_RSRC2:TGID_Y_EN: 0
; COMPUTE_PGM_RSRC2:TGID_Z_EN: 0
; COMPUTE_PGM_RSRC2:TIDIG_COMP_CNT: 0
; COMPUTE_PGM_RSRC3_GFX90A:ACCUM_OFFSET: 0
; COMPUTE_PGM_RSRC3_GFX90A:TG_SPLIT: 0
	.section	.text._ZN7rocprim17ROCPRIM_400000_NS6detail17trampoline_kernelINS0_14default_configENS1_22reduce_config_selectorIN6thrust23THRUST_200600_302600_NS5tupleIblNS6_9null_typeES8_S8_S8_S8_S8_S8_S8_EEEEZNS1_11reduce_implILb1ES3_NS6_12zip_iteratorINS7_INS6_11hip_rocprim26transform_input_iterator_tIbNSD_35transform_pair_of_input_iterators_tIbNS6_6detail15normal_iteratorINS6_10device_ptrIKfEEEESL_NS6_8equal_toIfEEEENSG_9not_fun_tINSD_8identityEEEEENSD_19counting_iterator_tIlEES8_S8_S8_S8_S8_S8_S8_S8_EEEEPS9_S9_NSD_9__find_if7functorIS9_EEEE10hipError_tPvRmT1_T2_T3_mT4_P12ihipStream_tbEUlT_E0_NS1_11comp_targetILNS1_3genE8ELNS1_11target_archE1030ELNS1_3gpuE2ELNS1_3repE0EEENS1_30default_config_static_selectorELNS0_4arch9wavefront6targetE1EEEvS14_,"axG",@progbits,_ZN7rocprim17ROCPRIM_400000_NS6detail17trampoline_kernelINS0_14default_configENS1_22reduce_config_selectorIN6thrust23THRUST_200600_302600_NS5tupleIblNS6_9null_typeES8_S8_S8_S8_S8_S8_S8_EEEEZNS1_11reduce_implILb1ES3_NS6_12zip_iteratorINS7_INS6_11hip_rocprim26transform_input_iterator_tIbNSD_35transform_pair_of_input_iterators_tIbNS6_6detail15normal_iteratorINS6_10device_ptrIKfEEEESL_NS6_8equal_toIfEEEENSG_9not_fun_tINSD_8identityEEEEENSD_19counting_iterator_tIlEES8_S8_S8_S8_S8_S8_S8_S8_EEEEPS9_S9_NSD_9__find_if7functorIS9_EEEE10hipError_tPvRmT1_T2_T3_mT4_P12ihipStream_tbEUlT_E0_NS1_11comp_targetILNS1_3genE8ELNS1_11target_archE1030ELNS1_3gpuE2ELNS1_3repE0EEENS1_30default_config_static_selectorELNS0_4arch9wavefront6targetE1EEEvS14_,comdat
	.protected	_ZN7rocprim17ROCPRIM_400000_NS6detail17trampoline_kernelINS0_14default_configENS1_22reduce_config_selectorIN6thrust23THRUST_200600_302600_NS5tupleIblNS6_9null_typeES8_S8_S8_S8_S8_S8_S8_EEEEZNS1_11reduce_implILb1ES3_NS6_12zip_iteratorINS7_INS6_11hip_rocprim26transform_input_iterator_tIbNSD_35transform_pair_of_input_iterators_tIbNS6_6detail15normal_iteratorINS6_10device_ptrIKfEEEESL_NS6_8equal_toIfEEEENSG_9not_fun_tINSD_8identityEEEEENSD_19counting_iterator_tIlEES8_S8_S8_S8_S8_S8_S8_S8_EEEEPS9_S9_NSD_9__find_if7functorIS9_EEEE10hipError_tPvRmT1_T2_T3_mT4_P12ihipStream_tbEUlT_E0_NS1_11comp_targetILNS1_3genE8ELNS1_11target_archE1030ELNS1_3gpuE2ELNS1_3repE0EEENS1_30default_config_static_selectorELNS0_4arch9wavefront6targetE1EEEvS14_ ; -- Begin function _ZN7rocprim17ROCPRIM_400000_NS6detail17trampoline_kernelINS0_14default_configENS1_22reduce_config_selectorIN6thrust23THRUST_200600_302600_NS5tupleIblNS6_9null_typeES8_S8_S8_S8_S8_S8_S8_EEEEZNS1_11reduce_implILb1ES3_NS6_12zip_iteratorINS7_INS6_11hip_rocprim26transform_input_iterator_tIbNSD_35transform_pair_of_input_iterators_tIbNS6_6detail15normal_iteratorINS6_10device_ptrIKfEEEESL_NS6_8equal_toIfEEEENSG_9not_fun_tINSD_8identityEEEEENSD_19counting_iterator_tIlEES8_S8_S8_S8_S8_S8_S8_S8_EEEEPS9_S9_NSD_9__find_if7functorIS9_EEEE10hipError_tPvRmT1_T2_T3_mT4_P12ihipStream_tbEUlT_E0_NS1_11comp_targetILNS1_3genE8ELNS1_11target_archE1030ELNS1_3gpuE2ELNS1_3repE0EEENS1_30default_config_static_selectorELNS0_4arch9wavefront6targetE1EEEvS14_
	.globl	_ZN7rocprim17ROCPRIM_400000_NS6detail17trampoline_kernelINS0_14default_configENS1_22reduce_config_selectorIN6thrust23THRUST_200600_302600_NS5tupleIblNS6_9null_typeES8_S8_S8_S8_S8_S8_S8_EEEEZNS1_11reduce_implILb1ES3_NS6_12zip_iteratorINS7_INS6_11hip_rocprim26transform_input_iterator_tIbNSD_35transform_pair_of_input_iterators_tIbNS6_6detail15normal_iteratorINS6_10device_ptrIKfEEEESL_NS6_8equal_toIfEEEENSG_9not_fun_tINSD_8identityEEEEENSD_19counting_iterator_tIlEES8_S8_S8_S8_S8_S8_S8_S8_EEEEPS9_S9_NSD_9__find_if7functorIS9_EEEE10hipError_tPvRmT1_T2_T3_mT4_P12ihipStream_tbEUlT_E0_NS1_11comp_targetILNS1_3genE8ELNS1_11target_archE1030ELNS1_3gpuE2ELNS1_3repE0EEENS1_30default_config_static_selectorELNS0_4arch9wavefront6targetE1EEEvS14_
	.p2align	8
	.type	_ZN7rocprim17ROCPRIM_400000_NS6detail17trampoline_kernelINS0_14default_configENS1_22reduce_config_selectorIN6thrust23THRUST_200600_302600_NS5tupleIblNS6_9null_typeES8_S8_S8_S8_S8_S8_S8_EEEEZNS1_11reduce_implILb1ES3_NS6_12zip_iteratorINS7_INS6_11hip_rocprim26transform_input_iterator_tIbNSD_35transform_pair_of_input_iterators_tIbNS6_6detail15normal_iteratorINS6_10device_ptrIKfEEEESL_NS6_8equal_toIfEEEENSG_9not_fun_tINSD_8identityEEEEENSD_19counting_iterator_tIlEES8_S8_S8_S8_S8_S8_S8_S8_EEEEPS9_S9_NSD_9__find_if7functorIS9_EEEE10hipError_tPvRmT1_T2_T3_mT4_P12ihipStream_tbEUlT_E0_NS1_11comp_targetILNS1_3genE8ELNS1_11target_archE1030ELNS1_3gpuE2ELNS1_3repE0EEENS1_30default_config_static_selectorELNS0_4arch9wavefront6targetE1EEEvS14_,@function
_ZN7rocprim17ROCPRIM_400000_NS6detail17trampoline_kernelINS0_14default_configENS1_22reduce_config_selectorIN6thrust23THRUST_200600_302600_NS5tupleIblNS6_9null_typeES8_S8_S8_S8_S8_S8_S8_EEEEZNS1_11reduce_implILb1ES3_NS6_12zip_iteratorINS7_INS6_11hip_rocprim26transform_input_iterator_tIbNSD_35transform_pair_of_input_iterators_tIbNS6_6detail15normal_iteratorINS6_10device_ptrIKfEEEESL_NS6_8equal_toIfEEEENSG_9not_fun_tINSD_8identityEEEEENSD_19counting_iterator_tIlEES8_S8_S8_S8_S8_S8_S8_S8_EEEEPS9_S9_NSD_9__find_if7functorIS9_EEEE10hipError_tPvRmT1_T2_T3_mT4_P12ihipStream_tbEUlT_E0_NS1_11comp_targetILNS1_3genE8ELNS1_11target_archE1030ELNS1_3gpuE2ELNS1_3repE0EEENS1_30default_config_static_selectorELNS0_4arch9wavefront6targetE1EEEvS14_: ; @_ZN7rocprim17ROCPRIM_400000_NS6detail17trampoline_kernelINS0_14default_configENS1_22reduce_config_selectorIN6thrust23THRUST_200600_302600_NS5tupleIblNS6_9null_typeES8_S8_S8_S8_S8_S8_S8_EEEEZNS1_11reduce_implILb1ES3_NS6_12zip_iteratorINS7_INS6_11hip_rocprim26transform_input_iterator_tIbNSD_35transform_pair_of_input_iterators_tIbNS6_6detail15normal_iteratorINS6_10device_ptrIKfEEEESL_NS6_8equal_toIfEEEENSG_9not_fun_tINSD_8identityEEEEENSD_19counting_iterator_tIlEES8_S8_S8_S8_S8_S8_S8_S8_EEEEPS9_S9_NSD_9__find_if7functorIS9_EEEE10hipError_tPvRmT1_T2_T3_mT4_P12ihipStream_tbEUlT_E0_NS1_11comp_targetILNS1_3genE8ELNS1_11target_archE1030ELNS1_3gpuE2ELNS1_3repE0EEENS1_30default_config_static_selectorELNS0_4arch9wavefront6targetE1EEEvS14_
; %bb.0:
	.section	.rodata,"a",@progbits
	.p2align	6, 0x0
	.amdhsa_kernel _ZN7rocprim17ROCPRIM_400000_NS6detail17trampoline_kernelINS0_14default_configENS1_22reduce_config_selectorIN6thrust23THRUST_200600_302600_NS5tupleIblNS6_9null_typeES8_S8_S8_S8_S8_S8_S8_EEEEZNS1_11reduce_implILb1ES3_NS6_12zip_iteratorINS7_INS6_11hip_rocprim26transform_input_iterator_tIbNSD_35transform_pair_of_input_iterators_tIbNS6_6detail15normal_iteratorINS6_10device_ptrIKfEEEESL_NS6_8equal_toIfEEEENSG_9not_fun_tINSD_8identityEEEEENSD_19counting_iterator_tIlEES8_S8_S8_S8_S8_S8_S8_S8_EEEEPS9_S9_NSD_9__find_if7functorIS9_EEEE10hipError_tPvRmT1_T2_T3_mT4_P12ihipStream_tbEUlT_E0_NS1_11comp_targetILNS1_3genE8ELNS1_11target_archE1030ELNS1_3gpuE2ELNS1_3repE0EEENS1_30default_config_static_selectorELNS0_4arch9wavefront6targetE1EEEvS14_
		.amdhsa_group_segment_fixed_size 0
		.amdhsa_private_segment_fixed_size 0
		.amdhsa_kernarg_size 104
		.amdhsa_user_sgpr_count 2
		.amdhsa_user_sgpr_dispatch_ptr 0
		.amdhsa_user_sgpr_queue_ptr 0
		.amdhsa_user_sgpr_kernarg_segment_ptr 1
		.amdhsa_user_sgpr_dispatch_id 0
		.amdhsa_user_sgpr_kernarg_preload_length 0
		.amdhsa_user_sgpr_kernarg_preload_offset 0
		.amdhsa_user_sgpr_private_segment_size 0
		.amdhsa_uses_dynamic_stack 0
		.amdhsa_enable_private_segment 0
		.amdhsa_system_sgpr_workgroup_id_x 1
		.amdhsa_system_sgpr_workgroup_id_y 0
		.amdhsa_system_sgpr_workgroup_id_z 0
		.amdhsa_system_sgpr_workgroup_info 0
		.amdhsa_system_vgpr_workitem_id 0
		.amdhsa_next_free_vgpr 1
		.amdhsa_next_free_sgpr 0
		.amdhsa_accum_offset 4
		.amdhsa_reserve_vcc 0
		.amdhsa_float_round_mode_32 0
		.amdhsa_float_round_mode_16_64 0
		.amdhsa_float_denorm_mode_32 3
		.amdhsa_float_denorm_mode_16_64 3
		.amdhsa_dx10_clamp 1
		.amdhsa_ieee_mode 1
		.amdhsa_fp16_overflow 0
		.amdhsa_tg_split 0
		.amdhsa_exception_fp_ieee_invalid_op 0
		.amdhsa_exception_fp_denorm_src 0
		.amdhsa_exception_fp_ieee_div_zero 0
		.amdhsa_exception_fp_ieee_overflow 0
		.amdhsa_exception_fp_ieee_underflow 0
		.amdhsa_exception_fp_ieee_inexact 0
		.amdhsa_exception_int_div_zero 0
	.end_amdhsa_kernel
	.section	.text._ZN7rocprim17ROCPRIM_400000_NS6detail17trampoline_kernelINS0_14default_configENS1_22reduce_config_selectorIN6thrust23THRUST_200600_302600_NS5tupleIblNS6_9null_typeES8_S8_S8_S8_S8_S8_S8_EEEEZNS1_11reduce_implILb1ES3_NS6_12zip_iteratorINS7_INS6_11hip_rocprim26transform_input_iterator_tIbNSD_35transform_pair_of_input_iterators_tIbNS6_6detail15normal_iteratorINS6_10device_ptrIKfEEEESL_NS6_8equal_toIfEEEENSG_9not_fun_tINSD_8identityEEEEENSD_19counting_iterator_tIlEES8_S8_S8_S8_S8_S8_S8_S8_EEEEPS9_S9_NSD_9__find_if7functorIS9_EEEE10hipError_tPvRmT1_T2_T3_mT4_P12ihipStream_tbEUlT_E0_NS1_11comp_targetILNS1_3genE8ELNS1_11target_archE1030ELNS1_3gpuE2ELNS1_3repE0EEENS1_30default_config_static_selectorELNS0_4arch9wavefront6targetE1EEEvS14_,"axG",@progbits,_ZN7rocprim17ROCPRIM_400000_NS6detail17trampoline_kernelINS0_14default_configENS1_22reduce_config_selectorIN6thrust23THRUST_200600_302600_NS5tupleIblNS6_9null_typeES8_S8_S8_S8_S8_S8_S8_EEEEZNS1_11reduce_implILb1ES3_NS6_12zip_iteratorINS7_INS6_11hip_rocprim26transform_input_iterator_tIbNSD_35transform_pair_of_input_iterators_tIbNS6_6detail15normal_iteratorINS6_10device_ptrIKfEEEESL_NS6_8equal_toIfEEEENSG_9not_fun_tINSD_8identityEEEEENSD_19counting_iterator_tIlEES8_S8_S8_S8_S8_S8_S8_S8_EEEEPS9_S9_NSD_9__find_if7functorIS9_EEEE10hipError_tPvRmT1_T2_T3_mT4_P12ihipStream_tbEUlT_E0_NS1_11comp_targetILNS1_3genE8ELNS1_11target_archE1030ELNS1_3gpuE2ELNS1_3repE0EEENS1_30default_config_static_selectorELNS0_4arch9wavefront6targetE1EEEvS14_,comdat
.Lfunc_end367:
	.size	_ZN7rocprim17ROCPRIM_400000_NS6detail17trampoline_kernelINS0_14default_configENS1_22reduce_config_selectorIN6thrust23THRUST_200600_302600_NS5tupleIblNS6_9null_typeES8_S8_S8_S8_S8_S8_S8_EEEEZNS1_11reduce_implILb1ES3_NS6_12zip_iteratorINS7_INS6_11hip_rocprim26transform_input_iterator_tIbNSD_35transform_pair_of_input_iterators_tIbNS6_6detail15normal_iteratorINS6_10device_ptrIKfEEEESL_NS6_8equal_toIfEEEENSG_9not_fun_tINSD_8identityEEEEENSD_19counting_iterator_tIlEES8_S8_S8_S8_S8_S8_S8_S8_EEEEPS9_S9_NSD_9__find_if7functorIS9_EEEE10hipError_tPvRmT1_T2_T3_mT4_P12ihipStream_tbEUlT_E0_NS1_11comp_targetILNS1_3genE8ELNS1_11target_archE1030ELNS1_3gpuE2ELNS1_3repE0EEENS1_30default_config_static_selectorELNS0_4arch9wavefront6targetE1EEEvS14_, .Lfunc_end367-_ZN7rocprim17ROCPRIM_400000_NS6detail17trampoline_kernelINS0_14default_configENS1_22reduce_config_selectorIN6thrust23THRUST_200600_302600_NS5tupleIblNS6_9null_typeES8_S8_S8_S8_S8_S8_S8_EEEEZNS1_11reduce_implILb1ES3_NS6_12zip_iteratorINS7_INS6_11hip_rocprim26transform_input_iterator_tIbNSD_35transform_pair_of_input_iterators_tIbNS6_6detail15normal_iteratorINS6_10device_ptrIKfEEEESL_NS6_8equal_toIfEEEENSG_9not_fun_tINSD_8identityEEEEENSD_19counting_iterator_tIlEES8_S8_S8_S8_S8_S8_S8_S8_EEEEPS9_S9_NSD_9__find_if7functorIS9_EEEE10hipError_tPvRmT1_T2_T3_mT4_P12ihipStream_tbEUlT_E0_NS1_11comp_targetILNS1_3genE8ELNS1_11target_archE1030ELNS1_3gpuE2ELNS1_3repE0EEENS1_30default_config_static_selectorELNS0_4arch9wavefront6targetE1EEEvS14_
                                        ; -- End function
	.set _ZN7rocprim17ROCPRIM_400000_NS6detail17trampoline_kernelINS0_14default_configENS1_22reduce_config_selectorIN6thrust23THRUST_200600_302600_NS5tupleIblNS6_9null_typeES8_S8_S8_S8_S8_S8_S8_EEEEZNS1_11reduce_implILb1ES3_NS6_12zip_iteratorINS7_INS6_11hip_rocprim26transform_input_iterator_tIbNSD_35transform_pair_of_input_iterators_tIbNS6_6detail15normal_iteratorINS6_10device_ptrIKfEEEESL_NS6_8equal_toIfEEEENSG_9not_fun_tINSD_8identityEEEEENSD_19counting_iterator_tIlEES8_S8_S8_S8_S8_S8_S8_S8_EEEEPS9_S9_NSD_9__find_if7functorIS9_EEEE10hipError_tPvRmT1_T2_T3_mT4_P12ihipStream_tbEUlT_E0_NS1_11comp_targetILNS1_3genE8ELNS1_11target_archE1030ELNS1_3gpuE2ELNS1_3repE0EEENS1_30default_config_static_selectorELNS0_4arch9wavefront6targetE1EEEvS14_.num_vgpr, 0
	.set _ZN7rocprim17ROCPRIM_400000_NS6detail17trampoline_kernelINS0_14default_configENS1_22reduce_config_selectorIN6thrust23THRUST_200600_302600_NS5tupleIblNS6_9null_typeES8_S8_S8_S8_S8_S8_S8_EEEEZNS1_11reduce_implILb1ES3_NS6_12zip_iteratorINS7_INS6_11hip_rocprim26transform_input_iterator_tIbNSD_35transform_pair_of_input_iterators_tIbNS6_6detail15normal_iteratorINS6_10device_ptrIKfEEEESL_NS6_8equal_toIfEEEENSG_9not_fun_tINSD_8identityEEEEENSD_19counting_iterator_tIlEES8_S8_S8_S8_S8_S8_S8_S8_EEEEPS9_S9_NSD_9__find_if7functorIS9_EEEE10hipError_tPvRmT1_T2_T3_mT4_P12ihipStream_tbEUlT_E0_NS1_11comp_targetILNS1_3genE8ELNS1_11target_archE1030ELNS1_3gpuE2ELNS1_3repE0EEENS1_30default_config_static_selectorELNS0_4arch9wavefront6targetE1EEEvS14_.num_agpr, 0
	.set _ZN7rocprim17ROCPRIM_400000_NS6detail17trampoline_kernelINS0_14default_configENS1_22reduce_config_selectorIN6thrust23THRUST_200600_302600_NS5tupleIblNS6_9null_typeES8_S8_S8_S8_S8_S8_S8_EEEEZNS1_11reduce_implILb1ES3_NS6_12zip_iteratorINS7_INS6_11hip_rocprim26transform_input_iterator_tIbNSD_35transform_pair_of_input_iterators_tIbNS6_6detail15normal_iteratorINS6_10device_ptrIKfEEEESL_NS6_8equal_toIfEEEENSG_9not_fun_tINSD_8identityEEEEENSD_19counting_iterator_tIlEES8_S8_S8_S8_S8_S8_S8_S8_EEEEPS9_S9_NSD_9__find_if7functorIS9_EEEE10hipError_tPvRmT1_T2_T3_mT4_P12ihipStream_tbEUlT_E0_NS1_11comp_targetILNS1_3genE8ELNS1_11target_archE1030ELNS1_3gpuE2ELNS1_3repE0EEENS1_30default_config_static_selectorELNS0_4arch9wavefront6targetE1EEEvS14_.numbered_sgpr, 0
	.set _ZN7rocprim17ROCPRIM_400000_NS6detail17trampoline_kernelINS0_14default_configENS1_22reduce_config_selectorIN6thrust23THRUST_200600_302600_NS5tupleIblNS6_9null_typeES8_S8_S8_S8_S8_S8_S8_EEEEZNS1_11reduce_implILb1ES3_NS6_12zip_iteratorINS7_INS6_11hip_rocprim26transform_input_iterator_tIbNSD_35transform_pair_of_input_iterators_tIbNS6_6detail15normal_iteratorINS6_10device_ptrIKfEEEESL_NS6_8equal_toIfEEEENSG_9not_fun_tINSD_8identityEEEEENSD_19counting_iterator_tIlEES8_S8_S8_S8_S8_S8_S8_S8_EEEEPS9_S9_NSD_9__find_if7functorIS9_EEEE10hipError_tPvRmT1_T2_T3_mT4_P12ihipStream_tbEUlT_E0_NS1_11comp_targetILNS1_3genE8ELNS1_11target_archE1030ELNS1_3gpuE2ELNS1_3repE0EEENS1_30default_config_static_selectorELNS0_4arch9wavefront6targetE1EEEvS14_.num_named_barrier, 0
	.set _ZN7rocprim17ROCPRIM_400000_NS6detail17trampoline_kernelINS0_14default_configENS1_22reduce_config_selectorIN6thrust23THRUST_200600_302600_NS5tupleIblNS6_9null_typeES8_S8_S8_S8_S8_S8_S8_EEEEZNS1_11reduce_implILb1ES3_NS6_12zip_iteratorINS7_INS6_11hip_rocprim26transform_input_iterator_tIbNSD_35transform_pair_of_input_iterators_tIbNS6_6detail15normal_iteratorINS6_10device_ptrIKfEEEESL_NS6_8equal_toIfEEEENSG_9not_fun_tINSD_8identityEEEEENSD_19counting_iterator_tIlEES8_S8_S8_S8_S8_S8_S8_S8_EEEEPS9_S9_NSD_9__find_if7functorIS9_EEEE10hipError_tPvRmT1_T2_T3_mT4_P12ihipStream_tbEUlT_E0_NS1_11comp_targetILNS1_3genE8ELNS1_11target_archE1030ELNS1_3gpuE2ELNS1_3repE0EEENS1_30default_config_static_selectorELNS0_4arch9wavefront6targetE1EEEvS14_.private_seg_size, 0
	.set _ZN7rocprim17ROCPRIM_400000_NS6detail17trampoline_kernelINS0_14default_configENS1_22reduce_config_selectorIN6thrust23THRUST_200600_302600_NS5tupleIblNS6_9null_typeES8_S8_S8_S8_S8_S8_S8_EEEEZNS1_11reduce_implILb1ES3_NS6_12zip_iteratorINS7_INS6_11hip_rocprim26transform_input_iterator_tIbNSD_35transform_pair_of_input_iterators_tIbNS6_6detail15normal_iteratorINS6_10device_ptrIKfEEEESL_NS6_8equal_toIfEEEENSG_9not_fun_tINSD_8identityEEEEENSD_19counting_iterator_tIlEES8_S8_S8_S8_S8_S8_S8_S8_EEEEPS9_S9_NSD_9__find_if7functorIS9_EEEE10hipError_tPvRmT1_T2_T3_mT4_P12ihipStream_tbEUlT_E0_NS1_11comp_targetILNS1_3genE8ELNS1_11target_archE1030ELNS1_3gpuE2ELNS1_3repE0EEENS1_30default_config_static_selectorELNS0_4arch9wavefront6targetE1EEEvS14_.uses_vcc, 0
	.set _ZN7rocprim17ROCPRIM_400000_NS6detail17trampoline_kernelINS0_14default_configENS1_22reduce_config_selectorIN6thrust23THRUST_200600_302600_NS5tupleIblNS6_9null_typeES8_S8_S8_S8_S8_S8_S8_EEEEZNS1_11reduce_implILb1ES3_NS6_12zip_iteratorINS7_INS6_11hip_rocprim26transform_input_iterator_tIbNSD_35transform_pair_of_input_iterators_tIbNS6_6detail15normal_iteratorINS6_10device_ptrIKfEEEESL_NS6_8equal_toIfEEEENSG_9not_fun_tINSD_8identityEEEEENSD_19counting_iterator_tIlEES8_S8_S8_S8_S8_S8_S8_S8_EEEEPS9_S9_NSD_9__find_if7functorIS9_EEEE10hipError_tPvRmT1_T2_T3_mT4_P12ihipStream_tbEUlT_E0_NS1_11comp_targetILNS1_3genE8ELNS1_11target_archE1030ELNS1_3gpuE2ELNS1_3repE0EEENS1_30default_config_static_selectorELNS0_4arch9wavefront6targetE1EEEvS14_.uses_flat_scratch, 0
	.set _ZN7rocprim17ROCPRIM_400000_NS6detail17trampoline_kernelINS0_14default_configENS1_22reduce_config_selectorIN6thrust23THRUST_200600_302600_NS5tupleIblNS6_9null_typeES8_S8_S8_S8_S8_S8_S8_EEEEZNS1_11reduce_implILb1ES3_NS6_12zip_iteratorINS7_INS6_11hip_rocprim26transform_input_iterator_tIbNSD_35transform_pair_of_input_iterators_tIbNS6_6detail15normal_iteratorINS6_10device_ptrIKfEEEESL_NS6_8equal_toIfEEEENSG_9not_fun_tINSD_8identityEEEEENSD_19counting_iterator_tIlEES8_S8_S8_S8_S8_S8_S8_S8_EEEEPS9_S9_NSD_9__find_if7functorIS9_EEEE10hipError_tPvRmT1_T2_T3_mT4_P12ihipStream_tbEUlT_E0_NS1_11comp_targetILNS1_3genE8ELNS1_11target_archE1030ELNS1_3gpuE2ELNS1_3repE0EEENS1_30default_config_static_selectorELNS0_4arch9wavefront6targetE1EEEvS14_.has_dyn_sized_stack, 0
	.set _ZN7rocprim17ROCPRIM_400000_NS6detail17trampoline_kernelINS0_14default_configENS1_22reduce_config_selectorIN6thrust23THRUST_200600_302600_NS5tupleIblNS6_9null_typeES8_S8_S8_S8_S8_S8_S8_EEEEZNS1_11reduce_implILb1ES3_NS6_12zip_iteratorINS7_INS6_11hip_rocprim26transform_input_iterator_tIbNSD_35transform_pair_of_input_iterators_tIbNS6_6detail15normal_iteratorINS6_10device_ptrIKfEEEESL_NS6_8equal_toIfEEEENSG_9not_fun_tINSD_8identityEEEEENSD_19counting_iterator_tIlEES8_S8_S8_S8_S8_S8_S8_S8_EEEEPS9_S9_NSD_9__find_if7functorIS9_EEEE10hipError_tPvRmT1_T2_T3_mT4_P12ihipStream_tbEUlT_E0_NS1_11comp_targetILNS1_3genE8ELNS1_11target_archE1030ELNS1_3gpuE2ELNS1_3repE0EEENS1_30default_config_static_selectorELNS0_4arch9wavefront6targetE1EEEvS14_.has_recursion, 0
	.set _ZN7rocprim17ROCPRIM_400000_NS6detail17trampoline_kernelINS0_14default_configENS1_22reduce_config_selectorIN6thrust23THRUST_200600_302600_NS5tupleIblNS6_9null_typeES8_S8_S8_S8_S8_S8_S8_EEEEZNS1_11reduce_implILb1ES3_NS6_12zip_iteratorINS7_INS6_11hip_rocprim26transform_input_iterator_tIbNSD_35transform_pair_of_input_iterators_tIbNS6_6detail15normal_iteratorINS6_10device_ptrIKfEEEESL_NS6_8equal_toIfEEEENSG_9not_fun_tINSD_8identityEEEEENSD_19counting_iterator_tIlEES8_S8_S8_S8_S8_S8_S8_S8_EEEEPS9_S9_NSD_9__find_if7functorIS9_EEEE10hipError_tPvRmT1_T2_T3_mT4_P12ihipStream_tbEUlT_E0_NS1_11comp_targetILNS1_3genE8ELNS1_11target_archE1030ELNS1_3gpuE2ELNS1_3repE0EEENS1_30default_config_static_selectorELNS0_4arch9wavefront6targetE1EEEvS14_.has_indirect_call, 0
	.section	.AMDGPU.csdata,"",@progbits
; Kernel info:
; codeLenInByte = 0
; TotalNumSgprs: 6
; NumVgprs: 0
; NumAgprs: 0
; TotalNumVgprs: 0
; ScratchSize: 0
; MemoryBound: 0
; FloatMode: 240
; IeeeMode: 1
; LDSByteSize: 0 bytes/workgroup (compile time only)
; SGPRBlocks: 0
; VGPRBlocks: 0
; NumSGPRsForWavesPerEU: 6
; NumVGPRsForWavesPerEU: 1
; AccumOffset: 4
; Occupancy: 8
; WaveLimiterHint : 0
; COMPUTE_PGM_RSRC2:SCRATCH_EN: 0
; COMPUTE_PGM_RSRC2:USER_SGPR: 2
; COMPUTE_PGM_RSRC2:TRAP_HANDLER: 0
; COMPUTE_PGM_RSRC2:TGID_X_EN: 1
; COMPUTE_PGM_RSRC2:TGID_Y_EN: 0
; COMPUTE_PGM_RSRC2:TGID_Z_EN: 0
; COMPUTE_PGM_RSRC2:TIDIG_COMP_CNT: 0
; COMPUTE_PGM_RSRC3_GFX90A:ACCUM_OFFSET: 0
; COMPUTE_PGM_RSRC3_GFX90A:TG_SPLIT: 0
	.section	.text._ZN7rocprim17ROCPRIM_400000_NS6detail17trampoline_kernelINS0_14default_configENS1_22reduce_config_selectorIN6thrust23THRUST_200600_302600_NS5tupleIblNS6_9null_typeES8_S8_S8_S8_S8_S8_S8_EEEEZNS1_11reduce_implILb1ES3_NS6_12zip_iteratorINS7_INS6_11hip_rocprim26transform_input_iterator_tIbNSD_35transform_pair_of_input_iterators_tIbNS6_6detail15normal_iteratorINS6_10device_ptrIKfEEEESL_NS6_8equal_toIfEEEENSG_9not_fun_tINSD_8identityEEEEENSD_19counting_iterator_tIlEES8_S8_S8_S8_S8_S8_S8_S8_EEEEPS9_S9_NSD_9__find_if7functorIS9_EEEE10hipError_tPvRmT1_T2_T3_mT4_P12ihipStream_tbEUlT_E1_NS1_11comp_targetILNS1_3genE0ELNS1_11target_archE4294967295ELNS1_3gpuE0ELNS1_3repE0EEENS1_30default_config_static_selectorELNS0_4arch9wavefront6targetE1EEEvS14_,"axG",@progbits,_ZN7rocprim17ROCPRIM_400000_NS6detail17trampoline_kernelINS0_14default_configENS1_22reduce_config_selectorIN6thrust23THRUST_200600_302600_NS5tupleIblNS6_9null_typeES8_S8_S8_S8_S8_S8_S8_EEEEZNS1_11reduce_implILb1ES3_NS6_12zip_iteratorINS7_INS6_11hip_rocprim26transform_input_iterator_tIbNSD_35transform_pair_of_input_iterators_tIbNS6_6detail15normal_iteratorINS6_10device_ptrIKfEEEESL_NS6_8equal_toIfEEEENSG_9not_fun_tINSD_8identityEEEEENSD_19counting_iterator_tIlEES8_S8_S8_S8_S8_S8_S8_S8_EEEEPS9_S9_NSD_9__find_if7functorIS9_EEEE10hipError_tPvRmT1_T2_T3_mT4_P12ihipStream_tbEUlT_E1_NS1_11comp_targetILNS1_3genE0ELNS1_11target_archE4294967295ELNS1_3gpuE0ELNS1_3repE0EEENS1_30default_config_static_selectorELNS0_4arch9wavefront6targetE1EEEvS14_,comdat
	.protected	_ZN7rocprim17ROCPRIM_400000_NS6detail17trampoline_kernelINS0_14default_configENS1_22reduce_config_selectorIN6thrust23THRUST_200600_302600_NS5tupleIblNS6_9null_typeES8_S8_S8_S8_S8_S8_S8_EEEEZNS1_11reduce_implILb1ES3_NS6_12zip_iteratorINS7_INS6_11hip_rocprim26transform_input_iterator_tIbNSD_35transform_pair_of_input_iterators_tIbNS6_6detail15normal_iteratorINS6_10device_ptrIKfEEEESL_NS6_8equal_toIfEEEENSG_9not_fun_tINSD_8identityEEEEENSD_19counting_iterator_tIlEES8_S8_S8_S8_S8_S8_S8_S8_EEEEPS9_S9_NSD_9__find_if7functorIS9_EEEE10hipError_tPvRmT1_T2_T3_mT4_P12ihipStream_tbEUlT_E1_NS1_11comp_targetILNS1_3genE0ELNS1_11target_archE4294967295ELNS1_3gpuE0ELNS1_3repE0EEENS1_30default_config_static_selectorELNS0_4arch9wavefront6targetE1EEEvS14_ ; -- Begin function _ZN7rocprim17ROCPRIM_400000_NS6detail17trampoline_kernelINS0_14default_configENS1_22reduce_config_selectorIN6thrust23THRUST_200600_302600_NS5tupleIblNS6_9null_typeES8_S8_S8_S8_S8_S8_S8_EEEEZNS1_11reduce_implILb1ES3_NS6_12zip_iteratorINS7_INS6_11hip_rocprim26transform_input_iterator_tIbNSD_35transform_pair_of_input_iterators_tIbNS6_6detail15normal_iteratorINS6_10device_ptrIKfEEEESL_NS6_8equal_toIfEEEENSG_9not_fun_tINSD_8identityEEEEENSD_19counting_iterator_tIlEES8_S8_S8_S8_S8_S8_S8_S8_EEEEPS9_S9_NSD_9__find_if7functorIS9_EEEE10hipError_tPvRmT1_T2_T3_mT4_P12ihipStream_tbEUlT_E1_NS1_11comp_targetILNS1_3genE0ELNS1_11target_archE4294967295ELNS1_3gpuE0ELNS1_3repE0EEENS1_30default_config_static_selectorELNS0_4arch9wavefront6targetE1EEEvS14_
	.globl	_ZN7rocprim17ROCPRIM_400000_NS6detail17trampoline_kernelINS0_14default_configENS1_22reduce_config_selectorIN6thrust23THRUST_200600_302600_NS5tupleIblNS6_9null_typeES8_S8_S8_S8_S8_S8_S8_EEEEZNS1_11reduce_implILb1ES3_NS6_12zip_iteratorINS7_INS6_11hip_rocprim26transform_input_iterator_tIbNSD_35transform_pair_of_input_iterators_tIbNS6_6detail15normal_iteratorINS6_10device_ptrIKfEEEESL_NS6_8equal_toIfEEEENSG_9not_fun_tINSD_8identityEEEEENSD_19counting_iterator_tIlEES8_S8_S8_S8_S8_S8_S8_S8_EEEEPS9_S9_NSD_9__find_if7functorIS9_EEEE10hipError_tPvRmT1_T2_T3_mT4_P12ihipStream_tbEUlT_E1_NS1_11comp_targetILNS1_3genE0ELNS1_11target_archE4294967295ELNS1_3gpuE0ELNS1_3repE0EEENS1_30default_config_static_selectorELNS0_4arch9wavefront6targetE1EEEvS14_
	.p2align	8
	.type	_ZN7rocprim17ROCPRIM_400000_NS6detail17trampoline_kernelINS0_14default_configENS1_22reduce_config_selectorIN6thrust23THRUST_200600_302600_NS5tupleIblNS6_9null_typeES8_S8_S8_S8_S8_S8_S8_EEEEZNS1_11reduce_implILb1ES3_NS6_12zip_iteratorINS7_INS6_11hip_rocprim26transform_input_iterator_tIbNSD_35transform_pair_of_input_iterators_tIbNS6_6detail15normal_iteratorINS6_10device_ptrIKfEEEESL_NS6_8equal_toIfEEEENSG_9not_fun_tINSD_8identityEEEEENSD_19counting_iterator_tIlEES8_S8_S8_S8_S8_S8_S8_S8_EEEEPS9_S9_NSD_9__find_if7functorIS9_EEEE10hipError_tPvRmT1_T2_T3_mT4_P12ihipStream_tbEUlT_E1_NS1_11comp_targetILNS1_3genE0ELNS1_11target_archE4294967295ELNS1_3gpuE0ELNS1_3repE0EEENS1_30default_config_static_selectorELNS0_4arch9wavefront6targetE1EEEvS14_,@function
_ZN7rocprim17ROCPRIM_400000_NS6detail17trampoline_kernelINS0_14default_configENS1_22reduce_config_selectorIN6thrust23THRUST_200600_302600_NS5tupleIblNS6_9null_typeES8_S8_S8_S8_S8_S8_S8_EEEEZNS1_11reduce_implILb1ES3_NS6_12zip_iteratorINS7_INS6_11hip_rocprim26transform_input_iterator_tIbNSD_35transform_pair_of_input_iterators_tIbNS6_6detail15normal_iteratorINS6_10device_ptrIKfEEEESL_NS6_8equal_toIfEEEENSG_9not_fun_tINSD_8identityEEEEENSD_19counting_iterator_tIlEES8_S8_S8_S8_S8_S8_S8_S8_EEEEPS9_S9_NSD_9__find_if7functorIS9_EEEE10hipError_tPvRmT1_T2_T3_mT4_P12ihipStream_tbEUlT_E1_NS1_11comp_targetILNS1_3genE0ELNS1_11target_archE4294967295ELNS1_3gpuE0ELNS1_3repE0EEENS1_30default_config_static_selectorELNS0_4arch9wavefront6targetE1EEEvS14_: ; @_ZN7rocprim17ROCPRIM_400000_NS6detail17trampoline_kernelINS0_14default_configENS1_22reduce_config_selectorIN6thrust23THRUST_200600_302600_NS5tupleIblNS6_9null_typeES8_S8_S8_S8_S8_S8_S8_EEEEZNS1_11reduce_implILb1ES3_NS6_12zip_iteratorINS7_INS6_11hip_rocprim26transform_input_iterator_tIbNSD_35transform_pair_of_input_iterators_tIbNS6_6detail15normal_iteratorINS6_10device_ptrIKfEEEESL_NS6_8equal_toIfEEEENSG_9not_fun_tINSD_8identityEEEEENSD_19counting_iterator_tIlEES8_S8_S8_S8_S8_S8_S8_S8_EEEEPS9_S9_NSD_9__find_if7functorIS9_EEEE10hipError_tPvRmT1_T2_T3_mT4_P12ihipStream_tbEUlT_E1_NS1_11comp_targetILNS1_3genE0ELNS1_11target_archE4294967295ELNS1_3gpuE0ELNS1_3repE0EEENS1_30default_config_static_selectorELNS0_4arch9wavefront6targetE1EEEvS14_
; %bb.0:
	s_load_dword s40, s[0:1], 0x4
	s_load_dwordx4 s[24:27], s[0:1], 0x8
	s_load_dwordx4 s[20:23], s[0:1], 0x28
	s_load_dword s33, s[0:1], 0x40
	s_load_dwordx2 s[18:19], s[0:1], 0x48
	s_waitcnt lgkmcnt(0)
	s_cmp_lt_i32 s40, 4
	s_cbranch_scc1 .LBB368_13
; %bb.1:
	s_cmp_gt_i32 s40, 7
	s_cbranch_scc0 .LBB368_14
; %bb.2:
	s_cmp_eq_u32 s40, 8
	s_mov_b64 s[28:29], 0
	s_cbranch_scc0 .LBB368_15
; %bb.3:
	s_mov_b32 s3, 0
	s_lshl_b32 s38, s2, 10
	s_mov_b32 s39, s3
	s_lshr_b64 s[4:5], s[22:23], 10
	s_lshl_b64 s[6:7], s[38:39], 2
	s_add_u32 s30, s24, s6
	s_addc_u32 s31, s25, s7
	s_add_u32 s34, s26, s6
	s_addc_u32 s35, s27, s7
	;; [unrolled: 2-line block ×3, first 2 shown]
	s_cmp_lg_u64 s[4:5], s[2:3]
	s_cbranch_scc0 .LBB368_28
; %bb.4:
	v_lshlrev_b32_e32 v1, 2, v0
	global_load_dword v5, v1, s[34:35] offset:512
	global_load_dword v6, v1, s[34:35] offset:1024
	;; [unrolled: 1-line block ×14, first 2 shown]
	global_load_dword v20, v1, s[30:31]
	global_load_dword v21, v1, s[34:35]
	v_mov_b32_e32 v1, 0
	v_mov_b32_e32 v22, 0x100
	;; [unrolled: 1-line block ×3, first 2 shown]
	v_lshl_add_u64 v[2:3], s[36:37], 0, v[0:1]
	v_mov_b32_e32 v7, v1
	v_mov_b32_e32 v24, 0x200
	;; [unrolled: 1-line block ×6, first 2 shown]
	v_mbcnt_lo_u32_b32 v4, -1, 0
	v_mbcnt_hi_u32_b32 v4, -1, v4
	s_waitcnt vmcnt(10)
	v_cmp_neq_f32_e32 vcc, v11, v6
	s_waitcnt vmcnt(9)
	v_cmp_neq_f32_e64 s[4:5], v12, v8
	s_waitcnt vmcnt(8)
	v_cmp_neq_f32_e64 s[6:7], v13, v9
	;; [unrolled: 2-line block ×5, first 2 shown]
	v_cndmask_b32_e64 v1, v22, v23, s[10:11]
	s_nop 0
	v_cndmask_b32_e64 v5, v24, v25, s[12:13]
	s_waitcnt vmcnt(2)
	v_cmp_neq_f32_e64 s[14:15], v19, v18
	s_waitcnt vmcnt(0)
	v_cmp_neq_f32_e64 s[16:17], v20, v21
	s_or_b64 s[10:11], s[16:17], s[10:11]
	s_or_b64 vcc, s[10:11], vcc
	v_cndmask_b32_e64 v1, v1, 0, s[16:17]
	s_or_b64 s[10:11], vcc, s[12:13]
	v_cndmask_b32_e32 v1, v5, v1, vcc
	s_or_b64 vcc, s[10:11], s[4:5]
	v_cndmask_b32_e64 v6, v26, v27, s[14:15]
	s_or_b64 s[4:5], vcc, s[14:15]
	v_cndmask_b32_e32 v1, v6, v1, vcc
	s_or_b64 vcc, s[4:5], s[6:7]
	v_cndmask_b32_e32 v6, v28, v1, vcc
	v_lshl_add_u64 v[2:3], v[2:3], 0, v[6:7]
	s_or_b64 s[4:5], vcc, s[8:9]
	v_cndmask_b32_e64 v1, 0, 1, s[4:5]
	v_mov_b32_dpp v6, v2 quad_perm:[1,0,3,2] row_mask:0xf bank_mask:0xf bound_ctrl:1
	v_mov_b32_dpp v7, v3 quad_perm:[1,0,3,2] row_mask:0xf bank_mask:0xf bound_ctrl:1
	;; [unrolled: 1-line block ×3, first 2 shown]
	v_cmp_lt_i64_e32 vcc, v[2:3], v[6:7]
	v_and_b32_e32 v5, 1, v5
	s_and_b64 vcc, s[4:5], vcc
	v_cndmask_b32_e32 v6, v6, v2, vcc
	v_cndmask_b32_e32 v7, v7, v3, vcc
	v_cmp_eq_u32_e32 vcc, 1, v5
	s_nop 1
	v_cndmask_b32_e32 v3, v3, v7, vcc
	v_cndmask_b32_e32 v2, v2, v6, vcc
	v_cndmask_b32_e64 v1, v1, 1, vcc
	v_mov_b32_dpp v7, v3 quad_perm:[2,3,0,1] row_mask:0xf bank_mask:0xf bound_ctrl:1
	v_mov_b32_dpp v6, v2 quad_perm:[2,3,0,1] row_mask:0xf bank_mask:0xf bound_ctrl:1
	;; [unrolled: 1-line block ×3, first 2 shown]
	v_and_b32_e32 v8, 1, v1
	v_and_b32_e32 v5, 1, v5
	v_cmp_eq_u32_e32 vcc, 1, v8
	v_cmp_lt_i64_e64 s[4:5], v[2:3], v[6:7]
	v_cmp_eq_u32_e64 s[6:7], 1, v5
	s_and_b64 vcc, vcc, s[4:5]
	v_cndmask_b32_e32 v5, v6, v2, vcc
	v_cndmask_b32_e64 v1, v1, 1, s[6:7]
	v_cndmask_b32_e32 v6, v7, v3, vcc
	v_cndmask_b32_e64 v2, v2, v5, s[6:7]
	v_and_b32_e32 v7, 1, v1
	v_cndmask_b32_e64 v3, v3, v6, s[6:7]
	v_mov_b32_dpp v6, v2 row_ror:4 row_mask:0xf bank_mask:0xf bound_ctrl:1
	v_cmp_eq_u32_e32 vcc, 1, v7
	v_mov_b32_dpp v7, v3 row_ror:4 row_mask:0xf bank_mask:0xf bound_ctrl:1
	v_mov_b32_dpp v5, v1 row_ror:4 row_mask:0xf bank_mask:0xf bound_ctrl:1
	v_cmp_lt_i64_e64 s[6:7], v[2:3], v[6:7]
	v_and_b32_e32 v5, 1, v5
	s_and_b64 vcc, vcc, s[6:7]
	v_cmp_eq_u32_e64 s[4:5], 1, v5
	v_cndmask_b32_e32 v6, v6, v2, vcc
	v_cndmask_b32_e32 v7, v7, v3, vcc
	v_cndmask_b32_e64 v1, v1, 1, s[4:5]
	v_cndmask_b32_e64 v2, v2, v6, s[4:5]
	v_cndmask_b32_e64 v3, v3, v7, s[4:5]
	v_and_b32_e32 v8, 1, v1
	v_mov_b32_dpp v6, v2 row_ror:8 row_mask:0xf bank_mask:0xf bound_ctrl:1
	v_mov_b32_dpp v7, v3 row_ror:8 row_mask:0xf bank_mask:0xf bound_ctrl:1
	;; [unrolled: 1-line block ×3, first 2 shown]
	v_cmp_eq_u32_e64 s[6:7], 1, v8
	v_cmp_lt_i64_e64 s[4:5], v[2:3], v[6:7]
	v_and_b32_e32 v5, 1, v5
	s_and_b64 s[4:5], s[6:7], s[4:5]
	v_cmp_eq_u32_e32 vcc, 1, v5
	v_cndmask_b32_e64 v6, v6, v2, s[4:5]
	v_cndmask_b32_e64 v7, v7, v3, s[4:5]
	v_cndmask_b32_e64 v1, v1, 1, vcc
	v_cndmask_b32_e32 v2, v2, v6, vcc
	v_cndmask_b32_e32 v3, v3, v7, vcc
	v_and_b32_e32 v8, 1, v1
	v_mov_b32_dpp v6, v2 row_bcast:15 row_mask:0xf bank_mask:0xf bound_ctrl:1
	v_mov_b32_dpp v7, v3 row_bcast:15 row_mask:0xf bank_mask:0xf bound_ctrl:1
	;; [unrolled: 1-line block ×3, first 2 shown]
	v_cmp_eq_u32_e32 vcc, 1, v8
	v_cmp_lt_i64_e64 s[4:5], v[2:3], v[6:7]
	v_and_b32_e32 v5, 1, v5
	s_and_b64 vcc, vcc, s[4:5]
	v_cmp_eq_u32_e64 s[6:7], 1, v5
	v_cndmask_b32_e32 v5, v6, v2, vcc
	v_cndmask_b32_e32 v6, v7, v3, vcc
	v_cndmask_b32_e64 v1, v1, 1, s[6:7]
	v_cndmask_b32_e64 v3, v3, v6, s[6:7]
	;; [unrolled: 1-line block ×3, first 2 shown]
	v_and_b32_e32 v8, 1, v1
	v_mov_b32_dpp v7, v3 row_bcast:31 row_mask:0xf bank_mask:0xf bound_ctrl:1
	v_mov_b32_dpp v6, v2 row_bcast:31 row_mask:0xf bank_mask:0xf bound_ctrl:1
	;; [unrolled: 1-line block ×3, first 2 shown]
	v_cmp_eq_u32_e32 vcc, 1, v8
	v_cmp_lt_i64_e64 s[4:5], v[2:3], v[6:7]
	v_and_b32_e32 v5, 1, v5
	s_and_b64 vcc, vcc, s[4:5]
	v_cmp_eq_u32_e64 s[6:7], 1, v5
	v_cndmask_b32_e32 v5, v6, v2, vcc
	v_cndmask_b32_e32 v6, v7, v3, vcc
	v_cndmask_b32_e64 v3, v3, v6, s[6:7]
	v_lshlrev_b32_e32 v6, 2, v4
	v_cndmask_b32_e64 v1, v1, 1, s[6:7]
	v_cndmask_b32_e64 v2, v2, v5, s[6:7]
	v_or_b32_e32 v5, 0xfc, v6
	ds_bpermute_b32 v1, v5, v1
	ds_bpermute_b32 v2, v5, v2
	ds_bpermute_b32 v3, v5, v3
	v_cmp_eq_u32_e32 vcc, 0, v4
	s_and_saveexec_b64 s[4:5], vcc
	s_cbranch_execz .LBB368_6
; %bb.5:
	v_lshrrev_b32_e32 v5, 2, v0
	v_and_b32_e32 v5, 16, v5
	s_waitcnt lgkmcnt(2)
	ds_write_b8 v5, v1 offset:96
	s_waitcnt lgkmcnt(1)
	ds_write_b64 v5, v[2:3] offset:104
.LBB368_6:
	s_or_b64 exec, exec, s[4:5]
	v_cmp_gt_u32_e32 vcc, 64, v0
	s_waitcnt lgkmcnt(0)
	s_barrier
	s_and_saveexec_b64 s[4:5], vcc
	s_cbranch_execz .LBB368_12
; %bb.7:
	v_and_b32_e32 v1, 1, v4
	v_lshlrev_b32_e32 v1, 4, v1
	ds_read_u8 v8, v1 offset:96
	ds_read_b64 v[4:5], v1 offset:104
	v_or_b32_e32 v2, 4, v6
	s_waitcnt lgkmcnt(1)
	v_and_b32_e32 v1, 0xff, v8
	ds_bpermute_b32 v9, v2, v1
	s_waitcnt lgkmcnt(1)
	ds_bpermute_b32 v6, v2, v4
	ds_bpermute_b32 v7, v2, v5
                                        ; implicit-def: $vgpr2_vgpr3
	s_waitcnt lgkmcnt(2)
	v_and_b32_e32 v1, v8, v9
	v_and_b32_e32 v1, 1, v1
	v_cmp_eq_u32_e32 vcc, 1, v1
	s_and_saveexec_b64 s[6:7], vcc
	s_xor_b64 s[6:7], exec, s[6:7]
	s_cbranch_execz .LBB368_9
; %bb.8:
	s_waitcnt lgkmcnt(0)
	v_cmp_lt_i64_e32 vcc, v[6:7], v[4:5]
                                        ; implicit-def: $vgpr8
                                        ; implicit-def: $vgpr9
	s_nop 1
	v_cndmask_b32_e32 v3, v5, v7, vcc
	v_cndmask_b32_e32 v2, v4, v6, vcc
                                        ; implicit-def: $vgpr6_vgpr7
                                        ; implicit-def: $vgpr4_vgpr5
.LBB368_9:
	s_or_saveexec_b64 s[6:7], s[6:7]
	v_mov_b32_e32 v1, 1
	s_xor_b64 exec, exec, s[6:7]
	s_cbranch_execz .LBB368_11
; %bb.10:
	v_and_b32_e32 v1, 1, v8
	v_cmp_eq_u32_e32 vcc, 1, v1
	s_waitcnt lgkmcnt(0)
	s_nop 0
	v_cndmask_b32_e32 v3, v7, v5, vcc
	v_cndmask_b32_e32 v2, v6, v4, vcc
	v_cndmask_b32_e64 v1, v9, 1, vcc
.LBB368_11:
	s_or_b64 exec, exec, s[6:7]
.LBB368_12:
	s_or_b64 exec, exec, s[4:5]
	s_branch .LBB368_145
.LBB368_13:
	s_mov_b64 s[12:13], 0
                                        ; implicit-def: $vgpr4_vgpr5
                                        ; implicit-def: $vgpr6
                                        ; implicit-def: $vgpr2_vgpr3
	s_cbranch_execnz .LBB368_219
	s_branch .LBB368_306
.LBB368_14:
	s_mov_b64 s[28:29], -1
.LBB368_15:
	s_mov_b64 s[12:13], 0
                                        ; implicit-def: $vgpr4_vgpr5
                                        ; implicit-def: $vgpr6
                                        ; implicit-def: $vgpr2_vgpr3
	s_and_b64 vcc, exec, s[28:29]
	s_cbranch_vccz .LBB368_150
.LBB368_16:
	s_cmp_eq_u32 s40, 4
	s_cbranch_scc0 .LBB368_27
; %bb.17:
	s_mov_b32 s3, 0
	s_lshl_b32 s30, s2, 9
	s_mov_b32 s31, s3
	s_lshr_b64 s[4:5], s[22:23], 9
	s_lshl_b64 s[6:7], s[30:31], 2
	s_add_u32 s14, s24, s6
	s_addc_u32 s15, s25, s7
	s_add_u32 s16, s26, s6
	s_addc_u32 s17, s27, s7
	;; [unrolled: 2-line block ×3, first 2 shown]
	s_cmp_lg_u64 s[4:5], s[2:3]
	s_cbranch_scc0 .LBB368_51
; %bb.18:
	v_lshlrev_b32_e32 v1, 2, v0
	s_waitcnt lgkmcnt(0)
	global_load_dword v5, v1, s[16:17] offset:512
	global_load_dword v7, v1, s[14:15] offset:1024
	;; [unrolled: 1-line block ×6, first 2 shown]
	global_load_dword v13, v1, s[16:17]
	global_load_dword v14, v1, s[14:15]
	v_mov_b32_e32 v1, 0
	v_mov_b32_e32 v15, 0x100
	;; [unrolled: 1-line block ×3, first 2 shown]
	v_lshl_add_u64 v[2:3], s[28:29], 0, v[0:1]
	v_mov_b32_e32 v9, v1
	v_mov_b32_e32 v17, 0x180
	v_mbcnt_lo_u32_b32 v4, -1, 0
	v_mbcnt_hi_u32_b32 v4, -1, v4
	v_lshlrev_b32_e32 v6, 2, v4
	v_or_b32_e32 v18, 0xfc, v6
	s_waitcnt vmcnt(5)
	v_cmp_neq_f32_e32 vcc, v7, v8
	s_waitcnt vmcnt(3)
	v_cmp_neq_f32_e64 s[4:5], v11, v10
	s_waitcnt vmcnt(2)
	v_cmp_neq_f32_e64 s[6:7], v12, v5
	;; [unrolled: 2-line block ×3, first 2 shown]
	v_cndmask_b32_e64 v1, v15, v16, s[6:7]
	s_or_b64 s[6:7], s[8:9], s[6:7]
	v_cndmask_b32_e64 v1, v1, 0, s[8:9]
	s_or_b64 vcc, s[6:7], vcc
	v_cndmask_b32_e32 v8, v17, v1, vcc
	v_lshl_add_u64 v[2:3], v[2:3], 0, v[8:9]
	s_or_b64 s[4:5], vcc, s[4:5]
	v_cndmask_b32_e64 v1, 0, 1, s[4:5]
	v_mov_b32_dpp v8, v2 quad_perm:[1,0,3,2] row_mask:0xf bank_mask:0xf bound_ctrl:1
	v_mov_b32_dpp v9, v3 quad_perm:[1,0,3,2] row_mask:0xf bank_mask:0xf bound_ctrl:1
	v_mov_b32_dpp v5, v1 quad_perm:[1,0,3,2] row_mask:0xf bank_mask:0xf bound_ctrl:1
	v_cmp_lt_i64_e32 vcc, v[2:3], v[8:9]
	v_and_b32_e32 v5, 1, v5
	s_and_b64 vcc, s[4:5], vcc
	v_cndmask_b32_e32 v7, v8, v2, vcc
	v_cndmask_b32_e32 v8, v9, v3, vcc
	v_cmp_eq_u32_e32 vcc, 1, v5
	s_nop 1
	v_cndmask_b32_e32 v3, v3, v8, vcc
	v_cndmask_b32_e32 v2, v2, v7, vcc
	v_cndmask_b32_e64 v1, v1, 1, vcc
	v_mov_b32_dpp v9, v3 quad_perm:[2,3,0,1] row_mask:0xf bank_mask:0xf bound_ctrl:1
	v_mov_b32_dpp v8, v2 quad_perm:[2,3,0,1] row_mask:0xf bank_mask:0xf bound_ctrl:1
	;; [unrolled: 1-line block ×3, first 2 shown]
	v_and_b32_e32 v7, 1, v1
	v_and_b32_e32 v5, 1, v5
	v_cmp_eq_u32_e32 vcc, 1, v7
	v_cmp_lt_i64_e64 s[4:5], v[2:3], v[8:9]
	v_cmp_eq_u32_e64 s[6:7], 1, v5
	s_and_b64 vcc, vcc, s[4:5]
	v_cndmask_b32_e32 v5, v8, v2, vcc
	v_cndmask_b32_e64 v1, v1, 1, s[6:7]
	v_cndmask_b32_e64 v2, v2, v5, s[6:7]
	v_cndmask_b32_e32 v7, v9, v3, vcc
	v_mov_b32_dpp v5, v1 row_ror:4 row_mask:0xf bank_mask:0xf bound_ctrl:1
	v_and_b32_e32 v5, 1, v5
	v_and_b32_e32 v9, 1, v1
	v_cndmask_b32_e64 v3, v3, v7, s[6:7]
	v_cmp_eq_u32_e64 s[4:5], 1, v5
	v_mov_b32_dpp v8, v2 row_ror:4 row_mask:0xf bank_mask:0xf bound_ctrl:1
	v_cmp_eq_u32_e32 vcc, 1, v9
	v_mov_b32_dpp v9, v3 row_ror:4 row_mask:0xf bank_mask:0xf bound_ctrl:1
	v_cndmask_b32_e64 v1, v1, 1, s[4:5]
	v_cmp_lt_i64_e64 s[6:7], v[2:3], v[8:9]
	v_and_b32_e32 v7, 1, v1
	v_mov_b32_dpp v5, v1 row_ror:8 row_mask:0xf bank_mask:0xf bound_ctrl:1
	s_and_b64 vcc, vcc, s[6:7]
	v_and_b32_e32 v5, 1, v5
	v_cndmask_b32_e32 v8, v8, v2, vcc
	v_cmp_eq_u32_e64 s[6:7], 1, v7
	v_cndmask_b32_e32 v7, v9, v3, vcc
	v_cmp_eq_u32_e32 vcc, 1, v5
	v_cndmask_b32_e64 v2, v2, v8, s[4:5]
	v_cndmask_b32_e64 v3, v3, v7, s[4:5]
	v_cndmask_b32_e64 v1, v1, 1, vcc
	v_mov_b32_dpp v8, v2 row_ror:8 row_mask:0xf bank_mask:0xf bound_ctrl:1
	v_mov_b32_dpp v9, v3 row_ror:8 row_mask:0xf bank_mask:0xf bound_ctrl:1
	v_mov_b32_dpp v5, v1 row_bcast:15 row_mask:0xf bank_mask:0xf bound_ctrl:1
	v_and_b32_e32 v5, 1, v5
	v_cmp_lt_i64_e64 s[8:9], v[2:3], v[8:9]
	v_cmp_eq_u32_e64 s[10:11], 1, v5
	s_and_b64 s[6:7], s[6:7], s[8:9]
	v_and_b32_e32 v7, 1, v1
	v_cndmask_b32_e64 v1, v1, 1, s[10:11]
	v_cndmask_b32_e64 v5, v8, v2, s[6:7]
	;; [unrolled: 1-line block ×3, first 2 shown]
	v_and_b32_e32 v8, 1, v1
	v_cndmask_b32_e32 v2, v2, v5, vcc
	v_cndmask_b32_e32 v3, v3, v9, vcc
	v_cmp_eq_u32_e64 s[6:7], 1, v8
	v_mov_b32_dpp v8, v2 row_bcast:15 row_mask:0xf bank_mask:0xf bound_ctrl:1
	v_mov_b32_dpp v9, v3 row_bcast:15 row_mask:0xf bank_mask:0xf bound_ctrl:1
	v_cmp_eq_u32_e64 s[4:5], 1, v7
	v_mov_b32_dpp v7, v1 row_bcast:31 row_mask:0xf bank_mask:0xf bound_ctrl:1
	v_cmp_lt_i64_e64 s[8:9], v[2:3], v[8:9]
	v_and_b32_e32 v5, 1, v7
	s_and_b64 s[4:5], s[4:5], s[8:9]
	v_cmp_eq_u32_e32 vcc, 1, v5
	v_cndmask_b32_e64 v5, v8, v2, s[4:5]
	v_cndmask_b32_e64 v7, v9, v3, s[4:5]
	v_cndmask_b32_e64 v2, v2, v5, s[10:11]
	v_cndmask_b32_e64 v3, v3, v7, s[10:11]
	v_cndmask_b32_e64 v1, v1, 1, vcc
	v_mov_b32_dpp v8, v2 row_bcast:31 row_mask:0xf bank_mask:0xf bound_ctrl:1
	v_mov_b32_dpp v9, v3 row_bcast:31 row_mask:0xf bank_mask:0xf bound_ctrl:1
	v_cmp_lt_i64_e64 s[4:5], v[2:3], v[8:9]
	s_and_b64 s[4:5], s[6:7], s[4:5]
	ds_bpermute_b32 v1, v18, v1
	v_cndmask_b32_e64 v5, v8, v2, s[4:5]
	v_cndmask_b32_e64 v7, v9, v3, s[4:5]
	v_cndmask_b32_e32 v2, v2, v5, vcc
	v_cndmask_b32_e32 v3, v3, v7, vcc
	ds_bpermute_b32 v2, v18, v2
	ds_bpermute_b32 v3, v18, v3
	v_cmp_eq_u32_e32 vcc, 0, v4
	s_and_saveexec_b64 s[4:5], vcc
	s_cbranch_execz .LBB368_20
; %bb.19:
	v_lshrrev_b32_e32 v5, 2, v0
	v_and_b32_e32 v5, 16, v5
	s_waitcnt lgkmcnt(2)
	ds_write_b8 v5, v1 offset:64
	s_waitcnt lgkmcnt(1)
	ds_write_b64 v5, v[2:3] offset:72
.LBB368_20:
	s_or_b64 exec, exec, s[4:5]
	v_cmp_gt_u32_e32 vcc, 64, v0
	s_waitcnt lgkmcnt(0)
	s_barrier
	s_and_saveexec_b64 s[4:5], vcc
	s_cbranch_execz .LBB368_26
; %bb.21:
	v_and_b32_e32 v1, 1, v4
	v_lshlrev_b32_e32 v1, 4, v1
	ds_read_u8 v8, v1 offset:64
	ds_read_b64 v[4:5], v1 offset:72
	v_or_b32_e32 v2, 4, v6
	s_waitcnt lgkmcnt(1)
	v_and_b32_e32 v1, 0xff, v8
	ds_bpermute_b32 v9, v2, v1
	s_waitcnt lgkmcnt(1)
	ds_bpermute_b32 v6, v2, v4
	ds_bpermute_b32 v7, v2, v5
                                        ; implicit-def: $vgpr2_vgpr3
	s_waitcnt lgkmcnt(2)
	v_and_b32_e32 v1, v8, v9
	v_and_b32_e32 v1, 1, v1
	v_cmp_eq_u32_e32 vcc, 1, v1
	s_and_saveexec_b64 s[6:7], vcc
	s_xor_b64 s[6:7], exec, s[6:7]
	s_cbranch_execz .LBB368_23
; %bb.22:
	s_waitcnt lgkmcnt(0)
	v_cmp_lt_i64_e32 vcc, v[6:7], v[4:5]
                                        ; implicit-def: $vgpr8
                                        ; implicit-def: $vgpr9
	s_nop 1
	v_cndmask_b32_e32 v3, v5, v7, vcc
	v_cndmask_b32_e32 v2, v4, v6, vcc
                                        ; implicit-def: $vgpr6_vgpr7
                                        ; implicit-def: $vgpr4_vgpr5
.LBB368_23:
	s_or_saveexec_b64 s[6:7], s[6:7]
	v_mov_b32_e32 v1, 1
	s_xor_b64 exec, exec, s[6:7]
	s_cbranch_execz .LBB368_25
; %bb.24:
	v_and_b32_e32 v1, 1, v8
	v_cmp_eq_u32_e32 vcc, 1, v1
	s_waitcnt lgkmcnt(0)
	s_nop 0
	v_cndmask_b32_e32 v3, v7, v5, vcc
	v_cndmask_b32_e32 v2, v6, v4, vcc
	v_cndmask_b32_e64 v1, v9, 1, vcc
.LBB368_25:
	s_or_b64 exec, exec, s[6:7]
.LBB368_26:
	s_or_b64 exec, exec, s[4:5]
	s_branch .LBB368_214
.LBB368_27:
                                        ; implicit-def: $vgpr4_vgpr5
                                        ; implicit-def: $vgpr6
                                        ; implicit-def: $vgpr2_vgpr3
	s_branch .LBB368_306
.LBB368_28:
                                        ; implicit-def: $vgpr2_vgpr3
                                        ; implicit-def: $vgpr1
	s_cbranch_execz .LBB368_145
; %bb.29:
	s_sub_i32 s41, s22, s38
	v_cmp_gt_u32_e32 vcc, s41, v0
	v_mov_b32_e32 v26, 0
	v_mov_b64_e32 v[16:17], 0
	v_mov_b64_e32 v[2:3], 0
	v_mov_b32_e32 v1, 0
	s_and_saveexec_b64 s[4:5], vcc
	s_cbranch_execz .LBB368_31
; %bb.30:
	v_lshlrev_b32_e32 v1, 2, v0
	global_load_dword v4, v1, s[30:31]
	global_load_dword v5, v1, s[34:35]
	v_mov_b32_e32 v1, 0
	v_lshl_add_u64 v[2:3], s[36:37], 0, v[0:1]
	s_waitcnt vmcnt(0)
	v_cmp_neq_f32_e32 vcc, v4, v5
	s_nop 1
	v_cndmask_b32_e64 v1, 0, 1, vcc
.LBB368_31:
	s_or_b64 exec, exec, s[4:5]
	v_or_b32_e32 v4, 0x80, v0
	v_cmp_gt_u32_e64 s[14:15], s41, v4
	s_and_saveexec_b64 s[4:5], s[14:15]
	s_cbranch_execz .LBB368_33
; %bb.32:
	v_lshlrev_b32_e32 v5, 2, v0
	s_waitcnt lgkmcnt(1)
	global_load_dword v6, v5, s[30:31] offset:512
	s_waitcnt lgkmcnt(0)
	global_load_dword v7, v5, s[34:35] offset:512
	v_mov_b32_e32 v5, 0
	v_lshl_add_u64 v[16:17], s[36:37], 0, v[4:5]
	s_waitcnt vmcnt(0)
	v_cmp_neq_f32_e32 vcc, v6, v7
	s_nop 1
	v_cndmask_b32_e64 v26, 0, 1, vcc
.LBB368_33:
	s_or_b64 exec, exec, s[4:5]
	v_or_b32_e32 v4, 0x100, v0
	v_cmp_gt_u32_e64 s[12:13], s41, v4
	v_mov_b32_e32 v24, 0
	v_mov_b64_e32 v[12:13], 0
	v_mov_b64_e32 v[14:15], 0
	v_mov_b32_e32 v25, 0
	s_and_saveexec_b64 s[4:5], s[12:13]
	s_cbranch_execz .LBB368_35
; %bb.34:
	v_lshlrev_b32_e32 v5, 2, v0
	s_waitcnt lgkmcnt(1)
	global_load_dword v6, v5, s[30:31] offset:1024
	s_waitcnt lgkmcnt(0)
	global_load_dword v7, v5, s[34:35] offset:1024
	v_mov_b32_e32 v5, 0
	v_lshl_add_u64 v[14:15], s[36:37], 0, v[4:5]
	s_waitcnt vmcnt(0)
	v_cmp_neq_f32_e32 vcc, v6, v7
	s_nop 1
	v_cndmask_b32_e64 v25, 0, 1, vcc
.LBB368_35:
	s_or_b64 exec, exec, s[4:5]
	v_or_b32_e32 v4, 0x180, v0
	v_cmp_gt_u32_e64 s[10:11], s41, v4
	s_and_saveexec_b64 s[4:5], s[10:11]
	s_cbranch_execz .LBB368_37
; %bb.36:
	v_lshlrev_b32_e32 v5, 2, v0
	s_waitcnt lgkmcnt(1)
	global_load_dword v6, v5, s[30:31] offset:1536
	s_waitcnt lgkmcnt(0)
	global_load_dword v7, v5, s[34:35] offset:1536
	v_mov_b32_e32 v5, 0
	v_lshl_add_u64 v[12:13], s[36:37], 0, v[4:5]
	s_waitcnt vmcnt(0)
	v_cmp_neq_f32_e32 vcc, v6, v7
	s_nop 1
	v_cndmask_b32_e64 v24, 0, 1, vcc
.LBB368_37:
	s_or_b64 exec, exec, s[4:5]
	v_or_b32_e32 v4, 0x200, v0
	v_cmp_gt_u32_e64 s[8:9], s41, v4
	v_mov_b32_e32 v22, 0
	v_mov_b64_e32 v[8:9], 0
	v_mov_b64_e32 v[10:11], 0
	v_mov_b32_e32 v23, 0
	s_and_saveexec_b64 s[4:5], s[8:9]
	s_cbranch_execz .LBB368_39
; %bb.38:
	v_lshlrev_b32_e32 v5, 2, v0
	s_waitcnt lgkmcnt(1)
	global_load_dword v6, v5, s[30:31] offset:2048
	s_waitcnt lgkmcnt(0)
	global_load_dword v7, v5, s[34:35] offset:2048
	v_mov_b32_e32 v5, 0
	v_lshl_add_u64 v[10:11], s[36:37], 0, v[4:5]
	s_waitcnt vmcnt(0)
	v_cmp_neq_f32_e32 vcc, v6, v7
	s_nop 1
	v_cndmask_b32_e64 v23, 0, 1, vcc
.LBB368_39:
	s_or_b64 exec, exec, s[4:5]
	v_or_b32_e32 v4, 0x280, v0
	v_cmp_gt_u32_e64 s[6:7], s41, v4
	s_and_saveexec_b64 s[4:5], s[6:7]
	s_cbranch_execz .LBB368_41
; %bb.40:
	v_lshlrev_b32_e32 v5, 2, v0
	s_waitcnt lgkmcnt(1)
	global_load_dword v6, v5, s[30:31] offset:2560
	s_waitcnt lgkmcnt(0)
	global_load_dword v7, v5, s[34:35] offset:2560
	v_mov_b32_e32 v5, 0
	v_lshl_add_u64 v[8:9], s[36:37], 0, v[4:5]
	s_waitcnt vmcnt(0)
	v_cmp_neq_f32_e32 vcc, v6, v7
	s_nop 1
	v_cndmask_b32_e64 v22, 0, 1, vcc
.LBB368_41:
	s_or_b64 exec, exec, s[4:5]
	v_or_b32_e32 v18, 0x300, v0
	v_cmp_gt_u32_e64 s[4:5], s41, v18
	v_mov_b64_e32 v[4:5], 0
	v_mov_b32_e32 v20, 0
	v_mov_b32_e32 v21, 0
	s_waitcnt lgkmcnt(0)
	v_mov_b64_e32 v[6:7], 0
	s_and_saveexec_b64 s[16:17], s[4:5]
	s_cbranch_execz .LBB368_43
; %bb.42:
	v_lshlrev_b32_e32 v6, 2, v0
	global_load_dword v21, v6, s[30:31] offset:3072
	global_load_dword v27, v6, s[34:35] offset:3072
	v_mov_b32_e32 v19, 0
	v_lshl_add_u64 v[6:7], s[36:37], 0, v[18:19]
	s_waitcnt vmcnt(0)
	v_cmp_neq_f32_e32 vcc, v21, v27
	s_nop 1
	v_cndmask_b32_e64 v21, 0, 1, vcc
.LBB368_43:
	s_or_b64 exec, exec, s[16:17]
	v_or_b32_e32 v18, 0x380, v0
	v_cmp_gt_u32_e32 vcc, s41, v18
	s_and_saveexec_b64 s[38:39], vcc
	s_cbranch_execnz .LBB368_62
; %bb.44:
	s_or_b64 exec, exec, s[38:39]
	s_and_saveexec_b64 s[30:31], s[14:15]
	s_cbranch_execnz .LBB368_63
.LBB368_45:
	s_or_b64 exec, exec, s[30:31]
	s_and_saveexec_b64 s[16:17], s[12:13]
	s_cbranch_execnz .LBB368_68
.LBB368_46:
	s_or_b64 exec, exec, s[16:17]
	s_and_saveexec_b64 s[14:15], s[10:11]
	s_cbranch_execnz .LBB368_73
.LBB368_47:
	s_or_b64 exec, exec, s[14:15]
	s_and_saveexec_b64 s[12:13], s[8:9]
	s_cbranch_execnz .LBB368_78
.LBB368_48:
	s_or_b64 exec, exec, s[12:13]
	s_and_saveexec_b64 s[10:11], s[6:7]
	s_cbranch_execnz .LBB368_83
.LBB368_49:
	s_or_b64 exec, exec, s[10:11]
	s_and_saveexec_b64 s[8:9], s[4:5]
	s_cbranch_execnz .LBB368_88
.LBB368_50:
	s_or_b64 exec, exec, s[8:9]
	s_and_saveexec_b64 s[6:7], vcc
	s_cbranch_execnz .LBB368_93
	s_branch .LBB368_98
.LBB368_51:
                                        ; implicit-def: $vgpr2_vgpr3
                                        ; implicit-def: $vgpr1
	s_cbranch_execz .LBB368_214
; %bb.52:
	s_sub_i32 s30, s22, s30
	v_cmp_gt_u32_e32 vcc, s30, v0
	v_mov_b32_e32 v14, 0
	s_waitcnt lgkmcnt(1)
	v_mov_b64_e32 v[8:9], 0
	v_mov_b64_e32 v[2:3], 0
	v_mov_b32_e32 v1, 0
	s_and_saveexec_b64 s[4:5], vcc
	s_cbranch_execz .LBB368_54
; %bb.53:
	v_lshlrev_b32_e32 v1, 2, v0
	global_load_dword v4, v1, s[14:15]
	s_waitcnt lgkmcnt(0)
	global_load_dword v5, v1, s[16:17]
	v_mov_b32_e32 v1, 0
	v_lshl_add_u64 v[2:3], s[28:29], 0, v[0:1]
	s_waitcnt vmcnt(0)
	v_cmp_neq_f32_e32 vcc, v4, v5
	s_nop 1
	v_cndmask_b32_e64 v1, 0, 1, vcc
.LBB368_54:
	s_or_b64 exec, exec, s[4:5]
	v_or_b32_e32 v4, 0x80, v0
	v_cmp_gt_u32_e64 s[6:7], s30, v4
	s_and_saveexec_b64 s[4:5], s[6:7]
	s_cbranch_execz .LBB368_56
; %bb.55:
	s_waitcnt lgkmcnt(0)
	v_lshlrev_b32_e32 v5, 2, v0
	global_load_dword v6, v5, s[14:15] offset:512
	global_load_dword v7, v5, s[16:17] offset:512
	v_mov_b32_e32 v5, 0
	v_lshl_add_u64 v[8:9], s[28:29], 0, v[4:5]
	s_waitcnt vmcnt(0)
	v_cmp_neq_f32_e32 vcc, v6, v7
	s_nop 1
	v_cndmask_b32_e64 v14, 0, 1, vcc
.LBB368_56:
	s_or_b64 exec, exec, s[4:5]
	v_or_b32_e32 v10, 0x100, v0
	v_cmp_gt_u32_e64 s[4:5], s30, v10
	v_mov_b32_e32 v12, 0
	s_waitcnt lgkmcnt(0)
	v_mov_b64_e32 v[4:5], 0
	v_mov_b64_e32 v[6:7], 0
	v_mov_b32_e32 v13, 0
	s_and_saveexec_b64 s[8:9], s[4:5]
	s_cbranch_execz .LBB368_58
; %bb.57:
	v_lshlrev_b32_e32 v6, 2, v0
	global_load_dword v13, v6, s[14:15] offset:1024
	global_load_dword v15, v6, s[16:17] offset:1024
	v_mov_b32_e32 v11, 0
	v_lshl_add_u64 v[6:7], s[28:29], 0, v[10:11]
	s_waitcnt vmcnt(0)
	v_cmp_neq_f32_e32 vcc, v13, v15
	s_nop 1
	v_cndmask_b32_e64 v13, 0, 1, vcc
.LBB368_58:
	s_or_b64 exec, exec, s[8:9]
	v_or_b32_e32 v10, 0x180, v0
	v_cmp_gt_u32_e32 vcc, s30, v10
	s_and_saveexec_b64 s[10:11], vcc
	s_cbranch_execnz .LBB368_151
; %bb.59:
	s_or_b64 exec, exec, s[10:11]
	s_and_saveexec_b64 s[10:11], s[6:7]
	s_cbranch_execnz .LBB368_152
.LBB368_60:
	s_or_b64 exec, exec, s[10:11]
	s_and_saveexec_b64 s[8:9], s[4:5]
	s_cbranch_execnz .LBB368_157
.LBB368_61:
	s_or_b64 exec, exec, s[8:9]
	s_and_saveexec_b64 s[6:7], vcc
	s_cbranch_execnz .LBB368_162
	s_branch .LBB368_167
.LBB368_62:
	v_lshlrev_b32_e32 v4, 2, v0
	global_load_dword v20, v4, s[30:31] offset:3584
	global_load_dword v27, v4, s[34:35] offset:3584
	v_mov_b32_e32 v19, 0
	v_lshl_add_u64 v[4:5], s[36:37], 0, v[18:19]
	s_waitcnt vmcnt(0)
	v_cmp_neq_f32_e64 s[16:17], v20, v27
	s_nop 1
	v_cndmask_b32_e64 v20, 0, 1, s[16:17]
	s_or_b64 exec, exec, s[38:39]
	s_and_saveexec_b64 s[30:31], s[14:15]
	s_cbranch_execz .LBB368_45
.LBB368_63:
	v_and_b32_e32 v1, 1, v1
	v_cmp_eq_u32_e64 s[14:15], 1, v1
	v_and_b32_e32 v1, 1, v26
	v_cmp_eq_u32_e64 s[16:17], 1, v1
	s_and_b64 s[16:17], s[14:15], s[16:17]
	s_xor_b64 s[16:17], s[16:17], -1
                                        ; implicit-def: $vgpr1
	s_and_saveexec_b64 s[34:35], s[16:17]
	s_xor_b64 s[16:17], exec, s[34:35]
; %bb.64:
	v_and_b32_e32 v1, 0xffff, v26
	v_cndmask_b32_e64 v1, v1, 1, s[14:15]
	v_cndmask_b32_e64 v3, v17, v3, s[14:15]
	;; [unrolled: 1-line block ×3, first 2 shown]
                                        ; implicit-def: $vgpr16_vgpr17
; %bb.65:
	s_andn2_saveexec_b64 s[16:17], s[16:17]
; %bb.66:
	v_cmp_lt_i64_e64 s[14:15], v[16:17], v[2:3]
	v_mov_b32_e32 v1, 1
	s_nop 0
	v_cndmask_b32_e64 v3, v3, v17, s[14:15]
	v_cndmask_b32_e64 v2, v2, v16, s[14:15]
; %bb.67:
	s_or_b64 exec, exec, s[16:17]
	s_or_b64 exec, exec, s[30:31]
	s_and_saveexec_b64 s[16:17], s[12:13]
	s_cbranch_execz .LBB368_46
.LBB368_68:
	v_and_b32_e32 v1, 1, v1
	v_cmp_eq_u32_e64 s[12:13], 1, v1
	v_and_b32_e32 v1, 1, v25
	v_cmp_eq_u32_e64 s[14:15], 1, v1
	s_and_b64 s[14:15], s[12:13], s[14:15]
	s_xor_b64 s[14:15], s[14:15], -1
                                        ; implicit-def: $vgpr1
	s_and_saveexec_b64 s[30:31], s[14:15]
	s_xor_b64 s[14:15], exec, s[30:31]
; %bb.69:
	v_and_b32_e32 v1, 0xffff, v25
	v_cndmask_b32_e64 v1, v1, 1, s[12:13]
	v_cndmask_b32_e64 v3, v15, v3, s[12:13]
	;; [unrolled: 1-line block ×3, first 2 shown]
                                        ; implicit-def: $vgpr14_vgpr15
; %bb.70:
	s_andn2_saveexec_b64 s[14:15], s[14:15]
; %bb.71:
	v_cmp_lt_i64_e64 s[12:13], v[14:15], v[2:3]
	v_mov_b32_e32 v1, 1
	s_nop 0
	v_cndmask_b32_e64 v3, v3, v15, s[12:13]
	v_cndmask_b32_e64 v2, v2, v14, s[12:13]
; %bb.72:
	s_or_b64 exec, exec, s[14:15]
	s_or_b64 exec, exec, s[16:17]
	s_and_saveexec_b64 s[14:15], s[10:11]
	s_cbranch_execz .LBB368_47
.LBB368_73:
	v_and_b32_e32 v1, 1, v1
	v_cmp_eq_u32_e64 s[10:11], 1, v1
	v_and_b32_e32 v1, 1, v24
	v_cmp_eq_u32_e64 s[12:13], 1, v1
	s_and_b64 s[12:13], s[10:11], s[12:13]
	s_xor_b64 s[12:13], s[12:13], -1
                                        ; implicit-def: $vgpr1
	s_and_saveexec_b64 s[16:17], s[12:13]
	s_xor_b64 s[12:13], exec, s[16:17]
; %bb.74:
	v_and_b32_e32 v1, 0xffff, v24
	v_cndmask_b32_e64 v1, v1, 1, s[10:11]
	v_cndmask_b32_e64 v3, v13, v3, s[10:11]
	;; [unrolled: 1-line block ×3, first 2 shown]
                                        ; implicit-def: $vgpr12_vgpr13
; %bb.75:
	s_andn2_saveexec_b64 s[12:13], s[12:13]
; %bb.76:
	v_cmp_lt_i64_e64 s[10:11], v[12:13], v[2:3]
	v_mov_b32_e32 v1, 1
	s_nop 0
	v_cndmask_b32_e64 v3, v3, v13, s[10:11]
	v_cndmask_b32_e64 v2, v2, v12, s[10:11]
; %bb.77:
	s_or_b64 exec, exec, s[12:13]
	s_or_b64 exec, exec, s[14:15]
	s_and_saveexec_b64 s[12:13], s[8:9]
	s_cbranch_execz .LBB368_48
.LBB368_78:
	v_and_b32_e32 v1, 1, v1
	v_cmp_eq_u32_e64 s[8:9], 1, v1
	v_and_b32_e32 v1, 1, v23
	v_cmp_eq_u32_e64 s[10:11], 1, v1
	s_and_b64 s[10:11], s[8:9], s[10:11]
	s_xor_b64 s[10:11], s[10:11], -1
                                        ; implicit-def: $vgpr1
	s_and_saveexec_b64 s[14:15], s[10:11]
	s_xor_b64 s[10:11], exec, s[14:15]
; %bb.79:
	v_and_b32_e32 v1, 0xffff, v23
	v_cndmask_b32_e64 v1, v1, 1, s[8:9]
	v_cndmask_b32_e64 v3, v11, v3, s[8:9]
	;; [unrolled: 1-line block ×3, first 2 shown]
                                        ; implicit-def: $vgpr10_vgpr11
; %bb.80:
	s_andn2_saveexec_b64 s[10:11], s[10:11]
; %bb.81:
	v_cmp_lt_i64_e64 s[8:9], v[10:11], v[2:3]
	v_mov_b32_e32 v1, 1
	s_nop 0
	v_cndmask_b32_e64 v3, v3, v11, s[8:9]
	v_cndmask_b32_e64 v2, v2, v10, s[8:9]
; %bb.82:
	s_or_b64 exec, exec, s[10:11]
	s_or_b64 exec, exec, s[12:13]
	s_and_saveexec_b64 s[10:11], s[6:7]
	s_cbranch_execz .LBB368_49
.LBB368_83:
	v_and_b32_e32 v1, 1, v1
	v_cmp_eq_u32_e64 s[6:7], 1, v1
	v_and_b32_e32 v1, 1, v22
	v_cmp_eq_u32_e64 s[8:9], 1, v1
	s_and_b64 s[8:9], s[6:7], s[8:9]
	s_xor_b64 s[8:9], s[8:9], -1
                                        ; implicit-def: $vgpr1
	s_and_saveexec_b64 s[12:13], s[8:9]
	s_xor_b64 s[8:9], exec, s[12:13]
; %bb.84:
	v_and_b32_e32 v1, 0xffff, v22
	v_cndmask_b32_e64 v1, v1, 1, s[6:7]
	v_cndmask_b32_e64 v3, v9, v3, s[6:7]
	;; [unrolled: 1-line block ×3, first 2 shown]
                                        ; implicit-def: $vgpr8_vgpr9
; %bb.85:
	s_andn2_saveexec_b64 s[8:9], s[8:9]
; %bb.86:
	v_cmp_lt_i64_e64 s[6:7], v[8:9], v[2:3]
	v_mov_b32_e32 v1, 1
	s_nop 0
	v_cndmask_b32_e64 v3, v3, v9, s[6:7]
	v_cndmask_b32_e64 v2, v2, v8, s[6:7]
; %bb.87:
	s_or_b64 exec, exec, s[8:9]
	s_or_b64 exec, exec, s[10:11]
	s_and_saveexec_b64 s[8:9], s[4:5]
	s_cbranch_execz .LBB368_50
.LBB368_88:
	v_and_b32_e32 v1, 1, v1
	v_cmp_eq_u32_e64 s[4:5], 1, v1
	v_and_b32_e32 v1, 1, v21
	v_cmp_eq_u32_e64 s[6:7], 1, v1
	s_and_b64 s[6:7], s[4:5], s[6:7]
	s_xor_b64 s[6:7], s[6:7], -1
                                        ; implicit-def: $vgpr1
	s_and_saveexec_b64 s[10:11], s[6:7]
	s_xor_b64 s[6:7], exec, s[10:11]
; %bb.89:
	v_and_b32_e32 v1, 0xffff, v21
	v_cndmask_b32_e64 v1, v1, 1, s[4:5]
	v_cndmask_b32_e64 v3, v7, v3, s[4:5]
	;; [unrolled: 1-line block ×3, first 2 shown]
                                        ; implicit-def: $vgpr6_vgpr7
; %bb.90:
	s_andn2_saveexec_b64 s[6:7], s[6:7]
; %bb.91:
	v_cmp_lt_i64_e64 s[4:5], v[6:7], v[2:3]
	v_mov_b32_e32 v1, 1
	s_nop 0
	v_cndmask_b32_e64 v3, v3, v7, s[4:5]
	v_cndmask_b32_e64 v2, v2, v6, s[4:5]
; %bb.92:
	s_or_b64 exec, exec, s[6:7]
	s_or_b64 exec, exec, s[8:9]
	s_and_saveexec_b64 s[6:7], vcc
	s_cbranch_execz .LBB368_98
.LBB368_93:
	v_and_b32_e32 v1, 1, v1
	v_cmp_eq_u32_e32 vcc, 1, v1
	v_and_b32_e32 v1, 1, v20
	v_cmp_eq_u32_e64 s[4:5], 1, v1
	s_and_b64 s[4:5], vcc, s[4:5]
	s_xor_b64 s[4:5], s[4:5], -1
                                        ; implicit-def: $vgpr1
	s_and_saveexec_b64 s[8:9], s[4:5]
	s_xor_b64 s[4:5], exec, s[8:9]
; %bb.94:
	v_and_b32_e32 v1, 0xffff, v20
	v_cndmask_b32_e64 v1, v1, 1, vcc
	v_cndmask_b32_e32 v3, v5, v3, vcc
	v_cndmask_b32_e32 v2, v4, v2, vcc
                                        ; implicit-def: $vgpr4_vgpr5
; %bb.95:
	s_andn2_saveexec_b64 s[4:5], s[4:5]
; %bb.96:
	v_cmp_lt_i64_e32 vcc, v[4:5], v[2:3]
	v_mov_b32_e32 v1, 1
	s_nop 0
	v_cndmask_b32_e32 v3, v3, v5, vcc
	v_cndmask_b32_e32 v2, v2, v4, vcc
; %bb.97:
	s_or_b64 exec, exec, s[4:5]
.LBB368_98:
	s_or_b64 exec, exec, s[6:7]
	v_mbcnt_lo_u32_b32 v4, -1, 0
	v_mbcnt_hi_u32_b32 v6, -1, v4
	v_and_b32_e32 v7, 63, v6
	v_cmp_ne_u32_e32 vcc, 63, v7
	s_min_u32 s8, s41, 0x80
	v_and_b32_e32 v8, 64, v0
	v_addc_co_u32_e32 v4, vcc, 0, v6, vcc
	v_lshlrev_b32_e32 v5, 2, v4
	ds_bpermute_b32 v9, v5, v1
	ds_bpermute_b32 v4, v5, v2
	;; [unrolled: 1-line block ×3, first 2 shown]
	v_sub_u32_e64 v8, s8, v8 clamp
	v_add_u32_e32 v10, 1, v7
	v_cmp_lt_u32_e32 vcc, v10, v8
	s_and_saveexec_b64 s[4:5], vcc
	s_xor_b64 s[4:5], exec, s[4:5]
	s_cbranch_execz .LBB368_104
; %bb.99:
	s_waitcnt lgkmcnt(2)
	v_and_b32_e32 v10, v9, v1
	v_cmp_ne_u32_e32 vcc, 0, v10
	s_and_saveexec_b64 s[6:7], vcc
	s_xor_b64 s[6:7], exec, s[6:7]
	s_cbranch_execz .LBB368_101
; %bb.100:
	s_waitcnt lgkmcnt(0)
	v_cmp_lt_i64_e32 vcc, v[4:5], v[2:3]
                                        ; implicit-def: $vgpr1
                                        ; implicit-def: $vgpr9
	s_nop 1
	v_cndmask_b32_e32 v3, v3, v5, vcc
	v_cndmask_b32_e32 v2, v2, v4, vcc
                                        ; implicit-def: $vgpr4_vgpr5
.LBB368_101:
	s_or_saveexec_b64 s[6:7], s[6:7]
	v_mov_b32_e32 v10, 1
	s_xor_b64 exec, exec, s[6:7]
	s_cbranch_execz .LBB368_103
; %bb.102:
	v_and_b32_e32 v1, 1, v1
	v_cmp_eq_u32_e32 vcc, 1, v1
	v_and_b32_e32 v1, 0xff, v9
	s_waitcnt lgkmcnt(0)
	v_cndmask_b32_e32 v3, v5, v3, vcc
	v_cndmask_b32_e32 v2, v4, v2, vcc
	v_cndmask_b32_e64 v10, v1, 1, vcc
.LBB368_103:
	s_or_b64 exec, exec, s[6:7]
	v_mov_b32_e32 v1, v10
.LBB368_104:
	s_or_b64 exec, exec, s[4:5]
	v_cmp_gt_u32_e32 vcc, 62, v7
	v_add_u32_e32 v10, 2, v7
	s_waitcnt lgkmcnt(1)
	v_cndmask_b32_e64 v4, 0, 2, vcc
	s_waitcnt lgkmcnt(0)
	v_add_lshl_u32 v5, v4, v6, 2
	ds_bpermute_b32 v9, v5, v1
	ds_bpermute_b32 v4, v5, v2
	ds_bpermute_b32 v5, v5, v3
	v_cmp_lt_u32_e32 vcc, v10, v8
	s_and_saveexec_b64 s[4:5], vcc
	s_cbranch_execz .LBB368_110
; %bb.105:
	s_waitcnt lgkmcnt(2)
	v_and_b32_e32 v10, v1, v9
	v_and_b32_e32 v10, 1, v10
	v_cmp_eq_u32_e32 vcc, 1, v10
	s_and_saveexec_b64 s[6:7], vcc
	s_xor_b64 s[6:7], exec, s[6:7]
	s_cbranch_execz .LBB368_107
; %bb.106:
	s_waitcnt lgkmcnt(0)
	v_cmp_lt_i64_e32 vcc, v[4:5], v[2:3]
                                        ; implicit-def: $vgpr1
                                        ; implicit-def: $vgpr9
	s_nop 1
	v_cndmask_b32_e32 v3, v3, v5, vcc
	v_cndmask_b32_e32 v2, v2, v4, vcc
                                        ; implicit-def: $vgpr4_vgpr5
.LBB368_107:
	s_or_saveexec_b64 s[6:7], s[6:7]
	v_mov_b32_e32 v10, 1
	s_xor_b64 exec, exec, s[6:7]
	s_cbranch_execz .LBB368_109
; %bb.108:
	v_and_b32_e32 v1, 1, v1
	v_cmp_eq_u32_e32 vcc, 1, v1
	v_and_b32_e32 v1, 0xff, v9
	s_waitcnt lgkmcnt(0)
	v_cndmask_b32_e32 v3, v5, v3, vcc
	v_cndmask_b32_e32 v2, v4, v2, vcc
	v_cndmask_b32_e64 v10, v1, 1, vcc
.LBB368_109:
	s_or_b64 exec, exec, s[6:7]
	v_mov_b32_e32 v1, v10
.LBB368_110:
	s_or_b64 exec, exec, s[4:5]
	v_cmp_gt_u32_e32 vcc, 60, v7
	v_add_u32_e32 v10, 4, v7
	s_waitcnt lgkmcnt(1)
	v_cndmask_b32_e64 v4, 0, 4, vcc
	s_waitcnt lgkmcnt(0)
	v_add_lshl_u32 v5, v4, v6, 2
	ds_bpermute_b32 v9, v5, v1
	ds_bpermute_b32 v4, v5, v2
	ds_bpermute_b32 v5, v5, v3
	v_cmp_lt_u32_e32 vcc, v10, v8
	s_and_saveexec_b64 s[4:5], vcc
	s_cbranch_execz .LBB368_116
; %bb.111:
	s_waitcnt lgkmcnt(2)
	v_and_b32_e32 v10, v1, v9
	v_and_b32_e32 v10, 1, v10
	v_cmp_eq_u32_e32 vcc, 1, v10
	s_and_saveexec_b64 s[6:7], vcc
	s_xor_b64 s[6:7], exec, s[6:7]
	s_cbranch_execz .LBB368_113
; %bb.112:
	s_waitcnt lgkmcnt(0)
	v_cmp_lt_i64_e32 vcc, v[4:5], v[2:3]
                                        ; implicit-def: $vgpr1
                                        ; implicit-def: $vgpr9
	s_nop 1
	v_cndmask_b32_e32 v3, v3, v5, vcc
	v_cndmask_b32_e32 v2, v2, v4, vcc
                                        ; implicit-def: $vgpr4_vgpr5
.LBB368_113:
	s_or_saveexec_b64 s[6:7], s[6:7]
	v_mov_b32_e32 v10, 1
	s_xor_b64 exec, exec, s[6:7]
	s_cbranch_execz .LBB368_115
; %bb.114:
	v_and_b32_e32 v1, 1, v1
	v_cmp_eq_u32_e32 vcc, 1, v1
	v_and_b32_e32 v1, 0xff, v9
	s_waitcnt lgkmcnt(0)
	v_cndmask_b32_e32 v3, v5, v3, vcc
	v_cndmask_b32_e32 v2, v4, v2, vcc
	v_cndmask_b32_e64 v10, v1, 1, vcc
.LBB368_115:
	s_or_b64 exec, exec, s[6:7]
	v_mov_b32_e32 v1, v10
.LBB368_116:
	;; [unrolled: 47-line block ×4, first 2 shown]
	s_or_b64 exec, exec, s[4:5]
	s_waitcnt lgkmcnt(2)
	v_lshlrev_b32_e32 v9, 2, v6
	s_waitcnt lgkmcnt(0)
	v_or_b32_e32 v5, 0x80, v9
	ds_bpermute_b32 v10, v5, v1
	ds_bpermute_b32 v4, v5, v2
	;; [unrolled: 1-line block ×3, first 2 shown]
	v_add_u32_e32 v7, 32, v7
	v_cmp_lt_u32_e32 vcc, v7, v8
	v_mov_b32_e32 v7, v1
	s_and_saveexec_b64 s[4:5], vcc
	s_cbranch_execz .LBB368_134
; %bb.129:
	s_waitcnt lgkmcnt(2)
	v_and_b32_e32 v7, v1, v10
	v_and_b32_e32 v7, 1, v7
	v_cmp_eq_u32_e32 vcc, 1, v7
	s_and_saveexec_b64 s[6:7], vcc
	s_xor_b64 s[6:7], exec, s[6:7]
	s_cbranch_execz .LBB368_131
; %bb.130:
	s_waitcnt lgkmcnt(0)
	v_cmp_lt_i64_e32 vcc, v[4:5], v[2:3]
                                        ; implicit-def: $vgpr1
                                        ; implicit-def: $vgpr10
	s_nop 1
	v_cndmask_b32_e32 v3, v3, v5, vcc
	v_cndmask_b32_e32 v2, v2, v4, vcc
                                        ; implicit-def: $vgpr4_vgpr5
.LBB368_131:
	s_or_saveexec_b64 s[6:7], s[6:7]
	v_mov_b32_e32 v7, 1
	s_xor_b64 exec, exec, s[6:7]
	s_cbranch_execz .LBB368_133
; %bb.132:
	v_and_b32_e32 v1, 1, v1
	v_cmp_eq_u32_e32 vcc, 1, v1
	s_nop 1
	v_cndmask_b32_e64 v7, v10, 1, vcc
	s_waitcnt lgkmcnt(0)
	v_cndmask_b32_e32 v3, v5, v3, vcc
	v_cndmask_b32_e32 v2, v4, v2, vcc
.LBB368_133:
	s_or_b64 exec, exec, s[6:7]
	v_and_b32_e32 v1, 0xff, v7
.LBB368_134:
	s_or_b64 exec, exec, s[4:5]
	v_cmp_eq_u32_e32 vcc, 0, v6
	s_and_saveexec_b64 s[4:5], vcc
	s_cbranch_execz .LBB368_136
; %bb.135:
	s_waitcnt lgkmcnt(1)
	v_lshrrev_b32_e32 v4, 2, v0
	v_and_b32_e32 v4, 16, v4
	ds_write_b8 v4, v7 offset:128
	ds_write_b64 v4, v[2:3] offset:136
.LBB368_136:
	s_or_b64 exec, exec, s[4:5]
	v_cmp_gt_u32_e32 vcc, 2, v0
	s_waitcnt lgkmcnt(0)
	s_barrier
	s_and_saveexec_b64 s[4:5], vcc
	s_cbranch_execz .LBB368_144
; %bb.137:
	v_lshlrev_b32_e32 v1, 4, v6
	ds_read_u8 v7, v1 offset:128
	ds_read_b64 v[2:3], v1 offset:136
	v_or_b32_e32 v5, 4, v9
	s_add_i32 s8, s8, 63
	v_and_b32_e32 v6, 1, v6
	s_waitcnt lgkmcnt(1)
	v_and_b32_e32 v1, 0xff, v7
	s_waitcnt lgkmcnt(0)
	ds_bpermute_b32 v4, v5, v2
	ds_bpermute_b32 v8, v5, v1
	;; [unrolled: 1-line block ×3, first 2 shown]
	s_lshr_b32 s6, s8, 6
	v_add_u32_e32 v6, 1, v6
	v_cmp_gt_u32_e32 vcc, s6, v6
	s_and_saveexec_b64 s[6:7], vcc
	s_cbranch_execz .LBB368_143
; %bb.138:
	s_waitcnt lgkmcnt(1)
	v_and_b32_e32 v1, v1, v8
	v_and_b32_e32 v1, 1, v1
	v_cmp_eq_u32_e32 vcc, 1, v1
	s_and_saveexec_b64 s[8:9], vcc
	s_xor_b64 s[8:9], exec, s[8:9]
	s_cbranch_execz .LBB368_140
; %bb.139:
	s_waitcnt lgkmcnt(0)
	v_cmp_lt_i64_e32 vcc, v[4:5], v[2:3]
                                        ; implicit-def: $vgpr7
                                        ; implicit-def: $vgpr8
	s_nop 1
	v_cndmask_b32_e32 v3, v3, v5, vcc
	v_cndmask_b32_e32 v2, v2, v4, vcc
                                        ; implicit-def: $vgpr4_vgpr5
.LBB368_140:
	s_or_saveexec_b64 s[8:9], s[8:9]
	v_mov_b32_e32 v1, 1
	s_xor_b64 exec, exec, s[8:9]
	s_cbranch_execz .LBB368_142
; %bb.141:
	v_and_b32_e32 v1, 1, v7
	v_cmp_eq_u32_e32 vcc, 1, v1
	s_waitcnt lgkmcnt(0)
	s_nop 0
	v_cndmask_b32_e32 v3, v5, v3, vcc
	v_cndmask_b32_e32 v2, v4, v2, vcc
	v_cndmask_b32_e64 v1, v8, 1, vcc
.LBB368_142:
	s_or_b64 exec, exec, s[8:9]
.LBB368_143:
	s_or_b64 exec, exec, s[6:7]
.LBB368_144:
	s_or_b64 exec, exec, s[4:5]
.LBB368_145:
	v_cmp_eq_u32_e32 vcc, 0, v0
	s_mov_b64 s[12:13], 0
                                        ; implicit-def: $vgpr4_vgpr5
                                        ; implicit-def: $vgpr6
	s_and_saveexec_b64 s[4:5], vcc
	s_xor_b64 s[8:9], exec, s[4:5]
	s_cbranch_execz .LBB368_149
; %bb.146:
	s_cmp_eq_u64 s[22:23], 0
	s_waitcnt lgkmcnt(0)
	v_mov_b64_e32 v[4:5], s[18:19]
	v_mov_b32_e32 v6, s33
	s_cbranch_scc1 .LBB368_148
; %bb.147:
	s_bitcmp1_b32 s33, 0
	v_and_b32_e32 v4, 1, v1
	v_cmp_eq_u32_e32 vcc, 1, v4
	v_cmp_gt_i64_e64 s[4:5], s[18:19], v[2:3]
	s_cselect_b64 s[6:7], -1, 0
	v_cndmask_b32_e64 v6, v1, 1, s[6:7]
	v_mov_b32_e32 v1, s18
	s_and_b64 vcc, vcc, s[4:5]
	v_mov_b32_e32 v4, s19
	v_cndmask_b32_e32 v1, v1, v2, vcc
	v_cndmask_b32_e32 v4, v4, v3, vcc
	v_cndmask_b32_e64 v5, v3, v4, s[6:7]
	v_cndmask_b32_e64 v4, v2, v1, s[6:7]
.LBB368_148:
	s_mov_b64 s[12:13], exec
.LBB368_149:
	s_or_b64 exec, exec, s[8:9]
	v_mov_b64_e32 v[2:3], s[2:3]
	s_and_b64 vcc, exec, s[28:29]
	s_cbranch_vccnz .LBB368_16
.LBB368_150:
	s_branch .LBB368_306
.LBB368_151:
	v_lshlrev_b32_e32 v4, 2, v0
	global_load_dword v12, v4, s[14:15] offset:1536
	global_load_dword v15, v4, s[16:17] offset:1536
	v_mov_b32_e32 v11, 0
	v_lshl_add_u64 v[4:5], s[28:29], 0, v[10:11]
	s_waitcnt vmcnt(0)
	v_cmp_neq_f32_e64 s[8:9], v12, v15
	s_nop 1
	v_cndmask_b32_e64 v12, 0, 1, s[8:9]
	s_or_b64 exec, exec, s[10:11]
	s_and_saveexec_b64 s[10:11], s[6:7]
	s_cbranch_execz .LBB368_60
.LBB368_152:
	v_and_b32_e32 v1, 1, v1
	v_cmp_eq_u32_e64 s[6:7], 1, v1
	v_and_b32_e32 v1, 1, v14
	v_cmp_eq_u32_e64 s[8:9], 1, v1
	s_and_b64 s[8:9], s[6:7], s[8:9]
	s_xor_b64 s[8:9], s[8:9], -1
                                        ; implicit-def: $vgpr1
	s_and_saveexec_b64 s[14:15], s[8:9]
	s_xor_b64 s[8:9], exec, s[14:15]
; %bb.153:
	v_and_b32_e32 v1, 0xffff, v14
	v_cndmask_b32_e64 v1, v1, 1, s[6:7]
	v_cndmask_b32_e64 v3, v9, v3, s[6:7]
	;; [unrolled: 1-line block ×3, first 2 shown]
                                        ; implicit-def: $vgpr8_vgpr9
; %bb.154:
	s_andn2_saveexec_b64 s[8:9], s[8:9]
; %bb.155:
	v_cmp_lt_i64_e64 s[6:7], v[8:9], v[2:3]
	v_mov_b32_e32 v1, 1
	s_nop 0
	v_cndmask_b32_e64 v3, v3, v9, s[6:7]
	v_cndmask_b32_e64 v2, v2, v8, s[6:7]
; %bb.156:
	s_or_b64 exec, exec, s[8:9]
	s_or_b64 exec, exec, s[10:11]
	s_and_saveexec_b64 s[8:9], s[4:5]
	s_cbranch_execz .LBB368_61
.LBB368_157:
	v_and_b32_e32 v1, 1, v1
	v_cmp_eq_u32_e64 s[4:5], 1, v1
	v_and_b32_e32 v1, 1, v13
	v_cmp_eq_u32_e64 s[6:7], 1, v1
	s_and_b64 s[6:7], s[4:5], s[6:7]
	s_xor_b64 s[6:7], s[6:7], -1
                                        ; implicit-def: $vgpr1
	s_and_saveexec_b64 s[10:11], s[6:7]
	s_xor_b64 s[6:7], exec, s[10:11]
; %bb.158:
	v_and_b32_e32 v1, 0xffff, v13
	v_cndmask_b32_e64 v1, v1, 1, s[4:5]
	v_cndmask_b32_e64 v3, v7, v3, s[4:5]
	;; [unrolled: 1-line block ×3, first 2 shown]
                                        ; implicit-def: $vgpr6_vgpr7
; %bb.159:
	s_andn2_saveexec_b64 s[6:7], s[6:7]
; %bb.160:
	v_cmp_lt_i64_e64 s[4:5], v[6:7], v[2:3]
	v_mov_b32_e32 v1, 1
	s_nop 0
	v_cndmask_b32_e64 v3, v3, v7, s[4:5]
	v_cndmask_b32_e64 v2, v2, v6, s[4:5]
; %bb.161:
	s_or_b64 exec, exec, s[6:7]
	s_or_b64 exec, exec, s[8:9]
	s_and_saveexec_b64 s[6:7], vcc
	s_cbranch_execz .LBB368_167
.LBB368_162:
	v_and_b32_e32 v1, 1, v1
	v_cmp_eq_u32_e32 vcc, 1, v1
	v_and_b32_e32 v1, 1, v12
	v_cmp_eq_u32_e64 s[4:5], 1, v1
	s_and_b64 s[4:5], vcc, s[4:5]
	s_xor_b64 s[4:5], s[4:5], -1
                                        ; implicit-def: $vgpr1
	s_and_saveexec_b64 s[8:9], s[4:5]
	s_xor_b64 s[4:5], exec, s[8:9]
; %bb.163:
	v_and_b32_e32 v1, 0xffff, v12
	v_cndmask_b32_e64 v1, v1, 1, vcc
	v_cndmask_b32_e32 v3, v5, v3, vcc
	v_cndmask_b32_e32 v2, v4, v2, vcc
                                        ; implicit-def: $vgpr4_vgpr5
; %bb.164:
	s_andn2_saveexec_b64 s[4:5], s[4:5]
; %bb.165:
	v_cmp_lt_i64_e32 vcc, v[4:5], v[2:3]
	v_mov_b32_e32 v1, 1
	s_nop 0
	v_cndmask_b32_e32 v3, v3, v5, vcc
	v_cndmask_b32_e32 v2, v2, v4, vcc
; %bb.166:
	s_or_b64 exec, exec, s[4:5]
.LBB368_167:
	s_or_b64 exec, exec, s[6:7]
	v_mbcnt_lo_u32_b32 v4, -1, 0
	v_mbcnt_hi_u32_b32 v6, -1, v4
	v_and_b32_e32 v7, 63, v6
	v_cmp_ne_u32_e32 vcc, 63, v7
	s_min_u32 s8, s30, 0x80
	v_and_b32_e32 v8, 64, v0
	v_addc_co_u32_e32 v4, vcc, 0, v6, vcc
	v_lshlrev_b32_e32 v5, 2, v4
	ds_bpermute_b32 v9, v5, v1
	ds_bpermute_b32 v4, v5, v2
	;; [unrolled: 1-line block ×3, first 2 shown]
	v_sub_u32_e64 v8, s8, v8 clamp
	v_add_u32_e32 v10, 1, v7
	v_cmp_lt_u32_e32 vcc, v10, v8
	s_and_saveexec_b64 s[4:5], vcc
	s_xor_b64 s[4:5], exec, s[4:5]
	s_cbranch_execz .LBB368_173
; %bb.168:
	s_waitcnt lgkmcnt(2)
	v_and_b32_e32 v10, v9, v1
	v_cmp_ne_u32_e32 vcc, 0, v10
	s_and_saveexec_b64 s[6:7], vcc
	s_xor_b64 s[6:7], exec, s[6:7]
	s_cbranch_execz .LBB368_170
; %bb.169:
	s_waitcnt lgkmcnt(0)
	v_cmp_lt_i64_e32 vcc, v[4:5], v[2:3]
                                        ; implicit-def: $vgpr1
                                        ; implicit-def: $vgpr9
	s_nop 1
	v_cndmask_b32_e32 v3, v3, v5, vcc
	v_cndmask_b32_e32 v2, v2, v4, vcc
                                        ; implicit-def: $vgpr4_vgpr5
.LBB368_170:
	s_or_saveexec_b64 s[6:7], s[6:7]
	v_mov_b32_e32 v10, 1
	s_xor_b64 exec, exec, s[6:7]
	s_cbranch_execz .LBB368_172
; %bb.171:
	v_and_b32_e32 v1, 1, v1
	v_cmp_eq_u32_e32 vcc, 1, v1
	v_and_b32_e32 v1, 0xff, v9
	s_waitcnt lgkmcnt(0)
	v_cndmask_b32_e32 v3, v5, v3, vcc
	v_cndmask_b32_e32 v2, v4, v2, vcc
	v_cndmask_b32_e64 v10, v1, 1, vcc
.LBB368_172:
	s_or_b64 exec, exec, s[6:7]
	v_mov_b32_e32 v1, v10
.LBB368_173:
	s_or_b64 exec, exec, s[4:5]
	v_cmp_gt_u32_e32 vcc, 62, v7
	v_add_u32_e32 v10, 2, v7
	s_waitcnt lgkmcnt(1)
	v_cndmask_b32_e64 v4, 0, 2, vcc
	s_waitcnt lgkmcnt(0)
	v_add_lshl_u32 v5, v4, v6, 2
	ds_bpermute_b32 v9, v5, v1
	ds_bpermute_b32 v4, v5, v2
	ds_bpermute_b32 v5, v5, v3
	v_cmp_lt_u32_e32 vcc, v10, v8
	s_and_saveexec_b64 s[4:5], vcc
	s_cbranch_execz .LBB368_179
; %bb.174:
	s_waitcnt lgkmcnt(2)
	v_and_b32_e32 v10, v1, v9
	v_and_b32_e32 v10, 1, v10
	v_cmp_eq_u32_e32 vcc, 1, v10
	s_and_saveexec_b64 s[6:7], vcc
	s_xor_b64 s[6:7], exec, s[6:7]
	s_cbranch_execz .LBB368_176
; %bb.175:
	s_waitcnt lgkmcnt(0)
	v_cmp_lt_i64_e32 vcc, v[4:5], v[2:3]
                                        ; implicit-def: $vgpr1
                                        ; implicit-def: $vgpr9
	s_nop 1
	v_cndmask_b32_e32 v3, v3, v5, vcc
	v_cndmask_b32_e32 v2, v2, v4, vcc
                                        ; implicit-def: $vgpr4_vgpr5
.LBB368_176:
	s_or_saveexec_b64 s[6:7], s[6:7]
	v_mov_b32_e32 v10, 1
	s_xor_b64 exec, exec, s[6:7]
	s_cbranch_execz .LBB368_178
; %bb.177:
	v_and_b32_e32 v1, 1, v1
	v_cmp_eq_u32_e32 vcc, 1, v1
	v_and_b32_e32 v1, 0xff, v9
	s_waitcnt lgkmcnt(0)
	v_cndmask_b32_e32 v3, v5, v3, vcc
	v_cndmask_b32_e32 v2, v4, v2, vcc
	v_cndmask_b32_e64 v10, v1, 1, vcc
.LBB368_178:
	s_or_b64 exec, exec, s[6:7]
	v_mov_b32_e32 v1, v10
.LBB368_179:
	s_or_b64 exec, exec, s[4:5]
	v_cmp_gt_u32_e32 vcc, 60, v7
	v_add_u32_e32 v10, 4, v7
	s_waitcnt lgkmcnt(1)
	v_cndmask_b32_e64 v4, 0, 4, vcc
	s_waitcnt lgkmcnt(0)
	v_add_lshl_u32 v5, v4, v6, 2
	ds_bpermute_b32 v9, v5, v1
	ds_bpermute_b32 v4, v5, v2
	ds_bpermute_b32 v5, v5, v3
	v_cmp_lt_u32_e32 vcc, v10, v8
	s_and_saveexec_b64 s[4:5], vcc
	s_cbranch_execz .LBB368_185
; %bb.180:
	s_waitcnt lgkmcnt(2)
	v_and_b32_e32 v10, v1, v9
	v_and_b32_e32 v10, 1, v10
	v_cmp_eq_u32_e32 vcc, 1, v10
	s_and_saveexec_b64 s[6:7], vcc
	s_xor_b64 s[6:7], exec, s[6:7]
	s_cbranch_execz .LBB368_182
; %bb.181:
	s_waitcnt lgkmcnt(0)
	v_cmp_lt_i64_e32 vcc, v[4:5], v[2:3]
                                        ; implicit-def: $vgpr1
                                        ; implicit-def: $vgpr9
	s_nop 1
	v_cndmask_b32_e32 v3, v3, v5, vcc
	v_cndmask_b32_e32 v2, v2, v4, vcc
                                        ; implicit-def: $vgpr4_vgpr5
.LBB368_182:
	s_or_saveexec_b64 s[6:7], s[6:7]
	v_mov_b32_e32 v10, 1
	s_xor_b64 exec, exec, s[6:7]
	s_cbranch_execz .LBB368_184
; %bb.183:
	v_and_b32_e32 v1, 1, v1
	v_cmp_eq_u32_e32 vcc, 1, v1
	v_and_b32_e32 v1, 0xff, v9
	s_waitcnt lgkmcnt(0)
	v_cndmask_b32_e32 v3, v5, v3, vcc
	v_cndmask_b32_e32 v2, v4, v2, vcc
	v_cndmask_b32_e64 v10, v1, 1, vcc
.LBB368_184:
	s_or_b64 exec, exec, s[6:7]
	v_mov_b32_e32 v1, v10
.LBB368_185:
	;; [unrolled: 47-line block ×4, first 2 shown]
	s_or_b64 exec, exec, s[4:5]
	s_waitcnt lgkmcnt(2)
	v_lshlrev_b32_e32 v9, 2, v6
	s_waitcnt lgkmcnt(0)
	v_or_b32_e32 v5, 0x80, v9
	ds_bpermute_b32 v10, v5, v1
	ds_bpermute_b32 v4, v5, v2
	;; [unrolled: 1-line block ×3, first 2 shown]
	v_add_u32_e32 v7, 32, v7
	v_cmp_lt_u32_e32 vcc, v7, v8
	v_mov_b32_e32 v7, v1
	s_and_saveexec_b64 s[4:5], vcc
	s_cbranch_execz .LBB368_203
; %bb.198:
	s_waitcnt lgkmcnt(2)
	v_and_b32_e32 v7, v1, v10
	v_and_b32_e32 v7, 1, v7
	v_cmp_eq_u32_e32 vcc, 1, v7
	s_and_saveexec_b64 s[6:7], vcc
	s_xor_b64 s[6:7], exec, s[6:7]
	s_cbranch_execz .LBB368_200
; %bb.199:
	s_waitcnt lgkmcnt(0)
	v_cmp_lt_i64_e32 vcc, v[4:5], v[2:3]
                                        ; implicit-def: $vgpr1
                                        ; implicit-def: $vgpr10
	s_nop 1
	v_cndmask_b32_e32 v3, v3, v5, vcc
	v_cndmask_b32_e32 v2, v2, v4, vcc
                                        ; implicit-def: $vgpr4_vgpr5
.LBB368_200:
	s_or_saveexec_b64 s[6:7], s[6:7]
	v_mov_b32_e32 v7, 1
	s_xor_b64 exec, exec, s[6:7]
	s_cbranch_execz .LBB368_202
; %bb.201:
	v_and_b32_e32 v1, 1, v1
	v_cmp_eq_u32_e32 vcc, 1, v1
	s_nop 1
	v_cndmask_b32_e64 v7, v10, 1, vcc
	s_waitcnt lgkmcnt(0)
	v_cndmask_b32_e32 v3, v5, v3, vcc
	v_cndmask_b32_e32 v2, v4, v2, vcc
.LBB368_202:
	s_or_b64 exec, exec, s[6:7]
	v_and_b32_e32 v1, 0xff, v7
.LBB368_203:
	s_or_b64 exec, exec, s[4:5]
	v_cmp_eq_u32_e32 vcc, 0, v6
	s_and_saveexec_b64 s[4:5], vcc
	s_cbranch_execz .LBB368_205
; %bb.204:
	s_waitcnt lgkmcnt(1)
	v_lshrrev_b32_e32 v4, 2, v0
	v_and_b32_e32 v4, 16, v4
	ds_write_b8 v4, v7 offset:128
	ds_write_b64 v4, v[2:3] offset:136
.LBB368_205:
	s_or_b64 exec, exec, s[4:5]
	v_cmp_gt_u32_e32 vcc, 2, v0
	s_waitcnt lgkmcnt(0)
	s_barrier
	s_and_saveexec_b64 s[4:5], vcc
	s_cbranch_execz .LBB368_213
; %bb.206:
	v_lshlrev_b32_e32 v1, 4, v6
	ds_read_u8 v7, v1 offset:128
	ds_read_b64 v[2:3], v1 offset:136
	v_or_b32_e32 v5, 4, v9
	s_add_i32 s8, s8, 63
	v_and_b32_e32 v6, 1, v6
	s_waitcnt lgkmcnt(1)
	v_and_b32_e32 v1, 0xff, v7
	s_waitcnt lgkmcnt(0)
	ds_bpermute_b32 v4, v5, v2
	ds_bpermute_b32 v8, v5, v1
	;; [unrolled: 1-line block ×3, first 2 shown]
	s_lshr_b32 s6, s8, 6
	v_add_u32_e32 v6, 1, v6
	v_cmp_gt_u32_e32 vcc, s6, v6
	s_and_saveexec_b64 s[6:7], vcc
	s_cbranch_execz .LBB368_212
; %bb.207:
	s_waitcnt lgkmcnt(1)
	v_and_b32_e32 v1, v1, v8
	v_and_b32_e32 v1, 1, v1
	v_cmp_eq_u32_e32 vcc, 1, v1
	s_and_saveexec_b64 s[8:9], vcc
	s_xor_b64 s[8:9], exec, s[8:9]
	s_cbranch_execz .LBB368_209
; %bb.208:
	s_waitcnt lgkmcnt(0)
	v_cmp_lt_i64_e32 vcc, v[4:5], v[2:3]
                                        ; implicit-def: $vgpr7
                                        ; implicit-def: $vgpr8
	s_nop 1
	v_cndmask_b32_e32 v3, v3, v5, vcc
	v_cndmask_b32_e32 v2, v2, v4, vcc
                                        ; implicit-def: $vgpr4_vgpr5
.LBB368_209:
	s_or_saveexec_b64 s[8:9], s[8:9]
	v_mov_b32_e32 v1, 1
	s_xor_b64 exec, exec, s[8:9]
	s_cbranch_execz .LBB368_211
; %bb.210:
	v_and_b32_e32 v1, 1, v7
	v_cmp_eq_u32_e32 vcc, 1, v1
	s_waitcnt lgkmcnt(0)
	s_nop 0
	v_cndmask_b32_e32 v3, v5, v3, vcc
	v_cndmask_b32_e32 v2, v4, v2, vcc
	v_cndmask_b32_e64 v1, v8, 1, vcc
.LBB368_211:
	s_or_b64 exec, exec, s[8:9]
.LBB368_212:
	s_or_b64 exec, exec, s[6:7]
.LBB368_213:
	s_or_b64 exec, exec, s[4:5]
.LBB368_214:
	v_cmp_eq_u32_e32 vcc, 0, v0
                                        ; implicit-def: $vgpr4_vgpr5
                                        ; implicit-def: $vgpr6
	s_and_saveexec_b64 s[4:5], vcc
	s_xor_b64 s[8:9], exec, s[4:5]
	s_cbranch_execz .LBB368_218
; %bb.215:
	s_cmp_eq_u64 s[22:23], 0
	s_waitcnt lgkmcnt(0)
	v_mov_b64_e32 v[4:5], s[18:19]
	v_mov_b32_e32 v6, s33
	s_cbranch_scc1 .LBB368_217
; %bb.216:
	s_bitcmp1_b32 s33, 0
	v_and_b32_e32 v4, 1, v1
	v_cmp_eq_u32_e32 vcc, 1, v4
	v_cmp_gt_i64_e64 s[4:5], s[18:19], v[2:3]
	s_cselect_b64 s[6:7], -1, 0
	v_cndmask_b32_e64 v6, v1, 1, s[6:7]
	v_mov_b32_e32 v1, s18
	s_and_b64 vcc, vcc, s[4:5]
	v_mov_b32_e32 v4, s19
	v_cndmask_b32_e32 v1, v1, v2, vcc
	v_cndmask_b32_e32 v4, v4, v3, vcc
	v_cndmask_b32_e64 v5, v3, v4, s[6:7]
	v_cndmask_b32_e64 v4, v2, v1, s[6:7]
.LBB368_217:
	s_or_b64 s[12:13], s[12:13], exec
.LBB368_218:
	s_or_b64 exec, exec, s[8:9]
	v_mov_b64_e32 v[2:3], s[2:3]
	s_branch .LBB368_306
.LBB368_219:
	s_cmp_gt_i32 s40, 1
	s_cbranch_scc0 .LBB368_231
; %bb.220:
	s_cmp_eq_u32 s40, 2
	s_cbranch_scc0 .LBB368_232
; %bb.221:
	s_mov_b32 s3, 0
	s_lshl_b32 s30, s2, 8
	s_mov_b32 s31, s3
	s_lshr_b64 s[4:5], s[22:23], 8
	s_lshl_b64 s[6:7], s[30:31], 2
	s_add_u32 s14, s24, s6
	s_addc_u32 s15, s25, s7
	s_add_u32 s16, s26, s6
	s_addc_u32 s17, s27, s7
	;; [unrolled: 2-line block ×3, first 2 shown]
	s_cmp_lg_u64 s[4:5], s[2:3]
	s_cbranch_scc0 .LBB368_233
; %bb.222:
	v_lshlrev_b32_e32 v1, 2, v0
	s_waitcnt lgkmcnt(0)
	global_load_dword v7, v1, s[16:17]
	global_load_dword v8, v1, s[16:17] offset:512
	global_load_dword v9, v1, s[14:15] offset:512
	global_load_dword v10, v1, s[14:15]
	v_mov_b32_e32 v1, 0
	s_mov_b64 s[4:5], 0x80
	v_mbcnt_lo_u32_b32 v4, -1, 0
	v_lshl_add_u64 v[2:3], s[28:29], 0, v[0:1]
	v_mbcnt_hi_u32_b32 v1, -1, v4
	v_lshl_add_u64 v[4:5], v[2:3], 0, s[4:5]
	v_lshlrev_b32_e32 v6, 2, v1
	v_or_b32_e32 v11, 0xfc, v6
	s_waitcnt vmcnt(1)
	v_cmp_neq_f32_e32 vcc, v9, v8
	s_waitcnt vmcnt(0)
	v_cmp_neq_f32_e64 s[4:5], v10, v7
	s_nop 1
	v_cndmask_b32_e64 v3, v5, v3, s[4:5]
	v_cndmask_b32_e64 v2, v4, v2, s[4:5]
	s_or_b64 s[4:5], s[4:5], vcc
	v_cndmask_b32_e64 v7, 0, 1, s[4:5]
	v_mov_b32_dpp v5, v3 quad_perm:[1,0,3,2] row_mask:0xf bank_mask:0xf bound_ctrl:1
	v_mov_b32_dpp v4, v2 quad_perm:[1,0,3,2] row_mask:0xf bank_mask:0xf bound_ctrl:1
	;; [unrolled: 1-line block ×3, first 2 shown]
	v_cmp_lt_i64_e32 vcc, v[2:3], v[4:5]
	v_and_b32_e32 v8, 1, v8
	s_and_b64 vcc, s[4:5], vcc
	v_cndmask_b32_e32 v4, v4, v2, vcc
	v_cndmask_b32_e32 v5, v5, v3, vcc
	v_cmp_eq_u32_e32 vcc, 1, v8
	s_nop 1
	v_cndmask_b32_e32 v3, v3, v5, vcc
	v_cndmask_b32_e32 v2, v2, v4, vcc
	v_cndmask_b32_e64 v7, v7, 1, vcc
	v_mov_b32_dpp v5, v3 quad_perm:[2,3,0,1] row_mask:0xf bank_mask:0xf bound_ctrl:1
	v_mov_b32_dpp v4, v2 quad_perm:[2,3,0,1] row_mask:0xf bank_mask:0xf bound_ctrl:1
	v_and_b32_e32 v9, 1, v7
	v_mov_b32_dpp v8, v7 quad_perm:[2,3,0,1] row_mask:0xf bank_mask:0xf bound_ctrl:1
	v_cmp_eq_u32_e32 vcc, 1, v9
	v_cmp_lt_i64_e64 s[4:5], v[2:3], v[4:5]
	v_and_b32_e32 v8, 1, v8
	s_and_b64 vcc, vcc, s[4:5]
	v_cmp_eq_u32_e64 s[6:7], 1, v8
	v_cndmask_b32_e32 v4, v4, v2, vcc
	v_cndmask_b32_e32 v5, v5, v3, vcc
	v_cndmask_b32_e64 v7, v7, 1, s[6:7]
	v_cndmask_b32_e64 v2, v2, v4, s[6:7]
	v_cndmask_b32_e64 v3, v3, v5, s[6:7]
	v_and_b32_e32 v9, 1, v7
	v_mov_b32_dpp v4, v2 row_ror:4 row_mask:0xf bank_mask:0xf bound_ctrl:1
	v_mov_b32_dpp v5, v3 row_ror:4 row_mask:0xf bank_mask:0xf bound_ctrl:1
	v_mov_b32_dpp v8, v7 row_ror:4 row_mask:0xf bank_mask:0xf bound_ctrl:1
	v_cmp_eq_u32_e32 vcc, 1, v9
	v_cmp_lt_i64_e64 s[6:7], v[2:3], v[4:5]
	v_and_b32_e32 v8, 1, v8
	s_and_b64 vcc, vcc, s[6:7]
	v_cmp_eq_u32_e64 s[4:5], 1, v8
	v_cndmask_b32_e32 v4, v4, v2, vcc
	v_cndmask_b32_e32 v5, v5, v3, vcc
	v_cndmask_b32_e64 v7, v7, 1, s[4:5]
	v_cndmask_b32_e64 v2, v2, v4, s[4:5]
	;; [unrolled: 1-line block ×3, first 2 shown]
	v_and_b32_e32 v9, 1, v7
	v_mov_b32_dpp v4, v2 row_ror:8 row_mask:0xf bank_mask:0xf bound_ctrl:1
	v_mov_b32_dpp v5, v3 row_ror:8 row_mask:0xf bank_mask:0xf bound_ctrl:1
	;; [unrolled: 1-line block ×3, first 2 shown]
	v_cmp_eq_u32_e64 s[6:7], 1, v9
	v_cmp_lt_i64_e64 s[8:9], v[2:3], v[4:5]
	v_and_b32_e32 v8, 1, v8
	s_and_b64 s[6:7], s[6:7], s[8:9]
	v_cmp_eq_u32_e32 vcc, 1, v8
	v_cndmask_b32_e64 v4, v4, v2, s[6:7]
	v_cndmask_b32_e64 v5, v5, v3, s[6:7]
	v_cndmask_b32_e64 v7, v7, 1, vcc
	v_cndmask_b32_e32 v2, v2, v4, vcc
	v_cndmask_b32_e32 v3, v3, v5, vcc
	v_and_b32_e32 v9, 1, v7
	v_mov_b32_dpp v4, v2 row_bcast:15 row_mask:0xf bank_mask:0xf bound_ctrl:1
	v_mov_b32_dpp v5, v3 row_bcast:15 row_mask:0xf bank_mask:0xf bound_ctrl:1
	;; [unrolled: 1-line block ×3, first 2 shown]
	v_cmp_eq_u32_e64 s[4:5], 1, v9
	v_cmp_lt_i64_e64 s[8:9], v[2:3], v[4:5]
	v_and_b32_e32 v8, 1, v8
	s_and_b64 s[4:5], s[4:5], s[8:9]
	v_cmp_eq_u32_e64 s[10:11], 1, v8
	v_cndmask_b32_e64 v4, v4, v2, s[4:5]
	v_cndmask_b32_e64 v5, v5, v3, s[4:5]
	;; [unrolled: 1-line block ×5, first 2 shown]
	v_and_b32_e32 v9, 1, v7
	v_mov_b32_dpp v4, v2 row_bcast:31 row_mask:0xf bank_mask:0xf bound_ctrl:1
	v_mov_b32_dpp v5, v3 row_bcast:31 row_mask:0xf bank_mask:0xf bound_ctrl:1
	;; [unrolled: 1-line block ×3, first 2 shown]
	v_cmp_eq_u32_e64 s[6:7], 1, v9
	v_cmp_lt_i64_e64 s[4:5], v[2:3], v[4:5]
	v_and_b32_e32 v8, 1, v8
	s_and_b64 s[4:5], s[6:7], s[4:5]
	v_cmp_eq_u32_e32 vcc, 1, v8
	v_cndmask_b32_e64 v4, v4, v2, s[4:5]
	v_cndmask_b32_e64 v5, v5, v3, s[4:5]
	v_cndmask_b32_e64 v7, v7, 1, vcc
	v_cndmask_b32_e32 v2, v2, v4, vcc
	v_cndmask_b32_e32 v3, v3, v5, vcc
	ds_bpermute_b32 v8, v11, v7
	ds_bpermute_b32 v2, v11, v2
	;; [unrolled: 1-line block ×3, first 2 shown]
	v_cmp_eq_u32_e32 vcc, 0, v1
	s_and_saveexec_b64 s[4:5], vcc
	s_cbranch_execz .LBB368_224
; %bb.223:
	v_lshrrev_b32_e32 v4, 2, v0
	v_and_b32_e32 v4, 16, v4
	s_waitcnt lgkmcnt(2)
	ds_write_b8 v4, v8 offset:32
	s_waitcnt lgkmcnt(1)
	ds_write_b64 v4, v[2:3] offset:40
.LBB368_224:
	s_or_b64 exec, exec, s[4:5]
	v_cmp_gt_u32_e32 vcc, 64, v0
	s_waitcnt lgkmcnt(0)
	s_barrier
	s_and_saveexec_b64 s[4:5], vcc
	s_cbranch_execz .LBB368_230
; %bb.225:
	v_and_b32_e32 v1, 1, v1
	v_lshlrev_b32_e32 v2, 4, v1
	ds_read_u8 v1, v2 offset:32
	ds_read_b64 v[4:5], v2 offset:40
	v_or_b32_e32 v3, 4, v6
	s_waitcnt lgkmcnt(1)
	v_and_b32_e32 v2, 0xff, v1
	ds_bpermute_b32 v9, v3, v2
	s_waitcnt lgkmcnt(1)
	ds_bpermute_b32 v6, v3, v4
	ds_bpermute_b32 v7, v3, v5
	s_waitcnt lgkmcnt(2)
	v_and_b32_e32 v2, v1, v9
	v_and_b32_e32 v2, 1, v2
	v_cmp_eq_u32_e32 vcc, 1, v2
                                        ; implicit-def: $vgpr2_vgpr3
	s_and_saveexec_b64 s[6:7], vcc
	s_xor_b64 s[6:7], exec, s[6:7]
	s_cbranch_execz .LBB368_227
; %bb.226:
	s_waitcnt lgkmcnt(0)
	v_cmp_lt_i64_e32 vcc, v[6:7], v[4:5]
                                        ; implicit-def: $vgpr1
                                        ; implicit-def: $vgpr9
	s_nop 1
	v_cndmask_b32_e32 v3, v5, v7, vcc
	v_cndmask_b32_e32 v2, v4, v6, vcc
                                        ; implicit-def: $vgpr6_vgpr7
                                        ; implicit-def: $vgpr4_vgpr5
.LBB368_227:
	s_or_saveexec_b64 s[6:7], s[6:7]
	v_mov_b32_e32 v8, 1
	s_xor_b64 exec, exec, s[6:7]
	s_cbranch_execz .LBB368_229
; %bb.228:
	v_and_b32_e32 v1, 1, v1
	v_cmp_eq_u32_e32 vcc, 1, v1
	s_waitcnt lgkmcnt(0)
	s_nop 0
	v_cndmask_b32_e32 v3, v7, v5, vcc
	v_cndmask_b32_e32 v2, v6, v4, vcc
	v_cndmask_b32_e64 v8, v9, 1, vcc
.LBB368_229:
	s_or_b64 exec, exec, s[6:7]
.LBB368_230:
	s_or_b64 exec, exec, s[4:5]
	s_branch .LBB368_285
.LBB368_231:
                                        ; implicit-def: $vgpr4_vgpr5
                                        ; implicit-def: $vgpr6
                                        ; implicit-def: $vgpr2_vgpr3
	s_cbranch_execnz .LBB368_290
	s_branch .LBB368_306
.LBB368_232:
                                        ; implicit-def: $vgpr4_vgpr5
                                        ; implicit-def: $vgpr6
                                        ; implicit-def: $vgpr2_vgpr3
	s_branch .LBB368_306
.LBB368_233:
                                        ; implicit-def: $vgpr2_vgpr3
                                        ; implicit-def: $vgpr8
	s_cbranch_execz .LBB368_285
; %bb.234:
	s_sub_i32 s10, s22, s30
	v_cmp_gt_u32_e32 vcc, s10, v0
	s_waitcnt lgkmcnt(0)
	v_mov_b32_e32 v7, 0
	v_mov_b64_e32 v[4:5], 0
	v_mov_b64_e32 v[2:3], 0
	v_mov_b32_e32 v1, 0
	s_and_saveexec_b64 s[4:5], vcc
	s_cbranch_execz .LBB368_236
; %bb.235:
	v_lshlrev_b32_e32 v1, 2, v0
	global_load_dword v6, v1, s[14:15]
	global_load_dword v8, v1, s[16:17]
	v_mov_b32_e32 v1, 0
	v_lshl_add_u64 v[2:3], s[28:29], 0, v[0:1]
	s_waitcnt vmcnt(0)
	v_cmp_neq_f32_e32 vcc, v6, v8
	s_nop 1
	v_cndmask_b32_e64 v1, 0, 1, vcc
.LBB368_236:
	s_or_b64 exec, exec, s[4:5]
	v_or_b32_e32 v6, 0x80, v0
	v_cmp_gt_u32_e32 vcc, s10, v6
	s_and_saveexec_b64 s[6:7], vcc
	s_cbranch_execz .LBB368_238
; %bb.237:
	v_lshlrev_b32_e32 v4, 2, v0
	global_load_dword v8, v4, s[14:15] offset:512
	global_load_dword v9, v4, s[16:17] offset:512
	v_mov_b32_e32 v7, 0
	v_lshl_add_u64 v[4:5], s[28:29], 0, v[6:7]
	s_waitcnt vmcnt(0)
	v_cmp_neq_f32_e64 s[4:5], v8, v9
	s_nop 1
	v_cndmask_b32_e64 v7, 0, 1, s[4:5]
.LBB368_238:
	s_or_b64 exec, exec, s[6:7]
	v_and_b32_e32 v8, 0xffff, v7
	v_and_b32_e32 v7, 1, v7
	v_and_b32_e32 v6, 0xffff, v1
	v_cmp_eq_u32_e64 s[4:5], 1, v7
	v_and_b32_e32 v1, 1, v1
	v_cmp_lt_i64_e64 s[6:7], v[4:5], v[2:3]
	v_cmp_eq_u32_e64 s[8:9], 1, v1
	s_and_b64 s[4:5], s[4:5], s[6:7]
	v_cndmask_b32_e64 v7, v3, v5, s[4:5]
	v_cndmask_b32_e64 v1, v8, 1, s[8:9]
	;; [unrolled: 1-line block ×4, first 2 shown]
	v_cndmask_b32_e32 v8, v6, v1, vcc
	v_mbcnt_lo_u32_b32 v1, -1, 0
	v_mbcnt_hi_u32_b32 v1, -1, v1
	v_cndmask_b32_e64 v5, v5, v7, s[8:9]
	v_and_b32_e32 v6, 63, v1
	v_cndmask_b32_e32 v3, v3, v5, vcc
	v_cndmask_b32_e32 v2, v2, v4, vcc
	v_cmp_ne_u32_e32 vcc, 63, v6
	s_min_u32 s8, s10, 0x80
	v_and_b32_e32 v7, 64, v0
	v_addc_co_u32_e32 v4, vcc, 0, v1, vcc
	v_lshlrev_b32_e32 v5, 2, v4
	ds_bpermute_b32 v9, v5, v8
	ds_bpermute_b32 v4, v5, v2
	;; [unrolled: 1-line block ×3, first 2 shown]
	v_sub_u32_e64 v7, s8, v7 clamp
	v_add_u32_e32 v10, 1, v6
	v_cmp_lt_u32_e32 vcc, v10, v7
	s_and_saveexec_b64 s[4:5], vcc
	s_cbranch_execz .LBB368_244
; %bb.239:
	s_waitcnt lgkmcnt(2)
	v_and_b32_e32 v10, v9, v8
	v_cmp_ne_u32_e32 vcc, 0, v10
	s_and_saveexec_b64 s[6:7], vcc
	s_xor_b64 s[6:7], exec, s[6:7]
	s_cbranch_execz .LBB368_241
; %bb.240:
	s_waitcnt lgkmcnt(0)
	v_cmp_lt_i64_e32 vcc, v[4:5], v[2:3]
                                        ; implicit-def: $vgpr8
                                        ; implicit-def: $vgpr9
	s_nop 1
	v_cndmask_b32_e32 v3, v3, v5, vcc
	v_cndmask_b32_e32 v2, v2, v4, vcc
                                        ; implicit-def: $vgpr4_vgpr5
.LBB368_241:
	s_or_saveexec_b64 s[6:7], s[6:7]
	v_mov_b32_e32 v10, 1
	s_xor_b64 exec, exec, s[6:7]
	s_cbranch_execz .LBB368_243
; %bb.242:
	v_and_b32_e32 v8, 1, v8
	v_cmp_eq_u32_e32 vcc, 1, v8
	s_waitcnt lgkmcnt(1)
	s_nop 0
	v_cndmask_b32_e32 v2, v4, v2, vcc
	v_and_b32_e32 v4, 0xff, v9
	s_waitcnt lgkmcnt(0)
	v_cndmask_b32_e32 v3, v5, v3, vcc
	v_cndmask_b32_e64 v10, v4, 1, vcc
.LBB368_243:
	s_or_b64 exec, exec, s[6:7]
	v_mov_b32_e32 v8, v10
.LBB368_244:
	s_or_b64 exec, exec, s[4:5]
	v_cmp_gt_u32_e32 vcc, 62, v6
	v_add_u32_e32 v10, 2, v6
	s_waitcnt lgkmcnt(1)
	v_cndmask_b32_e64 v4, 0, 2, vcc
	s_waitcnt lgkmcnt(0)
	v_add_lshl_u32 v5, v4, v1, 2
	ds_bpermute_b32 v9, v5, v8
	ds_bpermute_b32 v4, v5, v2
	ds_bpermute_b32 v5, v5, v3
	v_cmp_lt_u32_e32 vcc, v10, v7
	s_and_saveexec_b64 s[4:5], vcc
	s_cbranch_execz .LBB368_250
; %bb.245:
	s_waitcnt lgkmcnt(2)
	v_and_b32_e32 v10, v8, v9
	v_and_b32_e32 v10, 1, v10
	v_cmp_eq_u32_e32 vcc, 1, v10
	s_and_saveexec_b64 s[6:7], vcc
	s_xor_b64 s[6:7], exec, s[6:7]
	s_cbranch_execz .LBB368_247
; %bb.246:
	s_waitcnt lgkmcnt(0)
	v_cmp_lt_i64_e32 vcc, v[4:5], v[2:3]
                                        ; implicit-def: $vgpr8
                                        ; implicit-def: $vgpr9
	s_nop 1
	v_cndmask_b32_e32 v3, v3, v5, vcc
	v_cndmask_b32_e32 v2, v2, v4, vcc
                                        ; implicit-def: $vgpr4_vgpr5
.LBB368_247:
	s_or_saveexec_b64 s[6:7], s[6:7]
	v_mov_b32_e32 v10, 1
	s_xor_b64 exec, exec, s[6:7]
	s_cbranch_execz .LBB368_249
; %bb.248:
	v_and_b32_e32 v8, 1, v8
	v_cmp_eq_u32_e32 vcc, 1, v8
	s_waitcnt lgkmcnt(1)
	s_nop 0
	v_cndmask_b32_e32 v2, v4, v2, vcc
	v_and_b32_e32 v4, 0xff, v9
	s_waitcnt lgkmcnt(0)
	v_cndmask_b32_e32 v3, v5, v3, vcc
	v_cndmask_b32_e64 v10, v4, 1, vcc
.LBB368_249:
	s_or_b64 exec, exec, s[6:7]
	v_mov_b32_e32 v8, v10
.LBB368_250:
	s_or_b64 exec, exec, s[4:5]
	v_cmp_gt_u32_e32 vcc, 60, v6
	v_add_u32_e32 v10, 4, v6
	s_waitcnt lgkmcnt(1)
	v_cndmask_b32_e64 v4, 0, 4, vcc
	s_waitcnt lgkmcnt(0)
	v_add_lshl_u32 v5, v4, v1, 2
	ds_bpermute_b32 v9, v5, v8
	ds_bpermute_b32 v4, v5, v2
	ds_bpermute_b32 v5, v5, v3
	v_cmp_lt_u32_e32 vcc, v10, v7
	s_and_saveexec_b64 s[4:5], vcc
	s_cbranch_execz .LBB368_256
; %bb.251:
	s_waitcnt lgkmcnt(2)
	v_and_b32_e32 v10, v8, v9
	v_and_b32_e32 v10, 1, v10
	v_cmp_eq_u32_e32 vcc, 1, v10
	s_and_saveexec_b64 s[6:7], vcc
	s_xor_b64 s[6:7], exec, s[6:7]
	s_cbranch_execz .LBB368_253
; %bb.252:
	s_waitcnt lgkmcnt(0)
	v_cmp_lt_i64_e32 vcc, v[4:5], v[2:3]
                                        ; implicit-def: $vgpr8
                                        ; implicit-def: $vgpr9
	s_nop 1
	v_cndmask_b32_e32 v3, v3, v5, vcc
	v_cndmask_b32_e32 v2, v2, v4, vcc
                                        ; implicit-def: $vgpr4_vgpr5
.LBB368_253:
	s_or_saveexec_b64 s[6:7], s[6:7]
	v_mov_b32_e32 v10, 1
	s_xor_b64 exec, exec, s[6:7]
	s_cbranch_execz .LBB368_255
; %bb.254:
	v_and_b32_e32 v8, 1, v8
	v_cmp_eq_u32_e32 vcc, 1, v8
	s_waitcnt lgkmcnt(1)
	s_nop 0
	v_cndmask_b32_e32 v2, v4, v2, vcc
	v_and_b32_e32 v4, 0xff, v9
	s_waitcnt lgkmcnt(0)
	v_cndmask_b32_e32 v3, v5, v3, vcc
	v_cndmask_b32_e64 v10, v4, 1, vcc
.LBB368_255:
	s_or_b64 exec, exec, s[6:7]
	v_mov_b32_e32 v8, v10
.LBB368_256:
	;; [unrolled: 49-line block ×4, first 2 shown]
	s_or_b64 exec, exec, s[4:5]
	s_waitcnt lgkmcnt(2)
	v_lshlrev_b32_e32 v9, 2, v1
	s_waitcnt lgkmcnt(0)
	v_or_b32_e32 v5, 0x80, v9
	ds_bpermute_b32 v10, v5, v8
	ds_bpermute_b32 v4, v5, v2
	;; [unrolled: 1-line block ×3, first 2 shown]
	v_add_u32_e32 v6, 32, v6
	v_cmp_lt_u32_e32 vcc, v6, v7
	v_mov_b32_e32 v6, v8
	s_and_saveexec_b64 s[4:5], vcc
	s_cbranch_execz .LBB368_274
; %bb.269:
	s_waitcnt lgkmcnt(2)
	v_and_b32_e32 v6, v8, v10
	v_and_b32_e32 v6, 1, v6
	v_cmp_eq_u32_e32 vcc, 1, v6
	s_and_saveexec_b64 s[6:7], vcc
	s_xor_b64 s[6:7], exec, s[6:7]
	s_cbranch_execz .LBB368_271
; %bb.270:
	s_waitcnt lgkmcnt(0)
	v_cmp_lt_i64_e32 vcc, v[4:5], v[2:3]
                                        ; implicit-def: $vgpr8
                                        ; implicit-def: $vgpr10
	s_nop 1
	v_cndmask_b32_e32 v3, v3, v5, vcc
	v_cndmask_b32_e32 v2, v2, v4, vcc
                                        ; implicit-def: $vgpr4_vgpr5
.LBB368_271:
	s_or_saveexec_b64 s[6:7], s[6:7]
	v_mov_b32_e32 v6, 1
	s_xor_b64 exec, exec, s[6:7]
	s_cbranch_execz .LBB368_273
; %bb.272:
	v_and_b32_e32 v6, 1, v8
	v_cmp_eq_u32_e32 vcc, 1, v6
	s_nop 1
	v_cndmask_b32_e64 v6, v10, 1, vcc
	s_waitcnt lgkmcnt(0)
	v_cndmask_b32_e32 v3, v5, v3, vcc
	v_cndmask_b32_e32 v2, v4, v2, vcc
.LBB368_273:
	s_or_b64 exec, exec, s[6:7]
	v_and_b32_e32 v8, 0xff, v6
.LBB368_274:
	s_or_b64 exec, exec, s[4:5]
	v_cmp_eq_u32_e32 vcc, 0, v1
	s_and_saveexec_b64 s[4:5], vcc
	s_cbranch_execz .LBB368_276
; %bb.275:
	s_waitcnt lgkmcnt(1)
	v_lshrrev_b32_e32 v4, 2, v0
	v_and_b32_e32 v4, 16, v4
	ds_write_b8 v4, v6 offset:128
	ds_write_b64 v4, v[2:3] offset:136
.LBB368_276:
	s_or_b64 exec, exec, s[4:5]
	v_cmp_gt_u32_e32 vcc, 2, v0
	s_waitcnt lgkmcnt(0)
	s_barrier
	s_and_saveexec_b64 s[4:5], vcc
	s_cbranch_execz .LBB368_284
; %bb.277:
	v_lshlrev_b32_e32 v2, 4, v1
	ds_read_u8 v6, v2 offset:128
	ds_read_b64 v[2:3], v2 offset:136
	v_or_b32_e32 v5, 4, v9
	s_add_i32 s8, s8, 63
	v_and_b32_e32 v1, 1, v1
	s_waitcnt lgkmcnt(1)
	v_and_b32_e32 v8, 0xff, v6
	s_waitcnt lgkmcnt(0)
	ds_bpermute_b32 v4, v5, v2
	ds_bpermute_b32 v7, v5, v8
	ds_bpermute_b32 v5, v5, v3
	s_lshr_b32 s6, s8, 6
	v_add_u32_e32 v1, 1, v1
	v_cmp_gt_u32_e32 vcc, s6, v1
	s_and_saveexec_b64 s[6:7], vcc
	s_cbranch_execz .LBB368_283
; %bb.278:
	s_waitcnt lgkmcnt(1)
	v_and_b32_e32 v1, v8, v7
	v_and_b32_e32 v1, 1, v1
	v_cmp_eq_u32_e32 vcc, 1, v1
	s_and_saveexec_b64 s[8:9], vcc
	s_xor_b64 s[8:9], exec, s[8:9]
	s_cbranch_execz .LBB368_280
; %bb.279:
	s_waitcnt lgkmcnt(0)
	v_cmp_lt_i64_e32 vcc, v[4:5], v[2:3]
                                        ; implicit-def: $vgpr6
                                        ; implicit-def: $vgpr7
	s_nop 1
	v_cndmask_b32_e32 v3, v3, v5, vcc
	v_cndmask_b32_e32 v2, v2, v4, vcc
                                        ; implicit-def: $vgpr4_vgpr5
.LBB368_280:
	s_or_saveexec_b64 s[8:9], s[8:9]
	v_mov_b32_e32 v8, 1
	s_xor_b64 exec, exec, s[8:9]
	s_cbranch_execz .LBB368_282
; %bb.281:
	v_and_b32_e32 v1, 1, v6
	v_cmp_eq_u32_e32 vcc, 1, v1
	s_waitcnt lgkmcnt(0)
	s_nop 0
	v_cndmask_b32_e32 v3, v5, v3, vcc
	v_cndmask_b32_e32 v2, v4, v2, vcc
	v_cndmask_b32_e64 v8, v7, 1, vcc
.LBB368_282:
	s_or_b64 exec, exec, s[8:9]
.LBB368_283:
	s_or_b64 exec, exec, s[6:7]
.LBB368_284:
	s_or_b64 exec, exec, s[4:5]
.LBB368_285:
	v_cmp_eq_u32_e32 vcc, 0, v0
                                        ; implicit-def: $vgpr4_vgpr5
                                        ; implicit-def: $vgpr6
	s_and_saveexec_b64 s[4:5], vcc
	s_xor_b64 s[8:9], exec, s[4:5]
	s_cbranch_execz .LBB368_289
; %bb.286:
	s_cmp_eq_u64 s[22:23], 0
	s_waitcnt lgkmcnt(0)
	v_mov_b64_e32 v[4:5], s[18:19]
	v_mov_b32_e32 v6, s33
	s_cbranch_scc1 .LBB368_288
; %bb.287:
	v_and_b32_e32 v1, 1, v8
	s_bitcmp1_b32 s33, 0
	v_cmp_eq_u32_e32 vcc, 1, v1
	v_cmp_gt_i64_e64 s[4:5], s[18:19], v[2:3]
	s_cselect_b64 s[6:7], -1, 0
	v_mov_b32_e32 v1, s18
	s_and_b64 vcc, vcc, s[4:5]
	v_mov_b32_e32 v4, s19
	v_cndmask_b32_e32 v1, v1, v2, vcc
	v_cndmask_b32_e32 v4, v4, v3, vcc
	v_cndmask_b32_e64 v6, v8, 1, s[6:7]
	v_cndmask_b32_e64 v5, v3, v4, s[6:7]
	;; [unrolled: 1-line block ×3, first 2 shown]
.LBB368_288:
	s_or_b64 s[12:13], s[12:13], exec
.LBB368_289:
	s_or_b64 exec, exec, s[8:9]
	v_mov_b64_e32 v[2:3], s[2:3]
	s_branch .LBB368_306
.LBB368_290:
	s_cmp_eq_u32 s40, 1
	s_cbranch_scc0 .LBB368_305
; %bb.291:
	s_mov_b32 s9, 0
	s_lshl_b32 s8, s2, 7
	s_mov_b32 s3, s9
	s_lshr_b64 s[4:5], s[22:23], 7
	s_cmp_lg_u64 s[4:5], s[2:3]
	s_cbranch_scc0 .LBB368_309
; %bb.292:
	s_lshl_b64 s[4:5], s[8:9], 2
	s_add_u32 s6, s24, s4
	s_addc_u32 s7, s25, s5
	s_add_u32 s4, s26, s4
	v_lshlrev_b32_e32 v1, 2, v0
	s_addc_u32 s5, s27, s5
	s_waitcnt lgkmcnt(1)
	global_load_dword v6, v1, s[6:7]
	s_waitcnt lgkmcnt(0)
	global_load_dword v7, v1, s[4:5]
	s_add_u32 s4, s20, s8
	v_mov_b32_e32 v1, 0
	s_addc_u32 s5, s21, 0
	v_lshl_add_u64 v[2:3], s[4:5], 0, v[0:1]
                                        ; implicit-def: $vgpr8
	s_waitcnt vmcnt(0)
	v_cmp_neq_f32_e64 s[4:5], v6, v7
	v_mov_b32_dpp v4, v2 quad_perm:[1,0,3,2] row_mask:0xf bank_mask:0xf bound_ctrl:1
	v_mov_b32_dpp v5, v3 quad_perm:[1,0,3,2] row_mask:0xf bank_mask:0xf bound_ctrl:1
	v_cndmask_b32_e64 v1, 0, 1, s[4:5]
	v_cmp_lt_i64_e32 vcc, v[2:3], v[4:5]
	s_and_b64 vcc, s[4:5], vcc
	v_mov_b32_dpp v1, v1 quad_perm:[1,0,3,2] row_mask:0xf bank_mask:0xf bound_ctrl:1
	v_and_b32_e32 v1, 1, v1
	v_cndmask_b32_e32 v4, v4, v2, vcc
	v_cndmask_b32_e32 v5, v5, v3, vcc
	v_cmp_eq_u32_e32 vcc, 1, v1
	s_or_b64 s[4:5], vcc, s[4:5]
	v_cndmask_b32_e64 v1, 0, 1, s[4:5]
	v_cndmask_b32_e32 v5, v3, v5, vcc
	v_cndmask_b32_e32 v4, v2, v4, vcc
	v_mov_b32_dpp v1, v1 quad_perm:[2,3,0,1] row_mask:0xf bank_mask:0xf bound_ctrl:1
	v_and_b32_e32 v1, 1, v1
	v_cmp_eq_u32_e32 vcc, 1, v1
	s_and_b64 s[6:7], vcc, s[4:5]
	v_mov_b32_dpp v6, v4 quad_perm:[2,3,0,1] row_mask:0xf bank_mask:0xf bound_ctrl:1
	v_mov_b32_dpp v7, v5 quad_perm:[2,3,0,1] row_mask:0xf bank_mask:0xf bound_ctrl:1
	s_xor_b64 s[6:7], s[6:7], -1
                                        ; implicit-def: $vgpr2_vgpr3
	s_and_saveexec_b64 s[10:11], s[6:7]
	s_xor_b64 s[6:7], exec, s[10:11]
; %bb.293:
	s_or_b64 s[4:5], vcc, s[4:5]
	v_cndmask_b32_e32 v3, v5, v7, vcc
	v_cndmask_b32_e32 v2, v4, v6, vcc
	v_cndmask_b32_e64 v8, 0, 1, s[4:5]
                                        ; implicit-def: $vgpr4_vgpr5
                                        ; implicit-def: $vgpr6_vgpr7
; %bb.294:
	s_andn2_saveexec_b64 s[4:5], s[6:7]
; %bb.295:
	v_cmp_lt_i64_e32 vcc, v[4:5], v[6:7]
	v_mov_b32_e32 v8, 1
	s_nop 0
	v_cndmask_b32_e32 v3, v7, v5, vcc
	v_cndmask_b32_e32 v2, v6, v4, vcc
; %bb.296:
	s_or_b64 exec, exec, s[4:5]
	s_nop 0
	v_mov_b32_dpp v4, v2 row_ror:4 row_mask:0xf bank_mask:0xf bound_ctrl:1
	v_mov_b32_dpp v5, v3 row_ror:4 row_mask:0xf bank_mask:0xf bound_ctrl:1
	v_and_b32_e32 v7, 1, v8
	v_mov_b32_dpp v6, v8 row_ror:4 row_mask:0xf bank_mask:0xf bound_ctrl:1
	v_cmp_eq_u32_e32 vcc, 1, v7
	v_cmp_lt_i64_e64 s[4:5], v[2:3], v[4:5]
	v_and_b32_e32 v6, 1, v6
	s_and_b64 vcc, vcc, s[4:5]
	v_cmp_eq_u32_e64 s[6:7], 1, v6
	v_cndmask_b32_e32 v4, v4, v2, vcc
	v_cndmask_b32_e32 v5, v5, v3, vcc
	v_cndmask_b32_e64 v6, v8, 1, s[6:7]
	v_cndmask_b32_e64 v3, v3, v5, s[6:7]
	;; [unrolled: 1-line block ×3, first 2 shown]
	v_and_b32_e32 v8, 1, v6
	v_mov_b32_dpp v5, v3 row_ror:8 row_mask:0xf bank_mask:0xf bound_ctrl:1
	v_mov_b32_dpp v4, v2 row_ror:8 row_mask:0xf bank_mask:0xf bound_ctrl:1
	;; [unrolled: 1-line block ×3, first 2 shown]
	v_cmp_eq_u32_e32 vcc, 1, v8
	v_cmp_lt_i64_e64 s[4:5], v[2:3], v[4:5]
	v_and_b32_e32 v7, 1, v7
	s_and_b64 vcc, vcc, s[4:5]
	v_cmp_eq_u32_e64 s[6:7], 1, v7
	v_cndmask_b32_e32 v4, v4, v2, vcc
	v_cndmask_b32_e32 v5, v5, v3, vcc
	v_cndmask_b32_e64 v6, v6, 1, s[6:7]
	v_cndmask_b32_e64 v3, v3, v5, s[6:7]
	;; [unrolled: 1-line block ×3, first 2 shown]
	v_and_b32_e32 v8, 1, v6
	v_mov_b32_dpp v5, v3 row_bcast:15 row_mask:0xf bank_mask:0xf bound_ctrl:1
	v_mov_b32_dpp v4, v2 row_bcast:15 row_mask:0xf bank_mask:0xf bound_ctrl:1
	;; [unrolled: 1-line block ×3, first 2 shown]
	v_cmp_eq_u32_e32 vcc, 1, v8
	v_cmp_lt_i64_e64 s[4:5], v[2:3], v[4:5]
	v_and_b32_e32 v7, 1, v7
	s_and_b64 vcc, vcc, s[4:5]
	v_cmp_eq_u32_e64 s[6:7], 1, v7
	v_cndmask_b32_e32 v4, v4, v2, vcc
	v_cndmask_b32_e32 v5, v5, v3, vcc
	v_cndmask_b32_e64 v6, v6, 1, s[6:7]
	v_cndmask_b32_e64 v3, v3, v5, s[6:7]
	;; [unrolled: 1-line block ×3, first 2 shown]
	v_mov_b32_dpp v7, v6 row_bcast:31 row_mask:0xf bank_mask:0xf bound_ctrl:1
	v_mov_b32_dpp v5, v3 row_bcast:31 row_mask:0xf bank_mask:0xf bound_ctrl:1
	;; [unrolled: 1-line block ×3, first 2 shown]
	v_and_b32_e32 v8, 1, v6
	v_mbcnt_lo_u32_b32 v1, -1, 0
	v_and_b32_e32 v7, 1, v7
	v_cmp_eq_u32_e32 vcc, 1, v8
	v_cmp_lt_i64_e64 s[4:5], v[2:3], v[4:5]
	v_mbcnt_hi_u32_b32 v1, -1, v1
	v_cmp_eq_u32_e64 s[6:7], 1, v7
	s_and_b64 vcc, vcc, s[4:5]
	v_cndmask_b32_e32 v4, v4, v2, vcc
	v_cndmask_b32_e64 v7, v6, 1, s[6:7]
	v_cndmask_b32_e32 v5, v5, v3, vcc
	v_lshlrev_b32_e32 v6, 2, v1
	v_cndmask_b32_e64 v3, v3, v5, s[6:7]
	v_cndmask_b32_e64 v2, v2, v4, s[6:7]
	v_or_b32_e32 v4, 0xfc, v6
	ds_bpermute_b32 v8, v4, v7
	ds_bpermute_b32 v2, v4, v2
	;; [unrolled: 1-line block ×3, first 2 shown]
	v_cmp_eq_u32_e32 vcc, 0, v1
	s_and_saveexec_b64 s[4:5], vcc
	s_cbranch_execz .LBB368_298
; %bb.297:
	v_lshrrev_b32_e32 v4, 2, v0
	v_and_b32_e32 v4, 16, v4
	s_waitcnt lgkmcnt(2)
	ds_write_b8 v4, v8
	s_waitcnt lgkmcnt(1)
	ds_write_b64 v4, v[2:3] offset:8
.LBB368_298:
	s_or_b64 exec, exec, s[4:5]
	v_cmp_gt_u32_e32 vcc, 64, v0
	s_waitcnt lgkmcnt(0)
	s_barrier
	s_and_saveexec_b64 s[4:5], vcc
	s_cbranch_execz .LBB368_304
; %bb.299:
	v_and_b32_e32 v1, 1, v1
	v_lshlrev_b32_e32 v2, 4, v1
	ds_read_u8 v1, v2
	ds_read_b64 v[4:5], v2 offset:8
	v_or_b32_e32 v3, 4, v6
	s_waitcnt lgkmcnt(1)
	v_and_b32_e32 v2, 0xff, v1
	ds_bpermute_b32 v9, v3, v2
	s_waitcnt lgkmcnt(1)
	ds_bpermute_b32 v6, v3, v4
	ds_bpermute_b32 v7, v3, v5
	s_waitcnt lgkmcnt(2)
	v_and_b32_e32 v2, v1, v9
	v_and_b32_e32 v2, 1, v2
	v_cmp_eq_u32_e32 vcc, 1, v2
                                        ; implicit-def: $vgpr2_vgpr3
	s_and_saveexec_b64 s[6:7], vcc
	s_xor_b64 s[6:7], exec, s[6:7]
	s_cbranch_execz .LBB368_301
; %bb.300:
	s_waitcnt lgkmcnt(0)
	v_cmp_lt_i64_e32 vcc, v[6:7], v[4:5]
                                        ; implicit-def: $vgpr1
                                        ; implicit-def: $vgpr9
	s_nop 1
	v_cndmask_b32_e32 v3, v5, v7, vcc
	v_cndmask_b32_e32 v2, v4, v6, vcc
                                        ; implicit-def: $vgpr6_vgpr7
                                        ; implicit-def: $vgpr4_vgpr5
.LBB368_301:
	s_or_saveexec_b64 s[6:7], s[6:7]
	v_mov_b32_e32 v8, 1
	s_xor_b64 exec, exec, s[6:7]
	s_cbranch_execz .LBB368_303
; %bb.302:
	v_and_b32_e32 v1, 1, v1
	v_cmp_eq_u32_e32 vcc, 1, v1
	s_waitcnt lgkmcnt(0)
	s_nop 0
	v_cndmask_b32_e32 v3, v7, v5, vcc
	v_cndmask_b32_e32 v2, v6, v4, vcc
	v_cndmask_b32_e64 v8, v9, 1, vcc
.LBB368_303:
	s_or_b64 exec, exec, s[6:7]
.LBB368_304:
	s_or_b64 exec, exec, s[4:5]
	s_branch .LBB368_359
.LBB368_305:
                                        ; implicit-def: $vgpr4_vgpr5
                                        ; implicit-def: $vgpr6
                                        ; implicit-def: $vgpr2_vgpr3
.LBB368_306:
	s_and_saveexec_b64 s[2:3], s[12:13]
	s_cbranch_execz .LBB368_308
.LBB368_307:
	s_load_dwordx2 s[0:1], s[0:1], 0x38
	v_lshlrev_b64 v[0:1], 4, v[2:3]
	s_waitcnt lgkmcnt(0)
	v_lshl_add_u64 v[0:1], s[0:1], 0, v[0:1]
	global_store_byte v[0:1], v6, off
	global_store_dwordx2 v[0:1], v[4:5], off offset:8
.LBB368_308:
	s_endpgm
.LBB368_309:
                                        ; implicit-def: $vgpr2_vgpr3
                                        ; implicit-def: $vgpr8
	s_cbranch_execz .LBB368_359
; %bb.310:
	s_sub_i32 s6, s22, s8
	v_cmp_gt_u32_e32 vcc, s6, v0
	v_mov_b32_e32 v9, 0
	v_mov_b64_e32 v[2:3], 0
	s_and_saveexec_b64 s[4:5], vcc
	s_cbranch_execz .LBB368_312
; %bb.311:
	s_lshl_b64 s[10:11], s[8:9], 2
	s_add_u32 s14, s26, s10
	s_addc_u32 s15, s27, s11
	s_add_u32 s10, s24, s10
	s_addc_u32 s11, s25, s11
	v_lshlrev_b32_e32 v1, 2, v0
	s_waitcnt lgkmcnt(2)
	global_load_dword v4, v1, s[10:11]
	s_waitcnt lgkmcnt(0)
	global_load_dword v5, v1, s[14:15]
	s_add_u32 s8, s20, s8
	v_mov_b32_e32 v1, 0
	s_addc_u32 s9, s21, 0
	v_lshl_add_u64 v[2:3], s[8:9], 0, v[0:1]
	s_waitcnt vmcnt(0)
	v_cmp_neq_f32_e32 vcc, v4, v5
	s_nop 1
	v_cndmask_b32_e64 v9, 0, 1, vcc
.LBB368_312:
	s_or_b64 exec, exec, s[4:5]
	v_mbcnt_lo_u32_b32 v1, -1, 0
	v_mbcnt_hi_u32_b32 v1, -1, v1
	s_waitcnt lgkmcnt(1)
	v_and_b32_e32 v6, 63, v1
	v_cmp_ne_u32_e32 vcc, 63, v6
	v_and_b32_e32 v8, 0xffff, v9
	s_min_u32 s8, s6, 0x80
	v_addc_co_u32_e32 v4, vcc, 0, v1, vcc
	s_waitcnt lgkmcnt(0)
	v_lshlrev_b32_e32 v5, 2, v4
	ds_bpermute_b32 v10, v5, v8
	ds_bpermute_b32 v4, v5, v2
	;; [unrolled: 1-line block ×3, first 2 shown]
	v_and_b32_e32 v7, 64, v0
	v_sub_u32_e64 v7, s8, v7 clamp
	v_add_u32_e32 v11, 1, v6
	v_cmp_lt_u32_e32 vcc, v11, v7
	s_and_saveexec_b64 s[4:5], vcc
	s_cbranch_execz .LBB368_318
; %bb.313:
	s_waitcnt lgkmcnt(2)
	v_and_b32_e32 v8, v10, v8
	v_and_b32_e32 v8, 1, v8
	v_cmp_eq_u32_e32 vcc, 1, v8
	s_and_saveexec_b64 s[6:7], vcc
	s_xor_b64 s[6:7], exec, s[6:7]
	s_cbranch_execz .LBB368_315
; %bb.314:
	s_waitcnt lgkmcnt(0)
	v_cmp_lt_i64_e32 vcc, v[4:5], v[2:3]
                                        ; implicit-def: $vgpr9
                                        ; implicit-def: $vgpr10
	s_nop 1
	v_cndmask_b32_e32 v3, v3, v5, vcc
	v_cndmask_b32_e32 v2, v2, v4, vcc
                                        ; implicit-def: $vgpr4_vgpr5
.LBB368_315:
	s_or_saveexec_b64 s[6:7], s[6:7]
	v_mov_b32_e32 v8, 1
	s_xor_b64 exec, exec, s[6:7]
	s_cbranch_execz .LBB368_317
; %bb.316:
	v_and_b32_e32 v8, 1, v9
	v_cmp_eq_u32_e32 vcc, 1, v8
	s_waitcnt lgkmcnt(1)
	s_nop 0
	v_cndmask_b32_e32 v2, v4, v2, vcc
	v_and_b32_e32 v4, 0xff, v10
	s_waitcnt lgkmcnt(0)
	v_cndmask_b32_e32 v3, v5, v3, vcc
	v_cndmask_b32_e64 v8, v4, 1, vcc
.LBB368_317:
	s_or_b64 exec, exec, s[6:7]
.LBB368_318:
	s_or_b64 exec, exec, s[4:5]
	v_cmp_gt_u32_e32 vcc, 62, v6
	s_waitcnt lgkmcnt(2)
	v_add_u32_e32 v10, 2, v6
	s_waitcnt lgkmcnt(1)
	v_cndmask_b32_e64 v4, 0, 2, vcc
	s_waitcnt lgkmcnt(0)
	v_add_lshl_u32 v5, v4, v1, 2
	ds_bpermute_b32 v9, v5, v8
	ds_bpermute_b32 v4, v5, v2
	ds_bpermute_b32 v5, v5, v3
	v_cmp_lt_u32_e32 vcc, v10, v7
	s_and_saveexec_b64 s[4:5], vcc
	s_cbranch_execz .LBB368_324
; %bb.319:
	s_waitcnt lgkmcnt(2)
	v_and_b32_e32 v10, v8, v9
	v_and_b32_e32 v10, 1, v10
	v_cmp_eq_u32_e32 vcc, 1, v10
	s_and_saveexec_b64 s[6:7], vcc
	s_xor_b64 s[6:7], exec, s[6:7]
	s_cbranch_execz .LBB368_321
; %bb.320:
	s_waitcnt lgkmcnt(0)
	v_cmp_lt_i64_e32 vcc, v[4:5], v[2:3]
                                        ; implicit-def: $vgpr8
                                        ; implicit-def: $vgpr9
	s_nop 1
	v_cndmask_b32_e32 v3, v3, v5, vcc
	v_cndmask_b32_e32 v2, v2, v4, vcc
                                        ; implicit-def: $vgpr4_vgpr5
.LBB368_321:
	s_or_saveexec_b64 s[6:7], s[6:7]
	v_mov_b32_e32 v10, 1
	s_xor_b64 exec, exec, s[6:7]
	s_cbranch_execz .LBB368_323
; %bb.322:
	v_and_b32_e32 v8, 1, v8
	v_cmp_eq_u32_e32 vcc, 1, v8
	s_waitcnt lgkmcnt(1)
	s_nop 0
	v_cndmask_b32_e32 v2, v4, v2, vcc
	v_and_b32_e32 v4, 0xff, v9
	s_waitcnt lgkmcnt(0)
	v_cndmask_b32_e32 v3, v5, v3, vcc
	v_cndmask_b32_e64 v10, v4, 1, vcc
.LBB368_323:
	s_or_b64 exec, exec, s[6:7]
	v_mov_b32_e32 v8, v10
.LBB368_324:
	s_or_b64 exec, exec, s[4:5]
	v_cmp_gt_u32_e32 vcc, 60, v6
	v_add_u32_e32 v10, 4, v6
	s_waitcnt lgkmcnt(1)
	v_cndmask_b32_e64 v4, 0, 4, vcc
	s_waitcnt lgkmcnt(0)
	v_add_lshl_u32 v5, v4, v1, 2
	ds_bpermute_b32 v9, v5, v8
	ds_bpermute_b32 v4, v5, v2
	ds_bpermute_b32 v5, v5, v3
	v_cmp_lt_u32_e32 vcc, v10, v7
	s_and_saveexec_b64 s[4:5], vcc
	s_cbranch_execz .LBB368_330
; %bb.325:
	s_waitcnt lgkmcnt(2)
	v_and_b32_e32 v10, v8, v9
	v_and_b32_e32 v10, 1, v10
	v_cmp_eq_u32_e32 vcc, 1, v10
	s_and_saveexec_b64 s[6:7], vcc
	s_xor_b64 s[6:7], exec, s[6:7]
	s_cbranch_execz .LBB368_327
; %bb.326:
	s_waitcnt lgkmcnt(0)
	v_cmp_lt_i64_e32 vcc, v[4:5], v[2:3]
                                        ; implicit-def: $vgpr8
                                        ; implicit-def: $vgpr9
	s_nop 1
	v_cndmask_b32_e32 v3, v3, v5, vcc
	v_cndmask_b32_e32 v2, v2, v4, vcc
                                        ; implicit-def: $vgpr4_vgpr5
.LBB368_327:
	s_or_saveexec_b64 s[6:7], s[6:7]
	v_mov_b32_e32 v10, 1
	s_xor_b64 exec, exec, s[6:7]
	s_cbranch_execz .LBB368_329
; %bb.328:
	v_and_b32_e32 v8, 1, v8
	v_cmp_eq_u32_e32 vcc, 1, v8
	s_waitcnt lgkmcnt(1)
	s_nop 0
	v_cndmask_b32_e32 v2, v4, v2, vcc
	v_and_b32_e32 v4, 0xff, v9
	s_waitcnt lgkmcnt(0)
	v_cndmask_b32_e32 v3, v5, v3, vcc
	v_cndmask_b32_e64 v10, v4, 1, vcc
.LBB368_329:
	s_or_b64 exec, exec, s[6:7]
	v_mov_b32_e32 v8, v10
.LBB368_330:
	s_or_b64 exec, exec, s[4:5]
	v_cmp_gt_u32_e32 vcc, 56, v6
	;; [unrolled: 49-line block ×3, first 2 shown]
	v_add_u32_e32 v10, 16, v6
	s_waitcnt lgkmcnt(1)
	v_cndmask_b32_e64 v4, 0, 16, vcc
	s_waitcnt lgkmcnt(0)
	v_add_lshl_u32 v5, v4, v1, 2
	ds_bpermute_b32 v9, v5, v8
	ds_bpermute_b32 v4, v5, v2
	;; [unrolled: 1-line block ×3, first 2 shown]
	v_cmp_lt_u32_e32 vcc, v10, v7
	s_and_saveexec_b64 s[4:5], vcc
	s_cbranch_execz .LBB368_342
; %bb.337:
	s_waitcnt lgkmcnt(2)
	v_and_b32_e32 v10, v8, v9
	v_and_b32_e32 v10, 1, v10
	v_cmp_eq_u32_e32 vcc, 1, v10
	s_and_saveexec_b64 s[6:7], vcc
	s_xor_b64 s[6:7], exec, s[6:7]
	s_cbranch_execz .LBB368_339
; %bb.338:
	s_waitcnt lgkmcnt(0)
	v_cmp_lt_i64_e32 vcc, v[4:5], v[2:3]
                                        ; implicit-def: $vgpr8
                                        ; implicit-def: $vgpr9
	s_nop 1
	v_cndmask_b32_e32 v3, v3, v5, vcc
	v_cndmask_b32_e32 v2, v2, v4, vcc
                                        ; implicit-def: $vgpr4_vgpr5
.LBB368_339:
	s_or_saveexec_b64 s[6:7], s[6:7]
	v_mov_b32_e32 v10, 1
	s_xor_b64 exec, exec, s[6:7]
	s_cbranch_execz .LBB368_341
; %bb.340:
	v_and_b32_e32 v8, 1, v8
	v_cmp_eq_u32_e32 vcc, 1, v8
	s_waitcnt lgkmcnt(1)
	s_nop 0
	v_cndmask_b32_e32 v2, v4, v2, vcc
	v_and_b32_e32 v4, 0xff, v9
	s_waitcnt lgkmcnt(0)
	v_cndmask_b32_e32 v3, v5, v3, vcc
	v_cndmask_b32_e64 v10, v4, 1, vcc
.LBB368_341:
	s_or_b64 exec, exec, s[6:7]
	v_mov_b32_e32 v8, v10
.LBB368_342:
	s_or_b64 exec, exec, s[4:5]
	s_waitcnt lgkmcnt(2)
	v_lshlrev_b32_e32 v9, 2, v1
	s_waitcnt lgkmcnt(0)
	v_or_b32_e32 v5, 0x80, v9
	ds_bpermute_b32 v10, v5, v8
	ds_bpermute_b32 v4, v5, v2
	;; [unrolled: 1-line block ×3, first 2 shown]
	v_add_u32_e32 v6, 32, v6
	v_cmp_lt_u32_e32 vcc, v6, v7
	v_mov_b32_e32 v6, v8
	s_and_saveexec_b64 s[4:5], vcc
	s_cbranch_execz .LBB368_348
; %bb.343:
	s_waitcnt lgkmcnt(2)
	v_and_b32_e32 v6, v8, v10
	v_and_b32_e32 v6, 1, v6
	v_cmp_eq_u32_e32 vcc, 1, v6
	s_and_saveexec_b64 s[6:7], vcc
	s_xor_b64 s[6:7], exec, s[6:7]
	s_cbranch_execz .LBB368_345
; %bb.344:
	s_waitcnt lgkmcnt(0)
	v_cmp_lt_i64_e32 vcc, v[4:5], v[2:3]
                                        ; implicit-def: $vgpr8
                                        ; implicit-def: $vgpr10
	s_nop 1
	v_cndmask_b32_e32 v3, v3, v5, vcc
	v_cndmask_b32_e32 v2, v2, v4, vcc
                                        ; implicit-def: $vgpr4_vgpr5
.LBB368_345:
	s_or_saveexec_b64 s[6:7], s[6:7]
	v_mov_b32_e32 v6, 1
	s_xor_b64 exec, exec, s[6:7]
	s_cbranch_execz .LBB368_347
; %bb.346:
	v_and_b32_e32 v6, 1, v8
	v_cmp_eq_u32_e32 vcc, 1, v6
	s_nop 1
	v_cndmask_b32_e64 v6, v10, 1, vcc
	s_waitcnt lgkmcnt(0)
	v_cndmask_b32_e32 v3, v5, v3, vcc
	v_cndmask_b32_e32 v2, v4, v2, vcc
.LBB368_347:
	s_or_b64 exec, exec, s[6:7]
	v_and_b32_e32 v8, 0xff, v6
.LBB368_348:
	s_or_b64 exec, exec, s[4:5]
	v_cmp_eq_u32_e32 vcc, 0, v1
	s_and_saveexec_b64 s[4:5], vcc
	s_cbranch_execz .LBB368_350
; %bb.349:
	s_waitcnt lgkmcnt(1)
	v_lshrrev_b32_e32 v4, 2, v0
	v_and_b32_e32 v4, 16, v4
	ds_write_b8 v4, v6 offset:128
	ds_write_b64 v4, v[2:3] offset:136
.LBB368_350:
	s_or_b64 exec, exec, s[4:5]
	v_cmp_gt_u32_e32 vcc, 2, v0
	s_waitcnt lgkmcnt(0)
	s_barrier
	s_and_saveexec_b64 s[4:5], vcc
	s_cbranch_execz .LBB368_358
; %bb.351:
	v_lshlrev_b32_e32 v2, 4, v1
	ds_read_u8 v6, v2 offset:128
	ds_read_b64 v[2:3], v2 offset:136
	v_or_b32_e32 v5, 4, v9
	s_add_i32 s8, s8, 63
	v_and_b32_e32 v1, 1, v1
	s_waitcnt lgkmcnt(1)
	v_and_b32_e32 v8, 0xff, v6
	s_waitcnt lgkmcnt(0)
	ds_bpermute_b32 v4, v5, v2
	ds_bpermute_b32 v7, v5, v8
	;; [unrolled: 1-line block ×3, first 2 shown]
	s_lshr_b32 s6, s8, 6
	v_add_u32_e32 v1, 1, v1
	v_cmp_gt_u32_e32 vcc, s6, v1
	s_and_saveexec_b64 s[6:7], vcc
	s_cbranch_execz .LBB368_357
; %bb.352:
	s_waitcnt lgkmcnt(1)
	v_and_b32_e32 v1, v8, v7
	v_and_b32_e32 v1, 1, v1
	v_cmp_eq_u32_e32 vcc, 1, v1
	s_and_saveexec_b64 s[8:9], vcc
	s_xor_b64 s[8:9], exec, s[8:9]
	s_cbranch_execz .LBB368_354
; %bb.353:
	s_waitcnt lgkmcnt(0)
	v_cmp_lt_i64_e32 vcc, v[4:5], v[2:3]
                                        ; implicit-def: $vgpr6
                                        ; implicit-def: $vgpr7
	s_nop 1
	v_cndmask_b32_e32 v3, v3, v5, vcc
	v_cndmask_b32_e32 v2, v2, v4, vcc
                                        ; implicit-def: $vgpr4_vgpr5
.LBB368_354:
	s_or_saveexec_b64 s[8:9], s[8:9]
	v_mov_b32_e32 v8, 1
	s_xor_b64 exec, exec, s[8:9]
	s_cbranch_execz .LBB368_356
; %bb.355:
	v_and_b32_e32 v1, 1, v6
	v_cmp_eq_u32_e32 vcc, 1, v1
	s_waitcnt lgkmcnt(0)
	s_nop 0
	v_cndmask_b32_e32 v3, v5, v3, vcc
	v_cndmask_b32_e32 v2, v4, v2, vcc
	v_cndmask_b32_e64 v8, v7, 1, vcc
.LBB368_356:
	s_or_b64 exec, exec, s[8:9]
.LBB368_357:
	s_or_b64 exec, exec, s[6:7]
.LBB368_358:
	s_or_b64 exec, exec, s[4:5]
.LBB368_359:
	v_cmp_eq_u32_e32 vcc, 0, v0
                                        ; implicit-def: $vgpr4_vgpr5
                                        ; implicit-def: $vgpr6
	s_and_saveexec_b64 s[8:9], vcc
	s_cbranch_execz .LBB368_363
; %bb.360:
	s_cmp_eq_u64 s[22:23], 0
	s_waitcnt lgkmcnt(0)
	v_mov_b64_e32 v[4:5], s[18:19]
	v_mov_b32_e32 v6, s33
	s_cbranch_scc1 .LBB368_362
; %bb.361:
	v_and_b32_e32 v0, 1, v8
	s_bitcmp1_b32 s33, 0
	v_cmp_eq_u32_e32 vcc, 1, v0
	v_cmp_gt_i64_e64 s[4:5], s[18:19], v[2:3]
	s_cselect_b64 s[6:7], -1, 0
	v_mov_b32_e32 v0, s18
	s_and_b64 vcc, vcc, s[4:5]
	v_mov_b32_e32 v1, s19
	v_cndmask_b32_e32 v0, v0, v2, vcc
	v_cndmask_b32_e32 v1, v1, v3, vcc
	v_cndmask_b32_e64 v6, v8, 1, s[6:7]
	v_cndmask_b32_e64 v5, v3, v1, s[6:7]
	;; [unrolled: 1-line block ×3, first 2 shown]
.LBB368_362:
	s_or_b64 s[12:13], s[12:13], exec
.LBB368_363:
	s_or_b64 exec, exec, s[8:9]
	v_mov_b64_e32 v[2:3], s[2:3]
	s_and_saveexec_b64 s[2:3], s[12:13]
	s_cbranch_execnz .LBB368_307
	s_branch .LBB368_308
	.section	.rodata,"a",@progbits
	.p2align	6, 0x0
	.amdhsa_kernel _ZN7rocprim17ROCPRIM_400000_NS6detail17trampoline_kernelINS0_14default_configENS1_22reduce_config_selectorIN6thrust23THRUST_200600_302600_NS5tupleIblNS6_9null_typeES8_S8_S8_S8_S8_S8_S8_EEEEZNS1_11reduce_implILb1ES3_NS6_12zip_iteratorINS7_INS6_11hip_rocprim26transform_input_iterator_tIbNSD_35transform_pair_of_input_iterators_tIbNS6_6detail15normal_iteratorINS6_10device_ptrIKfEEEESL_NS6_8equal_toIfEEEENSG_9not_fun_tINSD_8identityEEEEENSD_19counting_iterator_tIlEES8_S8_S8_S8_S8_S8_S8_S8_EEEEPS9_S9_NSD_9__find_if7functorIS9_EEEE10hipError_tPvRmT1_T2_T3_mT4_P12ihipStream_tbEUlT_E1_NS1_11comp_targetILNS1_3genE0ELNS1_11target_archE4294967295ELNS1_3gpuE0ELNS1_3repE0EEENS1_30default_config_static_selectorELNS0_4arch9wavefront6targetE1EEEvS14_
		.amdhsa_group_segment_fixed_size 160
		.amdhsa_private_segment_fixed_size 0
		.amdhsa_kernarg_size 88
		.amdhsa_user_sgpr_count 2
		.amdhsa_user_sgpr_dispatch_ptr 0
		.amdhsa_user_sgpr_queue_ptr 0
		.amdhsa_user_sgpr_kernarg_segment_ptr 1
		.amdhsa_user_sgpr_dispatch_id 0
		.amdhsa_user_sgpr_kernarg_preload_length 0
		.amdhsa_user_sgpr_kernarg_preload_offset 0
		.amdhsa_user_sgpr_private_segment_size 0
		.amdhsa_uses_dynamic_stack 0
		.amdhsa_enable_private_segment 0
		.amdhsa_system_sgpr_workgroup_id_x 1
		.amdhsa_system_sgpr_workgroup_id_y 0
		.amdhsa_system_sgpr_workgroup_id_z 0
		.amdhsa_system_sgpr_workgroup_info 0
		.amdhsa_system_vgpr_workitem_id 0
		.amdhsa_next_free_vgpr 29
		.amdhsa_next_free_sgpr 42
		.amdhsa_accum_offset 32
		.amdhsa_reserve_vcc 1
		.amdhsa_float_round_mode_32 0
		.amdhsa_float_round_mode_16_64 0
		.amdhsa_float_denorm_mode_32 3
		.amdhsa_float_denorm_mode_16_64 3
		.amdhsa_dx10_clamp 1
		.amdhsa_ieee_mode 1
		.amdhsa_fp16_overflow 0
		.amdhsa_tg_split 0
		.amdhsa_exception_fp_ieee_invalid_op 0
		.amdhsa_exception_fp_denorm_src 0
		.amdhsa_exception_fp_ieee_div_zero 0
		.amdhsa_exception_fp_ieee_overflow 0
		.amdhsa_exception_fp_ieee_underflow 0
		.amdhsa_exception_fp_ieee_inexact 0
		.amdhsa_exception_int_div_zero 0
	.end_amdhsa_kernel
	.section	.text._ZN7rocprim17ROCPRIM_400000_NS6detail17trampoline_kernelINS0_14default_configENS1_22reduce_config_selectorIN6thrust23THRUST_200600_302600_NS5tupleIblNS6_9null_typeES8_S8_S8_S8_S8_S8_S8_EEEEZNS1_11reduce_implILb1ES3_NS6_12zip_iteratorINS7_INS6_11hip_rocprim26transform_input_iterator_tIbNSD_35transform_pair_of_input_iterators_tIbNS6_6detail15normal_iteratorINS6_10device_ptrIKfEEEESL_NS6_8equal_toIfEEEENSG_9not_fun_tINSD_8identityEEEEENSD_19counting_iterator_tIlEES8_S8_S8_S8_S8_S8_S8_S8_EEEEPS9_S9_NSD_9__find_if7functorIS9_EEEE10hipError_tPvRmT1_T2_T3_mT4_P12ihipStream_tbEUlT_E1_NS1_11comp_targetILNS1_3genE0ELNS1_11target_archE4294967295ELNS1_3gpuE0ELNS1_3repE0EEENS1_30default_config_static_selectorELNS0_4arch9wavefront6targetE1EEEvS14_,"axG",@progbits,_ZN7rocprim17ROCPRIM_400000_NS6detail17trampoline_kernelINS0_14default_configENS1_22reduce_config_selectorIN6thrust23THRUST_200600_302600_NS5tupleIblNS6_9null_typeES8_S8_S8_S8_S8_S8_S8_EEEEZNS1_11reduce_implILb1ES3_NS6_12zip_iteratorINS7_INS6_11hip_rocprim26transform_input_iterator_tIbNSD_35transform_pair_of_input_iterators_tIbNS6_6detail15normal_iteratorINS6_10device_ptrIKfEEEESL_NS6_8equal_toIfEEEENSG_9not_fun_tINSD_8identityEEEEENSD_19counting_iterator_tIlEES8_S8_S8_S8_S8_S8_S8_S8_EEEEPS9_S9_NSD_9__find_if7functorIS9_EEEE10hipError_tPvRmT1_T2_T3_mT4_P12ihipStream_tbEUlT_E1_NS1_11comp_targetILNS1_3genE0ELNS1_11target_archE4294967295ELNS1_3gpuE0ELNS1_3repE0EEENS1_30default_config_static_selectorELNS0_4arch9wavefront6targetE1EEEvS14_,comdat
.Lfunc_end368:
	.size	_ZN7rocprim17ROCPRIM_400000_NS6detail17trampoline_kernelINS0_14default_configENS1_22reduce_config_selectorIN6thrust23THRUST_200600_302600_NS5tupleIblNS6_9null_typeES8_S8_S8_S8_S8_S8_S8_EEEEZNS1_11reduce_implILb1ES3_NS6_12zip_iteratorINS7_INS6_11hip_rocprim26transform_input_iterator_tIbNSD_35transform_pair_of_input_iterators_tIbNS6_6detail15normal_iteratorINS6_10device_ptrIKfEEEESL_NS6_8equal_toIfEEEENSG_9not_fun_tINSD_8identityEEEEENSD_19counting_iterator_tIlEES8_S8_S8_S8_S8_S8_S8_S8_EEEEPS9_S9_NSD_9__find_if7functorIS9_EEEE10hipError_tPvRmT1_T2_T3_mT4_P12ihipStream_tbEUlT_E1_NS1_11comp_targetILNS1_3genE0ELNS1_11target_archE4294967295ELNS1_3gpuE0ELNS1_3repE0EEENS1_30default_config_static_selectorELNS0_4arch9wavefront6targetE1EEEvS14_, .Lfunc_end368-_ZN7rocprim17ROCPRIM_400000_NS6detail17trampoline_kernelINS0_14default_configENS1_22reduce_config_selectorIN6thrust23THRUST_200600_302600_NS5tupleIblNS6_9null_typeES8_S8_S8_S8_S8_S8_S8_EEEEZNS1_11reduce_implILb1ES3_NS6_12zip_iteratorINS7_INS6_11hip_rocprim26transform_input_iterator_tIbNSD_35transform_pair_of_input_iterators_tIbNS6_6detail15normal_iteratorINS6_10device_ptrIKfEEEESL_NS6_8equal_toIfEEEENSG_9not_fun_tINSD_8identityEEEEENSD_19counting_iterator_tIlEES8_S8_S8_S8_S8_S8_S8_S8_EEEEPS9_S9_NSD_9__find_if7functorIS9_EEEE10hipError_tPvRmT1_T2_T3_mT4_P12ihipStream_tbEUlT_E1_NS1_11comp_targetILNS1_3genE0ELNS1_11target_archE4294967295ELNS1_3gpuE0ELNS1_3repE0EEENS1_30default_config_static_selectorELNS0_4arch9wavefront6targetE1EEEvS14_
                                        ; -- End function
	.set _ZN7rocprim17ROCPRIM_400000_NS6detail17trampoline_kernelINS0_14default_configENS1_22reduce_config_selectorIN6thrust23THRUST_200600_302600_NS5tupleIblNS6_9null_typeES8_S8_S8_S8_S8_S8_S8_EEEEZNS1_11reduce_implILb1ES3_NS6_12zip_iteratorINS7_INS6_11hip_rocprim26transform_input_iterator_tIbNSD_35transform_pair_of_input_iterators_tIbNS6_6detail15normal_iteratorINS6_10device_ptrIKfEEEESL_NS6_8equal_toIfEEEENSG_9not_fun_tINSD_8identityEEEEENSD_19counting_iterator_tIlEES8_S8_S8_S8_S8_S8_S8_S8_EEEEPS9_S9_NSD_9__find_if7functorIS9_EEEE10hipError_tPvRmT1_T2_T3_mT4_P12ihipStream_tbEUlT_E1_NS1_11comp_targetILNS1_3genE0ELNS1_11target_archE4294967295ELNS1_3gpuE0ELNS1_3repE0EEENS1_30default_config_static_selectorELNS0_4arch9wavefront6targetE1EEEvS14_.num_vgpr, 29
	.set _ZN7rocprim17ROCPRIM_400000_NS6detail17trampoline_kernelINS0_14default_configENS1_22reduce_config_selectorIN6thrust23THRUST_200600_302600_NS5tupleIblNS6_9null_typeES8_S8_S8_S8_S8_S8_S8_EEEEZNS1_11reduce_implILb1ES3_NS6_12zip_iteratorINS7_INS6_11hip_rocprim26transform_input_iterator_tIbNSD_35transform_pair_of_input_iterators_tIbNS6_6detail15normal_iteratorINS6_10device_ptrIKfEEEESL_NS6_8equal_toIfEEEENSG_9not_fun_tINSD_8identityEEEEENSD_19counting_iterator_tIlEES8_S8_S8_S8_S8_S8_S8_S8_EEEEPS9_S9_NSD_9__find_if7functorIS9_EEEE10hipError_tPvRmT1_T2_T3_mT4_P12ihipStream_tbEUlT_E1_NS1_11comp_targetILNS1_3genE0ELNS1_11target_archE4294967295ELNS1_3gpuE0ELNS1_3repE0EEENS1_30default_config_static_selectorELNS0_4arch9wavefront6targetE1EEEvS14_.num_agpr, 0
	.set _ZN7rocprim17ROCPRIM_400000_NS6detail17trampoline_kernelINS0_14default_configENS1_22reduce_config_selectorIN6thrust23THRUST_200600_302600_NS5tupleIblNS6_9null_typeES8_S8_S8_S8_S8_S8_S8_EEEEZNS1_11reduce_implILb1ES3_NS6_12zip_iteratorINS7_INS6_11hip_rocprim26transform_input_iterator_tIbNSD_35transform_pair_of_input_iterators_tIbNS6_6detail15normal_iteratorINS6_10device_ptrIKfEEEESL_NS6_8equal_toIfEEEENSG_9not_fun_tINSD_8identityEEEEENSD_19counting_iterator_tIlEES8_S8_S8_S8_S8_S8_S8_S8_EEEEPS9_S9_NSD_9__find_if7functorIS9_EEEE10hipError_tPvRmT1_T2_T3_mT4_P12ihipStream_tbEUlT_E1_NS1_11comp_targetILNS1_3genE0ELNS1_11target_archE4294967295ELNS1_3gpuE0ELNS1_3repE0EEENS1_30default_config_static_selectorELNS0_4arch9wavefront6targetE1EEEvS14_.numbered_sgpr, 42
	.set _ZN7rocprim17ROCPRIM_400000_NS6detail17trampoline_kernelINS0_14default_configENS1_22reduce_config_selectorIN6thrust23THRUST_200600_302600_NS5tupleIblNS6_9null_typeES8_S8_S8_S8_S8_S8_S8_EEEEZNS1_11reduce_implILb1ES3_NS6_12zip_iteratorINS7_INS6_11hip_rocprim26transform_input_iterator_tIbNSD_35transform_pair_of_input_iterators_tIbNS6_6detail15normal_iteratorINS6_10device_ptrIKfEEEESL_NS6_8equal_toIfEEEENSG_9not_fun_tINSD_8identityEEEEENSD_19counting_iterator_tIlEES8_S8_S8_S8_S8_S8_S8_S8_EEEEPS9_S9_NSD_9__find_if7functorIS9_EEEE10hipError_tPvRmT1_T2_T3_mT4_P12ihipStream_tbEUlT_E1_NS1_11comp_targetILNS1_3genE0ELNS1_11target_archE4294967295ELNS1_3gpuE0ELNS1_3repE0EEENS1_30default_config_static_selectorELNS0_4arch9wavefront6targetE1EEEvS14_.num_named_barrier, 0
	.set _ZN7rocprim17ROCPRIM_400000_NS6detail17trampoline_kernelINS0_14default_configENS1_22reduce_config_selectorIN6thrust23THRUST_200600_302600_NS5tupleIblNS6_9null_typeES8_S8_S8_S8_S8_S8_S8_EEEEZNS1_11reduce_implILb1ES3_NS6_12zip_iteratorINS7_INS6_11hip_rocprim26transform_input_iterator_tIbNSD_35transform_pair_of_input_iterators_tIbNS6_6detail15normal_iteratorINS6_10device_ptrIKfEEEESL_NS6_8equal_toIfEEEENSG_9not_fun_tINSD_8identityEEEEENSD_19counting_iterator_tIlEES8_S8_S8_S8_S8_S8_S8_S8_EEEEPS9_S9_NSD_9__find_if7functorIS9_EEEE10hipError_tPvRmT1_T2_T3_mT4_P12ihipStream_tbEUlT_E1_NS1_11comp_targetILNS1_3genE0ELNS1_11target_archE4294967295ELNS1_3gpuE0ELNS1_3repE0EEENS1_30default_config_static_selectorELNS0_4arch9wavefront6targetE1EEEvS14_.private_seg_size, 0
	.set _ZN7rocprim17ROCPRIM_400000_NS6detail17trampoline_kernelINS0_14default_configENS1_22reduce_config_selectorIN6thrust23THRUST_200600_302600_NS5tupleIblNS6_9null_typeES8_S8_S8_S8_S8_S8_S8_EEEEZNS1_11reduce_implILb1ES3_NS6_12zip_iteratorINS7_INS6_11hip_rocprim26transform_input_iterator_tIbNSD_35transform_pair_of_input_iterators_tIbNS6_6detail15normal_iteratorINS6_10device_ptrIKfEEEESL_NS6_8equal_toIfEEEENSG_9not_fun_tINSD_8identityEEEEENSD_19counting_iterator_tIlEES8_S8_S8_S8_S8_S8_S8_S8_EEEEPS9_S9_NSD_9__find_if7functorIS9_EEEE10hipError_tPvRmT1_T2_T3_mT4_P12ihipStream_tbEUlT_E1_NS1_11comp_targetILNS1_3genE0ELNS1_11target_archE4294967295ELNS1_3gpuE0ELNS1_3repE0EEENS1_30default_config_static_selectorELNS0_4arch9wavefront6targetE1EEEvS14_.uses_vcc, 1
	.set _ZN7rocprim17ROCPRIM_400000_NS6detail17trampoline_kernelINS0_14default_configENS1_22reduce_config_selectorIN6thrust23THRUST_200600_302600_NS5tupleIblNS6_9null_typeES8_S8_S8_S8_S8_S8_S8_EEEEZNS1_11reduce_implILb1ES3_NS6_12zip_iteratorINS7_INS6_11hip_rocprim26transform_input_iterator_tIbNSD_35transform_pair_of_input_iterators_tIbNS6_6detail15normal_iteratorINS6_10device_ptrIKfEEEESL_NS6_8equal_toIfEEEENSG_9not_fun_tINSD_8identityEEEEENSD_19counting_iterator_tIlEES8_S8_S8_S8_S8_S8_S8_S8_EEEEPS9_S9_NSD_9__find_if7functorIS9_EEEE10hipError_tPvRmT1_T2_T3_mT4_P12ihipStream_tbEUlT_E1_NS1_11comp_targetILNS1_3genE0ELNS1_11target_archE4294967295ELNS1_3gpuE0ELNS1_3repE0EEENS1_30default_config_static_selectorELNS0_4arch9wavefront6targetE1EEEvS14_.uses_flat_scratch, 0
	.set _ZN7rocprim17ROCPRIM_400000_NS6detail17trampoline_kernelINS0_14default_configENS1_22reduce_config_selectorIN6thrust23THRUST_200600_302600_NS5tupleIblNS6_9null_typeES8_S8_S8_S8_S8_S8_S8_EEEEZNS1_11reduce_implILb1ES3_NS6_12zip_iteratorINS7_INS6_11hip_rocprim26transform_input_iterator_tIbNSD_35transform_pair_of_input_iterators_tIbNS6_6detail15normal_iteratorINS6_10device_ptrIKfEEEESL_NS6_8equal_toIfEEEENSG_9not_fun_tINSD_8identityEEEEENSD_19counting_iterator_tIlEES8_S8_S8_S8_S8_S8_S8_S8_EEEEPS9_S9_NSD_9__find_if7functorIS9_EEEE10hipError_tPvRmT1_T2_T3_mT4_P12ihipStream_tbEUlT_E1_NS1_11comp_targetILNS1_3genE0ELNS1_11target_archE4294967295ELNS1_3gpuE0ELNS1_3repE0EEENS1_30default_config_static_selectorELNS0_4arch9wavefront6targetE1EEEvS14_.has_dyn_sized_stack, 0
	.set _ZN7rocprim17ROCPRIM_400000_NS6detail17trampoline_kernelINS0_14default_configENS1_22reduce_config_selectorIN6thrust23THRUST_200600_302600_NS5tupleIblNS6_9null_typeES8_S8_S8_S8_S8_S8_S8_EEEEZNS1_11reduce_implILb1ES3_NS6_12zip_iteratorINS7_INS6_11hip_rocprim26transform_input_iterator_tIbNSD_35transform_pair_of_input_iterators_tIbNS6_6detail15normal_iteratorINS6_10device_ptrIKfEEEESL_NS6_8equal_toIfEEEENSG_9not_fun_tINSD_8identityEEEEENSD_19counting_iterator_tIlEES8_S8_S8_S8_S8_S8_S8_S8_EEEEPS9_S9_NSD_9__find_if7functorIS9_EEEE10hipError_tPvRmT1_T2_T3_mT4_P12ihipStream_tbEUlT_E1_NS1_11comp_targetILNS1_3genE0ELNS1_11target_archE4294967295ELNS1_3gpuE0ELNS1_3repE0EEENS1_30default_config_static_selectorELNS0_4arch9wavefront6targetE1EEEvS14_.has_recursion, 0
	.set _ZN7rocprim17ROCPRIM_400000_NS6detail17trampoline_kernelINS0_14default_configENS1_22reduce_config_selectorIN6thrust23THRUST_200600_302600_NS5tupleIblNS6_9null_typeES8_S8_S8_S8_S8_S8_S8_EEEEZNS1_11reduce_implILb1ES3_NS6_12zip_iteratorINS7_INS6_11hip_rocprim26transform_input_iterator_tIbNSD_35transform_pair_of_input_iterators_tIbNS6_6detail15normal_iteratorINS6_10device_ptrIKfEEEESL_NS6_8equal_toIfEEEENSG_9not_fun_tINSD_8identityEEEEENSD_19counting_iterator_tIlEES8_S8_S8_S8_S8_S8_S8_S8_EEEEPS9_S9_NSD_9__find_if7functorIS9_EEEE10hipError_tPvRmT1_T2_T3_mT4_P12ihipStream_tbEUlT_E1_NS1_11comp_targetILNS1_3genE0ELNS1_11target_archE4294967295ELNS1_3gpuE0ELNS1_3repE0EEENS1_30default_config_static_selectorELNS0_4arch9wavefront6targetE1EEEvS14_.has_indirect_call, 0
	.section	.AMDGPU.csdata,"",@progbits
; Kernel info:
; codeLenInByte = 13308
; TotalNumSgprs: 48
; NumVgprs: 29
; NumAgprs: 0
; TotalNumVgprs: 29
; ScratchSize: 0
; MemoryBound: 0
; FloatMode: 240
; IeeeMode: 1
; LDSByteSize: 160 bytes/workgroup (compile time only)
; SGPRBlocks: 5
; VGPRBlocks: 3
; NumSGPRsForWavesPerEU: 48
; NumVGPRsForWavesPerEU: 29
; AccumOffset: 32
; Occupancy: 8
; WaveLimiterHint : 0
; COMPUTE_PGM_RSRC2:SCRATCH_EN: 0
; COMPUTE_PGM_RSRC2:USER_SGPR: 2
; COMPUTE_PGM_RSRC2:TRAP_HANDLER: 0
; COMPUTE_PGM_RSRC2:TGID_X_EN: 1
; COMPUTE_PGM_RSRC2:TGID_Y_EN: 0
; COMPUTE_PGM_RSRC2:TGID_Z_EN: 0
; COMPUTE_PGM_RSRC2:TIDIG_COMP_CNT: 0
; COMPUTE_PGM_RSRC3_GFX90A:ACCUM_OFFSET: 7
; COMPUTE_PGM_RSRC3_GFX90A:TG_SPLIT: 0
	.section	.text._ZN7rocprim17ROCPRIM_400000_NS6detail17trampoline_kernelINS0_14default_configENS1_22reduce_config_selectorIN6thrust23THRUST_200600_302600_NS5tupleIblNS6_9null_typeES8_S8_S8_S8_S8_S8_S8_EEEEZNS1_11reduce_implILb1ES3_NS6_12zip_iteratorINS7_INS6_11hip_rocprim26transform_input_iterator_tIbNSD_35transform_pair_of_input_iterators_tIbNS6_6detail15normal_iteratorINS6_10device_ptrIKfEEEESL_NS6_8equal_toIfEEEENSG_9not_fun_tINSD_8identityEEEEENSD_19counting_iterator_tIlEES8_S8_S8_S8_S8_S8_S8_S8_EEEEPS9_S9_NSD_9__find_if7functorIS9_EEEE10hipError_tPvRmT1_T2_T3_mT4_P12ihipStream_tbEUlT_E1_NS1_11comp_targetILNS1_3genE5ELNS1_11target_archE942ELNS1_3gpuE9ELNS1_3repE0EEENS1_30default_config_static_selectorELNS0_4arch9wavefront6targetE1EEEvS14_,"axG",@progbits,_ZN7rocprim17ROCPRIM_400000_NS6detail17trampoline_kernelINS0_14default_configENS1_22reduce_config_selectorIN6thrust23THRUST_200600_302600_NS5tupleIblNS6_9null_typeES8_S8_S8_S8_S8_S8_S8_EEEEZNS1_11reduce_implILb1ES3_NS6_12zip_iteratorINS7_INS6_11hip_rocprim26transform_input_iterator_tIbNSD_35transform_pair_of_input_iterators_tIbNS6_6detail15normal_iteratorINS6_10device_ptrIKfEEEESL_NS6_8equal_toIfEEEENSG_9not_fun_tINSD_8identityEEEEENSD_19counting_iterator_tIlEES8_S8_S8_S8_S8_S8_S8_S8_EEEEPS9_S9_NSD_9__find_if7functorIS9_EEEE10hipError_tPvRmT1_T2_T3_mT4_P12ihipStream_tbEUlT_E1_NS1_11comp_targetILNS1_3genE5ELNS1_11target_archE942ELNS1_3gpuE9ELNS1_3repE0EEENS1_30default_config_static_selectorELNS0_4arch9wavefront6targetE1EEEvS14_,comdat
	.protected	_ZN7rocprim17ROCPRIM_400000_NS6detail17trampoline_kernelINS0_14default_configENS1_22reduce_config_selectorIN6thrust23THRUST_200600_302600_NS5tupleIblNS6_9null_typeES8_S8_S8_S8_S8_S8_S8_EEEEZNS1_11reduce_implILb1ES3_NS6_12zip_iteratorINS7_INS6_11hip_rocprim26transform_input_iterator_tIbNSD_35transform_pair_of_input_iterators_tIbNS6_6detail15normal_iteratorINS6_10device_ptrIKfEEEESL_NS6_8equal_toIfEEEENSG_9not_fun_tINSD_8identityEEEEENSD_19counting_iterator_tIlEES8_S8_S8_S8_S8_S8_S8_S8_EEEEPS9_S9_NSD_9__find_if7functorIS9_EEEE10hipError_tPvRmT1_T2_T3_mT4_P12ihipStream_tbEUlT_E1_NS1_11comp_targetILNS1_3genE5ELNS1_11target_archE942ELNS1_3gpuE9ELNS1_3repE0EEENS1_30default_config_static_selectorELNS0_4arch9wavefront6targetE1EEEvS14_ ; -- Begin function _ZN7rocprim17ROCPRIM_400000_NS6detail17trampoline_kernelINS0_14default_configENS1_22reduce_config_selectorIN6thrust23THRUST_200600_302600_NS5tupleIblNS6_9null_typeES8_S8_S8_S8_S8_S8_S8_EEEEZNS1_11reduce_implILb1ES3_NS6_12zip_iteratorINS7_INS6_11hip_rocprim26transform_input_iterator_tIbNSD_35transform_pair_of_input_iterators_tIbNS6_6detail15normal_iteratorINS6_10device_ptrIKfEEEESL_NS6_8equal_toIfEEEENSG_9not_fun_tINSD_8identityEEEEENSD_19counting_iterator_tIlEES8_S8_S8_S8_S8_S8_S8_S8_EEEEPS9_S9_NSD_9__find_if7functorIS9_EEEE10hipError_tPvRmT1_T2_T3_mT4_P12ihipStream_tbEUlT_E1_NS1_11comp_targetILNS1_3genE5ELNS1_11target_archE942ELNS1_3gpuE9ELNS1_3repE0EEENS1_30default_config_static_selectorELNS0_4arch9wavefront6targetE1EEEvS14_
	.globl	_ZN7rocprim17ROCPRIM_400000_NS6detail17trampoline_kernelINS0_14default_configENS1_22reduce_config_selectorIN6thrust23THRUST_200600_302600_NS5tupleIblNS6_9null_typeES8_S8_S8_S8_S8_S8_S8_EEEEZNS1_11reduce_implILb1ES3_NS6_12zip_iteratorINS7_INS6_11hip_rocprim26transform_input_iterator_tIbNSD_35transform_pair_of_input_iterators_tIbNS6_6detail15normal_iteratorINS6_10device_ptrIKfEEEESL_NS6_8equal_toIfEEEENSG_9not_fun_tINSD_8identityEEEEENSD_19counting_iterator_tIlEES8_S8_S8_S8_S8_S8_S8_S8_EEEEPS9_S9_NSD_9__find_if7functorIS9_EEEE10hipError_tPvRmT1_T2_T3_mT4_P12ihipStream_tbEUlT_E1_NS1_11comp_targetILNS1_3genE5ELNS1_11target_archE942ELNS1_3gpuE9ELNS1_3repE0EEENS1_30default_config_static_selectorELNS0_4arch9wavefront6targetE1EEEvS14_
	.p2align	8
	.type	_ZN7rocprim17ROCPRIM_400000_NS6detail17trampoline_kernelINS0_14default_configENS1_22reduce_config_selectorIN6thrust23THRUST_200600_302600_NS5tupleIblNS6_9null_typeES8_S8_S8_S8_S8_S8_S8_EEEEZNS1_11reduce_implILb1ES3_NS6_12zip_iteratorINS7_INS6_11hip_rocprim26transform_input_iterator_tIbNSD_35transform_pair_of_input_iterators_tIbNS6_6detail15normal_iteratorINS6_10device_ptrIKfEEEESL_NS6_8equal_toIfEEEENSG_9not_fun_tINSD_8identityEEEEENSD_19counting_iterator_tIlEES8_S8_S8_S8_S8_S8_S8_S8_EEEEPS9_S9_NSD_9__find_if7functorIS9_EEEE10hipError_tPvRmT1_T2_T3_mT4_P12ihipStream_tbEUlT_E1_NS1_11comp_targetILNS1_3genE5ELNS1_11target_archE942ELNS1_3gpuE9ELNS1_3repE0EEENS1_30default_config_static_selectorELNS0_4arch9wavefront6targetE1EEEvS14_,@function
_ZN7rocprim17ROCPRIM_400000_NS6detail17trampoline_kernelINS0_14default_configENS1_22reduce_config_selectorIN6thrust23THRUST_200600_302600_NS5tupleIblNS6_9null_typeES8_S8_S8_S8_S8_S8_S8_EEEEZNS1_11reduce_implILb1ES3_NS6_12zip_iteratorINS7_INS6_11hip_rocprim26transform_input_iterator_tIbNSD_35transform_pair_of_input_iterators_tIbNS6_6detail15normal_iteratorINS6_10device_ptrIKfEEEESL_NS6_8equal_toIfEEEENSG_9not_fun_tINSD_8identityEEEEENSD_19counting_iterator_tIlEES8_S8_S8_S8_S8_S8_S8_S8_EEEEPS9_S9_NSD_9__find_if7functorIS9_EEEE10hipError_tPvRmT1_T2_T3_mT4_P12ihipStream_tbEUlT_E1_NS1_11comp_targetILNS1_3genE5ELNS1_11target_archE942ELNS1_3gpuE9ELNS1_3repE0EEENS1_30default_config_static_selectorELNS0_4arch9wavefront6targetE1EEEvS14_: ; @_ZN7rocprim17ROCPRIM_400000_NS6detail17trampoline_kernelINS0_14default_configENS1_22reduce_config_selectorIN6thrust23THRUST_200600_302600_NS5tupleIblNS6_9null_typeES8_S8_S8_S8_S8_S8_S8_EEEEZNS1_11reduce_implILb1ES3_NS6_12zip_iteratorINS7_INS6_11hip_rocprim26transform_input_iterator_tIbNSD_35transform_pair_of_input_iterators_tIbNS6_6detail15normal_iteratorINS6_10device_ptrIKfEEEESL_NS6_8equal_toIfEEEENSG_9not_fun_tINSD_8identityEEEEENSD_19counting_iterator_tIlEES8_S8_S8_S8_S8_S8_S8_S8_EEEEPS9_S9_NSD_9__find_if7functorIS9_EEEE10hipError_tPvRmT1_T2_T3_mT4_P12ihipStream_tbEUlT_E1_NS1_11comp_targetILNS1_3genE5ELNS1_11target_archE942ELNS1_3gpuE9ELNS1_3repE0EEENS1_30default_config_static_selectorELNS0_4arch9wavefront6targetE1EEEvS14_
; %bb.0:
	.section	.rodata,"a",@progbits
	.p2align	6, 0x0
	.amdhsa_kernel _ZN7rocprim17ROCPRIM_400000_NS6detail17trampoline_kernelINS0_14default_configENS1_22reduce_config_selectorIN6thrust23THRUST_200600_302600_NS5tupleIblNS6_9null_typeES8_S8_S8_S8_S8_S8_S8_EEEEZNS1_11reduce_implILb1ES3_NS6_12zip_iteratorINS7_INS6_11hip_rocprim26transform_input_iterator_tIbNSD_35transform_pair_of_input_iterators_tIbNS6_6detail15normal_iteratorINS6_10device_ptrIKfEEEESL_NS6_8equal_toIfEEEENSG_9not_fun_tINSD_8identityEEEEENSD_19counting_iterator_tIlEES8_S8_S8_S8_S8_S8_S8_S8_EEEEPS9_S9_NSD_9__find_if7functorIS9_EEEE10hipError_tPvRmT1_T2_T3_mT4_P12ihipStream_tbEUlT_E1_NS1_11comp_targetILNS1_3genE5ELNS1_11target_archE942ELNS1_3gpuE9ELNS1_3repE0EEENS1_30default_config_static_selectorELNS0_4arch9wavefront6targetE1EEEvS14_
		.amdhsa_group_segment_fixed_size 0
		.amdhsa_private_segment_fixed_size 0
		.amdhsa_kernarg_size 88
		.amdhsa_user_sgpr_count 2
		.amdhsa_user_sgpr_dispatch_ptr 0
		.amdhsa_user_sgpr_queue_ptr 0
		.amdhsa_user_sgpr_kernarg_segment_ptr 1
		.amdhsa_user_sgpr_dispatch_id 0
		.amdhsa_user_sgpr_kernarg_preload_length 0
		.amdhsa_user_sgpr_kernarg_preload_offset 0
		.amdhsa_user_sgpr_private_segment_size 0
		.amdhsa_uses_dynamic_stack 0
		.amdhsa_enable_private_segment 0
		.amdhsa_system_sgpr_workgroup_id_x 1
		.amdhsa_system_sgpr_workgroup_id_y 0
		.amdhsa_system_sgpr_workgroup_id_z 0
		.amdhsa_system_sgpr_workgroup_info 0
		.amdhsa_system_vgpr_workitem_id 0
		.amdhsa_next_free_vgpr 1
		.amdhsa_next_free_sgpr 0
		.amdhsa_accum_offset 4
		.amdhsa_reserve_vcc 0
		.amdhsa_float_round_mode_32 0
		.amdhsa_float_round_mode_16_64 0
		.amdhsa_float_denorm_mode_32 3
		.amdhsa_float_denorm_mode_16_64 3
		.amdhsa_dx10_clamp 1
		.amdhsa_ieee_mode 1
		.amdhsa_fp16_overflow 0
		.amdhsa_tg_split 0
		.amdhsa_exception_fp_ieee_invalid_op 0
		.amdhsa_exception_fp_denorm_src 0
		.amdhsa_exception_fp_ieee_div_zero 0
		.amdhsa_exception_fp_ieee_overflow 0
		.amdhsa_exception_fp_ieee_underflow 0
		.amdhsa_exception_fp_ieee_inexact 0
		.amdhsa_exception_int_div_zero 0
	.end_amdhsa_kernel
	.section	.text._ZN7rocprim17ROCPRIM_400000_NS6detail17trampoline_kernelINS0_14default_configENS1_22reduce_config_selectorIN6thrust23THRUST_200600_302600_NS5tupleIblNS6_9null_typeES8_S8_S8_S8_S8_S8_S8_EEEEZNS1_11reduce_implILb1ES3_NS6_12zip_iteratorINS7_INS6_11hip_rocprim26transform_input_iterator_tIbNSD_35transform_pair_of_input_iterators_tIbNS6_6detail15normal_iteratorINS6_10device_ptrIKfEEEESL_NS6_8equal_toIfEEEENSG_9not_fun_tINSD_8identityEEEEENSD_19counting_iterator_tIlEES8_S8_S8_S8_S8_S8_S8_S8_EEEEPS9_S9_NSD_9__find_if7functorIS9_EEEE10hipError_tPvRmT1_T2_T3_mT4_P12ihipStream_tbEUlT_E1_NS1_11comp_targetILNS1_3genE5ELNS1_11target_archE942ELNS1_3gpuE9ELNS1_3repE0EEENS1_30default_config_static_selectorELNS0_4arch9wavefront6targetE1EEEvS14_,"axG",@progbits,_ZN7rocprim17ROCPRIM_400000_NS6detail17trampoline_kernelINS0_14default_configENS1_22reduce_config_selectorIN6thrust23THRUST_200600_302600_NS5tupleIblNS6_9null_typeES8_S8_S8_S8_S8_S8_S8_EEEEZNS1_11reduce_implILb1ES3_NS6_12zip_iteratorINS7_INS6_11hip_rocprim26transform_input_iterator_tIbNSD_35transform_pair_of_input_iterators_tIbNS6_6detail15normal_iteratorINS6_10device_ptrIKfEEEESL_NS6_8equal_toIfEEEENSG_9not_fun_tINSD_8identityEEEEENSD_19counting_iterator_tIlEES8_S8_S8_S8_S8_S8_S8_S8_EEEEPS9_S9_NSD_9__find_if7functorIS9_EEEE10hipError_tPvRmT1_T2_T3_mT4_P12ihipStream_tbEUlT_E1_NS1_11comp_targetILNS1_3genE5ELNS1_11target_archE942ELNS1_3gpuE9ELNS1_3repE0EEENS1_30default_config_static_selectorELNS0_4arch9wavefront6targetE1EEEvS14_,comdat
.Lfunc_end369:
	.size	_ZN7rocprim17ROCPRIM_400000_NS6detail17trampoline_kernelINS0_14default_configENS1_22reduce_config_selectorIN6thrust23THRUST_200600_302600_NS5tupleIblNS6_9null_typeES8_S8_S8_S8_S8_S8_S8_EEEEZNS1_11reduce_implILb1ES3_NS6_12zip_iteratorINS7_INS6_11hip_rocprim26transform_input_iterator_tIbNSD_35transform_pair_of_input_iterators_tIbNS6_6detail15normal_iteratorINS6_10device_ptrIKfEEEESL_NS6_8equal_toIfEEEENSG_9not_fun_tINSD_8identityEEEEENSD_19counting_iterator_tIlEES8_S8_S8_S8_S8_S8_S8_S8_EEEEPS9_S9_NSD_9__find_if7functorIS9_EEEE10hipError_tPvRmT1_T2_T3_mT4_P12ihipStream_tbEUlT_E1_NS1_11comp_targetILNS1_3genE5ELNS1_11target_archE942ELNS1_3gpuE9ELNS1_3repE0EEENS1_30default_config_static_selectorELNS0_4arch9wavefront6targetE1EEEvS14_, .Lfunc_end369-_ZN7rocprim17ROCPRIM_400000_NS6detail17trampoline_kernelINS0_14default_configENS1_22reduce_config_selectorIN6thrust23THRUST_200600_302600_NS5tupleIblNS6_9null_typeES8_S8_S8_S8_S8_S8_S8_EEEEZNS1_11reduce_implILb1ES3_NS6_12zip_iteratorINS7_INS6_11hip_rocprim26transform_input_iterator_tIbNSD_35transform_pair_of_input_iterators_tIbNS6_6detail15normal_iteratorINS6_10device_ptrIKfEEEESL_NS6_8equal_toIfEEEENSG_9not_fun_tINSD_8identityEEEEENSD_19counting_iterator_tIlEES8_S8_S8_S8_S8_S8_S8_S8_EEEEPS9_S9_NSD_9__find_if7functorIS9_EEEE10hipError_tPvRmT1_T2_T3_mT4_P12ihipStream_tbEUlT_E1_NS1_11comp_targetILNS1_3genE5ELNS1_11target_archE942ELNS1_3gpuE9ELNS1_3repE0EEENS1_30default_config_static_selectorELNS0_4arch9wavefront6targetE1EEEvS14_
                                        ; -- End function
	.set _ZN7rocprim17ROCPRIM_400000_NS6detail17trampoline_kernelINS0_14default_configENS1_22reduce_config_selectorIN6thrust23THRUST_200600_302600_NS5tupleIblNS6_9null_typeES8_S8_S8_S8_S8_S8_S8_EEEEZNS1_11reduce_implILb1ES3_NS6_12zip_iteratorINS7_INS6_11hip_rocprim26transform_input_iterator_tIbNSD_35transform_pair_of_input_iterators_tIbNS6_6detail15normal_iteratorINS6_10device_ptrIKfEEEESL_NS6_8equal_toIfEEEENSG_9not_fun_tINSD_8identityEEEEENSD_19counting_iterator_tIlEES8_S8_S8_S8_S8_S8_S8_S8_EEEEPS9_S9_NSD_9__find_if7functorIS9_EEEE10hipError_tPvRmT1_T2_T3_mT4_P12ihipStream_tbEUlT_E1_NS1_11comp_targetILNS1_3genE5ELNS1_11target_archE942ELNS1_3gpuE9ELNS1_3repE0EEENS1_30default_config_static_selectorELNS0_4arch9wavefront6targetE1EEEvS14_.num_vgpr, 0
	.set _ZN7rocprim17ROCPRIM_400000_NS6detail17trampoline_kernelINS0_14default_configENS1_22reduce_config_selectorIN6thrust23THRUST_200600_302600_NS5tupleIblNS6_9null_typeES8_S8_S8_S8_S8_S8_S8_EEEEZNS1_11reduce_implILb1ES3_NS6_12zip_iteratorINS7_INS6_11hip_rocprim26transform_input_iterator_tIbNSD_35transform_pair_of_input_iterators_tIbNS6_6detail15normal_iteratorINS6_10device_ptrIKfEEEESL_NS6_8equal_toIfEEEENSG_9not_fun_tINSD_8identityEEEEENSD_19counting_iterator_tIlEES8_S8_S8_S8_S8_S8_S8_S8_EEEEPS9_S9_NSD_9__find_if7functorIS9_EEEE10hipError_tPvRmT1_T2_T3_mT4_P12ihipStream_tbEUlT_E1_NS1_11comp_targetILNS1_3genE5ELNS1_11target_archE942ELNS1_3gpuE9ELNS1_3repE0EEENS1_30default_config_static_selectorELNS0_4arch9wavefront6targetE1EEEvS14_.num_agpr, 0
	.set _ZN7rocprim17ROCPRIM_400000_NS6detail17trampoline_kernelINS0_14default_configENS1_22reduce_config_selectorIN6thrust23THRUST_200600_302600_NS5tupleIblNS6_9null_typeES8_S8_S8_S8_S8_S8_S8_EEEEZNS1_11reduce_implILb1ES3_NS6_12zip_iteratorINS7_INS6_11hip_rocprim26transform_input_iterator_tIbNSD_35transform_pair_of_input_iterators_tIbNS6_6detail15normal_iteratorINS6_10device_ptrIKfEEEESL_NS6_8equal_toIfEEEENSG_9not_fun_tINSD_8identityEEEEENSD_19counting_iterator_tIlEES8_S8_S8_S8_S8_S8_S8_S8_EEEEPS9_S9_NSD_9__find_if7functorIS9_EEEE10hipError_tPvRmT1_T2_T3_mT4_P12ihipStream_tbEUlT_E1_NS1_11comp_targetILNS1_3genE5ELNS1_11target_archE942ELNS1_3gpuE9ELNS1_3repE0EEENS1_30default_config_static_selectorELNS0_4arch9wavefront6targetE1EEEvS14_.numbered_sgpr, 0
	.set _ZN7rocprim17ROCPRIM_400000_NS6detail17trampoline_kernelINS0_14default_configENS1_22reduce_config_selectorIN6thrust23THRUST_200600_302600_NS5tupleIblNS6_9null_typeES8_S8_S8_S8_S8_S8_S8_EEEEZNS1_11reduce_implILb1ES3_NS6_12zip_iteratorINS7_INS6_11hip_rocprim26transform_input_iterator_tIbNSD_35transform_pair_of_input_iterators_tIbNS6_6detail15normal_iteratorINS6_10device_ptrIKfEEEESL_NS6_8equal_toIfEEEENSG_9not_fun_tINSD_8identityEEEEENSD_19counting_iterator_tIlEES8_S8_S8_S8_S8_S8_S8_S8_EEEEPS9_S9_NSD_9__find_if7functorIS9_EEEE10hipError_tPvRmT1_T2_T3_mT4_P12ihipStream_tbEUlT_E1_NS1_11comp_targetILNS1_3genE5ELNS1_11target_archE942ELNS1_3gpuE9ELNS1_3repE0EEENS1_30default_config_static_selectorELNS0_4arch9wavefront6targetE1EEEvS14_.num_named_barrier, 0
	.set _ZN7rocprim17ROCPRIM_400000_NS6detail17trampoline_kernelINS0_14default_configENS1_22reduce_config_selectorIN6thrust23THRUST_200600_302600_NS5tupleIblNS6_9null_typeES8_S8_S8_S8_S8_S8_S8_EEEEZNS1_11reduce_implILb1ES3_NS6_12zip_iteratorINS7_INS6_11hip_rocprim26transform_input_iterator_tIbNSD_35transform_pair_of_input_iterators_tIbNS6_6detail15normal_iteratorINS6_10device_ptrIKfEEEESL_NS6_8equal_toIfEEEENSG_9not_fun_tINSD_8identityEEEEENSD_19counting_iterator_tIlEES8_S8_S8_S8_S8_S8_S8_S8_EEEEPS9_S9_NSD_9__find_if7functorIS9_EEEE10hipError_tPvRmT1_T2_T3_mT4_P12ihipStream_tbEUlT_E1_NS1_11comp_targetILNS1_3genE5ELNS1_11target_archE942ELNS1_3gpuE9ELNS1_3repE0EEENS1_30default_config_static_selectorELNS0_4arch9wavefront6targetE1EEEvS14_.private_seg_size, 0
	.set _ZN7rocprim17ROCPRIM_400000_NS6detail17trampoline_kernelINS0_14default_configENS1_22reduce_config_selectorIN6thrust23THRUST_200600_302600_NS5tupleIblNS6_9null_typeES8_S8_S8_S8_S8_S8_S8_EEEEZNS1_11reduce_implILb1ES3_NS6_12zip_iteratorINS7_INS6_11hip_rocprim26transform_input_iterator_tIbNSD_35transform_pair_of_input_iterators_tIbNS6_6detail15normal_iteratorINS6_10device_ptrIKfEEEESL_NS6_8equal_toIfEEEENSG_9not_fun_tINSD_8identityEEEEENSD_19counting_iterator_tIlEES8_S8_S8_S8_S8_S8_S8_S8_EEEEPS9_S9_NSD_9__find_if7functorIS9_EEEE10hipError_tPvRmT1_T2_T3_mT4_P12ihipStream_tbEUlT_E1_NS1_11comp_targetILNS1_3genE5ELNS1_11target_archE942ELNS1_3gpuE9ELNS1_3repE0EEENS1_30default_config_static_selectorELNS0_4arch9wavefront6targetE1EEEvS14_.uses_vcc, 0
	.set _ZN7rocprim17ROCPRIM_400000_NS6detail17trampoline_kernelINS0_14default_configENS1_22reduce_config_selectorIN6thrust23THRUST_200600_302600_NS5tupleIblNS6_9null_typeES8_S8_S8_S8_S8_S8_S8_EEEEZNS1_11reduce_implILb1ES3_NS6_12zip_iteratorINS7_INS6_11hip_rocprim26transform_input_iterator_tIbNSD_35transform_pair_of_input_iterators_tIbNS6_6detail15normal_iteratorINS6_10device_ptrIKfEEEESL_NS6_8equal_toIfEEEENSG_9not_fun_tINSD_8identityEEEEENSD_19counting_iterator_tIlEES8_S8_S8_S8_S8_S8_S8_S8_EEEEPS9_S9_NSD_9__find_if7functorIS9_EEEE10hipError_tPvRmT1_T2_T3_mT4_P12ihipStream_tbEUlT_E1_NS1_11comp_targetILNS1_3genE5ELNS1_11target_archE942ELNS1_3gpuE9ELNS1_3repE0EEENS1_30default_config_static_selectorELNS0_4arch9wavefront6targetE1EEEvS14_.uses_flat_scratch, 0
	.set _ZN7rocprim17ROCPRIM_400000_NS6detail17trampoline_kernelINS0_14default_configENS1_22reduce_config_selectorIN6thrust23THRUST_200600_302600_NS5tupleIblNS6_9null_typeES8_S8_S8_S8_S8_S8_S8_EEEEZNS1_11reduce_implILb1ES3_NS6_12zip_iteratorINS7_INS6_11hip_rocprim26transform_input_iterator_tIbNSD_35transform_pair_of_input_iterators_tIbNS6_6detail15normal_iteratorINS6_10device_ptrIKfEEEESL_NS6_8equal_toIfEEEENSG_9not_fun_tINSD_8identityEEEEENSD_19counting_iterator_tIlEES8_S8_S8_S8_S8_S8_S8_S8_EEEEPS9_S9_NSD_9__find_if7functorIS9_EEEE10hipError_tPvRmT1_T2_T3_mT4_P12ihipStream_tbEUlT_E1_NS1_11comp_targetILNS1_3genE5ELNS1_11target_archE942ELNS1_3gpuE9ELNS1_3repE0EEENS1_30default_config_static_selectorELNS0_4arch9wavefront6targetE1EEEvS14_.has_dyn_sized_stack, 0
	.set _ZN7rocprim17ROCPRIM_400000_NS6detail17trampoline_kernelINS0_14default_configENS1_22reduce_config_selectorIN6thrust23THRUST_200600_302600_NS5tupleIblNS6_9null_typeES8_S8_S8_S8_S8_S8_S8_EEEEZNS1_11reduce_implILb1ES3_NS6_12zip_iteratorINS7_INS6_11hip_rocprim26transform_input_iterator_tIbNSD_35transform_pair_of_input_iterators_tIbNS6_6detail15normal_iteratorINS6_10device_ptrIKfEEEESL_NS6_8equal_toIfEEEENSG_9not_fun_tINSD_8identityEEEEENSD_19counting_iterator_tIlEES8_S8_S8_S8_S8_S8_S8_S8_EEEEPS9_S9_NSD_9__find_if7functorIS9_EEEE10hipError_tPvRmT1_T2_T3_mT4_P12ihipStream_tbEUlT_E1_NS1_11comp_targetILNS1_3genE5ELNS1_11target_archE942ELNS1_3gpuE9ELNS1_3repE0EEENS1_30default_config_static_selectorELNS0_4arch9wavefront6targetE1EEEvS14_.has_recursion, 0
	.set _ZN7rocprim17ROCPRIM_400000_NS6detail17trampoline_kernelINS0_14default_configENS1_22reduce_config_selectorIN6thrust23THRUST_200600_302600_NS5tupleIblNS6_9null_typeES8_S8_S8_S8_S8_S8_S8_EEEEZNS1_11reduce_implILb1ES3_NS6_12zip_iteratorINS7_INS6_11hip_rocprim26transform_input_iterator_tIbNSD_35transform_pair_of_input_iterators_tIbNS6_6detail15normal_iteratorINS6_10device_ptrIKfEEEESL_NS6_8equal_toIfEEEENSG_9not_fun_tINSD_8identityEEEEENSD_19counting_iterator_tIlEES8_S8_S8_S8_S8_S8_S8_S8_EEEEPS9_S9_NSD_9__find_if7functorIS9_EEEE10hipError_tPvRmT1_T2_T3_mT4_P12ihipStream_tbEUlT_E1_NS1_11comp_targetILNS1_3genE5ELNS1_11target_archE942ELNS1_3gpuE9ELNS1_3repE0EEENS1_30default_config_static_selectorELNS0_4arch9wavefront6targetE1EEEvS14_.has_indirect_call, 0
	.section	.AMDGPU.csdata,"",@progbits
; Kernel info:
; codeLenInByte = 0
; TotalNumSgprs: 6
; NumVgprs: 0
; NumAgprs: 0
; TotalNumVgprs: 0
; ScratchSize: 0
; MemoryBound: 0
; FloatMode: 240
; IeeeMode: 1
; LDSByteSize: 0 bytes/workgroup (compile time only)
; SGPRBlocks: 0
; VGPRBlocks: 0
; NumSGPRsForWavesPerEU: 6
; NumVGPRsForWavesPerEU: 1
; AccumOffset: 4
; Occupancy: 8
; WaveLimiterHint : 0
; COMPUTE_PGM_RSRC2:SCRATCH_EN: 0
; COMPUTE_PGM_RSRC2:USER_SGPR: 2
; COMPUTE_PGM_RSRC2:TRAP_HANDLER: 0
; COMPUTE_PGM_RSRC2:TGID_X_EN: 1
; COMPUTE_PGM_RSRC2:TGID_Y_EN: 0
; COMPUTE_PGM_RSRC2:TGID_Z_EN: 0
; COMPUTE_PGM_RSRC2:TIDIG_COMP_CNT: 0
; COMPUTE_PGM_RSRC3_GFX90A:ACCUM_OFFSET: 0
; COMPUTE_PGM_RSRC3_GFX90A:TG_SPLIT: 0
	.section	.text._ZN7rocprim17ROCPRIM_400000_NS6detail17trampoline_kernelINS0_14default_configENS1_22reduce_config_selectorIN6thrust23THRUST_200600_302600_NS5tupleIblNS6_9null_typeES8_S8_S8_S8_S8_S8_S8_EEEEZNS1_11reduce_implILb1ES3_NS6_12zip_iteratorINS7_INS6_11hip_rocprim26transform_input_iterator_tIbNSD_35transform_pair_of_input_iterators_tIbNS6_6detail15normal_iteratorINS6_10device_ptrIKfEEEESL_NS6_8equal_toIfEEEENSG_9not_fun_tINSD_8identityEEEEENSD_19counting_iterator_tIlEES8_S8_S8_S8_S8_S8_S8_S8_EEEEPS9_S9_NSD_9__find_if7functorIS9_EEEE10hipError_tPvRmT1_T2_T3_mT4_P12ihipStream_tbEUlT_E1_NS1_11comp_targetILNS1_3genE4ELNS1_11target_archE910ELNS1_3gpuE8ELNS1_3repE0EEENS1_30default_config_static_selectorELNS0_4arch9wavefront6targetE1EEEvS14_,"axG",@progbits,_ZN7rocprim17ROCPRIM_400000_NS6detail17trampoline_kernelINS0_14default_configENS1_22reduce_config_selectorIN6thrust23THRUST_200600_302600_NS5tupleIblNS6_9null_typeES8_S8_S8_S8_S8_S8_S8_EEEEZNS1_11reduce_implILb1ES3_NS6_12zip_iteratorINS7_INS6_11hip_rocprim26transform_input_iterator_tIbNSD_35transform_pair_of_input_iterators_tIbNS6_6detail15normal_iteratorINS6_10device_ptrIKfEEEESL_NS6_8equal_toIfEEEENSG_9not_fun_tINSD_8identityEEEEENSD_19counting_iterator_tIlEES8_S8_S8_S8_S8_S8_S8_S8_EEEEPS9_S9_NSD_9__find_if7functorIS9_EEEE10hipError_tPvRmT1_T2_T3_mT4_P12ihipStream_tbEUlT_E1_NS1_11comp_targetILNS1_3genE4ELNS1_11target_archE910ELNS1_3gpuE8ELNS1_3repE0EEENS1_30default_config_static_selectorELNS0_4arch9wavefront6targetE1EEEvS14_,comdat
	.protected	_ZN7rocprim17ROCPRIM_400000_NS6detail17trampoline_kernelINS0_14default_configENS1_22reduce_config_selectorIN6thrust23THRUST_200600_302600_NS5tupleIblNS6_9null_typeES8_S8_S8_S8_S8_S8_S8_EEEEZNS1_11reduce_implILb1ES3_NS6_12zip_iteratorINS7_INS6_11hip_rocprim26transform_input_iterator_tIbNSD_35transform_pair_of_input_iterators_tIbNS6_6detail15normal_iteratorINS6_10device_ptrIKfEEEESL_NS6_8equal_toIfEEEENSG_9not_fun_tINSD_8identityEEEEENSD_19counting_iterator_tIlEES8_S8_S8_S8_S8_S8_S8_S8_EEEEPS9_S9_NSD_9__find_if7functorIS9_EEEE10hipError_tPvRmT1_T2_T3_mT4_P12ihipStream_tbEUlT_E1_NS1_11comp_targetILNS1_3genE4ELNS1_11target_archE910ELNS1_3gpuE8ELNS1_3repE0EEENS1_30default_config_static_selectorELNS0_4arch9wavefront6targetE1EEEvS14_ ; -- Begin function _ZN7rocprim17ROCPRIM_400000_NS6detail17trampoline_kernelINS0_14default_configENS1_22reduce_config_selectorIN6thrust23THRUST_200600_302600_NS5tupleIblNS6_9null_typeES8_S8_S8_S8_S8_S8_S8_EEEEZNS1_11reduce_implILb1ES3_NS6_12zip_iteratorINS7_INS6_11hip_rocprim26transform_input_iterator_tIbNSD_35transform_pair_of_input_iterators_tIbNS6_6detail15normal_iteratorINS6_10device_ptrIKfEEEESL_NS6_8equal_toIfEEEENSG_9not_fun_tINSD_8identityEEEEENSD_19counting_iterator_tIlEES8_S8_S8_S8_S8_S8_S8_S8_EEEEPS9_S9_NSD_9__find_if7functorIS9_EEEE10hipError_tPvRmT1_T2_T3_mT4_P12ihipStream_tbEUlT_E1_NS1_11comp_targetILNS1_3genE4ELNS1_11target_archE910ELNS1_3gpuE8ELNS1_3repE0EEENS1_30default_config_static_selectorELNS0_4arch9wavefront6targetE1EEEvS14_
	.globl	_ZN7rocprim17ROCPRIM_400000_NS6detail17trampoline_kernelINS0_14default_configENS1_22reduce_config_selectorIN6thrust23THRUST_200600_302600_NS5tupleIblNS6_9null_typeES8_S8_S8_S8_S8_S8_S8_EEEEZNS1_11reduce_implILb1ES3_NS6_12zip_iteratorINS7_INS6_11hip_rocprim26transform_input_iterator_tIbNSD_35transform_pair_of_input_iterators_tIbNS6_6detail15normal_iteratorINS6_10device_ptrIKfEEEESL_NS6_8equal_toIfEEEENSG_9not_fun_tINSD_8identityEEEEENSD_19counting_iterator_tIlEES8_S8_S8_S8_S8_S8_S8_S8_EEEEPS9_S9_NSD_9__find_if7functorIS9_EEEE10hipError_tPvRmT1_T2_T3_mT4_P12ihipStream_tbEUlT_E1_NS1_11comp_targetILNS1_3genE4ELNS1_11target_archE910ELNS1_3gpuE8ELNS1_3repE0EEENS1_30default_config_static_selectorELNS0_4arch9wavefront6targetE1EEEvS14_
	.p2align	8
	.type	_ZN7rocprim17ROCPRIM_400000_NS6detail17trampoline_kernelINS0_14default_configENS1_22reduce_config_selectorIN6thrust23THRUST_200600_302600_NS5tupleIblNS6_9null_typeES8_S8_S8_S8_S8_S8_S8_EEEEZNS1_11reduce_implILb1ES3_NS6_12zip_iteratorINS7_INS6_11hip_rocprim26transform_input_iterator_tIbNSD_35transform_pair_of_input_iterators_tIbNS6_6detail15normal_iteratorINS6_10device_ptrIKfEEEESL_NS6_8equal_toIfEEEENSG_9not_fun_tINSD_8identityEEEEENSD_19counting_iterator_tIlEES8_S8_S8_S8_S8_S8_S8_S8_EEEEPS9_S9_NSD_9__find_if7functorIS9_EEEE10hipError_tPvRmT1_T2_T3_mT4_P12ihipStream_tbEUlT_E1_NS1_11comp_targetILNS1_3genE4ELNS1_11target_archE910ELNS1_3gpuE8ELNS1_3repE0EEENS1_30default_config_static_selectorELNS0_4arch9wavefront6targetE1EEEvS14_,@function
_ZN7rocprim17ROCPRIM_400000_NS6detail17trampoline_kernelINS0_14default_configENS1_22reduce_config_selectorIN6thrust23THRUST_200600_302600_NS5tupleIblNS6_9null_typeES8_S8_S8_S8_S8_S8_S8_EEEEZNS1_11reduce_implILb1ES3_NS6_12zip_iteratorINS7_INS6_11hip_rocprim26transform_input_iterator_tIbNSD_35transform_pair_of_input_iterators_tIbNS6_6detail15normal_iteratorINS6_10device_ptrIKfEEEESL_NS6_8equal_toIfEEEENSG_9not_fun_tINSD_8identityEEEEENSD_19counting_iterator_tIlEES8_S8_S8_S8_S8_S8_S8_S8_EEEEPS9_S9_NSD_9__find_if7functorIS9_EEEE10hipError_tPvRmT1_T2_T3_mT4_P12ihipStream_tbEUlT_E1_NS1_11comp_targetILNS1_3genE4ELNS1_11target_archE910ELNS1_3gpuE8ELNS1_3repE0EEENS1_30default_config_static_selectorELNS0_4arch9wavefront6targetE1EEEvS14_: ; @_ZN7rocprim17ROCPRIM_400000_NS6detail17trampoline_kernelINS0_14default_configENS1_22reduce_config_selectorIN6thrust23THRUST_200600_302600_NS5tupleIblNS6_9null_typeES8_S8_S8_S8_S8_S8_S8_EEEEZNS1_11reduce_implILb1ES3_NS6_12zip_iteratorINS7_INS6_11hip_rocprim26transform_input_iterator_tIbNSD_35transform_pair_of_input_iterators_tIbNS6_6detail15normal_iteratorINS6_10device_ptrIKfEEEESL_NS6_8equal_toIfEEEENSG_9not_fun_tINSD_8identityEEEEENSD_19counting_iterator_tIlEES8_S8_S8_S8_S8_S8_S8_S8_EEEEPS9_S9_NSD_9__find_if7functorIS9_EEEE10hipError_tPvRmT1_T2_T3_mT4_P12ihipStream_tbEUlT_E1_NS1_11comp_targetILNS1_3genE4ELNS1_11target_archE910ELNS1_3gpuE8ELNS1_3repE0EEENS1_30default_config_static_selectorELNS0_4arch9wavefront6targetE1EEEvS14_
; %bb.0:
	.section	.rodata,"a",@progbits
	.p2align	6, 0x0
	.amdhsa_kernel _ZN7rocprim17ROCPRIM_400000_NS6detail17trampoline_kernelINS0_14default_configENS1_22reduce_config_selectorIN6thrust23THRUST_200600_302600_NS5tupleIblNS6_9null_typeES8_S8_S8_S8_S8_S8_S8_EEEEZNS1_11reduce_implILb1ES3_NS6_12zip_iteratorINS7_INS6_11hip_rocprim26transform_input_iterator_tIbNSD_35transform_pair_of_input_iterators_tIbNS6_6detail15normal_iteratorINS6_10device_ptrIKfEEEESL_NS6_8equal_toIfEEEENSG_9not_fun_tINSD_8identityEEEEENSD_19counting_iterator_tIlEES8_S8_S8_S8_S8_S8_S8_S8_EEEEPS9_S9_NSD_9__find_if7functorIS9_EEEE10hipError_tPvRmT1_T2_T3_mT4_P12ihipStream_tbEUlT_E1_NS1_11comp_targetILNS1_3genE4ELNS1_11target_archE910ELNS1_3gpuE8ELNS1_3repE0EEENS1_30default_config_static_selectorELNS0_4arch9wavefront6targetE1EEEvS14_
		.amdhsa_group_segment_fixed_size 0
		.amdhsa_private_segment_fixed_size 0
		.amdhsa_kernarg_size 88
		.amdhsa_user_sgpr_count 2
		.amdhsa_user_sgpr_dispatch_ptr 0
		.amdhsa_user_sgpr_queue_ptr 0
		.amdhsa_user_sgpr_kernarg_segment_ptr 1
		.amdhsa_user_sgpr_dispatch_id 0
		.amdhsa_user_sgpr_kernarg_preload_length 0
		.amdhsa_user_sgpr_kernarg_preload_offset 0
		.amdhsa_user_sgpr_private_segment_size 0
		.amdhsa_uses_dynamic_stack 0
		.amdhsa_enable_private_segment 0
		.amdhsa_system_sgpr_workgroup_id_x 1
		.amdhsa_system_sgpr_workgroup_id_y 0
		.amdhsa_system_sgpr_workgroup_id_z 0
		.amdhsa_system_sgpr_workgroup_info 0
		.amdhsa_system_vgpr_workitem_id 0
		.amdhsa_next_free_vgpr 1
		.amdhsa_next_free_sgpr 0
		.amdhsa_accum_offset 4
		.amdhsa_reserve_vcc 0
		.amdhsa_float_round_mode_32 0
		.amdhsa_float_round_mode_16_64 0
		.amdhsa_float_denorm_mode_32 3
		.amdhsa_float_denorm_mode_16_64 3
		.amdhsa_dx10_clamp 1
		.amdhsa_ieee_mode 1
		.amdhsa_fp16_overflow 0
		.amdhsa_tg_split 0
		.amdhsa_exception_fp_ieee_invalid_op 0
		.amdhsa_exception_fp_denorm_src 0
		.amdhsa_exception_fp_ieee_div_zero 0
		.amdhsa_exception_fp_ieee_overflow 0
		.amdhsa_exception_fp_ieee_underflow 0
		.amdhsa_exception_fp_ieee_inexact 0
		.amdhsa_exception_int_div_zero 0
	.end_amdhsa_kernel
	.section	.text._ZN7rocprim17ROCPRIM_400000_NS6detail17trampoline_kernelINS0_14default_configENS1_22reduce_config_selectorIN6thrust23THRUST_200600_302600_NS5tupleIblNS6_9null_typeES8_S8_S8_S8_S8_S8_S8_EEEEZNS1_11reduce_implILb1ES3_NS6_12zip_iteratorINS7_INS6_11hip_rocprim26transform_input_iterator_tIbNSD_35transform_pair_of_input_iterators_tIbNS6_6detail15normal_iteratorINS6_10device_ptrIKfEEEESL_NS6_8equal_toIfEEEENSG_9not_fun_tINSD_8identityEEEEENSD_19counting_iterator_tIlEES8_S8_S8_S8_S8_S8_S8_S8_EEEEPS9_S9_NSD_9__find_if7functorIS9_EEEE10hipError_tPvRmT1_T2_T3_mT4_P12ihipStream_tbEUlT_E1_NS1_11comp_targetILNS1_3genE4ELNS1_11target_archE910ELNS1_3gpuE8ELNS1_3repE0EEENS1_30default_config_static_selectorELNS0_4arch9wavefront6targetE1EEEvS14_,"axG",@progbits,_ZN7rocprim17ROCPRIM_400000_NS6detail17trampoline_kernelINS0_14default_configENS1_22reduce_config_selectorIN6thrust23THRUST_200600_302600_NS5tupleIblNS6_9null_typeES8_S8_S8_S8_S8_S8_S8_EEEEZNS1_11reduce_implILb1ES3_NS6_12zip_iteratorINS7_INS6_11hip_rocprim26transform_input_iterator_tIbNSD_35transform_pair_of_input_iterators_tIbNS6_6detail15normal_iteratorINS6_10device_ptrIKfEEEESL_NS6_8equal_toIfEEEENSG_9not_fun_tINSD_8identityEEEEENSD_19counting_iterator_tIlEES8_S8_S8_S8_S8_S8_S8_S8_EEEEPS9_S9_NSD_9__find_if7functorIS9_EEEE10hipError_tPvRmT1_T2_T3_mT4_P12ihipStream_tbEUlT_E1_NS1_11comp_targetILNS1_3genE4ELNS1_11target_archE910ELNS1_3gpuE8ELNS1_3repE0EEENS1_30default_config_static_selectorELNS0_4arch9wavefront6targetE1EEEvS14_,comdat
.Lfunc_end370:
	.size	_ZN7rocprim17ROCPRIM_400000_NS6detail17trampoline_kernelINS0_14default_configENS1_22reduce_config_selectorIN6thrust23THRUST_200600_302600_NS5tupleIblNS6_9null_typeES8_S8_S8_S8_S8_S8_S8_EEEEZNS1_11reduce_implILb1ES3_NS6_12zip_iteratorINS7_INS6_11hip_rocprim26transform_input_iterator_tIbNSD_35transform_pair_of_input_iterators_tIbNS6_6detail15normal_iteratorINS6_10device_ptrIKfEEEESL_NS6_8equal_toIfEEEENSG_9not_fun_tINSD_8identityEEEEENSD_19counting_iterator_tIlEES8_S8_S8_S8_S8_S8_S8_S8_EEEEPS9_S9_NSD_9__find_if7functorIS9_EEEE10hipError_tPvRmT1_T2_T3_mT4_P12ihipStream_tbEUlT_E1_NS1_11comp_targetILNS1_3genE4ELNS1_11target_archE910ELNS1_3gpuE8ELNS1_3repE0EEENS1_30default_config_static_selectorELNS0_4arch9wavefront6targetE1EEEvS14_, .Lfunc_end370-_ZN7rocprim17ROCPRIM_400000_NS6detail17trampoline_kernelINS0_14default_configENS1_22reduce_config_selectorIN6thrust23THRUST_200600_302600_NS5tupleIblNS6_9null_typeES8_S8_S8_S8_S8_S8_S8_EEEEZNS1_11reduce_implILb1ES3_NS6_12zip_iteratorINS7_INS6_11hip_rocprim26transform_input_iterator_tIbNSD_35transform_pair_of_input_iterators_tIbNS6_6detail15normal_iteratorINS6_10device_ptrIKfEEEESL_NS6_8equal_toIfEEEENSG_9not_fun_tINSD_8identityEEEEENSD_19counting_iterator_tIlEES8_S8_S8_S8_S8_S8_S8_S8_EEEEPS9_S9_NSD_9__find_if7functorIS9_EEEE10hipError_tPvRmT1_T2_T3_mT4_P12ihipStream_tbEUlT_E1_NS1_11comp_targetILNS1_3genE4ELNS1_11target_archE910ELNS1_3gpuE8ELNS1_3repE0EEENS1_30default_config_static_selectorELNS0_4arch9wavefront6targetE1EEEvS14_
                                        ; -- End function
	.set _ZN7rocprim17ROCPRIM_400000_NS6detail17trampoline_kernelINS0_14default_configENS1_22reduce_config_selectorIN6thrust23THRUST_200600_302600_NS5tupleIblNS6_9null_typeES8_S8_S8_S8_S8_S8_S8_EEEEZNS1_11reduce_implILb1ES3_NS6_12zip_iteratorINS7_INS6_11hip_rocprim26transform_input_iterator_tIbNSD_35transform_pair_of_input_iterators_tIbNS6_6detail15normal_iteratorINS6_10device_ptrIKfEEEESL_NS6_8equal_toIfEEEENSG_9not_fun_tINSD_8identityEEEEENSD_19counting_iterator_tIlEES8_S8_S8_S8_S8_S8_S8_S8_EEEEPS9_S9_NSD_9__find_if7functorIS9_EEEE10hipError_tPvRmT1_T2_T3_mT4_P12ihipStream_tbEUlT_E1_NS1_11comp_targetILNS1_3genE4ELNS1_11target_archE910ELNS1_3gpuE8ELNS1_3repE0EEENS1_30default_config_static_selectorELNS0_4arch9wavefront6targetE1EEEvS14_.num_vgpr, 0
	.set _ZN7rocprim17ROCPRIM_400000_NS6detail17trampoline_kernelINS0_14default_configENS1_22reduce_config_selectorIN6thrust23THRUST_200600_302600_NS5tupleIblNS6_9null_typeES8_S8_S8_S8_S8_S8_S8_EEEEZNS1_11reduce_implILb1ES3_NS6_12zip_iteratorINS7_INS6_11hip_rocprim26transform_input_iterator_tIbNSD_35transform_pair_of_input_iterators_tIbNS6_6detail15normal_iteratorINS6_10device_ptrIKfEEEESL_NS6_8equal_toIfEEEENSG_9not_fun_tINSD_8identityEEEEENSD_19counting_iterator_tIlEES8_S8_S8_S8_S8_S8_S8_S8_EEEEPS9_S9_NSD_9__find_if7functorIS9_EEEE10hipError_tPvRmT1_T2_T3_mT4_P12ihipStream_tbEUlT_E1_NS1_11comp_targetILNS1_3genE4ELNS1_11target_archE910ELNS1_3gpuE8ELNS1_3repE0EEENS1_30default_config_static_selectorELNS0_4arch9wavefront6targetE1EEEvS14_.num_agpr, 0
	.set _ZN7rocprim17ROCPRIM_400000_NS6detail17trampoline_kernelINS0_14default_configENS1_22reduce_config_selectorIN6thrust23THRUST_200600_302600_NS5tupleIblNS6_9null_typeES8_S8_S8_S8_S8_S8_S8_EEEEZNS1_11reduce_implILb1ES3_NS6_12zip_iteratorINS7_INS6_11hip_rocprim26transform_input_iterator_tIbNSD_35transform_pair_of_input_iterators_tIbNS6_6detail15normal_iteratorINS6_10device_ptrIKfEEEESL_NS6_8equal_toIfEEEENSG_9not_fun_tINSD_8identityEEEEENSD_19counting_iterator_tIlEES8_S8_S8_S8_S8_S8_S8_S8_EEEEPS9_S9_NSD_9__find_if7functorIS9_EEEE10hipError_tPvRmT1_T2_T3_mT4_P12ihipStream_tbEUlT_E1_NS1_11comp_targetILNS1_3genE4ELNS1_11target_archE910ELNS1_3gpuE8ELNS1_3repE0EEENS1_30default_config_static_selectorELNS0_4arch9wavefront6targetE1EEEvS14_.numbered_sgpr, 0
	.set _ZN7rocprim17ROCPRIM_400000_NS6detail17trampoline_kernelINS0_14default_configENS1_22reduce_config_selectorIN6thrust23THRUST_200600_302600_NS5tupleIblNS6_9null_typeES8_S8_S8_S8_S8_S8_S8_EEEEZNS1_11reduce_implILb1ES3_NS6_12zip_iteratorINS7_INS6_11hip_rocprim26transform_input_iterator_tIbNSD_35transform_pair_of_input_iterators_tIbNS6_6detail15normal_iteratorINS6_10device_ptrIKfEEEESL_NS6_8equal_toIfEEEENSG_9not_fun_tINSD_8identityEEEEENSD_19counting_iterator_tIlEES8_S8_S8_S8_S8_S8_S8_S8_EEEEPS9_S9_NSD_9__find_if7functorIS9_EEEE10hipError_tPvRmT1_T2_T3_mT4_P12ihipStream_tbEUlT_E1_NS1_11comp_targetILNS1_3genE4ELNS1_11target_archE910ELNS1_3gpuE8ELNS1_3repE0EEENS1_30default_config_static_selectorELNS0_4arch9wavefront6targetE1EEEvS14_.num_named_barrier, 0
	.set _ZN7rocprim17ROCPRIM_400000_NS6detail17trampoline_kernelINS0_14default_configENS1_22reduce_config_selectorIN6thrust23THRUST_200600_302600_NS5tupleIblNS6_9null_typeES8_S8_S8_S8_S8_S8_S8_EEEEZNS1_11reduce_implILb1ES3_NS6_12zip_iteratorINS7_INS6_11hip_rocprim26transform_input_iterator_tIbNSD_35transform_pair_of_input_iterators_tIbNS6_6detail15normal_iteratorINS6_10device_ptrIKfEEEESL_NS6_8equal_toIfEEEENSG_9not_fun_tINSD_8identityEEEEENSD_19counting_iterator_tIlEES8_S8_S8_S8_S8_S8_S8_S8_EEEEPS9_S9_NSD_9__find_if7functorIS9_EEEE10hipError_tPvRmT1_T2_T3_mT4_P12ihipStream_tbEUlT_E1_NS1_11comp_targetILNS1_3genE4ELNS1_11target_archE910ELNS1_3gpuE8ELNS1_3repE0EEENS1_30default_config_static_selectorELNS0_4arch9wavefront6targetE1EEEvS14_.private_seg_size, 0
	.set _ZN7rocprim17ROCPRIM_400000_NS6detail17trampoline_kernelINS0_14default_configENS1_22reduce_config_selectorIN6thrust23THRUST_200600_302600_NS5tupleIblNS6_9null_typeES8_S8_S8_S8_S8_S8_S8_EEEEZNS1_11reduce_implILb1ES3_NS6_12zip_iteratorINS7_INS6_11hip_rocprim26transform_input_iterator_tIbNSD_35transform_pair_of_input_iterators_tIbNS6_6detail15normal_iteratorINS6_10device_ptrIKfEEEESL_NS6_8equal_toIfEEEENSG_9not_fun_tINSD_8identityEEEEENSD_19counting_iterator_tIlEES8_S8_S8_S8_S8_S8_S8_S8_EEEEPS9_S9_NSD_9__find_if7functorIS9_EEEE10hipError_tPvRmT1_T2_T3_mT4_P12ihipStream_tbEUlT_E1_NS1_11comp_targetILNS1_3genE4ELNS1_11target_archE910ELNS1_3gpuE8ELNS1_3repE0EEENS1_30default_config_static_selectorELNS0_4arch9wavefront6targetE1EEEvS14_.uses_vcc, 0
	.set _ZN7rocprim17ROCPRIM_400000_NS6detail17trampoline_kernelINS0_14default_configENS1_22reduce_config_selectorIN6thrust23THRUST_200600_302600_NS5tupleIblNS6_9null_typeES8_S8_S8_S8_S8_S8_S8_EEEEZNS1_11reduce_implILb1ES3_NS6_12zip_iteratorINS7_INS6_11hip_rocprim26transform_input_iterator_tIbNSD_35transform_pair_of_input_iterators_tIbNS6_6detail15normal_iteratorINS6_10device_ptrIKfEEEESL_NS6_8equal_toIfEEEENSG_9not_fun_tINSD_8identityEEEEENSD_19counting_iterator_tIlEES8_S8_S8_S8_S8_S8_S8_S8_EEEEPS9_S9_NSD_9__find_if7functorIS9_EEEE10hipError_tPvRmT1_T2_T3_mT4_P12ihipStream_tbEUlT_E1_NS1_11comp_targetILNS1_3genE4ELNS1_11target_archE910ELNS1_3gpuE8ELNS1_3repE0EEENS1_30default_config_static_selectorELNS0_4arch9wavefront6targetE1EEEvS14_.uses_flat_scratch, 0
	.set _ZN7rocprim17ROCPRIM_400000_NS6detail17trampoline_kernelINS0_14default_configENS1_22reduce_config_selectorIN6thrust23THRUST_200600_302600_NS5tupleIblNS6_9null_typeES8_S8_S8_S8_S8_S8_S8_EEEEZNS1_11reduce_implILb1ES3_NS6_12zip_iteratorINS7_INS6_11hip_rocprim26transform_input_iterator_tIbNSD_35transform_pair_of_input_iterators_tIbNS6_6detail15normal_iteratorINS6_10device_ptrIKfEEEESL_NS6_8equal_toIfEEEENSG_9not_fun_tINSD_8identityEEEEENSD_19counting_iterator_tIlEES8_S8_S8_S8_S8_S8_S8_S8_EEEEPS9_S9_NSD_9__find_if7functorIS9_EEEE10hipError_tPvRmT1_T2_T3_mT4_P12ihipStream_tbEUlT_E1_NS1_11comp_targetILNS1_3genE4ELNS1_11target_archE910ELNS1_3gpuE8ELNS1_3repE0EEENS1_30default_config_static_selectorELNS0_4arch9wavefront6targetE1EEEvS14_.has_dyn_sized_stack, 0
	.set _ZN7rocprim17ROCPRIM_400000_NS6detail17trampoline_kernelINS0_14default_configENS1_22reduce_config_selectorIN6thrust23THRUST_200600_302600_NS5tupleIblNS6_9null_typeES8_S8_S8_S8_S8_S8_S8_EEEEZNS1_11reduce_implILb1ES3_NS6_12zip_iteratorINS7_INS6_11hip_rocprim26transform_input_iterator_tIbNSD_35transform_pair_of_input_iterators_tIbNS6_6detail15normal_iteratorINS6_10device_ptrIKfEEEESL_NS6_8equal_toIfEEEENSG_9not_fun_tINSD_8identityEEEEENSD_19counting_iterator_tIlEES8_S8_S8_S8_S8_S8_S8_S8_EEEEPS9_S9_NSD_9__find_if7functorIS9_EEEE10hipError_tPvRmT1_T2_T3_mT4_P12ihipStream_tbEUlT_E1_NS1_11comp_targetILNS1_3genE4ELNS1_11target_archE910ELNS1_3gpuE8ELNS1_3repE0EEENS1_30default_config_static_selectorELNS0_4arch9wavefront6targetE1EEEvS14_.has_recursion, 0
	.set _ZN7rocprim17ROCPRIM_400000_NS6detail17trampoline_kernelINS0_14default_configENS1_22reduce_config_selectorIN6thrust23THRUST_200600_302600_NS5tupleIblNS6_9null_typeES8_S8_S8_S8_S8_S8_S8_EEEEZNS1_11reduce_implILb1ES3_NS6_12zip_iteratorINS7_INS6_11hip_rocprim26transform_input_iterator_tIbNSD_35transform_pair_of_input_iterators_tIbNS6_6detail15normal_iteratorINS6_10device_ptrIKfEEEESL_NS6_8equal_toIfEEEENSG_9not_fun_tINSD_8identityEEEEENSD_19counting_iterator_tIlEES8_S8_S8_S8_S8_S8_S8_S8_EEEEPS9_S9_NSD_9__find_if7functorIS9_EEEE10hipError_tPvRmT1_T2_T3_mT4_P12ihipStream_tbEUlT_E1_NS1_11comp_targetILNS1_3genE4ELNS1_11target_archE910ELNS1_3gpuE8ELNS1_3repE0EEENS1_30default_config_static_selectorELNS0_4arch9wavefront6targetE1EEEvS14_.has_indirect_call, 0
	.section	.AMDGPU.csdata,"",@progbits
; Kernel info:
; codeLenInByte = 0
; TotalNumSgprs: 6
; NumVgprs: 0
; NumAgprs: 0
; TotalNumVgprs: 0
; ScratchSize: 0
; MemoryBound: 0
; FloatMode: 240
; IeeeMode: 1
; LDSByteSize: 0 bytes/workgroup (compile time only)
; SGPRBlocks: 0
; VGPRBlocks: 0
; NumSGPRsForWavesPerEU: 6
; NumVGPRsForWavesPerEU: 1
; AccumOffset: 4
; Occupancy: 8
; WaveLimiterHint : 0
; COMPUTE_PGM_RSRC2:SCRATCH_EN: 0
; COMPUTE_PGM_RSRC2:USER_SGPR: 2
; COMPUTE_PGM_RSRC2:TRAP_HANDLER: 0
; COMPUTE_PGM_RSRC2:TGID_X_EN: 1
; COMPUTE_PGM_RSRC2:TGID_Y_EN: 0
; COMPUTE_PGM_RSRC2:TGID_Z_EN: 0
; COMPUTE_PGM_RSRC2:TIDIG_COMP_CNT: 0
; COMPUTE_PGM_RSRC3_GFX90A:ACCUM_OFFSET: 0
; COMPUTE_PGM_RSRC3_GFX90A:TG_SPLIT: 0
	.section	.text._ZN7rocprim17ROCPRIM_400000_NS6detail17trampoline_kernelINS0_14default_configENS1_22reduce_config_selectorIN6thrust23THRUST_200600_302600_NS5tupleIblNS6_9null_typeES8_S8_S8_S8_S8_S8_S8_EEEEZNS1_11reduce_implILb1ES3_NS6_12zip_iteratorINS7_INS6_11hip_rocprim26transform_input_iterator_tIbNSD_35transform_pair_of_input_iterators_tIbNS6_6detail15normal_iteratorINS6_10device_ptrIKfEEEESL_NS6_8equal_toIfEEEENSG_9not_fun_tINSD_8identityEEEEENSD_19counting_iterator_tIlEES8_S8_S8_S8_S8_S8_S8_S8_EEEEPS9_S9_NSD_9__find_if7functorIS9_EEEE10hipError_tPvRmT1_T2_T3_mT4_P12ihipStream_tbEUlT_E1_NS1_11comp_targetILNS1_3genE3ELNS1_11target_archE908ELNS1_3gpuE7ELNS1_3repE0EEENS1_30default_config_static_selectorELNS0_4arch9wavefront6targetE1EEEvS14_,"axG",@progbits,_ZN7rocprim17ROCPRIM_400000_NS6detail17trampoline_kernelINS0_14default_configENS1_22reduce_config_selectorIN6thrust23THRUST_200600_302600_NS5tupleIblNS6_9null_typeES8_S8_S8_S8_S8_S8_S8_EEEEZNS1_11reduce_implILb1ES3_NS6_12zip_iteratorINS7_INS6_11hip_rocprim26transform_input_iterator_tIbNSD_35transform_pair_of_input_iterators_tIbNS6_6detail15normal_iteratorINS6_10device_ptrIKfEEEESL_NS6_8equal_toIfEEEENSG_9not_fun_tINSD_8identityEEEEENSD_19counting_iterator_tIlEES8_S8_S8_S8_S8_S8_S8_S8_EEEEPS9_S9_NSD_9__find_if7functorIS9_EEEE10hipError_tPvRmT1_T2_T3_mT4_P12ihipStream_tbEUlT_E1_NS1_11comp_targetILNS1_3genE3ELNS1_11target_archE908ELNS1_3gpuE7ELNS1_3repE0EEENS1_30default_config_static_selectorELNS0_4arch9wavefront6targetE1EEEvS14_,comdat
	.protected	_ZN7rocprim17ROCPRIM_400000_NS6detail17trampoline_kernelINS0_14default_configENS1_22reduce_config_selectorIN6thrust23THRUST_200600_302600_NS5tupleIblNS6_9null_typeES8_S8_S8_S8_S8_S8_S8_EEEEZNS1_11reduce_implILb1ES3_NS6_12zip_iteratorINS7_INS6_11hip_rocprim26transform_input_iterator_tIbNSD_35transform_pair_of_input_iterators_tIbNS6_6detail15normal_iteratorINS6_10device_ptrIKfEEEESL_NS6_8equal_toIfEEEENSG_9not_fun_tINSD_8identityEEEEENSD_19counting_iterator_tIlEES8_S8_S8_S8_S8_S8_S8_S8_EEEEPS9_S9_NSD_9__find_if7functorIS9_EEEE10hipError_tPvRmT1_T2_T3_mT4_P12ihipStream_tbEUlT_E1_NS1_11comp_targetILNS1_3genE3ELNS1_11target_archE908ELNS1_3gpuE7ELNS1_3repE0EEENS1_30default_config_static_selectorELNS0_4arch9wavefront6targetE1EEEvS14_ ; -- Begin function _ZN7rocprim17ROCPRIM_400000_NS6detail17trampoline_kernelINS0_14default_configENS1_22reduce_config_selectorIN6thrust23THRUST_200600_302600_NS5tupleIblNS6_9null_typeES8_S8_S8_S8_S8_S8_S8_EEEEZNS1_11reduce_implILb1ES3_NS6_12zip_iteratorINS7_INS6_11hip_rocprim26transform_input_iterator_tIbNSD_35transform_pair_of_input_iterators_tIbNS6_6detail15normal_iteratorINS6_10device_ptrIKfEEEESL_NS6_8equal_toIfEEEENSG_9not_fun_tINSD_8identityEEEEENSD_19counting_iterator_tIlEES8_S8_S8_S8_S8_S8_S8_S8_EEEEPS9_S9_NSD_9__find_if7functorIS9_EEEE10hipError_tPvRmT1_T2_T3_mT4_P12ihipStream_tbEUlT_E1_NS1_11comp_targetILNS1_3genE3ELNS1_11target_archE908ELNS1_3gpuE7ELNS1_3repE0EEENS1_30default_config_static_selectorELNS0_4arch9wavefront6targetE1EEEvS14_
	.globl	_ZN7rocprim17ROCPRIM_400000_NS6detail17trampoline_kernelINS0_14default_configENS1_22reduce_config_selectorIN6thrust23THRUST_200600_302600_NS5tupleIblNS6_9null_typeES8_S8_S8_S8_S8_S8_S8_EEEEZNS1_11reduce_implILb1ES3_NS6_12zip_iteratorINS7_INS6_11hip_rocprim26transform_input_iterator_tIbNSD_35transform_pair_of_input_iterators_tIbNS6_6detail15normal_iteratorINS6_10device_ptrIKfEEEESL_NS6_8equal_toIfEEEENSG_9not_fun_tINSD_8identityEEEEENSD_19counting_iterator_tIlEES8_S8_S8_S8_S8_S8_S8_S8_EEEEPS9_S9_NSD_9__find_if7functorIS9_EEEE10hipError_tPvRmT1_T2_T3_mT4_P12ihipStream_tbEUlT_E1_NS1_11comp_targetILNS1_3genE3ELNS1_11target_archE908ELNS1_3gpuE7ELNS1_3repE0EEENS1_30default_config_static_selectorELNS0_4arch9wavefront6targetE1EEEvS14_
	.p2align	8
	.type	_ZN7rocprim17ROCPRIM_400000_NS6detail17trampoline_kernelINS0_14default_configENS1_22reduce_config_selectorIN6thrust23THRUST_200600_302600_NS5tupleIblNS6_9null_typeES8_S8_S8_S8_S8_S8_S8_EEEEZNS1_11reduce_implILb1ES3_NS6_12zip_iteratorINS7_INS6_11hip_rocprim26transform_input_iterator_tIbNSD_35transform_pair_of_input_iterators_tIbNS6_6detail15normal_iteratorINS6_10device_ptrIKfEEEESL_NS6_8equal_toIfEEEENSG_9not_fun_tINSD_8identityEEEEENSD_19counting_iterator_tIlEES8_S8_S8_S8_S8_S8_S8_S8_EEEEPS9_S9_NSD_9__find_if7functorIS9_EEEE10hipError_tPvRmT1_T2_T3_mT4_P12ihipStream_tbEUlT_E1_NS1_11comp_targetILNS1_3genE3ELNS1_11target_archE908ELNS1_3gpuE7ELNS1_3repE0EEENS1_30default_config_static_selectorELNS0_4arch9wavefront6targetE1EEEvS14_,@function
_ZN7rocprim17ROCPRIM_400000_NS6detail17trampoline_kernelINS0_14default_configENS1_22reduce_config_selectorIN6thrust23THRUST_200600_302600_NS5tupleIblNS6_9null_typeES8_S8_S8_S8_S8_S8_S8_EEEEZNS1_11reduce_implILb1ES3_NS6_12zip_iteratorINS7_INS6_11hip_rocprim26transform_input_iterator_tIbNSD_35transform_pair_of_input_iterators_tIbNS6_6detail15normal_iteratorINS6_10device_ptrIKfEEEESL_NS6_8equal_toIfEEEENSG_9not_fun_tINSD_8identityEEEEENSD_19counting_iterator_tIlEES8_S8_S8_S8_S8_S8_S8_S8_EEEEPS9_S9_NSD_9__find_if7functorIS9_EEEE10hipError_tPvRmT1_T2_T3_mT4_P12ihipStream_tbEUlT_E1_NS1_11comp_targetILNS1_3genE3ELNS1_11target_archE908ELNS1_3gpuE7ELNS1_3repE0EEENS1_30default_config_static_selectorELNS0_4arch9wavefront6targetE1EEEvS14_: ; @_ZN7rocprim17ROCPRIM_400000_NS6detail17trampoline_kernelINS0_14default_configENS1_22reduce_config_selectorIN6thrust23THRUST_200600_302600_NS5tupleIblNS6_9null_typeES8_S8_S8_S8_S8_S8_S8_EEEEZNS1_11reduce_implILb1ES3_NS6_12zip_iteratorINS7_INS6_11hip_rocprim26transform_input_iterator_tIbNSD_35transform_pair_of_input_iterators_tIbNS6_6detail15normal_iteratorINS6_10device_ptrIKfEEEESL_NS6_8equal_toIfEEEENSG_9not_fun_tINSD_8identityEEEEENSD_19counting_iterator_tIlEES8_S8_S8_S8_S8_S8_S8_S8_EEEEPS9_S9_NSD_9__find_if7functorIS9_EEEE10hipError_tPvRmT1_T2_T3_mT4_P12ihipStream_tbEUlT_E1_NS1_11comp_targetILNS1_3genE3ELNS1_11target_archE908ELNS1_3gpuE7ELNS1_3repE0EEENS1_30default_config_static_selectorELNS0_4arch9wavefront6targetE1EEEvS14_
; %bb.0:
	.section	.rodata,"a",@progbits
	.p2align	6, 0x0
	.amdhsa_kernel _ZN7rocprim17ROCPRIM_400000_NS6detail17trampoline_kernelINS0_14default_configENS1_22reduce_config_selectorIN6thrust23THRUST_200600_302600_NS5tupleIblNS6_9null_typeES8_S8_S8_S8_S8_S8_S8_EEEEZNS1_11reduce_implILb1ES3_NS6_12zip_iteratorINS7_INS6_11hip_rocprim26transform_input_iterator_tIbNSD_35transform_pair_of_input_iterators_tIbNS6_6detail15normal_iteratorINS6_10device_ptrIKfEEEESL_NS6_8equal_toIfEEEENSG_9not_fun_tINSD_8identityEEEEENSD_19counting_iterator_tIlEES8_S8_S8_S8_S8_S8_S8_S8_EEEEPS9_S9_NSD_9__find_if7functorIS9_EEEE10hipError_tPvRmT1_T2_T3_mT4_P12ihipStream_tbEUlT_E1_NS1_11comp_targetILNS1_3genE3ELNS1_11target_archE908ELNS1_3gpuE7ELNS1_3repE0EEENS1_30default_config_static_selectorELNS0_4arch9wavefront6targetE1EEEvS14_
		.amdhsa_group_segment_fixed_size 0
		.amdhsa_private_segment_fixed_size 0
		.amdhsa_kernarg_size 88
		.amdhsa_user_sgpr_count 2
		.amdhsa_user_sgpr_dispatch_ptr 0
		.amdhsa_user_sgpr_queue_ptr 0
		.amdhsa_user_sgpr_kernarg_segment_ptr 1
		.amdhsa_user_sgpr_dispatch_id 0
		.amdhsa_user_sgpr_kernarg_preload_length 0
		.amdhsa_user_sgpr_kernarg_preload_offset 0
		.amdhsa_user_sgpr_private_segment_size 0
		.amdhsa_uses_dynamic_stack 0
		.amdhsa_enable_private_segment 0
		.amdhsa_system_sgpr_workgroup_id_x 1
		.amdhsa_system_sgpr_workgroup_id_y 0
		.amdhsa_system_sgpr_workgroup_id_z 0
		.amdhsa_system_sgpr_workgroup_info 0
		.amdhsa_system_vgpr_workitem_id 0
		.amdhsa_next_free_vgpr 1
		.amdhsa_next_free_sgpr 0
		.amdhsa_accum_offset 4
		.amdhsa_reserve_vcc 0
		.amdhsa_float_round_mode_32 0
		.amdhsa_float_round_mode_16_64 0
		.amdhsa_float_denorm_mode_32 3
		.amdhsa_float_denorm_mode_16_64 3
		.amdhsa_dx10_clamp 1
		.amdhsa_ieee_mode 1
		.amdhsa_fp16_overflow 0
		.amdhsa_tg_split 0
		.amdhsa_exception_fp_ieee_invalid_op 0
		.amdhsa_exception_fp_denorm_src 0
		.amdhsa_exception_fp_ieee_div_zero 0
		.amdhsa_exception_fp_ieee_overflow 0
		.amdhsa_exception_fp_ieee_underflow 0
		.amdhsa_exception_fp_ieee_inexact 0
		.amdhsa_exception_int_div_zero 0
	.end_amdhsa_kernel
	.section	.text._ZN7rocprim17ROCPRIM_400000_NS6detail17trampoline_kernelINS0_14default_configENS1_22reduce_config_selectorIN6thrust23THRUST_200600_302600_NS5tupleIblNS6_9null_typeES8_S8_S8_S8_S8_S8_S8_EEEEZNS1_11reduce_implILb1ES3_NS6_12zip_iteratorINS7_INS6_11hip_rocprim26transform_input_iterator_tIbNSD_35transform_pair_of_input_iterators_tIbNS6_6detail15normal_iteratorINS6_10device_ptrIKfEEEESL_NS6_8equal_toIfEEEENSG_9not_fun_tINSD_8identityEEEEENSD_19counting_iterator_tIlEES8_S8_S8_S8_S8_S8_S8_S8_EEEEPS9_S9_NSD_9__find_if7functorIS9_EEEE10hipError_tPvRmT1_T2_T3_mT4_P12ihipStream_tbEUlT_E1_NS1_11comp_targetILNS1_3genE3ELNS1_11target_archE908ELNS1_3gpuE7ELNS1_3repE0EEENS1_30default_config_static_selectorELNS0_4arch9wavefront6targetE1EEEvS14_,"axG",@progbits,_ZN7rocprim17ROCPRIM_400000_NS6detail17trampoline_kernelINS0_14default_configENS1_22reduce_config_selectorIN6thrust23THRUST_200600_302600_NS5tupleIblNS6_9null_typeES8_S8_S8_S8_S8_S8_S8_EEEEZNS1_11reduce_implILb1ES3_NS6_12zip_iteratorINS7_INS6_11hip_rocprim26transform_input_iterator_tIbNSD_35transform_pair_of_input_iterators_tIbNS6_6detail15normal_iteratorINS6_10device_ptrIKfEEEESL_NS6_8equal_toIfEEEENSG_9not_fun_tINSD_8identityEEEEENSD_19counting_iterator_tIlEES8_S8_S8_S8_S8_S8_S8_S8_EEEEPS9_S9_NSD_9__find_if7functorIS9_EEEE10hipError_tPvRmT1_T2_T3_mT4_P12ihipStream_tbEUlT_E1_NS1_11comp_targetILNS1_3genE3ELNS1_11target_archE908ELNS1_3gpuE7ELNS1_3repE0EEENS1_30default_config_static_selectorELNS0_4arch9wavefront6targetE1EEEvS14_,comdat
.Lfunc_end371:
	.size	_ZN7rocprim17ROCPRIM_400000_NS6detail17trampoline_kernelINS0_14default_configENS1_22reduce_config_selectorIN6thrust23THRUST_200600_302600_NS5tupleIblNS6_9null_typeES8_S8_S8_S8_S8_S8_S8_EEEEZNS1_11reduce_implILb1ES3_NS6_12zip_iteratorINS7_INS6_11hip_rocprim26transform_input_iterator_tIbNSD_35transform_pair_of_input_iterators_tIbNS6_6detail15normal_iteratorINS6_10device_ptrIKfEEEESL_NS6_8equal_toIfEEEENSG_9not_fun_tINSD_8identityEEEEENSD_19counting_iterator_tIlEES8_S8_S8_S8_S8_S8_S8_S8_EEEEPS9_S9_NSD_9__find_if7functorIS9_EEEE10hipError_tPvRmT1_T2_T3_mT4_P12ihipStream_tbEUlT_E1_NS1_11comp_targetILNS1_3genE3ELNS1_11target_archE908ELNS1_3gpuE7ELNS1_3repE0EEENS1_30default_config_static_selectorELNS0_4arch9wavefront6targetE1EEEvS14_, .Lfunc_end371-_ZN7rocprim17ROCPRIM_400000_NS6detail17trampoline_kernelINS0_14default_configENS1_22reduce_config_selectorIN6thrust23THRUST_200600_302600_NS5tupleIblNS6_9null_typeES8_S8_S8_S8_S8_S8_S8_EEEEZNS1_11reduce_implILb1ES3_NS6_12zip_iteratorINS7_INS6_11hip_rocprim26transform_input_iterator_tIbNSD_35transform_pair_of_input_iterators_tIbNS6_6detail15normal_iteratorINS6_10device_ptrIKfEEEESL_NS6_8equal_toIfEEEENSG_9not_fun_tINSD_8identityEEEEENSD_19counting_iterator_tIlEES8_S8_S8_S8_S8_S8_S8_S8_EEEEPS9_S9_NSD_9__find_if7functorIS9_EEEE10hipError_tPvRmT1_T2_T3_mT4_P12ihipStream_tbEUlT_E1_NS1_11comp_targetILNS1_3genE3ELNS1_11target_archE908ELNS1_3gpuE7ELNS1_3repE0EEENS1_30default_config_static_selectorELNS0_4arch9wavefront6targetE1EEEvS14_
                                        ; -- End function
	.set _ZN7rocprim17ROCPRIM_400000_NS6detail17trampoline_kernelINS0_14default_configENS1_22reduce_config_selectorIN6thrust23THRUST_200600_302600_NS5tupleIblNS6_9null_typeES8_S8_S8_S8_S8_S8_S8_EEEEZNS1_11reduce_implILb1ES3_NS6_12zip_iteratorINS7_INS6_11hip_rocprim26transform_input_iterator_tIbNSD_35transform_pair_of_input_iterators_tIbNS6_6detail15normal_iteratorINS6_10device_ptrIKfEEEESL_NS6_8equal_toIfEEEENSG_9not_fun_tINSD_8identityEEEEENSD_19counting_iterator_tIlEES8_S8_S8_S8_S8_S8_S8_S8_EEEEPS9_S9_NSD_9__find_if7functorIS9_EEEE10hipError_tPvRmT1_T2_T3_mT4_P12ihipStream_tbEUlT_E1_NS1_11comp_targetILNS1_3genE3ELNS1_11target_archE908ELNS1_3gpuE7ELNS1_3repE0EEENS1_30default_config_static_selectorELNS0_4arch9wavefront6targetE1EEEvS14_.num_vgpr, 0
	.set _ZN7rocprim17ROCPRIM_400000_NS6detail17trampoline_kernelINS0_14default_configENS1_22reduce_config_selectorIN6thrust23THRUST_200600_302600_NS5tupleIblNS6_9null_typeES8_S8_S8_S8_S8_S8_S8_EEEEZNS1_11reduce_implILb1ES3_NS6_12zip_iteratorINS7_INS6_11hip_rocprim26transform_input_iterator_tIbNSD_35transform_pair_of_input_iterators_tIbNS6_6detail15normal_iteratorINS6_10device_ptrIKfEEEESL_NS6_8equal_toIfEEEENSG_9not_fun_tINSD_8identityEEEEENSD_19counting_iterator_tIlEES8_S8_S8_S8_S8_S8_S8_S8_EEEEPS9_S9_NSD_9__find_if7functorIS9_EEEE10hipError_tPvRmT1_T2_T3_mT4_P12ihipStream_tbEUlT_E1_NS1_11comp_targetILNS1_3genE3ELNS1_11target_archE908ELNS1_3gpuE7ELNS1_3repE0EEENS1_30default_config_static_selectorELNS0_4arch9wavefront6targetE1EEEvS14_.num_agpr, 0
	.set _ZN7rocprim17ROCPRIM_400000_NS6detail17trampoline_kernelINS0_14default_configENS1_22reduce_config_selectorIN6thrust23THRUST_200600_302600_NS5tupleIblNS6_9null_typeES8_S8_S8_S8_S8_S8_S8_EEEEZNS1_11reduce_implILb1ES3_NS6_12zip_iteratorINS7_INS6_11hip_rocprim26transform_input_iterator_tIbNSD_35transform_pair_of_input_iterators_tIbNS6_6detail15normal_iteratorINS6_10device_ptrIKfEEEESL_NS6_8equal_toIfEEEENSG_9not_fun_tINSD_8identityEEEEENSD_19counting_iterator_tIlEES8_S8_S8_S8_S8_S8_S8_S8_EEEEPS9_S9_NSD_9__find_if7functorIS9_EEEE10hipError_tPvRmT1_T2_T3_mT4_P12ihipStream_tbEUlT_E1_NS1_11comp_targetILNS1_3genE3ELNS1_11target_archE908ELNS1_3gpuE7ELNS1_3repE0EEENS1_30default_config_static_selectorELNS0_4arch9wavefront6targetE1EEEvS14_.numbered_sgpr, 0
	.set _ZN7rocprim17ROCPRIM_400000_NS6detail17trampoline_kernelINS0_14default_configENS1_22reduce_config_selectorIN6thrust23THRUST_200600_302600_NS5tupleIblNS6_9null_typeES8_S8_S8_S8_S8_S8_S8_EEEEZNS1_11reduce_implILb1ES3_NS6_12zip_iteratorINS7_INS6_11hip_rocprim26transform_input_iterator_tIbNSD_35transform_pair_of_input_iterators_tIbNS6_6detail15normal_iteratorINS6_10device_ptrIKfEEEESL_NS6_8equal_toIfEEEENSG_9not_fun_tINSD_8identityEEEEENSD_19counting_iterator_tIlEES8_S8_S8_S8_S8_S8_S8_S8_EEEEPS9_S9_NSD_9__find_if7functorIS9_EEEE10hipError_tPvRmT1_T2_T3_mT4_P12ihipStream_tbEUlT_E1_NS1_11comp_targetILNS1_3genE3ELNS1_11target_archE908ELNS1_3gpuE7ELNS1_3repE0EEENS1_30default_config_static_selectorELNS0_4arch9wavefront6targetE1EEEvS14_.num_named_barrier, 0
	.set _ZN7rocprim17ROCPRIM_400000_NS6detail17trampoline_kernelINS0_14default_configENS1_22reduce_config_selectorIN6thrust23THRUST_200600_302600_NS5tupleIblNS6_9null_typeES8_S8_S8_S8_S8_S8_S8_EEEEZNS1_11reduce_implILb1ES3_NS6_12zip_iteratorINS7_INS6_11hip_rocprim26transform_input_iterator_tIbNSD_35transform_pair_of_input_iterators_tIbNS6_6detail15normal_iteratorINS6_10device_ptrIKfEEEESL_NS6_8equal_toIfEEEENSG_9not_fun_tINSD_8identityEEEEENSD_19counting_iterator_tIlEES8_S8_S8_S8_S8_S8_S8_S8_EEEEPS9_S9_NSD_9__find_if7functorIS9_EEEE10hipError_tPvRmT1_T2_T3_mT4_P12ihipStream_tbEUlT_E1_NS1_11comp_targetILNS1_3genE3ELNS1_11target_archE908ELNS1_3gpuE7ELNS1_3repE0EEENS1_30default_config_static_selectorELNS0_4arch9wavefront6targetE1EEEvS14_.private_seg_size, 0
	.set _ZN7rocprim17ROCPRIM_400000_NS6detail17trampoline_kernelINS0_14default_configENS1_22reduce_config_selectorIN6thrust23THRUST_200600_302600_NS5tupleIblNS6_9null_typeES8_S8_S8_S8_S8_S8_S8_EEEEZNS1_11reduce_implILb1ES3_NS6_12zip_iteratorINS7_INS6_11hip_rocprim26transform_input_iterator_tIbNSD_35transform_pair_of_input_iterators_tIbNS6_6detail15normal_iteratorINS6_10device_ptrIKfEEEESL_NS6_8equal_toIfEEEENSG_9not_fun_tINSD_8identityEEEEENSD_19counting_iterator_tIlEES8_S8_S8_S8_S8_S8_S8_S8_EEEEPS9_S9_NSD_9__find_if7functorIS9_EEEE10hipError_tPvRmT1_T2_T3_mT4_P12ihipStream_tbEUlT_E1_NS1_11comp_targetILNS1_3genE3ELNS1_11target_archE908ELNS1_3gpuE7ELNS1_3repE0EEENS1_30default_config_static_selectorELNS0_4arch9wavefront6targetE1EEEvS14_.uses_vcc, 0
	.set _ZN7rocprim17ROCPRIM_400000_NS6detail17trampoline_kernelINS0_14default_configENS1_22reduce_config_selectorIN6thrust23THRUST_200600_302600_NS5tupleIblNS6_9null_typeES8_S8_S8_S8_S8_S8_S8_EEEEZNS1_11reduce_implILb1ES3_NS6_12zip_iteratorINS7_INS6_11hip_rocprim26transform_input_iterator_tIbNSD_35transform_pair_of_input_iterators_tIbNS6_6detail15normal_iteratorINS6_10device_ptrIKfEEEESL_NS6_8equal_toIfEEEENSG_9not_fun_tINSD_8identityEEEEENSD_19counting_iterator_tIlEES8_S8_S8_S8_S8_S8_S8_S8_EEEEPS9_S9_NSD_9__find_if7functorIS9_EEEE10hipError_tPvRmT1_T2_T3_mT4_P12ihipStream_tbEUlT_E1_NS1_11comp_targetILNS1_3genE3ELNS1_11target_archE908ELNS1_3gpuE7ELNS1_3repE0EEENS1_30default_config_static_selectorELNS0_4arch9wavefront6targetE1EEEvS14_.uses_flat_scratch, 0
	.set _ZN7rocprim17ROCPRIM_400000_NS6detail17trampoline_kernelINS0_14default_configENS1_22reduce_config_selectorIN6thrust23THRUST_200600_302600_NS5tupleIblNS6_9null_typeES8_S8_S8_S8_S8_S8_S8_EEEEZNS1_11reduce_implILb1ES3_NS6_12zip_iteratorINS7_INS6_11hip_rocprim26transform_input_iterator_tIbNSD_35transform_pair_of_input_iterators_tIbNS6_6detail15normal_iteratorINS6_10device_ptrIKfEEEESL_NS6_8equal_toIfEEEENSG_9not_fun_tINSD_8identityEEEEENSD_19counting_iterator_tIlEES8_S8_S8_S8_S8_S8_S8_S8_EEEEPS9_S9_NSD_9__find_if7functorIS9_EEEE10hipError_tPvRmT1_T2_T3_mT4_P12ihipStream_tbEUlT_E1_NS1_11comp_targetILNS1_3genE3ELNS1_11target_archE908ELNS1_3gpuE7ELNS1_3repE0EEENS1_30default_config_static_selectorELNS0_4arch9wavefront6targetE1EEEvS14_.has_dyn_sized_stack, 0
	.set _ZN7rocprim17ROCPRIM_400000_NS6detail17trampoline_kernelINS0_14default_configENS1_22reduce_config_selectorIN6thrust23THRUST_200600_302600_NS5tupleIblNS6_9null_typeES8_S8_S8_S8_S8_S8_S8_EEEEZNS1_11reduce_implILb1ES3_NS6_12zip_iteratorINS7_INS6_11hip_rocprim26transform_input_iterator_tIbNSD_35transform_pair_of_input_iterators_tIbNS6_6detail15normal_iteratorINS6_10device_ptrIKfEEEESL_NS6_8equal_toIfEEEENSG_9not_fun_tINSD_8identityEEEEENSD_19counting_iterator_tIlEES8_S8_S8_S8_S8_S8_S8_S8_EEEEPS9_S9_NSD_9__find_if7functorIS9_EEEE10hipError_tPvRmT1_T2_T3_mT4_P12ihipStream_tbEUlT_E1_NS1_11comp_targetILNS1_3genE3ELNS1_11target_archE908ELNS1_3gpuE7ELNS1_3repE0EEENS1_30default_config_static_selectorELNS0_4arch9wavefront6targetE1EEEvS14_.has_recursion, 0
	.set _ZN7rocprim17ROCPRIM_400000_NS6detail17trampoline_kernelINS0_14default_configENS1_22reduce_config_selectorIN6thrust23THRUST_200600_302600_NS5tupleIblNS6_9null_typeES8_S8_S8_S8_S8_S8_S8_EEEEZNS1_11reduce_implILb1ES3_NS6_12zip_iteratorINS7_INS6_11hip_rocprim26transform_input_iterator_tIbNSD_35transform_pair_of_input_iterators_tIbNS6_6detail15normal_iteratorINS6_10device_ptrIKfEEEESL_NS6_8equal_toIfEEEENSG_9not_fun_tINSD_8identityEEEEENSD_19counting_iterator_tIlEES8_S8_S8_S8_S8_S8_S8_S8_EEEEPS9_S9_NSD_9__find_if7functorIS9_EEEE10hipError_tPvRmT1_T2_T3_mT4_P12ihipStream_tbEUlT_E1_NS1_11comp_targetILNS1_3genE3ELNS1_11target_archE908ELNS1_3gpuE7ELNS1_3repE0EEENS1_30default_config_static_selectorELNS0_4arch9wavefront6targetE1EEEvS14_.has_indirect_call, 0
	.section	.AMDGPU.csdata,"",@progbits
; Kernel info:
; codeLenInByte = 0
; TotalNumSgprs: 6
; NumVgprs: 0
; NumAgprs: 0
; TotalNumVgprs: 0
; ScratchSize: 0
; MemoryBound: 0
; FloatMode: 240
; IeeeMode: 1
; LDSByteSize: 0 bytes/workgroup (compile time only)
; SGPRBlocks: 0
; VGPRBlocks: 0
; NumSGPRsForWavesPerEU: 6
; NumVGPRsForWavesPerEU: 1
; AccumOffset: 4
; Occupancy: 8
; WaveLimiterHint : 0
; COMPUTE_PGM_RSRC2:SCRATCH_EN: 0
; COMPUTE_PGM_RSRC2:USER_SGPR: 2
; COMPUTE_PGM_RSRC2:TRAP_HANDLER: 0
; COMPUTE_PGM_RSRC2:TGID_X_EN: 1
; COMPUTE_PGM_RSRC2:TGID_Y_EN: 0
; COMPUTE_PGM_RSRC2:TGID_Z_EN: 0
; COMPUTE_PGM_RSRC2:TIDIG_COMP_CNT: 0
; COMPUTE_PGM_RSRC3_GFX90A:ACCUM_OFFSET: 0
; COMPUTE_PGM_RSRC3_GFX90A:TG_SPLIT: 0
	.section	.text._ZN7rocprim17ROCPRIM_400000_NS6detail17trampoline_kernelINS0_14default_configENS1_22reduce_config_selectorIN6thrust23THRUST_200600_302600_NS5tupleIblNS6_9null_typeES8_S8_S8_S8_S8_S8_S8_EEEEZNS1_11reduce_implILb1ES3_NS6_12zip_iteratorINS7_INS6_11hip_rocprim26transform_input_iterator_tIbNSD_35transform_pair_of_input_iterators_tIbNS6_6detail15normal_iteratorINS6_10device_ptrIKfEEEESL_NS6_8equal_toIfEEEENSG_9not_fun_tINSD_8identityEEEEENSD_19counting_iterator_tIlEES8_S8_S8_S8_S8_S8_S8_S8_EEEEPS9_S9_NSD_9__find_if7functorIS9_EEEE10hipError_tPvRmT1_T2_T3_mT4_P12ihipStream_tbEUlT_E1_NS1_11comp_targetILNS1_3genE2ELNS1_11target_archE906ELNS1_3gpuE6ELNS1_3repE0EEENS1_30default_config_static_selectorELNS0_4arch9wavefront6targetE1EEEvS14_,"axG",@progbits,_ZN7rocprim17ROCPRIM_400000_NS6detail17trampoline_kernelINS0_14default_configENS1_22reduce_config_selectorIN6thrust23THRUST_200600_302600_NS5tupleIblNS6_9null_typeES8_S8_S8_S8_S8_S8_S8_EEEEZNS1_11reduce_implILb1ES3_NS6_12zip_iteratorINS7_INS6_11hip_rocprim26transform_input_iterator_tIbNSD_35transform_pair_of_input_iterators_tIbNS6_6detail15normal_iteratorINS6_10device_ptrIKfEEEESL_NS6_8equal_toIfEEEENSG_9not_fun_tINSD_8identityEEEEENSD_19counting_iterator_tIlEES8_S8_S8_S8_S8_S8_S8_S8_EEEEPS9_S9_NSD_9__find_if7functorIS9_EEEE10hipError_tPvRmT1_T2_T3_mT4_P12ihipStream_tbEUlT_E1_NS1_11comp_targetILNS1_3genE2ELNS1_11target_archE906ELNS1_3gpuE6ELNS1_3repE0EEENS1_30default_config_static_selectorELNS0_4arch9wavefront6targetE1EEEvS14_,comdat
	.protected	_ZN7rocprim17ROCPRIM_400000_NS6detail17trampoline_kernelINS0_14default_configENS1_22reduce_config_selectorIN6thrust23THRUST_200600_302600_NS5tupleIblNS6_9null_typeES8_S8_S8_S8_S8_S8_S8_EEEEZNS1_11reduce_implILb1ES3_NS6_12zip_iteratorINS7_INS6_11hip_rocprim26transform_input_iterator_tIbNSD_35transform_pair_of_input_iterators_tIbNS6_6detail15normal_iteratorINS6_10device_ptrIKfEEEESL_NS6_8equal_toIfEEEENSG_9not_fun_tINSD_8identityEEEEENSD_19counting_iterator_tIlEES8_S8_S8_S8_S8_S8_S8_S8_EEEEPS9_S9_NSD_9__find_if7functorIS9_EEEE10hipError_tPvRmT1_T2_T3_mT4_P12ihipStream_tbEUlT_E1_NS1_11comp_targetILNS1_3genE2ELNS1_11target_archE906ELNS1_3gpuE6ELNS1_3repE0EEENS1_30default_config_static_selectorELNS0_4arch9wavefront6targetE1EEEvS14_ ; -- Begin function _ZN7rocprim17ROCPRIM_400000_NS6detail17trampoline_kernelINS0_14default_configENS1_22reduce_config_selectorIN6thrust23THRUST_200600_302600_NS5tupleIblNS6_9null_typeES8_S8_S8_S8_S8_S8_S8_EEEEZNS1_11reduce_implILb1ES3_NS6_12zip_iteratorINS7_INS6_11hip_rocprim26transform_input_iterator_tIbNSD_35transform_pair_of_input_iterators_tIbNS6_6detail15normal_iteratorINS6_10device_ptrIKfEEEESL_NS6_8equal_toIfEEEENSG_9not_fun_tINSD_8identityEEEEENSD_19counting_iterator_tIlEES8_S8_S8_S8_S8_S8_S8_S8_EEEEPS9_S9_NSD_9__find_if7functorIS9_EEEE10hipError_tPvRmT1_T2_T3_mT4_P12ihipStream_tbEUlT_E1_NS1_11comp_targetILNS1_3genE2ELNS1_11target_archE906ELNS1_3gpuE6ELNS1_3repE0EEENS1_30default_config_static_selectorELNS0_4arch9wavefront6targetE1EEEvS14_
	.globl	_ZN7rocprim17ROCPRIM_400000_NS6detail17trampoline_kernelINS0_14default_configENS1_22reduce_config_selectorIN6thrust23THRUST_200600_302600_NS5tupleIblNS6_9null_typeES8_S8_S8_S8_S8_S8_S8_EEEEZNS1_11reduce_implILb1ES3_NS6_12zip_iteratorINS7_INS6_11hip_rocprim26transform_input_iterator_tIbNSD_35transform_pair_of_input_iterators_tIbNS6_6detail15normal_iteratorINS6_10device_ptrIKfEEEESL_NS6_8equal_toIfEEEENSG_9not_fun_tINSD_8identityEEEEENSD_19counting_iterator_tIlEES8_S8_S8_S8_S8_S8_S8_S8_EEEEPS9_S9_NSD_9__find_if7functorIS9_EEEE10hipError_tPvRmT1_T2_T3_mT4_P12ihipStream_tbEUlT_E1_NS1_11comp_targetILNS1_3genE2ELNS1_11target_archE906ELNS1_3gpuE6ELNS1_3repE0EEENS1_30default_config_static_selectorELNS0_4arch9wavefront6targetE1EEEvS14_
	.p2align	8
	.type	_ZN7rocprim17ROCPRIM_400000_NS6detail17trampoline_kernelINS0_14default_configENS1_22reduce_config_selectorIN6thrust23THRUST_200600_302600_NS5tupleIblNS6_9null_typeES8_S8_S8_S8_S8_S8_S8_EEEEZNS1_11reduce_implILb1ES3_NS6_12zip_iteratorINS7_INS6_11hip_rocprim26transform_input_iterator_tIbNSD_35transform_pair_of_input_iterators_tIbNS6_6detail15normal_iteratorINS6_10device_ptrIKfEEEESL_NS6_8equal_toIfEEEENSG_9not_fun_tINSD_8identityEEEEENSD_19counting_iterator_tIlEES8_S8_S8_S8_S8_S8_S8_S8_EEEEPS9_S9_NSD_9__find_if7functorIS9_EEEE10hipError_tPvRmT1_T2_T3_mT4_P12ihipStream_tbEUlT_E1_NS1_11comp_targetILNS1_3genE2ELNS1_11target_archE906ELNS1_3gpuE6ELNS1_3repE0EEENS1_30default_config_static_selectorELNS0_4arch9wavefront6targetE1EEEvS14_,@function
_ZN7rocprim17ROCPRIM_400000_NS6detail17trampoline_kernelINS0_14default_configENS1_22reduce_config_selectorIN6thrust23THRUST_200600_302600_NS5tupleIblNS6_9null_typeES8_S8_S8_S8_S8_S8_S8_EEEEZNS1_11reduce_implILb1ES3_NS6_12zip_iteratorINS7_INS6_11hip_rocprim26transform_input_iterator_tIbNSD_35transform_pair_of_input_iterators_tIbNS6_6detail15normal_iteratorINS6_10device_ptrIKfEEEESL_NS6_8equal_toIfEEEENSG_9not_fun_tINSD_8identityEEEEENSD_19counting_iterator_tIlEES8_S8_S8_S8_S8_S8_S8_S8_EEEEPS9_S9_NSD_9__find_if7functorIS9_EEEE10hipError_tPvRmT1_T2_T3_mT4_P12ihipStream_tbEUlT_E1_NS1_11comp_targetILNS1_3genE2ELNS1_11target_archE906ELNS1_3gpuE6ELNS1_3repE0EEENS1_30default_config_static_selectorELNS0_4arch9wavefront6targetE1EEEvS14_: ; @_ZN7rocprim17ROCPRIM_400000_NS6detail17trampoline_kernelINS0_14default_configENS1_22reduce_config_selectorIN6thrust23THRUST_200600_302600_NS5tupleIblNS6_9null_typeES8_S8_S8_S8_S8_S8_S8_EEEEZNS1_11reduce_implILb1ES3_NS6_12zip_iteratorINS7_INS6_11hip_rocprim26transform_input_iterator_tIbNSD_35transform_pair_of_input_iterators_tIbNS6_6detail15normal_iteratorINS6_10device_ptrIKfEEEESL_NS6_8equal_toIfEEEENSG_9not_fun_tINSD_8identityEEEEENSD_19counting_iterator_tIlEES8_S8_S8_S8_S8_S8_S8_S8_EEEEPS9_S9_NSD_9__find_if7functorIS9_EEEE10hipError_tPvRmT1_T2_T3_mT4_P12ihipStream_tbEUlT_E1_NS1_11comp_targetILNS1_3genE2ELNS1_11target_archE906ELNS1_3gpuE6ELNS1_3repE0EEENS1_30default_config_static_selectorELNS0_4arch9wavefront6targetE1EEEvS14_
; %bb.0:
	.section	.rodata,"a",@progbits
	.p2align	6, 0x0
	.amdhsa_kernel _ZN7rocprim17ROCPRIM_400000_NS6detail17trampoline_kernelINS0_14default_configENS1_22reduce_config_selectorIN6thrust23THRUST_200600_302600_NS5tupleIblNS6_9null_typeES8_S8_S8_S8_S8_S8_S8_EEEEZNS1_11reduce_implILb1ES3_NS6_12zip_iteratorINS7_INS6_11hip_rocprim26transform_input_iterator_tIbNSD_35transform_pair_of_input_iterators_tIbNS6_6detail15normal_iteratorINS6_10device_ptrIKfEEEESL_NS6_8equal_toIfEEEENSG_9not_fun_tINSD_8identityEEEEENSD_19counting_iterator_tIlEES8_S8_S8_S8_S8_S8_S8_S8_EEEEPS9_S9_NSD_9__find_if7functorIS9_EEEE10hipError_tPvRmT1_T2_T3_mT4_P12ihipStream_tbEUlT_E1_NS1_11comp_targetILNS1_3genE2ELNS1_11target_archE906ELNS1_3gpuE6ELNS1_3repE0EEENS1_30default_config_static_selectorELNS0_4arch9wavefront6targetE1EEEvS14_
		.amdhsa_group_segment_fixed_size 0
		.amdhsa_private_segment_fixed_size 0
		.amdhsa_kernarg_size 88
		.amdhsa_user_sgpr_count 2
		.amdhsa_user_sgpr_dispatch_ptr 0
		.amdhsa_user_sgpr_queue_ptr 0
		.amdhsa_user_sgpr_kernarg_segment_ptr 1
		.amdhsa_user_sgpr_dispatch_id 0
		.amdhsa_user_sgpr_kernarg_preload_length 0
		.amdhsa_user_sgpr_kernarg_preload_offset 0
		.amdhsa_user_sgpr_private_segment_size 0
		.amdhsa_uses_dynamic_stack 0
		.amdhsa_enable_private_segment 0
		.amdhsa_system_sgpr_workgroup_id_x 1
		.amdhsa_system_sgpr_workgroup_id_y 0
		.amdhsa_system_sgpr_workgroup_id_z 0
		.amdhsa_system_sgpr_workgroup_info 0
		.amdhsa_system_vgpr_workitem_id 0
		.amdhsa_next_free_vgpr 1
		.amdhsa_next_free_sgpr 0
		.amdhsa_accum_offset 4
		.amdhsa_reserve_vcc 0
		.amdhsa_float_round_mode_32 0
		.amdhsa_float_round_mode_16_64 0
		.amdhsa_float_denorm_mode_32 3
		.amdhsa_float_denorm_mode_16_64 3
		.amdhsa_dx10_clamp 1
		.amdhsa_ieee_mode 1
		.amdhsa_fp16_overflow 0
		.amdhsa_tg_split 0
		.amdhsa_exception_fp_ieee_invalid_op 0
		.amdhsa_exception_fp_denorm_src 0
		.amdhsa_exception_fp_ieee_div_zero 0
		.amdhsa_exception_fp_ieee_overflow 0
		.amdhsa_exception_fp_ieee_underflow 0
		.amdhsa_exception_fp_ieee_inexact 0
		.amdhsa_exception_int_div_zero 0
	.end_amdhsa_kernel
	.section	.text._ZN7rocprim17ROCPRIM_400000_NS6detail17trampoline_kernelINS0_14default_configENS1_22reduce_config_selectorIN6thrust23THRUST_200600_302600_NS5tupleIblNS6_9null_typeES8_S8_S8_S8_S8_S8_S8_EEEEZNS1_11reduce_implILb1ES3_NS6_12zip_iteratorINS7_INS6_11hip_rocprim26transform_input_iterator_tIbNSD_35transform_pair_of_input_iterators_tIbNS6_6detail15normal_iteratorINS6_10device_ptrIKfEEEESL_NS6_8equal_toIfEEEENSG_9not_fun_tINSD_8identityEEEEENSD_19counting_iterator_tIlEES8_S8_S8_S8_S8_S8_S8_S8_EEEEPS9_S9_NSD_9__find_if7functorIS9_EEEE10hipError_tPvRmT1_T2_T3_mT4_P12ihipStream_tbEUlT_E1_NS1_11comp_targetILNS1_3genE2ELNS1_11target_archE906ELNS1_3gpuE6ELNS1_3repE0EEENS1_30default_config_static_selectorELNS0_4arch9wavefront6targetE1EEEvS14_,"axG",@progbits,_ZN7rocprim17ROCPRIM_400000_NS6detail17trampoline_kernelINS0_14default_configENS1_22reduce_config_selectorIN6thrust23THRUST_200600_302600_NS5tupleIblNS6_9null_typeES8_S8_S8_S8_S8_S8_S8_EEEEZNS1_11reduce_implILb1ES3_NS6_12zip_iteratorINS7_INS6_11hip_rocprim26transform_input_iterator_tIbNSD_35transform_pair_of_input_iterators_tIbNS6_6detail15normal_iteratorINS6_10device_ptrIKfEEEESL_NS6_8equal_toIfEEEENSG_9not_fun_tINSD_8identityEEEEENSD_19counting_iterator_tIlEES8_S8_S8_S8_S8_S8_S8_S8_EEEEPS9_S9_NSD_9__find_if7functorIS9_EEEE10hipError_tPvRmT1_T2_T3_mT4_P12ihipStream_tbEUlT_E1_NS1_11comp_targetILNS1_3genE2ELNS1_11target_archE906ELNS1_3gpuE6ELNS1_3repE0EEENS1_30default_config_static_selectorELNS0_4arch9wavefront6targetE1EEEvS14_,comdat
.Lfunc_end372:
	.size	_ZN7rocprim17ROCPRIM_400000_NS6detail17trampoline_kernelINS0_14default_configENS1_22reduce_config_selectorIN6thrust23THRUST_200600_302600_NS5tupleIblNS6_9null_typeES8_S8_S8_S8_S8_S8_S8_EEEEZNS1_11reduce_implILb1ES3_NS6_12zip_iteratorINS7_INS6_11hip_rocprim26transform_input_iterator_tIbNSD_35transform_pair_of_input_iterators_tIbNS6_6detail15normal_iteratorINS6_10device_ptrIKfEEEESL_NS6_8equal_toIfEEEENSG_9not_fun_tINSD_8identityEEEEENSD_19counting_iterator_tIlEES8_S8_S8_S8_S8_S8_S8_S8_EEEEPS9_S9_NSD_9__find_if7functorIS9_EEEE10hipError_tPvRmT1_T2_T3_mT4_P12ihipStream_tbEUlT_E1_NS1_11comp_targetILNS1_3genE2ELNS1_11target_archE906ELNS1_3gpuE6ELNS1_3repE0EEENS1_30default_config_static_selectorELNS0_4arch9wavefront6targetE1EEEvS14_, .Lfunc_end372-_ZN7rocprim17ROCPRIM_400000_NS6detail17trampoline_kernelINS0_14default_configENS1_22reduce_config_selectorIN6thrust23THRUST_200600_302600_NS5tupleIblNS6_9null_typeES8_S8_S8_S8_S8_S8_S8_EEEEZNS1_11reduce_implILb1ES3_NS6_12zip_iteratorINS7_INS6_11hip_rocprim26transform_input_iterator_tIbNSD_35transform_pair_of_input_iterators_tIbNS6_6detail15normal_iteratorINS6_10device_ptrIKfEEEESL_NS6_8equal_toIfEEEENSG_9not_fun_tINSD_8identityEEEEENSD_19counting_iterator_tIlEES8_S8_S8_S8_S8_S8_S8_S8_EEEEPS9_S9_NSD_9__find_if7functorIS9_EEEE10hipError_tPvRmT1_T2_T3_mT4_P12ihipStream_tbEUlT_E1_NS1_11comp_targetILNS1_3genE2ELNS1_11target_archE906ELNS1_3gpuE6ELNS1_3repE0EEENS1_30default_config_static_selectorELNS0_4arch9wavefront6targetE1EEEvS14_
                                        ; -- End function
	.set _ZN7rocprim17ROCPRIM_400000_NS6detail17trampoline_kernelINS0_14default_configENS1_22reduce_config_selectorIN6thrust23THRUST_200600_302600_NS5tupleIblNS6_9null_typeES8_S8_S8_S8_S8_S8_S8_EEEEZNS1_11reduce_implILb1ES3_NS6_12zip_iteratorINS7_INS6_11hip_rocprim26transform_input_iterator_tIbNSD_35transform_pair_of_input_iterators_tIbNS6_6detail15normal_iteratorINS6_10device_ptrIKfEEEESL_NS6_8equal_toIfEEEENSG_9not_fun_tINSD_8identityEEEEENSD_19counting_iterator_tIlEES8_S8_S8_S8_S8_S8_S8_S8_EEEEPS9_S9_NSD_9__find_if7functorIS9_EEEE10hipError_tPvRmT1_T2_T3_mT4_P12ihipStream_tbEUlT_E1_NS1_11comp_targetILNS1_3genE2ELNS1_11target_archE906ELNS1_3gpuE6ELNS1_3repE0EEENS1_30default_config_static_selectorELNS0_4arch9wavefront6targetE1EEEvS14_.num_vgpr, 0
	.set _ZN7rocprim17ROCPRIM_400000_NS6detail17trampoline_kernelINS0_14default_configENS1_22reduce_config_selectorIN6thrust23THRUST_200600_302600_NS5tupleIblNS6_9null_typeES8_S8_S8_S8_S8_S8_S8_EEEEZNS1_11reduce_implILb1ES3_NS6_12zip_iteratorINS7_INS6_11hip_rocprim26transform_input_iterator_tIbNSD_35transform_pair_of_input_iterators_tIbNS6_6detail15normal_iteratorINS6_10device_ptrIKfEEEESL_NS6_8equal_toIfEEEENSG_9not_fun_tINSD_8identityEEEEENSD_19counting_iterator_tIlEES8_S8_S8_S8_S8_S8_S8_S8_EEEEPS9_S9_NSD_9__find_if7functorIS9_EEEE10hipError_tPvRmT1_T2_T3_mT4_P12ihipStream_tbEUlT_E1_NS1_11comp_targetILNS1_3genE2ELNS1_11target_archE906ELNS1_3gpuE6ELNS1_3repE0EEENS1_30default_config_static_selectorELNS0_4arch9wavefront6targetE1EEEvS14_.num_agpr, 0
	.set _ZN7rocprim17ROCPRIM_400000_NS6detail17trampoline_kernelINS0_14default_configENS1_22reduce_config_selectorIN6thrust23THRUST_200600_302600_NS5tupleIblNS6_9null_typeES8_S8_S8_S8_S8_S8_S8_EEEEZNS1_11reduce_implILb1ES3_NS6_12zip_iteratorINS7_INS6_11hip_rocprim26transform_input_iterator_tIbNSD_35transform_pair_of_input_iterators_tIbNS6_6detail15normal_iteratorINS6_10device_ptrIKfEEEESL_NS6_8equal_toIfEEEENSG_9not_fun_tINSD_8identityEEEEENSD_19counting_iterator_tIlEES8_S8_S8_S8_S8_S8_S8_S8_EEEEPS9_S9_NSD_9__find_if7functorIS9_EEEE10hipError_tPvRmT1_T2_T3_mT4_P12ihipStream_tbEUlT_E1_NS1_11comp_targetILNS1_3genE2ELNS1_11target_archE906ELNS1_3gpuE6ELNS1_3repE0EEENS1_30default_config_static_selectorELNS0_4arch9wavefront6targetE1EEEvS14_.numbered_sgpr, 0
	.set _ZN7rocprim17ROCPRIM_400000_NS6detail17trampoline_kernelINS0_14default_configENS1_22reduce_config_selectorIN6thrust23THRUST_200600_302600_NS5tupleIblNS6_9null_typeES8_S8_S8_S8_S8_S8_S8_EEEEZNS1_11reduce_implILb1ES3_NS6_12zip_iteratorINS7_INS6_11hip_rocprim26transform_input_iterator_tIbNSD_35transform_pair_of_input_iterators_tIbNS6_6detail15normal_iteratorINS6_10device_ptrIKfEEEESL_NS6_8equal_toIfEEEENSG_9not_fun_tINSD_8identityEEEEENSD_19counting_iterator_tIlEES8_S8_S8_S8_S8_S8_S8_S8_EEEEPS9_S9_NSD_9__find_if7functorIS9_EEEE10hipError_tPvRmT1_T2_T3_mT4_P12ihipStream_tbEUlT_E1_NS1_11comp_targetILNS1_3genE2ELNS1_11target_archE906ELNS1_3gpuE6ELNS1_3repE0EEENS1_30default_config_static_selectorELNS0_4arch9wavefront6targetE1EEEvS14_.num_named_barrier, 0
	.set _ZN7rocprim17ROCPRIM_400000_NS6detail17trampoline_kernelINS0_14default_configENS1_22reduce_config_selectorIN6thrust23THRUST_200600_302600_NS5tupleIblNS6_9null_typeES8_S8_S8_S8_S8_S8_S8_EEEEZNS1_11reduce_implILb1ES3_NS6_12zip_iteratorINS7_INS6_11hip_rocprim26transform_input_iterator_tIbNSD_35transform_pair_of_input_iterators_tIbNS6_6detail15normal_iteratorINS6_10device_ptrIKfEEEESL_NS6_8equal_toIfEEEENSG_9not_fun_tINSD_8identityEEEEENSD_19counting_iterator_tIlEES8_S8_S8_S8_S8_S8_S8_S8_EEEEPS9_S9_NSD_9__find_if7functorIS9_EEEE10hipError_tPvRmT1_T2_T3_mT4_P12ihipStream_tbEUlT_E1_NS1_11comp_targetILNS1_3genE2ELNS1_11target_archE906ELNS1_3gpuE6ELNS1_3repE0EEENS1_30default_config_static_selectorELNS0_4arch9wavefront6targetE1EEEvS14_.private_seg_size, 0
	.set _ZN7rocprim17ROCPRIM_400000_NS6detail17trampoline_kernelINS0_14default_configENS1_22reduce_config_selectorIN6thrust23THRUST_200600_302600_NS5tupleIblNS6_9null_typeES8_S8_S8_S8_S8_S8_S8_EEEEZNS1_11reduce_implILb1ES3_NS6_12zip_iteratorINS7_INS6_11hip_rocprim26transform_input_iterator_tIbNSD_35transform_pair_of_input_iterators_tIbNS6_6detail15normal_iteratorINS6_10device_ptrIKfEEEESL_NS6_8equal_toIfEEEENSG_9not_fun_tINSD_8identityEEEEENSD_19counting_iterator_tIlEES8_S8_S8_S8_S8_S8_S8_S8_EEEEPS9_S9_NSD_9__find_if7functorIS9_EEEE10hipError_tPvRmT1_T2_T3_mT4_P12ihipStream_tbEUlT_E1_NS1_11comp_targetILNS1_3genE2ELNS1_11target_archE906ELNS1_3gpuE6ELNS1_3repE0EEENS1_30default_config_static_selectorELNS0_4arch9wavefront6targetE1EEEvS14_.uses_vcc, 0
	.set _ZN7rocprim17ROCPRIM_400000_NS6detail17trampoline_kernelINS0_14default_configENS1_22reduce_config_selectorIN6thrust23THRUST_200600_302600_NS5tupleIblNS6_9null_typeES8_S8_S8_S8_S8_S8_S8_EEEEZNS1_11reduce_implILb1ES3_NS6_12zip_iteratorINS7_INS6_11hip_rocprim26transform_input_iterator_tIbNSD_35transform_pair_of_input_iterators_tIbNS6_6detail15normal_iteratorINS6_10device_ptrIKfEEEESL_NS6_8equal_toIfEEEENSG_9not_fun_tINSD_8identityEEEEENSD_19counting_iterator_tIlEES8_S8_S8_S8_S8_S8_S8_S8_EEEEPS9_S9_NSD_9__find_if7functorIS9_EEEE10hipError_tPvRmT1_T2_T3_mT4_P12ihipStream_tbEUlT_E1_NS1_11comp_targetILNS1_3genE2ELNS1_11target_archE906ELNS1_3gpuE6ELNS1_3repE0EEENS1_30default_config_static_selectorELNS0_4arch9wavefront6targetE1EEEvS14_.uses_flat_scratch, 0
	.set _ZN7rocprim17ROCPRIM_400000_NS6detail17trampoline_kernelINS0_14default_configENS1_22reduce_config_selectorIN6thrust23THRUST_200600_302600_NS5tupleIblNS6_9null_typeES8_S8_S8_S8_S8_S8_S8_EEEEZNS1_11reduce_implILb1ES3_NS6_12zip_iteratorINS7_INS6_11hip_rocprim26transform_input_iterator_tIbNSD_35transform_pair_of_input_iterators_tIbNS6_6detail15normal_iteratorINS6_10device_ptrIKfEEEESL_NS6_8equal_toIfEEEENSG_9not_fun_tINSD_8identityEEEEENSD_19counting_iterator_tIlEES8_S8_S8_S8_S8_S8_S8_S8_EEEEPS9_S9_NSD_9__find_if7functorIS9_EEEE10hipError_tPvRmT1_T2_T3_mT4_P12ihipStream_tbEUlT_E1_NS1_11comp_targetILNS1_3genE2ELNS1_11target_archE906ELNS1_3gpuE6ELNS1_3repE0EEENS1_30default_config_static_selectorELNS0_4arch9wavefront6targetE1EEEvS14_.has_dyn_sized_stack, 0
	.set _ZN7rocprim17ROCPRIM_400000_NS6detail17trampoline_kernelINS0_14default_configENS1_22reduce_config_selectorIN6thrust23THRUST_200600_302600_NS5tupleIblNS6_9null_typeES8_S8_S8_S8_S8_S8_S8_EEEEZNS1_11reduce_implILb1ES3_NS6_12zip_iteratorINS7_INS6_11hip_rocprim26transform_input_iterator_tIbNSD_35transform_pair_of_input_iterators_tIbNS6_6detail15normal_iteratorINS6_10device_ptrIKfEEEESL_NS6_8equal_toIfEEEENSG_9not_fun_tINSD_8identityEEEEENSD_19counting_iterator_tIlEES8_S8_S8_S8_S8_S8_S8_S8_EEEEPS9_S9_NSD_9__find_if7functorIS9_EEEE10hipError_tPvRmT1_T2_T3_mT4_P12ihipStream_tbEUlT_E1_NS1_11comp_targetILNS1_3genE2ELNS1_11target_archE906ELNS1_3gpuE6ELNS1_3repE0EEENS1_30default_config_static_selectorELNS0_4arch9wavefront6targetE1EEEvS14_.has_recursion, 0
	.set _ZN7rocprim17ROCPRIM_400000_NS6detail17trampoline_kernelINS0_14default_configENS1_22reduce_config_selectorIN6thrust23THRUST_200600_302600_NS5tupleIblNS6_9null_typeES8_S8_S8_S8_S8_S8_S8_EEEEZNS1_11reduce_implILb1ES3_NS6_12zip_iteratorINS7_INS6_11hip_rocprim26transform_input_iterator_tIbNSD_35transform_pair_of_input_iterators_tIbNS6_6detail15normal_iteratorINS6_10device_ptrIKfEEEESL_NS6_8equal_toIfEEEENSG_9not_fun_tINSD_8identityEEEEENSD_19counting_iterator_tIlEES8_S8_S8_S8_S8_S8_S8_S8_EEEEPS9_S9_NSD_9__find_if7functorIS9_EEEE10hipError_tPvRmT1_T2_T3_mT4_P12ihipStream_tbEUlT_E1_NS1_11comp_targetILNS1_3genE2ELNS1_11target_archE906ELNS1_3gpuE6ELNS1_3repE0EEENS1_30default_config_static_selectorELNS0_4arch9wavefront6targetE1EEEvS14_.has_indirect_call, 0
	.section	.AMDGPU.csdata,"",@progbits
; Kernel info:
; codeLenInByte = 0
; TotalNumSgprs: 6
; NumVgprs: 0
; NumAgprs: 0
; TotalNumVgprs: 0
; ScratchSize: 0
; MemoryBound: 0
; FloatMode: 240
; IeeeMode: 1
; LDSByteSize: 0 bytes/workgroup (compile time only)
; SGPRBlocks: 0
; VGPRBlocks: 0
; NumSGPRsForWavesPerEU: 6
; NumVGPRsForWavesPerEU: 1
; AccumOffset: 4
; Occupancy: 8
; WaveLimiterHint : 0
; COMPUTE_PGM_RSRC2:SCRATCH_EN: 0
; COMPUTE_PGM_RSRC2:USER_SGPR: 2
; COMPUTE_PGM_RSRC2:TRAP_HANDLER: 0
; COMPUTE_PGM_RSRC2:TGID_X_EN: 1
; COMPUTE_PGM_RSRC2:TGID_Y_EN: 0
; COMPUTE_PGM_RSRC2:TGID_Z_EN: 0
; COMPUTE_PGM_RSRC2:TIDIG_COMP_CNT: 0
; COMPUTE_PGM_RSRC3_GFX90A:ACCUM_OFFSET: 0
; COMPUTE_PGM_RSRC3_GFX90A:TG_SPLIT: 0
	.section	.text._ZN7rocprim17ROCPRIM_400000_NS6detail17trampoline_kernelINS0_14default_configENS1_22reduce_config_selectorIN6thrust23THRUST_200600_302600_NS5tupleIblNS6_9null_typeES8_S8_S8_S8_S8_S8_S8_EEEEZNS1_11reduce_implILb1ES3_NS6_12zip_iteratorINS7_INS6_11hip_rocprim26transform_input_iterator_tIbNSD_35transform_pair_of_input_iterators_tIbNS6_6detail15normal_iteratorINS6_10device_ptrIKfEEEESL_NS6_8equal_toIfEEEENSG_9not_fun_tINSD_8identityEEEEENSD_19counting_iterator_tIlEES8_S8_S8_S8_S8_S8_S8_S8_EEEEPS9_S9_NSD_9__find_if7functorIS9_EEEE10hipError_tPvRmT1_T2_T3_mT4_P12ihipStream_tbEUlT_E1_NS1_11comp_targetILNS1_3genE10ELNS1_11target_archE1201ELNS1_3gpuE5ELNS1_3repE0EEENS1_30default_config_static_selectorELNS0_4arch9wavefront6targetE1EEEvS14_,"axG",@progbits,_ZN7rocprim17ROCPRIM_400000_NS6detail17trampoline_kernelINS0_14default_configENS1_22reduce_config_selectorIN6thrust23THRUST_200600_302600_NS5tupleIblNS6_9null_typeES8_S8_S8_S8_S8_S8_S8_EEEEZNS1_11reduce_implILb1ES3_NS6_12zip_iteratorINS7_INS6_11hip_rocprim26transform_input_iterator_tIbNSD_35transform_pair_of_input_iterators_tIbNS6_6detail15normal_iteratorINS6_10device_ptrIKfEEEESL_NS6_8equal_toIfEEEENSG_9not_fun_tINSD_8identityEEEEENSD_19counting_iterator_tIlEES8_S8_S8_S8_S8_S8_S8_S8_EEEEPS9_S9_NSD_9__find_if7functorIS9_EEEE10hipError_tPvRmT1_T2_T3_mT4_P12ihipStream_tbEUlT_E1_NS1_11comp_targetILNS1_3genE10ELNS1_11target_archE1201ELNS1_3gpuE5ELNS1_3repE0EEENS1_30default_config_static_selectorELNS0_4arch9wavefront6targetE1EEEvS14_,comdat
	.protected	_ZN7rocprim17ROCPRIM_400000_NS6detail17trampoline_kernelINS0_14default_configENS1_22reduce_config_selectorIN6thrust23THRUST_200600_302600_NS5tupleIblNS6_9null_typeES8_S8_S8_S8_S8_S8_S8_EEEEZNS1_11reduce_implILb1ES3_NS6_12zip_iteratorINS7_INS6_11hip_rocprim26transform_input_iterator_tIbNSD_35transform_pair_of_input_iterators_tIbNS6_6detail15normal_iteratorINS6_10device_ptrIKfEEEESL_NS6_8equal_toIfEEEENSG_9not_fun_tINSD_8identityEEEEENSD_19counting_iterator_tIlEES8_S8_S8_S8_S8_S8_S8_S8_EEEEPS9_S9_NSD_9__find_if7functorIS9_EEEE10hipError_tPvRmT1_T2_T3_mT4_P12ihipStream_tbEUlT_E1_NS1_11comp_targetILNS1_3genE10ELNS1_11target_archE1201ELNS1_3gpuE5ELNS1_3repE0EEENS1_30default_config_static_selectorELNS0_4arch9wavefront6targetE1EEEvS14_ ; -- Begin function _ZN7rocprim17ROCPRIM_400000_NS6detail17trampoline_kernelINS0_14default_configENS1_22reduce_config_selectorIN6thrust23THRUST_200600_302600_NS5tupleIblNS6_9null_typeES8_S8_S8_S8_S8_S8_S8_EEEEZNS1_11reduce_implILb1ES3_NS6_12zip_iteratorINS7_INS6_11hip_rocprim26transform_input_iterator_tIbNSD_35transform_pair_of_input_iterators_tIbNS6_6detail15normal_iteratorINS6_10device_ptrIKfEEEESL_NS6_8equal_toIfEEEENSG_9not_fun_tINSD_8identityEEEEENSD_19counting_iterator_tIlEES8_S8_S8_S8_S8_S8_S8_S8_EEEEPS9_S9_NSD_9__find_if7functorIS9_EEEE10hipError_tPvRmT1_T2_T3_mT4_P12ihipStream_tbEUlT_E1_NS1_11comp_targetILNS1_3genE10ELNS1_11target_archE1201ELNS1_3gpuE5ELNS1_3repE0EEENS1_30default_config_static_selectorELNS0_4arch9wavefront6targetE1EEEvS14_
	.globl	_ZN7rocprim17ROCPRIM_400000_NS6detail17trampoline_kernelINS0_14default_configENS1_22reduce_config_selectorIN6thrust23THRUST_200600_302600_NS5tupleIblNS6_9null_typeES8_S8_S8_S8_S8_S8_S8_EEEEZNS1_11reduce_implILb1ES3_NS6_12zip_iteratorINS7_INS6_11hip_rocprim26transform_input_iterator_tIbNSD_35transform_pair_of_input_iterators_tIbNS6_6detail15normal_iteratorINS6_10device_ptrIKfEEEESL_NS6_8equal_toIfEEEENSG_9not_fun_tINSD_8identityEEEEENSD_19counting_iterator_tIlEES8_S8_S8_S8_S8_S8_S8_S8_EEEEPS9_S9_NSD_9__find_if7functorIS9_EEEE10hipError_tPvRmT1_T2_T3_mT4_P12ihipStream_tbEUlT_E1_NS1_11comp_targetILNS1_3genE10ELNS1_11target_archE1201ELNS1_3gpuE5ELNS1_3repE0EEENS1_30default_config_static_selectorELNS0_4arch9wavefront6targetE1EEEvS14_
	.p2align	8
	.type	_ZN7rocprim17ROCPRIM_400000_NS6detail17trampoline_kernelINS0_14default_configENS1_22reduce_config_selectorIN6thrust23THRUST_200600_302600_NS5tupleIblNS6_9null_typeES8_S8_S8_S8_S8_S8_S8_EEEEZNS1_11reduce_implILb1ES3_NS6_12zip_iteratorINS7_INS6_11hip_rocprim26transform_input_iterator_tIbNSD_35transform_pair_of_input_iterators_tIbNS6_6detail15normal_iteratorINS6_10device_ptrIKfEEEESL_NS6_8equal_toIfEEEENSG_9not_fun_tINSD_8identityEEEEENSD_19counting_iterator_tIlEES8_S8_S8_S8_S8_S8_S8_S8_EEEEPS9_S9_NSD_9__find_if7functorIS9_EEEE10hipError_tPvRmT1_T2_T3_mT4_P12ihipStream_tbEUlT_E1_NS1_11comp_targetILNS1_3genE10ELNS1_11target_archE1201ELNS1_3gpuE5ELNS1_3repE0EEENS1_30default_config_static_selectorELNS0_4arch9wavefront6targetE1EEEvS14_,@function
_ZN7rocprim17ROCPRIM_400000_NS6detail17trampoline_kernelINS0_14default_configENS1_22reduce_config_selectorIN6thrust23THRUST_200600_302600_NS5tupleIblNS6_9null_typeES8_S8_S8_S8_S8_S8_S8_EEEEZNS1_11reduce_implILb1ES3_NS6_12zip_iteratorINS7_INS6_11hip_rocprim26transform_input_iterator_tIbNSD_35transform_pair_of_input_iterators_tIbNS6_6detail15normal_iteratorINS6_10device_ptrIKfEEEESL_NS6_8equal_toIfEEEENSG_9not_fun_tINSD_8identityEEEEENSD_19counting_iterator_tIlEES8_S8_S8_S8_S8_S8_S8_S8_EEEEPS9_S9_NSD_9__find_if7functorIS9_EEEE10hipError_tPvRmT1_T2_T3_mT4_P12ihipStream_tbEUlT_E1_NS1_11comp_targetILNS1_3genE10ELNS1_11target_archE1201ELNS1_3gpuE5ELNS1_3repE0EEENS1_30default_config_static_selectorELNS0_4arch9wavefront6targetE1EEEvS14_: ; @_ZN7rocprim17ROCPRIM_400000_NS6detail17trampoline_kernelINS0_14default_configENS1_22reduce_config_selectorIN6thrust23THRUST_200600_302600_NS5tupleIblNS6_9null_typeES8_S8_S8_S8_S8_S8_S8_EEEEZNS1_11reduce_implILb1ES3_NS6_12zip_iteratorINS7_INS6_11hip_rocprim26transform_input_iterator_tIbNSD_35transform_pair_of_input_iterators_tIbNS6_6detail15normal_iteratorINS6_10device_ptrIKfEEEESL_NS6_8equal_toIfEEEENSG_9not_fun_tINSD_8identityEEEEENSD_19counting_iterator_tIlEES8_S8_S8_S8_S8_S8_S8_S8_EEEEPS9_S9_NSD_9__find_if7functorIS9_EEEE10hipError_tPvRmT1_T2_T3_mT4_P12ihipStream_tbEUlT_E1_NS1_11comp_targetILNS1_3genE10ELNS1_11target_archE1201ELNS1_3gpuE5ELNS1_3repE0EEENS1_30default_config_static_selectorELNS0_4arch9wavefront6targetE1EEEvS14_
; %bb.0:
	.section	.rodata,"a",@progbits
	.p2align	6, 0x0
	.amdhsa_kernel _ZN7rocprim17ROCPRIM_400000_NS6detail17trampoline_kernelINS0_14default_configENS1_22reduce_config_selectorIN6thrust23THRUST_200600_302600_NS5tupleIblNS6_9null_typeES8_S8_S8_S8_S8_S8_S8_EEEEZNS1_11reduce_implILb1ES3_NS6_12zip_iteratorINS7_INS6_11hip_rocprim26transform_input_iterator_tIbNSD_35transform_pair_of_input_iterators_tIbNS6_6detail15normal_iteratorINS6_10device_ptrIKfEEEESL_NS6_8equal_toIfEEEENSG_9not_fun_tINSD_8identityEEEEENSD_19counting_iterator_tIlEES8_S8_S8_S8_S8_S8_S8_S8_EEEEPS9_S9_NSD_9__find_if7functorIS9_EEEE10hipError_tPvRmT1_T2_T3_mT4_P12ihipStream_tbEUlT_E1_NS1_11comp_targetILNS1_3genE10ELNS1_11target_archE1201ELNS1_3gpuE5ELNS1_3repE0EEENS1_30default_config_static_selectorELNS0_4arch9wavefront6targetE1EEEvS14_
		.amdhsa_group_segment_fixed_size 0
		.amdhsa_private_segment_fixed_size 0
		.amdhsa_kernarg_size 88
		.amdhsa_user_sgpr_count 2
		.amdhsa_user_sgpr_dispatch_ptr 0
		.amdhsa_user_sgpr_queue_ptr 0
		.amdhsa_user_sgpr_kernarg_segment_ptr 1
		.amdhsa_user_sgpr_dispatch_id 0
		.amdhsa_user_sgpr_kernarg_preload_length 0
		.amdhsa_user_sgpr_kernarg_preload_offset 0
		.amdhsa_user_sgpr_private_segment_size 0
		.amdhsa_uses_dynamic_stack 0
		.amdhsa_enable_private_segment 0
		.amdhsa_system_sgpr_workgroup_id_x 1
		.amdhsa_system_sgpr_workgroup_id_y 0
		.amdhsa_system_sgpr_workgroup_id_z 0
		.amdhsa_system_sgpr_workgroup_info 0
		.amdhsa_system_vgpr_workitem_id 0
		.amdhsa_next_free_vgpr 1
		.amdhsa_next_free_sgpr 0
		.amdhsa_accum_offset 4
		.amdhsa_reserve_vcc 0
		.amdhsa_float_round_mode_32 0
		.amdhsa_float_round_mode_16_64 0
		.amdhsa_float_denorm_mode_32 3
		.amdhsa_float_denorm_mode_16_64 3
		.amdhsa_dx10_clamp 1
		.amdhsa_ieee_mode 1
		.amdhsa_fp16_overflow 0
		.amdhsa_tg_split 0
		.amdhsa_exception_fp_ieee_invalid_op 0
		.amdhsa_exception_fp_denorm_src 0
		.amdhsa_exception_fp_ieee_div_zero 0
		.amdhsa_exception_fp_ieee_overflow 0
		.amdhsa_exception_fp_ieee_underflow 0
		.amdhsa_exception_fp_ieee_inexact 0
		.amdhsa_exception_int_div_zero 0
	.end_amdhsa_kernel
	.section	.text._ZN7rocprim17ROCPRIM_400000_NS6detail17trampoline_kernelINS0_14default_configENS1_22reduce_config_selectorIN6thrust23THRUST_200600_302600_NS5tupleIblNS6_9null_typeES8_S8_S8_S8_S8_S8_S8_EEEEZNS1_11reduce_implILb1ES3_NS6_12zip_iteratorINS7_INS6_11hip_rocprim26transform_input_iterator_tIbNSD_35transform_pair_of_input_iterators_tIbNS6_6detail15normal_iteratorINS6_10device_ptrIKfEEEESL_NS6_8equal_toIfEEEENSG_9not_fun_tINSD_8identityEEEEENSD_19counting_iterator_tIlEES8_S8_S8_S8_S8_S8_S8_S8_EEEEPS9_S9_NSD_9__find_if7functorIS9_EEEE10hipError_tPvRmT1_T2_T3_mT4_P12ihipStream_tbEUlT_E1_NS1_11comp_targetILNS1_3genE10ELNS1_11target_archE1201ELNS1_3gpuE5ELNS1_3repE0EEENS1_30default_config_static_selectorELNS0_4arch9wavefront6targetE1EEEvS14_,"axG",@progbits,_ZN7rocprim17ROCPRIM_400000_NS6detail17trampoline_kernelINS0_14default_configENS1_22reduce_config_selectorIN6thrust23THRUST_200600_302600_NS5tupleIblNS6_9null_typeES8_S8_S8_S8_S8_S8_S8_EEEEZNS1_11reduce_implILb1ES3_NS6_12zip_iteratorINS7_INS6_11hip_rocprim26transform_input_iterator_tIbNSD_35transform_pair_of_input_iterators_tIbNS6_6detail15normal_iteratorINS6_10device_ptrIKfEEEESL_NS6_8equal_toIfEEEENSG_9not_fun_tINSD_8identityEEEEENSD_19counting_iterator_tIlEES8_S8_S8_S8_S8_S8_S8_S8_EEEEPS9_S9_NSD_9__find_if7functorIS9_EEEE10hipError_tPvRmT1_T2_T3_mT4_P12ihipStream_tbEUlT_E1_NS1_11comp_targetILNS1_3genE10ELNS1_11target_archE1201ELNS1_3gpuE5ELNS1_3repE0EEENS1_30default_config_static_selectorELNS0_4arch9wavefront6targetE1EEEvS14_,comdat
.Lfunc_end373:
	.size	_ZN7rocprim17ROCPRIM_400000_NS6detail17trampoline_kernelINS0_14default_configENS1_22reduce_config_selectorIN6thrust23THRUST_200600_302600_NS5tupleIblNS6_9null_typeES8_S8_S8_S8_S8_S8_S8_EEEEZNS1_11reduce_implILb1ES3_NS6_12zip_iteratorINS7_INS6_11hip_rocprim26transform_input_iterator_tIbNSD_35transform_pair_of_input_iterators_tIbNS6_6detail15normal_iteratorINS6_10device_ptrIKfEEEESL_NS6_8equal_toIfEEEENSG_9not_fun_tINSD_8identityEEEEENSD_19counting_iterator_tIlEES8_S8_S8_S8_S8_S8_S8_S8_EEEEPS9_S9_NSD_9__find_if7functorIS9_EEEE10hipError_tPvRmT1_T2_T3_mT4_P12ihipStream_tbEUlT_E1_NS1_11comp_targetILNS1_3genE10ELNS1_11target_archE1201ELNS1_3gpuE5ELNS1_3repE0EEENS1_30default_config_static_selectorELNS0_4arch9wavefront6targetE1EEEvS14_, .Lfunc_end373-_ZN7rocprim17ROCPRIM_400000_NS6detail17trampoline_kernelINS0_14default_configENS1_22reduce_config_selectorIN6thrust23THRUST_200600_302600_NS5tupleIblNS6_9null_typeES8_S8_S8_S8_S8_S8_S8_EEEEZNS1_11reduce_implILb1ES3_NS6_12zip_iteratorINS7_INS6_11hip_rocprim26transform_input_iterator_tIbNSD_35transform_pair_of_input_iterators_tIbNS6_6detail15normal_iteratorINS6_10device_ptrIKfEEEESL_NS6_8equal_toIfEEEENSG_9not_fun_tINSD_8identityEEEEENSD_19counting_iterator_tIlEES8_S8_S8_S8_S8_S8_S8_S8_EEEEPS9_S9_NSD_9__find_if7functorIS9_EEEE10hipError_tPvRmT1_T2_T3_mT4_P12ihipStream_tbEUlT_E1_NS1_11comp_targetILNS1_3genE10ELNS1_11target_archE1201ELNS1_3gpuE5ELNS1_3repE0EEENS1_30default_config_static_selectorELNS0_4arch9wavefront6targetE1EEEvS14_
                                        ; -- End function
	.set _ZN7rocprim17ROCPRIM_400000_NS6detail17trampoline_kernelINS0_14default_configENS1_22reduce_config_selectorIN6thrust23THRUST_200600_302600_NS5tupleIblNS6_9null_typeES8_S8_S8_S8_S8_S8_S8_EEEEZNS1_11reduce_implILb1ES3_NS6_12zip_iteratorINS7_INS6_11hip_rocprim26transform_input_iterator_tIbNSD_35transform_pair_of_input_iterators_tIbNS6_6detail15normal_iteratorINS6_10device_ptrIKfEEEESL_NS6_8equal_toIfEEEENSG_9not_fun_tINSD_8identityEEEEENSD_19counting_iterator_tIlEES8_S8_S8_S8_S8_S8_S8_S8_EEEEPS9_S9_NSD_9__find_if7functorIS9_EEEE10hipError_tPvRmT1_T2_T3_mT4_P12ihipStream_tbEUlT_E1_NS1_11comp_targetILNS1_3genE10ELNS1_11target_archE1201ELNS1_3gpuE5ELNS1_3repE0EEENS1_30default_config_static_selectorELNS0_4arch9wavefront6targetE1EEEvS14_.num_vgpr, 0
	.set _ZN7rocprim17ROCPRIM_400000_NS6detail17trampoline_kernelINS0_14default_configENS1_22reduce_config_selectorIN6thrust23THRUST_200600_302600_NS5tupleIblNS6_9null_typeES8_S8_S8_S8_S8_S8_S8_EEEEZNS1_11reduce_implILb1ES3_NS6_12zip_iteratorINS7_INS6_11hip_rocprim26transform_input_iterator_tIbNSD_35transform_pair_of_input_iterators_tIbNS6_6detail15normal_iteratorINS6_10device_ptrIKfEEEESL_NS6_8equal_toIfEEEENSG_9not_fun_tINSD_8identityEEEEENSD_19counting_iterator_tIlEES8_S8_S8_S8_S8_S8_S8_S8_EEEEPS9_S9_NSD_9__find_if7functorIS9_EEEE10hipError_tPvRmT1_T2_T3_mT4_P12ihipStream_tbEUlT_E1_NS1_11comp_targetILNS1_3genE10ELNS1_11target_archE1201ELNS1_3gpuE5ELNS1_3repE0EEENS1_30default_config_static_selectorELNS0_4arch9wavefront6targetE1EEEvS14_.num_agpr, 0
	.set _ZN7rocprim17ROCPRIM_400000_NS6detail17trampoline_kernelINS0_14default_configENS1_22reduce_config_selectorIN6thrust23THRUST_200600_302600_NS5tupleIblNS6_9null_typeES8_S8_S8_S8_S8_S8_S8_EEEEZNS1_11reduce_implILb1ES3_NS6_12zip_iteratorINS7_INS6_11hip_rocprim26transform_input_iterator_tIbNSD_35transform_pair_of_input_iterators_tIbNS6_6detail15normal_iteratorINS6_10device_ptrIKfEEEESL_NS6_8equal_toIfEEEENSG_9not_fun_tINSD_8identityEEEEENSD_19counting_iterator_tIlEES8_S8_S8_S8_S8_S8_S8_S8_EEEEPS9_S9_NSD_9__find_if7functorIS9_EEEE10hipError_tPvRmT1_T2_T3_mT4_P12ihipStream_tbEUlT_E1_NS1_11comp_targetILNS1_3genE10ELNS1_11target_archE1201ELNS1_3gpuE5ELNS1_3repE0EEENS1_30default_config_static_selectorELNS0_4arch9wavefront6targetE1EEEvS14_.numbered_sgpr, 0
	.set _ZN7rocprim17ROCPRIM_400000_NS6detail17trampoline_kernelINS0_14default_configENS1_22reduce_config_selectorIN6thrust23THRUST_200600_302600_NS5tupleIblNS6_9null_typeES8_S8_S8_S8_S8_S8_S8_EEEEZNS1_11reduce_implILb1ES3_NS6_12zip_iteratorINS7_INS6_11hip_rocprim26transform_input_iterator_tIbNSD_35transform_pair_of_input_iterators_tIbNS6_6detail15normal_iteratorINS6_10device_ptrIKfEEEESL_NS6_8equal_toIfEEEENSG_9not_fun_tINSD_8identityEEEEENSD_19counting_iterator_tIlEES8_S8_S8_S8_S8_S8_S8_S8_EEEEPS9_S9_NSD_9__find_if7functorIS9_EEEE10hipError_tPvRmT1_T2_T3_mT4_P12ihipStream_tbEUlT_E1_NS1_11comp_targetILNS1_3genE10ELNS1_11target_archE1201ELNS1_3gpuE5ELNS1_3repE0EEENS1_30default_config_static_selectorELNS0_4arch9wavefront6targetE1EEEvS14_.num_named_barrier, 0
	.set _ZN7rocprim17ROCPRIM_400000_NS6detail17trampoline_kernelINS0_14default_configENS1_22reduce_config_selectorIN6thrust23THRUST_200600_302600_NS5tupleIblNS6_9null_typeES8_S8_S8_S8_S8_S8_S8_EEEEZNS1_11reduce_implILb1ES3_NS6_12zip_iteratorINS7_INS6_11hip_rocprim26transform_input_iterator_tIbNSD_35transform_pair_of_input_iterators_tIbNS6_6detail15normal_iteratorINS6_10device_ptrIKfEEEESL_NS6_8equal_toIfEEEENSG_9not_fun_tINSD_8identityEEEEENSD_19counting_iterator_tIlEES8_S8_S8_S8_S8_S8_S8_S8_EEEEPS9_S9_NSD_9__find_if7functorIS9_EEEE10hipError_tPvRmT1_T2_T3_mT4_P12ihipStream_tbEUlT_E1_NS1_11comp_targetILNS1_3genE10ELNS1_11target_archE1201ELNS1_3gpuE5ELNS1_3repE0EEENS1_30default_config_static_selectorELNS0_4arch9wavefront6targetE1EEEvS14_.private_seg_size, 0
	.set _ZN7rocprim17ROCPRIM_400000_NS6detail17trampoline_kernelINS0_14default_configENS1_22reduce_config_selectorIN6thrust23THRUST_200600_302600_NS5tupleIblNS6_9null_typeES8_S8_S8_S8_S8_S8_S8_EEEEZNS1_11reduce_implILb1ES3_NS6_12zip_iteratorINS7_INS6_11hip_rocprim26transform_input_iterator_tIbNSD_35transform_pair_of_input_iterators_tIbNS6_6detail15normal_iteratorINS6_10device_ptrIKfEEEESL_NS6_8equal_toIfEEEENSG_9not_fun_tINSD_8identityEEEEENSD_19counting_iterator_tIlEES8_S8_S8_S8_S8_S8_S8_S8_EEEEPS9_S9_NSD_9__find_if7functorIS9_EEEE10hipError_tPvRmT1_T2_T3_mT4_P12ihipStream_tbEUlT_E1_NS1_11comp_targetILNS1_3genE10ELNS1_11target_archE1201ELNS1_3gpuE5ELNS1_3repE0EEENS1_30default_config_static_selectorELNS0_4arch9wavefront6targetE1EEEvS14_.uses_vcc, 0
	.set _ZN7rocprim17ROCPRIM_400000_NS6detail17trampoline_kernelINS0_14default_configENS1_22reduce_config_selectorIN6thrust23THRUST_200600_302600_NS5tupleIblNS6_9null_typeES8_S8_S8_S8_S8_S8_S8_EEEEZNS1_11reduce_implILb1ES3_NS6_12zip_iteratorINS7_INS6_11hip_rocprim26transform_input_iterator_tIbNSD_35transform_pair_of_input_iterators_tIbNS6_6detail15normal_iteratorINS6_10device_ptrIKfEEEESL_NS6_8equal_toIfEEEENSG_9not_fun_tINSD_8identityEEEEENSD_19counting_iterator_tIlEES8_S8_S8_S8_S8_S8_S8_S8_EEEEPS9_S9_NSD_9__find_if7functorIS9_EEEE10hipError_tPvRmT1_T2_T3_mT4_P12ihipStream_tbEUlT_E1_NS1_11comp_targetILNS1_3genE10ELNS1_11target_archE1201ELNS1_3gpuE5ELNS1_3repE0EEENS1_30default_config_static_selectorELNS0_4arch9wavefront6targetE1EEEvS14_.uses_flat_scratch, 0
	.set _ZN7rocprim17ROCPRIM_400000_NS6detail17trampoline_kernelINS0_14default_configENS1_22reduce_config_selectorIN6thrust23THRUST_200600_302600_NS5tupleIblNS6_9null_typeES8_S8_S8_S8_S8_S8_S8_EEEEZNS1_11reduce_implILb1ES3_NS6_12zip_iteratorINS7_INS6_11hip_rocprim26transform_input_iterator_tIbNSD_35transform_pair_of_input_iterators_tIbNS6_6detail15normal_iteratorINS6_10device_ptrIKfEEEESL_NS6_8equal_toIfEEEENSG_9not_fun_tINSD_8identityEEEEENSD_19counting_iterator_tIlEES8_S8_S8_S8_S8_S8_S8_S8_EEEEPS9_S9_NSD_9__find_if7functorIS9_EEEE10hipError_tPvRmT1_T2_T3_mT4_P12ihipStream_tbEUlT_E1_NS1_11comp_targetILNS1_3genE10ELNS1_11target_archE1201ELNS1_3gpuE5ELNS1_3repE0EEENS1_30default_config_static_selectorELNS0_4arch9wavefront6targetE1EEEvS14_.has_dyn_sized_stack, 0
	.set _ZN7rocprim17ROCPRIM_400000_NS6detail17trampoline_kernelINS0_14default_configENS1_22reduce_config_selectorIN6thrust23THRUST_200600_302600_NS5tupleIblNS6_9null_typeES8_S8_S8_S8_S8_S8_S8_EEEEZNS1_11reduce_implILb1ES3_NS6_12zip_iteratorINS7_INS6_11hip_rocprim26transform_input_iterator_tIbNSD_35transform_pair_of_input_iterators_tIbNS6_6detail15normal_iteratorINS6_10device_ptrIKfEEEESL_NS6_8equal_toIfEEEENSG_9not_fun_tINSD_8identityEEEEENSD_19counting_iterator_tIlEES8_S8_S8_S8_S8_S8_S8_S8_EEEEPS9_S9_NSD_9__find_if7functorIS9_EEEE10hipError_tPvRmT1_T2_T3_mT4_P12ihipStream_tbEUlT_E1_NS1_11comp_targetILNS1_3genE10ELNS1_11target_archE1201ELNS1_3gpuE5ELNS1_3repE0EEENS1_30default_config_static_selectorELNS0_4arch9wavefront6targetE1EEEvS14_.has_recursion, 0
	.set _ZN7rocprim17ROCPRIM_400000_NS6detail17trampoline_kernelINS0_14default_configENS1_22reduce_config_selectorIN6thrust23THRUST_200600_302600_NS5tupleIblNS6_9null_typeES8_S8_S8_S8_S8_S8_S8_EEEEZNS1_11reduce_implILb1ES3_NS6_12zip_iteratorINS7_INS6_11hip_rocprim26transform_input_iterator_tIbNSD_35transform_pair_of_input_iterators_tIbNS6_6detail15normal_iteratorINS6_10device_ptrIKfEEEESL_NS6_8equal_toIfEEEENSG_9not_fun_tINSD_8identityEEEEENSD_19counting_iterator_tIlEES8_S8_S8_S8_S8_S8_S8_S8_EEEEPS9_S9_NSD_9__find_if7functorIS9_EEEE10hipError_tPvRmT1_T2_T3_mT4_P12ihipStream_tbEUlT_E1_NS1_11comp_targetILNS1_3genE10ELNS1_11target_archE1201ELNS1_3gpuE5ELNS1_3repE0EEENS1_30default_config_static_selectorELNS0_4arch9wavefront6targetE1EEEvS14_.has_indirect_call, 0
	.section	.AMDGPU.csdata,"",@progbits
; Kernel info:
; codeLenInByte = 0
; TotalNumSgprs: 6
; NumVgprs: 0
; NumAgprs: 0
; TotalNumVgprs: 0
; ScratchSize: 0
; MemoryBound: 0
; FloatMode: 240
; IeeeMode: 1
; LDSByteSize: 0 bytes/workgroup (compile time only)
; SGPRBlocks: 0
; VGPRBlocks: 0
; NumSGPRsForWavesPerEU: 6
; NumVGPRsForWavesPerEU: 1
; AccumOffset: 4
; Occupancy: 8
; WaveLimiterHint : 0
; COMPUTE_PGM_RSRC2:SCRATCH_EN: 0
; COMPUTE_PGM_RSRC2:USER_SGPR: 2
; COMPUTE_PGM_RSRC2:TRAP_HANDLER: 0
; COMPUTE_PGM_RSRC2:TGID_X_EN: 1
; COMPUTE_PGM_RSRC2:TGID_Y_EN: 0
; COMPUTE_PGM_RSRC2:TGID_Z_EN: 0
; COMPUTE_PGM_RSRC2:TIDIG_COMP_CNT: 0
; COMPUTE_PGM_RSRC3_GFX90A:ACCUM_OFFSET: 0
; COMPUTE_PGM_RSRC3_GFX90A:TG_SPLIT: 0
	.section	.text._ZN7rocprim17ROCPRIM_400000_NS6detail17trampoline_kernelINS0_14default_configENS1_22reduce_config_selectorIN6thrust23THRUST_200600_302600_NS5tupleIblNS6_9null_typeES8_S8_S8_S8_S8_S8_S8_EEEEZNS1_11reduce_implILb1ES3_NS6_12zip_iteratorINS7_INS6_11hip_rocprim26transform_input_iterator_tIbNSD_35transform_pair_of_input_iterators_tIbNS6_6detail15normal_iteratorINS6_10device_ptrIKfEEEESL_NS6_8equal_toIfEEEENSG_9not_fun_tINSD_8identityEEEEENSD_19counting_iterator_tIlEES8_S8_S8_S8_S8_S8_S8_S8_EEEEPS9_S9_NSD_9__find_if7functorIS9_EEEE10hipError_tPvRmT1_T2_T3_mT4_P12ihipStream_tbEUlT_E1_NS1_11comp_targetILNS1_3genE10ELNS1_11target_archE1200ELNS1_3gpuE4ELNS1_3repE0EEENS1_30default_config_static_selectorELNS0_4arch9wavefront6targetE1EEEvS14_,"axG",@progbits,_ZN7rocprim17ROCPRIM_400000_NS6detail17trampoline_kernelINS0_14default_configENS1_22reduce_config_selectorIN6thrust23THRUST_200600_302600_NS5tupleIblNS6_9null_typeES8_S8_S8_S8_S8_S8_S8_EEEEZNS1_11reduce_implILb1ES3_NS6_12zip_iteratorINS7_INS6_11hip_rocprim26transform_input_iterator_tIbNSD_35transform_pair_of_input_iterators_tIbNS6_6detail15normal_iteratorINS6_10device_ptrIKfEEEESL_NS6_8equal_toIfEEEENSG_9not_fun_tINSD_8identityEEEEENSD_19counting_iterator_tIlEES8_S8_S8_S8_S8_S8_S8_S8_EEEEPS9_S9_NSD_9__find_if7functorIS9_EEEE10hipError_tPvRmT1_T2_T3_mT4_P12ihipStream_tbEUlT_E1_NS1_11comp_targetILNS1_3genE10ELNS1_11target_archE1200ELNS1_3gpuE4ELNS1_3repE0EEENS1_30default_config_static_selectorELNS0_4arch9wavefront6targetE1EEEvS14_,comdat
	.protected	_ZN7rocprim17ROCPRIM_400000_NS6detail17trampoline_kernelINS0_14default_configENS1_22reduce_config_selectorIN6thrust23THRUST_200600_302600_NS5tupleIblNS6_9null_typeES8_S8_S8_S8_S8_S8_S8_EEEEZNS1_11reduce_implILb1ES3_NS6_12zip_iteratorINS7_INS6_11hip_rocprim26transform_input_iterator_tIbNSD_35transform_pair_of_input_iterators_tIbNS6_6detail15normal_iteratorINS6_10device_ptrIKfEEEESL_NS6_8equal_toIfEEEENSG_9not_fun_tINSD_8identityEEEEENSD_19counting_iterator_tIlEES8_S8_S8_S8_S8_S8_S8_S8_EEEEPS9_S9_NSD_9__find_if7functorIS9_EEEE10hipError_tPvRmT1_T2_T3_mT4_P12ihipStream_tbEUlT_E1_NS1_11comp_targetILNS1_3genE10ELNS1_11target_archE1200ELNS1_3gpuE4ELNS1_3repE0EEENS1_30default_config_static_selectorELNS0_4arch9wavefront6targetE1EEEvS14_ ; -- Begin function _ZN7rocprim17ROCPRIM_400000_NS6detail17trampoline_kernelINS0_14default_configENS1_22reduce_config_selectorIN6thrust23THRUST_200600_302600_NS5tupleIblNS6_9null_typeES8_S8_S8_S8_S8_S8_S8_EEEEZNS1_11reduce_implILb1ES3_NS6_12zip_iteratorINS7_INS6_11hip_rocprim26transform_input_iterator_tIbNSD_35transform_pair_of_input_iterators_tIbNS6_6detail15normal_iteratorINS6_10device_ptrIKfEEEESL_NS6_8equal_toIfEEEENSG_9not_fun_tINSD_8identityEEEEENSD_19counting_iterator_tIlEES8_S8_S8_S8_S8_S8_S8_S8_EEEEPS9_S9_NSD_9__find_if7functorIS9_EEEE10hipError_tPvRmT1_T2_T3_mT4_P12ihipStream_tbEUlT_E1_NS1_11comp_targetILNS1_3genE10ELNS1_11target_archE1200ELNS1_3gpuE4ELNS1_3repE0EEENS1_30default_config_static_selectorELNS0_4arch9wavefront6targetE1EEEvS14_
	.globl	_ZN7rocprim17ROCPRIM_400000_NS6detail17trampoline_kernelINS0_14default_configENS1_22reduce_config_selectorIN6thrust23THRUST_200600_302600_NS5tupleIblNS6_9null_typeES8_S8_S8_S8_S8_S8_S8_EEEEZNS1_11reduce_implILb1ES3_NS6_12zip_iteratorINS7_INS6_11hip_rocprim26transform_input_iterator_tIbNSD_35transform_pair_of_input_iterators_tIbNS6_6detail15normal_iteratorINS6_10device_ptrIKfEEEESL_NS6_8equal_toIfEEEENSG_9not_fun_tINSD_8identityEEEEENSD_19counting_iterator_tIlEES8_S8_S8_S8_S8_S8_S8_S8_EEEEPS9_S9_NSD_9__find_if7functorIS9_EEEE10hipError_tPvRmT1_T2_T3_mT4_P12ihipStream_tbEUlT_E1_NS1_11comp_targetILNS1_3genE10ELNS1_11target_archE1200ELNS1_3gpuE4ELNS1_3repE0EEENS1_30default_config_static_selectorELNS0_4arch9wavefront6targetE1EEEvS14_
	.p2align	8
	.type	_ZN7rocprim17ROCPRIM_400000_NS6detail17trampoline_kernelINS0_14default_configENS1_22reduce_config_selectorIN6thrust23THRUST_200600_302600_NS5tupleIblNS6_9null_typeES8_S8_S8_S8_S8_S8_S8_EEEEZNS1_11reduce_implILb1ES3_NS6_12zip_iteratorINS7_INS6_11hip_rocprim26transform_input_iterator_tIbNSD_35transform_pair_of_input_iterators_tIbNS6_6detail15normal_iteratorINS6_10device_ptrIKfEEEESL_NS6_8equal_toIfEEEENSG_9not_fun_tINSD_8identityEEEEENSD_19counting_iterator_tIlEES8_S8_S8_S8_S8_S8_S8_S8_EEEEPS9_S9_NSD_9__find_if7functorIS9_EEEE10hipError_tPvRmT1_T2_T3_mT4_P12ihipStream_tbEUlT_E1_NS1_11comp_targetILNS1_3genE10ELNS1_11target_archE1200ELNS1_3gpuE4ELNS1_3repE0EEENS1_30default_config_static_selectorELNS0_4arch9wavefront6targetE1EEEvS14_,@function
_ZN7rocprim17ROCPRIM_400000_NS6detail17trampoline_kernelINS0_14default_configENS1_22reduce_config_selectorIN6thrust23THRUST_200600_302600_NS5tupleIblNS6_9null_typeES8_S8_S8_S8_S8_S8_S8_EEEEZNS1_11reduce_implILb1ES3_NS6_12zip_iteratorINS7_INS6_11hip_rocprim26transform_input_iterator_tIbNSD_35transform_pair_of_input_iterators_tIbNS6_6detail15normal_iteratorINS6_10device_ptrIKfEEEESL_NS6_8equal_toIfEEEENSG_9not_fun_tINSD_8identityEEEEENSD_19counting_iterator_tIlEES8_S8_S8_S8_S8_S8_S8_S8_EEEEPS9_S9_NSD_9__find_if7functorIS9_EEEE10hipError_tPvRmT1_T2_T3_mT4_P12ihipStream_tbEUlT_E1_NS1_11comp_targetILNS1_3genE10ELNS1_11target_archE1200ELNS1_3gpuE4ELNS1_3repE0EEENS1_30default_config_static_selectorELNS0_4arch9wavefront6targetE1EEEvS14_: ; @_ZN7rocprim17ROCPRIM_400000_NS6detail17trampoline_kernelINS0_14default_configENS1_22reduce_config_selectorIN6thrust23THRUST_200600_302600_NS5tupleIblNS6_9null_typeES8_S8_S8_S8_S8_S8_S8_EEEEZNS1_11reduce_implILb1ES3_NS6_12zip_iteratorINS7_INS6_11hip_rocprim26transform_input_iterator_tIbNSD_35transform_pair_of_input_iterators_tIbNS6_6detail15normal_iteratorINS6_10device_ptrIKfEEEESL_NS6_8equal_toIfEEEENSG_9not_fun_tINSD_8identityEEEEENSD_19counting_iterator_tIlEES8_S8_S8_S8_S8_S8_S8_S8_EEEEPS9_S9_NSD_9__find_if7functorIS9_EEEE10hipError_tPvRmT1_T2_T3_mT4_P12ihipStream_tbEUlT_E1_NS1_11comp_targetILNS1_3genE10ELNS1_11target_archE1200ELNS1_3gpuE4ELNS1_3repE0EEENS1_30default_config_static_selectorELNS0_4arch9wavefront6targetE1EEEvS14_
; %bb.0:
	.section	.rodata,"a",@progbits
	.p2align	6, 0x0
	.amdhsa_kernel _ZN7rocprim17ROCPRIM_400000_NS6detail17trampoline_kernelINS0_14default_configENS1_22reduce_config_selectorIN6thrust23THRUST_200600_302600_NS5tupleIblNS6_9null_typeES8_S8_S8_S8_S8_S8_S8_EEEEZNS1_11reduce_implILb1ES3_NS6_12zip_iteratorINS7_INS6_11hip_rocprim26transform_input_iterator_tIbNSD_35transform_pair_of_input_iterators_tIbNS6_6detail15normal_iteratorINS6_10device_ptrIKfEEEESL_NS6_8equal_toIfEEEENSG_9not_fun_tINSD_8identityEEEEENSD_19counting_iterator_tIlEES8_S8_S8_S8_S8_S8_S8_S8_EEEEPS9_S9_NSD_9__find_if7functorIS9_EEEE10hipError_tPvRmT1_T2_T3_mT4_P12ihipStream_tbEUlT_E1_NS1_11comp_targetILNS1_3genE10ELNS1_11target_archE1200ELNS1_3gpuE4ELNS1_3repE0EEENS1_30default_config_static_selectorELNS0_4arch9wavefront6targetE1EEEvS14_
		.amdhsa_group_segment_fixed_size 0
		.amdhsa_private_segment_fixed_size 0
		.amdhsa_kernarg_size 88
		.amdhsa_user_sgpr_count 2
		.amdhsa_user_sgpr_dispatch_ptr 0
		.amdhsa_user_sgpr_queue_ptr 0
		.amdhsa_user_sgpr_kernarg_segment_ptr 1
		.amdhsa_user_sgpr_dispatch_id 0
		.amdhsa_user_sgpr_kernarg_preload_length 0
		.amdhsa_user_sgpr_kernarg_preload_offset 0
		.amdhsa_user_sgpr_private_segment_size 0
		.amdhsa_uses_dynamic_stack 0
		.amdhsa_enable_private_segment 0
		.amdhsa_system_sgpr_workgroup_id_x 1
		.amdhsa_system_sgpr_workgroup_id_y 0
		.amdhsa_system_sgpr_workgroup_id_z 0
		.amdhsa_system_sgpr_workgroup_info 0
		.amdhsa_system_vgpr_workitem_id 0
		.amdhsa_next_free_vgpr 1
		.amdhsa_next_free_sgpr 0
		.amdhsa_accum_offset 4
		.amdhsa_reserve_vcc 0
		.amdhsa_float_round_mode_32 0
		.amdhsa_float_round_mode_16_64 0
		.amdhsa_float_denorm_mode_32 3
		.amdhsa_float_denorm_mode_16_64 3
		.amdhsa_dx10_clamp 1
		.amdhsa_ieee_mode 1
		.amdhsa_fp16_overflow 0
		.amdhsa_tg_split 0
		.amdhsa_exception_fp_ieee_invalid_op 0
		.amdhsa_exception_fp_denorm_src 0
		.amdhsa_exception_fp_ieee_div_zero 0
		.amdhsa_exception_fp_ieee_overflow 0
		.amdhsa_exception_fp_ieee_underflow 0
		.amdhsa_exception_fp_ieee_inexact 0
		.amdhsa_exception_int_div_zero 0
	.end_amdhsa_kernel
	.section	.text._ZN7rocprim17ROCPRIM_400000_NS6detail17trampoline_kernelINS0_14default_configENS1_22reduce_config_selectorIN6thrust23THRUST_200600_302600_NS5tupleIblNS6_9null_typeES8_S8_S8_S8_S8_S8_S8_EEEEZNS1_11reduce_implILb1ES3_NS6_12zip_iteratorINS7_INS6_11hip_rocprim26transform_input_iterator_tIbNSD_35transform_pair_of_input_iterators_tIbNS6_6detail15normal_iteratorINS6_10device_ptrIKfEEEESL_NS6_8equal_toIfEEEENSG_9not_fun_tINSD_8identityEEEEENSD_19counting_iterator_tIlEES8_S8_S8_S8_S8_S8_S8_S8_EEEEPS9_S9_NSD_9__find_if7functorIS9_EEEE10hipError_tPvRmT1_T2_T3_mT4_P12ihipStream_tbEUlT_E1_NS1_11comp_targetILNS1_3genE10ELNS1_11target_archE1200ELNS1_3gpuE4ELNS1_3repE0EEENS1_30default_config_static_selectorELNS0_4arch9wavefront6targetE1EEEvS14_,"axG",@progbits,_ZN7rocprim17ROCPRIM_400000_NS6detail17trampoline_kernelINS0_14default_configENS1_22reduce_config_selectorIN6thrust23THRUST_200600_302600_NS5tupleIblNS6_9null_typeES8_S8_S8_S8_S8_S8_S8_EEEEZNS1_11reduce_implILb1ES3_NS6_12zip_iteratorINS7_INS6_11hip_rocprim26transform_input_iterator_tIbNSD_35transform_pair_of_input_iterators_tIbNS6_6detail15normal_iteratorINS6_10device_ptrIKfEEEESL_NS6_8equal_toIfEEEENSG_9not_fun_tINSD_8identityEEEEENSD_19counting_iterator_tIlEES8_S8_S8_S8_S8_S8_S8_S8_EEEEPS9_S9_NSD_9__find_if7functorIS9_EEEE10hipError_tPvRmT1_T2_T3_mT4_P12ihipStream_tbEUlT_E1_NS1_11comp_targetILNS1_3genE10ELNS1_11target_archE1200ELNS1_3gpuE4ELNS1_3repE0EEENS1_30default_config_static_selectorELNS0_4arch9wavefront6targetE1EEEvS14_,comdat
.Lfunc_end374:
	.size	_ZN7rocprim17ROCPRIM_400000_NS6detail17trampoline_kernelINS0_14default_configENS1_22reduce_config_selectorIN6thrust23THRUST_200600_302600_NS5tupleIblNS6_9null_typeES8_S8_S8_S8_S8_S8_S8_EEEEZNS1_11reduce_implILb1ES3_NS6_12zip_iteratorINS7_INS6_11hip_rocprim26transform_input_iterator_tIbNSD_35transform_pair_of_input_iterators_tIbNS6_6detail15normal_iteratorINS6_10device_ptrIKfEEEESL_NS6_8equal_toIfEEEENSG_9not_fun_tINSD_8identityEEEEENSD_19counting_iterator_tIlEES8_S8_S8_S8_S8_S8_S8_S8_EEEEPS9_S9_NSD_9__find_if7functorIS9_EEEE10hipError_tPvRmT1_T2_T3_mT4_P12ihipStream_tbEUlT_E1_NS1_11comp_targetILNS1_3genE10ELNS1_11target_archE1200ELNS1_3gpuE4ELNS1_3repE0EEENS1_30default_config_static_selectorELNS0_4arch9wavefront6targetE1EEEvS14_, .Lfunc_end374-_ZN7rocprim17ROCPRIM_400000_NS6detail17trampoline_kernelINS0_14default_configENS1_22reduce_config_selectorIN6thrust23THRUST_200600_302600_NS5tupleIblNS6_9null_typeES8_S8_S8_S8_S8_S8_S8_EEEEZNS1_11reduce_implILb1ES3_NS6_12zip_iteratorINS7_INS6_11hip_rocprim26transform_input_iterator_tIbNSD_35transform_pair_of_input_iterators_tIbNS6_6detail15normal_iteratorINS6_10device_ptrIKfEEEESL_NS6_8equal_toIfEEEENSG_9not_fun_tINSD_8identityEEEEENSD_19counting_iterator_tIlEES8_S8_S8_S8_S8_S8_S8_S8_EEEEPS9_S9_NSD_9__find_if7functorIS9_EEEE10hipError_tPvRmT1_T2_T3_mT4_P12ihipStream_tbEUlT_E1_NS1_11comp_targetILNS1_3genE10ELNS1_11target_archE1200ELNS1_3gpuE4ELNS1_3repE0EEENS1_30default_config_static_selectorELNS0_4arch9wavefront6targetE1EEEvS14_
                                        ; -- End function
	.set _ZN7rocprim17ROCPRIM_400000_NS6detail17trampoline_kernelINS0_14default_configENS1_22reduce_config_selectorIN6thrust23THRUST_200600_302600_NS5tupleIblNS6_9null_typeES8_S8_S8_S8_S8_S8_S8_EEEEZNS1_11reduce_implILb1ES3_NS6_12zip_iteratorINS7_INS6_11hip_rocprim26transform_input_iterator_tIbNSD_35transform_pair_of_input_iterators_tIbNS6_6detail15normal_iteratorINS6_10device_ptrIKfEEEESL_NS6_8equal_toIfEEEENSG_9not_fun_tINSD_8identityEEEEENSD_19counting_iterator_tIlEES8_S8_S8_S8_S8_S8_S8_S8_EEEEPS9_S9_NSD_9__find_if7functorIS9_EEEE10hipError_tPvRmT1_T2_T3_mT4_P12ihipStream_tbEUlT_E1_NS1_11comp_targetILNS1_3genE10ELNS1_11target_archE1200ELNS1_3gpuE4ELNS1_3repE0EEENS1_30default_config_static_selectorELNS0_4arch9wavefront6targetE1EEEvS14_.num_vgpr, 0
	.set _ZN7rocprim17ROCPRIM_400000_NS6detail17trampoline_kernelINS0_14default_configENS1_22reduce_config_selectorIN6thrust23THRUST_200600_302600_NS5tupleIblNS6_9null_typeES8_S8_S8_S8_S8_S8_S8_EEEEZNS1_11reduce_implILb1ES3_NS6_12zip_iteratorINS7_INS6_11hip_rocprim26transform_input_iterator_tIbNSD_35transform_pair_of_input_iterators_tIbNS6_6detail15normal_iteratorINS6_10device_ptrIKfEEEESL_NS6_8equal_toIfEEEENSG_9not_fun_tINSD_8identityEEEEENSD_19counting_iterator_tIlEES8_S8_S8_S8_S8_S8_S8_S8_EEEEPS9_S9_NSD_9__find_if7functorIS9_EEEE10hipError_tPvRmT1_T2_T3_mT4_P12ihipStream_tbEUlT_E1_NS1_11comp_targetILNS1_3genE10ELNS1_11target_archE1200ELNS1_3gpuE4ELNS1_3repE0EEENS1_30default_config_static_selectorELNS0_4arch9wavefront6targetE1EEEvS14_.num_agpr, 0
	.set _ZN7rocprim17ROCPRIM_400000_NS6detail17trampoline_kernelINS0_14default_configENS1_22reduce_config_selectorIN6thrust23THRUST_200600_302600_NS5tupleIblNS6_9null_typeES8_S8_S8_S8_S8_S8_S8_EEEEZNS1_11reduce_implILb1ES3_NS6_12zip_iteratorINS7_INS6_11hip_rocprim26transform_input_iterator_tIbNSD_35transform_pair_of_input_iterators_tIbNS6_6detail15normal_iteratorINS6_10device_ptrIKfEEEESL_NS6_8equal_toIfEEEENSG_9not_fun_tINSD_8identityEEEEENSD_19counting_iterator_tIlEES8_S8_S8_S8_S8_S8_S8_S8_EEEEPS9_S9_NSD_9__find_if7functorIS9_EEEE10hipError_tPvRmT1_T2_T3_mT4_P12ihipStream_tbEUlT_E1_NS1_11comp_targetILNS1_3genE10ELNS1_11target_archE1200ELNS1_3gpuE4ELNS1_3repE0EEENS1_30default_config_static_selectorELNS0_4arch9wavefront6targetE1EEEvS14_.numbered_sgpr, 0
	.set _ZN7rocprim17ROCPRIM_400000_NS6detail17trampoline_kernelINS0_14default_configENS1_22reduce_config_selectorIN6thrust23THRUST_200600_302600_NS5tupleIblNS6_9null_typeES8_S8_S8_S8_S8_S8_S8_EEEEZNS1_11reduce_implILb1ES3_NS6_12zip_iteratorINS7_INS6_11hip_rocprim26transform_input_iterator_tIbNSD_35transform_pair_of_input_iterators_tIbNS6_6detail15normal_iteratorINS6_10device_ptrIKfEEEESL_NS6_8equal_toIfEEEENSG_9not_fun_tINSD_8identityEEEEENSD_19counting_iterator_tIlEES8_S8_S8_S8_S8_S8_S8_S8_EEEEPS9_S9_NSD_9__find_if7functorIS9_EEEE10hipError_tPvRmT1_T2_T3_mT4_P12ihipStream_tbEUlT_E1_NS1_11comp_targetILNS1_3genE10ELNS1_11target_archE1200ELNS1_3gpuE4ELNS1_3repE0EEENS1_30default_config_static_selectorELNS0_4arch9wavefront6targetE1EEEvS14_.num_named_barrier, 0
	.set _ZN7rocprim17ROCPRIM_400000_NS6detail17trampoline_kernelINS0_14default_configENS1_22reduce_config_selectorIN6thrust23THRUST_200600_302600_NS5tupleIblNS6_9null_typeES8_S8_S8_S8_S8_S8_S8_EEEEZNS1_11reduce_implILb1ES3_NS6_12zip_iteratorINS7_INS6_11hip_rocprim26transform_input_iterator_tIbNSD_35transform_pair_of_input_iterators_tIbNS6_6detail15normal_iteratorINS6_10device_ptrIKfEEEESL_NS6_8equal_toIfEEEENSG_9not_fun_tINSD_8identityEEEEENSD_19counting_iterator_tIlEES8_S8_S8_S8_S8_S8_S8_S8_EEEEPS9_S9_NSD_9__find_if7functorIS9_EEEE10hipError_tPvRmT1_T2_T3_mT4_P12ihipStream_tbEUlT_E1_NS1_11comp_targetILNS1_3genE10ELNS1_11target_archE1200ELNS1_3gpuE4ELNS1_3repE0EEENS1_30default_config_static_selectorELNS0_4arch9wavefront6targetE1EEEvS14_.private_seg_size, 0
	.set _ZN7rocprim17ROCPRIM_400000_NS6detail17trampoline_kernelINS0_14default_configENS1_22reduce_config_selectorIN6thrust23THRUST_200600_302600_NS5tupleIblNS6_9null_typeES8_S8_S8_S8_S8_S8_S8_EEEEZNS1_11reduce_implILb1ES3_NS6_12zip_iteratorINS7_INS6_11hip_rocprim26transform_input_iterator_tIbNSD_35transform_pair_of_input_iterators_tIbNS6_6detail15normal_iteratorINS6_10device_ptrIKfEEEESL_NS6_8equal_toIfEEEENSG_9not_fun_tINSD_8identityEEEEENSD_19counting_iterator_tIlEES8_S8_S8_S8_S8_S8_S8_S8_EEEEPS9_S9_NSD_9__find_if7functorIS9_EEEE10hipError_tPvRmT1_T2_T3_mT4_P12ihipStream_tbEUlT_E1_NS1_11comp_targetILNS1_3genE10ELNS1_11target_archE1200ELNS1_3gpuE4ELNS1_3repE0EEENS1_30default_config_static_selectorELNS0_4arch9wavefront6targetE1EEEvS14_.uses_vcc, 0
	.set _ZN7rocprim17ROCPRIM_400000_NS6detail17trampoline_kernelINS0_14default_configENS1_22reduce_config_selectorIN6thrust23THRUST_200600_302600_NS5tupleIblNS6_9null_typeES8_S8_S8_S8_S8_S8_S8_EEEEZNS1_11reduce_implILb1ES3_NS6_12zip_iteratorINS7_INS6_11hip_rocprim26transform_input_iterator_tIbNSD_35transform_pair_of_input_iterators_tIbNS6_6detail15normal_iteratorINS6_10device_ptrIKfEEEESL_NS6_8equal_toIfEEEENSG_9not_fun_tINSD_8identityEEEEENSD_19counting_iterator_tIlEES8_S8_S8_S8_S8_S8_S8_S8_EEEEPS9_S9_NSD_9__find_if7functorIS9_EEEE10hipError_tPvRmT1_T2_T3_mT4_P12ihipStream_tbEUlT_E1_NS1_11comp_targetILNS1_3genE10ELNS1_11target_archE1200ELNS1_3gpuE4ELNS1_3repE0EEENS1_30default_config_static_selectorELNS0_4arch9wavefront6targetE1EEEvS14_.uses_flat_scratch, 0
	.set _ZN7rocprim17ROCPRIM_400000_NS6detail17trampoline_kernelINS0_14default_configENS1_22reduce_config_selectorIN6thrust23THRUST_200600_302600_NS5tupleIblNS6_9null_typeES8_S8_S8_S8_S8_S8_S8_EEEEZNS1_11reduce_implILb1ES3_NS6_12zip_iteratorINS7_INS6_11hip_rocprim26transform_input_iterator_tIbNSD_35transform_pair_of_input_iterators_tIbNS6_6detail15normal_iteratorINS6_10device_ptrIKfEEEESL_NS6_8equal_toIfEEEENSG_9not_fun_tINSD_8identityEEEEENSD_19counting_iterator_tIlEES8_S8_S8_S8_S8_S8_S8_S8_EEEEPS9_S9_NSD_9__find_if7functorIS9_EEEE10hipError_tPvRmT1_T2_T3_mT4_P12ihipStream_tbEUlT_E1_NS1_11comp_targetILNS1_3genE10ELNS1_11target_archE1200ELNS1_3gpuE4ELNS1_3repE0EEENS1_30default_config_static_selectorELNS0_4arch9wavefront6targetE1EEEvS14_.has_dyn_sized_stack, 0
	.set _ZN7rocprim17ROCPRIM_400000_NS6detail17trampoline_kernelINS0_14default_configENS1_22reduce_config_selectorIN6thrust23THRUST_200600_302600_NS5tupleIblNS6_9null_typeES8_S8_S8_S8_S8_S8_S8_EEEEZNS1_11reduce_implILb1ES3_NS6_12zip_iteratorINS7_INS6_11hip_rocprim26transform_input_iterator_tIbNSD_35transform_pair_of_input_iterators_tIbNS6_6detail15normal_iteratorINS6_10device_ptrIKfEEEESL_NS6_8equal_toIfEEEENSG_9not_fun_tINSD_8identityEEEEENSD_19counting_iterator_tIlEES8_S8_S8_S8_S8_S8_S8_S8_EEEEPS9_S9_NSD_9__find_if7functorIS9_EEEE10hipError_tPvRmT1_T2_T3_mT4_P12ihipStream_tbEUlT_E1_NS1_11comp_targetILNS1_3genE10ELNS1_11target_archE1200ELNS1_3gpuE4ELNS1_3repE0EEENS1_30default_config_static_selectorELNS0_4arch9wavefront6targetE1EEEvS14_.has_recursion, 0
	.set _ZN7rocprim17ROCPRIM_400000_NS6detail17trampoline_kernelINS0_14default_configENS1_22reduce_config_selectorIN6thrust23THRUST_200600_302600_NS5tupleIblNS6_9null_typeES8_S8_S8_S8_S8_S8_S8_EEEEZNS1_11reduce_implILb1ES3_NS6_12zip_iteratorINS7_INS6_11hip_rocprim26transform_input_iterator_tIbNSD_35transform_pair_of_input_iterators_tIbNS6_6detail15normal_iteratorINS6_10device_ptrIKfEEEESL_NS6_8equal_toIfEEEENSG_9not_fun_tINSD_8identityEEEEENSD_19counting_iterator_tIlEES8_S8_S8_S8_S8_S8_S8_S8_EEEEPS9_S9_NSD_9__find_if7functorIS9_EEEE10hipError_tPvRmT1_T2_T3_mT4_P12ihipStream_tbEUlT_E1_NS1_11comp_targetILNS1_3genE10ELNS1_11target_archE1200ELNS1_3gpuE4ELNS1_3repE0EEENS1_30default_config_static_selectorELNS0_4arch9wavefront6targetE1EEEvS14_.has_indirect_call, 0
	.section	.AMDGPU.csdata,"",@progbits
; Kernel info:
; codeLenInByte = 0
; TotalNumSgprs: 6
; NumVgprs: 0
; NumAgprs: 0
; TotalNumVgprs: 0
; ScratchSize: 0
; MemoryBound: 0
; FloatMode: 240
; IeeeMode: 1
; LDSByteSize: 0 bytes/workgroup (compile time only)
; SGPRBlocks: 0
; VGPRBlocks: 0
; NumSGPRsForWavesPerEU: 6
; NumVGPRsForWavesPerEU: 1
; AccumOffset: 4
; Occupancy: 8
; WaveLimiterHint : 0
; COMPUTE_PGM_RSRC2:SCRATCH_EN: 0
; COMPUTE_PGM_RSRC2:USER_SGPR: 2
; COMPUTE_PGM_RSRC2:TRAP_HANDLER: 0
; COMPUTE_PGM_RSRC2:TGID_X_EN: 1
; COMPUTE_PGM_RSRC2:TGID_Y_EN: 0
; COMPUTE_PGM_RSRC2:TGID_Z_EN: 0
; COMPUTE_PGM_RSRC2:TIDIG_COMP_CNT: 0
; COMPUTE_PGM_RSRC3_GFX90A:ACCUM_OFFSET: 0
; COMPUTE_PGM_RSRC3_GFX90A:TG_SPLIT: 0
	.section	.text._ZN7rocprim17ROCPRIM_400000_NS6detail17trampoline_kernelINS0_14default_configENS1_22reduce_config_selectorIN6thrust23THRUST_200600_302600_NS5tupleIblNS6_9null_typeES8_S8_S8_S8_S8_S8_S8_EEEEZNS1_11reduce_implILb1ES3_NS6_12zip_iteratorINS7_INS6_11hip_rocprim26transform_input_iterator_tIbNSD_35transform_pair_of_input_iterators_tIbNS6_6detail15normal_iteratorINS6_10device_ptrIKfEEEESL_NS6_8equal_toIfEEEENSG_9not_fun_tINSD_8identityEEEEENSD_19counting_iterator_tIlEES8_S8_S8_S8_S8_S8_S8_S8_EEEEPS9_S9_NSD_9__find_if7functorIS9_EEEE10hipError_tPvRmT1_T2_T3_mT4_P12ihipStream_tbEUlT_E1_NS1_11comp_targetILNS1_3genE9ELNS1_11target_archE1100ELNS1_3gpuE3ELNS1_3repE0EEENS1_30default_config_static_selectorELNS0_4arch9wavefront6targetE1EEEvS14_,"axG",@progbits,_ZN7rocprim17ROCPRIM_400000_NS6detail17trampoline_kernelINS0_14default_configENS1_22reduce_config_selectorIN6thrust23THRUST_200600_302600_NS5tupleIblNS6_9null_typeES8_S8_S8_S8_S8_S8_S8_EEEEZNS1_11reduce_implILb1ES3_NS6_12zip_iteratorINS7_INS6_11hip_rocprim26transform_input_iterator_tIbNSD_35transform_pair_of_input_iterators_tIbNS6_6detail15normal_iteratorINS6_10device_ptrIKfEEEESL_NS6_8equal_toIfEEEENSG_9not_fun_tINSD_8identityEEEEENSD_19counting_iterator_tIlEES8_S8_S8_S8_S8_S8_S8_S8_EEEEPS9_S9_NSD_9__find_if7functorIS9_EEEE10hipError_tPvRmT1_T2_T3_mT4_P12ihipStream_tbEUlT_E1_NS1_11comp_targetILNS1_3genE9ELNS1_11target_archE1100ELNS1_3gpuE3ELNS1_3repE0EEENS1_30default_config_static_selectorELNS0_4arch9wavefront6targetE1EEEvS14_,comdat
	.protected	_ZN7rocprim17ROCPRIM_400000_NS6detail17trampoline_kernelINS0_14default_configENS1_22reduce_config_selectorIN6thrust23THRUST_200600_302600_NS5tupleIblNS6_9null_typeES8_S8_S8_S8_S8_S8_S8_EEEEZNS1_11reduce_implILb1ES3_NS6_12zip_iteratorINS7_INS6_11hip_rocprim26transform_input_iterator_tIbNSD_35transform_pair_of_input_iterators_tIbNS6_6detail15normal_iteratorINS6_10device_ptrIKfEEEESL_NS6_8equal_toIfEEEENSG_9not_fun_tINSD_8identityEEEEENSD_19counting_iterator_tIlEES8_S8_S8_S8_S8_S8_S8_S8_EEEEPS9_S9_NSD_9__find_if7functorIS9_EEEE10hipError_tPvRmT1_T2_T3_mT4_P12ihipStream_tbEUlT_E1_NS1_11comp_targetILNS1_3genE9ELNS1_11target_archE1100ELNS1_3gpuE3ELNS1_3repE0EEENS1_30default_config_static_selectorELNS0_4arch9wavefront6targetE1EEEvS14_ ; -- Begin function _ZN7rocprim17ROCPRIM_400000_NS6detail17trampoline_kernelINS0_14default_configENS1_22reduce_config_selectorIN6thrust23THRUST_200600_302600_NS5tupleIblNS6_9null_typeES8_S8_S8_S8_S8_S8_S8_EEEEZNS1_11reduce_implILb1ES3_NS6_12zip_iteratorINS7_INS6_11hip_rocprim26transform_input_iterator_tIbNSD_35transform_pair_of_input_iterators_tIbNS6_6detail15normal_iteratorINS6_10device_ptrIKfEEEESL_NS6_8equal_toIfEEEENSG_9not_fun_tINSD_8identityEEEEENSD_19counting_iterator_tIlEES8_S8_S8_S8_S8_S8_S8_S8_EEEEPS9_S9_NSD_9__find_if7functorIS9_EEEE10hipError_tPvRmT1_T2_T3_mT4_P12ihipStream_tbEUlT_E1_NS1_11comp_targetILNS1_3genE9ELNS1_11target_archE1100ELNS1_3gpuE3ELNS1_3repE0EEENS1_30default_config_static_selectorELNS0_4arch9wavefront6targetE1EEEvS14_
	.globl	_ZN7rocprim17ROCPRIM_400000_NS6detail17trampoline_kernelINS0_14default_configENS1_22reduce_config_selectorIN6thrust23THRUST_200600_302600_NS5tupleIblNS6_9null_typeES8_S8_S8_S8_S8_S8_S8_EEEEZNS1_11reduce_implILb1ES3_NS6_12zip_iteratorINS7_INS6_11hip_rocprim26transform_input_iterator_tIbNSD_35transform_pair_of_input_iterators_tIbNS6_6detail15normal_iteratorINS6_10device_ptrIKfEEEESL_NS6_8equal_toIfEEEENSG_9not_fun_tINSD_8identityEEEEENSD_19counting_iterator_tIlEES8_S8_S8_S8_S8_S8_S8_S8_EEEEPS9_S9_NSD_9__find_if7functorIS9_EEEE10hipError_tPvRmT1_T2_T3_mT4_P12ihipStream_tbEUlT_E1_NS1_11comp_targetILNS1_3genE9ELNS1_11target_archE1100ELNS1_3gpuE3ELNS1_3repE0EEENS1_30default_config_static_selectorELNS0_4arch9wavefront6targetE1EEEvS14_
	.p2align	8
	.type	_ZN7rocprim17ROCPRIM_400000_NS6detail17trampoline_kernelINS0_14default_configENS1_22reduce_config_selectorIN6thrust23THRUST_200600_302600_NS5tupleIblNS6_9null_typeES8_S8_S8_S8_S8_S8_S8_EEEEZNS1_11reduce_implILb1ES3_NS6_12zip_iteratorINS7_INS6_11hip_rocprim26transform_input_iterator_tIbNSD_35transform_pair_of_input_iterators_tIbNS6_6detail15normal_iteratorINS6_10device_ptrIKfEEEESL_NS6_8equal_toIfEEEENSG_9not_fun_tINSD_8identityEEEEENSD_19counting_iterator_tIlEES8_S8_S8_S8_S8_S8_S8_S8_EEEEPS9_S9_NSD_9__find_if7functorIS9_EEEE10hipError_tPvRmT1_T2_T3_mT4_P12ihipStream_tbEUlT_E1_NS1_11comp_targetILNS1_3genE9ELNS1_11target_archE1100ELNS1_3gpuE3ELNS1_3repE0EEENS1_30default_config_static_selectorELNS0_4arch9wavefront6targetE1EEEvS14_,@function
_ZN7rocprim17ROCPRIM_400000_NS6detail17trampoline_kernelINS0_14default_configENS1_22reduce_config_selectorIN6thrust23THRUST_200600_302600_NS5tupleIblNS6_9null_typeES8_S8_S8_S8_S8_S8_S8_EEEEZNS1_11reduce_implILb1ES3_NS6_12zip_iteratorINS7_INS6_11hip_rocprim26transform_input_iterator_tIbNSD_35transform_pair_of_input_iterators_tIbNS6_6detail15normal_iteratorINS6_10device_ptrIKfEEEESL_NS6_8equal_toIfEEEENSG_9not_fun_tINSD_8identityEEEEENSD_19counting_iterator_tIlEES8_S8_S8_S8_S8_S8_S8_S8_EEEEPS9_S9_NSD_9__find_if7functorIS9_EEEE10hipError_tPvRmT1_T2_T3_mT4_P12ihipStream_tbEUlT_E1_NS1_11comp_targetILNS1_3genE9ELNS1_11target_archE1100ELNS1_3gpuE3ELNS1_3repE0EEENS1_30default_config_static_selectorELNS0_4arch9wavefront6targetE1EEEvS14_: ; @_ZN7rocprim17ROCPRIM_400000_NS6detail17trampoline_kernelINS0_14default_configENS1_22reduce_config_selectorIN6thrust23THRUST_200600_302600_NS5tupleIblNS6_9null_typeES8_S8_S8_S8_S8_S8_S8_EEEEZNS1_11reduce_implILb1ES3_NS6_12zip_iteratorINS7_INS6_11hip_rocprim26transform_input_iterator_tIbNSD_35transform_pair_of_input_iterators_tIbNS6_6detail15normal_iteratorINS6_10device_ptrIKfEEEESL_NS6_8equal_toIfEEEENSG_9not_fun_tINSD_8identityEEEEENSD_19counting_iterator_tIlEES8_S8_S8_S8_S8_S8_S8_S8_EEEEPS9_S9_NSD_9__find_if7functorIS9_EEEE10hipError_tPvRmT1_T2_T3_mT4_P12ihipStream_tbEUlT_E1_NS1_11comp_targetILNS1_3genE9ELNS1_11target_archE1100ELNS1_3gpuE3ELNS1_3repE0EEENS1_30default_config_static_selectorELNS0_4arch9wavefront6targetE1EEEvS14_
; %bb.0:
	.section	.rodata,"a",@progbits
	.p2align	6, 0x0
	.amdhsa_kernel _ZN7rocprim17ROCPRIM_400000_NS6detail17trampoline_kernelINS0_14default_configENS1_22reduce_config_selectorIN6thrust23THRUST_200600_302600_NS5tupleIblNS6_9null_typeES8_S8_S8_S8_S8_S8_S8_EEEEZNS1_11reduce_implILb1ES3_NS6_12zip_iteratorINS7_INS6_11hip_rocprim26transform_input_iterator_tIbNSD_35transform_pair_of_input_iterators_tIbNS6_6detail15normal_iteratorINS6_10device_ptrIKfEEEESL_NS6_8equal_toIfEEEENSG_9not_fun_tINSD_8identityEEEEENSD_19counting_iterator_tIlEES8_S8_S8_S8_S8_S8_S8_S8_EEEEPS9_S9_NSD_9__find_if7functorIS9_EEEE10hipError_tPvRmT1_T2_T3_mT4_P12ihipStream_tbEUlT_E1_NS1_11comp_targetILNS1_3genE9ELNS1_11target_archE1100ELNS1_3gpuE3ELNS1_3repE0EEENS1_30default_config_static_selectorELNS0_4arch9wavefront6targetE1EEEvS14_
		.amdhsa_group_segment_fixed_size 0
		.amdhsa_private_segment_fixed_size 0
		.amdhsa_kernarg_size 88
		.amdhsa_user_sgpr_count 2
		.amdhsa_user_sgpr_dispatch_ptr 0
		.amdhsa_user_sgpr_queue_ptr 0
		.amdhsa_user_sgpr_kernarg_segment_ptr 1
		.amdhsa_user_sgpr_dispatch_id 0
		.amdhsa_user_sgpr_kernarg_preload_length 0
		.amdhsa_user_sgpr_kernarg_preload_offset 0
		.amdhsa_user_sgpr_private_segment_size 0
		.amdhsa_uses_dynamic_stack 0
		.amdhsa_enable_private_segment 0
		.amdhsa_system_sgpr_workgroup_id_x 1
		.amdhsa_system_sgpr_workgroup_id_y 0
		.amdhsa_system_sgpr_workgroup_id_z 0
		.amdhsa_system_sgpr_workgroup_info 0
		.amdhsa_system_vgpr_workitem_id 0
		.amdhsa_next_free_vgpr 1
		.amdhsa_next_free_sgpr 0
		.amdhsa_accum_offset 4
		.amdhsa_reserve_vcc 0
		.amdhsa_float_round_mode_32 0
		.amdhsa_float_round_mode_16_64 0
		.amdhsa_float_denorm_mode_32 3
		.amdhsa_float_denorm_mode_16_64 3
		.amdhsa_dx10_clamp 1
		.amdhsa_ieee_mode 1
		.amdhsa_fp16_overflow 0
		.amdhsa_tg_split 0
		.amdhsa_exception_fp_ieee_invalid_op 0
		.amdhsa_exception_fp_denorm_src 0
		.amdhsa_exception_fp_ieee_div_zero 0
		.amdhsa_exception_fp_ieee_overflow 0
		.amdhsa_exception_fp_ieee_underflow 0
		.amdhsa_exception_fp_ieee_inexact 0
		.amdhsa_exception_int_div_zero 0
	.end_amdhsa_kernel
	.section	.text._ZN7rocprim17ROCPRIM_400000_NS6detail17trampoline_kernelINS0_14default_configENS1_22reduce_config_selectorIN6thrust23THRUST_200600_302600_NS5tupleIblNS6_9null_typeES8_S8_S8_S8_S8_S8_S8_EEEEZNS1_11reduce_implILb1ES3_NS6_12zip_iteratorINS7_INS6_11hip_rocprim26transform_input_iterator_tIbNSD_35transform_pair_of_input_iterators_tIbNS6_6detail15normal_iteratorINS6_10device_ptrIKfEEEESL_NS6_8equal_toIfEEEENSG_9not_fun_tINSD_8identityEEEEENSD_19counting_iterator_tIlEES8_S8_S8_S8_S8_S8_S8_S8_EEEEPS9_S9_NSD_9__find_if7functorIS9_EEEE10hipError_tPvRmT1_T2_T3_mT4_P12ihipStream_tbEUlT_E1_NS1_11comp_targetILNS1_3genE9ELNS1_11target_archE1100ELNS1_3gpuE3ELNS1_3repE0EEENS1_30default_config_static_selectorELNS0_4arch9wavefront6targetE1EEEvS14_,"axG",@progbits,_ZN7rocprim17ROCPRIM_400000_NS6detail17trampoline_kernelINS0_14default_configENS1_22reduce_config_selectorIN6thrust23THRUST_200600_302600_NS5tupleIblNS6_9null_typeES8_S8_S8_S8_S8_S8_S8_EEEEZNS1_11reduce_implILb1ES3_NS6_12zip_iteratorINS7_INS6_11hip_rocprim26transform_input_iterator_tIbNSD_35transform_pair_of_input_iterators_tIbNS6_6detail15normal_iteratorINS6_10device_ptrIKfEEEESL_NS6_8equal_toIfEEEENSG_9not_fun_tINSD_8identityEEEEENSD_19counting_iterator_tIlEES8_S8_S8_S8_S8_S8_S8_S8_EEEEPS9_S9_NSD_9__find_if7functorIS9_EEEE10hipError_tPvRmT1_T2_T3_mT4_P12ihipStream_tbEUlT_E1_NS1_11comp_targetILNS1_3genE9ELNS1_11target_archE1100ELNS1_3gpuE3ELNS1_3repE0EEENS1_30default_config_static_selectorELNS0_4arch9wavefront6targetE1EEEvS14_,comdat
.Lfunc_end375:
	.size	_ZN7rocprim17ROCPRIM_400000_NS6detail17trampoline_kernelINS0_14default_configENS1_22reduce_config_selectorIN6thrust23THRUST_200600_302600_NS5tupleIblNS6_9null_typeES8_S8_S8_S8_S8_S8_S8_EEEEZNS1_11reduce_implILb1ES3_NS6_12zip_iteratorINS7_INS6_11hip_rocprim26transform_input_iterator_tIbNSD_35transform_pair_of_input_iterators_tIbNS6_6detail15normal_iteratorINS6_10device_ptrIKfEEEESL_NS6_8equal_toIfEEEENSG_9not_fun_tINSD_8identityEEEEENSD_19counting_iterator_tIlEES8_S8_S8_S8_S8_S8_S8_S8_EEEEPS9_S9_NSD_9__find_if7functorIS9_EEEE10hipError_tPvRmT1_T2_T3_mT4_P12ihipStream_tbEUlT_E1_NS1_11comp_targetILNS1_3genE9ELNS1_11target_archE1100ELNS1_3gpuE3ELNS1_3repE0EEENS1_30default_config_static_selectorELNS0_4arch9wavefront6targetE1EEEvS14_, .Lfunc_end375-_ZN7rocprim17ROCPRIM_400000_NS6detail17trampoline_kernelINS0_14default_configENS1_22reduce_config_selectorIN6thrust23THRUST_200600_302600_NS5tupleIblNS6_9null_typeES8_S8_S8_S8_S8_S8_S8_EEEEZNS1_11reduce_implILb1ES3_NS6_12zip_iteratorINS7_INS6_11hip_rocprim26transform_input_iterator_tIbNSD_35transform_pair_of_input_iterators_tIbNS6_6detail15normal_iteratorINS6_10device_ptrIKfEEEESL_NS6_8equal_toIfEEEENSG_9not_fun_tINSD_8identityEEEEENSD_19counting_iterator_tIlEES8_S8_S8_S8_S8_S8_S8_S8_EEEEPS9_S9_NSD_9__find_if7functorIS9_EEEE10hipError_tPvRmT1_T2_T3_mT4_P12ihipStream_tbEUlT_E1_NS1_11comp_targetILNS1_3genE9ELNS1_11target_archE1100ELNS1_3gpuE3ELNS1_3repE0EEENS1_30default_config_static_selectorELNS0_4arch9wavefront6targetE1EEEvS14_
                                        ; -- End function
	.set _ZN7rocprim17ROCPRIM_400000_NS6detail17trampoline_kernelINS0_14default_configENS1_22reduce_config_selectorIN6thrust23THRUST_200600_302600_NS5tupleIblNS6_9null_typeES8_S8_S8_S8_S8_S8_S8_EEEEZNS1_11reduce_implILb1ES3_NS6_12zip_iteratorINS7_INS6_11hip_rocprim26transform_input_iterator_tIbNSD_35transform_pair_of_input_iterators_tIbNS6_6detail15normal_iteratorINS6_10device_ptrIKfEEEESL_NS6_8equal_toIfEEEENSG_9not_fun_tINSD_8identityEEEEENSD_19counting_iterator_tIlEES8_S8_S8_S8_S8_S8_S8_S8_EEEEPS9_S9_NSD_9__find_if7functorIS9_EEEE10hipError_tPvRmT1_T2_T3_mT4_P12ihipStream_tbEUlT_E1_NS1_11comp_targetILNS1_3genE9ELNS1_11target_archE1100ELNS1_3gpuE3ELNS1_3repE0EEENS1_30default_config_static_selectorELNS0_4arch9wavefront6targetE1EEEvS14_.num_vgpr, 0
	.set _ZN7rocprim17ROCPRIM_400000_NS6detail17trampoline_kernelINS0_14default_configENS1_22reduce_config_selectorIN6thrust23THRUST_200600_302600_NS5tupleIblNS6_9null_typeES8_S8_S8_S8_S8_S8_S8_EEEEZNS1_11reduce_implILb1ES3_NS6_12zip_iteratorINS7_INS6_11hip_rocprim26transform_input_iterator_tIbNSD_35transform_pair_of_input_iterators_tIbNS6_6detail15normal_iteratorINS6_10device_ptrIKfEEEESL_NS6_8equal_toIfEEEENSG_9not_fun_tINSD_8identityEEEEENSD_19counting_iterator_tIlEES8_S8_S8_S8_S8_S8_S8_S8_EEEEPS9_S9_NSD_9__find_if7functorIS9_EEEE10hipError_tPvRmT1_T2_T3_mT4_P12ihipStream_tbEUlT_E1_NS1_11comp_targetILNS1_3genE9ELNS1_11target_archE1100ELNS1_3gpuE3ELNS1_3repE0EEENS1_30default_config_static_selectorELNS0_4arch9wavefront6targetE1EEEvS14_.num_agpr, 0
	.set _ZN7rocprim17ROCPRIM_400000_NS6detail17trampoline_kernelINS0_14default_configENS1_22reduce_config_selectorIN6thrust23THRUST_200600_302600_NS5tupleIblNS6_9null_typeES8_S8_S8_S8_S8_S8_S8_EEEEZNS1_11reduce_implILb1ES3_NS6_12zip_iteratorINS7_INS6_11hip_rocprim26transform_input_iterator_tIbNSD_35transform_pair_of_input_iterators_tIbNS6_6detail15normal_iteratorINS6_10device_ptrIKfEEEESL_NS6_8equal_toIfEEEENSG_9not_fun_tINSD_8identityEEEEENSD_19counting_iterator_tIlEES8_S8_S8_S8_S8_S8_S8_S8_EEEEPS9_S9_NSD_9__find_if7functorIS9_EEEE10hipError_tPvRmT1_T2_T3_mT4_P12ihipStream_tbEUlT_E1_NS1_11comp_targetILNS1_3genE9ELNS1_11target_archE1100ELNS1_3gpuE3ELNS1_3repE0EEENS1_30default_config_static_selectorELNS0_4arch9wavefront6targetE1EEEvS14_.numbered_sgpr, 0
	.set _ZN7rocprim17ROCPRIM_400000_NS6detail17trampoline_kernelINS0_14default_configENS1_22reduce_config_selectorIN6thrust23THRUST_200600_302600_NS5tupleIblNS6_9null_typeES8_S8_S8_S8_S8_S8_S8_EEEEZNS1_11reduce_implILb1ES3_NS6_12zip_iteratorINS7_INS6_11hip_rocprim26transform_input_iterator_tIbNSD_35transform_pair_of_input_iterators_tIbNS6_6detail15normal_iteratorINS6_10device_ptrIKfEEEESL_NS6_8equal_toIfEEEENSG_9not_fun_tINSD_8identityEEEEENSD_19counting_iterator_tIlEES8_S8_S8_S8_S8_S8_S8_S8_EEEEPS9_S9_NSD_9__find_if7functorIS9_EEEE10hipError_tPvRmT1_T2_T3_mT4_P12ihipStream_tbEUlT_E1_NS1_11comp_targetILNS1_3genE9ELNS1_11target_archE1100ELNS1_3gpuE3ELNS1_3repE0EEENS1_30default_config_static_selectorELNS0_4arch9wavefront6targetE1EEEvS14_.num_named_barrier, 0
	.set _ZN7rocprim17ROCPRIM_400000_NS6detail17trampoline_kernelINS0_14default_configENS1_22reduce_config_selectorIN6thrust23THRUST_200600_302600_NS5tupleIblNS6_9null_typeES8_S8_S8_S8_S8_S8_S8_EEEEZNS1_11reduce_implILb1ES3_NS6_12zip_iteratorINS7_INS6_11hip_rocprim26transform_input_iterator_tIbNSD_35transform_pair_of_input_iterators_tIbNS6_6detail15normal_iteratorINS6_10device_ptrIKfEEEESL_NS6_8equal_toIfEEEENSG_9not_fun_tINSD_8identityEEEEENSD_19counting_iterator_tIlEES8_S8_S8_S8_S8_S8_S8_S8_EEEEPS9_S9_NSD_9__find_if7functorIS9_EEEE10hipError_tPvRmT1_T2_T3_mT4_P12ihipStream_tbEUlT_E1_NS1_11comp_targetILNS1_3genE9ELNS1_11target_archE1100ELNS1_3gpuE3ELNS1_3repE0EEENS1_30default_config_static_selectorELNS0_4arch9wavefront6targetE1EEEvS14_.private_seg_size, 0
	.set _ZN7rocprim17ROCPRIM_400000_NS6detail17trampoline_kernelINS0_14default_configENS1_22reduce_config_selectorIN6thrust23THRUST_200600_302600_NS5tupleIblNS6_9null_typeES8_S8_S8_S8_S8_S8_S8_EEEEZNS1_11reduce_implILb1ES3_NS6_12zip_iteratorINS7_INS6_11hip_rocprim26transform_input_iterator_tIbNSD_35transform_pair_of_input_iterators_tIbNS6_6detail15normal_iteratorINS6_10device_ptrIKfEEEESL_NS6_8equal_toIfEEEENSG_9not_fun_tINSD_8identityEEEEENSD_19counting_iterator_tIlEES8_S8_S8_S8_S8_S8_S8_S8_EEEEPS9_S9_NSD_9__find_if7functorIS9_EEEE10hipError_tPvRmT1_T2_T3_mT4_P12ihipStream_tbEUlT_E1_NS1_11comp_targetILNS1_3genE9ELNS1_11target_archE1100ELNS1_3gpuE3ELNS1_3repE0EEENS1_30default_config_static_selectorELNS0_4arch9wavefront6targetE1EEEvS14_.uses_vcc, 0
	.set _ZN7rocprim17ROCPRIM_400000_NS6detail17trampoline_kernelINS0_14default_configENS1_22reduce_config_selectorIN6thrust23THRUST_200600_302600_NS5tupleIblNS6_9null_typeES8_S8_S8_S8_S8_S8_S8_EEEEZNS1_11reduce_implILb1ES3_NS6_12zip_iteratorINS7_INS6_11hip_rocprim26transform_input_iterator_tIbNSD_35transform_pair_of_input_iterators_tIbNS6_6detail15normal_iteratorINS6_10device_ptrIKfEEEESL_NS6_8equal_toIfEEEENSG_9not_fun_tINSD_8identityEEEEENSD_19counting_iterator_tIlEES8_S8_S8_S8_S8_S8_S8_S8_EEEEPS9_S9_NSD_9__find_if7functorIS9_EEEE10hipError_tPvRmT1_T2_T3_mT4_P12ihipStream_tbEUlT_E1_NS1_11comp_targetILNS1_3genE9ELNS1_11target_archE1100ELNS1_3gpuE3ELNS1_3repE0EEENS1_30default_config_static_selectorELNS0_4arch9wavefront6targetE1EEEvS14_.uses_flat_scratch, 0
	.set _ZN7rocprim17ROCPRIM_400000_NS6detail17trampoline_kernelINS0_14default_configENS1_22reduce_config_selectorIN6thrust23THRUST_200600_302600_NS5tupleIblNS6_9null_typeES8_S8_S8_S8_S8_S8_S8_EEEEZNS1_11reduce_implILb1ES3_NS6_12zip_iteratorINS7_INS6_11hip_rocprim26transform_input_iterator_tIbNSD_35transform_pair_of_input_iterators_tIbNS6_6detail15normal_iteratorINS6_10device_ptrIKfEEEESL_NS6_8equal_toIfEEEENSG_9not_fun_tINSD_8identityEEEEENSD_19counting_iterator_tIlEES8_S8_S8_S8_S8_S8_S8_S8_EEEEPS9_S9_NSD_9__find_if7functorIS9_EEEE10hipError_tPvRmT1_T2_T3_mT4_P12ihipStream_tbEUlT_E1_NS1_11comp_targetILNS1_3genE9ELNS1_11target_archE1100ELNS1_3gpuE3ELNS1_3repE0EEENS1_30default_config_static_selectorELNS0_4arch9wavefront6targetE1EEEvS14_.has_dyn_sized_stack, 0
	.set _ZN7rocprim17ROCPRIM_400000_NS6detail17trampoline_kernelINS0_14default_configENS1_22reduce_config_selectorIN6thrust23THRUST_200600_302600_NS5tupleIblNS6_9null_typeES8_S8_S8_S8_S8_S8_S8_EEEEZNS1_11reduce_implILb1ES3_NS6_12zip_iteratorINS7_INS6_11hip_rocprim26transform_input_iterator_tIbNSD_35transform_pair_of_input_iterators_tIbNS6_6detail15normal_iteratorINS6_10device_ptrIKfEEEESL_NS6_8equal_toIfEEEENSG_9not_fun_tINSD_8identityEEEEENSD_19counting_iterator_tIlEES8_S8_S8_S8_S8_S8_S8_S8_EEEEPS9_S9_NSD_9__find_if7functorIS9_EEEE10hipError_tPvRmT1_T2_T3_mT4_P12ihipStream_tbEUlT_E1_NS1_11comp_targetILNS1_3genE9ELNS1_11target_archE1100ELNS1_3gpuE3ELNS1_3repE0EEENS1_30default_config_static_selectorELNS0_4arch9wavefront6targetE1EEEvS14_.has_recursion, 0
	.set _ZN7rocprim17ROCPRIM_400000_NS6detail17trampoline_kernelINS0_14default_configENS1_22reduce_config_selectorIN6thrust23THRUST_200600_302600_NS5tupleIblNS6_9null_typeES8_S8_S8_S8_S8_S8_S8_EEEEZNS1_11reduce_implILb1ES3_NS6_12zip_iteratorINS7_INS6_11hip_rocprim26transform_input_iterator_tIbNSD_35transform_pair_of_input_iterators_tIbNS6_6detail15normal_iteratorINS6_10device_ptrIKfEEEESL_NS6_8equal_toIfEEEENSG_9not_fun_tINSD_8identityEEEEENSD_19counting_iterator_tIlEES8_S8_S8_S8_S8_S8_S8_S8_EEEEPS9_S9_NSD_9__find_if7functorIS9_EEEE10hipError_tPvRmT1_T2_T3_mT4_P12ihipStream_tbEUlT_E1_NS1_11comp_targetILNS1_3genE9ELNS1_11target_archE1100ELNS1_3gpuE3ELNS1_3repE0EEENS1_30default_config_static_selectorELNS0_4arch9wavefront6targetE1EEEvS14_.has_indirect_call, 0
	.section	.AMDGPU.csdata,"",@progbits
; Kernel info:
; codeLenInByte = 0
; TotalNumSgprs: 6
; NumVgprs: 0
; NumAgprs: 0
; TotalNumVgprs: 0
; ScratchSize: 0
; MemoryBound: 0
; FloatMode: 240
; IeeeMode: 1
; LDSByteSize: 0 bytes/workgroup (compile time only)
; SGPRBlocks: 0
; VGPRBlocks: 0
; NumSGPRsForWavesPerEU: 6
; NumVGPRsForWavesPerEU: 1
; AccumOffset: 4
; Occupancy: 8
; WaveLimiterHint : 0
; COMPUTE_PGM_RSRC2:SCRATCH_EN: 0
; COMPUTE_PGM_RSRC2:USER_SGPR: 2
; COMPUTE_PGM_RSRC2:TRAP_HANDLER: 0
; COMPUTE_PGM_RSRC2:TGID_X_EN: 1
; COMPUTE_PGM_RSRC2:TGID_Y_EN: 0
; COMPUTE_PGM_RSRC2:TGID_Z_EN: 0
; COMPUTE_PGM_RSRC2:TIDIG_COMP_CNT: 0
; COMPUTE_PGM_RSRC3_GFX90A:ACCUM_OFFSET: 0
; COMPUTE_PGM_RSRC3_GFX90A:TG_SPLIT: 0
	.section	.text._ZN7rocprim17ROCPRIM_400000_NS6detail17trampoline_kernelINS0_14default_configENS1_22reduce_config_selectorIN6thrust23THRUST_200600_302600_NS5tupleIblNS6_9null_typeES8_S8_S8_S8_S8_S8_S8_EEEEZNS1_11reduce_implILb1ES3_NS6_12zip_iteratorINS7_INS6_11hip_rocprim26transform_input_iterator_tIbNSD_35transform_pair_of_input_iterators_tIbNS6_6detail15normal_iteratorINS6_10device_ptrIKfEEEESL_NS6_8equal_toIfEEEENSG_9not_fun_tINSD_8identityEEEEENSD_19counting_iterator_tIlEES8_S8_S8_S8_S8_S8_S8_S8_EEEEPS9_S9_NSD_9__find_if7functorIS9_EEEE10hipError_tPvRmT1_T2_T3_mT4_P12ihipStream_tbEUlT_E1_NS1_11comp_targetILNS1_3genE8ELNS1_11target_archE1030ELNS1_3gpuE2ELNS1_3repE0EEENS1_30default_config_static_selectorELNS0_4arch9wavefront6targetE1EEEvS14_,"axG",@progbits,_ZN7rocprim17ROCPRIM_400000_NS6detail17trampoline_kernelINS0_14default_configENS1_22reduce_config_selectorIN6thrust23THRUST_200600_302600_NS5tupleIblNS6_9null_typeES8_S8_S8_S8_S8_S8_S8_EEEEZNS1_11reduce_implILb1ES3_NS6_12zip_iteratorINS7_INS6_11hip_rocprim26transform_input_iterator_tIbNSD_35transform_pair_of_input_iterators_tIbNS6_6detail15normal_iteratorINS6_10device_ptrIKfEEEESL_NS6_8equal_toIfEEEENSG_9not_fun_tINSD_8identityEEEEENSD_19counting_iterator_tIlEES8_S8_S8_S8_S8_S8_S8_S8_EEEEPS9_S9_NSD_9__find_if7functorIS9_EEEE10hipError_tPvRmT1_T2_T3_mT4_P12ihipStream_tbEUlT_E1_NS1_11comp_targetILNS1_3genE8ELNS1_11target_archE1030ELNS1_3gpuE2ELNS1_3repE0EEENS1_30default_config_static_selectorELNS0_4arch9wavefront6targetE1EEEvS14_,comdat
	.protected	_ZN7rocprim17ROCPRIM_400000_NS6detail17trampoline_kernelINS0_14default_configENS1_22reduce_config_selectorIN6thrust23THRUST_200600_302600_NS5tupleIblNS6_9null_typeES8_S8_S8_S8_S8_S8_S8_EEEEZNS1_11reduce_implILb1ES3_NS6_12zip_iteratorINS7_INS6_11hip_rocprim26transform_input_iterator_tIbNSD_35transform_pair_of_input_iterators_tIbNS6_6detail15normal_iteratorINS6_10device_ptrIKfEEEESL_NS6_8equal_toIfEEEENSG_9not_fun_tINSD_8identityEEEEENSD_19counting_iterator_tIlEES8_S8_S8_S8_S8_S8_S8_S8_EEEEPS9_S9_NSD_9__find_if7functorIS9_EEEE10hipError_tPvRmT1_T2_T3_mT4_P12ihipStream_tbEUlT_E1_NS1_11comp_targetILNS1_3genE8ELNS1_11target_archE1030ELNS1_3gpuE2ELNS1_3repE0EEENS1_30default_config_static_selectorELNS0_4arch9wavefront6targetE1EEEvS14_ ; -- Begin function _ZN7rocprim17ROCPRIM_400000_NS6detail17trampoline_kernelINS0_14default_configENS1_22reduce_config_selectorIN6thrust23THRUST_200600_302600_NS5tupleIblNS6_9null_typeES8_S8_S8_S8_S8_S8_S8_EEEEZNS1_11reduce_implILb1ES3_NS6_12zip_iteratorINS7_INS6_11hip_rocprim26transform_input_iterator_tIbNSD_35transform_pair_of_input_iterators_tIbNS6_6detail15normal_iteratorINS6_10device_ptrIKfEEEESL_NS6_8equal_toIfEEEENSG_9not_fun_tINSD_8identityEEEEENSD_19counting_iterator_tIlEES8_S8_S8_S8_S8_S8_S8_S8_EEEEPS9_S9_NSD_9__find_if7functorIS9_EEEE10hipError_tPvRmT1_T2_T3_mT4_P12ihipStream_tbEUlT_E1_NS1_11comp_targetILNS1_3genE8ELNS1_11target_archE1030ELNS1_3gpuE2ELNS1_3repE0EEENS1_30default_config_static_selectorELNS0_4arch9wavefront6targetE1EEEvS14_
	.globl	_ZN7rocprim17ROCPRIM_400000_NS6detail17trampoline_kernelINS0_14default_configENS1_22reduce_config_selectorIN6thrust23THRUST_200600_302600_NS5tupleIblNS6_9null_typeES8_S8_S8_S8_S8_S8_S8_EEEEZNS1_11reduce_implILb1ES3_NS6_12zip_iteratorINS7_INS6_11hip_rocprim26transform_input_iterator_tIbNSD_35transform_pair_of_input_iterators_tIbNS6_6detail15normal_iteratorINS6_10device_ptrIKfEEEESL_NS6_8equal_toIfEEEENSG_9not_fun_tINSD_8identityEEEEENSD_19counting_iterator_tIlEES8_S8_S8_S8_S8_S8_S8_S8_EEEEPS9_S9_NSD_9__find_if7functorIS9_EEEE10hipError_tPvRmT1_T2_T3_mT4_P12ihipStream_tbEUlT_E1_NS1_11comp_targetILNS1_3genE8ELNS1_11target_archE1030ELNS1_3gpuE2ELNS1_3repE0EEENS1_30default_config_static_selectorELNS0_4arch9wavefront6targetE1EEEvS14_
	.p2align	8
	.type	_ZN7rocprim17ROCPRIM_400000_NS6detail17trampoline_kernelINS0_14default_configENS1_22reduce_config_selectorIN6thrust23THRUST_200600_302600_NS5tupleIblNS6_9null_typeES8_S8_S8_S8_S8_S8_S8_EEEEZNS1_11reduce_implILb1ES3_NS6_12zip_iteratorINS7_INS6_11hip_rocprim26transform_input_iterator_tIbNSD_35transform_pair_of_input_iterators_tIbNS6_6detail15normal_iteratorINS6_10device_ptrIKfEEEESL_NS6_8equal_toIfEEEENSG_9not_fun_tINSD_8identityEEEEENSD_19counting_iterator_tIlEES8_S8_S8_S8_S8_S8_S8_S8_EEEEPS9_S9_NSD_9__find_if7functorIS9_EEEE10hipError_tPvRmT1_T2_T3_mT4_P12ihipStream_tbEUlT_E1_NS1_11comp_targetILNS1_3genE8ELNS1_11target_archE1030ELNS1_3gpuE2ELNS1_3repE0EEENS1_30default_config_static_selectorELNS0_4arch9wavefront6targetE1EEEvS14_,@function
_ZN7rocprim17ROCPRIM_400000_NS6detail17trampoline_kernelINS0_14default_configENS1_22reduce_config_selectorIN6thrust23THRUST_200600_302600_NS5tupleIblNS6_9null_typeES8_S8_S8_S8_S8_S8_S8_EEEEZNS1_11reduce_implILb1ES3_NS6_12zip_iteratorINS7_INS6_11hip_rocprim26transform_input_iterator_tIbNSD_35transform_pair_of_input_iterators_tIbNS6_6detail15normal_iteratorINS6_10device_ptrIKfEEEESL_NS6_8equal_toIfEEEENSG_9not_fun_tINSD_8identityEEEEENSD_19counting_iterator_tIlEES8_S8_S8_S8_S8_S8_S8_S8_EEEEPS9_S9_NSD_9__find_if7functorIS9_EEEE10hipError_tPvRmT1_T2_T3_mT4_P12ihipStream_tbEUlT_E1_NS1_11comp_targetILNS1_3genE8ELNS1_11target_archE1030ELNS1_3gpuE2ELNS1_3repE0EEENS1_30default_config_static_selectorELNS0_4arch9wavefront6targetE1EEEvS14_: ; @_ZN7rocprim17ROCPRIM_400000_NS6detail17trampoline_kernelINS0_14default_configENS1_22reduce_config_selectorIN6thrust23THRUST_200600_302600_NS5tupleIblNS6_9null_typeES8_S8_S8_S8_S8_S8_S8_EEEEZNS1_11reduce_implILb1ES3_NS6_12zip_iteratorINS7_INS6_11hip_rocprim26transform_input_iterator_tIbNSD_35transform_pair_of_input_iterators_tIbNS6_6detail15normal_iteratorINS6_10device_ptrIKfEEEESL_NS6_8equal_toIfEEEENSG_9not_fun_tINSD_8identityEEEEENSD_19counting_iterator_tIlEES8_S8_S8_S8_S8_S8_S8_S8_EEEEPS9_S9_NSD_9__find_if7functorIS9_EEEE10hipError_tPvRmT1_T2_T3_mT4_P12ihipStream_tbEUlT_E1_NS1_11comp_targetILNS1_3genE8ELNS1_11target_archE1030ELNS1_3gpuE2ELNS1_3repE0EEENS1_30default_config_static_selectorELNS0_4arch9wavefront6targetE1EEEvS14_
; %bb.0:
	.section	.rodata,"a",@progbits
	.p2align	6, 0x0
	.amdhsa_kernel _ZN7rocprim17ROCPRIM_400000_NS6detail17trampoline_kernelINS0_14default_configENS1_22reduce_config_selectorIN6thrust23THRUST_200600_302600_NS5tupleIblNS6_9null_typeES8_S8_S8_S8_S8_S8_S8_EEEEZNS1_11reduce_implILb1ES3_NS6_12zip_iteratorINS7_INS6_11hip_rocprim26transform_input_iterator_tIbNSD_35transform_pair_of_input_iterators_tIbNS6_6detail15normal_iteratorINS6_10device_ptrIKfEEEESL_NS6_8equal_toIfEEEENSG_9not_fun_tINSD_8identityEEEEENSD_19counting_iterator_tIlEES8_S8_S8_S8_S8_S8_S8_S8_EEEEPS9_S9_NSD_9__find_if7functorIS9_EEEE10hipError_tPvRmT1_T2_T3_mT4_P12ihipStream_tbEUlT_E1_NS1_11comp_targetILNS1_3genE8ELNS1_11target_archE1030ELNS1_3gpuE2ELNS1_3repE0EEENS1_30default_config_static_selectorELNS0_4arch9wavefront6targetE1EEEvS14_
		.amdhsa_group_segment_fixed_size 0
		.amdhsa_private_segment_fixed_size 0
		.amdhsa_kernarg_size 88
		.amdhsa_user_sgpr_count 2
		.amdhsa_user_sgpr_dispatch_ptr 0
		.amdhsa_user_sgpr_queue_ptr 0
		.amdhsa_user_sgpr_kernarg_segment_ptr 1
		.amdhsa_user_sgpr_dispatch_id 0
		.amdhsa_user_sgpr_kernarg_preload_length 0
		.amdhsa_user_sgpr_kernarg_preload_offset 0
		.amdhsa_user_sgpr_private_segment_size 0
		.amdhsa_uses_dynamic_stack 0
		.amdhsa_enable_private_segment 0
		.amdhsa_system_sgpr_workgroup_id_x 1
		.amdhsa_system_sgpr_workgroup_id_y 0
		.amdhsa_system_sgpr_workgroup_id_z 0
		.amdhsa_system_sgpr_workgroup_info 0
		.amdhsa_system_vgpr_workitem_id 0
		.amdhsa_next_free_vgpr 1
		.amdhsa_next_free_sgpr 0
		.amdhsa_accum_offset 4
		.amdhsa_reserve_vcc 0
		.amdhsa_float_round_mode_32 0
		.amdhsa_float_round_mode_16_64 0
		.amdhsa_float_denorm_mode_32 3
		.amdhsa_float_denorm_mode_16_64 3
		.amdhsa_dx10_clamp 1
		.amdhsa_ieee_mode 1
		.amdhsa_fp16_overflow 0
		.amdhsa_tg_split 0
		.amdhsa_exception_fp_ieee_invalid_op 0
		.amdhsa_exception_fp_denorm_src 0
		.amdhsa_exception_fp_ieee_div_zero 0
		.amdhsa_exception_fp_ieee_overflow 0
		.amdhsa_exception_fp_ieee_underflow 0
		.amdhsa_exception_fp_ieee_inexact 0
		.amdhsa_exception_int_div_zero 0
	.end_amdhsa_kernel
	.section	.text._ZN7rocprim17ROCPRIM_400000_NS6detail17trampoline_kernelINS0_14default_configENS1_22reduce_config_selectorIN6thrust23THRUST_200600_302600_NS5tupleIblNS6_9null_typeES8_S8_S8_S8_S8_S8_S8_EEEEZNS1_11reduce_implILb1ES3_NS6_12zip_iteratorINS7_INS6_11hip_rocprim26transform_input_iterator_tIbNSD_35transform_pair_of_input_iterators_tIbNS6_6detail15normal_iteratorINS6_10device_ptrIKfEEEESL_NS6_8equal_toIfEEEENSG_9not_fun_tINSD_8identityEEEEENSD_19counting_iterator_tIlEES8_S8_S8_S8_S8_S8_S8_S8_EEEEPS9_S9_NSD_9__find_if7functorIS9_EEEE10hipError_tPvRmT1_T2_T3_mT4_P12ihipStream_tbEUlT_E1_NS1_11comp_targetILNS1_3genE8ELNS1_11target_archE1030ELNS1_3gpuE2ELNS1_3repE0EEENS1_30default_config_static_selectorELNS0_4arch9wavefront6targetE1EEEvS14_,"axG",@progbits,_ZN7rocprim17ROCPRIM_400000_NS6detail17trampoline_kernelINS0_14default_configENS1_22reduce_config_selectorIN6thrust23THRUST_200600_302600_NS5tupleIblNS6_9null_typeES8_S8_S8_S8_S8_S8_S8_EEEEZNS1_11reduce_implILb1ES3_NS6_12zip_iteratorINS7_INS6_11hip_rocprim26transform_input_iterator_tIbNSD_35transform_pair_of_input_iterators_tIbNS6_6detail15normal_iteratorINS6_10device_ptrIKfEEEESL_NS6_8equal_toIfEEEENSG_9not_fun_tINSD_8identityEEEEENSD_19counting_iterator_tIlEES8_S8_S8_S8_S8_S8_S8_S8_EEEEPS9_S9_NSD_9__find_if7functorIS9_EEEE10hipError_tPvRmT1_T2_T3_mT4_P12ihipStream_tbEUlT_E1_NS1_11comp_targetILNS1_3genE8ELNS1_11target_archE1030ELNS1_3gpuE2ELNS1_3repE0EEENS1_30default_config_static_selectorELNS0_4arch9wavefront6targetE1EEEvS14_,comdat
.Lfunc_end376:
	.size	_ZN7rocprim17ROCPRIM_400000_NS6detail17trampoline_kernelINS0_14default_configENS1_22reduce_config_selectorIN6thrust23THRUST_200600_302600_NS5tupleIblNS6_9null_typeES8_S8_S8_S8_S8_S8_S8_EEEEZNS1_11reduce_implILb1ES3_NS6_12zip_iteratorINS7_INS6_11hip_rocprim26transform_input_iterator_tIbNSD_35transform_pair_of_input_iterators_tIbNS6_6detail15normal_iteratorINS6_10device_ptrIKfEEEESL_NS6_8equal_toIfEEEENSG_9not_fun_tINSD_8identityEEEEENSD_19counting_iterator_tIlEES8_S8_S8_S8_S8_S8_S8_S8_EEEEPS9_S9_NSD_9__find_if7functorIS9_EEEE10hipError_tPvRmT1_T2_T3_mT4_P12ihipStream_tbEUlT_E1_NS1_11comp_targetILNS1_3genE8ELNS1_11target_archE1030ELNS1_3gpuE2ELNS1_3repE0EEENS1_30default_config_static_selectorELNS0_4arch9wavefront6targetE1EEEvS14_, .Lfunc_end376-_ZN7rocprim17ROCPRIM_400000_NS6detail17trampoline_kernelINS0_14default_configENS1_22reduce_config_selectorIN6thrust23THRUST_200600_302600_NS5tupleIblNS6_9null_typeES8_S8_S8_S8_S8_S8_S8_EEEEZNS1_11reduce_implILb1ES3_NS6_12zip_iteratorINS7_INS6_11hip_rocprim26transform_input_iterator_tIbNSD_35transform_pair_of_input_iterators_tIbNS6_6detail15normal_iteratorINS6_10device_ptrIKfEEEESL_NS6_8equal_toIfEEEENSG_9not_fun_tINSD_8identityEEEEENSD_19counting_iterator_tIlEES8_S8_S8_S8_S8_S8_S8_S8_EEEEPS9_S9_NSD_9__find_if7functorIS9_EEEE10hipError_tPvRmT1_T2_T3_mT4_P12ihipStream_tbEUlT_E1_NS1_11comp_targetILNS1_3genE8ELNS1_11target_archE1030ELNS1_3gpuE2ELNS1_3repE0EEENS1_30default_config_static_selectorELNS0_4arch9wavefront6targetE1EEEvS14_
                                        ; -- End function
	.set _ZN7rocprim17ROCPRIM_400000_NS6detail17trampoline_kernelINS0_14default_configENS1_22reduce_config_selectorIN6thrust23THRUST_200600_302600_NS5tupleIblNS6_9null_typeES8_S8_S8_S8_S8_S8_S8_EEEEZNS1_11reduce_implILb1ES3_NS6_12zip_iteratorINS7_INS6_11hip_rocprim26transform_input_iterator_tIbNSD_35transform_pair_of_input_iterators_tIbNS6_6detail15normal_iteratorINS6_10device_ptrIKfEEEESL_NS6_8equal_toIfEEEENSG_9not_fun_tINSD_8identityEEEEENSD_19counting_iterator_tIlEES8_S8_S8_S8_S8_S8_S8_S8_EEEEPS9_S9_NSD_9__find_if7functorIS9_EEEE10hipError_tPvRmT1_T2_T3_mT4_P12ihipStream_tbEUlT_E1_NS1_11comp_targetILNS1_3genE8ELNS1_11target_archE1030ELNS1_3gpuE2ELNS1_3repE0EEENS1_30default_config_static_selectorELNS0_4arch9wavefront6targetE1EEEvS14_.num_vgpr, 0
	.set _ZN7rocprim17ROCPRIM_400000_NS6detail17trampoline_kernelINS0_14default_configENS1_22reduce_config_selectorIN6thrust23THRUST_200600_302600_NS5tupleIblNS6_9null_typeES8_S8_S8_S8_S8_S8_S8_EEEEZNS1_11reduce_implILb1ES3_NS6_12zip_iteratorINS7_INS6_11hip_rocprim26transform_input_iterator_tIbNSD_35transform_pair_of_input_iterators_tIbNS6_6detail15normal_iteratorINS6_10device_ptrIKfEEEESL_NS6_8equal_toIfEEEENSG_9not_fun_tINSD_8identityEEEEENSD_19counting_iterator_tIlEES8_S8_S8_S8_S8_S8_S8_S8_EEEEPS9_S9_NSD_9__find_if7functorIS9_EEEE10hipError_tPvRmT1_T2_T3_mT4_P12ihipStream_tbEUlT_E1_NS1_11comp_targetILNS1_3genE8ELNS1_11target_archE1030ELNS1_3gpuE2ELNS1_3repE0EEENS1_30default_config_static_selectorELNS0_4arch9wavefront6targetE1EEEvS14_.num_agpr, 0
	.set _ZN7rocprim17ROCPRIM_400000_NS6detail17trampoline_kernelINS0_14default_configENS1_22reduce_config_selectorIN6thrust23THRUST_200600_302600_NS5tupleIblNS6_9null_typeES8_S8_S8_S8_S8_S8_S8_EEEEZNS1_11reduce_implILb1ES3_NS6_12zip_iteratorINS7_INS6_11hip_rocprim26transform_input_iterator_tIbNSD_35transform_pair_of_input_iterators_tIbNS6_6detail15normal_iteratorINS6_10device_ptrIKfEEEESL_NS6_8equal_toIfEEEENSG_9not_fun_tINSD_8identityEEEEENSD_19counting_iterator_tIlEES8_S8_S8_S8_S8_S8_S8_S8_EEEEPS9_S9_NSD_9__find_if7functorIS9_EEEE10hipError_tPvRmT1_T2_T3_mT4_P12ihipStream_tbEUlT_E1_NS1_11comp_targetILNS1_3genE8ELNS1_11target_archE1030ELNS1_3gpuE2ELNS1_3repE0EEENS1_30default_config_static_selectorELNS0_4arch9wavefront6targetE1EEEvS14_.numbered_sgpr, 0
	.set _ZN7rocprim17ROCPRIM_400000_NS6detail17trampoline_kernelINS0_14default_configENS1_22reduce_config_selectorIN6thrust23THRUST_200600_302600_NS5tupleIblNS6_9null_typeES8_S8_S8_S8_S8_S8_S8_EEEEZNS1_11reduce_implILb1ES3_NS6_12zip_iteratorINS7_INS6_11hip_rocprim26transform_input_iterator_tIbNSD_35transform_pair_of_input_iterators_tIbNS6_6detail15normal_iteratorINS6_10device_ptrIKfEEEESL_NS6_8equal_toIfEEEENSG_9not_fun_tINSD_8identityEEEEENSD_19counting_iterator_tIlEES8_S8_S8_S8_S8_S8_S8_S8_EEEEPS9_S9_NSD_9__find_if7functorIS9_EEEE10hipError_tPvRmT1_T2_T3_mT4_P12ihipStream_tbEUlT_E1_NS1_11comp_targetILNS1_3genE8ELNS1_11target_archE1030ELNS1_3gpuE2ELNS1_3repE0EEENS1_30default_config_static_selectorELNS0_4arch9wavefront6targetE1EEEvS14_.num_named_barrier, 0
	.set _ZN7rocprim17ROCPRIM_400000_NS6detail17trampoline_kernelINS0_14default_configENS1_22reduce_config_selectorIN6thrust23THRUST_200600_302600_NS5tupleIblNS6_9null_typeES8_S8_S8_S8_S8_S8_S8_EEEEZNS1_11reduce_implILb1ES3_NS6_12zip_iteratorINS7_INS6_11hip_rocprim26transform_input_iterator_tIbNSD_35transform_pair_of_input_iterators_tIbNS6_6detail15normal_iteratorINS6_10device_ptrIKfEEEESL_NS6_8equal_toIfEEEENSG_9not_fun_tINSD_8identityEEEEENSD_19counting_iterator_tIlEES8_S8_S8_S8_S8_S8_S8_S8_EEEEPS9_S9_NSD_9__find_if7functorIS9_EEEE10hipError_tPvRmT1_T2_T3_mT4_P12ihipStream_tbEUlT_E1_NS1_11comp_targetILNS1_3genE8ELNS1_11target_archE1030ELNS1_3gpuE2ELNS1_3repE0EEENS1_30default_config_static_selectorELNS0_4arch9wavefront6targetE1EEEvS14_.private_seg_size, 0
	.set _ZN7rocprim17ROCPRIM_400000_NS6detail17trampoline_kernelINS0_14default_configENS1_22reduce_config_selectorIN6thrust23THRUST_200600_302600_NS5tupleIblNS6_9null_typeES8_S8_S8_S8_S8_S8_S8_EEEEZNS1_11reduce_implILb1ES3_NS6_12zip_iteratorINS7_INS6_11hip_rocprim26transform_input_iterator_tIbNSD_35transform_pair_of_input_iterators_tIbNS6_6detail15normal_iteratorINS6_10device_ptrIKfEEEESL_NS6_8equal_toIfEEEENSG_9not_fun_tINSD_8identityEEEEENSD_19counting_iterator_tIlEES8_S8_S8_S8_S8_S8_S8_S8_EEEEPS9_S9_NSD_9__find_if7functorIS9_EEEE10hipError_tPvRmT1_T2_T3_mT4_P12ihipStream_tbEUlT_E1_NS1_11comp_targetILNS1_3genE8ELNS1_11target_archE1030ELNS1_3gpuE2ELNS1_3repE0EEENS1_30default_config_static_selectorELNS0_4arch9wavefront6targetE1EEEvS14_.uses_vcc, 0
	.set _ZN7rocprim17ROCPRIM_400000_NS6detail17trampoline_kernelINS0_14default_configENS1_22reduce_config_selectorIN6thrust23THRUST_200600_302600_NS5tupleIblNS6_9null_typeES8_S8_S8_S8_S8_S8_S8_EEEEZNS1_11reduce_implILb1ES3_NS6_12zip_iteratorINS7_INS6_11hip_rocprim26transform_input_iterator_tIbNSD_35transform_pair_of_input_iterators_tIbNS6_6detail15normal_iteratorINS6_10device_ptrIKfEEEESL_NS6_8equal_toIfEEEENSG_9not_fun_tINSD_8identityEEEEENSD_19counting_iterator_tIlEES8_S8_S8_S8_S8_S8_S8_S8_EEEEPS9_S9_NSD_9__find_if7functorIS9_EEEE10hipError_tPvRmT1_T2_T3_mT4_P12ihipStream_tbEUlT_E1_NS1_11comp_targetILNS1_3genE8ELNS1_11target_archE1030ELNS1_3gpuE2ELNS1_3repE0EEENS1_30default_config_static_selectorELNS0_4arch9wavefront6targetE1EEEvS14_.uses_flat_scratch, 0
	.set _ZN7rocprim17ROCPRIM_400000_NS6detail17trampoline_kernelINS0_14default_configENS1_22reduce_config_selectorIN6thrust23THRUST_200600_302600_NS5tupleIblNS6_9null_typeES8_S8_S8_S8_S8_S8_S8_EEEEZNS1_11reduce_implILb1ES3_NS6_12zip_iteratorINS7_INS6_11hip_rocprim26transform_input_iterator_tIbNSD_35transform_pair_of_input_iterators_tIbNS6_6detail15normal_iteratorINS6_10device_ptrIKfEEEESL_NS6_8equal_toIfEEEENSG_9not_fun_tINSD_8identityEEEEENSD_19counting_iterator_tIlEES8_S8_S8_S8_S8_S8_S8_S8_EEEEPS9_S9_NSD_9__find_if7functorIS9_EEEE10hipError_tPvRmT1_T2_T3_mT4_P12ihipStream_tbEUlT_E1_NS1_11comp_targetILNS1_3genE8ELNS1_11target_archE1030ELNS1_3gpuE2ELNS1_3repE0EEENS1_30default_config_static_selectorELNS0_4arch9wavefront6targetE1EEEvS14_.has_dyn_sized_stack, 0
	.set _ZN7rocprim17ROCPRIM_400000_NS6detail17trampoline_kernelINS0_14default_configENS1_22reduce_config_selectorIN6thrust23THRUST_200600_302600_NS5tupleIblNS6_9null_typeES8_S8_S8_S8_S8_S8_S8_EEEEZNS1_11reduce_implILb1ES3_NS6_12zip_iteratorINS7_INS6_11hip_rocprim26transform_input_iterator_tIbNSD_35transform_pair_of_input_iterators_tIbNS6_6detail15normal_iteratorINS6_10device_ptrIKfEEEESL_NS6_8equal_toIfEEEENSG_9not_fun_tINSD_8identityEEEEENSD_19counting_iterator_tIlEES8_S8_S8_S8_S8_S8_S8_S8_EEEEPS9_S9_NSD_9__find_if7functorIS9_EEEE10hipError_tPvRmT1_T2_T3_mT4_P12ihipStream_tbEUlT_E1_NS1_11comp_targetILNS1_3genE8ELNS1_11target_archE1030ELNS1_3gpuE2ELNS1_3repE0EEENS1_30default_config_static_selectorELNS0_4arch9wavefront6targetE1EEEvS14_.has_recursion, 0
	.set _ZN7rocprim17ROCPRIM_400000_NS6detail17trampoline_kernelINS0_14default_configENS1_22reduce_config_selectorIN6thrust23THRUST_200600_302600_NS5tupleIblNS6_9null_typeES8_S8_S8_S8_S8_S8_S8_EEEEZNS1_11reduce_implILb1ES3_NS6_12zip_iteratorINS7_INS6_11hip_rocprim26transform_input_iterator_tIbNSD_35transform_pair_of_input_iterators_tIbNS6_6detail15normal_iteratorINS6_10device_ptrIKfEEEESL_NS6_8equal_toIfEEEENSG_9not_fun_tINSD_8identityEEEEENSD_19counting_iterator_tIlEES8_S8_S8_S8_S8_S8_S8_S8_EEEEPS9_S9_NSD_9__find_if7functorIS9_EEEE10hipError_tPvRmT1_T2_T3_mT4_P12ihipStream_tbEUlT_E1_NS1_11comp_targetILNS1_3genE8ELNS1_11target_archE1030ELNS1_3gpuE2ELNS1_3repE0EEENS1_30default_config_static_selectorELNS0_4arch9wavefront6targetE1EEEvS14_.has_indirect_call, 0
	.section	.AMDGPU.csdata,"",@progbits
; Kernel info:
; codeLenInByte = 0
; TotalNumSgprs: 6
; NumVgprs: 0
; NumAgprs: 0
; TotalNumVgprs: 0
; ScratchSize: 0
; MemoryBound: 0
; FloatMode: 240
; IeeeMode: 1
; LDSByteSize: 0 bytes/workgroup (compile time only)
; SGPRBlocks: 0
; VGPRBlocks: 0
; NumSGPRsForWavesPerEU: 6
; NumVGPRsForWavesPerEU: 1
; AccumOffset: 4
; Occupancy: 8
; WaveLimiterHint : 0
; COMPUTE_PGM_RSRC2:SCRATCH_EN: 0
; COMPUTE_PGM_RSRC2:USER_SGPR: 2
; COMPUTE_PGM_RSRC2:TRAP_HANDLER: 0
; COMPUTE_PGM_RSRC2:TGID_X_EN: 1
; COMPUTE_PGM_RSRC2:TGID_Y_EN: 0
; COMPUTE_PGM_RSRC2:TGID_Z_EN: 0
; COMPUTE_PGM_RSRC2:TIDIG_COMP_CNT: 0
; COMPUTE_PGM_RSRC3_GFX90A:ACCUM_OFFSET: 0
; COMPUTE_PGM_RSRC3_GFX90A:TG_SPLIT: 0
	.section	.text._ZN6thrust23THRUST_200600_302600_NS11hip_rocprim14__parallel_for6kernelILj256ENS1_20__uninitialized_fill7functorINS0_10device_ptrIyEEyEEmLj1EEEvT0_T1_SA_,"axG",@progbits,_ZN6thrust23THRUST_200600_302600_NS11hip_rocprim14__parallel_for6kernelILj256ENS1_20__uninitialized_fill7functorINS0_10device_ptrIyEEyEEmLj1EEEvT0_T1_SA_,comdat
	.protected	_ZN6thrust23THRUST_200600_302600_NS11hip_rocprim14__parallel_for6kernelILj256ENS1_20__uninitialized_fill7functorINS0_10device_ptrIyEEyEEmLj1EEEvT0_T1_SA_ ; -- Begin function _ZN6thrust23THRUST_200600_302600_NS11hip_rocprim14__parallel_for6kernelILj256ENS1_20__uninitialized_fill7functorINS0_10device_ptrIyEEyEEmLj1EEEvT0_T1_SA_
	.globl	_ZN6thrust23THRUST_200600_302600_NS11hip_rocprim14__parallel_for6kernelILj256ENS1_20__uninitialized_fill7functorINS0_10device_ptrIyEEyEEmLj1EEEvT0_T1_SA_
	.p2align	8
	.type	_ZN6thrust23THRUST_200600_302600_NS11hip_rocprim14__parallel_for6kernelILj256ENS1_20__uninitialized_fill7functorINS0_10device_ptrIyEEyEEmLj1EEEvT0_T1_SA_,@function
_ZN6thrust23THRUST_200600_302600_NS11hip_rocprim14__parallel_for6kernelILj256ENS1_20__uninitialized_fill7functorINS0_10device_ptrIyEEyEEmLj1EEEvT0_T1_SA_: ; @_ZN6thrust23THRUST_200600_302600_NS11hip_rocprim14__parallel_for6kernelILj256ENS1_20__uninitialized_fill7functorINS0_10device_ptrIyEEyEEmLj1EEEvT0_T1_SA_
; %bb.0:
	s_load_dwordx8 s[4:11], s[0:1], 0x0
	s_lshl_b32 s0, s2, 8
	v_mov_b64_e32 v[2:3], 0xff
	s_mov_b64 s[2:3], -1
	s_waitcnt lgkmcnt(0)
	s_add_u32 s0, s10, s0
	s_addc_u32 s1, s11, 0
	s_sub_u32 s8, s8, s0
	s_subb_u32 s9, s9, s1
	v_cmp_gt_u64_e32 vcc, s[8:9], v[2:3]
	s_cbranch_vccz .LBB377_3
; %bb.1:
	s_andn2_b64 vcc, exec, s[2:3]
	s_cbranch_vccz .LBB377_6
.LBB377_2:
	s_endpgm
.LBB377_3:
	v_cmp_gt_u32_e32 vcc, s8, v0
	s_and_saveexec_b64 s[2:3], vcc
	s_cbranch_execz .LBB377_5
; %bb.4:
	s_lshl_b64 s[8:9], s[0:1], 3
	s_add_u32 s8, s4, s8
	s_addc_u32 s9, s5, s9
	v_lshlrev_b32_e32 v2, 3, v0
	v_mov_b32_e32 v3, 0
	v_lshl_add_u64 v[2:3], s[8:9], 0, v[2:3]
	v_mov_b64_e32 v[4:5], s[6:7]
	flat_store_dwordx2 v[2:3], v[4:5]
.LBB377_5:
	s_or_b64 exec, exec, s[2:3]
	s_cbranch_execnz .LBB377_2
.LBB377_6:
	s_lshl_b64 s[0:1], s[0:1], 3
	s_add_u32 s0, s4, s0
	s_addc_u32 s1, s5, s1
	v_lshlrev_b32_e32 v0, 3, v0
	v_mov_b32_e32 v1, 0
	v_lshl_add_u64 v[0:1], s[0:1], 0, v[0:1]
	v_mov_b64_e32 v[2:3], s[6:7]
	flat_store_dwordx2 v[0:1], v[2:3]
	s_endpgm
	.section	.rodata,"a",@progbits
	.p2align	6, 0x0
	.amdhsa_kernel _ZN6thrust23THRUST_200600_302600_NS11hip_rocprim14__parallel_for6kernelILj256ENS1_20__uninitialized_fill7functorINS0_10device_ptrIyEEyEEmLj1EEEvT0_T1_SA_
		.amdhsa_group_segment_fixed_size 0
		.amdhsa_private_segment_fixed_size 0
		.amdhsa_kernarg_size 32
		.amdhsa_user_sgpr_count 2
		.amdhsa_user_sgpr_dispatch_ptr 0
		.amdhsa_user_sgpr_queue_ptr 0
		.amdhsa_user_sgpr_kernarg_segment_ptr 1
		.amdhsa_user_sgpr_dispatch_id 0
		.amdhsa_user_sgpr_kernarg_preload_length 0
		.amdhsa_user_sgpr_kernarg_preload_offset 0
		.amdhsa_user_sgpr_private_segment_size 0
		.amdhsa_uses_dynamic_stack 0
		.amdhsa_enable_private_segment 0
		.amdhsa_system_sgpr_workgroup_id_x 1
		.amdhsa_system_sgpr_workgroup_id_y 0
		.amdhsa_system_sgpr_workgroup_id_z 0
		.amdhsa_system_sgpr_workgroup_info 0
		.amdhsa_system_vgpr_workitem_id 0
		.amdhsa_next_free_vgpr 6
		.amdhsa_next_free_sgpr 12
		.amdhsa_accum_offset 8
		.amdhsa_reserve_vcc 1
		.amdhsa_float_round_mode_32 0
		.amdhsa_float_round_mode_16_64 0
		.amdhsa_float_denorm_mode_32 3
		.amdhsa_float_denorm_mode_16_64 3
		.amdhsa_dx10_clamp 1
		.amdhsa_ieee_mode 1
		.amdhsa_fp16_overflow 0
		.amdhsa_tg_split 0
		.amdhsa_exception_fp_ieee_invalid_op 0
		.amdhsa_exception_fp_denorm_src 0
		.amdhsa_exception_fp_ieee_div_zero 0
		.amdhsa_exception_fp_ieee_overflow 0
		.amdhsa_exception_fp_ieee_underflow 0
		.amdhsa_exception_fp_ieee_inexact 0
		.amdhsa_exception_int_div_zero 0
	.end_amdhsa_kernel
	.section	.text._ZN6thrust23THRUST_200600_302600_NS11hip_rocprim14__parallel_for6kernelILj256ENS1_20__uninitialized_fill7functorINS0_10device_ptrIyEEyEEmLj1EEEvT0_T1_SA_,"axG",@progbits,_ZN6thrust23THRUST_200600_302600_NS11hip_rocprim14__parallel_for6kernelILj256ENS1_20__uninitialized_fill7functorINS0_10device_ptrIyEEyEEmLj1EEEvT0_T1_SA_,comdat
.Lfunc_end377:
	.size	_ZN6thrust23THRUST_200600_302600_NS11hip_rocprim14__parallel_for6kernelILj256ENS1_20__uninitialized_fill7functorINS0_10device_ptrIyEEyEEmLj1EEEvT0_T1_SA_, .Lfunc_end377-_ZN6thrust23THRUST_200600_302600_NS11hip_rocprim14__parallel_for6kernelILj256ENS1_20__uninitialized_fill7functorINS0_10device_ptrIyEEyEEmLj1EEEvT0_T1_SA_
                                        ; -- End function
	.set _ZN6thrust23THRUST_200600_302600_NS11hip_rocprim14__parallel_for6kernelILj256ENS1_20__uninitialized_fill7functorINS0_10device_ptrIyEEyEEmLj1EEEvT0_T1_SA_.num_vgpr, 6
	.set _ZN6thrust23THRUST_200600_302600_NS11hip_rocprim14__parallel_for6kernelILj256ENS1_20__uninitialized_fill7functorINS0_10device_ptrIyEEyEEmLj1EEEvT0_T1_SA_.num_agpr, 0
	.set _ZN6thrust23THRUST_200600_302600_NS11hip_rocprim14__parallel_for6kernelILj256ENS1_20__uninitialized_fill7functorINS0_10device_ptrIyEEyEEmLj1EEEvT0_T1_SA_.numbered_sgpr, 12
	.set _ZN6thrust23THRUST_200600_302600_NS11hip_rocprim14__parallel_for6kernelILj256ENS1_20__uninitialized_fill7functorINS0_10device_ptrIyEEyEEmLj1EEEvT0_T1_SA_.num_named_barrier, 0
	.set _ZN6thrust23THRUST_200600_302600_NS11hip_rocprim14__parallel_for6kernelILj256ENS1_20__uninitialized_fill7functorINS0_10device_ptrIyEEyEEmLj1EEEvT0_T1_SA_.private_seg_size, 0
	.set _ZN6thrust23THRUST_200600_302600_NS11hip_rocprim14__parallel_for6kernelILj256ENS1_20__uninitialized_fill7functorINS0_10device_ptrIyEEyEEmLj1EEEvT0_T1_SA_.uses_vcc, 1
	.set _ZN6thrust23THRUST_200600_302600_NS11hip_rocprim14__parallel_for6kernelILj256ENS1_20__uninitialized_fill7functorINS0_10device_ptrIyEEyEEmLj1EEEvT0_T1_SA_.uses_flat_scratch, 0
	.set _ZN6thrust23THRUST_200600_302600_NS11hip_rocprim14__parallel_for6kernelILj256ENS1_20__uninitialized_fill7functorINS0_10device_ptrIyEEyEEmLj1EEEvT0_T1_SA_.has_dyn_sized_stack, 0
	.set _ZN6thrust23THRUST_200600_302600_NS11hip_rocprim14__parallel_for6kernelILj256ENS1_20__uninitialized_fill7functorINS0_10device_ptrIyEEyEEmLj1EEEvT0_T1_SA_.has_recursion, 0
	.set _ZN6thrust23THRUST_200600_302600_NS11hip_rocprim14__parallel_for6kernelILj256ENS1_20__uninitialized_fill7functorINS0_10device_ptrIyEEyEEmLj1EEEvT0_T1_SA_.has_indirect_call, 0
	.section	.AMDGPU.csdata,"",@progbits
; Kernel info:
; codeLenInByte = 168
; TotalNumSgprs: 18
; NumVgprs: 6
; NumAgprs: 0
; TotalNumVgprs: 6
; ScratchSize: 0
; MemoryBound: 0
; FloatMode: 240
; IeeeMode: 1
; LDSByteSize: 0 bytes/workgroup (compile time only)
; SGPRBlocks: 2
; VGPRBlocks: 0
; NumSGPRsForWavesPerEU: 18
; NumVGPRsForWavesPerEU: 6
; AccumOffset: 8
; Occupancy: 8
; WaveLimiterHint : 0
; COMPUTE_PGM_RSRC2:SCRATCH_EN: 0
; COMPUTE_PGM_RSRC2:USER_SGPR: 2
; COMPUTE_PGM_RSRC2:TRAP_HANDLER: 0
; COMPUTE_PGM_RSRC2:TGID_X_EN: 1
; COMPUTE_PGM_RSRC2:TGID_Y_EN: 0
; COMPUTE_PGM_RSRC2:TGID_Z_EN: 0
; COMPUTE_PGM_RSRC2:TIDIG_COMP_CNT: 0
; COMPUTE_PGM_RSRC3_GFX90A:ACCUM_OFFSET: 1
; COMPUTE_PGM_RSRC3_GFX90A:TG_SPLIT: 0
	.section	.text._ZN7rocprim17ROCPRIM_400000_NS6detail17trampoline_kernelINS0_13kernel_configILj256ELj4ELj4294967295EEENS1_37radix_sort_block_sort_config_selectorIyyEEZNS1_21radix_sort_block_sortIS4_Lb0EN6thrust23THRUST_200600_302600_NS6detail15normal_iteratorINS9_10device_ptrIyEEEESE_SE_SE_NS0_19identity_decomposerEEE10hipError_tT1_T2_T3_T4_jRjT5_jjP12ihipStream_tbEUlT_E_NS1_11comp_targetILNS1_3genE0ELNS1_11target_archE4294967295ELNS1_3gpuE0ELNS1_3repE0EEENS1_44radix_sort_block_sort_config_static_selectorELNS0_4arch9wavefront6targetE1EEEvSH_,"axG",@progbits,_ZN7rocprim17ROCPRIM_400000_NS6detail17trampoline_kernelINS0_13kernel_configILj256ELj4ELj4294967295EEENS1_37radix_sort_block_sort_config_selectorIyyEEZNS1_21radix_sort_block_sortIS4_Lb0EN6thrust23THRUST_200600_302600_NS6detail15normal_iteratorINS9_10device_ptrIyEEEESE_SE_SE_NS0_19identity_decomposerEEE10hipError_tT1_T2_T3_T4_jRjT5_jjP12ihipStream_tbEUlT_E_NS1_11comp_targetILNS1_3genE0ELNS1_11target_archE4294967295ELNS1_3gpuE0ELNS1_3repE0EEENS1_44radix_sort_block_sort_config_static_selectorELNS0_4arch9wavefront6targetE1EEEvSH_,comdat
	.protected	_ZN7rocprim17ROCPRIM_400000_NS6detail17trampoline_kernelINS0_13kernel_configILj256ELj4ELj4294967295EEENS1_37radix_sort_block_sort_config_selectorIyyEEZNS1_21radix_sort_block_sortIS4_Lb0EN6thrust23THRUST_200600_302600_NS6detail15normal_iteratorINS9_10device_ptrIyEEEESE_SE_SE_NS0_19identity_decomposerEEE10hipError_tT1_T2_T3_T4_jRjT5_jjP12ihipStream_tbEUlT_E_NS1_11comp_targetILNS1_3genE0ELNS1_11target_archE4294967295ELNS1_3gpuE0ELNS1_3repE0EEENS1_44radix_sort_block_sort_config_static_selectorELNS0_4arch9wavefront6targetE1EEEvSH_ ; -- Begin function _ZN7rocprim17ROCPRIM_400000_NS6detail17trampoline_kernelINS0_13kernel_configILj256ELj4ELj4294967295EEENS1_37radix_sort_block_sort_config_selectorIyyEEZNS1_21radix_sort_block_sortIS4_Lb0EN6thrust23THRUST_200600_302600_NS6detail15normal_iteratorINS9_10device_ptrIyEEEESE_SE_SE_NS0_19identity_decomposerEEE10hipError_tT1_T2_T3_T4_jRjT5_jjP12ihipStream_tbEUlT_E_NS1_11comp_targetILNS1_3genE0ELNS1_11target_archE4294967295ELNS1_3gpuE0ELNS1_3repE0EEENS1_44radix_sort_block_sort_config_static_selectorELNS0_4arch9wavefront6targetE1EEEvSH_
	.globl	_ZN7rocprim17ROCPRIM_400000_NS6detail17trampoline_kernelINS0_13kernel_configILj256ELj4ELj4294967295EEENS1_37radix_sort_block_sort_config_selectorIyyEEZNS1_21radix_sort_block_sortIS4_Lb0EN6thrust23THRUST_200600_302600_NS6detail15normal_iteratorINS9_10device_ptrIyEEEESE_SE_SE_NS0_19identity_decomposerEEE10hipError_tT1_T2_T3_T4_jRjT5_jjP12ihipStream_tbEUlT_E_NS1_11comp_targetILNS1_3genE0ELNS1_11target_archE4294967295ELNS1_3gpuE0ELNS1_3repE0EEENS1_44radix_sort_block_sort_config_static_selectorELNS0_4arch9wavefront6targetE1EEEvSH_
	.p2align	8
	.type	_ZN7rocprim17ROCPRIM_400000_NS6detail17trampoline_kernelINS0_13kernel_configILj256ELj4ELj4294967295EEENS1_37radix_sort_block_sort_config_selectorIyyEEZNS1_21radix_sort_block_sortIS4_Lb0EN6thrust23THRUST_200600_302600_NS6detail15normal_iteratorINS9_10device_ptrIyEEEESE_SE_SE_NS0_19identity_decomposerEEE10hipError_tT1_T2_T3_T4_jRjT5_jjP12ihipStream_tbEUlT_E_NS1_11comp_targetILNS1_3genE0ELNS1_11target_archE4294967295ELNS1_3gpuE0ELNS1_3repE0EEENS1_44radix_sort_block_sort_config_static_selectorELNS0_4arch9wavefront6targetE1EEEvSH_,@function
_ZN7rocprim17ROCPRIM_400000_NS6detail17trampoline_kernelINS0_13kernel_configILj256ELj4ELj4294967295EEENS1_37radix_sort_block_sort_config_selectorIyyEEZNS1_21radix_sort_block_sortIS4_Lb0EN6thrust23THRUST_200600_302600_NS6detail15normal_iteratorINS9_10device_ptrIyEEEESE_SE_SE_NS0_19identity_decomposerEEE10hipError_tT1_T2_T3_T4_jRjT5_jjP12ihipStream_tbEUlT_E_NS1_11comp_targetILNS1_3genE0ELNS1_11target_archE4294967295ELNS1_3gpuE0ELNS1_3repE0EEENS1_44radix_sort_block_sort_config_static_selectorELNS0_4arch9wavefront6targetE1EEEvSH_: ; @_ZN7rocprim17ROCPRIM_400000_NS6detail17trampoline_kernelINS0_13kernel_configILj256ELj4ELj4294967295EEENS1_37radix_sort_block_sort_config_selectorIyyEEZNS1_21radix_sort_block_sortIS4_Lb0EN6thrust23THRUST_200600_302600_NS6detail15normal_iteratorINS9_10device_ptrIyEEEESE_SE_SE_NS0_19identity_decomposerEEE10hipError_tT1_T2_T3_T4_jRjT5_jjP12ihipStream_tbEUlT_E_NS1_11comp_targetILNS1_3genE0ELNS1_11target_archE4294967295ELNS1_3gpuE0ELNS1_3repE0EEENS1_44radix_sort_block_sort_config_static_selectorELNS0_4arch9wavefront6targetE1EEEvSH_
; %bb.0:
	s_load_dword s8, s[0:1], 0x20
	s_load_dwordx8 s[36:43], s[0:1], 0x0
	s_lshl_b32 s4, s2, 10
	s_mov_b32 s5, 0
	v_mbcnt_lo_u32_b32 v1, -1, 0
	s_waitcnt lgkmcnt(0)
	s_lshr_b32 s3, s8, 10
	s_cmp_lg_u32 s2, s3
	v_and_b32_e32 v16, 0x3ff, v0
	s_cselect_b64 s[30:31], -1, 0
	s_lshl_b64 s[28:29], s[4:5], 3
	v_mbcnt_hi_u32_b32 v8, -1, v1
	s_add_u32 s6, s36, s28
	v_and_b32_e32 v1, 63, v8
	v_lshlrev_b32_e32 v2, 2, v16
	s_addc_u32 s7, s37, s29
	v_and_b32_e32 v9, 0x300, v2
	v_mov_b32_e32 v5, 0
	v_lshlrev_b32_e32 v4, 3, v1
	v_lshl_add_u64 v[6:7], s[6:7], 0, v[4:5]
	v_lshlrev_b32_e32 v2, 3, v9
	v_mov_b32_e32 v3, v5
	s_cmp_eq_u32 s2, s3
	v_lshl_add_u64 v[6:7], v[6:7], 0, v[2:3]
	s_cbranch_scc1 .LBB378_2
; %bb.1:
	s_add_u32 s2, s40, s28
	s_addc_u32 s3, s41, s29
	v_lshl_add_u64 v[10:11], s[2:3], 0, v[4:5]
	global_load_dwordx2 v[36:37], v[6:7], off
	global_load_dwordx2 v[38:39], v[6:7], off offset:512
	global_load_dwordx2 v[40:41], v[6:7], off offset:1024
	;; [unrolled: 1-line block ×3, first 2 shown]
	v_lshl_add_u64 v[10:11], v[10:11], 0, v[2:3]
	global_load_dwordx2 v[44:45], v[10:11], off
	global_load_dwordx2 v[46:47], v[10:11], off offset:512
	global_load_dwordx2 v[48:49], v[10:11], off offset:1024
	s_mov_b64 s[6:7], -1
	s_load_dwordx2 s[34:35], s[0:1], 0x28
	s_sub_i32 s33, s8, s4
	s_cbranch_execz .LBB378_3
	s_branch .LBB378_16
.LBB378_2:
	s_mov_b64 s[6:7], 0
                                        ; implicit-def: $vgpr36_vgpr37_vgpr38_vgpr39_vgpr40_vgpr41_vgpr42_vgpr43
                                        ; implicit-def: $vgpr44_vgpr45
                                        ; implicit-def: $vgpr48_vgpr49
	s_load_dwordx2 s[34:35], s[0:1], 0x28
	s_sub_i32 s33, s8, s4
.LBB378_3:
	v_or_b32_e32 v3, v1, v9
	s_waitcnt vmcnt(6)
	v_mov_b32_e32 v36, -1
	v_cmp_gt_u32_e32 vcc, s33, v3
	v_mov_b32_e32 v37, v36
	s_waitcnt vmcnt(5)
	v_mov_b32_e32 v38, v36
	v_mov_b32_e32 v39, v36
	s_waitcnt vmcnt(4)
	v_mov_b32_e32 v40, v36
	;; [unrolled: 3-line block ×3, first 2 shown]
	v_mov_b32_e32 v43, v36
	s_and_saveexec_b64 s[2:3], vcc
	s_cbranch_execz .LBB378_5
; %bb.4:
	global_load_dwordx2 v[18:19], v[6:7], off
	v_mov_b32_e32 v24, v36
	v_mov_b32_e32 v25, v36
	;; [unrolled: 1-line block ×6, first 2 shown]
	s_waitcnt vmcnt(0)
	v_mov_b64_e32 v[42:43], v[24:25]
	v_mov_b64_e32 v[40:41], v[22:23]
	v_mov_b64_e32 v[38:39], v[20:21]
	v_mov_b64_e32 v[36:37], v[18:19]
.LBB378_5:
	s_or_b64 exec, exec, s[2:3]
	v_or_b32_e32 v5, 64, v3
	v_cmp_gt_u32_e64 s[2:3], s33, v5
	s_and_saveexec_b64 s[4:5], s[2:3]
	s_cbranch_execz .LBB378_7
; %bb.6:
	global_load_dwordx2 v[38:39], v[6:7], off offset:512
.LBB378_7:
	s_or_b64 exec, exec, s[4:5]
	v_or_b32_e32 v5, 0x80, v3
	v_cmp_gt_u32_e64 s[4:5], s33, v5
	s_and_saveexec_b64 s[6:7], s[4:5]
	s_cbranch_execz .LBB378_9
; %bb.8:
	global_load_dwordx2 v[40:41], v[6:7], off offset:1024
.LBB378_9:
	;; [unrolled: 8-line block ×3, first 2 shown]
	s_or_b64 exec, exec, s[8:9]
	s_add_u32 s8, s40, s28
	s_addc_u32 s9, s41, s29
	v_mov_b32_e32 v5, 0
	v_lshl_add_u64 v[6:7], s[8:9], 0, v[4:5]
	v_mov_b32_e32 v3, v5
	v_lshl_add_u64 v[6:7], v[6:7], 0, v[2:3]
                                        ; implicit-def: $vgpr44_vgpr45
	s_and_saveexec_b64 s[8:9], vcc
	s_cbranch_execnz .LBB378_55
; %bb.12:
	s_or_b64 exec, exec, s[8:9]
	s_and_saveexec_b64 s[8:9], s[2:3]
	s_cbranch_execnz .LBB378_56
.LBB378_13:
	s_or_b64 exec, exec, s[8:9]
                                        ; implicit-def: $vgpr48_vgpr49
	s_and_saveexec_b64 s[2:3], s[4:5]
	s_cbranch_execz .LBB378_15
.LBB378_14:
	global_load_dwordx2 v[48:49], v[6:7], off offset:1024
.LBB378_15:
	s_or_b64 exec, exec, s[2:3]
.LBB378_16:
	s_and_saveexec_b64 s[2:3], s[6:7]
	s_cbranch_execz .LBB378_18
; %bb.17:
	s_add_u32 s4, s40, s28
	s_addc_u32 s5, s41, s29
	v_mov_b32_e32 v5, 0
	v_lshl_add_u64 v[6:7], s[4:5], 0, v[4:5]
	v_mov_b32_e32 v3, v5
	v_lshl_add_u64 v[4:5], v[6:7], 0, v[2:3]
	global_load_dwordx2 v[50:51], v[4:5], off offset:1536
.LBB378_18:
	s_or_b64 exec, exec, s[2:3]
	s_load_dword s2, s[0:1], 0x3c
	s_waitcnt lgkmcnt(0)
	s_add_i32 s36, s35, s34
	s_getpc_b64 s[0:1]
	s_add_u32 s0, s0, _ZN7rocprim17ROCPRIM_400000_NS16block_radix_sortIyLj256ELj4EyLj1ELj1ELj0ELNS0_26block_radix_rank_algorithmE1ELNS0_18block_padding_hintE2ELNS0_4arch9wavefront6targetE1EE19radix_bits_per_passE@rel32@lo+4
	s_addc_u32 s1, s1, _ZN7rocprim17ROCPRIM_400000_NS16block_radix_sortIyLj256ELj4EyLj1ELj1ELj0ELNS0_26block_radix_rank_algorithmE1ELNS0_18block_padding_hintE2ELNS0_4arch9wavefront6targetE1EE19radix_bits_per_passE@rel32@hi+12
	s_load_dword s37, s[0:1], 0x0
	v_bfe_u32 v3, v0, 10, 10
	s_lshr_b32 s0, s2, 16
	v_bfe_u32 v0, v0, 20, 10
	s_and_b32 s1, s2, 0xffff
	v_mad_u32_u24 v0, v0, s0, v3
	v_mad_u64_u32 v[4:5], s[0:1], v0, s1, v[16:17]
	v_lshrrev_b32_e32 v0, 4, v4
	v_and_b32_e32 v28, 0xffffffc, v0
	v_and_b32_e32 v0, 15, v8
	v_cmp_eq_u32_e64 s[0:1], 0, v0
	v_cmp_lt_u32_e64 s[2:3], 1, v0
	v_cmp_lt_u32_e64 s[4:5], 3, v0
	;; [unrolled: 1-line block ×3, first 2 shown]
	v_and_b32_e32 v0, 16, v8
	v_cmp_eq_u32_e64 s[8:9], 0, v0
	v_and_b32_e32 v0, 0x3c0, v16
	v_min_u32_e32 v0, 0xc0, v0
	v_or_b32_e32 v0, 63, v0
	v_cmp_eq_u32_e64 s[12:13], v16, v0
	v_subrev_co_u32_e64 v0, s[18:19], 1, v8
	v_and_b32_e32 v3, 64, v8
	v_cmp_lt_i32_e32 vcc, v0, v3
	s_mov_b32 s26, 0
	v_lshlrev_b32_e32 v17, 4, v16
	v_cndmask_b32_e32 v0, v0, v8, vcc
	v_lshlrev_b32_e32 v29, 2, v0
	v_lshrrev_b32_e32 v0, 4, v16
	v_and_b32_e32 v30, 60, v0
	v_mul_i32_i24_e32 v0, -12, v16
	v_and_b32_e32 v3, 3, v8
	s_mov_b32 s27, s26
	s_mov_b32 s40, s26
	;; [unrolled: 1-line block ×3, first 2 shown]
	v_cmp_lt_u32_e64 s[10:11], 31, v8
	v_cmp_gt_u32_e64 s[14:15], 4, v16
	v_cmp_lt_u32_e64 s[16:17], 63, v16
	v_cmp_eq_u32_e64 s[20:21], 0, v16
	v_cmp_eq_u32_e64 s[22:23], 0, v3
	v_cmp_lt_u32_e64 s[24:25], 1, v3
	v_add_u32_e32 v31, -4, v30
	v_lshl_add_u32 v32, v1, 3, v2
	v_mov_b64_e32 v[8:9], s[26:27]
	v_mov_b64_e32 v[10:11], s[40:41]
	v_mov_b32_e32 v13, 0
	v_add_u32_e32 v33, v17, v0
	s_branch .LBB378_20
.LBB378_19:                             ;   in Loop: Header=BB378_20 Depth=1
	s_andn2_b64 vcc, exec, s[26:27]
	s_cbranch_vccz .LBB378_36
.LBB378_20:                             ; =>This Inner Loop Header: Depth=1
	s_waitcnt lgkmcnt(0)
	s_min_u32 s26, s37, s35
	s_waitcnt vmcnt(6)
	v_mov_b32_e32 v14, v36
	v_mov_b32_e32 v15, v37
	s_lshl_b32 s40, -1, s26
	v_lshrrev_b64 v[0:1], s34, v[14:15]
	v_bitop3_b32 v2, v0, s40, v0 bitop3:0x30
	v_and_b32_e32 v12, 1, v2
	v_lshl_add_u64 v[0:1], v[12:13], 0, -1
	v_cmp_ne_u32_e32 vcc, 0, v12
	v_lshlrev_b32_e32 v3, 4, v2
	s_waitcnt vmcnt(0)
	v_mov_b64_e32 v[20:21], v[44:45]
	v_xor_b32_e32 v1, vcc_hi, v1
	v_xor_b32_e32 v0, vcc_lo, v0
	v_and_b32_e32 v12, exec_hi, v1
	v_and_b32_e32 v22, exec_lo, v0
	v_lshlrev_b32_e32 v1, 30, v2
	v_mov_b32_e32 v0, v13
	v_cmp_gt_i64_e32 vcc, 0, v[0:1]
	v_not_b32_e32 v0, v1
	v_ashrrev_i32_e32 v0, 31, v0
	v_xor_b32_e32 v1, vcc_hi, v0
	v_xor_b32_e32 v0, vcc_lo, v0
	v_and_b32_e32 v12, v12, v1
	v_and_b32_e32 v22, v22, v0
	v_lshlrev_b32_e32 v1, 29, v2
	v_mov_b32_e32 v0, v13
	v_cmp_gt_i64_e32 vcc, 0, v[0:1]
	v_not_b32_e32 v0, v1
	v_ashrrev_i32_e32 v0, 31, v0
	v_xor_b32_e32 v1, vcc_hi, v0
	v_xor_b32_e32 v0, vcc_lo, v0
	v_and_b32_e32 v12, v12, v1
	v_and_b32_e32 v22, v22, v0
	;; [unrolled: 9-line block ×7, first 2 shown]
	v_mbcnt_lo_u32_b32 v2, v0, 0
	v_mbcnt_hi_u32_b32 v34, v1, v2
	v_cmp_eq_u32_e32 vcc, 0, v34
	v_cmp_ne_u64_e64 s[26:27], 0, v[0:1]
	v_mov_b64_e32 v[18:19], v[46:47]
	v_mov_b64_e32 v[6:7], v[48:49]
	;; [unrolled: 1-line block ×3, first 2 shown]
	s_and_b64 s[44:45], s[26:27], vcc
	v_add_u32_e32 v35, v28, v3
	ds_write2_b64 v17, v[8:9], v[10:11] offset0:2 offset1:3
	s_waitcnt lgkmcnt(0)
	s_barrier
	; wave barrier
	s_and_saveexec_b64 s[26:27], s[44:45]
; %bb.21:                               ;   in Loop: Header=BB378_20 Depth=1
	v_bcnt_u32_b32 v0, v0, 0
	v_bcnt_u32_b32 v0, v1, v0
	ds_write_b32 v35, v0 offset:16
; %bb.22:                               ;   in Loop: Header=BB378_20 Depth=1
	s_or_b64 exec, exec, s[26:27]
	v_mov_b32_e32 v22, v38
	v_mov_b32_e32 v23, v39
	s_not_b32 s40, s40
	v_lshrrev_b64 v[0:1], s34, v[22:23]
	v_and_b32_e32 v2, s40, v0
	v_lshlrev_b32_e32 v0, 4, v2
	v_and_b32_e32 v12, 1, v2
	v_add_u32_e32 v37, v28, v0
	v_lshl_add_u64 v[0:1], v[12:13], 0, -1
	v_cmp_ne_u32_e32 vcc, 0, v12
	; wave barrier
	s_nop 1
	v_xor_b32_e32 v1, vcc_hi, v1
	v_xor_b32_e32 v0, vcc_lo, v0
	v_and_b32_e32 v3, exec_hi, v1
	v_and_b32_e32 v12, exec_lo, v0
	v_lshlrev_b32_e32 v1, 30, v2
	v_mov_b32_e32 v0, v13
	v_cmp_gt_i64_e32 vcc, 0, v[0:1]
	v_not_b32_e32 v0, v1
	v_ashrrev_i32_e32 v0, 31, v0
	v_xor_b32_e32 v1, vcc_hi, v0
	v_xor_b32_e32 v0, vcc_lo, v0
	v_and_b32_e32 v3, v3, v1
	v_and_b32_e32 v12, v12, v0
	v_lshlrev_b32_e32 v1, 29, v2
	v_mov_b32_e32 v0, v13
	v_cmp_gt_i64_e32 vcc, 0, v[0:1]
	v_not_b32_e32 v0, v1
	v_ashrrev_i32_e32 v0, 31, v0
	v_xor_b32_e32 v1, vcc_hi, v0
	v_xor_b32_e32 v0, vcc_lo, v0
	v_and_b32_e32 v3, v3, v1
	v_and_b32_e32 v12, v12, v0
	v_lshlrev_b32_e32 v1, 28, v2
	v_mov_b32_e32 v0, v13
	v_cmp_gt_i64_e32 vcc, 0, v[0:1]
	v_not_b32_e32 v0, v1
	v_ashrrev_i32_e32 v0, 31, v0
	v_xor_b32_e32 v1, vcc_hi, v0
	v_xor_b32_e32 v0, vcc_lo, v0
	v_and_b32_e32 v3, v3, v1
	v_and_b32_e32 v12, v12, v0
	v_lshlrev_b32_e32 v1, 27, v2
	v_mov_b32_e32 v0, v13
	v_cmp_gt_i64_e32 vcc, 0, v[0:1]
	v_not_b32_e32 v0, v1
	v_ashrrev_i32_e32 v0, 31, v0
	v_xor_b32_e32 v1, vcc_hi, v0
	v_xor_b32_e32 v0, vcc_lo, v0
	v_and_b32_e32 v3, v3, v1
	v_and_b32_e32 v12, v12, v0
	v_lshlrev_b32_e32 v1, 26, v2
	v_mov_b32_e32 v0, v13
	v_cmp_gt_i64_e32 vcc, 0, v[0:1]
	v_not_b32_e32 v0, v1
	v_ashrrev_i32_e32 v0, 31, v0
	v_xor_b32_e32 v1, vcc_hi, v0
	v_xor_b32_e32 v0, vcc_lo, v0
	v_and_b32_e32 v3, v3, v1
	v_and_b32_e32 v12, v12, v0
	v_lshlrev_b32_e32 v1, 25, v2
	v_mov_b32_e32 v0, v13
	v_cmp_gt_i64_e32 vcc, 0, v[0:1]
	v_not_b32_e32 v0, v1
	v_ashrrev_i32_e32 v0, 31, v0
	v_xor_b32_e32 v1, vcc_hi, v0
	v_xor_b32_e32 v0, vcc_lo, v0
	v_and_b32_e32 v3, v3, v1
	v_and_b32_e32 v12, v12, v0
	v_lshlrev_b32_e32 v1, 24, v2
	v_mov_b32_e32 v0, v13
	v_cmp_gt_i64_e32 vcc, 0, v[0:1]
	v_not_b32_e32 v0, v1
	v_ashrrev_i32_e32 v0, 31, v0
	v_xor_b32_e32 v1, vcc_hi, v0
	v_xor_b32_e32 v0, vcc_lo, v0
	ds_read_b32 v36, v37 offset:16
	v_and_b32_e32 v0, v12, v0
	v_and_b32_e32 v1, v3, v1
	v_mbcnt_lo_u32_b32 v2, v0, 0
	v_mbcnt_hi_u32_b32 v38, v1, v2
	v_cmp_eq_u32_e32 vcc, 0, v38
	v_cmp_ne_u64_e64 s[26:27], 0, v[0:1]
	s_and_b64 s[44:45], s[26:27], vcc
	; wave barrier
	s_and_saveexec_b64 s[26:27], s[44:45]
	s_cbranch_execz .LBB378_24
; %bb.23:                               ;   in Loop: Header=BB378_20 Depth=1
	v_bcnt_u32_b32 v0, v0, 0
	v_bcnt_u32_b32 v0, v1, v0
	s_waitcnt lgkmcnt(0)
	v_add_u32_e32 v0, v36, v0
	ds_write_b32 v37, v0 offset:16
.LBB378_24:                             ;   in Loop: Header=BB378_20 Depth=1
	s_or_b64 exec, exec, s[26:27]
	v_mov_b32_e32 v24, v40
	v_mov_b32_e32 v25, v41
	v_lshrrev_b64 v[0:1], s34, v[24:25]
	v_and_b32_e32 v2, s40, v0
	v_lshlrev_b32_e32 v0, 4, v2
	v_and_b32_e32 v12, 1, v2
	v_add_u32_e32 v40, v28, v0
	v_lshl_add_u64 v[0:1], v[12:13], 0, -1
	v_cmp_ne_u32_e32 vcc, 0, v12
	; wave barrier
	s_nop 1
	v_xor_b32_e32 v1, vcc_hi, v1
	v_xor_b32_e32 v0, vcc_lo, v0
	v_and_b32_e32 v3, exec_hi, v1
	v_and_b32_e32 v12, exec_lo, v0
	v_lshlrev_b32_e32 v1, 30, v2
	v_mov_b32_e32 v0, v13
	v_cmp_gt_i64_e32 vcc, 0, v[0:1]
	v_not_b32_e32 v0, v1
	v_ashrrev_i32_e32 v0, 31, v0
	v_xor_b32_e32 v1, vcc_hi, v0
	v_xor_b32_e32 v0, vcc_lo, v0
	v_and_b32_e32 v3, v3, v1
	v_and_b32_e32 v12, v12, v0
	v_lshlrev_b32_e32 v1, 29, v2
	v_mov_b32_e32 v0, v13
	v_cmp_gt_i64_e32 vcc, 0, v[0:1]
	v_not_b32_e32 v0, v1
	v_ashrrev_i32_e32 v0, 31, v0
	v_xor_b32_e32 v1, vcc_hi, v0
	v_xor_b32_e32 v0, vcc_lo, v0
	v_and_b32_e32 v3, v3, v1
	v_and_b32_e32 v12, v12, v0
	;; [unrolled: 9-line block ×6, first 2 shown]
	v_lshlrev_b32_e32 v1, 24, v2
	v_mov_b32_e32 v0, v13
	v_cmp_gt_i64_e32 vcc, 0, v[0:1]
	v_not_b32_e32 v0, v1
	v_ashrrev_i32_e32 v0, 31, v0
	v_xor_b32_e32 v1, vcc_hi, v0
	v_xor_b32_e32 v0, vcc_lo, v0
	ds_read_b32 v39, v40 offset:16
	v_and_b32_e32 v0, v12, v0
	v_and_b32_e32 v1, v3, v1
	v_mbcnt_lo_u32_b32 v2, v0, 0
	v_mbcnt_hi_u32_b32 v41, v1, v2
	v_cmp_eq_u32_e32 vcc, 0, v41
	v_cmp_ne_u64_e64 s[26:27], 0, v[0:1]
	s_and_b64 s[44:45], s[26:27], vcc
	; wave barrier
	s_and_saveexec_b64 s[26:27], s[44:45]
	s_cbranch_execz .LBB378_26
; %bb.25:                               ;   in Loop: Header=BB378_20 Depth=1
	v_bcnt_u32_b32 v0, v0, 0
	v_bcnt_u32_b32 v0, v1, v0
	s_waitcnt lgkmcnt(0)
	v_add_u32_e32 v0, v39, v0
	ds_write_b32 v40, v0 offset:16
.LBB378_26:                             ;   in Loop: Header=BB378_20 Depth=1
	s_or_b64 exec, exec, s[26:27]
	v_mov_b32_e32 v26, v42
	v_mov_b32_e32 v27, v43
	v_lshrrev_b64 v[0:1], s34, v[26:27]
	v_and_b32_e32 v2, s40, v0
	v_lshlrev_b32_e32 v0, 4, v2
	v_and_b32_e32 v12, 1, v2
	v_add_u32_e32 v43, v28, v0
	v_lshl_add_u64 v[0:1], v[12:13], 0, -1
	v_cmp_ne_u32_e32 vcc, 0, v12
	; wave barrier
	s_nop 1
	v_xor_b32_e32 v1, vcc_hi, v1
	v_xor_b32_e32 v0, vcc_lo, v0
	v_and_b32_e32 v3, exec_hi, v1
	v_and_b32_e32 v12, exec_lo, v0
	v_lshlrev_b32_e32 v1, 30, v2
	v_mov_b32_e32 v0, v13
	v_cmp_gt_i64_e32 vcc, 0, v[0:1]
	v_not_b32_e32 v0, v1
	v_ashrrev_i32_e32 v0, 31, v0
	v_xor_b32_e32 v1, vcc_hi, v0
	v_xor_b32_e32 v0, vcc_lo, v0
	v_and_b32_e32 v3, v3, v1
	v_and_b32_e32 v12, v12, v0
	v_lshlrev_b32_e32 v1, 29, v2
	v_mov_b32_e32 v0, v13
	v_cmp_gt_i64_e32 vcc, 0, v[0:1]
	v_not_b32_e32 v0, v1
	v_ashrrev_i32_e32 v0, 31, v0
	v_xor_b32_e32 v1, vcc_hi, v0
	v_xor_b32_e32 v0, vcc_lo, v0
	v_and_b32_e32 v3, v3, v1
	v_and_b32_e32 v12, v12, v0
	;; [unrolled: 9-line block ×6, first 2 shown]
	v_lshlrev_b32_e32 v1, 24, v2
	v_mov_b32_e32 v0, v13
	v_cmp_gt_i64_e32 vcc, 0, v[0:1]
	v_not_b32_e32 v0, v1
	v_ashrrev_i32_e32 v0, 31, v0
	v_xor_b32_e32 v1, vcc_hi, v0
	v_xor_b32_e32 v0, vcc_lo, v0
	ds_read_b32 v42, v43 offset:16
	v_and_b32_e32 v0, v12, v0
	v_and_b32_e32 v1, v3, v1
	v_mbcnt_lo_u32_b32 v2, v0, 0
	v_mbcnt_hi_u32_b32 v12, v1, v2
	v_cmp_eq_u32_e32 vcc, 0, v12
	v_cmp_ne_u64_e64 s[26:27], 0, v[0:1]
	s_and_b64 s[40:41], s[26:27], vcc
	; wave barrier
	s_and_saveexec_b64 s[26:27], s[40:41]
	s_cbranch_execz .LBB378_28
; %bb.27:                               ;   in Loop: Header=BB378_20 Depth=1
	v_bcnt_u32_b32 v0, v0, 0
	v_bcnt_u32_b32 v0, v1, v0
	s_waitcnt lgkmcnt(0)
	v_add_u32_e32 v0, v42, v0
	ds_write_b32 v43, v0 offset:16
.LBB378_28:                             ;   in Loop: Header=BB378_20 Depth=1
	s_or_b64 exec, exec, s[26:27]
	; wave barrier
	s_waitcnt lgkmcnt(0)
	s_barrier
	ds_read2_b64 v[0:3], v17 offset0:2 offset1:3
	s_waitcnt lgkmcnt(0)
	v_add_u32_e32 v44, v1, v0
	v_add3_u32 v3, v44, v2, v3
	s_nop 1
	v_mov_b32_dpp v44, v3 row_shr:1 row_mask:0xf bank_mask:0xf
	v_cndmask_b32_e64 v44, v44, 0, s[0:1]
	v_add_u32_e32 v3, v44, v3
	s_nop 1
	v_mov_b32_dpp v44, v3 row_shr:2 row_mask:0xf bank_mask:0xf
	v_cndmask_b32_e64 v44, 0, v44, s[2:3]
	v_add_u32_e32 v3, v3, v44
	;; [unrolled: 4-line block ×4, first 2 shown]
	s_nop 1
	v_mov_b32_dpp v44, v3 row_bcast:15 row_mask:0xf bank_mask:0xf
	v_cndmask_b32_e64 v44, v44, 0, s[8:9]
	v_add_u32_e32 v3, v3, v44
	s_nop 1
	v_mov_b32_dpp v44, v3 row_bcast:31 row_mask:0xf bank_mask:0xf
	v_cndmask_b32_e64 v44, 0, v44, s[10:11]
	v_add_u32_e32 v3, v3, v44
	s_and_saveexec_b64 s[26:27], s[12:13]
; %bb.29:                               ;   in Loop: Header=BB378_20 Depth=1
	ds_write_b32 v30, v3
; %bb.30:                               ;   in Loop: Header=BB378_20 Depth=1
	s_or_b64 exec, exec, s[26:27]
	s_waitcnt lgkmcnt(0)
	s_barrier
	s_and_saveexec_b64 s[26:27], s[14:15]
	s_cbranch_execz .LBB378_32
; %bb.31:                               ;   in Loop: Header=BB378_20 Depth=1
	ds_read_b32 v44, v33
	s_waitcnt lgkmcnt(0)
	s_nop 0
	v_mov_b32_dpp v45, v44 row_shr:1 row_mask:0xf bank_mask:0xf
	v_cndmask_b32_e64 v45, v45, 0, s[22:23]
	v_add_u32_e32 v44, v45, v44
	s_nop 1
	v_mov_b32_dpp v45, v44 row_shr:2 row_mask:0xf bank_mask:0xf
	v_cndmask_b32_e64 v45, 0, v45, s[24:25]
	v_add_u32_e32 v44, v44, v45
	ds_write_b32 v33, v44
.LBB378_32:                             ;   in Loop: Header=BB378_20 Depth=1
	s_or_b64 exec, exec, s[26:27]
	v_mov_b32_e32 v44, 0
	s_waitcnt lgkmcnt(0)
	s_barrier
	s_and_saveexec_b64 s[26:27], s[16:17]
; %bb.33:                               ;   in Loop: Header=BB378_20 Depth=1
	ds_read_b32 v44, v31
; %bb.34:                               ;   in Loop: Header=BB378_20 Depth=1
	s_or_b64 exec, exec, s[26:27]
	s_waitcnt lgkmcnt(0)
	v_add_u32_e32 v3, v44, v3
	ds_bpermute_b32 v3, v29, v3
	v_lshlrev_b32_e32 v34, 3, v34
	s_add_i32 s34, s34, 8
	v_lshlrev_b32_e32 v12, 3, v12
	s_cmp_ge_u32 s34, s36
	s_waitcnt lgkmcnt(0)
	v_cndmask_b32_e64 v3, v3, v44, s[18:19]
	v_cndmask_b32_e64 v44, v3, 0, s[20:21]
	v_add_u32_e32 v45, v44, v0
	v_add_u32_e32 v0, v45, v1
	v_add_u32_e32 v1, v0, v2
	ds_write2_b64 v17, v[44:45], v[0:1] offset0:2 offset1:3
	s_waitcnt lgkmcnt(0)
	s_barrier
	ds_read_b32 v0, v35 offset:16
	ds_read_b32 v1, v37 offset:16
	ds_read_b32 v2, v40 offset:16
	ds_read_b32 v3, v43 offset:16
	v_lshlrev_b32_e32 v35, 3, v36
	s_waitcnt lgkmcnt(3)
	v_lshl_add_u32 v0, v0, 3, v34
	v_lshlrev_b32_e32 v34, 3, v38
	s_waitcnt lgkmcnt(2)
	v_lshlrev_b32_e32 v1, 3, v1
	v_add3_u32 v1, v34, v35, v1
	v_lshlrev_b32_e32 v34, 3, v41
	v_lshlrev_b32_e32 v35, 3, v39
	s_waitcnt lgkmcnt(1)
	v_lshlrev_b32_e32 v2, 3, v2
	v_add3_u32 v2, v34, v35, v2
	v_lshlrev_b32_e32 v34, 3, v42
	s_waitcnt lgkmcnt(0)
	v_lshlrev_b32_e32 v3, 3, v3
	v_add3_u32 v3, v12, v34, v3
	s_mov_b64 s[26:27], -1
                                        ; implicit-def: $vgpr36_vgpr37_vgpr38_vgpr39_vgpr40_vgpr41_vgpr42_vgpr43
                                        ; implicit-def: $vgpr44_vgpr45
                                        ; implicit-def: $vgpr48_vgpr49
	s_cbranch_scc1 .LBB378_19
; %bb.35:                               ;   in Loop: Header=BB378_20 Depth=1
	s_barrier
	ds_write_b64 v0, v[14:15]
	ds_write_b64 v1, v[22:23]
	;; [unrolled: 1-line block ×4, first 2 shown]
	s_waitcnt lgkmcnt(0)
	s_barrier
	ds_read2st64_b64 v[36:39], v32 offset1:1
	ds_read2st64_b64 v[40:43], v32 offset0:2 offset1:3
	s_waitcnt lgkmcnt(0)
	s_barrier
	ds_write_b64 v0, v[20:21]
	ds_write_b64 v1, v[18:19]
	;; [unrolled: 1-line block ×4, first 2 shown]
	s_waitcnt lgkmcnt(0)
	s_barrier
	ds_read2st64_b64 v[44:47], v32 offset1:1
	ds_read2st64_b64 v[48:51], v32 offset0:2 offset1:3
	s_add_i32 s35, s35, -8
	s_mov_b64 s[26:27], 0
	s_waitcnt lgkmcnt(0)
	s_barrier
	s_branch .LBB378_19
.LBB378_36:
	s_barrier
	ds_write_b64 v0, v[14:15]
	ds_write_b64 v1, v[22:23]
	;; [unrolled: 1-line block ×4, first 2 shown]
	v_lshlrev_b32_e32 v22, 3, v16
	s_waitcnt lgkmcnt(0)
	s_barrier
	ds_read2st64_b64 v[12:15], v22 offset1:4
	ds_read2st64_b64 v[8:11], v22 offset0:8 offset1:12
	s_waitcnt lgkmcnt(0)
	s_barrier
	ds_write_b64 v0, v[20:21]
	ds_write_b64 v1, v[18:19]
	;; [unrolled: 1-line block ×4, first 2 shown]
	s_waitcnt lgkmcnt(0)
	s_barrier
	ds_read2st64_b64 v[4:7], v22 offset1:4
	ds_read2st64_b64 v[0:3], v22 offset0:8 offset1:12
	s_add_u32 s0, s38, s28
	s_addc_u32 s1, s39, s29
	v_mov_b32_e32 v23, 0
	s_andn2_b64 vcc, exec, s[30:31]
	v_lshl_add_u64 v[18:19], s[0:1], 0, v[22:23]
	s_cbranch_vccnz .LBB378_38
; %bb.37:
	v_add_co_u32_e32 v20, vcc, 0x1000, v18
	s_add_u32 s0, s42, s28
	s_nop 0
	v_addc_co_u32_e32 v21, vcc, 0, v19, vcc
	s_addc_u32 s1, s43, s29
	global_store_dwordx2 v[18:19], v[12:13], off
	global_store_dwordx2 v[18:19], v[14:15], off offset:2048
	global_store_dwordx2 v[20:21], v[8:9], off
	global_store_dwordx2 v[20:21], v[10:11], off offset:2048
	v_lshl_add_u64 v[20:21], s[0:1], 0, v[22:23]
	v_add_co_u32_e32 v20, vcc, 0x1000, v20
	s_waitcnt lgkmcnt(1)
	global_store_dwordx2 v22, v[4:5], s[0:1]
	global_store_dwordx2 v22, v[6:7], s[0:1] offset:2048
	v_addc_co_u32_e32 v21, vcc, 0, v21, vcc
	s_mov_b64 s[6:7], -1
	s_waitcnt lgkmcnt(0)
	global_store_dwordx2 v[20:21], v[0:1], off
	s_cbranch_execz .LBB378_39
	s_branch .LBB378_52
.LBB378_38:
	s_mov_b64 s[6:7], 0
.LBB378_39:
	v_cmp_gt_u32_e64 s[0:1], s33, v16
	s_and_saveexec_b64 s[2:3], s[0:1]
	s_cbranch_execz .LBB378_41
; %bb.40:
	global_store_dwordx2 v[18:19], v[12:13], off
.LBB378_41:
	s_or_b64 exec, exec, s[2:3]
	v_add_u32_e32 v12, 0x100, v16
	v_cmp_gt_u32_e64 s[2:3], s33, v12
	s_and_saveexec_b64 s[4:5], s[2:3]
	s_cbranch_execz .LBB378_43
; %bb.42:
	global_store_dwordx2 v[18:19], v[14:15], off offset:2048
.LBB378_43:
	s_or_b64 exec, exec, s[4:5]
	v_add_u32_e32 v12, 0x200, v16
	v_cmp_gt_u32_e64 s[4:5], s33, v12
	s_and_saveexec_b64 s[6:7], s[4:5]
	s_cbranch_execz .LBB378_45
; %bb.44:
	v_add_co_u32_e32 v12, vcc, 0x1000, v18
	s_nop 1
	v_addc_co_u32_e32 v13, vcc, 0, v19, vcc
	global_store_dwordx2 v[12:13], v[8:9], off
.LBB378_45:
	s_or_b64 exec, exec, s[6:7]
	v_add_u32_e32 v8, 0x300, v16
	v_cmp_gt_u32_e64 s[6:7], s33, v8
	s_and_saveexec_b64 s[8:9], s[6:7]
	s_cbranch_execz .LBB378_47
; %bb.46:
	v_add_co_u32_e32 v8, vcc, 0x1000, v18
	s_nop 1
	v_addc_co_u32_e32 v9, vcc, 0, v19, vcc
	global_store_dwordx2 v[8:9], v[10:11], off offset:2048
.LBB378_47:
	s_or_b64 exec, exec, s[8:9]
	s_add_u32 s8, s42, s28
	s_addc_u32 s9, s43, s29
	v_mov_b32_e32 v23, 0
	v_lshl_add_u64 v[8:9], s[8:9], 0, v[22:23]
	s_and_saveexec_b64 s[8:9], s[0:1]
	s_cbranch_execnz .LBB378_57
; %bb.48:
	s_or_b64 exec, exec, s[8:9]
	s_and_saveexec_b64 s[0:1], s[2:3]
	s_cbranch_execnz .LBB378_58
.LBB378_49:
	s_or_b64 exec, exec, s[0:1]
	s_and_saveexec_b64 s[0:1], s[4:5]
	s_cbranch_execz .LBB378_51
.LBB378_50:
	s_waitcnt lgkmcnt(1)
	v_add_co_u32_e32 v4, vcc, 0x1000, v8
	s_nop 1
	v_addc_co_u32_e32 v5, vcc, 0, v9, vcc
	s_waitcnt lgkmcnt(0)
	global_store_dwordx2 v[4:5], v[0:1], off
.LBB378_51:
	s_or_b64 exec, exec, s[0:1]
.LBB378_52:
	s_and_saveexec_b64 s[0:1], s[6:7]
	s_cbranch_execnz .LBB378_54
; %bb.53:
	s_endpgm
.LBB378_54:
	s_add_u32 s0, s42, s28
	s_addc_u32 s1, s43, s29
	v_mov_b32_e32 v23, 0
	s_waitcnt lgkmcnt(0)
	v_lshl_add_u64 v[0:1], s[0:1], 0, v[22:23]
	v_add_co_u32_e32 v0, vcc, 0x1000, v0
	s_nop 1
	v_addc_co_u32_e32 v1, vcc, 0, v1, vcc
	global_store_dwordx2 v[0:1], v[2:3], off offset:2048
	s_endpgm
.LBB378_55:
	global_load_dwordx2 v[44:45], v[6:7], off
	s_or_b64 exec, exec, s[8:9]
	s_and_saveexec_b64 s[8:9], s[2:3]
	s_cbranch_execz .LBB378_13
.LBB378_56:
	global_load_dwordx2 v[46:47], v[6:7], off offset:512
	s_or_b64 exec, exec, s[8:9]
                                        ; implicit-def: $vgpr48_vgpr49
	s_and_saveexec_b64 s[2:3], s[4:5]
	s_cbranch_execnz .LBB378_14
	s_branch .LBB378_15
.LBB378_57:
	s_waitcnt lgkmcnt(1)
	global_store_dwordx2 v[8:9], v[4:5], off
	s_or_b64 exec, exec, s[8:9]
	s_and_saveexec_b64 s[0:1], s[2:3]
	s_cbranch_execz .LBB378_49
.LBB378_58:
	s_waitcnt lgkmcnt(1)
	global_store_dwordx2 v[8:9], v[6:7], off offset:2048
	s_or_b64 exec, exec, s[0:1]
	s_and_saveexec_b64 s[0:1], s[4:5]
	s_cbranch_execnz .LBB378_50
	s_branch .LBB378_51
	.section	.rodata,"a",@progbits
	.p2align	6, 0x0
	.amdhsa_kernel _ZN7rocprim17ROCPRIM_400000_NS6detail17trampoline_kernelINS0_13kernel_configILj256ELj4ELj4294967295EEENS1_37radix_sort_block_sort_config_selectorIyyEEZNS1_21radix_sort_block_sortIS4_Lb0EN6thrust23THRUST_200600_302600_NS6detail15normal_iteratorINS9_10device_ptrIyEEEESE_SE_SE_NS0_19identity_decomposerEEE10hipError_tT1_T2_T3_T4_jRjT5_jjP12ihipStream_tbEUlT_E_NS1_11comp_targetILNS1_3genE0ELNS1_11target_archE4294967295ELNS1_3gpuE0ELNS1_3repE0EEENS1_44radix_sort_block_sort_config_static_selectorELNS0_4arch9wavefront6targetE1EEEvSH_
		.amdhsa_group_segment_fixed_size 8192
		.amdhsa_private_segment_fixed_size 0
		.amdhsa_kernarg_size 304
		.amdhsa_user_sgpr_count 2
		.amdhsa_user_sgpr_dispatch_ptr 0
		.amdhsa_user_sgpr_queue_ptr 0
		.amdhsa_user_sgpr_kernarg_segment_ptr 1
		.amdhsa_user_sgpr_dispatch_id 0
		.amdhsa_user_sgpr_kernarg_preload_length 0
		.amdhsa_user_sgpr_kernarg_preload_offset 0
		.amdhsa_user_sgpr_private_segment_size 0
		.amdhsa_uses_dynamic_stack 0
		.amdhsa_enable_private_segment 0
		.amdhsa_system_sgpr_workgroup_id_x 1
		.amdhsa_system_sgpr_workgroup_id_y 0
		.amdhsa_system_sgpr_workgroup_id_z 0
		.amdhsa_system_sgpr_workgroup_info 0
		.amdhsa_system_vgpr_workitem_id 2
		.amdhsa_next_free_vgpr 52
		.amdhsa_next_free_sgpr 46
		.amdhsa_accum_offset 52
		.amdhsa_reserve_vcc 1
		.amdhsa_float_round_mode_32 0
		.amdhsa_float_round_mode_16_64 0
		.amdhsa_float_denorm_mode_32 3
		.amdhsa_float_denorm_mode_16_64 3
		.amdhsa_dx10_clamp 1
		.amdhsa_ieee_mode 1
		.amdhsa_fp16_overflow 0
		.amdhsa_tg_split 0
		.amdhsa_exception_fp_ieee_invalid_op 0
		.amdhsa_exception_fp_denorm_src 0
		.amdhsa_exception_fp_ieee_div_zero 0
		.amdhsa_exception_fp_ieee_overflow 0
		.amdhsa_exception_fp_ieee_underflow 0
		.amdhsa_exception_fp_ieee_inexact 0
		.amdhsa_exception_int_div_zero 0
	.end_amdhsa_kernel
	.section	.text._ZN7rocprim17ROCPRIM_400000_NS6detail17trampoline_kernelINS0_13kernel_configILj256ELj4ELj4294967295EEENS1_37radix_sort_block_sort_config_selectorIyyEEZNS1_21radix_sort_block_sortIS4_Lb0EN6thrust23THRUST_200600_302600_NS6detail15normal_iteratorINS9_10device_ptrIyEEEESE_SE_SE_NS0_19identity_decomposerEEE10hipError_tT1_T2_T3_T4_jRjT5_jjP12ihipStream_tbEUlT_E_NS1_11comp_targetILNS1_3genE0ELNS1_11target_archE4294967295ELNS1_3gpuE0ELNS1_3repE0EEENS1_44radix_sort_block_sort_config_static_selectorELNS0_4arch9wavefront6targetE1EEEvSH_,"axG",@progbits,_ZN7rocprim17ROCPRIM_400000_NS6detail17trampoline_kernelINS0_13kernel_configILj256ELj4ELj4294967295EEENS1_37radix_sort_block_sort_config_selectorIyyEEZNS1_21radix_sort_block_sortIS4_Lb0EN6thrust23THRUST_200600_302600_NS6detail15normal_iteratorINS9_10device_ptrIyEEEESE_SE_SE_NS0_19identity_decomposerEEE10hipError_tT1_T2_T3_T4_jRjT5_jjP12ihipStream_tbEUlT_E_NS1_11comp_targetILNS1_3genE0ELNS1_11target_archE4294967295ELNS1_3gpuE0ELNS1_3repE0EEENS1_44radix_sort_block_sort_config_static_selectorELNS0_4arch9wavefront6targetE1EEEvSH_,comdat
.Lfunc_end378:
	.size	_ZN7rocprim17ROCPRIM_400000_NS6detail17trampoline_kernelINS0_13kernel_configILj256ELj4ELj4294967295EEENS1_37radix_sort_block_sort_config_selectorIyyEEZNS1_21radix_sort_block_sortIS4_Lb0EN6thrust23THRUST_200600_302600_NS6detail15normal_iteratorINS9_10device_ptrIyEEEESE_SE_SE_NS0_19identity_decomposerEEE10hipError_tT1_T2_T3_T4_jRjT5_jjP12ihipStream_tbEUlT_E_NS1_11comp_targetILNS1_3genE0ELNS1_11target_archE4294967295ELNS1_3gpuE0ELNS1_3repE0EEENS1_44radix_sort_block_sort_config_static_selectorELNS0_4arch9wavefront6targetE1EEEvSH_, .Lfunc_end378-_ZN7rocprim17ROCPRIM_400000_NS6detail17trampoline_kernelINS0_13kernel_configILj256ELj4ELj4294967295EEENS1_37radix_sort_block_sort_config_selectorIyyEEZNS1_21radix_sort_block_sortIS4_Lb0EN6thrust23THRUST_200600_302600_NS6detail15normal_iteratorINS9_10device_ptrIyEEEESE_SE_SE_NS0_19identity_decomposerEEE10hipError_tT1_T2_T3_T4_jRjT5_jjP12ihipStream_tbEUlT_E_NS1_11comp_targetILNS1_3genE0ELNS1_11target_archE4294967295ELNS1_3gpuE0ELNS1_3repE0EEENS1_44radix_sort_block_sort_config_static_selectorELNS0_4arch9wavefront6targetE1EEEvSH_
                                        ; -- End function
	.set _ZN7rocprim17ROCPRIM_400000_NS6detail17trampoline_kernelINS0_13kernel_configILj256ELj4ELj4294967295EEENS1_37radix_sort_block_sort_config_selectorIyyEEZNS1_21radix_sort_block_sortIS4_Lb0EN6thrust23THRUST_200600_302600_NS6detail15normal_iteratorINS9_10device_ptrIyEEEESE_SE_SE_NS0_19identity_decomposerEEE10hipError_tT1_T2_T3_T4_jRjT5_jjP12ihipStream_tbEUlT_E_NS1_11comp_targetILNS1_3genE0ELNS1_11target_archE4294967295ELNS1_3gpuE0ELNS1_3repE0EEENS1_44radix_sort_block_sort_config_static_selectorELNS0_4arch9wavefront6targetE1EEEvSH_.num_vgpr, 52
	.set _ZN7rocprim17ROCPRIM_400000_NS6detail17trampoline_kernelINS0_13kernel_configILj256ELj4ELj4294967295EEENS1_37radix_sort_block_sort_config_selectorIyyEEZNS1_21radix_sort_block_sortIS4_Lb0EN6thrust23THRUST_200600_302600_NS6detail15normal_iteratorINS9_10device_ptrIyEEEESE_SE_SE_NS0_19identity_decomposerEEE10hipError_tT1_T2_T3_T4_jRjT5_jjP12ihipStream_tbEUlT_E_NS1_11comp_targetILNS1_3genE0ELNS1_11target_archE4294967295ELNS1_3gpuE0ELNS1_3repE0EEENS1_44radix_sort_block_sort_config_static_selectorELNS0_4arch9wavefront6targetE1EEEvSH_.num_agpr, 0
	.set _ZN7rocprim17ROCPRIM_400000_NS6detail17trampoline_kernelINS0_13kernel_configILj256ELj4ELj4294967295EEENS1_37radix_sort_block_sort_config_selectorIyyEEZNS1_21radix_sort_block_sortIS4_Lb0EN6thrust23THRUST_200600_302600_NS6detail15normal_iteratorINS9_10device_ptrIyEEEESE_SE_SE_NS0_19identity_decomposerEEE10hipError_tT1_T2_T3_T4_jRjT5_jjP12ihipStream_tbEUlT_E_NS1_11comp_targetILNS1_3genE0ELNS1_11target_archE4294967295ELNS1_3gpuE0ELNS1_3repE0EEENS1_44radix_sort_block_sort_config_static_selectorELNS0_4arch9wavefront6targetE1EEEvSH_.numbered_sgpr, 46
	.set _ZN7rocprim17ROCPRIM_400000_NS6detail17trampoline_kernelINS0_13kernel_configILj256ELj4ELj4294967295EEENS1_37radix_sort_block_sort_config_selectorIyyEEZNS1_21radix_sort_block_sortIS4_Lb0EN6thrust23THRUST_200600_302600_NS6detail15normal_iteratorINS9_10device_ptrIyEEEESE_SE_SE_NS0_19identity_decomposerEEE10hipError_tT1_T2_T3_T4_jRjT5_jjP12ihipStream_tbEUlT_E_NS1_11comp_targetILNS1_3genE0ELNS1_11target_archE4294967295ELNS1_3gpuE0ELNS1_3repE0EEENS1_44radix_sort_block_sort_config_static_selectorELNS0_4arch9wavefront6targetE1EEEvSH_.num_named_barrier, 0
	.set _ZN7rocprim17ROCPRIM_400000_NS6detail17trampoline_kernelINS0_13kernel_configILj256ELj4ELj4294967295EEENS1_37radix_sort_block_sort_config_selectorIyyEEZNS1_21radix_sort_block_sortIS4_Lb0EN6thrust23THRUST_200600_302600_NS6detail15normal_iteratorINS9_10device_ptrIyEEEESE_SE_SE_NS0_19identity_decomposerEEE10hipError_tT1_T2_T3_T4_jRjT5_jjP12ihipStream_tbEUlT_E_NS1_11comp_targetILNS1_3genE0ELNS1_11target_archE4294967295ELNS1_3gpuE0ELNS1_3repE0EEENS1_44radix_sort_block_sort_config_static_selectorELNS0_4arch9wavefront6targetE1EEEvSH_.private_seg_size, 0
	.set _ZN7rocprim17ROCPRIM_400000_NS6detail17trampoline_kernelINS0_13kernel_configILj256ELj4ELj4294967295EEENS1_37radix_sort_block_sort_config_selectorIyyEEZNS1_21radix_sort_block_sortIS4_Lb0EN6thrust23THRUST_200600_302600_NS6detail15normal_iteratorINS9_10device_ptrIyEEEESE_SE_SE_NS0_19identity_decomposerEEE10hipError_tT1_T2_T3_T4_jRjT5_jjP12ihipStream_tbEUlT_E_NS1_11comp_targetILNS1_3genE0ELNS1_11target_archE4294967295ELNS1_3gpuE0ELNS1_3repE0EEENS1_44radix_sort_block_sort_config_static_selectorELNS0_4arch9wavefront6targetE1EEEvSH_.uses_vcc, 1
	.set _ZN7rocprim17ROCPRIM_400000_NS6detail17trampoline_kernelINS0_13kernel_configILj256ELj4ELj4294967295EEENS1_37radix_sort_block_sort_config_selectorIyyEEZNS1_21radix_sort_block_sortIS4_Lb0EN6thrust23THRUST_200600_302600_NS6detail15normal_iteratorINS9_10device_ptrIyEEEESE_SE_SE_NS0_19identity_decomposerEEE10hipError_tT1_T2_T3_T4_jRjT5_jjP12ihipStream_tbEUlT_E_NS1_11comp_targetILNS1_3genE0ELNS1_11target_archE4294967295ELNS1_3gpuE0ELNS1_3repE0EEENS1_44radix_sort_block_sort_config_static_selectorELNS0_4arch9wavefront6targetE1EEEvSH_.uses_flat_scratch, 0
	.set _ZN7rocprim17ROCPRIM_400000_NS6detail17trampoline_kernelINS0_13kernel_configILj256ELj4ELj4294967295EEENS1_37radix_sort_block_sort_config_selectorIyyEEZNS1_21radix_sort_block_sortIS4_Lb0EN6thrust23THRUST_200600_302600_NS6detail15normal_iteratorINS9_10device_ptrIyEEEESE_SE_SE_NS0_19identity_decomposerEEE10hipError_tT1_T2_T3_T4_jRjT5_jjP12ihipStream_tbEUlT_E_NS1_11comp_targetILNS1_3genE0ELNS1_11target_archE4294967295ELNS1_3gpuE0ELNS1_3repE0EEENS1_44radix_sort_block_sort_config_static_selectorELNS0_4arch9wavefront6targetE1EEEvSH_.has_dyn_sized_stack, 0
	.set _ZN7rocprim17ROCPRIM_400000_NS6detail17trampoline_kernelINS0_13kernel_configILj256ELj4ELj4294967295EEENS1_37radix_sort_block_sort_config_selectorIyyEEZNS1_21radix_sort_block_sortIS4_Lb0EN6thrust23THRUST_200600_302600_NS6detail15normal_iteratorINS9_10device_ptrIyEEEESE_SE_SE_NS0_19identity_decomposerEEE10hipError_tT1_T2_T3_T4_jRjT5_jjP12ihipStream_tbEUlT_E_NS1_11comp_targetILNS1_3genE0ELNS1_11target_archE4294967295ELNS1_3gpuE0ELNS1_3repE0EEENS1_44radix_sort_block_sort_config_static_selectorELNS0_4arch9wavefront6targetE1EEEvSH_.has_recursion, 0
	.set _ZN7rocprim17ROCPRIM_400000_NS6detail17trampoline_kernelINS0_13kernel_configILj256ELj4ELj4294967295EEENS1_37radix_sort_block_sort_config_selectorIyyEEZNS1_21radix_sort_block_sortIS4_Lb0EN6thrust23THRUST_200600_302600_NS6detail15normal_iteratorINS9_10device_ptrIyEEEESE_SE_SE_NS0_19identity_decomposerEEE10hipError_tT1_T2_T3_T4_jRjT5_jjP12ihipStream_tbEUlT_E_NS1_11comp_targetILNS1_3genE0ELNS1_11target_archE4294967295ELNS1_3gpuE0ELNS1_3repE0EEENS1_44radix_sort_block_sort_config_static_selectorELNS0_4arch9wavefront6targetE1EEEvSH_.has_indirect_call, 0
	.section	.AMDGPU.csdata,"",@progbits
; Kernel info:
; codeLenInByte = 3912
; TotalNumSgprs: 52
; NumVgprs: 52
; NumAgprs: 0
; TotalNumVgprs: 52
; ScratchSize: 0
; MemoryBound: 1
; FloatMode: 240
; IeeeMode: 1
; LDSByteSize: 8192 bytes/workgroup (compile time only)
; SGPRBlocks: 6
; VGPRBlocks: 6
; NumSGPRsForWavesPerEU: 52
; NumVGPRsForWavesPerEU: 52
; AccumOffset: 52
; Occupancy: 8
; WaveLimiterHint : 1
; COMPUTE_PGM_RSRC2:SCRATCH_EN: 0
; COMPUTE_PGM_RSRC2:USER_SGPR: 2
; COMPUTE_PGM_RSRC2:TRAP_HANDLER: 0
; COMPUTE_PGM_RSRC2:TGID_X_EN: 1
; COMPUTE_PGM_RSRC2:TGID_Y_EN: 0
; COMPUTE_PGM_RSRC2:TGID_Z_EN: 0
; COMPUTE_PGM_RSRC2:TIDIG_COMP_CNT: 2
; COMPUTE_PGM_RSRC3_GFX90A:ACCUM_OFFSET: 12
; COMPUTE_PGM_RSRC3_GFX90A:TG_SPLIT: 0
	.section	.text._ZN7rocprim17ROCPRIM_400000_NS6detail17trampoline_kernelINS0_13kernel_configILj256ELj4ELj4294967295EEENS1_37radix_sort_block_sort_config_selectorIyyEEZNS1_21radix_sort_block_sortIS4_Lb0EN6thrust23THRUST_200600_302600_NS6detail15normal_iteratorINS9_10device_ptrIyEEEESE_SE_SE_NS0_19identity_decomposerEEE10hipError_tT1_T2_T3_T4_jRjT5_jjP12ihipStream_tbEUlT_E_NS1_11comp_targetILNS1_3genE5ELNS1_11target_archE942ELNS1_3gpuE9ELNS1_3repE0EEENS1_44radix_sort_block_sort_config_static_selectorELNS0_4arch9wavefront6targetE1EEEvSH_,"axG",@progbits,_ZN7rocprim17ROCPRIM_400000_NS6detail17trampoline_kernelINS0_13kernel_configILj256ELj4ELj4294967295EEENS1_37radix_sort_block_sort_config_selectorIyyEEZNS1_21radix_sort_block_sortIS4_Lb0EN6thrust23THRUST_200600_302600_NS6detail15normal_iteratorINS9_10device_ptrIyEEEESE_SE_SE_NS0_19identity_decomposerEEE10hipError_tT1_T2_T3_T4_jRjT5_jjP12ihipStream_tbEUlT_E_NS1_11comp_targetILNS1_3genE5ELNS1_11target_archE942ELNS1_3gpuE9ELNS1_3repE0EEENS1_44radix_sort_block_sort_config_static_selectorELNS0_4arch9wavefront6targetE1EEEvSH_,comdat
	.protected	_ZN7rocprim17ROCPRIM_400000_NS6detail17trampoline_kernelINS0_13kernel_configILj256ELj4ELj4294967295EEENS1_37radix_sort_block_sort_config_selectorIyyEEZNS1_21radix_sort_block_sortIS4_Lb0EN6thrust23THRUST_200600_302600_NS6detail15normal_iteratorINS9_10device_ptrIyEEEESE_SE_SE_NS0_19identity_decomposerEEE10hipError_tT1_T2_T3_T4_jRjT5_jjP12ihipStream_tbEUlT_E_NS1_11comp_targetILNS1_3genE5ELNS1_11target_archE942ELNS1_3gpuE9ELNS1_3repE0EEENS1_44radix_sort_block_sort_config_static_selectorELNS0_4arch9wavefront6targetE1EEEvSH_ ; -- Begin function _ZN7rocprim17ROCPRIM_400000_NS6detail17trampoline_kernelINS0_13kernel_configILj256ELj4ELj4294967295EEENS1_37radix_sort_block_sort_config_selectorIyyEEZNS1_21radix_sort_block_sortIS4_Lb0EN6thrust23THRUST_200600_302600_NS6detail15normal_iteratorINS9_10device_ptrIyEEEESE_SE_SE_NS0_19identity_decomposerEEE10hipError_tT1_T2_T3_T4_jRjT5_jjP12ihipStream_tbEUlT_E_NS1_11comp_targetILNS1_3genE5ELNS1_11target_archE942ELNS1_3gpuE9ELNS1_3repE0EEENS1_44radix_sort_block_sort_config_static_selectorELNS0_4arch9wavefront6targetE1EEEvSH_
	.globl	_ZN7rocprim17ROCPRIM_400000_NS6detail17trampoline_kernelINS0_13kernel_configILj256ELj4ELj4294967295EEENS1_37radix_sort_block_sort_config_selectorIyyEEZNS1_21radix_sort_block_sortIS4_Lb0EN6thrust23THRUST_200600_302600_NS6detail15normal_iteratorINS9_10device_ptrIyEEEESE_SE_SE_NS0_19identity_decomposerEEE10hipError_tT1_T2_T3_T4_jRjT5_jjP12ihipStream_tbEUlT_E_NS1_11comp_targetILNS1_3genE5ELNS1_11target_archE942ELNS1_3gpuE9ELNS1_3repE0EEENS1_44radix_sort_block_sort_config_static_selectorELNS0_4arch9wavefront6targetE1EEEvSH_
	.p2align	8
	.type	_ZN7rocprim17ROCPRIM_400000_NS6detail17trampoline_kernelINS0_13kernel_configILj256ELj4ELj4294967295EEENS1_37radix_sort_block_sort_config_selectorIyyEEZNS1_21radix_sort_block_sortIS4_Lb0EN6thrust23THRUST_200600_302600_NS6detail15normal_iteratorINS9_10device_ptrIyEEEESE_SE_SE_NS0_19identity_decomposerEEE10hipError_tT1_T2_T3_T4_jRjT5_jjP12ihipStream_tbEUlT_E_NS1_11comp_targetILNS1_3genE5ELNS1_11target_archE942ELNS1_3gpuE9ELNS1_3repE0EEENS1_44radix_sort_block_sort_config_static_selectorELNS0_4arch9wavefront6targetE1EEEvSH_,@function
_ZN7rocprim17ROCPRIM_400000_NS6detail17trampoline_kernelINS0_13kernel_configILj256ELj4ELj4294967295EEENS1_37radix_sort_block_sort_config_selectorIyyEEZNS1_21radix_sort_block_sortIS4_Lb0EN6thrust23THRUST_200600_302600_NS6detail15normal_iteratorINS9_10device_ptrIyEEEESE_SE_SE_NS0_19identity_decomposerEEE10hipError_tT1_T2_T3_T4_jRjT5_jjP12ihipStream_tbEUlT_E_NS1_11comp_targetILNS1_3genE5ELNS1_11target_archE942ELNS1_3gpuE9ELNS1_3repE0EEENS1_44radix_sort_block_sort_config_static_selectorELNS0_4arch9wavefront6targetE1EEEvSH_: ; @_ZN7rocprim17ROCPRIM_400000_NS6detail17trampoline_kernelINS0_13kernel_configILj256ELj4ELj4294967295EEENS1_37radix_sort_block_sort_config_selectorIyyEEZNS1_21radix_sort_block_sortIS4_Lb0EN6thrust23THRUST_200600_302600_NS6detail15normal_iteratorINS9_10device_ptrIyEEEESE_SE_SE_NS0_19identity_decomposerEEE10hipError_tT1_T2_T3_T4_jRjT5_jjP12ihipStream_tbEUlT_E_NS1_11comp_targetILNS1_3genE5ELNS1_11target_archE942ELNS1_3gpuE9ELNS1_3repE0EEENS1_44radix_sort_block_sort_config_static_selectorELNS0_4arch9wavefront6targetE1EEEvSH_
; %bb.0:
	.section	.rodata,"a",@progbits
	.p2align	6, 0x0
	.amdhsa_kernel _ZN7rocprim17ROCPRIM_400000_NS6detail17trampoline_kernelINS0_13kernel_configILj256ELj4ELj4294967295EEENS1_37radix_sort_block_sort_config_selectorIyyEEZNS1_21radix_sort_block_sortIS4_Lb0EN6thrust23THRUST_200600_302600_NS6detail15normal_iteratorINS9_10device_ptrIyEEEESE_SE_SE_NS0_19identity_decomposerEEE10hipError_tT1_T2_T3_T4_jRjT5_jjP12ihipStream_tbEUlT_E_NS1_11comp_targetILNS1_3genE5ELNS1_11target_archE942ELNS1_3gpuE9ELNS1_3repE0EEENS1_44radix_sort_block_sort_config_static_selectorELNS0_4arch9wavefront6targetE1EEEvSH_
		.amdhsa_group_segment_fixed_size 0
		.amdhsa_private_segment_fixed_size 0
		.amdhsa_kernarg_size 48
		.amdhsa_user_sgpr_count 2
		.amdhsa_user_sgpr_dispatch_ptr 0
		.amdhsa_user_sgpr_queue_ptr 0
		.amdhsa_user_sgpr_kernarg_segment_ptr 1
		.amdhsa_user_sgpr_dispatch_id 0
		.amdhsa_user_sgpr_kernarg_preload_length 0
		.amdhsa_user_sgpr_kernarg_preload_offset 0
		.amdhsa_user_sgpr_private_segment_size 0
		.amdhsa_uses_dynamic_stack 0
		.amdhsa_enable_private_segment 0
		.amdhsa_system_sgpr_workgroup_id_x 1
		.amdhsa_system_sgpr_workgroup_id_y 0
		.amdhsa_system_sgpr_workgroup_id_z 0
		.amdhsa_system_sgpr_workgroup_info 0
		.amdhsa_system_vgpr_workitem_id 0
		.amdhsa_next_free_vgpr 1
		.amdhsa_next_free_sgpr 0
		.amdhsa_accum_offset 4
		.amdhsa_reserve_vcc 0
		.amdhsa_float_round_mode_32 0
		.amdhsa_float_round_mode_16_64 0
		.amdhsa_float_denorm_mode_32 3
		.amdhsa_float_denorm_mode_16_64 3
		.amdhsa_dx10_clamp 1
		.amdhsa_ieee_mode 1
		.amdhsa_fp16_overflow 0
		.amdhsa_tg_split 0
		.amdhsa_exception_fp_ieee_invalid_op 0
		.amdhsa_exception_fp_denorm_src 0
		.amdhsa_exception_fp_ieee_div_zero 0
		.amdhsa_exception_fp_ieee_overflow 0
		.amdhsa_exception_fp_ieee_underflow 0
		.amdhsa_exception_fp_ieee_inexact 0
		.amdhsa_exception_int_div_zero 0
	.end_amdhsa_kernel
	.section	.text._ZN7rocprim17ROCPRIM_400000_NS6detail17trampoline_kernelINS0_13kernel_configILj256ELj4ELj4294967295EEENS1_37radix_sort_block_sort_config_selectorIyyEEZNS1_21radix_sort_block_sortIS4_Lb0EN6thrust23THRUST_200600_302600_NS6detail15normal_iteratorINS9_10device_ptrIyEEEESE_SE_SE_NS0_19identity_decomposerEEE10hipError_tT1_T2_T3_T4_jRjT5_jjP12ihipStream_tbEUlT_E_NS1_11comp_targetILNS1_3genE5ELNS1_11target_archE942ELNS1_3gpuE9ELNS1_3repE0EEENS1_44radix_sort_block_sort_config_static_selectorELNS0_4arch9wavefront6targetE1EEEvSH_,"axG",@progbits,_ZN7rocprim17ROCPRIM_400000_NS6detail17trampoline_kernelINS0_13kernel_configILj256ELj4ELj4294967295EEENS1_37radix_sort_block_sort_config_selectorIyyEEZNS1_21radix_sort_block_sortIS4_Lb0EN6thrust23THRUST_200600_302600_NS6detail15normal_iteratorINS9_10device_ptrIyEEEESE_SE_SE_NS0_19identity_decomposerEEE10hipError_tT1_T2_T3_T4_jRjT5_jjP12ihipStream_tbEUlT_E_NS1_11comp_targetILNS1_3genE5ELNS1_11target_archE942ELNS1_3gpuE9ELNS1_3repE0EEENS1_44radix_sort_block_sort_config_static_selectorELNS0_4arch9wavefront6targetE1EEEvSH_,comdat
.Lfunc_end379:
	.size	_ZN7rocprim17ROCPRIM_400000_NS6detail17trampoline_kernelINS0_13kernel_configILj256ELj4ELj4294967295EEENS1_37radix_sort_block_sort_config_selectorIyyEEZNS1_21radix_sort_block_sortIS4_Lb0EN6thrust23THRUST_200600_302600_NS6detail15normal_iteratorINS9_10device_ptrIyEEEESE_SE_SE_NS0_19identity_decomposerEEE10hipError_tT1_T2_T3_T4_jRjT5_jjP12ihipStream_tbEUlT_E_NS1_11comp_targetILNS1_3genE5ELNS1_11target_archE942ELNS1_3gpuE9ELNS1_3repE0EEENS1_44radix_sort_block_sort_config_static_selectorELNS0_4arch9wavefront6targetE1EEEvSH_, .Lfunc_end379-_ZN7rocprim17ROCPRIM_400000_NS6detail17trampoline_kernelINS0_13kernel_configILj256ELj4ELj4294967295EEENS1_37radix_sort_block_sort_config_selectorIyyEEZNS1_21radix_sort_block_sortIS4_Lb0EN6thrust23THRUST_200600_302600_NS6detail15normal_iteratorINS9_10device_ptrIyEEEESE_SE_SE_NS0_19identity_decomposerEEE10hipError_tT1_T2_T3_T4_jRjT5_jjP12ihipStream_tbEUlT_E_NS1_11comp_targetILNS1_3genE5ELNS1_11target_archE942ELNS1_3gpuE9ELNS1_3repE0EEENS1_44radix_sort_block_sort_config_static_selectorELNS0_4arch9wavefront6targetE1EEEvSH_
                                        ; -- End function
	.set _ZN7rocprim17ROCPRIM_400000_NS6detail17trampoline_kernelINS0_13kernel_configILj256ELj4ELj4294967295EEENS1_37radix_sort_block_sort_config_selectorIyyEEZNS1_21radix_sort_block_sortIS4_Lb0EN6thrust23THRUST_200600_302600_NS6detail15normal_iteratorINS9_10device_ptrIyEEEESE_SE_SE_NS0_19identity_decomposerEEE10hipError_tT1_T2_T3_T4_jRjT5_jjP12ihipStream_tbEUlT_E_NS1_11comp_targetILNS1_3genE5ELNS1_11target_archE942ELNS1_3gpuE9ELNS1_3repE0EEENS1_44radix_sort_block_sort_config_static_selectorELNS0_4arch9wavefront6targetE1EEEvSH_.num_vgpr, 0
	.set _ZN7rocprim17ROCPRIM_400000_NS6detail17trampoline_kernelINS0_13kernel_configILj256ELj4ELj4294967295EEENS1_37radix_sort_block_sort_config_selectorIyyEEZNS1_21radix_sort_block_sortIS4_Lb0EN6thrust23THRUST_200600_302600_NS6detail15normal_iteratorINS9_10device_ptrIyEEEESE_SE_SE_NS0_19identity_decomposerEEE10hipError_tT1_T2_T3_T4_jRjT5_jjP12ihipStream_tbEUlT_E_NS1_11comp_targetILNS1_3genE5ELNS1_11target_archE942ELNS1_3gpuE9ELNS1_3repE0EEENS1_44radix_sort_block_sort_config_static_selectorELNS0_4arch9wavefront6targetE1EEEvSH_.num_agpr, 0
	.set _ZN7rocprim17ROCPRIM_400000_NS6detail17trampoline_kernelINS0_13kernel_configILj256ELj4ELj4294967295EEENS1_37radix_sort_block_sort_config_selectorIyyEEZNS1_21radix_sort_block_sortIS4_Lb0EN6thrust23THRUST_200600_302600_NS6detail15normal_iteratorINS9_10device_ptrIyEEEESE_SE_SE_NS0_19identity_decomposerEEE10hipError_tT1_T2_T3_T4_jRjT5_jjP12ihipStream_tbEUlT_E_NS1_11comp_targetILNS1_3genE5ELNS1_11target_archE942ELNS1_3gpuE9ELNS1_3repE0EEENS1_44radix_sort_block_sort_config_static_selectorELNS0_4arch9wavefront6targetE1EEEvSH_.numbered_sgpr, 0
	.set _ZN7rocprim17ROCPRIM_400000_NS6detail17trampoline_kernelINS0_13kernel_configILj256ELj4ELj4294967295EEENS1_37radix_sort_block_sort_config_selectorIyyEEZNS1_21radix_sort_block_sortIS4_Lb0EN6thrust23THRUST_200600_302600_NS6detail15normal_iteratorINS9_10device_ptrIyEEEESE_SE_SE_NS0_19identity_decomposerEEE10hipError_tT1_T2_T3_T4_jRjT5_jjP12ihipStream_tbEUlT_E_NS1_11comp_targetILNS1_3genE5ELNS1_11target_archE942ELNS1_3gpuE9ELNS1_3repE0EEENS1_44radix_sort_block_sort_config_static_selectorELNS0_4arch9wavefront6targetE1EEEvSH_.num_named_barrier, 0
	.set _ZN7rocprim17ROCPRIM_400000_NS6detail17trampoline_kernelINS0_13kernel_configILj256ELj4ELj4294967295EEENS1_37radix_sort_block_sort_config_selectorIyyEEZNS1_21radix_sort_block_sortIS4_Lb0EN6thrust23THRUST_200600_302600_NS6detail15normal_iteratorINS9_10device_ptrIyEEEESE_SE_SE_NS0_19identity_decomposerEEE10hipError_tT1_T2_T3_T4_jRjT5_jjP12ihipStream_tbEUlT_E_NS1_11comp_targetILNS1_3genE5ELNS1_11target_archE942ELNS1_3gpuE9ELNS1_3repE0EEENS1_44radix_sort_block_sort_config_static_selectorELNS0_4arch9wavefront6targetE1EEEvSH_.private_seg_size, 0
	.set _ZN7rocprim17ROCPRIM_400000_NS6detail17trampoline_kernelINS0_13kernel_configILj256ELj4ELj4294967295EEENS1_37radix_sort_block_sort_config_selectorIyyEEZNS1_21radix_sort_block_sortIS4_Lb0EN6thrust23THRUST_200600_302600_NS6detail15normal_iteratorINS9_10device_ptrIyEEEESE_SE_SE_NS0_19identity_decomposerEEE10hipError_tT1_T2_T3_T4_jRjT5_jjP12ihipStream_tbEUlT_E_NS1_11comp_targetILNS1_3genE5ELNS1_11target_archE942ELNS1_3gpuE9ELNS1_3repE0EEENS1_44radix_sort_block_sort_config_static_selectorELNS0_4arch9wavefront6targetE1EEEvSH_.uses_vcc, 0
	.set _ZN7rocprim17ROCPRIM_400000_NS6detail17trampoline_kernelINS0_13kernel_configILj256ELj4ELj4294967295EEENS1_37radix_sort_block_sort_config_selectorIyyEEZNS1_21radix_sort_block_sortIS4_Lb0EN6thrust23THRUST_200600_302600_NS6detail15normal_iteratorINS9_10device_ptrIyEEEESE_SE_SE_NS0_19identity_decomposerEEE10hipError_tT1_T2_T3_T4_jRjT5_jjP12ihipStream_tbEUlT_E_NS1_11comp_targetILNS1_3genE5ELNS1_11target_archE942ELNS1_3gpuE9ELNS1_3repE0EEENS1_44radix_sort_block_sort_config_static_selectorELNS0_4arch9wavefront6targetE1EEEvSH_.uses_flat_scratch, 0
	.set _ZN7rocprim17ROCPRIM_400000_NS6detail17trampoline_kernelINS0_13kernel_configILj256ELj4ELj4294967295EEENS1_37radix_sort_block_sort_config_selectorIyyEEZNS1_21radix_sort_block_sortIS4_Lb0EN6thrust23THRUST_200600_302600_NS6detail15normal_iteratorINS9_10device_ptrIyEEEESE_SE_SE_NS0_19identity_decomposerEEE10hipError_tT1_T2_T3_T4_jRjT5_jjP12ihipStream_tbEUlT_E_NS1_11comp_targetILNS1_3genE5ELNS1_11target_archE942ELNS1_3gpuE9ELNS1_3repE0EEENS1_44radix_sort_block_sort_config_static_selectorELNS0_4arch9wavefront6targetE1EEEvSH_.has_dyn_sized_stack, 0
	.set _ZN7rocprim17ROCPRIM_400000_NS6detail17trampoline_kernelINS0_13kernel_configILj256ELj4ELj4294967295EEENS1_37radix_sort_block_sort_config_selectorIyyEEZNS1_21radix_sort_block_sortIS4_Lb0EN6thrust23THRUST_200600_302600_NS6detail15normal_iteratorINS9_10device_ptrIyEEEESE_SE_SE_NS0_19identity_decomposerEEE10hipError_tT1_T2_T3_T4_jRjT5_jjP12ihipStream_tbEUlT_E_NS1_11comp_targetILNS1_3genE5ELNS1_11target_archE942ELNS1_3gpuE9ELNS1_3repE0EEENS1_44radix_sort_block_sort_config_static_selectorELNS0_4arch9wavefront6targetE1EEEvSH_.has_recursion, 0
	.set _ZN7rocprim17ROCPRIM_400000_NS6detail17trampoline_kernelINS0_13kernel_configILj256ELj4ELj4294967295EEENS1_37radix_sort_block_sort_config_selectorIyyEEZNS1_21radix_sort_block_sortIS4_Lb0EN6thrust23THRUST_200600_302600_NS6detail15normal_iteratorINS9_10device_ptrIyEEEESE_SE_SE_NS0_19identity_decomposerEEE10hipError_tT1_T2_T3_T4_jRjT5_jjP12ihipStream_tbEUlT_E_NS1_11comp_targetILNS1_3genE5ELNS1_11target_archE942ELNS1_3gpuE9ELNS1_3repE0EEENS1_44radix_sort_block_sort_config_static_selectorELNS0_4arch9wavefront6targetE1EEEvSH_.has_indirect_call, 0
	.section	.AMDGPU.csdata,"",@progbits
; Kernel info:
; codeLenInByte = 0
; TotalNumSgprs: 6
; NumVgprs: 0
; NumAgprs: 0
; TotalNumVgprs: 0
; ScratchSize: 0
; MemoryBound: 0
; FloatMode: 240
; IeeeMode: 1
; LDSByteSize: 0 bytes/workgroup (compile time only)
; SGPRBlocks: 0
; VGPRBlocks: 0
; NumSGPRsForWavesPerEU: 6
; NumVGPRsForWavesPerEU: 1
; AccumOffset: 4
; Occupancy: 8
; WaveLimiterHint : 0
; COMPUTE_PGM_RSRC2:SCRATCH_EN: 0
; COMPUTE_PGM_RSRC2:USER_SGPR: 2
; COMPUTE_PGM_RSRC2:TRAP_HANDLER: 0
; COMPUTE_PGM_RSRC2:TGID_X_EN: 1
; COMPUTE_PGM_RSRC2:TGID_Y_EN: 0
; COMPUTE_PGM_RSRC2:TGID_Z_EN: 0
; COMPUTE_PGM_RSRC2:TIDIG_COMP_CNT: 0
; COMPUTE_PGM_RSRC3_GFX90A:ACCUM_OFFSET: 0
; COMPUTE_PGM_RSRC3_GFX90A:TG_SPLIT: 0
	.section	.text._ZN7rocprim17ROCPRIM_400000_NS6detail17trampoline_kernelINS0_13kernel_configILj256ELj4ELj4294967295EEENS1_37radix_sort_block_sort_config_selectorIyyEEZNS1_21radix_sort_block_sortIS4_Lb0EN6thrust23THRUST_200600_302600_NS6detail15normal_iteratorINS9_10device_ptrIyEEEESE_SE_SE_NS0_19identity_decomposerEEE10hipError_tT1_T2_T3_T4_jRjT5_jjP12ihipStream_tbEUlT_E_NS1_11comp_targetILNS1_3genE4ELNS1_11target_archE910ELNS1_3gpuE8ELNS1_3repE0EEENS1_44radix_sort_block_sort_config_static_selectorELNS0_4arch9wavefront6targetE1EEEvSH_,"axG",@progbits,_ZN7rocprim17ROCPRIM_400000_NS6detail17trampoline_kernelINS0_13kernel_configILj256ELj4ELj4294967295EEENS1_37radix_sort_block_sort_config_selectorIyyEEZNS1_21radix_sort_block_sortIS4_Lb0EN6thrust23THRUST_200600_302600_NS6detail15normal_iteratorINS9_10device_ptrIyEEEESE_SE_SE_NS0_19identity_decomposerEEE10hipError_tT1_T2_T3_T4_jRjT5_jjP12ihipStream_tbEUlT_E_NS1_11comp_targetILNS1_3genE4ELNS1_11target_archE910ELNS1_3gpuE8ELNS1_3repE0EEENS1_44radix_sort_block_sort_config_static_selectorELNS0_4arch9wavefront6targetE1EEEvSH_,comdat
	.protected	_ZN7rocprim17ROCPRIM_400000_NS6detail17trampoline_kernelINS0_13kernel_configILj256ELj4ELj4294967295EEENS1_37radix_sort_block_sort_config_selectorIyyEEZNS1_21radix_sort_block_sortIS4_Lb0EN6thrust23THRUST_200600_302600_NS6detail15normal_iteratorINS9_10device_ptrIyEEEESE_SE_SE_NS0_19identity_decomposerEEE10hipError_tT1_T2_T3_T4_jRjT5_jjP12ihipStream_tbEUlT_E_NS1_11comp_targetILNS1_3genE4ELNS1_11target_archE910ELNS1_3gpuE8ELNS1_3repE0EEENS1_44radix_sort_block_sort_config_static_selectorELNS0_4arch9wavefront6targetE1EEEvSH_ ; -- Begin function _ZN7rocprim17ROCPRIM_400000_NS6detail17trampoline_kernelINS0_13kernel_configILj256ELj4ELj4294967295EEENS1_37radix_sort_block_sort_config_selectorIyyEEZNS1_21radix_sort_block_sortIS4_Lb0EN6thrust23THRUST_200600_302600_NS6detail15normal_iteratorINS9_10device_ptrIyEEEESE_SE_SE_NS0_19identity_decomposerEEE10hipError_tT1_T2_T3_T4_jRjT5_jjP12ihipStream_tbEUlT_E_NS1_11comp_targetILNS1_3genE4ELNS1_11target_archE910ELNS1_3gpuE8ELNS1_3repE0EEENS1_44radix_sort_block_sort_config_static_selectorELNS0_4arch9wavefront6targetE1EEEvSH_
	.globl	_ZN7rocprim17ROCPRIM_400000_NS6detail17trampoline_kernelINS0_13kernel_configILj256ELj4ELj4294967295EEENS1_37radix_sort_block_sort_config_selectorIyyEEZNS1_21radix_sort_block_sortIS4_Lb0EN6thrust23THRUST_200600_302600_NS6detail15normal_iteratorINS9_10device_ptrIyEEEESE_SE_SE_NS0_19identity_decomposerEEE10hipError_tT1_T2_T3_T4_jRjT5_jjP12ihipStream_tbEUlT_E_NS1_11comp_targetILNS1_3genE4ELNS1_11target_archE910ELNS1_3gpuE8ELNS1_3repE0EEENS1_44radix_sort_block_sort_config_static_selectorELNS0_4arch9wavefront6targetE1EEEvSH_
	.p2align	8
	.type	_ZN7rocprim17ROCPRIM_400000_NS6detail17trampoline_kernelINS0_13kernel_configILj256ELj4ELj4294967295EEENS1_37radix_sort_block_sort_config_selectorIyyEEZNS1_21radix_sort_block_sortIS4_Lb0EN6thrust23THRUST_200600_302600_NS6detail15normal_iteratorINS9_10device_ptrIyEEEESE_SE_SE_NS0_19identity_decomposerEEE10hipError_tT1_T2_T3_T4_jRjT5_jjP12ihipStream_tbEUlT_E_NS1_11comp_targetILNS1_3genE4ELNS1_11target_archE910ELNS1_3gpuE8ELNS1_3repE0EEENS1_44radix_sort_block_sort_config_static_selectorELNS0_4arch9wavefront6targetE1EEEvSH_,@function
_ZN7rocprim17ROCPRIM_400000_NS6detail17trampoline_kernelINS0_13kernel_configILj256ELj4ELj4294967295EEENS1_37radix_sort_block_sort_config_selectorIyyEEZNS1_21radix_sort_block_sortIS4_Lb0EN6thrust23THRUST_200600_302600_NS6detail15normal_iteratorINS9_10device_ptrIyEEEESE_SE_SE_NS0_19identity_decomposerEEE10hipError_tT1_T2_T3_T4_jRjT5_jjP12ihipStream_tbEUlT_E_NS1_11comp_targetILNS1_3genE4ELNS1_11target_archE910ELNS1_3gpuE8ELNS1_3repE0EEENS1_44radix_sort_block_sort_config_static_selectorELNS0_4arch9wavefront6targetE1EEEvSH_: ; @_ZN7rocprim17ROCPRIM_400000_NS6detail17trampoline_kernelINS0_13kernel_configILj256ELj4ELj4294967295EEENS1_37radix_sort_block_sort_config_selectorIyyEEZNS1_21radix_sort_block_sortIS4_Lb0EN6thrust23THRUST_200600_302600_NS6detail15normal_iteratorINS9_10device_ptrIyEEEESE_SE_SE_NS0_19identity_decomposerEEE10hipError_tT1_T2_T3_T4_jRjT5_jjP12ihipStream_tbEUlT_E_NS1_11comp_targetILNS1_3genE4ELNS1_11target_archE910ELNS1_3gpuE8ELNS1_3repE0EEENS1_44radix_sort_block_sort_config_static_selectorELNS0_4arch9wavefront6targetE1EEEvSH_
; %bb.0:
	.section	.rodata,"a",@progbits
	.p2align	6, 0x0
	.amdhsa_kernel _ZN7rocprim17ROCPRIM_400000_NS6detail17trampoline_kernelINS0_13kernel_configILj256ELj4ELj4294967295EEENS1_37radix_sort_block_sort_config_selectorIyyEEZNS1_21radix_sort_block_sortIS4_Lb0EN6thrust23THRUST_200600_302600_NS6detail15normal_iteratorINS9_10device_ptrIyEEEESE_SE_SE_NS0_19identity_decomposerEEE10hipError_tT1_T2_T3_T4_jRjT5_jjP12ihipStream_tbEUlT_E_NS1_11comp_targetILNS1_3genE4ELNS1_11target_archE910ELNS1_3gpuE8ELNS1_3repE0EEENS1_44radix_sort_block_sort_config_static_selectorELNS0_4arch9wavefront6targetE1EEEvSH_
		.amdhsa_group_segment_fixed_size 0
		.amdhsa_private_segment_fixed_size 0
		.amdhsa_kernarg_size 48
		.amdhsa_user_sgpr_count 2
		.amdhsa_user_sgpr_dispatch_ptr 0
		.amdhsa_user_sgpr_queue_ptr 0
		.amdhsa_user_sgpr_kernarg_segment_ptr 1
		.amdhsa_user_sgpr_dispatch_id 0
		.amdhsa_user_sgpr_kernarg_preload_length 0
		.amdhsa_user_sgpr_kernarg_preload_offset 0
		.amdhsa_user_sgpr_private_segment_size 0
		.amdhsa_uses_dynamic_stack 0
		.amdhsa_enable_private_segment 0
		.amdhsa_system_sgpr_workgroup_id_x 1
		.amdhsa_system_sgpr_workgroup_id_y 0
		.amdhsa_system_sgpr_workgroup_id_z 0
		.amdhsa_system_sgpr_workgroup_info 0
		.amdhsa_system_vgpr_workitem_id 0
		.amdhsa_next_free_vgpr 1
		.amdhsa_next_free_sgpr 0
		.amdhsa_accum_offset 4
		.amdhsa_reserve_vcc 0
		.amdhsa_float_round_mode_32 0
		.amdhsa_float_round_mode_16_64 0
		.amdhsa_float_denorm_mode_32 3
		.amdhsa_float_denorm_mode_16_64 3
		.amdhsa_dx10_clamp 1
		.amdhsa_ieee_mode 1
		.amdhsa_fp16_overflow 0
		.amdhsa_tg_split 0
		.amdhsa_exception_fp_ieee_invalid_op 0
		.amdhsa_exception_fp_denorm_src 0
		.amdhsa_exception_fp_ieee_div_zero 0
		.amdhsa_exception_fp_ieee_overflow 0
		.amdhsa_exception_fp_ieee_underflow 0
		.amdhsa_exception_fp_ieee_inexact 0
		.amdhsa_exception_int_div_zero 0
	.end_amdhsa_kernel
	.section	.text._ZN7rocprim17ROCPRIM_400000_NS6detail17trampoline_kernelINS0_13kernel_configILj256ELj4ELj4294967295EEENS1_37radix_sort_block_sort_config_selectorIyyEEZNS1_21radix_sort_block_sortIS4_Lb0EN6thrust23THRUST_200600_302600_NS6detail15normal_iteratorINS9_10device_ptrIyEEEESE_SE_SE_NS0_19identity_decomposerEEE10hipError_tT1_T2_T3_T4_jRjT5_jjP12ihipStream_tbEUlT_E_NS1_11comp_targetILNS1_3genE4ELNS1_11target_archE910ELNS1_3gpuE8ELNS1_3repE0EEENS1_44radix_sort_block_sort_config_static_selectorELNS0_4arch9wavefront6targetE1EEEvSH_,"axG",@progbits,_ZN7rocprim17ROCPRIM_400000_NS6detail17trampoline_kernelINS0_13kernel_configILj256ELj4ELj4294967295EEENS1_37radix_sort_block_sort_config_selectorIyyEEZNS1_21radix_sort_block_sortIS4_Lb0EN6thrust23THRUST_200600_302600_NS6detail15normal_iteratorINS9_10device_ptrIyEEEESE_SE_SE_NS0_19identity_decomposerEEE10hipError_tT1_T2_T3_T4_jRjT5_jjP12ihipStream_tbEUlT_E_NS1_11comp_targetILNS1_3genE4ELNS1_11target_archE910ELNS1_3gpuE8ELNS1_3repE0EEENS1_44radix_sort_block_sort_config_static_selectorELNS0_4arch9wavefront6targetE1EEEvSH_,comdat
.Lfunc_end380:
	.size	_ZN7rocprim17ROCPRIM_400000_NS6detail17trampoline_kernelINS0_13kernel_configILj256ELj4ELj4294967295EEENS1_37radix_sort_block_sort_config_selectorIyyEEZNS1_21radix_sort_block_sortIS4_Lb0EN6thrust23THRUST_200600_302600_NS6detail15normal_iteratorINS9_10device_ptrIyEEEESE_SE_SE_NS0_19identity_decomposerEEE10hipError_tT1_T2_T3_T4_jRjT5_jjP12ihipStream_tbEUlT_E_NS1_11comp_targetILNS1_3genE4ELNS1_11target_archE910ELNS1_3gpuE8ELNS1_3repE0EEENS1_44radix_sort_block_sort_config_static_selectorELNS0_4arch9wavefront6targetE1EEEvSH_, .Lfunc_end380-_ZN7rocprim17ROCPRIM_400000_NS6detail17trampoline_kernelINS0_13kernel_configILj256ELj4ELj4294967295EEENS1_37radix_sort_block_sort_config_selectorIyyEEZNS1_21radix_sort_block_sortIS4_Lb0EN6thrust23THRUST_200600_302600_NS6detail15normal_iteratorINS9_10device_ptrIyEEEESE_SE_SE_NS0_19identity_decomposerEEE10hipError_tT1_T2_T3_T4_jRjT5_jjP12ihipStream_tbEUlT_E_NS1_11comp_targetILNS1_3genE4ELNS1_11target_archE910ELNS1_3gpuE8ELNS1_3repE0EEENS1_44radix_sort_block_sort_config_static_selectorELNS0_4arch9wavefront6targetE1EEEvSH_
                                        ; -- End function
	.set _ZN7rocprim17ROCPRIM_400000_NS6detail17trampoline_kernelINS0_13kernel_configILj256ELj4ELj4294967295EEENS1_37radix_sort_block_sort_config_selectorIyyEEZNS1_21radix_sort_block_sortIS4_Lb0EN6thrust23THRUST_200600_302600_NS6detail15normal_iteratorINS9_10device_ptrIyEEEESE_SE_SE_NS0_19identity_decomposerEEE10hipError_tT1_T2_T3_T4_jRjT5_jjP12ihipStream_tbEUlT_E_NS1_11comp_targetILNS1_3genE4ELNS1_11target_archE910ELNS1_3gpuE8ELNS1_3repE0EEENS1_44radix_sort_block_sort_config_static_selectorELNS0_4arch9wavefront6targetE1EEEvSH_.num_vgpr, 0
	.set _ZN7rocprim17ROCPRIM_400000_NS6detail17trampoline_kernelINS0_13kernel_configILj256ELj4ELj4294967295EEENS1_37radix_sort_block_sort_config_selectorIyyEEZNS1_21radix_sort_block_sortIS4_Lb0EN6thrust23THRUST_200600_302600_NS6detail15normal_iteratorINS9_10device_ptrIyEEEESE_SE_SE_NS0_19identity_decomposerEEE10hipError_tT1_T2_T3_T4_jRjT5_jjP12ihipStream_tbEUlT_E_NS1_11comp_targetILNS1_3genE4ELNS1_11target_archE910ELNS1_3gpuE8ELNS1_3repE0EEENS1_44radix_sort_block_sort_config_static_selectorELNS0_4arch9wavefront6targetE1EEEvSH_.num_agpr, 0
	.set _ZN7rocprim17ROCPRIM_400000_NS6detail17trampoline_kernelINS0_13kernel_configILj256ELj4ELj4294967295EEENS1_37radix_sort_block_sort_config_selectorIyyEEZNS1_21radix_sort_block_sortIS4_Lb0EN6thrust23THRUST_200600_302600_NS6detail15normal_iteratorINS9_10device_ptrIyEEEESE_SE_SE_NS0_19identity_decomposerEEE10hipError_tT1_T2_T3_T4_jRjT5_jjP12ihipStream_tbEUlT_E_NS1_11comp_targetILNS1_3genE4ELNS1_11target_archE910ELNS1_3gpuE8ELNS1_3repE0EEENS1_44radix_sort_block_sort_config_static_selectorELNS0_4arch9wavefront6targetE1EEEvSH_.numbered_sgpr, 0
	.set _ZN7rocprim17ROCPRIM_400000_NS6detail17trampoline_kernelINS0_13kernel_configILj256ELj4ELj4294967295EEENS1_37radix_sort_block_sort_config_selectorIyyEEZNS1_21radix_sort_block_sortIS4_Lb0EN6thrust23THRUST_200600_302600_NS6detail15normal_iteratorINS9_10device_ptrIyEEEESE_SE_SE_NS0_19identity_decomposerEEE10hipError_tT1_T2_T3_T4_jRjT5_jjP12ihipStream_tbEUlT_E_NS1_11comp_targetILNS1_3genE4ELNS1_11target_archE910ELNS1_3gpuE8ELNS1_3repE0EEENS1_44radix_sort_block_sort_config_static_selectorELNS0_4arch9wavefront6targetE1EEEvSH_.num_named_barrier, 0
	.set _ZN7rocprim17ROCPRIM_400000_NS6detail17trampoline_kernelINS0_13kernel_configILj256ELj4ELj4294967295EEENS1_37radix_sort_block_sort_config_selectorIyyEEZNS1_21radix_sort_block_sortIS4_Lb0EN6thrust23THRUST_200600_302600_NS6detail15normal_iteratorINS9_10device_ptrIyEEEESE_SE_SE_NS0_19identity_decomposerEEE10hipError_tT1_T2_T3_T4_jRjT5_jjP12ihipStream_tbEUlT_E_NS1_11comp_targetILNS1_3genE4ELNS1_11target_archE910ELNS1_3gpuE8ELNS1_3repE0EEENS1_44radix_sort_block_sort_config_static_selectorELNS0_4arch9wavefront6targetE1EEEvSH_.private_seg_size, 0
	.set _ZN7rocprim17ROCPRIM_400000_NS6detail17trampoline_kernelINS0_13kernel_configILj256ELj4ELj4294967295EEENS1_37radix_sort_block_sort_config_selectorIyyEEZNS1_21radix_sort_block_sortIS4_Lb0EN6thrust23THRUST_200600_302600_NS6detail15normal_iteratorINS9_10device_ptrIyEEEESE_SE_SE_NS0_19identity_decomposerEEE10hipError_tT1_T2_T3_T4_jRjT5_jjP12ihipStream_tbEUlT_E_NS1_11comp_targetILNS1_3genE4ELNS1_11target_archE910ELNS1_3gpuE8ELNS1_3repE0EEENS1_44radix_sort_block_sort_config_static_selectorELNS0_4arch9wavefront6targetE1EEEvSH_.uses_vcc, 0
	.set _ZN7rocprim17ROCPRIM_400000_NS6detail17trampoline_kernelINS0_13kernel_configILj256ELj4ELj4294967295EEENS1_37radix_sort_block_sort_config_selectorIyyEEZNS1_21radix_sort_block_sortIS4_Lb0EN6thrust23THRUST_200600_302600_NS6detail15normal_iteratorINS9_10device_ptrIyEEEESE_SE_SE_NS0_19identity_decomposerEEE10hipError_tT1_T2_T3_T4_jRjT5_jjP12ihipStream_tbEUlT_E_NS1_11comp_targetILNS1_3genE4ELNS1_11target_archE910ELNS1_3gpuE8ELNS1_3repE0EEENS1_44radix_sort_block_sort_config_static_selectorELNS0_4arch9wavefront6targetE1EEEvSH_.uses_flat_scratch, 0
	.set _ZN7rocprim17ROCPRIM_400000_NS6detail17trampoline_kernelINS0_13kernel_configILj256ELj4ELj4294967295EEENS1_37radix_sort_block_sort_config_selectorIyyEEZNS1_21radix_sort_block_sortIS4_Lb0EN6thrust23THRUST_200600_302600_NS6detail15normal_iteratorINS9_10device_ptrIyEEEESE_SE_SE_NS0_19identity_decomposerEEE10hipError_tT1_T2_T3_T4_jRjT5_jjP12ihipStream_tbEUlT_E_NS1_11comp_targetILNS1_3genE4ELNS1_11target_archE910ELNS1_3gpuE8ELNS1_3repE0EEENS1_44radix_sort_block_sort_config_static_selectorELNS0_4arch9wavefront6targetE1EEEvSH_.has_dyn_sized_stack, 0
	.set _ZN7rocprim17ROCPRIM_400000_NS6detail17trampoline_kernelINS0_13kernel_configILj256ELj4ELj4294967295EEENS1_37radix_sort_block_sort_config_selectorIyyEEZNS1_21radix_sort_block_sortIS4_Lb0EN6thrust23THRUST_200600_302600_NS6detail15normal_iteratorINS9_10device_ptrIyEEEESE_SE_SE_NS0_19identity_decomposerEEE10hipError_tT1_T2_T3_T4_jRjT5_jjP12ihipStream_tbEUlT_E_NS1_11comp_targetILNS1_3genE4ELNS1_11target_archE910ELNS1_3gpuE8ELNS1_3repE0EEENS1_44radix_sort_block_sort_config_static_selectorELNS0_4arch9wavefront6targetE1EEEvSH_.has_recursion, 0
	.set _ZN7rocprim17ROCPRIM_400000_NS6detail17trampoline_kernelINS0_13kernel_configILj256ELj4ELj4294967295EEENS1_37radix_sort_block_sort_config_selectorIyyEEZNS1_21radix_sort_block_sortIS4_Lb0EN6thrust23THRUST_200600_302600_NS6detail15normal_iteratorINS9_10device_ptrIyEEEESE_SE_SE_NS0_19identity_decomposerEEE10hipError_tT1_T2_T3_T4_jRjT5_jjP12ihipStream_tbEUlT_E_NS1_11comp_targetILNS1_3genE4ELNS1_11target_archE910ELNS1_3gpuE8ELNS1_3repE0EEENS1_44radix_sort_block_sort_config_static_selectorELNS0_4arch9wavefront6targetE1EEEvSH_.has_indirect_call, 0
	.section	.AMDGPU.csdata,"",@progbits
; Kernel info:
; codeLenInByte = 0
; TotalNumSgprs: 6
; NumVgprs: 0
; NumAgprs: 0
; TotalNumVgprs: 0
; ScratchSize: 0
; MemoryBound: 0
; FloatMode: 240
; IeeeMode: 1
; LDSByteSize: 0 bytes/workgroup (compile time only)
; SGPRBlocks: 0
; VGPRBlocks: 0
; NumSGPRsForWavesPerEU: 6
; NumVGPRsForWavesPerEU: 1
; AccumOffset: 4
; Occupancy: 8
; WaveLimiterHint : 0
; COMPUTE_PGM_RSRC2:SCRATCH_EN: 0
; COMPUTE_PGM_RSRC2:USER_SGPR: 2
; COMPUTE_PGM_RSRC2:TRAP_HANDLER: 0
; COMPUTE_PGM_RSRC2:TGID_X_EN: 1
; COMPUTE_PGM_RSRC2:TGID_Y_EN: 0
; COMPUTE_PGM_RSRC2:TGID_Z_EN: 0
; COMPUTE_PGM_RSRC2:TIDIG_COMP_CNT: 0
; COMPUTE_PGM_RSRC3_GFX90A:ACCUM_OFFSET: 0
; COMPUTE_PGM_RSRC3_GFX90A:TG_SPLIT: 0
	.section	.text._ZN7rocprim17ROCPRIM_400000_NS6detail17trampoline_kernelINS0_13kernel_configILj256ELj4ELj4294967295EEENS1_37radix_sort_block_sort_config_selectorIyyEEZNS1_21radix_sort_block_sortIS4_Lb0EN6thrust23THRUST_200600_302600_NS6detail15normal_iteratorINS9_10device_ptrIyEEEESE_SE_SE_NS0_19identity_decomposerEEE10hipError_tT1_T2_T3_T4_jRjT5_jjP12ihipStream_tbEUlT_E_NS1_11comp_targetILNS1_3genE3ELNS1_11target_archE908ELNS1_3gpuE7ELNS1_3repE0EEENS1_44radix_sort_block_sort_config_static_selectorELNS0_4arch9wavefront6targetE1EEEvSH_,"axG",@progbits,_ZN7rocprim17ROCPRIM_400000_NS6detail17trampoline_kernelINS0_13kernel_configILj256ELj4ELj4294967295EEENS1_37radix_sort_block_sort_config_selectorIyyEEZNS1_21radix_sort_block_sortIS4_Lb0EN6thrust23THRUST_200600_302600_NS6detail15normal_iteratorINS9_10device_ptrIyEEEESE_SE_SE_NS0_19identity_decomposerEEE10hipError_tT1_T2_T3_T4_jRjT5_jjP12ihipStream_tbEUlT_E_NS1_11comp_targetILNS1_3genE3ELNS1_11target_archE908ELNS1_3gpuE7ELNS1_3repE0EEENS1_44radix_sort_block_sort_config_static_selectorELNS0_4arch9wavefront6targetE1EEEvSH_,comdat
	.protected	_ZN7rocprim17ROCPRIM_400000_NS6detail17trampoline_kernelINS0_13kernel_configILj256ELj4ELj4294967295EEENS1_37radix_sort_block_sort_config_selectorIyyEEZNS1_21radix_sort_block_sortIS4_Lb0EN6thrust23THRUST_200600_302600_NS6detail15normal_iteratorINS9_10device_ptrIyEEEESE_SE_SE_NS0_19identity_decomposerEEE10hipError_tT1_T2_T3_T4_jRjT5_jjP12ihipStream_tbEUlT_E_NS1_11comp_targetILNS1_3genE3ELNS1_11target_archE908ELNS1_3gpuE7ELNS1_3repE0EEENS1_44radix_sort_block_sort_config_static_selectorELNS0_4arch9wavefront6targetE1EEEvSH_ ; -- Begin function _ZN7rocprim17ROCPRIM_400000_NS6detail17trampoline_kernelINS0_13kernel_configILj256ELj4ELj4294967295EEENS1_37radix_sort_block_sort_config_selectorIyyEEZNS1_21radix_sort_block_sortIS4_Lb0EN6thrust23THRUST_200600_302600_NS6detail15normal_iteratorINS9_10device_ptrIyEEEESE_SE_SE_NS0_19identity_decomposerEEE10hipError_tT1_T2_T3_T4_jRjT5_jjP12ihipStream_tbEUlT_E_NS1_11comp_targetILNS1_3genE3ELNS1_11target_archE908ELNS1_3gpuE7ELNS1_3repE0EEENS1_44radix_sort_block_sort_config_static_selectorELNS0_4arch9wavefront6targetE1EEEvSH_
	.globl	_ZN7rocprim17ROCPRIM_400000_NS6detail17trampoline_kernelINS0_13kernel_configILj256ELj4ELj4294967295EEENS1_37radix_sort_block_sort_config_selectorIyyEEZNS1_21radix_sort_block_sortIS4_Lb0EN6thrust23THRUST_200600_302600_NS6detail15normal_iteratorINS9_10device_ptrIyEEEESE_SE_SE_NS0_19identity_decomposerEEE10hipError_tT1_T2_T3_T4_jRjT5_jjP12ihipStream_tbEUlT_E_NS1_11comp_targetILNS1_3genE3ELNS1_11target_archE908ELNS1_3gpuE7ELNS1_3repE0EEENS1_44radix_sort_block_sort_config_static_selectorELNS0_4arch9wavefront6targetE1EEEvSH_
	.p2align	8
	.type	_ZN7rocprim17ROCPRIM_400000_NS6detail17trampoline_kernelINS0_13kernel_configILj256ELj4ELj4294967295EEENS1_37radix_sort_block_sort_config_selectorIyyEEZNS1_21radix_sort_block_sortIS4_Lb0EN6thrust23THRUST_200600_302600_NS6detail15normal_iteratorINS9_10device_ptrIyEEEESE_SE_SE_NS0_19identity_decomposerEEE10hipError_tT1_T2_T3_T4_jRjT5_jjP12ihipStream_tbEUlT_E_NS1_11comp_targetILNS1_3genE3ELNS1_11target_archE908ELNS1_3gpuE7ELNS1_3repE0EEENS1_44radix_sort_block_sort_config_static_selectorELNS0_4arch9wavefront6targetE1EEEvSH_,@function
_ZN7rocprim17ROCPRIM_400000_NS6detail17trampoline_kernelINS0_13kernel_configILj256ELj4ELj4294967295EEENS1_37radix_sort_block_sort_config_selectorIyyEEZNS1_21radix_sort_block_sortIS4_Lb0EN6thrust23THRUST_200600_302600_NS6detail15normal_iteratorINS9_10device_ptrIyEEEESE_SE_SE_NS0_19identity_decomposerEEE10hipError_tT1_T2_T3_T4_jRjT5_jjP12ihipStream_tbEUlT_E_NS1_11comp_targetILNS1_3genE3ELNS1_11target_archE908ELNS1_3gpuE7ELNS1_3repE0EEENS1_44radix_sort_block_sort_config_static_selectorELNS0_4arch9wavefront6targetE1EEEvSH_: ; @_ZN7rocprim17ROCPRIM_400000_NS6detail17trampoline_kernelINS0_13kernel_configILj256ELj4ELj4294967295EEENS1_37radix_sort_block_sort_config_selectorIyyEEZNS1_21radix_sort_block_sortIS4_Lb0EN6thrust23THRUST_200600_302600_NS6detail15normal_iteratorINS9_10device_ptrIyEEEESE_SE_SE_NS0_19identity_decomposerEEE10hipError_tT1_T2_T3_T4_jRjT5_jjP12ihipStream_tbEUlT_E_NS1_11comp_targetILNS1_3genE3ELNS1_11target_archE908ELNS1_3gpuE7ELNS1_3repE0EEENS1_44radix_sort_block_sort_config_static_selectorELNS0_4arch9wavefront6targetE1EEEvSH_
; %bb.0:
	.section	.rodata,"a",@progbits
	.p2align	6, 0x0
	.amdhsa_kernel _ZN7rocprim17ROCPRIM_400000_NS6detail17trampoline_kernelINS0_13kernel_configILj256ELj4ELj4294967295EEENS1_37radix_sort_block_sort_config_selectorIyyEEZNS1_21radix_sort_block_sortIS4_Lb0EN6thrust23THRUST_200600_302600_NS6detail15normal_iteratorINS9_10device_ptrIyEEEESE_SE_SE_NS0_19identity_decomposerEEE10hipError_tT1_T2_T3_T4_jRjT5_jjP12ihipStream_tbEUlT_E_NS1_11comp_targetILNS1_3genE3ELNS1_11target_archE908ELNS1_3gpuE7ELNS1_3repE0EEENS1_44radix_sort_block_sort_config_static_selectorELNS0_4arch9wavefront6targetE1EEEvSH_
		.amdhsa_group_segment_fixed_size 0
		.amdhsa_private_segment_fixed_size 0
		.amdhsa_kernarg_size 48
		.amdhsa_user_sgpr_count 2
		.amdhsa_user_sgpr_dispatch_ptr 0
		.amdhsa_user_sgpr_queue_ptr 0
		.amdhsa_user_sgpr_kernarg_segment_ptr 1
		.amdhsa_user_sgpr_dispatch_id 0
		.amdhsa_user_sgpr_kernarg_preload_length 0
		.amdhsa_user_sgpr_kernarg_preload_offset 0
		.amdhsa_user_sgpr_private_segment_size 0
		.amdhsa_uses_dynamic_stack 0
		.amdhsa_enable_private_segment 0
		.amdhsa_system_sgpr_workgroup_id_x 1
		.amdhsa_system_sgpr_workgroup_id_y 0
		.amdhsa_system_sgpr_workgroup_id_z 0
		.amdhsa_system_sgpr_workgroup_info 0
		.amdhsa_system_vgpr_workitem_id 0
		.amdhsa_next_free_vgpr 1
		.amdhsa_next_free_sgpr 0
		.amdhsa_accum_offset 4
		.amdhsa_reserve_vcc 0
		.amdhsa_float_round_mode_32 0
		.amdhsa_float_round_mode_16_64 0
		.amdhsa_float_denorm_mode_32 3
		.amdhsa_float_denorm_mode_16_64 3
		.amdhsa_dx10_clamp 1
		.amdhsa_ieee_mode 1
		.amdhsa_fp16_overflow 0
		.amdhsa_tg_split 0
		.amdhsa_exception_fp_ieee_invalid_op 0
		.amdhsa_exception_fp_denorm_src 0
		.amdhsa_exception_fp_ieee_div_zero 0
		.amdhsa_exception_fp_ieee_overflow 0
		.amdhsa_exception_fp_ieee_underflow 0
		.amdhsa_exception_fp_ieee_inexact 0
		.amdhsa_exception_int_div_zero 0
	.end_amdhsa_kernel
	.section	.text._ZN7rocprim17ROCPRIM_400000_NS6detail17trampoline_kernelINS0_13kernel_configILj256ELj4ELj4294967295EEENS1_37radix_sort_block_sort_config_selectorIyyEEZNS1_21radix_sort_block_sortIS4_Lb0EN6thrust23THRUST_200600_302600_NS6detail15normal_iteratorINS9_10device_ptrIyEEEESE_SE_SE_NS0_19identity_decomposerEEE10hipError_tT1_T2_T3_T4_jRjT5_jjP12ihipStream_tbEUlT_E_NS1_11comp_targetILNS1_3genE3ELNS1_11target_archE908ELNS1_3gpuE7ELNS1_3repE0EEENS1_44radix_sort_block_sort_config_static_selectorELNS0_4arch9wavefront6targetE1EEEvSH_,"axG",@progbits,_ZN7rocprim17ROCPRIM_400000_NS6detail17trampoline_kernelINS0_13kernel_configILj256ELj4ELj4294967295EEENS1_37radix_sort_block_sort_config_selectorIyyEEZNS1_21radix_sort_block_sortIS4_Lb0EN6thrust23THRUST_200600_302600_NS6detail15normal_iteratorINS9_10device_ptrIyEEEESE_SE_SE_NS0_19identity_decomposerEEE10hipError_tT1_T2_T3_T4_jRjT5_jjP12ihipStream_tbEUlT_E_NS1_11comp_targetILNS1_3genE3ELNS1_11target_archE908ELNS1_3gpuE7ELNS1_3repE0EEENS1_44radix_sort_block_sort_config_static_selectorELNS0_4arch9wavefront6targetE1EEEvSH_,comdat
.Lfunc_end381:
	.size	_ZN7rocprim17ROCPRIM_400000_NS6detail17trampoline_kernelINS0_13kernel_configILj256ELj4ELj4294967295EEENS1_37radix_sort_block_sort_config_selectorIyyEEZNS1_21radix_sort_block_sortIS4_Lb0EN6thrust23THRUST_200600_302600_NS6detail15normal_iteratorINS9_10device_ptrIyEEEESE_SE_SE_NS0_19identity_decomposerEEE10hipError_tT1_T2_T3_T4_jRjT5_jjP12ihipStream_tbEUlT_E_NS1_11comp_targetILNS1_3genE3ELNS1_11target_archE908ELNS1_3gpuE7ELNS1_3repE0EEENS1_44radix_sort_block_sort_config_static_selectorELNS0_4arch9wavefront6targetE1EEEvSH_, .Lfunc_end381-_ZN7rocprim17ROCPRIM_400000_NS6detail17trampoline_kernelINS0_13kernel_configILj256ELj4ELj4294967295EEENS1_37radix_sort_block_sort_config_selectorIyyEEZNS1_21radix_sort_block_sortIS4_Lb0EN6thrust23THRUST_200600_302600_NS6detail15normal_iteratorINS9_10device_ptrIyEEEESE_SE_SE_NS0_19identity_decomposerEEE10hipError_tT1_T2_T3_T4_jRjT5_jjP12ihipStream_tbEUlT_E_NS1_11comp_targetILNS1_3genE3ELNS1_11target_archE908ELNS1_3gpuE7ELNS1_3repE0EEENS1_44radix_sort_block_sort_config_static_selectorELNS0_4arch9wavefront6targetE1EEEvSH_
                                        ; -- End function
	.set _ZN7rocprim17ROCPRIM_400000_NS6detail17trampoline_kernelINS0_13kernel_configILj256ELj4ELj4294967295EEENS1_37radix_sort_block_sort_config_selectorIyyEEZNS1_21radix_sort_block_sortIS4_Lb0EN6thrust23THRUST_200600_302600_NS6detail15normal_iteratorINS9_10device_ptrIyEEEESE_SE_SE_NS0_19identity_decomposerEEE10hipError_tT1_T2_T3_T4_jRjT5_jjP12ihipStream_tbEUlT_E_NS1_11comp_targetILNS1_3genE3ELNS1_11target_archE908ELNS1_3gpuE7ELNS1_3repE0EEENS1_44radix_sort_block_sort_config_static_selectorELNS0_4arch9wavefront6targetE1EEEvSH_.num_vgpr, 0
	.set _ZN7rocprim17ROCPRIM_400000_NS6detail17trampoline_kernelINS0_13kernel_configILj256ELj4ELj4294967295EEENS1_37radix_sort_block_sort_config_selectorIyyEEZNS1_21radix_sort_block_sortIS4_Lb0EN6thrust23THRUST_200600_302600_NS6detail15normal_iteratorINS9_10device_ptrIyEEEESE_SE_SE_NS0_19identity_decomposerEEE10hipError_tT1_T2_T3_T4_jRjT5_jjP12ihipStream_tbEUlT_E_NS1_11comp_targetILNS1_3genE3ELNS1_11target_archE908ELNS1_3gpuE7ELNS1_3repE0EEENS1_44radix_sort_block_sort_config_static_selectorELNS0_4arch9wavefront6targetE1EEEvSH_.num_agpr, 0
	.set _ZN7rocprim17ROCPRIM_400000_NS6detail17trampoline_kernelINS0_13kernel_configILj256ELj4ELj4294967295EEENS1_37radix_sort_block_sort_config_selectorIyyEEZNS1_21radix_sort_block_sortIS4_Lb0EN6thrust23THRUST_200600_302600_NS6detail15normal_iteratorINS9_10device_ptrIyEEEESE_SE_SE_NS0_19identity_decomposerEEE10hipError_tT1_T2_T3_T4_jRjT5_jjP12ihipStream_tbEUlT_E_NS1_11comp_targetILNS1_3genE3ELNS1_11target_archE908ELNS1_3gpuE7ELNS1_3repE0EEENS1_44radix_sort_block_sort_config_static_selectorELNS0_4arch9wavefront6targetE1EEEvSH_.numbered_sgpr, 0
	.set _ZN7rocprim17ROCPRIM_400000_NS6detail17trampoline_kernelINS0_13kernel_configILj256ELj4ELj4294967295EEENS1_37radix_sort_block_sort_config_selectorIyyEEZNS1_21radix_sort_block_sortIS4_Lb0EN6thrust23THRUST_200600_302600_NS6detail15normal_iteratorINS9_10device_ptrIyEEEESE_SE_SE_NS0_19identity_decomposerEEE10hipError_tT1_T2_T3_T4_jRjT5_jjP12ihipStream_tbEUlT_E_NS1_11comp_targetILNS1_3genE3ELNS1_11target_archE908ELNS1_3gpuE7ELNS1_3repE0EEENS1_44radix_sort_block_sort_config_static_selectorELNS0_4arch9wavefront6targetE1EEEvSH_.num_named_barrier, 0
	.set _ZN7rocprim17ROCPRIM_400000_NS6detail17trampoline_kernelINS0_13kernel_configILj256ELj4ELj4294967295EEENS1_37radix_sort_block_sort_config_selectorIyyEEZNS1_21radix_sort_block_sortIS4_Lb0EN6thrust23THRUST_200600_302600_NS6detail15normal_iteratorINS9_10device_ptrIyEEEESE_SE_SE_NS0_19identity_decomposerEEE10hipError_tT1_T2_T3_T4_jRjT5_jjP12ihipStream_tbEUlT_E_NS1_11comp_targetILNS1_3genE3ELNS1_11target_archE908ELNS1_3gpuE7ELNS1_3repE0EEENS1_44radix_sort_block_sort_config_static_selectorELNS0_4arch9wavefront6targetE1EEEvSH_.private_seg_size, 0
	.set _ZN7rocprim17ROCPRIM_400000_NS6detail17trampoline_kernelINS0_13kernel_configILj256ELj4ELj4294967295EEENS1_37radix_sort_block_sort_config_selectorIyyEEZNS1_21radix_sort_block_sortIS4_Lb0EN6thrust23THRUST_200600_302600_NS6detail15normal_iteratorINS9_10device_ptrIyEEEESE_SE_SE_NS0_19identity_decomposerEEE10hipError_tT1_T2_T3_T4_jRjT5_jjP12ihipStream_tbEUlT_E_NS1_11comp_targetILNS1_3genE3ELNS1_11target_archE908ELNS1_3gpuE7ELNS1_3repE0EEENS1_44radix_sort_block_sort_config_static_selectorELNS0_4arch9wavefront6targetE1EEEvSH_.uses_vcc, 0
	.set _ZN7rocprim17ROCPRIM_400000_NS6detail17trampoline_kernelINS0_13kernel_configILj256ELj4ELj4294967295EEENS1_37radix_sort_block_sort_config_selectorIyyEEZNS1_21radix_sort_block_sortIS4_Lb0EN6thrust23THRUST_200600_302600_NS6detail15normal_iteratorINS9_10device_ptrIyEEEESE_SE_SE_NS0_19identity_decomposerEEE10hipError_tT1_T2_T3_T4_jRjT5_jjP12ihipStream_tbEUlT_E_NS1_11comp_targetILNS1_3genE3ELNS1_11target_archE908ELNS1_3gpuE7ELNS1_3repE0EEENS1_44radix_sort_block_sort_config_static_selectorELNS0_4arch9wavefront6targetE1EEEvSH_.uses_flat_scratch, 0
	.set _ZN7rocprim17ROCPRIM_400000_NS6detail17trampoline_kernelINS0_13kernel_configILj256ELj4ELj4294967295EEENS1_37radix_sort_block_sort_config_selectorIyyEEZNS1_21radix_sort_block_sortIS4_Lb0EN6thrust23THRUST_200600_302600_NS6detail15normal_iteratorINS9_10device_ptrIyEEEESE_SE_SE_NS0_19identity_decomposerEEE10hipError_tT1_T2_T3_T4_jRjT5_jjP12ihipStream_tbEUlT_E_NS1_11comp_targetILNS1_3genE3ELNS1_11target_archE908ELNS1_3gpuE7ELNS1_3repE0EEENS1_44radix_sort_block_sort_config_static_selectorELNS0_4arch9wavefront6targetE1EEEvSH_.has_dyn_sized_stack, 0
	.set _ZN7rocprim17ROCPRIM_400000_NS6detail17trampoline_kernelINS0_13kernel_configILj256ELj4ELj4294967295EEENS1_37radix_sort_block_sort_config_selectorIyyEEZNS1_21radix_sort_block_sortIS4_Lb0EN6thrust23THRUST_200600_302600_NS6detail15normal_iteratorINS9_10device_ptrIyEEEESE_SE_SE_NS0_19identity_decomposerEEE10hipError_tT1_T2_T3_T4_jRjT5_jjP12ihipStream_tbEUlT_E_NS1_11comp_targetILNS1_3genE3ELNS1_11target_archE908ELNS1_3gpuE7ELNS1_3repE0EEENS1_44radix_sort_block_sort_config_static_selectorELNS0_4arch9wavefront6targetE1EEEvSH_.has_recursion, 0
	.set _ZN7rocprim17ROCPRIM_400000_NS6detail17trampoline_kernelINS0_13kernel_configILj256ELj4ELj4294967295EEENS1_37radix_sort_block_sort_config_selectorIyyEEZNS1_21radix_sort_block_sortIS4_Lb0EN6thrust23THRUST_200600_302600_NS6detail15normal_iteratorINS9_10device_ptrIyEEEESE_SE_SE_NS0_19identity_decomposerEEE10hipError_tT1_T2_T3_T4_jRjT5_jjP12ihipStream_tbEUlT_E_NS1_11comp_targetILNS1_3genE3ELNS1_11target_archE908ELNS1_3gpuE7ELNS1_3repE0EEENS1_44radix_sort_block_sort_config_static_selectorELNS0_4arch9wavefront6targetE1EEEvSH_.has_indirect_call, 0
	.section	.AMDGPU.csdata,"",@progbits
; Kernel info:
; codeLenInByte = 0
; TotalNumSgprs: 6
; NumVgprs: 0
; NumAgprs: 0
; TotalNumVgprs: 0
; ScratchSize: 0
; MemoryBound: 0
; FloatMode: 240
; IeeeMode: 1
; LDSByteSize: 0 bytes/workgroup (compile time only)
; SGPRBlocks: 0
; VGPRBlocks: 0
; NumSGPRsForWavesPerEU: 6
; NumVGPRsForWavesPerEU: 1
; AccumOffset: 4
; Occupancy: 8
; WaveLimiterHint : 0
; COMPUTE_PGM_RSRC2:SCRATCH_EN: 0
; COMPUTE_PGM_RSRC2:USER_SGPR: 2
; COMPUTE_PGM_RSRC2:TRAP_HANDLER: 0
; COMPUTE_PGM_RSRC2:TGID_X_EN: 1
; COMPUTE_PGM_RSRC2:TGID_Y_EN: 0
; COMPUTE_PGM_RSRC2:TGID_Z_EN: 0
; COMPUTE_PGM_RSRC2:TIDIG_COMP_CNT: 0
; COMPUTE_PGM_RSRC3_GFX90A:ACCUM_OFFSET: 0
; COMPUTE_PGM_RSRC3_GFX90A:TG_SPLIT: 0
	.section	.text._ZN7rocprim17ROCPRIM_400000_NS6detail17trampoline_kernelINS0_13kernel_configILj256ELj4ELj4294967295EEENS1_37radix_sort_block_sort_config_selectorIyyEEZNS1_21radix_sort_block_sortIS4_Lb0EN6thrust23THRUST_200600_302600_NS6detail15normal_iteratorINS9_10device_ptrIyEEEESE_SE_SE_NS0_19identity_decomposerEEE10hipError_tT1_T2_T3_T4_jRjT5_jjP12ihipStream_tbEUlT_E_NS1_11comp_targetILNS1_3genE2ELNS1_11target_archE906ELNS1_3gpuE6ELNS1_3repE0EEENS1_44radix_sort_block_sort_config_static_selectorELNS0_4arch9wavefront6targetE1EEEvSH_,"axG",@progbits,_ZN7rocprim17ROCPRIM_400000_NS6detail17trampoline_kernelINS0_13kernel_configILj256ELj4ELj4294967295EEENS1_37radix_sort_block_sort_config_selectorIyyEEZNS1_21radix_sort_block_sortIS4_Lb0EN6thrust23THRUST_200600_302600_NS6detail15normal_iteratorINS9_10device_ptrIyEEEESE_SE_SE_NS0_19identity_decomposerEEE10hipError_tT1_T2_T3_T4_jRjT5_jjP12ihipStream_tbEUlT_E_NS1_11comp_targetILNS1_3genE2ELNS1_11target_archE906ELNS1_3gpuE6ELNS1_3repE0EEENS1_44radix_sort_block_sort_config_static_selectorELNS0_4arch9wavefront6targetE1EEEvSH_,comdat
	.protected	_ZN7rocprim17ROCPRIM_400000_NS6detail17trampoline_kernelINS0_13kernel_configILj256ELj4ELj4294967295EEENS1_37radix_sort_block_sort_config_selectorIyyEEZNS1_21radix_sort_block_sortIS4_Lb0EN6thrust23THRUST_200600_302600_NS6detail15normal_iteratorINS9_10device_ptrIyEEEESE_SE_SE_NS0_19identity_decomposerEEE10hipError_tT1_T2_T3_T4_jRjT5_jjP12ihipStream_tbEUlT_E_NS1_11comp_targetILNS1_3genE2ELNS1_11target_archE906ELNS1_3gpuE6ELNS1_3repE0EEENS1_44radix_sort_block_sort_config_static_selectorELNS0_4arch9wavefront6targetE1EEEvSH_ ; -- Begin function _ZN7rocprim17ROCPRIM_400000_NS6detail17trampoline_kernelINS0_13kernel_configILj256ELj4ELj4294967295EEENS1_37radix_sort_block_sort_config_selectorIyyEEZNS1_21radix_sort_block_sortIS4_Lb0EN6thrust23THRUST_200600_302600_NS6detail15normal_iteratorINS9_10device_ptrIyEEEESE_SE_SE_NS0_19identity_decomposerEEE10hipError_tT1_T2_T3_T4_jRjT5_jjP12ihipStream_tbEUlT_E_NS1_11comp_targetILNS1_3genE2ELNS1_11target_archE906ELNS1_3gpuE6ELNS1_3repE0EEENS1_44radix_sort_block_sort_config_static_selectorELNS0_4arch9wavefront6targetE1EEEvSH_
	.globl	_ZN7rocprim17ROCPRIM_400000_NS6detail17trampoline_kernelINS0_13kernel_configILj256ELj4ELj4294967295EEENS1_37radix_sort_block_sort_config_selectorIyyEEZNS1_21radix_sort_block_sortIS4_Lb0EN6thrust23THRUST_200600_302600_NS6detail15normal_iteratorINS9_10device_ptrIyEEEESE_SE_SE_NS0_19identity_decomposerEEE10hipError_tT1_T2_T3_T4_jRjT5_jjP12ihipStream_tbEUlT_E_NS1_11comp_targetILNS1_3genE2ELNS1_11target_archE906ELNS1_3gpuE6ELNS1_3repE0EEENS1_44radix_sort_block_sort_config_static_selectorELNS0_4arch9wavefront6targetE1EEEvSH_
	.p2align	8
	.type	_ZN7rocprim17ROCPRIM_400000_NS6detail17trampoline_kernelINS0_13kernel_configILj256ELj4ELj4294967295EEENS1_37radix_sort_block_sort_config_selectorIyyEEZNS1_21radix_sort_block_sortIS4_Lb0EN6thrust23THRUST_200600_302600_NS6detail15normal_iteratorINS9_10device_ptrIyEEEESE_SE_SE_NS0_19identity_decomposerEEE10hipError_tT1_T2_T3_T4_jRjT5_jjP12ihipStream_tbEUlT_E_NS1_11comp_targetILNS1_3genE2ELNS1_11target_archE906ELNS1_3gpuE6ELNS1_3repE0EEENS1_44radix_sort_block_sort_config_static_selectorELNS0_4arch9wavefront6targetE1EEEvSH_,@function
_ZN7rocprim17ROCPRIM_400000_NS6detail17trampoline_kernelINS0_13kernel_configILj256ELj4ELj4294967295EEENS1_37radix_sort_block_sort_config_selectorIyyEEZNS1_21radix_sort_block_sortIS4_Lb0EN6thrust23THRUST_200600_302600_NS6detail15normal_iteratorINS9_10device_ptrIyEEEESE_SE_SE_NS0_19identity_decomposerEEE10hipError_tT1_T2_T3_T4_jRjT5_jjP12ihipStream_tbEUlT_E_NS1_11comp_targetILNS1_3genE2ELNS1_11target_archE906ELNS1_3gpuE6ELNS1_3repE0EEENS1_44radix_sort_block_sort_config_static_selectorELNS0_4arch9wavefront6targetE1EEEvSH_: ; @_ZN7rocprim17ROCPRIM_400000_NS6detail17trampoline_kernelINS0_13kernel_configILj256ELj4ELj4294967295EEENS1_37radix_sort_block_sort_config_selectorIyyEEZNS1_21radix_sort_block_sortIS4_Lb0EN6thrust23THRUST_200600_302600_NS6detail15normal_iteratorINS9_10device_ptrIyEEEESE_SE_SE_NS0_19identity_decomposerEEE10hipError_tT1_T2_T3_T4_jRjT5_jjP12ihipStream_tbEUlT_E_NS1_11comp_targetILNS1_3genE2ELNS1_11target_archE906ELNS1_3gpuE6ELNS1_3repE0EEENS1_44radix_sort_block_sort_config_static_selectorELNS0_4arch9wavefront6targetE1EEEvSH_
; %bb.0:
	.section	.rodata,"a",@progbits
	.p2align	6, 0x0
	.amdhsa_kernel _ZN7rocprim17ROCPRIM_400000_NS6detail17trampoline_kernelINS0_13kernel_configILj256ELj4ELj4294967295EEENS1_37radix_sort_block_sort_config_selectorIyyEEZNS1_21radix_sort_block_sortIS4_Lb0EN6thrust23THRUST_200600_302600_NS6detail15normal_iteratorINS9_10device_ptrIyEEEESE_SE_SE_NS0_19identity_decomposerEEE10hipError_tT1_T2_T3_T4_jRjT5_jjP12ihipStream_tbEUlT_E_NS1_11comp_targetILNS1_3genE2ELNS1_11target_archE906ELNS1_3gpuE6ELNS1_3repE0EEENS1_44radix_sort_block_sort_config_static_selectorELNS0_4arch9wavefront6targetE1EEEvSH_
		.amdhsa_group_segment_fixed_size 0
		.amdhsa_private_segment_fixed_size 0
		.amdhsa_kernarg_size 48
		.amdhsa_user_sgpr_count 2
		.amdhsa_user_sgpr_dispatch_ptr 0
		.amdhsa_user_sgpr_queue_ptr 0
		.amdhsa_user_sgpr_kernarg_segment_ptr 1
		.amdhsa_user_sgpr_dispatch_id 0
		.amdhsa_user_sgpr_kernarg_preload_length 0
		.amdhsa_user_sgpr_kernarg_preload_offset 0
		.amdhsa_user_sgpr_private_segment_size 0
		.amdhsa_uses_dynamic_stack 0
		.amdhsa_enable_private_segment 0
		.amdhsa_system_sgpr_workgroup_id_x 1
		.amdhsa_system_sgpr_workgroup_id_y 0
		.amdhsa_system_sgpr_workgroup_id_z 0
		.amdhsa_system_sgpr_workgroup_info 0
		.amdhsa_system_vgpr_workitem_id 0
		.amdhsa_next_free_vgpr 1
		.amdhsa_next_free_sgpr 0
		.amdhsa_accum_offset 4
		.amdhsa_reserve_vcc 0
		.amdhsa_float_round_mode_32 0
		.amdhsa_float_round_mode_16_64 0
		.amdhsa_float_denorm_mode_32 3
		.amdhsa_float_denorm_mode_16_64 3
		.amdhsa_dx10_clamp 1
		.amdhsa_ieee_mode 1
		.amdhsa_fp16_overflow 0
		.amdhsa_tg_split 0
		.amdhsa_exception_fp_ieee_invalid_op 0
		.amdhsa_exception_fp_denorm_src 0
		.amdhsa_exception_fp_ieee_div_zero 0
		.amdhsa_exception_fp_ieee_overflow 0
		.amdhsa_exception_fp_ieee_underflow 0
		.amdhsa_exception_fp_ieee_inexact 0
		.amdhsa_exception_int_div_zero 0
	.end_amdhsa_kernel
	.section	.text._ZN7rocprim17ROCPRIM_400000_NS6detail17trampoline_kernelINS0_13kernel_configILj256ELj4ELj4294967295EEENS1_37radix_sort_block_sort_config_selectorIyyEEZNS1_21radix_sort_block_sortIS4_Lb0EN6thrust23THRUST_200600_302600_NS6detail15normal_iteratorINS9_10device_ptrIyEEEESE_SE_SE_NS0_19identity_decomposerEEE10hipError_tT1_T2_T3_T4_jRjT5_jjP12ihipStream_tbEUlT_E_NS1_11comp_targetILNS1_3genE2ELNS1_11target_archE906ELNS1_3gpuE6ELNS1_3repE0EEENS1_44radix_sort_block_sort_config_static_selectorELNS0_4arch9wavefront6targetE1EEEvSH_,"axG",@progbits,_ZN7rocprim17ROCPRIM_400000_NS6detail17trampoline_kernelINS0_13kernel_configILj256ELj4ELj4294967295EEENS1_37radix_sort_block_sort_config_selectorIyyEEZNS1_21radix_sort_block_sortIS4_Lb0EN6thrust23THRUST_200600_302600_NS6detail15normal_iteratorINS9_10device_ptrIyEEEESE_SE_SE_NS0_19identity_decomposerEEE10hipError_tT1_T2_T3_T4_jRjT5_jjP12ihipStream_tbEUlT_E_NS1_11comp_targetILNS1_3genE2ELNS1_11target_archE906ELNS1_3gpuE6ELNS1_3repE0EEENS1_44radix_sort_block_sort_config_static_selectorELNS0_4arch9wavefront6targetE1EEEvSH_,comdat
.Lfunc_end382:
	.size	_ZN7rocprim17ROCPRIM_400000_NS6detail17trampoline_kernelINS0_13kernel_configILj256ELj4ELj4294967295EEENS1_37radix_sort_block_sort_config_selectorIyyEEZNS1_21radix_sort_block_sortIS4_Lb0EN6thrust23THRUST_200600_302600_NS6detail15normal_iteratorINS9_10device_ptrIyEEEESE_SE_SE_NS0_19identity_decomposerEEE10hipError_tT1_T2_T3_T4_jRjT5_jjP12ihipStream_tbEUlT_E_NS1_11comp_targetILNS1_3genE2ELNS1_11target_archE906ELNS1_3gpuE6ELNS1_3repE0EEENS1_44radix_sort_block_sort_config_static_selectorELNS0_4arch9wavefront6targetE1EEEvSH_, .Lfunc_end382-_ZN7rocprim17ROCPRIM_400000_NS6detail17trampoline_kernelINS0_13kernel_configILj256ELj4ELj4294967295EEENS1_37radix_sort_block_sort_config_selectorIyyEEZNS1_21radix_sort_block_sortIS4_Lb0EN6thrust23THRUST_200600_302600_NS6detail15normal_iteratorINS9_10device_ptrIyEEEESE_SE_SE_NS0_19identity_decomposerEEE10hipError_tT1_T2_T3_T4_jRjT5_jjP12ihipStream_tbEUlT_E_NS1_11comp_targetILNS1_3genE2ELNS1_11target_archE906ELNS1_3gpuE6ELNS1_3repE0EEENS1_44radix_sort_block_sort_config_static_selectorELNS0_4arch9wavefront6targetE1EEEvSH_
                                        ; -- End function
	.set _ZN7rocprim17ROCPRIM_400000_NS6detail17trampoline_kernelINS0_13kernel_configILj256ELj4ELj4294967295EEENS1_37radix_sort_block_sort_config_selectorIyyEEZNS1_21radix_sort_block_sortIS4_Lb0EN6thrust23THRUST_200600_302600_NS6detail15normal_iteratorINS9_10device_ptrIyEEEESE_SE_SE_NS0_19identity_decomposerEEE10hipError_tT1_T2_T3_T4_jRjT5_jjP12ihipStream_tbEUlT_E_NS1_11comp_targetILNS1_3genE2ELNS1_11target_archE906ELNS1_3gpuE6ELNS1_3repE0EEENS1_44radix_sort_block_sort_config_static_selectorELNS0_4arch9wavefront6targetE1EEEvSH_.num_vgpr, 0
	.set _ZN7rocprim17ROCPRIM_400000_NS6detail17trampoline_kernelINS0_13kernel_configILj256ELj4ELj4294967295EEENS1_37radix_sort_block_sort_config_selectorIyyEEZNS1_21radix_sort_block_sortIS4_Lb0EN6thrust23THRUST_200600_302600_NS6detail15normal_iteratorINS9_10device_ptrIyEEEESE_SE_SE_NS0_19identity_decomposerEEE10hipError_tT1_T2_T3_T4_jRjT5_jjP12ihipStream_tbEUlT_E_NS1_11comp_targetILNS1_3genE2ELNS1_11target_archE906ELNS1_3gpuE6ELNS1_3repE0EEENS1_44radix_sort_block_sort_config_static_selectorELNS0_4arch9wavefront6targetE1EEEvSH_.num_agpr, 0
	.set _ZN7rocprim17ROCPRIM_400000_NS6detail17trampoline_kernelINS0_13kernel_configILj256ELj4ELj4294967295EEENS1_37radix_sort_block_sort_config_selectorIyyEEZNS1_21radix_sort_block_sortIS4_Lb0EN6thrust23THRUST_200600_302600_NS6detail15normal_iteratorINS9_10device_ptrIyEEEESE_SE_SE_NS0_19identity_decomposerEEE10hipError_tT1_T2_T3_T4_jRjT5_jjP12ihipStream_tbEUlT_E_NS1_11comp_targetILNS1_3genE2ELNS1_11target_archE906ELNS1_3gpuE6ELNS1_3repE0EEENS1_44radix_sort_block_sort_config_static_selectorELNS0_4arch9wavefront6targetE1EEEvSH_.numbered_sgpr, 0
	.set _ZN7rocprim17ROCPRIM_400000_NS6detail17trampoline_kernelINS0_13kernel_configILj256ELj4ELj4294967295EEENS1_37radix_sort_block_sort_config_selectorIyyEEZNS1_21radix_sort_block_sortIS4_Lb0EN6thrust23THRUST_200600_302600_NS6detail15normal_iteratorINS9_10device_ptrIyEEEESE_SE_SE_NS0_19identity_decomposerEEE10hipError_tT1_T2_T3_T4_jRjT5_jjP12ihipStream_tbEUlT_E_NS1_11comp_targetILNS1_3genE2ELNS1_11target_archE906ELNS1_3gpuE6ELNS1_3repE0EEENS1_44radix_sort_block_sort_config_static_selectorELNS0_4arch9wavefront6targetE1EEEvSH_.num_named_barrier, 0
	.set _ZN7rocprim17ROCPRIM_400000_NS6detail17trampoline_kernelINS0_13kernel_configILj256ELj4ELj4294967295EEENS1_37radix_sort_block_sort_config_selectorIyyEEZNS1_21radix_sort_block_sortIS4_Lb0EN6thrust23THRUST_200600_302600_NS6detail15normal_iteratorINS9_10device_ptrIyEEEESE_SE_SE_NS0_19identity_decomposerEEE10hipError_tT1_T2_T3_T4_jRjT5_jjP12ihipStream_tbEUlT_E_NS1_11comp_targetILNS1_3genE2ELNS1_11target_archE906ELNS1_3gpuE6ELNS1_3repE0EEENS1_44radix_sort_block_sort_config_static_selectorELNS0_4arch9wavefront6targetE1EEEvSH_.private_seg_size, 0
	.set _ZN7rocprim17ROCPRIM_400000_NS6detail17trampoline_kernelINS0_13kernel_configILj256ELj4ELj4294967295EEENS1_37radix_sort_block_sort_config_selectorIyyEEZNS1_21radix_sort_block_sortIS4_Lb0EN6thrust23THRUST_200600_302600_NS6detail15normal_iteratorINS9_10device_ptrIyEEEESE_SE_SE_NS0_19identity_decomposerEEE10hipError_tT1_T2_T3_T4_jRjT5_jjP12ihipStream_tbEUlT_E_NS1_11comp_targetILNS1_3genE2ELNS1_11target_archE906ELNS1_3gpuE6ELNS1_3repE0EEENS1_44radix_sort_block_sort_config_static_selectorELNS0_4arch9wavefront6targetE1EEEvSH_.uses_vcc, 0
	.set _ZN7rocprim17ROCPRIM_400000_NS6detail17trampoline_kernelINS0_13kernel_configILj256ELj4ELj4294967295EEENS1_37radix_sort_block_sort_config_selectorIyyEEZNS1_21radix_sort_block_sortIS4_Lb0EN6thrust23THRUST_200600_302600_NS6detail15normal_iteratorINS9_10device_ptrIyEEEESE_SE_SE_NS0_19identity_decomposerEEE10hipError_tT1_T2_T3_T4_jRjT5_jjP12ihipStream_tbEUlT_E_NS1_11comp_targetILNS1_3genE2ELNS1_11target_archE906ELNS1_3gpuE6ELNS1_3repE0EEENS1_44radix_sort_block_sort_config_static_selectorELNS0_4arch9wavefront6targetE1EEEvSH_.uses_flat_scratch, 0
	.set _ZN7rocprim17ROCPRIM_400000_NS6detail17trampoline_kernelINS0_13kernel_configILj256ELj4ELj4294967295EEENS1_37radix_sort_block_sort_config_selectorIyyEEZNS1_21radix_sort_block_sortIS4_Lb0EN6thrust23THRUST_200600_302600_NS6detail15normal_iteratorINS9_10device_ptrIyEEEESE_SE_SE_NS0_19identity_decomposerEEE10hipError_tT1_T2_T3_T4_jRjT5_jjP12ihipStream_tbEUlT_E_NS1_11comp_targetILNS1_3genE2ELNS1_11target_archE906ELNS1_3gpuE6ELNS1_3repE0EEENS1_44radix_sort_block_sort_config_static_selectorELNS0_4arch9wavefront6targetE1EEEvSH_.has_dyn_sized_stack, 0
	.set _ZN7rocprim17ROCPRIM_400000_NS6detail17trampoline_kernelINS0_13kernel_configILj256ELj4ELj4294967295EEENS1_37radix_sort_block_sort_config_selectorIyyEEZNS1_21radix_sort_block_sortIS4_Lb0EN6thrust23THRUST_200600_302600_NS6detail15normal_iteratorINS9_10device_ptrIyEEEESE_SE_SE_NS0_19identity_decomposerEEE10hipError_tT1_T2_T3_T4_jRjT5_jjP12ihipStream_tbEUlT_E_NS1_11comp_targetILNS1_3genE2ELNS1_11target_archE906ELNS1_3gpuE6ELNS1_3repE0EEENS1_44radix_sort_block_sort_config_static_selectorELNS0_4arch9wavefront6targetE1EEEvSH_.has_recursion, 0
	.set _ZN7rocprim17ROCPRIM_400000_NS6detail17trampoline_kernelINS0_13kernel_configILj256ELj4ELj4294967295EEENS1_37radix_sort_block_sort_config_selectorIyyEEZNS1_21radix_sort_block_sortIS4_Lb0EN6thrust23THRUST_200600_302600_NS6detail15normal_iteratorINS9_10device_ptrIyEEEESE_SE_SE_NS0_19identity_decomposerEEE10hipError_tT1_T2_T3_T4_jRjT5_jjP12ihipStream_tbEUlT_E_NS1_11comp_targetILNS1_3genE2ELNS1_11target_archE906ELNS1_3gpuE6ELNS1_3repE0EEENS1_44radix_sort_block_sort_config_static_selectorELNS0_4arch9wavefront6targetE1EEEvSH_.has_indirect_call, 0
	.section	.AMDGPU.csdata,"",@progbits
; Kernel info:
; codeLenInByte = 0
; TotalNumSgprs: 6
; NumVgprs: 0
; NumAgprs: 0
; TotalNumVgprs: 0
; ScratchSize: 0
; MemoryBound: 0
; FloatMode: 240
; IeeeMode: 1
; LDSByteSize: 0 bytes/workgroup (compile time only)
; SGPRBlocks: 0
; VGPRBlocks: 0
; NumSGPRsForWavesPerEU: 6
; NumVGPRsForWavesPerEU: 1
; AccumOffset: 4
; Occupancy: 8
; WaveLimiterHint : 0
; COMPUTE_PGM_RSRC2:SCRATCH_EN: 0
; COMPUTE_PGM_RSRC2:USER_SGPR: 2
; COMPUTE_PGM_RSRC2:TRAP_HANDLER: 0
; COMPUTE_PGM_RSRC2:TGID_X_EN: 1
; COMPUTE_PGM_RSRC2:TGID_Y_EN: 0
; COMPUTE_PGM_RSRC2:TGID_Z_EN: 0
; COMPUTE_PGM_RSRC2:TIDIG_COMP_CNT: 0
; COMPUTE_PGM_RSRC3_GFX90A:ACCUM_OFFSET: 0
; COMPUTE_PGM_RSRC3_GFX90A:TG_SPLIT: 0
	.section	.text._ZN7rocprim17ROCPRIM_400000_NS6detail17trampoline_kernelINS0_13kernel_configILj256ELj4ELj4294967295EEENS1_37radix_sort_block_sort_config_selectorIyyEEZNS1_21radix_sort_block_sortIS4_Lb0EN6thrust23THRUST_200600_302600_NS6detail15normal_iteratorINS9_10device_ptrIyEEEESE_SE_SE_NS0_19identity_decomposerEEE10hipError_tT1_T2_T3_T4_jRjT5_jjP12ihipStream_tbEUlT_E_NS1_11comp_targetILNS1_3genE10ELNS1_11target_archE1201ELNS1_3gpuE5ELNS1_3repE0EEENS1_44radix_sort_block_sort_config_static_selectorELNS0_4arch9wavefront6targetE1EEEvSH_,"axG",@progbits,_ZN7rocprim17ROCPRIM_400000_NS6detail17trampoline_kernelINS0_13kernel_configILj256ELj4ELj4294967295EEENS1_37radix_sort_block_sort_config_selectorIyyEEZNS1_21radix_sort_block_sortIS4_Lb0EN6thrust23THRUST_200600_302600_NS6detail15normal_iteratorINS9_10device_ptrIyEEEESE_SE_SE_NS0_19identity_decomposerEEE10hipError_tT1_T2_T3_T4_jRjT5_jjP12ihipStream_tbEUlT_E_NS1_11comp_targetILNS1_3genE10ELNS1_11target_archE1201ELNS1_3gpuE5ELNS1_3repE0EEENS1_44radix_sort_block_sort_config_static_selectorELNS0_4arch9wavefront6targetE1EEEvSH_,comdat
	.protected	_ZN7rocprim17ROCPRIM_400000_NS6detail17trampoline_kernelINS0_13kernel_configILj256ELj4ELj4294967295EEENS1_37radix_sort_block_sort_config_selectorIyyEEZNS1_21radix_sort_block_sortIS4_Lb0EN6thrust23THRUST_200600_302600_NS6detail15normal_iteratorINS9_10device_ptrIyEEEESE_SE_SE_NS0_19identity_decomposerEEE10hipError_tT1_T2_T3_T4_jRjT5_jjP12ihipStream_tbEUlT_E_NS1_11comp_targetILNS1_3genE10ELNS1_11target_archE1201ELNS1_3gpuE5ELNS1_3repE0EEENS1_44radix_sort_block_sort_config_static_selectorELNS0_4arch9wavefront6targetE1EEEvSH_ ; -- Begin function _ZN7rocprim17ROCPRIM_400000_NS6detail17trampoline_kernelINS0_13kernel_configILj256ELj4ELj4294967295EEENS1_37radix_sort_block_sort_config_selectorIyyEEZNS1_21radix_sort_block_sortIS4_Lb0EN6thrust23THRUST_200600_302600_NS6detail15normal_iteratorINS9_10device_ptrIyEEEESE_SE_SE_NS0_19identity_decomposerEEE10hipError_tT1_T2_T3_T4_jRjT5_jjP12ihipStream_tbEUlT_E_NS1_11comp_targetILNS1_3genE10ELNS1_11target_archE1201ELNS1_3gpuE5ELNS1_3repE0EEENS1_44radix_sort_block_sort_config_static_selectorELNS0_4arch9wavefront6targetE1EEEvSH_
	.globl	_ZN7rocprim17ROCPRIM_400000_NS6detail17trampoline_kernelINS0_13kernel_configILj256ELj4ELj4294967295EEENS1_37radix_sort_block_sort_config_selectorIyyEEZNS1_21radix_sort_block_sortIS4_Lb0EN6thrust23THRUST_200600_302600_NS6detail15normal_iteratorINS9_10device_ptrIyEEEESE_SE_SE_NS0_19identity_decomposerEEE10hipError_tT1_T2_T3_T4_jRjT5_jjP12ihipStream_tbEUlT_E_NS1_11comp_targetILNS1_3genE10ELNS1_11target_archE1201ELNS1_3gpuE5ELNS1_3repE0EEENS1_44radix_sort_block_sort_config_static_selectorELNS0_4arch9wavefront6targetE1EEEvSH_
	.p2align	8
	.type	_ZN7rocprim17ROCPRIM_400000_NS6detail17trampoline_kernelINS0_13kernel_configILj256ELj4ELj4294967295EEENS1_37radix_sort_block_sort_config_selectorIyyEEZNS1_21radix_sort_block_sortIS4_Lb0EN6thrust23THRUST_200600_302600_NS6detail15normal_iteratorINS9_10device_ptrIyEEEESE_SE_SE_NS0_19identity_decomposerEEE10hipError_tT1_T2_T3_T4_jRjT5_jjP12ihipStream_tbEUlT_E_NS1_11comp_targetILNS1_3genE10ELNS1_11target_archE1201ELNS1_3gpuE5ELNS1_3repE0EEENS1_44radix_sort_block_sort_config_static_selectorELNS0_4arch9wavefront6targetE1EEEvSH_,@function
_ZN7rocprim17ROCPRIM_400000_NS6detail17trampoline_kernelINS0_13kernel_configILj256ELj4ELj4294967295EEENS1_37radix_sort_block_sort_config_selectorIyyEEZNS1_21radix_sort_block_sortIS4_Lb0EN6thrust23THRUST_200600_302600_NS6detail15normal_iteratorINS9_10device_ptrIyEEEESE_SE_SE_NS0_19identity_decomposerEEE10hipError_tT1_T2_T3_T4_jRjT5_jjP12ihipStream_tbEUlT_E_NS1_11comp_targetILNS1_3genE10ELNS1_11target_archE1201ELNS1_3gpuE5ELNS1_3repE0EEENS1_44radix_sort_block_sort_config_static_selectorELNS0_4arch9wavefront6targetE1EEEvSH_: ; @_ZN7rocprim17ROCPRIM_400000_NS6detail17trampoline_kernelINS0_13kernel_configILj256ELj4ELj4294967295EEENS1_37radix_sort_block_sort_config_selectorIyyEEZNS1_21radix_sort_block_sortIS4_Lb0EN6thrust23THRUST_200600_302600_NS6detail15normal_iteratorINS9_10device_ptrIyEEEESE_SE_SE_NS0_19identity_decomposerEEE10hipError_tT1_T2_T3_T4_jRjT5_jjP12ihipStream_tbEUlT_E_NS1_11comp_targetILNS1_3genE10ELNS1_11target_archE1201ELNS1_3gpuE5ELNS1_3repE0EEENS1_44radix_sort_block_sort_config_static_selectorELNS0_4arch9wavefront6targetE1EEEvSH_
; %bb.0:
	.section	.rodata,"a",@progbits
	.p2align	6, 0x0
	.amdhsa_kernel _ZN7rocprim17ROCPRIM_400000_NS6detail17trampoline_kernelINS0_13kernel_configILj256ELj4ELj4294967295EEENS1_37radix_sort_block_sort_config_selectorIyyEEZNS1_21radix_sort_block_sortIS4_Lb0EN6thrust23THRUST_200600_302600_NS6detail15normal_iteratorINS9_10device_ptrIyEEEESE_SE_SE_NS0_19identity_decomposerEEE10hipError_tT1_T2_T3_T4_jRjT5_jjP12ihipStream_tbEUlT_E_NS1_11comp_targetILNS1_3genE10ELNS1_11target_archE1201ELNS1_3gpuE5ELNS1_3repE0EEENS1_44radix_sort_block_sort_config_static_selectorELNS0_4arch9wavefront6targetE1EEEvSH_
		.amdhsa_group_segment_fixed_size 0
		.amdhsa_private_segment_fixed_size 0
		.amdhsa_kernarg_size 48
		.amdhsa_user_sgpr_count 2
		.amdhsa_user_sgpr_dispatch_ptr 0
		.amdhsa_user_sgpr_queue_ptr 0
		.amdhsa_user_sgpr_kernarg_segment_ptr 1
		.amdhsa_user_sgpr_dispatch_id 0
		.amdhsa_user_sgpr_kernarg_preload_length 0
		.amdhsa_user_sgpr_kernarg_preload_offset 0
		.amdhsa_user_sgpr_private_segment_size 0
		.amdhsa_uses_dynamic_stack 0
		.amdhsa_enable_private_segment 0
		.amdhsa_system_sgpr_workgroup_id_x 1
		.amdhsa_system_sgpr_workgroup_id_y 0
		.amdhsa_system_sgpr_workgroup_id_z 0
		.amdhsa_system_sgpr_workgroup_info 0
		.amdhsa_system_vgpr_workitem_id 0
		.amdhsa_next_free_vgpr 1
		.amdhsa_next_free_sgpr 0
		.amdhsa_accum_offset 4
		.amdhsa_reserve_vcc 0
		.amdhsa_float_round_mode_32 0
		.amdhsa_float_round_mode_16_64 0
		.amdhsa_float_denorm_mode_32 3
		.amdhsa_float_denorm_mode_16_64 3
		.amdhsa_dx10_clamp 1
		.amdhsa_ieee_mode 1
		.amdhsa_fp16_overflow 0
		.amdhsa_tg_split 0
		.amdhsa_exception_fp_ieee_invalid_op 0
		.amdhsa_exception_fp_denorm_src 0
		.amdhsa_exception_fp_ieee_div_zero 0
		.amdhsa_exception_fp_ieee_overflow 0
		.amdhsa_exception_fp_ieee_underflow 0
		.amdhsa_exception_fp_ieee_inexact 0
		.amdhsa_exception_int_div_zero 0
	.end_amdhsa_kernel
	.section	.text._ZN7rocprim17ROCPRIM_400000_NS6detail17trampoline_kernelINS0_13kernel_configILj256ELj4ELj4294967295EEENS1_37radix_sort_block_sort_config_selectorIyyEEZNS1_21radix_sort_block_sortIS4_Lb0EN6thrust23THRUST_200600_302600_NS6detail15normal_iteratorINS9_10device_ptrIyEEEESE_SE_SE_NS0_19identity_decomposerEEE10hipError_tT1_T2_T3_T4_jRjT5_jjP12ihipStream_tbEUlT_E_NS1_11comp_targetILNS1_3genE10ELNS1_11target_archE1201ELNS1_3gpuE5ELNS1_3repE0EEENS1_44radix_sort_block_sort_config_static_selectorELNS0_4arch9wavefront6targetE1EEEvSH_,"axG",@progbits,_ZN7rocprim17ROCPRIM_400000_NS6detail17trampoline_kernelINS0_13kernel_configILj256ELj4ELj4294967295EEENS1_37radix_sort_block_sort_config_selectorIyyEEZNS1_21radix_sort_block_sortIS4_Lb0EN6thrust23THRUST_200600_302600_NS6detail15normal_iteratorINS9_10device_ptrIyEEEESE_SE_SE_NS0_19identity_decomposerEEE10hipError_tT1_T2_T3_T4_jRjT5_jjP12ihipStream_tbEUlT_E_NS1_11comp_targetILNS1_3genE10ELNS1_11target_archE1201ELNS1_3gpuE5ELNS1_3repE0EEENS1_44radix_sort_block_sort_config_static_selectorELNS0_4arch9wavefront6targetE1EEEvSH_,comdat
.Lfunc_end383:
	.size	_ZN7rocprim17ROCPRIM_400000_NS6detail17trampoline_kernelINS0_13kernel_configILj256ELj4ELj4294967295EEENS1_37radix_sort_block_sort_config_selectorIyyEEZNS1_21radix_sort_block_sortIS4_Lb0EN6thrust23THRUST_200600_302600_NS6detail15normal_iteratorINS9_10device_ptrIyEEEESE_SE_SE_NS0_19identity_decomposerEEE10hipError_tT1_T2_T3_T4_jRjT5_jjP12ihipStream_tbEUlT_E_NS1_11comp_targetILNS1_3genE10ELNS1_11target_archE1201ELNS1_3gpuE5ELNS1_3repE0EEENS1_44radix_sort_block_sort_config_static_selectorELNS0_4arch9wavefront6targetE1EEEvSH_, .Lfunc_end383-_ZN7rocprim17ROCPRIM_400000_NS6detail17trampoline_kernelINS0_13kernel_configILj256ELj4ELj4294967295EEENS1_37radix_sort_block_sort_config_selectorIyyEEZNS1_21radix_sort_block_sortIS4_Lb0EN6thrust23THRUST_200600_302600_NS6detail15normal_iteratorINS9_10device_ptrIyEEEESE_SE_SE_NS0_19identity_decomposerEEE10hipError_tT1_T2_T3_T4_jRjT5_jjP12ihipStream_tbEUlT_E_NS1_11comp_targetILNS1_3genE10ELNS1_11target_archE1201ELNS1_3gpuE5ELNS1_3repE0EEENS1_44radix_sort_block_sort_config_static_selectorELNS0_4arch9wavefront6targetE1EEEvSH_
                                        ; -- End function
	.set _ZN7rocprim17ROCPRIM_400000_NS6detail17trampoline_kernelINS0_13kernel_configILj256ELj4ELj4294967295EEENS1_37radix_sort_block_sort_config_selectorIyyEEZNS1_21radix_sort_block_sortIS4_Lb0EN6thrust23THRUST_200600_302600_NS6detail15normal_iteratorINS9_10device_ptrIyEEEESE_SE_SE_NS0_19identity_decomposerEEE10hipError_tT1_T2_T3_T4_jRjT5_jjP12ihipStream_tbEUlT_E_NS1_11comp_targetILNS1_3genE10ELNS1_11target_archE1201ELNS1_3gpuE5ELNS1_3repE0EEENS1_44radix_sort_block_sort_config_static_selectorELNS0_4arch9wavefront6targetE1EEEvSH_.num_vgpr, 0
	.set _ZN7rocprim17ROCPRIM_400000_NS6detail17trampoline_kernelINS0_13kernel_configILj256ELj4ELj4294967295EEENS1_37radix_sort_block_sort_config_selectorIyyEEZNS1_21radix_sort_block_sortIS4_Lb0EN6thrust23THRUST_200600_302600_NS6detail15normal_iteratorINS9_10device_ptrIyEEEESE_SE_SE_NS0_19identity_decomposerEEE10hipError_tT1_T2_T3_T4_jRjT5_jjP12ihipStream_tbEUlT_E_NS1_11comp_targetILNS1_3genE10ELNS1_11target_archE1201ELNS1_3gpuE5ELNS1_3repE0EEENS1_44radix_sort_block_sort_config_static_selectorELNS0_4arch9wavefront6targetE1EEEvSH_.num_agpr, 0
	.set _ZN7rocprim17ROCPRIM_400000_NS6detail17trampoline_kernelINS0_13kernel_configILj256ELj4ELj4294967295EEENS1_37radix_sort_block_sort_config_selectorIyyEEZNS1_21radix_sort_block_sortIS4_Lb0EN6thrust23THRUST_200600_302600_NS6detail15normal_iteratorINS9_10device_ptrIyEEEESE_SE_SE_NS0_19identity_decomposerEEE10hipError_tT1_T2_T3_T4_jRjT5_jjP12ihipStream_tbEUlT_E_NS1_11comp_targetILNS1_3genE10ELNS1_11target_archE1201ELNS1_3gpuE5ELNS1_3repE0EEENS1_44radix_sort_block_sort_config_static_selectorELNS0_4arch9wavefront6targetE1EEEvSH_.numbered_sgpr, 0
	.set _ZN7rocprim17ROCPRIM_400000_NS6detail17trampoline_kernelINS0_13kernel_configILj256ELj4ELj4294967295EEENS1_37radix_sort_block_sort_config_selectorIyyEEZNS1_21radix_sort_block_sortIS4_Lb0EN6thrust23THRUST_200600_302600_NS6detail15normal_iteratorINS9_10device_ptrIyEEEESE_SE_SE_NS0_19identity_decomposerEEE10hipError_tT1_T2_T3_T4_jRjT5_jjP12ihipStream_tbEUlT_E_NS1_11comp_targetILNS1_3genE10ELNS1_11target_archE1201ELNS1_3gpuE5ELNS1_3repE0EEENS1_44radix_sort_block_sort_config_static_selectorELNS0_4arch9wavefront6targetE1EEEvSH_.num_named_barrier, 0
	.set _ZN7rocprim17ROCPRIM_400000_NS6detail17trampoline_kernelINS0_13kernel_configILj256ELj4ELj4294967295EEENS1_37radix_sort_block_sort_config_selectorIyyEEZNS1_21radix_sort_block_sortIS4_Lb0EN6thrust23THRUST_200600_302600_NS6detail15normal_iteratorINS9_10device_ptrIyEEEESE_SE_SE_NS0_19identity_decomposerEEE10hipError_tT1_T2_T3_T4_jRjT5_jjP12ihipStream_tbEUlT_E_NS1_11comp_targetILNS1_3genE10ELNS1_11target_archE1201ELNS1_3gpuE5ELNS1_3repE0EEENS1_44radix_sort_block_sort_config_static_selectorELNS0_4arch9wavefront6targetE1EEEvSH_.private_seg_size, 0
	.set _ZN7rocprim17ROCPRIM_400000_NS6detail17trampoline_kernelINS0_13kernel_configILj256ELj4ELj4294967295EEENS1_37radix_sort_block_sort_config_selectorIyyEEZNS1_21radix_sort_block_sortIS4_Lb0EN6thrust23THRUST_200600_302600_NS6detail15normal_iteratorINS9_10device_ptrIyEEEESE_SE_SE_NS0_19identity_decomposerEEE10hipError_tT1_T2_T3_T4_jRjT5_jjP12ihipStream_tbEUlT_E_NS1_11comp_targetILNS1_3genE10ELNS1_11target_archE1201ELNS1_3gpuE5ELNS1_3repE0EEENS1_44radix_sort_block_sort_config_static_selectorELNS0_4arch9wavefront6targetE1EEEvSH_.uses_vcc, 0
	.set _ZN7rocprim17ROCPRIM_400000_NS6detail17trampoline_kernelINS0_13kernel_configILj256ELj4ELj4294967295EEENS1_37radix_sort_block_sort_config_selectorIyyEEZNS1_21radix_sort_block_sortIS4_Lb0EN6thrust23THRUST_200600_302600_NS6detail15normal_iteratorINS9_10device_ptrIyEEEESE_SE_SE_NS0_19identity_decomposerEEE10hipError_tT1_T2_T3_T4_jRjT5_jjP12ihipStream_tbEUlT_E_NS1_11comp_targetILNS1_3genE10ELNS1_11target_archE1201ELNS1_3gpuE5ELNS1_3repE0EEENS1_44radix_sort_block_sort_config_static_selectorELNS0_4arch9wavefront6targetE1EEEvSH_.uses_flat_scratch, 0
	.set _ZN7rocprim17ROCPRIM_400000_NS6detail17trampoline_kernelINS0_13kernel_configILj256ELj4ELj4294967295EEENS1_37radix_sort_block_sort_config_selectorIyyEEZNS1_21radix_sort_block_sortIS4_Lb0EN6thrust23THRUST_200600_302600_NS6detail15normal_iteratorINS9_10device_ptrIyEEEESE_SE_SE_NS0_19identity_decomposerEEE10hipError_tT1_T2_T3_T4_jRjT5_jjP12ihipStream_tbEUlT_E_NS1_11comp_targetILNS1_3genE10ELNS1_11target_archE1201ELNS1_3gpuE5ELNS1_3repE0EEENS1_44radix_sort_block_sort_config_static_selectorELNS0_4arch9wavefront6targetE1EEEvSH_.has_dyn_sized_stack, 0
	.set _ZN7rocprim17ROCPRIM_400000_NS6detail17trampoline_kernelINS0_13kernel_configILj256ELj4ELj4294967295EEENS1_37radix_sort_block_sort_config_selectorIyyEEZNS1_21radix_sort_block_sortIS4_Lb0EN6thrust23THRUST_200600_302600_NS6detail15normal_iteratorINS9_10device_ptrIyEEEESE_SE_SE_NS0_19identity_decomposerEEE10hipError_tT1_T2_T3_T4_jRjT5_jjP12ihipStream_tbEUlT_E_NS1_11comp_targetILNS1_3genE10ELNS1_11target_archE1201ELNS1_3gpuE5ELNS1_3repE0EEENS1_44radix_sort_block_sort_config_static_selectorELNS0_4arch9wavefront6targetE1EEEvSH_.has_recursion, 0
	.set _ZN7rocprim17ROCPRIM_400000_NS6detail17trampoline_kernelINS0_13kernel_configILj256ELj4ELj4294967295EEENS1_37radix_sort_block_sort_config_selectorIyyEEZNS1_21radix_sort_block_sortIS4_Lb0EN6thrust23THRUST_200600_302600_NS6detail15normal_iteratorINS9_10device_ptrIyEEEESE_SE_SE_NS0_19identity_decomposerEEE10hipError_tT1_T2_T3_T4_jRjT5_jjP12ihipStream_tbEUlT_E_NS1_11comp_targetILNS1_3genE10ELNS1_11target_archE1201ELNS1_3gpuE5ELNS1_3repE0EEENS1_44radix_sort_block_sort_config_static_selectorELNS0_4arch9wavefront6targetE1EEEvSH_.has_indirect_call, 0
	.section	.AMDGPU.csdata,"",@progbits
; Kernel info:
; codeLenInByte = 0
; TotalNumSgprs: 6
; NumVgprs: 0
; NumAgprs: 0
; TotalNumVgprs: 0
; ScratchSize: 0
; MemoryBound: 0
; FloatMode: 240
; IeeeMode: 1
; LDSByteSize: 0 bytes/workgroup (compile time only)
; SGPRBlocks: 0
; VGPRBlocks: 0
; NumSGPRsForWavesPerEU: 6
; NumVGPRsForWavesPerEU: 1
; AccumOffset: 4
; Occupancy: 8
; WaveLimiterHint : 0
; COMPUTE_PGM_RSRC2:SCRATCH_EN: 0
; COMPUTE_PGM_RSRC2:USER_SGPR: 2
; COMPUTE_PGM_RSRC2:TRAP_HANDLER: 0
; COMPUTE_PGM_RSRC2:TGID_X_EN: 1
; COMPUTE_PGM_RSRC2:TGID_Y_EN: 0
; COMPUTE_PGM_RSRC2:TGID_Z_EN: 0
; COMPUTE_PGM_RSRC2:TIDIG_COMP_CNT: 0
; COMPUTE_PGM_RSRC3_GFX90A:ACCUM_OFFSET: 0
; COMPUTE_PGM_RSRC3_GFX90A:TG_SPLIT: 0
	.section	.text._ZN7rocprim17ROCPRIM_400000_NS6detail17trampoline_kernelINS0_13kernel_configILj256ELj4ELj4294967295EEENS1_37radix_sort_block_sort_config_selectorIyyEEZNS1_21radix_sort_block_sortIS4_Lb0EN6thrust23THRUST_200600_302600_NS6detail15normal_iteratorINS9_10device_ptrIyEEEESE_SE_SE_NS0_19identity_decomposerEEE10hipError_tT1_T2_T3_T4_jRjT5_jjP12ihipStream_tbEUlT_E_NS1_11comp_targetILNS1_3genE10ELNS1_11target_archE1200ELNS1_3gpuE4ELNS1_3repE0EEENS1_44radix_sort_block_sort_config_static_selectorELNS0_4arch9wavefront6targetE1EEEvSH_,"axG",@progbits,_ZN7rocprim17ROCPRIM_400000_NS6detail17trampoline_kernelINS0_13kernel_configILj256ELj4ELj4294967295EEENS1_37radix_sort_block_sort_config_selectorIyyEEZNS1_21radix_sort_block_sortIS4_Lb0EN6thrust23THRUST_200600_302600_NS6detail15normal_iteratorINS9_10device_ptrIyEEEESE_SE_SE_NS0_19identity_decomposerEEE10hipError_tT1_T2_T3_T4_jRjT5_jjP12ihipStream_tbEUlT_E_NS1_11comp_targetILNS1_3genE10ELNS1_11target_archE1200ELNS1_3gpuE4ELNS1_3repE0EEENS1_44radix_sort_block_sort_config_static_selectorELNS0_4arch9wavefront6targetE1EEEvSH_,comdat
	.protected	_ZN7rocprim17ROCPRIM_400000_NS6detail17trampoline_kernelINS0_13kernel_configILj256ELj4ELj4294967295EEENS1_37radix_sort_block_sort_config_selectorIyyEEZNS1_21radix_sort_block_sortIS4_Lb0EN6thrust23THRUST_200600_302600_NS6detail15normal_iteratorINS9_10device_ptrIyEEEESE_SE_SE_NS0_19identity_decomposerEEE10hipError_tT1_T2_T3_T4_jRjT5_jjP12ihipStream_tbEUlT_E_NS1_11comp_targetILNS1_3genE10ELNS1_11target_archE1200ELNS1_3gpuE4ELNS1_3repE0EEENS1_44radix_sort_block_sort_config_static_selectorELNS0_4arch9wavefront6targetE1EEEvSH_ ; -- Begin function _ZN7rocprim17ROCPRIM_400000_NS6detail17trampoline_kernelINS0_13kernel_configILj256ELj4ELj4294967295EEENS1_37radix_sort_block_sort_config_selectorIyyEEZNS1_21radix_sort_block_sortIS4_Lb0EN6thrust23THRUST_200600_302600_NS6detail15normal_iteratorINS9_10device_ptrIyEEEESE_SE_SE_NS0_19identity_decomposerEEE10hipError_tT1_T2_T3_T4_jRjT5_jjP12ihipStream_tbEUlT_E_NS1_11comp_targetILNS1_3genE10ELNS1_11target_archE1200ELNS1_3gpuE4ELNS1_3repE0EEENS1_44radix_sort_block_sort_config_static_selectorELNS0_4arch9wavefront6targetE1EEEvSH_
	.globl	_ZN7rocprim17ROCPRIM_400000_NS6detail17trampoline_kernelINS0_13kernel_configILj256ELj4ELj4294967295EEENS1_37radix_sort_block_sort_config_selectorIyyEEZNS1_21radix_sort_block_sortIS4_Lb0EN6thrust23THRUST_200600_302600_NS6detail15normal_iteratorINS9_10device_ptrIyEEEESE_SE_SE_NS0_19identity_decomposerEEE10hipError_tT1_T2_T3_T4_jRjT5_jjP12ihipStream_tbEUlT_E_NS1_11comp_targetILNS1_3genE10ELNS1_11target_archE1200ELNS1_3gpuE4ELNS1_3repE0EEENS1_44radix_sort_block_sort_config_static_selectorELNS0_4arch9wavefront6targetE1EEEvSH_
	.p2align	8
	.type	_ZN7rocprim17ROCPRIM_400000_NS6detail17trampoline_kernelINS0_13kernel_configILj256ELj4ELj4294967295EEENS1_37radix_sort_block_sort_config_selectorIyyEEZNS1_21radix_sort_block_sortIS4_Lb0EN6thrust23THRUST_200600_302600_NS6detail15normal_iteratorINS9_10device_ptrIyEEEESE_SE_SE_NS0_19identity_decomposerEEE10hipError_tT1_T2_T3_T4_jRjT5_jjP12ihipStream_tbEUlT_E_NS1_11comp_targetILNS1_3genE10ELNS1_11target_archE1200ELNS1_3gpuE4ELNS1_3repE0EEENS1_44radix_sort_block_sort_config_static_selectorELNS0_4arch9wavefront6targetE1EEEvSH_,@function
_ZN7rocprim17ROCPRIM_400000_NS6detail17trampoline_kernelINS0_13kernel_configILj256ELj4ELj4294967295EEENS1_37radix_sort_block_sort_config_selectorIyyEEZNS1_21radix_sort_block_sortIS4_Lb0EN6thrust23THRUST_200600_302600_NS6detail15normal_iteratorINS9_10device_ptrIyEEEESE_SE_SE_NS0_19identity_decomposerEEE10hipError_tT1_T2_T3_T4_jRjT5_jjP12ihipStream_tbEUlT_E_NS1_11comp_targetILNS1_3genE10ELNS1_11target_archE1200ELNS1_3gpuE4ELNS1_3repE0EEENS1_44radix_sort_block_sort_config_static_selectorELNS0_4arch9wavefront6targetE1EEEvSH_: ; @_ZN7rocprim17ROCPRIM_400000_NS6detail17trampoline_kernelINS0_13kernel_configILj256ELj4ELj4294967295EEENS1_37radix_sort_block_sort_config_selectorIyyEEZNS1_21radix_sort_block_sortIS4_Lb0EN6thrust23THRUST_200600_302600_NS6detail15normal_iteratorINS9_10device_ptrIyEEEESE_SE_SE_NS0_19identity_decomposerEEE10hipError_tT1_T2_T3_T4_jRjT5_jjP12ihipStream_tbEUlT_E_NS1_11comp_targetILNS1_3genE10ELNS1_11target_archE1200ELNS1_3gpuE4ELNS1_3repE0EEENS1_44radix_sort_block_sort_config_static_selectorELNS0_4arch9wavefront6targetE1EEEvSH_
; %bb.0:
	.section	.rodata,"a",@progbits
	.p2align	6, 0x0
	.amdhsa_kernel _ZN7rocprim17ROCPRIM_400000_NS6detail17trampoline_kernelINS0_13kernel_configILj256ELj4ELj4294967295EEENS1_37radix_sort_block_sort_config_selectorIyyEEZNS1_21radix_sort_block_sortIS4_Lb0EN6thrust23THRUST_200600_302600_NS6detail15normal_iteratorINS9_10device_ptrIyEEEESE_SE_SE_NS0_19identity_decomposerEEE10hipError_tT1_T2_T3_T4_jRjT5_jjP12ihipStream_tbEUlT_E_NS1_11comp_targetILNS1_3genE10ELNS1_11target_archE1200ELNS1_3gpuE4ELNS1_3repE0EEENS1_44radix_sort_block_sort_config_static_selectorELNS0_4arch9wavefront6targetE1EEEvSH_
		.amdhsa_group_segment_fixed_size 0
		.amdhsa_private_segment_fixed_size 0
		.amdhsa_kernarg_size 48
		.amdhsa_user_sgpr_count 2
		.amdhsa_user_sgpr_dispatch_ptr 0
		.amdhsa_user_sgpr_queue_ptr 0
		.amdhsa_user_sgpr_kernarg_segment_ptr 1
		.amdhsa_user_sgpr_dispatch_id 0
		.amdhsa_user_sgpr_kernarg_preload_length 0
		.amdhsa_user_sgpr_kernarg_preload_offset 0
		.amdhsa_user_sgpr_private_segment_size 0
		.amdhsa_uses_dynamic_stack 0
		.amdhsa_enable_private_segment 0
		.amdhsa_system_sgpr_workgroup_id_x 1
		.amdhsa_system_sgpr_workgroup_id_y 0
		.amdhsa_system_sgpr_workgroup_id_z 0
		.amdhsa_system_sgpr_workgroup_info 0
		.amdhsa_system_vgpr_workitem_id 0
		.amdhsa_next_free_vgpr 1
		.amdhsa_next_free_sgpr 0
		.amdhsa_accum_offset 4
		.amdhsa_reserve_vcc 0
		.amdhsa_float_round_mode_32 0
		.amdhsa_float_round_mode_16_64 0
		.amdhsa_float_denorm_mode_32 3
		.amdhsa_float_denorm_mode_16_64 3
		.amdhsa_dx10_clamp 1
		.amdhsa_ieee_mode 1
		.amdhsa_fp16_overflow 0
		.amdhsa_tg_split 0
		.amdhsa_exception_fp_ieee_invalid_op 0
		.amdhsa_exception_fp_denorm_src 0
		.amdhsa_exception_fp_ieee_div_zero 0
		.amdhsa_exception_fp_ieee_overflow 0
		.amdhsa_exception_fp_ieee_underflow 0
		.amdhsa_exception_fp_ieee_inexact 0
		.amdhsa_exception_int_div_zero 0
	.end_amdhsa_kernel
	.section	.text._ZN7rocprim17ROCPRIM_400000_NS6detail17trampoline_kernelINS0_13kernel_configILj256ELj4ELj4294967295EEENS1_37radix_sort_block_sort_config_selectorIyyEEZNS1_21radix_sort_block_sortIS4_Lb0EN6thrust23THRUST_200600_302600_NS6detail15normal_iteratorINS9_10device_ptrIyEEEESE_SE_SE_NS0_19identity_decomposerEEE10hipError_tT1_T2_T3_T4_jRjT5_jjP12ihipStream_tbEUlT_E_NS1_11comp_targetILNS1_3genE10ELNS1_11target_archE1200ELNS1_3gpuE4ELNS1_3repE0EEENS1_44radix_sort_block_sort_config_static_selectorELNS0_4arch9wavefront6targetE1EEEvSH_,"axG",@progbits,_ZN7rocprim17ROCPRIM_400000_NS6detail17trampoline_kernelINS0_13kernel_configILj256ELj4ELj4294967295EEENS1_37radix_sort_block_sort_config_selectorIyyEEZNS1_21radix_sort_block_sortIS4_Lb0EN6thrust23THRUST_200600_302600_NS6detail15normal_iteratorINS9_10device_ptrIyEEEESE_SE_SE_NS0_19identity_decomposerEEE10hipError_tT1_T2_T3_T4_jRjT5_jjP12ihipStream_tbEUlT_E_NS1_11comp_targetILNS1_3genE10ELNS1_11target_archE1200ELNS1_3gpuE4ELNS1_3repE0EEENS1_44radix_sort_block_sort_config_static_selectorELNS0_4arch9wavefront6targetE1EEEvSH_,comdat
.Lfunc_end384:
	.size	_ZN7rocprim17ROCPRIM_400000_NS6detail17trampoline_kernelINS0_13kernel_configILj256ELj4ELj4294967295EEENS1_37radix_sort_block_sort_config_selectorIyyEEZNS1_21radix_sort_block_sortIS4_Lb0EN6thrust23THRUST_200600_302600_NS6detail15normal_iteratorINS9_10device_ptrIyEEEESE_SE_SE_NS0_19identity_decomposerEEE10hipError_tT1_T2_T3_T4_jRjT5_jjP12ihipStream_tbEUlT_E_NS1_11comp_targetILNS1_3genE10ELNS1_11target_archE1200ELNS1_3gpuE4ELNS1_3repE0EEENS1_44radix_sort_block_sort_config_static_selectorELNS0_4arch9wavefront6targetE1EEEvSH_, .Lfunc_end384-_ZN7rocprim17ROCPRIM_400000_NS6detail17trampoline_kernelINS0_13kernel_configILj256ELj4ELj4294967295EEENS1_37radix_sort_block_sort_config_selectorIyyEEZNS1_21radix_sort_block_sortIS4_Lb0EN6thrust23THRUST_200600_302600_NS6detail15normal_iteratorINS9_10device_ptrIyEEEESE_SE_SE_NS0_19identity_decomposerEEE10hipError_tT1_T2_T3_T4_jRjT5_jjP12ihipStream_tbEUlT_E_NS1_11comp_targetILNS1_3genE10ELNS1_11target_archE1200ELNS1_3gpuE4ELNS1_3repE0EEENS1_44radix_sort_block_sort_config_static_selectorELNS0_4arch9wavefront6targetE1EEEvSH_
                                        ; -- End function
	.set _ZN7rocprim17ROCPRIM_400000_NS6detail17trampoline_kernelINS0_13kernel_configILj256ELj4ELj4294967295EEENS1_37radix_sort_block_sort_config_selectorIyyEEZNS1_21radix_sort_block_sortIS4_Lb0EN6thrust23THRUST_200600_302600_NS6detail15normal_iteratorINS9_10device_ptrIyEEEESE_SE_SE_NS0_19identity_decomposerEEE10hipError_tT1_T2_T3_T4_jRjT5_jjP12ihipStream_tbEUlT_E_NS1_11comp_targetILNS1_3genE10ELNS1_11target_archE1200ELNS1_3gpuE4ELNS1_3repE0EEENS1_44radix_sort_block_sort_config_static_selectorELNS0_4arch9wavefront6targetE1EEEvSH_.num_vgpr, 0
	.set _ZN7rocprim17ROCPRIM_400000_NS6detail17trampoline_kernelINS0_13kernel_configILj256ELj4ELj4294967295EEENS1_37radix_sort_block_sort_config_selectorIyyEEZNS1_21radix_sort_block_sortIS4_Lb0EN6thrust23THRUST_200600_302600_NS6detail15normal_iteratorINS9_10device_ptrIyEEEESE_SE_SE_NS0_19identity_decomposerEEE10hipError_tT1_T2_T3_T4_jRjT5_jjP12ihipStream_tbEUlT_E_NS1_11comp_targetILNS1_3genE10ELNS1_11target_archE1200ELNS1_3gpuE4ELNS1_3repE0EEENS1_44radix_sort_block_sort_config_static_selectorELNS0_4arch9wavefront6targetE1EEEvSH_.num_agpr, 0
	.set _ZN7rocprim17ROCPRIM_400000_NS6detail17trampoline_kernelINS0_13kernel_configILj256ELj4ELj4294967295EEENS1_37radix_sort_block_sort_config_selectorIyyEEZNS1_21radix_sort_block_sortIS4_Lb0EN6thrust23THRUST_200600_302600_NS6detail15normal_iteratorINS9_10device_ptrIyEEEESE_SE_SE_NS0_19identity_decomposerEEE10hipError_tT1_T2_T3_T4_jRjT5_jjP12ihipStream_tbEUlT_E_NS1_11comp_targetILNS1_3genE10ELNS1_11target_archE1200ELNS1_3gpuE4ELNS1_3repE0EEENS1_44radix_sort_block_sort_config_static_selectorELNS0_4arch9wavefront6targetE1EEEvSH_.numbered_sgpr, 0
	.set _ZN7rocprim17ROCPRIM_400000_NS6detail17trampoline_kernelINS0_13kernel_configILj256ELj4ELj4294967295EEENS1_37radix_sort_block_sort_config_selectorIyyEEZNS1_21radix_sort_block_sortIS4_Lb0EN6thrust23THRUST_200600_302600_NS6detail15normal_iteratorINS9_10device_ptrIyEEEESE_SE_SE_NS0_19identity_decomposerEEE10hipError_tT1_T2_T3_T4_jRjT5_jjP12ihipStream_tbEUlT_E_NS1_11comp_targetILNS1_3genE10ELNS1_11target_archE1200ELNS1_3gpuE4ELNS1_3repE0EEENS1_44radix_sort_block_sort_config_static_selectorELNS0_4arch9wavefront6targetE1EEEvSH_.num_named_barrier, 0
	.set _ZN7rocprim17ROCPRIM_400000_NS6detail17trampoline_kernelINS0_13kernel_configILj256ELj4ELj4294967295EEENS1_37radix_sort_block_sort_config_selectorIyyEEZNS1_21radix_sort_block_sortIS4_Lb0EN6thrust23THRUST_200600_302600_NS6detail15normal_iteratorINS9_10device_ptrIyEEEESE_SE_SE_NS0_19identity_decomposerEEE10hipError_tT1_T2_T3_T4_jRjT5_jjP12ihipStream_tbEUlT_E_NS1_11comp_targetILNS1_3genE10ELNS1_11target_archE1200ELNS1_3gpuE4ELNS1_3repE0EEENS1_44radix_sort_block_sort_config_static_selectorELNS0_4arch9wavefront6targetE1EEEvSH_.private_seg_size, 0
	.set _ZN7rocprim17ROCPRIM_400000_NS6detail17trampoline_kernelINS0_13kernel_configILj256ELj4ELj4294967295EEENS1_37radix_sort_block_sort_config_selectorIyyEEZNS1_21radix_sort_block_sortIS4_Lb0EN6thrust23THRUST_200600_302600_NS6detail15normal_iteratorINS9_10device_ptrIyEEEESE_SE_SE_NS0_19identity_decomposerEEE10hipError_tT1_T2_T3_T4_jRjT5_jjP12ihipStream_tbEUlT_E_NS1_11comp_targetILNS1_3genE10ELNS1_11target_archE1200ELNS1_3gpuE4ELNS1_3repE0EEENS1_44radix_sort_block_sort_config_static_selectorELNS0_4arch9wavefront6targetE1EEEvSH_.uses_vcc, 0
	.set _ZN7rocprim17ROCPRIM_400000_NS6detail17trampoline_kernelINS0_13kernel_configILj256ELj4ELj4294967295EEENS1_37radix_sort_block_sort_config_selectorIyyEEZNS1_21radix_sort_block_sortIS4_Lb0EN6thrust23THRUST_200600_302600_NS6detail15normal_iteratorINS9_10device_ptrIyEEEESE_SE_SE_NS0_19identity_decomposerEEE10hipError_tT1_T2_T3_T4_jRjT5_jjP12ihipStream_tbEUlT_E_NS1_11comp_targetILNS1_3genE10ELNS1_11target_archE1200ELNS1_3gpuE4ELNS1_3repE0EEENS1_44radix_sort_block_sort_config_static_selectorELNS0_4arch9wavefront6targetE1EEEvSH_.uses_flat_scratch, 0
	.set _ZN7rocprim17ROCPRIM_400000_NS6detail17trampoline_kernelINS0_13kernel_configILj256ELj4ELj4294967295EEENS1_37radix_sort_block_sort_config_selectorIyyEEZNS1_21radix_sort_block_sortIS4_Lb0EN6thrust23THRUST_200600_302600_NS6detail15normal_iteratorINS9_10device_ptrIyEEEESE_SE_SE_NS0_19identity_decomposerEEE10hipError_tT1_T2_T3_T4_jRjT5_jjP12ihipStream_tbEUlT_E_NS1_11comp_targetILNS1_3genE10ELNS1_11target_archE1200ELNS1_3gpuE4ELNS1_3repE0EEENS1_44radix_sort_block_sort_config_static_selectorELNS0_4arch9wavefront6targetE1EEEvSH_.has_dyn_sized_stack, 0
	.set _ZN7rocprim17ROCPRIM_400000_NS6detail17trampoline_kernelINS0_13kernel_configILj256ELj4ELj4294967295EEENS1_37radix_sort_block_sort_config_selectorIyyEEZNS1_21radix_sort_block_sortIS4_Lb0EN6thrust23THRUST_200600_302600_NS6detail15normal_iteratorINS9_10device_ptrIyEEEESE_SE_SE_NS0_19identity_decomposerEEE10hipError_tT1_T2_T3_T4_jRjT5_jjP12ihipStream_tbEUlT_E_NS1_11comp_targetILNS1_3genE10ELNS1_11target_archE1200ELNS1_3gpuE4ELNS1_3repE0EEENS1_44radix_sort_block_sort_config_static_selectorELNS0_4arch9wavefront6targetE1EEEvSH_.has_recursion, 0
	.set _ZN7rocprim17ROCPRIM_400000_NS6detail17trampoline_kernelINS0_13kernel_configILj256ELj4ELj4294967295EEENS1_37radix_sort_block_sort_config_selectorIyyEEZNS1_21radix_sort_block_sortIS4_Lb0EN6thrust23THRUST_200600_302600_NS6detail15normal_iteratorINS9_10device_ptrIyEEEESE_SE_SE_NS0_19identity_decomposerEEE10hipError_tT1_T2_T3_T4_jRjT5_jjP12ihipStream_tbEUlT_E_NS1_11comp_targetILNS1_3genE10ELNS1_11target_archE1200ELNS1_3gpuE4ELNS1_3repE0EEENS1_44radix_sort_block_sort_config_static_selectorELNS0_4arch9wavefront6targetE1EEEvSH_.has_indirect_call, 0
	.section	.AMDGPU.csdata,"",@progbits
; Kernel info:
; codeLenInByte = 0
; TotalNumSgprs: 6
; NumVgprs: 0
; NumAgprs: 0
; TotalNumVgprs: 0
; ScratchSize: 0
; MemoryBound: 0
; FloatMode: 240
; IeeeMode: 1
; LDSByteSize: 0 bytes/workgroup (compile time only)
; SGPRBlocks: 0
; VGPRBlocks: 0
; NumSGPRsForWavesPerEU: 6
; NumVGPRsForWavesPerEU: 1
; AccumOffset: 4
; Occupancy: 8
; WaveLimiterHint : 0
; COMPUTE_PGM_RSRC2:SCRATCH_EN: 0
; COMPUTE_PGM_RSRC2:USER_SGPR: 2
; COMPUTE_PGM_RSRC2:TRAP_HANDLER: 0
; COMPUTE_PGM_RSRC2:TGID_X_EN: 1
; COMPUTE_PGM_RSRC2:TGID_Y_EN: 0
; COMPUTE_PGM_RSRC2:TGID_Z_EN: 0
; COMPUTE_PGM_RSRC2:TIDIG_COMP_CNT: 0
; COMPUTE_PGM_RSRC3_GFX90A:ACCUM_OFFSET: 0
; COMPUTE_PGM_RSRC3_GFX90A:TG_SPLIT: 0
	.section	.text._ZN7rocprim17ROCPRIM_400000_NS6detail17trampoline_kernelINS0_13kernel_configILj256ELj4ELj4294967295EEENS1_37radix_sort_block_sort_config_selectorIyyEEZNS1_21radix_sort_block_sortIS4_Lb0EN6thrust23THRUST_200600_302600_NS6detail15normal_iteratorINS9_10device_ptrIyEEEESE_SE_SE_NS0_19identity_decomposerEEE10hipError_tT1_T2_T3_T4_jRjT5_jjP12ihipStream_tbEUlT_E_NS1_11comp_targetILNS1_3genE9ELNS1_11target_archE1100ELNS1_3gpuE3ELNS1_3repE0EEENS1_44radix_sort_block_sort_config_static_selectorELNS0_4arch9wavefront6targetE1EEEvSH_,"axG",@progbits,_ZN7rocprim17ROCPRIM_400000_NS6detail17trampoline_kernelINS0_13kernel_configILj256ELj4ELj4294967295EEENS1_37radix_sort_block_sort_config_selectorIyyEEZNS1_21radix_sort_block_sortIS4_Lb0EN6thrust23THRUST_200600_302600_NS6detail15normal_iteratorINS9_10device_ptrIyEEEESE_SE_SE_NS0_19identity_decomposerEEE10hipError_tT1_T2_T3_T4_jRjT5_jjP12ihipStream_tbEUlT_E_NS1_11comp_targetILNS1_3genE9ELNS1_11target_archE1100ELNS1_3gpuE3ELNS1_3repE0EEENS1_44radix_sort_block_sort_config_static_selectorELNS0_4arch9wavefront6targetE1EEEvSH_,comdat
	.protected	_ZN7rocprim17ROCPRIM_400000_NS6detail17trampoline_kernelINS0_13kernel_configILj256ELj4ELj4294967295EEENS1_37radix_sort_block_sort_config_selectorIyyEEZNS1_21radix_sort_block_sortIS4_Lb0EN6thrust23THRUST_200600_302600_NS6detail15normal_iteratorINS9_10device_ptrIyEEEESE_SE_SE_NS0_19identity_decomposerEEE10hipError_tT1_T2_T3_T4_jRjT5_jjP12ihipStream_tbEUlT_E_NS1_11comp_targetILNS1_3genE9ELNS1_11target_archE1100ELNS1_3gpuE3ELNS1_3repE0EEENS1_44radix_sort_block_sort_config_static_selectorELNS0_4arch9wavefront6targetE1EEEvSH_ ; -- Begin function _ZN7rocprim17ROCPRIM_400000_NS6detail17trampoline_kernelINS0_13kernel_configILj256ELj4ELj4294967295EEENS1_37radix_sort_block_sort_config_selectorIyyEEZNS1_21radix_sort_block_sortIS4_Lb0EN6thrust23THRUST_200600_302600_NS6detail15normal_iteratorINS9_10device_ptrIyEEEESE_SE_SE_NS0_19identity_decomposerEEE10hipError_tT1_T2_T3_T4_jRjT5_jjP12ihipStream_tbEUlT_E_NS1_11comp_targetILNS1_3genE9ELNS1_11target_archE1100ELNS1_3gpuE3ELNS1_3repE0EEENS1_44radix_sort_block_sort_config_static_selectorELNS0_4arch9wavefront6targetE1EEEvSH_
	.globl	_ZN7rocprim17ROCPRIM_400000_NS6detail17trampoline_kernelINS0_13kernel_configILj256ELj4ELj4294967295EEENS1_37radix_sort_block_sort_config_selectorIyyEEZNS1_21radix_sort_block_sortIS4_Lb0EN6thrust23THRUST_200600_302600_NS6detail15normal_iteratorINS9_10device_ptrIyEEEESE_SE_SE_NS0_19identity_decomposerEEE10hipError_tT1_T2_T3_T4_jRjT5_jjP12ihipStream_tbEUlT_E_NS1_11comp_targetILNS1_3genE9ELNS1_11target_archE1100ELNS1_3gpuE3ELNS1_3repE0EEENS1_44radix_sort_block_sort_config_static_selectorELNS0_4arch9wavefront6targetE1EEEvSH_
	.p2align	8
	.type	_ZN7rocprim17ROCPRIM_400000_NS6detail17trampoline_kernelINS0_13kernel_configILj256ELj4ELj4294967295EEENS1_37radix_sort_block_sort_config_selectorIyyEEZNS1_21radix_sort_block_sortIS4_Lb0EN6thrust23THRUST_200600_302600_NS6detail15normal_iteratorINS9_10device_ptrIyEEEESE_SE_SE_NS0_19identity_decomposerEEE10hipError_tT1_T2_T3_T4_jRjT5_jjP12ihipStream_tbEUlT_E_NS1_11comp_targetILNS1_3genE9ELNS1_11target_archE1100ELNS1_3gpuE3ELNS1_3repE0EEENS1_44radix_sort_block_sort_config_static_selectorELNS0_4arch9wavefront6targetE1EEEvSH_,@function
_ZN7rocprim17ROCPRIM_400000_NS6detail17trampoline_kernelINS0_13kernel_configILj256ELj4ELj4294967295EEENS1_37radix_sort_block_sort_config_selectorIyyEEZNS1_21radix_sort_block_sortIS4_Lb0EN6thrust23THRUST_200600_302600_NS6detail15normal_iteratorINS9_10device_ptrIyEEEESE_SE_SE_NS0_19identity_decomposerEEE10hipError_tT1_T2_T3_T4_jRjT5_jjP12ihipStream_tbEUlT_E_NS1_11comp_targetILNS1_3genE9ELNS1_11target_archE1100ELNS1_3gpuE3ELNS1_3repE0EEENS1_44radix_sort_block_sort_config_static_selectorELNS0_4arch9wavefront6targetE1EEEvSH_: ; @_ZN7rocprim17ROCPRIM_400000_NS6detail17trampoline_kernelINS0_13kernel_configILj256ELj4ELj4294967295EEENS1_37radix_sort_block_sort_config_selectorIyyEEZNS1_21radix_sort_block_sortIS4_Lb0EN6thrust23THRUST_200600_302600_NS6detail15normal_iteratorINS9_10device_ptrIyEEEESE_SE_SE_NS0_19identity_decomposerEEE10hipError_tT1_T2_T3_T4_jRjT5_jjP12ihipStream_tbEUlT_E_NS1_11comp_targetILNS1_3genE9ELNS1_11target_archE1100ELNS1_3gpuE3ELNS1_3repE0EEENS1_44radix_sort_block_sort_config_static_selectorELNS0_4arch9wavefront6targetE1EEEvSH_
; %bb.0:
	.section	.rodata,"a",@progbits
	.p2align	6, 0x0
	.amdhsa_kernel _ZN7rocprim17ROCPRIM_400000_NS6detail17trampoline_kernelINS0_13kernel_configILj256ELj4ELj4294967295EEENS1_37radix_sort_block_sort_config_selectorIyyEEZNS1_21radix_sort_block_sortIS4_Lb0EN6thrust23THRUST_200600_302600_NS6detail15normal_iteratorINS9_10device_ptrIyEEEESE_SE_SE_NS0_19identity_decomposerEEE10hipError_tT1_T2_T3_T4_jRjT5_jjP12ihipStream_tbEUlT_E_NS1_11comp_targetILNS1_3genE9ELNS1_11target_archE1100ELNS1_3gpuE3ELNS1_3repE0EEENS1_44radix_sort_block_sort_config_static_selectorELNS0_4arch9wavefront6targetE1EEEvSH_
		.amdhsa_group_segment_fixed_size 0
		.amdhsa_private_segment_fixed_size 0
		.amdhsa_kernarg_size 48
		.amdhsa_user_sgpr_count 2
		.amdhsa_user_sgpr_dispatch_ptr 0
		.amdhsa_user_sgpr_queue_ptr 0
		.amdhsa_user_sgpr_kernarg_segment_ptr 1
		.amdhsa_user_sgpr_dispatch_id 0
		.amdhsa_user_sgpr_kernarg_preload_length 0
		.amdhsa_user_sgpr_kernarg_preload_offset 0
		.amdhsa_user_sgpr_private_segment_size 0
		.amdhsa_uses_dynamic_stack 0
		.amdhsa_enable_private_segment 0
		.amdhsa_system_sgpr_workgroup_id_x 1
		.amdhsa_system_sgpr_workgroup_id_y 0
		.amdhsa_system_sgpr_workgroup_id_z 0
		.amdhsa_system_sgpr_workgroup_info 0
		.amdhsa_system_vgpr_workitem_id 0
		.amdhsa_next_free_vgpr 1
		.amdhsa_next_free_sgpr 0
		.amdhsa_accum_offset 4
		.amdhsa_reserve_vcc 0
		.amdhsa_float_round_mode_32 0
		.amdhsa_float_round_mode_16_64 0
		.amdhsa_float_denorm_mode_32 3
		.amdhsa_float_denorm_mode_16_64 3
		.amdhsa_dx10_clamp 1
		.amdhsa_ieee_mode 1
		.amdhsa_fp16_overflow 0
		.amdhsa_tg_split 0
		.amdhsa_exception_fp_ieee_invalid_op 0
		.amdhsa_exception_fp_denorm_src 0
		.amdhsa_exception_fp_ieee_div_zero 0
		.amdhsa_exception_fp_ieee_overflow 0
		.amdhsa_exception_fp_ieee_underflow 0
		.amdhsa_exception_fp_ieee_inexact 0
		.amdhsa_exception_int_div_zero 0
	.end_amdhsa_kernel
	.section	.text._ZN7rocprim17ROCPRIM_400000_NS6detail17trampoline_kernelINS0_13kernel_configILj256ELj4ELj4294967295EEENS1_37radix_sort_block_sort_config_selectorIyyEEZNS1_21radix_sort_block_sortIS4_Lb0EN6thrust23THRUST_200600_302600_NS6detail15normal_iteratorINS9_10device_ptrIyEEEESE_SE_SE_NS0_19identity_decomposerEEE10hipError_tT1_T2_T3_T4_jRjT5_jjP12ihipStream_tbEUlT_E_NS1_11comp_targetILNS1_3genE9ELNS1_11target_archE1100ELNS1_3gpuE3ELNS1_3repE0EEENS1_44radix_sort_block_sort_config_static_selectorELNS0_4arch9wavefront6targetE1EEEvSH_,"axG",@progbits,_ZN7rocprim17ROCPRIM_400000_NS6detail17trampoline_kernelINS0_13kernel_configILj256ELj4ELj4294967295EEENS1_37radix_sort_block_sort_config_selectorIyyEEZNS1_21radix_sort_block_sortIS4_Lb0EN6thrust23THRUST_200600_302600_NS6detail15normal_iteratorINS9_10device_ptrIyEEEESE_SE_SE_NS0_19identity_decomposerEEE10hipError_tT1_T2_T3_T4_jRjT5_jjP12ihipStream_tbEUlT_E_NS1_11comp_targetILNS1_3genE9ELNS1_11target_archE1100ELNS1_3gpuE3ELNS1_3repE0EEENS1_44radix_sort_block_sort_config_static_selectorELNS0_4arch9wavefront6targetE1EEEvSH_,comdat
.Lfunc_end385:
	.size	_ZN7rocprim17ROCPRIM_400000_NS6detail17trampoline_kernelINS0_13kernel_configILj256ELj4ELj4294967295EEENS1_37radix_sort_block_sort_config_selectorIyyEEZNS1_21radix_sort_block_sortIS4_Lb0EN6thrust23THRUST_200600_302600_NS6detail15normal_iteratorINS9_10device_ptrIyEEEESE_SE_SE_NS0_19identity_decomposerEEE10hipError_tT1_T2_T3_T4_jRjT5_jjP12ihipStream_tbEUlT_E_NS1_11comp_targetILNS1_3genE9ELNS1_11target_archE1100ELNS1_3gpuE3ELNS1_3repE0EEENS1_44radix_sort_block_sort_config_static_selectorELNS0_4arch9wavefront6targetE1EEEvSH_, .Lfunc_end385-_ZN7rocprim17ROCPRIM_400000_NS6detail17trampoline_kernelINS0_13kernel_configILj256ELj4ELj4294967295EEENS1_37radix_sort_block_sort_config_selectorIyyEEZNS1_21radix_sort_block_sortIS4_Lb0EN6thrust23THRUST_200600_302600_NS6detail15normal_iteratorINS9_10device_ptrIyEEEESE_SE_SE_NS0_19identity_decomposerEEE10hipError_tT1_T2_T3_T4_jRjT5_jjP12ihipStream_tbEUlT_E_NS1_11comp_targetILNS1_3genE9ELNS1_11target_archE1100ELNS1_3gpuE3ELNS1_3repE0EEENS1_44radix_sort_block_sort_config_static_selectorELNS0_4arch9wavefront6targetE1EEEvSH_
                                        ; -- End function
	.set _ZN7rocprim17ROCPRIM_400000_NS6detail17trampoline_kernelINS0_13kernel_configILj256ELj4ELj4294967295EEENS1_37radix_sort_block_sort_config_selectorIyyEEZNS1_21radix_sort_block_sortIS4_Lb0EN6thrust23THRUST_200600_302600_NS6detail15normal_iteratorINS9_10device_ptrIyEEEESE_SE_SE_NS0_19identity_decomposerEEE10hipError_tT1_T2_T3_T4_jRjT5_jjP12ihipStream_tbEUlT_E_NS1_11comp_targetILNS1_3genE9ELNS1_11target_archE1100ELNS1_3gpuE3ELNS1_3repE0EEENS1_44radix_sort_block_sort_config_static_selectorELNS0_4arch9wavefront6targetE1EEEvSH_.num_vgpr, 0
	.set _ZN7rocprim17ROCPRIM_400000_NS6detail17trampoline_kernelINS0_13kernel_configILj256ELj4ELj4294967295EEENS1_37radix_sort_block_sort_config_selectorIyyEEZNS1_21radix_sort_block_sortIS4_Lb0EN6thrust23THRUST_200600_302600_NS6detail15normal_iteratorINS9_10device_ptrIyEEEESE_SE_SE_NS0_19identity_decomposerEEE10hipError_tT1_T2_T3_T4_jRjT5_jjP12ihipStream_tbEUlT_E_NS1_11comp_targetILNS1_3genE9ELNS1_11target_archE1100ELNS1_3gpuE3ELNS1_3repE0EEENS1_44radix_sort_block_sort_config_static_selectorELNS0_4arch9wavefront6targetE1EEEvSH_.num_agpr, 0
	.set _ZN7rocprim17ROCPRIM_400000_NS6detail17trampoline_kernelINS0_13kernel_configILj256ELj4ELj4294967295EEENS1_37radix_sort_block_sort_config_selectorIyyEEZNS1_21radix_sort_block_sortIS4_Lb0EN6thrust23THRUST_200600_302600_NS6detail15normal_iteratorINS9_10device_ptrIyEEEESE_SE_SE_NS0_19identity_decomposerEEE10hipError_tT1_T2_T3_T4_jRjT5_jjP12ihipStream_tbEUlT_E_NS1_11comp_targetILNS1_3genE9ELNS1_11target_archE1100ELNS1_3gpuE3ELNS1_3repE0EEENS1_44radix_sort_block_sort_config_static_selectorELNS0_4arch9wavefront6targetE1EEEvSH_.numbered_sgpr, 0
	.set _ZN7rocprim17ROCPRIM_400000_NS6detail17trampoline_kernelINS0_13kernel_configILj256ELj4ELj4294967295EEENS1_37radix_sort_block_sort_config_selectorIyyEEZNS1_21radix_sort_block_sortIS4_Lb0EN6thrust23THRUST_200600_302600_NS6detail15normal_iteratorINS9_10device_ptrIyEEEESE_SE_SE_NS0_19identity_decomposerEEE10hipError_tT1_T2_T3_T4_jRjT5_jjP12ihipStream_tbEUlT_E_NS1_11comp_targetILNS1_3genE9ELNS1_11target_archE1100ELNS1_3gpuE3ELNS1_3repE0EEENS1_44radix_sort_block_sort_config_static_selectorELNS0_4arch9wavefront6targetE1EEEvSH_.num_named_barrier, 0
	.set _ZN7rocprim17ROCPRIM_400000_NS6detail17trampoline_kernelINS0_13kernel_configILj256ELj4ELj4294967295EEENS1_37radix_sort_block_sort_config_selectorIyyEEZNS1_21radix_sort_block_sortIS4_Lb0EN6thrust23THRUST_200600_302600_NS6detail15normal_iteratorINS9_10device_ptrIyEEEESE_SE_SE_NS0_19identity_decomposerEEE10hipError_tT1_T2_T3_T4_jRjT5_jjP12ihipStream_tbEUlT_E_NS1_11comp_targetILNS1_3genE9ELNS1_11target_archE1100ELNS1_3gpuE3ELNS1_3repE0EEENS1_44radix_sort_block_sort_config_static_selectorELNS0_4arch9wavefront6targetE1EEEvSH_.private_seg_size, 0
	.set _ZN7rocprim17ROCPRIM_400000_NS6detail17trampoline_kernelINS0_13kernel_configILj256ELj4ELj4294967295EEENS1_37radix_sort_block_sort_config_selectorIyyEEZNS1_21radix_sort_block_sortIS4_Lb0EN6thrust23THRUST_200600_302600_NS6detail15normal_iteratorINS9_10device_ptrIyEEEESE_SE_SE_NS0_19identity_decomposerEEE10hipError_tT1_T2_T3_T4_jRjT5_jjP12ihipStream_tbEUlT_E_NS1_11comp_targetILNS1_3genE9ELNS1_11target_archE1100ELNS1_3gpuE3ELNS1_3repE0EEENS1_44radix_sort_block_sort_config_static_selectorELNS0_4arch9wavefront6targetE1EEEvSH_.uses_vcc, 0
	.set _ZN7rocprim17ROCPRIM_400000_NS6detail17trampoline_kernelINS0_13kernel_configILj256ELj4ELj4294967295EEENS1_37radix_sort_block_sort_config_selectorIyyEEZNS1_21radix_sort_block_sortIS4_Lb0EN6thrust23THRUST_200600_302600_NS6detail15normal_iteratorINS9_10device_ptrIyEEEESE_SE_SE_NS0_19identity_decomposerEEE10hipError_tT1_T2_T3_T4_jRjT5_jjP12ihipStream_tbEUlT_E_NS1_11comp_targetILNS1_3genE9ELNS1_11target_archE1100ELNS1_3gpuE3ELNS1_3repE0EEENS1_44radix_sort_block_sort_config_static_selectorELNS0_4arch9wavefront6targetE1EEEvSH_.uses_flat_scratch, 0
	.set _ZN7rocprim17ROCPRIM_400000_NS6detail17trampoline_kernelINS0_13kernel_configILj256ELj4ELj4294967295EEENS1_37radix_sort_block_sort_config_selectorIyyEEZNS1_21radix_sort_block_sortIS4_Lb0EN6thrust23THRUST_200600_302600_NS6detail15normal_iteratorINS9_10device_ptrIyEEEESE_SE_SE_NS0_19identity_decomposerEEE10hipError_tT1_T2_T3_T4_jRjT5_jjP12ihipStream_tbEUlT_E_NS1_11comp_targetILNS1_3genE9ELNS1_11target_archE1100ELNS1_3gpuE3ELNS1_3repE0EEENS1_44radix_sort_block_sort_config_static_selectorELNS0_4arch9wavefront6targetE1EEEvSH_.has_dyn_sized_stack, 0
	.set _ZN7rocprim17ROCPRIM_400000_NS6detail17trampoline_kernelINS0_13kernel_configILj256ELj4ELj4294967295EEENS1_37radix_sort_block_sort_config_selectorIyyEEZNS1_21radix_sort_block_sortIS4_Lb0EN6thrust23THRUST_200600_302600_NS6detail15normal_iteratorINS9_10device_ptrIyEEEESE_SE_SE_NS0_19identity_decomposerEEE10hipError_tT1_T2_T3_T4_jRjT5_jjP12ihipStream_tbEUlT_E_NS1_11comp_targetILNS1_3genE9ELNS1_11target_archE1100ELNS1_3gpuE3ELNS1_3repE0EEENS1_44radix_sort_block_sort_config_static_selectorELNS0_4arch9wavefront6targetE1EEEvSH_.has_recursion, 0
	.set _ZN7rocprim17ROCPRIM_400000_NS6detail17trampoline_kernelINS0_13kernel_configILj256ELj4ELj4294967295EEENS1_37radix_sort_block_sort_config_selectorIyyEEZNS1_21radix_sort_block_sortIS4_Lb0EN6thrust23THRUST_200600_302600_NS6detail15normal_iteratorINS9_10device_ptrIyEEEESE_SE_SE_NS0_19identity_decomposerEEE10hipError_tT1_T2_T3_T4_jRjT5_jjP12ihipStream_tbEUlT_E_NS1_11comp_targetILNS1_3genE9ELNS1_11target_archE1100ELNS1_3gpuE3ELNS1_3repE0EEENS1_44radix_sort_block_sort_config_static_selectorELNS0_4arch9wavefront6targetE1EEEvSH_.has_indirect_call, 0
	.section	.AMDGPU.csdata,"",@progbits
; Kernel info:
; codeLenInByte = 0
; TotalNumSgprs: 6
; NumVgprs: 0
; NumAgprs: 0
; TotalNumVgprs: 0
; ScratchSize: 0
; MemoryBound: 0
; FloatMode: 240
; IeeeMode: 1
; LDSByteSize: 0 bytes/workgroup (compile time only)
; SGPRBlocks: 0
; VGPRBlocks: 0
; NumSGPRsForWavesPerEU: 6
; NumVGPRsForWavesPerEU: 1
; AccumOffset: 4
; Occupancy: 8
; WaveLimiterHint : 0
; COMPUTE_PGM_RSRC2:SCRATCH_EN: 0
; COMPUTE_PGM_RSRC2:USER_SGPR: 2
; COMPUTE_PGM_RSRC2:TRAP_HANDLER: 0
; COMPUTE_PGM_RSRC2:TGID_X_EN: 1
; COMPUTE_PGM_RSRC2:TGID_Y_EN: 0
; COMPUTE_PGM_RSRC2:TGID_Z_EN: 0
; COMPUTE_PGM_RSRC2:TIDIG_COMP_CNT: 0
; COMPUTE_PGM_RSRC3_GFX90A:ACCUM_OFFSET: 0
; COMPUTE_PGM_RSRC3_GFX90A:TG_SPLIT: 0
	.section	.text._ZN7rocprim17ROCPRIM_400000_NS6detail17trampoline_kernelINS0_13kernel_configILj256ELj4ELj4294967295EEENS1_37radix_sort_block_sort_config_selectorIyyEEZNS1_21radix_sort_block_sortIS4_Lb0EN6thrust23THRUST_200600_302600_NS6detail15normal_iteratorINS9_10device_ptrIyEEEESE_SE_SE_NS0_19identity_decomposerEEE10hipError_tT1_T2_T3_T4_jRjT5_jjP12ihipStream_tbEUlT_E_NS1_11comp_targetILNS1_3genE8ELNS1_11target_archE1030ELNS1_3gpuE2ELNS1_3repE0EEENS1_44radix_sort_block_sort_config_static_selectorELNS0_4arch9wavefront6targetE1EEEvSH_,"axG",@progbits,_ZN7rocprim17ROCPRIM_400000_NS6detail17trampoline_kernelINS0_13kernel_configILj256ELj4ELj4294967295EEENS1_37radix_sort_block_sort_config_selectorIyyEEZNS1_21radix_sort_block_sortIS4_Lb0EN6thrust23THRUST_200600_302600_NS6detail15normal_iteratorINS9_10device_ptrIyEEEESE_SE_SE_NS0_19identity_decomposerEEE10hipError_tT1_T2_T3_T4_jRjT5_jjP12ihipStream_tbEUlT_E_NS1_11comp_targetILNS1_3genE8ELNS1_11target_archE1030ELNS1_3gpuE2ELNS1_3repE0EEENS1_44radix_sort_block_sort_config_static_selectorELNS0_4arch9wavefront6targetE1EEEvSH_,comdat
	.protected	_ZN7rocprim17ROCPRIM_400000_NS6detail17trampoline_kernelINS0_13kernel_configILj256ELj4ELj4294967295EEENS1_37radix_sort_block_sort_config_selectorIyyEEZNS1_21radix_sort_block_sortIS4_Lb0EN6thrust23THRUST_200600_302600_NS6detail15normal_iteratorINS9_10device_ptrIyEEEESE_SE_SE_NS0_19identity_decomposerEEE10hipError_tT1_T2_T3_T4_jRjT5_jjP12ihipStream_tbEUlT_E_NS1_11comp_targetILNS1_3genE8ELNS1_11target_archE1030ELNS1_3gpuE2ELNS1_3repE0EEENS1_44radix_sort_block_sort_config_static_selectorELNS0_4arch9wavefront6targetE1EEEvSH_ ; -- Begin function _ZN7rocprim17ROCPRIM_400000_NS6detail17trampoline_kernelINS0_13kernel_configILj256ELj4ELj4294967295EEENS1_37radix_sort_block_sort_config_selectorIyyEEZNS1_21radix_sort_block_sortIS4_Lb0EN6thrust23THRUST_200600_302600_NS6detail15normal_iteratorINS9_10device_ptrIyEEEESE_SE_SE_NS0_19identity_decomposerEEE10hipError_tT1_T2_T3_T4_jRjT5_jjP12ihipStream_tbEUlT_E_NS1_11comp_targetILNS1_3genE8ELNS1_11target_archE1030ELNS1_3gpuE2ELNS1_3repE0EEENS1_44radix_sort_block_sort_config_static_selectorELNS0_4arch9wavefront6targetE1EEEvSH_
	.globl	_ZN7rocprim17ROCPRIM_400000_NS6detail17trampoline_kernelINS0_13kernel_configILj256ELj4ELj4294967295EEENS1_37radix_sort_block_sort_config_selectorIyyEEZNS1_21radix_sort_block_sortIS4_Lb0EN6thrust23THRUST_200600_302600_NS6detail15normal_iteratorINS9_10device_ptrIyEEEESE_SE_SE_NS0_19identity_decomposerEEE10hipError_tT1_T2_T3_T4_jRjT5_jjP12ihipStream_tbEUlT_E_NS1_11comp_targetILNS1_3genE8ELNS1_11target_archE1030ELNS1_3gpuE2ELNS1_3repE0EEENS1_44radix_sort_block_sort_config_static_selectorELNS0_4arch9wavefront6targetE1EEEvSH_
	.p2align	8
	.type	_ZN7rocprim17ROCPRIM_400000_NS6detail17trampoline_kernelINS0_13kernel_configILj256ELj4ELj4294967295EEENS1_37radix_sort_block_sort_config_selectorIyyEEZNS1_21radix_sort_block_sortIS4_Lb0EN6thrust23THRUST_200600_302600_NS6detail15normal_iteratorINS9_10device_ptrIyEEEESE_SE_SE_NS0_19identity_decomposerEEE10hipError_tT1_T2_T3_T4_jRjT5_jjP12ihipStream_tbEUlT_E_NS1_11comp_targetILNS1_3genE8ELNS1_11target_archE1030ELNS1_3gpuE2ELNS1_3repE0EEENS1_44radix_sort_block_sort_config_static_selectorELNS0_4arch9wavefront6targetE1EEEvSH_,@function
_ZN7rocprim17ROCPRIM_400000_NS6detail17trampoline_kernelINS0_13kernel_configILj256ELj4ELj4294967295EEENS1_37radix_sort_block_sort_config_selectorIyyEEZNS1_21radix_sort_block_sortIS4_Lb0EN6thrust23THRUST_200600_302600_NS6detail15normal_iteratorINS9_10device_ptrIyEEEESE_SE_SE_NS0_19identity_decomposerEEE10hipError_tT1_T2_T3_T4_jRjT5_jjP12ihipStream_tbEUlT_E_NS1_11comp_targetILNS1_3genE8ELNS1_11target_archE1030ELNS1_3gpuE2ELNS1_3repE0EEENS1_44radix_sort_block_sort_config_static_selectorELNS0_4arch9wavefront6targetE1EEEvSH_: ; @_ZN7rocprim17ROCPRIM_400000_NS6detail17trampoline_kernelINS0_13kernel_configILj256ELj4ELj4294967295EEENS1_37radix_sort_block_sort_config_selectorIyyEEZNS1_21radix_sort_block_sortIS4_Lb0EN6thrust23THRUST_200600_302600_NS6detail15normal_iteratorINS9_10device_ptrIyEEEESE_SE_SE_NS0_19identity_decomposerEEE10hipError_tT1_T2_T3_T4_jRjT5_jjP12ihipStream_tbEUlT_E_NS1_11comp_targetILNS1_3genE8ELNS1_11target_archE1030ELNS1_3gpuE2ELNS1_3repE0EEENS1_44radix_sort_block_sort_config_static_selectorELNS0_4arch9wavefront6targetE1EEEvSH_
; %bb.0:
	.section	.rodata,"a",@progbits
	.p2align	6, 0x0
	.amdhsa_kernel _ZN7rocprim17ROCPRIM_400000_NS6detail17trampoline_kernelINS0_13kernel_configILj256ELj4ELj4294967295EEENS1_37radix_sort_block_sort_config_selectorIyyEEZNS1_21radix_sort_block_sortIS4_Lb0EN6thrust23THRUST_200600_302600_NS6detail15normal_iteratorINS9_10device_ptrIyEEEESE_SE_SE_NS0_19identity_decomposerEEE10hipError_tT1_T2_T3_T4_jRjT5_jjP12ihipStream_tbEUlT_E_NS1_11comp_targetILNS1_3genE8ELNS1_11target_archE1030ELNS1_3gpuE2ELNS1_3repE0EEENS1_44radix_sort_block_sort_config_static_selectorELNS0_4arch9wavefront6targetE1EEEvSH_
		.amdhsa_group_segment_fixed_size 0
		.amdhsa_private_segment_fixed_size 0
		.amdhsa_kernarg_size 48
		.amdhsa_user_sgpr_count 2
		.amdhsa_user_sgpr_dispatch_ptr 0
		.amdhsa_user_sgpr_queue_ptr 0
		.amdhsa_user_sgpr_kernarg_segment_ptr 1
		.amdhsa_user_sgpr_dispatch_id 0
		.amdhsa_user_sgpr_kernarg_preload_length 0
		.amdhsa_user_sgpr_kernarg_preload_offset 0
		.amdhsa_user_sgpr_private_segment_size 0
		.amdhsa_uses_dynamic_stack 0
		.amdhsa_enable_private_segment 0
		.amdhsa_system_sgpr_workgroup_id_x 1
		.amdhsa_system_sgpr_workgroup_id_y 0
		.amdhsa_system_sgpr_workgroup_id_z 0
		.amdhsa_system_sgpr_workgroup_info 0
		.amdhsa_system_vgpr_workitem_id 0
		.amdhsa_next_free_vgpr 1
		.amdhsa_next_free_sgpr 0
		.amdhsa_accum_offset 4
		.amdhsa_reserve_vcc 0
		.amdhsa_float_round_mode_32 0
		.amdhsa_float_round_mode_16_64 0
		.amdhsa_float_denorm_mode_32 3
		.amdhsa_float_denorm_mode_16_64 3
		.amdhsa_dx10_clamp 1
		.amdhsa_ieee_mode 1
		.amdhsa_fp16_overflow 0
		.amdhsa_tg_split 0
		.amdhsa_exception_fp_ieee_invalid_op 0
		.amdhsa_exception_fp_denorm_src 0
		.amdhsa_exception_fp_ieee_div_zero 0
		.amdhsa_exception_fp_ieee_overflow 0
		.amdhsa_exception_fp_ieee_underflow 0
		.amdhsa_exception_fp_ieee_inexact 0
		.amdhsa_exception_int_div_zero 0
	.end_amdhsa_kernel
	.section	.text._ZN7rocprim17ROCPRIM_400000_NS6detail17trampoline_kernelINS0_13kernel_configILj256ELj4ELj4294967295EEENS1_37radix_sort_block_sort_config_selectorIyyEEZNS1_21radix_sort_block_sortIS4_Lb0EN6thrust23THRUST_200600_302600_NS6detail15normal_iteratorINS9_10device_ptrIyEEEESE_SE_SE_NS0_19identity_decomposerEEE10hipError_tT1_T2_T3_T4_jRjT5_jjP12ihipStream_tbEUlT_E_NS1_11comp_targetILNS1_3genE8ELNS1_11target_archE1030ELNS1_3gpuE2ELNS1_3repE0EEENS1_44radix_sort_block_sort_config_static_selectorELNS0_4arch9wavefront6targetE1EEEvSH_,"axG",@progbits,_ZN7rocprim17ROCPRIM_400000_NS6detail17trampoline_kernelINS0_13kernel_configILj256ELj4ELj4294967295EEENS1_37radix_sort_block_sort_config_selectorIyyEEZNS1_21radix_sort_block_sortIS4_Lb0EN6thrust23THRUST_200600_302600_NS6detail15normal_iteratorINS9_10device_ptrIyEEEESE_SE_SE_NS0_19identity_decomposerEEE10hipError_tT1_T2_T3_T4_jRjT5_jjP12ihipStream_tbEUlT_E_NS1_11comp_targetILNS1_3genE8ELNS1_11target_archE1030ELNS1_3gpuE2ELNS1_3repE0EEENS1_44radix_sort_block_sort_config_static_selectorELNS0_4arch9wavefront6targetE1EEEvSH_,comdat
.Lfunc_end386:
	.size	_ZN7rocprim17ROCPRIM_400000_NS6detail17trampoline_kernelINS0_13kernel_configILj256ELj4ELj4294967295EEENS1_37radix_sort_block_sort_config_selectorIyyEEZNS1_21radix_sort_block_sortIS4_Lb0EN6thrust23THRUST_200600_302600_NS6detail15normal_iteratorINS9_10device_ptrIyEEEESE_SE_SE_NS0_19identity_decomposerEEE10hipError_tT1_T2_T3_T4_jRjT5_jjP12ihipStream_tbEUlT_E_NS1_11comp_targetILNS1_3genE8ELNS1_11target_archE1030ELNS1_3gpuE2ELNS1_3repE0EEENS1_44radix_sort_block_sort_config_static_selectorELNS0_4arch9wavefront6targetE1EEEvSH_, .Lfunc_end386-_ZN7rocprim17ROCPRIM_400000_NS6detail17trampoline_kernelINS0_13kernel_configILj256ELj4ELj4294967295EEENS1_37radix_sort_block_sort_config_selectorIyyEEZNS1_21radix_sort_block_sortIS4_Lb0EN6thrust23THRUST_200600_302600_NS6detail15normal_iteratorINS9_10device_ptrIyEEEESE_SE_SE_NS0_19identity_decomposerEEE10hipError_tT1_T2_T3_T4_jRjT5_jjP12ihipStream_tbEUlT_E_NS1_11comp_targetILNS1_3genE8ELNS1_11target_archE1030ELNS1_3gpuE2ELNS1_3repE0EEENS1_44radix_sort_block_sort_config_static_selectorELNS0_4arch9wavefront6targetE1EEEvSH_
                                        ; -- End function
	.set _ZN7rocprim17ROCPRIM_400000_NS6detail17trampoline_kernelINS0_13kernel_configILj256ELj4ELj4294967295EEENS1_37radix_sort_block_sort_config_selectorIyyEEZNS1_21radix_sort_block_sortIS4_Lb0EN6thrust23THRUST_200600_302600_NS6detail15normal_iteratorINS9_10device_ptrIyEEEESE_SE_SE_NS0_19identity_decomposerEEE10hipError_tT1_T2_T3_T4_jRjT5_jjP12ihipStream_tbEUlT_E_NS1_11comp_targetILNS1_3genE8ELNS1_11target_archE1030ELNS1_3gpuE2ELNS1_3repE0EEENS1_44radix_sort_block_sort_config_static_selectorELNS0_4arch9wavefront6targetE1EEEvSH_.num_vgpr, 0
	.set _ZN7rocprim17ROCPRIM_400000_NS6detail17trampoline_kernelINS0_13kernel_configILj256ELj4ELj4294967295EEENS1_37radix_sort_block_sort_config_selectorIyyEEZNS1_21radix_sort_block_sortIS4_Lb0EN6thrust23THRUST_200600_302600_NS6detail15normal_iteratorINS9_10device_ptrIyEEEESE_SE_SE_NS0_19identity_decomposerEEE10hipError_tT1_T2_T3_T4_jRjT5_jjP12ihipStream_tbEUlT_E_NS1_11comp_targetILNS1_3genE8ELNS1_11target_archE1030ELNS1_3gpuE2ELNS1_3repE0EEENS1_44radix_sort_block_sort_config_static_selectorELNS0_4arch9wavefront6targetE1EEEvSH_.num_agpr, 0
	.set _ZN7rocprim17ROCPRIM_400000_NS6detail17trampoline_kernelINS0_13kernel_configILj256ELj4ELj4294967295EEENS1_37radix_sort_block_sort_config_selectorIyyEEZNS1_21radix_sort_block_sortIS4_Lb0EN6thrust23THRUST_200600_302600_NS6detail15normal_iteratorINS9_10device_ptrIyEEEESE_SE_SE_NS0_19identity_decomposerEEE10hipError_tT1_T2_T3_T4_jRjT5_jjP12ihipStream_tbEUlT_E_NS1_11comp_targetILNS1_3genE8ELNS1_11target_archE1030ELNS1_3gpuE2ELNS1_3repE0EEENS1_44radix_sort_block_sort_config_static_selectorELNS0_4arch9wavefront6targetE1EEEvSH_.numbered_sgpr, 0
	.set _ZN7rocprim17ROCPRIM_400000_NS6detail17trampoline_kernelINS0_13kernel_configILj256ELj4ELj4294967295EEENS1_37radix_sort_block_sort_config_selectorIyyEEZNS1_21radix_sort_block_sortIS4_Lb0EN6thrust23THRUST_200600_302600_NS6detail15normal_iteratorINS9_10device_ptrIyEEEESE_SE_SE_NS0_19identity_decomposerEEE10hipError_tT1_T2_T3_T4_jRjT5_jjP12ihipStream_tbEUlT_E_NS1_11comp_targetILNS1_3genE8ELNS1_11target_archE1030ELNS1_3gpuE2ELNS1_3repE0EEENS1_44radix_sort_block_sort_config_static_selectorELNS0_4arch9wavefront6targetE1EEEvSH_.num_named_barrier, 0
	.set _ZN7rocprim17ROCPRIM_400000_NS6detail17trampoline_kernelINS0_13kernel_configILj256ELj4ELj4294967295EEENS1_37radix_sort_block_sort_config_selectorIyyEEZNS1_21radix_sort_block_sortIS4_Lb0EN6thrust23THRUST_200600_302600_NS6detail15normal_iteratorINS9_10device_ptrIyEEEESE_SE_SE_NS0_19identity_decomposerEEE10hipError_tT1_T2_T3_T4_jRjT5_jjP12ihipStream_tbEUlT_E_NS1_11comp_targetILNS1_3genE8ELNS1_11target_archE1030ELNS1_3gpuE2ELNS1_3repE0EEENS1_44radix_sort_block_sort_config_static_selectorELNS0_4arch9wavefront6targetE1EEEvSH_.private_seg_size, 0
	.set _ZN7rocprim17ROCPRIM_400000_NS6detail17trampoline_kernelINS0_13kernel_configILj256ELj4ELj4294967295EEENS1_37radix_sort_block_sort_config_selectorIyyEEZNS1_21radix_sort_block_sortIS4_Lb0EN6thrust23THRUST_200600_302600_NS6detail15normal_iteratorINS9_10device_ptrIyEEEESE_SE_SE_NS0_19identity_decomposerEEE10hipError_tT1_T2_T3_T4_jRjT5_jjP12ihipStream_tbEUlT_E_NS1_11comp_targetILNS1_3genE8ELNS1_11target_archE1030ELNS1_3gpuE2ELNS1_3repE0EEENS1_44radix_sort_block_sort_config_static_selectorELNS0_4arch9wavefront6targetE1EEEvSH_.uses_vcc, 0
	.set _ZN7rocprim17ROCPRIM_400000_NS6detail17trampoline_kernelINS0_13kernel_configILj256ELj4ELj4294967295EEENS1_37radix_sort_block_sort_config_selectorIyyEEZNS1_21radix_sort_block_sortIS4_Lb0EN6thrust23THRUST_200600_302600_NS6detail15normal_iteratorINS9_10device_ptrIyEEEESE_SE_SE_NS0_19identity_decomposerEEE10hipError_tT1_T2_T3_T4_jRjT5_jjP12ihipStream_tbEUlT_E_NS1_11comp_targetILNS1_3genE8ELNS1_11target_archE1030ELNS1_3gpuE2ELNS1_3repE0EEENS1_44radix_sort_block_sort_config_static_selectorELNS0_4arch9wavefront6targetE1EEEvSH_.uses_flat_scratch, 0
	.set _ZN7rocprim17ROCPRIM_400000_NS6detail17trampoline_kernelINS0_13kernel_configILj256ELj4ELj4294967295EEENS1_37radix_sort_block_sort_config_selectorIyyEEZNS1_21radix_sort_block_sortIS4_Lb0EN6thrust23THRUST_200600_302600_NS6detail15normal_iteratorINS9_10device_ptrIyEEEESE_SE_SE_NS0_19identity_decomposerEEE10hipError_tT1_T2_T3_T4_jRjT5_jjP12ihipStream_tbEUlT_E_NS1_11comp_targetILNS1_3genE8ELNS1_11target_archE1030ELNS1_3gpuE2ELNS1_3repE0EEENS1_44radix_sort_block_sort_config_static_selectorELNS0_4arch9wavefront6targetE1EEEvSH_.has_dyn_sized_stack, 0
	.set _ZN7rocprim17ROCPRIM_400000_NS6detail17trampoline_kernelINS0_13kernel_configILj256ELj4ELj4294967295EEENS1_37radix_sort_block_sort_config_selectorIyyEEZNS1_21radix_sort_block_sortIS4_Lb0EN6thrust23THRUST_200600_302600_NS6detail15normal_iteratorINS9_10device_ptrIyEEEESE_SE_SE_NS0_19identity_decomposerEEE10hipError_tT1_T2_T3_T4_jRjT5_jjP12ihipStream_tbEUlT_E_NS1_11comp_targetILNS1_3genE8ELNS1_11target_archE1030ELNS1_3gpuE2ELNS1_3repE0EEENS1_44radix_sort_block_sort_config_static_selectorELNS0_4arch9wavefront6targetE1EEEvSH_.has_recursion, 0
	.set _ZN7rocprim17ROCPRIM_400000_NS6detail17trampoline_kernelINS0_13kernel_configILj256ELj4ELj4294967295EEENS1_37radix_sort_block_sort_config_selectorIyyEEZNS1_21radix_sort_block_sortIS4_Lb0EN6thrust23THRUST_200600_302600_NS6detail15normal_iteratorINS9_10device_ptrIyEEEESE_SE_SE_NS0_19identity_decomposerEEE10hipError_tT1_T2_T3_T4_jRjT5_jjP12ihipStream_tbEUlT_E_NS1_11comp_targetILNS1_3genE8ELNS1_11target_archE1030ELNS1_3gpuE2ELNS1_3repE0EEENS1_44radix_sort_block_sort_config_static_selectorELNS0_4arch9wavefront6targetE1EEEvSH_.has_indirect_call, 0
	.section	.AMDGPU.csdata,"",@progbits
; Kernel info:
; codeLenInByte = 0
; TotalNumSgprs: 6
; NumVgprs: 0
; NumAgprs: 0
; TotalNumVgprs: 0
; ScratchSize: 0
; MemoryBound: 0
; FloatMode: 240
; IeeeMode: 1
; LDSByteSize: 0 bytes/workgroup (compile time only)
; SGPRBlocks: 0
; VGPRBlocks: 0
; NumSGPRsForWavesPerEU: 6
; NumVGPRsForWavesPerEU: 1
; AccumOffset: 4
; Occupancy: 8
; WaveLimiterHint : 0
; COMPUTE_PGM_RSRC2:SCRATCH_EN: 0
; COMPUTE_PGM_RSRC2:USER_SGPR: 2
; COMPUTE_PGM_RSRC2:TRAP_HANDLER: 0
; COMPUTE_PGM_RSRC2:TGID_X_EN: 1
; COMPUTE_PGM_RSRC2:TGID_Y_EN: 0
; COMPUTE_PGM_RSRC2:TGID_Z_EN: 0
; COMPUTE_PGM_RSRC2:TIDIG_COMP_CNT: 0
; COMPUTE_PGM_RSRC3_GFX90A:ACCUM_OFFSET: 0
; COMPUTE_PGM_RSRC3_GFX90A:TG_SPLIT: 0
	.section	.text._ZN7rocprim17ROCPRIM_400000_NS6detail44device_merge_sort_compile_time_verifier_archINS1_11comp_targetILNS1_3genE0ELNS1_11target_archE4294967295ELNS1_3gpuE0ELNS1_3repE0EEES8_NS1_28merge_sort_block_sort_configILj256ELj4ELNS0_20block_sort_algorithmE0EEENS0_14default_configENS1_37merge_sort_block_sort_config_selectorIyyEENS1_38merge_sort_block_merge_config_selectorIyyEEEEvv,"axG",@progbits,_ZN7rocprim17ROCPRIM_400000_NS6detail44device_merge_sort_compile_time_verifier_archINS1_11comp_targetILNS1_3genE0ELNS1_11target_archE4294967295ELNS1_3gpuE0ELNS1_3repE0EEES8_NS1_28merge_sort_block_sort_configILj256ELj4ELNS0_20block_sort_algorithmE0EEENS0_14default_configENS1_37merge_sort_block_sort_config_selectorIyyEENS1_38merge_sort_block_merge_config_selectorIyyEEEEvv,comdat
	.protected	_ZN7rocprim17ROCPRIM_400000_NS6detail44device_merge_sort_compile_time_verifier_archINS1_11comp_targetILNS1_3genE0ELNS1_11target_archE4294967295ELNS1_3gpuE0ELNS1_3repE0EEES8_NS1_28merge_sort_block_sort_configILj256ELj4ELNS0_20block_sort_algorithmE0EEENS0_14default_configENS1_37merge_sort_block_sort_config_selectorIyyEENS1_38merge_sort_block_merge_config_selectorIyyEEEEvv ; -- Begin function _ZN7rocprim17ROCPRIM_400000_NS6detail44device_merge_sort_compile_time_verifier_archINS1_11comp_targetILNS1_3genE0ELNS1_11target_archE4294967295ELNS1_3gpuE0ELNS1_3repE0EEES8_NS1_28merge_sort_block_sort_configILj256ELj4ELNS0_20block_sort_algorithmE0EEENS0_14default_configENS1_37merge_sort_block_sort_config_selectorIyyEENS1_38merge_sort_block_merge_config_selectorIyyEEEEvv
	.globl	_ZN7rocprim17ROCPRIM_400000_NS6detail44device_merge_sort_compile_time_verifier_archINS1_11comp_targetILNS1_3genE0ELNS1_11target_archE4294967295ELNS1_3gpuE0ELNS1_3repE0EEES8_NS1_28merge_sort_block_sort_configILj256ELj4ELNS0_20block_sort_algorithmE0EEENS0_14default_configENS1_37merge_sort_block_sort_config_selectorIyyEENS1_38merge_sort_block_merge_config_selectorIyyEEEEvv
	.p2align	8
	.type	_ZN7rocprim17ROCPRIM_400000_NS6detail44device_merge_sort_compile_time_verifier_archINS1_11comp_targetILNS1_3genE0ELNS1_11target_archE4294967295ELNS1_3gpuE0ELNS1_3repE0EEES8_NS1_28merge_sort_block_sort_configILj256ELj4ELNS0_20block_sort_algorithmE0EEENS0_14default_configENS1_37merge_sort_block_sort_config_selectorIyyEENS1_38merge_sort_block_merge_config_selectorIyyEEEEvv,@function
_ZN7rocprim17ROCPRIM_400000_NS6detail44device_merge_sort_compile_time_verifier_archINS1_11comp_targetILNS1_3genE0ELNS1_11target_archE4294967295ELNS1_3gpuE0ELNS1_3repE0EEES8_NS1_28merge_sort_block_sort_configILj256ELj4ELNS0_20block_sort_algorithmE0EEENS0_14default_configENS1_37merge_sort_block_sort_config_selectorIyyEENS1_38merge_sort_block_merge_config_selectorIyyEEEEvv: ; @_ZN7rocprim17ROCPRIM_400000_NS6detail44device_merge_sort_compile_time_verifier_archINS1_11comp_targetILNS1_3genE0ELNS1_11target_archE4294967295ELNS1_3gpuE0ELNS1_3repE0EEES8_NS1_28merge_sort_block_sort_configILj256ELj4ELNS0_20block_sort_algorithmE0EEENS0_14default_configENS1_37merge_sort_block_sort_config_selectorIyyEENS1_38merge_sort_block_merge_config_selectorIyyEEEEvv
; %bb.0:
	s_endpgm
	.section	.rodata,"a",@progbits
	.p2align	6, 0x0
	.amdhsa_kernel _ZN7rocprim17ROCPRIM_400000_NS6detail44device_merge_sort_compile_time_verifier_archINS1_11comp_targetILNS1_3genE0ELNS1_11target_archE4294967295ELNS1_3gpuE0ELNS1_3repE0EEES8_NS1_28merge_sort_block_sort_configILj256ELj4ELNS0_20block_sort_algorithmE0EEENS0_14default_configENS1_37merge_sort_block_sort_config_selectorIyyEENS1_38merge_sort_block_merge_config_selectorIyyEEEEvv
		.amdhsa_group_segment_fixed_size 0
		.amdhsa_private_segment_fixed_size 0
		.amdhsa_kernarg_size 0
		.amdhsa_user_sgpr_count 0
		.amdhsa_user_sgpr_dispatch_ptr 0
		.amdhsa_user_sgpr_queue_ptr 0
		.amdhsa_user_sgpr_kernarg_segment_ptr 0
		.amdhsa_user_sgpr_dispatch_id 0
		.amdhsa_user_sgpr_kernarg_preload_length 0
		.amdhsa_user_sgpr_kernarg_preload_offset 0
		.amdhsa_user_sgpr_private_segment_size 0
		.amdhsa_uses_dynamic_stack 0
		.amdhsa_enable_private_segment 0
		.amdhsa_system_sgpr_workgroup_id_x 1
		.amdhsa_system_sgpr_workgroup_id_y 0
		.amdhsa_system_sgpr_workgroup_id_z 0
		.amdhsa_system_sgpr_workgroup_info 0
		.amdhsa_system_vgpr_workitem_id 0
		.amdhsa_next_free_vgpr 1
		.amdhsa_next_free_sgpr 0
		.amdhsa_accum_offset 4
		.amdhsa_reserve_vcc 0
		.amdhsa_float_round_mode_32 0
		.amdhsa_float_round_mode_16_64 0
		.amdhsa_float_denorm_mode_32 3
		.amdhsa_float_denorm_mode_16_64 3
		.amdhsa_dx10_clamp 1
		.amdhsa_ieee_mode 1
		.amdhsa_fp16_overflow 0
		.amdhsa_tg_split 0
		.amdhsa_exception_fp_ieee_invalid_op 0
		.amdhsa_exception_fp_denorm_src 0
		.amdhsa_exception_fp_ieee_div_zero 0
		.amdhsa_exception_fp_ieee_overflow 0
		.amdhsa_exception_fp_ieee_underflow 0
		.amdhsa_exception_fp_ieee_inexact 0
		.amdhsa_exception_int_div_zero 0
	.end_amdhsa_kernel
	.section	.text._ZN7rocprim17ROCPRIM_400000_NS6detail44device_merge_sort_compile_time_verifier_archINS1_11comp_targetILNS1_3genE0ELNS1_11target_archE4294967295ELNS1_3gpuE0ELNS1_3repE0EEES8_NS1_28merge_sort_block_sort_configILj256ELj4ELNS0_20block_sort_algorithmE0EEENS0_14default_configENS1_37merge_sort_block_sort_config_selectorIyyEENS1_38merge_sort_block_merge_config_selectorIyyEEEEvv,"axG",@progbits,_ZN7rocprim17ROCPRIM_400000_NS6detail44device_merge_sort_compile_time_verifier_archINS1_11comp_targetILNS1_3genE0ELNS1_11target_archE4294967295ELNS1_3gpuE0ELNS1_3repE0EEES8_NS1_28merge_sort_block_sort_configILj256ELj4ELNS0_20block_sort_algorithmE0EEENS0_14default_configENS1_37merge_sort_block_sort_config_selectorIyyEENS1_38merge_sort_block_merge_config_selectorIyyEEEEvv,comdat
.Lfunc_end387:
	.size	_ZN7rocprim17ROCPRIM_400000_NS6detail44device_merge_sort_compile_time_verifier_archINS1_11comp_targetILNS1_3genE0ELNS1_11target_archE4294967295ELNS1_3gpuE0ELNS1_3repE0EEES8_NS1_28merge_sort_block_sort_configILj256ELj4ELNS0_20block_sort_algorithmE0EEENS0_14default_configENS1_37merge_sort_block_sort_config_selectorIyyEENS1_38merge_sort_block_merge_config_selectorIyyEEEEvv, .Lfunc_end387-_ZN7rocprim17ROCPRIM_400000_NS6detail44device_merge_sort_compile_time_verifier_archINS1_11comp_targetILNS1_3genE0ELNS1_11target_archE4294967295ELNS1_3gpuE0ELNS1_3repE0EEES8_NS1_28merge_sort_block_sort_configILj256ELj4ELNS0_20block_sort_algorithmE0EEENS0_14default_configENS1_37merge_sort_block_sort_config_selectorIyyEENS1_38merge_sort_block_merge_config_selectorIyyEEEEvv
                                        ; -- End function
	.set _ZN7rocprim17ROCPRIM_400000_NS6detail44device_merge_sort_compile_time_verifier_archINS1_11comp_targetILNS1_3genE0ELNS1_11target_archE4294967295ELNS1_3gpuE0ELNS1_3repE0EEES8_NS1_28merge_sort_block_sort_configILj256ELj4ELNS0_20block_sort_algorithmE0EEENS0_14default_configENS1_37merge_sort_block_sort_config_selectorIyyEENS1_38merge_sort_block_merge_config_selectorIyyEEEEvv.num_vgpr, 0
	.set _ZN7rocprim17ROCPRIM_400000_NS6detail44device_merge_sort_compile_time_verifier_archINS1_11comp_targetILNS1_3genE0ELNS1_11target_archE4294967295ELNS1_3gpuE0ELNS1_3repE0EEES8_NS1_28merge_sort_block_sort_configILj256ELj4ELNS0_20block_sort_algorithmE0EEENS0_14default_configENS1_37merge_sort_block_sort_config_selectorIyyEENS1_38merge_sort_block_merge_config_selectorIyyEEEEvv.num_agpr, 0
	.set _ZN7rocprim17ROCPRIM_400000_NS6detail44device_merge_sort_compile_time_verifier_archINS1_11comp_targetILNS1_3genE0ELNS1_11target_archE4294967295ELNS1_3gpuE0ELNS1_3repE0EEES8_NS1_28merge_sort_block_sort_configILj256ELj4ELNS0_20block_sort_algorithmE0EEENS0_14default_configENS1_37merge_sort_block_sort_config_selectorIyyEENS1_38merge_sort_block_merge_config_selectorIyyEEEEvv.numbered_sgpr, 0
	.set _ZN7rocprim17ROCPRIM_400000_NS6detail44device_merge_sort_compile_time_verifier_archINS1_11comp_targetILNS1_3genE0ELNS1_11target_archE4294967295ELNS1_3gpuE0ELNS1_3repE0EEES8_NS1_28merge_sort_block_sort_configILj256ELj4ELNS0_20block_sort_algorithmE0EEENS0_14default_configENS1_37merge_sort_block_sort_config_selectorIyyEENS1_38merge_sort_block_merge_config_selectorIyyEEEEvv.num_named_barrier, 0
	.set _ZN7rocprim17ROCPRIM_400000_NS6detail44device_merge_sort_compile_time_verifier_archINS1_11comp_targetILNS1_3genE0ELNS1_11target_archE4294967295ELNS1_3gpuE0ELNS1_3repE0EEES8_NS1_28merge_sort_block_sort_configILj256ELj4ELNS0_20block_sort_algorithmE0EEENS0_14default_configENS1_37merge_sort_block_sort_config_selectorIyyEENS1_38merge_sort_block_merge_config_selectorIyyEEEEvv.private_seg_size, 0
	.set _ZN7rocprim17ROCPRIM_400000_NS6detail44device_merge_sort_compile_time_verifier_archINS1_11comp_targetILNS1_3genE0ELNS1_11target_archE4294967295ELNS1_3gpuE0ELNS1_3repE0EEES8_NS1_28merge_sort_block_sort_configILj256ELj4ELNS0_20block_sort_algorithmE0EEENS0_14default_configENS1_37merge_sort_block_sort_config_selectorIyyEENS1_38merge_sort_block_merge_config_selectorIyyEEEEvv.uses_vcc, 0
	.set _ZN7rocprim17ROCPRIM_400000_NS6detail44device_merge_sort_compile_time_verifier_archINS1_11comp_targetILNS1_3genE0ELNS1_11target_archE4294967295ELNS1_3gpuE0ELNS1_3repE0EEES8_NS1_28merge_sort_block_sort_configILj256ELj4ELNS0_20block_sort_algorithmE0EEENS0_14default_configENS1_37merge_sort_block_sort_config_selectorIyyEENS1_38merge_sort_block_merge_config_selectorIyyEEEEvv.uses_flat_scratch, 0
	.set _ZN7rocprim17ROCPRIM_400000_NS6detail44device_merge_sort_compile_time_verifier_archINS1_11comp_targetILNS1_3genE0ELNS1_11target_archE4294967295ELNS1_3gpuE0ELNS1_3repE0EEES8_NS1_28merge_sort_block_sort_configILj256ELj4ELNS0_20block_sort_algorithmE0EEENS0_14default_configENS1_37merge_sort_block_sort_config_selectorIyyEENS1_38merge_sort_block_merge_config_selectorIyyEEEEvv.has_dyn_sized_stack, 0
	.set _ZN7rocprim17ROCPRIM_400000_NS6detail44device_merge_sort_compile_time_verifier_archINS1_11comp_targetILNS1_3genE0ELNS1_11target_archE4294967295ELNS1_3gpuE0ELNS1_3repE0EEES8_NS1_28merge_sort_block_sort_configILj256ELj4ELNS0_20block_sort_algorithmE0EEENS0_14default_configENS1_37merge_sort_block_sort_config_selectorIyyEENS1_38merge_sort_block_merge_config_selectorIyyEEEEvv.has_recursion, 0
	.set _ZN7rocprim17ROCPRIM_400000_NS6detail44device_merge_sort_compile_time_verifier_archINS1_11comp_targetILNS1_3genE0ELNS1_11target_archE4294967295ELNS1_3gpuE0ELNS1_3repE0EEES8_NS1_28merge_sort_block_sort_configILj256ELj4ELNS0_20block_sort_algorithmE0EEENS0_14default_configENS1_37merge_sort_block_sort_config_selectorIyyEENS1_38merge_sort_block_merge_config_selectorIyyEEEEvv.has_indirect_call, 0
	.section	.AMDGPU.csdata,"",@progbits
; Kernel info:
; codeLenInByte = 4
; TotalNumSgprs: 6
; NumVgprs: 0
; NumAgprs: 0
; TotalNumVgprs: 0
; ScratchSize: 0
; MemoryBound: 0
; FloatMode: 240
; IeeeMode: 1
; LDSByteSize: 0 bytes/workgroup (compile time only)
; SGPRBlocks: 0
; VGPRBlocks: 0
; NumSGPRsForWavesPerEU: 6
; NumVGPRsForWavesPerEU: 1
; AccumOffset: 4
; Occupancy: 8
; WaveLimiterHint : 0
; COMPUTE_PGM_RSRC2:SCRATCH_EN: 0
; COMPUTE_PGM_RSRC2:USER_SGPR: 0
; COMPUTE_PGM_RSRC2:TRAP_HANDLER: 0
; COMPUTE_PGM_RSRC2:TGID_X_EN: 1
; COMPUTE_PGM_RSRC2:TGID_Y_EN: 0
; COMPUTE_PGM_RSRC2:TGID_Z_EN: 0
; COMPUTE_PGM_RSRC2:TIDIG_COMP_CNT: 0
; COMPUTE_PGM_RSRC3_GFX90A:ACCUM_OFFSET: 0
; COMPUTE_PGM_RSRC3_GFX90A:TG_SPLIT: 0
	.section	.text._ZN7rocprim17ROCPRIM_400000_NS6detail44device_merge_sort_compile_time_verifier_archINS1_11comp_targetILNS1_3genE5ELNS1_11target_archE942ELNS1_3gpuE9ELNS1_3repE0EEES8_NS1_28merge_sort_block_sort_configILj256ELj4ELNS0_20block_sort_algorithmE0EEENS0_14default_configENS1_37merge_sort_block_sort_config_selectorIyyEENS1_38merge_sort_block_merge_config_selectorIyyEEEEvv,"axG",@progbits,_ZN7rocprim17ROCPRIM_400000_NS6detail44device_merge_sort_compile_time_verifier_archINS1_11comp_targetILNS1_3genE5ELNS1_11target_archE942ELNS1_3gpuE9ELNS1_3repE0EEES8_NS1_28merge_sort_block_sort_configILj256ELj4ELNS0_20block_sort_algorithmE0EEENS0_14default_configENS1_37merge_sort_block_sort_config_selectorIyyEENS1_38merge_sort_block_merge_config_selectorIyyEEEEvv,comdat
	.protected	_ZN7rocprim17ROCPRIM_400000_NS6detail44device_merge_sort_compile_time_verifier_archINS1_11comp_targetILNS1_3genE5ELNS1_11target_archE942ELNS1_3gpuE9ELNS1_3repE0EEES8_NS1_28merge_sort_block_sort_configILj256ELj4ELNS0_20block_sort_algorithmE0EEENS0_14default_configENS1_37merge_sort_block_sort_config_selectorIyyEENS1_38merge_sort_block_merge_config_selectorIyyEEEEvv ; -- Begin function _ZN7rocprim17ROCPRIM_400000_NS6detail44device_merge_sort_compile_time_verifier_archINS1_11comp_targetILNS1_3genE5ELNS1_11target_archE942ELNS1_3gpuE9ELNS1_3repE0EEES8_NS1_28merge_sort_block_sort_configILj256ELj4ELNS0_20block_sort_algorithmE0EEENS0_14default_configENS1_37merge_sort_block_sort_config_selectorIyyEENS1_38merge_sort_block_merge_config_selectorIyyEEEEvv
	.globl	_ZN7rocprim17ROCPRIM_400000_NS6detail44device_merge_sort_compile_time_verifier_archINS1_11comp_targetILNS1_3genE5ELNS1_11target_archE942ELNS1_3gpuE9ELNS1_3repE0EEES8_NS1_28merge_sort_block_sort_configILj256ELj4ELNS0_20block_sort_algorithmE0EEENS0_14default_configENS1_37merge_sort_block_sort_config_selectorIyyEENS1_38merge_sort_block_merge_config_selectorIyyEEEEvv
	.p2align	8
	.type	_ZN7rocprim17ROCPRIM_400000_NS6detail44device_merge_sort_compile_time_verifier_archINS1_11comp_targetILNS1_3genE5ELNS1_11target_archE942ELNS1_3gpuE9ELNS1_3repE0EEES8_NS1_28merge_sort_block_sort_configILj256ELj4ELNS0_20block_sort_algorithmE0EEENS0_14default_configENS1_37merge_sort_block_sort_config_selectorIyyEENS1_38merge_sort_block_merge_config_selectorIyyEEEEvv,@function
_ZN7rocprim17ROCPRIM_400000_NS6detail44device_merge_sort_compile_time_verifier_archINS1_11comp_targetILNS1_3genE5ELNS1_11target_archE942ELNS1_3gpuE9ELNS1_3repE0EEES8_NS1_28merge_sort_block_sort_configILj256ELj4ELNS0_20block_sort_algorithmE0EEENS0_14default_configENS1_37merge_sort_block_sort_config_selectorIyyEENS1_38merge_sort_block_merge_config_selectorIyyEEEEvv: ; @_ZN7rocprim17ROCPRIM_400000_NS6detail44device_merge_sort_compile_time_verifier_archINS1_11comp_targetILNS1_3genE5ELNS1_11target_archE942ELNS1_3gpuE9ELNS1_3repE0EEES8_NS1_28merge_sort_block_sort_configILj256ELj4ELNS0_20block_sort_algorithmE0EEENS0_14default_configENS1_37merge_sort_block_sort_config_selectorIyyEENS1_38merge_sort_block_merge_config_selectorIyyEEEEvv
; %bb.0:
	s_endpgm
	.section	.rodata,"a",@progbits
	.p2align	6, 0x0
	.amdhsa_kernel _ZN7rocprim17ROCPRIM_400000_NS6detail44device_merge_sort_compile_time_verifier_archINS1_11comp_targetILNS1_3genE5ELNS1_11target_archE942ELNS1_3gpuE9ELNS1_3repE0EEES8_NS1_28merge_sort_block_sort_configILj256ELj4ELNS0_20block_sort_algorithmE0EEENS0_14default_configENS1_37merge_sort_block_sort_config_selectorIyyEENS1_38merge_sort_block_merge_config_selectorIyyEEEEvv
		.amdhsa_group_segment_fixed_size 0
		.amdhsa_private_segment_fixed_size 0
		.amdhsa_kernarg_size 0
		.amdhsa_user_sgpr_count 0
		.amdhsa_user_sgpr_dispatch_ptr 0
		.amdhsa_user_sgpr_queue_ptr 0
		.amdhsa_user_sgpr_kernarg_segment_ptr 0
		.amdhsa_user_sgpr_dispatch_id 0
		.amdhsa_user_sgpr_kernarg_preload_length 0
		.amdhsa_user_sgpr_kernarg_preload_offset 0
		.amdhsa_user_sgpr_private_segment_size 0
		.amdhsa_uses_dynamic_stack 0
		.amdhsa_enable_private_segment 0
		.amdhsa_system_sgpr_workgroup_id_x 1
		.amdhsa_system_sgpr_workgroup_id_y 0
		.amdhsa_system_sgpr_workgroup_id_z 0
		.amdhsa_system_sgpr_workgroup_info 0
		.amdhsa_system_vgpr_workitem_id 0
		.amdhsa_next_free_vgpr 1
		.amdhsa_next_free_sgpr 0
		.amdhsa_accum_offset 4
		.amdhsa_reserve_vcc 0
		.amdhsa_float_round_mode_32 0
		.amdhsa_float_round_mode_16_64 0
		.amdhsa_float_denorm_mode_32 3
		.amdhsa_float_denorm_mode_16_64 3
		.amdhsa_dx10_clamp 1
		.amdhsa_ieee_mode 1
		.amdhsa_fp16_overflow 0
		.amdhsa_tg_split 0
		.amdhsa_exception_fp_ieee_invalid_op 0
		.amdhsa_exception_fp_denorm_src 0
		.amdhsa_exception_fp_ieee_div_zero 0
		.amdhsa_exception_fp_ieee_overflow 0
		.amdhsa_exception_fp_ieee_underflow 0
		.amdhsa_exception_fp_ieee_inexact 0
		.amdhsa_exception_int_div_zero 0
	.end_amdhsa_kernel
	.section	.text._ZN7rocprim17ROCPRIM_400000_NS6detail44device_merge_sort_compile_time_verifier_archINS1_11comp_targetILNS1_3genE5ELNS1_11target_archE942ELNS1_3gpuE9ELNS1_3repE0EEES8_NS1_28merge_sort_block_sort_configILj256ELj4ELNS0_20block_sort_algorithmE0EEENS0_14default_configENS1_37merge_sort_block_sort_config_selectorIyyEENS1_38merge_sort_block_merge_config_selectorIyyEEEEvv,"axG",@progbits,_ZN7rocprim17ROCPRIM_400000_NS6detail44device_merge_sort_compile_time_verifier_archINS1_11comp_targetILNS1_3genE5ELNS1_11target_archE942ELNS1_3gpuE9ELNS1_3repE0EEES8_NS1_28merge_sort_block_sort_configILj256ELj4ELNS0_20block_sort_algorithmE0EEENS0_14default_configENS1_37merge_sort_block_sort_config_selectorIyyEENS1_38merge_sort_block_merge_config_selectorIyyEEEEvv,comdat
.Lfunc_end388:
	.size	_ZN7rocprim17ROCPRIM_400000_NS6detail44device_merge_sort_compile_time_verifier_archINS1_11comp_targetILNS1_3genE5ELNS1_11target_archE942ELNS1_3gpuE9ELNS1_3repE0EEES8_NS1_28merge_sort_block_sort_configILj256ELj4ELNS0_20block_sort_algorithmE0EEENS0_14default_configENS1_37merge_sort_block_sort_config_selectorIyyEENS1_38merge_sort_block_merge_config_selectorIyyEEEEvv, .Lfunc_end388-_ZN7rocprim17ROCPRIM_400000_NS6detail44device_merge_sort_compile_time_verifier_archINS1_11comp_targetILNS1_3genE5ELNS1_11target_archE942ELNS1_3gpuE9ELNS1_3repE0EEES8_NS1_28merge_sort_block_sort_configILj256ELj4ELNS0_20block_sort_algorithmE0EEENS0_14default_configENS1_37merge_sort_block_sort_config_selectorIyyEENS1_38merge_sort_block_merge_config_selectorIyyEEEEvv
                                        ; -- End function
	.set _ZN7rocprim17ROCPRIM_400000_NS6detail44device_merge_sort_compile_time_verifier_archINS1_11comp_targetILNS1_3genE5ELNS1_11target_archE942ELNS1_3gpuE9ELNS1_3repE0EEES8_NS1_28merge_sort_block_sort_configILj256ELj4ELNS0_20block_sort_algorithmE0EEENS0_14default_configENS1_37merge_sort_block_sort_config_selectorIyyEENS1_38merge_sort_block_merge_config_selectorIyyEEEEvv.num_vgpr, 0
	.set _ZN7rocprim17ROCPRIM_400000_NS6detail44device_merge_sort_compile_time_verifier_archINS1_11comp_targetILNS1_3genE5ELNS1_11target_archE942ELNS1_3gpuE9ELNS1_3repE0EEES8_NS1_28merge_sort_block_sort_configILj256ELj4ELNS0_20block_sort_algorithmE0EEENS0_14default_configENS1_37merge_sort_block_sort_config_selectorIyyEENS1_38merge_sort_block_merge_config_selectorIyyEEEEvv.num_agpr, 0
	.set _ZN7rocprim17ROCPRIM_400000_NS6detail44device_merge_sort_compile_time_verifier_archINS1_11comp_targetILNS1_3genE5ELNS1_11target_archE942ELNS1_3gpuE9ELNS1_3repE0EEES8_NS1_28merge_sort_block_sort_configILj256ELj4ELNS0_20block_sort_algorithmE0EEENS0_14default_configENS1_37merge_sort_block_sort_config_selectorIyyEENS1_38merge_sort_block_merge_config_selectorIyyEEEEvv.numbered_sgpr, 0
	.set _ZN7rocprim17ROCPRIM_400000_NS6detail44device_merge_sort_compile_time_verifier_archINS1_11comp_targetILNS1_3genE5ELNS1_11target_archE942ELNS1_3gpuE9ELNS1_3repE0EEES8_NS1_28merge_sort_block_sort_configILj256ELj4ELNS0_20block_sort_algorithmE0EEENS0_14default_configENS1_37merge_sort_block_sort_config_selectorIyyEENS1_38merge_sort_block_merge_config_selectorIyyEEEEvv.num_named_barrier, 0
	.set _ZN7rocprim17ROCPRIM_400000_NS6detail44device_merge_sort_compile_time_verifier_archINS1_11comp_targetILNS1_3genE5ELNS1_11target_archE942ELNS1_3gpuE9ELNS1_3repE0EEES8_NS1_28merge_sort_block_sort_configILj256ELj4ELNS0_20block_sort_algorithmE0EEENS0_14default_configENS1_37merge_sort_block_sort_config_selectorIyyEENS1_38merge_sort_block_merge_config_selectorIyyEEEEvv.private_seg_size, 0
	.set _ZN7rocprim17ROCPRIM_400000_NS6detail44device_merge_sort_compile_time_verifier_archINS1_11comp_targetILNS1_3genE5ELNS1_11target_archE942ELNS1_3gpuE9ELNS1_3repE0EEES8_NS1_28merge_sort_block_sort_configILj256ELj4ELNS0_20block_sort_algorithmE0EEENS0_14default_configENS1_37merge_sort_block_sort_config_selectorIyyEENS1_38merge_sort_block_merge_config_selectorIyyEEEEvv.uses_vcc, 0
	.set _ZN7rocprim17ROCPRIM_400000_NS6detail44device_merge_sort_compile_time_verifier_archINS1_11comp_targetILNS1_3genE5ELNS1_11target_archE942ELNS1_3gpuE9ELNS1_3repE0EEES8_NS1_28merge_sort_block_sort_configILj256ELj4ELNS0_20block_sort_algorithmE0EEENS0_14default_configENS1_37merge_sort_block_sort_config_selectorIyyEENS1_38merge_sort_block_merge_config_selectorIyyEEEEvv.uses_flat_scratch, 0
	.set _ZN7rocprim17ROCPRIM_400000_NS6detail44device_merge_sort_compile_time_verifier_archINS1_11comp_targetILNS1_3genE5ELNS1_11target_archE942ELNS1_3gpuE9ELNS1_3repE0EEES8_NS1_28merge_sort_block_sort_configILj256ELj4ELNS0_20block_sort_algorithmE0EEENS0_14default_configENS1_37merge_sort_block_sort_config_selectorIyyEENS1_38merge_sort_block_merge_config_selectorIyyEEEEvv.has_dyn_sized_stack, 0
	.set _ZN7rocprim17ROCPRIM_400000_NS6detail44device_merge_sort_compile_time_verifier_archINS1_11comp_targetILNS1_3genE5ELNS1_11target_archE942ELNS1_3gpuE9ELNS1_3repE0EEES8_NS1_28merge_sort_block_sort_configILj256ELj4ELNS0_20block_sort_algorithmE0EEENS0_14default_configENS1_37merge_sort_block_sort_config_selectorIyyEENS1_38merge_sort_block_merge_config_selectorIyyEEEEvv.has_recursion, 0
	.set _ZN7rocprim17ROCPRIM_400000_NS6detail44device_merge_sort_compile_time_verifier_archINS1_11comp_targetILNS1_3genE5ELNS1_11target_archE942ELNS1_3gpuE9ELNS1_3repE0EEES8_NS1_28merge_sort_block_sort_configILj256ELj4ELNS0_20block_sort_algorithmE0EEENS0_14default_configENS1_37merge_sort_block_sort_config_selectorIyyEENS1_38merge_sort_block_merge_config_selectorIyyEEEEvv.has_indirect_call, 0
	.section	.AMDGPU.csdata,"",@progbits
; Kernel info:
; codeLenInByte = 4
; TotalNumSgprs: 6
; NumVgprs: 0
; NumAgprs: 0
; TotalNumVgprs: 0
; ScratchSize: 0
; MemoryBound: 0
; FloatMode: 240
; IeeeMode: 1
; LDSByteSize: 0 bytes/workgroup (compile time only)
; SGPRBlocks: 0
; VGPRBlocks: 0
; NumSGPRsForWavesPerEU: 6
; NumVGPRsForWavesPerEU: 1
; AccumOffset: 4
; Occupancy: 8
; WaveLimiterHint : 0
; COMPUTE_PGM_RSRC2:SCRATCH_EN: 0
; COMPUTE_PGM_RSRC2:USER_SGPR: 0
; COMPUTE_PGM_RSRC2:TRAP_HANDLER: 0
; COMPUTE_PGM_RSRC2:TGID_X_EN: 1
; COMPUTE_PGM_RSRC2:TGID_Y_EN: 0
; COMPUTE_PGM_RSRC2:TGID_Z_EN: 0
; COMPUTE_PGM_RSRC2:TIDIG_COMP_CNT: 0
; COMPUTE_PGM_RSRC3_GFX90A:ACCUM_OFFSET: 0
; COMPUTE_PGM_RSRC3_GFX90A:TG_SPLIT: 0
	.section	.text._ZN7rocprim17ROCPRIM_400000_NS6detail44device_merge_sort_compile_time_verifier_archINS1_11comp_targetILNS1_3genE4ELNS1_11target_archE910ELNS1_3gpuE8ELNS1_3repE0EEES8_NS1_28merge_sort_block_sort_configILj256ELj4ELNS0_20block_sort_algorithmE0EEENS0_14default_configENS1_37merge_sort_block_sort_config_selectorIyyEENS1_38merge_sort_block_merge_config_selectorIyyEEEEvv,"axG",@progbits,_ZN7rocprim17ROCPRIM_400000_NS6detail44device_merge_sort_compile_time_verifier_archINS1_11comp_targetILNS1_3genE4ELNS1_11target_archE910ELNS1_3gpuE8ELNS1_3repE0EEES8_NS1_28merge_sort_block_sort_configILj256ELj4ELNS0_20block_sort_algorithmE0EEENS0_14default_configENS1_37merge_sort_block_sort_config_selectorIyyEENS1_38merge_sort_block_merge_config_selectorIyyEEEEvv,comdat
	.protected	_ZN7rocprim17ROCPRIM_400000_NS6detail44device_merge_sort_compile_time_verifier_archINS1_11comp_targetILNS1_3genE4ELNS1_11target_archE910ELNS1_3gpuE8ELNS1_3repE0EEES8_NS1_28merge_sort_block_sort_configILj256ELj4ELNS0_20block_sort_algorithmE0EEENS0_14default_configENS1_37merge_sort_block_sort_config_selectorIyyEENS1_38merge_sort_block_merge_config_selectorIyyEEEEvv ; -- Begin function _ZN7rocprim17ROCPRIM_400000_NS6detail44device_merge_sort_compile_time_verifier_archINS1_11comp_targetILNS1_3genE4ELNS1_11target_archE910ELNS1_3gpuE8ELNS1_3repE0EEES8_NS1_28merge_sort_block_sort_configILj256ELj4ELNS0_20block_sort_algorithmE0EEENS0_14default_configENS1_37merge_sort_block_sort_config_selectorIyyEENS1_38merge_sort_block_merge_config_selectorIyyEEEEvv
	.globl	_ZN7rocprim17ROCPRIM_400000_NS6detail44device_merge_sort_compile_time_verifier_archINS1_11comp_targetILNS1_3genE4ELNS1_11target_archE910ELNS1_3gpuE8ELNS1_3repE0EEES8_NS1_28merge_sort_block_sort_configILj256ELj4ELNS0_20block_sort_algorithmE0EEENS0_14default_configENS1_37merge_sort_block_sort_config_selectorIyyEENS1_38merge_sort_block_merge_config_selectorIyyEEEEvv
	.p2align	8
	.type	_ZN7rocprim17ROCPRIM_400000_NS6detail44device_merge_sort_compile_time_verifier_archINS1_11comp_targetILNS1_3genE4ELNS1_11target_archE910ELNS1_3gpuE8ELNS1_3repE0EEES8_NS1_28merge_sort_block_sort_configILj256ELj4ELNS0_20block_sort_algorithmE0EEENS0_14default_configENS1_37merge_sort_block_sort_config_selectorIyyEENS1_38merge_sort_block_merge_config_selectorIyyEEEEvv,@function
_ZN7rocprim17ROCPRIM_400000_NS6detail44device_merge_sort_compile_time_verifier_archINS1_11comp_targetILNS1_3genE4ELNS1_11target_archE910ELNS1_3gpuE8ELNS1_3repE0EEES8_NS1_28merge_sort_block_sort_configILj256ELj4ELNS0_20block_sort_algorithmE0EEENS0_14default_configENS1_37merge_sort_block_sort_config_selectorIyyEENS1_38merge_sort_block_merge_config_selectorIyyEEEEvv: ; @_ZN7rocprim17ROCPRIM_400000_NS6detail44device_merge_sort_compile_time_verifier_archINS1_11comp_targetILNS1_3genE4ELNS1_11target_archE910ELNS1_3gpuE8ELNS1_3repE0EEES8_NS1_28merge_sort_block_sort_configILj256ELj4ELNS0_20block_sort_algorithmE0EEENS0_14default_configENS1_37merge_sort_block_sort_config_selectorIyyEENS1_38merge_sort_block_merge_config_selectorIyyEEEEvv
; %bb.0:
	s_endpgm
	.section	.rodata,"a",@progbits
	.p2align	6, 0x0
	.amdhsa_kernel _ZN7rocprim17ROCPRIM_400000_NS6detail44device_merge_sort_compile_time_verifier_archINS1_11comp_targetILNS1_3genE4ELNS1_11target_archE910ELNS1_3gpuE8ELNS1_3repE0EEES8_NS1_28merge_sort_block_sort_configILj256ELj4ELNS0_20block_sort_algorithmE0EEENS0_14default_configENS1_37merge_sort_block_sort_config_selectorIyyEENS1_38merge_sort_block_merge_config_selectorIyyEEEEvv
		.amdhsa_group_segment_fixed_size 0
		.amdhsa_private_segment_fixed_size 0
		.amdhsa_kernarg_size 0
		.amdhsa_user_sgpr_count 0
		.amdhsa_user_sgpr_dispatch_ptr 0
		.amdhsa_user_sgpr_queue_ptr 0
		.amdhsa_user_sgpr_kernarg_segment_ptr 0
		.amdhsa_user_sgpr_dispatch_id 0
		.amdhsa_user_sgpr_kernarg_preload_length 0
		.amdhsa_user_sgpr_kernarg_preload_offset 0
		.amdhsa_user_sgpr_private_segment_size 0
		.amdhsa_uses_dynamic_stack 0
		.amdhsa_enable_private_segment 0
		.amdhsa_system_sgpr_workgroup_id_x 1
		.amdhsa_system_sgpr_workgroup_id_y 0
		.amdhsa_system_sgpr_workgroup_id_z 0
		.amdhsa_system_sgpr_workgroup_info 0
		.amdhsa_system_vgpr_workitem_id 0
		.amdhsa_next_free_vgpr 1
		.amdhsa_next_free_sgpr 0
		.amdhsa_accum_offset 4
		.amdhsa_reserve_vcc 0
		.amdhsa_float_round_mode_32 0
		.amdhsa_float_round_mode_16_64 0
		.amdhsa_float_denorm_mode_32 3
		.amdhsa_float_denorm_mode_16_64 3
		.amdhsa_dx10_clamp 1
		.amdhsa_ieee_mode 1
		.amdhsa_fp16_overflow 0
		.amdhsa_tg_split 0
		.amdhsa_exception_fp_ieee_invalid_op 0
		.amdhsa_exception_fp_denorm_src 0
		.amdhsa_exception_fp_ieee_div_zero 0
		.amdhsa_exception_fp_ieee_overflow 0
		.amdhsa_exception_fp_ieee_underflow 0
		.amdhsa_exception_fp_ieee_inexact 0
		.amdhsa_exception_int_div_zero 0
	.end_amdhsa_kernel
	.section	.text._ZN7rocprim17ROCPRIM_400000_NS6detail44device_merge_sort_compile_time_verifier_archINS1_11comp_targetILNS1_3genE4ELNS1_11target_archE910ELNS1_3gpuE8ELNS1_3repE0EEES8_NS1_28merge_sort_block_sort_configILj256ELj4ELNS0_20block_sort_algorithmE0EEENS0_14default_configENS1_37merge_sort_block_sort_config_selectorIyyEENS1_38merge_sort_block_merge_config_selectorIyyEEEEvv,"axG",@progbits,_ZN7rocprim17ROCPRIM_400000_NS6detail44device_merge_sort_compile_time_verifier_archINS1_11comp_targetILNS1_3genE4ELNS1_11target_archE910ELNS1_3gpuE8ELNS1_3repE0EEES8_NS1_28merge_sort_block_sort_configILj256ELj4ELNS0_20block_sort_algorithmE0EEENS0_14default_configENS1_37merge_sort_block_sort_config_selectorIyyEENS1_38merge_sort_block_merge_config_selectorIyyEEEEvv,comdat
.Lfunc_end389:
	.size	_ZN7rocprim17ROCPRIM_400000_NS6detail44device_merge_sort_compile_time_verifier_archINS1_11comp_targetILNS1_3genE4ELNS1_11target_archE910ELNS1_3gpuE8ELNS1_3repE0EEES8_NS1_28merge_sort_block_sort_configILj256ELj4ELNS0_20block_sort_algorithmE0EEENS0_14default_configENS1_37merge_sort_block_sort_config_selectorIyyEENS1_38merge_sort_block_merge_config_selectorIyyEEEEvv, .Lfunc_end389-_ZN7rocprim17ROCPRIM_400000_NS6detail44device_merge_sort_compile_time_verifier_archINS1_11comp_targetILNS1_3genE4ELNS1_11target_archE910ELNS1_3gpuE8ELNS1_3repE0EEES8_NS1_28merge_sort_block_sort_configILj256ELj4ELNS0_20block_sort_algorithmE0EEENS0_14default_configENS1_37merge_sort_block_sort_config_selectorIyyEENS1_38merge_sort_block_merge_config_selectorIyyEEEEvv
                                        ; -- End function
	.set _ZN7rocprim17ROCPRIM_400000_NS6detail44device_merge_sort_compile_time_verifier_archINS1_11comp_targetILNS1_3genE4ELNS1_11target_archE910ELNS1_3gpuE8ELNS1_3repE0EEES8_NS1_28merge_sort_block_sort_configILj256ELj4ELNS0_20block_sort_algorithmE0EEENS0_14default_configENS1_37merge_sort_block_sort_config_selectorIyyEENS1_38merge_sort_block_merge_config_selectorIyyEEEEvv.num_vgpr, 0
	.set _ZN7rocprim17ROCPRIM_400000_NS6detail44device_merge_sort_compile_time_verifier_archINS1_11comp_targetILNS1_3genE4ELNS1_11target_archE910ELNS1_3gpuE8ELNS1_3repE0EEES8_NS1_28merge_sort_block_sort_configILj256ELj4ELNS0_20block_sort_algorithmE0EEENS0_14default_configENS1_37merge_sort_block_sort_config_selectorIyyEENS1_38merge_sort_block_merge_config_selectorIyyEEEEvv.num_agpr, 0
	.set _ZN7rocprim17ROCPRIM_400000_NS6detail44device_merge_sort_compile_time_verifier_archINS1_11comp_targetILNS1_3genE4ELNS1_11target_archE910ELNS1_3gpuE8ELNS1_3repE0EEES8_NS1_28merge_sort_block_sort_configILj256ELj4ELNS0_20block_sort_algorithmE0EEENS0_14default_configENS1_37merge_sort_block_sort_config_selectorIyyEENS1_38merge_sort_block_merge_config_selectorIyyEEEEvv.numbered_sgpr, 0
	.set _ZN7rocprim17ROCPRIM_400000_NS6detail44device_merge_sort_compile_time_verifier_archINS1_11comp_targetILNS1_3genE4ELNS1_11target_archE910ELNS1_3gpuE8ELNS1_3repE0EEES8_NS1_28merge_sort_block_sort_configILj256ELj4ELNS0_20block_sort_algorithmE0EEENS0_14default_configENS1_37merge_sort_block_sort_config_selectorIyyEENS1_38merge_sort_block_merge_config_selectorIyyEEEEvv.num_named_barrier, 0
	.set _ZN7rocprim17ROCPRIM_400000_NS6detail44device_merge_sort_compile_time_verifier_archINS1_11comp_targetILNS1_3genE4ELNS1_11target_archE910ELNS1_3gpuE8ELNS1_3repE0EEES8_NS1_28merge_sort_block_sort_configILj256ELj4ELNS0_20block_sort_algorithmE0EEENS0_14default_configENS1_37merge_sort_block_sort_config_selectorIyyEENS1_38merge_sort_block_merge_config_selectorIyyEEEEvv.private_seg_size, 0
	.set _ZN7rocprim17ROCPRIM_400000_NS6detail44device_merge_sort_compile_time_verifier_archINS1_11comp_targetILNS1_3genE4ELNS1_11target_archE910ELNS1_3gpuE8ELNS1_3repE0EEES8_NS1_28merge_sort_block_sort_configILj256ELj4ELNS0_20block_sort_algorithmE0EEENS0_14default_configENS1_37merge_sort_block_sort_config_selectorIyyEENS1_38merge_sort_block_merge_config_selectorIyyEEEEvv.uses_vcc, 0
	.set _ZN7rocprim17ROCPRIM_400000_NS6detail44device_merge_sort_compile_time_verifier_archINS1_11comp_targetILNS1_3genE4ELNS1_11target_archE910ELNS1_3gpuE8ELNS1_3repE0EEES8_NS1_28merge_sort_block_sort_configILj256ELj4ELNS0_20block_sort_algorithmE0EEENS0_14default_configENS1_37merge_sort_block_sort_config_selectorIyyEENS1_38merge_sort_block_merge_config_selectorIyyEEEEvv.uses_flat_scratch, 0
	.set _ZN7rocprim17ROCPRIM_400000_NS6detail44device_merge_sort_compile_time_verifier_archINS1_11comp_targetILNS1_3genE4ELNS1_11target_archE910ELNS1_3gpuE8ELNS1_3repE0EEES8_NS1_28merge_sort_block_sort_configILj256ELj4ELNS0_20block_sort_algorithmE0EEENS0_14default_configENS1_37merge_sort_block_sort_config_selectorIyyEENS1_38merge_sort_block_merge_config_selectorIyyEEEEvv.has_dyn_sized_stack, 0
	.set _ZN7rocprim17ROCPRIM_400000_NS6detail44device_merge_sort_compile_time_verifier_archINS1_11comp_targetILNS1_3genE4ELNS1_11target_archE910ELNS1_3gpuE8ELNS1_3repE0EEES8_NS1_28merge_sort_block_sort_configILj256ELj4ELNS0_20block_sort_algorithmE0EEENS0_14default_configENS1_37merge_sort_block_sort_config_selectorIyyEENS1_38merge_sort_block_merge_config_selectorIyyEEEEvv.has_recursion, 0
	.set _ZN7rocprim17ROCPRIM_400000_NS6detail44device_merge_sort_compile_time_verifier_archINS1_11comp_targetILNS1_3genE4ELNS1_11target_archE910ELNS1_3gpuE8ELNS1_3repE0EEES8_NS1_28merge_sort_block_sort_configILj256ELj4ELNS0_20block_sort_algorithmE0EEENS0_14default_configENS1_37merge_sort_block_sort_config_selectorIyyEENS1_38merge_sort_block_merge_config_selectorIyyEEEEvv.has_indirect_call, 0
	.section	.AMDGPU.csdata,"",@progbits
; Kernel info:
; codeLenInByte = 4
; TotalNumSgprs: 6
; NumVgprs: 0
; NumAgprs: 0
; TotalNumVgprs: 0
; ScratchSize: 0
; MemoryBound: 0
; FloatMode: 240
; IeeeMode: 1
; LDSByteSize: 0 bytes/workgroup (compile time only)
; SGPRBlocks: 0
; VGPRBlocks: 0
; NumSGPRsForWavesPerEU: 6
; NumVGPRsForWavesPerEU: 1
; AccumOffset: 4
; Occupancy: 8
; WaveLimiterHint : 0
; COMPUTE_PGM_RSRC2:SCRATCH_EN: 0
; COMPUTE_PGM_RSRC2:USER_SGPR: 0
; COMPUTE_PGM_RSRC2:TRAP_HANDLER: 0
; COMPUTE_PGM_RSRC2:TGID_X_EN: 1
; COMPUTE_PGM_RSRC2:TGID_Y_EN: 0
; COMPUTE_PGM_RSRC2:TGID_Z_EN: 0
; COMPUTE_PGM_RSRC2:TIDIG_COMP_CNT: 0
; COMPUTE_PGM_RSRC3_GFX90A:ACCUM_OFFSET: 0
; COMPUTE_PGM_RSRC3_GFX90A:TG_SPLIT: 0
	.section	.text._ZN7rocprim17ROCPRIM_400000_NS6detail44device_merge_sort_compile_time_verifier_archINS1_11comp_targetILNS1_3genE3ELNS1_11target_archE908ELNS1_3gpuE7ELNS1_3repE0EEES8_NS1_28merge_sort_block_sort_configILj256ELj4ELNS0_20block_sort_algorithmE0EEENS0_14default_configENS1_37merge_sort_block_sort_config_selectorIyyEENS1_38merge_sort_block_merge_config_selectorIyyEEEEvv,"axG",@progbits,_ZN7rocprim17ROCPRIM_400000_NS6detail44device_merge_sort_compile_time_verifier_archINS1_11comp_targetILNS1_3genE3ELNS1_11target_archE908ELNS1_3gpuE7ELNS1_3repE0EEES8_NS1_28merge_sort_block_sort_configILj256ELj4ELNS0_20block_sort_algorithmE0EEENS0_14default_configENS1_37merge_sort_block_sort_config_selectorIyyEENS1_38merge_sort_block_merge_config_selectorIyyEEEEvv,comdat
	.protected	_ZN7rocprim17ROCPRIM_400000_NS6detail44device_merge_sort_compile_time_verifier_archINS1_11comp_targetILNS1_3genE3ELNS1_11target_archE908ELNS1_3gpuE7ELNS1_3repE0EEES8_NS1_28merge_sort_block_sort_configILj256ELj4ELNS0_20block_sort_algorithmE0EEENS0_14default_configENS1_37merge_sort_block_sort_config_selectorIyyEENS1_38merge_sort_block_merge_config_selectorIyyEEEEvv ; -- Begin function _ZN7rocprim17ROCPRIM_400000_NS6detail44device_merge_sort_compile_time_verifier_archINS1_11comp_targetILNS1_3genE3ELNS1_11target_archE908ELNS1_3gpuE7ELNS1_3repE0EEES8_NS1_28merge_sort_block_sort_configILj256ELj4ELNS0_20block_sort_algorithmE0EEENS0_14default_configENS1_37merge_sort_block_sort_config_selectorIyyEENS1_38merge_sort_block_merge_config_selectorIyyEEEEvv
	.globl	_ZN7rocprim17ROCPRIM_400000_NS6detail44device_merge_sort_compile_time_verifier_archINS1_11comp_targetILNS1_3genE3ELNS1_11target_archE908ELNS1_3gpuE7ELNS1_3repE0EEES8_NS1_28merge_sort_block_sort_configILj256ELj4ELNS0_20block_sort_algorithmE0EEENS0_14default_configENS1_37merge_sort_block_sort_config_selectorIyyEENS1_38merge_sort_block_merge_config_selectorIyyEEEEvv
	.p2align	8
	.type	_ZN7rocprim17ROCPRIM_400000_NS6detail44device_merge_sort_compile_time_verifier_archINS1_11comp_targetILNS1_3genE3ELNS1_11target_archE908ELNS1_3gpuE7ELNS1_3repE0EEES8_NS1_28merge_sort_block_sort_configILj256ELj4ELNS0_20block_sort_algorithmE0EEENS0_14default_configENS1_37merge_sort_block_sort_config_selectorIyyEENS1_38merge_sort_block_merge_config_selectorIyyEEEEvv,@function
_ZN7rocprim17ROCPRIM_400000_NS6detail44device_merge_sort_compile_time_verifier_archINS1_11comp_targetILNS1_3genE3ELNS1_11target_archE908ELNS1_3gpuE7ELNS1_3repE0EEES8_NS1_28merge_sort_block_sort_configILj256ELj4ELNS0_20block_sort_algorithmE0EEENS0_14default_configENS1_37merge_sort_block_sort_config_selectorIyyEENS1_38merge_sort_block_merge_config_selectorIyyEEEEvv: ; @_ZN7rocprim17ROCPRIM_400000_NS6detail44device_merge_sort_compile_time_verifier_archINS1_11comp_targetILNS1_3genE3ELNS1_11target_archE908ELNS1_3gpuE7ELNS1_3repE0EEES8_NS1_28merge_sort_block_sort_configILj256ELj4ELNS0_20block_sort_algorithmE0EEENS0_14default_configENS1_37merge_sort_block_sort_config_selectorIyyEENS1_38merge_sort_block_merge_config_selectorIyyEEEEvv
; %bb.0:
	s_endpgm
	.section	.rodata,"a",@progbits
	.p2align	6, 0x0
	.amdhsa_kernel _ZN7rocprim17ROCPRIM_400000_NS6detail44device_merge_sort_compile_time_verifier_archINS1_11comp_targetILNS1_3genE3ELNS1_11target_archE908ELNS1_3gpuE7ELNS1_3repE0EEES8_NS1_28merge_sort_block_sort_configILj256ELj4ELNS0_20block_sort_algorithmE0EEENS0_14default_configENS1_37merge_sort_block_sort_config_selectorIyyEENS1_38merge_sort_block_merge_config_selectorIyyEEEEvv
		.amdhsa_group_segment_fixed_size 0
		.amdhsa_private_segment_fixed_size 0
		.amdhsa_kernarg_size 0
		.amdhsa_user_sgpr_count 0
		.amdhsa_user_sgpr_dispatch_ptr 0
		.amdhsa_user_sgpr_queue_ptr 0
		.amdhsa_user_sgpr_kernarg_segment_ptr 0
		.amdhsa_user_sgpr_dispatch_id 0
		.amdhsa_user_sgpr_kernarg_preload_length 0
		.amdhsa_user_sgpr_kernarg_preload_offset 0
		.amdhsa_user_sgpr_private_segment_size 0
		.amdhsa_uses_dynamic_stack 0
		.amdhsa_enable_private_segment 0
		.amdhsa_system_sgpr_workgroup_id_x 1
		.amdhsa_system_sgpr_workgroup_id_y 0
		.amdhsa_system_sgpr_workgroup_id_z 0
		.amdhsa_system_sgpr_workgroup_info 0
		.amdhsa_system_vgpr_workitem_id 0
		.amdhsa_next_free_vgpr 1
		.amdhsa_next_free_sgpr 0
		.amdhsa_accum_offset 4
		.amdhsa_reserve_vcc 0
		.amdhsa_float_round_mode_32 0
		.amdhsa_float_round_mode_16_64 0
		.amdhsa_float_denorm_mode_32 3
		.amdhsa_float_denorm_mode_16_64 3
		.amdhsa_dx10_clamp 1
		.amdhsa_ieee_mode 1
		.amdhsa_fp16_overflow 0
		.amdhsa_tg_split 0
		.amdhsa_exception_fp_ieee_invalid_op 0
		.amdhsa_exception_fp_denorm_src 0
		.amdhsa_exception_fp_ieee_div_zero 0
		.amdhsa_exception_fp_ieee_overflow 0
		.amdhsa_exception_fp_ieee_underflow 0
		.amdhsa_exception_fp_ieee_inexact 0
		.amdhsa_exception_int_div_zero 0
	.end_amdhsa_kernel
	.section	.text._ZN7rocprim17ROCPRIM_400000_NS6detail44device_merge_sort_compile_time_verifier_archINS1_11comp_targetILNS1_3genE3ELNS1_11target_archE908ELNS1_3gpuE7ELNS1_3repE0EEES8_NS1_28merge_sort_block_sort_configILj256ELj4ELNS0_20block_sort_algorithmE0EEENS0_14default_configENS1_37merge_sort_block_sort_config_selectorIyyEENS1_38merge_sort_block_merge_config_selectorIyyEEEEvv,"axG",@progbits,_ZN7rocprim17ROCPRIM_400000_NS6detail44device_merge_sort_compile_time_verifier_archINS1_11comp_targetILNS1_3genE3ELNS1_11target_archE908ELNS1_3gpuE7ELNS1_3repE0EEES8_NS1_28merge_sort_block_sort_configILj256ELj4ELNS0_20block_sort_algorithmE0EEENS0_14default_configENS1_37merge_sort_block_sort_config_selectorIyyEENS1_38merge_sort_block_merge_config_selectorIyyEEEEvv,comdat
.Lfunc_end390:
	.size	_ZN7rocprim17ROCPRIM_400000_NS6detail44device_merge_sort_compile_time_verifier_archINS1_11comp_targetILNS1_3genE3ELNS1_11target_archE908ELNS1_3gpuE7ELNS1_3repE0EEES8_NS1_28merge_sort_block_sort_configILj256ELj4ELNS0_20block_sort_algorithmE0EEENS0_14default_configENS1_37merge_sort_block_sort_config_selectorIyyEENS1_38merge_sort_block_merge_config_selectorIyyEEEEvv, .Lfunc_end390-_ZN7rocprim17ROCPRIM_400000_NS6detail44device_merge_sort_compile_time_verifier_archINS1_11comp_targetILNS1_3genE3ELNS1_11target_archE908ELNS1_3gpuE7ELNS1_3repE0EEES8_NS1_28merge_sort_block_sort_configILj256ELj4ELNS0_20block_sort_algorithmE0EEENS0_14default_configENS1_37merge_sort_block_sort_config_selectorIyyEENS1_38merge_sort_block_merge_config_selectorIyyEEEEvv
                                        ; -- End function
	.set _ZN7rocprim17ROCPRIM_400000_NS6detail44device_merge_sort_compile_time_verifier_archINS1_11comp_targetILNS1_3genE3ELNS1_11target_archE908ELNS1_3gpuE7ELNS1_3repE0EEES8_NS1_28merge_sort_block_sort_configILj256ELj4ELNS0_20block_sort_algorithmE0EEENS0_14default_configENS1_37merge_sort_block_sort_config_selectorIyyEENS1_38merge_sort_block_merge_config_selectorIyyEEEEvv.num_vgpr, 0
	.set _ZN7rocprim17ROCPRIM_400000_NS6detail44device_merge_sort_compile_time_verifier_archINS1_11comp_targetILNS1_3genE3ELNS1_11target_archE908ELNS1_3gpuE7ELNS1_3repE0EEES8_NS1_28merge_sort_block_sort_configILj256ELj4ELNS0_20block_sort_algorithmE0EEENS0_14default_configENS1_37merge_sort_block_sort_config_selectorIyyEENS1_38merge_sort_block_merge_config_selectorIyyEEEEvv.num_agpr, 0
	.set _ZN7rocprim17ROCPRIM_400000_NS6detail44device_merge_sort_compile_time_verifier_archINS1_11comp_targetILNS1_3genE3ELNS1_11target_archE908ELNS1_3gpuE7ELNS1_3repE0EEES8_NS1_28merge_sort_block_sort_configILj256ELj4ELNS0_20block_sort_algorithmE0EEENS0_14default_configENS1_37merge_sort_block_sort_config_selectorIyyEENS1_38merge_sort_block_merge_config_selectorIyyEEEEvv.numbered_sgpr, 0
	.set _ZN7rocprim17ROCPRIM_400000_NS6detail44device_merge_sort_compile_time_verifier_archINS1_11comp_targetILNS1_3genE3ELNS1_11target_archE908ELNS1_3gpuE7ELNS1_3repE0EEES8_NS1_28merge_sort_block_sort_configILj256ELj4ELNS0_20block_sort_algorithmE0EEENS0_14default_configENS1_37merge_sort_block_sort_config_selectorIyyEENS1_38merge_sort_block_merge_config_selectorIyyEEEEvv.num_named_barrier, 0
	.set _ZN7rocprim17ROCPRIM_400000_NS6detail44device_merge_sort_compile_time_verifier_archINS1_11comp_targetILNS1_3genE3ELNS1_11target_archE908ELNS1_3gpuE7ELNS1_3repE0EEES8_NS1_28merge_sort_block_sort_configILj256ELj4ELNS0_20block_sort_algorithmE0EEENS0_14default_configENS1_37merge_sort_block_sort_config_selectorIyyEENS1_38merge_sort_block_merge_config_selectorIyyEEEEvv.private_seg_size, 0
	.set _ZN7rocprim17ROCPRIM_400000_NS6detail44device_merge_sort_compile_time_verifier_archINS1_11comp_targetILNS1_3genE3ELNS1_11target_archE908ELNS1_3gpuE7ELNS1_3repE0EEES8_NS1_28merge_sort_block_sort_configILj256ELj4ELNS0_20block_sort_algorithmE0EEENS0_14default_configENS1_37merge_sort_block_sort_config_selectorIyyEENS1_38merge_sort_block_merge_config_selectorIyyEEEEvv.uses_vcc, 0
	.set _ZN7rocprim17ROCPRIM_400000_NS6detail44device_merge_sort_compile_time_verifier_archINS1_11comp_targetILNS1_3genE3ELNS1_11target_archE908ELNS1_3gpuE7ELNS1_3repE0EEES8_NS1_28merge_sort_block_sort_configILj256ELj4ELNS0_20block_sort_algorithmE0EEENS0_14default_configENS1_37merge_sort_block_sort_config_selectorIyyEENS1_38merge_sort_block_merge_config_selectorIyyEEEEvv.uses_flat_scratch, 0
	.set _ZN7rocprim17ROCPRIM_400000_NS6detail44device_merge_sort_compile_time_verifier_archINS1_11comp_targetILNS1_3genE3ELNS1_11target_archE908ELNS1_3gpuE7ELNS1_3repE0EEES8_NS1_28merge_sort_block_sort_configILj256ELj4ELNS0_20block_sort_algorithmE0EEENS0_14default_configENS1_37merge_sort_block_sort_config_selectorIyyEENS1_38merge_sort_block_merge_config_selectorIyyEEEEvv.has_dyn_sized_stack, 0
	.set _ZN7rocprim17ROCPRIM_400000_NS6detail44device_merge_sort_compile_time_verifier_archINS1_11comp_targetILNS1_3genE3ELNS1_11target_archE908ELNS1_3gpuE7ELNS1_3repE0EEES8_NS1_28merge_sort_block_sort_configILj256ELj4ELNS0_20block_sort_algorithmE0EEENS0_14default_configENS1_37merge_sort_block_sort_config_selectorIyyEENS1_38merge_sort_block_merge_config_selectorIyyEEEEvv.has_recursion, 0
	.set _ZN7rocprim17ROCPRIM_400000_NS6detail44device_merge_sort_compile_time_verifier_archINS1_11comp_targetILNS1_3genE3ELNS1_11target_archE908ELNS1_3gpuE7ELNS1_3repE0EEES8_NS1_28merge_sort_block_sort_configILj256ELj4ELNS0_20block_sort_algorithmE0EEENS0_14default_configENS1_37merge_sort_block_sort_config_selectorIyyEENS1_38merge_sort_block_merge_config_selectorIyyEEEEvv.has_indirect_call, 0
	.section	.AMDGPU.csdata,"",@progbits
; Kernel info:
; codeLenInByte = 4
; TotalNumSgprs: 6
; NumVgprs: 0
; NumAgprs: 0
; TotalNumVgprs: 0
; ScratchSize: 0
; MemoryBound: 0
; FloatMode: 240
; IeeeMode: 1
; LDSByteSize: 0 bytes/workgroup (compile time only)
; SGPRBlocks: 0
; VGPRBlocks: 0
; NumSGPRsForWavesPerEU: 6
; NumVGPRsForWavesPerEU: 1
; AccumOffset: 4
; Occupancy: 8
; WaveLimiterHint : 0
; COMPUTE_PGM_RSRC2:SCRATCH_EN: 0
; COMPUTE_PGM_RSRC2:USER_SGPR: 0
; COMPUTE_PGM_RSRC2:TRAP_HANDLER: 0
; COMPUTE_PGM_RSRC2:TGID_X_EN: 1
; COMPUTE_PGM_RSRC2:TGID_Y_EN: 0
; COMPUTE_PGM_RSRC2:TGID_Z_EN: 0
; COMPUTE_PGM_RSRC2:TIDIG_COMP_CNT: 0
; COMPUTE_PGM_RSRC3_GFX90A:ACCUM_OFFSET: 0
; COMPUTE_PGM_RSRC3_GFX90A:TG_SPLIT: 0
	.section	.text._ZN7rocprim17ROCPRIM_400000_NS6detail44device_merge_sort_compile_time_verifier_archINS1_11comp_targetILNS1_3genE2ELNS1_11target_archE906ELNS1_3gpuE6ELNS1_3repE0EEES8_NS1_28merge_sort_block_sort_configILj256ELj4ELNS0_20block_sort_algorithmE0EEENS0_14default_configENS1_37merge_sort_block_sort_config_selectorIyyEENS1_38merge_sort_block_merge_config_selectorIyyEEEEvv,"axG",@progbits,_ZN7rocprim17ROCPRIM_400000_NS6detail44device_merge_sort_compile_time_verifier_archINS1_11comp_targetILNS1_3genE2ELNS1_11target_archE906ELNS1_3gpuE6ELNS1_3repE0EEES8_NS1_28merge_sort_block_sort_configILj256ELj4ELNS0_20block_sort_algorithmE0EEENS0_14default_configENS1_37merge_sort_block_sort_config_selectorIyyEENS1_38merge_sort_block_merge_config_selectorIyyEEEEvv,comdat
	.protected	_ZN7rocprim17ROCPRIM_400000_NS6detail44device_merge_sort_compile_time_verifier_archINS1_11comp_targetILNS1_3genE2ELNS1_11target_archE906ELNS1_3gpuE6ELNS1_3repE0EEES8_NS1_28merge_sort_block_sort_configILj256ELj4ELNS0_20block_sort_algorithmE0EEENS0_14default_configENS1_37merge_sort_block_sort_config_selectorIyyEENS1_38merge_sort_block_merge_config_selectorIyyEEEEvv ; -- Begin function _ZN7rocprim17ROCPRIM_400000_NS6detail44device_merge_sort_compile_time_verifier_archINS1_11comp_targetILNS1_3genE2ELNS1_11target_archE906ELNS1_3gpuE6ELNS1_3repE0EEES8_NS1_28merge_sort_block_sort_configILj256ELj4ELNS0_20block_sort_algorithmE0EEENS0_14default_configENS1_37merge_sort_block_sort_config_selectorIyyEENS1_38merge_sort_block_merge_config_selectorIyyEEEEvv
	.globl	_ZN7rocprim17ROCPRIM_400000_NS6detail44device_merge_sort_compile_time_verifier_archINS1_11comp_targetILNS1_3genE2ELNS1_11target_archE906ELNS1_3gpuE6ELNS1_3repE0EEES8_NS1_28merge_sort_block_sort_configILj256ELj4ELNS0_20block_sort_algorithmE0EEENS0_14default_configENS1_37merge_sort_block_sort_config_selectorIyyEENS1_38merge_sort_block_merge_config_selectorIyyEEEEvv
	.p2align	8
	.type	_ZN7rocprim17ROCPRIM_400000_NS6detail44device_merge_sort_compile_time_verifier_archINS1_11comp_targetILNS1_3genE2ELNS1_11target_archE906ELNS1_3gpuE6ELNS1_3repE0EEES8_NS1_28merge_sort_block_sort_configILj256ELj4ELNS0_20block_sort_algorithmE0EEENS0_14default_configENS1_37merge_sort_block_sort_config_selectorIyyEENS1_38merge_sort_block_merge_config_selectorIyyEEEEvv,@function
_ZN7rocprim17ROCPRIM_400000_NS6detail44device_merge_sort_compile_time_verifier_archINS1_11comp_targetILNS1_3genE2ELNS1_11target_archE906ELNS1_3gpuE6ELNS1_3repE0EEES8_NS1_28merge_sort_block_sort_configILj256ELj4ELNS0_20block_sort_algorithmE0EEENS0_14default_configENS1_37merge_sort_block_sort_config_selectorIyyEENS1_38merge_sort_block_merge_config_selectorIyyEEEEvv: ; @_ZN7rocprim17ROCPRIM_400000_NS6detail44device_merge_sort_compile_time_verifier_archINS1_11comp_targetILNS1_3genE2ELNS1_11target_archE906ELNS1_3gpuE6ELNS1_3repE0EEES8_NS1_28merge_sort_block_sort_configILj256ELj4ELNS0_20block_sort_algorithmE0EEENS0_14default_configENS1_37merge_sort_block_sort_config_selectorIyyEENS1_38merge_sort_block_merge_config_selectorIyyEEEEvv
; %bb.0:
	s_endpgm
	.section	.rodata,"a",@progbits
	.p2align	6, 0x0
	.amdhsa_kernel _ZN7rocprim17ROCPRIM_400000_NS6detail44device_merge_sort_compile_time_verifier_archINS1_11comp_targetILNS1_3genE2ELNS1_11target_archE906ELNS1_3gpuE6ELNS1_3repE0EEES8_NS1_28merge_sort_block_sort_configILj256ELj4ELNS0_20block_sort_algorithmE0EEENS0_14default_configENS1_37merge_sort_block_sort_config_selectorIyyEENS1_38merge_sort_block_merge_config_selectorIyyEEEEvv
		.amdhsa_group_segment_fixed_size 0
		.amdhsa_private_segment_fixed_size 0
		.amdhsa_kernarg_size 0
		.amdhsa_user_sgpr_count 0
		.amdhsa_user_sgpr_dispatch_ptr 0
		.amdhsa_user_sgpr_queue_ptr 0
		.amdhsa_user_sgpr_kernarg_segment_ptr 0
		.amdhsa_user_sgpr_dispatch_id 0
		.amdhsa_user_sgpr_kernarg_preload_length 0
		.amdhsa_user_sgpr_kernarg_preload_offset 0
		.amdhsa_user_sgpr_private_segment_size 0
		.amdhsa_uses_dynamic_stack 0
		.amdhsa_enable_private_segment 0
		.amdhsa_system_sgpr_workgroup_id_x 1
		.amdhsa_system_sgpr_workgroup_id_y 0
		.amdhsa_system_sgpr_workgroup_id_z 0
		.amdhsa_system_sgpr_workgroup_info 0
		.amdhsa_system_vgpr_workitem_id 0
		.amdhsa_next_free_vgpr 1
		.amdhsa_next_free_sgpr 0
		.amdhsa_accum_offset 4
		.amdhsa_reserve_vcc 0
		.amdhsa_float_round_mode_32 0
		.amdhsa_float_round_mode_16_64 0
		.amdhsa_float_denorm_mode_32 3
		.amdhsa_float_denorm_mode_16_64 3
		.amdhsa_dx10_clamp 1
		.amdhsa_ieee_mode 1
		.amdhsa_fp16_overflow 0
		.amdhsa_tg_split 0
		.amdhsa_exception_fp_ieee_invalid_op 0
		.amdhsa_exception_fp_denorm_src 0
		.amdhsa_exception_fp_ieee_div_zero 0
		.amdhsa_exception_fp_ieee_overflow 0
		.amdhsa_exception_fp_ieee_underflow 0
		.amdhsa_exception_fp_ieee_inexact 0
		.amdhsa_exception_int_div_zero 0
	.end_amdhsa_kernel
	.section	.text._ZN7rocprim17ROCPRIM_400000_NS6detail44device_merge_sort_compile_time_verifier_archINS1_11comp_targetILNS1_3genE2ELNS1_11target_archE906ELNS1_3gpuE6ELNS1_3repE0EEES8_NS1_28merge_sort_block_sort_configILj256ELj4ELNS0_20block_sort_algorithmE0EEENS0_14default_configENS1_37merge_sort_block_sort_config_selectorIyyEENS1_38merge_sort_block_merge_config_selectorIyyEEEEvv,"axG",@progbits,_ZN7rocprim17ROCPRIM_400000_NS6detail44device_merge_sort_compile_time_verifier_archINS1_11comp_targetILNS1_3genE2ELNS1_11target_archE906ELNS1_3gpuE6ELNS1_3repE0EEES8_NS1_28merge_sort_block_sort_configILj256ELj4ELNS0_20block_sort_algorithmE0EEENS0_14default_configENS1_37merge_sort_block_sort_config_selectorIyyEENS1_38merge_sort_block_merge_config_selectorIyyEEEEvv,comdat
.Lfunc_end391:
	.size	_ZN7rocprim17ROCPRIM_400000_NS6detail44device_merge_sort_compile_time_verifier_archINS1_11comp_targetILNS1_3genE2ELNS1_11target_archE906ELNS1_3gpuE6ELNS1_3repE0EEES8_NS1_28merge_sort_block_sort_configILj256ELj4ELNS0_20block_sort_algorithmE0EEENS0_14default_configENS1_37merge_sort_block_sort_config_selectorIyyEENS1_38merge_sort_block_merge_config_selectorIyyEEEEvv, .Lfunc_end391-_ZN7rocprim17ROCPRIM_400000_NS6detail44device_merge_sort_compile_time_verifier_archINS1_11comp_targetILNS1_3genE2ELNS1_11target_archE906ELNS1_3gpuE6ELNS1_3repE0EEES8_NS1_28merge_sort_block_sort_configILj256ELj4ELNS0_20block_sort_algorithmE0EEENS0_14default_configENS1_37merge_sort_block_sort_config_selectorIyyEENS1_38merge_sort_block_merge_config_selectorIyyEEEEvv
                                        ; -- End function
	.set _ZN7rocprim17ROCPRIM_400000_NS6detail44device_merge_sort_compile_time_verifier_archINS1_11comp_targetILNS1_3genE2ELNS1_11target_archE906ELNS1_3gpuE6ELNS1_3repE0EEES8_NS1_28merge_sort_block_sort_configILj256ELj4ELNS0_20block_sort_algorithmE0EEENS0_14default_configENS1_37merge_sort_block_sort_config_selectorIyyEENS1_38merge_sort_block_merge_config_selectorIyyEEEEvv.num_vgpr, 0
	.set _ZN7rocprim17ROCPRIM_400000_NS6detail44device_merge_sort_compile_time_verifier_archINS1_11comp_targetILNS1_3genE2ELNS1_11target_archE906ELNS1_3gpuE6ELNS1_3repE0EEES8_NS1_28merge_sort_block_sort_configILj256ELj4ELNS0_20block_sort_algorithmE0EEENS0_14default_configENS1_37merge_sort_block_sort_config_selectorIyyEENS1_38merge_sort_block_merge_config_selectorIyyEEEEvv.num_agpr, 0
	.set _ZN7rocprim17ROCPRIM_400000_NS6detail44device_merge_sort_compile_time_verifier_archINS1_11comp_targetILNS1_3genE2ELNS1_11target_archE906ELNS1_3gpuE6ELNS1_3repE0EEES8_NS1_28merge_sort_block_sort_configILj256ELj4ELNS0_20block_sort_algorithmE0EEENS0_14default_configENS1_37merge_sort_block_sort_config_selectorIyyEENS1_38merge_sort_block_merge_config_selectorIyyEEEEvv.numbered_sgpr, 0
	.set _ZN7rocprim17ROCPRIM_400000_NS6detail44device_merge_sort_compile_time_verifier_archINS1_11comp_targetILNS1_3genE2ELNS1_11target_archE906ELNS1_3gpuE6ELNS1_3repE0EEES8_NS1_28merge_sort_block_sort_configILj256ELj4ELNS0_20block_sort_algorithmE0EEENS0_14default_configENS1_37merge_sort_block_sort_config_selectorIyyEENS1_38merge_sort_block_merge_config_selectorIyyEEEEvv.num_named_barrier, 0
	.set _ZN7rocprim17ROCPRIM_400000_NS6detail44device_merge_sort_compile_time_verifier_archINS1_11comp_targetILNS1_3genE2ELNS1_11target_archE906ELNS1_3gpuE6ELNS1_3repE0EEES8_NS1_28merge_sort_block_sort_configILj256ELj4ELNS0_20block_sort_algorithmE0EEENS0_14default_configENS1_37merge_sort_block_sort_config_selectorIyyEENS1_38merge_sort_block_merge_config_selectorIyyEEEEvv.private_seg_size, 0
	.set _ZN7rocprim17ROCPRIM_400000_NS6detail44device_merge_sort_compile_time_verifier_archINS1_11comp_targetILNS1_3genE2ELNS1_11target_archE906ELNS1_3gpuE6ELNS1_3repE0EEES8_NS1_28merge_sort_block_sort_configILj256ELj4ELNS0_20block_sort_algorithmE0EEENS0_14default_configENS1_37merge_sort_block_sort_config_selectorIyyEENS1_38merge_sort_block_merge_config_selectorIyyEEEEvv.uses_vcc, 0
	.set _ZN7rocprim17ROCPRIM_400000_NS6detail44device_merge_sort_compile_time_verifier_archINS1_11comp_targetILNS1_3genE2ELNS1_11target_archE906ELNS1_3gpuE6ELNS1_3repE0EEES8_NS1_28merge_sort_block_sort_configILj256ELj4ELNS0_20block_sort_algorithmE0EEENS0_14default_configENS1_37merge_sort_block_sort_config_selectorIyyEENS1_38merge_sort_block_merge_config_selectorIyyEEEEvv.uses_flat_scratch, 0
	.set _ZN7rocprim17ROCPRIM_400000_NS6detail44device_merge_sort_compile_time_verifier_archINS1_11comp_targetILNS1_3genE2ELNS1_11target_archE906ELNS1_3gpuE6ELNS1_3repE0EEES8_NS1_28merge_sort_block_sort_configILj256ELj4ELNS0_20block_sort_algorithmE0EEENS0_14default_configENS1_37merge_sort_block_sort_config_selectorIyyEENS1_38merge_sort_block_merge_config_selectorIyyEEEEvv.has_dyn_sized_stack, 0
	.set _ZN7rocprim17ROCPRIM_400000_NS6detail44device_merge_sort_compile_time_verifier_archINS1_11comp_targetILNS1_3genE2ELNS1_11target_archE906ELNS1_3gpuE6ELNS1_3repE0EEES8_NS1_28merge_sort_block_sort_configILj256ELj4ELNS0_20block_sort_algorithmE0EEENS0_14default_configENS1_37merge_sort_block_sort_config_selectorIyyEENS1_38merge_sort_block_merge_config_selectorIyyEEEEvv.has_recursion, 0
	.set _ZN7rocprim17ROCPRIM_400000_NS6detail44device_merge_sort_compile_time_verifier_archINS1_11comp_targetILNS1_3genE2ELNS1_11target_archE906ELNS1_3gpuE6ELNS1_3repE0EEES8_NS1_28merge_sort_block_sort_configILj256ELj4ELNS0_20block_sort_algorithmE0EEENS0_14default_configENS1_37merge_sort_block_sort_config_selectorIyyEENS1_38merge_sort_block_merge_config_selectorIyyEEEEvv.has_indirect_call, 0
	.section	.AMDGPU.csdata,"",@progbits
; Kernel info:
; codeLenInByte = 4
; TotalNumSgprs: 6
; NumVgprs: 0
; NumAgprs: 0
; TotalNumVgprs: 0
; ScratchSize: 0
; MemoryBound: 0
; FloatMode: 240
; IeeeMode: 1
; LDSByteSize: 0 bytes/workgroup (compile time only)
; SGPRBlocks: 0
; VGPRBlocks: 0
; NumSGPRsForWavesPerEU: 6
; NumVGPRsForWavesPerEU: 1
; AccumOffset: 4
; Occupancy: 8
; WaveLimiterHint : 0
; COMPUTE_PGM_RSRC2:SCRATCH_EN: 0
; COMPUTE_PGM_RSRC2:USER_SGPR: 0
; COMPUTE_PGM_RSRC2:TRAP_HANDLER: 0
; COMPUTE_PGM_RSRC2:TGID_X_EN: 1
; COMPUTE_PGM_RSRC2:TGID_Y_EN: 0
; COMPUTE_PGM_RSRC2:TGID_Z_EN: 0
; COMPUTE_PGM_RSRC2:TIDIG_COMP_CNT: 0
; COMPUTE_PGM_RSRC3_GFX90A:ACCUM_OFFSET: 0
; COMPUTE_PGM_RSRC3_GFX90A:TG_SPLIT: 0
	.section	.text._ZN7rocprim17ROCPRIM_400000_NS6detail44device_merge_sort_compile_time_verifier_archINS1_11comp_targetILNS1_3genE10ELNS1_11target_archE1201ELNS1_3gpuE5ELNS1_3repE0EEES8_NS1_28merge_sort_block_sort_configILj256ELj4ELNS0_20block_sort_algorithmE0EEENS0_14default_configENS1_37merge_sort_block_sort_config_selectorIyyEENS1_38merge_sort_block_merge_config_selectorIyyEEEEvv,"axG",@progbits,_ZN7rocprim17ROCPRIM_400000_NS6detail44device_merge_sort_compile_time_verifier_archINS1_11comp_targetILNS1_3genE10ELNS1_11target_archE1201ELNS1_3gpuE5ELNS1_3repE0EEES8_NS1_28merge_sort_block_sort_configILj256ELj4ELNS0_20block_sort_algorithmE0EEENS0_14default_configENS1_37merge_sort_block_sort_config_selectorIyyEENS1_38merge_sort_block_merge_config_selectorIyyEEEEvv,comdat
	.protected	_ZN7rocprim17ROCPRIM_400000_NS6detail44device_merge_sort_compile_time_verifier_archINS1_11comp_targetILNS1_3genE10ELNS1_11target_archE1201ELNS1_3gpuE5ELNS1_3repE0EEES8_NS1_28merge_sort_block_sort_configILj256ELj4ELNS0_20block_sort_algorithmE0EEENS0_14default_configENS1_37merge_sort_block_sort_config_selectorIyyEENS1_38merge_sort_block_merge_config_selectorIyyEEEEvv ; -- Begin function _ZN7rocprim17ROCPRIM_400000_NS6detail44device_merge_sort_compile_time_verifier_archINS1_11comp_targetILNS1_3genE10ELNS1_11target_archE1201ELNS1_3gpuE5ELNS1_3repE0EEES8_NS1_28merge_sort_block_sort_configILj256ELj4ELNS0_20block_sort_algorithmE0EEENS0_14default_configENS1_37merge_sort_block_sort_config_selectorIyyEENS1_38merge_sort_block_merge_config_selectorIyyEEEEvv
	.globl	_ZN7rocprim17ROCPRIM_400000_NS6detail44device_merge_sort_compile_time_verifier_archINS1_11comp_targetILNS1_3genE10ELNS1_11target_archE1201ELNS1_3gpuE5ELNS1_3repE0EEES8_NS1_28merge_sort_block_sort_configILj256ELj4ELNS0_20block_sort_algorithmE0EEENS0_14default_configENS1_37merge_sort_block_sort_config_selectorIyyEENS1_38merge_sort_block_merge_config_selectorIyyEEEEvv
	.p2align	8
	.type	_ZN7rocprim17ROCPRIM_400000_NS6detail44device_merge_sort_compile_time_verifier_archINS1_11comp_targetILNS1_3genE10ELNS1_11target_archE1201ELNS1_3gpuE5ELNS1_3repE0EEES8_NS1_28merge_sort_block_sort_configILj256ELj4ELNS0_20block_sort_algorithmE0EEENS0_14default_configENS1_37merge_sort_block_sort_config_selectorIyyEENS1_38merge_sort_block_merge_config_selectorIyyEEEEvv,@function
_ZN7rocprim17ROCPRIM_400000_NS6detail44device_merge_sort_compile_time_verifier_archINS1_11comp_targetILNS1_3genE10ELNS1_11target_archE1201ELNS1_3gpuE5ELNS1_3repE0EEES8_NS1_28merge_sort_block_sort_configILj256ELj4ELNS0_20block_sort_algorithmE0EEENS0_14default_configENS1_37merge_sort_block_sort_config_selectorIyyEENS1_38merge_sort_block_merge_config_selectorIyyEEEEvv: ; @_ZN7rocprim17ROCPRIM_400000_NS6detail44device_merge_sort_compile_time_verifier_archINS1_11comp_targetILNS1_3genE10ELNS1_11target_archE1201ELNS1_3gpuE5ELNS1_3repE0EEES8_NS1_28merge_sort_block_sort_configILj256ELj4ELNS0_20block_sort_algorithmE0EEENS0_14default_configENS1_37merge_sort_block_sort_config_selectorIyyEENS1_38merge_sort_block_merge_config_selectorIyyEEEEvv
; %bb.0:
	s_endpgm
	.section	.rodata,"a",@progbits
	.p2align	6, 0x0
	.amdhsa_kernel _ZN7rocprim17ROCPRIM_400000_NS6detail44device_merge_sort_compile_time_verifier_archINS1_11comp_targetILNS1_3genE10ELNS1_11target_archE1201ELNS1_3gpuE5ELNS1_3repE0EEES8_NS1_28merge_sort_block_sort_configILj256ELj4ELNS0_20block_sort_algorithmE0EEENS0_14default_configENS1_37merge_sort_block_sort_config_selectorIyyEENS1_38merge_sort_block_merge_config_selectorIyyEEEEvv
		.amdhsa_group_segment_fixed_size 0
		.amdhsa_private_segment_fixed_size 0
		.amdhsa_kernarg_size 0
		.amdhsa_user_sgpr_count 0
		.amdhsa_user_sgpr_dispatch_ptr 0
		.amdhsa_user_sgpr_queue_ptr 0
		.amdhsa_user_sgpr_kernarg_segment_ptr 0
		.amdhsa_user_sgpr_dispatch_id 0
		.amdhsa_user_sgpr_kernarg_preload_length 0
		.amdhsa_user_sgpr_kernarg_preload_offset 0
		.amdhsa_user_sgpr_private_segment_size 0
		.amdhsa_uses_dynamic_stack 0
		.amdhsa_enable_private_segment 0
		.amdhsa_system_sgpr_workgroup_id_x 1
		.amdhsa_system_sgpr_workgroup_id_y 0
		.amdhsa_system_sgpr_workgroup_id_z 0
		.amdhsa_system_sgpr_workgroup_info 0
		.amdhsa_system_vgpr_workitem_id 0
		.amdhsa_next_free_vgpr 1
		.amdhsa_next_free_sgpr 0
		.amdhsa_accum_offset 4
		.amdhsa_reserve_vcc 0
		.amdhsa_float_round_mode_32 0
		.amdhsa_float_round_mode_16_64 0
		.amdhsa_float_denorm_mode_32 3
		.amdhsa_float_denorm_mode_16_64 3
		.amdhsa_dx10_clamp 1
		.amdhsa_ieee_mode 1
		.amdhsa_fp16_overflow 0
		.amdhsa_tg_split 0
		.amdhsa_exception_fp_ieee_invalid_op 0
		.amdhsa_exception_fp_denorm_src 0
		.amdhsa_exception_fp_ieee_div_zero 0
		.amdhsa_exception_fp_ieee_overflow 0
		.amdhsa_exception_fp_ieee_underflow 0
		.amdhsa_exception_fp_ieee_inexact 0
		.amdhsa_exception_int_div_zero 0
	.end_amdhsa_kernel
	.section	.text._ZN7rocprim17ROCPRIM_400000_NS6detail44device_merge_sort_compile_time_verifier_archINS1_11comp_targetILNS1_3genE10ELNS1_11target_archE1201ELNS1_3gpuE5ELNS1_3repE0EEES8_NS1_28merge_sort_block_sort_configILj256ELj4ELNS0_20block_sort_algorithmE0EEENS0_14default_configENS1_37merge_sort_block_sort_config_selectorIyyEENS1_38merge_sort_block_merge_config_selectorIyyEEEEvv,"axG",@progbits,_ZN7rocprim17ROCPRIM_400000_NS6detail44device_merge_sort_compile_time_verifier_archINS1_11comp_targetILNS1_3genE10ELNS1_11target_archE1201ELNS1_3gpuE5ELNS1_3repE0EEES8_NS1_28merge_sort_block_sort_configILj256ELj4ELNS0_20block_sort_algorithmE0EEENS0_14default_configENS1_37merge_sort_block_sort_config_selectorIyyEENS1_38merge_sort_block_merge_config_selectorIyyEEEEvv,comdat
.Lfunc_end392:
	.size	_ZN7rocprim17ROCPRIM_400000_NS6detail44device_merge_sort_compile_time_verifier_archINS1_11comp_targetILNS1_3genE10ELNS1_11target_archE1201ELNS1_3gpuE5ELNS1_3repE0EEES8_NS1_28merge_sort_block_sort_configILj256ELj4ELNS0_20block_sort_algorithmE0EEENS0_14default_configENS1_37merge_sort_block_sort_config_selectorIyyEENS1_38merge_sort_block_merge_config_selectorIyyEEEEvv, .Lfunc_end392-_ZN7rocprim17ROCPRIM_400000_NS6detail44device_merge_sort_compile_time_verifier_archINS1_11comp_targetILNS1_3genE10ELNS1_11target_archE1201ELNS1_3gpuE5ELNS1_3repE0EEES8_NS1_28merge_sort_block_sort_configILj256ELj4ELNS0_20block_sort_algorithmE0EEENS0_14default_configENS1_37merge_sort_block_sort_config_selectorIyyEENS1_38merge_sort_block_merge_config_selectorIyyEEEEvv
                                        ; -- End function
	.set _ZN7rocprim17ROCPRIM_400000_NS6detail44device_merge_sort_compile_time_verifier_archINS1_11comp_targetILNS1_3genE10ELNS1_11target_archE1201ELNS1_3gpuE5ELNS1_3repE0EEES8_NS1_28merge_sort_block_sort_configILj256ELj4ELNS0_20block_sort_algorithmE0EEENS0_14default_configENS1_37merge_sort_block_sort_config_selectorIyyEENS1_38merge_sort_block_merge_config_selectorIyyEEEEvv.num_vgpr, 0
	.set _ZN7rocprim17ROCPRIM_400000_NS6detail44device_merge_sort_compile_time_verifier_archINS1_11comp_targetILNS1_3genE10ELNS1_11target_archE1201ELNS1_3gpuE5ELNS1_3repE0EEES8_NS1_28merge_sort_block_sort_configILj256ELj4ELNS0_20block_sort_algorithmE0EEENS0_14default_configENS1_37merge_sort_block_sort_config_selectorIyyEENS1_38merge_sort_block_merge_config_selectorIyyEEEEvv.num_agpr, 0
	.set _ZN7rocprim17ROCPRIM_400000_NS6detail44device_merge_sort_compile_time_verifier_archINS1_11comp_targetILNS1_3genE10ELNS1_11target_archE1201ELNS1_3gpuE5ELNS1_3repE0EEES8_NS1_28merge_sort_block_sort_configILj256ELj4ELNS0_20block_sort_algorithmE0EEENS0_14default_configENS1_37merge_sort_block_sort_config_selectorIyyEENS1_38merge_sort_block_merge_config_selectorIyyEEEEvv.numbered_sgpr, 0
	.set _ZN7rocprim17ROCPRIM_400000_NS6detail44device_merge_sort_compile_time_verifier_archINS1_11comp_targetILNS1_3genE10ELNS1_11target_archE1201ELNS1_3gpuE5ELNS1_3repE0EEES8_NS1_28merge_sort_block_sort_configILj256ELj4ELNS0_20block_sort_algorithmE0EEENS0_14default_configENS1_37merge_sort_block_sort_config_selectorIyyEENS1_38merge_sort_block_merge_config_selectorIyyEEEEvv.num_named_barrier, 0
	.set _ZN7rocprim17ROCPRIM_400000_NS6detail44device_merge_sort_compile_time_verifier_archINS1_11comp_targetILNS1_3genE10ELNS1_11target_archE1201ELNS1_3gpuE5ELNS1_3repE0EEES8_NS1_28merge_sort_block_sort_configILj256ELj4ELNS0_20block_sort_algorithmE0EEENS0_14default_configENS1_37merge_sort_block_sort_config_selectorIyyEENS1_38merge_sort_block_merge_config_selectorIyyEEEEvv.private_seg_size, 0
	.set _ZN7rocprim17ROCPRIM_400000_NS6detail44device_merge_sort_compile_time_verifier_archINS1_11comp_targetILNS1_3genE10ELNS1_11target_archE1201ELNS1_3gpuE5ELNS1_3repE0EEES8_NS1_28merge_sort_block_sort_configILj256ELj4ELNS0_20block_sort_algorithmE0EEENS0_14default_configENS1_37merge_sort_block_sort_config_selectorIyyEENS1_38merge_sort_block_merge_config_selectorIyyEEEEvv.uses_vcc, 0
	.set _ZN7rocprim17ROCPRIM_400000_NS6detail44device_merge_sort_compile_time_verifier_archINS1_11comp_targetILNS1_3genE10ELNS1_11target_archE1201ELNS1_3gpuE5ELNS1_3repE0EEES8_NS1_28merge_sort_block_sort_configILj256ELj4ELNS0_20block_sort_algorithmE0EEENS0_14default_configENS1_37merge_sort_block_sort_config_selectorIyyEENS1_38merge_sort_block_merge_config_selectorIyyEEEEvv.uses_flat_scratch, 0
	.set _ZN7rocprim17ROCPRIM_400000_NS6detail44device_merge_sort_compile_time_verifier_archINS1_11comp_targetILNS1_3genE10ELNS1_11target_archE1201ELNS1_3gpuE5ELNS1_3repE0EEES8_NS1_28merge_sort_block_sort_configILj256ELj4ELNS0_20block_sort_algorithmE0EEENS0_14default_configENS1_37merge_sort_block_sort_config_selectorIyyEENS1_38merge_sort_block_merge_config_selectorIyyEEEEvv.has_dyn_sized_stack, 0
	.set _ZN7rocprim17ROCPRIM_400000_NS6detail44device_merge_sort_compile_time_verifier_archINS1_11comp_targetILNS1_3genE10ELNS1_11target_archE1201ELNS1_3gpuE5ELNS1_3repE0EEES8_NS1_28merge_sort_block_sort_configILj256ELj4ELNS0_20block_sort_algorithmE0EEENS0_14default_configENS1_37merge_sort_block_sort_config_selectorIyyEENS1_38merge_sort_block_merge_config_selectorIyyEEEEvv.has_recursion, 0
	.set _ZN7rocprim17ROCPRIM_400000_NS6detail44device_merge_sort_compile_time_verifier_archINS1_11comp_targetILNS1_3genE10ELNS1_11target_archE1201ELNS1_3gpuE5ELNS1_3repE0EEES8_NS1_28merge_sort_block_sort_configILj256ELj4ELNS0_20block_sort_algorithmE0EEENS0_14default_configENS1_37merge_sort_block_sort_config_selectorIyyEENS1_38merge_sort_block_merge_config_selectorIyyEEEEvv.has_indirect_call, 0
	.section	.AMDGPU.csdata,"",@progbits
; Kernel info:
; codeLenInByte = 4
; TotalNumSgprs: 6
; NumVgprs: 0
; NumAgprs: 0
; TotalNumVgprs: 0
; ScratchSize: 0
; MemoryBound: 0
; FloatMode: 240
; IeeeMode: 1
; LDSByteSize: 0 bytes/workgroup (compile time only)
; SGPRBlocks: 0
; VGPRBlocks: 0
; NumSGPRsForWavesPerEU: 6
; NumVGPRsForWavesPerEU: 1
; AccumOffset: 4
; Occupancy: 8
; WaveLimiterHint : 0
; COMPUTE_PGM_RSRC2:SCRATCH_EN: 0
; COMPUTE_PGM_RSRC2:USER_SGPR: 0
; COMPUTE_PGM_RSRC2:TRAP_HANDLER: 0
; COMPUTE_PGM_RSRC2:TGID_X_EN: 1
; COMPUTE_PGM_RSRC2:TGID_Y_EN: 0
; COMPUTE_PGM_RSRC2:TGID_Z_EN: 0
; COMPUTE_PGM_RSRC2:TIDIG_COMP_CNT: 0
; COMPUTE_PGM_RSRC3_GFX90A:ACCUM_OFFSET: 0
; COMPUTE_PGM_RSRC3_GFX90A:TG_SPLIT: 0
	.section	.text._ZN7rocprim17ROCPRIM_400000_NS6detail44device_merge_sort_compile_time_verifier_archINS1_11comp_targetILNS1_3genE10ELNS1_11target_archE1200ELNS1_3gpuE4ELNS1_3repE0EEENS3_ILS4_10ELS5_1201ELS6_5ELS7_0EEENS1_28merge_sort_block_sort_configILj256ELj4ELNS0_20block_sort_algorithmE0EEENS0_14default_configENS1_37merge_sort_block_sort_config_selectorIyyEENS1_38merge_sort_block_merge_config_selectorIyyEEEEvv,"axG",@progbits,_ZN7rocprim17ROCPRIM_400000_NS6detail44device_merge_sort_compile_time_verifier_archINS1_11comp_targetILNS1_3genE10ELNS1_11target_archE1200ELNS1_3gpuE4ELNS1_3repE0EEENS3_ILS4_10ELS5_1201ELS6_5ELS7_0EEENS1_28merge_sort_block_sort_configILj256ELj4ELNS0_20block_sort_algorithmE0EEENS0_14default_configENS1_37merge_sort_block_sort_config_selectorIyyEENS1_38merge_sort_block_merge_config_selectorIyyEEEEvv,comdat
	.protected	_ZN7rocprim17ROCPRIM_400000_NS6detail44device_merge_sort_compile_time_verifier_archINS1_11comp_targetILNS1_3genE10ELNS1_11target_archE1200ELNS1_3gpuE4ELNS1_3repE0EEENS3_ILS4_10ELS5_1201ELS6_5ELS7_0EEENS1_28merge_sort_block_sort_configILj256ELj4ELNS0_20block_sort_algorithmE0EEENS0_14default_configENS1_37merge_sort_block_sort_config_selectorIyyEENS1_38merge_sort_block_merge_config_selectorIyyEEEEvv ; -- Begin function _ZN7rocprim17ROCPRIM_400000_NS6detail44device_merge_sort_compile_time_verifier_archINS1_11comp_targetILNS1_3genE10ELNS1_11target_archE1200ELNS1_3gpuE4ELNS1_3repE0EEENS3_ILS4_10ELS5_1201ELS6_5ELS7_0EEENS1_28merge_sort_block_sort_configILj256ELj4ELNS0_20block_sort_algorithmE0EEENS0_14default_configENS1_37merge_sort_block_sort_config_selectorIyyEENS1_38merge_sort_block_merge_config_selectorIyyEEEEvv
	.globl	_ZN7rocprim17ROCPRIM_400000_NS6detail44device_merge_sort_compile_time_verifier_archINS1_11comp_targetILNS1_3genE10ELNS1_11target_archE1200ELNS1_3gpuE4ELNS1_3repE0EEENS3_ILS4_10ELS5_1201ELS6_5ELS7_0EEENS1_28merge_sort_block_sort_configILj256ELj4ELNS0_20block_sort_algorithmE0EEENS0_14default_configENS1_37merge_sort_block_sort_config_selectorIyyEENS1_38merge_sort_block_merge_config_selectorIyyEEEEvv
	.p2align	8
	.type	_ZN7rocprim17ROCPRIM_400000_NS6detail44device_merge_sort_compile_time_verifier_archINS1_11comp_targetILNS1_3genE10ELNS1_11target_archE1200ELNS1_3gpuE4ELNS1_3repE0EEENS3_ILS4_10ELS5_1201ELS6_5ELS7_0EEENS1_28merge_sort_block_sort_configILj256ELj4ELNS0_20block_sort_algorithmE0EEENS0_14default_configENS1_37merge_sort_block_sort_config_selectorIyyEENS1_38merge_sort_block_merge_config_selectorIyyEEEEvv,@function
_ZN7rocprim17ROCPRIM_400000_NS6detail44device_merge_sort_compile_time_verifier_archINS1_11comp_targetILNS1_3genE10ELNS1_11target_archE1200ELNS1_3gpuE4ELNS1_3repE0EEENS3_ILS4_10ELS5_1201ELS6_5ELS7_0EEENS1_28merge_sort_block_sort_configILj256ELj4ELNS0_20block_sort_algorithmE0EEENS0_14default_configENS1_37merge_sort_block_sort_config_selectorIyyEENS1_38merge_sort_block_merge_config_selectorIyyEEEEvv: ; @_ZN7rocprim17ROCPRIM_400000_NS6detail44device_merge_sort_compile_time_verifier_archINS1_11comp_targetILNS1_3genE10ELNS1_11target_archE1200ELNS1_3gpuE4ELNS1_3repE0EEENS3_ILS4_10ELS5_1201ELS6_5ELS7_0EEENS1_28merge_sort_block_sort_configILj256ELj4ELNS0_20block_sort_algorithmE0EEENS0_14default_configENS1_37merge_sort_block_sort_config_selectorIyyEENS1_38merge_sort_block_merge_config_selectorIyyEEEEvv
; %bb.0:
	s_endpgm
	.section	.rodata,"a",@progbits
	.p2align	6, 0x0
	.amdhsa_kernel _ZN7rocprim17ROCPRIM_400000_NS6detail44device_merge_sort_compile_time_verifier_archINS1_11comp_targetILNS1_3genE10ELNS1_11target_archE1200ELNS1_3gpuE4ELNS1_3repE0EEENS3_ILS4_10ELS5_1201ELS6_5ELS7_0EEENS1_28merge_sort_block_sort_configILj256ELj4ELNS0_20block_sort_algorithmE0EEENS0_14default_configENS1_37merge_sort_block_sort_config_selectorIyyEENS1_38merge_sort_block_merge_config_selectorIyyEEEEvv
		.amdhsa_group_segment_fixed_size 0
		.amdhsa_private_segment_fixed_size 0
		.amdhsa_kernarg_size 0
		.amdhsa_user_sgpr_count 0
		.amdhsa_user_sgpr_dispatch_ptr 0
		.amdhsa_user_sgpr_queue_ptr 0
		.amdhsa_user_sgpr_kernarg_segment_ptr 0
		.amdhsa_user_sgpr_dispatch_id 0
		.amdhsa_user_sgpr_kernarg_preload_length 0
		.amdhsa_user_sgpr_kernarg_preload_offset 0
		.amdhsa_user_sgpr_private_segment_size 0
		.amdhsa_uses_dynamic_stack 0
		.amdhsa_enable_private_segment 0
		.amdhsa_system_sgpr_workgroup_id_x 1
		.amdhsa_system_sgpr_workgroup_id_y 0
		.amdhsa_system_sgpr_workgroup_id_z 0
		.amdhsa_system_sgpr_workgroup_info 0
		.amdhsa_system_vgpr_workitem_id 0
		.amdhsa_next_free_vgpr 1
		.amdhsa_next_free_sgpr 0
		.amdhsa_accum_offset 4
		.amdhsa_reserve_vcc 0
		.amdhsa_float_round_mode_32 0
		.amdhsa_float_round_mode_16_64 0
		.amdhsa_float_denorm_mode_32 3
		.amdhsa_float_denorm_mode_16_64 3
		.amdhsa_dx10_clamp 1
		.amdhsa_ieee_mode 1
		.amdhsa_fp16_overflow 0
		.amdhsa_tg_split 0
		.amdhsa_exception_fp_ieee_invalid_op 0
		.amdhsa_exception_fp_denorm_src 0
		.amdhsa_exception_fp_ieee_div_zero 0
		.amdhsa_exception_fp_ieee_overflow 0
		.amdhsa_exception_fp_ieee_underflow 0
		.amdhsa_exception_fp_ieee_inexact 0
		.amdhsa_exception_int_div_zero 0
	.end_amdhsa_kernel
	.section	.text._ZN7rocprim17ROCPRIM_400000_NS6detail44device_merge_sort_compile_time_verifier_archINS1_11comp_targetILNS1_3genE10ELNS1_11target_archE1200ELNS1_3gpuE4ELNS1_3repE0EEENS3_ILS4_10ELS5_1201ELS6_5ELS7_0EEENS1_28merge_sort_block_sort_configILj256ELj4ELNS0_20block_sort_algorithmE0EEENS0_14default_configENS1_37merge_sort_block_sort_config_selectorIyyEENS1_38merge_sort_block_merge_config_selectorIyyEEEEvv,"axG",@progbits,_ZN7rocprim17ROCPRIM_400000_NS6detail44device_merge_sort_compile_time_verifier_archINS1_11comp_targetILNS1_3genE10ELNS1_11target_archE1200ELNS1_3gpuE4ELNS1_3repE0EEENS3_ILS4_10ELS5_1201ELS6_5ELS7_0EEENS1_28merge_sort_block_sort_configILj256ELj4ELNS0_20block_sort_algorithmE0EEENS0_14default_configENS1_37merge_sort_block_sort_config_selectorIyyEENS1_38merge_sort_block_merge_config_selectorIyyEEEEvv,comdat
.Lfunc_end393:
	.size	_ZN7rocprim17ROCPRIM_400000_NS6detail44device_merge_sort_compile_time_verifier_archINS1_11comp_targetILNS1_3genE10ELNS1_11target_archE1200ELNS1_3gpuE4ELNS1_3repE0EEENS3_ILS4_10ELS5_1201ELS6_5ELS7_0EEENS1_28merge_sort_block_sort_configILj256ELj4ELNS0_20block_sort_algorithmE0EEENS0_14default_configENS1_37merge_sort_block_sort_config_selectorIyyEENS1_38merge_sort_block_merge_config_selectorIyyEEEEvv, .Lfunc_end393-_ZN7rocprim17ROCPRIM_400000_NS6detail44device_merge_sort_compile_time_verifier_archINS1_11comp_targetILNS1_3genE10ELNS1_11target_archE1200ELNS1_3gpuE4ELNS1_3repE0EEENS3_ILS4_10ELS5_1201ELS6_5ELS7_0EEENS1_28merge_sort_block_sort_configILj256ELj4ELNS0_20block_sort_algorithmE0EEENS0_14default_configENS1_37merge_sort_block_sort_config_selectorIyyEENS1_38merge_sort_block_merge_config_selectorIyyEEEEvv
                                        ; -- End function
	.set _ZN7rocprim17ROCPRIM_400000_NS6detail44device_merge_sort_compile_time_verifier_archINS1_11comp_targetILNS1_3genE10ELNS1_11target_archE1200ELNS1_3gpuE4ELNS1_3repE0EEENS3_ILS4_10ELS5_1201ELS6_5ELS7_0EEENS1_28merge_sort_block_sort_configILj256ELj4ELNS0_20block_sort_algorithmE0EEENS0_14default_configENS1_37merge_sort_block_sort_config_selectorIyyEENS1_38merge_sort_block_merge_config_selectorIyyEEEEvv.num_vgpr, 0
	.set _ZN7rocprim17ROCPRIM_400000_NS6detail44device_merge_sort_compile_time_verifier_archINS1_11comp_targetILNS1_3genE10ELNS1_11target_archE1200ELNS1_3gpuE4ELNS1_3repE0EEENS3_ILS4_10ELS5_1201ELS6_5ELS7_0EEENS1_28merge_sort_block_sort_configILj256ELj4ELNS0_20block_sort_algorithmE0EEENS0_14default_configENS1_37merge_sort_block_sort_config_selectorIyyEENS1_38merge_sort_block_merge_config_selectorIyyEEEEvv.num_agpr, 0
	.set _ZN7rocprim17ROCPRIM_400000_NS6detail44device_merge_sort_compile_time_verifier_archINS1_11comp_targetILNS1_3genE10ELNS1_11target_archE1200ELNS1_3gpuE4ELNS1_3repE0EEENS3_ILS4_10ELS5_1201ELS6_5ELS7_0EEENS1_28merge_sort_block_sort_configILj256ELj4ELNS0_20block_sort_algorithmE0EEENS0_14default_configENS1_37merge_sort_block_sort_config_selectorIyyEENS1_38merge_sort_block_merge_config_selectorIyyEEEEvv.numbered_sgpr, 0
	.set _ZN7rocprim17ROCPRIM_400000_NS6detail44device_merge_sort_compile_time_verifier_archINS1_11comp_targetILNS1_3genE10ELNS1_11target_archE1200ELNS1_3gpuE4ELNS1_3repE0EEENS3_ILS4_10ELS5_1201ELS6_5ELS7_0EEENS1_28merge_sort_block_sort_configILj256ELj4ELNS0_20block_sort_algorithmE0EEENS0_14default_configENS1_37merge_sort_block_sort_config_selectorIyyEENS1_38merge_sort_block_merge_config_selectorIyyEEEEvv.num_named_barrier, 0
	.set _ZN7rocprim17ROCPRIM_400000_NS6detail44device_merge_sort_compile_time_verifier_archINS1_11comp_targetILNS1_3genE10ELNS1_11target_archE1200ELNS1_3gpuE4ELNS1_3repE0EEENS3_ILS4_10ELS5_1201ELS6_5ELS7_0EEENS1_28merge_sort_block_sort_configILj256ELj4ELNS0_20block_sort_algorithmE0EEENS0_14default_configENS1_37merge_sort_block_sort_config_selectorIyyEENS1_38merge_sort_block_merge_config_selectorIyyEEEEvv.private_seg_size, 0
	.set _ZN7rocprim17ROCPRIM_400000_NS6detail44device_merge_sort_compile_time_verifier_archINS1_11comp_targetILNS1_3genE10ELNS1_11target_archE1200ELNS1_3gpuE4ELNS1_3repE0EEENS3_ILS4_10ELS5_1201ELS6_5ELS7_0EEENS1_28merge_sort_block_sort_configILj256ELj4ELNS0_20block_sort_algorithmE0EEENS0_14default_configENS1_37merge_sort_block_sort_config_selectorIyyEENS1_38merge_sort_block_merge_config_selectorIyyEEEEvv.uses_vcc, 0
	.set _ZN7rocprim17ROCPRIM_400000_NS6detail44device_merge_sort_compile_time_verifier_archINS1_11comp_targetILNS1_3genE10ELNS1_11target_archE1200ELNS1_3gpuE4ELNS1_3repE0EEENS3_ILS4_10ELS5_1201ELS6_5ELS7_0EEENS1_28merge_sort_block_sort_configILj256ELj4ELNS0_20block_sort_algorithmE0EEENS0_14default_configENS1_37merge_sort_block_sort_config_selectorIyyEENS1_38merge_sort_block_merge_config_selectorIyyEEEEvv.uses_flat_scratch, 0
	.set _ZN7rocprim17ROCPRIM_400000_NS6detail44device_merge_sort_compile_time_verifier_archINS1_11comp_targetILNS1_3genE10ELNS1_11target_archE1200ELNS1_3gpuE4ELNS1_3repE0EEENS3_ILS4_10ELS5_1201ELS6_5ELS7_0EEENS1_28merge_sort_block_sort_configILj256ELj4ELNS0_20block_sort_algorithmE0EEENS0_14default_configENS1_37merge_sort_block_sort_config_selectorIyyEENS1_38merge_sort_block_merge_config_selectorIyyEEEEvv.has_dyn_sized_stack, 0
	.set _ZN7rocprim17ROCPRIM_400000_NS6detail44device_merge_sort_compile_time_verifier_archINS1_11comp_targetILNS1_3genE10ELNS1_11target_archE1200ELNS1_3gpuE4ELNS1_3repE0EEENS3_ILS4_10ELS5_1201ELS6_5ELS7_0EEENS1_28merge_sort_block_sort_configILj256ELj4ELNS0_20block_sort_algorithmE0EEENS0_14default_configENS1_37merge_sort_block_sort_config_selectorIyyEENS1_38merge_sort_block_merge_config_selectorIyyEEEEvv.has_recursion, 0
	.set _ZN7rocprim17ROCPRIM_400000_NS6detail44device_merge_sort_compile_time_verifier_archINS1_11comp_targetILNS1_3genE10ELNS1_11target_archE1200ELNS1_3gpuE4ELNS1_3repE0EEENS3_ILS4_10ELS5_1201ELS6_5ELS7_0EEENS1_28merge_sort_block_sort_configILj256ELj4ELNS0_20block_sort_algorithmE0EEENS0_14default_configENS1_37merge_sort_block_sort_config_selectorIyyEENS1_38merge_sort_block_merge_config_selectorIyyEEEEvv.has_indirect_call, 0
	.section	.AMDGPU.csdata,"",@progbits
; Kernel info:
; codeLenInByte = 4
; TotalNumSgprs: 6
; NumVgprs: 0
; NumAgprs: 0
; TotalNumVgprs: 0
; ScratchSize: 0
; MemoryBound: 0
; FloatMode: 240
; IeeeMode: 1
; LDSByteSize: 0 bytes/workgroup (compile time only)
; SGPRBlocks: 0
; VGPRBlocks: 0
; NumSGPRsForWavesPerEU: 6
; NumVGPRsForWavesPerEU: 1
; AccumOffset: 4
; Occupancy: 8
; WaveLimiterHint : 0
; COMPUTE_PGM_RSRC2:SCRATCH_EN: 0
; COMPUTE_PGM_RSRC2:USER_SGPR: 0
; COMPUTE_PGM_RSRC2:TRAP_HANDLER: 0
; COMPUTE_PGM_RSRC2:TGID_X_EN: 1
; COMPUTE_PGM_RSRC2:TGID_Y_EN: 0
; COMPUTE_PGM_RSRC2:TGID_Z_EN: 0
; COMPUTE_PGM_RSRC2:TIDIG_COMP_CNT: 0
; COMPUTE_PGM_RSRC3_GFX90A:ACCUM_OFFSET: 0
; COMPUTE_PGM_RSRC3_GFX90A:TG_SPLIT: 0
	.section	.text._ZN7rocprim17ROCPRIM_400000_NS6detail44device_merge_sort_compile_time_verifier_archINS1_11comp_targetILNS1_3genE9ELNS1_11target_archE1100ELNS1_3gpuE3ELNS1_3repE0EEES8_NS1_28merge_sort_block_sort_configILj256ELj4ELNS0_20block_sort_algorithmE0EEENS0_14default_configENS1_37merge_sort_block_sort_config_selectorIyyEENS1_38merge_sort_block_merge_config_selectorIyyEEEEvv,"axG",@progbits,_ZN7rocprim17ROCPRIM_400000_NS6detail44device_merge_sort_compile_time_verifier_archINS1_11comp_targetILNS1_3genE9ELNS1_11target_archE1100ELNS1_3gpuE3ELNS1_3repE0EEES8_NS1_28merge_sort_block_sort_configILj256ELj4ELNS0_20block_sort_algorithmE0EEENS0_14default_configENS1_37merge_sort_block_sort_config_selectorIyyEENS1_38merge_sort_block_merge_config_selectorIyyEEEEvv,comdat
	.protected	_ZN7rocprim17ROCPRIM_400000_NS6detail44device_merge_sort_compile_time_verifier_archINS1_11comp_targetILNS1_3genE9ELNS1_11target_archE1100ELNS1_3gpuE3ELNS1_3repE0EEES8_NS1_28merge_sort_block_sort_configILj256ELj4ELNS0_20block_sort_algorithmE0EEENS0_14default_configENS1_37merge_sort_block_sort_config_selectorIyyEENS1_38merge_sort_block_merge_config_selectorIyyEEEEvv ; -- Begin function _ZN7rocprim17ROCPRIM_400000_NS6detail44device_merge_sort_compile_time_verifier_archINS1_11comp_targetILNS1_3genE9ELNS1_11target_archE1100ELNS1_3gpuE3ELNS1_3repE0EEES8_NS1_28merge_sort_block_sort_configILj256ELj4ELNS0_20block_sort_algorithmE0EEENS0_14default_configENS1_37merge_sort_block_sort_config_selectorIyyEENS1_38merge_sort_block_merge_config_selectorIyyEEEEvv
	.globl	_ZN7rocprim17ROCPRIM_400000_NS6detail44device_merge_sort_compile_time_verifier_archINS1_11comp_targetILNS1_3genE9ELNS1_11target_archE1100ELNS1_3gpuE3ELNS1_3repE0EEES8_NS1_28merge_sort_block_sort_configILj256ELj4ELNS0_20block_sort_algorithmE0EEENS0_14default_configENS1_37merge_sort_block_sort_config_selectorIyyEENS1_38merge_sort_block_merge_config_selectorIyyEEEEvv
	.p2align	8
	.type	_ZN7rocprim17ROCPRIM_400000_NS6detail44device_merge_sort_compile_time_verifier_archINS1_11comp_targetILNS1_3genE9ELNS1_11target_archE1100ELNS1_3gpuE3ELNS1_3repE0EEES8_NS1_28merge_sort_block_sort_configILj256ELj4ELNS0_20block_sort_algorithmE0EEENS0_14default_configENS1_37merge_sort_block_sort_config_selectorIyyEENS1_38merge_sort_block_merge_config_selectorIyyEEEEvv,@function
_ZN7rocprim17ROCPRIM_400000_NS6detail44device_merge_sort_compile_time_verifier_archINS1_11comp_targetILNS1_3genE9ELNS1_11target_archE1100ELNS1_3gpuE3ELNS1_3repE0EEES8_NS1_28merge_sort_block_sort_configILj256ELj4ELNS0_20block_sort_algorithmE0EEENS0_14default_configENS1_37merge_sort_block_sort_config_selectorIyyEENS1_38merge_sort_block_merge_config_selectorIyyEEEEvv: ; @_ZN7rocprim17ROCPRIM_400000_NS6detail44device_merge_sort_compile_time_verifier_archINS1_11comp_targetILNS1_3genE9ELNS1_11target_archE1100ELNS1_3gpuE3ELNS1_3repE0EEES8_NS1_28merge_sort_block_sort_configILj256ELj4ELNS0_20block_sort_algorithmE0EEENS0_14default_configENS1_37merge_sort_block_sort_config_selectorIyyEENS1_38merge_sort_block_merge_config_selectorIyyEEEEvv
; %bb.0:
	s_endpgm
	.section	.rodata,"a",@progbits
	.p2align	6, 0x0
	.amdhsa_kernel _ZN7rocprim17ROCPRIM_400000_NS6detail44device_merge_sort_compile_time_verifier_archINS1_11comp_targetILNS1_3genE9ELNS1_11target_archE1100ELNS1_3gpuE3ELNS1_3repE0EEES8_NS1_28merge_sort_block_sort_configILj256ELj4ELNS0_20block_sort_algorithmE0EEENS0_14default_configENS1_37merge_sort_block_sort_config_selectorIyyEENS1_38merge_sort_block_merge_config_selectorIyyEEEEvv
		.amdhsa_group_segment_fixed_size 0
		.amdhsa_private_segment_fixed_size 0
		.amdhsa_kernarg_size 0
		.amdhsa_user_sgpr_count 0
		.amdhsa_user_sgpr_dispatch_ptr 0
		.amdhsa_user_sgpr_queue_ptr 0
		.amdhsa_user_sgpr_kernarg_segment_ptr 0
		.amdhsa_user_sgpr_dispatch_id 0
		.amdhsa_user_sgpr_kernarg_preload_length 0
		.amdhsa_user_sgpr_kernarg_preload_offset 0
		.amdhsa_user_sgpr_private_segment_size 0
		.amdhsa_uses_dynamic_stack 0
		.amdhsa_enable_private_segment 0
		.amdhsa_system_sgpr_workgroup_id_x 1
		.amdhsa_system_sgpr_workgroup_id_y 0
		.amdhsa_system_sgpr_workgroup_id_z 0
		.amdhsa_system_sgpr_workgroup_info 0
		.amdhsa_system_vgpr_workitem_id 0
		.amdhsa_next_free_vgpr 1
		.amdhsa_next_free_sgpr 0
		.amdhsa_accum_offset 4
		.amdhsa_reserve_vcc 0
		.amdhsa_float_round_mode_32 0
		.amdhsa_float_round_mode_16_64 0
		.amdhsa_float_denorm_mode_32 3
		.amdhsa_float_denorm_mode_16_64 3
		.amdhsa_dx10_clamp 1
		.amdhsa_ieee_mode 1
		.amdhsa_fp16_overflow 0
		.amdhsa_tg_split 0
		.amdhsa_exception_fp_ieee_invalid_op 0
		.amdhsa_exception_fp_denorm_src 0
		.amdhsa_exception_fp_ieee_div_zero 0
		.amdhsa_exception_fp_ieee_overflow 0
		.amdhsa_exception_fp_ieee_underflow 0
		.amdhsa_exception_fp_ieee_inexact 0
		.amdhsa_exception_int_div_zero 0
	.end_amdhsa_kernel
	.section	.text._ZN7rocprim17ROCPRIM_400000_NS6detail44device_merge_sort_compile_time_verifier_archINS1_11comp_targetILNS1_3genE9ELNS1_11target_archE1100ELNS1_3gpuE3ELNS1_3repE0EEES8_NS1_28merge_sort_block_sort_configILj256ELj4ELNS0_20block_sort_algorithmE0EEENS0_14default_configENS1_37merge_sort_block_sort_config_selectorIyyEENS1_38merge_sort_block_merge_config_selectorIyyEEEEvv,"axG",@progbits,_ZN7rocprim17ROCPRIM_400000_NS6detail44device_merge_sort_compile_time_verifier_archINS1_11comp_targetILNS1_3genE9ELNS1_11target_archE1100ELNS1_3gpuE3ELNS1_3repE0EEES8_NS1_28merge_sort_block_sort_configILj256ELj4ELNS0_20block_sort_algorithmE0EEENS0_14default_configENS1_37merge_sort_block_sort_config_selectorIyyEENS1_38merge_sort_block_merge_config_selectorIyyEEEEvv,comdat
.Lfunc_end394:
	.size	_ZN7rocprim17ROCPRIM_400000_NS6detail44device_merge_sort_compile_time_verifier_archINS1_11comp_targetILNS1_3genE9ELNS1_11target_archE1100ELNS1_3gpuE3ELNS1_3repE0EEES8_NS1_28merge_sort_block_sort_configILj256ELj4ELNS0_20block_sort_algorithmE0EEENS0_14default_configENS1_37merge_sort_block_sort_config_selectorIyyEENS1_38merge_sort_block_merge_config_selectorIyyEEEEvv, .Lfunc_end394-_ZN7rocprim17ROCPRIM_400000_NS6detail44device_merge_sort_compile_time_verifier_archINS1_11comp_targetILNS1_3genE9ELNS1_11target_archE1100ELNS1_3gpuE3ELNS1_3repE0EEES8_NS1_28merge_sort_block_sort_configILj256ELj4ELNS0_20block_sort_algorithmE0EEENS0_14default_configENS1_37merge_sort_block_sort_config_selectorIyyEENS1_38merge_sort_block_merge_config_selectorIyyEEEEvv
                                        ; -- End function
	.set _ZN7rocprim17ROCPRIM_400000_NS6detail44device_merge_sort_compile_time_verifier_archINS1_11comp_targetILNS1_3genE9ELNS1_11target_archE1100ELNS1_3gpuE3ELNS1_3repE0EEES8_NS1_28merge_sort_block_sort_configILj256ELj4ELNS0_20block_sort_algorithmE0EEENS0_14default_configENS1_37merge_sort_block_sort_config_selectorIyyEENS1_38merge_sort_block_merge_config_selectorIyyEEEEvv.num_vgpr, 0
	.set _ZN7rocprim17ROCPRIM_400000_NS6detail44device_merge_sort_compile_time_verifier_archINS1_11comp_targetILNS1_3genE9ELNS1_11target_archE1100ELNS1_3gpuE3ELNS1_3repE0EEES8_NS1_28merge_sort_block_sort_configILj256ELj4ELNS0_20block_sort_algorithmE0EEENS0_14default_configENS1_37merge_sort_block_sort_config_selectorIyyEENS1_38merge_sort_block_merge_config_selectorIyyEEEEvv.num_agpr, 0
	.set _ZN7rocprim17ROCPRIM_400000_NS6detail44device_merge_sort_compile_time_verifier_archINS1_11comp_targetILNS1_3genE9ELNS1_11target_archE1100ELNS1_3gpuE3ELNS1_3repE0EEES8_NS1_28merge_sort_block_sort_configILj256ELj4ELNS0_20block_sort_algorithmE0EEENS0_14default_configENS1_37merge_sort_block_sort_config_selectorIyyEENS1_38merge_sort_block_merge_config_selectorIyyEEEEvv.numbered_sgpr, 0
	.set _ZN7rocprim17ROCPRIM_400000_NS6detail44device_merge_sort_compile_time_verifier_archINS1_11comp_targetILNS1_3genE9ELNS1_11target_archE1100ELNS1_3gpuE3ELNS1_3repE0EEES8_NS1_28merge_sort_block_sort_configILj256ELj4ELNS0_20block_sort_algorithmE0EEENS0_14default_configENS1_37merge_sort_block_sort_config_selectorIyyEENS1_38merge_sort_block_merge_config_selectorIyyEEEEvv.num_named_barrier, 0
	.set _ZN7rocprim17ROCPRIM_400000_NS6detail44device_merge_sort_compile_time_verifier_archINS1_11comp_targetILNS1_3genE9ELNS1_11target_archE1100ELNS1_3gpuE3ELNS1_3repE0EEES8_NS1_28merge_sort_block_sort_configILj256ELj4ELNS0_20block_sort_algorithmE0EEENS0_14default_configENS1_37merge_sort_block_sort_config_selectorIyyEENS1_38merge_sort_block_merge_config_selectorIyyEEEEvv.private_seg_size, 0
	.set _ZN7rocprim17ROCPRIM_400000_NS6detail44device_merge_sort_compile_time_verifier_archINS1_11comp_targetILNS1_3genE9ELNS1_11target_archE1100ELNS1_3gpuE3ELNS1_3repE0EEES8_NS1_28merge_sort_block_sort_configILj256ELj4ELNS0_20block_sort_algorithmE0EEENS0_14default_configENS1_37merge_sort_block_sort_config_selectorIyyEENS1_38merge_sort_block_merge_config_selectorIyyEEEEvv.uses_vcc, 0
	.set _ZN7rocprim17ROCPRIM_400000_NS6detail44device_merge_sort_compile_time_verifier_archINS1_11comp_targetILNS1_3genE9ELNS1_11target_archE1100ELNS1_3gpuE3ELNS1_3repE0EEES8_NS1_28merge_sort_block_sort_configILj256ELj4ELNS0_20block_sort_algorithmE0EEENS0_14default_configENS1_37merge_sort_block_sort_config_selectorIyyEENS1_38merge_sort_block_merge_config_selectorIyyEEEEvv.uses_flat_scratch, 0
	.set _ZN7rocprim17ROCPRIM_400000_NS6detail44device_merge_sort_compile_time_verifier_archINS1_11comp_targetILNS1_3genE9ELNS1_11target_archE1100ELNS1_3gpuE3ELNS1_3repE0EEES8_NS1_28merge_sort_block_sort_configILj256ELj4ELNS0_20block_sort_algorithmE0EEENS0_14default_configENS1_37merge_sort_block_sort_config_selectorIyyEENS1_38merge_sort_block_merge_config_selectorIyyEEEEvv.has_dyn_sized_stack, 0
	.set _ZN7rocprim17ROCPRIM_400000_NS6detail44device_merge_sort_compile_time_verifier_archINS1_11comp_targetILNS1_3genE9ELNS1_11target_archE1100ELNS1_3gpuE3ELNS1_3repE0EEES8_NS1_28merge_sort_block_sort_configILj256ELj4ELNS0_20block_sort_algorithmE0EEENS0_14default_configENS1_37merge_sort_block_sort_config_selectorIyyEENS1_38merge_sort_block_merge_config_selectorIyyEEEEvv.has_recursion, 0
	.set _ZN7rocprim17ROCPRIM_400000_NS6detail44device_merge_sort_compile_time_verifier_archINS1_11comp_targetILNS1_3genE9ELNS1_11target_archE1100ELNS1_3gpuE3ELNS1_3repE0EEES8_NS1_28merge_sort_block_sort_configILj256ELj4ELNS0_20block_sort_algorithmE0EEENS0_14default_configENS1_37merge_sort_block_sort_config_selectorIyyEENS1_38merge_sort_block_merge_config_selectorIyyEEEEvv.has_indirect_call, 0
	.section	.AMDGPU.csdata,"",@progbits
; Kernel info:
; codeLenInByte = 4
; TotalNumSgprs: 6
; NumVgprs: 0
; NumAgprs: 0
; TotalNumVgprs: 0
; ScratchSize: 0
; MemoryBound: 0
; FloatMode: 240
; IeeeMode: 1
; LDSByteSize: 0 bytes/workgroup (compile time only)
; SGPRBlocks: 0
; VGPRBlocks: 0
; NumSGPRsForWavesPerEU: 6
; NumVGPRsForWavesPerEU: 1
; AccumOffset: 4
; Occupancy: 8
; WaveLimiterHint : 0
; COMPUTE_PGM_RSRC2:SCRATCH_EN: 0
; COMPUTE_PGM_RSRC2:USER_SGPR: 0
; COMPUTE_PGM_RSRC2:TRAP_HANDLER: 0
; COMPUTE_PGM_RSRC2:TGID_X_EN: 1
; COMPUTE_PGM_RSRC2:TGID_Y_EN: 0
; COMPUTE_PGM_RSRC2:TGID_Z_EN: 0
; COMPUTE_PGM_RSRC2:TIDIG_COMP_CNT: 0
; COMPUTE_PGM_RSRC3_GFX90A:ACCUM_OFFSET: 0
; COMPUTE_PGM_RSRC3_GFX90A:TG_SPLIT: 0
	.section	.text._ZN7rocprim17ROCPRIM_400000_NS6detail44device_merge_sort_compile_time_verifier_archINS1_11comp_targetILNS1_3genE8ELNS1_11target_archE1030ELNS1_3gpuE2ELNS1_3repE0EEES8_NS1_28merge_sort_block_sort_configILj256ELj4ELNS0_20block_sort_algorithmE0EEENS0_14default_configENS1_37merge_sort_block_sort_config_selectorIyyEENS1_38merge_sort_block_merge_config_selectorIyyEEEEvv,"axG",@progbits,_ZN7rocprim17ROCPRIM_400000_NS6detail44device_merge_sort_compile_time_verifier_archINS1_11comp_targetILNS1_3genE8ELNS1_11target_archE1030ELNS1_3gpuE2ELNS1_3repE0EEES8_NS1_28merge_sort_block_sort_configILj256ELj4ELNS0_20block_sort_algorithmE0EEENS0_14default_configENS1_37merge_sort_block_sort_config_selectorIyyEENS1_38merge_sort_block_merge_config_selectorIyyEEEEvv,comdat
	.protected	_ZN7rocprim17ROCPRIM_400000_NS6detail44device_merge_sort_compile_time_verifier_archINS1_11comp_targetILNS1_3genE8ELNS1_11target_archE1030ELNS1_3gpuE2ELNS1_3repE0EEES8_NS1_28merge_sort_block_sort_configILj256ELj4ELNS0_20block_sort_algorithmE0EEENS0_14default_configENS1_37merge_sort_block_sort_config_selectorIyyEENS1_38merge_sort_block_merge_config_selectorIyyEEEEvv ; -- Begin function _ZN7rocprim17ROCPRIM_400000_NS6detail44device_merge_sort_compile_time_verifier_archINS1_11comp_targetILNS1_3genE8ELNS1_11target_archE1030ELNS1_3gpuE2ELNS1_3repE0EEES8_NS1_28merge_sort_block_sort_configILj256ELj4ELNS0_20block_sort_algorithmE0EEENS0_14default_configENS1_37merge_sort_block_sort_config_selectorIyyEENS1_38merge_sort_block_merge_config_selectorIyyEEEEvv
	.globl	_ZN7rocprim17ROCPRIM_400000_NS6detail44device_merge_sort_compile_time_verifier_archINS1_11comp_targetILNS1_3genE8ELNS1_11target_archE1030ELNS1_3gpuE2ELNS1_3repE0EEES8_NS1_28merge_sort_block_sort_configILj256ELj4ELNS0_20block_sort_algorithmE0EEENS0_14default_configENS1_37merge_sort_block_sort_config_selectorIyyEENS1_38merge_sort_block_merge_config_selectorIyyEEEEvv
	.p2align	8
	.type	_ZN7rocprim17ROCPRIM_400000_NS6detail44device_merge_sort_compile_time_verifier_archINS1_11comp_targetILNS1_3genE8ELNS1_11target_archE1030ELNS1_3gpuE2ELNS1_3repE0EEES8_NS1_28merge_sort_block_sort_configILj256ELj4ELNS0_20block_sort_algorithmE0EEENS0_14default_configENS1_37merge_sort_block_sort_config_selectorIyyEENS1_38merge_sort_block_merge_config_selectorIyyEEEEvv,@function
_ZN7rocprim17ROCPRIM_400000_NS6detail44device_merge_sort_compile_time_verifier_archINS1_11comp_targetILNS1_3genE8ELNS1_11target_archE1030ELNS1_3gpuE2ELNS1_3repE0EEES8_NS1_28merge_sort_block_sort_configILj256ELj4ELNS0_20block_sort_algorithmE0EEENS0_14default_configENS1_37merge_sort_block_sort_config_selectorIyyEENS1_38merge_sort_block_merge_config_selectorIyyEEEEvv: ; @_ZN7rocprim17ROCPRIM_400000_NS6detail44device_merge_sort_compile_time_verifier_archINS1_11comp_targetILNS1_3genE8ELNS1_11target_archE1030ELNS1_3gpuE2ELNS1_3repE0EEES8_NS1_28merge_sort_block_sort_configILj256ELj4ELNS0_20block_sort_algorithmE0EEENS0_14default_configENS1_37merge_sort_block_sort_config_selectorIyyEENS1_38merge_sort_block_merge_config_selectorIyyEEEEvv
; %bb.0:
	s_endpgm
	.section	.rodata,"a",@progbits
	.p2align	6, 0x0
	.amdhsa_kernel _ZN7rocprim17ROCPRIM_400000_NS6detail44device_merge_sort_compile_time_verifier_archINS1_11comp_targetILNS1_3genE8ELNS1_11target_archE1030ELNS1_3gpuE2ELNS1_3repE0EEES8_NS1_28merge_sort_block_sort_configILj256ELj4ELNS0_20block_sort_algorithmE0EEENS0_14default_configENS1_37merge_sort_block_sort_config_selectorIyyEENS1_38merge_sort_block_merge_config_selectorIyyEEEEvv
		.amdhsa_group_segment_fixed_size 0
		.amdhsa_private_segment_fixed_size 0
		.amdhsa_kernarg_size 0
		.amdhsa_user_sgpr_count 0
		.amdhsa_user_sgpr_dispatch_ptr 0
		.amdhsa_user_sgpr_queue_ptr 0
		.amdhsa_user_sgpr_kernarg_segment_ptr 0
		.amdhsa_user_sgpr_dispatch_id 0
		.amdhsa_user_sgpr_kernarg_preload_length 0
		.amdhsa_user_sgpr_kernarg_preload_offset 0
		.amdhsa_user_sgpr_private_segment_size 0
		.amdhsa_uses_dynamic_stack 0
		.amdhsa_enable_private_segment 0
		.amdhsa_system_sgpr_workgroup_id_x 1
		.amdhsa_system_sgpr_workgroup_id_y 0
		.amdhsa_system_sgpr_workgroup_id_z 0
		.amdhsa_system_sgpr_workgroup_info 0
		.amdhsa_system_vgpr_workitem_id 0
		.amdhsa_next_free_vgpr 1
		.amdhsa_next_free_sgpr 0
		.amdhsa_accum_offset 4
		.amdhsa_reserve_vcc 0
		.amdhsa_float_round_mode_32 0
		.amdhsa_float_round_mode_16_64 0
		.amdhsa_float_denorm_mode_32 3
		.amdhsa_float_denorm_mode_16_64 3
		.amdhsa_dx10_clamp 1
		.amdhsa_ieee_mode 1
		.amdhsa_fp16_overflow 0
		.amdhsa_tg_split 0
		.amdhsa_exception_fp_ieee_invalid_op 0
		.amdhsa_exception_fp_denorm_src 0
		.amdhsa_exception_fp_ieee_div_zero 0
		.amdhsa_exception_fp_ieee_overflow 0
		.amdhsa_exception_fp_ieee_underflow 0
		.amdhsa_exception_fp_ieee_inexact 0
		.amdhsa_exception_int_div_zero 0
	.end_amdhsa_kernel
	.section	.text._ZN7rocprim17ROCPRIM_400000_NS6detail44device_merge_sort_compile_time_verifier_archINS1_11comp_targetILNS1_3genE8ELNS1_11target_archE1030ELNS1_3gpuE2ELNS1_3repE0EEES8_NS1_28merge_sort_block_sort_configILj256ELj4ELNS0_20block_sort_algorithmE0EEENS0_14default_configENS1_37merge_sort_block_sort_config_selectorIyyEENS1_38merge_sort_block_merge_config_selectorIyyEEEEvv,"axG",@progbits,_ZN7rocprim17ROCPRIM_400000_NS6detail44device_merge_sort_compile_time_verifier_archINS1_11comp_targetILNS1_3genE8ELNS1_11target_archE1030ELNS1_3gpuE2ELNS1_3repE0EEES8_NS1_28merge_sort_block_sort_configILj256ELj4ELNS0_20block_sort_algorithmE0EEENS0_14default_configENS1_37merge_sort_block_sort_config_selectorIyyEENS1_38merge_sort_block_merge_config_selectorIyyEEEEvv,comdat
.Lfunc_end395:
	.size	_ZN7rocprim17ROCPRIM_400000_NS6detail44device_merge_sort_compile_time_verifier_archINS1_11comp_targetILNS1_3genE8ELNS1_11target_archE1030ELNS1_3gpuE2ELNS1_3repE0EEES8_NS1_28merge_sort_block_sort_configILj256ELj4ELNS0_20block_sort_algorithmE0EEENS0_14default_configENS1_37merge_sort_block_sort_config_selectorIyyEENS1_38merge_sort_block_merge_config_selectorIyyEEEEvv, .Lfunc_end395-_ZN7rocprim17ROCPRIM_400000_NS6detail44device_merge_sort_compile_time_verifier_archINS1_11comp_targetILNS1_3genE8ELNS1_11target_archE1030ELNS1_3gpuE2ELNS1_3repE0EEES8_NS1_28merge_sort_block_sort_configILj256ELj4ELNS0_20block_sort_algorithmE0EEENS0_14default_configENS1_37merge_sort_block_sort_config_selectorIyyEENS1_38merge_sort_block_merge_config_selectorIyyEEEEvv
                                        ; -- End function
	.set _ZN7rocprim17ROCPRIM_400000_NS6detail44device_merge_sort_compile_time_verifier_archINS1_11comp_targetILNS1_3genE8ELNS1_11target_archE1030ELNS1_3gpuE2ELNS1_3repE0EEES8_NS1_28merge_sort_block_sort_configILj256ELj4ELNS0_20block_sort_algorithmE0EEENS0_14default_configENS1_37merge_sort_block_sort_config_selectorIyyEENS1_38merge_sort_block_merge_config_selectorIyyEEEEvv.num_vgpr, 0
	.set _ZN7rocprim17ROCPRIM_400000_NS6detail44device_merge_sort_compile_time_verifier_archINS1_11comp_targetILNS1_3genE8ELNS1_11target_archE1030ELNS1_3gpuE2ELNS1_3repE0EEES8_NS1_28merge_sort_block_sort_configILj256ELj4ELNS0_20block_sort_algorithmE0EEENS0_14default_configENS1_37merge_sort_block_sort_config_selectorIyyEENS1_38merge_sort_block_merge_config_selectorIyyEEEEvv.num_agpr, 0
	.set _ZN7rocprim17ROCPRIM_400000_NS6detail44device_merge_sort_compile_time_verifier_archINS1_11comp_targetILNS1_3genE8ELNS1_11target_archE1030ELNS1_3gpuE2ELNS1_3repE0EEES8_NS1_28merge_sort_block_sort_configILj256ELj4ELNS0_20block_sort_algorithmE0EEENS0_14default_configENS1_37merge_sort_block_sort_config_selectorIyyEENS1_38merge_sort_block_merge_config_selectorIyyEEEEvv.numbered_sgpr, 0
	.set _ZN7rocprim17ROCPRIM_400000_NS6detail44device_merge_sort_compile_time_verifier_archINS1_11comp_targetILNS1_3genE8ELNS1_11target_archE1030ELNS1_3gpuE2ELNS1_3repE0EEES8_NS1_28merge_sort_block_sort_configILj256ELj4ELNS0_20block_sort_algorithmE0EEENS0_14default_configENS1_37merge_sort_block_sort_config_selectorIyyEENS1_38merge_sort_block_merge_config_selectorIyyEEEEvv.num_named_barrier, 0
	.set _ZN7rocprim17ROCPRIM_400000_NS6detail44device_merge_sort_compile_time_verifier_archINS1_11comp_targetILNS1_3genE8ELNS1_11target_archE1030ELNS1_3gpuE2ELNS1_3repE0EEES8_NS1_28merge_sort_block_sort_configILj256ELj4ELNS0_20block_sort_algorithmE0EEENS0_14default_configENS1_37merge_sort_block_sort_config_selectorIyyEENS1_38merge_sort_block_merge_config_selectorIyyEEEEvv.private_seg_size, 0
	.set _ZN7rocprim17ROCPRIM_400000_NS6detail44device_merge_sort_compile_time_verifier_archINS1_11comp_targetILNS1_3genE8ELNS1_11target_archE1030ELNS1_3gpuE2ELNS1_3repE0EEES8_NS1_28merge_sort_block_sort_configILj256ELj4ELNS0_20block_sort_algorithmE0EEENS0_14default_configENS1_37merge_sort_block_sort_config_selectorIyyEENS1_38merge_sort_block_merge_config_selectorIyyEEEEvv.uses_vcc, 0
	.set _ZN7rocprim17ROCPRIM_400000_NS6detail44device_merge_sort_compile_time_verifier_archINS1_11comp_targetILNS1_3genE8ELNS1_11target_archE1030ELNS1_3gpuE2ELNS1_3repE0EEES8_NS1_28merge_sort_block_sort_configILj256ELj4ELNS0_20block_sort_algorithmE0EEENS0_14default_configENS1_37merge_sort_block_sort_config_selectorIyyEENS1_38merge_sort_block_merge_config_selectorIyyEEEEvv.uses_flat_scratch, 0
	.set _ZN7rocprim17ROCPRIM_400000_NS6detail44device_merge_sort_compile_time_verifier_archINS1_11comp_targetILNS1_3genE8ELNS1_11target_archE1030ELNS1_3gpuE2ELNS1_3repE0EEES8_NS1_28merge_sort_block_sort_configILj256ELj4ELNS0_20block_sort_algorithmE0EEENS0_14default_configENS1_37merge_sort_block_sort_config_selectorIyyEENS1_38merge_sort_block_merge_config_selectorIyyEEEEvv.has_dyn_sized_stack, 0
	.set _ZN7rocprim17ROCPRIM_400000_NS6detail44device_merge_sort_compile_time_verifier_archINS1_11comp_targetILNS1_3genE8ELNS1_11target_archE1030ELNS1_3gpuE2ELNS1_3repE0EEES8_NS1_28merge_sort_block_sort_configILj256ELj4ELNS0_20block_sort_algorithmE0EEENS0_14default_configENS1_37merge_sort_block_sort_config_selectorIyyEENS1_38merge_sort_block_merge_config_selectorIyyEEEEvv.has_recursion, 0
	.set _ZN7rocprim17ROCPRIM_400000_NS6detail44device_merge_sort_compile_time_verifier_archINS1_11comp_targetILNS1_3genE8ELNS1_11target_archE1030ELNS1_3gpuE2ELNS1_3repE0EEES8_NS1_28merge_sort_block_sort_configILj256ELj4ELNS0_20block_sort_algorithmE0EEENS0_14default_configENS1_37merge_sort_block_sort_config_selectorIyyEENS1_38merge_sort_block_merge_config_selectorIyyEEEEvv.has_indirect_call, 0
	.section	.AMDGPU.csdata,"",@progbits
; Kernel info:
; codeLenInByte = 4
; TotalNumSgprs: 6
; NumVgprs: 0
; NumAgprs: 0
; TotalNumVgprs: 0
; ScratchSize: 0
; MemoryBound: 0
; FloatMode: 240
; IeeeMode: 1
; LDSByteSize: 0 bytes/workgroup (compile time only)
; SGPRBlocks: 0
; VGPRBlocks: 0
; NumSGPRsForWavesPerEU: 6
; NumVGPRsForWavesPerEU: 1
; AccumOffset: 4
; Occupancy: 8
; WaveLimiterHint : 0
; COMPUTE_PGM_RSRC2:SCRATCH_EN: 0
; COMPUTE_PGM_RSRC2:USER_SGPR: 0
; COMPUTE_PGM_RSRC2:TRAP_HANDLER: 0
; COMPUTE_PGM_RSRC2:TGID_X_EN: 1
; COMPUTE_PGM_RSRC2:TGID_Y_EN: 0
; COMPUTE_PGM_RSRC2:TGID_Z_EN: 0
; COMPUTE_PGM_RSRC2:TIDIG_COMP_CNT: 0
; COMPUTE_PGM_RSRC3_GFX90A:ACCUM_OFFSET: 0
; COMPUTE_PGM_RSRC3_GFX90A:TG_SPLIT: 0
	.section	.text._ZN7rocprim17ROCPRIM_400000_NS6detail17trampoline_kernelINS0_14default_configENS1_38merge_sort_block_merge_config_selectorIyyEEZZNS1_27merge_sort_block_merge_implIS3_N6thrust23THRUST_200600_302600_NS6detail15normal_iteratorINS8_10device_ptrIyEEEESD_jNS1_19radix_merge_compareILb0ELb0EyNS0_19identity_decomposerEEEEE10hipError_tT0_T1_T2_jT3_P12ihipStream_tbPNSt15iterator_traitsISI_E10value_typeEPNSO_ISJ_E10value_typeEPSK_NS1_7vsmem_tEENKUlT_SI_SJ_SK_E_clIPySD_S10_SD_EESH_SX_SI_SJ_SK_EUlSX_E_NS1_11comp_targetILNS1_3genE0ELNS1_11target_archE4294967295ELNS1_3gpuE0ELNS1_3repE0EEENS1_48merge_mergepath_partition_config_static_selectorELNS0_4arch9wavefront6targetE1EEEvSJ_,"axG",@progbits,_ZN7rocprim17ROCPRIM_400000_NS6detail17trampoline_kernelINS0_14default_configENS1_38merge_sort_block_merge_config_selectorIyyEEZZNS1_27merge_sort_block_merge_implIS3_N6thrust23THRUST_200600_302600_NS6detail15normal_iteratorINS8_10device_ptrIyEEEESD_jNS1_19radix_merge_compareILb0ELb0EyNS0_19identity_decomposerEEEEE10hipError_tT0_T1_T2_jT3_P12ihipStream_tbPNSt15iterator_traitsISI_E10value_typeEPNSO_ISJ_E10value_typeEPSK_NS1_7vsmem_tEENKUlT_SI_SJ_SK_E_clIPySD_S10_SD_EESH_SX_SI_SJ_SK_EUlSX_E_NS1_11comp_targetILNS1_3genE0ELNS1_11target_archE4294967295ELNS1_3gpuE0ELNS1_3repE0EEENS1_48merge_mergepath_partition_config_static_selectorELNS0_4arch9wavefront6targetE1EEEvSJ_,comdat
	.protected	_ZN7rocprim17ROCPRIM_400000_NS6detail17trampoline_kernelINS0_14default_configENS1_38merge_sort_block_merge_config_selectorIyyEEZZNS1_27merge_sort_block_merge_implIS3_N6thrust23THRUST_200600_302600_NS6detail15normal_iteratorINS8_10device_ptrIyEEEESD_jNS1_19radix_merge_compareILb0ELb0EyNS0_19identity_decomposerEEEEE10hipError_tT0_T1_T2_jT3_P12ihipStream_tbPNSt15iterator_traitsISI_E10value_typeEPNSO_ISJ_E10value_typeEPSK_NS1_7vsmem_tEENKUlT_SI_SJ_SK_E_clIPySD_S10_SD_EESH_SX_SI_SJ_SK_EUlSX_E_NS1_11comp_targetILNS1_3genE0ELNS1_11target_archE4294967295ELNS1_3gpuE0ELNS1_3repE0EEENS1_48merge_mergepath_partition_config_static_selectorELNS0_4arch9wavefront6targetE1EEEvSJ_ ; -- Begin function _ZN7rocprim17ROCPRIM_400000_NS6detail17trampoline_kernelINS0_14default_configENS1_38merge_sort_block_merge_config_selectorIyyEEZZNS1_27merge_sort_block_merge_implIS3_N6thrust23THRUST_200600_302600_NS6detail15normal_iteratorINS8_10device_ptrIyEEEESD_jNS1_19radix_merge_compareILb0ELb0EyNS0_19identity_decomposerEEEEE10hipError_tT0_T1_T2_jT3_P12ihipStream_tbPNSt15iterator_traitsISI_E10value_typeEPNSO_ISJ_E10value_typeEPSK_NS1_7vsmem_tEENKUlT_SI_SJ_SK_E_clIPySD_S10_SD_EESH_SX_SI_SJ_SK_EUlSX_E_NS1_11comp_targetILNS1_3genE0ELNS1_11target_archE4294967295ELNS1_3gpuE0ELNS1_3repE0EEENS1_48merge_mergepath_partition_config_static_selectorELNS0_4arch9wavefront6targetE1EEEvSJ_
	.globl	_ZN7rocprim17ROCPRIM_400000_NS6detail17trampoline_kernelINS0_14default_configENS1_38merge_sort_block_merge_config_selectorIyyEEZZNS1_27merge_sort_block_merge_implIS3_N6thrust23THRUST_200600_302600_NS6detail15normal_iteratorINS8_10device_ptrIyEEEESD_jNS1_19radix_merge_compareILb0ELb0EyNS0_19identity_decomposerEEEEE10hipError_tT0_T1_T2_jT3_P12ihipStream_tbPNSt15iterator_traitsISI_E10value_typeEPNSO_ISJ_E10value_typeEPSK_NS1_7vsmem_tEENKUlT_SI_SJ_SK_E_clIPySD_S10_SD_EESH_SX_SI_SJ_SK_EUlSX_E_NS1_11comp_targetILNS1_3genE0ELNS1_11target_archE4294967295ELNS1_3gpuE0ELNS1_3repE0EEENS1_48merge_mergepath_partition_config_static_selectorELNS0_4arch9wavefront6targetE1EEEvSJ_
	.p2align	8
	.type	_ZN7rocprim17ROCPRIM_400000_NS6detail17trampoline_kernelINS0_14default_configENS1_38merge_sort_block_merge_config_selectorIyyEEZZNS1_27merge_sort_block_merge_implIS3_N6thrust23THRUST_200600_302600_NS6detail15normal_iteratorINS8_10device_ptrIyEEEESD_jNS1_19radix_merge_compareILb0ELb0EyNS0_19identity_decomposerEEEEE10hipError_tT0_T1_T2_jT3_P12ihipStream_tbPNSt15iterator_traitsISI_E10value_typeEPNSO_ISJ_E10value_typeEPSK_NS1_7vsmem_tEENKUlT_SI_SJ_SK_E_clIPySD_S10_SD_EESH_SX_SI_SJ_SK_EUlSX_E_NS1_11comp_targetILNS1_3genE0ELNS1_11target_archE4294967295ELNS1_3gpuE0ELNS1_3repE0EEENS1_48merge_mergepath_partition_config_static_selectorELNS0_4arch9wavefront6targetE1EEEvSJ_,@function
_ZN7rocprim17ROCPRIM_400000_NS6detail17trampoline_kernelINS0_14default_configENS1_38merge_sort_block_merge_config_selectorIyyEEZZNS1_27merge_sort_block_merge_implIS3_N6thrust23THRUST_200600_302600_NS6detail15normal_iteratorINS8_10device_ptrIyEEEESD_jNS1_19radix_merge_compareILb0ELb0EyNS0_19identity_decomposerEEEEE10hipError_tT0_T1_T2_jT3_P12ihipStream_tbPNSt15iterator_traitsISI_E10value_typeEPNSO_ISJ_E10value_typeEPSK_NS1_7vsmem_tEENKUlT_SI_SJ_SK_E_clIPySD_S10_SD_EESH_SX_SI_SJ_SK_EUlSX_E_NS1_11comp_targetILNS1_3genE0ELNS1_11target_archE4294967295ELNS1_3gpuE0ELNS1_3repE0EEENS1_48merge_mergepath_partition_config_static_selectorELNS0_4arch9wavefront6targetE1EEEvSJ_: ; @_ZN7rocprim17ROCPRIM_400000_NS6detail17trampoline_kernelINS0_14default_configENS1_38merge_sort_block_merge_config_selectorIyyEEZZNS1_27merge_sort_block_merge_implIS3_N6thrust23THRUST_200600_302600_NS6detail15normal_iteratorINS8_10device_ptrIyEEEESD_jNS1_19radix_merge_compareILb0ELb0EyNS0_19identity_decomposerEEEEE10hipError_tT0_T1_T2_jT3_P12ihipStream_tbPNSt15iterator_traitsISI_E10value_typeEPNSO_ISJ_E10value_typeEPSK_NS1_7vsmem_tEENKUlT_SI_SJ_SK_E_clIPySD_S10_SD_EESH_SX_SI_SJ_SK_EUlSX_E_NS1_11comp_targetILNS1_3genE0ELNS1_11target_archE4294967295ELNS1_3gpuE0ELNS1_3repE0EEENS1_48merge_mergepath_partition_config_static_selectorELNS0_4arch9wavefront6targetE1EEEvSJ_
; %bb.0:
	s_load_dword s3, s[0:1], 0x0
	v_lshl_or_b32 v0, s2, 7, v0
	s_waitcnt lgkmcnt(0)
	v_cmp_gt_u32_e32 vcc, s3, v0
	s_and_saveexec_b64 s[2:3], vcc
	s_cbranch_execz .LBB396_6
; %bb.1:
	s_load_dwordx2 s[4:5], s[0:1], 0x4
	s_load_dwordx2 s[2:3], s[0:1], 0x20
	s_waitcnt lgkmcnt(0)
	s_lshr_b32 s6, s4, 9
	s_and_b32 s6, s6, 0x7ffffe
	s_add_i32 s7, s6, -1
	s_sub_i32 s6, 0, s6
	v_and_b32_e32 v1, s6, v0
	v_lshlrev_b32_e32 v1, 10, v1
	v_min_u32_e32 v2, s5, v1
	v_add_u32_e32 v1, s4, v1
	v_min_u32_e32 v4, s5, v1
	v_add_u32_e32 v1, s4, v4
	v_and_b32_e32 v3, s7, v0
	v_min_u32_e32 v1, s5, v1
	v_sub_u32_e32 v5, v1, v2
	v_lshlrev_b32_e32 v3, 10, v3
	v_min_u32_e32 v10, v5, v3
	v_sub_u32_e32 v3, v4, v2
	v_sub_u32_e32 v1, v1, v4
	v_sub_u32_e64 v1, v10, v1 clamp
	v_min_u32_e32 v11, v10, v3
	v_cmp_lt_u32_e32 vcc, v1, v11
	s_and_saveexec_b64 s[4:5], vcc
	s_cbranch_execz .LBB396_5
; %bb.2:
	s_load_dwordx2 s[0:1], s[0:1], 0x10
	v_mov_b32_e32 v5, 0
	v_mov_b32_e32 v3, v5
	s_waitcnt lgkmcnt(0)
	v_lshl_add_u64 v[6:7], v[2:3], 3, s[0:1]
	v_lshl_add_u64 v[8:9], v[4:5], 3, s[0:1]
	s_mov_b64 s[0:1], 0
.LBB396_3:                              ; =>This Inner Loop Header: Depth=1
	v_add_u32_e32 v3, v11, v1
	v_lshrrev_b32_e32 v4, 1, v3
	v_mov_b32_e32 v13, v5
	v_xad_u32 v12, v4, -1, v10
	v_lshl_add_u64 v[14:15], v[4:5], 3, v[6:7]
	v_lshl_add_u64 v[12:13], v[12:13], 3, v[8:9]
	global_load_dwordx2 v[16:17], v[14:15], off
	global_load_dwordx2 v[18:19], v[12:13], off
	v_add_u32_e32 v3, 1, v4
	s_waitcnt vmcnt(0)
	v_cmp_gt_u64_e32 vcc, v[16:17], v[18:19]
	s_nop 1
	v_cndmask_b32_e32 v11, v11, v4, vcc
	v_cndmask_b32_e32 v1, v3, v1, vcc
	v_cmp_ge_u32_e32 vcc, v1, v11
	s_or_b64 s[0:1], vcc, s[0:1]
	s_andn2_b64 exec, exec, s[0:1]
	s_cbranch_execnz .LBB396_3
; %bb.4:
	s_or_b64 exec, exec, s[0:1]
.LBB396_5:
	s_or_b64 exec, exec, s[4:5]
	v_add_u32_e32 v2, v1, v2
	v_mov_b32_e32 v1, 0
	v_lshl_add_u64 v[0:1], v[0:1], 2, s[2:3]
	global_store_dword v[0:1], v2, off
.LBB396_6:
	s_endpgm
	.section	.rodata,"a",@progbits
	.p2align	6, 0x0
	.amdhsa_kernel _ZN7rocprim17ROCPRIM_400000_NS6detail17trampoline_kernelINS0_14default_configENS1_38merge_sort_block_merge_config_selectorIyyEEZZNS1_27merge_sort_block_merge_implIS3_N6thrust23THRUST_200600_302600_NS6detail15normal_iteratorINS8_10device_ptrIyEEEESD_jNS1_19radix_merge_compareILb0ELb0EyNS0_19identity_decomposerEEEEE10hipError_tT0_T1_T2_jT3_P12ihipStream_tbPNSt15iterator_traitsISI_E10value_typeEPNSO_ISJ_E10value_typeEPSK_NS1_7vsmem_tEENKUlT_SI_SJ_SK_E_clIPySD_S10_SD_EESH_SX_SI_SJ_SK_EUlSX_E_NS1_11comp_targetILNS1_3genE0ELNS1_11target_archE4294967295ELNS1_3gpuE0ELNS1_3repE0EEENS1_48merge_mergepath_partition_config_static_selectorELNS0_4arch9wavefront6targetE1EEEvSJ_
		.amdhsa_group_segment_fixed_size 0
		.amdhsa_private_segment_fixed_size 0
		.amdhsa_kernarg_size 40
		.amdhsa_user_sgpr_count 2
		.amdhsa_user_sgpr_dispatch_ptr 0
		.amdhsa_user_sgpr_queue_ptr 0
		.amdhsa_user_sgpr_kernarg_segment_ptr 1
		.amdhsa_user_sgpr_dispatch_id 0
		.amdhsa_user_sgpr_kernarg_preload_length 0
		.amdhsa_user_sgpr_kernarg_preload_offset 0
		.amdhsa_user_sgpr_private_segment_size 0
		.amdhsa_uses_dynamic_stack 0
		.amdhsa_enable_private_segment 0
		.amdhsa_system_sgpr_workgroup_id_x 1
		.amdhsa_system_sgpr_workgroup_id_y 0
		.amdhsa_system_sgpr_workgroup_id_z 0
		.amdhsa_system_sgpr_workgroup_info 0
		.amdhsa_system_vgpr_workitem_id 0
		.amdhsa_next_free_vgpr 20
		.amdhsa_next_free_sgpr 8
		.amdhsa_accum_offset 20
		.amdhsa_reserve_vcc 1
		.amdhsa_float_round_mode_32 0
		.amdhsa_float_round_mode_16_64 0
		.amdhsa_float_denorm_mode_32 3
		.amdhsa_float_denorm_mode_16_64 3
		.amdhsa_dx10_clamp 1
		.amdhsa_ieee_mode 1
		.amdhsa_fp16_overflow 0
		.amdhsa_tg_split 0
		.amdhsa_exception_fp_ieee_invalid_op 0
		.amdhsa_exception_fp_denorm_src 0
		.amdhsa_exception_fp_ieee_div_zero 0
		.amdhsa_exception_fp_ieee_overflow 0
		.amdhsa_exception_fp_ieee_underflow 0
		.amdhsa_exception_fp_ieee_inexact 0
		.amdhsa_exception_int_div_zero 0
	.end_amdhsa_kernel
	.section	.text._ZN7rocprim17ROCPRIM_400000_NS6detail17trampoline_kernelINS0_14default_configENS1_38merge_sort_block_merge_config_selectorIyyEEZZNS1_27merge_sort_block_merge_implIS3_N6thrust23THRUST_200600_302600_NS6detail15normal_iteratorINS8_10device_ptrIyEEEESD_jNS1_19radix_merge_compareILb0ELb0EyNS0_19identity_decomposerEEEEE10hipError_tT0_T1_T2_jT3_P12ihipStream_tbPNSt15iterator_traitsISI_E10value_typeEPNSO_ISJ_E10value_typeEPSK_NS1_7vsmem_tEENKUlT_SI_SJ_SK_E_clIPySD_S10_SD_EESH_SX_SI_SJ_SK_EUlSX_E_NS1_11comp_targetILNS1_3genE0ELNS1_11target_archE4294967295ELNS1_3gpuE0ELNS1_3repE0EEENS1_48merge_mergepath_partition_config_static_selectorELNS0_4arch9wavefront6targetE1EEEvSJ_,"axG",@progbits,_ZN7rocprim17ROCPRIM_400000_NS6detail17trampoline_kernelINS0_14default_configENS1_38merge_sort_block_merge_config_selectorIyyEEZZNS1_27merge_sort_block_merge_implIS3_N6thrust23THRUST_200600_302600_NS6detail15normal_iteratorINS8_10device_ptrIyEEEESD_jNS1_19radix_merge_compareILb0ELb0EyNS0_19identity_decomposerEEEEE10hipError_tT0_T1_T2_jT3_P12ihipStream_tbPNSt15iterator_traitsISI_E10value_typeEPNSO_ISJ_E10value_typeEPSK_NS1_7vsmem_tEENKUlT_SI_SJ_SK_E_clIPySD_S10_SD_EESH_SX_SI_SJ_SK_EUlSX_E_NS1_11comp_targetILNS1_3genE0ELNS1_11target_archE4294967295ELNS1_3gpuE0ELNS1_3repE0EEENS1_48merge_mergepath_partition_config_static_selectorELNS0_4arch9wavefront6targetE1EEEvSJ_,comdat
.Lfunc_end396:
	.size	_ZN7rocprim17ROCPRIM_400000_NS6detail17trampoline_kernelINS0_14default_configENS1_38merge_sort_block_merge_config_selectorIyyEEZZNS1_27merge_sort_block_merge_implIS3_N6thrust23THRUST_200600_302600_NS6detail15normal_iteratorINS8_10device_ptrIyEEEESD_jNS1_19radix_merge_compareILb0ELb0EyNS0_19identity_decomposerEEEEE10hipError_tT0_T1_T2_jT3_P12ihipStream_tbPNSt15iterator_traitsISI_E10value_typeEPNSO_ISJ_E10value_typeEPSK_NS1_7vsmem_tEENKUlT_SI_SJ_SK_E_clIPySD_S10_SD_EESH_SX_SI_SJ_SK_EUlSX_E_NS1_11comp_targetILNS1_3genE0ELNS1_11target_archE4294967295ELNS1_3gpuE0ELNS1_3repE0EEENS1_48merge_mergepath_partition_config_static_selectorELNS0_4arch9wavefront6targetE1EEEvSJ_, .Lfunc_end396-_ZN7rocprim17ROCPRIM_400000_NS6detail17trampoline_kernelINS0_14default_configENS1_38merge_sort_block_merge_config_selectorIyyEEZZNS1_27merge_sort_block_merge_implIS3_N6thrust23THRUST_200600_302600_NS6detail15normal_iteratorINS8_10device_ptrIyEEEESD_jNS1_19radix_merge_compareILb0ELb0EyNS0_19identity_decomposerEEEEE10hipError_tT0_T1_T2_jT3_P12ihipStream_tbPNSt15iterator_traitsISI_E10value_typeEPNSO_ISJ_E10value_typeEPSK_NS1_7vsmem_tEENKUlT_SI_SJ_SK_E_clIPySD_S10_SD_EESH_SX_SI_SJ_SK_EUlSX_E_NS1_11comp_targetILNS1_3genE0ELNS1_11target_archE4294967295ELNS1_3gpuE0ELNS1_3repE0EEENS1_48merge_mergepath_partition_config_static_selectorELNS0_4arch9wavefront6targetE1EEEvSJ_
                                        ; -- End function
	.set _ZN7rocprim17ROCPRIM_400000_NS6detail17trampoline_kernelINS0_14default_configENS1_38merge_sort_block_merge_config_selectorIyyEEZZNS1_27merge_sort_block_merge_implIS3_N6thrust23THRUST_200600_302600_NS6detail15normal_iteratorINS8_10device_ptrIyEEEESD_jNS1_19radix_merge_compareILb0ELb0EyNS0_19identity_decomposerEEEEE10hipError_tT0_T1_T2_jT3_P12ihipStream_tbPNSt15iterator_traitsISI_E10value_typeEPNSO_ISJ_E10value_typeEPSK_NS1_7vsmem_tEENKUlT_SI_SJ_SK_E_clIPySD_S10_SD_EESH_SX_SI_SJ_SK_EUlSX_E_NS1_11comp_targetILNS1_3genE0ELNS1_11target_archE4294967295ELNS1_3gpuE0ELNS1_3repE0EEENS1_48merge_mergepath_partition_config_static_selectorELNS0_4arch9wavefront6targetE1EEEvSJ_.num_vgpr, 20
	.set _ZN7rocprim17ROCPRIM_400000_NS6detail17trampoline_kernelINS0_14default_configENS1_38merge_sort_block_merge_config_selectorIyyEEZZNS1_27merge_sort_block_merge_implIS3_N6thrust23THRUST_200600_302600_NS6detail15normal_iteratorINS8_10device_ptrIyEEEESD_jNS1_19radix_merge_compareILb0ELb0EyNS0_19identity_decomposerEEEEE10hipError_tT0_T1_T2_jT3_P12ihipStream_tbPNSt15iterator_traitsISI_E10value_typeEPNSO_ISJ_E10value_typeEPSK_NS1_7vsmem_tEENKUlT_SI_SJ_SK_E_clIPySD_S10_SD_EESH_SX_SI_SJ_SK_EUlSX_E_NS1_11comp_targetILNS1_3genE0ELNS1_11target_archE4294967295ELNS1_3gpuE0ELNS1_3repE0EEENS1_48merge_mergepath_partition_config_static_selectorELNS0_4arch9wavefront6targetE1EEEvSJ_.num_agpr, 0
	.set _ZN7rocprim17ROCPRIM_400000_NS6detail17trampoline_kernelINS0_14default_configENS1_38merge_sort_block_merge_config_selectorIyyEEZZNS1_27merge_sort_block_merge_implIS3_N6thrust23THRUST_200600_302600_NS6detail15normal_iteratorINS8_10device_ptrIyEEEESD_jNS1_19radix_merge_compareILb0ELb0EyNS0_19identity_decomposerEEEEE10hipError_tT0_T1_T2_jT3_P12ihipStream_tbPNSt15iterator_traitsISI_E10value_typeEPNSO_ISJ_E10value_typeEPSK_NS1_7vsmem_tEENKUlT_SI_SJ_SK_E_clIPySD_S10_SD_EESH_SX_SI_SJ_SK_EUlSX_E_NS1_11comp_targetILNS1_3genE0ELNS1_11target_archE4294967295ELNS1_3gpuE0ELNS1_3repE0EEENS1_48merge_mergepath_partition_config_static_selectorELNS0_4arch9wavefront6targetE1EEEvSJ_.numbered_sgpr, 8
	.set _ZN7rocprim17ROCPRIM_400000_NS6detail17trampoline_kernelINS0_14default_configENS1_38merge_sort_block_merge_config_selectorIyyEEZZNS1_27merge_sort_block_merge_implIS3_N6thrust23THRUST_200600_302600_NS6detail15normal_iteratorINS8_10device_ptrIyEEEESD_jNS1_19radix_merge_compareILb0ELb0EyNS0_19identity_decomposerEEEEE10hipError_tT0_T1_T2_jT3_P12ihipStream_tbPNSt15iterator_traitsISI_E10value_typeEPNSO_ISJ_E10value_typeEPSK_NS1_7vsmem_tEENKUlT_SI_SJ_SK_E_clIPySD_S10_SD_EESH_SX_SI_SJ_SK_EUlSX_E_NS1_11comp_targetILNS1_3genE0ELNS1_11target_archE4294967295ELNS1_3gpuE0ELNS1_3repE0EEENS1_48merge_mergepath_partition_config_static_selectorELNS0_4arch9wavefront6targetE1EEEvSJ_.num_named_barrier, 0
	.set _ZN7rocprim17ROCPRIM_400000_NS6detail17trampoline_kernelINS0_14default_configENS1_38merge_sort_block_merge_config_selectorIyyEEZZNS1_27merge_sort_block_merge_implIS3_N6thrust23THRUST_200600_302600_NS6detail15normal_iteratorINS8_10device_ptrIyEEEESD_jNS1_19radix_merge_compareILb0ELb0EyNS0_19identity_decomposerEEEEE10hipError_tT0_T1_T2_jT3_P12ihipStream_tbPNSt15iterator_traitsISI_E10value_typeEPNSO_ISJ_E10value_typeEPSK_NS1_7vsmem_tEENKUlT_SI_SJ_SK_E_clIPySD_S10_SD_EESH_SX_SI_SJ_SK_EUlSX_E_NS1_11comp_targetILNS1_3genE0ELNS1_11target_archE4294967295ELNS1_3gpuE0ELNS1_3repE0EEENS1_48merge_mergepath_partition_config_static_selectorELNS0_4arch9wavefront6targetE1EEEvSJ_.private_seg_size, 0
	.set _ZN7rocprim17ROCPRIM_400000_NS6detail17trampoline_kernelINS0_14default_configENS1_38merge_sort_block_merge_config_selectorIyyEEZZNS1_27merge_sort_block_merge_implIS3_N6thrust23THRUST_200600_302600_NS6detail15normal_iteratorINS8_10device_ptrIyEEEESD_jNS1_19radix_merge_compareILb0ELb0EyNS0_19identity_decomposerEEEEE10hipError_tT0_T1_T2_jT3_P12ihipStream_tbPNSt15iterator_traitsISI_E10value_typeEPNSO_ISJ_E10value_typeEPSK_NS1_7vsmem_tEENKUlT_SI_SJ_SK_E_clIPySD_S10_SD_EESH_SX_SI_SJ_SK_EUlSX_E_NS1_11comp_targetILNS1_3genE0ELNS1_11target_archE4294967295ELNS1_3gpuE0ELNS1_3repE0EEENS1_48merge_mergepath_partition_config_static_selectorELNS0_4arch9wavefront6targetE1EEEvSJ_.uses_vcc, 1
	.set _ZN7rocprim17ROCPRIM_400000_NS6detail17trampoline_kernelINS0_14default_configENS1_38merge_sort_block_merge_config_selectorIyyEEZZNS1_27merge_sort_block_merge_implIS3_N6thrust23THRUST_200600_302600_NS6detail15normal_iteratorINS8_10device_ptrIyEEEESD_jNS1_19radix_merge_compareILb0ELb0EyNS0_19identity_decomposerEEEEE10hipError_tT0_T1_T2_jT3_P12ihipStream_tbPNSt15iterator_traitsISI_E10value_typeEPNSO_ISJ_E10value_typeEPSK_NS1_7vsmem_tEENKUlT_SI_SJ_SK_E_clIPySD_S10_SD_EESH_SX_SI_SJ_SK_EUlSX_E_NS1_11comp_targetILNS1_3genE0ELNS1_11target_archE4294967295ELNS1_3gpuE0ELNS1_3repE0EEENS1_48merge_mergepath_partition_config_static_selectorELNS0_4arch9wavefront6targetE1EEEvSJ_.uses_flat_scratch, 0
	.set _ZN7rocprim17ROCPRIM_400000_NS6detail17trampoline_kernelINS0_14default_configENS1_38merge_sort_block_merge_config_selectorIyyEEZZNS1_27merge_sort_block_merge_implIS3_N6thrust23THRUST_200600_302600_NS6detail15normal_iteratorINS8_10device_ptrIyEEEESD_jNS1_19radix_merge_compareILb0ELb0EyNS0_19identity_decomposerEEEEE10hipError_tT0_T1_T2_jT3_P12ihipStream_tbPNSt15iterator_traitsISI_E10value_typeEPNSO_ISJ_E10value_typeEPSK_NS1_7vsmem_tEENKUlT_SI_SJ_SK_E_clIPySD_S10_SD_EESH_SX_SI_SJ_SK_EUlSX_E_NS1_11comp_targetILNS1_3genE0ELNS1_11target_archE4294967295ELNS1_3gpuE0ELNS1_3repE0EEENS1_48merge_mergepath_partition_config_static_selectorELNS0_4arch9wavefront6targetE1EEEvSJ_.has_dyn_sized_stack, 0
	.set _ZN7rocprim17ROCPRIM_400000_NS6detail17trampoline_kernelINS0_14default_configENS1_38merge_sort_block_merge_config_selectorIyyEEZZNS1_27merge_sort_block_merge_implIS3_N6thrust23THRUST_200600_302600_NS6detail15normal_iteratorINS8_10device_ptrIyEEEESD_jNS1_19radix_merge_compareILb0ELb0EyNS0_19identity_decomposerEEEEE10hipError_tT0_T1_T2_jT3_P12ihipStream_tbPNSt15iterator_traitsISI_E10value_typeEPNSO_ISJ_E10value_typeEPSK_NS1_7vsmem_tEENKUlT_SI_SJ_SK_E_clIPySD_S10_SD_EESH_SX_SI_SJ_SK_EUlSX_E_NS1_11comp_targetILNS1_3genE0ELNS1_11target_archE4294967295ELNS1_3gpuE0ELNS1_3repE0EEENS1_48merge_mergepath_partition_config_static_selectorELNS0_4arch9wavefront6targetE1EEEvSJ_.has_recursion, 0
	.set _ZN7rocprim17ROCPRIM_400000_NS6detail17trampoline_kernelINS0_14default_configENS1_38merge_sort_block_merge_config_selectorIyyEEZZNS1_27merge_sort_block_merge_implIS3_N6thrust23THRUST_200600_302600_NS6detail15normal_iteratorINS8_10device_ptrIyEEEESD_jNS1_19radix_merge_compareILb0ELb0EyNS0_19identity_decomposerEEEEE10hipError_tT0_T1_T2_jT3_P12ihipStream_tbPNSt15iterator_traitsISI_E10value_typeEPNSO_ISJ_E10value_typeEPSK_NS1_7vsmem_tEENKUlT_SI_SJ_SK_E_clIPySD_S10_SD_EESH_SX_SI_SJ_SK_EUlSX_E_NS1_11comp_targetILNS1_3genE0ELNS1_11target_archE4294967295ELNS1_3gpuE0ELNS1_3repE0EEENS1_48merge_mergepath_partition_config_static_selectorELNS0_4arch9wavefront6targetE1EEEvSJ_.has_indirect_call, 0
	.section	.AMDGPU.csdata,"",@progbits
; Kernel info:
; codeLenInByte = 316
; TotalNumSgprs: 14
; NumVgprs: 20
; NumAgprs: 0
; TotalNumVgprs: 20
; ScratchSize: 0
; MemoryBound: 0
; FloatMode: 240
; IeeeMode: 1
; LDSByteSize: 0 bytes/workgroup (compile time only)
; SGPRBlocks: 1
; VGPRBlocks: 2
; NumSGPRsForWavesPerEU: 14
; NumVGPRsForWavesPerEU: 20
; AccumOffset: 20
; Occupancy: 8
; WaveLimiterHint : 0
; COMPUTE_PGM_RSRC2:SCRATCH_EN: 0
; COMPUTE_PGM_RSRC2:USER_SGPR: 2
; COMPUTE_PGM_RSRC2:TRAP_HANDLER: 0
; COMPUTE_PGM_RSRC2:TGID_X_EN: 1
; COMPUTE_PGM_RSRC2:TGID_Y_EN: 0
; COMPUTE_PGM_RSRC2:TGID_Z_EN: 0
; COMPUTE_PGM_RSRC2:TIDIG_COMP_CNT: 0
; COMPUTE_PGM_RSRC3_GFX90A:ACCUM_OFFSET: 4
; COMPUTE_PGM_RSRC3_GFX90A:TG_SPLIT: 0
	.section	.text._ZN7rocprim17ROCPRIM_400000_NS6detail17trampoline_kernelINS0_14default_configENS1_38merge_sort_block_merge_config_selectorIyyEEZZNS1_27merge_sort_block_merge_implIS3_N6thrust23THRUST_200600_302600_NS6detail15normal_iteratorINS8_10device_ptrIyEEEESD_jNS1_19radix_merge_compareILb0ELb0EyNS0_19identity_decomposerEEEEE10hipError_tT0_T1_T2_jT3_P12ihipStream_tbPNSt15iterator_traitsISI_E10value_typeEPNSO_ISJ_E10value_typeEPSK_NS1_7vsmem_tEENKUlT_SI_SJ_SK_E_clIPySD_S10_SD_EESH_SX_SI_SJ_SK_EUlSX_E_NS1_11comp_targetILNS1_3genE10ELNS1_11target_archE1201ELNS1_3gpuE5ELNS1_3repE0EEENS1_48merge_mergepath_partition_config_static_selectorELNS0_4arch9wavefront6targetE1EEEvSJ_,"axG",@progbits,_ZN7rocprim17ROCPRIM_400000_NS6detail17trampoline_kernelINS0_14default_configENS1_38merge_sort_block_merge_config_selectorIyyEEZZNS1_27merge_sort_block_merge_implIS3_N6thrust23THRUST_200600_302600_NS6detail15normal_iteratorINS8_10device_ptrIyEEEESD_jNS1_19radix_merge_compareILb0ELb0EyNS0_19identity_decomposerEEEEE10hipError_tT0_T1_T2_jT3_P12ihipStream_tbPNSt15iterator_traitsISI_E10value_typeEPNSO_ISJ_E10value_typeEPSK_NS1_7vsmem_tEENKUlT_SI_SJ_SK_E_clIPySD_S10_SD_EESH_SX_SI_SJ_SK_EUlSX_E_NS1_11comp_targetILNS1_3genE10ELNS1_11target_archE1201ELNS1_3gpuE5ELNS1_3repE0EEENS1_48merge_mergepath_partition_config_static_selectorELNS0_4arch9wavefront6targetE1EEEvSJ_,comdat
	.protected	_ZN7rocprim17ROCPRIM_400000_NS6detail17trampoline_kernelINS0_14default_configENS1_38merge_sort_block_merge_config_selectorIyyEEZZNS1_27merge_sort_block_merge_implIS3_N6thrust23THRUST_200600_302600_NS6detail15normal_iteratorINS8_10device_ptrIyEEEESD_jNS1_19radix_merge_compareILb0ELb0EyNS0_19identity_decomposerEEEEE10hipError_tT0_T1_T2_jT3_P12ihipStream_tbPNSt15iterator_traitsISI_E10value_typeEPNSO_ISJ_E10value_typeEPSK_NS1_7vsmem_tEENKUlT_SI_SJ_SK_E_clIPySD_S10_SD_EESH_SX_SI_SJ_SK_EUlSX_E_NS1_11comp_targetILNS1_3genE10ELNS1_11target_archE1201ELNS1_3gpuE5ELNS1_3repE0EEENS1_48merge_mergepath_partition_config_static_selectorELNS0_4arch9wavefront6targetE1EEEvSJ_ ; -- Begin function _ZN7rocprim17ROCPRIM_400000_NS6detail17trampoline_kernelINS0_14default_configENS1_38merge_sort_block_merge_config_selectorIyyEEZZNS1_27merge_sort_block_merge_implIS3_N6thrust23THRUST_200600_302600_NS6detail15normal_iteratorINS8_10device_ptrIyEEEESD_jNS1_19radix_merge_compareILb0ELb0EyNS0_19identity_decomposerEEEEE10hipError_tT0_T1_T2_jT3_P12ihipStream_tbPNSt15iterator_traitsISI_E10value_typeEPNSO_ISJ_E10value_typeEPSK_NS1_7vsmem_tEENKUlT_SI_SJ_SK_E_clIPySD_S10_SD_EESH_SX_SI_SJ_SK_EUlSX_E_NS1_11comp_targetILNS1_3genE10ELNS1_11target_archE1201ELNS1_3gpuE5ELNS1_3repE0EEENS1_48merge_mergepath_partition_config_static_selectorELNS0_4arch9wavefront6targetE1EEEvSJ_
	.globl	_ZN7rocprim17ROCPRIM_400000_NS6detail17trampoline_kernelINS0_14default_configENS1_38merge_sort_block_merge_config_selectorIyyEEZZNS1_27merge_sort_block_merge_implIS3_N6thrust23THRUST_200600_302600_NS6detail15normal_iteratorINS8_10device_ptrIyEEEESD_jNS1_19radix_merge_compareILb0ELb0EyNS0_19identity_decomposerEEEEE10hipError_tT0_T1_T2_jT3_P12ihipStream_tbPNSt15iterator_traitsISI_E10value_typeEPNSO_ISJ_E10value_typeEPSK_NS1_7vsmem_tEENKUlT_SI_SJ_SK_E_clIPySD_S10_SD_EESH_SX_SI_SJ_SK_EUlSX_E_NS1_11comp_targetILNS1_3genE10ELNS1_11target_archE1201ELNS1_3gpuE5ELNS1_3repE0EEENS1_48merge_mergepath_partition_config_static_selectorELNS0_4arch9wavefront6targetE1EEEvSJ_
	.p2align	8
	.type	_ZN7rocprim17ROCPRIM_400000_NS6detail17trampoline_kernelINS0_14default_configENS1_38merge_sort_block_merge_config_selectorIyyEEZZNS1_27merge_sort_block_merge_implIS3_N6thrust23THRUST_200600_302600_NS6detail15normal_iteratorINS8_10device_ptrIyEEEESD_jNS1_19radix_merge_compareILb0ELb0EyNS0_19identity_decomposerEEEEE10hipError_tT0_T1_T2_jT3_P12ihipStream_tbPNSt15iterator_traitsISI_E10value_typeEPNSO_ISJ_E10value_typeEPSK_NS1_7vsmem_tEENKUlT_SI_SJ_SK_E_clIPySD_S10_SD_EESH_SX_SI_SJ_SK_EUlSX_E_NS1_11comp_targetILNS1_3genE10ELNS1_11target_archE1201ELNS1_3gpuE5ELNS1_3repE0EEENS1_48merge_mergepath_partition_config_static_selectorELNS0_4arch9wavefront6targetE1EEEvSJ_,@function
_ZN7rocprim17ROCPRIM_400000_NS6detail17trampoline_kernelINS0_14default_configENS1_38merge_sort_block_merge_config_selectorIyyEEZZNS1_27merge_sort_block_merge_implIS3_N6thrust23THRUST_200600_302600_NS6detail15normal_iteratorINS8_10device_ptrIyEEEESD_jNS1_19radix_merge_compareILb0ELb0EyNS0_19identity_decomposerEEEEE10hipError_tT0_T1_T2_jT3_P12ihipStream_tbPNSt15iterator_traitsISI_E10value_typeEPNSO_ISJ_E10value_typeEPSK_NS1_7vsmem_tEENKUlT_SI_SJ_SK_E_clIPySD_S10_SD_EESH_SX_SI_SJ_SK_EUlSX_E_NS1_11comp_targetILNS1_3genE10ELNS1_11target_archE1201ELNS1_3gpuE5ELNS1_3repE0EEENS1_48merge_mergepath_partition_config_static_selectorELNS0_4arch9wavefront6targetE1EEEvSJ_: ; @_ZN7rocprim17ROCPRIM_400000_NS6detail17trampoline_kernelINS0_14default_configENS1_38merge_sort_block_merge_config_selectorIyyEEZZNS1_27merge_sort_block_merge_implIS3_N6thrust23THRUST_200600_302600_NS6detail15normal_iteratorINS8_10device_ptrIyEEEESD_jNS1_19radix_merge_compareILb0ELb0EyNS0_19identity_decomposerEEEEE10hipError_tT0_T1_T2_jT3_P12ihipStream_tbPNSt15iterator_traitsISI_E10value_typeEPNSO_ISJ_E10value_typeEPSK_NS1_7vsmem_tEENKUlT_SI_SJ_SK_E_clIPySD_S10_SD_EESH_SX_SI_SJ_SK_EUlSX_E_NS1_11comp_targetILNS1_3genE10ELNS1_11target_archE1201ELNS1_3gpuE5ELNS1_3repE0EEENS1_48merge_mergepath_partition_config_static_selectorELNS0_4arch9wavefront6targetE1EEEvSJ_
; %bb.0:
	.section	.rodata,"a",@progbits
	.p2align	6, 0x0
	.amdhsa_kernel _ZN7rocprim17ROCPRIM_400000_NS6detail17trampoline_kernelINS0_14default_configENS1_38merge_sort_block_merge_config_selectorIyyEEZZNS1_27merge_sort_block_merge_implIS3_N6thrust23THRUST_200600_302600_NS6detail15normal_iteratorINS8_10device_ptrIyEEEESD_jNS1_19radix_merge_compareILb0ELb0EyNS0_19identity_decomposerEEEEE10hipError_tT0_T1_T2_jT3_P12ihipStream_tbPNSt15iterator_traitsISI_E10value_typeEPNSO_ISJ_E10value_typeEPSK_NS1_7vsmem_tEENKUlT_SI_SJ_SK_E_clIPySD_S10_SD_EESH_SX_SI_SJ_SK_EUlSX_E_NS1_11comp_targetILNS1_3genE10ELNS1_11target_archE1201ELNS1_3gpuE5ELNS1_3repE0EEENS1_48merge_mergepath_partition_config_static_selectorELNS0_4arch9wavefront6targetE1EEEvSJ_
		.amdhsa_group_segment_fixed_size 0
		.amdhsa_private_segment_fixed_size 0
		.amdhsa_kernarg_size 40
		.amdhsa_user_sgpr_count 2
		.amdhsa_user_sgpr_dispatch_ptr 0
		.amdhsa_user_sgpr_queue_ptr 0
		.amdhsa_user_sgpr_kernarg_segment_ptr 1
		.amdhsa_user_sgpr_dispatch_id 0
		.amdhsa_user_sgpr_kernarg_preload_length 0
		.amdhsa_user_sgpr_kernarg_preload_offset 0
		.amdhsa_user_sgpr_private_segment_size 0
		.amdhsa_uses_dynamic_stack 0
		.amdhsa_enable_private_segment 0
		.amdhsa_system_sgpr_workgroup_id_x 1
		.amdhsa_system_sgpr_workgroup_id_y 0
		.amdhsa_system_sgpr_workgroup_id_z 0
		.amdhsa_system_sgpr_workgroup_info 0
		.amdhsa_system_vgpr_workitem_id 0
		.amdhsa_next_free_vgpr 1
		.amdhsa_next_free_sgpr 0
		.amdhsa_accum_offset 4
		.amdhsa_reserve_vcc 0
		.amdhsa_float_round_mode_32 0
		.amdhsa_float_round_mode_16_64 0
		.amdhsa_float_denorm_mode_32 3
		.amdhsa_float_denorm_mode_16_64 3
		.amdhsa_dx10_clamp 1
		.amdhsa_ieee_mode 1
		.amdhsa_fp16_overflow 0
		.amdhsa_tg_split 0
		.amdhsa_exception_fp_ieee_invalid_op 0
		.amdhsa_exception_fp_denorm_src 0
		.amdhsa_exception_fp_ieee_div_zero 0
		.amdhsa_exception_fp_ieee_overflow 0
		.amdhsa_exception_fp_ieee_underflow 0
		.amdhsa_exception_fp_ieee_inexact 0
		.amdhsa_exception_int_div_zero 0
	.end_amdhsa_kernel
	.section	.text._ZN7rocprim17ROCPRIM_400000_NS6detail17trampoline_kernelINS0_14default_configENS1_38merge_sort_block_merge_config_selectorIyyEEZZNS1_27merge_sort_block_merge_implIS3_N6thrust23THRUST_200600_302600_NS6detail15normal_iteratorINS8_10device_ptrIyEEEESD_jNS1_19radix_merge_compareILb0ELb0EyNS0_19identity_decomposerEEEEE10hipError_tT0_T1_T2_jT3_P12ihipStream_tbPNSt15iterator_traitsISI_E10value_typeEPNSO_ISJ_E10value_typeEPSK_NS1_7vsmem_tEENKUlT_SI_SJ_SK_E_clIPySD_S10_SD_EESH_SX_SI_SJ_SK_EUlSX_E_NS1_11comp_targetILNS1_3genE10ELNS1_11target_archE1201ELNS1_3gpuE5ELNS1_3repE0EEENS1_48merge_mergepath_partition_config_static_selectorELNS0_4arch9wavefront6targetE1EEEvSJ_,"axG",@progbits,_ZN7rocprim17ROCPRIM_400000_NS6detail17trampoline_kernelINS0_14default_configENS1_38merge_sort_block_merge_config_selectorIyyEEZZNS1_27merge_sort_block_merge_implIS3_N6thrust23THRUST_200600_302600_NS6detail15normal_iteratorINS8_10device_ptrIyEEEESD_jNS1_19radix_merge_compareILb0ELb0EyNS0_19identity_decomposerEEEEE10hipError_tT0_T1_T2_jT3_P12ihipStream_tbPNSt15iterator_traitsISI_E10value_typeEPNSO_ISJ_E10value_typeEPSK_NS1_7vsmem_tEENKUlT_SI_SJ_SK_E_clIPySD_S10_SD_EESH_SX_SI_SJ_SK_EUlSX_E_NS1_11comp_targetILNS1_3genE10ELNS1_11target_archE1201ELNS1_3gpuE5ELNS1_3repE0EEENS1_48merge_mergepath_partition_config_static_selectorELNS0_4arch9wavefront6targetE1EEEvSJ_,comdat
.Lfunc_end397:
	.size	_ZN7rocprim17ROCPRIM_400000_NS6detail17trampoline_kernelINS0_14default_configENS1_38merge_sort_block_merge_config_selectorIyyEEZZNS1_27merge_sort_block_merge_implIS3_N6thrust23THRUST_200600_302600_NS6detail15normal_iteratorINS8_10device_ptrIyEEEESD_jNS1_19radix_merge_compareILb0ELb0EyNS0_19identity_decomposerEEEEE10hipError_tT0_T1_T2_jT3_P12ihipStream_tbPNSt15iterator_traitsISI_E10value_typeEPNSO_ISJ_E10value_typeEPSK_NS1_7vsmem_tEENKUlT_SI_SJ_SK_E_clIPySD_S10_SD_EESH_SX_SI_SJ_SK_EUlSX_E_NS1_11comp_targetILNS1_3genE10ELNS1_11target_archE1201ELNS1_3gpuE5ELNS1_3repE0EEENS1_48merge_mergepath_partition_config_static_selectorELNS0_4arch9wavefront6targetE1EEEvSJ_, .Lfunc_end397-_ZN7rocprim17ROCPRIM_400000_NS6detail17trampoline_kernelINS0_14default_configENS1_38merge_sort_block_merge_config_selectorIyyEEZZNS1_27merge_sort_block_merge_implIS3_N6thrust23THRUST_200600_302600_NS6detail15normal_iteratorINS8_10device_ptrIyEEEESD_jNS1_19radix_merge_compareILb0ELb0EyNS0_19identity_decomposerEEEEE10hipError_tT0_T1_T2_jT3_P12ihipStream_tbPNSt15iterator_traitsISI_E10value_typeEPNSO_ISJ_E10value_typeEPSK_NS1_7vsmem_tEENKUlT_SI_SJ_SK_E_clIPySD_S10_SD_EESH_SX_SI_SJ_SK_EUlSX_E_NS1_11comp_targetILNS1_3genE10ELNS1_11target_archE1201ELNS1_3gpuE5ELNS1_3repE0EEENS1_48merge_mergepath_partition_config_static_selectorELNS0_4arch9wavefront6targetE1EEEvSJ_
                                        ; -- End function
	.set _ZN7rocprim17ROCPRIM_400000_NS6detail17trampoline_kernelINS0_14default_configENS1_38merge_sort_block_merge_config_selectorIyyEEZZNS1_27merge_sort_block_merge_implIS3_N6thrust23THRUST_200600_302600_NS6detail15normal_iteratorINS8_10device_ptrIyEEEESD_jNS1_19radix_merge_compareILb0ELb0EyNS0_19identity_decomposerEEEEE10hipError_tT0_T1_T2_jT3_P12ihipStream_tbPNSt15iterator_traitsISI_E10value_typeEPNSO_ISJ_E10value_typeEPSK_NS1_7vsmem_tEENKUlT_SI_SJ_SK_E_clIPySD_S10_SD_EESH_SX_SI_SJ_SK_EUlSX_E_NS1_11comp_targetILNS1_3genE10ELNS1_11target_archE1201ELNS1_3gpuE5ELNS1_3repE0EEENS1_48merge_mergepath_partition_config_static_selectorELNS0_4arch9wavefront6targetE1EEEvSJ_.num_vgpr, 0
	.set _ZN7rocprim17ROCPRIM_400000_NS6detail17trampoline_kernelINS0_14default_configENS1_38merge_sort_block_merge_config_selectorIyyEEZZNS1_27merge_sort_block_merge_implIS3_N6thrust23THRUST_200600_302600_NS6detail15normal_iteratorINS8_10device_ptrIyEEEESD_jNS1_19radix_merge_compareILb0ELb0EyNS0_19identity_decomposerEEEEE10hipError_tT0_T1_T2_jT3_P12ihipStream_tbPNSt15iterator_traitsISI_E10value_typeEPNSO_ISJ_E10value_typeEPSK_NS1_7vsmem_tEENKUlT_SI_SJ_SK_E_clIPySD_S10_SD_EESH_SX_SI_SJ_SK_EUlSX_E_NS1_11comp_targetILNS1_3genE10ELNS1_11target_archE1201ELNS1_3gpuE5ELNS1_3repE0EEENS1_48merge_mergepath_partition_config_static_selectorELNS0_4arch9wavefront6targetE1EEEvSJ_.num_agpr, 0
	.set _ZN7rocprim17ROCPRIM_400000_NS6detail17trampoline_kernelINS0_14default_configENS1_38merge_sort_block_merge_config_selectorIyyEEZZNS1_27merge_sort_block_merge_implIS3_N6thrust23THRUST_200600_302600_NS6detail15normal_iteratorINS8_10device_ptrIyEEEESD_jNS1_19radix_merge_compareILb0ELb0EyNS0_19identity_decomposerEEEEE10hipError_tT0_T1_T2_jT3_P12ihipStream_tbPNSt15iterator_traitsISI_E10value_typeEPNSO_ISJ_E10value_typeEPSK_NS1_7vsmem_tEENKUlT_SI_SJ_SK_E_clIPySD_S10_SD_EESH_SX_SI_SJ_SK_EUlSX_E_NS1_11comp_targetILNS1_3genE10ELNS1_11target_archE1201ELNS1_3gpuE5ELNS1_3repE0EEENS1_48merge_mergepath_partition_config_static_selectorELNS0_4arch9wavefront6targetE1EEEvSJ_.numbered_sgpr, 0
	.set _ZN7rocprim17ROCPRIM_400000_NS6detail17trampoline_kernelINS0_14default_configENS1_38merge_sort_block_merge_config_selectorIyyEEZZNS1_27merge_sort_block_merge_implIS3_N6thrust23THRUST_200600_302600_NS6detail15normal_iteratorINS8_10device_ptrIyEEEESD_jNS1_19radix_merge_compareILb0ELb0EyNS0_19identity_decomposerEEEEE10hipError_tT0_T1_T2_jT3_P12ihipStream_tbPNSt15iterator_traitsISI_E10value_typeEPNSO_ISJ_E10value_typeEPSK_NS1_7vsmem_tEENKUlT_SI_SJ_SK_E_clIPySD_S10_SD_EESH_SX_SI_SJ_SK_EUlSX_E_NS1_11comp_targetILNS1_3genE10ELNS1_11target_archE1201ELNS1_3gpuE5ELNS1_3repE0EEENS1_48merge_mergepath_partition_config_static_selectorELNS0_4arch9wavefront6targetE1EEEvSJ_.num_named_barrier, 0
	.set _ZN7rocprim17ROCPRIM_400000_NS6detail17trampoline_kernelINS0_14default_configENS1_38merge_sort_block_merge_config_selectorIyyEEZZNS1_27merge_sort_block_merge_implIS3_N6thrust23THRUST_200600_302600_NS6detail15normal_iteratorINS8_10device_ptrIyEEEESD_jNS1_19radix_merge_compareILb0ELb0EyNS0_19identity_decomposerEEEEE10hipError_tT0_T1_T2_jT3_P12ihipStream_tbPNSt15iterator_traitsISI_E10value_typeEPNSO_ISJ_E10value_typeEPSK_NS1_7vsmem_tEENKUlT_SI_SJ_SK_E_clIPySD_S10_SD_EESH_SX_SI_SJ_SK_EUlSX_E_NS1_11comp_targetILNS1_3genE10ELNS1_11target_archE1201ELNS1_3gpuE5ELNS1_3repE0EEENS1_48merge_mergepath_partition_config_static_selectorELNS0_4arch9wavefront6targetE1EEEvSJ_.private_seg_size, 0
	.set _ZN7rocprim17ROCPRIM_400000_NS6detail17trampoline_kernelINS0_14default_configENS1_38merge_sort_block_merge_config_selectorIyyEEZZNS1_27merge_sort_block_merge_implIS3_N6thrust23THRUST_200600_302600_NS6detail15normal_iteratorINS8_10device_ptrIyEEEESD_jNS1_19radix_merge_compareILb0ELb0EyNS0_19identity_decomposerEEEEE10hipError_tT0_T1_T2_jT3_P12ihipStream_tbPNSt15iterator_traitsISI_E10value_typeEPNSO_ISJ_E10value_typeEPSK_NS1_7vsmem_tEENKUlT_SI_SJ_SK_E_clIPySD_S10_SD_EESH_SX_SI_SJ_SK_EUlSX_E_NS1_11comp_targetILNS1_3genE10ELNS1_11target_archE1201ELNS1_3gpuE5ELNS1_3repE0EEENS1_48merge_mergepath_partition_config_static_selectorELNS0_4arch9wavefront6targetE1EEEvSJ_.uses_vcc, 0
	.set _ZN7rocprim17ROCPRIM_400000_NS6detail17trampoline_kernelINS0_14default_configENS1_38merge_sort_block_merge_config_selectorIyyEEZZNS1_27merge_sort_block_merge_implIS3_N6thrust23THRUST_200600_302600_NS6detail15normal_iteratorINS8_10device_ptrIyEEEESD_jNS1_19radix_merge_compareILb0ELb0EyNS0_19identity_decomposerEEEEE10hipError_tT0_T1_T2_jT3_P12ihipStream_tbPNSt15iterator_traitsISI_E10value_typeEPNSO_ISJ_E10value_typeEPSK_NS1_7vsmem_tEENKUlT_SI_SJ_SK_E_clIPySD_S10_SD_EESH_SX_SI_SJ_SK_EUlSX_E_NS1_11comp_targetILNS1_3genE10ELNS1_11target_archE1201ELNS1_3gpuE5ELNS1_3repE0EEENS1_48merge_mergepath_partition_config_static_selectorELNS0_4arch9wavefront6targetE1EEEvSJ_.uses_flat_scratch, 0
	.set _ZN7rocprim17ROCPRIM_400000_NS6detail17trampoline_kernelINS0_14default_configENS1_38merge_sort_block_merge_config_selectorIyyEEZZNS1_27merge_sort_block_merge_implIS3_N6thrust23THRUST_200600_302600_NS6detail15normal_iteratorINS8_10device_ptrIyEEEESD_jNS1_19radix_merge_compareILb0ELb0EyNS0_19identity_decomposerEEEEE10hipError_tT0_T1_T2_jT3_P12ihipStream_tbPNSt15iterator_traitsISI_E10value_typeEPNSO_ISJ_E10value_typeEPSK_NS1_7vsmem_tEENKUlT_SI_SJ_SK_E_clIPySD_S10_SD_EESH_SX_SI_SJ_SK_EUlSX_E_NS1_11comp_targetILNS1_3genE10ELNS1_11target_archE1201ELNS1_3gpuE5ELNS1_3repE0EEENS1_48merge_mergepath_partition_config_static_selectorELNS0_4arch9wavefront6targetE1EEEvSJ_.has_dyn_sized_stack, 0
	.set _ZN7rocprim17ROCPRIM_400000_NS6detail17trampoline_kernelINS0_14default_configENS1_38merge_sort_block_merge_config_selectorIyyEEZZNS1_27merge_sort_block_merge_implIS3_N6thrust23THRUST_200600_302600_NS6detail15normal_iteratorINS8_10device_ptrIyEEEESD_jNS1_19radix_merge_compareILb0ELb0EyNS0_19identity_decomposerEEEEE10hipError_tT0_T1_T2_jT3_P12ihipStream_tbPNSt15iterator_traitsISI_E10value_typeEPNSO_ISJ_E10value_typeEPSK_NS1_7vsmem_tEENKUlT_SI_SJ_SK_E_clIPySD_S10_SD_EESH_SX_SI_SJ_SK_EUlSX_E_NS1_11comp_targetILNS1_3genE10ELNS1_11target_archE1201ELNS1_3gpuE5ELNS1_3repE0EEENS1_48merge_mergepath_partition_config_static_selectorELNS0_4arch9wavefront6targetE1EEEvSJ_.has_recursion, 0
	.set _ZN7rocprim17ROCPRIM_400000_NS6detail17trampoline_kernelINS0_14default_configENS1_38merge_sort_block_merge_config_selectorIyyEEZZNS1_27merge_sort_block_merge_implIS3_N6thrust23THRUST_200600_302600_NS6detail15normal_iteratorINS8_10device_ptrIyEEEESD_jNS1_19radix_merge_compareILb0ELb0EyNS0_19identity_decomposerEEEEE10hipError_tT0_T1_T2_jT3_P12ihipStream_tbPNSt15iterator_traitsISI_E10value_typeEPNSO_ISJ_E10value_typeEPSK_NS1_7vsmem_tEENKUlT_SI_SJ_SK_E_clIPySD_S10_SD_EESH_SX_SI_SJ_SK_EUlSX_E_NS1_11comp_targetILNS1_3genE10ELNS1_11target_archE1201ELNS1_3gpuE5ELNS1_3repE0EEENS1_48merge_mergepath_partition_config_static_selectorELNS0_4arch9wavefront6targetE1EEEvSJ_.has_indirect_call, 0
	.section	.AMDGPU.csdata,"",@progbits
; Kernel info:
; codeLenInByte = 0
; TotalNumSgprs: 6
; NumVgprs: 0
; NumAgprs: 0
; TotalNumVgprs: 0
; ScratchSize: 0
; MemoryBound: 0
; FloatMode: 240
; IeeeMode: 1
; LDSByteSize: 0 bytes/workgroup (compile time only)
; SGPRBlocks: 0
; VGPRBlocks: 0
; NumSGPRsForWavesPerEU: 6
; NumVGPRsForWavesPerEU: 1
; AccumOffset: 4
; Occupancy: 8
; WaveLimiterHint : 0
; COMPUTE_PGM_RSRC2:SCRATCH_EN: 0
; COMPUTE_PGM_RSRC2:USER_SGPR: 2
; COMPUTE_PGM_RSRC2:TRAP_HANDLER: 0
; COMPUTE_PGM_RSRC2:TGID_X_EN: 1
; COMPUTE_PGM_RSRC2:TGID_Y_EN: 0
; COMPUTE_PGM_RSRC2:TGID_Z_EN: 0
; COMPUTE_PGM_RSRC2:TIDIG_COMP_CNT: 0
; COMPUTE_PGM_RSRC3_GFX90A:ACCUM_OFFSET: 0
; COMPUTE_PGM_RSRC3_GFX90A:TG_SPLIT: 0
	.section	.text._ZN7rocprim17ROCPRIM_400000_NS6detail17trampoline_kernelINS0_14default_configENS1_38merge_sort_block_merge_config_selectorIyyEEZZNS1_27merge_sort_block_merge_implIS3_N6thrust23THRUST_200600_302600_NS6detail15normal_iteratorINS8_10device_ptrIyEEEESD_jNS1_19radix_merge_compareILb0ELb0EyNS0_19identity_decomposerEEEEE10hipError_tT0_T1_T2_jT3_P12ihipStream_tbPNSt15iterator_traitsISI_E10value_typeEPNSO_ISJ_E10value_typeEPSK_NS1_7vsmem_tEENKUlT_SI_SJ_SK_E_clIPySD_S10_SD_EESH_SX_SI_SJ_SK_EUlSX_E_NS1_11comp_targetILNS1_3genE5ELNS1_11target_archE942ELNS1_3gpuE9ELNS1_3repE0EEENS1_48merge_mergepath_partition_config_static_selectorELNS0_4arch9wavefront6targetE1EEEvSJ_,"axG",@progbits,_ZN7rocprim17ROCPRIM_400000_NS6detail17trampoline_kernelINS0_14default_configENS1_38merge_sort_block_merge_config_selectorIyyEEZZNS1_27merge_sort_block_merge_implIS3_N6thrust23THRUST_200600_302600_NS6detail15normal_iteratorINS8_10device_ptrIyEEEESD_jNS1_19radix_merge_compareILb0ELb0EyNS0_19identity_decomposerEEEEE10hipError_tT0_T1_T2_jT3_P12ihipStream_tbPNSt15iterator_traitsISI_E10value_typeEPNSO_ISJ_E10value_typeEPSK_NS1_7vsmem_tEENKUlT_SI_SJ_SK_E_clIPySD_S10_SD_EESH_SX_SI_SJ_SK_EUlSX_E_NS1_11comp_targetILNS1_3genE5ELNS1_11target_archE942ELNS1_3gpuE9ELNS1_3repE0EEENS1_48merge_mergepath_partition_config_static_selectorELNS0_4arch9wavefront6targetE1EEEvSJ_,comdat
	.protected	_ZN7rocprim17ROCPRIM_400000_NS6detail17trampoline_kernelINS0_14default_configENS1_38merge_sort_block_merge_config_selectorIyyEEZZNS1_27merge_sort_block_merge_implIS3_N6thrust23THRUST_200600_302600_NS6detail15normal_iteratorINS8_10device_ptrIyEEEESD_jNS1_19radix_merge_compareILb0ELb0EyNS0_19identity_decomposerEEEEE10hipError_tT0_T1_T2_jT3_P12ihipStream_tbPNSt15iterator_traitsISI_E10value_typeEPNSO_ISJ_E10value_typeEPSK_NS1_7vsmem_tEENKUlT_SI_SJ_SK_E_clIPySD_S10_SD_EESH_SX_SI_SJ_SK_EUlSX_E_NS1_11comp_targetILNS1_3genE5ELNS1_11target_archE942ELNS1_3gpuE9ELNS1_3repE0EEENS1_48merge_mergepath_partition_config_static_selectorELNS0_4arch9wavefront6targetE1EEEvSJ_ ; -- Begin function _ZN7rocprim17ROCPRIM_400000_NS6detail17trampoline_kernelINS0_14default_configENS1_38merge_sort_block_merge_config_selectorIyyEEZZNS1_27merge_sort_block_merge_implIS3_N6thrust23THRUST_200600_302600_NS6detail15normal_iteratorINS8_10device_ptrIyEEEESD_jNS1_19radix_merge_compareILb0ELb0EyNS0_19identity_decomposerEEEEE10hipError_tT0_T1_T2_jT3_P12ihipStream_tbPNSt15iterator_traitsISI_E10value_typeEPNSO_ISJ_E10value_typeEPSK_NS1_7vsmem_tEENKUlT_SI_SJ_SK_E_clIPySD_S10_SD_EESH_SX_SI_SJ_SK_EUlSX_E_NS1_11comp_targetILNS1_3genE5ELNS1_11target_archE942ELNS1_3gpuE9ELNS1_3repE0EEENS1_48merge_mergepath_partition_config_static_selectorELNS0_4arch9wavefront6targetE1EEEvSJ_
	.globl	_ZN7rocprim17ROCPRIM_400000_NS6detail17trampoline_kernelINS0_14default_configENS1_38merge_sort_block_merge_config_selectorIyyEEZZNS1_27merge_sort_block_merge_implIS3_N6thrust23THRUST_200600_302600_NS6detail15normal_iteratorINS8_10device_ptrIyEEEESD_jNS1_19radix_merge_compareILb0ELb0EyNS0_19identity_decomposerEEEEE10hipError_tT0_T1_T2_jT3_P12ihipStream_tbPNSt15iterator_traitsISI_E10value_typeEPNSO_ISJ_E10value_typeEPSK_NS1_7vsmem_tEENKUlT_SI_SJ_SK_E_clIPySD_S10_SD_EESH_SX_SI_SJ_SK_EUlSX_E_NS1_11comp_targetILNS1_3genE5ELNS1_11target_archE942ELNS1_3gpuE9ELNS1_3repE0EEENS1_48merge_mergepath_partition_config_static_selectorELNS0_4arch9wavefront6targetE1EEEvSJ_
	.p2align	8
	.type	_ZN7rocprim17ROCPRIM_400000_NS6detail17trampoline_kernelINS0_14default_configENS1_38merge_sort_block_merge_config_selectorIyyEEZZNS1_27merge_sort_block_merge_implIS3_N6thrust23THRUST_200600_302600_NS6detail15normal_iteratorINS8_10device_ptrIyEEEESD_jNS1_19radix_merge_compareILb0ELb0EyNS0_19identity_decomposerEEEEE10hipError_tT0_T1_T2_jT3_P12ihipStream_tbPNSt15iterator_traitsISI_E10value_typeEPNSO_ISJ_E10value_typeEPSK_NS1_7vsmem_tEENKUlT_SI_SJ_SK_E_clIPySD_S10_SD_EESH_SX_SI_SJ_SK_EUlSX_E_NS1_11comp_targetILNS1_3genE5ELNS1_11target_archE942ELNS1_3gpuE9ELNS1_3repE0EEENS1_48merge_mergepath_partition_config_static_selectorELNS0_4arch9wavefront6targetE1EEEvSJ_,@function
_ZN7rocprim17ROCPRIM_400000_NS6detail17trampoline_kernelINS0_14default_configENS1_38merge_sort_block_merge_config_selectorIyyEEZZNS1_27merge_sort_block_merge_implIS3_N6thrust23THRUST_200600_302600_NS6detail15normal_iteratorINS8_10device_ptrIyEEEESD_jNS1_19radix_merge_compareILb0ELb0EyNS0_19identity_decomposerEEEEE10hipError_tT0_T1_T2_jT3_P12ihipStream_tbPNSt15iterator_traitsISI_E10value_typeEPNSO_ISJ_E10value_typeEPSK_NS1_7vsmem_tEENKUlT_SI_SJ_SK_E_clIPySD_S10_SD_EESH_SX_SI_SJ_SK_EUlSX_E_NS1_11comp_targetILNS1_3genE5ELNS1_11target_archE942ELNS1_3gpuE9ELNS1_3repE0EEENS1_48merge_mergepath_partition_config_static_selectorELNS0_4arch9wavefront6targetE1EEEvSJ_: ; @_ZN7rocprim17ROCPRIM_400000_NS6detail17trampoline_kernelINS0_14default_configENS1_38merge_sort_block_merge_config_selectorIyyEEZZNS1_27merge_sort_block_merge_implIS3_N6thrust23THRUST_200600_302600_NS6detail15normal_iteratorINS8_10device_ptrIyEEEESD_jNS1_19radix_merge_compareILb0ELb0EyNS0_19identity_decomposerEEEEE10hipError_tT0_T1_T2_jT3_P12ihipStream_tbPNSt15iterator_traitsISI_E10value_typeEPNSO_ISJ_E10value_typeEPSK_NS1_7vsmem_tEENKUlT_SI_SJ_SK_E_clIPySD_S10_SD_EESH_SX_SI_SJ_SK_EUlSX_E_NS1_11comp_targetILNS1_3genE5ELNS1_11target_archE942ELNS1_3gpuE9ELNS1_3repE0EEENS1_48merge_mergepath_partition_config_static_selectorELNS0_4arch9wavefront6targetE1EEEvSJ_
; %bb.0:
	.section	.rodata,"a",@progbits
	.p2align	6, 0x0
	.amdhsa_kernel _ZN7rocprim17ROCPRIM_400000_NS6detail17trampoline_kernelINS0_14default_configENS1_38merge_sort_block_merge_config_selectorIyyEEZZNS1_27merge_sort_block_merge_implIS3_N6thrust23THRUST_200600_302600_NS6detail15normal_iteratorINS8_10device_ptrIyEEEESD_jNS1_19radix_merge_compareILb0ELb0EyNS0_19identity_decomposerEEEEE10hipError_tT0_T1_T2_jT3_P12ihipStream_tbPNSt15iterator_traitsISI_E10value_typeEPNSO_ISJ_E10value_typeEPSK_NS1_7vsmem_tEENKUlT_SI_SJ_SK_E_clIPySD_S10_SD_EESH_SX_SI_SJ_SK_EUlSX_E_NS1_11comp_targetILNS1_3genE5ELNS1_11target_archE942ELNS1_3gpuE9ELNS1_3repE0EEENS1_48merge_mergepath_partition_config_static_selectorELNS0_4arch9wavefront6targetE1EEEvSJ_
		.amdhsa_group_segment_fixed_size 0
		.amdhsa_private_segment_fixed_size 0
		.amdhsa_kernarg_size 40
		.amdhsa_user_sgpr_count 2
		.amdhsa_user_sgpr_dispatch_ptr 0
		.amdhsa_user_sgpr_queue_ptr 0
		.amdhsa_user_sgpr_kernarg_segment_ptr 1
		.amdhsa_user_sgpr_dispatch_id 0
		.amdhsa_user_sgpr_kernarg_preload_length 0
		.amdhsa_user_sgpr_kernarg_preload_offset 0
		.amdhsa_user_sgpr_private_segment_size 0
		.amdhsa_uses_dynamic_stack 0
		.amdhsa_enable_private_segment 0
		.amdhsa_system_sgpr_workgroup_id_x 1
		.amdhsa_system_sgpr_workgroup_id_y 0
		.amdhsa_system_sgpr_workgroup_id_z 0
		.amdhsa_system_sgpr_workgroup_info 0
		.amdhsa_system_vgpr_workitem_id 0
		.amdhsa_next_free_vgpr 1
		.amdhsa_next_free_sgpr 0
		.amdhsa_accum_offset 4
		.amdhsa_reserve_vcc 0
		.amdhsa_float_round_mode_32 0
		.amdhsa_float_round_mode_16_64 0
		.amdhsa_float_denorm_mode_32 3
		.amdhsa_float_denorm_mode_16_64 3
		.amdhsa_dx10_clamp 1
		.amdhsa_ieee_mode 1
		.amdhsa_fp16_overflow 0
		.amdhsa_tg_split 0
		.amdhsa_exception_fp_ieee_invalid_op 0
		.amdhsa_exception_fp_denorm_src 0
		.amdhsa_exception_fp_ieee_div_zero 0
		.amdhsa_exception_fp_ieee_overflow 0
		.amdhsa_exception_fp_ieee_underflow 0
		.amdhsa_exception_fp_ieee_inexact 0
		.amdhsa_exception_int_div_zero 0
	.end_amdhsa_kernel
	.section	.text._ZN7rocprim17ROCPRIM_400000_NS6detail17trampoline_kernelINS0_14default_configENS1_38merge_sort_block_merge_config_selectorIyyEEZZNS1_27merge_sort_block_merge_implIS3_N6thrust23THRUST_200600_302600_NS6detail15normal_iteratorINS8_10device_ptrIyEEEESD_jNS1_19radix_merge_compareILb0ELb0EyNS0_19identity_decomposerEEEEE10hipError_tT0_T1_T2_jT3_P12ihipStream_tbPNSt15iterator_traitsISI_E10value_typeEPNSO_ISJ_E10value_typeEPSK_NS1_7vsmem_tEENKUlT_SI_SJ_SK_E_clIPySD_S10_SD_EESH_SX_SI_SJ_SK_EUlSX_E_NS1_11comp_targetILNS1_3genE5ELNS1_11target_archE942ELNS1_3gpuE9ELNS1_3repE0EEENS1_48merge_mergepath_partition_config_static_selectorELNS0_4arch9wavefront6targetE1EEEvSJ_,"axG",@progbits,_ZN7rocprim17ROCPRIM_400000_NS6detail17trampoline_kernelINS0_14default_configENS1_38merge_sort_block_merge_config_selectorIyyEEZZNS1_27merge_sort_block_merge_implIS3_N6thrust23THRUST_200600_302600_NS6detail15normal_iteratorINS8_10device_ptrIyEEEESD_jNS1_19radix_merge_compareILb0ELb0EyNS0_19identity_decomposerEEEEE10hipError_tT0_T1_T2_jT3_P12ihipStream_tbPNSt15iterator_traitsISI_E10value_typeEPNSO_ISJ_E10value_typeEPSK_NS1_7vsmem_tEENKUlT_SI_SJ_SK_E_clIPySD_S10_SD_EESH_SX_SI_SJ_SK_EUlSX_E_NS1_11comp_targetILNS1_3genE5ELNS1_11target_archE942ELNS1_3gpuE9ELNS1_3repE0EEENS1_48merge_mergepath_partition_config_static_selectorELNS0_4arch9wavefront6targetE1EEEvSJ_,comdat
.Lfunc_end398:
	.size	_ZN7rocprim17ROCPRIM_400000_NS6detail17trampoline_kernelINS0_14default_configENS1_38merge_sort_block_merge_config_selectorIyyEEZZNS1_27merge_sort_block_merge_implIS3_N6thrust23THRUST_200600_302600_NS6detail15normal_iteratorINS8_10device_ptrIyEEEESD_jNS1_19radix_merge_compareILb0ELb0EyNS0_19identity_decomposerEEEEE10hipError_tT0_T1_T2_jT3_P12ihipStream_tbPNSt15iterator_traitsISI_E10value_typeEPNSO_ISJ_E10value_typeEPSK_NS1_7vsmem_tEENKUlT_SI_SJ_SK_E_clIPySD_S10_SD_EESH_SX_SI_SJ_SK_EUlSX_E_NS1_11comp_targetILNS1_3genE5ELNS1_11target_archE942ELNS1_3gpuE9ELNS1_3repE0EEENS1_48merge_mergepath_partition_config_static_selectorELNS0_4arch9wavefront6targetE1EEEvSJ_, .Lfunc_end398-_ZN7rocprim17ROCPRIM_400000_NS6detail17trampoline_kernelINS0_14default_configENS1_38merge_sort_block_merge_config_selectorIyyEEZZNS1_27merge_sort_block_merge_implIS3_N6thrust23THRUST_200600_302600_NS6detail15normal_iteratorINS8_10device_ptrIyEEEESD_jNS1_19radix_merge_compareILb0ELb0EyNS0_19identity_decomposerEEEEE10hipError_tT0_T1_T2_jT3_P12ihipStream_tbPNSt15iterator_traitsISI_E10value_typeEPNSO_ISJ_E10value_typeEPSK_NS1_7vsmem_tEENKUlT_SI_SJ_SK_E_clIPySD_S10_SD_EESH_SX_SI_SJ_SK_EUlSX_E_NS1_11comp_targetILNS1_3genE5ELNS1_11target_archE942ELNS1_3gpuE9ELNS1_3repE0EEENS1_48merge_mergepath_partition_config_static_selectorELNS0_4arch9wavefront6targetE1EEEvSJ_
                                        ; -- End function
	.set _ZN7rocprim17ROCPRIM_400000_NS6detail17trampoline_kernelINS0_14default_configENS1_38merge_sort_block_merge_config_selectorIyyEEZZNS1_27merge_sort_block_merge_implIS3_N6thrust23THRUST_200600_302600_NS6detail15normal_iteratorINS8_10device_ptrIyEEEESD_jNS1_19radix_merge_compareILb0ELb0EyNS0_19identity_decomposerEEEEE10hipError_tT0_T1_T2_jT3_P12ihipStream_tbPNSt15iterator_traitsISI_E10value_typeEPNSO_ISJ_E10value_typeEPSK_NS1_7vsmem_tEENKUlT_SI_SJ_SK_E_clIPySD_S10_SD_EESH_SX_SI_SJ_SK_EUlSX_E_NS1_11comp_targetILNS1_3genE5ELNS1_11target_archE942ELNS1_3gpuE9ELNS1_3repE0EEENS1_48merge_mergepath_partition_config_static_selectorELNS0_4arch9wavefront6targetE1EEEvSJ_.num_vgpr, 0
	.set _ZN7rocprim17ROCPRIM_400000_NS6detail17trampoline_kernelINS0_14default_configENS1_38merge_sort_block_merge_config_selectorIyyEEZZNS1_27merge_sort_block_merge_implIS3_N6thrust23THRUST_200600_302600_NS6detail15normal_iteratorINS8_10device_ptrIyEEEESD_jNS1_19radix_merge_compareILb0ELb0EyNS0_19identity_decomposerEEEEE10hipError_tT0_T1_T2_jT3_P12ihipStream_tbPNSt15iterator_traitsISI_E10value_typeEPNSO_ISJ_E10value_typeEPSK_NS1_7vsmem_tEENKUlT_SI_SJ_SK_E_clIPySD_S10_SD_EESH_SX_SI_SJ_SK_EUlSX_E_NS1_11comp_targetILNS1_3genE5ELNS1_11target_archE942ELNS1_3gpuE9ELNS1_3repE0EEENS1_48merge_mergepath_partition_config_static_selectorELNS0_4arch9wavefront6targetE1EEEvSJ_.num_agpr, 0
	.set _ZN7rocprim17ROCPRIM_400000_NS6detail17trampoline_kernelINS0_14default_configENS1_38merge_sort_block_merge_config_selectorIyyEEZZNS1_27merge_sort_block_merge_implIS3_N6thrust23THRUST_200600_302600_NS6detail15normal_iteratorINS8_10device_ptrIyEEEESD_jNS1_19radix_merge_compareILb0ELb0EyNS0_19identity_decomposerEEEEE10hipError_tT0_T1_T2_jT3_P12ihipStream_tbPNSt15iterator_traitsISI_E10value_typeEPNSO_ISJ_E10value_typeEPSK_NS1_7vsmem_tEENKUlT_SI_SJ_SK_E_clIPySD_S10_SD_EESH_SX_SI_SJ_SK_EUlSX_E_NS1_11comp_targetILNS1_3genE5ELNS1_11target_archE942ELNS1_3gpuE9ELNS1_3repE0EEENS1_48merge_mergepath_partition_config_static_selectorELNS0_4arch9wavefront6targetE1EEEvSJ_.numbered_sgpr, 0
	.set _ZN7rocprim17ROCPRIM_400000_NS6detail17trampoline_kernelINS0_14default_configENS1_38merge_sort_block_merge_config_selectorIyyEEZZNS1_27merge_sort_block_merge_implIS3_N6thrust23THRUST_200600_302600_NS6detail15normal_iteratorINS8_10device_ptrIyEEEESD_jNS1_19radix_merge_compareILb0ELb0EyNS0_19identity_decomposerEEEEE10hipError_tT0_T1_T2_jT3_P12ihipStream_tbPNSt15iterator_traitsISI_E10value_typeEPNSO_ISJ_E10value_typeEPSK_NS1_7vsmem_tEENKUlT_SI_SJ_SK_E_clIPySD_S10_SD_EESH_SX_SI_SJ_SK_EUlSX_E_NS1_11comp_targetILNS1_3genE5ELNS1_11target_archE942ELNS1_3gpuE9ELNS1_3repE0EEENS1_48merge_mergepath_partition_config_static_selectorELNS0_4arch9wavefront6targetE1EEEvSJ_.num_named_barrier, 0
	.set _ZN7rocprim17ROCPRIM_400000_NS6detail17trampoline_kernelINS0_14default_configENS1_38merge_sort_block_merge_config_selectorIyyEEZZNS1_27merge_sort_block_merge_implIS3_N6thrust23THRUST_200600_302600_NS6detail15normal_iteratorINS8_10device_ptrIyEEEESD_jNS1_19radix_merge_compareILb0ELb0EyNS0_19identity_decomposerEEEEE10hipError_tT0_T1_T2_jT3_P12ihipStream_tbPNSt15iterator_traitsISI_E10value_typeEPNSO_ISJ_E10value_typeEPSK_NS1_7vsmem_tEENKUlT_SI_SJ_SK_E_clIPySD_S10_SD_EESH_SX_SI_SJ_SK_EUlSX_E_NS1_11comp_targetILNS1_3genE5ELNS1_11target_archE942ELNS1_3gpuE9ELNS1_3repE0EEENS1_48merge_mergepath_partition_config_static_selectorELNS0_4arch9wavefront6targetE1EEEvSJ_.private_seg_size, 0
	.set _ZN7rocprim17ROCPRIM_400000_NS6detail17trampoline_kernelINS0_14default_configENS1_38merge_sort_block_merge_config_selectorIyyEEZZNS1_27merge_sort_block_merge_implIS3_N6thrust23THRUST_200600_302600_NS6detail15normal_iteratorINS8_10device_ptrIyEEEESD_jNS1_19radix_merge_compareILb0ELb0EyNS0_19identity_decomposerEEEEE10hipError_tT0_T1_T2_jT3_P12ihipStream_tbPNSt15iterator_traitsISI_E10value_typeEPNSO_ISJ_E10value_typeEPSK_NS1_7vsmem_tEENKUlT_SI_SJ_SK_E_clIPySD_S10_SD_EESH_SX_SI_SJ_SK_EUlSX_E_NS1_11comp_targetILNS1_3genE5ELNS1_11target_archE942ELNS1_3gpuE9ELNS1_3repE0EEENS1_48merge_mergepath_partition_config_static_selectorELNS0_4arch9wavefront6targetE1EEEvSJ_.uses_vcc, 0
	.set _ZN7rocprim17ROCPRIM_400000_NS6detail17trampoline_kernelINS0_14default_configENS1_38merge_sort_block_merge_config_selectorIyyEEZZNS1_27merge_sort_block_merge_implIS3_N6thrust23THRUST_200600_302600_NS6detail15normal_iteratorINS8_10device_ptrIyEEEESD_jNS1_19radix_merge_compareILb0ELb0EyNS0_19identity_decomposerEEEEE10hipError_tT0_T1_T2_jT3_P12ihipStream_tbPNSt15iterator_traitsISI_E10value_typeEPNSO_ISJ_E10value_typeEPSK_NS1_7vsmem_tEENKUlT_SI_SJ_SK_E_clIPySD_S10_SD_EESH_SX_SI_SJ_SK_EUlSX_E_NS1_11comp_targetILNS1_3genE5ELNS1_11target_archE942ELNS1_3gpuE9ELNS1_3repE0EEENS1_48merge_mergepath_partition_config_static_selectorELNS0_4arch9wavefront6targetE1EEEvSJ_.uses_flat_scratch, 0
	.set _ZN7rocprim17ROCPRIM_400000_NS6detail17trampoline_kernelINS0_14default_configENS1_38merge_sort_block_merge_config_selectorIyyEEZZNS1_27merge_sort_block_merge_implIS3_N6thrust23THRUST_200600_302600_NS6detail15normal_iteratorINS8_10device_ptrIyEEEESD_jNS1_19radix_merge_compareILb0ELb0EyNS0_19identity_decomposerEEEEE10hipError_tT0_T1_T2_jT3_P12ihipStream_tbPNSt15iterator_traitsISI_E10value_typeEPNSO_ISJ_E10value_typeEPSK_NS1_7vsmem_tEENKUlT_SI_SJ_SK_E_clIPySD_S10_SD_EESH_SX_SI_SJ_SK_EUlSX_E_NS1_11comp_targetILNS1_3genE5ELNS1_11target_archE942ELNS1_3gpuE9ELNS1_3repE0EEENS1_48merge_mergepath_partition_config_static_selectorELNS0_4arch9wavefront6targetE1EEEvSJ_.has_dyn_sized_stack, 0
	.set _ZN7rocprim17ROCPRIM_400000_NS6detail17trampoline_kernelINS0_14default_configENS1_38merge_sort_block_merge_config_selectorIyyEEZZNS1_27merge_sort_block_merge_implIS3_N6thrust23THRUST_200600_302600_NS6detail15normal_iteratorINS8_10device_ptrIyEEEESD_jNS1_19radix_merge_compareILb0ELb0EyNS0_19identity_decomposerEEEEE10hipError_tT0_T1_T2_jT3_P12ihipStream_tbPNSt15iterator_traitsISI_E10value_typeEPNSO_ISJ_E10value_typeEPSK_NS1_7vsmem_tEENKUlT_SI_SJ_SK_E_clIPySD_S10_SD_EESH_SX_SI_SJ_SK_EUlSX_E_NS1_11comp_targetILNS1_3genE5ELNS1_11target_archE942ELNS1_3gpuE9ELNS1_3repE0EEENS1_48merge_mergepath_partition_config_static_selectorELNS0_4arch9wavefront6targetE1EEEvSJ_.has_recursion, 0
	.set _ZN7rocprim17ROCPRIM_400000_NS6detail17trampoline_kernelINS0_14default_configENS1_38merge_sort_block_merge_config_selectorIyyEEZZNS1_27merge_sort_block_merge_implIS3_N6thrust23THRUST_200600_302600_NS6detail15normal_iteratorINS8_10device_ptrIyEEEESD_jNS1_19radix_merge_compareILb0ELb0EyNS0_19identity_decomposerEEEEE10hipError_tT0_T1_T2_jT3_P12ihipStream_tbPNSt15iterator_traitsISI_E10value_typeEPNSO_ISJ_E10value_typeEPSK_NS1_7vsmem_tEENKUlT_SI_SJ_SK_E_clIPySD_S10_SD_EESH_SX_SI_SJ_SK_EUlSX_E_NS1_11comp_targetILNS1_3genE5ELNS1_11target_archE942ELNS1_3gpuE9ELNS1_3repE0EEENS1_48merge_mergepath_partition_config_static_selectorELNS0_4arch9wavefront6targetE1EEEvSJ_.has_indirect_call, 0
	.section	.AMDGPU.csdata,"",@progbits
; Kernel info:
; codeLenInByte = 0
; TotalNumSgprs: 6
; NumVgprs: 0
; NumAgprs: 0
; TotalNumVgprs: 0
; ScratchSize: 0
; MemoryBound: 0
; FloatMode: 240
; IeeeMode: 1
; LDSByteSize: 0 bytes/workgroup (compile time only)
; SGPRBlocks: 0
; VGPRBlocks: 0
; NumSGPRsForWavesPerEU: 6
; NumVGPRsForWavesPerEU: 1
; AccumOffset: 4
; Occupancy: 8
; WaveLimiterHint : 0
; COMPUTE_PGM_RSRC2:SCRATCH_EN: 0
; COMPUTE_PGM_RSRC2:USER_SGPR: 2
; COMPUTE_PGM_RSRC2:TRAP_HANDLER: 0
; COMPUTE_PGM_RSRC2:TGID_X_EN: 1
; COMPUTE_PGM_RSRC2:TGID_Y_EN: 0
; COMPUTE_PGM_RSRC2:TGID_Z_EN: 0
; COMPUTE_PGM_RSRC2:TIDIG_COMP_CNT: 0
; COMPUTE_PGM_RSRC3_GFX90A:ACCUM_OFFSET: 0
; COMPUTE_PGM_RSRC3_GFX90A:TG_SPLIT: 0
	.section	.text._ZN7rocprim17ROCPRIM_400000_NS6detail17trampoline_kernelINS0_14default_configENS1_38merge_sort_block_merge_config_selectorIyyEEZZNS1_27merge_sort_block_merge_implIS3_N6thrust23THRUST_200600_302600_NS6detail15normal_iteratorINS8_10device_ptrIyEEEESD_jNS1_19radix_merge_compareILb0ELb0EyNS0_19identity_decomposerEEEEE10hipError_tT0_T1_T2_jT3_P12ihipStream_tbPNSt15iterator_traitsISI_E10value_typeEPNSO_ISJ_E10value_typeEPSK_NS1_7vsmem_tEENKUlT_SI_SJ_SK_E_clIPySD_S10_SD_EESH_SX_SI_SJ_SK_EUlSX_E_NS1_11comp_targetILNS1_3genE4ELNS1_11target_archE910ELNS1_3gpuE8ELNS1_3repE0EEENS1_48merge_mergepath_partition_config_static_selectorELNS0_4arch9wavefront6targetE1EEEvSJ_,"axG",@progbits,_ZN7rocprim17ROCPRIM_400000_NS6detail17trampoline_kernelINS0_14default_configENS1_38merge_sort_block_merge_config_selectorIyyEEZZNS1_27merge_sort_block_merge_implIS3_N6thrust23THRUST_200600_302600_NS6detail15normal_iteratorINS8_10device_ptrIyEEEESD_jNS1_19radix_merge_compareILb0ELb0EyNS0_19identity_decomposerEEEEE10hipError_tT0_T1_T2_jT3_P12ihipStream_tbPNSt15iterator_traitsISI_E10value_typeEPNSO_ISJ_E10value_typeEPSK_NS1_7vsmem_tEENKUlT_SI_SJ_SK_E_clIPySD_S10_SD_EESH_SX_SI_SJ_SK_EUlSX_E_NS1_11comp_targetILNS1_3genE4ELNS1_11target_archE910ELNS1_3gpuE8ELNS1_3repE0EEENS1_48merge_mergepath_partition_config_static_selectorELNS0_4arch9wavefront6targetE1EEEvSJ_,comdat
	.protected	_ZN7rocprim17ROCPRIM_400000_NS6detail17trampoline_kernelINS0_14default_configENS1_38merge_sort_block_merge_config_selectorIyyEEZZNS1_27merge_sort_block_merge_implIS3_N6thrust23THRUST_200600_302600_NS6detail15normal_iteratorINS8_10device_ptrIyEEEESD_jNS1_19radix_merge_compareILb0ELb0EyNS0_19identity_decomposerEEEEE10hipError_tT0_T1_T2_jT3_P12ihipStream_tbPNSt15iterator_traitsISI_E10value_typeEPNSO_ISJ_E10value_typeEPSK_NS1_7vsmem_tEENKUlT_SI_SJ_SK_E_clIPySD_S10_SD_EESH_SX_SI_SJ_SK_EUlSX_E_NS1_11comp_targetILNS1_3genE4ELNS1_11target_archE910ELNS1_3gpuE8ELNS1_3repE0EEENS1_48merge_mergepath_partition_config_static_selectorELNS0_4arch9wavefront6targetE1EEEvSJ_ ; -- Begin function _ZN7rocprim17ROCPRIM_400000_NS6detail17trampoline_kernelINS0_14default_configENS1_38merge_sort_block_merge_config_selectorIyyEEZZNS1_27merge_sort_block_merge_implIS3_N6thrust23THRUST_200600_302600_NS6detail15normal_iteratorINS8_10device_ptrIyEEEESD_jNS1_19radix_merge_compareILb0ELb0EyNS0_19identity_decomposerEEEEE10hipError_tT0_T1_T2_jT3_P12ihipStream_tbPNSt15iterator_traitsISI_E10value_typeEPNSO_ISJ_E10value_typeEPSK_NS1_7vsmem_tEENKUlT_SI_SJ_SK_E_clIPySD_S10_SD_EESH_SX_SI_SJ_SK_EUlSX_E_NS1_11comp_targetILNS1_3genE4ELNS1_11target_archE910ELNS1_3gpuE8ELNS1_3repE0EEENS1_48merge_mergepath_partition_config_static_selectorELNS0_4arch9wavefront6targetE1EEEvSJ_
	.globl	_ZN7rocprim17ROCPRIM_400000_NS6detail17trampoline_kernelINS0_14default_configENS1_38merge_sort_block_merge_config_selectorIyyEEZZNS1_27merge_sort_block_merge_implIS3_N6thrust23THRUST_200600_302600_NS6detail15normal_iteratorINS8_10device_ptrIyEEEESD_jNS1_19radix_merge_compareILb0ELb0EyNS0_19identity_decomposerEEEEE10hipError_tT0_T1_T2_jT3_P12ihipStream_tbPNSt15iterator_traitsISI_E10value_typeEPNSO_ISJ_E10value_typeEPSK_NS1_7vsmem_tEENKUlT_SI_SJ_SK_E_clIPySD_S10_SD_EESH_SX_SI_SJ_SK_EUlSX_E_NS1_11comp_targetILNS1_3genE4ELNS1_11target_archE910ELNS1_3gpuE8ELNS1_3repE0EEENS1_48merge_mergepath_partition_config_static_selectorELNS0_4arch9wavefront6targetE1EEEvSJ_
	.p2align	8
	.type	_ZN7rocprim17ROCPRIM_400000_NS6detail17trampoline_kernelINS0_14default_configENS1_38merge_sort_block_merge_config_selectorIyyEEZZNS1_27merge_sort_block_merge_implIS3_N6thrust23THRUST_200600_302600_NS6detail15normal_iteratorINS8_10device_ptrIyEEEESD_jNS1_19radix_merge_compareILb0ELb0EyNS0_19identity_decomposerEEEEE10hipError_tT0_T1_T2_jT3_P12ihipStream_tbPNSt15iterator_traitsISI_E10value_typeEPNSO_ISJ_E10value_typeEPSK_NS1_7vsmem_tEENKUlT_SI_SJ_SK_E_clIPySD_S10_SD_EESH_SX_SI_SJ_SK_EUlSX_E_NS1_11comp_targetILNS1_3genE4ELNS1_11target_archE910ELNS1_3gpuE8ELNS1_3repE0EEENS1_48merge_mergepath_partition_config_static_selectorELNS0_4arch9wavefront6targetE1EEEvSJ_,@function
_ZN7rocprim17ROCPRIM_400000_NS6detail17trampoline_kernelINS0_14default_configENS1_38merge_sort_block_merge_config_selectorIyyEEZZNS1_27merge_sort_block_merge_implIS3_N6thrust23THRUST_200600_302600_NS6detail15normal_iteratorINS8_10device_ptrIyEEEESD_jNS1_19radix_merge_compareILb0ELb0EyNS0_19identity_decomposerEEEEE10hipError_tT0_T1_T2_jT3_P12ihipStream_tbPNSt15iterator_traitsISI_E10value_typeEPNSO_ISJ_E10value_typeEPSK_NS1_7vsmem_tEENKUlT_SI_SJ_SK_E_clIPySD_S10_SD_EESH_SX_SI_SJ_SK_EUlSX_E_NS1_11comp_targetILNS1_3genE4ELNS1_11target_archE910ELNS1_3gpuE8ELNS1_3repE0EEENS1_48merge_mergepath_partition_config_static_selectorELNS0_4arch9wavefront6targetE1EEEvSJ_: ; @_ZN7rocprim17ROCPRIM_400000_NS6detail17trampoline_kernelINS0_14default_configENS1_38merge_sort_block_merge_config_selectorIyyEEZZNS1_27merge_sort_block_merge_implIS3_N6thrust23THRUST_200600_302600_NS6detail15normal_iteratorINS8_10device_ptrIyEEEESD_jNS1_19radix_merge_compareILb0ELb0EyNS0_19identity_decomposerEEEEE10hipError_tT0_T1_T2_jT3_P12ihipStream_tbPNSt15iterator_traitsISI_E10value_typeEPNSO_ISJ_E10value_typeEPSK_NS1_7vsmem_tEENKUlT_SI_SJ_SK_E_clIPySD_S10_SD_EESH_SX_SI_SJ_SK_EUlSX_E_NS1_11comp_targetILNS1_3genE4ELNS1_11target_archE910ELNS1_3gpuE8ELNS1_3repE0EEENS1_48merge_mergepath_partition_config_static_selectorELNS0_4arch9wavefront6targetE1EEEvSJ_
; %bb.0:
	.section	.rodata,"a",@progbits
	.p2align	6, 0x0
	.amdhsa_kernel _ZN7rocprim17ROCPRIM_400000_NS6detail17trampoline_kernelINS0_14default_configENS1_38merge_sort_block_merge_config_selectorIyyEEZZNS1_27merge_sort_block_merge_implIS3_N6thrust23THRUST_200600_302600_NS6detail15normal_iteratorINS8_10device_ptrIyEEEESD_jNS1_19radix_merge_compareILb0ELb0EyNS0_19identity_decomposerEEEEE10hipError_tT0_T1_T2_jT3_P12ihipStream_tbPNSt15iterator_traitsISI_E10value_typeEPNSO_ISJ_E10value_typeEPSK_NS1_7vsmem_tEENKUlT_SI_SJ_SK_E_clIPySD_S10_SD_EESH_SX_SI_SJ_SK_EUlSX_E_NS1_11comp_targetILNS1_3genE4ELNS1_11target_archE910ELNS1_3gpuE8ELNS1_3repE0EEENS1_48merge_mergepath_partition_config_static_selectorELNS0_4arch9wavefront6targetE1EEEvSJ_
		.amdhsa_group_segment_fixed_size 0
		.amdhsa_private_segment_fixed_size 0
		.amdhsa_kernarg_size 40
		.amdhsa_user_sgpr_count 2
		.amdhsa_user_sgpr_dispatch_ptr 0
		.amdhsa_user_sgpr_queue_ptr 0
		.amdhsa_user_sgpr_kernarg_segment_ptr 1
		.amdhsa_user_sgpr_dispatch_id 0
		.amdhsa_user_sgpr_kernarg_preload_length 0
		.amdhsa_user_sgpr_kernarg_preload_offset 0
		.amdhsa_user_sgpr_private_segment_size 0
		.amdhsa_uses_dynamic_stack 0
		.amdhsa_enable_private_segment 0
		.amdhsa_system_sgpr_workgroup_id_x 1
		.amdhsa_system_sgpr_workgroup_id_y 0
		.amdhsa_system_sgpr_workgroup_id_z 0
		.amdhsa_system_sgpr_workgroup_info 0
		.amdhsa_system_vgpr_workitem_id 0
		.amdhsa_next_free_vgpr 1
		.amdhsa_next_free_sgpr 0
		.amdhsa_accum_offset 4
		.amdhsa_reserve_vcc 0
		.amdhsa_float_round_mode_32 0
		.amdhsa_float_round_mode_16_64 0
		.amdhsa_float_denorm_mode_32 3
		.amdhsa_float_denorm_mode_16_64 3
		.amdhsa_dx10_clamp 1
		.amdhsa_ieee_mode 1
		.amdhsa_fp16_overflow 0
		.amdhsa_tg_split 0
		.amdhsa_exception_fp_ieee_invalid_op 0
		.amdhsa_exception_fp_denorm_src 0
		.amdhsa_exception_fp_ieee_div_zero 0
		.amdhsa_exception_fp_ieee_overflow 0
		.amdhsa_exception_fp_ieee_underflow 0
		.amdhsa_exception_fp_ieee_inexact 0
		.amdhsa_exception_int_div_zero 0
	.end_amdhsa_kernel
	.section	.text._ZN7rocprim17ROCPRIM_400000_NS6detail17trampoline_kernelINS0_14default_configENS1_38merge_sort_block_merge_config_selectorIyyEEZZNS1_27merge_sort_block_merge_implIS3_N6thrust23THRUST_200600_302600_NS6detail15normal_iteratorINS8_10device_ptrIyEEEESD_jNS1_19radix_merge_compareILb0ELb0EyNS0_19identity_decomposerEEEEE10hipError_tT0_T1_T2_jT3_P12ihipStream_tbPNSt15iterator_traitsISI_E10value_typeEPNSO_ISJ_E10value_typeEPSK_NS1_7vsmem_tEENKUlT_SI_SJ_SK_E_clIPySD_S10_SD_EESH_SX_SI_SJ_SK_EUlSX_E_NS1_11comp_targetILNS1_3genE4ELNS1_11target_archE910ELNS1_3gpuE8ELNS1_3repE0EEENS1_48merge_mergepath_partition_config_static_selectorELNS0_4arch9wavefront6targetE1EEEvSJ_,"axG",@progbits,_ZN7rocprim17ROCPRIM_400000_NS6detail17trampoline_kernelINS0_14default_configENS1_38merge_sort_block_merge_config_selectorIyyEEZZNS1_27merge_sort_block_merge_implIS3_N6thrust23THRUST_200600_302600_NS6detail15normal_iteratorINS8_10device_ptrIyEEEESD_jNS1_19radix_merge_compareILb0ELb0EyNS0_19identity_decomposerEEEEE10hipError_tT0_T1_T2_jT3_P12ihipStream_tbPNSt15iterator_traitsISI_E10value_typeEPNSO_ISJ_E10value_typeEPSK_NS1_7vsmem_tEENKUlT_SI_SJ_SK_E_clIPySD_S10_SD_EESH_SX_SI_SJ_SK_EUlSX_E_NS1_11comp_targetILNS1_3genE4ELNS1_11target_archE910ELNS1_3gpuE8ELNS1_3repE0EEENS1_48merge_mergepath_partition_config_static_selectorELNS0_4arch9wavefront6targetE1EEEvSJ_,comdat
.Lfunc_end399:
	.size	_ZN7rocprim17ROCPRIM_400000_NS6detail17trampoline_kernelINS0_14default_configENS1_38merge_sort_block_merge_config_selectorIyyEEZZNS1_27merge_sort_block_merge_implIS3_N6thrust23THRUST_200600_302600_NS6detail15normal_iteratorINS8_10device_ptrIyEEEESD_jNS1_19radix_merge_compareILb0ELb0EyNS0_19identity_decomposerEEEEE10hipError_tT0_T1_T2_jT3_P12ihipStream_tbPNSt15iterator_traitsISI_E10value_typeEPNSO_ISJ_E10value_typeEPSK_NS1_7vsmem_tEENKUlT_SI_SJ_SK_E_clIPySD_S10_SD_EESH_SX_SI_SJ_SK_EUlSX_E_NS1_11comp_targetILNS1_3genE4ELNS1_11target_archE910ELNS1_3gpuE8ELNS1_3repE0EEENS1_48merge_mergepath_partition_config_static_selectorELNS0_4arch9wavefront6targetE1EEEvSJ_, .Lfunc_end399-_ZN7rocprim17ROCPRIM_400000_NS6detail17trampoline_kernelINS0_14default_configENS1_38merge_sort_block_merge_config_selectorIyyEEZZNS1_27merge_sort_block_merge_implIS3_N6thrust23THRUST_200600_302600_NS6detail15normal_iteratorINS8_10device_ptrIyEEEESD_jNS1_19radix_merge_compareILb0ELb0EyNS0_19identity_decomposerEEEEE10hipError_tT0_T1_T2_jT3_P12ihipStream_tbPNSt15iterator_traitsISI_E10value_typeEPNSO_ISJ_E10value_typeEPSK_NS1_7vsmem_tEENKUlT_SI_SJ_SK_E_clIPySD_S10_SD_EESH_SX_SI_SJ_SK_EUlSX_E_NS1_11comp_targetILNS1_3genE4ELNS1_11target_archE910ELNS1_3gpuE8ELNS1_3repE0EEENS1_48merge_mergepath_partition_config_static_selectorELNS0_4arch9wavefront6targetE1EEEvSJ_
                                        ; -- End function
	.set _ZN7rocprim17ROCPRIM_400000_NS6detail17trampoline_kernelINS0_14default_configENS1_38merge_sort_block_merge_config_selectorIyyEEZZNS1_27merge_sort_block_merge_implIS3_N6thrust23THRUST_200600_302600_NS6detail15normal_iteratorINS8_10device_ptrIyEEEESD_jNS1_19radix_merge_compareILb0ELb0EyNS0_19identity_decomposerEEEEE10hipError_tT0_T1_T2_jT3_P12ihipStream_tbPNSt15iterator_traitsISI_E10value_typeEPNSO_ISJ_E10value_typeEPSK_NS1_7vsmem_tEENKUlT_SI_SJ_SK_E_clIPySD_S10_SD_EESH_SX_SI_SJ_SK_EUlSX_E_NS1_11comp_targetILNS1_3genE4ELNS1_11target_archE910ELNS1_3gpuE8ELNS1_3repE0EEENS1_48merge_mergepath_partition_config_static_selectorELNS0_4arch9wavefront6targetE1EEEvSJ_.num_vgpr, 0
	.set _ZN7rocprim17ROCPRIM_400000_NS6detail17trampoline_kernelINS0_14default_configENS1_38merge_sort_block_merge_config_selectorIyyEEZZNS1_27merge_sort_block_merge_implIS3_N6thrust23THRUST_200600_302600_NS6detail15normal_iteratorINS8_10device_ptrIyEEEESD_jNS1_19radix_merge_compareILb0ELb0EyNS0_19identity_decomposerEEEEE10hipError_tT0_T1_T2_jT3_P12ihipStream_tbPNSt15iterator_traitsISI_E10value_typeEPNSO_ISJ_E10value_typeEPSK_NS1_7vsmem_tEENKUlT_SI_SJ_SK_E_clIPySD_S10_SD_EESH_SX_SI_SJ_SK_EUlSX_E_NS1_11comp_targetILNS1_3genE4ELNS1_11target_archE910ELNS1_3gpuE8ELNS1_3repE0EEENS1_48merge_mergepath_partition_config_static_selectorELNS0_4arch9wavefront6targetE1EEEvSJ_.num_agpr, 0
	.set _ZN7rocprim17ROCPRIM_400000_NS6detail17trampoline_kernelINS0_14default_configENS1_38merge_sort_block_merge_config_selectorIyyEEZZNS1_27merge_sort_block_merge_implIS3_N6thrust23THRUST_200600_302600_NS6detail15normal_iteratorINS8_10device_ptrIyEEEESD_jNS1_19radix_merge_compareILb0ELb0EyNS0_19identity_decomposerEEEEE10hipError_tT0_T1_T2_jT3_P12ihipStream_tbPNSt15iterator_traitsISI_E10value_typeEPNSO_ISJ_E10value_typeEPSK_NS1_7vsmem_tEENKUlT_SI_SJ_SK_E_clIPySD_S10_SD_EESH_SX_SI_SJ_SK_EUlSX_E_NS1_11comp_targetILNS1_3genE4ELNS1_11target_archE910ELNS1_3gpuE8ELNS1_3repE0EEENS1_48merge_mergepath_partition_config_static_selectorELNS0_4arch9wavefront6targetE1EEEvSJ_.numbered_sgpr, 0
	.set _ZN7rocprim17ROCPRIM_400000_NS6detail17trampoline_kernelINS0_14default_configENS1_38merge_sort_block_merge_config_selectorIyyEEZZNS1_27merge_sort_block_merge_implIS3_N6thrust23THRUST_200600_302600_NS6detail15normal_iteratorINS8_10device_ptrIyEEEESD_jNS1_19radix_merge_compareILb0ELb0EyNS0_19identity_decomposerEEEEE10hipError_tT0_T1_T2_jT3_P12ihipStream_tbPNSt15iterator_traitsISI_E10value_typeEPNSO_ISJ_E10value_typeEPSK_NS1_7vsmem_tEENKUlT_SI_SJ_SK_E_clIPySD_S10_SD_EESH_SX_SI_SJ_SK_EUlSX_E_NS1_11comp_targetILNS1_3genE4ELNS1_11target_archE910ELNS1_3gpuE8ELNS1_3repE0EEENS1_48merge_mergepath_partition_config_static_selectorELNS0_4arch9wavefront6targetE1EEEvSJ_.num_named_barrier, 0
	.set _ZN7rocprim17ROCPRIM_400000_NS6detail17trampoline_kernelINS0_14default_configENS1_38merge_sort_block_merge_config_selectorIyyEEZZNS1_27merge_sort_block_merge_implIS3_N6thrust23THRUST_200600_302600_NS6detail15normal_iteratorINS8_10device_ptrIyEEEESD_jNS1_19radix_merge_compareILb0ELb0EyNS0_19identity_decomposerEEEEE10hipError_tT0_T1_T2_jT3_P12ihipStream_tbPNSt15iterator_traitsISI_E10value_typeEPNSO_ISJ_E10value_typeEPSK_NS1_7vsmem_tEENKUlT_SI_SJ_SK_E_clIPySD_S10_SD_EESH_SX_SI_SJ_SK_EUlSX_E_NS1_11comp_targetILNS1_3genE4ELNS1_11target_archE910ELNS1_3gpuE8ELNS1_3repE0EEENS1_48merge_mergepath_partition_config_static_selectorELNS0_4arch9wavefront6targetE1EEEvSJ_.private_seg_size, 0
	.set _ZN7rocprim17ROCPRIM_400000_NS6detail17trampoline_kernelINS0_14default_configENS1_38merge_sort_block_merge_config_selectorIyyEEZZNS1_27merge_sort_block_merge_implIS3_N6thrust23THRUST_200600_302600_NS6detail15normal_iteratorINS8_10device_ptrIyEEEESD_jNS1_19radix_merge_compareILb0ELb0EyNS0_19identity_decomposerEEEEE10hipError_tT0_T1_T2_jT3_P12ihipStream_tbPNSt15iterator_traitsISI_E10value_typeEPNSO_ISJ_E10value_typeEPSK_NS1_7vsmem_tEENKUlT_SI_SJ_SK_E_clIPySD_S10_SD_EESH_SX_SI_SJ_SK_EUlSX_E_NS1_11comp_targetILNS1_3genE4ELNS1_11target_archE910ELNS1_3gpuE8ELNS1_3repE0EEENS1_48merge_mergepath_partition_config_static_selectorELNS0_4arch9wavefront6targetE1EEEvSJ_.uses_vcc, 0
	.set _ZN7rocprim17ROCPRIM_400000_NS6detail17trampoline_kernelINS0_14default_configENS1_38merge_sort_block_merge_config_selectorIyyEEZZNS1_27merge_sort_block_merge_implIS3_N6thrust23THRUST_200600_302600_NS6detail15normal_iteratorINS8_10device_ptrIyEEEESD_jNS1_19radix_merge_compareILb0ELb0EyNS0_19identity_decomposerEEEEE10hipError_tT0_T1_T2_jT3_P12ihipStream_tbPNSt15iterator_traitsISI_E10value_typeEPNSO_ISJ_E10value_typeEPSK_NS1_7vsmem_tEENKUlT_SI_SJ_SK_E_clIPySD_S10_SD_EESH_SX_SI_SJ_SK_EUlSX_E_NS1_11comp_targetILNS1_3genE4ELNS1_11target_archE910ELNS1_3gpuE8ELNS1_3repE0EEENS1_48merge_mergepath_partition_config_static_selectorELNS0_4arch9wavefront6targetE1EEEvSJ_.uses_flat_scratch, 0
	.set _ZN7rocprim17ROCPRIM_400000_NS6detail17trampoline_kernelINS0_14default_configENS1_38merge_sort_block_merge_config_selectorIyyEEZZNS1_27merge_sort_block_merge_implIS3_N6thrust23THRUST_200600_302600_NS6detail15normal_iteratorINS8_10device_ptrIyEEEESD_jNS1_19radix_merge_compareILb0ELb0EyNS0_19identity_decomposerEEEEE10hipError_tT0_T1_T2_jT3_P12ihipStream_tbPNSt15iterator_traitsISI_E10value_typeEPNSO_ISJ_E10value_typeEPSK_NS1_7vsmem_tEENKUlT_SI_SJ_SK_E_clIPySD_S10_SD_EESH_SX_SI_SJ_SK_EUlSX_E_NS1_11comp_targetILNS1_3genE4ELNS1_11target_archE910ELNS1_3gpuE8ELNS1_3repE0EEENS1_48merge_mergepath_partition_config_static_selectorELNS0_4arch9wavefront6targetE1EEEvSJ_.has_dyn_sized_stack, 0
	.set _ZN7rocprim17ROCPRIM_400000_NS6detail17trampoline_kernelINS0_14default_configENS1_38merge_sort_block_merge_config_selectorIyyEEZZNS1_27merge_sort_block_merge_implIS3_N6thrust23THRUST_200600_302600_NS6detail15normal_iteratorINS8_10device_ptrIyEEEESD_jNS1_19radix_merge_compareILb0ELb0EyNS0_19identity_decomposerEEEEE10hipError_tT0_T1_T2_jT3_P12ihipStream_tbPNSt15iterator_traitsISI_E10value_typeEPNSO_ISJ_E10value_typeEPSK_NS1_7vsmem_tEENKUlT_SI_SJ_SK_E_clIPySD_S10_SD_EESH_SX_SI_SJ_SK_EUlSX_E_NS1_11comp_targetILNS1_3genE4ELNS1_11target_archE910ELNS1_3gpuE8ELNS1_3repE0EEENS1_48merge_mergepath_partition_config_static_selectorELNS0_4arch9wavefront6targetE1EEEvSJ_.has_recursion, 0
	.set _ZN7rocprim17ROCPRIM_400000_NS6detail17trampoline_kernelINS0_14default_configENS1_38merge_sort_block_merge_config_selectorIyyEEZZNS1_27merge_sort_block_merge_implIS3_N6thrust23THRUST_200600_302600_NS6detail15normal_iteratorINS8_10device_ptrIyEEEESD_jNS1_19radix_merge_compareILb0ELb0EyNS0_19identity_decomposerEEEEE10hipError_tT0_T1_T2_jT3_P12ihipStream_tbPNSt15iterator_traitsISI_E10value_typeEPNSO_ISJ_E10value_typeEPSK_NS1_7vsmem_tEENKUlT_SI_SJ_SK_E_clIPySD_S10_SD_EESH_SX_SI_SJ_SK_EUlSX_E_NS1_11comp_targetILNS1_3genE4ELNS1_11target_archE910ELNS1_3gpuE8ELNS1_3repE0EEENS1_48merge_mergepath_partition_config_static_selectorELNS0_4arch9wavefront6targetE1EEEvSJ_.has_indirect_call, 0
	.section	.AMDGPU.csdata,"",@progbits
; Kernel info:
; codeLenInByte = 0
; TotalNumSgprs: 6
; NumVgprs: 0
; NumAgprs: 0
; TotalNumVgprs: 0
; ScratchSize: 0
; MemoryBound: 0
; FloatMode: 240
; IeeeMode: 1
; LDSByteSize: 0 bytes/workgroup (compile time only)
; SGPRBlocks: 0
; VGPRBlocks: 0
; NumSGPRsForWavesPerEU: 6
; NumVGPRsForWavesPerEU: 1
; AccumOffset: 4
; Occupancy: 8
; WaveLimiterHint : 0
; COMPUTE_PGM_RSRC2:SCRATCH_EN: 0
; COMPUTE_PGM_RSRC2:USER_SGPR: 2
; COMPUTE_PGM_RSRC2:TRAP_HANDLER: 0
; COMPUTE_PGM_RSRC2:TGID_X_EN: 1
; COMPUTE_PGM_RSRC2:TGID_Y_EN: 0
; COMPUTE_PGM_RSRC2:TGID_Z_EN: 0
; COMPUTE_PGM_RSRC2:TIDIG_COMP_CNT: 0
; COMPUTE_PGM_RSRC3_GFX90A:ACCUM_OFFSET: 0
; COMPUTE_PGM_RSRC3_GFX90A:TG_SPLIT: 0
	.section	.text._ZN7rocprim17ROCPRIM_400000_NS6detail17trampoline_kernelINS0_14default_configENS1_38merge_sort_block_merge_config_selectorIyyEEZZNS1_27merge_sort_block_merge_implIS3_N6thrust23THRUST_200600_302600_NS6detail15normal_iteratorINS8_10device_ptrIyEEEESD_jNS1_19radix_merge_compareILb0ELb0EyNS0_19identity_decomposerEEEEE10hipError_tT0_T1_T2_jT3_P12ihipStream_tbPNSt15iterator_traitsISI_E10value_typeEPNSO_ISJ_E10value_typeEPSK_NS1_7vsmem_tEENKUlT_SI_SJ_SK_E_clIPySD_S10_SD_EESH_SX_SI_SJ_SK_EUlSX_E_NS1_11comp_targetILNS1_3genE3ELNS1_11target_archE908ELNS1_3gpuE7ELNS1_3repE0EEENS1_48merge_mergepath_partition_config_static_selectorELNS0_4arch9wavefront6targetE1EEEvSJ_,"axG",@progbits,_ZN7rocprim17ROCPRIM_400000_NS6detail17trampoline_kernelINS0_14default_configENS1_38merge_sort_block_merge_config_selectorIyyEEZZNS1_27merge_sort_block_merge_implIS3_N6thrust23THRUST_200600_302600_NS6detail15normal_iteratorINS8_10device_ptrIyEEEESD_jNS1_19radix_merge_compareILb0ELb0EyNS0_19identity_decomposerEEEEE10hipError_tT0_T1_T2_jT3_P12ihipStream_tbPNSt15iterator_traitsISI_E10value_typeEPNSO_ISJ_E10value_typeEPSK_NS1_7vsmem_tEENKUlT_SI_SJ_SK_E_clIPySD_S10_SD_EESH_SX_SI_SJ_SK_EUlSX_E_NS1_11comp_targetILNS1_3genE3ELNS1_11target_archE908ELNS1_3gpuE7ELNS1_3repE0EEENS1_48merge_mergepath_partition_config_static_selectorELNS0_4arch9wavefront6targetE1EEEvSJ_,comdat
	.protected	_ZN7rocprim17ROCPRIM_400000_NS6detail17trampoline_kernelINS0_14default_configENS1_38merge_sort_block_merge_config_selectorIyyEEZZNS1_27merge_sort_block_merge_implIS3_N6thrust23THRUST_200600_302600_NS6detail15normal_iteratorINS8_10device_ptrIyEEEESD_jNS1_19radix_merge_compareILb0ELb0EyNS0_19identity_decomposerEEEEE10hipError_tT0_T1_T2_jT3_P12ihipStream_tbPNSt15iterator_traitsISI_E10value_typeEPNSO_ISJ_E10value_typeEPSK_NS1_7vsmem_tEENKUlT_SI_SJ_SK_E_clIPySD_S10_SD_EESH_SX_SI_SJ_SK_EUlSX_E_NS1_11comp_targetILNS1_3genE3ELNS1_11target_archE908ELNS1_3gpuE7ELNS1_3repE0EEENS1_48merge_mergepath_partition_config_static_selectorELNS0_4arch9wavefront6targetE1EEEvSJ_ ; -- Begin function _ZN7rocprim17ROCPRIM_400000_NS6detail17trampoline_kernelINS0_14default_configENS1_38merge_sort_block_merge_config_selectorIyyEEZZNS1_27merge_sort_block_merge_implIS3_N6thrust23THRUST_200600_302600_NS6detail15normal_iteratorINS8_10device_ptrIyEEEESD_jNS1_19radix_merge_compareILb0ELb0EyNS0_19identity_decomposerEEEEE10hipError_tT0_T1_T2_jT3_P12ihipStream_tbPNSt15iterator_traitsISI_E10value_typeEPNSO_ISJ_E10value_typeEPSK_NS1_7vsmem_tEENKUlT_SI_SJ_SK_E_clIPySD_S10_SD_EESH_SX_SI_SJ_SK_EUlSX_E_NS1_11comp_targetILNS1_3genE3ELNS1_11target_archE908ELNS1_3gpuE7ELNS1_3repE0EEENS1_48merge_mergepath_partition_config_static_selectorELNS0_4arch9wavefront6targetE1EEEvSJ_
	.globl	_ZN7rocprim17ROCPRIM_400000_NS6detail17trampoline_kernelINS0_14default_configENS1_38merge_sort_block_merge_config_selectorIyyEEZZNS1_27merge_sort_block_merge_implIS3_N6thrust23THRUST_200600_302600_NS6detail15normal_iteratorINS8_10device_ptrIyEEEESD_jNS1_19radix_merge_compareILb0ELb0EyNS0_19identity_decomposerEEEEE10hipError_tT0_T1_T2_jT3_P12ihipStream_tbPNSt15iterator_traitsISI_E10value_typeEPNSO_ISJ_E10value_typeEPSK_NS1_7vsmem_tEENKUlT_SI_SJ_SK_E_clIPySD_S10_SD_EESH_SX_SI_SJ_SK_EUlSX_E_NS1_11comp_targetILNS1_3genE3ELNS1_11target_archE908ELNS1_3gpuE7ELNS1_3repE0EEENS1_48merge_mergepath_partition_config_static_selectorELNS0_4arch9wavefront6targetE1EEEvSJ_
	.p2align	8
	.type	_ZN7rocprim17ROCPRIM_400000_NS6detail17trampoline_kernelINS0_14default_configENS1_38merge_sort_block_merge_config_selectorIyyEEZZNS1_27merge_sort_block_merge_implIS3_N6thrust23THRUST_200600_302600_NS6detail15normal_iteratorINS8_10device_ptrIyEEEESD_jNS1_19radix_merge_compareILb0ELb0EyNS0_19identity_decomposerEEEEE10hipError_tT0_T1_T2_jT3_P12ihipStream_tbPNSt15iterator_traitsISI_E10value_typeEPNSO_ISJ_E10value_typeEPSK_NS1_7vsmem_tEENKUlT_SI_SJ_SK_E_clIPySD_S10_SD_EESH_SX_SI_SJ_SK_EUlSX_E_NS1_11comp_targetILNS1_3genE3ELNS1_11target_archE908ELNS1_3gpuE7ELNS1_3repE0EEENS1_48merge_mergepath_partition_config_static_selectorELNS0_4arch9wavefront6targetE1EEEvSJ_,@function
_ZN7rocprim17ROCPRIM_400000_NS6detail17trampoline_kernelINS0_14default_configENS1_38merge_sort_block_merge_config_selectorIyyEEZZNS1_27merge_sort_block_merge_implIS3_N6thrust23THRUST_200600_302600_NS6detail15normal_iteratorINS8_10device_ptrIyEEEESD_jNS1_19radix_merge_compareILb0ELb0EyNS0_19identity_decomposerEEEEE10hipError_tT0_T1_T2_jT3_P12ihipStream_tbPNSt15iterator_traitsISI_E10value_typeEPNSO_ISJ_E10value_typeEPSK_NS1_7vsmem_tEENKUlT_SI_SJ_SK_E_clIPySD_S10_SD_EESH_SX_SI_SJ_SK_EUlSX_E_NS1_11comp_targetILNS1_3genE3ELNS1_11target_archE908ELNS1_3gpuE7ELNS1_3repE0EEENS1_48merge_mergepath_partition_config_static_selectorELNS0_4arch9wavefront6targetE1EEEvSJ_: ; @_ZN7rocprim17ROCPRIM_400000_NS6detail17trampoline_kernelINS0_14default_configENS1_38merge_sort_block_merge_config_selectorIyyEEZZNS1_27merge_sort_block_merge_implIS3_N6thrust23THRUST_200600_302600_NS6detail15normal_iteratorINS8_10device_ptrIyEEEESD_jNS1_19radix_merge_compareILb0ELb0EyNS0_19identity_decomposerEEEEE10hipError_tT0_T1_T2_jT3_P12ihipStream_tbPNSt15iterator_traitsISI_E10value_typeEPNSO_ISJ_E10value_typeEPSK_NS1_7vsmem_tEENKUlT_SI_SJ_SK_E_clIPySD_S10_SD_EESH_SX_SI_SJ_SK_EUlSX_E_NS1_11comp_targetILNS1_3genE3ELNS1_11target_archE908ELNS1_3gpuE7ELNS1_3repE0EEENS1_48merge_mergepath_partition_config_static_selectorELNS0_4arch9wavefront6targetE1EEEvSJ_
; %bb.0:
	.section	.rodata,"a",@progbits
	.p2align	6, 0x0
	.amdhsa_kernel _ZN7rocprim17ROCPRIM_400000_NS6detail17trampoline_kernelINS0_14default_configENS1_38merge_sort_block_merge_config_selectorIyyEEZZNS1_27merge_sort_block_merge_implIS3_N6thrust23THRUST_200600_302600_NS6detail15normal_iteratorINS8_10device_ptrIyEEEESD_jNS1_19radix_merge_compareILb0ELb0EyNS0_19identity_decomposerEEEEE10hipError_tT0_T1_T2_jT3_P12ihipStream_tbPNSt15iterator_traitsISI_E10value_typeEPNSO_ISJ_E10value_typeEPSK_NS1_7vsmem_tEENKUlT_SI_SJ_SK_E_clIPySD_S10_SD_EESH_SX_SI_SJ_SK_EUlSX_E_NS1_11comp_targetILNS1_3genE3ELNS1_11target_archE908ELNS1_3gpuE7ELNS1_3repE0EEENS1_48merge_mergepath_partition_config_static_selectorELNS0_4arch9wavefront6targetE1EEEvSJ_
		.amdhsa_group_segment_fixed_size 0
		.amdhsa_private_segment_fixed_size 0
		.amdhsa_kernarg_size 40
		.amdhsa_user_sgpr_count 2
		.amdhsa_user_sgpr_dispatch_ptr 0
		.amdhsa_user_sgpr_queue_ptr 0
		.amdhsa_user_sgpr_kernarg_segment_ptr 1
		.amdhsa_user_sgpr_dispatch_id 0
		.amdhsa_user_sgpr_kernarg_preload_length 0
		.amdhsa_user_sgpr_kernarg_preload_offset 0
		.amdhsa_user_sgpr_private_segment_size 0
		.amdhsa_uses_dynamic_stack 0
		.amdhsa_enable_private_segment 0
		.amdhsa_system_sgpr_workgroup_id_x 1
		.amdhsa_system_sgpr_workgroup_id_y 0
		.amdhsa_system_sgpr_workgroup_id_z 0
		.amdhsa_system_sgpr_workgroup_info 0
		.amdhsa_system_vgpr_workitem_id 0
		.amdhsa_next_free_vgpr 1
		.amdhsa_next_free_sgpr 0
		.amdhsa_accum_offset 4
		.amdhsa_reserve_vcc 0
		.amdhsa_float_round_mode_32 0
		.amdhsa_float_round_mode_16_64 0
		.amdhsa_float_denorm_mode_32 3
		.amdhsa_float_denorm_mode_16_64 3
		.amdhsa_dx10_clamp 1
		.amdhsa_ieee_mode 1
		.amdhsa_fp16_overflow 0
		.amdhsa_tg_split 0
		.amdhsa_exception_fp_ieee_invalid_op 0
		.amdhsa_exception_fp_denorm_src 0
		.amdhsa_exception_fp_ieee_div_zero 0
		.amdhsa_exception_fp_ieee_overflow 0
		.amdhsa_exception_fp_ieee_underflow 0
		.amdhsa_exception_fp_ieee_inexact 0
		.amdhsa_exception_int_div_zero 0
	.end_amdhsa_kernel
	.section	.text._ZN7rocprim17ROCPRIM_400000_NS6detail17trampoline_kernelINS0_14default_configENS1_38merge_sort_block_merge_config_selectorIyyEEZZNS1_27merge_sort_block_merge_implIS3_N6thrust23THRUST_200600_302600_NS6detail15normal_iteratorINS8_10device_ptrIyEEEESD_jNS1_19radix_merge_compareILb0ELb0EyNS0_19identity_decomposerEEEEE10hipError_tT0_T1_T2_jT3_P12ihipStream_tbPNSt15iterator_traitsISI_E10value_typeEPNSO_ISJ_E10value_typeEPSK_NS1_7vsmem_tEENKUlT_SI_SJ_SK_E_clIPySD_S10_SD_EESH_SX_SI_SJ_SK_EUlSX_E_NS1_11comp_targetILNS1_3genE3ELNS1_11target_archE908ELNS1_3gpuE7ELNS1_3repE0EEENS1_48merge_mergepath_partition_config_static_selectorELNS0_4arch9wavefront6targetE1EEEvSJ_,"axG",@progbits,_ZN7rocprim17ROCPRIM_400000_NS6detail17trampoline_kernelINS0_14default_configENS1_38merge_sort_block_merge_config_selectorIyyEEZZNS1_27merge_sort_block_merge_implIS3_N6thrust23THRUST_200600_302600_NS6detail15normal_iteratorINS8_10device_ptrIyEEEESD_jNS1_19radix_merge_compareILb0ELb0EyNS0_19identity_decomposerEEEEE10hipError_tT0_T1_T2_jT3_P12ihipStream_tbPNSt15iterator_traitsISI_E10value_typeEPNSO_ISJ_E10value_typeEPSK_NS1_7vsmem_tEENKUlT_SI_SJ_SK_E_clIPySD_S10_SD_EESH_SX_SI_SJ_SK_EUlSX_E_NS1_11comp_targetILNS1_3genE3ELNS1_11target_archE908ELNS1_3gpuE7ELNS1_3repE0EEENS1_48merge_mergepath_partition_config_static_selectorELNS0_4arch9wavefront6targetE1EEEvSJ_,comdat
.Lfunc_end400:
	.size	_ZN7rocprim17ROCPRIM_400000_NS6detail17trampoline_kernelINS0_14default_configENS1_38merge_sort_block_merge_config_selectorIyyEEZZNS1_27merge_sort_block_merge_implIS3_N6thrust23THRUST_200600_302600_NS6detail15normal_iteratorINS8_10device_ptrIyEEEESD_jNS1_19radix_merge_compareILb0ELb0EyNS0_19identity_decomposerEEEEE10hipError_tT0_T1_T2_jT3_P12ihipStream_tbPNSt15iterator_traitsISI_E10value_typeEPNSO_ISJ_E10value_typeEPSK_NS1_7vsmem_tEENKUlT_SI_SJ_SK_E_clIPySD_S10_SD_EESH_SX_SI_SJ_SK_EUlSX_E_NS1_11comp_targetILNS1_3genE3ELNS1_11target_archE908ELNS1_3gpuE7ELNS1_3repE0EEENS1_48merge_mergepath_partition_config_static_selectorELNS0_4arch9wavefront6targetE1EEEvSJ_, .Lfunc_end400-_ZN7rocprim17ROCPRIM_400000_NS6detail17trampoline_kernelINS0_14default_configENS1_38merge_sort_block_merge_config_selectorIyyEEZZNS1_27merge_sort_block_merge_implIS3_N6thrust23THRUST_200600_302600_NS6detail15normal_iteratorINS8_10device_ptrIyEEEESD_jNS1_19radix_merge_compareILb0ELb0EyNS0_19identity_decomposerEEEEE10hipError_tT0_T1_T2_jT3_P12ihipStream_tbPNSt15iterator_traitsISI_E10value_typeEPNSO_ISJ_E10value_typeEPSK_NS1_7vsmem_tEENKUlT_SI_SJ_SK_E_clIPySD_S10_SD_EESH_SX_SI_SJ_SK_EUlSX_E_NS1_11comp_targetILNS1_3genE3ELNS1_11target_archE908ELNS1_3gpuE7ELNS1_3repE0EEENS1_48merge_mergepath_partition_config_static_selectorELNS0_4arch9wavefront6targetE1EEEvSJ_
                                        ; -- End function
	.set _ZN7rocprim17ROCPRIM_400000_NS6detail17trampoline_kernelINS0_14default_configENS1_38merge_sort_block_merge_config_selectorIyyEEZZNS1_27merge_sort_block_merge_implIS3_N6thrust23THRUST_200600_302600_NS6detail15normal_iteratorINS8_10device_ptrIyEEEESD_jNS1_19radix_merge_compareILb0ELb0EyNS0_19identity_decomposerEEEEE10hipError_tT0_T1_T2_jT3_P12ihipStream_tbPNSt15iterator_traitsISI_E10value_typeEPNSO_ISJ_E10value_typeEPSK_NS1_7vsmem_tEENKUlT_SI_SJ_SK_E_clIPySD_S10_SD_EESH_SX_SI_SJ_SK_EUlSX_E_NS1_11comp_targetILNS1_3genE3ELNS1_11target_archE908ELNS1_3gpuE7ELNS1_3repE0EEENS1_48merge_mergepath_partition_config_static_selectorELNS0_4arch9wavefront6targetE1EEEvSJ_.num_vgpr, 0
	.set _ZN7rocprim17ROCPRIM_400000_NS6detail17trampoline_kernelINS0_14default_configENS1_38merge_sort_block_merge_config_selectorIyyEEZZNS1_27merge_sort_block_merge_implIS3_N6thrust23THRUST_200600_302600_NS6detail15normal_iteratorINS8_10device_ptrIyEEEESD_jNS1_19radix_merge_compareILb0ELb0EyNS0_19identity_decomposerEEEEE10hipError_tT0_T1_T2_jT3_P12ihipStream_tbPNSt15iterator_traitsISI_E10value_typeEPNSO_ISJ_E10value_typeEPSK_NS1_7vsmem_tEENKUlT_SI_SJ_SK_E_clIPySD_S10_SD_EESH_SX_SI_SJ_SK_EUlSX_E_NS1_11comp_targetILNS1_3genE3ELNS1_11target_archE908ELNS1_3gpuE7ELNS1_3repE0EEENS1_48merge_mergepath_partition_config_static_selectorELNS0_4arch9wavefront6targetE1EEEvSJ_.num_agpr, 0
	.set _ZN7rocprim17ROCPRIM_400000_NS6detail17trampoline_kernelINS0_14default_configENS1_38merge_sort_block_merge_config_selectorIyyEEZZNS1_27merge_sort_block_merge_implIS3_N6thrust23THRUST_200600_302600_NS6detail15normal_iteratorINS8_10device_ptrIyEEEESD_jNS1_19radix_merge_compareILb0ELb0EyNS0_19identity_decomposerEEEEE10hipError_tT0_T1_T2_jT3_P12ihipStream_tbPNSt15iterator_traitsISI_E10value_typeEPNSO_ISJ_E10value_typeEPSK_NS1_7vsmem_tEENKUlT_SI_SJ_SK_E_clIPySD_S10_SD_EESH_SX_SI_SJ_SK_EUlSX_E_NS1_11comp_targetILNS1_3genE3ELNS1_11target_archE908ELNS1_3gpuE7ELNS1_3repE0EEENS1_48merge_mergepath_partition_config_static_selectorELNS0_4arch9wavefront6targetE1EEEvSJ_.numbered_sgpr, 0
	.set _ZN7rocprim17ROCPRIM_400000_NS6detail17trampoline_kernelINS0_14default_configENS1_38merge_sort_block_merge_config_selectorIyyEEZZNS1_27merge_sort_block_merge_implIS3_N6thrust23THRUST_200600_302600_NS6detail15normal_iteratorINS8_10device_ptrIyEEEESD_jNS1_19radix_merge_compareILb0ELb0EyNS0_19identity_decomposerEEEEE10hipError_tT0_T1_T2_jT3_P12ihipStream_tbPNSt15iterator_traitsISI_E10value_typeEPNSO_ISJ_E10value_typeEPSK_NS1_7vsmem_tEENKUlT_SI_SJ_SK_E_clIPySD_S10_SD_EESH_SX_SI_SJ_SK_EUlSX_E_NS1_11comp_targetILNS1_3genE3ELNS1_11target_archE908ELNS1_3gpuE7ELNS1_3repE0EEENS1_48merge_mergepath_partition_config_static_selectorELNS0_4arch9wavefront6targetE1EEEvSJ_.num_named_barrier, 0
	.set _ZN7rocprim17ROCPRIM_400000_NS6detail17trampoline_kernelINS0_14default_configENS1_38merge_sort_block_merge_config_selectorIyyEEZZNS1_27merge_sort_block_merge_implIS3_N6thrust23THRUST_200600_302600_NS6detail15normal_iteratorINS8_10device_ptrIyEEEESD_jNS1_19radix_merge_compareILb0ELb0EyNS0_19identity_decomposerEEEEE10hipError_tT0_T1_T2_jT3_P12ihipStream_tbPNSt15iterator_traitsISI_E10value_typeEPNSO_ISJ_E10value_typeEPSK_NS1_7vsmem_tEENKUlT_SI_SJ_SK_E_clIPySD_S10_SD_EESH_SX_SI_SJ_SK_EUlSX_E_NS1_11comp_targetILNS1_3genE3ELNS1_11target_archE908ELNS1_3gpuE7ELNS1_3repE0EEENS1_48merge_mergepath_partition_config_static_selectorELNS0_4arch9wavefront6targetE1EEEvSJ_.private_seg_size, 0
	.set _ZN7rocprim17ROCPRIM_400000_NS6detail17trampoline_kernelINS0_14default_configENS1_38merge_sort_block_merge_config_selectorIyyEEZZNS1_27merge_sort_block_merge_implIS3_N6thrust23THRUST_200600_302600_NS6detail15normal_iteratorINS8_10device_ptrIyEEEESD_jNS1_19radix_merge_compareILb0ELb0EyNS0_19identity_decomposerEEEEE10hipError_tT0_T1_T2_jT3_P12ihipStream_tbPNSt15iterator_traitsISI_E10value_typeEPNSO_ISJ_E10value_typeEPSK_NS1_7vsmem_tEENKUlT_SI_SJ_SK_E_clIPySD_S10_SD_EESH_SX_SI_SJ_SK_EUlSX_E_NS1_11comp_targetILNS1_3genE3ELNS1_11target_archE908ELNS1_3gpuE7ELNS1_3repE0EEENS1_48merge_mergepath_partition_config_static_selectorELNS0_4arch9wavefront6targetE1EEEvSJ_.uses_vcc, 0
	.set _ZN7rocprim17ROCPRIM_400000_NS6detail17trampoline_kernelINS0_14default_configENS1_38merge_sort_block_merge_config_selectorIyyEEZZNS1_27merge_sort_block_merge_implIS3_N6thrust23THRUST_200600_302600_NS6detail15normal_iteratorINS8_10device_ptrIyEEEESD_jNS1_19radix_merge_compareILb0ELb0EyNS0_19identity_decomposerEEEEE10hipError_tT0_T1_T2_jT3_P12ihipStream_tbPNSt15iterator_traitsISI_E10value_typeEPNSO_ISJ_E10value_typeEPSK_NS1_7vsmem_tEENKUlT_SI_SJ_SK_E_clIPySD_S10_SD_EESH_SX_SI_SJ_SK_EUlSX_E_NS1_11comp_targetILNS1_3genE3ELNS1_11target_archE908ELNS1_3gpuE7ELNS1_3repE0EEENS1_48merge_mergepath_partition_config_static_selectorELNS0_4arch9wavefront6targetE1EEEvSJ_.uses_flat_scratch, 0
	.set _ZN7rocprim17ROCPRIM_400000_NS6detail17trampoline_kernelINS0_14default_configENS1_38merge_sort_block_merge_config_selectorIyyEEZZNS1_27merge_sort_block_merge_implIS3_N6thrust23THRUST_200600_302600_NS6detail15normal_iteratorINS8_10device_ptrIyEEEESD_jNS1_19radix_merge_compareILb0ELb0EyNS0_19identity_decomposerEEEEE10hipError_tT0_T1_T2_jT3_P12ihipStream_tbPNSt15iterator_traitsISI_E10value_typeEPNSO_ISJ_E10value_typeEPSK_NS1_7vsmem_tEENKUlT_SI_SJ_SK_E_clIPySD_S10_SD_EESH_SX_SI_SJ_SK_EUlSX_E_NS1_11comp_targetILNS1_3genE3ELNS1_11target_archE908ELNS1_3gpuE7ELNS1_3repE0EEENS1_48merge_mergepath_partition_config_static_selectorELNS0_4arch9wavefront6targetE1EEEvSJ_.has_dyn_sized_stack, 0
	.set _ZN7rocprim17ROCPRIM_400000_NS6detail17trampoline_kernelINS0_14default_configENS1_38merge_sort_block_merge_config_selectorIyyEEZZNS1_27merge_sort_block_merge_implIS3_N6thrust23THRUST_200600_302600_NS6detail15normal_iteratorINS8_10device_ptrIyEEEESD_jNS1_19radix_merge_compareILb0ELb0EyNS0_19identity_decomposerEEEEE10hipError_tT0_T1_T2_jT3_P12ihipStream_tbPNSt15iterator_traitsISI_E10value_typeEPNSO_ISJ_E10value_typeEPSK_NS1_7vsmem_tEENKUlT_SI_SJ_SK_E_clIPySD_S10_SD_EESH_SX_SI_SJ_SK_EUlSX_E_NS1_11comp_targetILNS1_3genE3ELNS1_11target_archE908ELNS1_3gpuE7ELNS1_3repE0EEENS1_48merge_mergepath_partition_config_static_selectorELNS0_4arch9wavefront6targetE1EEEvSJ_.has_recursion, 0
	.set _ZN7rocprim17ROCPRIM_400000_NS6detail17trampoline_kernelINS0_14default_configENS1_38merge_sort_block_merge_config_selectorIyyEEZZNS1_27merge_sort_block_merge_implIS3_N6thrust23THRUST_200600_302600_NS6detail15normal_iteratorINS8_10device_ptrIyEEEESD_jNS1_19radix_merge_compareILb0ELb0EyNS0_19identity_decomposerEEEEE10hipError_tT0_T1_T2_jT3_P12ihipStream_tbPNSt15iterator_traitsISI_E10value_typeEPNSO_ISJ_E10value_typeEPSK_NS1_7vsmem_tEENKUlT_SI_SJ_SK_E_clIPySD_S10_SD_EESH_SX_SI_SJ_SK_EUlSX_E_NS1_11comp_targetILNS1_3genE3ELNS1_11target_archE908ELNS1_3gpuE7ELNS1_3repE0EEENS1_48merge_mergepath_partition_config_static_selectorELNS0_4arch9wavefront6targetE1EEEvSJ_.has_indirect_call, 0
	.section	.AMDGPU.csdata,"",@progbits
; Kernel info:
; codeLenInByte = 0
; TotalNumSgprs: 6
; NumVgprs: 0
; NumAgprs: 0
; TotalNumVgprs: 0
; ScratchSize: 0
; MemoryBound: 0
; FloatMode: 240
; IeeeMode: 1
; LDSByteSize: 0 bytes/workgroup (compile time only)
; SGPRBlocks: 0
; VGPRBlocks: 0
; NumSGPRsForWavesPerEU: 6
; NumVGPRsForWavesPerEU: 1
; AccumOffset: 4
; Occupancy: 8
; WaveLimiterHint : 0
; COMPUTE_PGM_RSRC2:SCRATCH_EN: 0
; COMPUTE_PGM_RSRC2:USER_SGPR: 2
; COMPUTE_PGM_RSRC2:TRAP_HANDLER: 0
; COMPUTE_PGM_RSRC2:TGID_X_EN: 1
; COMPUTE_PGM_RSRC2:TGID_Y_EN: 0
; COMPUTE_PGM_RSRC2:TGID_Z_EN: 0
; COMPUTE_PGM_RSRC2:TIDIG_COMP_CNT: 0
; COMPUTE_PGM_RSRC3_GFX90A:ACCUM_OFFSET: 0
; COMPUTE_PGM_RSRC3_GFX90A:TG_SPLIT: 0
	.section	.text._ZN7rocprim17ROCPRIM_400000_NS6detail17trampoline_kernelINS0_14default_configENS1_38merge_sort_block_merge_config_selectorIyyEEZZNS1_27merge_sort_block_merge_implIS3_N6thrust23THRUST_200600_302600_NS6detail15normal_iteratorINS8_10device_ptrIyEEEESD_jNS1_19radix_merge_compareILb0ELb0EyNS0_19identity_decomposerEEEEE10hipError_tT0_T1_T2_jT3_P12ihipStream_tbPNSt15iterator_traitsISI_E10value_typeEPNSO_ISJ_E10value_typeEPSK_NS1_7vsmem_tEENKUlT_SI_SJ_SK_E_clIPySD_S10_SD_EESH_SX_SI_SJ_SK_EUlSX_E_NS1_11comp_targetILNS1_3genE2ELNS1_11target_archE906ELNS1_3gpuE6ELNS1_3repE0EEENS1_48merge_mergepath_partition_config_static_selectorELNS0_4arch9wavefront6targetE1EEEvSJ_,"axG",@progbits,_ZN7rocprim17ROCPRIM_400000_NS6detail17trampoline_kernelINS0_14default_configENS1_38merge_sort_block_merge_config_selectorIyyEEZZNS1_27merge_sort_block_merge_implIS3_N6thrust23THRUST_200600_302600_NS6detail15normal_iteratorINS8_10device_ptrIyEEEESD_jNS1_19radix_merge_compareILb0ELb0EyNS0_19identity_decomposerEEEEE10hipError_tT0_T1_T2_jT3_P12ihipStream_tbPNSt15iterator_traitsISI_E10value_typeEPNSO_ISJ_E10value_typeEPSK_NS1_7vsmem_tEENKUlT_SI_SJ_SK_E_clIPySD_S10_SD_EESH_SX_SI_SJ_SK_EUlSX_E_NS1_11comp_targetILNS1_3genE2ELNS1_11target_archE906ELNS1_3gpuE6ELNS1_3repE0EEENS1_48merge_mergepath_partition_config_static_selectorELNS0_4arch9wavefront6targetE1EEEvSJ_,comdat
	.protected	_ZN7rocprim17ROCPRIM_400000_NS6detail17trampoline_kernelINS0_14default_configENS1_38merge_sort_block_merge_config_selectorIyyEEZZNS1_27merge_sort_block_merge_implIS3_N6thrust23THRUST_200600_302600_NS6detail15normal_iteratorINS8_10device_ptrIyEEEESD_jNS1_19radix_merge_compareILb0ELb0EyNS0_19identity_decomposerEEEEE10hipError_tT0_T1_T2_jT3_P12ihipStream_tbPNSt15iterator_traitsISI_E10value_typeEPNSO_ISJ_E10value_typeEPSK_NS1_7vsmem_tEENKUlT_SI_SJ_SK_E_clIPySD_S10_SD_EESH_SX_SI_SJ_SK_EUlSX_E_NS1_11comp_targetILNS1_3genE2ELNS1_11target_archE906ELNS1_3gpuE6ELNS1_3repE0EEENS1_48merge_mergepath_partition_config_static_selectorELNS0_4arch9wavefront6targetE1EEEvSJ_ ; -- Begin function _ZN7rocprim17ROCPRIM_400000_NS6detail17trampoline_kernelINS0_14default_configENS1_38merge_sort_block_merge_config_selectorIyyEEZZNS1_27merge_sort_block_merge_implIS3_N6thrust23THRUST_200600_302600_NS6detail15normal_iteratorINS8_10device_ptrIyEEEESD_jNS1_19radix_merge_compareILb0ELb0EyNS0_19identity_decomposerEEEEE10hipError_tT0_T1_T2_jT3_P12ihipStream_tbPNSt15iterator_traitsISI_E10value_typeEPNSO_ISJ_E10value_typeEPSK_NS1_7vsmem_tEENKUlT_SI_SJ_SK_E_clIPySD_S10_SD_EESH_SX_SI_SJ_SK_EUlSX_E_NS1_11comp_targetILNS1_3genE2ELNS1_11target_archE906ELNS1_3gpuE6ELNS1_3repE0EEENS1_48merge_mergepath_partition_config_static_selectorELNS0_4arch9wavefront6targetE1EEEvSJ_
	.globl	_ZN7rocprim17ROCPRIM_400000_NS6detail17trampoline_kernelINS0_14default_configENS1_38merge_sort_block_merge_config_selectorIyyEEZZNS1_27merge_sort_block_merge_implIS3_N6thrust23THRUST_200600_302600_NS6detail15normal_iteratorINS8_10device_ptrIyEEEESD_jNS1_19radix_merge_compareILb0ELb0EyNS0_19identity_decomposerEEEEE10hipError_tT0_T1_T2_jT3_P12ihipStream_tbPNSt15iterator_traitsISI_E10value_typeEPNSO_ISJ_E10value_typeEPSK_NS1_7vsmem_tEENKUlT_SI_SJ_SK_E_clIPySD_S10_SD_EESH_SX_SI_SJ_SK_EUlSX_E_NS1_11comp_targetILNS1_3genE2ELNS1_11target_archE906ELNS1_3gpuE6ELNS1_3repE0EEENS1_48merge_mergepath_partition_config_static_selectorELNS0_4arch9wavefront6targetE1EEEvSJ_
	.p2align	8
	.type	_ZN7rocprim17ROCPRIM_400000_NS6detail17trampoline_kernelINS0_14default_configENS1_38merge_sort_block_merge_config_selectorIyyEEZZNS1_27merge_sort_block_merge_implIS3_N6thrust23THRUST_200600_302600_NS6detail15normal_iteratorINS8_10device_ptrIyEEEESD_jNS1_19radix_merge_compareILb0ELb0EyNS0_19identity_decomposerEEEEE10hipError_tT0_T1_T2_jT3_P12ihipStream_tbPNSt15iterator_traitsISI_E10value_typeEPNSO_ISJ_E10value_typeEPSK_NS1_7vsmem_tEENKUlT_SI_SJ_SK_E_clIPySD_S10_SD_EESH_SX_SI_SJ_SK_EUlSX_E_NS1_11comp_targetILNS1_3genE2ELNS1_11target_archE906ELNS1_3gpuE6ELNS1_3repE0EEENS1_48merge_mergepath_partition_config_static_selectorELNS0_4arch9wavefront6targetE1EEEvSJ_,@function
_ZN7rocprim17ROCPRIM_400000_NS6detail17trampoline_kernelINS0_14default_configENS1_38merge_sort_block_merge_config_selectorIyyEEZZNS1_27merge_sort_block_merge_implIS3_N6thrust23THRUST_200600_302600_NS6detail15normal_iteratorINS8_10device_ptrIyEEEESD_jNS1_19radix_merge_compareILb0ELb0EyNS0_19identity_decomposerEEEEE10hipError_tT0_T1_T2_jT3_P12ihipStream_tbPNSt15iterator_traitsISI_E10value_typeEPNSO_ISJ_E10value_typeEPSK_NS1_7vsmem_tEENKUlT_SI_SJ_SK_E_clIPySD_S10_SD_EESH_SX_SI_SJ_SK_EUlSX_E_NS1_11comp_targetILNS1_3genE2ELNS1_11target_archE906ELNS1_3gpuE6ELNS1_3repE0EEENS1_48merge_mergepath_partition_config_static_selectorELNS0_4arch9wavefront6targetE1EEEvSJ_: ; @_ZN7rocprim17ROCPRIM_400000_NS6detail17trampoline_kernelINS0_14default_configENS1_38merge_sort_block_merge_config_selectorIyyEEZZNS1_27merge_sort_block_merge_implIS3_N6thrust23THRUST_200600_302600_NS6detail15normal_iteratorINS8_10device_ptrIyEEEESD_jNS1_19radix_merge_compareILb0ELb0EyNS0_19identity_decomposerEEEEE10hipError_tT0_T1_T2_jT3_P12ihipStream_tbPNSt15iterator_traitsISI_E10value_typeEPNSO_ISJ_E10value_typeEPSK_NS1_7vsmem_tEENKUlT_SI_SJ_SK_E_clIPySD_S10_SD_EESH_SX_SI_SJ_SK_EUlSX_E_NS1_11comp_targetILNS1_3genE2ELNS1_11target_archE906ELNS1_3gpuE6ELNS1_3repE0EEENS1_48merge_mergepath_partition_config_static_selectorELNS0_4arch9wavefront6targetE1EEEvSJ_
; %bb.0:
	.section	.rodata,"a",@progbits
	.p2align	6, 0x0
	.amdhsa_kernel _ZN7rocprim17ROCPRIM_400000_NS6detail17trampoline_kernelINS0_14default_configENS1_38merge_sort_block_merge_config_selectorIyyEEZZNS1_27merge_sort_block_merge_implIS3_N6thrust23THRUST_200600_302600_NS6detail15normal_iteratorINS8_10device_ptrIyEEEESD_jNS1_19radix_merge_compareILb0ELb0EyNS0_19identity_decomposerEEEEE10hipError_tT0_T1_T2_jT3_P12ihipStream_tbPNSt15iterator_traitsISI_E10value_typeEPNSO_ISJ_E10value_typeEPSK_NS1_7vsmem_tEENKUlT_SI_SJ_SK_E_clIPySD_S10_SD_EESH_SX_SI_SJ_SK_EUlSX_E_NS1_11comp_targetILNS1_3genE2ELNS1_11target_archE906ELNS1_3gpuE6ELNS1_3repE0EEENS1_48merge_mergepath_partition_config_static_selectorELNS0_4arch9wavefront6targetE1EEEvSJ_
		.amdhsa_group_segment_fixed_size 0
		.amdhsa_private_segment_fixed_size 0
		.amdhsa_kernarg_size 40
		.amdhsa_user_sgpr_count 2
		.amdhsa_user_sgpr_dispatch_ptr 0
		.amdhsa_user_sgpr_queue_ptr 0
		.amdhsa_user_sgpr_kernarg_segment_ptr 1
		.amdhsa_user_sgpr_dispatch_id 0
		.amdhsa_user_sgpr_kernarg_preload_length 0
		.amdhsa_user_sgpr_kernarg_preload_offset 0
		.amdhsa_user_sgpr_private_segment_size 0
		.amdhsa_uses_dynamic_stack 0
		.amdhsa_enable_private_segment 0
		.amdhsa_system_sgpr_workgroup_id_x 1
		.amdhsa_system_sgpr_workgroup_id_y 0
		.amdhsa_system_sgpr_workgroup_id_z 0
		.amdhsa_system_sgpr_workgroup_info 0
		.amdhsa_system_vgpr_workitem_id 0
		.amdhsa_next_free_vgpr 1
		.amdhsa_next_free_sgpr 0
		.amdhsa_accum_offset 4
		.amdhsa_reserve_vcc 0
		.amdhsa_float_round_mode_32 0
		.amdhsa_float_round_mode_16_64 0
		.amdhsa_float_denorm_mode_32 3
		.amdhsa_float_denorm_mode_16_64 3
		.amdhsa_dx10_clamp 1
		.amdhsa_ieee_mode 1
		.amdhsa_fp16_overflow 0
		.amdhsa_tg_split 0
		.amdhsa_exception_fp_ieee_invalid_op 0
		.amdhsa_exception_fp_denorm_src 0
		.amdhsa_exception_fp_ieee_div_zero 0
		.amdhsa_exception_fp_ieee_overflow 0
		.amdhsa_exception_fp_ieee_underflow 0
		.amdhsa_exception_fp_ieee_inexact 0
		.amdhsa_exception_int_div_zero 0
	.end_amdhsa_kernel
	.section	.text._ZN7rocprim17ROCPRIM_400000_NS6detail17trampoline_kernelINS0_14default_configENS1_38merge_sort_block_merge_config_selectorIyyEEZZNS1_27merge_sort_block_merge_implIS3_N6thrust23THRUST_200600_302600_NS6detail15normal_iteratorINS8_10device_ptrIyEEEESD_jNS1_19radix_merge_compareILb0ELb0EyNS0_19identity_decomposerEEEEE10hipError_tT0_T1_T2_jT3_P12ihipStream_tbPNSt15iterator_traitsISI_E10value_typeEPNSO_ISJ_E10value_typeEPSK_NS1_7vsmem_tEENKUlT_SI_SJ_SK_E_clIPySD_S10_SD_EESH_SX_SI_SJ_SK_EUlSX_E_NS1_11comp_targetILNS1_3genE2ELNS1_11target_archE906ELNS1_3gpuE6ELNS1_3repE0EEENS1_48merge_mergepath_partition_config_static_selectorELNS0_4arch9wavefront6targetE1EEEvSJ_,"axG",@progbits,_ZN7rocprim17ROCPRIM_400000_NS6detail17trampoline_kernelINS0_14default_configENS1_38merge_sort_block_merge_config_selectorIyyEEZZNS1_27merge_sort_block_merge_implIS3_N6thrust23THRUST_200600_302600_NS6detail15normal_iteratorINS8_10device_ptrIyEEEESD_jNS1_19radix_merge_compareILb0ELb0EyNS0_19identity_decomposerEEEEE10hipError_tT0_T1_T2_jT3_P12ihipStream_tbPNSt15iterator_traitsISI_E10value_typeEPNSO_ISJ_E10value_typeEPSK_NS1_7vsmem_tEENKUlT_SI_SJ_SK_E_clIPySD_S10_SD_EESH_SX_SI_SJ_SK_EUlSX_E_NS1_11comp_targetILNS1_3genE2ELNS1_11target_archE906ELNS1_3gpuE6ELNS1_3repE0EEENS1_48merge_mergepath_partition_config_static_selectorELNS0_4arch9wavefront6targetE1EEEvSJ_,comdat
.Lfunc_end401:
	.size	_ZN7rocprim17ROCPRIM_400000_NS6detail17trampoline_kernelINS0_14default_configENS1_38merge_sort_block_merge_config_selectorIyyEEZZNS1_27merge_sort_block_merge_implIS3_N6thrust23THRUST_200600_302600_NS6detail15normal_iteratorINS8_10device_ptrIyEEEESD_jNS1_19radix_merge_compareILb0ELb0EyNS0_19identity_decomposerEEEEE10hipError_tT0_T1_T2_jT3_P12ihipStream_tbPNSt15iterator_traitsISI_E10value_typeEPNSO_ISJ_E10value_typeEPSK_NS1_7vsmem_tEENKUlT_SI_SJ_SK_E_clIPySD_S10_SD_EESH_SX_SI_SJ_SK_EUlSX_E_NS1_11comp_targetILNS1_3genE2ELNS1_11target_archE906ELNS1_3gpuE6ELNS1_3repE0EEENS1_48merge_mergepath_partition_config_static_selectorELNS0_4arch9wavefront6targetE1EEEvSJ_, .Lfunc_end401-_ZN7rocprim17ROCPRIM_400000_NS6detail17trampoline_kernelINS0_14default_configENS1_38merge_sort_block_merge_config_selectorIyyEEZZNS1_27merge_sort_block_merge_implIS3_N6thrust23THRUST_200600_302600_NS6detail15normal_iteratorINS8_10device_ptrIyEEEESD_jNS1_19radix_merge_compareILb0ELb0EyNS0_19identity_decomposerEEEEE10hipError_tT0_T1_T2_jT3_P12ihipStream_tbPNSt15iterator_traitsISI_E10value_typeEPNSO_ISJ_E10value_typeEPSK_NS1_7vsmem_tEENKUlT_SI_SJ_SK_E_clIPySD_S10_SD_EESH_SX_SI_SJ_SK_EUlSX_E_NS1_11comp_targetILNS1_3genE2ELNS1_11target_archE906ELNS1_3gpuE6ELNS1_3repE0EEENS1_48merge_mergepath_partition_config_static_selectorELNS0_4arch9wavefront6targetE1EEEvSJ_
                                        ; -- End function
	.set _ZN7rocprim17ROCPRIM_400000_NS6detail17trampoline_kernelINS0_14default_configENS1_38merge_sort_block_merge_config_selectorIyyEEZZNS1_27merge_sort_block_merge_implIS3_N6thrust23THRUST_200600_302600_NS6detail15normal_iteratorINS8_10device_ptrIyEEEESD_jNS1_19radix_merge_compareILb0ELb0EyNS0_19identity_decomposerEEEEE10hipError_tT0_T1_T2_jT3_P12ihipStream_tbPNSt15iterator_traitsISI_E10value_typeEPNSO_ISJ_E10value_typeEPSK_NS1_7vsmem_tEENKUlT_SI_SJ_SK_E_clIPySD_S10_SD_EESH_SX_SI_SJ_SK_EUlSX_E_NS1_11comp_targetILNS1_3genE2ELNS1_11target_archE906ELNS1_3gpuE6ELNS1_3repE0EEENS1_48merge_mergepath_partition_config_static_selectorELNS0_4arch9wavefront6targetE1EEEvSJ_.num_vgpr, 0
	.set _ZN7rocprim17ROCPRIM_400000_NS6detail17trampoline_kernelINS0_14default_configENS1_38merge_sort_block_merge_config_selectorIyyEEZZNS1_27merge_sort_block_merge_implIS3_N6thrust23THRUST_200600_302600_NS6detail15normal_iteratorINS8_10device_ptrIyEEEESD_jNS1_19radix_merge_compareILb0ELb0EyNS0_19identity_decomposerEEEEE10hipError_tT0_T1_T2_jT3_P12ihipStream_tbPNSt15iterator_traitsISI_E10value_typeEPNSO_ISJ_E10value_typeEPSK_NS1_7vsmem_tEENKUlT_SI_SJ_SK_E_clIPySD_S10_SD_EESH_SX_SI_SJ_SK_EUlSX_E_NS1_11comp_targetILNS1_3genE2ELNS1_11target_archE906ELNS1_3gpuE6ELNS1_3repE0EEENS1_48merge_mergepath_partition_config_static_selectorELNS0_4arch9wavefront6targetE1EEEvSJ_.num_agpr, 0
	.set _ZN7rocprim17ROCPRIM_400000_NS6detail17trampoline_kernelINS0_14default_configENS1_38merge_sort_block_merge_config_selectorIyyEEZZNS1_27merge_sort_block_merge_implIS3_N6thrust23THRUST_200600_302600_NS6detail15normal_iteratorINS8_10device_ptrIyEEEESD_jNS1_19radix_merge_compareILb0ELb0EyNS0_19identity_decomposerEEEEE10hipError_tT0_T1_T2_jT3_P12ihipStream_tbPNSt15iterator_traitsISI_E10value_typeEPNSO_ISJ_E10value_typeEPSK_NS1_7vsmem_tEENKUlT_SI_SJ_SK_E_clIPySD_S10_SD_EESH_SX_SI_SJ_SK_EUlSX_E_NS1_11comp_targetILNS1_3genE2ELNS1_11target_archE906ELNS1_3gpuE6ELNS1_3repE0EEENS1_48merge_mergepath_partition_config_static_selectorELNS0_4arch9wavefront6targetE1EEEvSJ_.numbered_sgpr, 0
	.set _ZN7rocprim17ROCPRIM_400000_NS6detail17trampoline_kernelINS0_14default_configENS1_38merge_sort_block_merge_config_selectorIyyEEZZNS1_27merge_sort_block_merge_implIS3_N6thrust23THRUST_200600_302600_NS6detail15normal_iteratorINS8_10device_ptrIyEEEESD_jNS1_19radix_merge_compareILb0ELb0EyNS0_19identity_decomposerEEEEE10hipError_tT0_T1_T2_jT3_P12ihipStream_tbPNSt15iterator_traitsISI_E10value_typeEPNSO_ISJ_E10value_typeEPSK_NS1_7vsmem_tEENKUlT_SI_SJ_SK_E_clIPySD_S10_SD_EESH_SX_SI_SJ_SK_EUlSX_E_NS1_11comp_targetILNS1_3genE2ELNS1_11target_archE906ELNS1_3gpuE6ELNS1_3repE0EEENS1_48merge_mergepath_partition_config_static_selectorELNS0_4arch9wavefront6targetE1EEEvSJ_.num_named_barrier, 0
	.set _ZN7rocprim17ROCPRIM_400000_NS6detail17trampoline_kernelINS0_14default_configENS1_38merge_sort_block_merge_config_selectorIyyEEZZNS1_27merge_sort_block_merge_implIS3_N6thrust23THRUST_200600_302600_NS6detail15normal_iteratorINS8_10device_ptrIyEEEESD_jNS1_19radix_merge_compareILb0ELb0EyNS0_19identity_decomposerEEEEE10hipError_tT0_T1_T2_jT3_P12ihipStream_tbPNSt15iterator_traitsISI_E10value_typeEPNSO_ISJ_E10value_typeEPSK_NS1_7vsmem_tEENKUlT_SI_SJ_SK_E_clIPySD_S10_SD_EESH_SX_SI_SJ_SK_EUlSX_E_NS1_11comp_targetILNS1_3genE2ELNS1_11target_archE906ELNS1_3gpuE6ELNS1_3repE0EEENS1_48merge_mergepath_partition_config_static_selectorELNS0_4arch9wavefront6targetE1EEEvSJ_.private_seg_size, 0
	.set _ZN7rocprim17ROCPRIM_400000_NS6detail17trampoline_kernelINS0_14default_configENS1_38merge_sort_block_merge_config_selectorIyyEEZZNS1_27merge_sort_block_merge_implIS3_N6thrust23THRUST_200600_302600_NS6detail15normal_iteratorINS8_10device_ptrIyEEEESD_jNS1_19radix_merge_compareILb0ELb0EyNS0_19identity_decomposerEEEEE10hipError_tT0_T1_T2_jT3_P12ihipStream_tbPNSt15iterator_traitsISI_E10value_typeEPNSO_ISJ_E10value_typeEPSK_NS1_7vsmem_tEENKUlT_SI_SJ_SK_E_clIPySD_S10_SD_EESH_SX_SI_SJ_SK_EUlSX_E_NS1_11comp_targetILNS1_3genE2ELNS1_11target_archE906ELNS1_3gpuE6ELNS1_3repE0EEENS1_48merge_mergepath_partition_config_static_selectorELNS0_4arch9wavefront6targetE1EEEvSJ_.uses_vcc, 0
	.set _ZN7rocprim17ROCPRIM_400000_NS6detail17trampoline_kernelINS0_14default_configENS1_38merge_sort_block_merge_config_selectorIyyEEZZNS1_27merge_sort_block_merge_implIS3_N6thrust23THRUST_200600_302600_NS6detail15normal_iteratorINS8_10device_ptrIyEEEESD_jNS1_19radix_merge_compareILb0ELb0EyNS0_19identity_decomposerEEEEE10hipError_tT0_T1_T2_jT3_P12ihipStream_tbPNSt15iterator_traitsISI_E10value_typeEPNSO_ISJ_E10value_typeEPSK_NS1_7vsmem_tEENKUlT_SI_SJ_SK_E_clIPySD_S10_SD_EESH_SX_SI_SJ_SK_EUlSX_E_NS1_11comp_targetILNS1_3genE2ELNS1_11target_archE906ELNS1_3gpuE6ELNS1_3repE0EEENS1_48merge_mergepath_partition_config_static_selectorELNS0_4arch9wavefront6targetE1EEEvSJ_.uses_flat_scratch, 0
	.set _ZN7rocprim17ROCPRIM_400000_NS6detail17trampoline_kernelINS0_14default_configENS1_38merge_sort_block_merge_config_selectorIyyEEZZNS1_27merge_sort_block_merge_implIS3_N6thrust23THRUST_200600_302600_NS6detail15normal_iteratorINS8_10device_ptrIyEEEESD_jNS1_19radix_merge_compareILb0ELb0EyNS0_19identity_decomposerEEEEE10hipError_tT0_T1_T2_jT3_P12ihipStream_tbPNSt15iterator_traitsISI_E10value_typeEPNSO_ISJ_E10value_typeEPSK_NS1_7vsmem_tEENKUlT_SI_SJ_SK_E_clIPySD_S10_SD_EESH_SX_SI_SJ_SK_EUlSX_E_NS1_11comp_targetILNS1_3genE2ELNS1_11target_archE906ELNS1_3gpuE6ELNS1_3repE0EEENS1_48merge_mergepath_partition_config_static_selectorELNS0_4arch9wavefront6targetE1EEEvSJ_.has_dyn_sized_stack, 0
	.set _ZN7rocprim17ROCPRIM_400000_NS6detail17trampoline_kernelINS0_14default_configENS1_38merge_sort_block_merge_config_selectorIyyEEZZNS1_27merge_sort_block_merge_implIS3_N6thrust23THRUST_200600_302600_NS6detail15normal_iteratorINS8_10device_ptrIyEEEESD_jNS1_19radix_merge_compareILb0ELb0EyNS0_19identity_decomposerEEEEE10hipError_tT0_T1_T2_jT3_P12ihipStream_tbPNSt15iterator_traitsISI_E10value_typeEPNSO_ISJ_E10value_typeEPSK_NS1_7vsmem_tEENKUlT_SI_SJ_SK_E_clIPySD_S10_SD_EESH_SX_SI_SJ_SK_EUlSX_E_NS1_11comp_targetILNS1_3genE2ELNS1_11target_archE906ELNS1_3gpuE6ELNS1_3repE0EEENS1_48merge_mergepath_partition_config_static_selectorELNS0_4arch9wavefront6targetE1EEEvSJ_.has_recursion, 0
	.set _ZN7rocprim17ROCPRIM_400000_NS6detail17trampoline_kernelINS0_14default_configENS1_38merge_sort_block_merge_config_selectorIyyEEZZNS1_27merge_sort_block_merge_implIS3_N6thrust23THRUST_200600_302600_NS6detail15normal_iteratorINS8_10device_ptrIyEEEESD_jNS1_19radix_merge_compareILb0ELb0EyNS0_19identity_decomposerEEEEE10hipError_tT0_T1_T2_jT3_P12ihipStream_tbPNSt15iterator_traitsISI_E10value_typeEPNSO_ISJ_E10value_typeEPSK_NS1_7vsmem_tEENKUlT_SI_SJ_SK_E_clIPySD_S10_SD_EESH_SX_SI_SJ_SK_EUlSX_E_NS1_11comp_targetILNS1_3genE2ELNS1_11target_archE906ELNS1_3gpuE6ELNS1_3repE0EEENS1_48merge_mergepath_partition_config_static_selectorELNS0_4arch9wavefront6targetE1EEEvSJ_.has_indirect_call, 0
	.section	.AMDGPU.csdata,"",@progbits
; Kernel info:
; codeLenInByte = 0
; TotalNumSgprs: 6
; NumVgprs: 0
; NumAgprs: 0
; TotalNumVgprs: 0
; ScratchSize: 0
; MemoryBound: 0
; FloatMode: 240
; IeeeMode: 1
; LDSByteSize: 0 bytes/workgroup (compile time only)
; SGPRBlocks: 0
; VGPRBlocks: 0
; NumSGPRsForWavesPerEU: 6
; NumVGPRsForWavesPerEU: 1
; AccumOffset: 4
; Occupancy: 8
; WaveLimiterHint : 0
; COMPUTE_PGM_RSRC2:SCRATCH_EN: 0
; COMPUTE_PGM_RSRC2:USER_SGPR: 2
; COMPUTE_PGM_RSRC2:TRAP_HANDLER: 0
; COMPUTE_PGM_RSRC2:TGID_X_EN: 1
; COMPUTE_PGM_RSRC2:TGID_Y_EN: 0
; COMPUTE_PGM_RSRC2:TGID_Z_EN: 0
; COMPUTE_PGM_RSRC2:TIDIG_COMP_CNT: 0
; COMPUTE_PGM_RSRC3_GFX90A:ACCUM_OFFSET: 0
; COMPUTE_PGM_RSRC3_GFX90A:TG_SPLIT: 0
	.section	.text._ZN7rocprim17ROCPRIM_400000_NS6detail17trampoline_kernelINS0_14default_configENS1_38merge_sort_block_merge_config_selectorIyyEEZZNS1_27merge_sort_block_merge_implIS3_N6thrust23THRUST_200600_302600_NS6detail15normal_iteratorINS8_10device_ptrIyEEEESD_jNS1_19radix_merge_compareILb0ELb0EyNS0_19identity_decomposerEEEEE10hipError_tT0_T1_T2_jT3_P12ihipStream_tbPNSt15iterator_traitsISI_E10value_typeEPNSO_ISJ_E10value_typeEPSK_NS1_7vsmem_tEENKUlT_SI_SJ_SK_E_clIPySD_S10_SD_EESH_SX_SI_SJ_SK_EUlSX_E_NS1_11comp_targetILNS1_3genE9ELNS1_11target_archE1100ELNS1_3gpuE3ELNS1_3repE0EEENS1_48merge_mergepath_partition_config_static_selectorELNS0_4arch9wavefront6targetE1EEEvSJ_,"axG",@progbits,_ZN7rocprim17ROCPRIM_400000_NS6detail17trampoline_kernelINS0_14default_configENS1_38merge_sort_block_merge_config_selectorIyyEEZZNS1_27merge_sort_block_merge_implIS3_N6thrust23THRUST_200600_302600_NS6detail15normal_iteratorINS8_10device_ptrIyEEEESD_jNS1_19radix_merge_compareILb0ELb0EyNS0_19identity_decomposerEEEEE10hipError_tT0_T1_T2_jT3_P12ihipStream_tbPNSt15iterator_traitsISI_E10value_typeEPNSO_ISJ_E10value_typeEPSK_NS1_7vsmem_tEENKUlT_SI_SJ_SK_E_clIPySD_S10_SD_EESH_SX_SI_SJ_SK_EUlSX_E_NS1_11comp_targetILNS1_3genE9ELNS1_11target_archE1100ELNS1_3gpuE3ELNS1_3repE0EEENS1_48merge_mergepath_partition_config_static_selectorELNS0_4arch9wavefront6targetE1EEEvSJ_,comdat
	.protected	_ZN7rocprim17ROCPRIM_400000_NS6detail17trampoline_kernelINS0_14default_configENS1_38merge_sort_block_merge_config_selectorIyyEEZZNS1_27merge_sort_block_merge_implIS3_N6thrust23THRUST_200600_302600_NS6detail15normal_iteratorINS8_10device_ptrIyEEEESD_jNS1_19radix_merge_compareILb0ELb0EyNS0_19identity_decomposerEEEEE10hipError_tT0_T1_T2_jT3_P12ihipStream_tbPNSt15iterator_traitsISI_E10value_typeEPNSO_ISJ_E10value_typeEPSK_NS1_7vsmem_tEENKUlT_SI_SJ_SK_E_clIPySD_S10_SD_EESH_SX_SI_SJ_SK_EUlSX_E_NS1_11comp_targetILNS1_3genE9ELNS1_11target_archE1100ELNS1_3gpuE3ELNS1_3repE0EEENS1_48merge_mergepath_partition_config_static_selectorELNS0_4arch9wavefront6targetE1EEEvSJ_ ; -- Begin function _ZN7rocprim17ROCPRIM_400000_NS6detail17trampoline_kernelINS0_14default_configENS1_38merge_sort_block_merge_config_selectorIyyEEZZNS1_27merge_sort_block_merge_implIS3_N6thrust23THRUST_200600_302600_NS6detail15normal_iteratorINS8_10device_ptrIyEEEESD_jNS1_19radix_merge_compareILb0ELb0EyNS0_19identity_decomposerEEEEE10hipError_tT0_T1_T2_jT3_P12ihipStream_tbPNSt15iterator_traitsISI_E10value_typeEPNSO_ISJ_E10value_typeEPSK_NS1_7vsmem_tEENKUlT_SI_SJ_SK_E_clIPySD_S10_SD_EESH_SX_SI_SJ_SK_EUlSX_E_NS1_11comp_targetILNS1_3genE9ELNS1_11target_archE1100ELNS1_3gpuE3ELNS1_3repE0EEENS1_48merge_mergepath_partition_config_static_selectorELNS0_4arch9wavefront6targetE1EEEvSJ_
	.globl	_ZN7rocprim17ROCPRIM_400000_NS6detail17trampoline_kernelINS0_14default_configENS1_38merge_sort_block_merge_config_selectorIyyEEZZNS1_27merge_sort_block_merge_implIS3_N6thrust23THRUST_200600_302600_NS6detail15normal_iteratorINS8_10device_ptrIyEEEESD_jNS1_19radix_merge_compareILb0ELb0EyNS0_19identity_decomposerEEEEE10hipError_tT0_T1_T2_jT3_P12ihipStream_tbPNSt15iterator_traitsISI_E10value_typeEPNSO_ISJ_E10value_typeEPSK_NS1_7vsmem_tEENKUlT_SI_SJ_SK_E_clIPySD_S10_SD_EESH_SX_SI_SJ_SK_EUlSX_E_NS1_11comp_targetILNS1_3genE9ELNS1_11target_archE1100ELNS1_3gpuE3ELNS1_3repE0EEENS1_48merge_mergepath_partition_config_static_selectorELNS0_4arch9wavefront6targetE1EEEvSJ_
	.p2align	8
	.type	_ZN7rocprim17ROCPRIM_400000_NS6detail17trampoline_kernelINS0_14default_configENS1_38merge_sort_block_merge_config_selectorIyyEEZZNS1_27merge_sort_block_merge_implIS3_N6thrust23THRUST_200600_302600_NS6detail15normal_iteratorINS8_10device_ptrIyEEEESD_jNS1_19radix_merge_compareILb0ELb0EyNS0_19identity_decomposerEEEEE10hipError_tT0_T1_T2_jT3_P12ihipStream_tbPNSt15iterator_traitsISI_E10value_typeEPNSO_ISJ_E10value_typeEPSK_NS1_7vsmem_tEENKUlT_SI_SJ_SK_E_clIPySD_S10_SD_EESH_SX_SI_SJ_SK_EUlSX_E_NS1_11comp_targetILNS1_3genE9ELNS1_11target_archE1100ELNS1_3gpuE3ELNS1_3repE0EEENS1_48merge_mergepath_partition_config_static_selectorELNS0_4arch9wavefront6targetE1EEEvSJ_,@function
_ZN7rocprim17ROCPRIM_400000_NS6detail17trampoline_kernelINS0_14default_configENS1_38merge_sort_block_merge_config_selectorIyyEEZZNS1_27merge_sort_block_merge_implIS3_N6thrust23THRUST_200600_302600_NS6detail15normal_iteratorINS8_10device_ptrIyEEEESD_jNS1_19radix_merge_compareILb0ELb0EyNS0_19identity_decomposerEEEEE10hipError_tT0_T1_T2_jT3_P12ihipStream_tbPNSt15iterator_traitsISI_E10value_typeEPNSO_ISJ_E10value_typeEPSK_NS1_7vsmem_tEENKUlT_SI_SJ_SK_E_clIPySD_S10_SD_EESH_SX_SI_SJ_SK_EUlSX_E_NS1_11comp_targetILNS1_3genE9ELNS1_11target_archE1100ELNS1_3gpuE3ELNS1_3repE0EEENS1_48merge_mergepath_partition_config_static_selectorELNS0_4arch9wavefront6targetE1EEEvSJ_: ; @_ZN7rocprim17ROCPRIM_400000_NS6detail17trampoline_kernelINS0_14default_configENS1_38merge_sort_block_merge_config_selectorIyyEEZZNS1_27merge_sort_block_merge_implIS3_N6thrust23THRUST_200600_302600_NS6detail15normal_iteratorINS8_10device_ptrIyEEEESD_jNS1_19radix_merge_compareILb0ELb0EyNS0_19identity_decomposerEEEEE10hipError_tT0_T1_T2_jT3_P12ihipStream_tbPNSt15iterator_traitsISI_E10value_typeEPNSO_ISJ_E10value_typeEPSK_NS1_7vsmem_tEENKUlT_SI_SJ_SK_E_clIPySD_S10_SD_EESH_SX_SI_SJ_SK_EUlSX_E_NS1_11comp_targetILNS1_3genE9ELNS1_11target_archE1100ELNS1_3gpuE3ELNS1_3repE0EEENS1_48merge_mergepath_partition_config_static_selectorELNS0_4arch9wavefront6targetE1EEEvSJ_
; %bb.0:
	.section	.rodata,"a",@progbits
	.p2align	6, 0x0
	.amdhsa_kernel _ZN7rocprim17ROCPRIM_400000_NS6detail17trampoline_kernelINS0_14default_configENS1_38merge_sort_block_merge_config_selectorIyyEEZZNS1_27merge_sort_block_merge_implIS3_N6thrust23THRUST_200600_302600_NS6detail15normal_iteratorINS8_10device_ptrIyEEEESD_jNS1_19radix_merge_compareILb0ELb0EyNS0_19identity_decomposerEEEEE10hipError_tT0_T1_T2_jT3_P12ihipStream_tbPNSt15iterator_traitsISI_E10value_typeEPNSO_ISJ_E10value_typeEPSK_NS1_7vsmem_tEENKUlT_SI_SJ_SK_E_clIPySD_S10_SD_EESH_SX_SI_SJ_SK_EUlSX_E_NS1_11comp_targetILNS1_3genE9ELNS1_11target_archE1100ELNS1_3gpuE3ELNS1_3repE0EEENS1_48merge_mergepath_partition_config_static_selectorELNS0_4arch9wavefront6targetE1EEEvSJ_
		.amdhsa_group_segment_fixed_size 0
		.amdhsa_private_segment_fixed_size 0
		.amdhsa_kernarg_size 40
		.amdhsa_user_sgpr_count 2
		.amdhsa_user_sgpr_dispatch_ptr 0
		.amdhsa_user_sgpr_queue_ptr 0
		.amdhsa_user_sgpr_kernarg_segment_ptr 1
		.amdhsa_user_sgpr_dispatch_id 0
		.amdhsa_user_sgpr_kernarg_preload_length 0
		.amdhsa_user_sgpr_kernarg_preload_offset 0
		.amdhsa_user_sgpr_private_segment_size 0
		.amdhsa_uses_dynamic_stack 0
		.amdhsa_enable_private_segment 0
		.amdhsa_system_sgpr_workgroup_id_x 1
		.amdhsa_system_sgpr_workgroup_id_y 0
		.amdhsa_system_sgpr_workgroup_id_z 0
		.amdhsa_system_sgpr_workgroup_info 0
		.amdhsa_system_vgpr_workitem_id 0
		.amdhsa_next_free_vgpr 1
		.amdhsa_next_free_sgpr 0
		.amdhsa_accum_offset 4
		.amdhsa_reserve_vcc 0
		.amdhsa_float_round_mode_32 0
		.amdhsa_float_round_mode_16_64 0
		.amdhsa_float_denorm_mode_32 3
		.amdhsa_float_denorm_mode_16_64 3
		.amdhsa_dx10_clamp 1
		.amdhsa_ieee_mode 1
		.amdhsa_fp16_overflow 0
		.amdhsa_tg_split 0
		.amdhsa_exception_fp_ieee_invalid_op 0
		.amdhsa_exception_fp_denorm_src 0
		.amdhsa_exception_fp_ieee_div_zero 0
		.amdhsa_exception_fp_ieee_overflow 0
		.amdhsa_exception_fp_ieee_underflow 0
		.amdhsa_exception_fp_ieee_inexact 0
		.amdhsa_exception_int_div_zero 0
	.end_amdhsa_kernel
	.section	.text._ZN7rocprim17ROCPRIM_400000_NS6detail17trampoline_kernelINS0_14default_configENS1_38merge_sort_block_merge_config_selectorIyyEEZZNS1_27merge_sort_block_merge_implIS3_N6thrust23THRUST_200600_302600_NS6detail15normal_iteratorINS8_10device_ptrIyEEEESD_jNS1_19radix_merge_compareILb0ELb0EyNS0_19identity_decomposerEEEEE10hipError_tT0_T1_T2_jT3_P12ihipStream_tbPNSt15iterator_traitsISI_E10value_typeEPNSO_ISJ_E10value_typeEPSK_NS1_7vsmem_tEENKUlT_SI_SJ_SK_E_clIPySD_S10_SD_EESH_SX_SI_SJ_SK_EUlSX_E_NS1_11comp_targetILNS1_3genE9ELNS1_11target_archE1100ELNS1_3gpuE3ELNS1_3repE0EEENS1_48merge_mergepath_partition_config_static_selectorELNS0_4arch9wavefront6targetE1EEEvSJ_,"axG",@progbits,_ZN7rocprim17ROCPRIM_400000_NS6detail17trampoline_kernelINS0_14default_configENS1_38merge_sort_block_merge_config_selectorIyyEEZZNS1_27merge_sort_block_merge_implIS3_N6thrust23THRUST_200600_302600_NS6detail15normal_iteratorINS8_10device_ptrIyEEEESD_jNS1_19radix_merge_compareILb0ELb0EyNS0_19identity_decomposerEEEEE10hipError_tT0_T1_T2_jT3_P12ihipStream_tbPNSt15iterator_traitsISI_E10value_typeEPNSO_ISJ_E10value_typeEPSK_NS1_7vsmem_tEENKUlT_SI_SJ_SK_E_clIPySD_S10_SD_EESH_SX_SI_SJ_SK_EUlSX_E_NS1_11comp_targetILNS1_3genE9ELNS1_11target_archE1100ELNS1_3gpuE3ELNS1_3repE0EEENS1_48merge_mergepath_partition_config_static_selectorELNS0_4arch9wavefront6targetE1EEEvSJ_,comdat
.Lfunc_end402:
	.size	_ZN7rocprim17ROCPRIM_400000_NS6detail17trampoline_kernelINS0_14default_configENS1_38merge_sort_block_merge_config_selectorIyyEEZZNS1_27merge_sort_block_merge_implIS3_N6thrust23THRUST_200600_302600_NS6detail15normal_iteratorINS8_10device_ptrIyEEEESD_jNS1_19radix_merge_compareILb0ELb0EyNS0_19identity_decomposerEEEEE10hipError_tT0_T1_T2_jT3_P12ihipStream_tbPNSt15iterator_traitsISI_E10value_typeEPNSO_ISJ_E10value_typeEPSK_NS1_7vsmem_tEENKUlT_SI_SJ_SK_E_clIPySD_S10_SD_EESH_SX_SI_SJ_SK_EUlSX_E_NS1_11comp_targetILNS1_3genE9ELNS1_11target_archE1100ELNS1_3gpuE3ELNS1_3repE0EEENS1_48merge_mergepath_partition_config_static_selectorELNS0_4arch9wavefront6targetE1EEEvSJ_, .Lfunc_end402-_ZN7rocprim17ROCPRIM_400000_NS6detail17trampoline_kernelINS0_14default_configENS1_38merge_sort_block_merge_config_selectorIyyEEZZNS1_27merge_sort_block_merge_implIS3_N6thrust23THRUST_200600_302600_NS6detail15normal_iteratorINS8_10device_ptrIyEEEESD_jNS1_19radix_merge_compareILb0ELb0EyNS0_19identity_decomposerEEEEE10hipError_tT0_T1_T2_jT3_P12ihipStream_tbPNSt15iterator_traitsISI_E10value_typeEPNSO_ISJ_E10value_typeEPSK_NS1_7vsmem_tEENKUlT_SI_SJ_SK_E_clIPySD_S10_SD_EESH_SX_SI_SJ_SK_EUlSX_E_NS1_11comp_targetILNS1_3genE9ELNS1_11target_archE1100ELNS1_3gpuE3ELNS1_3repE0EEENS1_48merge_mergepath_partition_config_static_selectorELNS0_4arch9wavefront6targetE1EEEvSJ_
                                        ; -- End function
	.set _ZN7rocprim17ROCPRIM_400000_NS6detail17trampoline_kernelINS0_14default_configENS1_38merge_sort_block_merge_config_selectorIyyEEZZNS1_27merge_sort_block_merge_implIS3_N6thrust23THRUST_200600_302600_NS6detail15normal_iteratorINS8_10device_ptrIyEEEESD_jNS1_19radix_merge_compareILb0ELb0EyNS0_19identity_decomposerEEEEE10hipError_tT0_T1_T2_jT3_P12ihipStream_tbPNSt15iterator_traitsISI_E10value_typeEPNSO_ISJ_E10value_typeEPSK_NS1_7vsmem_tEENKUlT_SI_SJ_SK_E_clIPySD_S10_SD_EESH_SX_SI_SJ_SK_EUlSX_E_NS1_11comp_targetILNS1_3genE9ELNS1_11target_archE1100ELNS1_3gpuE3ELNS1_3repE0EEENS1_48merge_mergepath_partition_config_static_selectorELNS0_4arch9wavefront6targetE1EEEvSJ_.num_vgpr, 0
	.set _ZN7rocprim17ROCPRIM_400000_NS6detail17trampoline_kernelINS0_14default_configENS1_38merge_sort_block_merge_config_selectorIyyEEZZNS1_27merge_sort_block_merge_implIS3_N6thrust23THRUST_200600_302600_NS6detail15normal_iteratorINS8_10device_ptrIyEEEESD_jNS1_19radix_merge_compareILb0ELb0EyNS0_19identity_decomposerEEEEE10hipError_tT0_T1_T2_jT3_P12ihipStream_tbPNSt15iterator_traitsISI_E10value_typeEPNSO_ISJ_E10value_typeEPSK_NS1_7vsmem_tEENKUlT_SI_SJ_SK_E_clIPySD_S10_SD_EESH_SX_SI_SJ_SK_EUlSX_E_NS1_11comp_targetILNS1_3genE9ELNS1_11target_archE1100ELNS1_3gpuE3ELNS1_3repE0EEENS1_48merge_mergepath_partition_config_static_selectorELNS0_4arch9wavefront6targetE1EEEvSJ_.num_agpr, 0
	.set _ZN7rocprim17ROCPRIM_400000_NS6detail17trampoline_kernelINS0_14default_configENS1_38merge_sort_block_merge_config_selectorIyyEEZZNS1_27merge_sort_block_merge_implIS3_N6thrust23THRUST_200600_302600_NS6detail15normal_iteratorINS8_10device_ptrIyEEEESD_jNS1_19radix_merge_compareILb0ELb0EyNS0_19identity_decomposerEEEEE10hipError_tT0_T1_T2_jT3_P12ihipStream_tbPNSt15iterator_traitsISI_E10value_typeEPNSO_ISJ_E10value_typeEPSK_NS1_7vsmem_tEENKUlT_SI_SJ_SK_E_clIPySD_S10_SD_EESH_SX_SI_SJ_SK_EUlSX_E_NS1_11comp_targetILNS1_3genE9ELNS1_11target_archE1100ELNS1_3gpuE3ELNS1_3repE0EEENS1_48merge_mergepath_partition_config_static_selectorELNS0_4arch9wavefront6targetE1EEEvSJ_.numbered_sgpr, 0
	.set _ZN7rocprim17ROCPRIM_400000_NS6detail17trampoline_kernelINS0_14default_configENS1_38merge_sort_block_merge_config_selectorIyyEEZZNS1_27merge_sort_block_merge_implIS3_N6thrust23THRUST_200600_302600_NS6detail15normal_iteratorINS8_10device_ptrIyEEEESD_jNS1_19radix_merge_compareILb0ELb0EyNS0_19identity_decomposerEEEEE10hipError_tT0_T1_T2_jT3_P12ihipStream_tbPNSt15iterator_traitsISI_E10value_typeEPNSO_ISJ_E10value_typeEPSK_NS1_7vsmem_tEENKUlT_SI_SJ_SK_E_clIPySD_S10_SD_EESH_SX_SI_SJ_SK_EUlSX_E_NS1_11comp_targetILNS1_3genE9ELNS1_11target_archE1100ELNS1_3gpuE3ELNS1_3repE0EEENS1_48merge_mergepath_partition_config_static_selectorELNS0_4arch9wavefront6targetE1EEEvSJ_.num_named_barrier, 0
	.set _ZN7rocprim17ROCPRIM_400000_NS6detail17trampoline_kernelINS0_14default_configENS1_38merge_sort_block_merge_config_selectorIyyEEZZNS1_27merge_sort_block_merge_implIS3_N6thrust23THRUST_200600_302600_NS6detail15normal_iteratorINS8_10device_ptrIyEEEESD_jNS1_19radix_merge_compareILb0ELb0EyNS0_19identity_decomposerEEEEE10hipError_tT0_T1_T2_jT3_P12ihipStream_tbPNSt15iterator_traitsISI_E10value_typeEPNSO_ISJ_E10value_typeEPSK_NS1_7vsmem_tEENKUlT_SI_SJ_SK_E_clIPySD_S10_SD_EESH_SX_SI_SJ_SK_EUlSX_E_NS1_11comp_targetILNS1_3genE9ELNS1_11target_archE1100ELNS1_3gpuE3ELNS1_3repE0EEENS1_48merge_mergepath_partition_config_static_selectorELNS0_4arch9wavefront6targetE1EEEvSJ_.private_seg_size, 0
	.set _ZN7rocprim17ROCPRIM_400000_NS6detail17trampoline_kernelINS0_14default_configENS1_38merge_sort_block_merge_config_selectorIyyEEZZNS1_27merge_sort_block_merge_implIS3_N6thrust23THRUST_200600_302600_NS6detail15normal_iteratorINS8_10device_ptrIyEEEESD_jNS1_19radix_merge_compareILb0ELb0EyNS0_19identity_decomposerEEEEE10hipError_tT0_T1_T2_jT3_P12ihipStream_tbPNSt15iterator_traitsISI_E10value_typeEPNSO_ISJ_E10value_typeEPSK_NS1_7vsmem_tEENKUlT_SI_SJ_SK_E_clIPySD_S10_SD_EESH_SX_SI_SJ_SK_EUlSX_E_NS1_11comp_targetILNS1_3genE9ELNS1_11target_archE1100ELNS1_3gpuE3ELNS1_3repE0EEENS1_48merge_mergepath_partition_config_static_selectorELNS0_4arch9wavefront6targetE1EEEvSJ_.uses_vcc, 0
	.set _ZN7rocprim17ROCPRIM_400000_NS6detail17trampoline_kernelINS0_14default_configENS1_38merge_sort_block_merge_config_selectorIyyEEZZNS1_27merge_sort_block_merge_implIS3_N6thrust23THRUST_200600_302600_NS6detail15normal_iteratorINS8_10device_ptrIyEEEESD_jNS1_19radix_merge_compareILb0ELb0EyNS0_19identity_decomposerEEEEE10hipError_tT0_T1_T2_jT3_P12ihipStream_tbPNSt15iterator_traitsISI_E10value_typeEPNSO_ISJ_E10value_typeEPSK_NS1_7vsmem_tEENKUlT_SI_SJ_SK_E_clIPySD_S10_SD_EESH_SX_SI_SJ_SK_EUlSX_E_NS1_11comp_targetILNS1_3genE9ELNS1_11target_archE1100ELNS1_3gpuE3ELNS1_3repE0EEENS1_48merge_mergepath_partition_config_static_selectorELNS0_4arch9wavefront6targetE1EEEvSJ_.uses_flat_scratch, 0
	.set _ZN7rocprim17ROCPRIM_400000_NS6detail17trampoline_kernelINS0_14default_configENS1_38merge_sort_block_merge_config_selectorIyyEEZZNS1_27merge_sort_block_merge_implIS3_N6thrust23THRUST_200600_302600_NS6detail15normal_iteratorINS8_10device_ptrIyEEEESD_jNS1_19radix_merge_compareILb0ELb0EyNS0_19identity_decomposerEEEEE10hipError_tT0_T1_T2_jT3_P12ihipStream_tbPNSt15iterator_traitsISI_E10value_typeEPNSO_ISJ_E10value_typeEPSK_NS1_7vsmem_tEENKUlT_SI_SJ_SK_E_clIPySD_S10_SD_EESH_SX_SI_SJ_SK_EUlSX_E_NS1_11comp_targetILNS1_3genE9ELNS1_11target_archE1100ELNS1_3gpuE3ELNS1_3repE0EEENS1_48merge_mergepath_partition_config_static_selectorELNS0_4arch9wavefront6targetE1EEEvSJ_.has_dyn_sized_stack, 0
	.set _ZN7rocprim17ROCPRIM_400000_NS6detail17trampoline_kernelINS0_14default_configENS1_38merge_sort_block_merge_config_selectorIyyEEZZNS1_27merge_sort_block_merge_implIS3_N6thrust23THRUST_200600_302600_NS6detail15normal_iteratorINS8_10device_ptrIyEEEESD_jNS1_19radix_merge_compareILb0ELb0EyNS0_19identity_decomposerEEEEE10hipError_tT0_T1_T2_jT3_P12ihipStream_tbPNSt15iterator_traitsISI_E10value_typeEPNSO_ISJ_E10value_typeEPSK_NS1_7vsmem_tEENKUlT_SI_SJ_SK_E_clIPySD_S10_SD_EESH_SX_SI_SJ_SK_EUlSX_E_NS1_11comp_targetILNS1_3genE9ELNS1_11target_archE1100ELNS1_3gpuE3ELNS1_3repE0EEENS1_48merge_mergepath_partition_config_static_selectorELNS0_4arch9wavefront6targetE1EEEvSJ_.has_recursion, 0
	.set _ZN7rocprim17ROCPRIM_400000_NS6detail17trampoline_kernelINS0_14default_configENS1_38merge_sort_block_merge_config_selectorIyyEEZZNS1_27merge_sort_block_merge_implIS3_N6thrust23THRUST_200600_302600_NS6detail15normal_iteratorINS8_10device_ptrIyEEEESD_jNS1_19radix_merge_compareILb0ELb0EyNS0_19identity_decomposerEEEEE10hipError_tT0_T1_T2_jT3_P12ihipStream_tbPNSt15iterator_traitsISI_E10value_typeEPNSO_ISJ_E10value_typeEPSK_NS1_7vsmem_tEENKUlT_SI_SJ_SK_E_clIPySD_S10_SD_EESH_SX_SI_SJ_SK_EUlSX_E_NS1_11comp_targetILNS1_3genE9ELNS1_11target_archE1100ELNS1_3gpuE3ELNS1_3repE0EEENS1_48merge_mergepath_partition_config_static_selectorELNS0_4arch9wavefront6targetE1EEEvSJ_.has_indirect_call, 0
	.section	.AMDGPU.csdata,"",@progbits
; Kernel info:
; codeLenInByte = 0
; TotalNumSgprs: 6
; NumVgprs: 0
; NumAgprs: 0
; TotalNumVgprs: 0
; ScratchSize: 0
; MemoryBound: 0
; FloatMode: 240
; IeeeMode: 1
; LDSByteSize: 0 bytes/workgroup (compile time only)
; SGPRBlocks: 0
; VGPRBlocks: 0
; NumSGPRsForWavesPerEU: 6
; NumVGPRsForWavesPerEU: 1
; AccumOffset: 4
; Occupancy: 8
; WaveLimiterHint : 0
; COMPUTE_PGM_RSRC2:SCRATCH_EN: 0
; COMPUTE_PGM_RSRC2:USER_SGPR: 2
; COMPUTE_PGM_RSRC2:TRAP_HANDLER: 0
; COMPUTE_PGM_RSRC2:TGID_X_EN: 1
; COMPUTE_PGM_RSRC2:TGID_Y_EN: 0
; COMPUTE_PGM_RSRC2:TGID_Z_EN: 0
; COMPUTE_PGM_RSRC2:TIDIG_COMP_CNT: 0
; COMPUTE_PGM_RSRC3_GFX90A:ACCUM_OFFSET: 0
; COMPUTE_PGM_RSRC3_GFX90A:TG_SPLIT: 0
	.section	.text._ZN7rocprim17ROCPRIM_400000_NS6detail17trampoline_kernelINS0_14default_configENS1_38merge_sort_block_merge_config_selectorIyyEEZZNS1_27merge_sort_block_merge_implIS3_N6thrust23THRUST_200600_302600_NS6detail15normal_iteratorINS8_10device_ptrIyEEEESD_jNS1_19radix_merge_compareILb0ELb0EyNS0_19identity_decomposerEEEEE10hipError_tT0_T1_T2_jT3_P12ihipStream_tbPNSt15iterator_traitsISI_E10value_typeEPNSO_ISJ_E10value_typeEPSK_NS1_7vsmem_tEENKUlT_SI_SJ_SK_E_clIPySD_S10_SD_EESH_SX_SI_SJ_SK_EUlSX_E_NS1_11comp_targetILNS1_3genE8ELNS1_11target_archE1030ELNS1_3gpuE2ELNS1_3repE0EEENS1_48merge_mergepath_partition_config_static_selectorELNS0_4arch9wavefront6targetE1EEEvSJ_,"axG",@progbits,_ZN7rocprim17ROCPRIM_400000_NS6detail17trampoline_kernelINS0_14default_configENS1_38merge_sort_block_merge_config_selectorIyyEEZZNS1_27merge_sort_block_merge_implIS3_N6thrust23THRUST_200600_302600_NS6detail15normal_iteratorINS8_10device_ptrIyEEEESD_jNS1_19radix_merge_compareILb0ELb0EyNS0_19identity_decomposerEEEEE10hipError_tT0_T1_T2_jT3_P12ihipStream_tbPNSt15iterator_traitsISI_E10value_typeEPNSO_ISJ_E10value_typeEPSK_NS1_7vsmem_tEENKUlT_SI_SJ_SK_E_clIPySD_S10_SD_EESH_SX_SI_SJ_SK_EUlSX_E_NS1_11comp_targetILNS1_3genE8ELNS1_11target_archE1030ELNS1_3gpuE2ELNS1_3repE0EEENS1_48merge_mergepath_partition_config_static_selectorELNS0_4arch9wavefront6targetE1EEEvSJ_,comdat
	.protected	_ZN7rocprim17ROCPRIM_400000_NS6detail17trampoline_kernelINS0_14default_configENS1_38merge_sort_block_merge_config_selectorIyyEEZZNS1_27merge_sort_block_merge_implIS3_N6thrust23THRUST_200600_302600_NS6detail15normal_iteratorINS8_10device_ptrIyEEEESD_jNS1_19radix_merge_compareILb0ELb0EyNS0_19identity_decomposerEEEEE10hipError_tT0_T1_T2_jT3_P12ihipStream_tbPNSt15iterator_traitsISI_E10value_typeEPNSO_ISJ_E10value_typeEPSK_NS1_7vsmem_tEENKUlT_SI_SJ_SK_E_clIPySD_S10_SD_EESH_SX_SI_SJ_SK_EUlSX_E_NS1_11comp_targetILNS1_3genE8ELNS1_11target_archE1030ELNS1_3gpuE2ELNS1_3repE0EEENS1_48merge_mergepath_partition_config_static_selectorELNS0_4arch9wavefront6targetE1EEEvSJ_ ; -- Begin function _ZN7rocprim17ROCPRIM_400000_NS6detail17trampoline_kernelINS0_14default_configENS1_38merge_sort_block_merge_config_selectorIyyEEZZNS1_27merge_sort_block_merge_implIS3_N6thrust23THRUST_200600_302600_NS6detail15normal_iteratorINS8_10device_ptrIyEEEESD_jNS1_19radix_merge_compareILb0ELb0EyNS0_19identity_decomposerEEEEE10hipError_tT0_T1_T2_jT3_P12ihipStream_tbPNSt15iterator_traitsISI_E10value_typeEPNSO_ISJ_E10value_typeEPSK_NS1_7vsmem_tEENKUlT_SI_SJ_SK_E_clIPySD_S10_SD_EESH_SX_SI_SJ_SK_EUlSX_E_NS1_11comp_targetILNS1_3genE8ELNS1_11target_archE1030ELNS1_3gpuE2ELNS1_3repE0EEENS1_48merge_mergepath_partition_config_static_selectorELNS0_4arch9wavefront6targetE1EEEvSJ_
	.globl	_ZN7rocprim17ROCPRIM_400000_NS6detail17trampoline_kernelINS0_14default_configENS1_38merge_sort_block_merge_config_selectorIyyEEZZNS1_27merge_sort_block_merge_implIS3_N6thrust23THRUST_200600_302600_NS6detail15normal_iteratorINS8_10device_ptrIyEEEESD_jNS1_19radix_merge_compareILb0ELb0EyNS0_19identity_decomposerEEEEE10hipError_tT0_T1_T2_jT3_P12ihipStream_tbPNSt15iterator_traitsISI_E10value_typeEPNSO_ISJ_E10value_typeEPSK_NS1_7vsmem_tEENKUlT_SI_SJ_SK_E_clIPySD_S10_SD_EESH_SX_SI_SJ_SK_EUlSX_E_NS1_11comp_targetILNS1_3genE8ELNS1_11target_archE1030ELNS1_3gpuE2ELNS1_3repE0EEENS1_48merge_mergepath_partition_config_static_selectorELNS0_4arch9wavefront6targetE1EEEvSJ_
	.p2align	8
	.type	_ZN7rocprim17ROCPRIM_400000_NS6detail17trampoline_kernelINS0_14default_configENS1_38merge_sort_block_merge_config_selectorIyyEEZZNS1_27merge_sort_block_merge_implIS3_N6thrust23THRUST_200600_302600_NS6detail15normal_iteratorINS8_10device_ptrIyEEEESD_jNS1_19radix_merge_compareILb0ELb0EyNS0_19identity_decomposerEEEEE10hipError_tT0_T1_T2_jT3_P12ihipStream_tbPNSt15iterator_traitsISI_E10value_typeEPNSO_ISJ_E10value_typeEPSK_NS1_7vsmem_tEENKUlT_SI_SJ_SK_E_clIPySD_S10_SD_EESH_SX_SI_SJ_SK_EUlSX_E_NS1_11comp_targetILNS1_3genE8ELNS1_11target_archE1030ELNS1_3gpuE2ELNS1_3repE0EEENS1_48merge_mergepath_partition_config_static_selectorELNS0_4arch9wavefront6targetE1EEEvSJ_,@function
_ZN7rocprim17ROCPRIM_400000_NS6detail17trampoline_kernelINS0_14default_configENS1_38merge_sort_block_merge_config_selectorIyyEEZZNS1_27merge_sort_block_merge_implIS3_N6thrust23THRUST_200600_302600_NS6detail15normal_iteratorINS8_10device_ptrIyEEEESD_jNS1_19radix_merge_compareILb0ELb0EyNS0_19identity_decomposerEEEEE10hipError_tT0_T1_T2_jT3_P12ihipStream_tbPNSt15iterator_traitsISI_E10value_typeEPNSO_ISJ_E10value_typeEPSK_NS1_7vsmem_tEENKUlT_SI_SJ_SK_E_clIPySD_S10_SD_EESH_SX_SI_SJ_SK_EUlSX_E_NS1_11comp_targetILNS1_3genE8ELNS1_11target_archE1030ELNS1_3gpuE2ELNS1_3repE0EEENS1_48merge_mergepath_partition_config_static_selectorELNS0_4arch9wavefront6targetE1EEEvSJ_: ; @_ZN7rocprim17ROCPRIM_400000_NS6detail17trampoline_kernelINS0_14default_configENS1_38merge_sort_block_merge_config_selectorIyyEEZZNS1_27merge_sort_block_merge_implIS3_N6thrust23THRUST_200600_302600_NS6detail15normal_iteratorINS8_10device_ptrIyEEEESD_jNS1_19radix_merge_compareILb0ELb0EyNS0_19identity_decomposerEEEEE10hipError_tT0_T1_T2_jT3_P12ihipStream_tbPNSt15iterator_traitsISI_E10value_typeEPNSO_ISJ_E10value_typeEPSK_NS1_7vsmem_tEENKUlT_SI_SJ_SK_E_clIPySD_S10_SD_EESH_SX_SI_SJ_SK_EUlSX_E_NS1_11comp_targetILNS1_3genE8ELNS1_11target_archE1030ELNS1_3gpuE2ELNS1_3repE0EEENS1_48merge_mergepath_partition_config_static_selectorELNS0_4arch9wavefront6targetE1EEEvSJ_
; %bb.0:
	.section	.rodata,"a",@progbits
	.p2align	6, 0x0
	.amdhsa_kernel _ZN7rocprim17ROCPRIM_400000_NS6detail17trampoline_kernelINS0_14default_configENS1_38merge_sort_block_merge_config_selectorIyyEEZZNS1_27merge_sort_block_merge_implIS3_N6thrust23THRUST_200600_302600_NS6detail15normal_iteratorINS8_10device_ptrIyEEEESD_jNS1_19radix_merge_compareILb0ELb0EyNS0_19identity_decomposerEEEEE10hipError_tT0_T1_T2_jT3_P12ihipStream_tbPNSt15iterator_traitsISI_E10value_typeEPNSO_ISJ_E10value_typeEPSK_NS1_7vsmem_tEENKUlT_SI_SJ_SK_E_clIPySD_S10_SD_EESH_SX_SI_SJ_SK_EUlSX_E_NS1_11comp_targetILNS1_3genE8ELNS1_11target_archE1030ELNS1_3gpuE2ELNS1_3repE0EEENS1_48merge_mergepath_partition_config_static_selectorELNS0_4arch9wavefront6targetE1EEEvSJ_
		.amdhsa_group_segment_fixed_size 0
		.amdhsa_private_segment_fixed_size 0
		.amdhsa_kernarg_size 40
		.amdhsa_user_sgpr_count 2
		.amdhsa_user_sgpr_dispatch_ptr 0
		.amdhsa_user_sgpr_queue_ptr 0
		.amdhsa_user_sgpr_kernarg_segment_ptr 1
		.amdhsa_user_sgpr_dispatch_id 0
		.amdhsa_user_sgpr_kernarg_preload_length 0
		.amdhsa_user_sgpr_kernarg_preload_offset 0
		.amdhsa_user_sgpr_private_segment_size 0
		.amdhsa_uses_dynamic_stack 0
		.amdhsa_enable_private_segment 0
		.amdhsa_system_sgpr_workgroup_id_x 1
		.amdhsa_system_sgpr_workgroup_id_y 0
		.amdhsa_system_sgpr_workgroup_id_z 0
		.amdhsa_system_sgpr_workgroup_info 0
		.amdhsa_system_vgpr_workitem_id 0
		.amdhsa_next_free_vgpr 1
		.amdhsa_next_free_sgpr 0
		.amdhsa_accum_offset 4
		.amdhsa_reserve_vcc 0
		.amdhsa_float_round_mode_32 0
		.amdhsa_float_round_mode_16_64 0
		.amdhsa_float_denorm_mode_32 3
		.amdhsa_float_denorm_mode_16_64 3
		.amdhsa_dx10_clamp 1
		.amdhsa_ieee_mode 1
		.amdhsa_fp16_overflow 0
		.amdhsa_tg_split 0
		.amdhsa_exception_fp_ieee_invalid_op 0
		.amdhsa_exception_fp_denorm_src 0
		.amdhsa_exception_fp_ieee_div_zero 0
		.amdhsa_exception_fp_ieee_overflow 0
		.amdhsa_exception_fp_ieee_underflow 0
		.amdhsa_exception_fp_ieee_inexact 0
		.amdhsa_exception_int_div_zero 0
	.end_amdhsa_kernel
	.section	.text._ZN7rocprim17ROCPRIM_400000_NS6detail17trampoline_kernelINS0_14default_configENS1_38merge_sort_block_merge_config_selectorIyyEEZZNS1_27merge_sort_block_merge_implIS3_N6thrust23THRUST_200600_302600_NS6detail15normal_iteratorINS8_10device_ptrIyEEEESD_jNS1_19radix_merge_compareILb0ELb0EyNS0_19identity_decomposerEEEEE10hipError_tT0_T1_T2_jT3_P12ihipStream_tbPNSt15iterator_traitsISI_E10value_typeEPNSO_ISJ_E10value_typeEPSK_NS1_7vsmem_tEENKUlT_SI_SJ_SK_E_clIPySD_S10_SD_EESH_SX_SI_SJ_SK_EUlSX_E_NS1_11comp_targetILNS1_3genE8ELNS1_11target_archE1030ELNS1_3gpuE2ELNS1_3repE0EEENS1_48merge_mergepath_partition_config_static_selectorELNS0_4arch9wavefront6targetE1EEEvSJ_,"axG",@progbits,_ZN7rocprim17ROCPRIM_400000_NS6detail17trampoline_kernelINS0_14default_configENS1_38merge_sort_block_merge_config_selectorIyyEEZZNS1_27merge_sort_block_merge_implIS3_N6thrust23THRUST_200600_302600_NS6detail15normal_iteratorINS8_10device_ptrIyEEEESD_jNS1_19radix_merge_compareILb0ELb0EyNS0_19identity_decomposerEEEEE10hipError_tT0_T1_T2_jT3_P12ihipStream_tbPNSt15iterator_traitsISI_E10value_typeEPNSO_ISJ_E10value_typeEPSK_NS1_7vsmem_tEENKUlT_SI_SJ_SK_E_clIPySD_S10_SD_EESH_SX_SI_SJ_SK_EUlSX_E_NS1_11comp_targetILNS1_3genE8ELNS1_11target_archE1030ELNS1_3gpuE2ELNS1_3repE0EEENS1_48merge_mergepath_partition_config_static_selectorELNS0_4arch9wavefront6targetE1EEEvSJ_,comdat
.Lfunc_end403:
	.size	_ZN7rocprim17ROCPRIM_400000_NS6detail17trampoline_kernelINS0_14default_configENS1_38merge_sort_block_merge_config_selectorIyyEEZZNS1_27merge_sort_block_merge_implIS3_N6thrust23THRUST_200600_302600_NS6detail15normal_iteratorINS8_10device_ptrIyEEEESD_jNS1_19radix_merge_compareILb0ELb0EyNS0_19identity_decomposerEEEEE10hipError_tT0_T1_T2_jT3_P12ihipStream_tbPNSt15iterator_traitsISI_E10value_typeEPNSO_ISJ_E10value_typeEPSK_NS1_7vsmem_tEENKUlT_SI_SJ_SK_E_clIPySD_S10_SD_EESH_SX_SI_SJ_SK_EUlSX_E_NS1_11comp_targetILNS1_3genE8ELNS1_11target_archE1030ELNS1_3gpuE2ELNS1_3repE0EEENS1_48merge_mergepath_partition_config_static_selectorELNS0_4arch9wavefront6targetE1EEEvSJ_, .Lfunc_end403-_ZN7rocprim17ROCPRIM_400000_NS6detail17trampoline_kernelINS0_14default_configENS1_38merge_sort_block_merge_config_selectorIyyEEZZNS1_27merge_sort_block_merge_implIS3_N6thrust23THRUST_200600_302600_NS6detail15normal_iteratorINS8_10device_ptrIyEEEESD_jNS1_19radix_merge_compareILb0ELb0EyNS0_19identity_decomposerEEEEE10hipError_tT0_T1_T2_jT3_P12ihipStream_tbPNSt15iterator_traitsISI_E10value_typeEPNSO_ISJ_E10value_typeEPSK_NS1_7vsmem_tEENKUlT_SI_SJ_SK_E_clIPySD_S10_SD_EESH_SX_SI_SJ_SK_EUlSX_E_NS1_11comp_targetILNS1_3genE8ELNS1_11target_archE1030ELNS1_3gpuE2ELNS1_3repE0EEENS1_48merge_mergepath_partition_config_static_selectorELNS0_4arch9wavefront6targetE1EEEvSJ_
                                        ; -- End function
	.set _ZN7rocprim17ROCPRIM_400000_NS6detail17trampoline_kernelINS0_14default_configENS1_38merge_sort_block_merge_config_selectorIyyEEZZNS1_27merge_sort_block_merge_implIS3_N6thrust23THRUST_200600_302600_NS6detail15normal_iteratorINS8_10device_ptrIyEEEESD_jNS1_19radix_merge_compareILb0ELb0EyNS0_19identity_decomposerEEEEE10hipError_tT0_T1_T2_jT3_P12ihipStream_tbPNSt15iterator_traitsISI_E10value_typeEPNSO_ISJ_E10value_typeEPSK_NS1_7vsmem_tEENKUlT_SI_SJ_SK_E_clIPySD_S10_SD_EESH_SX_SI_SJ_SK_EUlSX_E_NS1_11comp_targetILNS1_3genE8ELNS1_11target_archE1030ELNS1_3gpuE2ELNS1_3repE0EEENS1_48merge_mergepath_partition_config_static_selectorELNS0_4arch9wavefront6targetE1EEEvSJ_.num_vgpr, 0
	.set _ZN7rocprim17ROCPRIM_400000_NS6detail17trampoline_kernelINS0_14default_configENS1_38merge_sort_block_merge_config_selectorIyyEEZZNS1_27merge_sort_block_merge_implIS3_N6thrust23THRUST_200600_302600_NS6detail15normal_iteratorINS8_10device_ptrIyEEEESD_jNS1_19radix_merge_compareILb0ELb0EyNS0_19identity_decomposerEEEEE10hipError_tT0_T1_T2_jT3_P12ihipStream_tbPNSt15iterator_traitsISI_E10value_typeEPNSO_ISJ_E10value_typeEPSK_NS1_7vsmem_tEENKUlT_SI_SJ_SK_E_clIPySD_S10_SD_EESH_SX_SI_SJ_SK_EUlSX_E_NS1_11comp_targetILNS1_3genE8ELNS1_11target_archE1030ELNS1_3gpuE2ELNS1_3repE0EEENS1_48merge_mergepath_partition_config_static_selectorELNS0_4arch9wavefront6targetE1EEEvSJ_.num_agpr, 0
	.set _ZN7rocprim17ROCPRIM_400000_NS6detail17trampoline_kernelINS0_14default_configENS1_38merge_sort_block_merge_config_selectorIyyEEZZNS1_27merge_sort_block_merge_implIS3_N6thrust23THRUST_200600_302600_NS6detail15normal_iteratorINS8_10device_ptrIyEEEESD_jNS1_19radix_merge_compareILb0ELb0EyNS0_19identity_decomposerEEEEE10hipError_tT0_T1_T2_jT3_P12ihipStream_tbPNSt15iterator_traitsISI_E10value_typeEPNSO_ISJ_E10value_typeEPSK_NS1_7vsmem_tEENKUlT_SI_SJ_SK_E_clIPySD_S10_SD_EESH_SX_SI_SJ_SK_EUlSX_E_NS1_11comp_targetILNS1_3genE8ELNS1_11target_archE1030ELNS1_3gpuE2ELNS1_3repE0EEENS1_48merge_mergepath_partition_config_static_selectorELNS0_4arch9wavefront6targetE1EEEvSJ_.numbered_sgpr, 0
	.set _ZN7rocprim17ROCPRIM_400000_NS6detail17trampoline_kernelINS0_14default_configENS1_38merge_sort_block_merge_config_selectorIyyEEZZNS1_27merge_sort_block_merge_implIS3_N6thrust23THRUST_200600_302600_NS6detail15normal_iteratorINS8_10device_ptrIyEEEESD_jNS1_19radix_merge_compareILb0ELb0EyNS0_19identity_decomposerEEEEE10hipError_tT0_T1_T2_jT3_P12ihipStream_tbPNSt15iterator_traitsISI_E10value_typeEPNSO_ISJ_E10value_typeEPSK_NS1_7vsmem_tEENKUlT_SI_SJ_SK_E_clIPySD_S10_SD_EESH_SX_SI_SJ_SK_EUlSX_E_NS1_11comp_targetILNS1_3genE8ELNS1_11target_archE1030ELNS1_3gpuE2ELNS1_3repE0EEENS1_48merge_mergepath_partition_config_static_selectorELNS0_4arch9wavefront6targetE1EEEvSJ_.num_named_barrier, 0
	.set _ZN7rocprim17ROCPRIM_400000_NS6detail17trampoline_kernelINS0_14default_configENS1_38merge_sort_block_merge_config_selectorIyyEEZZNS1_27merge_sort_block_merge_implIS3_N6thrust23THRUST_200600_302600_NS6detail15normal_iteratorINS8_10device_ptrIyEEEESD_jNS1_19radix_merge_compareILb0ELb0EyNS0_19identity_decomposerEEEEE10hipError_tT0_T1_T2_jT3_P12ihipStream_tbPNSt15iterator_traitsISI_E10value_typeEPNSO_ISJ_E10value_typeEPSK_NS1_7vsmem_tEENKUlT_SI_SJ_SK_E_clIPySD_S10_SD_EESH_SX_SI_SJ_SK_EUlSX_E_NS1_11comp_targetILNS1_3genE8ELNS1_11target_archE1030ELNS1_3gpuE2ELNS1_3repE0EEENS1_48merge_mergepath_partition_config_static_selectorELNS0_4arch9wavefront6targetE1EEEvSJ_.private_seg_size, 0
	.set _ZN7rocprim17ROCPRIM_400000_NS6detail17trampoline_kernelINS0_14default_configENS1_38merge_sort_block_merge_config_selectorIyyEEZZNS1_27merge_sort_block_merge_implIS3_N6thrust23THRUST_200600_302600_NS6detail15normal_iteratorINS8_10device_ptrIyEEEESD_jNS1_19radix_merge_compareILb0ELb0EyNS0_19identity_decomposerEEEEE10hipError_tT0_T1_T2_jT3_P12ihipStream_tbPNSt15iterator_traitsISI_E10value_typeEPNSO_ISJ_E10value_typeEPSK_NS1_7vsmem_tEENKUlT_SI_SJ_SK_E_clIPySD_S10_SD_EESH_SX_SI_SJ_SK_EUlSX_E_NS1_11comp_targetILNS1_3genE8ELNS1_11target_archE1030ELNS1_3gpuE2ELNS1_3repE0EEENS1_48merge_mergepath_partition_config_static_selectorELNS0_4arch9wavefront6targetE1EEEvSJ_.uses_vcc, 0
	.set _ZN7rocprim17ROCPRIM_400000_NS6detail17trampoline_kernelINS0_14default_configENS1_38merge_sort_block_merge_config_selectorIyyEEZZNS1_27merge_sort_block_merge_implIS3_N6thrust23THRUST_200600_302600_NS6detail15normal_iteratorINS8_10device_ptrIyEEEESD_jNS1_19radix_merge_compareILb0ELb0EyNS0_19identity_decomposerEEEEE10hipError_tT0_T1_T2_jT3_P12ihipStream_tbPNSt15iterator_traitsISI_E10value_typeEPNSO_ISJ_E10value_typeEPSK_NS1_7vsmem_tEENKUlT_SI_SJ_SK_E_clIPySD_S10_SD_EESH_SX_SI_SJ_SK_EUlSX_E_NS1_11comp_targetILNS1_3genE8ELNS1_11target_archE1030ELNS1_3gpuE2ELNS1_3repE0EEENS1_48merge_mergepath_partition_config_static_selectorELNS0_4arch9wavefront6targetE1EEEvSJ_.uses_flat_scratch, 0
	.set _ZN7rocprim17ROCPRIM_400000_NS6detail17trampoline_kernelINS0_14default_configENS1_38merge_sort_block_merge_config_selectorIyyEEZZNS1_27merge_sort_block_merge_implIS3_N6thrust23THRUST_200600_302600_NS6detail15normal_iteratorINS8_10device_ptrIyEEEESD_jNS1_19radix_merge_compareILb0ELb0EyNS0_19identity_decomposerEEEEE10hipError_tT0_T1_T2_jT3_P12ihipStream_tbPNSt15iterator_traitsISI_E10value_typeEPNSO_ISJ_E10value_typeEPSK_NS1_7vsmem_tEENKUlT_SI_SJ_SK_E_clIPySD_S10_SD_EESH_SX_SI_SJ_SK_EUlSX_E_NS1_11comp_targetILNS1_3genE8ELNS1_11target_archE1030ELNS1_3gpuE2ELNS1_3repE0EEENS1_48merge_mergepath_partition_config_static_selectorELNS0_4arch9wavefront6targetE1EEEvSJ_.has_dyn_sized_stack, 0
	.set _ZN7rocprim17ROCPRIM_400000_NS6detail17trampoline_kernelINS0_14default_configENS1_38merge_sort_block_merge_config_selectorIyyEEZZNS1_27merge_sort_block_merge_implIS3_N6thrust23THRUST_200600_302600_NS6detail15normal_iteratorINS8_10device_ptrIyEEEESD_jNS1_19radix_merge_compareILb0ELb0EyNS0_19identity_decomposerEEEEE10hipError_tT0_T1_T2_jT3_P12ihipStream_tbPNSt15iterator_traitsISI_E10value_typeEPNSO_ISJ_E10value_typeEPSK_NS1_7vsmem_tEENKUlT_SI_SJ_SK_E_clIPySD_S10_SD_EESH_SX_SI_SJ_SK_EUlSX_E_NS1_11comp_targetILNS1_3genE8ELNS1_11target_archE1030ELNS1_3gpuE2ELNS1_3repE0EEENS1_48merge_mergepath_partition_config_static_selectorELNS0_4arch9wavefront6targetE1EEEvSJ_.has_recursion, 0
	.set _ZN7rocprim17ROCPRIM_400000_NS6detail17trampoline_kernelINS0_14default_configENS1_38merge_sort_block_merge_config_selectorIyyEEZZNS1_27merge_sort_block_merge_implIS3_N6thrust23THRUST_200600_302600_NS6detail15normal_iteratorINS8_10device_ptrIyEEEESD_jNS1_19radix_merge_compareILb0ELb0EyNS0_19identity_decomposerEEEEE10hipError_tT0_T1_T2_jT3_P12ihipStream_tbPNSt15iterator_traitsISI_E10value_typeEPNSO_ISJ_E10value_typeEPSK_NS1_7vsmem_tEENKUlT_SI_SJ_SK_E_clIPySD_S10_SD_EESH_SX_SI_SJ_SK_EUlSX_E_NS1_11comp_targetILNS1_3genE8ELNS1_11target_archE1030ELNS1_3gpuE2ELNS1_3repE0EEENS1_48merge_mergepath_partition_config_static_selectorELNS0_4arch9wavefront6targetE1EEEvSJ_.has_indirect_call, 0
	.section	.AMDGPU.csdata,"",@progbits
; Kernel info:
; codeLenInByte = 0
; TotalNumSgprs: 6
; NumVgprs: 0
; NumAgprs: 0
; TotalNumVgprs: 0
; ScratchSize: 0
; MemoryBound: 0
; FloatMode: 240
; IeeeMode: 1
; LDSByteSize: 0 bytes/workgroup (compile time only)
; SGPRBlocks: 0
; VGPRBlocks: 0
; NumSGPRsForWavesPerEU: 6
; NumVGPRsForWavesPerEU: 1
; AccumOffset: 4
; Occupancy: 8
; WaveLimiterHint : 0
; COMPUTE_PGM_RSRC2:SCRATCH_EN: 0
; COMPUTE_PGM_RSRC2:USER_SGPR: 2
; COMPUTE_PGM_RSRC2:TRAP_HANDLER: 0
; COMPUTE_PGM_RSRC2:TGID_X_EN: 1
; COMPUTE_PGM_RSRC2:TGID_Y_EN: 0
; COMPUTE_PGM_RSRC2:TGID_Z_EN: 0
; COMPUTE_PGM_RSRC2:TIDIG_COMP_CNT: 0
; COMPUTE_PGM_RSRC3_GFX90A:ACCUM_OFFSET: 0
; COMPUTE_PGM_RSRC3_GFX90A:TG_SPLIT: 0
	.section	.text._ZN7rocprim17ROCPRIM_400000_NS6detail17trampoline_kernelINS0_14default_configENS1_38merge_sort_block_merge_config_selectorIyyEEZZNS1_27merge_sort_block_merge_implIS3_N6thrust23THRUST_200600_302600_NS6detail15normal_iteratorINS8_10device_ptrIyEEEESD_jNS1_19radix_merge_compareILb0ELb0EyNS0_19identity_decomposerEEEEE10hipError_tT0_T1_T2_jT3_P12ihipStream_tbPNSt15iterator_traitsISI_E10value_typeEPNSO_ISJ_E10value_typeEPSK_NS1_7vsmem_tEENKUlT_SI_SJ_SK_E_clIPySD_S10_SD_EESH_SX_SI_SJ_SK_EUlSX_E0_NS1_11comp_targetILNS1_3genE0ELNS1_11target_archE4294967295ELNS1_3gpuE0ELNS1_3repE0EEENS1_38merge_mergepath_config_static_selectorELNS0_4arch9wavefront6targetE1EEEvSJ_,"axG",@progbits,_ZN7rocprim17ROCPRIM_400000_NS6detail17trampoline_kernelINS0_14default_configENS1_38merge_sort_block_merge_config_selectorIyyEEZZNS1_27merge_sort_block_merge_implIS3_N6thrust23THRUST_200600_302600_NS6detail15normal_iteratorINS8_10device_ptrIyEEEESD_jNS1_19radix_merge_compareILb0ELb0EyNS0_19identity_decomposerEEEEE10hipError_tT0_T1_T2_jT3_P12ihipStream_tbPNSt15iterator_traitsISI_E10value_typeEPNSO_ISJ_E10value_typeEPSK_NS1_7vsmem_tEENKUlT_SI_SJ_SK_E_clIPySD_S10_SD_EESH_SX_SI_SJ_SK_EUlSX_E0_NS1_11comp_targetILNS1_3genE0ELNS1_11target_archE4294967295ELNS1_3gpuE0ELNS1_3repE0EEENS1_38merge_mergepath_config_static_selectorELNS0_4arch9wavefront6targetE1EEEvSJ_,comdat
	.protected	_ZN7rocprim17ROCPRIM_400000_NS6detail17trampoline_kernelINS0_14default_configENS1_38merge_sort_block_merge_config_selectorIyyEEZZNS1_27merge_sort_block_merge_implIS3_N6thrust23THRUST_200600_302600_NS6detail15normal_iteratorINS8_10device_ptrIyEEEESD_jNS1_19radix_merge_compareILb0ELb0EyNS0_19identity_decomposerEEEEE10hipError_tT0_T1_T2_jT3_P12ihipStream_tbPNSt15iterator_traitsISI_E10value_typeEPNSO_ISJ_E10value_typeEPSK_NS1_7vsmem_tEENKUlT_SI_SJ_SK_E_clIPySD_S10_SD_EESH_SX_SI_SJ_SK_EUlSX_E0_NS1_11comp_targetILNS1_3genE0ELNS1_11target_archE4294967295ELNS1_3gpuE0ELNS1_3repE0EEENS1_38merge_mergepath_config_static_selectorELNS0_4arch9wavefront6targetE1EEEvSJ_ ; -- Begin function _ZN7rocprim17ROCPRIM_400000_NS6detail17trampoline_kernelINS0_14default_configENS1_38merge_sort_block_merge_config_selectorIyyEEZZNS1_27merge_sort_block_merge_implIS3_N6thrust23THRUST_200600_302600_NS6detail15normal_iteratorINS8_10device_ptrIyEEEESD_jNS1_19radix_merge_compareILb0ELb0EyNS0_19identity_decomposerEEEEE10hipError_tT0_T1_T2_jT3_P12ihipStream_tbPNSt15iterator_traitsISI_E10value_typeEPNSO_ISJ_E10value_typeEPSK_NS1_7vsmem_tEENKUlT_SI_SJ_SK_E_clIPySD_S10_SD_EESH_SX_SI_SJ_SK_EUlSX_E0_NS1_11comp_targetILNS1_3genE0ELNS1_11target_archE4294967295ELNS1_3gpuE0ELNS1_3repE0EEENS1_38merge_mergepath_config_static_selectorELNS0_4arch9wavefront6targetE1EEEvSJ_
	.globl	_ZN7rocprim17ROCPRIM_400000_NS6detail17trampoline_kernelINS0_14default_configENS1_38merge_sort_block_merge_config_selectorIyyEEZZNS1_27merge_sort_block_merge_implIS3_N6thrust23THRUST_200600_302600_NS6detail15normal_iteratorINS8_10device_ptrIyEEEESD_jNS1_19radix_merge_compareILb0ELb0EyNS0_19identity_decomposerEEEEE10hipError_tT0_T1_T2_jT3_P12ihipStream_tbPNSt15iterator_traitsISI_E10value_typeEPNSO_ISJ_E10value_typeEPSK_NS1_7vsmem_tEENKUlT_SI_SJ_SK_E_clIPySD_S10_SD_EESH_SX_SI_SJ_SK_EUlSX_E0_NS1_11comp_targetILNS1_3genE0ELNS1_11target_archE4294967295ELNS1_3gpuE0ELNS1_3repE0EEENS1_38merge_mergepath_config_static_selectorELNS0_4arch9wavefront6targetE1EEEvSJ_
	.p2align	8
	.type	_ZN7rocprim17ROCPRIM_400000_NS6detail17trampoline_kernelINS0_14default_configENS1_38merge_sort_block_merge_config_selectorIyyEEZZNS1_27merge_sort_block_merge_implIS3_N6thrust23THRUST_200600_302600_NS6detail15normal_iteratorINS8_10device_ptrIyEEEESD_jNS1_19radix_merge_compareILb0ELb0EyNS0_19identity_decomposerEEEEE10hipError_tT0_T1_T2_jT3_P12ihipStream_tbPNSt15iterator_traitsISI_E10value_typeEPNSO_ISJ_E10value_typeEPSK_NS1_7vsmem_tEENKUlT_SI_SJ_SK_E_clIPySD_S10_SD_EESH_SX_SI_SJ_SK_EUlSX_E0_NS1_11comp_targetILNS1_3genE0ELNS1_11target_archE4294967295ELNS1_3gpuE0ELNS1_3repE0EEENS1_38merge_mergepath_config_static_selectorELNS0_4arch9wavefront6targetE1EEEvSJ_,@function
_ZN7rocprim17ROCPRIM_400000_NS6detail17trampoline_kernelINS0_14default_configENS1_38merge_sort_block_merge_config_selectorIyyEEZZNS1_27merge_sort_block_merge_implIS3_N6thrust23THRUST_200600_302600_NS6detail15normal_iteratorINS8_10device_ptrIyEEEESD_jNS1_19radix_merge_compareILb0ELb0EyNS0_19identity_decomposerEEEEE10hipError_tT0_T1_T2_jT3_P12ihipStream_tbPNSt15iterator_traitsISI_E10value_typeEPNSO_ISJ_E10value_typeEPSK_NS1_7vsmem_tEENKUlT_SI_SJ_SK_E_clIPySD_S10_SD_EESH_SX_SI_SJ_SK_EUlSX_E0_NS1_11comp_targetILNS1_3genE0ELNS1_11target_archE4294967295ELNS1_3gpuE0ELNS1_3repE0EEENS1_38merge_mergepath_config_static_selectorELNS0_4arch9wavefront6targetE1EEEvSJ_: ; @_ZN7rocprim17ROCPRIM_400000_NS6detail17trampoline_kernelINS0_14default_configENS1_38merge_sort_block_merge_config_selectorIyyEEZZNS1_27merge_sort_block_merge_implIS3_N6thrust23THRUST_200600_302600_NS6detail15normal_iteratorINS8_10device_ptrIyEEEESD_jNS1_19radix_merge_compareILb0ELb0EyNS0_19identity_decomposerEEEEE10hipError_tT0_T1_T2_jT3_P12ihipStream_tbPNSt15iterator_traitsISI_E10value_typeEPNSO_ISJ_E10value_typeEPSK_NS1_7vsmem_tEENKUlT_SI_SJ_SK_E_clIPySD_S10_SD_EESH_SX_SI_SJ_SK_EUlSX_E0_NS1_11comp_targetILNS1_3genE0ELNS1_11target_archE4294967295ELNS1_3gpuE0ELNS1_3repE0EEENS1_38merge_mergepath_config_static_selectorELNS0_4arch9wavefront6targetE1EEEvSJ_
; %bb.0:
	s_load_dwordx2 s[28:29], s[0:1], 0x40
	s_load_dword s5, s[0:1], 0x30
	s_add_u32 s24, s0, 64
	s_addc_u32 s25, s1, 0
	s_waitcnt lgkmcnt(0)
	s_mul_i32 s4, s29, s4
	s_add_i32 s3, s4, s3
	s_mul_i32 s3, s3, s28
	s_add_i32 s26, s3, s2
	s_cmp_ge_u32 s26, s5
	s_cbranch_scc1 .LBB404_39
; %bb.1:
	s_load_dwordx8 s[4:11], s[0:1], 0x10
	s_load_dwordx2 s[20:21], s[0:1], 0x8
	s_load_dwordx2 s[12:13], s[0:1], 0x38
	s_mov_b32 s27, 0
	s_mov_b32 s23, s27
	s_waitcnt lgkmcnt(0)
	s_lshr_b32 s29, s10, 10
	s_cmp_lg_u32 s26, s29
	s_cselect_b64 s[14:15], -1, 0
	s_lshl_b64 s[0:1], s[26:27], 2
	s_add_u32 s0, s12, s0
	s_addc_u32 s1, s13, s1
	s_load_dwordx2 s[16:17], s[0:1], 0x0
	s_lshr_b32 s0, s11, 9
	s_and_b32 s0, s0, 0x7ffffe
	s_sub_i32 s0, 0, s0
	s_and_b32 s1, s26, s0
	s_lshl_b32 s3, s1, 10
	s_lshl_b32 s12, s26, 10
	;; [unrolled: 1-line block ×3, first 2 shown]
	s_sub_i32 s13, s12, s3
	s_add_i32 s1, s1, s11
	s_add_i32 s13, s1, s13
	s_waitcnt lgkmcnt(0)
	s_sub_i32 s18, s13, s16
	s_sub_i32 s13, s13, s17
	;; [unrolled: 1-line block ×3, first 2 shown]
	s_min_u32 s22, s10, s18
	s_addk_i32 s13, 0x400
	s_or_b32 s0, s26, s0
	s_min_u32 s3, s10, s1
	s_add_i32 s1, s1, s11
	s_cmp_eq_u32 s0, -1
	s_cselect_b32 s0, s1, s13
	s_cselect_b32 s1, s3, s17
	s_mov_b32 s17, s27
	s_min_u32 s13, s0, s10
	s_sub_i32 s11, s1, s16
	s_lshl_b64 s[0:1], s[16:17], 3
	s_add_u32 s18, s20, s0
	s_addc_u32 s19, s21, s1
	s_lshl_b64 s[16:17], s[22:23], 3
	s_add_u32 s20, s20, s16
	s_addc_u32 s21, s21, s17
	s_cmp_lt_u32 s2, s28
	v_mov_b32_e32 v3, 0
	s_cselect_b32 s2, 12, 18
	global_load_dword v1, v3, s[24:25] offset:14
	s_add_u32 s2, s24, s2
	s_addc_u32 s3, s25, 0
	global_load_ushort v2, v3, s[2:3]
	s_cmp_eq_u32 s26, s29
	s_waitcnt vmcnt(1)
	v_lshrrev_b32_e32 v4, 16, v1
	v_and_b32_e32 v1, 0xffff, v1
	v_mul_lo_u32 v1, v1, v4
	s_waitcnt vmcnt(0)
	v_mul_lo_u32 v1, v1, v2
	v_lshlrev_b32_e32 v2, 3, v0
	v_add_u32_e32 v12, v1, v0
	s_cbranch_scc1 .LBB404_3
; %bb.2:
	v_subrev_co_u32_e32 v6, vcc, s11, v0
	v_mov_b32_e32 v7, v3
	v_lshl_add_u64 v[4:5], s[18:19], 0, v[2:3]
	v_lshl_add_u64 v[6:7], v[6:7], 3, s[20:21]
	v_cndmask_b32_e32 v5, v7, v5, vcc
	v_cndmask_b32_e32 v4, v6, v4, vcc
	global_load_dwordx2 v[4:5], v[4:5], off
	v_add_u32_e32 v8, v1, v0
	s_mov_b64 s[2:3], -1
	s_sub_i32 s24, s13, s22
	s_cbranch_execz .LBB404_4
	s_branch .LBB404_7
.LBB404_3:
	s_mov_b64 s[2:3], 0
                                        ; implicit-def: $vgpr8
                                        ; implicit-def: $vgpr4_vgpr5
	s_sub_i32 s24, s13, s22
.LBB404_4:
	s_add_i32 s13, s24, s11
	v_cmp_gt_u32_e32 vcc, s13, v0
	s_waitcnt vmcnt(0)
	v_mov_b64_e32 v[4:5], 0
	s_and_saveexec_b64 s[2:3], vcc
	s_cbranch_execz .LBB404_6
; %bb.5:
	v_mov_b32_e32 v3, 0
	v_subrev_co_u32_e32 v6, vcc, s11, v0
	v_mov_b32_e32 v7, v3
	v_lshl_add_u64 v[4:5], s[18:19], 0, v[2:3]
	v_lshl_add_u64 v[6:7], v[6:7], 3, s[20:21]
	v_cndmask_b32_e32 v5, v7, v5, vcc
	v_cndmask_b32_e32 v4, v6, v4, vcc
	global_load_dwordx2 v[4:5], v[4:5], off
.LBB404_6:
	s_or_b64 exec, exec, s[2:3]
	v_cmp_gt_u32_e64 s[2:3], s13, v12
	v_mov_b32_e32 v8, v12
.LBB404_7:
	v_mov_b64_e32 v[6:7], 0
	s_and_saveexec_b64 s[22:23], s[2:3]
	s_cbranch_execz .LBB404_9
; %bb.8:
	v_mov_b32_e32 v9, 0
	v_lshl_add_u64 v[6:7], v[8:9], 3, s[18:19]
	v_subrev_co_u32_e32 v8, vcc, s11, v8
	v_lshl_add_u64 v[8:9], v[8:9], 3, s[20:21]
	s_nop 0
	v_cndmask_b32_e32 v7, v9, v7, vcc
	v_cndmask_b32_e32 v6, v8, v6, vcc
	global_load_dwordx2 v[6:7], v[6:7], off
.LBB404_9:
	s_or_b64 exec, exec, s[22:23]
	s_add_u32 s0, s6, s0
	s_addc_u32 s1, s7, s1
	s_add_u32 s2, s6, s16
	v_mov_b32_e32 v3, 0
	s_addc_u32 s3, s7, s17
	s_andn2_b64 vcc, exec, s[14:15]
	s_waitcnt vmcnt(0)
	ds_write2st64_b64 v2, v[4:5], v[6:7] offset1:8
	s_cbranch_vccnz .LBB404_11
; %bb.10:
	v_subrev_co_u32_e32 v10, vcc, s11, v0
	v_mov_b32_e32 v11, v3
	v_lshl_add_u64 v[8:9], s[0:1], 0, v[2:3]
	v_lshl_add_u64 v[10:11], v[10:11], 3, s[2:3]
	v_cndmask_b32_e32 v9, v11, v9, vcc
	v_cndmask_b32_e32 v8, v10, v8, vcc
	v_mov_b32_e32 v13, v3
	v_subrev_co_u32_e32 v14, vcc, s11, v12
	v_mov_b32_e32 v15, v3
	v_lshl_add_u64 v[10:11], v[12:13], 3, s[0:1]
	v_lshl_add_u64 v[14:15], v[14:15], 3, s[2:3]
	v_cndmask_b32_e32 v11, v15, v11, vcc
	v_cndmask_b32_e32 v10, v14, v10, vcc
	global_load_dwordx2 v[8:9], v[8:9], off
	s_add_i32 s13, s24, s11
	global_load_dwordx2 v[10:11], v[10:11], off
	s_cbranch_execz .LBB404_12
	s_branch .LBB404_17
.LBB404_11:
                                        ; implicit-def: $vgpr10_vgpr11
                                        ; implicit-def: $vgpr8_vgpr9
                                        ; implicit-def: $sgpr13
.LBB404_12:
	s_add_i32 s13, s24, s11
	v_cmp_gt_u32_e32 vcc, s13, v0
	s_waitcnt vmcnt(0)
	v_mov_b64_e32 v[10:11], 0
	v_mov_b64_e32 v[8:9], 0
	s_and_saveexec_b64 s[6:7], vcc
	s_cbranch_execz .LBB404_14
; %bb.13:
	v_mov_b32_e32 v3, 0
	v_subrev_co_u32_e32 v14, vcc, s11, v0
	v_mov_b32_e32 v15, v3
	v_lshl_add_u64 v[8:9], s[0:1], 0, v[2:3]
	v_lshl_add_u64 v[14:15], v[14:15], 3, s[2:3]
	v_cndmask_b32_e32 v9, v15, v9, vcc
	v_cndmask_b32_e32 v8, v14, v8, vcc
	global_load_dwordx2 v[8:9], v[8:9], off
.LBB404_14:
	s_or_b64 exec, exec, s[6:7]
	v_cmp_gt_u32_e32 vcc, s13, v12
	s_and_saveexec_b64 s[6:7], vcc
	s_cbranch_execz .LBB404_16
; %bb.15:
	v_mov_b32_e32 v13, 0
	v_lshl_add_u64 v[10:11], v[12:13], 3, s[0:1]
	v_subrev_co_u32_e32 v12, vcc, s11, v12
	v_lshl_add_u64 v[12:13], v[12:13], 3, s[2:3]
	s_nop 0
	v_cndmask_b32_e32 v11, v13, v11, vcc
	v_cndmask_b32_e32 v10, v12, v10, vcc
	global_load_dwordx2 v[10:11], v[10:11], off
.LBB404_16:
	s_or_b64 exec, exec, s[6:7]
.LBB404_17:
	v_lshlrev_b32_e32 v1, 1, v0
	v_min_u32_e32 v12, s13, v1
	v_sub_u32_e64 v3, v12, s24 clamp
	v_min_u32_e32 v13, s11, v12
	v_cmp_lt_u32_e32 vcc, v3, v13
	s_waitcnt lgkmcnt(0)
	s_barrier
	s_and_saveexec_b64 s[0:1], vcc
	s_cbranch_execz .LBB404_21
; %bb.18:
	v_lshlrev_b32_e32 v14, 3, v12
	v_lshl_add_u32 v14, s11, 3, v14
	s_mov_b64 s[2:3], 0
.LBB404_19:                             ; =>This Inner Loop Header: Depth=1
	v_add_u32_e32 v15, v13, v3
	v_lshrrev_b32_e32 v15, 1, v15
	v_not_b32_e32 v16, v15
	v_lshlrev_b32_e32 v17, 3, v15
	v_lshl_add_u32 v18, v16, 3, v14
	ds_read_b64 v[16:17], v17
	ds_read_b64 v[18:19], v18
	v_add_u32_e32 v20, 1, v15
	s_waitcnt lgkmcnt(0)
	v_cmp_gt_u64_e32 vcc, v[16:17], v[18:19]
	s_nop 1
	v_cndmask_b32_e32 v13, v13, v15, vcc
	v_cndmask_b32_e32 v3, v20, v3, vcc
	v_cmp_ge_u32_e32 vcc, v3, v13
	s_or_b64 s[2:3], vcc, s[2:3]
	s_andn2_b64 exec, exec, s[2:3]
	s_cbranch_execnz .LBB404_19
; %bb.20:
	s_or_b64 exec, exec, s[2:3]
.LBB404_21:
	s_or_b64 exec, exec, s[0:1]
	v_sub_u32_e32 v12, v12, v3
	v_add_u32_e32 v14, s11, v12
	v_cmp_ge_u32_e32 vcc, s11, v3
	v_cmp_ge_u32_e64 s[0:1], s13, v14
	s_or_b64 s[0:1], vcc, s[0:1]
	v_mov_b32_e32 v12, 0
	v_mov_b32_e32 v15, 0
	s_and_saveexec_b64 s[6:7], s[0:1]
	s_cbranch_execz .LBB404_27
; %bb.22:
	v_cmp_gt_u32_e32 vcc, s11, v3
                                        ; implicit-def: $vgpr6_vgpr7
	s_and_saveexec_b64 s[0:1], vcc
; %bb.23:
	v_lshlrev_b32_e32 v4, 3, v3
	ds_read_b64 v[6:7], v4
; %bb.24:
	s_or_b64 exec, exec, s[0:1]
	v_cmp_le_u32_e64 s[0:1], s13, v14
	v_cmp_gt_u32_e64 s[2:3], s13, v14
                                        ; implicit-def: $vgpr12_vgpr13
	s_and_saveexec_b64 s[16:17], s[2:3]
; %bb.25:
	v_lshlrev_b32_e32 v4, 3, v14
	ds_read_b64 v[12:13], v4
; %bb.26:
	s_or_b64 exec, exec, s[16:17]
	s_waitcnt lgkmcnt(0)
	v_cmp_le_u64_e64 s[2:3], v[6:7], v[12:13]
	s_and_b64 s[2:3], vcc, s[2:3]
	s_or_b64 vcc, s[0:1], s[2:3]
	v_mov_b32_e32 v4, s13
	v_mov_b32_e32 v5, s11
	v_cndmask_b32_e32 v15, v14, v3, vcc
	v_cndmask_b32_e32 v4, v4, v5, vcc
	v_add_u32_e32 v20, 1, v15
	v_add_u32_e32 v4, -1, v4
	v_min_u32_e32 v4, v20, v4
	v_lshlrev_b32_e32 v4, 3, v4
	ds_read_b64 v[16:17], v4
	v_cndmask_b32_e32 v5, v13, v7, vcc
	v_cndmask_b32_e32 v4, v12, v6, vcc
	;; [unrolled: 1-line block ×3, first 2 shown]
	v_cmp_gt_u32_e64 s[0:1], s11, v3
	s_waitcnt lgkmcnt(0)
	v_cndmask_b32_e32 v19, v17, v13, vcc
	v_cndmask_b32_e32 v18, v16, v12, vcc
	;; [unrolled: 1-line block ×5, first 2 shown]
	v_cmp_le_u64_e64 s[2:3], v[6:7], v[18:19]
	v_cmp_le_u32_e32 vcc, s13, v12
	s_and_b64 s[0:1], s[0:1], s[2:3]
	s_or_b64 vcc, vcc, s[0:1]
	v_cndmask_b32_e32 v12, v12, v3, vcc
	v_cndmask_b32_e32 v7, v19, v7, vcc
	v_cndmask_b32_e32 v6, v18, v6, vcc
.LBB404_27:
	s_or_b64 exec, exec, s[6:7]
	s_barrier
	s_waitcnt vmcnt(0)
	ds_write2st64_b64 v2, v[8:9], v[10:11] offset1:8
	v_lshlrev_b32_e32 v3, 3, v15
	v_lshlrev_b32_e32 v10, 3, v12
	s_waitcnt lgkmcnt(0)
	s_barrier
	ds_read_b64 v[8:9], v3
	ds_read_b64 v[10:11], v10
	v_lshrrev_b32_e32 v3, 1, v0
	s_mov_b32 s13, 0
	v_and_b32_e32 v3, 0xf8, v3
	v_or_b32_e32 v14, 0x200, v0
	s_lshl_b64 s[2:3], s[12:13], 3
	v_lshl_add_u32 v12, v1, 3, v3
	v_lshrrev_b32_e32 v3, 2, v14
	s_add_u32 s0, s4, s2
	v_lshrrev_b32_e32 v1, 2, v0
	v_and_b32_e32 v3, 0xf8, v3
	s_addc_u32 s1, s5, s3
	v_and_b32_e32 v1, 0x78, v1
	v_add_u32_e32 v13, v3, v2
	v_mov_b32_e32 v3, 0
	s_waitcnt lgkmcnt(0)
	s_barrier
	s_barrier
	ds_write2_b64 v12, v[4:5], v[6:7] offset1:1
	v_add_u32_e32 v1, v1, v2
	v_lshl_add_u64 v[4:5], s[0:1], 0, v[2:3]
	s_and_b64 vcc, exec, s[14:15]
	s_waitcnt lgkmcnt(0)
	s_cbranch_vccz .LBB404_29
; %bb.28:
	s_barrier
	ds_read_b64 v[6:7], v1
	ds_read_b64 v[16:17], v13 offset:4096
	s_add_u32 s0, s8, s2
	s_addc_u32 s1, s9, s3
	s_mov_b64 s[4:5], -1
	s_waitcnt lgkmcnt(1)
	global_store_dwordx2 v[4:5], v[6:7], off
	v_add_co_u32_e32 v6, vcc, 0x1000, v4
	s_nop 1
	v_addc_co_u32_e32 v7, vcc, 0, v5, vcc
	s_waitcnt lgkmcnt(0)
	global_store_dwordx2 v[6:7], v[16:17], off
	s_barrier
	ds_write2_b64 v12, v[8:9], v[10:11] offset1:1
	s_waitcnt lgkmcnt(0)
	s_barrier
	ds_read_b64 v[16:17], v1
	ds_read_b64 v[6:7], v13 offset:4096
	s_waitcnt lgkmcnt(1)
	global_store_dwordx2 v2, v[16:17], s[0:1]
	s_cbranch_execz .LBB404_30
	s_branch .LBB404_37
.LBB404_29:
	s_mov_b64 s[4:5], 0
                                        ; implicit-def: $vgpr6_vgpr7
.LBB404_30:
	s_barrier
	s_waitcnt lgkmcnt(0)
	ds_read_b64 v[6:7], v13 offset:4096
	s_sub_i32 s6, s10, s12
	v_cmp_gt_u32_e64 s[0:1], s6, v0
	s_and_saveexec_b64 s[4:5], s[0:1]
	s_cbranch_execz .LBB404_32
; %bb.31:
	ds_read_b64 v[16:17], v1
	s_waitcnt lgkmcnt(0)
	global_store_dwordx2 v[4:5], v[16:17], off
.LBB404_32:
	s_or_b64 exec, exec, s[4:5]
	v_cmp_gt_u32_e64 s[4:5], s6, v14
	s_and_saveexec_b64 s[6:7], s[4:5]
	s_cbranch_execz .LBB404_34
; %bb.33:
	v_add_co_u32_e32 v4, vcc, 0x1000, v4
	s_nop 1
	v_addc_co_u32_e32 v5, vcc, 0, v5, vcc
	s_waitcnt lgkmcnt(0)
	global_store_dwordx2 v[4:5], v[6:7], off
.LBB404_34:
	s_or_b64 exec, exec, s[6:7]
	s_waitcnt lgkmcnt(0)
	s_barrier
	ds_write2_b64 v12, v[8:9], v[10:11] offset1:1
	s_waitcnt lgkmcnt(0)
	s_barrier
	ds_read_b64 v[6:7], v13 offset:4096
	s_and_saveexec_b64 s[6:7], s[0:1]
	s_cbranch_execz .LBB404_36
; %bb.35:
	ds_read_b64 v[0:1], v1
	s_add_u32 s0, s8, s2
	s_addc_u32 s1, s9, s3
	s_waitcnt lgkmcnt(0)
	global_store_dwordx2 v2, v[0:1], s[0:1]
.LBB404_36:
	s_or_b64 exec, exec, s[6:7]
.LBB404_37:
	s_and_saveexec_b64 s[0:1], s[4:5]
	s_cbranch_execz .LBB404_39
; %bb.38:
	s_add_u32 s0, s8, s2
	s_addc_u32 s1, s9, s3
	v_mov_b32_e32 v3, 0
	v_lshl_add_u64 v[0:1], s[0:1], 0, v[2:3]
	v_add_co_u32_e32 v0, vcc, 0x1000, v0
	s_nop 1
	v_addc_co_u32_e32 v1, vcc, 0, v1, vcc
	s_waitcnt lgkmcnt(0)
	global_store_dwordx2 v[0:1], v[6:7], off
.LBB404_39:
	s_endpgm
	.section	.rodata,"a",@progbits
	.p2align	6, 0x0
	.amdhsa_kernel _ZN7rocprim17ROCPRIM_400000_NS6detail17trampoline_kernelINS0_14default_configENS1_38merge_sort_block_merge_config_selectorIyyEEZZNS1_27merge_sort_block_merge_implIS3_N6thrust23THRUST_200600_302600_NS6detail15normal_iteratorINS8_10device_ptrIyEEEESD_jNS1_19radix_merge_compareILb0ELb0EyNS0_19identity_decomposerEEEEE10hipError_tT0_T1_T2_jT3_P12ihipStream_tbPNSt15iterator_traitsISI_E10value_typeEPNSO_ISJ_E10value_typeEPSK_NS1_7vsmem_tEENKUlT_SI_SJ_SK_E_clIPySD_S10_SD_EESH_SX_SI_SJ_SK_EUlSX_E0_NS1_11comp_targetILNS1_3genE0ELNS1_11target_archE4294967295ELNS1_3gpuE0ELNS1_3repE0EEENS1_38merge_mergepath_config_static_selectorELNS0_4arch9wavefront6targetE1EEEvSJ_
		.amdhsa_group_segment_fixed_size 8448
		.amdhsa_private_segment_fixed_size 0
		.amdhsa_kernarg_size 320
		.amdhsa_user_sgpr_count 2
		.amdhsa_user_sgpr_dispatch_ptr 0
		.amdhsa_user_sgpr_queue_ptr 0
		.amdhsa_user_sgpr_kernarg_segment_ptr 1
		.amdhsa_user_sgpr_dispatch_id 0
		.amdhsa_user_sgpr_kernarg_preload_length 0
		.amdhsa_user_sgpr_kernarg_preload_offset 0
		.amdhsa_user_sgpr_private_segment_size 0
		.amdhsa_uses_dynamic_stack 0
		.amdhsa_enable_private_segment 0
		.amdhsa_system_sgpr_workgroup_id_x 1
		.amdhsa_system_sgpr_workgroup_id_y 1
		.amdhsa_system_sgpr_workgroup_id_z 1
		.amdhsa_system_sgpr_workgroup_info 0
		.amdhsa_system_vgpr_workitem_id 0
		.amdhsa_next_free_vgpr 21
		.amdhsa_next_free_sgpr 30
		.amdhsa_accum_offset 24
		.amdhsa_reserve_vcc 1
		.amdhsa_float_round_mode_32 0
		.amdhsa_float_round_mode_16_64 0
		.amdhsa_float_denorm_mode_32 3
		.amdhsa_float_denorm_mode_16_64 3
		.amdhsa_dx10_clamp 1
		.amdhsa_ieee_mode 1
		.amdhsa_fp16_overflow 0
		.amdhsa_tg_split 0
		.amdhsa_exception_fp_ieee_invalid_op 0
		.amdhsa_exception_fp_denorm_src 0
		.amdhsa_exception_fp_ieee_div_zero 0
		.amdhsa_exception_fp_ieee_overflow 0
		.amdhsa_exception_fp_ieee_underflow 0
		.amdhsa_exception_fp_ieee_inexact 0
		.amdhsa_exception_int_div_zero 0
	.end_amdhsa_kernel
	.section	.text._ZN7rocprim17ROCPRIM_400000_NS6detail17trampoline_kernelINS0_14default_configENS1_38merge_sort_block_merge_config_selectorIyyEEZZNS1_27merge_sort_block_merge_implIS3_N6thrust23THRUST_200600_302600_NS6detail15normal_iteratorINS8_10device_ptrIyEEEESD_jNS1_19radix_merge_compareILb0ELb0EyNS0_19identity_decomposerEEEEE10hipError_tT0_T1_T2_jT3_P12ihipStream_tbPNSt15iterator_traitsISI_E10value_typeEPNSO_ISJ_E10value_typeEPSK_NS1_7vsmem_tEENKUlT_SI_SJ_SK_E_clIPySD_S10_SD_EESH_SX_SI_SJ_SK_EUlSX_E0_NS1_11comp_targetILNS1_3genE0ELNS1_11target_archE4294967295ELNS1_3gpuE0ELNS1_3repE0EEENS1_38merge_mergepath_config_static_selectorELNS0_4arch9wavefront6targetE1EEEvSJ_,"axG",@progbits,_ZN7rocprim17ROCPRIM_400000_NS6detail17trampoline_kernelINS0_14default_configENS1_38merge_sort_block_merge_config_selectorIyyEEZZNS1_27merge_sort_block_merge_implIS3_N6thrust23THRUST_200600_302600_NS6detail15normal_iteratorINS8_10device_ptrIyEEEESD_jNS1_19radix_merge_compareILb0ELb0EyNS0_19identity_decomposerEEEEE10hipError_tT0_T1_T2_jT3_P12ihipStream_tbPNSt15iterator_traitsISI_E10value_typeEPNSO_ISJ_E10value_typeEPSK_NS1_7vsmem_tEENKUlT_SI_SJ_SK_E_clIPySD_S10_SD_EESH_SX_SI_SJ_SK_EUlSX_E0_NS1_11comp_targetILNS1_3genE0ELNS1_11target_archE4294967295ELNS1_3gpuE0ELNS1_3repE0EEENS1_38merge_mergepath_config_static_selectorELNS0_4arch9wavefront6targetE1EEEvSJ_,comdat
.Lfunc_end404:
	.size	_ZN7rocprim17ROCPRIM_400000_NS6detail17trampoline_kernelINS0_14default_configENS1_38merge_sort_block_merge_config_selectorIyyEEZZNS1_27merge_sort_block_merge_implIS3_N6thrust23THRUST_200600_302600_NS6detail15normal_iteratorINS8_10device_ptrIyEEEESD_jNS1_19radix_merge_compareILb0ELb0EyNS0_19identity_decomposerEEEEE10hipError_tT0_T1_T2_jT3_P12ihipStream_tbPNSt15iterator_traitsISI_E10value_typeEPNSO_ISJ_E10value_typeEPSK_NS1_7vsmem_tEENKUlT_SI_SJ_SK_E_clIPySD_S10_SD_EESH_SX_SI_SJ_SK_EUlSX_E0_NS1_11comp_targetILNS1_3genE0ELNS1_11target_archE4294967295ELNS1_3gpuE0ELNS1_3repE0EEENS1_38merge_mergepath_config_static_selectorELNS0_4arch9wavefront6targetE1EEEvSJ_, .Lfunc_end404-_ZN7rocprim17ROCPRIM_400000_NS6detail17trampoline_kernelINS0_14default_configENS1_38merge_sort_block_merge_config_selectorIyyEEZZNS1_27merge_sort_block_merge_implIS3_N6thrust23THRUST_200600_302600_NS6detail15normal_iteratorINS8_10device_ptrIyEEEESD_jNS1_19radix_merge_compareILb0ELb0EyNS0_19identity_decomposerEEEEE10hipError_tT0_T1_T2_jT3_P12ihipStream_tbPNSt15iterator_traitsISI_E10value_typeEPNSO_ISJ_E10value_typeEPSK_NS1_7vsmem_tEENKUlT_SI_SJ_SK_E_clIPySD_S10_SD_EESH_SX_SI_SJ_SK_EUlSX_E0_NS1_11comp_targetILNS1_3genE0ELNS1_11target_archE4294967295ELNS1_3gpuE0ELNS1_3repE0EEENS1_38merge_mergepath_config_static_selectorELNS0_4arch9wavefront6targetE1EEEvSJ_
                                        ; -- End function
	.set _ZN7rocprim17ROCPRIM_400000_NS6detail17trampoline_kernelINS0_14default_configENS1_38merge_sort_block_merge_config_selectorIyyEEZZNS1_27merge_sort_block_merge_implIS3_N6thrust23THRUST_200600_302600_NS6detail15normal_iteratorINS8_10device_ptrIyEEEESD_jNS1_19radix_merge_compareILb0ELb0EyNS0_19identity_decomposerEEEEE10hipError_tT0_T1_T2_jT3_P12ihipStream_tbPNSt15iterator_traitsISI_E10value_typeEPNSO_ISJ_E10value_typeEPSK_NS1_7vsmem_tEENKUlT_SI_SJ_SK_E_clIPySD_S10_SD_EESH_SX_SI_SJ_SK_EUlSX_E0_NS1_11comp_targetILNS1_3genE0ELNS1_11target_archE4294967295ELNS1_3gpuE0ELNS1_3repE0EEENS1_38merge_mergepath_config_static_selectorELNS0_4arch9wavefront6targetE1EEEvSJ_.num_vgpr, 21
	.set _ZN7rocprim17ROCPRIM_400000_NS6detail17trampoline_kernelINS0_14default_configENS1_38merge_sort_block_merge_config_selectorIyyEEZZNS1_27merge_sort_block_merge_implIS3_N6thrust23THRUST_200600_302600_NS6detail15normal_iteratorINS8_10device_ptrIyEEEESD_jNS1_19radix_merge_compareILb0ELb0EyNS0_19identity_decomposerEEEEE10hipError_tT0_T1_T2_jT3_P12ihipStream_tbPNSt15iterator_traitsISI_E10value_typeEPNSO_ISJ_E10value_typeEPSK_NS1_7vsmem_tEENKUlT_SI_SJ_SK_E_clIPySD_S10_SD_EESH_SX_SI_SJ_SK_EUlSX_E0_NS1_11comp_targetILNS1_3genE0ELNS1_11target_archE4294967295ELNS1_3gpuE0ELNS1_3repE0EEENS1_38merge_mergepath_config_static_selectorELNS0_4arch9wavefront6targetE1EEEvSJ_.num_agpr, 0
	.set _ZN7rocprim17ROCPRIM_400000_NS6detail17trampoline_kernelINS0_14default_configENS1_38merge_sort_block_merge_config_selectorIyyEEZZNS1_27merge_sort_block_merge_implIS3_N6thrust23THRUST_200600_302600_NS6detail15normal_iteratorINS8_10device_ptrIyEEEESD_jNS1_19radix_merge_compareILb0ELb0EyNS0_19identity_decomposerEEEEE10hipError_tT0_T1_T2_jT3_P12ihipStream_tbPNSt15iterator_traitsISI_E10value_typeEPNSO_ISJ_E10value_typeEPSK_NS1_7vsmem_tEENKUlT_SI_SJ_SK_E_clIPySD_S10_SD_EESH_SX_SI_SJ_SK_EUlSX_E0_NS1_11comp_targetILNS1_3genE0ELNS1_11target_archE4294967295ELNS1_3gpuE0ELNS1_3repE0EEENS1_38merge_mergepath_config_static_selectorELNS0_4arch9wavefront6targetE1EEEvSJ_.numbered_sgpr, 30
	.set _ZN7rocprim17ROCPRIM_400000_NS6detail17trampoline_kernelINS0_14default_configENS1_38merge_sort_block_merge_config_selectorIyyEEZZNS1_27merge_sort_block_merge_implIS3_N6thrust23THRUST_200600_302600_NS6detail15normal_iteratorINS8_10device_ptrIyEEEESD_jNS1_19radix_merge_compareILb0ELb0EyNS0_19identity_decomposerEEEEE10hipError_tT0_T1_T2_jT3_P12ihipStream_tbPNSt15iterator_traitsISI_E10value_typeEPNSO_ISJ_E10value_typeEPSK_NS1_7vsmem_tEENKUlT_SI_SJ_SK_E_clIPySD_S10_SD_EESH_SX_SI_SJ_SK_EUlSX_E0_NS1_11comp_targetILNS1_3genE0ELNS1_11target_archE4294967295ELNS1_3gpuE0ELNS1_3repE0EEENS1_38merge_mergepath_config_static_selectorELNS0_4arch9wavefront6targetE1EEEvSJ_.num_named_barrier, 0
	.set _ZN7rocprim17ROCPRIM_400000_NS6detail17trampoline_kernelINS0_14default_configENS1_38merge_sort_block_merge_config_selectorIyyEEZZNS1_27merge_sort_block_merge_implIS3_N6thrust23THRUST_200600_302600_NS6detail15normal_iteratorINS8_10device_ptrIyEEEESD_jNS1_19radix_merge_compareILb0ELb0EyNS0_19identity_decomposerEEEEE10hipError_tT0_T1_T2_jT3_P12ihipStream_tbPNSt15iterator_traitsISI_E10value_typeEPNSO_ISJ_E10value_typeEPSK_NS1_7vsmem_tEENKUlT_SI_SJ_SK_E_clIPySD_S10_SD_EESH_SX_SI_SJ_SK_EUlSX_E0_NS1_11comp_targetILNS1_3genE0ELNS1_11target_archE4294967295ELNS1_3gpuE0ELNS1_3repE0EEENS1_38merge_mergepath_config_static_selectorELNS0_4arch9wavefront6targetE1EEEvSJ_.private_seg_size, 0
	.set _ZN7rocprim17ROCPRIM_400000_NS6detail17trampoline_kernelINS0_14default_configENS1_38merge_sort_block_merge_config_selectorIyyEEZZNS1_27merge_sort_block_merge_implIS3_N6thrust23THRUST_200600_302600_NS6detail15normal_iteratorINS8_10device_ptrIyEEEESD_jNS1_19radix_merge_compareILb0ELb0EyNS0_19identity_decomposerEEEEE10hipError_tT0_T1_T2_jT3_P12ihipStream_tbPNSt15iterator_traitsISI_E10value_typeEPNSO_ISJ_E10value_typeEPSK_NS1_7vsmem_tEENKUlT_SI_SJ_SK_E_clIPySD_S10_SD_EESH_SX_SI_SJ_SK_EUlSX_E0_NS1_11comp_targetILNS1_3genE0ELNS1_11target_archE4294967295ELNS1_3gpuE0ELNS1_3repE0EEENS1_38merge_mergepath_config_static_selectorELNS0_4arch9wavefront6targetE1EEEvSJ_.uses_vcc, 1
	.set _ZN7rocprim17ROCPRIM_400000_NS6detail17trampoline_kernelINS0_14default_configENS1_38merge_sort_block_merge_config_selectorIyyEEZZNS1_27merge_sort_block_merge_implIS3_N6thrust23THRUST_200600_302600_NS6detail15normal_iteratorINS8_10device_ptrIyEEEESD_jNS1_19radix_merge_compareILb0ELb0EyNS0_19identity_decomposerEEEEE10hipError_tT0_T1_T2_jT3_P12ihipStream_tbPNSt15iterator_traitsISI_E10value_typeEPNSO_ISJ_E10value_typeEPSK_NS1_7vsmem_tEENKUlT_SI_SJ_SK_E_clIPySD_S10_SD_EESH_SX_SI_SJ_SK_EUlSX_E0_NS1_11comp_targetILNS1_3genE0ELNS1_11target_archE4294967295ELNS1_3gpuE0ELNS1_3repE0EEENS1_38merge_mergepath_config_static_selectorELNS0_4arch9wavefront6targetE1EEEvSJ_.uses_flat_scratch, 0
	.set _ZN7rocprim17ROCPRIM_400000_NS6detail17trampoline_kernelINS0_14default_configENS1_38merge_sort_block_merge_config_selectorIyyEEZZNS1_27merge_sort_block_merge_implIS3_N6thrust23THRUST_200600_302600_NS6detail15normal_iteratorINS8_10device_ptrIyEEEESD_jNS1_19radix_merge_compareILb0ELb0EyNS0_19identity_decomposerEEEEE10hipError_tT0_T1_T2_jT3_P12ihipStream_tbPNSt15iterator_traitsISI_E10value_typeEPNSO_ISJ_E10value_typeEPSK_NS1_7vsmem_tEENKUlT_SI_SJ_SK_E_clIPySD_S10_SD_EESH_SX_SI_SJ_SK_EUlSX_E0_NS1_11comp_targetILNS1_3genE0ELNS1_11target_archE4294967295ELNS1_3gpuE0ELNS1_3repE0EEENS1_38merge_mergepath_config_static_selectorELNS0_4arch9wavefront6targetE1EEEvSJ_.has_dyn_sized_stack, 0
	.set _ZN7rocprim17ROCPRIM_400000_NS6detail17trampoline_kernelINS0_14default_configENS1_38merge_sort_block_merge_config_selectorIyyEEZZNS1_27merge_sort_block_merge_implIS3_N6thrust23THRUST_200600_302600_NS6detail15normal_iteratorINS8_10device_ptrIyEEEESD_jNS1_19radix_merge_compareILb0ELb0EyNS0_19identity_decomposerEEEEE10hipError_tT0_T1_T2_jT3_P12ihipStream_tbPNSt15iterator_traitsISI_E10value_typeEPNSO_ISJ_E10value_typeEPSK_NS1_7vsmem_tEENKUlT_SI_SJ_SK_E_clIPySD_S10_SD_EESH_SX_SI_SJ_SK_EUlSX_E0_NS1_11comp_targetILNS1_3genE0ELNS1_11target_archE4294967295ELNS1_3gpuE0ELNS1_3repE0EEENS1_38merge_mergepath_config_static_selectorELNS0_4arch9wavefront6targetE1EEEvSJ_.has_recursion, 0
	.set _ZN7rocprim17ROCPRIM_400000_NS6detail17trampoline_kernelINS0_14default_configENS1_38merge_sort_block_merge_config_selectorIyyEEZZNS1_27merge_sort_block_merge_implIS3_N6thrust23THRUST_200600_302600_NS6detail15normal_iteratorINS8_10device_ptrIyEEEESD_jNS1_19radix_merge_compareILb0ELb0EyNS0_19identity_decomposerEEEEE10hipError_tT0_T1_T2_jT3_P12ihipStream_tbPNSt15iterator_traitsISI_E10value_typeEPNSO_ISJ_E10value_typeEPSK_NS1_7vsmem_tEENKUlT_SI_SJ_SK_E_clIPySD_S10_SD_EESH_SX_SI_SJ_SK_EUlSX_E0_NS1_11comp_targetILNS1_3genE0ELNS1_11target_archE4294967295ELNS1_3gpuE0ELNS1_3repE0EEENS1_38merge_mergepath_config_static_selectorELNS0_4arch9wavefront6targetE1EEEvSJ_.has_indirect_call, 0
	.section	.AMDGPU.csdata,"",@progbits
; Kernel info:
; codeLenInByte = 1744
; TotalNumSgprs: 36
; NumVgprs: 21
; NumAgprs: 0
; TotalNumVgprs: 21
; ScratchSize: 0
; MemoryBound: 0
; FloatMode: 240
; IeeeMode: 1
; LDSByteSize: 8448 bytes/workgroup (compile time only)
; SGPRBlocks: 4
; VGPRBlocks: 2
; NumSGPRsForWavesPerEU: 36
; NumVGPRsForWavesPerEU: 21
; AccumOffset: 24
; Occupancy: 8
; WaveLimiterHint : 1
; COMPUTE_PGM_RSRC2:SCRATCH_EN: 0
; COMPUTE_PGM_RSRC2:USER_SGPR: 2
; COMPUTE_PGM_RSRC2:TRAP_HANDLER: 0
; COMPUTE_PGM_RSRC2:TGID_X_EN: 1
; COMPUTE_PGM_RSRC2:TGID_Y_EN: 1
; COMPUTE_PGM_RSRC2:TGID_Z_EN: 1
; COMPUTE_PGM_RSRC2:TIDIG_COMP_CNT: 0
; COMPUTE_PGM_RSRC3_GFX90A:ACCUM_OFFSET: 5
; COMPUTE_PGM_RSRC3_GFX90A:TG_SPLIT: 0
	.section	.text._ZN7rocprim17ROCPRIM_400000_NS6detail17trampoline_kernelINS0_14default_configENS1_38merge_sort_block_merge_config_selectorIyyEEZZNS1_27merge_sort_block_merge_implIS3_N6thrust23THRUST_200600_302600_NS6detail15normal_iteratorINS8_10device_ptrIyEEEESD_jNS1_19radix_merge_compareILb0ELb0EyNS0_19identity_decomposerEEEEE10hipError_tT0_T1_T2_jT3_P12ihipStream_tbPNSt15iterator_traitsISI_E10value_typeEPNSO_ISJ_E10value_typeEPSK_NS1_7vsmem_tEENKUlT_SI_SJ_SK_E_clIPySD_S10_SD_EESH_SX_SI_SJ_SK_EUlSX_E0_NS1_11comp_targetILNS1_3genE10ELNS1_11target_archE1201ELNS1_3gpuE5ELNS1_3repE0EEENS1_38merge_mergepath_config_static_selectorELNS0_4arch9wavefront6targetE1EEEvSJ_,"axG",@progbits,_ZN7rocprim17ROCPRIM_400000_NS6detail17trampoline_kernelINS0_14default_configENS1_38merge_sort_block_merge_config_selectorIyyEEZZNS1_27merge_sort_block_merge_implIS3_N6thrust23THRUST_200600_302600_NS6detail15normal_iteratorINS8_10device_ptrIyEEEESD_jNS1_19radix_merge_compareILb0ELb0EyNS0_19identity_decomposerEEEEE10hipError_tT0_T1_T2_jT3_P12ihipStream_tbPNSt15iterator_traitsISI_E10value_typeEPNSO_ISJ_E10value_typeEPSK_NS1_7vsmem_tEENKUlT_SI_SJ_SK_E_clIPySD_S10_SD_EESH_SX_SI_SJ_SK_EUlSX_E0_NS1_11comp_targetILNS1_3genE10ELNS1_11target_archE1201ELNS1_3gpuE5ELNS1_3repE0EEENS1_38merge_mergepath_config_static_selectorELNS0_4arch9wavefront6targetE1EEEvSJ_,comdat
	.protected	_ZN7rocprim17ROCPRIM_400000_NS6detail17trampoline_kernelINS0_14default_configENS1_38merge_sort_block_merge_config_selectorIyyEEZZNS1_27merge_sort_block_merge_implIS3_N6thrust23THRUST_200600_302600_NS6detail15normal_iteratorINS8_10device_ptrIyEEEESD_jNS1_19radix_merge_compareILb0ELb0EyNS0_19identity_decomposerEEEEE10hipError_tT0_T1_T2_jT3_P12ihipStream_tbPNSt15iterator_traitsISI_E10value_typeEPNSO_ISJ_E10value_typeEPSK_NS1_7vsmem_tEENKUlT_SI_SJ_SK_E_clIPySD_S10_SD_EESH_SX_SI_SJ_SK_EUlSX_E0_NS1_11comp_targetILNS1_3genE10ELNS1_11target_archE1201ELNS1_3gpuE5ELNS1_3repE0EEENS1_38merge_mergepath_config_static_selectorELNS0_4arch9wavefront6targetE1EEEvSJ_ ; -- Begin function _ZN7rocprim17ROCPRIM_400000_NS6detail17trampoline_kernelINS0_14default_configENS1_38merge_sort_block_merge_config_selectorIyyEEZZNS1_27merge_sort_block_merge_implIS3_N6thrust23THRUST_200600_302600_NS6detail15normal_iteratorINS8_10device_ptrIyEEEESD_jNS1_19radix_merge_compareILb0ELb0EyNS0_19identity_decomposerEEEEE10hipError_tT0_T1_T2_jT3_P12ihipStream_tbPNSt15iterator_traitsISI_E10value_typeEPNSO_ISJ_E10value_typeEPSK_NS1_7vsmem_tEENKUlT_SI_SJ_SK_E_clIPySD_S10_SD_EESH_SX_SI_SJ_SK_EUlSX_E0_NS1_11comp_targetILNS1_3genE10ELNS1_11target_archE1201ELNS1_3gpuE5ELNS1_3repE0EEENS1_38merge_mergepath_config_static_selectorELNS0_4arch9wavefront6targetE1EEEvSJ_
	.globl	_ZN7rocprim17ROCPRIM_400000_NS6detail17trampoline_kernelINS0_14default_configENS1_38merge_sort_block_merge_config_selectorIyyEEZZNS1_27merge_sort_block_merge_implIS3_N6thrust23THRUST_200600_302600_NS6detail15normal_iteratorINS8_10device_ptrIyEEEESD_jNS1_19radix_merge_compareILb0ELb0EyNS0_19identity_decomposerEEEEE10hipError_tT0_T1_T2_jT3_P12ihipStream_tbPNSt15iterator_traitsISI_E10value_typeEPNSO_ISJ_E10value_typeEPSK_NS1_7vsmem_tEENKUlT_SI_SJ_SK_E_clIPySD_S10_SD_EESH_SX_SI_SJ_SK_EUlSX_E0_NS1_11comp_targetILNS1_3genE10ELNS1_11target_archE1201ELNS1_3gpuE5ELNS1_3repE0EEENS1_38merge_mergepath_config_static_selectorELNS0_4arch9wavefront6targetE1EEEvSJ_
	.p2align	8
	.type	_ZN7rocprim17ROCPRIM_400000_NS6detail17trampoline_kernelINS0_14default_configENS1_38merge_sort_block_merge_config_selectorIyyEEZZNS1_27merge_sort_block_merge_implIS3_N6thrust23THRUST_200600_302600_NS6detail15normal_iteratorINS8_10device_ptrIyEEEESD_jNS1_19radix_merge_compareILb0ELb0EyNS0_19identity_decomposerEEEEE10hipError_tT0_T1_T2_jT3_P12ihipStream_tbPNSt15iterator_traitsISI_E10value_typeEPNSO_ISJ_E10value_typeEPSK_NS1_7vsmem_tEENKUlT_SI_SJ_SK_E_clIPySD_S10_SD_EESH_SX_SI_SJ_SK_EUlSX_E0_NS1_11comp_targetILNS1_3genE10ELNS1_11target_archE1201ELNS1_3gpuE5ELNS1_3repE0EEENS1_38merge_mergepath_config_static_selectorELNS0_4arch9wavefront6targetE1EEEvSJ_,@function
_ZN7rocprim17ROCPRIM_400000_NS6detail17trampoline_kernelINS0_14default_configENS1_38merge_sort_block_merge_config_selectorIyyEEZZNS1_27merge_sort_block_merge_implIS3_N6thrust23THRUST_200600_302600_NS6detail15normal_iteratorINS8_10device_ptrIyEEEESD_jNS1_19radix_merge_compareILb0ELb0EyNS0_19identity_decomposerEEEEE10hipError_tT0_T1_T2_jT3_P12ihipStream_tbPNSt15iterator_traitsISI_E10value_typeEPNSO_ISJ_E10value_typeEPSK_NS1_7vsmem_tEENKUlT_SI_SJ_SK_E_clIPySD_S10_SD_EESH_SX_SI_SJ_SK_EUlSX_E0_NS1_11comp_targetILNS1_3genE10ELNS1_11target_archE1201ELNS1_3gpuE5ELNS1_3repE0EEENS1_38merge_mergepath_config_static_selectorELNS0_4arch9wavefront6targetE1EEEvSJ_: ; @_ZN7rocprim17ROCPRIM_400000_NS6detail17trampoline_kernelINS0_14default_configENS1_38merge_sort_block_merge_config_selectorIyyEEZZNS1_27merge_sort_block_merge_implIS3_N6thrust23THRUST_200600_302600_NS6detail15normal_iteratorINS8_10device_ptrIyEEEESD_jNS1_19radix_merge_compareILb0ELb0EyNS0_19identity_decomposerEEEEE10hipError_tT0_T1_T2_jT3_P12ihipStream_tbPNSt15iterator_traitsISI_E10value_typeEPNSO_ISJ_E10value_typeEPSK_NS1_7vsmem_tEENKUlT_SI_SJ_SK_E_clIPySD_S10_SD_EESH_SX_SI_SJ_SK_EUlSX_E0_NS1_11comp_targetILNS1_3genE10ELNS1_11target_archE1201ELNS1_3gpuE5ELNS1_3repE0EEENS1_38merge_mergepath_config_static_selectorELNS0_4arch9wavefront6targetE1EEEvSJ_
; %bb.0:
	.section	.rodata,"a",@progbits
	.p2align	6, 0x0
	.amdhsa_kernel _ZN7rocprim17ROCPRIM_400000_NS6detail17trampoline_kernelINS0_14default_configENS1_38merge_sort_block_merge_config_selectorIyyEEZZNS1_27merge_sort_block_merge_implIS3_N6thrust23THRUST_200600_302600_NS6detail15normal_iteratorINS8_10device_ptrIyEEEESD_jNS1_19radix_merge_compareILb0ELb0EyNS0_19identity_decomposerEEEEE10hipError_tT0_T1_T2_jT3_P12ihipStream_tbPNSt15iterator_traitsISI_E10value_typeEPNSO_ISJ_E10value_typeEPSK_NS1_7vsmem_tEENKUlT_SI_SJ_SK_E_clIPySD_S10_SD_EESH_SX_SI_SJ_SK_EUlSX_E0_NS1_11comp_targetILNS1_3genE10ELNS1_11target_archE1201ELNS1_3gpuE5ELNS1_3repE0EEENS1_38merge_mergepath_config_static_selectorELNS0_4arch9wavefront6targetE1EEEvSJ_
		.amdhsa_group_segment_fixed_size 0
		.amdhsa_private_segment_fixed_size 0
		.amdhsa_kernarg_size 64
		.amdhsa_user_sgpr_count 2
		.amdhsa_user_sgpr_dispatch_ptr 0
		.amdhsa_user_sgpr_queue_ptr 0
		.amdhsa_user_sgpr_kernarg_segment_ptr 1
		.amdhsa_user_sgpr_dispatch_id 0
		.amdhsa_user_sgpr_kernarg_preload_length 0
		.amdhsa_user_sgpr_kernarg_preload_offset 0
		.amdhsa_user_sgpr_private_segment_size 0
		.amdhsa_uses_dynamic_stack 0
		.amdhsa_enable_private_segment 0
		.amdhsa_system_sgpr_workgroup_id_x 1
		.amdhsa_system_sgpr_workgroup_id_y 0
		.amdhsa_system_sgpr_workgroup_id_z 0
		.amdhsa_system_sgpr_workgroup_info 0
		.amdhsa_system_vgpr_workitem_id 0
		.amdhsa_next_free_vgpr 1
		.amdhsa_next_free_sgpr 0
		.amdhsa_accum_offset 4
		.amdhsa_reserve_vcc 0
		.amdhsa_float_round_mode_32 0
		.amdhsa_float_round_mode_16_64 0
		.amdhsa_float_denorm_mode_32 3
		.amdhsa_float_denorm_mode_16_64 3
		.amdhsa_dx10_clamp 1
		.amdhsa_ieee_mode 1
		.amdhsa_fp16_overflow 0
		.amdhsa_tg_split 0
		.amdhsa_exception_fp_ieee_invalid_op 0
		.amdhsa_exception_fp_denorm_src 0
		.amdhsa_exception_fp_ieee_div_zero 0
		.amdhsa_exception_fp_ieee_overflow 0
		.amdhsa_exception_fp_ieee_underflow 0
		.amdhsa_exception_fp_ieee_inexact 0
		.amdhsa_exception_int_div_zero 0
	.end_amdhsa_kernel
	.section	.text._ZN7rocprim17ROCPRIM_400000_NS6detail17trampoline_kernelINS0_14default_configENS1_38merge_sort_block_merge_config_selectorIyyEEZZNS1_27merge_sort_block_merge_implIS3_N6thrust23THRUST_200600_302600_NS6detail15normal_iteratorINS8_10device_ptrIyEEEESD_jNS1_19radix_merge_compareILb0ELb0EyNS0_19identity_decomposerEEEEE10hipError_tT0_T1_T2_jT3_P12ihipStream_tbPNSt15iterator_traitsISI_E10value_typeEPNSO_ISJ_E10value_typeEPSK_NS1_7vsmem_tEENKUlT_SI_SJ_SK_E_clIPySD_S10_SD_EESH_SX_SI_SJ_SK_EUlSX_E0_NS1_11comp_targetILNS1_3genE10ELNS1_11target_archE1201ELNS1_3gpuE5ELNS1_3repE0EEENS1_38merge_mergepath_config_static_selectorELNS0_4arch9wavefront6targetE1EEEvSJ_,"axG",@progbits,_ZN7rocprim17ROCPRIM_400000_NS6detail17trampoline_kernelINS0_14default_configENS1_38merge_sort_block_merge_config_selectorIyyEEZZNS1_27merge_sort_block_merge_implIS3_N6thrust23THRUST_200600_302600_NS6detail15normal_iteratorINS8_10device_ptrIyEEEESD_jNS1_19radix_merge_compareILb0ELb0EyNS0_19identity_decomposerEEEEE10hipError_tT0_T1_T2_jT3_P12ihipStream_tbPNSt15iterator_traitsISI_E10value_typeEPNSO_ISJ_E10value_typeEPSK_NS1_7vsmem_tEENKUlT_SI_SJ_SK_E_clIPySD_S10_SD_EESH_SX_SI_SJ_SK_EUlSX_E0_NS1_11comp_targetILNS1_3genE10ELNS1_11target_archE1201ELNS1_3gpuE5ELNS1_3repE0EEENS1_38merge_mergepath_config_static_selectorELNS0_4arch9wavefront6targetE1EEEvSJ_,comdat
.Lfunc_end405:
	.size	_ZN7rocprim17ROCPRIM_400000_NS6detail17trampoline_kernelINS0_14default_configENS1_38merge_sort_block_merge_config_selectorIyyEEZZNS1_27merge_sort_block_merge_implIS3_N6thrust23THRUST_200600_302600_NS6detail15normal_iteratorINS8_10device_ptrIyEEEESD_jNS1_19radix_merge_compareILb0ELb0EyNS0_19identity_decomposerEEEEE10hipError_tT0_T1_T2_jT3_P12ihipStream_tbPNSt15iterator_traitsISI_E10value_typeEPNSO_ISJ_E10value_typeEPSK_NS1_7vsmem_tEENKUlT_SI_SJ_SK_E_clIPySD_S10_SD_EESH_SX_SI_SJ_SK_EUlSX_E0_NS1_11comp_targetILNS1_3genE10ELNS1_11target_archE1201ELNS1_3gpuE5ELNS1_3repE0EEENS1_38merge_mergepath_config_static_selectorELNS0_4arch9wavefront6targetE1EEEvSJ_, .Lfunc_end405-_ZN7rocprim17ROCPRIM_400000_NS6detail17trampoline_kernelINS0_14default_configENS1_38merge_sort_block_merge_config_selectorIyyEEZZNS1_27merge_sort_block_merge_implIS3_N6thrust23THRUST_200600_302600_NS6detail15normal_iteratorINS8_10device_ptrIyEEEESD_jNS1_19radix_merge_compareILb0ELb0EyNS0_19identity_decomposerEEEEE10hipError_tT0_T1_T2_jT3_P12ihipStream_tbPNSt15iterator_traitsISI_E10value_typeEPNSO_ISJ_E10value_typeEPSK_NS1_7vsmem_tEENKUlT_SI_SJ_SK_E_clIPySD_S10_SD_EESH_SX_SI_SJ_SK_EUlSX_E0_NS1_11comp_targetILNS1_3genE10ELNS1_11target_archE1201ELNS1_3gpuE5ELNS1_3repE0EEENS1_38merge_mergepath_config_static_selectorELNS0_4arch9wavefront6targetE1EEEvSJ_
                                        ; -- End function
	.set _ZN7rocprim17ROCPRIM_400000_NS6detail17trampoline_kernelINS0_14default_configENS1_38merge_sort_block_merge_config_selectorIyyEEZZNS1_27merge_sort_block_merge_implIS3_N6thrust23THRUST_200600_302600_NS6detail15normal_iteratorINS8_10device_ptrIyEEEESD_jNS1_19radix_merge_compareILb0ELb0EyNS0_19identity_decomposerEEEEE10hipError_tT0_T1_T2_jT3_P12ihipStream_tbPNSt15iterator_traitsISI_E10value_typeEPNSO_ISJ_E10value_typeEPSK_NS1_7vsmem_tEENKUlT_SI_SJ_SK_E_clIPySD_S10_SD_EESH_SX_SI_SJ_SK_EUlSX_E0_NS1_11comp_targetILNS1_3genE10ELNS1_11target_archE1201ELNS1_3gpuE5ELNS1_3repE0EEENS1_38merge_mergepath_config_static_selectorELNS0_4arch9wavefront6targetE1EEEvSJ_.num_vgpr, 0
	.set _ZN7rocprim17ROCPRIM_400000_NS6detail17trampoline_kernelINS0_14default_configENS1_38merge_sort_block_merge_config_selectorIyyEEZZNS1_27merge_sort_block_merge_implIS3_N6thrust23THRUST_200600_302600_NS6detail15normal_iteratorINS8_10device_ptrIyEEEESD_jNS1_19radix_merge_compareILb0ELb0EyNS0_19identity_decomposerEEEEE10hipError_tT0_T1_T2_jT3_P12ihipStream_tbPNSt15iterator_traitsISI_E10value_typeEPNSO_ISJ_E10value_typeEPSK_NS1_7vsmem_tEENKUlT_SI_SJ_SK_E_clIPySD_S10_SD_EESH_SX_SI_SJ_SK_EUlSX_E0_NS1_11comp_targetILNS1_3genE10ELNS1_11target_archE1201ELNS1_3gpuE5ELNS1_3repE0EEENS1_38merge_mergepath_config_static_selectorELNS0_4arch9wavefront6targetE1EEEvSJ_.num_agpr, 0
	.set _ZN7rocprim17ROCPRIM_400000_NS6detail17trampoline_kernelINS0_14default_configENS1_38merge_sort_block_merge_config_selectorIyyEEZZNS1_27merge_sort_block_merge_implIS3_N6thrust23THRUST_200600_302600_NS6detail15normal_iteratorINS8_10device_ptrIyEEEESD_jNS1_19radix_merge_compareILb0ELb0EyNS0_19identity_decomposerEEEEE10hipError_tT0_T1_T2_jT3_P12ihipStream_tbPNSt15iterator_traitsISI_E10value_typeEPNSO_ISJ_E10value_typeEPSK_NS1_7vsmem_tEENKUlT_SI_SJ_SK_E_clIPySD_S10_SD_EESH_SX_SI_SJ_SK_EUlSX_E0_NS1_11comp_targetILNS1_3genE10ELNS1_11target_archE1201ELNS1_3gpuE5ELNS1_3repE0EEENS1_38merge_mergepath_config_static_selectorELNS0_4arch9wavefront6targetE1EEEvSJ_.numbered_sgpr, 0
	.set _ZN7rocprim17ROCPRIM_400000_NS6detail17trampoline_kernelINS0_14default_configENS1_38merge_sort_block_merge_config_selectorIyyEEZZNS1_27merge_sort_block_merge_implIS3_N6thrust23THRUST_200600_302600_NS6detail15normal_iteratorINS8_10device_ptrIyEEEESD_jNS1_19radix_merge_compareILb0ELb0EyNS0_19identity_decomposerEEEEE10hipError_tT0_T1_T2_jT3_P12ihipStream_tbPNSt15iterator_traitsISI_E10value_typeEPNSO_ISJ_E10value_typeEPSK_NS1_7vsmem_tEENKUlT_SI_SJ_SK_E_clIPySD_S10_SD_EESH_SX_SI_SJ_SK_EUlSX_E0_NS1_11comp_targetILNS1_3genE10ELNS1_11target_archE1201ELNS1_3gpuE5ELNS1_3repE0EEENS1_38merge_mergepath_config_static_selectorELNS0_4arch9wavefront6targetE1EEEvSJ_.num_named_barrier, 0
	.set _ZN7rocprim17ROCPRIM_400000_NS6detail17trampoline_kernelINS0_14default_configENS1_38merge_sort_block_merge_config_selectorIyyEEZZNS1_27merge_sort_block_merge_implIS3_N6thrust23THRUST_200600_302600_NS6detail15normal_iteratorINS8_10device_ptrIyEEEESD_jNS1_19radix_merge_compareILb0ELb0EyNS0_19identity_decomposerEEEEE10hipError_tT0_T1_T2_jT3_P12ihipStream_tbPNSt15iterator_traitsISI_E10value_typeEPNSO_ISJ_E10value_typeEPSK_NS1_7vsmem_tEENKUlT_SI_SJ_SK_E_clIPySD_S10_SD_EESH_SX_SI_SJ_SK_EUlSX_E0_NS1_11comp_targetILNS1_3genE10ELNS1_11target_archE1201ELNS1_3gpuE5ELNS1_3repE0EEENS1_38merge_mergepath_config_static_selectorELNS0_4arch9wavefront6targetE1EEEvSJ_.private_seg_size, 0
	.set _ZN7rocprim17ROCPRIM_400000_NS6detail17trampoline_kernelINS0_14default_configENS1_38merge_sort_block_merge_config_selectorIyyEEZZNS1_27merge_sort_block_merge_implIS3_N6thrust23THRUST_200600_302600_NS6detail15normal_iteratorINS8_10device_ptrIyEEEESD_jNS1_19radix_merge_compareILb0ELb0EyNS0_19identity_decomposerEEEEE10hipError_tT0_T1_T2_jT3_P12ihipStream_tbPNSt15iterator_traitsISI_E10value_typeEPNSO_ISJ_E10value_typeEPSK_NS1_7vsmem_tEENKUlT_SI_SJ_SK_E_clIPySD_S10_SD_EESH_SX_SI_SJ_SK_EUlSX_E0_NS1_11comp_targetILNS1_3genE10ELNS1_11target_archE1201ELNS1_3gpuE5ELNS1_3repE0EEENS1_38merge_mergepath_config_static_selectorELNS0_4arch9wavefront6targetE1EEEvSJ_.uses_vcc, 0
	.set _ZN7rocprim17ROCPRIM_400000_NS6detail17trampoline_kernelINS0_14default_configENS1_38merge_sort_block_merge_config_selectorIyyEEZZNS1_27merge_sort_block_merge_implIS3_N6thrust23THRUST_200600_302600_NS6detail15normal_iteratorINS8_10device_ptrIyEEEESD_jNS1_19radix_merge_compareILb0ELb0EyNS0_19identity_decomposerEEEEE10hipError_tT0_T1_T2_jT3_P12ihipStream_tbPNSt15iterator_traitsISI_E10value_typeEPNSO_ISJ_E10value_typeEPSK_NS1_7vsmem_tEENKUlT_SI_SJ_SK_E_clIPySD_S10_SD_EESH_SX_SI_SJ_SK_EUlSX_E0_NS1_11comp_targetILNS1_3genE10ELNS1_11target_archE1201ELNS1_3gpuE5ELNS1_3repE0EEENS1_38merge_mergepath_config_static_selectorELNS0_4arch9wavefront6targetE1EEEvSJ_.uses_flat_scratch, 0
	.set _ZN7rocprim17ROCPRIM_400000_NS6detail17trampoline_kernelINS0_14default_configENS1_38merge_sort_block_merge_config_selectorIyyEEZZNS1_27merge_sort_block_merge_implIS3_N6thrust23THRUST_200600_302600_NS6detail15normal_iteratorINS8_10device_ptrIyEEEESD_jNS1_19radix_merge_compareILb0ELb0EyNS0_19identity_decomposerEEEEE10hipError_tT0_T1_T2_jT3_P12ihipStream_tbPNSt15iterator_traitsISI_E10value_typeEPNSO_ISJ_E10value_typeEPSK_NS1_7vsmem_tEENKUlT_SI_SJ_SK_E_clIPySD_S10_SD_EESH_SX_SI_SJ_SK_EUlSX_E0_NS1_11comp_targetILNS1_3genE10ELNS1_11target_archE1201ELNS1_3gpuE5ELNS1_3repE0EEENS1_38merge_mergepath_config_static_selectorELNS0_4arch9wavefront6targetE1EEEvSJ_.has_dyn_sized_stack, 0
	.set _ZN7rocprim17ROCPRIM_400000_NS6detail17trampoline_kernelINS0_14default_configENS1_38merge_sort_block_merge_config_selectorIyyEEZZNS1_27merge_sort_block_merge_implIS3_N6thrust23THRUST_200600_302600_NS6detail15normal_iteratorINS8_10device_ptrIyEEEESD_jNS1_19radix_merge_compareILb0ELb0EyNS0_19identity_decomposerEEEEE10hipError_tT0_T1_T2_jT3_P12ihipStream_tbPNSt15iterator_traitsISI_E10value_typeEPNSO_ISJ_E10value_typeEPSK_NS1_7vsmem_tEENKUlT_SI_SJ_SK_E_clIPySD_S10_SD_EESH_SX_SI_SJ_SK_EUlSX_E0_NS1_11comp_targetILNS1_3genE10ELNS1_11target_archE1201ELNS1_3gpuE5ELNS1_3repE0EEENS1_38merge_mergepath_config_static_selectorELNS0_4arch9wavefront6targetE1EEEvSJ_.has_recursion, 0
	.set _ZN7rocprim17ROCPRIM_400000_NS6detail17trampoline_kernelINS0_14default_configENS1_38merge_sort_block_merge_config_selectorIyyEEZZNS1_27merge_sort_block_merge_implIS3_N6thrust23THRUST_200600_302600_NS6detail15normal_iteratorINS8_10device_ptrIyEEEESD_jNS1_19radix_merge_compareILb0ELb0EyNS0_19identity_decomposerEEEEE10hipError_tT0_T1_T2_jT3_P12ihipStream_tbPNSt15iterator_traitsISI_E10value_typeEPNSO_ISJ_E10value_typeEPSK_NS1_7vsmem_tEENKUlT_SI_SJ_SK_E_clIPySD_S10_SD_EESH_SX_SI_SJ_SK_EUlSX_E0_NS1_11comp_targetILNS1_3genE10ELNS1_11target_archE1201ELNS1_3gpuE5ELNS1_3repE0EEENS1_38merge_mergepath_config_static_selectorELNS0_4arch9wavefront6targetE1EEEvSJ_.has_indirect_call, 0
	.section	.AMDGPU.csdata,"",@progbits
; Kernel info:
; codeLenInByte = 0
; TotalNumSgprs: 6
; NumVgprs: 0
; NumAgprs: 0
; TotalNumVgprs: 0
; ScratchSize: 0
; MemoryBound: 0
; FloatMode: 240
; IeeeMode: 1
; LDSByteSize: 0 bytes/workgroup (compile time only)
; SGPRBlocks: 0
; VGPRBlocks: 0
; NumSGPRsForWavesPerEU: 6
; NumVGPRsForWavesPerEU: 1
; AccumOffset: 4
; Occupancy: 8
; WaveLimiterHint : 0
; COMPUTE_PGM_RSRC2:SCRATCH_EN: 0
; COMPUTE_PGM_RSRC2:USER_SGPR: 2
; COMPUTE_PGM_RSRC2:TRAP_HANDLER: 0
; COMPUTE_PGM_RSRC2:TGID_X_EN: 1
; COMPUTE_PGM_RSRC2:TGID_Y_EN: 0
; COMPUTE_PGM_RSRC2:TGID_Z_EN: 0
; COMPUTE_PGM_RSRC2:TIDIG_COMP_CNT: 0
; COMPUTE_PGM_RSRC3_GFX90A:ACCUM_OFFSET: 0
; COMPUTE_PGM_RSRC3_GFX90A:TG_SPLIT: 0
	.section	.text._ZN7rocprim17ROCPRIM_400000_NS6detail17trampoline_kernelINS0_14default_configENS1_38merge_sort_block_merge_config_selectorIyyEEZZNS1_27merge_sort_block_merge_implIS3_N6thrust23THRUST_200600_302600_NS6detail15normal_iteratorINS8_10device_ptrIyEEEESD_jNS1_19radix_merge_compareILb0ELb0EyNS0_19identity_decomposerEEEEE10hipError_tT0_T1_T2_jT3_P12ihipStream_tbPNSt15iterator_traitsISI_E10value_typeEPNSO_ISJ_E10value_typeEPSK_NS1_7vsmem_tEENKUlT_SI_SJ_SK_E_clIPySD_S10_SD_EESH_SX_SI_SJ_SK_EUlSX_E0_NS1_11comp_targetILNS1_3genE5ELNS1_11target_archE942ELNS1_3gpuE9ELNS1_3repE0EEENS1_38merge_mergepath_config_static_selectorELNS0_4arch9wavefront6targetE1EEEvSJ_,"axG",@progbits,_ZN7rocprim17ROCPRIM_400000_NS6detail17trampoline_kernelINS0_14default_configENS1_38merge_sort_block_merge_config_selectorIyyEEZZNS1_27merge_sort_block_merge_implIS3_N6thrust23THRUST_200600_302600_NS6detail15normal_iteratorINS8_10device_ptrIyEEEESD_jNS1_19radix_merge_compareILb0ELb0EyNS0_19identity_decomposerEEEEE10hipError_tT0_T1_T2_jT3_P12ihipStream_tbPNSt15iterator_traitsISI_E10value_typeEPNSO_ISJ_E10value_typeEPSK_NS1_7vsmem_tEENKUlT_SI_SJ_SK_E_clIPySD_S10_SD_EESH_SX_SI_SJ_SK_EUlSX_E0_NS1_11comp_targetILNS1_3genE5ELNS1_11target_archE942ELNS1_3gpuE9ELNS1_3repE0EEENS1_38merge_mergepath_config_static_selectorELNS0_4arch9wavefront6targetE1EEEvSJ_,comdat
	.protected	_ZN7rocprim17ROCPRIM_400000_NS6detail17trampoline_kernelINS0_14default_configENS1_38merge_sort_block_merge_config_selectorIyyEEZZNS1_27merge_sort_block_merge_implIS3_N6thrust23THRUST_200600_302600_NS6detail15normal_iteratorINS8_10device_ptrIyEEEESD_jNS1_19radix_merge_compareILb0ELb0EyNS0_19identity_decomposerEEEEE10hipError_tT0_T1_T2_jT3_P12ihipStream_tbPNSt15iterator_traitsISI_E10value_typeEPNSO_ISJ_E10value_typeEPSK_NS1_7vsmem_tEENKUlT_SI_SJ_SK_E_clIPySD_S10_SD_EESH_SX_SI_SJ_SK_EUlSX_E0_NS1_11comp_targetILNS1_3genE5ELNS1_11target_archE942ELNS1_3gpuE9ELNS1_3repE0EEENS1_38merge_mergepath_config_static_selectorELNS0_4arch9wavefront6targetE1EEEvSJ_ ; -- Begin function _ZN7rocprim17ROCPRIM_400000_NS6detail17trampoline_kernelINS0_14default_configENS1_38merge_sort_block_merge_config_selectorIyyEEZZNS1_27merge_sort_block_merge_implIS3_N6thrust23THRUST_200600_302600_NS6detail15normal_iteratorINS8_10device_ptrIyEEEESD_jNS1_19radix_merge_compareILb0ELb0EyNS0_19identity_decomposerEEEEE10hipError_tT0_T1_T2_jT3_P12ihipStream_tbPNSt15iterator_traitsISI_E10value_typeEPNSO_ISJ_E10value_typeEPSK_NS1_7vsmem_tEENKUlT_SI_SJ_SK_E_clIPySD_S10_SD_EESH_SX_SI_SJ_SK_EUlSX_E0_NS1_11comp_targetILNS1_3genE5ELNS1_11target_archE942ELNS1_3gpuE9ELNS1_3repE0EEENS1_38merge_mergepath_config_static_selectorELNS0_4arch9wavefront6targetE1EEEvSJ_
	.globl	_ZN7rocprim17ROCPRIM_400000_NS6detail17trampoline_kernelINS0_14default_configENS1_38merge_sort_block_merge_config_selectorIyyEEZZNS1_27merge_sort_block_merge_implIS3_N6thrust23THRUST_200600_302600_NS6detail15normal_iteratorINS8_10device_ptrIyEEEESD_jNS1_19radix_merge_compareILb0ELb0EyNS0_19identity_decomposerEEEEE10hipError_tT0_T1_T2_jT3_P12ihipStream_tbPNSt15iterator_traitsISI_E10value_typeEPNSO_ISJ_E10value_typeEPSK_NS1_7vsmem_tEENKUlT_SI_SJ_SK_E_clIPySD_S10_SD_EESH_SX_SI_SJ_SK_EUlSX_E0_NS1_11comp_targetILNS1_3genE5ELNS1_11target_archE942ELNS1_3gpuE9ELNS1_3repE0EEENS1_38merge_mergepath_config_static_selectorELNS0_4arch9wavefront6targetE1EEEvSJ_
	.p2align	8
	.type	_ZN7rocprim17ROCPRIM_400000_NS6detail17trampoline_kernelINS0_14default_configENS1_38merge_sort_block_merge_config_selectorIyyEEZZNS1_27merge_sort_block_merge_implIS3_N6thrust23THRUST_200600_302600_NS6detail15normal_iteratorINS8_10device_ptrIyEEEESD_jNS1_19radix_merge_compareILb0ELb0EyNS0_19identity_decomposerEEEEE10hipError_tT0_T1_T2_jT3_P12ihipStream_tbPNSt15iterator_traitsISI_E10value_typeEPNSO_ISJ_E10value_typeEPSK_NS1_7vsmem_tEENKUlT_SI_SJ_SK_E_clIPySD_S10_SD_EESH_SX_SI_SJ_SK_EUlSX_E0_NS1_11comp_targetILNS1_3genE5ELNS1_11target_archE942ELNS1_3gpuE9ELNS1_3repE0EEENS1_38merge_mergepath_config_static_selectorELNS0_4arch9wavefront6targetE1EEEvSJ_,@function
_ZN7rocprim17ROCPRIM_400000_NS6detail17trampoline_kernelINS0_14default_configENS1_38merge_sort_block_merge_config_selectorIyyEEZZNS1_27merge_sort_block_merge_implIS3_N6thrust23THRUST_200600_302600_NS6detail15normal_iteratorINS8_10device_ptrIyEEEESD_jNS1_19radix_merge_compareILb0ELb0EyNS0_19identity_decomposerEEEEE10hipError_tT0_T1_T2_jT3_P12ihipStream_tbPNSt15iterator_traitsISI_E10value_typeEPNSO_ISJ_E10value_typeEPSK_NS1_7vsmem_tEENKUlT_SI_SJ_SK_E_clIPySD_S10_SD_EESH_SX_SI_SJ_SK_EUlSX_E0_NS1_11comp_targetILNS1_3genE5ELNS1_11target_archE942ELNS1_3gpuE9ELNS1_3repE0EEENS1_38merge_mergepath_config_static_selectorELNS0_4arch9wavefront6targetE1EEEvSJ_: ; @_ZN7rocprim17ROCPRIM_400000_NS6detail17trampoline_kernelINS0_14default_configENS1_38merge_sort_block_merge_config_selectorIyyEEZZNS1_27merge_sort_block_merge_implIS3_N6thrust23THRUST_200600_302600_NS6detail15normal_iteratorINS8_10device_ptrIyEEEESD_jNS1_19radix_merge_compareILb0ELb0EyNS0_19identity_decomposerEEEEE10hipError_tT0_T1_T2_jT3_P12ihipStream_tbPNSt15iterator_traitsISI_E10value_typeEPNSO_ISJ_E10value_typeEPSK_NS1_7vsmem_tEENKUlT_SI_SJ_SK_E_clIPySD_S10_SD_EESH_SX_SI_SJ_SK_EUlSX_E0_NS1_11comp_targetILNS1_3genE5ELNS1_11target_archE942ELNS1_3gpuE9ELNS1_3repE0EEENS1_38merge_mergepath_config_static_selectorELNS0_4arch9wavefront6targetE1EEEvSJ_
; %bb.0:
	.section	.rodata,"a",@progbits
	.p2align	6, 0x0
	.amdhsa_kernel _ZN7rocprim17ROCPRIM_400000_NS6detail17trampoline_kernelINS0_14default_configENS1_38merge_sort_block_merge_config_selectorIyyEEZZNS1_27merge_sort_block_merge_implIS3_N6thrust23THRUST_200600_302600_NS6detail15normal_iteratorINS8_10device_ptrIyEEEESD_jNS1_19radix_merge_compareILb0ELb0EyNS0_19identity_decomposerEEEEE10hipError_tT0_T1_T2_jT3_P12ihipStream_tbPNSt15iterator_traitsISI_E10value_typeEPNSO_ISJ_E10value_typeEPSK_NS1_7vsmem_tEENKUlT_SI_SJ_SK_E_clIPySD_S10_SD_EESH_SX_SI_SJ_SK_EUlSX_E0_NS1_11comp_targetILNS1_3genE5ELNS1_11target_archE942ELNS1_3gpuE9ELNS1_3repE0EEENS1_38merge_mergepath_config_static_selectorELNS0_4arch9wavefront6targetE1EEEvSJ_
		.amdhsa_group_segment_fixed_size 0
		.amdhsa_private_segment_fixed_size 0
		.amdhsa_kernarg_size 64
		.amdhsa_user_sgpr_count 2
		.amdhsa_user_sgpr_dispatch_ptr 0
		.amdhsa_user_sgpr_queue_ptr 0
		.amdhsa_user_sgpr_kernarg_segment_ptr 1
		.amdhsa_user_sgpr_dispatch_id 0
		.amdhsa_user_sgpr_kernarg_preload_length 0
		.amdhsa_user_sgpr_kernarg_preload_offset 0
		.amdhsa_user_sgpr_private_segment_size 0
		.amdhsa_uses_dynamic_stack 0
		.amdhsa_enable_private_segment 0
		.amdhsa_system_sgpr_workgroup_id_x 1
		.amdhsa_system_sgpr_workgroup_id_y 0
		.amdhsa_system_sgpr_workgroup_id_z 0
		.amdhsa_system_sgpr_workgroup_info 0
		.amdhsa_system_vgpr_workitem_id 0
		.amdhsa_next_free_vgpr 1
		.amdhsa_next_free_sgpr 0
		.amdhsa_accum_offset 4
		.amdhsa_reserve_vcc 0
		.amdhsa_float_round_mode_32 0
		.amdhsa_float_round_mode_16_64 0
		.amdhsa_float_denorm_mode_32 3
		.amdhsa_float_denorm_mode_16_64 3
		.amdhsa_dx10_clamp 1
		.amdhsa_ieee_mode 1
		.amdhsa_fp16_overflow 0
		.amdhsa_tg_split 0
		.amdhsa_exception_fp_ieee_invalid_op 0
		.amdhsa_exception_fp_denorm_src 0
		.amdhsa_exception_fp_ieee_div_zero 0
		.amdhsa_exception_fp_ieee_overflow 0
		.amdhsa_exception_fp_ieee_underflow 0
		.amdhsa_exception_fp_ieee_inexact 0
		.amdhsa_exception_int_div_zero 0
	.end_amdhsa_kernel
	.section	.text._ZN7rocprim17ROCPRIM_400000_NS6detail17trampoline_kernelINS0_14default_configENS1_38merge_sort_block_merge_config_selectorIyyEEZZNS1_27merge_sort_block_merge_implIS3_N6thrust23THRUST_200600_302600_NS6detail15normal_iteratorINS8_10device_ptrIyEEEESD_jNS1_19radix_merge_compareILb0ELb0EyNS0_19identity_decomposerEEEEE10hipError_tT0_T1_T2_jT3_P12ihipStream_tbPNSt15iterator_traitsISI_E10value_typeEPNSO_ISJ_E10value_typeEPSK_NS1_7vsmem_tEENKUlT_SI_SJ_SK_E_clIPySD_S10_SD_EESH_SX_SI_SJ_SK_EUlSX_E0_NS1_11comp_targetILNS1_3genE5ELNS1_11target_archE942ELNS1_3gpuE9ELNS1_3repE0EEENS1_38merge_mergepath_config_static_selectorELNS0_4arch9wavefront6targetE1EEEvSJ_,"axG",@progbits,_ZN7rocprim17ROCPRIM_400000_NS6detail17trampoline_kernelINS0_14default_configENS1_38merge_sort_block_merge_config_selectorIyyEEZZNS1_27merge_sort_block_merge_implIS3_N6thrust23THRUST_200600_302600_NS6detail15normal_iteratorINS8_10device_ptrIyEEEESD_jNS1_19radix_merge_compareILb0ELb0EyNS0_19identity_decomposerEEEEE10hipError_tT0_T1_T2_jT3_P12ihipStream_tbPNSt15iterator_traitsISI_E10value_typeEPNSO_ISJ_E10value_typeEPSK_NS1_7vsmem_tEENKUlT_SI_SJ_SK_E_clIPySD_S10_SD_EESH_SX_SI_SJ_SK_EUlSX_E0_NS1_11comp_targetILNS1_3genE5ELNS1_11target_archE942ELNS1_3gpuE9ELNS1_3repE0EEENS1_38merge_mergepath_config_static_selectorELNS0_4arch9wavefront6targetE1EEEvSJ_,comdat
.Lfunc_end406:
	.size	_ZN7rocprim17ROCPRIM_400000_NS6detail17trampoline_kernelINS0_14default_configENS1_38merge_sort_block_merge_config_selectorIyyEEZZNS1_27merge_sort_block_merge_implIS3_N6thrust23THRUST_200600_302600_NS6detail15normal_iteratorINS8_10device_ptrIyEEEESD_jNS1_19radix_merge_compareILb0ELb0EyNS0_19identity_decomposerEEEEE10hipError_tT0_T1_T2_jT3_P12ihipStream_tbPNSt15iterator_traitsISI_E10value_typeEPNSO_ISJ_E10value_typeEPSK_NS1_7vsmem_tEENKUlT_SI_SJ_SK_E_clIPySD_S10_SD_EESH_SX_SI_SJ_SK_EUlSX_E0_NS1_11comp_targetILNS1_3genE5ELNS1_11target_archE942ELNS1_3gpuE9ELNS1_3repE0EEENS1_38merge_mergepath_config_static_selectorELNS0_4arch9wavefront6targetE1EEEvSJ_, .Lfunc_end406-_ZN7rocprim17ROCPRIM_400000_NS6detail17trampoline_kernelINS0_14default_configENS1_38merge_sort_block_merge_config_selectorIyyEEZZNS1_27merge_sort_block_merge_implIS3_N6thrust23THRUST_200600_302600_NS6detail15normal_iteratorINS8_10device_ptrIyEEEESD_jNS1_19radix_merge_compareILb0ELb0EyNS0_19identity_decomposerEEEEE10hipError_tT0_T1_T2_jT3_P12ihipStream_tbPNSt15iterator_traitsISI_E10value_typeEPNSO_ISJ_E10value_typeEPSK_NS1_7vsmem_tEENKUlT_SI_SJ_SK_E_clIPySD_S10_SD_EESH_SX_SI_SJ_SK_EUlSX_E0_NS1_11comp_targetILNS1_3genE5ELNS1_11target_archE942ELNS1_3gpuE9ELNS1_3repE0EEENS1_38merge_mergepath_config_static_selectorELNS0_4arch9wavefront6targetE1EEEvSJ_
                                        ; -- End function
	.set _ZN7rocprim17ROCPRIM_400000_NS6detail17trampoline_kernelINS0_14default_configENS1_38merge_sort_block_merge_config_selectorIyyEEZZNS1_27merge_sort_block_merge_implIS3_N6thrust23THRUST_200600_302600_NS6detail15normal_iteratorINS8_10device_ptrIyEEEESD_jNS1_19radix_merge_compareILb0ELb0EyNS0_19identity_decomposerEEEEE10hipError_tT0_T1_T2_jT3_P12ihipStream_tbPNSt15iterator_traitsISI_E10value_typeEPNSO_ISJ_E10value_typeEPSK_NS1_7vsmem_tEENKUlT_SI_SJ_SK_E_clIPySD_S10_SD_EESH_SX_SI_SJ_SK_EUlSX_E0_NS1_11comp_targetILNS1_3genE5ELNS1_11target_archE942ELNS1_3gpuE9ELNS1_3repE0EEENS1_38merge_mergepath_config_static_selectorELNS0_4arch9wavefront6targetE1EEEvSJ_.num_vgpr, 0
	.set _ZN7rocprim17ROCPRIM_400000_NS6detail17trampoline_kernelINS0_14default_configENS1_38merge_sort_block_merge_config_selectorIyyEEZZNS1_27merge_sort_block_merge_implIS3_N6thrust23THRUST_200600_302600_NS6detail15normal_iteratorINS8_10device_ptrIyEEEESD_jNS1_19radix_merge_compareILb0ELb0EyNS0_19identity_decomposerEEEEE10hipError_tT0_T1_T2_jT3_P12ihipStream_tbPNSt15iterator_traitsISI_E10value_typeEPNSO_ISJ_E10value_typeEPSK_NS1_7vsmem_tEENKUlT_SI_SJ_SK_E_clIPySD_S10_SD_EESH_SX_SI_SJ_SK_EUlSX_E0_NS1_11comp_targetILNS1_3genE5ELNS1_11target_archE942ELNS1_3gpuE9ELNS1_3repE0EEENS1_38merge_mergepath_config_static_selectorELNS0_4arch9wavefront6targetE1EEEvSJ_.num_agpr, 0
	.set _ZN7rocprim17ROCPRIM_400000_NS6detail17trampoline_kernelINS0_14default_configENS1_38merge_sort_block_merge_config_selectorIyyEEZZNS1_27merge_sort_block_merge_implIS3_N6thrust23THRUST_200600_302600_NS6detail15normal_iteratorINS8_10device_ptrIyEEEESD_jNS1_19radix_merge_compareILb0ELb0EyNS0_19identity_decomposerEEEEE10hipError_tT0_T1_T2_jT3_P12ihipStream_tbPNSt15iterator_traitsISI_E10value_typeEPNSO_ISJ_E10value_typeEPSK_NS1_7vsmem_tEENKUlT_SI_SJ_SK_E_clIPySD_S10_SD_EESH_SX_SI_SJ_SK_EUlSX_E0_NS1_11comp_targetILNS1_3genE5ELNS1_11target_archE942ELNS1_3gpuE9ELNS1_3repE0EEENS1_38merge_mergepath_config_static_selectorELNS0_4arch9wavefront6targetE1EEEvSJ_.numbered_sgpr, 0
	.set _ZN7rocprim17ROCPRIM_400000_NS6detail17trampoline_kernelINS0_14default_configENS1_38merge_sort_block_merge_config_selectorIyyEEZZNS1_27merge_sort_block_merge_implIS3_N6thrust23THRUST_200600_302600_NS6detail15normal_iteratorINS8_10device_ptrIyEEEESD_jNS1_19radix_merge_compareILb0ELb0EyNS0_19identity_decomposerEEEEE10hipError_tT0_T1_T2_jT3_P12ihipStream_tbPNSt15iterator_traitsISI_E10value_typeEPNSO_ISJ_E10value_typeEPSK_NS1_7vsmem_tEENKUlT_SI_SJ_SK_E_clIPySD_S10_SD_EESH_SX_SI_SJ_SK_EUlSX_E0_NS1_11comp_targetILNS1_3genE5ELNS1_11target_archE942ELNS1_3gpuE9ELNS1_3repE0EEENS1_38merge_mergepath_config_static_selectorELNS0_4arch9wavefront6targetE1EEEvSJ_.num_named_barrier, 0
	.set _ZN7rocprim17ROCPRIM_400000_NS6detail17trampoline_kernelINS0_14default_configENS1_38merge_sort_block_merge_config_selectorIyyEEZZNS1_27merge_sort_block_merge_implIS3_N6thrust23THRUST_200600_302600_NS6detail15normal_iteratorINS8_10device_ptrIyEEEESD_jNS1_19radix_merge_compareILb0ELb0EyNS0_19identity_decomposerEEEEE10hipError_tT0_T1_T2_jT3_P12ihipStream_tbPNSt15iterator_traitsISI_E10value_typeEPNSO_ISJ_E10value_typeEPSK_NS1_7vsmem_tEENKUlT_SI_SJ_SK_E_clIPySD_S10_SD_EESH_SX_SI_SJ_SK_EUlSX_E0_NS1_11comp_targetILNS1_3genE5ELNS1_11target_archE942ELNS1_3gpuE9ELNS1_3repE0EEENS1_38merge_mergepath_config_static_selectorELNS0_4arch9wavefront6targetE1EEEvSJ_.private_seg_size, 0
	.set _ZN7rocprim17ROCPRIM_400000_NS6detail17trampoline_kernelINS0_14default_configENS1_38merge_sort_block_merge_config_selectorIyyEEZZNS1_27merge_sort_block_merge_implIS3_N6thrust23THRUST_200600_302600_NS6detail15normal_iteratorINS8_10device_ptrIyEEEESD_jNS1_19radix_merge_compareILb0ELb0EyNS0_19identity_decomposerEEEEE10hipError_tT0_T1_T2_jT3_P12ihipStream_tbPNSt15iterator_traitsISI_E10value_typeEPNSO_ISJ_E10value_typeEPSK_NS1_7vsmem_tEENKUlT_SI_SJ_SK_E_clIPySD_S10_SD_EESH_SX_SI_SJ_SK_EUlSX_E0_NS1_11comp_targetILNS1_3genE5ELNS1_11target_archE942ELNS1_3gpuE9ELNS1_3repE0EEENS1_38merge_mergepath_config_static_selectorELNS0_4arch9wavefront6targetE1EEEvSJ_.uses_vcc, 0
	.set _ZN7rocprim17ROCPRIM_400000_NS6detail17trampoline_kernelINS0_14default_configENS1_38merge_sort_block_merge_config_selectorIyyEEZZNS1_27merge_sort_block_merge_implIS3_N6thrust23THRUST_200600_302600_NS6detail15normal_iteratorINS8_10device_ptrIyEEEESD_jNS1_19radix_merge_compareILb0ELb0EyNS0_19identity_decomposerEEEEE10hipError_tT0_T1_T2_jT3_P12ihipStream_tbPNSt15iterator_traitsISI_E10value_typeEPNSO_ISJ_E10value_typeEPSK_NS1_7vsmem_tEENKUlT_SI_SJ_SK_E_clIPySD_S10_SD_EESH_SX_SI_SJ_SK_EUlSX_E0_NS1_11comp_targetILNS1_3genE5ELNS1_11target_archE942ELNS1_3gpuE9ELNS1_3repE0EEENS1_38merge_mergepath_config_static_selectorELNS0_4arch9wavefront6targetE1EEEvSJ_.uses_flat_scratch, 0
	.set _ZN7rocprim17ROCPRIM_400000_NS6detail17trampoline_kernelINS0_14default_configENS1_38merge_sort_block_merge_config_selectorIyyEEZZNS1_27merge_sort_block_merge_implIS3_N6thrust23THRUST_200600_302600_NS6detail15normal_iteratorINS8_10device_ptrIyEEEESD_jNS1_19radix_merge_compareILb0ELb0EyNS0_19identity_decomposerEEEEE10hipError_tT0_T1_T2_jT3_P12ihipStream_tbPNSt15iterator_traitsISI_E10value_typeEPNSO_ISJ_E10value_typeEPSK_NS1_7vsmem_tEENKUlT_SI_SJ_SK_E_clIPySD_S10_SD_EESH_SX_SI_SJ_SK_EUlSX_E0_NS1_11comp_targetILNS1_3genE5ELNS1_11target_archE942ELNS1_3gpuE9ELNS1_3repE0EEENS1_38merge_mergepath_config_static_selectorELNS0_4arch9wavefront6targetE1EEEvSJ_.has_dyn_sized_stack, 0
	.set _ZN7rocprim17ROCPRIM_400000_NS6detail17trampoline_kernelINS0_14default_configENS1_38merge_sort_block_merge_config_selectorIyyEEZZNS1_27merge_sort_block_merge_implIS3_N6thrust23THRUST_200600_302600_NS6detail15normal_iteratorINS8_10device_ptrIyEEEESD_jNS1_19radix_merge_compareILb0ELb0EyNS0_19identity_decomposerEEEEE10hipError_tT0_T1_T2_jT3_P12ihipStream_tbPNSt15iterator_traitsISI_E10value_typeEPNSO_ISJ_E10value_typeEPSK_NS1_7vsmem_tEENKUlT_SI_SJ_SK_E_clIPySD_S10_SD_EESH_SX_SI_SJ_SK_EUlSX_E0_NS1_11comp_targetILNS1_3genE5ELNS1_11target_archE942ELNS1_3gpuE9ELNS1_3repE0EEENS1_38merge_mergepath_config_static_selectorELNS0_4arch9wavefront6targetE1EEEvSJ_.has_recursion, 0
	.set _ZN7rocprim17ROCPRIM_400000_NS6detail17trampoline_kernelINS0_14default_configENS1_38merge_sort_block_merge_config_selectorIyyEEZZNS1_27merge_sort_block_merge_implIS3_N6thrust23THRUST_200600_302600_NS6detail15normal_iteratorINS8_10device_ptrIyEEEESD_jNS1_19radix_merge_compareILb0ELb0EyNS0_19identity_decomposerEEEEE10hipError_tT0_T1_T2_jT3_P12ihipStream_tbPNSt15iterator_traitsISI_E10value_typeEPNSO_ISJ_E10value_typeEPSK_NS1_7vsmem_tEENKUlT_SI_SJ_SK_E_clIPySD_S10_SD_EESH_SX_SI_SJ_SK_EUlSX_E0_NS1_11comp_targetILNS1_3genE5ELNS1_11target_archE942ELNS1_3gpuE9ELNS1_3repE0EEENS1_38merge_mergepath_config_static_selectorELNS0_4arch9wavefront6targetE1EEEvSJ_.has_indirect_call, 0
	.section	.AMDGPU.csdata,"",@progbits
; Kernel info:
; codeLenInByte = 0
; TotalNumSgprs: 6
; NumVgprs: 0
; NumAgprs: 0
; TotalNumVgprs: 0
; ScratchSize: 0
; MemoryBound: 0
; FloatMode: 240
; IeeeMode: 1
; LDSByteSize: 0 bytes/workgroup (compile time only)
; SGPRBlocks: 0
; VGPRBlocks: 0
; NumSGPRsForWavesPerEU: 6
; NumVGPRsForWavesPerEU: 1
; AccumOffset: 4
; Occupancy: 8
; WaveLimiterHint : 0
; COMPUTE_PGM_RSRC2:SCRATCH_EN: 0
; COMPUTE_PGM_RSRC2:USER_SGPR: 2
; COMPUTE_PGM_RSRC2:TRAP_HANDLER: 0
; COMPUTE_PGM_RSRC2:TGID_X_EN: 1
; COMPUTE_PGM_RSRC2:TGID_Y_EN: 0
; COMPUTE_PGM_RSRC2:TGID_Z_EN: 0
; COMPUTE_PGM_RSRC2:TIDIG_COMP_CNT: 0
; COMPUTE_PGM_RSRC3_GFX90A:ACCUM_OFFSET: 0
; COMPUTE_PGM_RSRC3_GFX90A:TG_SPLIT: 0
	.section	.text._ZN7rocprim17ROCPRIM_400000_NS6detail17trampoline_kernelINS0_14default_configENS1_38merge_sort_block_merge_config_selectorIyyEEZZNS1_27merge_sort_block_merge_implIS3_N6thrust23THRUST_200600_302600_NS6detail15normal_iteratorINS8_10device_ptrIyEEEESD_jNS1_19radix_merge_compareILb0ELb0EyNS0_19identity_decomposerEEEEE10hipError_tT0_T1_T2_jT3_P12ihipStream_tbPNSt15iterator_traitsISI_E10value_typeEPNSO_ISJ_E10value_typeEPSK_NS1_7vsmem_tEENKUlT_SI_SJ_SK_E_clIPySD_S10_SD_EESH_SX_SI_SJ_SK_EUlSX_E0_NS1_11comp_targetILNS1_3genE4ELNS1_11target_archE910ELNS1_3gpuE8ELNS1_3repE0EEENS1_38merge_mergepath_config_static_selectorELNS0_4arch9wavefront6targetE1EEEvSJ_,"axG",@progbits,_ZN7rocprim17ROCPRIM_400000_NS6detail17trampoline_kernelINS0_14default_configENS1_38merge_sort_block_merge_config_selectorIyyEEZZNS1_27merge_sort_block_merge_implIS3_N6thrust23THRUST_200600_302600_NS6detail15normal_iteratorINS8_10device_ptrIyEEEESD_jNS1_19radix_merge_compareILb0ELb0EyNS0_19identity_decomposerEEEEE10hipError_tT0_T1_T2_jT3_P12ihipStream_tbPNSt15iterator_traitsISI_E10value_typeEPNSO_ISJ_E10value_typeEPSK_NS1_7vsmem_tEENKUlT_SI_SJ_SK_E_clIPySD_S10_SD_EESH_SX_SI_SJ_SK_EUlSX_E0_NS1_11comp_targetILNS1_3genE4ELNS1_11target_archE910ELNS1_3gpuE8ELNS1_3repE0EEENS1_38merge_mergepath_config_static_selectorELNS0_4arch9wavefront6targetE1EEEvSJ_,comdat
	.protected	_ZN7rocprim17ROCPRIM_400000_NS6detail17trampoline_kernelINS0_14default_configENS1_38merge_sort_block_merge_config_selectorIyyEEZZNS1_27merge_sort_block_merge_implIS3_N6thrust23THRUST_200600_302600_NS6detail15normal_iteratorINS8_10device_ptrIyEEEESD_jNS1_19radix_merge_compareILb0ELb0EyNS0_19identity_decomposerEEEEE10hipError_tT0_T1_T2_jT3_P12ihipStream_tbPNSt15iterator_traitsISI_E10value_typeEPNSO_ISJ_E10value_typeEPSK_NS1_7vsmem_tEENKUlT_SI_SJ_SK_E_clIPySD_S10_SD_EESH_SX_SI_SJ_SK_EUlSX_E0_NS1_11comp_targetILNS1_3genE4ELNS1_11target_archE910ELNS1_3gpuE8ELNS1_3repE0EEENS1_38merge_mergepath_config_static_selectorELNS0_4arch9wavefront6targetE1EEEvSJ_ ; -- Begin function _ZN7rocprim17ROCPRIM_400000_NS6detail17trampoline_kernelINS0_14default_configENS1_38merge_sort_block_merge_config_selectorIyyEEZZNS1_27merge_sort_block_merge_implIS3_N6thrust23THRUST_200600_302600_NS6detail15normal_iteratorINS8_10device_ptrIyEEEESD_jNS1_19radix_merge_compareILb0ELb0EyNS0_19identity_decomposerEEEEE10hipError_tT0_T1_T2_jT3_P12ihipStream_tbPNSt15iterator_traitsISI_E10value_typeEPNSO_ISJ_E10value_typeEPSK_NS1_7vsmem_tEENKUlT_SI_SJ_SK_E_clIPySD_S10_SD_EESH_SX_SI_SJ_SK_EUlSX_E0_NS1_11comp_targetILNS1_3genE4ELNS1_11target_archE910ELNS1_3gpuE8ELNS1_3repE0EEENS1_38merge_mergepath_config_static_selectorELNS0_4arch9wavefront6targetE1EEEvSJ_
	.globl	_ZN7rocprim17ROCPRIM_400000_NS6detail17trampoline_kernelINS0_14default_configENS1_38merge_sort_block_merge_config_selectorIyyEEZZNS1_27merge_sort_block_merge_implIS3_N6thrust23THRUST_200600_302600_NS6detail15normal_iteratorINS8_10device_ptrIyEEEESD_jNS1_19radix_merge_compareILb0ELb0EyNS0_19identity_decomposerEEEEE10hipError_tT0_T1_T2_jT3_P12ihipStream_tbPNSt15iterator_traitsISI_E10value_typeEPNSO_ISJ_E10value_typeEPSK_NS1_7vsmem_tEENKUlT_SI_SJ_SK_E_clIPySD_S10_SD_EESH_SX_SI_SJ_SK_EUlSX_E0_NS1_11comp_targetILNS1_3genE4ELNS1_11target_archE910ELNS1_3gpuE8ELNS1_3repE0EEENS1_38merge_mergepath_config_static_selectorELNS0_4arch9wavefront6targetE1EEEvSJ_
	.p2align	8
	.type	_ZN7rocprim17ROCPRIM_400000_NS6detail17trampoline_kernelINS0_14default_configENS1_38merge_sort_block_merge_config_selectorIyyEEZZNS1_27merge_sort_block_merge_implIS3_N6thrust23THRUST_200600_302600_NS6detail15normal_iteratorINS8_10device_ptrIyEEEESD_jNS1_19radix_merge_compareILb0ELb0EyNS0_19identity_decomposerEEEEE10hipError_tT0_T1_T2_jT3_P12ihipStream_tbPNSt15iterator_traitsISI_E10value_typeEPNSO_ISJ_E10value_typeEPSK_NS1_7vsmem_tEENKUlT_SI_SJ_SK_E_clIPySD_S10_SD_EESH_SX_SI_SJ_SK_EUlSX_E0_NS1_11comp_targetILNS1_3genE4ELNS1_11target_archE910ELNS1_3gpuE8ELNS1_3repE0EEENS1_38merge_mergepath_config_static_selectorELNS0_4arch9wavefront6targetE1EEEvSJ_,@function
_ZN7rocprim17ROCPRIM_400000_NS6detail17trampoline_kernelINS0_14default_configENS1_38merge_sort_block_merge_config_selectorIyyEEZZNS1_27merge_sort_block_merge_implIS3_N6thrust23THRUST_200600_302600_NS6detail15normal_iteratorINS8_10device_ptrIyEEEESD_jNS1_19radix_merge_compareILb0ELb0EyNS0_19identity_decomposerEEEEE10hipError_tT0_T1_T2_jT3_P12ihipStream_tbPNSt15iterator_traitsISI_E10value_typeEPNSO_ISJ_E10value_typeEPSK_NS1_7vsmem_tEENKUlT_SI_SJ_SK_E_clIPySD_S10_SD_EESH_SX_SI_SJ_SK_EUlSX_E0_NS1_11comp_targetILNS1_3genE4ELNS1_11target_archE910ELNS1_3gpuE8ELNS1_3repE0EEENS1_38merge_mergepath_config_static_selectorELNS0_4arch9wavefront6targetE1EEEvSJ_: ; @_ZN7rocprim17ROCPRIM_400000_NS6detail17trampoline_kernelINS0_14default_configENS1_38merge_sort_block_merge_config_selectorIyyEEZZNS1_27merge_sort_block_merge_implIS3_N6thrust23THRUST_200600_302600_NS6detail15normal_iteratorINS8_10device_ptrIyEEEESD_jNS1_19radix_merge_compareILb0ELb0EyNS0_19identity_decomposerEEEEE10hipError_tT0_T1_T2_jT3_P12ihipStream_tbPNSt15iterator_traitsISI_E10value_typeEPNSO_ISJ_E10value_typeEPSK_NS1_7vsmem_tEENKUlT_SI_SJ_SK_E_clIPySD_S10_SD_EESH_SX_SI_SJ_SK_EUlSX_E0_NS1_11comp_targetILNS1_3genE4ELNS1_11target_archE910ELNS1_3gpuE8ELNS1_3repE0EEENS1_38merge_mergepath_config_static_selectorELNS0_4arch9wavefront6targetE1EEEvSJ_
; %bb.0:
	.section	.rodata,"a",@progbits
	.p2align	6, 0x0
	.amdhsa_kernel _ZN7rocprim17ROCPRIM_400000_NS6detail17trampoline_kernelINS0_14default_configENS1_38merge_sort_block_merge_config_selectorIyyEEZZNS1_27merge_sort_block_merge_implIS3_N6thrust23THRUST_200600_302600_NS6detail15normal_iteratorINS8_10device_ptrIyEEEESD_jNS1_19radix_merge_compareILb0ELb0EyNS0_19identity_decomposerEEEEE10hipError_tT0_T1_T2_jT3_P12ihipStream_tbPNSt15iterator_traitsISI_E10value_typeEPNSO_ISJ_E10value_typeEPSK_NS1_7vsmem_tEENKUlT_SI_SJ_SK_E_clIPySD_S10_SD_EESH_SX_SI_SJ_SK_EUlSX_E0_NS1_11comp_targetILNS1_3genE4ELNS1_11target_archE910ELNS1_3gpuE8ELNS1_3repE0EEENS1_38merge_mergepath_config_static_selectorELNS0_4arch9wavefront6targetE1EEEvSJ_
		.amdhsa_group_segment_fixed_size 0
		.amdhsa_private_segment_fixed_size 0
		.amdhsa_kernarg_size 64
		.amdhsa_user_sgpr_count 2
		.amdhsa_user_sgpr_dispatch_ptr 0
		.amdhsa_user_sgpr_queue_ptr 0
		.amdhsa_user_sgpr_kernarg_segment_ptr 1
		.amdhsa_user_sgpr_dispatch_id 0
		.amdhsa_user_sgpr_kernarg_preload_length 0
		.amdhsa_user_sgpr_kernarg_preload_offset 0
		.amdhsa_user_sgpr_private_segment_size 0
		.amdhsa_uses_dynamic_stack 0
		.amdhsa_enable_private_segment 0
		.amdhsa_system_sgpr_workgroup_id_x 1
		.amdhsa_system_sgpr_workgroup_id_y 0
		.amdhsa_system_sgpr_workgroup_id_z 0
		.amdhsa_system_sgpr_workgroup_info 0
		.amdhsa_system_vgpr_workitem_id 0
		.amdhsa_next_free_vgpr 1
		.amdhsa_next_free_sgpr 0
		.amdhsa_accum_offset 4
		.amdhsa_reserve_vcc 0
		.amdhsa_float_round_mode_32 0
		.amdhsa_float_round_mode_16_64 0
		.amdhsa_float_denorm_mode_32 3
		.amdhsa_float_denorm_mode_16_64 3
		.amdhsa_dx10_clamp 1
		.amdhsa_ieee_mode 1
		.amdhsa_fp16_overflow 0
		.amdhsa_tg_split 0
		.amdhsa_exception_fp_ieee_invalid_op 0
		.amdhsa_exception_fp_denorm_src 0
		.amdhsa_exception_fp_ieee_div_zero 0
		.amdhsa_exception_fp_ieee_overflow 0
		.amdhsa_exception_fp_ieee_underflow 0
		.amdhsa_exception_fp_ieee_inexact 0
		.amdhsa_exception_int_div_zero 0
	.end_amdhsa_kernel
	.section	.text._ZN7rocprim17ROCPRIM_400000_NS6detail17trampoline_kernelINS0_14default_configENS1_38merge_sort_block_merge_config_selectorIyyEEZZNS1_27merge_sort_block_merge_implIS3_N6thrust23THRUST_200600_302600_NS6detail15normal_iteratorINS8_10device_ptrIyEEEESD_jNS1_19radix_merge_compareILb0ELb0EyNS0_19identity_decomposerEEEEE10hipError_tT0_T1_T2_jT3_P12ihipStream_tbPNSt15iterator_traitsISI_E10value_typeEPNSO_ISJ_E10value_typeEPSK_NS1_7vsmem_tEENKUlT_SI_SJ_SK_E_clIPySD_S10_SD_EESH_SX_SI_SJ_SK_EUlSX_E0_NS1_11comp_targetILNS1_3genE4ELNS1_11target_archE910ELNS1_3gpuE8ELNS1_3repE0EEENS1_38merge_mergepath_config_static_selectorELNS0_4arch9wavefront6targetE1EEEvSJ_,"axG",@progbits,_ZN7rocprim17ROCPRIM_400000_NS6detail17trampoline_kernelINS0_14default_configENS1_38merge_sort_block_merge_config_selectorIyyEEZZNS1_27merge_sort_block_merge_implIS3_N6thrust23THRUST_200600_302600_NS6detail15normal_iteratorINS8_10device_ptrIyEEEESD_jNS1_19radix_merge_compareILb0ELb0EyNS0_19identity_decomposerEEEEE10hipError_tT0_T1_T2_jT3_P12ihipStream_tbPNSt15iterator_traitsISI_E10value_typeEPNSO_ISJ_E10value_typeEPSK_NS1_7vsmem_tEENKUlT_SI_SJ_SK_E_clIPySD_S10_SD_EESH_SX_SI_SJ_SK_EUlSX_E0_NS1_11comp_targetILNS1_3genE4ELNS1_11target_archE910ELNS1_3gpuE8ELNS1_3repE0EEENS1_38merge_mergepath_config_static_selectorELNS0_4arch9wavefront6targetE1EEEvSJ_,comdat
.Lfunc_end407:
	.size	_ZN7rocprim17ROCPRIM_400000_NS6detail17trampoline_kernelINS0_14default_configENS1_38merge_sort_block_merge_config_selectorIyyEEZZNS1_27merge_sort_block_merge_implIS3_N6thrust23THRUST_200600_302600_NS6detail15normal_iteratorINS8_10device_ptrIyEEEESD_jNS1_19radix_merge_compareILb0ELb0EyNS0_19identity_decomposerEEEEE10hipError_tT0_T1_T2_jT3_P12ihipStream_tbPNSt15iterator_traitsISI_E10value_typeEPNSO_ISJ_E10value_typeEPSK_NS1_7vsmem_tEENKUlT_SI_SJ_SK_E_clIPySD_S10_SD_EESH_SX_SI_SJ_SK_EUlSX_E0_NS1_11comp_targetILNS1_3genE4ELNS1_11target_archE910ELNS1_3gpuE8ELNS1_3repE0EEENS1_38merge_mergepath_config_static_selectorELNS0_4arch9wavefront6targetE1EEEvSJ_, .Lfunc_end407-_ZN7rocprim17ROCPRIM_400000_NS6detail17trampoline_kernelINS0_14default_configENS1_38merge_sort_block_merge_config_selectorIyyEEZZNS1_27merge_sort_block_merge_implIS3_N6thrust23THRUST_200600_302600_NS6detail15normal_iteratorINS8_10device_ptrIyEEEESD_jNS1_19radix_merge_compareILb0ELb0EyNS0_19identity_decomposerEEEEE10hipError_tT0_T1_T2_jT3_P12ihipStream_tbPNSt15iterator_traitsISI_E10value_typeEPNSO_ISJ_E10value_typeEPSK_NS1_7vsmem_tEENKUlT_SI_SJ_SK_E_clIPySD_S10_SD_EESH_SX_SI_SJ_SK_EUlSX_E0_NS1_11comp_targetILNS1_3genE4ELNS1_11target_archE910ELNS1_3gpuE8ELNS1_3repE0EEENS1_38merge_mergepath_config_static_selectorELNS0_4arch9wavefront6targetE1EEEvSJ_
                                        ; -- End function
	.set _ZN7rocprim17ROCPRIM_400000_NS6detail17trampoline_kernelINS0_14default_configENS1_38merge_sort_block_merge_config_selectorIyyEEZZNS1_27merge_sort_block_merge_implIS3_N6thrust23THRUST_200600_302600_NS6detail15normal_iteratorINS8_10device_ptrIyEEEESD_jNS1_19radix_merge_compareILb0ELb0EyNS0_19identity_decomposerEEEEE10hipError_tT0_T1_T2_jT3_P12ihipStream_tbPNSt15iterator_traitsISI_E10value_typeEPNSO_ISJ_E10value_typeEPSK_NS1_7vsmem_tEENKUlT_SI_SJ_SK_E_clIPySD_S10_SD_EESH_SX_SI_SJ_SK_EUlSX_E0_NS1_11comp_targetILNS1_3genE4ELNS1_11target_archE910ELNS1_3gpuE8ELNS1_3repE0EEENS1_38merge_mergepath_config_static_selectorELNS0_4arch9wavefront6targetE1EEEvSJ_.num_vgpr, 0
	.set _ZN7rocprim17ROCPRIM_400000_NS6detail17trampoline_kernelINS0_14default_configENS1_38merge_sort_block_merge_config_selectorIyyEEZZNS1_27merge_sort_block_merge_implIS3_N6thrust23THRUST_200600_302600_NS6detail15normal_iteratorINS8_10device_ptrIyEEEESD_jNS1_19radix_merge_compareILb0ELb0EyNS0_19identity_decomposerEEEEE10hipError_tT0_T1_T2_jT3_P12ihipStream_tbPNSt15iterator_traitsISI_E10value_typeEPNSO_ISJ_E10value_typeEPSK_NS1_7vsmem_tEENKUlT_SI_SJ_SK_E_clIPySD_S10_SD_EESH_SX_SI_SJ_SK_EUlSX_E0_NS1_11comp_targetILNS1_3genE4ELNS1_11target_archE910ELNS1_3gpuE8ELNS1_3repE0EEENS1_38merge_mergepath_config_static_selectorELNS0_4arch9wavefront6targetE1EEEvSJ_.num_agpr, 0
	.set _ZN7rocprim17ROCPRIM_400000_NS6detail17trampoline_kernelINS0_14default_configENS1_38merge_sort_block_merge_config_selectorIyyEEZZNS1_27merge_sort_block_merge_implIS3_N6thrust23THRUST_200600_302600_NS6detail15normal_iteratorINS8_10device_ptrIyEEEESD_jNS1_19radix_merge_compareILb0ELb0EyNS0_19identity_decomposerEEEEE10hipError_tT0_T1_T2_jT3_P12ihipStream_tbPNSt15iterator_traitsISI_E10value_typeEPNSO_ISJ_E10value_typeEPSK_NS1_7vsmem_tEENKUlT_SI_SJ_SK_E_clIPySD_S10_SD_EESH_SX_SI_SJ_SK_EUlSX_E0_NS1_11comp_targetILNS1_3genE4ELNS1_11target_archE910ELNS1_3gpuE8ELNS1_3repE0EEENS1_38merge_mergepath_config_static_selectorELNS0_4arch9wavefront6targetE1EEEvSJ_.numbered_sgpr, 0
	.set _ZN7rocprim17ROCPRIM_400000_NS6detail17trampoline_kernelINS0_14default_configENS1_38merge_sort_block_merge_config_selectorIyyEEZZNS1_27merge_sort_block_merge_implIS3_N6thrust23THRUST_200600_302600_NS6detail15normal_iteratorINS8_10device_ptrIyEEEESD_jNS1_19radix_merge_compareILb0ELb0EyNS0_19identity_decomposerEEEEE10hipError_tT0_T1_T2_jT3_P12ihipStream_tbPNSt15iterator_traitsISI_E10value_typeEPNSO_ISJ_E10value_typeEPSK_NS1_7vsmem_tEENKUlT_SI_SJ_SK_E_clIPySD_S10_SD_EESH_SX_SI_SJ_SK_EUlSX_E0_NS1_11comp_targetILNS1_3genE4ELNS1_11target_archE910ELNS1_3gpuE8ELNS1_3repE0EEENS1_38merge_mergepath_config_static_selectorELNS0_4arch9wavefront6targetE1EEEvSJ_.num_named_barrier, 0
	.set _ZN7rocprim17ROCPRIM_400000_NS6detail17trampoline_kernelINS0_14default_configENS1_38merge_sort_block_merge_config_selectorIyyEEZZNS1_27merge_sort_block_merge_implIS3_N6thrust23THRUST_200600_302600_NS6detail15normal_iteratorINS8_10device_ptrIyEEEESD_jNS1_19radix_merge_compareILb0ELb0EyNS0_19identity_decomposerEEEEE10hipError_tT0_T1_T2_jT3_P12ihipStream_tbPNSt15iterator_traitsISI_E10value_typeEPNSO_ISJ_E10value_typeEPSK_NS1_7vsmem_tEENKUlT_SI_SJ_SK_E_clIPySD_S10_SD_EESH_SX_SI_SJ_SK_EUlSX_E0_NS1_11comp_targetILNS1_3genE4ELNS1_11target_archE910ELNS1_3gpuE8ELNS1_3repE0EEENS1_38merge_mergepath_config_static_selectorELNS0_4arch9wavefront6targetE1EEEvSJ_.private_seg_size, 0
	.set _ZN7rocprim17ROCPRIM_400000_NS6detail17trampoline_kernelINS0_14default_configENS1_38merge_sort_block_merge_config_selectorIyyEEZZNS1_27merge_sort_block_merge_implIS3_N6thrust23THRUST_200600_302600_NS6detail15normal_iteratorINS8_10device_ptrIyEEEESD_jNS1_19radix_merge_compareILb0ELb0EyNS0_19identity_decomposerEEEEE10hipError_tT0_T1_T2_jT3_P12ihipStream_tbPNSt15iterator_traitsISI_E10value_typeEPNSO_ISJ_E10value_typeEPSK_NS1_7vsmem_tEENKUlT_SI_SJ_SK_E_clIPySD_S10_SD_EESH_SX_SI_SJ_SK_EUlSX_E0_NS1_11comp_targetILNS1_3genE4ELNS1_11target_archE910ELNS1_3gpuE8ELNS1_3repE0EEENS1_38merge_mergepath_config_static_selectorELNS0_4arch9wavefront6targetE1EEEvSJ_.uses_vcc, 0
	.set _ZN7rocprim17ROCPRIM_400000_NS6detail17trampoline_kernelINS0_14default_configENS1_38merge_sort_block_merge_config_selectorIyyEEZZNS1_27merge_sort_block_merge_implIS3_N6thrust23THRUST_200600_302600_NS6detail15normal_iteratorINS8_10device_ptrIyEEEESD_jNS1_19radix_merge_compareILb0ELb0EyNS0_19identity_decomposerEEEEE10hipError_tT0_T1_T2_jT3_P12ihipStream_tbPNSt15iterator_traitsISI_E10value_typeEPNSO_ISJ_E10value_typeEPSK_NS1_7vsmem_tEENKUlT_SI_SJ_SK_E_clIPySD_S10_SD_EESH_SX_SI_SJ_SK_EUlSX_E0_NS1_11comp_targetILNS1_3genE4ELNS1_11target_archE910ELNS1_3gpuE8ELNS1_3repE0EEENS1_38merge_mergepath_config_static_selectorELNS0_4arch9wavefront6targetE1EEEvSJ_.uses_flat_scratch, 0
	.set _ZN7rocprim17ROCPRIM_400000_NS6detail17trampoline_kernelINS0_14default_configENS1_38merge_sort_block_merge_config_selectorIyyEEZZNS1_27merge_sort_block_merge_implIS3_N6thrust23THRUST_200600_302600_NS6detail15normal_iteratorINS8_10device_ptrIyEEEESD_jNS1_19radix_merge_compareILb0ELb0EyNS0_19identity_decomposerEEEEE10hipError_tT0_T1_T2_jT3_P12ihipStream_tbPNSt15iterator_traitsISI_E10value_typeEPNSO_ISJ_E10value_typeEPSK_NS1_7vsmem_tEENKUlT_SI_SJ_SK_E_clIPySD_S10_SD_EESH_SX_SI_SJ_SK_EUlSX_E0_NS1_11comp_targetILNS1_3genE4ELNS1_11target_archE910ELNS1_3gpuE8ELNS1_3repE0EEENS1_38merge_mergepath_config_static_selectorELNS0_4arch9wavefront6targetE1EEEvSJ_.has_dyn_sized_stack, 0
	.set _ZN7rocprim17ROCPRIM_400000_NS6detail17trampoline_kernelINS0_14default_configENS1_38merge_sort_block_merge_config_selectorIyyEEZZNS1_27merge_sort_block_merge_implIS3_N6thrust23THRUST_200600_302600_NS6detail15normal_iteratorINS8_10device_ptrIyEEEESD_jNS1_19radix_merge_compareILb0ELb0EyNS0_19identity_decomposerEEEEE10hipError_tT0_T1_T2_jT3_P12ihipStream_tbPNSt15iterator_traitsISI_E10value_typeEPNSO_ISJ_E10value_typeEPSK_NS1_7vsmem_tEENKUlT_SI_SJ_SK_E_clIPySD_S10_SD_EESH_SX_SI_SJ_SK_EUlSX_E0_NS1_11comp_targetILNS1_3genE4ELNS1_11target_archE910ELNS1_3gpuE8ELNS1_3repE0EEENS1_38merge_mergepath_config_static_selectorELNS0_4arch9wavefront6targetE1EEEvSJ_.has_recursion, 0
	.set _ZN7rocprim17ROCPRIM_400000_NS6detail17trampoline_kernelINS0_14default_configENS1_38merge_sort_block_merge_config_selectorIyyEEZZNS1_27merge_sort_block_merge_implIS3_N6thrust23THRUST_200600_302600_NS6detail15normal_iteratorINS8_10device_ptrIyEEEESD_jNS1_19radix_merge_compareILb0ELb0EyNS0_19identity_decomposerEEEEE10hipError_tT0_T1_T2_jT3_P12ihipStream_tbPNSt15iterator_traitsISI_E10value_typeEPNSO_ISJ_E10value_typeEPSK_NS1_7vsmem_tEENKUlT_SI_SJ_SK_E_clIPySD_S10_SD_EESH_SX_SI_SJ_SK_EUlSX_E0_NS1_11comp_targetILNS1_3genE4ELNS1_11target_archE910ELNS1_3gpuE8ELNS1_3repE0EEENS1_38merge_mergepath_config_static_selectorELNS0_4arch9wavefront6targetE1EEEvSJ_.has_indirect_call, 0
	.section	.AMDGPU.csdata,"",@progbits
; Kernel info:
; codeLenInByte = 0
; TotalNumSgprs: 6
; NumVgprs: 0
; NumAgprs: 0
; TotalNumVgprs: 0
; ScratchSize: 0
; MemoryBound: 0
; FloatMode: 240
; IeeeMode: 1
; LDSByteSize: 0 bytes/workgroup (compile time only)
; SGPRBlocks: 0
; VGPRBlocks: 0
; NumSGPRsForWavesPerEU: 6
; NumVGPRsForWavesPerEU: 1
; AccumOffset: 4
; Occupancy: 8
; WaveLimiterHint : 0
; COMPUTE_PGM_RSRC2:SCRATCH_EN: 0
; COMPUTE_PGM_RSRC2:USER_SGPR: 2
; COMPUTE_PGM_RSRC2:TRAP_HANDLER: 0
; COMPUTE_PGM_RSRC2:TGID_X_EN: 1
; COMPUTE_PGM_RSRC2:TGID_Y_EN: 0
; COMPUTE_PGM_RSRC2:TGID_Z_EN: 0
; COMPUTE_PGM_RSRC2:TIDIG_COMP_CNT: 0
; COMPUTE_PGM_RSRC3_GFX90A:ACCUM_OFFSET: 0
; COMPUTE_PGM_RSRC3_GFX90A:TG_SPLIT: 0
	.section	.text._ZN7rocprim17ROCPRIM_400000_NS6detail17trampoline_kernelINS0_14default_configENS1_38merge_sort_block_merge_config_selectorIyyEEZZNS1_27merge_sort_block_merge_implIS3_N6thrust23THRUST_200600_302600_NS6detail15normal_iteratorINS8_10device_ptrIyEEEESD_jNS1_19radix_merge_compareILb0ELb0EyNS0_19identity_decomposerEEEEE10hipError_tT0_T1_T2_jT3_P12ihipStream_tbPNSt15iterator_traitsISI_E10value_typeEPNSO_ISJ_E10value_typeEPSK_NS1_7vsmem_tEENKUlT_SI_SJ_SK_E_clIPySD_S10_SD_EESH_SX_SI_SJ_SK_EUlSX_E0_NS1_11comp_targetILNS1_3genE3ELNS1_11target_archE908ELNS1_3gpuE7ELNS1_3repE0EEENS1_38merge_mergepath_config_static_selectorELNS0_4arch9wavefront6targetE1EEEvSJ_,"axG",@progbits,_ZN7rocprim17ROCPRIM_400000_NS6detail17trampoline_kernelINS0_14default_configENS1_38merge_sort_block_merge_config_selectorIyyEEZZNS1_27merge_sort_block_merge_implIS3_N6thrust23THRUST_200600_302600_NS6detail15normal_iteratorINS8_10device_ptrIyEEEESD_jNS1_19radix_merge_compareILb0ELb0EyNS0_19identity_decomposerEEEEE10hipError_tT0_T1_T2_jT3_P12ihipStream_tbPNSt15iterator_traitsISI_E10value_typeEPNSO_ISJ_E10value_typeEPSK_NS1_7vsmem_tEENKUlT_SI_SJ_SK_E_clIPySD_S10_SD_EESH_SX_SI_SJ_SK_EUlSX_E0_NS1_11comp_targetILNS1_3genE3ELNS1_11target_archE908ELNS1_3gpuE7ELNS1_3repE0EEENS1_38merge_mergepath_config_static_selectorELNS0_4arch9wavefront6targetE1EEEvSJ_,comdat
	.protected	_ZN7rocprim17ROCPRIM_400000_NS6detail17trampoline_kernelINS0_14default_configENS1_38merge_sort_block_merge_config_selectorIyyEEZZNS1_27merge_sort_block_merge_implIS3_N6thrust23THRUST_200600_302600_NS6detail15normal_iteratorINS8_10device_ptrIyEEEESD_jNS1_19radix_merge_compareILb0ELb0EyNS0_19identity_decomposerEEEEE10hipError_tT0_T1_T2_jT3_P12ihipStream_tbPNSt15iterator_traitsISI_E10value_typeEPNSO_ISJ_E10value_typeEPSK_NS1_7vsmem_tEENKUlT_SI_SJ_SK_E_clIPySD_S10_SD_EESH_SX_SI_SJ_SK_EUlSX_E0_NS1_11comp_targetILNS1_3genE3ELNS1_11target_archE908ELNS1_3gpuE7ELNS1_3repE0EEENS1_38merge_mergepath_config_static_selectorELNS0_4arch9wavefront6targetE1EEEvSJ_ ; -- Begin function _ZN7rocprim17ROCPRIM_400000_NS6detail17trampoline_kernelINS0_14default_configENS1_38merge_sort_block_merge_config_selectorIyyEEZZNS1_27merge_sort_block_merge_implIS3_N6thrust23THRUST_200600_302600_NS6detail15normal_iteratorINS8_10device_ptrIyEEEESD_jNS1_19radix_merge_compareILb0ELb0EyNS0_19identity_decomposerEEEEE10hipError_tT0_T1_T2_jT3_P12ihipStream_tbPNSt15iterator_traitsISI_E10value_typeEPNSO_ISJ_E10value_typeEPSK_NS1_7vsmem_tEENKUlT_SI_SJ_SK_E_clIPySD_S10_SD_EESH_SX_SI_SJ_SK_EUlSX_E0_NS1_11comp_targetILNS1_3genE3ELNS1_11target_archE908ELNS1_3gpuE7ELNS1_3repE0EEENS1_38merge_mergepath_config_static_selectorELNS0_4arch9wavefront6targetE1EEEvSJ_
	.globl	_ZN7rocprim17ROCPRIM_400000_NS6detail17trampoline_kernelINS0_14default_configENS1_38merge_sort_block_merge_config_selectorIyyEEZZNS1_27merge_sort_block_merge_implIS3_N6thrust23THRUST_200600_302600_NS6detail15normal_iteratorINS8_10device_ptrIyEEEESD_jNS1_19radix_merge_compareILb0ELb0EyNS0_19identity_decomposerEEEEE10hipError_tT0_T1_T2_jT3_P12ihipStream_tbPNSt15iterator_traitsISI_E10value_typeEPNSO_ISJ_E10value_typeEPSK_NS1_7vsmem_tEENKUlT_SI_SJ_SK_E_clIPySD_S10_SD_EESH_SX_SI_SJ_SK_EUlSX_E0_NS1_11comp_targetILNS1_3genE3ELNS1_11target_archE908ELNS1_3gpuE7ELNS1_3repE0EEENS1_38merge_mergepath_config_static_selectorELNS0_4arch9wavefront6targetE1EEEvSJ_
	.p2align	8
	.type	_ZN7rocprim17ROCPRIM_400000_NS6detail17trampoline_kernelINS0_14default_configENS1_38merge_sort_block_merge_config_selectorIyyEEZZNS1_27merge_sort_block_merge_implIS3_N6thrust23THRUST_200600_302600_NS6detail15normal_iteratorINS8_10device_ptrIyEEEESD_jNS1_19radix_merge_compareILb0ELb0EyNS0_19identity_decomposerEEEEE10hipError_tT0_T1_T2_jT3_P12ihipStream_tbPNSt15iterator_traitsISI_E10value_typeEPNSO_ISJ_E10value_typeEPSK_NS1_7vsmem_tEENKUlT_SI_SJ_SK_E_clIPySD_S10_SD_EESH_SX_SI_SJ_SK_EUlSX_E0_NS1_11comp_targetILNS1_3genE3ELNS1_11target_archE908ELNS1_3gpuE7ELNS1_3repE0EEENS1_38merge_mergepath_config_static_selectorELNS0_4arch9wavefront6targetE1EEEvSJ_,@function
_ZN7rocprim17ROCPRIM_400000_NS6detail17trampoline_kernelINS0_14default_configENS1_38merge_sort_block_merge_config_selectorIyyEEZZNS1_27merge_sort_block_merge_implIS3_N6thrust23THRUST_200600_302600_NS6detail15normal_iteratorINS8_10device_ptrIyEEEESD_jNS1_19radix_merge_compareILb0ELb0EyNS0_19identity_decomposerEEEEE10hipError_tT0_T1_T2_jT3_P12ihipStream_tbPNSt15iterator_traitsISI_E10value_typeEPNSO_ISJ_E10value_typeEPSK_NS1_7vsmem_tEENKUlT_SI_SJ_SK_E_clIPySD_S10_SD_EESH_SX_SI_SJ_SK_EUlSX_E0_NS1_11comp_targetILNS1_3genE3ELNS1_11target_archE908ELNS1_3gpuE7ELNS1_3repE0EEENS1_38merge_mergepath_config_static_selectorELNS0_4arch9wavefront6targetE1EEEvSJ_: ; @_ZN7rocprim17ROCPRIM_400000_NS6detail17trampoline_kernelINS0_14default_configENS1_38merge_sort_block_merge_config_selectorIyyEEZZNS1_27merge_sort_block_merge_implIS3_N6thrust23THRUST_200600_302600_NS6detail15normal_iteratorINS8_10device_ptrIyEEEESD_jNS1_19radix_merge_compareILb0ELb0EyNS0_19identity_decomposerEEEEE10hipError_tT0_T1_T2_jT3_P12ihipStream_tbPNSt15iterator_traitsISI_E10value_typeEPNSO_ISJ_E10value_typeEPSK_NS1_7vsmem_tEENKUlT_SI_SJ_SK_E_clIPySD_S10_SD_EESH_SX_SI_SJ_SK_EUlSX_E0_NS1_11comp_targetILNS1_3genE3ELNS1_11target_archE908ELNS1_3gpuE7ELNS1_3repE0EEENS1_38merge_mergepath_config_static_selectorELNS0_4arch9wavefront6targetE1EEEvSJ_
; %bb.0:
	.section	.rodata,"a",@progbits
	.p2align	6, 0x0
	.amdhsa_kernel _ZN7rocprim17ROCPRIM_400000_NS6detail17trampoline_kernelINS0_14default_configENS1_38merge_sort_block_merge_config_selectorIyyEEZZNS1_27merge_sort_block_merge_implIS3_N6thrust23THRUST_200600_302600_NS6detail15normal_iteratorINS8_10device_ptrIyEEEESD_jNS1_19radix_merge_compareILb0ELb0EyNS0_19identity_decomposerEEEEE10hipError_tT0_T1_T2_jT3_P12ihipStream_tbPNSt15iterator_traitsISI_E10value_typeEPNSO_ISJ_E10value_typeEPSK_NS1_7vsmem_tEENKUlT_SI_SJ_SK_E_clIPySD_S10_SD_EESH_SX_SI_SJ_SK_EUlSX_E0_NS1_11comp_targetILNS1_3genE3ELNS1_11target_archE908ELNS1_3gpuE7ELNS1_3repE0EEENS1_38merge_mergepath_config_static_selectorELNS0_4arch9wavefront6targetE1EEEvSJ_
		.amdhsa_group_segment_fixed_size 0
		.amdhsa_private_segment_fixed_size 0
		.amdhsa_kernarg_size 64
		.amdhsa_user_sgpr_count 2
		.amdhsa_user_sgpr_dispatch_ptr 0
		.amdhsa_user_sgpr_queue_ptr 0
		.amdhsa_user_sgpr_kernarg_segment_ptr 1
		.amdhsa_user_sgpr_dispatch_id 0
		.amdhsa_user_sgpr_kernarg_preload_length 0
		.amdhsa_user_sgpr_kernarg_preload_offset 0
		.amdhsa_user_sgpr_private_segment_size 0
		.amdhsa_uses_dynamic_stack 0
		.amdhsa_enable_private_segment 0
		.amdhsa_system_sgpr_workgroup_id_x 1
		.amdhsa_system_sgpr_workgroup_id_y 0
		.amdhsa_system_sgpr_workgroup_id_z 0
		.amdhsa_system_sgpr_workgroup_info 0
		.amdhsa_system_vgpr_workitem_id 0
		.amdhsa_next_free_vgpr 1
		.amdhsa_next_free_sgpr 0
		.amdhsa_accum_offset 4
		.amdhsa_reserve_vcc 0
		.amdhsa_float_round_mode_32 0
		.amdhsa_float_round_mode_16_64 0
		.amdhsa_float_denorm_mode_32 3
		.amdhsa_float_denorm_mode_16_64 3
		.amdhsa_dx10_clamp 1
		.amdhsa_ieee_mode 1
		.amdhsa_fp16_overflow 0
		.amdhsa_tg_split 0
		.amdhsa_exception_fp_ieee_invalid_op 0
		.amdhsa_exception_fp_denorm_src 0
		.amdhsa_exception_fp_ieee_div_zero 0
		.amdhsa_exception_fp_ieee_overflow 0
		.amdhsa_exception_fp_ieee_underflow 0
		.amdhsa_exception_fp_ieee_inexact 0
		.amdhsa_exception_int_div_zero 0
	.end_amdhsa_kernel
	.section	.text._ZN7rocprim17ROCPRIM_400000_NS6detail17trampoline_kernelINS0_14default_configENS1_38merge_sort_block_merge_config_selectorIyyEEZZNS1_27merge_sort_block_merge_implIS3_N6thrust23THRUST_200600_302600_NS6detail15normal_iteratorINS8_10device_ptrIyEEEESD_jNS1_19radix_merge_compareILb0ELb0EyNS0_19identity_decomposerEEEEE10hipError_tT0_T1_T2_jT3_P12ihipStream_tbPNSt15iterator_traitsISI_E10value_typeEPNSO_ISJ_E10value_typeEPSK_NS1_7vsmem_tEENKUlT_SI_SJ_SK_E_clIPySD_S10_SD_EESH_SX_SI_SJ_SK_EUlSX_E0_NS1_11comp_targetILNS1_3genE3ELNS1_11target_archE908ELNS1_3gpuE7ELNS1_3repE0EEENS1_38merge_mergepath_config_static_selectorELNS0_4arch9wavefront6targetE1EEEvSJ_,"axG",@progbits,_ZN7rocprim17ROCPRIM_400000_NS6detail17trampoline_kernelINS0_14default_configENS1_38merge_sort_block_merge_config_selectorIyyEEZZNS1_27merge_sort_block_merge_implIS3_N6thrust23THRUST_200600_302600_NS6detail15normal_iteratorINS8_10device_ptrIyEEEESD_jNS1_19radix_merge_compareILb0ELb0EyNS0_19identity_decomposerEEEEE10hipError_tT0_T1_T2_jT3_P12ihipStream_tbPNSt15iterator_traitsISI_E10value_typeEPNSO_ISJ_E10value_typeEPSK_NS1_7vsmem_tEENKUlT_SI_SJ_SK_E_clIPySD_S10_SD_EESH_SX_SI_SJ_SK_EUlSX_E0_NS1_11comp_targetILNS1_3genE3ELNS1_11target_archE908ELNS1_3gpuE7ELNS1_3repE0EEENS1_38merge_mergepath_config_static_selectorELNS0_4arch9wavefront6targetE1EEEvSJ_,comdat
.Lfunc_end408:
	.size	_ZN7rocprim17ROCPRIM_400000_NS6detail17trampoline_kernelINS0_14default_configENS1_38merge_sort_block_merge_config_selectorIyyEEZZNS1_27merge_sort_block_merge_implIS3_N6thrust23THRUST_200600_302600_NS6detail15normal_iteratorINS8_10device_ptrIyEEEESD_jNS1_19radix_merge_compareILb0ELb0EyNS0_19identity_decomposerEEEEE10hipError_tT0_T1_T2_jT3_P12ihipStream_tbPNSt15iterator_traitsISI_E10value_typeEPNSO_ISJ_E10value_typeEPSK_NS1_7vsmem_tEENKUlT_SI_SJ_SK_E_clIPySD_S10_SD_EESH_SX_SI_SJ_SK_EUlSX_E0_NS1_11comp_targetILNS1_3genE3ELNS1_11target_archE908ELNS1_3gpuE7ELNS1_3repE0EEENS1_38merge_mergepath_config_static_selectorELNS0_4arch9wavefront6targetE1EEEvSJ_, .Lfunc_end408-_ZN7rocprim17ROCPRIM_400000_NS6detail17trampoline_kernelINS0_14default_configENS1_38merge_sort_block_merge_config_selectorIyyEEZZNS1_27merge_sort_block_merge_implIS3_N6thrust23THRUST_200600_302600_NS6detail15normal_iteratorINS8_10device_ptrIyEEEESD_jNS1_19radix_merge_compareILb0ELb0EyNS0_19identity_decomposerEEEEE10hipError_tT0_T1_T2_jT3_P12ihipStream_tbPNSt15iterator_traitsISI_E10value_typeEPNSO_ISJ_E10value_typeEPSK_NS1_7vsmem_tEENKUlT_SI_SJ_SK_E_clIPySD_S10_SD_EESH_SX_SI_SJ_SK_EUlSX_E0_NS1_11comp_targetILNS1_3genE3ELNS1_11target_archE908ELNS1_3gpuE7ELNS1_3repE0EEENS1_38merge_mergepath_config_static_selectorELNS0_4arch9wavefront6targetE1EEEvSJ_
                                        ; -- End function
	.set _ZN7rocprim17ROCPRIM_400000_NS6detail17trampoline_kernelINS0_14default_configENS1_38merge_sort_block_merge_config_selectorIyyEEZZNS1_27merge_sort_block_merge_implIS3_N6thrust23THRUST_200600_302600_NS6detail15normal_iteratorINS8_10device_ptrIyEEEESD_jNS1_19radix_merge_compareILb0ELb0EyNS0_19identity_decomposerEEEEE10hipError_tT0_T1_T2_jT3_P12ihipStream_tbPNSt15iterator_traitsISI_E10value_typeEPNSO_ISJ_E10value_typeEPSK_NS1_7vsmem_tEENKUlT_SI_SJ_SK_E_clIPySD_S10_SD_EESH_SX_SI_SJ_SK_EUlSX_E0_NS1_11comp_targetILNS1_3genE3ELNS1_11target_archE908ELNS1_3gpuE7ELNS1_3repE0EEENS1_38merge_mergepath_config_static_selectorELNS0_4arch9wavefront6targetE1EEEvSJ_.num_vgpr, 0
	.set _ZN7rocprim17ROCPRIM_400000_NS6detail17trampoline_kernelINS0_14default_configENS1_38merge_sort_block_merge_config_selectorIyyEEZZNS1_27merge_sort_block_merge_implIS3_N6thrust23THRUST_200600_302600_NS6detail15normal_iteratorINS8_10device_ptrIyEEEESD_jNS1_19radix_merge_compareILb0ELb0EyNS0_19identity_decomposerEEEEE10hipError_tT0_T1_T2_jT3_P12ihipStream_tbPNSt15iterator_traitsISI_E10value_typeEPNSO_ISJ_E10value_typeEPSK_NS1_7vsmem_tEENKUlT_SI_SJ_SK_E_clIPySD_S10_SD_EESH_SX_SI_SJ_SK_EUlSX_E0_NS1_11comp_targetILNS1_3genE3ELNS1_11target_archE908ELNS1_3gpuE7ELNS1_3repE0EEENS1_38merge_mergepath_config_static_selectorELNS0_4arch9wavefront6targetE1EEEvSJ_.num_agpr, 0
	.set _ZN7rocprim17ROCPRIM_400000_NS6detail17trampoline_kernelINS0_14default_configENS1_38merge_sort_block_merge_config_selectorIyyEEZZNS1_27merge_sort_block_merge_implIS3_N6thrust23THRUST_200600_302600_NS6detail15normal_iteratorINS8_10device_ptrIyEEEESD_jNS1_19radix_merge_compareILb0ELb0EyNS0_19identity_decomposerEEEEE10hipError_tT0_T1_T2_jT3_P12ihipStream_tbPNSt15iterator_traitsISI_E10value_typeEPNSO_ISJ_E10value_typeEPSK_NS1_7vsmem_tEENKUlT_SI_SJ_SK_E_clIPySD_S10_SD_EESH_SX_SI_SJ_SK_EUlSX_E0_NS1_11comp_targetILNS1_3genE3ELNS1_11target_archE908ELNS1_3gpuE7ELNS1_3repE0EEENS1_38merge_mergepath_config_static_selectorELNS0_4arch9wavefront6targetE1EEEvSJ_.numbered_sgpr, 0
	.set _ZN7rocprim17ROCPRIM_400000_NS6detail17trampoline_kernelINS0_14default_configENS1_38merge_sort_block_merge_config_selectorIyyEEZZNS1_27merge_sort_block_merge_implIS3_N6thrust23THRUST_200600_302600_NS6detail15normal_iteratorINS8_10device_ptrIyEEEESD_jNS1_19radix_merge_compareILb0ELb0EyNS0_19identity_decomposerEEEEE10hipError_tT0_T1_T2_jT3_P12ihipStream_tbPNSt15iterator_traitsISI_E10value_typeEPNSO_ISJ_E10value_typeEPSK_NS1_7vsmem_tEENKUlT_SI_SJ_SK_E_clIPySD_S10_SD_EESH_SX_SI_SJ_SK_EUlSX_E0_NS1_11comp_targetILNS1_3genE3ELNS1_11target_archE908ELNS1_3gpuE7ELNS1_3repE0EEENS1_38merge_mergepath_config_static_selectorELNS0_4arch9wavefront6targetE1EEEvSJ_.num_named_barrier, 0
	.set _ZN7rocprim17ROCPRIM_400000_NS6detail17trampoline_kernelINS0_14default_configENS1_38merge_sort_block_merge_config_selectorIyyEEZZNS1_27merge_sort_block_merge_implIS3_N6thrust23THRUST_200600_302600_NS6detail15normal_iteratorINS8_10device_ptrIyEEEESD_jNS1_19radix_merge_compareILb0ELb0EyNS0_19identity_decomposerEEEEE10hipError_tT0_T1_T2_jT3_P12ihipStream_tbPNSt15iterator_traitsISI_E10value_typeEPNSO_ISJ_E10value_typeEPSK_NS1_7vsmem_tEENKUlT_SI_SJ_SK_E_clIPySD_S10_SD_EESH_SX_SI_SJ_SK_EUlSX_E0_NS1_11comp_targetILNS1_3genE3ELNS1_11target_archE908ELNS1_3gpuE7ELNS1_3repE0EEENS1_38merge_mergepath_config_static_selectorELNS0_4arch9wavefront6targetE1EEEvSJ_.private_seg_size, 0
	.set _ZN7rocprim17ROCPRIM_400000_NS6detail17trampoline_kernelINS0_14default_configENS1_38merge_sort_block_merge_config_selectorIyyEEZZNS1_27merge_sort_block_merge_implIS3_N6thrust23THRUST_200600_302600_NS6detail15normal_iteratorINS8_10device_ptrIyEEEESD_jNS1_19radix_merge_compareILb0ELb0EyNS0_19identity_decomposerEEEEE10hipError_tT0_T1_T2_jT3_P12ihipStream_tbPNSt15iterator_traitsISI_E10value_typeEPNSO_ISJ_E10value_typeEPSK_NS1_7vsmem_tEENKUlT_SI_SJ_SK_E_clIPySD_S10_SD_EESH_SX_SI_SJ_SK_EUlSX_E0_NS1_11comp_targetILNS1_3genE3ELNS1_11target_archE908ELNS1_3gpuE7ELNS1_3repE0EEENS1_38merge_mergepath_config_static_selectorELNS0_4arch9wavefront6targetE1EEEvSJ_.uses_vcc, 0
	.set _ZN7rocprim17ROCPRIM_400000_NS6detail17trampoline_kernelINS0_14default_configENS1_38merge_sort_block_merge_config_selectorIyyEEZZNS1_27merge_sort_block_merge_implIS3_N6thrust23THRUST_200600_302600_NS6detail15normal_iteratorINS8_10device_ptrIyEEEESD_jNS1_19radix_merge_compareILb0ELb0EyNS0_19identity_decomposerEEEEE10hipError_tT0_T1_T2_jT3_P12ihipStream_tbPNSt15iterator_traitsISI_E10value_typeEPNSO_ISJ_E10value_typeEPSK_NS1_7vsmem_tEENKUlT_SI_SJ_SK_E_clIPySD_S10_SD_EESH_SX_SI_SJ_SK_EUlSX_E0_NS1_11comp_targetILNS1_3genE3ELNS1_11target_archE908ELNS1_3gpuE7ELNS1_3repE0EEENS1_38merge_mergepath_config_static_selectorELNS0_4arch9wavefront6targetE1EEEvSJ_.uses_flat_scratch, 0
	.set _ZN7rocprim17ROCPRIM_400000_NS6detail17trampoline_kernelINS0_14default_configENS1_38merge_sort_block_merge_config_selectorIyyEEZZNS1_27merge_sort_block_merge_implIS3_N6thrust23THRUST_200600_302600_NS6detail15normal_iteratorINS8_10device_ptrIyEEEESD_jNS1_19radix_merge_compareILb0ELb0EyNS0_19identity_decomposerEEEEE10hipError_tT0_T1_T2_jT3_P12ihipStream_tbPNSt15iterator_traitsISI_E10value_typeEPNSO_ISJ_E10value_typeEPSK_NS1_7vsmem_tEENKUlT_SI_SJ_SK_E_clIPySD_S10_SD_EESH_SX_SI_SJ_SK_EUlSX_E0_NS1_11comp_targetILNS1_3genE3ELNS1_11target_archE908ELNS1_3gpuE7ELNS1_3repE0EEENS1_38merge_mergepath_config_static_selectorELNS0_4arch9wavefront6targetE1EEEvSJ_.has_dyn_sized_stack, 0
	.set _ZN7rocprim17ROCPRIM_400000_NS6detail17trampoline_kernelINS0_14default_configENS1_38merge_sort_block_merge_config_selectorIyyEEZZNS1_27merge_sort_block_merge_implIS3_N6thrust23THRUST_200600_302600_NS6detail15normal_iteratorINS8_10device_ptrIyEEEESD_jNS1_19radix_merge_compareILb0ELb0EyNS0_19identity_decomposerEEEEE10hipError_tT0_T1_T2_jT3_P12ihipStream_tbPNSt15iterator_traitsISI_E10value_typeEPNSO_ISJ_E10value_typeEPSK_NS1_7vsmem_tEENKUlT_SI_SJ_SK_E_clIPySD_S10_SD_EESH_SX_SI_SJ_SK_EUlSX_E0_NS1_11comp_targetILNS1_3genE3ELNS1_11target_archE908ELNS1_3gpuE7ELNS1_3repE0EEENS1_38merge_mergepath_config_static_selectorELNS0_4arch9wavefront6targetE1EEEvSJ_.has_recursion, 0
	.set _ZN7rocprim17ROCPRIM_400000_NS6detail17trampoline_kernelINS0_14default_configENS1_38merge_sort_block_merge_config_selectorIyyEEZZNS1_27merge_sort_block_merge_implIS3_N6thrust23THRUST_200600_302600_NS6detail15normal_iteratorINS8_10device_ptrIyEEEESD_jNS1_19radix_merge_compareILb0ELb0EyNS0_19identity_decomposerEEEEE10hipError_tT0_T1_T2_jT3_P12ihipStream_tbPNSt15iterator_traitsISI_E10value_typeEPNSO_ISJ_E10value_typeEPSK_NS1_7vsmem_tEENKUlT_SI_SJ_SK_E_clIPySD_S10_SD_EESH_SX_SI_SJ_SK_EUlSX_E0_NS1_11comp_targetILNS1_3genE3ELNS1_11target_archE908ELNS1_3gpuE7ELNS1_3repE0EEENS1_38merge_mergepath_config_static_selectorELNS0_4arch9wavefront6targetE1EEEvSJ_.has_indirect_call, 0
	.section	.AMDGPU.csdata,"",@progbits
; Kernel info:
; codeLenInByte = 0
; TotalNumSgprs: 6
; NumVgprs: 0
; NumAgprs: 0
; TotalNumVgprs: 0
; ScratchSize: 0
; MemoryBound: 0
; FloatMode: 240
; IeeeMode: 1
; LDSByteSize: 0 bytes/workgroup (compile time only)
; SGPRBlocks: 0
; VGPRBlocks: 0
; NumSGPRsForWavesPerEU: 6
; NumVGPRsForWavesPerEU: 1
; AccumOffset: 4
; Occupancy: 8
; WaveLimiterHint : 0
; COMPUTE_PGM_RSRC2:SCRATCH_EN: 0
; COMPUTE_PGM_RSRC2:USER_SGPR: 2
; COMPUTE_PGM_RSRC2:TRAP_HANDLER: 0
; COMPUTE_PGM_RSRC2:TGID_X_EN: 1
; COMPUTE_PGM_RSRC2:TGID_Y_EN: 0
; COMPUTE_PGM_RSRC2:TGID_Z_EN: 0
; COMPUTE_PGM_RSRC2:TIDIG_COMP_CNT: 0
; COMPUTE_PGM_RSRC3_GFX90A:ACCUM_OFFSET: 0
; COMPUTE_PGM_RSRC3_GFX90A:TG_SPLIT: 0
	.section	.text._ZN7rocprim17ROCPRIM_400000_NS6detail17trampoline_kernelINS0_14default_configENS1_38merge_sort_block_merge_config_selectorIyyEEZZNS1_27merge_sort_block_merge_implIS3_N6thrust23THRUST_200600_302600_NS6detail15normal_iteratorINS8_10device_ptrIyEEEESD_jNS1_19radix_merge_compareILb0ELb0EyNS0_19identity_decomposerEEEEE10hipError_tT0_T1_T2_jT3_P12ihipStream_tbPNSt15iterator_traitsISI_E10value_typeEPNSO_ISJ_E10value_typeEPSK_NS1_7vsmem_tEENKUlT_SI_SJ_SK_E_clIPySD_S10_SD_EESH_SX_SI_SJ_SK_EUlSX_E0_NS1_11comp_targetILNS1_3genE2ELNS1_11target_archE906ELNS1_3gpuE6ELNS1_3repE0EEENS1_38merge_mergepath_config_static_selectorELNS0_4arch9wavefront6targetE1EEEvSJ_,"axG",@progbits,_ZN7rocprim17ROCPRIM_400000_NS6detail17trampoline_kernelINS0_14default_configENS1_38merge_sort_block_merge_config_selectorIyyEEZZNS1_27merge_sort_block_merge_implIS3_N6thrust23THRUST_200600_302600_NS6detail15normal_iteratorINS8_10device_ptrIyEEEESD_jNS1_19radix_merge_compareILb0ELb0EyNS0_19identity_decomposerEEEEE10hipError_tT0_T1_T2_jT3_P12ihipStream_tbPNSt15iterator_traitsISI_E10value_typeEPNSO_ISJ_E10value_typeEPSK_NS1_7vsmem_tEENKUlT_SI_SJ_SK_E_clIPySD_S10_SD_EESH_SX_SI_SJ_SK_EUlSX_E0_NS1_11comp_targetILNS1_3genE2ELNS1_11target_archE906ELNS1_3gpuE6ELNS1_3repE0EEENS1_38merge_mergepath_config_static_selectorELNS0_4arch9wavefront6targetE1EEEvSJ_,comdat
	.protected	_ZN7rocprim17ROCPRIM_400000_NS6detail17trampoline_kernelINS0_14default_configENS1_38merge_sort_block_merge_config_selectorIyyEEZZNS1_27merge_sort_block_merge_implIS3_N6thrust23THRUST_200600_302600_NS6detail15normal_iteratorINS8_10device_ptrIyEEEESD_jNS1_19radix_merge_compareILb0ELb0EyNS0_19identity_decomposerEEEEE10hipError_tT0_T1_T2_jT3_P12ihipStream_tbPNSt15iterator_traitsISI_E10value_typeEPNSO_ISJ_E10value_typeEPSK_NS1_7vsmem_tEENKUlT_SI_SJ_SK_E_clIPySD_S10_SD_EESH_SX_SI_SJ_SK_EUlSX_E0_NS1_11comp_targetILNS1_3genE2ELNS1_11target_archE906ELNS1_3gpuE6ELNS1_3repE0EEENS1_38merge_mergepath_config_static_selectorELNS0_4arch9wavefront6targetE1EEEvSJ_ ; -- Begin function _ZN7rocprim17ROCPRIM_400000_NS6detail17trampoline_kernelINS0_14default_configENS1_38merge_sort_block_merge_config_selectorIyyEEZZNS1_27merge_sort_block_merge_implIS3_N6thrust23THRUST_200600_302600_NS6detail15normal_iteratorINS8_10device_ptrIyEEEESD_jNS1_19radix_merge_compareILb0ELb0EyNS0_19identity_decomposerEEEEE10hipError_tT0_T1_T2_jT3_P12ihipStream_tbPNSt15iterator_traitsISI_E10value_typeEPNSO_ISJ_E10value_typeEPSK_NS1_7vsmem_tEENKUlT_SI_SJ_SK_E_clIPySD_S10_SD_EESH_SX_SI_SJ_SK_EUlSX_E0_NS1_11comp_targetILNS1_3genE2ELNS1_11target_archE906ELNS1_3gpuE6ELNS1_3repE0EEENS1_38merge_mergepath_config_static_selectorELNS0_4arch9wavefront6targetE1EEEvSJ_
	.globl	_ZN7rocprim17ROCPRIM_400000_NS6detail17trampoline_kernelINS0_14default_configENS1_38merge_sort_block_merge_config_selectorIyyEEZZNS1_27merge_sort_block_merge_implIS3_N6thrust23THRUST_200600_302600_NS6detail15normal_iteratorINS8_10device_ptrIyEEEESD_jNS1_19radix_merge_compareILb0ELb0EyNS0_19identity_decomposerEEEEE10hipError_tT0_T1_T2_jT3_P12ihipStream_tbPNSt15iterator_traitsISI_E10value_typeEPNSO_ISJ_E10value_typeEPSK_NS1_7vsmem_tEENKUlT_SI_SJ_SK_E_clIPySD_S10_SD_EESH_SX_SI_SJ_SK_EUlSX_E0_NS1_11comp_targetILNS1_3genE2ELNS1_11target_archE906ELNS1_3gpuE6ELNS1_3repE0EEENS1_38merge_mergepath_config_static_selectorELNS0_4arch9wavefront6targetE1EEEvSJ_
	.p2align	8
	.type	_ZN7rocprim17ROCPRIM_400000_NS6detail17trampoline_kernelINS0_14default_configENS1_38merge_sort_block_merge_config_selectorIyyEEZZNS1_27merge_sort_block_merge_implIS3_N6thrust23THRUST_200600_302600_NS6detail15normal_iteratorINS8_10device_ptrIyEEEESD_jNS1_19radix_merge_compareILb0ELb0EyNS0_19identity_decomposerEEEEE10hipError_tT0_T1_T2_jT3_P12ihipStream_tbPNSt15iterator_traitsISI_E10value_typeEPNSO_ISJ_E10value_typeEPSK_NS1_7vsmem_tEENKUlT_SI_SJ_SK_E_clIPySD_S10_SD_EESH_SX_SI_SJ_SK_EUlSX_E0_NS1_11comp_targetILNS1_3genE2ELNS1_11target_archE906ELNS1_3gpuE6ELNS1_3repE0EEENS1_38merge_mergepath_config_static_selectorELNS0_4arch9wavefront6targetE1EEEvSJ_,@function
_ZN7rocprim17ROCPRIM_400000_NS6detail17trampoline_kernelINS0_14default_configENS1_38merge_sort_block_merge_config_selectorIyyEEZZNS1_27merge_sort_block_merge_implIS3_N6thrust23THRUST_200600_302600_NS6detail15normal_iteratorINS8_10device_ptrIyEEEESD_jNS1_19radix_merge_compareILb0ELb0EyNS0_19identity_decomposerEEEEE10hipError_tT0_T1_T2_jT3_P12ihipStream_tbPNSt15iterator_traitsISI_E10value_typeEPNSO_ISJ_E10value_typeEPSK_NS1_7vsmem_tEENKUlT_SI_SJ_SK_E_clIPySD_S10_SD_EESH_SX_SI_SJ_SK_EUlSX_E0_NS1_11comp_targetILNS1_3genE2ELNS1_11target_archE906ELNS1_3gpuE6ELNS1_3repE0EEENS1_38merge_mergepath_config_static_selectorELNS0_4arch9wavefront6targetE1EEEvSJ_: ; @_ZN7rocprim17ROCPRIM_400000_NS6detail17trampoline_kernelINS0_14default_configENS1_38merge_sort_block_merge_config_selectorIyyEEZZNS1_27merge_sort_block_merge_implIS3_N6thrust23THRUST_200600_302600_NS6detail15normal_iteratorINS8_10device_ptrIyEEEESD_jNS1_19radix_merge_compareILb0ELb0EyNS0_19identity_decomposerEEEEE10hipError_tT0_T1_T2_jT3_P12ihipStream_tbPNSt15iterator_traitsISI_E10value_typeEPNSO_ISJ_E10value_typeEPSK_NS1_7vsmem_tEENKUlT_SI_SJ_SK_E_clIPySD_S10_SD_EESH_SX_SI_SJ_SK_EUlSX_E0_NS1_11comp_targetILNS1_3genE2ELNS1_11target_archE906ELNS1_3gpuE6ELNS1_3repE0EEENS1_38merge_mergepath_config_static_selectorELNS0_4arch9wavefront6targetE1EEEvSJ_
; %bb.0:
	.section	.rodata,"a",@progbits
	.p2align	6, 0x0
	.amdhsa_kernel _ZN7rocprim17ROCPRIM_400000_NS6detail17trampoline_kernelINS0_14default_configENS1_38merge_sort_block_merge_config_selectorIyyEEZZNS1_27merge_sort_block_merge_implIS3_N6thrust23THRUST_200600_302600_NS6detail15normal_iteratorINS8_10device_ptrIyEEEESD_jNS1_19radix_merge_compareILb0ELb0EyNS0_19identity_decomposerEEEEE10hipError_tT0_T1_T2_jT3_P12ihipStream_tbPNSt15iterator_traitsISI_E10value_typeEPNSO_ISJ_E10value_typeEPSK_NS1_7vsmem_tEENKUlT_SI_SJ_SK_E_clIPySD_S10_SD_EESH_SX_SI_SJ_SK_EUlSX_E0_NS1_11comp_targetILNS1_3genE2ELNS1_11target_archE906ELNS1_3gpuE6ELNS1_3repE0EEENS1_38merge_mergepath_config_static_selectorELNS0_4arch9wavefront6targetE1EEEvSJ_
		.amdhsa_group_segment_fixed_size 0
		.amdhsa_private_segment_fixed_size 0
		.amdhsa_kernarg_size 64
		.amdhsa_user_sgpr_count 2
		.amdhsa_user_sgpr_dispatch_ptr 0
		.amdhsa_user_sgpr_queue_ptr 0
		.amdhsa_user_sgpr_kernarg_segment_ptr 1
		.amdhsa_user_sgpr_dispatch_id 0
		.amdhsa_user_sgpr_kernarg_preload_length 0
		.amdhsa_user_sgpr_kernarg_preload_offset 0
		.amdhsa_user_sgpr_private_segment_size 0
		.amdhsa_uses_dynamic_stack 0
		.amdhsa_enable_private_segment 0
		.amdhsa_system_sgpr_workgroup_id_x 1
		.amdhsa_system_sgpr_workgroup_id_y 0
		.amdhsa_system_sgpr_workgroup_id_z 0
		.amdhsa_system_sgpr_workgroup_info 0
		.amdhsa_system_vgpr_workitem_id 0
		.amdhsa_next_free_vgpr 1
		.amdhsa_next_free_sgpr 0
		.amdhsa_accum_offset 4
		.amdhsa_reserve_vcc 0
		.amdhsa_float_round_mode_32 0
		.amdhsa_float_round_mode_16_64 0
		.amdhsa_float_denorm_mode_32 3
		.amdhsa_float_denorm_mode_16_64 3
		.amdhsa_dx10_clamp 1
		.amdhsa_ieee_mode 1
		.amdhsa_fp16_overflow 0
		.amdhsa_tg_split 0
		.amdhsa_exception_fp_ieee_invalid_op 0
		.amdhsa_exception_fp_denorm_src 0
		.amdhsa_exception_fp_ieee_div_zero 0
		.amdhsa_exception_fp_ieee_overflow 0
		.amdhsa_exception_fp_ieee_underflow 0
		.amdhsa_exception_fp_ieee_inexact 0
		.amdhsa_exception_int_div_zero 0
	.end_amdhsa_kernel
	.section	.text._ZN7rocprim17ROCPRIM_400000_NS6detail17trampoline_kernelINS0_14default_configENS1_38merge_sort_block_merge_config_selectorIyyEEZZNS1_27merge_sort_block_merge_implIS3_N6thrust23THRUST_200600_302600_NS6detail15normal_iteratorINS8_10device_ptrIyEEEESD_jNS1_19radix_merge_compareILb0ELb0EyNS0_19identity_decomposerEEEEE10hipError_tT0_T1_T2_jT3_P12ihipStream_tbPNSt15iterator_traitsISI_E10value_typeEPNSO_ISJ_E10value_typeEPSK_NS1_7vsmem_tEENKUlT_SI_SJ_SK_E_clIPySD_S10_SD_EESH_SX_SI_SJ_SK_EUlSX_E0_NS1_11comp_targetILNS1_3genE2ELNS1_11target_archE906ELNS1_3gpuE6ELNS1_3repE0EEENS1_38merge_mergepath_config_static_selectorELNS0_4arch9wavefront6targetE1EEEvSJ_,"axG",@progbits,_ZN7rocprim17ROCPRIM_400000_NS6detail17trampoline_kernelINS0_14default_configENS1_38merge_sort_block_merge_config_selectorIyyEEZZNS1_27merge_sort_block_merge_implIS3_N6thrust23THRUST_200600_302600_NS6detail15normal_iteratorINS8_10device_ptrIyEEEESD_jNS1_19radix_merge_compareILb0ELb0EyNS0_19identity_decomposerEEEEE10hipError_tT0_T1_T2_jT3_P12ihipStream_tbPNSt15iterator_traitsISI_E10value_typeEPNSO_ISJ_E10value_typeEPSK_NS1_7vsmem_tEENKUlT_SI_SJ_SK_E_clIPySD_S10_SD_EESH_SX_SI_SJ_SK_EUlSX_E0_NS1_11comp_targetILNS1_3genE2ELNS1_11target_archE906ELNS1_3gpuE6ELNS1_3repE0EEENS1_38merge_mergepath_config_static_selectorELNS0_4arch9wavefront6targetE1EEEvSJ_,comdat
.Lfunc_end409:
	.size	_ZN7rocprim17ROCPRIM_400000_NS6detail17trampoline_kernelINS0_14default_configENS1_38merge_sort_block_merge_config_selectorIyyEEZZNS1_27merge_sort_block_merge_implIS3_N6thrust23THRUST_200600_302600_NS6detail15normal_iteratorINS8_10device_ptrIyEEEESD_jNS1_19radix_merge_compareILb0ELb0EyNS0_19identity_decomposerEEEEE10hipError_tT0_T1_T2_jT3_P12ihipStream_tbPNSt15iterator_traitsISI_E10value_typeEPNSO_ISJ_E10value_typeEPSK_NS1_7vsmem_tEENKUlT_SI_SJ_SK_E_clIPySD_S10_SD_EESH_SX_SI_SJ_SK_EUlSX_E0_NS1_11comp_targetILNS1_3genE2ELNS1_11target_archE906ELNS1_3gpuE6ELNS1_3repE0EEENS1_38merge_mergepath_config_static_selectorELNS0_4arch9wavefront6targetE1EEEvSJ_, .Lfunc_end409-_ZN7rocprim17ROCPRIM_400000_NS6detail17trampoline_kernelINS0_14default_configENS1_38merge_sort_block_merge_config_selectorIyyEEZZNS1_27merge_sort_block_merge_implIS3_N6thrust23THRUST_200600_302600_NS6detail15normal_iteratorINS8_10device_ptrIyEEEESD_jNS1_19radix_merge_compareILb0ELb0EyNS0_19identity_decomposerEEEEE10hipError_tT0_T1_T2_jT3_P12ihipStream_tbPNSt15iterator_traitsISI_E10value_typeEPNSO_ISJ_E10value_typeEPSK_NS1_7vsmem_tEENKUlT_SI_SJ_SK_E_clIPySD_S10_SD_EESH_SX_SI_SJ_SK_EUlSX_E0_NS1_11comp_targetILNS1_3genE2ELNS1_11target_archE906ELNS1_3gpuE6ELNS1_3repE0EEENS1_38merge_mergepath_config_static_selectorELNS0_4arch9wavefront6targetE1EEEvSJ_
                                        ; -- End function
	.set _ZN7rocprim17ROCPRIM_400000_NS6detail17trampoline_kernelINS0_14default_configENS1_38merge_sort_block_merge_config_selectorIyyEEZZNS1_27merge_sort_block_merge_implIS3_N6thrust23THRUST_200600_302600_NS6detail15normal_iteratorINS8_10device_ptrIyEEEESD_jNS1_19radix_merge_compareILb0ELb0EyNS0_19identity_decomposerEEEEE10hipError_tT0_T1_T2_jT3_P12ihipStream_tbPNSt15iterator_traitsISI_E10value_typeEPNSO_ISJ_E10value_typeEPSK_NS1_7vsmem_tEENKUlT_SI_SJ_SK_E_clIPySD_S10_SD_EESH_SX_SI_SJ_SK_EUlSX_E0_NS1_11comp_targetILNS1_3genE2ELNS1_11target_archE906ELNS1_3gpuE6ELNS1_3repE0EEENS1_38merge_mergepath_config_static_selectorELNS0_4arch9wavefront6targetE1EEEvSJ_.num_vgpr, 0
	.set _ZN7rocprim17ROCPRIM_400000_NS6detail17trampoline_kernelINS0_14default_configENS1_38merge_sort_block_merge_config_selectorIyyEEZZNS1_27merge_sort_block_merge_implIS3_N6thrust23THRUST_200600_302600_NS6detail15normal_iteratorINS8_10device_ptrIyEEEESD_jNS1_19radix_merge_compareILb0ELb0EyNS0_19identity_decomposerEEEEE10hipError_tT0_T1_T2_jT3_P12ihipStream_tbPNSt15iterator_traitsISI_E10value_typeEPNSO_ISJ_E10value_typeEPSK_NS1_7vsmem_tEENKUlT_SI_SJ_SK_E_clIPySD_S10_SD_EESH_SX_SI_SJ_SK_EUlSX_E0_NS1_11comp_targetILNS1_3genE2ELNS1_11target_archE906ELNS1_3gpuE6ELNS1_3repE0EEENS1_38merge_mergepath_config_static_selectorELNS0_4arch9wavefront6targetE1EEEvSJ_.num_agpr, 0
	.set _ZN7rocprim17ROCPRIM_400000_NS6detail17trampoline_kernelINS0_14default_configENS1_38merge_sort_block_merge_config_selectorIyyEEZZNS1_27merge_sort_block_merge_implIS3_N6thrust23THRUST_200600_302600_NS6detail15normal_iteratorINS8_10device_ptrIyEEEESD_jNS1_19radix_merge_compareILb0ELb0EyNS0_19identity_decomposerEEEEE10hipError_tT0_T1_T2_jT3_P12ihipStream_tbPNSt15iterator_traitsISI_E10value_typeEPNSO_ISJ_E10value_typeEPSK_NS1_7vsmem_tEENKUlT_SI_SJ_SK_E_clIPySD_S10_SD_EESH_SX_SI_SJ_SK_EUlSX_E0_NS1_11comp_targetILNS1_3genE2ELNS1_11target_archE906ELNS1_3gpuE6ELNS1_3repE0EEENS1_38merge_mergepath_config_static_selectorELNS0_4arch9wavefront6targetE1EEEvSJ_.numbered_sgpr, 0
	.set _ZN7rocprim17ROCPRIM_400000_NS6detail17trampoline_kernelINS0_14default_configENS1_38merge_sort_block_merge_config_selectorIyyEEZZNS1_27merge_sort_block_merge_implIS3_N6thrust23THRUST_200600_302600_NS6detail15normal_iteratorINS8_10device_ptrIyEEEESD_jNS1_19radix_merge_compareILb0ELb0EyNS0_19identity_decomposerEEEEE10hipError_tT0_T1_T2_jT3_P12ihipStream_tbPNSt15iterator_traitsISI_E10value_typeEPNSO_ISJ_E10value_typeEPSK_NS1_7vsmem_tEENKUlT_SI_SJ_SK_E_clIPySD_S10_SD_EESH_SX_SI_SJ_SK_EUlSX_E0_NS1_11comp_targetILNS1_3genE2ELNS1_11target_archE906ELNS1_3gpuE6ELNS1_3repE0EEENS1_38merge_mergepath_config_static_selectorELNS0_4arch9wavefront6targetE1EEEvSJ_.num_named_barrier, 0
	.set _ZN7rocprim17ROCPRIM_400000_NS6detail17trampoline_kernelINS0_14default_configENS1_38merge_sort_block_merge_config_selectorIyyEEZZNS1_27merge_sort_block_merge_implIS3_N6thrust23THRUST_200600_302600_NS6detail15normal_iteratorINS8_10device_ptrIyEEEESD_jNS1_19radix_merge_compareILb0ELb0EyNS0_19identity_decomposerEEEEE10hipError_tT0_T1_T2_jT3_P12ihipStream_tbPNSt15iterator_traitsISI_E10value_typeEPNSO_ISJ_E10value_typeEPSK_NS1_7vsmem_tEENKUlT_SI_SJ_SK_E_clIPySD_S10_SD_EESH_SX_SI_SJ_SK_EUlSX_E0_NS1_11comp_targetILNS1_3genE2ELNS1_11target_archE906ELNS1_3gpuE6ELNS1_3repE0EEENS1_38merge_mergepath_config_static_selectorELNS0_4arch9wavefront6targetE1EEEvSJ_.private_seg_size, 0
	.set _ZN7rocprim17ROCPRIM_400000_NS6detail17trampoline_kernelINS0_14default_configENS1_38merge_sort_block_merge_config_selectorIyyEEZZNS1_27merge_sort_block_merge_implIS3_N6thrust23THRUST_200600_302600_NS6detail15normal_iteratorINS8_10device_ptrIyEEEESD_jNS1_19radix_merge_compareILb0ELb0EyNS0_19identity_decomposerEEEEE10hipError_tT0_T1_T2_jT3_P12ihipStream_tbPNSt15iterator_traitsISI_E10value_typeEPNSO_ISJ_E10value_typeEPSK_NS1_7vsmem_tEENKUlT_SI_SJ_SK_E_clIPySD_S10_SD_EESH_SX_SI_SJ_SK_EUlSX_E0_NS1_11comp_targetILNS1_3genE2ELNS1_11target_archE906ELNS1_3gpuE6ELNS1_3repE0EEENS1_38merge_mergepath_config_static_selectorELNS0_4arch9wavefront6targetE1EEEvSJ_.uses_vcc, 0
	.set _ZN7rocprim17ROCPRIM_400000_NS6detail17trampoline_kernelINS0_14default_configENS1_38merge_sort_block_merge_config_selectorIyyEEZZNS1_27merge_sort_block_merge_implIS3_N6thrust23THRUST_200600_302600_NS6detail15normal_iteratorINS8_10device_ptrIyEEEESD_jNS1_19radix_merge_compareILb0ELb0EyNS0_19identity_decomposerEEEEE10hipError_tT0_T1_T2_jT3_P12ihipStream_tbPNSt15iterator_traitsISI_E10value_typeEPNSO_ISJ_E10value_typeEPSK_NS1_7vsmem_tEENKUlT_SI_SJ_SK_E_clIPySD_S10_SD_EESH_SX_SI_SJ_SK_EUlSX_E0_NS1_11comp_targetILNS1_3genE2ELNS1_11target_archE906ELNS1_3gpuE6ELNS1_3repE0EEENS1_38merge_mergepath_config_static_selectorELNS0_4arch9wavefront6targetE1EEEvSJ_.uses_flat_scratch, 0
	.set _ZN7rocprim17ROCPRIM_400000_NS6detail17trampoline_kernelINS0_14default_configENS1_38merge_sort_block_merge_config_selectorIyyEEZZNS1_27merge_sort_block_merge_implIS3_N6thrust23THRUST_200600_302600_NS6detail15normal_iteratorINS8_10device_ptrIyEEEESD_jNS1_19radix_merge_compareILb0ELb0EyNS0_19identity_decomposerEEEEE10hipError_tT0_T1_T2_jT3_P12ihipStream_tbPNSt15iterator_traitsISI_E10value_typeEPNSO_ISJ_E10value_typeEPSK_NS1_7vsmem_tEENKUlT_SI_SJ_SK_E_clIPySD_S10_SD_EESH_SX_SI_SJ_SK_EUlSX_E0_NS1_11comp_targetILNS1_3genE2ELNS1_11target_archE906ELNS1_3gpuE6ELNS1_3repE0EEENS1_38merge_mergepath_config_static_selectorELNS0_4arch9wavefront6targetE1EEEvSJ_.has_dyn_sized_stack, 0
	.set _ZN7rocprim17ROCPRIM_400000_NS6detail17trampoline_kernelINS0_14default_configENS1_38merge_sort_block_merge_config_selectorIyyEEZZNS1_27merge_sort_block_merge_implIS3_N6thrust23THRUST_200600_302600_NS6detail15normal_iteratorINS8_10device_ptrIyEEEESD_jNS1_19radix_merge_compareILb0ELb0EyNS0_19identity_decomposerEEEEE10hipError_tT0_T1_T2_jT3_P12ihipStream_tbPNSt15iterator_traitsISI_E10value_typeEPNSO_ISJ_E10value_typeEPSK_NS1_7vsmem_tEENKUlT_SI_SJ_SK_E_clIPySD_S10_SD_EESH_SX_SI_SJ_SK_EUlSX_E0_NS1_11comp_targetILNS1_3genE2ELNS1_11target_archE906ELNS1_3gpuE6ELNS1_3repE0EEENS1_38merge_mergepath_config_static_selectorELNS0_4arch9wavefront6targetE1EEEvSJ_.has_recursion, 0
	.set _ZN7rocprim17ROCPRIM_400000_NS6detail17trampoline_kernelINS0_14default_configENS1_38merge_sort_block_merge_config_selectorIyyEEZZNS1_27merge_sort_block_merge_implIS3_N6thrust23THRUST_200600_302600_NS6detail15normal_iteratorINS8_10device_ptrIyEEEESD_jNS1_19radix_merge_compareILb0ELb0EyNS0_19identity_decomposerEEEEE10hipError_tT0_T1_T2_jT3_P12ihipStream_tbPNSt15iterator_traitsISI_E10value_typeEPNSO_ISJ_E10value_typeEPSK_NS1_7vsmem_tEENKUlT_SI_SJ_SK_E_clIPySD_S10_SD_EESH_SX_SI_SJ_SK_EUlSX_E0_NS1_11comp_targetILNS1_3genE2ELNS1_11target_archE906ELNS1_3gpuE6ELNS1_3repE0EEENS1_38merge_mergepath_config_static_selectorELNS0_4arch9wavefront6targetE1EEEvSJ_.has_indirect_call, 0
	.section	.AMDGPU.csdata,"",@progbits
; Kernel info:
; codeLenInByte = 0
; TotalNumSgprs: 6
; NumVgprs: 0
; NumAgprs: 0
; TotalNumVgprs: 0
; ScratchSize: 0
; MemoryBound: 0
; FloatMode: 240
; IeeeMode: 1
; LDSByteSize: 0 bytes/workgroup (compile time only)
; SGPRBlocks: 0
; VGPRBlocks: 0
; NumSGPRsForWavesPerEU: 6
; NumVGPRsForWavesPerEU: 1
; AccumOffset: 4
; Occupancy: 8
; WaveLimiterHint : 0
; COMPUTE_PGM_RSRC2:SCRATCH_EN: 0
; COMPUTE_PGM_RSRC2:USER_SGPR: 2
; COMPUTE_PGM_RSRC2:TRAP_HANDLER: 0
; COMPUTE_PGM_RSRC2:TGID_X_EN: 1
; COMPUTE_PGM_RSRC2:TGID_Y_EN: 0
; COMPUTE_PGM_RSRC2:TGID_Z_EN: 0
; COMPUTE_PGM_RSRC2:TIDIG_COMP_CNT: 0
; COMPUTE_PGM_RSRC3_GFX90A:ACCUM_OFFSET: 0
; COMPUTE_PGM_RSRC3_GFX90A:TG_SPLIT: 0
	.section	.text._ZN7rocprim17ROCPRIM_400000_NS6detail17trampoline_kernelINS0_14default_configENS1_38merge_sort_block_merge_config_selectorIyyEEZZNS1_27merge_sort_block_merge_implIS3_N6thrust23THRUST_200600_302600_NS6detail15normal_iteratorINS8_10device_ptrIyEEEESD_jNS1_19radix_merge_compareILb0ELb0EyNS0_19identity_decomposerEEEEE10hipError_tT0_T1_T2_jT3_P12ihipStream_tbPNSt15iterator_traitsISI_E10value_typeEPNSO_ISJ_E10value_typeEPSK_NS1_7vsmem_tEENKUlT_SI_SJ_SK_E_clIPySD_S10_SD_EESH_SX_SI_SJ_SK_EUlSX_E0_NS1_11comp_targetILNS1_3genE9ELNS1_11target_archE1100ELNS1_3gpuE3ELNS1_3repE0EEENS1_38merge_mergepath_config_static_selectorELNS0_4arch9wavefront6targetE1EEEvSJ_,"axG",@progbits,_ZN7rocprim17ROCPRIM_400000_NS6detail17trampoline_kernelINS0_14default_configENS1_38merge_sort_block_merge_config_selectorIyyEEZZNS1_27merge_sort_block_merge_implIS3_N6thrust23THRUST_200600_302600_NS6detail15normal_iteratorINS8_10device_ptrIyEEEESD_jNS1_19radix_merge_compareILb0ELb0EyNS0_19identity_decomposerEEEEE10hipError_tT0_T1_T2_jT3_P12ihipStream_tbPNSt15iterator_traitsISI_E10value_typeEPNSO_ISJ_E10value_typeEPSK_NS1_7vsmem_tEENKUlT_SI_SJ_SK_E_clIPySD_S10_SD_EESH_SX_SI_SJ_SK_EUlSX_E0_NS1_11comp_targetILNS1_3genE9ELNS1_11target_archE1100ELNS1_3gpuE3ELNS1_3repE0EEENS1_38merge_mergepath_config_static_selectorELNS0_4arch9wavefront6targetE1EEEvSJ_,comdat
	.protected	_ZN7rocprim17ROCPRIM_400000_NS6detail17trampoline_kernelINS0_14default_configENS1_38merge_sort_block_merge_config_selectorIyyEEZZNS1_27merge_sort_block_merge_implIS3_N6thrust23THRUST_200600_302600_NS6detail15normal_iteratorINS8_10device_ptrIyEEEESD_jNS1_19radix_merge_compareILb0ELb0EyNS0_19identity_decomposerEEEEE10hipError_tT0_T1_T2_jT3_P12ihipStream_tbPNSt15iterator_traitsISI_E10value_typeEPNSO_ISJ_E10value_typeEPSK_NS1_7vsmem_tEENKUlT_SI_SJ_SK_E_clIPySD_S10_SD_EESH_SX_SI_SJ_SK_EUlSX_E0_NS1_11comp_targetILNS1_3genE9ELNS1_11target_archE1100ELNS1_3gpuE3ELNS1_3repE0EEENS1_38merge_mergepath_config_static_selectorELNS0_4arch9wavefront6targetE1EEEvSJ_ ; -- Begin function _ZN7rocprim17ROCPRIM_400000_NS6detail17trampoline_kernelINS0_14default_configENS1_38merge_sort_block_merge_config_selectorIyyEEZZNS1_27merge_sort_block_merge_implIS3_N6thrust23THRUST_200600_302600_NS6detail15normal_iteratorINS8_10device_ptrIyEEEESD_jNS1_19radix_merge_compareILb0ELb0EyNS0_19identity_decomposerEEEEE10hipError_tT0_T1_T2_jT3_P12ihipStream_tbPNSt15iterator_traitsISI_E10value_typeEPNSO_ISJ_E10value_typeEPSK_NS1_7vsmem_tEENKUlT_SI_SJ_SK_E_clIPySD_S10_SD_EESH_SX_SI_SJ_SK_EUlSX_E0_NS1_11comp_targetILNS1_3genE9ELNS1_11target_archE1100ELNS1_3gpuE3ELNS1_3repE0EEENS1_38merge_mergepath_config_static_selectorELNS0_4arch9wavefront6targetE1EEEvSJ_
	.globl	_ZN7rocprim17ROCPRIM_400000_NS6detail17trampoline_kernelINS0_14default_configENS1_38merge_sort_block_merge_config_selectorIyyEEZZNS1_27merge_sort_block_merge_implIS3_N6thrust23THRUST_200600_302600_NS6detail15normal_iteratorINS8_10device_ptrIyEEEESD_jNS1_19radix_merge_compareILb0ELb0EyNS0_19identity_decomposerEEEEE10hipError_tT0_T1_T2_jT3_P12ihipStream_tbPNSt15iterator_traitsISI_E10value_typeEPNSO_ISJ_E10value_typeEPSK_NS1_7vsmem_tEENKUlT_SI_SJ_SK_E_clIPySD_S10_SD_EESH_SX_SI_SJ_SK_EUlSX_E0_NS1_11comp_targetILNS1_3genE9ELNS1_11target_archE1100ELNS1_3gpuE3ELNS1_3repE0EEENS1_38merge_mergepath_config_static_selectorELNS0_4arch9wavefront6targetE1EEEvSJ_
	.p2align	8
	.type	_ZN7rocprim17ROCPRIM_400000_NS6detail17trampoline_kernelINS0_14default_configENS1_38merge_sort_block_merge_config_selectorIyyEEZZNS1_27merge_sort_block_merge_implIS3_N6thrust23THRUST_200600_302600_NS6detail15normal_iteratorINS8_10device_ptrIyEEEESD_jNS1_19radix_merge_compareILb0ELb0EyNS0_19identity_decomposerEEEEE10hipError_tT0_T1_T2_jT3_P12ihipStream_tbPNSt15iterator_traitsISI_E10value_typeEPNSO_ISJ_E10value_typeEPSK_NS1_7vsmem_tEENKUlT_SI_SJ_SK_E_clIPySD_S10_SD_EESH_SX_SI_SJ_SK_EUlSX_E0_NS1_11comp_targetILNS1_3genE9ELNS1_11target_archE1100ELNS1_3gpuE3ELNS1_3repE0EEENS1_38merge_mergepath_config_static_selectorELNS0_4arch9wavefront6targetE1EEEvSJ_,@function
_ZN7rocprim17ROCPRIM_400000_NS6detail17trampoline_kernelINS0_14default_configENS1_38merge_sort_block_merge_config_selectorIyyEEZZNS1_27merge_sort_block_merge_implIS3_N6thrust23THRUST_200600_302600_NS6detail15normal_iteratorINS8_10device_ptrIyEEEESD_jNS1_19radix_merge_compareILb0ELb0EyNS0_19identity_decomposerEEEEE10hipError_tT0_T1_T2_jT3_P12ihipStream_tbPNSt15iterator_traitsISI_E10value_typeEPNSO_ISJ_E10value_typeEPSK_NS1_7vsmem_tEENKUlT_SI_SJ_SK_E_clIPySD_S10_SD_EESH_SX_SI_SJ_SK_EUlSX_E0_NS1_11comp_targetILNS1_3genE9ELNS1_11target_archE1100ELNS1_3gpuE3ELNS1_3repE0EEENS1_38merge_mergepath_config_static_selectorELNS0_4arch9wavefront6targetE1EEEvSJ_: ; @_ZN7rocprim17ROCPRIM_400000_NS6detail17trampoline_kernelINS0_14default_configENS1_38merge_sort_block_merge_config_selectorIyyEEZZNS1_27merge_sort_block_merge_implIS3_N6thrust23THRUST_200600_302600_NS6detail15normal_iteratorINS8_10device_ptrIyEEEESD_jNS1_19radix_merge_compareILb0ELb0EyNS0_19identity_decomposerEEEEE10hipError_tT0_T1_T2_jT3_P12ihipStream_tbPNSt15iterator_traitsISI_E10value_typeEPNSO_ISJ_E10value_typeEPSK_NS1_7vsmem_tEENKUlT_SI_SJ_SK_E_clIPySD_S10_SD_EESH_SX_SI_SJ_SK_EUlSX_E0_NS1_11comp_targetILNS1_3genE9ELNS1_11target_archE1100ELNS1_3gpuE3ELNS1_3repE0EEENS1_38merge_mergepath_config_static_selectorELNS0_4arch9wavefront6targetE1EEEvSJ_
; %bb.0:
	.section	.rodata,"a",@progbits
	.p2align	6, 0x0
	.amdhsa_kernel _ZN7rocprim17ROCPRIM_400000_NS6detail17trampoline_kernelINS0_14default_configENS1_38merge_sort_block_merge_config_selectorIyyEEZZNS1_27merge_sort_block_merge_implIS3_N6thrust23THRUST_200600_302600_NS6detail15normal_iteratorINS8_10device_ptrIyEEEESD_jNS1_19radix_merge_compareILb0ELb0EyNS0_19identity_decomposerEEEEE10hipError_tT0_T1_T2_jT3_P12ihipStream_tbPNSt15iterator_traitsISI_E10value_typeEPNSO_ISJ_E10value_typeEPSK_NS1_7vsmem_tEENKUlT_SI_SJ_SK_E_clIPySD_S10_SD_EESH_SX_SI_SJ_SK_EUlSX_E0_NS1_11comp_targetILNS1_3genE9ELNS1_11target_archE1100ELNS1_3gpuE3ELNS1_3repE0EEENS1_38merge_mergepath_config_static_selectorELNS0_4arch9wavefront6targetE1EEEvSJ_
		.amdhsa_group_segment_fixed_size 0
		.amdhsa_private_segment_fixed_size 0
		.amdhsa_kernarg_size 64
		.amdhsa_user_sgpr_count 2
		.amdhsa_user_sgpr_dispatch_ptr 0
		.amdhsa_user_sgpr_queue_ptr 0
		.amdhsa_user_sgpr_kernarg_segment_ptr 1
		.amdhsa_user_sgpr_dispatch_id 0
		.amdhsa_user_sgpr_kernarg_preload_length 0
		.amdhsa_user_sgpr_kernarg_preload_offset 0
		.amdhsa_user_sgpr_private_segment_size 0
		.amdhsa_uses_dynamic_stack 0
		.amdhsa_enable_private_segment 0
		.amdhsa_system_sgpr_workgroup_id_x 1
		.amdhsa_system_sgpr_workgroup_id_y 0
		.amdhsa_system_sgpr_workgroup_id_z 0
		.amdhsa_system_sgpr_workgroup_info 0
		.amdhsa_system_vgpr_workitem_id 0
		.amdhsa_next_free_vgpr 1
		.amdhsa_next_free_sgpr 0
		.amdhsa_accum_offset 4
		.amdhsa_reserve_vcc 0
		.amdhsa_float_round_mode_32 0
		.amdhsa_float_round_mode_16_64 0
		.amdhsa_float_denorm_mode_32 3
		.amdhsa_float_denorm_mode_16_64 3
		.amdhsa_dx10_clamp 1
		.amdhsa_ieee_mode 1
		.amdhsa_fp16_overflow 0
		.amdhsa_tg_split 0
		.amdhsa_exception_fp_ieee_invalid_op 0
		.amdhsa_exception_fp_denorm_src 0
		.amdhsa_exception_fp_ieee_div_zero 0
		.amdhsa_exception_fp_ieee_overflow 0
		.amdhsa_exception_fp_ieee_underflow 0
		.amdhsa_exception_fp_ieee_inexact 0
		.amdhsa_exception_int_div_zero 0
	.end_amdhsa_kernel
	.section	.text._ZN7rocprim17ROCPRIM_400000_NS6detail17trampoline_kernelINS0_14default_configENS1_38merge_sort_block_merge_config_selectorIyyEEZZNS1_27merge_sort_block_merge_implIS3_N6thrust23THRUST_200600_302600_NS6detail15normal_iteratorINS8_10device_ptrIyEEEESD_jNS1_19radix_merge_compareILb0ELb0EyNS0_19identity_decomposerEEEEE10hipError_tT0_T1_T2_jT3_P12ihipStream_tbPNSt15iterator_traitsISI_E10value_typeEPNSO_ISJ_E10value_typeEPSK_NS1_7vsmem_tEENKUlT_SI_SJ_SK_E_clIPySD_S10_SD_EESH_SX_SI_SJ_SK_EUlSX_E0_NS1_11comp_targetILNS1_3genE9ELNS1_11target_archE1100ELNS1_3gpuE3ELNS1_3repE0EEENS1_38merge_mergepath_config_static_selectorELNS0_4arch9wavefront6targetE1EEEvSJ_,"axG",@progbits,_ZN7rocprim17ROCPRIM_400000_NS6detail17trampoline_kernelINS0_14default_configENS1_38merge_sort_block_merge_config_selectorIyyEEZZNS1_27merge_sort_block_merge_implIS3_N6thrust23THRUST_200600_302600_NS6detail15normal_iteratorINS8_10device_ptrIyEEEESD_jNS1_19radix_merge_compareILb0ELb0EyNS0_19identity_decomposerEEEEE10hipError_tT0_T1_T2_jT3_P12ihipStream_tbPNSt15iterator_traitsISI_E10value_typeEPNSO_ISJ_E10value_typeEPSK_NS1_7vsmem_tEENKUlT_SI_SJ_SK_E_clIPySD_S10_SD_EESH_SX_SI_SJ_SK_EUlSX_E0_NS1_11comp_targetILNS1_3genE9ELNS1_11target_archE1100ELNS1_3gpuE3ELNS1_3repE0EEENS1_38merge_mergepath_config_static_selectorELNS0_4arch9wavefront6targetE1EEEvSJ_,comdat
.Lfunc_end410:
	.size	_ZN7rocprim17ROCPRIM_400000_NS6detail17trampoline_kernelINS0_14default_configENS1_38merge_sort_block_merge_config_selectorIyyEEZZNS1_27merge_sort_block_merge_implIS3_N6thrust23THRUST_200600_302600_NS6detail15normal_iteratorINS8_10device_ptrIyEEEESD_jNS1_19radix_merge_compareILb0ELb0EyNS0_19identity_decomposerEEEEE10hipError_tT0_T1_T2_jT3_P12ihipStream_tbPNSt15iterator_traitsISI_E10value_typeEPNSO_ISJ_E10value_typeEPSK_NS1_7vsmem_tEENKUlT_SI_SJ_SK_E_clIPySD_S10_SD_EESH_SX_SI_SJ_SK_EUlSX_E0_NS1_11comp_targetILNS1_3genE9ELNS1_11target_archE1100ELNS1_3gpuE3ELNS1_3repE0EEENS1_38merge_mergepath_config_static_selectorELNS0_4arch9wavefront6targetE1EEEvSJ_, .Lfunc_end410-_ZN7rocprim17ROCPRIM_400000_NS6detail17trampoline_kernelINS0_14default_configENS1_38merge_sort_block_merge_config_selectorIyyEEZZNS1_27merge_sort_block_merge_implIS3_N6thrust23THRUST_200600_302600_NS6detail15normal_iteratorINS8_10device_ptrIyEEEESD_jNS1_19radix_merge_compareILb0ELb0EyNS0_19identity_decomposerEEEEE10hipError_tT0_T1_T2_jT3_P12ihipStream_tbPNSt15iterator_traitsISI_E10value_typeEPNSO_ISJ_E10value_typeEPSK_NS1_7vsmem_tEENKUlT_SI_SJ_SK_E_clIPySD_S10_SD_EESH_SX_SI_SJ_SK_EUlSX_E0_NS1_11comp_targetILNS1_3genE9ELNS1_11target_archE1100ELNS1_3gpuE3ELNS1_3repE0EEENS1_38merge_mergepath_config_static_selectorELNS0_4arch9wavefront6targetE1EEEvSJ_
                                        ; -- End function
	.set _ZN7rocprim17ROCPRIM_400000_NS6detail17trampoline_kernelINS0_14default_configENS1_38merge_sort_block_merge_config_selectorIyyEEZZNS1_27merge_sort_block_merge_implIS3_N6thrust23THRUST_200600_302600_NS6detail15normal_iteratorINS8_10device_ptrIyEEEESD_jNS1_19radix_merge_compareILb0ELb0EyNS0_19identity_decomposerEEEEE10hipError_tT0_T1_T2_jT3_P12ihipStream_tbPNSt15iterator_traitsISI_E10value_typeEPNSO_ISJ_E10value_typeEPSK_NS1_7vsmem_tEENKUlT_SI_SJ_SK_E_clIPySD_S10_SD_EESH_SX_SI_SJ_SK_EUlSX_E0_NS1_11comp_targetILNS1_3genE9ELNS1_11target_archE1100ELNS1_3gpuE3ELNS1_3repE0EEENS1_38merge_mergepath_config_static_selectorELNS0_4arch9wavefront6targetE1EEEvSJ_.num_vgpr, 0
	.set _ZN7rocprim17ROCPRIM_400000_NS6detail17trampoline_kernelINS0_14default_configENS1_38merge_sort_block_merge_config_selectorIyyEEZZNS1_27merge_sort_block_merge_implIS3_N6thrust23THRUST_200600_302600_NS6detail15normal_iteratorINS8_10device_ptrIyEEEESD_jNS1_19radix_merge_compareILb0ELb0EyNS0_19identity_decomposerEEEEE10hipError_tT0_T1_T2_jT3_P12ihipStream_tbPNSt15iterator_traitsISI_E10value_typeEPNSO_ISJ_E10value_typeEPSK_NS1_7vsmem_tEENKUlT_SI_SJ_SK_E_clIPySD_S10_SD_EESH_SX_SI_SJ_SK_EUlSX_E0_NS1_11comp_targetILNS1_3genE9ELNS1_11target_archE1100ELNS1_3gpuE3ELNS1_3repE0EEENS1_38merge_mergepath_config_static_selectorELNS0_4arch9wavefront6targetE1EEEvSJ_.num_agpr, 0
	.set _ZN7rocprim17ROCPRIM_400000_NS6detail17trampoline_kernelINS0_14default_configENS1_38merge_sort_block_merge_config_selectorIyyEEZZNS1_27merge_sort_block_merge_implIS3_N6thrust23THRUST_200600_302600_NS6detail15normal_iteratorINS8_10device_ptrIyEEEESD_jNS1_19radix_merge_compareILb0ELb0EyNS0_19identity_decomposerEEEEE10hipError_tT0_T1_T2_jT3_P12ihipStream_tbPNSt15iterator_traitsISI_E10value_typeEPNSO_ISJ_E10value_typeEPSK_NS1_7vsmem_tEENKUlT_SI_SJ_SK_E_clIPySD_S10_SD_EESH_SX_SI_SJ_SK_EUlSX_E0_NS1_11comp_targetILNS1_3genE9ELNS1_11target_archE1100ELNS1_3gpuE3ELNS1_3repE0EEENS1_38merge_mergepath_config_static_selectorELNS0_4arch9wavefront6targetE1EEEvSJ_.numbered_sgpr, 0
	.set _ZN7rocprim17ROCPRIM_400000_NS6detail17trampoline_kernelINS0_14default_configENS1_38merge_sort_block_merge_config_selectorIyyEEZZNS1_27merge_sort_block_merge_implIS3_N6thrust23THRUST_200600_302600_NS6detail15normal_iteratorINS8_10device_ptrIyEEEESD_jNS1_19radix_merge_compareILb0ELb0EyNS0_19identity_decomposerEEEEE10hipError_tT0_T1_T2_jT3_P12ihipStream_tbPNSt15iterator_traitsISI_E10value_typeEPNSO_ISJ_E10value_typeEPSK_NS1_7vsmem_tEENKUlT_SI_SJ_SK_E_clIPySD_S10_SD_EESH_SX_SI_SJ_SK_EUlSX_E0_NS1_11comp_targetILNS1_3genE9ELNS1_11target_archE1100ELNS1_3gpuE3ELNS1_3repE0EEENS1_38merge_mergepath_config_static_selectorELNS0_4arch9wavefront6targetE1EEEvSJ_.num_named_barrier, 0
	.set _ZN7rocprim17ROCPRIM_400000_NS6detail17trampoline_kernelINS0_14default_configENS1_38merge_sort_block_merge_config_selectorIyyEEZZNS1_27merge_sort_block_merge_implIS3_N6thrust23THRUST_200600_302600_NS6detail15normal_iteratorINS8_10device_ptrIyEEEESD_jNS1_19radix_merge_compareILb0ELb0EyNS0_19identity_decomposerEEEEE10hipError_tT0_T1_T2_jT3_P12ihipStream_tbPNSt15iterator_traitsISI_E10value_typeEPNSO_ISJ_E10value_typeEPSK_NS1_7vsmem_tEENKUlT_SI_SJ_SK_E_clIPySD_S10_SD_EESH_SX_SI_SJ_SK_EUlSX_E0_NS1_11comp_targetILNS1_3genE9ELNS1_11target_archE1100ELNS1_3gpuE3ELNS1_3repE0EEENS1_38merge_mergepath_config_static_selectorELNS0_4arch9wavefront6targetE1EEEvSJ_.private_seg_size, 0
	.set _ZN7rocprim17ROCPRIM_400000_NS6detail17trampoline_kernelINS0_14default_configENS1_38merge_sort_block_merge_config_selectorIyyEEZZNS1_27merge_sort_block_merge_implIS3_N6thrust23THRUST_200600_302600_NS6detail15normal_iteratorINS8_10device_ptrIyEEEESD_jNS1_19radix_merge_compareILb0ELb0EyNS0_19identity_decomposerEEEEE10hipError_tT0_T1_T2_jT3_P12ihipStream_tbPNSt15iterator_traitsISI_E10value_typeEPNSO_ISJ_E10value_typeEPSK_NS1_7vsmem_tEENKUlT_SI_SJ_SK_E_clIPySD_S10_SD_EESH_SX_SI_SJ_SK_EUlSX_E0_NS1_11comp_targetILNS1_3genE9ELNS1_11target_archE1100ELNS1_3gpuE3ELNS1_3repE0EEENS1_38merge_mergepath_config_static_selectorELNS0_4arch9wavefront6targetE1EEEvSJ_.uses_vcc, 0
	.set _ZN7rocprim17ROCPRIM_400000_NS6detail17trampoline_kernelINS0_14default_configENS1_38merge_sort_block_merge_config_selectorIyyEEZZNS1_27merge_sort_block_merge_implIS3_N6thrust23THRUST_200600_302600_NS6detail15normal_iteratorINS8_10device_ptrIyEEEESD_jNS1_19radix_merge_compareILb0ELb0EyNS0_19identity_decomposerEEEEE10hipError_tT0_T1_T2_jT3_P12ihipStream_tbPNSt15iterator_traitsISI_E10value_typeEPNSO_ISJ_E10value_typeEPSK_NS1_7vsmem_tEENKUlT_SI_SJ_SK_E_clIPySD_S10_SD_EESH_SX_SI_SJ_SK_EUlSX_E0_NS1_11comp_targetILNS1_3genE9ELNS1_11target_archE1100ELNS1_3gpuE3ELNS1_3repE0EEENS1_38merge_mergepath_config_static_selectorELNS0_4arch9wavefront6targetE1EEEvSJ_.uses_flat_scratch, 0
	.set _ZN7rocprim17ROCPRIM_400000_NS6detail17trampoline_kernelINS0_14default_configENS1_38merge_sort_block_merge_config_selectorIyyEEZZNS1_27merge_sort_block_merge_implIS3_N6thrust23THRUST_200600_302600_NS6detail15normal_iteratorINS8_10device_ptrIyEEEESD_jNS1_19radix_merge_compareILb0ELb0EyNS0_19identity_decomposerEEEEE10hipError_tT0_T1_T2_jT3_P12ihipStream_tbPNSt15iterator_traitsISI_E10value_typeEPNSO_ISJ_E10value_typeEPSK_NS1_7vsmem_tEENKUlT_SI_SJ_SK_E_clIPySD_S10_SD_EESH_SX_SI_SJ_SK_EUlSX_E0_NS1_11comp_targetILNS1_3genE9ELNS1_11target_archE1100ELNS1_3gpuE3ELNS1_3repE0EEENS1_38merge_mergepath_config_static_selectorELNS0_4arch9wavefront6targetE1EEEvSJ_.has_dyn_sized_stack, 0
	.set _ZN7rocprim17ROCPRIM_400000_NS6detail17trampoline_kernelINS0_14default_configENS1_38merge_sort_block_merge_config_selectorIyyEEZZNS1_27merge_sort_block_merge_implIS3_N6thrust23THRUST_200600_302600_NS6detail15normal_iteratorINS8_10device_ptrIyEEEESD_jNS1_19radix_merge_compareILb0ELb0EyNS0_19identity_decomposerEEEEE10hipError_tT0_T1_T2_jT3_P12ihipStream_tbPNSt15iterator_traitsISI_E10value_typeEPNSO_ISJ_E10value_typeEPSK_NS1_7vsmem_tEENKUlT_SI_SJ_SK_E_clIPySD_S10_SD_EESH_SX_SI_SJ_SK_EUlSX_E0_NS1_11comp_targetILNS1_3genE9ELNS1_11target_archE1100ELNS1_3gpuE3ELNS1_3repE0EEENS1_38merge_mergepath_config_static_selectorELNS0_4arch9wavefront6targetE1EEEvSJ_.has_recursion, 0
	.set _ZN7rocprim17ROCPRIM_400000_NS6detail17trampoline_kernelINS0_14default_configENS1_38merge_sort_block_merge_config_selectorIyyEEZZNS1_27merge_sort_block_merge_implIS3_N6thrust23THRUST_200600_302600_NS6detail15normal_iteratorINS8_10device_ptrIyEEEESD_jNS1_19radix_merge_compareILb0ELb0EyNS0_19identity_decomposerEEEEE10hipError_tT0_T1_T2_jT3_P12ihipStream_tbPNSt15iterator_traitsISI_E10value_typeEPNSO_ISJ_E10value_typeEPSK_NS1_7vsmem_tEENKUlT_SI_SJ_SK_E_clIPySD_S10_SD_EESH_SX_SI_SJ_SK_EUlSX_E0_NS1_11comp_targetILNS1_3genE9ELNS1_11target_archE1100ELNS1_3gpuE3ELNS1_3repE0EEENS1_38merge_mergepath_config_static_selectorELNS0_4arch9wavefront6targetE1EEEvSJ_.has_indirect_call, 0
	.section	.AMDGPU.csdata,"",@progbits
; Kernel info:
; codeLenInByte = 0
; TotalNumSgprs: 6
; NumVgprs: 0
; NumAgprs: 0
; TotalNumVgprs: 0
; ScratchSize: 0
; MemoryBound: 0
; FloatMode: 240
; IeeeMode: 1
; LDSByteSize: 0 bytes/workgroup (compile time only)
; SGPRBlocks: 0
; VGPRBlocks: 0
; NumSGPRsForWavesPerEU: 6
; NumVGPRsForWavesPerEU: 1
; AccumOffset: 4
; Occupancy: 8
; WaveLimiterHint : 0
; COMPUTE_PGM_RSRC2:SCRATCH_EN: 0
; COMPUTE_PGM_RSRC2:USER_SGPR: 2
; COMPUTE_PGM_RSRC2:TRAP_HANDLER: 0
; COMPUTE_PGM_RSRC2:TGID_X_EN: 1
; COMPUTE_PGM_RSRC2:TGID_Y_EN: 0
; COMPUTE_PGM_RSRC2:TGID_Z_EN: 0
; COMPUTE_PGM_RSRC2:TIDIG_COMP_CNT: 0
; COMPUTE_PGM_RSRC3_GFX90A:ACCUM_OFFSET: 0
; COMPUTE_PGM_RSRC3_GFX90A:TG_SPLIT: 0
	.section	.text._ZN7rocprim17ROCPRIM_400000_NS6detail17trampoline_kernelINS0_14default_configENS1_38merge_sort_block_merge_config_selectorIyyEEZZNS1_27merge_sort_block_merge_implIS3_N6thrust23THRUST_200600_302600_NS6detail15normal_iteratorINS8_10device_ptrIyEEEESD_jNS1_19radix_merge_compareILb0ELb0EyNS0_19identity_decomposerEEEEE10hipError_tT0_T1_T2_jT3_P12ihipStream_tbPNSt15iterator_traitsISI_E10value_typeEPNSO_ISJ_E10value_typeEPSK_NS1_7vsmem_tEENKUlT_SI_SJ_SK_E_clIPySD_S10_SD_EESH_SX_SI_SJ_SK_EUlSX_E0_NS1_11comp_targetILNS1_3genE8ELNS1_11target_archE1030ELNS1_3gpuE2ELNS1_3repE0EEENS1_38merge_mergepath_config_static_selectorELNS0_4arch9wavefront6targetE1EEEvSJ_,"axG",@progbits,_ZN7rocprim17ROCPRIM_400000_NS6detail17trampoline_kernelINS0_14default_configENS1_38merge_sort_block_merge_config_selectorIyyEEZZNS1_27merge_sort_block_merge_implIS3_N6thrust23THRUST_200600_302600_NS6detail15normal_iteratorINS8_10device_ptrIyEEEESD_jNS1_19radix_merge_compareILb0ELb0EyNS0_19identity_decomposerEEEEE10hipError_tT0_T1_T2_jT3_P12ihipStream_tbPNSt15iterator_traitsISI_E10value_typeEPNSO_ISJ_E10value_typeEPSK_NS1_7vsmem_tEENKUlT_SI_SJ_SK_E_clIPySD_S10_SD_EESH_SX_SI_SJ_SK_EUlSX_E0_NS1_11comp_targetILNS1_3genE8ELNS1_11target_archE1030ELNS1_3gpuE2ELNS1_3repE0EEENS1_38merge_mergepath_config_static_selectorELNS0_4arch9wavefront6targetE1EEEvSJ_,comdat
	.protected	_ZN7rocprim17ROCPRIM_400000_NS6detail17trampoline_kernelINS0_14default_configENS1_38merge_sort_block_merge_config_selectorIyyEEZZNS1_27merge_sort_block_merge_implIS3_N6thrust23THRUST_200600_302600_NS6detail15normal_iteratorINS8_10device_ptrIyEEEESD_jNS1_19radix_merge_compareILb0ELb0EyNS0_19identity_decomposerEEEEE10hipError_tT0_T1_T2_jT3_P12ihipStream_tbPNSt15iterator_traitsISI_E10value_typeEPNSO_ISJ_E10value_typeEPSK_NS1_7vsmem_tEENKUlT_SI_SJ_SK_E_clIPySD_S10_SD_EESH_SX_SI_SJ_SK_EUlSX_E0_NS1_11comp_targetILNS1_3genE8ELNS1_11target_archE1030ELNS1_3gpuE2ELNS1_3repE0EEENS1_38merge_mergepath_config_static_selectorELNS0_4arch9wavefront6targetE1EEEvSJ_ ; -- Begin function _ZN7rocprim17ROCPRIM_400000_NS6detail17trampoline_kernelINS0_14default_configENS1_38merge_sort_block_merge_config_selectorIyyEEZZNS1_27merge_sort_block_merge_implIS3_N6thrust23THRUST_200600_302600_NS6detail15normal_iteratorINS8_10device_ptrIyEEEESD_jNS1_19radix_merge_compareILb0ELb0EyNS0_19identity_decomposerEEEEE10hipError_tT0_T1_T2_jT3_P12ihipStream_tbPNSt15iterator_traitsISI_E10value_typeEPNSO_ISJ_E10value_typeEPSK_NS1_7vsmem_tEENKUlT_SI_SJ_SK_E_clIPySD_S10_SD_EESH_SX_SI_SJ_SK_EUlSX_E0_NS1_11comp_targetILNS1_3genE8ELNS1_11target_archE1030ELNS1_3gpuE2ELNS1_3repE0EEENS1_38merge_mergepath_config_static_selectorELNS0_4arch9wavefront6targetE1EEEvSJ_
	.globl	_ZN7rocprim17ROCPRIM_400000_NS6detail17trampoline_kernelINS0_14default_configENS1_38merge_sort_block_merge_config_selectorIyyEEZZNS1_27merge_sort_block_merge_implIS3_N6thrust23THRUST_200600_302600_NS6detail15normal_iteratorINS8_10device_ptrIyEEEESD_jNS1_19radix_merge_compareILb0ELb0EyNS0_19identity_decomposerEEEEE10hipError_tT0_T1_T2_jT3_P12ihipStream_tbPNSt15iterator_traitsISI_E10value_typeEPNSO_ISJ_E10value_typeEPSK_NS1_7vsmem_tEENKUlT_SI_SJ_SK_E_clIPySD_S10_SD_EESH_SX_SI_SJ_SK_EUlSX_E0_NS1_11comp_targetILNS1_3genE8ELNS1_11target_archE1030ELNS1_3gpuE2ELNS1_3repE0EEENS1_38merge_mergepath_config_static_selectorELNS0_4arch9wavefront6targetE1EEEvSJ_
	.p2align	8
	.type	_ZN7rocprim17ROCPRIM_400000_NS6detail17trampoline_kernelINS0_14default_configENS1_38merge_sort_block_merge_config_selectorIyyEEZZNS1_27merge_sort_block_merge_implIS3_N6thrust23THRUST_200600_302600_NS6detail15normal_iteratorINS8_10device_ptrIyEEEESD_jNS1_19radix_merge_compareILb0ELb0EyNS0_19identity_decomposerEEEEE10hipError_tT0_T1_T2_jT3_P12ihipStream_tbPNSt15iterator_traitsISI_E10value_typeEPNSO_ISJ_E10value_typeEPSK_NS1_7vsmem_tEENKUlT_SI_SJ_SK_E_clIPySD_S10_SD_EESH_SX_SI_SJ_SK_EUlSX_E0_NS1_11comp_targetILNS1_3genE8ELNS1_11target_archE1030ELNS1_3gpuE2ELNS1_3repE0EEENS1_38merge_mergepath_config_static_selectorELNS0_4arch9wavefront6targetE1EEEvSJ_,@function
_ZN7rocprim17ROCPRIM_400000_NS6detail17trampoline_kernelINS0_14default_configENS1_38merge_sort_block_merge_config_selectorIyyEEZZNS1_27merge_sort_block_merge_implIS3_N6thrust23THRUST_200600_302600_NS6detail15normal_iteratorINS8_10device_ptrIyEEEESD_jNS1_19radix_merge_compareILb0ELb0EyNS0_19identity_decomposerEEEEE10hipError_tT0_T1_T2_jT3_P12ihipStream_tbPNSt15iterator_traitsISI_E10value_typeEPNSO_ISJ_E10value_typeEPSK_NS1_7vsmem_tEENKUlT_SI_SJ_SK_E_clIPySD_S10_SD_EESH_SX_SI_SJ_SK_EUlSX_E0_NS1_11comp_targetILNS1_3genE8ELNS1_11target_archE1030ELNS1_3gpuE2ELNS1_3repE0EEENS1_38merge_mergepath_config_static_selectorELNS0_4arch9wavefront6targetE1EEEvSJ_: ; @_ZN7rocprim17ROCPRIM_400000_NS6detail17trampoline_kernelINS0_14default_configENS1_38merge_sort_block_merge_config_selectorIyyEEZZNS1_27merge_sort_block_merge_implIS3_N6thrust23THRUST_200600_302600_NS6detail15normal_iteratorINS8_10device_ptrIyEEEESD_jNS1_19radix_merge_compareILb0ELb0EyNS0_19identity_decomposerEEEEE10hipError_tT0_T1_T2_jT3_P12ihipStream_tbPNSt15iterator_traitsISI_E10value_typeEPNSO_ISJ_E10value_typeEPSK_NS1_7vsmem_tEENKUlT_SI_SJ_SK_E_clIPySD_S10_SD_EESH_SX_SI_SJ_SK_EUlSX_E0_NS1_11comp_targetILNS1_3genE8ELNS1_11target_archE1030ELNS1_3gpuE2ELNS1_3repE0EEENS1_38merge_mergepath_config_static_selectorELNS0_4arch9wavefront6targetE1EEEvSJ_
; %bb.0:
	.section	.rodata,"a",@progbits
	.p2align	6, 0x0
	.amdhsa_kernel _ZN7rocprim17ROCPRIM_400000_NS6detail17trampoline_kernelINS0_14default_configENS1_38merge_sort_block_merge_config_selectorIyyEEZZNS1_27merge_sort_block_merge_implIS3_N6thrust23THRUST_200600_302600_NS6detail15normal_iteratorINS8_10device_ptrIyEEEESD_jNS1_19radix_merge_compareILb0ELb0EyNS0_19identity_decomposerEEEEE10hipError_tT0_T1_T2_jT3_P12ihipStream_tbPNSt15iterator_traitsISI_E10value_typeEPNSO_ISJ_E10value_typeEPSK_NS1_7vsmem_tEENKUlT_SI_SJ_SK_E_clIPySD_S10_SD_EESH_SX_SI_SJ_SK_EUlSX_E0_NS1_11comp_targetILNS1_3genE8ELNS1_11target_archE1030ELNS1_3gpuE2ELNS1_3repE0EEENS1_38merge_mergepath_config_static_selectorELNS0_4arch9wavefront6targetE1EEEvSJ_
		.amdhsa_group_segment_fixed_size 0
		.amdhsa_private_segment_fixed_size 0
		.amdhsa_kernarg_size 64
		.amdhsa_user_sgpr_count 2
		.amdhsa_user_sgpr_dispatch_ptr 0
		.amdhsa_user_sgpr_queue_ptr 0
		.amdhsa_user_sgpr_kernarg_segment_ptr 1
		.amdhsa_user_sgpr_dispatch_id 0
		.amdhsa_user_sgpr_kernarg_preload_length 0
		.amdhsa_user_sgpr_kernarg_preload_offset 0
		.amdhsa_user_sgpr_private_segment_size 0
		.amdhsa_uses_dynamic_stack 0
		.amdhsa_enable_private_segment 0
		.amdhsa_system_sgpr_workgroup_id_x 1
		.amdhsa_system_sgpr_workgroup_id_y 0
		.amdhsa_system_sgpr_workgroup_id_z 0
		.amdhsa_system_sgpr_workgroup_info 0
		.amdhsa_system_vgpr_workitem_id 0
		.amdhsa_next_free_vgpr 1
		.amdhsa_next_free_sgpr 0
		.amdhsa_accum_offset 4
		.amdhsa_reserve_vcc 0
		.amdhsa_float_round_mode_32 0
		.amdhsa_float_round_mode_16_64 0
		.amdhsa_float_denorm_mode_32 3
		.amdhsa_float_denorm_mode_16_64 3
		.amdhsa_dx10_clamp 1
		.amdhsa_ieee_mode 1
		.amdhsa_fp16_overflow 0
		.amdhsa_tg_split 0
		.amdhsa_exception_fp_ieee_invalid_op 0
		.amdhsa_exception_fp_denorm_src 0
		.amdhsa_exception_fp_ieee_div_zero 0
		.amdhsa_exception_fp_ieee_overflow 0
		.amdhsa_exception_fp_ieee_underflow 0
		.amdhsa_exception_fp_ieee_inexact 0
		.amdhsa_exception_int_div_zero 0
	.end_amdhsa_kernel
	.section	.text._ZN7rocprim17ROCPRIM_400000_NS6detail17trampoline_kernelINS0_14default_configENS1_38merge_sort_block_merge_config_selectorIyyEEZZNS1_27merge_sort_block_merge_implIS3_N6thrust23THRUST_200600_302600_NS6detail15normal_iteratorINS8_10device_ptrIyEEEESD_jNS1_19radix_merge_compareILb0ELb0EyNS0_19identity_decomposerEEEEE10hipError_tT0_T1_T2_jT3_P12ihipStream_tbPNSt15iterator_traitsISI_E10value_typeEPNSO_ISJ_E10value_typeEPSK_NS1_7vsmem_tEENKUlT_SI_SJ_SK_E_clIPySD_S10_SD_EESH_SX_SI_SJ_SK_EUlSX_E0_NS1_11comp_targetILNS1_3genE8ELNS1_11target_archE1030ELNS1_3gpuE2ELNS1_3repE0EEENS1_38merge_mergepath_config_static_selectorELNS0_4arch9wavefront6targetE1EEEvSJ_,"axG",@progbits,_ZN7rocprim17ROCPRIM_400000_NS6detail17trampoline_kernelINS0_14default_configENS1_38merge_sort_block_merge_config_selectorIyyEEZZNS1_27merge_sort_block_merge_implIS3_N6thrust23THRUST_200600_302600_NS6detail15normal_iteratorINS8_10device_ptrIyEEEESD_jNS1_19radix_merge_compareILb0ELb0EyNS0_19identity_decomposerEEEEE10hipError_tT0_T1_T2_jT3_P12ihipStream_tbPNSt15iterator_traitsISI_E10value_typeEPNSO_ISJ_E10value_typeEPSK_NS1_7vsmem_tEENKUlT_SI_SJ_SK_E_clIPySD_S10_SD_EESH_SX_SI_SJ_SK_EUlSX_E0_NS1_11comp_targetILNS1_3genE8ELNS1_11target_archE1030ELNS1_3gpuE2ELNS1_3repE0EEENS1_38merge_mergepath_config_static_selectorELNS0_4arch9wavefront6targetE1EEEvSJ_,comdat
.Lfunc_end411:
	.size	_ZN7rocprim17ROCPRIM_400000_NS6detail17trampoline_kernelINS0_14default_configENS1_38merge_sort_block_merge_config_selectorIyyEEZZNS1_27merge_sort_block_merge_implIS3_N6thrust23THRUST_200600_302600_NS6detail15normal_iteratorINS8_10device_ptrIyEEEESD_jNS1_19radix_merge_compareILb0ELb0EyNS0_19identity_decomposerEEEEE10hipError_tT0_T1_T2_jT3_P12ihipStream_tbPNSt15iterator_traitsISI_E10value_typeEPNSO_ISJ_E10value_typeEPSK_NS1_7vsmem_tEENKUlT_SI_SJ_SK_E_clIPySD_S10_SD_EESH_SX_SI_SJ_SK_EUlSX_E0_NS1_11comp_targetILNS1_3genE8ELNS1_11target_archE1030ELNS1_3gpuE2ELNS1_3repE0EEENS1_38merge_mergepath_config_static_selectorELNS0_4arch9wavefront6targetE1EEEvSJ_, .Lfunc_end411-_ZN7rocprim17ROCPRIM_400000_NS6detail17trampoline_kernelINS0_14default_configENS1_38merge_sort_block_merge_config_selectorIyyEEZZNS1_27merge_sort_block_merge_implIS3_N6thrust23THRUST_200600_302600_NS6detail15normal_iteratorINS8_10device_ptrIyEEEESD_jNS1_19radix_merge_compareILb0ELb0EyNS0_19identity_decomposerEEEEE10hipError_tT0_T1_T2_jT3_P12ihipStream_tbPNSt15iterator_traitsISI_E10value_typeEPNSO_ISJ_E10value_typeEPSK_NS1_7vsmem_tEENKUlT_SI_SJ_SK_E_clIPySD_S10_SD_EESH_SX_SI_SJ_SK_EUlSX_E0_NS1_11comp_targetILNS1_3genE8ELNS1_11target_archE1030ELNS1_3gpuE2ELNS1_3repE0EEENS1_38merge_mergepath_config_static_selectorELNS0_4arch9wavefront6targetE1EEEvSJ_
                                        ; -- End function
	.set _ZN7rocprim17ROCPRIM_400000_NS6detail17trampoline_kernelINS0_14default_configENS1_38merge_sort_block_merge_config_selectorIyyEEZZNS1_27merge_sort_block_merge_implIS3_N6thrust23THRUST_200600_302600_NS6detail15normal_iteratorINS8_10device_ptrIyEEEESD_jNS1_19radix_merge_compareILb0ELb0EyNS0_19identity_decomposerEEEEE10hipError_tT0_T1_T2_jT3_P12ihipStream_tbPNSt15iterator_traitsISI_E10value_typeEPNSO_ISJ_E10value_typeEPSK_NS1_7vsmem_tEENKUlT_SI_SJ_SK_E_clIPySD_S10_SD_EESH_SX_SI_SJ_SK_EUlSX_E0_NS1_11comp_targetILNS1_3genE8ELNS1_11target_archE1030ELNS1_3gpuE2ELNS1_3repE0EEENS1_38merge_mergepath_config_static_selectorELNS0_4arch9wavefront6targetE1EEEvSJ_.num_vgpr, 0
	.set _ZN7rocprim17ROCPRIM_400000_NS6detail17trampoline_kernelINS0_14default_configENS1_38merge_sort_block_merge_config_selectorIyyEEZZNS1_27merge_sort_block_merge_implIS3_N6thrust23THRUST_200600_302600_NS6detail15normal_iteratorINS8_10device_ptrIyEEEESD_jNS1_19radix_merge_compareILb0ELb0EyNS0_19identity_decomposerEEEEE10hipError_tT0_T1_T2_jT3_P12ihipStream_tbPNSt15iterator_traitsISI_E10value_typeEPNSO_ISJ_E10value_typeEPSK_NS1_7vsmem_tEENKUlT_SI_SJ_SK_E_clIPySD_S10_SD_EESH_SX_SI_SJ_SK_EUlSX_E0_NS1_11comp_targetILNS1_3genE8ELNS1_11target_archE1030ELNS1_3gpuE2ELNS1_3repE0EEENS1_38merge_mergepath_config_static_selectorELNS0_4arch9wavefront6targetE1EEEvSJ_.num_agpr, 0
	.set _ZN7rocprim17ROCPRIM_400000_NS6detail17trampoline_kernelINS0_14default_configENS1_38merge_sort_block_merge_config_selectorIyyEEZZNS1_27merge_sort_block_merge_implIS3_N6thrust23THRUST_200600_302600_NS6detail15normal_iteratorINS8_10device_ptrIyEEEESD_jNS1_19radix_merge_compareILb0ELb0EyNS0_19identity_decomposerEEEEE10hipError_tT0_T1_T2_jT3_P12ihipStream_tbPNSt15iterator_traitsISI_E10value_typeEPNSO_ISJ_E10value_typeEPSK_NS1_7vsmem_tEENKUlT_SI_SJ_SK_E_clIPySD_S10_SD_EESH_SX_SI_SJ_SK_EUlSX_E0_NS1_11comp_targetILNS1_3genE8ELNS1_11target_archE1030ELNS1_3gpuE2ELNS1_3repE0EEENS1_38merge_mergepath_config_static_selectorELNS0_4arch9wavefront6targetE1EEEvSJ_.numbered_sgpr, 0
	.set _ZN7rocprim17ROCPRIM_400000_NS6detail17trampoline_kernelINS0_14default_configENS1_38merge_sort_block_merge_config_selectorIyyEEZZNS1_27merge_sort_block_merge_implIS3_N6thrust23THRUST_200600_302600_NS6detail15normal_iteratorINS8_10device_ptrIyEEEESD_jNS1_19radix_merge_compareILb0ELb0EyNS0_19identity_decomposerEEEEE10hipError_tT0_T1_T2_jT3_P12ihipStream_tbPNSt15iterator_traitsISI_E10value_typeEPNSO_ISJ_E10value_typeEPSK_NS1_7vsmem_tEENKUlT_SI_SJ_SK_E_clIPySD_S10_SD_EESH_SX_SI_SJ_SK_EUlSX_E0_NS1_11comp_targetILNS1_3genE8ELNS1_11target_archE1030ELNS1_3gpuE2ELNS1_3repE0EEENS1_38merge_mergepath_config_static_selectorELNS0_4arch9wavefront6targetE1EEEvSJ_.num_named_barrier, 0
	.set _ZN7rocprim17ROCPRIM_400000_NS6detail17trampoline_kernelINS0_14default_configENS1_38merge_sort_block_merge_config_selectorIyyEEZZNS1_27merge_sort_block_merge_implIS3_N6thrust23THRUST_200600_302600_NS6detail15normal_iteratorINS8_10device_ptrIyEEEESD_jNS1_19radix_merge_compareILb0ELb0EyNS0_19identity_decomposerEEEEE10hipError_tT0_T1_T2_jT3_P12ihipStream_tbPNSt15iterator_traitsISI_E10value_typeEPNSO_ISJ_E10value_typeEPSK_NS1_7vsmem_tEENKUlT_SI_SJ_SK_E_clIPySD_S10_SD_EESH_SX_SI_SJ_SK_EUlSX_E0_NS1_11comp_targetILNS1_3genE8ELNS1_11target_archE1030ELNS1_3gpuE2ELNS1_3repE0EEENS1_38merge_mergepath_config_static_selectorELNS0_4arch9wavefront6targetE1EEEvSJ_.private_seg_size, 0
	.set _ZN7rocprim17ROCPRIM_400000_NS6detail17trampoline_kernelINS0_14default_configENS1_38merge_sort_block_merge_config_selectorIyyEEZZNS1_27merge_sort_block_merge_implIS3_N6thrust23THRUST_200600_302600_NS6detail15normal_iteratorINS8_10device_ptrIyEEEESD_jNS1_19radix_merge_compareILb0ELb0EyNS0_19identity_decomposerEEEEE10hipError_tT0_T1_T2_jT3_P12ihipStream_tbPNSt15iterator_traitsISI_E10value_typeEPNSO_ISJ_E10value_typeEPSK_NS1_7vsmem_tEENKUlT_SI_SJ_SK_E_clIPySD_S10_SD_EESH_SX_SI_SJ_SK_EUlSX_E0_NS1_11comp_targetILNS1_3genE8ELNS1_11target_archE1030ELNS1_3gpuE2ELNS1_3repE0EEENS1_38merge_mergepath_config_static_selectorELNS0_4arch9wavefront6targetE1EEEvSJ_.uses_vcc, 0
	.set _ZN7rocprim17ROCPRIM_400000_NS6detail17trampoline_kernelINS0_14default_configENS1_38merge_sort_block_merge_config_selectorIyyEEZZNS1_27merge_sort_block_merge_implIS3_N6thrust23THRUST_200600_302600_NS6detail15normal_iteratorINS8_10device_ptrIyEEEESD_jNS1_19radix_merge_compareILb0ELb0EyNS0_19identity_decomposerEEEEE10hipError_tT0_T1_T2_jT3_P12ihipStream_tbPNSt15iterator_traitsISI_E10value_typeEPNSO_ISJ_E10value_typeEPSK_NS1_7vsmem_tEENKUlT_SI_SJ_SK_E_clIPySD_S10_SD_EESH_SX_SI_SJ_SK_EUlSX_E0_NS1_11comp_targetILNS1_3genE8ELNS1_11target_archE1030ELNS1_3gpuE2ELNS1_3repE0EEENS1_38merge_mergepath_config_static_selectorELNS0_4arch9wavefront6targetE1EEEvSJ_.uses_flat_scratch, 0
	.set _ZN7rocprim17ROCPRIM_400000_NS6detail17trampoline_kernelINS0_14default_configENS1_38merge_sort_block_merge_config_selectorIyyEEZZNS1_27merge_sort_block_merge_implIS3_N6thrust23THRUST_200600_302600_NS6detail15normal_iteratorINS8_10device_ptrIyEEEESD_jNS1_19radix_merge_compareILb0ELb0EyNS0_19identity_decomposerEEEEE10hipError_tT0_T1_T2_jT3_P12ihipStream_tbPNSt15iterator_traitsISI_E10value_typeEPNSO_ISJ_E10value_typeEPSK_NS1_7vsmem_tEENKUlT_SI_SJ_SK_E_clIPySD_S10_SD_EESH_SX_SI_SJ_SK_EUlSX_E0_NS1_11comp_targetILNS1_3genE8ELNS1_11target_archE1030ELNS1_3gpuE2ELNS1_3repE0EEENS1_38merge_mergepath_config_static_selectorELNS0_4arch9wavefront6targetE1EEEvSJ_.has_dyn_sized_stack, 0
	.set _ZN7rocprim17ROCPRIM_400000_NS6detail17trampoline_kernelINS0_14default_configENS1_38merge_sort_block_merge_config_selectorIyyEEZZNS1_27merge_sort_block_merge_implIS3_N6thrust23THRUST_200600_302600_NS6detail15normal_iteratorINS8_10device_ptrIyEEEESD_jNS1_19radix_merge_compareILb0ELb0EyNS0_19identity_decomposerEEEEE10hipError_tT0_T1_T2_jT3_P12ihipStream_tbPNSt15iterator_traitsISI_E10value_typeEPNSO_ISJ_E10value_typeEPSK_NS1_7vsmem_tEENKUlT_SI_SJ_SK_E_clIPySD_S10_SD_EESH_SX_SI_SJ_SK_EUlSX_E0_NS1_11comp_targetILNS1_3genE8ELNS1_11target_archE1030ELNS1_3gpuE2ELNS1_3repE0EEENS1_38merge_mergepath_config_static_selectorELNS0_4arch9wavefront6targetE1EEEvSJ_.has_recursion, 0
	.set _ZN7rocprim17ROCPRIM_400000_NS6detail17trampoline_kernelINS0_14default_configENS1_38merge_sort_block_merge_config_selectorIyyEEZZNS1_27merge_sort_block_merge_implIS3_N6thrust23THRUST_200600_302600_NS6detail15normal_iteratorINS8_10device_ptrIyEEEESD_jNS1_19radix_merge_compareILb0ELb0EyNS0_19identity_decomposerEEEEE10hipError_tT0_T1_T2_jT3_P12ihipStream_tbPNSt15iterator_traitsISI_E10value_typeEPNSO_ISJ_E10value_typeEPSK_NS1_7vsmem_tEENKUlT_SI_SJ_SK_E_clIPySD_S10_SD_EESH_SX_SI_SJ_SK_EUlSX_E0_NS1_11comp_targetILNS1_3genE8ELNS1_11target_archE1030ELNS1_3gpuE2ELNS1_3repE0EEENS1_38merge_mergepath_config_static_selectorELNS0_4arch9wavefront6targetE1EEEvSJ_.has_indirect_call, 0
	.section	.AMDGPU.csdata,"",@progbits
; Kernel info:
; codeLenInByte = 0
; TotalNumSgprs: 6
; NumVgprs: 0
; NumAgprs: 0
; TotalNumVgprs: 0
; ScratchSize: 0
; MemoryBound: 0
; FloatMode: 240
; IeeeMode: 1
; LDSByteSize: 0 bytes/workgroup (compile time only)
; SGPRBlocks: 0
; VGPRBlocks: 0
; NumSGPRsForWavesPerEU: 6
; NumVGPRsForWavesPerEU: 1
; AccumOffset: 4
; Occupancy: 8
; WaveLimiterHint : 0
; COMPUTE_PGM_RSRC2:SCRATCH_EN: 0
; COMPUTE_PGM_RSRC2:USER_SGPR: 2
; COMPUTE_PGM_RSRC2:TRAP_HANDLER: 0
; COMPUTE_PGM_RSRC2:TGID_X_EN: 1
; COMPUTE_PGM_RSRC2:TGID_Y_EN: 0
; COMPUTE_PGM_RSRC2:TGID_Z_EN: 0
; COMPUTE_PGM_RSRC2:TIDIG_COMP_CNT: 0
; COMPUTE_PGM_RSRC3_GFX90A:ACCUM_OFFSET: 0
; COMPUTE_PGM_RSRC3_GFX90A:TG_SPLIT: 0
	.section	.text._ZN7rocprim17ROCPRIM_400000_NS6detail17trampoline_kernelINS0_14default_configENS1_38merge_sort_block_merge_config_selectorIyyEEZZNS1_27merge_sort_block_merge_implIS3_N6thrust23THRUST_200600_302600_NS6detail15normal_iteratorINS8_10device_ptrIyEEEESD_jNS1_19radix_merge_compareILb0ELb0EyNS0_19identity_decomposerEEEEE10hipError_tT0_T1_T2_jT3_P12ihipStream_tbPNSt15iterator_traitsISI_E10value_typeEPNSO_ISJ_E10value_typeEPSK_NS1_7vsmem_tEENKUlT_SI_SJ_SK_E_clIPySD_S10_SD_EESH_SX_SI_SJ_SK_EUlSX_E1_NS1_11comp_targetILNS1_3genE0ELNS1_11target_archE4294967295ELNS1_3gpuE0ELNS1_3repE0EEENS1_36merge_oddeven_config_static_selectorELNS0_4arch9wavefront6targetE1EEEvSJ_,"axG",@progbits,_ZN7rocprim17ROCPRIM_400000_NS6detail17trampoline_kernelINS0_14default_configENS1_38merge_sort_block_merge_config_selectorIyyEEZZNS1_27merge_sort_block_merge_implIS3_N6thrust23THRUST_200600_302600_NS6detail15normal_iteratorINS8_10device_ptrIyEEEESD_jNS1_19radix_merge_compareILb0ELb0EyNS0_19identity_decomposerEEEEE10hipError_tT0_T1_T2_jT3_P12ihipStream_tbPNSt15iterator_traitsISI_E10value_typeEPNSO_ISJ_E10value_typeEPSK_NS1_7vsmem_tEENKUlT_SI_SJ_SK_E_clIPySD_S10_SD_EESH_SX_SI_SJ_SK_EUlSX_E1_NS1_11comp_targetILNS1_3genE0ELNS1_11target_archE4294967295ELNS1_3gpuE0ELNS1_3repE0EEENS1_36merge_oddeven_config_static_selectorELNS0_4arch9wavefront6targetE1EEEvSJ_,comdat
	.protected	_ZN7rocprim17ROCPRIM_400000_NS6detail17trampoline_kernelINS0_14default_configENS1_38merge_sort_block_merge_config_selectorIyyEEZZNS1_27merge_sort_block_merge_implIS3_N6thrust23THRUST_200600_302600_NS6detail15normal_iteratorINS8_10device_ptrIyEEEESD_jNS1_19radix_merge_compareILb0ELb0EyNS0_19identity_decomposerEEEEE10hipError_tT0_T1_T2_jT3_P12ihipStream_tbPNSt15iterator_traitsISI_E10value_typeEPNSO_ISJ_E10value_typeEPSK_NS1_7vsmem_tEENKUlT_SI_SJ_SK_E_clIPySD_S10_SD_EESH_SX_SI_SJ_SK_EUlSX_E1_NS1_11comp_targetILNS1_3genE0ELNS1_11target_archE4294967295ELNS1_3gpuE0ELNS1_3repE0EEENS1_36merge_oddeven_config_static_selectorELNS0_4arch9wavefront6targetE1EEEvSJ_ ; -- Begin function _ZN7rocprim17ROCPRIM_400000_NS6detail17trampoline_kernelINS0_14default_configENS1_38merge_sort_block_merge_config_selectorIyyEEZZNS1_27merge_sort_block_merge_implIS3_N6thrust23THRUST_200600_302600_NS6detail15normal_iteratorINS8_10device_ptrIyEEEESD_jNS1_19radix_merge_compareILb0ELb0EyNS0_19identity_decomposerEEEEE10hipError_tT0_T1_T2_jT3_P12ihipStream_tbPNSt15iterator_traitsISI_E10value_typeEPNSO_ISJ_E10value_typeEPSK_NS1_7vsmem_tEENKUlT_SI_SJ_SK_E_clIPySD_S10_SD_EESH_SX_SI_SJ_SK_EUlSX_E1_NS1_11comp_targetILNS1_3genE0ELNS1_11target_archE4294967295ELNS1_3gpuE0ELNS1_3repE0EEENS1_36merge_oddeven_config_static_selectorELNS0_4arch9wavefront6targetE1EEEvSJ_
	.globl	_ZN7rocprim17ROCPRIM_400000_NS6detail17trampoline_kernelINS0_14default_configENS1_38merge_sort_block_merge_config_selectorIyyEEZZNS1_27merge_sort_block_merge_implIS3_N6thrust23THRUST_200600_302600_NS6detail15normal_iteratorINS8_10device_ptrIyEEEESD_jNS1_19radix_merge_compareILb0ELb0EyNS0_19identity_decomposerEEEEE10hipError_tT0_T1_T2_jT3_P12ihipStream_tbPNSt15iterator_traitsISI_E10value_typeEPNSO_ISJ_E10value_typeEPSK_NS1_7vsmem_tEENKUlT_SI_SJ_SK_E_clIPySD_S10_SD_EESH_SX_SI_SJ_SK_EUlSX_E1_NS1_11comp_targetILNS1_3genE0ELNS1_11target_archE4294967295ELNS1_3gpuE0ELNS1_3repE0EEENS1_36merge_oddeven_config_static_selectorELNS0_4arch9wavefront6targetE1EEEvSJ_
	.p2align	8
	.type	_ZN7rocprim17ROCPRIM_400000_NS6detail17trampoline_kernelINS0_14default_configENS1_38merge_sort_block_merge_config_selectorIyyEEZZNS1_27merge_sort_block_merge_implIS3_N6thrust23THRUST_200600_302600_NS6detail15normal_iteratorINS8_10device_ptrIyEEEESD_jNS1_19radix_merge_compareILb0ELb0EyNS0_19identity_decomposerEEEEE10hipError_tT0_T1_T2_jT3_P12ihipStream_tbPNSt15iterator_traitsISI_E10value_typeEPNSO_ISJ_E10value_typeEPSK_NS1_7vsmem_tEENKUlT_SI_SJ_SK_E_clIPySD_S10_SD_EESH_SX_SI_SJ_SK_EUlSX_E1_NS1_11comp_targetILNS1_3genE0ELNS1_11target_archE4294967295ELNS1_3gpuE0ELNS1_3repE0EEENS1_36merge_oddeven_config_static_selectorELNS0_4arch9wavefront6targetE1EEEvSJ_,@function
_ZN7rocprim17ROCPRIM_400000_NS6detail17trampoline_kernelINS0_14default_configENS1_38merge_sort_block_merge_config_selectorIyyEEZZNS1_27merge_sort_block_merge_implIS3_N6thrust23THRUST_200600_302600_NS6detail15normal_iteratorINS8_10device_ptrIyEEEESD_jNS1_19radix_merge_compareILb0ELb0EyNS0_19identity_decomposerEEEEE10hipError_tT0_T1_T2_jT3_P12ihipStream_tbPNSt15iterator_traitsISI_E10value_typeEPNSO_ISJ_E10value_typeEPSK_NS1_7vsmem_tEENKUlT_SI_SJ_SK_E_clIPySD_S10_SD_EESH_SX_SI_SJ_SK_EUlSX_E1_NS1_11comp_targetILNS1_3genE0ELNS1_11target_archE4294967295ELNS1_3gpuE0ELNS1_3repE0EEENS1_36merge_oddeven_config_static_selectorELNS0_4arch9wavefront6targetE1EEEvSJ_: ; @_ZN7rocprim17ROCPRIM_400000_NS6detail17trampoline_kernelINS0_14default_configENS1_38merge_sort_block_merge_config_selectorIyyEEZZNS1_27merge_sort_block_merge_implIS3_N6thrust23THRUST_200600_302600_NS6detail15normal_iteratorINS8_10device_ptrIyEEEESD_jNS1_19radix_merge_compareILb0ELb0EyNS0_19identity_decomposerEEEEE10hipError_tT0_T1_T2_jT3_P12ihipStream_tbPNSt15iterator_traitsISI_E10value_typeEPNSO_ISJ_E10value_typeEPSK_NS1_7vsmem_tEENKUlT_SI_SJ_SK_E_clIPySD_S10_SD_EESH_SX_SI_SJ_SK_EUlSX_E1_NS1_11comp_targetILNS1_3genE0ELNS1_11target_archE4294967295ELNS1_3gpuE0ELNS1_3repE0EEENS1_36merge_oddeven_config_static_selectorELNS0_4arch9wavefront6targetE1EEEvSJ_
; %bb.0:
	s_load_dword s18, s[0:1], 0x20
	s_waitcnt lgkmcnt(0)
	s_lshr_b32 s3, s18, 8
	s_cmp_eq_u32 s2, s3
	s_cselect_b64 s[6:7], -1, 0
	s_cmp_lg_u32 s2, s3
	s_cselect_b64 s[8:9], -1, 0
	s_lshl_b32 s16, s2, 8
	s_sub_i32 s3, s18, s16
	v_cmp_gt_u32_e64 s[4:5], s3, v0
	s_or_b64 s[8:9], s[8:9], s[4:5]
	s_and_saveexec_b64 s[10:11], s[8:9]
	s_cbranch_execz .LBB412_24
; %bb.1:
	s_load_dwordx8 s[8:15], s[0:1], 0x0
	s_mov_b32 s17, 0
	s_lshl_b64 s[20:21], s[16:17], 3
	v_lshlrev_b32_e32 v1, 3, v0
	s_load_dword s17, s[0:1], 0x24
	s_waitcnt lgkmcnt(0)
	s_add_u32 s22, s8, s20
	s_addc_u32 s23, s9, s21
	s_add_u32 s12, s12, s20
	s_addc_u32 s13, s13, s21
	global_load_dwordx2 v[2:3], v1, s[12:13]
	global_load_dwordx2 v[4:5], v1, s[22:23]
	s_lshr_b32 s0, s17, 8
	s_sub_i32 s1, 0, s0
	s_and_b32 s1, s2, s1
	s_and_b32 s0, s1, s0
	s_lshl_b32 s19, s1, 8
	s_sub_i32 s12, 0, s17
	s_cmp_eq_u32 s0, 0
	s_cselect_b64 s[0:1], -1, 0
	s_and_b64 s[2:3], s[0:1], exec
	s_cselect_b32 s12, s17, s12
	s_add_i32 s12, s12, s19
	s_mov_b64 s[2:3], -1
	s_cmp_gt_u32 s18, s12
	v_add_u32_e32 v0, s16, v0
	s_cbranch_scc1 .LBB412_9
; %bb.2:
	s_and_b64 vcc, exec, s[6:7]
	s_cbranch_vccz .LBB412_6
; %bb.3:
	v_cmp_gt_u32_e32 vcc, s18, v0
	s_and_saveexec_b64 s[2:3], vcc
	s_cbranch_execz .LBB412_5
; %bb.4:
	v_mov_b32_e32 v1, 0
	v_lshlrev_b64 v[6:7], 3, v[0:1]
	v_lshl_add_u64 v[8:9], s[10:11], 0, v[6:7]
	v_lshl_add_u64 v[6:7], s[14:15], 0, v[6:7]
	s_waitcnt vmcnt(0)
	global_store_dwordx2 v[8:9], v[4:5], off
	global_store_dwordx2 v[6:7], v[2:3], off
.LBB412_5:
	s_or_b64 exec, exec, s[2:3]
	s_mov_b64 s[2:3], 0
.LBB412_6:
	s_andn2_b64 vcc, exec, s[2:3]
	s_cbranch_vccnz .LBB412_8
; %bb.7:
	v_mov_b32_e32 v1, 0
	v_lshlrev_b64 v[6:7], 3, v[0:1]
	v_lshl_add_u64 v[8:9], s[10:11], 0, v[6:7]
	v_lshl_add_u64 v[6:7], s[14:15], 0, v[6:7]
	s_waitcnt vmcnt(0)
	global_store_dwordx2 v[8:9], v[4:5], off
	global_store_dwordx2 v[6:7], v[2:3], off
.LBB412_8:
	s_mov_b64 s[2:3], 0
.LBB412_9:
	s_andn2_b64 vcc, exec, s[2:3]
	s_cbranch_vccnz .LBB412_24
; %bb.10:
	s_min_u32 s13, s12, s18
	s_add_i32 s2, s13, s17
	s_min_u32 s16, s2, s18
	s_min_u32 s2, s19, s13
	s_add_i32 s19, s19, s13
	v_subrev_u32_e32 v0, s19, v0
	v_add_u32_e32 v6, s2, v0
	s_andn2_b64 vcc, exec, s[6:7]
	s_mov_b64 s[2:3], -1
	s_cbranch_vccnz .LBB412_18
; %bb.11:
	s_and_saveexec_b64 s[2:3], s[4:5]
	s_cbranch_execz .LBB412_17
; %bb.12:
	s_cmp_ge_u32 s12, s16
	v_mov_b32_e32 v7, s13
	s_cbranch_scc1 .LBB412_16
; %bb.13:
	s_mov_b64 s[4:5], 0
	v_mov_b32_e32 v8, s16
	v_mov_b32_e32 v7, s13
	;; [unrolled: 1-line block ×3, first 2 shown]
.LBB412_14:                             ; =>This Inner Loop Header: Depth=1
	v_add_u32_e32 v0, v7, v8
	v_lshrrev_b32_e32 v0, 1, v0
	v_lshl_add_u64 v[10:11], v[0:1], 3, s[8:9]
	global_load_dwordx2 v[10:11], v[10:11], off
	v_add_u32_e32 v9, 1, v0
	s_waitcnt vmcnt(0)
	v_cmp_gt_u64_e32 vcc, v[4:5], v[10:11]
	s_nop 1
	v_cndmask_b32_e64 v12, 0, 1, vcc
	v_cmp_le_u64_e32 vcc, v[10:11], v[4:5]
	s_nop 1
	v_cndmask_b32_e64 v10, 0, 1, vcc
	v_cndmask_b32_e64 v10, v10, v12, s[0:1]
	v_and_b32_e32 v10, 1, v10
	v_cmp_eq_u32_e32 vcc, 1, v10
	s_nop 1
	v_cndmask_b32_e32 v8, v0, v8, vcc
	v_cndmask_b32_e32 v7, v7, v9, vcc
	v_cmp_ge_u32_e32 vcc, v7, v8
	s_or_b64 s[4:5], vcc, s[4:5]
	s_andn2_b64 exec, exec, s[4:5]
	s_cbranch_execnz .LBB412_14
; %bb.15:
	s_or_b64 exec, exec, s[4:5]
.LBB412_16:
	v_add_u32_e32 v0, v7, v6
	v_mov_b32_e32 v1, 0
	v_lshlrev_b64 v[0:1], 3, v[0:1]
	v_lshl_add_u64 v[8:9], s[10:11], 0, v[0:1]
	v_lshl_add_u64 v[0:1], s[14:15], 0, v[0:1]
	s_waitcnt vmcnt(0)
	global_store_dwordx2 v[8:9], v[4:5], off
	global_store_dwordx2 v[0:1], v[2:3], off
.LBB412_17:
	s_or_b64 exec, exec, s[2:3]
	s_mov_b64 s[2:3], 0
.LBB412_18:
	s_andn2_b64 vcc, exec, s[2:3]
	s_cbranch_vccnz .LBB412_24
; %bb.19:
	s_cmp_ge_u32 s12, s16
	v_mov_b32_e32 v7, s13
	s_cbranch_scc1 .LBB412_23
; %bb.20:
	s_mov_b64 s[2:3], 0
	v_mov_b32_e32 v8, s16
	v_mov_b32_e32 v7, s13
	;; [unrolled: 1-line block ×3, first 2 shown]
.LBB412_21:                             ; =>This Inner Loop Header: Depth=1
	v_add_u32_e32 v0, v7, v8
	v_lshrrev_b32_e32 v0, 1, v0
	v_lshl_add_u64 v[10:11], v[0:1], 3, s[8:9]
	global_load_dwordx2 v[10:11], v[10:11], off
	v_add_u32_e32 v9, 1, v0
	s_waitcnt vmcnt(0)
	v_cmp_gt_u64_e32 vcc, v[4:5], v[10:11]
	s_nop 1
	v_cndmask_b32_e64 v12, 0, 1, vcc
	v_cmp_le_u64_e32 vcc, v[10:11], v[4:5]
	s_nop 1
	v_cndmask_b32_e64 v10, 0, 1, vcc
	v_cndmask_b32_e64 v10, v10, v12, s[0:1]
	v_and_b32_e32 v10, 1, v10
	v_cmp_eq_u32_e32 vcc, 1, v10
	s_nop 1
	v_cndmask_b32_e32 v8, v0, v8, vcc
	v_cndmask_b32_e32 v7, v7, v9, vcc
	v_cmp_ge_u32_e32 vcc, v7, v8
	s_or_b64 s[2:3], vcc, s[2:3]
	s_andn2_b64 exec, exec, s[2:3]
	s_cbranch_execnz .LBB412_21
; %bb.22:
	s_or_b64 exec, exec, s[2:3]
.LBB412_23:
	v_add_u32_e32 v0, v7, v6
	v_mov_b32_e32 v1, 0
	v_lshlrev_b64 v[0:1], 3, v[0:1]
	v_lshl_add_u64 v[6:7], s[10:11], 0, v[0:1]
	v_lshl_add_u64 v[0:1], s[14:15], 0, v[0:1]
	s_waitcnt vmcnt(0)
	global_store_dwordx2 v[6:7], v[4:5], off
	global_store_dwordx2 v[0:1], v[2:3], off
.LBB412_24:
	s_endpgm
	.section	.rodata,"a",@progbits
	.p2align	6, 0x0
	.amdhsa_kernel _ZN7rocprim17ROCPRIM_400000_NS6detail17trampoline_kernelINS0_14default_configENS1_38merge_sort_block_merge_config_selectorIyyEEZZNS1_27merge_sort_block_merge_implIS3_N6thrust23THRUST_200600_302600_NS6detail15normal_iteratorINS8_10device_ptrIyEEEESD_jNS1_19radix_merge_compareILb0ELb0EyNS0_19identity_decomposerEEEEE10hipError_tT0_T1_T2_jT3_P12ihipStream_tbPNSt15iterator_traitsISI_E10value_typeEPNSO_ISJ_E10value_typeEPSK_NS1_7vsmem_tEENKUlT_SI_SJ_SK_E_clIPySD_S10_SD_EESH_SX_SI_SJ_SK_EUlSX_E1_NS1_11comp_targetILNS1_3genE0ELNS1_11target_archE4294967295ELNS1_3gpuE0ELNS1_3repE0EEENS1_36merge_oddeven_config_static_selectorELNS0_4arch9wavefront6targetE1EEEvSJ_
		.amdhsa_group_segment_fixed_size 0
		.amdhsa_private_segment_fixed_size 0
		.amdhsa_kernarg_size 48
		.amdhsa_user_sgpr_count 2
		.amdhsa_user_sgpr_dispatch_ptr 0
		.amdhsa_user_sgpr_queue_ptr 0
		.amdhsa_user_sgpr_kernarg_segment_ptr 1
		.amdhsa_user_sgpr_dispatch_id 0
		.amdhsa_user_sgpr_kernarg_preload_length 0
		.amdhsa_user_sgpr_kernarg_preload_offset 0
		.amdhsa_user_sgpr_private_segment_size 0
		.amdhsa_uses_dynamic_stack 0
		.amdhsa_enable_private_segment 0
		.amdhsa_system_sgpr_workgroup_id_x 1
		.amdhsa_system_sgpr_workgroup_id_y 0
		.amdhsa_system_sgpr_workgroup_id_z 0
		.amdhsa_system_sgpr_workgroup_info 0
		.amdhsa_system_vgpr_workitem_id 0
		.amdhsa_next_free_vgpr 13
		.amdhsa_next_free_sgpr 24
		.amdhsa_accum_offset 16
		.amdhsa_reserve_vcc 1
		.amdhsa_float_round_mode_32 0
		.amdhsa_float_round_mode_16_64 0
		.amdhsa_float_denorm_mode_32 3
		.amdhsa_float_denorm_mode_16_64 3
		.amdhsa_dx10_clamp 1
		.amdhsa_ieee_mode 1
		.amdhsa_fp16_overflow 0
		.amdhsa_tg_split 0
		.amdhsa_exception_fp_ieee_invalid_op 0
		.amdhsa_exception_fp_denorm_src 0
		.amdhsa_exception_fp_ieee_div_zero 0
		.amdhsa_exception_fp_ieee_overflow 0
		.amdhsa_exception_fp_ieee_underflow 0
		.amdhsa_exception_fp_ieee_inexact 0
		.amdhsa_exception_int_div_zero 0
	.end_amdhsa_kernel
	.section	.text._ZN7rocprim17ROCPRIM_400000_NS6detail17trampoline_kernelINS0_14default_configENS1_38merge_sort_block_merge_config_selectorIyyEEZZNS1_27merge_sort_block_merge_implIS3_N6thrust23THRUST_200600_302600_NS6detail15normal_iteratorINS8_10device_ptrIyEEEESD_jNS1_19radix_merge_compareILb0ELb0EyNS0_19identity_decomposerEEEEE10hipError_tT0_T1_T2_jT3_P12ihipStream_tbPNSt15iterator_traitsISI_E10value_typeEPNSO_ISJ_E10value_typeEPSK_NS1_7vsmem_tEENKUlT_SI_SJ_SK_E_clIPySD_S10_SD_EESH_SX_SI_SJ_SK_EUlSX_E1_NS1_11comp_targetILNS1_3genE0ELNS1_11target_archE4294967295ELNS1_3gpuE0ELNS1_3repE0EEENS1_36merge_oddeven_config_static_selectorELNS0_4arch9wavefront6targetE1EEEvSJ_,"axG",@progbits,_ZN7rocprim17ROCPRIM_400000_NS6detail17trampoline_kernelINS0_14default_configENS1_38merge_sort_block_merge_config_selectorIyyEEZZNS1_27merge_sort_block_merge_implIS3_N6thrust23THRUST_200600_302600_NS6detail15normal_iteratorINS8_10device_ptrIyEEEESD_jNS1_19radix_merge_compareILb0ELb0EyNS0_19identity_decomposerEEEEE10hipError_tT0_T1_T2_jT3_P12ihipStream_tbPNSt15iterator_traitsISI_E10value_typeEPNSO_ISJ_E10value_typeEPSK_NS1_7vsmem_tEENKUlT_SI_SJ_SK_E_clIPySD_S10_SD_EESH_SX_SI_SJ_SK_EUlSX_E1_NS1_11comp_targetILNS1_3genE0ELNS1_11target_archE4294967295ELNS1_3gpuE0ELNS1_3repE0EEENS1_36merge_oddeven_config_static_selectorELNS0_4arch9wavefront6targetE1EEEvSJ_,comdat
.Lfunc_end412:
	.size	_ZN7rocprim17ROCPRIM_400000_NS6detail17trampoline_kernelINS0_14default_configENS1_38merge_sort_block_merge_config_selectorIyyEEZZNS1_27merge_sort_block_merge_implIS3_N6thrust23THRUST_200600_302600_NS6detail15normal_iteratorINS8_10device_ptrIyEEEESD_jNS1_19radix_merge_compareILb0ELb0EyNS0_19identity_decomposerEEEEE10hipError_tT0_T1_T2_jT3_P12ihipStream_tbPNSt15iterator_traitsISI_E10value_typeEPNSO_ISJ_E10value_typeEPSK_NS1_7vsmem_tEENKUlT_SI_SJ_SK_E_clIPySD_S10_SD_EESH_SX_SI_SJ_SK_EUlSX_E1_NS1_11comp_targetILNS1_3genE0ELNS1_11target_archE4294967295ELNS1_3gpuE0ELNS1_3repE0EEENS1_36merge_oddeven_config_static_selectorELNS0_4arch9wavefront6targetE1EEEvSJ_, .Lfunc_end412-_ZN7rocprim17ROCPRIM_400000_NS6detail17trampoline_kernelINS0_14default_configENS1_38merge_sort_block_merge_config_selectorIyyEEZZNS1_27merge_sort_block_merge_implIS3_N6thrust23THRUST_200600_302600_NS6detail15normal_iteratorINS8_10device_ptrIyEEEESD_jNS1_19radix_merge_compareILb0ELb0EyNS0_19identity_decomposerEEEEE10hipError_tT0_T1_T2_jT3_P12ihipStream_tbPNSt15iterator_traitsISI_E10value_typeEPNSO_ISJ_E10value_typeEPSK_NS1_7vsmem_tEENKUlT_SI_SJ_SK_E_clIPySD_S10_SD_EESH_SX_SI_SJ_SK_EUlSX_E1_NS1_11comp_targetILNS1_3genE0ELNS1_11target_archE4294967295ELNS1_3gpuE0ELNS1_3repE0EEENS1_36merge_oddeven_config_static_selectorELNS0_4arch9wavefront6targetE1EEEvSJ_
                                        ; -- End function
	.set _ZN7rocprim17ROCPRIM_400000_NS6detail17trampoline_kernelINS0_14default_configENS1_38merge_sort_block_merge_config_selectorIyyEEZZNS1_27merge_sort_block_merge_implIS3_N6thrust23THRUST_200600_302600_NS6detail15normal_iteratorINS8_10device_ptrIyEEEESD_jNS1_19radix_merge_compareILb0ELb0EyNS0_19identity_decomposerEEEEE10hipError_tT0_T1_T2_jT3_P12ihipStream_tbPNSt15iterator_traitsISI_E10value_typeEPNSO_ISJ_E10value_typeEPSK_NS1_7vsmem_tEENKUlT_SI_SJ_SK_E_clIPySD_S10_SD_EESH_SX_SI_SJ_SK_EUlSX_E1_NS1_11comp_targetILNS1_3genE0ELNS1_11target_archE4294967295ELNS1_3gpuE0ELNS1_3repE0EEENS1_36merge_oddeven_config_static_selectorELNS0_4arch9wavefront6targetE1EEEvSJ_.num_vgpr, 13
	.set _ZN7rocprim17ROCPRIM_400000_NS6detail17trampoline_kernelINS0_14default_configENS1_38merge_sort_block_merge_config_selectorIyyEEZZNS1_27merge_sort_block_merge_implIS3_N6thrust23THRUST_200600_302600_NS6detail15normal_iteratorINS8_10device_ptrIyEEEESD_jNS1_19radix_merge_compareILb0ELb0EyNS0_19identity_decomposerEEEEE10hipError_tT0_T1_T2_jT3_P12ihipStream_tbPNSt15iterator_traitsISI_E10value_typeEPNSO_ISJ_E10value_typeEPSK_NS1_7vsmem_tEENKUlT_SI_SJ_SK_E_clIPySD_S10_SD_EESH_SX_SI_SJ_SK_EUlSX_E1_NS1_11comp_targetILNS1_3genE0ELNS1_11target_archE4294967295ELNS1_3gpuE0ELNS1_3repE0EEENS1_36merge_oddeven_config_static_selectorELNS0_4arch9wavefront6targetE1EEEvSJ_.num_agpr, 0
	.set _ZN7rocprim17ROCPRIM_400000_NS6detail17trampoline_kernelINS0_14default_configENS1_38merge_sort_block_merge_config_selectorIyyEEZZNS1_27merge_sort_block_merge_implIS3_N6thrust23THRUST_200600_302600_NS6detail15normal_iteratorINS8_10device_ptrIyEEEESD_jNS1_19radix_merge_compareILb0ELb0EyNS0_19identity_decomposerEEEEE10hipError_tT0_T1_T2_jT3_P12ihipStream_tbPNSt15iterator_traitsISI_E10value_typeEPNSO_ISJ_E10value_typeEPSK_NS1_7vsmem_tEENKUlT_SI_SJ_SK_E_clIPySD_S10_SD_EESH_SX_SI_SJ_SK_EUlSX_E1_NS1_11comp_targetILNS1_3genE0ELNS1_11target_archE4294967295ELNS1_3gpuE0ELNS1_3repE0EEENS1_36merge_oddeven_config_static_selectorELNS0_4arch9wavefront6targetE1EEEvSJ_.numbered_sgpr, 24
	.set _ZN7rocprim17ROCPRIM_400000_NS6detail17trampoline_kernelINS0_14default_configENS1_38merge_sort_block_merge_config_selectorIyyEEZZNS1_27merge_sort_block_merge_implIS3_N6thrust23THRUST_200600_302600_NS6detail15normal_iteratorINS8_10device_ptrIyEEEESD_jNS1_19radix_merge_compareILb0ELb0EyNS0_19identity_decomposerEEEEE10hipError_tT0_T1_T2_jT3_P12ihipStream_tbPNSt15iterator_traitsISI_E10value_typeEPNSO_ISJ_E10value_typeEPSK_NS1_7vsmem_tEENKUlT_SI_SJ_SK_E_clIPySD_S10_SD_EESH_SX_SI_SJ_SK_EUlSX_E1_NS1_11comp_targetILNS1_3genE0ELNS1_11target_archE4294967295ELNS1_3gpuE0ELNS1_3repE0EEENS1_36merge_oddeven_config_static_selectorELNS0_4arch9wavefront6targetE1EEEvSJ_.num_named_barrier, 0
	.set _ZN7rocprim17ROCPRIM_400000_NS6detail17trampoline_kernelINS0_14default_configENS1_38merge_sort_block_merge_config_selectorIyyEEZZNS1_27merge_sort_block_merge_implIS3_N6thrust23THRUST_200600_302600_NS6detail15normal_iteratorINS8_10device_ptrIyEEEESD_jNS1_19radix_merge_compareILb0ELb0EyNS0_19identity_decomposerEEEEE10hipError_tT0_T1_T2_jT3_P12ihipStream_tbPNSt15iterator_traitsISI_E10value_typeEPNSO_ISJ_E10value_typeEPSK_NS1_7vsmem_tEENKUlT_SI_SJ_SK_E_clIPySD_S10_SD_EESH_SX_SI_SJ_SK_EUlSX_E1_NS1_11comp_targetILNS1_3genE0ELNS1_11target_archE4294967295ELNS1_3gpuE0ELNS1_3repE0EEENS1_36merge_oddeven_config_static_selectorELNS0_4arch9wavefront6targetE1EEEvSJ_.private_seg_size, 0
	.set _ZN7rocprim17ROCPRIM_400000_NS6detail17trampoline_kernelINS0_14default_configENS1_38merge_sort_block_merge_config_selectorIyyEEZZNS1_27merge_sort_block_merge_implIS3_N6thrust23THRUST_200600_302600_NS6detail15normal_iteratorINS8_10device_ptrIyEEEESD_jNS1_19radix_merge_compareILb0ELb0EyNS0_19identity_decomposerEEEEE10hipError_tT0_T1_T2_jT3_P12ihipStream_tbPNSt15iterator_traitsISI_E10value_typeEPNSO_ISJ_E10value_typeEPSK_NS1_7vsmem_tEENKUlT_SI_SJ_SK_E_clIPySD_S10_SD_EESH_SX_SI_SJ_SK_EUlSX_E1_NS1_11comp_targetILNS1_3genE0ELNS1_11target_archE4294967295ELNS1_3gpuE0ELNS1_3repE0EEENS1_36merge_oddeven_config_static_selectorELNS0_4arch9wavefront6targetE1EEEvSJ_.uses_vcc, 1
	.set _ZN7rocprim17ROCPRIM_400000_NS6detail17trampoline_kernelINS0_14default_configENS1_38merge_sort_block_merge_config_selectorIyyEEZZNS1_27merge_sort_block_merge_implIS3_N6thrust23THRUST_200600_302600_NS6detail15normal_iteratorINS8_10device_ptrIyEEEESD_jNS1_19radix_merge_compareILb0ELb0EyNS0_19identity_decomposerEEEEE10hipError_tT0_T1_T2_jT3_P12ihipStream_tbPNSt15iterator_traitsISI_E10value_typeEPNSO_ISJ_E10value_typeEPSK_NS1_7vsmem_tEENKUlT_SI_SJ_SK_E_clIPySD_S10_SD_EESH_SX_SI_SJ_SK_EUlSX_E1_NS1_11comp_targetILNS1_3genE0ELNS1_11target_archE4294967295ELNS1_3gpuE0ELNS1_3repE0EEENS1_36merge_oddeven_config_static_selectorELNS0_4arch9wavefront6targetE1EEEvSJ_.uses_flat_scratch, 0
	.set _ZN7rocprim17ROCPRIM_400000_NS6detail17trampoline_kernelINS0_14default_configENS1_38merge_sort_block_merge_config_selectorIyyEEZZNS1_27merge_sort_block_merge_implIS3_N6thrust23THRUST_200600_302600_NS6detail15normal_iteratorINS8_10device_ptrIyEEEESD_jNS1_19radix_merge_compareILb0ELb0EyNS0_19identity_decomposerEEEEE10hipError_tT0_T1_T2_jT3_P12ihipStream_tbPNSt15iterator_traitsISI_E10value_typeEPNSO_ISJ_E10value_typeEPSK_NS1_7vsmem_tEENKUlT_SI_SJ_SK_E_clIPySD_S10_SD_EESH_SX_SI_SJ_SK_EUlSX_E1_NS1_11comp_targetILNS1_3genE0ELNS1_11target_archE4294967295ELNS1_3gpuE0ELNS1_3repE0EEENS1_36merge_oddeven_config_static_selectorELNS0_4arch9wavefront6targetE1EEEvSJ_.has_dyn_sized_stack, 0
	.set _ZN7rocprim17ROCPRIM_400000_NS6detail17trampoline_kernelINS0_14default_configENS1_38merge_sort_block_merge_config_selectorIyyEEZZNS1_27merge_sort_block_merge_implIS3_N6thrust23THRUST_200600_302600_NS6detail15normal_iteratorINS8_10device_ptrIyEEEESD_jNS1_19radix_merge_compareILb0ELb0EyNS0_19identity_decomposerEEEEE10hipError_tT0_T1_T2_jT3_P12ihipStream_tbPNSt15iterator_traitsISI_E10value_typeEPNSO_ISJ_E10value_typeEPSK_NS1_7vsmem_tEENKUlT_SI_SJ_SK_E_clIPySD_S10_SD_EESH_SX_SI_SJ_SK_EUlSX_E1_NS1_11comp_targetILNS1_3genE0ELNS1_11target_archE4294967295ELNS1_3gpuE0ELNS1_3repE0EEENS1_36merge_oddeven_config_static_selectorELNS0_4arch9wavefront6targetE1EEEvSJ_.has_recursion, 0
	.set _ZN7rocprim17ROCPRIM_400000_NS6detail17trampoline_kernelINS0_14default_configENS1_38merge_sort_block_merge_config_selectorIyyEEZZNS1_27merge_sort_block_merge_implIS3_N6thrust23THRUST_200600_302600_NS6detail15normal_iteratorINS8_10device_ptrIyEEEESD_jNS1_19radix_merge_compareILb0ELb0EyNS0_19identity_decomposerEEEEE10hipError_tT0_T1_T2_jT3_P12ihipStream_tbPNSt15iterator_traitsISI_E10value_typeEPNSO_ISJ_E10value_typeEPSK_NS1_7vsmem_tEENKUlT_SI_SJ_SK_E_clIPySD_S10_SD_EESH_SX_SI_SJ_SK_EUlSX_E1_NS1_11comp_targetILNS1_3genE0ELNS1_11target_archE4294967295ELNS1_3gpuE0ELNS1_3repE0EEENS1_36merge_oddeven_config_static_selectorELNS0_4arch9wavefront6targetE1EEEvSJ_.has_indirect_call, 0
	.section	.AMDGPU.csdata,"",@progbits
; Kernel info:
; codeLenInByte = 780
; TotalNumSgprs: 30
; NumVgprs: 13
; NumAgprs: 0
; TotalNumVgprs: 13
; ScratchSize: 0
; MemoryBound: 0
; FloatMode: 240
; IeeeMode: 1
; LDSByteSize: 0 bytes/workgroup (compile time only)
; SGPRBlocks: 3
; VGPRBlocks: 1
; NumSGPRsForWavesPerEU: 30
; NumVGPRsForWavesPerEU: 13
; AccumOffset: 16
; Occupancy: 8
; WaveLimiterHint : 0
; COMPUTE_PGM_RSRC2:SCRATCH_EN: 0
; COMPUTE_PGM_RSRC2:USER_SGPR: 2
; COMPUTE_PGM_RSRC2:TRAP_HANDLER: 0
; COMPUTE_PGM_RSRC2:TGID_X_EN: 1
; COMPUTE_PGM_RSRC2:TGID_Y_EN: 0
; COMPUTE_PGM_RSRC2:TGID_Z_EN: 0
; COMPUTE_PGM_RSRC2:TIDIG_COMP_CNT: 0
; COMPUTE_PGM_RSRC3_GFX90A:ACCUM_OFFSET: 3
; COMPUTE_PGM_RSRC3_GFX90A:TG_SPLIT: 0
	.section	.text._ZN7rocprim17ROCPRIM_400000_NS6detail17trampoline_kernelINS0_14default_configENS1_38merge_sort_block_merge_config_selectorIyyEEZZNS1_27merge_sort_block_merge_implIS3_N6thrust23THRUST_200600_302600_NS6detail15normal_iteratorINS8_10device_ptrIyEEEESD_jNS1_19radix_merge_compareILb0ELb0EyNS0_19identity_decomposerEEEEE10hipError_tT0_T1_T2_jT3_P12ihipStream_tbPNSt15iterator_traitsISI_E10value_typeEPNSO_ISJ_E10value_typeEPSK_NS1_7vsmem_tEENKUlT_SI_SJ_SK_E_clIPySD_S10_SD_EESH_SX_SI_SJ_SK_EUlSX_E1_NS1_11comp_targetILNS1_3genE10ELNS1_11target_archE1201ELNS1_3gpuE5ELNS1_3repE0EEENS1_36merge_oddeven_config_static_selectorELNS0_4arch9wavefront6targetE1EEEvSJ_,"axG",@progbits,_ZN7rocprim17ROCPRIM_400000_NS6detail17trampoline_kernelINS0_14default_configENS1_38merge_sort_block_merge_config_selectorIyyEEZZNS1_27merge_sort_block_merge_implIS3_N6thrust23THRUST_200600_302600_NS6detail15normal_iteratorINS8_10device_ptrIyEEEESD_jNS1_19radix_merge_compareILb0ELb0EyNS0_19identity_decomposerEEEEE10hipError_tT0_T1_T2_jT3_P12ihipStream_tbPNSt15iterator_traitsISI_E10value_typeEPNSO_ISJ_E10value_typeEPSK_NS1_7vsmem_tEENKUlT_SI_SJ_SK_E_clIPySD_S10_SD_EESH_SX_SI_SJ_SK_EUlSX_E1_NS1_11comp_targetILNS1_3genE10ELNS1_11target_archE1201ELNS1_3gpuE5ELNS1_3repE0EEENS1_36merge_oddeven_config_static_selectorELNS0_4arch9wavefront6targetE1EEEvSJ_,comdat
	.protected	_ZN7rocprim17ROCPRIM_400000_NS6detail17trampoline_kernelINS0_14default_configENS1_38merge_sort_block_merge_config_selectorIyyEEZZNS1_27merge_sort_block_merge_implIS3_N6thrust23THRUST_200600_302600_NS6detail15normal_iteratorINS8_10device_ptrIyEEEESD_jNS1_19radix_merge_compareILb0ELb0EyNS0_19identity_decomposerEEEEE10hipError_tT0_T1_T2_jT3_P12ihipStream_tbPNSt15iterator_traitsISI_E10value_typeEPNSO_ISJ_E10value_typeEPSK_NS1_7vsmem_tEENKUlT_SI_SJ_SK_E_clIPySD_S10_SD_EESH_SX_SI_SJ_SK_EUlSX_E1_NS1_11comp_targetILNS1_3genE10ELNS1_11target_archE1201ELNS1_3gpuE5ELNS1_3repE0EEENS1_36merge_oddeven_config_static_selectorELNS0_4arch9wavefront6targetE1EEEvSJ_ ; -- Begin function _ZN7rocprim17ROCPRIM_400000_NS6detail17trampoline_kernelINS0_14default_configENS1_38merge_sort_block_merge_config_selectorIyyEEZZNS1_27merge_sort_block_merge_implIS3_N6thrust23THRUST_200600_302600_NS6detail15normal_iteratorINS8_10device_ptrIyEEEESD_jNS1_19radix_merge_compareILb0ELb0EyNS0_19identity_decomposerEEEEE10hipError_tT0_T1_T2_jT3_P12ihipStream_tbPNSt15iterator_traitsISI_E10value_typeEPNSO_ISJ_E10value_typeEPSK_NS1_7vsmem_tEENKUlT_SI_SJ_SK_E_clIPySD_S10_SD_EESH_SX_SI_SJ_SK_EUlSX_E1_NS1_11comp_targetILNS1_3genE10ELNS1_11target_archE1201ELNS1_3gpuE5ELNS1_3repE0EEENS1_36merge_oddeven_config_static_selectorELNS0_4arch9wavefront6targetE1EEEvSJ_
	.globl	_ZN7rocprim17ROCPRIM_400000_NS6detail17trampoline_kernelINS0_14default_configENS1_38merge_sort_block_merge_config_selectorIyyEEZZNS1_27merge_sort_block_merge_implIS3_N6thrust23THRUST_200600_302600_NS6detail15normal_iteratorINS8_10device_ptrIyEEEESD_jNS1_19radix_merge_compareILb0ELb0EyNS0_19identity_decomposerEEEEE10hipError_tT0_T1_T2_jT3_P12ihipStream_tbPNSt15iterator_traitsISI_E10value_typeEPNSO_ISJ_E10value_typeEPSK_NS1_7vsmem_tEENKUlT_SI_SJ_SK_E_clIPySD_S10_SD_EESH_SX_SI_SJ_SK_EUlSX_E1_NS1_11comp_targetILNS1_3genE10ELNS1_11target_archE1201ELNS1_3gpuE5ELNS1_3repE0EEENS1_36merge_oddeven_config_static_selectorELNS0_4arch9wavefront6targetE1EEEvSJ_
	.p2align	8
	.type	_ZN7rocprim17ROCPRIM_400000_NS6detail17trampoline_kernelINS0_14default_configENS1_38merge_sort_block_merge_config_selectorIyyEEZZNS1_27merge_sort_block_merge_implIS3_N6thrust23THRUST_200600_302600_NS6detail15normal_iteratorINS8_10device_ptrIyEEEESD_jNS1_19radix_merge_compareILb0ELb0EyNS0_19identity_decomposerEEEEE10hipError_tT0_T1_T2_jT3_P12ihipStream_tbPNSt15iterator_traitsISI_E10value_typeEPNSO_ISJ_E10value_typeEPSK_NS1_7vsmem_tEENKUlT_SI_SJ_SK_E_clIPySD_S10_SD_EESH_SX_SI_SJ_SK_EUlSX_E1_NS1_11comp_targetILNS1_3genE10ELNS1_11target_archE1201ELNS1_3gpuE5ELNS1_3repE0EEENS1_36merge_oddeven_config_static_selectorELNS0_4arch9wavefront6targetE1EEEvSJ_,@function
_ZN7rocprim17ROCPRIM_400000_NS6detail17trampoline_kernelINS0_14default_configENS1_38merge_sort_block_merge_config_selectorIyyEEZZNS1_27merge_sort_block_merge_implIS3_N6thrust23THRUST_200600_302600_NS6detail15normal_iteratorINS8_10device_ptrIyEEEESD_jNS1_19radix_merge_compareILb0ELb0EyNS0_19identity_decomposerEEEEE10hipError_tT0_T1_T2_jT3_P12ihipStream_tbPNSt15iterator_traitsISI_E10value_typeEPNSO_ISJ_E10value_typeEPSK_NS1_7vsmem_tEENKUlT_SI_SJ_SK_E_clIPySD_S10_SD_EESH_SX_SI_SJ_SK_EUlSX_E1_NS1_11comp_targetILNS1_3genE10ELNS1_11target_archE1201ELNS1_3gpuE5ELNS1_3repE0EEENS1_36merge_oddeven_config_static_selectorELNS0_4arch9wavefront6targetE1EEEvSJ_: ; @_ZN7rocprim17ROCPRIM_400000_NS6detail17trampoline_kernelINS0_14default_configENS1_38merge_sort_block_merge_config_selectorIyyEEZZNS1_27merge_sort_block_merge_implIS3_N6thrust23THRUST_200600_302600_NS6detail15normal_iteratorINS8_10device_ptrIyEEEESD_jNS1_19radix_merge_compareILb0ELb0EyNS0_19identity_decomposerEEEEE10hipError_tT0_T1_T2_jT3_P12ihipStream_tbPNSt15iterator_traitsISI_E10value_typeEPNSO_ISJ_E10value_typeEPSK_NS1_7vsmem_tEENKUlT_SI_SJ_SK_E_clIPySD_S10_SD_EESH_SX_SI_SJ_SK_EUlSX_E1_NS1_11comp_targetILNS1_3genE10ELNS1_11target_archE1201ELNS1_3gpuE5ELNS1_3repE0EEENS1_36merge_oddeven_config_static_selectorELNS0_4arch9wavefront6targetE1EEEvSJ_
; %bb.0:
	.section	.rodata,"a",@progbits
	.p2align	6, 0x0
	.amdhsa_kernel _ZN7rocprim17ROCPRIM_400000_NS6detail17trampoline_kernelINS0_14default_configENS1_38merge_sort_block_merge_config_selectorIyyEEZZNS1_27merge_sort_block_merge_implIS3_N6thrust23THRUST_200600_302600_NS6detail15normal_iteratorINS8_10device_ptrIyEEEESD_jNS1_19radix_merge_compareILb0ELb0EyNS0_19identity_decomposerEEEEE10hipError_tT0_T1_T2_jT3_P12ihipStream_tbPNSt15iterator_traitsISI_E10value_typeEPNSO_ISJ_E10value_typeEPSK_NS1_7vsmem_tEENKUlT_SI_SJ_SK_E_clIPySD_S10_SD_EESH_SX_SI_SJ_SK_EUlSX_E1_NS1_11comp_targetILNS1_3genE10ELNS1_11target_archE1201ELNS1_3gpuE5ELNS1_3repE0EEENS1_36merge_oddeven_config_static_selectorELNS0_4arch9wavefront6targetE1EEEvSJ_
		.amdhsa_group_segment_fixed_size 0
		.amdhsa_private_segment_fixed_size 0
		.amdhsa_kernarg_size 48
		.amdhsa_user_sgpr_count 2
		.amdhsa_user_sgpr_dispatch_ptr 0
		.amdhsa_user_sgpr_queue_ptr 0
		.amdhsa_user_sgpr_kernarg_segment_ptr 1
		.amdhsa_user_sgpr_dispatch_id 0
		.amdhsa_user_sgpr_kernarg_preload_length 0
		.amdhsa_user_sgpr_kernarg_preload_offset 0
		.amdhsa_user_sgpr_private_segment_size 0
		.amdhsa_uses_dynamic_stack 0
		.amdhsa_enable_private_segment 0
		.amdhsa_system_sgpr_workgroup_id_x 1
		.amdhsa_system_sgpr_workgroup_id_y 0
		.amdhsa_system_sgpr_workgroup_id_z 0
		.amdhsa_system_sgpr_workgroup_info 0
		.amdhsa_system_vgpr_workitem_id 0
		.amdhsa_next_free_vgpr 1
		.amdhsa_next_free_sgpr 0
		.amdhsa_accum_offset 4
		.amdhsa_reserve_vcc 0
		.amdhsa_float_round_mode_32 0
		.amdhsa_float_round_mode_16_64 0
		.amdhsa_float_denorm_mode_32 3
		.amdhsa_float_denorm_mode_16_64 3
		.amdhsa_dx10_clamp 1
		.amdhsa_ieee_mode 1
		.amdhsa_fp16_overflow 0
		.amdhsa_tg_split 0
		.amdhsa_exception_fp_ieee_invalid_op 0
		.amdhsa_exception_fp_denorm_src 0
		.amdhsa_exception_fp_ieee_div_zero 0
		.amdhsa_exception_fp_ieee_overflow 0
		.amdhsa_exception_fp_ieee_underflow 0
		.amdhsa_exception_fp_ieee_inexact 0
		.amdhsa_exception_int_div_zero 0
	.end_amdhsa_kernel
	.section	.text._ZN7rocprim17ROCPRIM_400000_NS6detail17trampoline_kernelINS0_14default_configENS1_38merge_sort_block_merge_config_selectorIyyEEZZNS1_27merge_sort_block_merge_implIS3_N6thrust23THRUST_200600_302600_NS6detail15normal_iteratorINS8_10device_ptrIyEEEESD_jNS1_19radix_merge_compareILb0ELb0EyNS0_19identity_decomposerEEEEE10hipError_tT0_T1_T2_jT3_P12ihipStream_tbPNSt15iterator_traitsISI_E10value_typeEPNSO_ISJ_E10value_typeEPSK_NS1_7vsmem_tEENKUlT_SI_SJ_SK_E_clIPySD_S10_SD_EESH_SX_SI_SJ_SK_EUlSX_E1_NS1_11comp_targetILNS1_3genE10ELNS1_11target_archE1201ELNS1_3gpuE5ELNS1_3repE0EEENS1_36merge_oddeven_config_static_selectorELNS0_4arch9wavefront6targetE1EEEvSJ_,"axG",@progbits,_ZN7rocprim17ROCPRIM_400000_NS6detail17trampoline_kernelINS0_14default_configENS1_38merge_sort_block_merge_config_selectorIyyEEZZNS1_27merge_sort_block_merge_implIS3_N6thrust23THRUST_200600_302600_NS6detail15normal_iteratorINS8_10device_ptrIyEEEESD_jNS1_19radix_merge_compareILb0ELb0EyNS0_19identity_decomposerEEEEE10hipError_tT0_T1_T2_jT3_P12ihipStream_tbPNSt15iterator_traitsISI_E10value_typeEPNSO_ISJ_E10value_typeEPSK_NS1_7vsmem_tEENKUlT_SI_SJ_SK_E_clIPySD_S10_SD_EESH_SX_SI_SJ_SK_EUlSX_E1_NS1_11comp_targetILNS1_3genE10ELNS1_11target_archE1201ELNS1_3gpuE5ELNS1_3repE0EEENS1_36merge_oddeven_config_static_selectorELNS0_4arch9wavefront6targetE1EEEvSJ_,comdat
.Lfunc_end413:
	.size	_ZN7rocprim17ROCPRIM_400000_NS6detail17trampoline_kernelINS0_14default_configENS1_38merge_sort_block_merge_config_selectorIyyEEZZNS1_27merge_sort_block_merge_implIS3_N6thrust23THRUST_200600_302600_NS6detail15normal_iteratorINS8_10device_ptrIyEEEESD_jNS1_19radix_merge_compareILb0ELb0EyNS0_19identity_decomposerEEEEE10hipError_tT0_T1_T2_jT3_P12ihipStream_tbPNSt15iterator_traitsISI_E10value_typeEPNSO_ISJ_E10value_typeEPSK_NS1_7vsmem_tEENKUlT_SI_SJ_SK_E_clIPySD_S10_SD_EESH_SX_SI_SJ_SK_EUlSX_E1_NS1_11comp_targetILNS1_3genE10ELNS1_11target_archE1201ELNS1_3gpuE5ELNS1_3repE0EEENS1_36merge_oddeven_config_static_selectorELNS0_4arch9wavefront6targetE1EEEvSJ_, .Lfunc_end413-_ZN7rocprim17ROCPRIM_400000_NS6detail17trampoline_kernelINS0_14default_configENS1_38merge_sort_block_merge_config_selectorIyyEEZZNS1_27merge_sort_block_merge_implIS3_N6thrust23THRUST_200600_302600_NS6detail15normal_iteratorINS8_10device_ptrIyEEEESD_jNS1_19radix_merge_compareILb0ELb0EyNS0_19identity_decomposerEEEEE10hipError_tT0_T1_T2_jT3_P12ihipStream_tbPNSt15iterator_traitsISI_E10value_typeEPNSO_ISJ_E10value_typeEPSK_NS1_7vsmem_tEENKUlT_SI_SJ_SK_E_clIPySD_S10_SD_EESH_SX_SI_SJ_SK_EUlSX_E1_NS1_11comp_targetILNS1_3genE10ELNS1_11target_archE1201ELNS1_3gpuE5ELNS1_3repE0EEENS1_36merge_oddeven_config_static_selectorELNS0_4arch9wavefront6targetE1EEEvSJ_
                                        ; -- End function
	.set _ZN7rocprim17ROCPRIM_400000_NS6detail17trampoline_kernelINS0_14default_configENS1_38merge_sort_block_merge_config_selectorIyyEEZZNS1_27merge_sort_block_merge_implIS3_N6thrust23THRUST_200600_302600_NS6detail15normal_iteratorINS8_10device_ptrIyEEEESD_jNS1_19radix_merge_compareILb0ELb0EyNS0_19identity_decomposerEEEEE10hipError_tT0_T1_T2_jT3_P12ihipStream_tbPNSt15iterator_traitsISI_E10value_typeEPNSO_ISJ_E10value_typeEPSK_NS1_7vsmem_tEENKUlT_SI_SJ_SK_E_clIPySD_S10_SD_EESH_SX_SI_SJ_SK_EUlSX_E1_NS1_11comp_targetILNS1_3genE10ELNS1_11target_archE1201ELNS1_3gpuE5ELNS1_3repE0EEENS1_36merge_oddeven_config_static_selectorELNS0_4arch9wavefront6targetE1EEEvSJ_.num_vgpr, 0
	.set _ZN7rocprim17ROCPRIM_400000_NS6detail17trampoline_kernelINS0_14default_configENS1_38merge_sort_block_merge_config_selectorIyyEEZZNS1_27merge_sort_block_merge_implIS3_N6thrust23THRUST_200600_302600_NS6detail15normal_iteratorINS8_10device_ptrIyEEEESD_jNS1_19radix_merge_compareILb0ELb0EyNS0_19identity_decomposerEEEEE10hipError_tT0_T1_T2_jT3_P12ihipStream_tbPNSt15iterator_traitsISI_E10value_typeEPNSO_ISJ_E10value_typeEPSK_NS1_7vsmem_tEENKUlT_SI_SJ_SK_E_clIPySD_S10_SD_EESH_SX_SI_SJ_SK_EUlSX_E1_NS1_11comp_targetILNS1_3genE10ELNS1_11target_archE1201ELNS1_3gpuE5ELNS1_3repE0EEENS1_36merge_oddeven_config_static_selectorELNS0_4arch9wavefront6targetE1EEEvSJ_.num_agpr, 0
	.set _ZN7rocprim17ROCPRIM_400000_NS6detail17trampoline_kernelINS0_14default_configENS1_38merge_sort_block_merge_config_selectorIyyEEZZNS1_27merge_sort_block_merge_implIS3_N6thrust23THRUST_200600_302600_NS6detail15normal_iteratorINS8_10device_ptrIyEEEESD_jNS1_19radix_merge_compareILb0ELb0EyNS0_19identity_decomposerEEEEE10hipError_tT0_T1_T2_jT3_P12ihipStream_tbPNSt15iterator_traitsISI_E10value_typeEPNSO_ISJ_E10value_typeEPSK_NS1_7vsmem_tEENKUlT_SI_SJ_SK_E_clIPySD_S10_SD_EESH_SX_SI_SJ_SK_EUlSX_E1_NS1_11comp_targetILNS1_3genE10ELNS1_11target_archE1201ELNS1_3gpuE5ELNS1_3repE0EEENS1_36merge_oddeven_config_static_selectorELNS0_4arch9wavefront6targetE1EEEvSJ_.numbered_sgpr, 0
	.set _ZN7rocprim17ROCPRIM_400000_NS6detail17trampoline_kernelINS0_14default_configENS1_38merge_sort_block_merge_config_selectorIyyEEZZNS1_27merge_sort_block_merge_implIS3_N6thrust23THRUST_200600_302600_NS6detail15normal_iteratorINS8_10device_ptrIyEEEESD_jNS1_19radix_merge_compareILb0ELb0EyNS0_19identity_decomposerEEEEE10hipError_tT0_T1_T2_jT3_P12ihipStream_tbPNSt15iterator_traitsISI_E10value_typeEPNSO_ISJ_E10value_typeEPSK_NS1_7vsmem_tEENKUlT_SI_SJ_SK_E_clIPySD_S10_SD_EESH_SX_SI_SJ_SK_EUlSX_E1_NS1_11comp_targetILNS1_3genE10ELNS1_11target_archE1201ELNS1_3gpuE5ELNS1_3repE0EEENS1_36merge_oddeven_config_static_selectorELNS0_4arch9wavefront6targetE1EEEvSJ_.num_named_barrier, 0
	.set _ZN7rocprim17ROCPRIM_400000_NS6detail17trampoline_kernelINS0_14default_configENS1_38merge_sort_block_merge_config_selectorIyyEEZZNS1_27merge_sort_block_merge_implIS3_N6thrust23THRUST_200600_302600_NS6detail15normal_iteratorINS8_10device_ptrIyEEEESD_jNS1_19radix_merge_compareILb0ELb0EyNS0_19identity_decomposerEEEEE10hipError_tT0_T1_T2_jT3_P12ihipStream_tbPNSt15iterator_traitsISI_E10value_typeEPNSO_ISJ_E10value_typeEPSK_NS1_7vsmem_tEENKUlT_SI_SJ_SK_E_clIPySD_S10_SD_EESH_SX_SI_SJ_SK_EUlSX_E1_NS1_11comp_targetILNS1_3genE10ELNS1_11target_archE1201ELNS1_3gpuE5ELNS1_3repE0EEENS1_36merge_oddeven_config_static_selectorELNS0_4arch9wavefront6targetE1EEEvSJ_.private_seg_size, 0
	.set _ZN7rocprim17ROCPRIM_400000_NS6detail17trampoline_kernelINS0_14default_configENS1_38merge_sort_block_merge_config_selectorIyyEEZZNS1_27merge_sort_block_merge_implIS3_N6thrust23THRUST_200600_302600_NS6detail15normal_iteratorINS8_10device_ptrIyEEEESD_jNS1_19radix_merge_compareILb0ELb0EyNS0_19identity_decomposerEEEEE10hipError_tT0_T1_T2_jT3_P12ihipStream_tbPNSt15iterator_traitsISI_E10value_typeEPNSO_ISJ_E10value_typeEPSK_NS1_7vsmem_tEENKUlT_SI_SJ_SK_E_clIPySD_S10_SD_EESH_SX_SI_SJ_SK_EUlSX_E1_NS1_11comp_targetILNS1_3genE10ELNS1_11target_archE1201ELNS1_3gpuE5ELNS1_3repE0EEENS1_36merge_oddeven_config_static_selectorELNS0_4arch9wavefront6targetE1EEEvSJ_.uses_vcc, 0
	.set _ZN7rocprim17ROCPRIM_400000_NS6detail17trampoline_kernelINS0_14default_configENS1_38merge_sort_block_merge_config_selectorIyyEEZZNS1_27merge_sort_block_merge_implIS3_N6thrust23THRUST_200600_302600_NS6detail15normal_iteratorINS8_10device_ptrIyEEEESD_jNS1_19radix_merge_compareILb0ELb0EyNS0_19identity_decomposerEEEEE10hipError_tT0_T1_T2_jT3_P12ihipStream_tbPNSt15iterator_traitsISI_E10value_typeEPNSO_ISJ_E10value_typeEPSK_NS1_7vsmem_tEENKUlT_SI_SJ_SK_E_clIPySD_S10_SD_EESH_SX_SI_SJ_SK_EUlSX_E1_NS1_11comp_targetILNS1_3genE10ELNS1_11target_archE1201ELNS1_3gpuE5ELNS1_3repE0EEENS1_36merge_oddeven_config_static_selectorELNS0_4arch9wavefront6targetE1EEEvSJ_.uses_flat_scratch, 0
	.set _ZN7rocprim17ROCPRIM_400000_NS6detail17trampoline_kernelINS0_14default_configENS1_38merge_sort_block_merge_config_selectorIyyEEZZNS1_27merge_sort_block_merge_implIS3_N6thrust23THRUST_200600_302600_NS6detail15normal_iteratorINS8_10device_ptrIyEEEESD_jNS1_19radix_merge_compareILb0ELb0EyNS0_19identity_decomposerEEEEE10hipError_tT0_T1_T2_jT3_P12ihipStream_tbPNSt15iterator_traitsISI_E10value_typeEPNSO_ISJ_E10value_typeEPSK_NS1_7vsmem_tEENKUlT_SI_SJ_SK_E_clIPySD_S10_SD_EESH_SX_SI_SJ_SK_EUlSX_E1_NS1_11comp_targetILNS1_3genE10ELNS1_11target_archE1201ELNS1_3gpuE5ELNS1_3repE0EEENS1_36merge_oddeven_config_static_selectorELNS0_4arch9wavefront6targetE1EEEvSJ_.has_dyn_sized_stack, 0
	.set _ZN7rocprim17ROCPRIM_400000_NS6detail17trampoline_kernelINS0_14default_configENS1_38merge_sort_block_merge_config_selectorIyyEEZZNS1_27merge_sort_block_merge_implIS3_N6thrust23THRUST_200600_302600_NS6detail15normal_iteratorINS8_10device_ptrIyEEEESD_jNS1_19radix_merge_compareILb0ELb0EyNS0_19identity_decomposerEEEEE10hipError_tT0_T1_T2_jT3_P12ihipStream_tbPNSt15iterator_traitsISI_E10value_typeEPNSO_ISJ_E10value_typeEPSK_NS1_7vsmem_tEENKUlT_SI_SJ_SK_E_clIPySD_S10_SD_EESH_SX_SI_SJ_SK_EUlSX_E1_NS1_11comp_targetILNS1_3genE10ELNS1_11target_archE1201ELNS1_3gpuE5ELNS1_3repE0EEENS1_36merge_oddeven_config_static_selectorELNS0_4arch9wavefront6targetE1EEEvSJ_.has_recursion, 0
	.set _ZN7rocprim17ROCPRIM_400000_NS6detail17trampoline_kernelINS0_14default_configENS1_38merge_sort_block_merge_config_selectorIyyEEZZNS1_27merge_sort_block_merge_implIS3_N6thrust23THRUST_200600_302600_NS6detail15normal_iteratorINS8_10device_ptrIyEEEESD_jNS1_19radix_merge_compareILb0ELb0EyNS0_19identity_decomposerEEEEE10hipError_tT0_T1_T2_jT3_P12ihipStream_tbPNSt15iterator_traitsISI_E10value_typeEPNSO_ISJ_E10value_typeEPSK_NS1_7vsmem_tEENKUlT_SI_SJ_SK_E_clIPySD_S10_SD_EESH_SX_SI_SJ_SK_EUlSX_E1_NS1_11comp_targetILNS1_3genE10ELNS1_11target_archE1201ELNS1_3gpuE5ELNS1_3repE0EEENS1_36merge_oddeven_config_static_selectorELNS0_4arch9wavefront6targetE1EEEvSJ_.has_indirect_call, 0
	.section	.AMDGPU.csdata,"",@progbits
; Kernel info:
; codeLenInByte = 0
; TotalNumSgprs: 6
; NumVgprs: 0
; NumAgprs: 0
; TotalNumVgprs: 0
; ScratchSize: 0
; MemoryBound: 0
; FloatMode: 240
; IeeeMode: 1
; LDSByteSize: 0 bytes/workgroup (compile time only)
; SGPRBlocks: 0
; VGPRBlocks: 0
; NumSGPRsForWavesPerEU: 6
; NumVGPRsForWavesPerEU: 1
; AccumOffset: 4
; Occupancy: 8
; WaveLimiterHint : 0
; COMPUTE_PGM_RSRC2:SCRATCH_EN: 0
; COMPUTE_PGM_RSRC2:USER_SGPR: 2
; COMPUTE_PGM_RSRC2:TRAP_HANDLER: 0
; COMPUTE_PGM_RSRC2:TGID_X_EN: 1
; COMPUTE_PGM_RSRC2:TGID_Y_EN: 0
; COMPUTE_PGM_RSRC2:TGID_Z_EN: 0
; COMPUTE_PGM_RSRC2:TIDIG_COMP_CNT: 0
; COMPUTE_PGM_RSRC3_GFX90A:ACCUM_OFFSET: 0
; COMPUTE_PGM_RSRC3_GFX90A:TG_SPLIT: 0
	.section	.text._ZN7rocprim17ROCPRIM_400000_NS6detail17trampoline_kernelINS0_14default_configENS1_38merge_sort_block_merge_config_selectorIyyEEZZNS1_27merge_sort_block_merge_implIS3_N6thrust23THRUST_200600_302600_NS6detail15normal_iteratorINS8_10device_ptrIyEEEESD_jNS1_19radix_merge_compareILb0ELb0EyNS0_19identity_decomposerEEEEE10hipError_tT0_T1_T2_jT3_P12ihipStream_tbPNSt15iterator_traitsISI_E10value_typeEPNSO_ISJ_E10value_typeEPSK_NS1_7vsmem_tEENKUlT_SI_SJ_SK_E_clIPySD_S10_SD_EESH_SX_SI_SJ_SK_EUlSX_E1_NS1_11comp_targetILNS1_3genE5ELNS1_11target_archE942ELNS1_3gpuE9ELNS1_3repE0EEENS1_36merge_oddeven_config_static_selectorELNS0_4arch9wavefront6targetE1EEEvSJ_,"axG",@progbits,_ZN7rocprim17ROCPRIM_400000_NS6detail17trampoline_kernelINS0_14default_configENS1_38merge_sort_block_merge_config_selectorIyyEEZZNS1_27merge_sort_block_merge_implIS3_N6thrust23THRUST_200600_302600_NS6detail15normal_iteratorINS8_10device_ptrIyEEEESD_jNS1_19radix_merge_compareILb0ELb0EyNS0_19identity_decomposerEEEEE10hipError_tT0_T1_T2_jT3_P12ihipStream_tbPNSt15iterator_traitsISI_E10value_typeEPNSO_ISJ_E10value_typeEPSK_NS1_7vsmem_tEENKUlT_SI_SJ_SK_E_clIPySD_S10_SD_EESH_SX_SI_SJ_SK_EUlSX_E1_NS1_11comp_targetILNS1_3genE5ELNS1_11target_archE942ELNS1_3gpuE9ELNS1_3repE0EEENS1_36merge_oddeven_config_static_selectorELNS0_4arch9wavefront6targetE1EEEvSJ_,comdat
	.protected	_ZN7rocprim17ROCPRIM_400000_NS6detail17trampoline_kernelINS0_14default_configENS1_38merge_sort_block_merge_config_selectorIyyEEZZNS1_27merge_sort_block_merge_implIS3_N6thrust23THRUST_200600_302600_NS6detail15normal_iteratorINS8_10device_ptrIyEEEESD_jNS1_19radix_merge_compareILb0ELb0EyNS0_19identity_decomposerEEEEE10hipError_tT0_T1_T2_jT3_P12ihipStream_tbPNSt15iterator_traitsISI_E10value_typeEPNSO_ISJ_E10value_typeEPSK_NS1_7vsmem_tEENKUlT_SI_SJ_SK_E_clIPySD_S10_SD_EESH_SX_SI_SJ_SK_EUlSX_E1_NS1_11comp_targetILNS1_3genE5ELNS1_11target_archE942ELNS1_3gpuE9ELNS1_3repE0EEENS1_36merge_oddeven_config_static_selectorELNS0_4arch9wavefront6targetE1EEEvSJ_ ; -- Begin function _ZN7rocprim17ROCPRIM_400000_NS6detail17trampoline_kernelINS0_14default_configENS1_38merge_sort_block_merge_config_selectorIyyEEZZNS1_27merge_sort_block_merge_implIS3_N6thrust23THRUST_200600_302600_NS6detail15normal_iteratorINS8_10device_ptrIyEEEESD_jNS1_19radix_merge_compareILb0ELb0EyNS0_19identity_decomposerEEEEE10hipError_tT0_T1_T2_jT3_P12ihipStream_tbPNSt15iterator_traitsISI_E10value_typeEPNSO_ISJ_E10value_typeEPSK_NS1_7vsmem_tEENKUlT_SI_SJ_SK_E_clIPySD_S10_SD_EESH_SX_SI_SJ_SK_EUlSX_E1_NS1_11comp_targetILNS1_3genE5ELNS1_11target_archE942ELNS1_3gpuE9ELNS1_3repE0EEENS1_36merge_oddeven_config_static_selectorELNS0_4arch9wavefront6targetE1EEEvSJ_
	.globl	_ZN7rocprim17ROCPRIM_400000_NS6detail17trampoline_kernelINS0_14default_configENS1_38merge_sort_block_merge_config_selectorIyyEEZZNS1_27merge_sort_block_merge_implIS3_N6thrust23THRUST_200600_302600_NS6detail15normal_iteratorINS8_10device_ptrIyEEEESD_jNS1_19radix_merge_compareILb0ELb0EyNS0_19identity_decomposerEEEEE10hipError_tT0_T1_T2_jT3_P12ihipStream_tbPNSt15iterator_traitsISI_E10value_typeEPNSO_ISJ_E10value_typeEPSK_NS1_7vsmem_tEENKUlT_SI_SJ_SK_E_clIPySD_S10_SD_EESH_SX_SI_SJ_SK_EUlSX_E1_NS1_11comp_targetILNS1_3genE5ELNS1_11target_archE942ELNS1_3gpuE9ELNS1_3repE0EEENS1_36merge_oddeven_config_static_selectorELNS0_4arch9wavefront6targetE1EEEvSJ_
	.p2align	8
	.type	_ZN7rocprim17ROCPRIM_400000_NS6detail17trampoline_kernelINS0_14default_configENS1_38merge_sort_block_merge_config_selectorIyyEEZZNS1_27merge_sort_block_merge_implIS3_N6thrust23THRUST_200600_302600_NS6detail15normal_iteratorINS8_10device_ptrIyEEEESD_jNS1_19radix_merge_compareILb0ELb0EyNS0_19identity_decomposerEEEEE10hipError_tT0_T1_T2_jT3_P12ihipStream_tbPNSt15iterator_traitsISI_E10value_typeEPNSO_ISJ_E10value_typeEPSK_NS1_7vsmem_tEENKUlT_SI_SJ_SK_E_clIPySD_S10_SD_EESH_SX_SI_SJ_SK_EUlSX_E1_NS1_11comp_targetILNS1_3genE5ELNS1_11target_archE942ELNS1_3gpuE9ELNS1_3repE0EEENS1_36merge_oddeven_config_static_selectorELNS0_4arch9wavefront6targetE1EEEvSJ_,@function
_ZN7rocprim17ROCPRIM_400000_NS6detail17trampoline_kernelINS0_14default_configENS1_38merge_sort_block_merge_config_selectorIyyEEZZNS1_27merge_sort_block_merge_implIS3_N6thrust23THRUST_200600_302600_NS6detail15normal_iteratorINS8_10device_ptrIyEEEESD_jNS1_19radix_merge_compareILb0ELb0EyNS0_19identity_decomposerEEEEE10hipError_tT0_T1_T2_jT3_P12ihipStream_tbPNSt15iterator_traitsISI_E10value_typeEPNSO_ISJ_E10value_typeEPSK_NS1_7vsmem_tEENKUlT_SI_SJ_SK_E_clIPySD_S10_SD_EESH_SX_SI_SJ_SK_EUlSX_E1_NS1_11comp_targetILNS1_3genE5ELNS1_11target_archE942ELNS1_3gpuE9ELNS1_3repE0EEENS1_36merge_oddeven_config_static_selectorELNS0_4arch9wavefront6targetE1EEEvSJ_: ; @_ZN7rocprim17ROCPRIM_400000_NS6detail17trampoline_kernelINS0_14default_configENS1_38merge_sort_block_merge_config_selectorIyyEEZZNS1_27merge_sort_block_merge_implIS3_N6thrust23THRUST_200600_302600_NS6detail15normal_iteratorINS8_10device_ptrIyEEEESD_jNS1_19radix_merge_compareILb0ELb0EyNS0_19identity_decomposerEEEEE10hipError_tT0_T1_T2_jT3_P12ihipStream_tbPNSt15iterator_traitsISI_E10value_typeEPNSO_ISJ_E10value_typeEPSK_NS1_7vsmem_tEENKUlT_SI_SJ_SK_E_clIPySD_S10_SD_EESH_SX_SI_SJ_SK_EUlSX_E1_NS1_11comp_targetILNS1_3genE5ELNS1_11target_archE942ELNS1_3gpuE9ELNS1_3repE0EEENS1_36merge_oddeven_config_static_selectorELNS0_4arch9wavefront6targetE1EEEvSJ_
; %bb.0:
	.section	.rodata,"a",@progbits
	.p2align	6, 0x0
	.amdhsa_kernel _ZN7rocprim17ROCPRIM_400000_NS6detail17trampoline_kernelINS0_14default_configENS1_38merge_sort_block_merge_config_selectorIyyEEZZNS1_27merge_sort_block_merge_implIS3_N6thrust23THRUST_200600_302600_NS6detail15normal_iteratorINS8_10device_ptrIyEEEESD_jNS1_19radix_merge_compareILb0ELb0EyNS0_19identity_decomposerEEEEE10hipError_tT0_T1_T2_jT3_P12ihipStream_tbPNSt15iterator_traitsISI_E10value_typeEPNSO_ISJ_E10value_typeEPSK_NS1_7vsmem_tEENKUlT_SI_SJ_SK_E_clIPySD_S10_SD_EESH_SX_SI_SJ_SK_EUlSX_E1_NS1_11comp_targetILNS1_3genE5ELNS1_11target_archE942ELNS1_3gpuE9ELNS1_3repE0EEENS1_36merge_oddeven_config_static_selectorELNS0_4arch9wavefront6targetE1EEEvSJ_
		.amdhsa_group_segment_fixed_size 0
		.amdhsa_private_segment_fixed_size 0
		.amdhsa_kernarg_size 48
		.amdhsa_user_sgpr_count 2
		.amdhsa_user_sgpr_dispatch_ptr 0
		.amdhsa_user_sgpr_queue_ptr 0
		.amdhsa_user_sgpr_kernarg_segment_ptr 1
		.amdhsa_user_sgpr_dispatch_id 0
		.amdhsa_user_sgpr_kernarg_preload_length 0
		.amdhsa_user_sgpr_kernarg_preload_offset 0
		.amdhsa_user_sgpr_private_segment_size 0
		.amdhsa_uses_dynamic_stack 0
		.amdhsa_enable_private_segment 0
		.amdhsa_system_sgpr_workgroup_id_x 1
		.amdhsa_system_sgpr_workgroup_id_y 0
		.amdhsa_system_sgpr_workgroup_id_z 0
		.amdhsa_system_sgpr_workgroup_info 0
		.amdhsa_system_vgpr_workitem_id 0
		.amdhsa_next_free_vgpr 1
		.amdhsa_next_free_sgpr 0
		.amdhsa_accum_offset 4
		.amdhsa_reserve_vcc 0
		.amdhsa_float_round_mode_32 0
		.amdhsa_float_round_mode_16_64 0
		.amdhsa_float_denorm_mode_32 3
		.amdhsa_float_denorm_mode_16_64 3
		.amdhsa_dx10_clamp 1
		.amdhsa_ieee_mode 1
		.amdhsa_fp16_overflow 0
		.amdhsa_tg_split 0
		.amdhsa_exception_fp_ieee_invalid_op 0
		.amdhsa_exception_fp_denorm_src 0
		.amdhsa_exception_fp_ieee_div_zero 0
		.amdhsa_exception_fp_ieee_overflow 0
		.amdhsa_exception_fp_ieee_underflow 0
		.amdhsa_exception_fp_ieee_inexact 0
		.amdhsa_exception_int_div_zero 0
	.end_amdhsa_kernel
	.section	.text._ZN7rocprim17ROCPRIM_400000_NS6detail17trampoline_kernelINS0_14default_configENS1_38merge_sort_block_merge_config_selectorIyyEEZZNS1_27merge_sort_block_merge_implIS3_N6thrust23THRUST_200600_302600_NS6detail15normal_iteratorINS8_10device_ptrIyEEEESD_jNS1_19radix_merge_compareILb0ELb0EyNS0_19identity_decomposerEEEEE10hipError_tT0_T1_T2_jT3_P12ihipStream_tbPNSt15iterator_traitsISI_E10value_typeEPNSO_ISJ_E10value_typeEPSK_NS1_7vsmem_tEENKUlT_SI_SJ_SK_E_clIPySD_S10_SD_EESH_SX_SI_SJ_SK_EUlSX_E1_NS1_11comp_targetILNS1_3genE5ELNS1_11target_archE942ELNS1_3gpuE9ELNS1_3repE0EEENS1_36merge_oddeven_config_static_selectorELNS0_4arch9wavefront6targetE1EEEvSJ_,"axG",@progbits,_ZN7rocprim17ROCPRIM_400000_NS6detail17trampoline_kernelINS0_14default_configENS1_38merge_sort_block_merge_config_selectorIyyEEZZNS1_27merge_sort_block_merge_implIS3_N6thrust23THRUST_200600_302600_NS6detail15normal_iteratorINS8_10device_ptrIyEEEESD_jNS1_19radix_merge_compareILb0ELb0EyNS0_19identity_decomposerEEEEE10hipError_tT0_T1_T2_jT3_P12ihipStream_tbPNSt15iterator_traitsISI_E10value_typeEPNSO_ISJ_E10value_typeEPSK_NS1_7vsmem_tEENKUlT_SI_SJ_SK_E_clIPySD_S10_SD_EESH_SX_SI_SJ_SK_EUlSX_E1_NS1_11comp_targetILNS1_3genE5ELNS1_11target_archE942ELNS1_3gpuE9ELNS1_3repE0EEENS1_36merge_oddeven_config_static_selectorELNS0_4arch9wavefront6targetE1EEEvSJ_,comdat
.Lfunc_end414:
	.size	_ZN7rocprim17ROCPRIM_400000_NS6detail17trampoline_kernelINS0_14default_configENS1_38merge_sort_block_merge_config_selectorIyyEEZZNS1_27merge_sort_block_merge_implIS3_N6thrust23THRUST_200600_302600_NS6detail15normal_iteratorINS8_10device_ptrIyEEEESD_jNS1_19radix_merge_compareILb0ELb0EyNS0_19identity_decomposerEEEEE10hipError_tT0_T1_T2_jT3_P12ihipStream_tbPNSt15iterator_traitsISI_E10value_typeEPNSO_ISJ_E10value_typeEPSK_NS1_7vsmem_tEENKUlT_SI_SJ_SK_E_clIPySD_S10_SD_EESH_SX_SI_SJ_SK_EUlSX_E1_NS1_11comp_targetILNS1_3genE5ELNS1_11target_archE942ELNS1_3gpuE9ELNS1_3repE0EEENS1_36merge_oddeven_config_static_selectorELNS0_4arch9wavefront6targetE1EEEvSJ_, .Lfunc_end414-_ZN7rocprim17ROCPRIM_400000_NS6detail17trampoline_kernelINS0_14default_configENS1_38merge_sort_block_merge_config_selectorIyyEEZZNS1_27merge_sort_block_merge_implIS3_N6thrust23THRUST_200600_302600_NS6detail15normal_iteratorINS8_10device_ptrIyEEEESD_jNS1_19radix_merge_compareILb0ELb0EyNS0_19identity_decomposerEEEEE10hipError_tT0_T1_T2_jT3_P12ihipStream_tbPNSt15iterator_traitsISI_E10value_typeEPNSO_ISJ_E10value_typeEPSK_NS1_7vsmem_tEENKUlT_SI_SJ_SK_E_clIPySD_S10_SD_EESH_SX_SI_SJ_SK_EUlSX_E1_NS1_11comp_targetILNS1_3genE5ELNS1_11target_archE942ELNS1_3gpuE9ELNS1_3repE0EEENS1_36merge_oddeven_config_static_selectorELNS0_4arch9wavefront6targetE1EEEvSJ_
                                        ; -- End function
	.set _ZN7rocprim17ROCPRIM_400000_NS6detail17trampoline_kernelINS0_14default_configENS1_38merge_sort_block_merge_config_selectorIyyEEZZNS1_27merge_sort_block_merge_implIS3_N6thrust23THRUST_200600_302600_NS6detail15normal_iteratorINS8_10device_ptrIyEEEESD_jNS1_19radix_merge_compareILb0ELb0EyNS0_19identity_decomposerEEEEE10hipError_tT0_T1_T2_jT3_P12ihipStream_tbPNSt15iterator_traitsISI_E10value_typeEPNSO_ISJ_E10value_typeEPSK_NS1_7vsmem_tEENKUlT_SI_SJ_SK_E_clIPySD_S10_SD_EESH_SX_SI_SJ_SK_EUlSX_E1_NS1_11comp_targetILNS1_3genE5ELNS1_11target_archE942ELNS1_3gpuE9ELNS1_3repE0EEENS1_36merge_oddeven_config_static_selectorELNS0_4arch9wavefront6targetE1EEEvSJ_.num_vgpr, 0
	.set _ZN7rocprim17ROCPRIM_400000_NS6detail17trampoline_kernelINS0_14default_configENS1_38merge_sort_block_merge_config_selectorIyyEEZZNS1_27merge_sort_block_merge_implIS3_N6thrust23THRUST_200600_302600_NS6detail15normal_iteratorINS8_10device_ptrIyEEEESD_jNS1_19radix_merge_compareILb0ELb0EyNS0_19identity_decomposerEEEEE10hipError_tT0_T1_T2_jT3_P12ihipStream_tbPNSt15iterator_traitsISI_E10value_typeEPNSO_ISJ_E10value_typeEPSK_NS1_7vsmem_tEENKUlT_SI_SJ_SK_E_clIPySD_S10_SD_EESH_SX_SI_SJ_SK_EUlSX_E1_NS1_11comp_targetILNS1_3genE5ELNS1_11target_archE942ELNS1_3gpuE9ELNS1_3repE0EEENS1_36merge_oddeven_config_static_selectorELNS0_4arch9wavefront6targetE1EEEvSJ_.num_agpr, 0
	.set _ZN7rocprim17ROCPRIM_400000_NS6detail17trampoline_kernelINS0_14default_configENS1_38merge_sort_block_merge_config_selectorIyyEEZZNS1_27merge_sort_block_merge_implIS3_N6thrust23THRUST_200600_302600_NS6detail15normal_iteratorINS8_10device_ptrIyEEEESD_jNS1_19radix_merge_compareILb0ELb0EyNS0_19identity_decomposerEEEEE10hipError_tT0_T1_T2_jT3_P12ihipStream_tbPNSt15iterator_traitsISI_E10value_typeEPNSO_ISJ_E10value_typeEPSK_NS1_7vsmem_tEENKUlT_SI_SJ_SK_E_clIPySD_S10_SD_EESH_SX_SI_SJ_SK_EUlSX_E1_NS1_11comp_targetILNS1_3genE5ELNS1_11target_archE942ELNS1_3gpuE9ELNS1_3repE0EEENS1_36merge_oddeven_config_static_selectorELNS0_4arch9wavefront6targetE1EEEvSJ_.numbered_sgpr, 0
	.set _ZN7rocprim17ROCPRIM_400000_NS6detail17trampoline_kernelINS0_14default_configENS1_38merge_sort_block_merge_config_selectorIyyEEZZNS1_27merge_sort_block_merge_implIS3_N6thrust23THRUST_200600_302600_NS6detail15normal_iteratorINS8_10device_ptrIyEEEESD_jNS1_19radix_merge_compareILb0ELb0EyNS0_19identity_decomposerEEEEE10hipError_tT0_T1_T2_jT3_P12ihipStream_tbPNSt15iterator_traitsISI_E10value_typeEPNSO_ISJ_E10value_typeEPSK_NS1_7vsmem_tEENKUlT_SI_SJ_SK_E_clIPySD_S10_SD_EESH_SX_SI_SJ_SK_EUlSX_E1_NS1_11comp_targetILNS1_3genE5ELNS1_11target_archE942ELNS1_3gpuE9ELNS1_3repE0EEENS1_36merge_oddeven_config_static_selectorELNS0_4arch9wavefront6targetE1EEEvSJ_.num_named_barrier, 0
	.set _ZN7rocprim17ROCPRIM_400000_NS6detail17trampoline_kernelINS0_14default_configENS1_38merge_sort_block_merge_config_selectorIyyEEZZNS1_27merge_sort_block_merge_implIS3_N6thrust23THRUST_200600_302600_NS6detail15normal_iteratorINS8_10device_ptrIyEEEESD_jNS1_19radix_merge_compareILb0ELb0EyNS0_19identity_decomposerEEEEE10hipError_tT0_T1_T2_jT3_P12ihipStream_tbPNSt15iterator_traitsISI_E10value_typeEPNSO_ISJ_E10value_typeEPSK_NS1_7vsmem_tEENKUlT_SI_SJ_SK_E_clIPySD_S10_SD_EESH_SX_SI_SJ_SK_EUlSX_E1_NS1_11comp_targetILNS1_3genE5ELNS1_11target_archE942ELNS1_3gpuE9ELNS1_3repE0EEENS1_36merge_oddeven_config_static_selectorELNS0_4arch9wavefront6targetE1EEEvSJ_.private_seg_size, 0
	.set _ZN7rocprim17ROCPRIM_400000_NS6detail17trampoline_kernelINS0_14default_configENS1_38merge_sort_block_merge_config_selectorIyyEEZZNS1_27merge_sort_block_merge_implIS3_N6thrust23THRUST_200600_302600_NS6detail15normal_iteratorINS8_10device_ptrIyEEEESD_jNS1_19radix_merge_compareILb0ELb0EyNS0_19identity_decomposerEEEEE10hipError_tT0_T1_T2_jT3_P12ihipStream_tbPNSt15iterator_traitsISI_E10value_typeEPNSO_ISJ_E10value_typeEPSK_NS1_7vsmem_tEENKUlT_SI_SJ_SK_E_clIPySD_S10_SD_EESH_SX_SI_SJ_SK_EUlSX_E1_NS1_11comp_targetILNS1_3genE5ELNS1_11target_archE942ELNS1_3gpuE9ELNS1_3repE0EEENS1_36merge_oddeven_config_static_selectorELNS0_4arch9wavefront6targetE1EEEvSJ_.uses_vcc, 0
	.set _ZN7rocprim17ROCPRIM_400000_NS6detail17trampoline_kernelINS0_14default_configENS1_38merge_sort_block_merge_config_selectorIyyEEZZNS1_27merge_sort_block_merge_implIS3_N6thrust23THRUST_200600_302600_NS6detail15normal_iteratorINS8_10device_ptrIyEEEESD_jNS1_19radix_merge_compareILb0ELb0EyNS0_19identity_decomposerEEEEE10hipError_tT0_T1_T2_jT3_P12ihipStream_tbPNSt15iterator_traitsISI_E10value_typeEPNSO_ISJ_E10value_typeEPSK_NS1_7vsmem_tEENKUlT_SI_SJ_SK_E_clIPySD_S10_SD_EESH_SX_SI_SJ_SK_EUlSX_E1_NS1_11comp_targetILNS1_3genE5ELNS1_11target_archE942ELNS1_3gpuE9ELNS1_3repE0EEENS1_36merge_oddeven_config_static_selectorELNS0_4arch9wavefront6targetE1EEEvSJ_.uses_flat_scratch, 0
	.set _ZN7rocprim17ROCPRIM_400000_NS6detail17trampoline_kernelINS0_14default_configENS1_38merge_sort_block_merge_config_selectorIyyEEZZNS1_27merge_sort_block_merge_implIS3_N6thrust23THRUST_200600_302600_NS6detail15normal_iteratorINS8_10device_ptrIyEEEESD_jNS1_19radix_merge_compareILb0ELb0EyNS0_19identity_decomposerEEEEE10hipError_tT0_T1_T2_jT3_P12ihipStream_tbPNSt15iterator_traitsISI_E10value_typeEPNSO_ISJ_E10value_typeEPSK_NS1_7vsmem_tEENKUlT_SI_SJ_SK_E_clIPySD_S10_SD_EESH_SX_SI_SJ_SK_EUlSX_E1_NS1_11comp_targetILNS1_3genE5ELNS1_11target_archE942ELNS1_3gpuE9ELNS1_3repE0EEENS1_36merge_oddeven_config_static_selectorELNS0_4arch9wavefront6targetE1EEEvSJ_.has_dyn_sized_stack, 0
	.set _ZN7rocprim17ROCPRIM_400000_NS6detail17trampoline_kernelINS0_14default_configENS1_38merge_sort_block_merge_config_selectorIyyEEZZNS1_27merge_sort_block_merge_implIS3_N6thrust23THRUST_200600_302600_NS6detail15normal_iteratorINS8_10device_ptrIyEEEESD_jNS1_19radix_merge_compareILb0ELb0EyNS0_19identity_decomposerEEEEE10hipError_tT0_T1_T2_jT3_P12ihipStream_tbPNSt15iterator_traitsISI_E10value_typeEPNSO_ISJ_E10value_typeEPSK_NS1_7vsmem_tEENKUlT_SI_SJ_SK_E_clIPySD_S10_SD_EESH_SX_SI_SJ_SK_EUlSX_E1_NS1_11comp_targetILNS1_3genE5ELNS1_11target_archE942ELNS1_3gpuE9ELNS1_3repE0EEENS1_36merge_oddeven_config_static_selectorELNS0_4arch9wavefront6targetE1EEEvSJ_.has_recursion, 0
	.set _ZN7rocprim17ROCPRIM_400000_NS6detail17trampoline_kernelINS0_14default_configENS1_38merge_sort_block_merge_config_selectorIyyEEZZNS1_27merge_sort_block_merge_implIS3_N6thrust23THRUST_200600_302600_NS6detail15normal_iteratorINS8_10device_ptrIyEEEESD_jNS1_19radix_merge_compareILb0ELb0EyNS0_19identity_decomposerEEEEE10hipError_tT0_T1_T2_jT3_P12ihipStream_tbPNSt15iterator_traitsISI_E10value_typeEPNSO_ISJ_E10value_typeEPSK_NS1_7vsmem_tEENKUlT_SI_SJ_SK_E_clIPySD_S10_SD_EESH_SX_SI_SJ_SK_EUlSX_E1_NS1_11comp_targetILNS1_3genE5ELNS1_11target_archE942ELNS1_3gpuE9ELNS1_3repE0EEENS1_36merge_oddeven_config_static_selectorELNS0_4arch9wavefront6targetE1EEEvSJ_.has_indirect_call, 0
	.section	.AMDGPU.csdata,"",@progbits
; Kernel info:
; codeLenInByte = 0
; TotalNumSgprs: 6
; NumVgprs: 0
; NumAgprs: 0
; TotalNumVgprs: 0
; ScratchSize: 0
; MemoryBound: 0
; FloatMode: 240
; IeeeMode: 1
; LDSByteSize: 0 bytes/workgroup (compile time only)
; SGPRBlocks: 0
; VGPRBlocks: 0
; NumSGPRsForWavesPerEU: 6
; NumVGPRsForWavesPerEU: 1
; AccumOffset: 4
; Occupancy: 8
; WaveLimiterHint : 0
; COMPUTE_PGM_RSRC2:SCRATCH_EN: 0
; COMPUTE_PGM_RSRC2:USER_SGPR: 2
; COMPUTE_PGM_RSRC2:TRAP_HANDLER: 0
; COMPUTE_PGM_RSRC2:TGID_X_EN: 1
; COMPUTE_PGM_RSRC2:TGID_Y_EN: 0
; COMPUTE_PGM_RSRC2:TGID_Z_EN: 0
; COMPUTE_PGM_RSRC2:TIDIG_COMP_CNT: 0
; COMPUTE_PGM_RSRC3_GFX90A:ACCUM_OFFSET: 0
; COMPUTE_PGM_RSRC3_GFX90A:TG_SPLIT: 0
	.section	.text._ZN7rocprim17ROCPRIM_400000_NS6detail17trampoline_kernelINS0_14default_configENS1_38merge_sort_block_merge_config_selectorIyyEEZZNS1_27merge_sort_block_merge_implIS3_N6thrust23THRUST_200600_302600_NS6detail15normal_iteratorINS8_10device_ptrIyEEEESD_jNS1_19radix_merge_compareILb0ELb0EyNS0_19identity_decomposerEEEEE10hipError_tT0_T1_T2_jT3_P12ihipStream_tbPNSt15iterator_traitsISI_E10value_typeEPNSO_ISJ_E10value_typeEPSK_NS1_7vsmem_tEENKUlT_SI_SJ_SK_E_clIPySD_S10_SD_EESH_SX_SI_SJ_SK_EUlSX_E1_NS1_11comp_targetILNS1_3genE4ELNS1_11target_archE910ELNS1_3gpuE8ELNS1_3repE0EEENS1_36merge_oddeven_config_static_selectorELNS0_4arch9wavefront6targetE1EEEvSJ_,"axG",@progbits,_ZN7rocprim17ROCPRIM_400000_NS6detail17trampoline_kernelINS0_14default_configENS1_38merge_sort_block_merge_config_selectorIyyEEZZNS1_27merge_sort_block_merge_implIS3_N6thrust23THRUST_200600_302600_NS6detail15normal_iteratorINS8_10device_ptrIyEEEESD_jNS1_19radix_merge_compareILb0ELb0EyNS0_19identity_decomposerEEEEE10hipError_tT0_T1_T2_jT3_P12ihipStream_tbPNSt15iterator_traitsISI_E10value_typeEPNSO_ISJ_E10value_typeEPSK_NS1_7vsmem_tEENKUlT_SI_SJ_SK_E_clIPySD_S10_SD_EESH_SX_SI_SJ_SK_EUlSX_E1_NS1_11comp_targetILNS1_3genE4ELNS1_11target_archE910ELNS1_3gpuE8ELNS1_3repE0EEENS1_36merge_oddeven_config_static_selectorELNS0_4arch9wavefront6targetE1EEEvSJ_,comdat
	.protected	_ZN7rocprim17ROCPRIM_400000_NS6detail17trampoline_kernelINS0_14default_configENS1_38merge_sort_block_merge_config_selectorIyyEEZZNS1_27merge_sort_block_merge_implIS3_N6thrust23THRUST_200600_302600_NS6detail15normal_iteratorINS8_10device_ptrIyEEEESD_jNS1_19radix_merge_compareILb0ELb0EyNS0_19identity_decomposerEEEEE10hipError_tT0_T1_T2_jT3_P12ihipStream_tbPNSt15iterator_traitsISI_E10value_typeEPNSO_ISJ_E10value_typeEPSK_NS1_7vsmem_tEENKUlT_SI_SJ_SK_E_clIPySD_S10_SD_EESH_SX_SI_SJ_SK_EUlSX_E1_NS1_11comp_targetILNS1_3genE4ELNS1_11target_archE910ELNS1_3gpuE8ELNS1_3repE0EEENS1_36merge_oddeven_config_static_selectorELNS0_4arch9wavefront6targetE1EEEvSJ_ ; -- Begin function _ZN7rocprim17ROCPRIM_400000_NS6detail17trampoline_kernelINS0_14default_configENS1_38merge_sort_block_merge_config_selectorIyyEEZZNS1_27merge_sort_block_merge_implIS3_N6thrust23THRUST_200600_302600_NS6detail15normal_iteratorINS8_10device_ptrIyEEEESD_jNS1_19radix_merge_compareILb0ELb0EyNS0_19identity_decomposerEEEEE10hipError_tT0_T1_T2_jT3_P12ihipStream_tbPNSt15iterator_traitsISI_E10value_typeEPNSO_ISJ_E10value_typeEPSK_NS1_7vsmem_tEENKUlT_SI_SJ_SK_E_clIPySD_S10_SD_EESH_SX_SI_SJ_SK_EUlSX_E1_NS1_11comp_targetILNS1_3genE4ELNS1_11target_archE910ELNS1_3gpuE8ELNS1_3repE0EEENS1_36merge_oddeven_config_static_selectorELNS0_4arch9wavefront6targetE1EEEvSJ_
	.globl	_ZN7rocprim17ROCPRIM_400000_NS6detail17trampoline_kernelINS0_14default_configENS1_38merge_sort_block_merge_config_selectorIyyEEZZNS1_27merge_sort_block_merge_implIS3_N6thrust23THRUST_200600_302600_NS6detail15normal_iteratorINS8_10device_ptrIyEEEESD_jNS1_19radix_merge_compareILb0ELb0EyNS0_19identity_decomposerEEEEE10hipError_tT0_T1_T2_jT3_P12ihipStream_tbPNSt15iterator_traitsISI_E10value_typeEPNSO_ISJ_E10value_typeEPSK_NS1_7vsmem_tEENKUlT_SI_SJ_SK_E_clIPySD_S10_SD_EESH_SX_SI_SJ_SK_EUlSX_E1_NS1_11comp_targetILNS1_3genE4ELNS1_11target_archE910ELNS1_3gpuE8ELNS1_3repE0EEENS1_36merge_oddeven_config_static_selectorELNS0_4arch9wavefront6targetE1EEEvSJ_
	.p2align	8
	.type	_ZN7rocprim17ROCPRIM_400000_NS6detail17trampoline_kernelINS0_14default_configENS1_38merge_sort_block_merge_config_selectorIyyEEZZNS1_27merge_sort_block_merge_implIS3_N6thrust23THRUST_200600_302600_NS6detail15normal_iteratorINS8_10device_ptrIyEEEESD_jNS1_19radix_merge_compareILb0ELb0EyNS0_19identity_decomposerEEEEE10hipError_tT0_T1_T2_jT3_P12ihipStream_tbPNSt15iterator_traitsISI_E10value_typeEPNSO_ISJ_E10value_typeEPSK_NS1_7vsmem_tEENKUlT_SI_SJ_SK_E_clIPySD_S10_SD_EESH_SX_SI_SJ_SK_EUlSX_E1_NS1_11comp_targetILNS1_3genE4ELNS1_11target_archE910ELNS1_3gpuE8ELNS1_3repE0EEENS1_36merge_oddeven_config_static_selectorELNS0_4arch9wavefront6targetE1EEEvSJ_,@function
_ZN7rocprim17ROCPRIM_400000_NS6detail17trampoline_kernelINS0_14default_configENS1_38merge_sort_block_merge_config_selectorIyyEEZZNS1_27merge_sort_block_merge_implIS3_N6thrust23THRUST_200600_302600_NS6detail15normal_iteratorINS8_10device_ptrIyEEEESD_jNS1_19radix_merge_compareILb0ELb0EyNS0_19identity_decomposerEEEEE10hipError_tT0_T1_T2_jT3_P12ihipStream_tbPNSt15iterator_traitsISI_E10value_typeEPNSO_ISJ_E10value_typeEPSK_NS1_7vsmem_tEENKUlT_SI_SJ_SK_E_clIPySD_S10_SD_EESH_SX_SI_SJ_SK_EUlSX_E1_NS1_11comp_targetILNS1_3genE4ELNS1_11target_archE910ELNS1_3gpuE8ELNS1_3repE0EEENS1_36merge_oddeven_config_static_selectorELNS0_4arch9wavefront6targetE1EEEvSJ_: ; @_ZN7rocprim17ROCPRIM_400000_NS6detail17trampoline_kernelINS0_14default_configENS1_38merge_sort_block_merge_config_selectorIyyEEZZNS1_27merge_sort_block_merge_implIS3_N6thrust23THRUST_200600_302600_NS6detail15normal_iteratorINS8_10device_ptrIyEEEESD_jNS1_19radix_merge_compareILb0ELb0EyNS0_19identity_decomposerEEEEE10hipError_tT0_T1_T2_jT3_P12ihipStream_tbPNSt15iterator_traitsISI_E10value_typeEPNSO_ISJ_E10value_typeEPSK_NS1_7vsmem_tEENKUlT_SI_SJ_SK_E_clIPySD_S10_SD_EESH_SX_SI_SJ_SK_EUlSX_E1_NS1_11comp_targetILNS1_3genE4ELNS1_11target_archE910ELNS1_3gpuE8ELNS1_3repE0EEENS1_36merge_oddeven_config_static_selectorELNS0_4arch9wavefront6targetE1EEEvSJ_
; %bb.0:
	.section	.rodata,"a",@progbits
	.p2align	6, 0x0
	.amdhsa_kernel _ZN7rocprim17ROCPRIM_400000_NS6detail17trampoline_kernelINS0_14default_configENS1_38merge_sort_block_merge_config_selectorIyyEEZZNS1_27merge_sort_block_merge_implIS3_N6thrust23THRUST_200600_302600_NS6detail15normal_iteratorINS8_10device_ptrIyEEEESD_jNS1_19radix_merge_compareILb0ELb0EyNS0_19identity_decomposerEEEEE10hipError_tT0_T1_T2_jT3_P12ihipStream_tbPNSt15iterator_traitsISI_E10value_typeEPNSO_ISJ_E10value_typeEPSK_NS1_7vsmem_tEENKUlT_SI_SJ_SK_E_clIPySD_S10_SD_EESH_SX_SI_SJ_SK_EUlSX_E1_NS1_11comp_targetILNS1_3genE4ELNS1_11target_archE910ELNS1_3gpuE8ELNS1_3repE0EEENS1_36merge_oddeven_config_static_selectorELNS0_4arch9wavefront6targetE1EEEvSJ_
		.amdhsa_group_segment_fixed_size 0
		.amdhsa_private_segment_fixed_size 0
		.amdhsa_kernarg_size 48
		.amdhsa_user_sgpr_count 2
		.amdhsa_user_sgpr_dispatch_ptr 0
		.amdhsa_user_sgpr_queue_ptr 0
		.amdhsa_user_sgpr_kernarg_segment_ptr 1
		.amdhsa_user_sgpr_dispatch_id 0
		.amdhsa_user_sgpr_kernarg_preload_length 0
		.amdhsa_user_sgpr_kernarg_preload_offset 0
		.amdhsa_user_sgpr_private_segment_size 0
		.amdhsa_uses_dynamic_stack 0
		.amdhsa_enable_private_segment 0
		.amdhsa_system_sgpr_workgroup_id_x 1
		.amdhsa_system_sgpr_workgroup_id_y 0
		.amdhsa_system_sgpr_workgroup_id_z 0
		.amdhsa_system_sgpr_workgroup_info 0
		.amdhsa_system_vgpr_workitem_id 0
		.amdhsa_next_free_vgpr 1
		.amdhsa_next_free_sgpr 0
		.amdhsa_accum_offset 4
		.amdhsa_reserve_vcc 0
		.amdhsa_float_round_mode_32 0
		.amdhsa_float_round_mode_16_64 0
		.amdhsa_float_denorm_mode_32 3
		.amdhsa_float_denorm_mode_16_64 3
		.amdhsa_dx10_clamp 1
		.amdhsa_ieee_mode 1
		.amdhsa_fp16_overflow 0
		.amdhsa_tg_split 0
		.amdhsa_exception_fp_ieee_invalid_op 0
		.amdhsa_exception_fp_denorm_src 0
		.amdhsa_exception_fp_ieee_div_zero 0
		.amdhsa_exception_fp_ieee_overflow 0
		.amdhsa_exception_fp_ieee_underflow 0
		.amdhsa_exception_fp_ieee_inexact 0
		.amdhsa_exception_int_div_zero 0
	.end_amdhsa_kernel
	.section	.text._ZN7rocprim17ROCPRIM_400000_NS6detail17trampoline_kernelINS0_14default_configENS1_38merge_sort_block_merge_config_selectorIyyEEZZNS1_27merge_sort_block_merge_implIS3_N6thrust23THRUST_200600_302600_NS6detail15normal_iteratorINS8_10device_ptrIyEEEESD_jNS1_19radix_merge_compareILb0ELb0EyNS0_19identity_decomposerEEEEE10hipError_tT0_T1_T2_jT3_P12ihipStream_tbPNSt15iterator_traitsISI_E10value_typeEPNSO_ISJ_E10value_typeEPSK_NS1_7vsmem_tEENKUlT_SI_SJ_SK_E_clIPySD_S10_SD_EESH_SX_SI_SJ_SK_EUlSX_E1_NS1_11comp_targetILNS1_3genE4ELNS1_11target_archE910ELNS1_3gpuE8ELNS1_3repE0EEENS1_36merge_oddeven_config_static_selectorELNS0_4arch9wavefront6targetE1EEEvSJ_,"axG",@progbits,_ZN7rocprim17ROCPRIM_400000_NS6detail17trampoline_kernelINS0_14default_configENS1_38merge_sort_block_merge_config_selectorIyyEEZZNS1_27merge_sort_block_merge_implIS3_N6thrust23THRUST_200600_302600_NS6detail15normal_iteratorINS8_10device_ptrIyEEEESD_jNS1_19radix_merge_compareILb0ELb0EyNS0_19identity_decomposerEEEEE10hipError_tT0_T1_T2_jT3_P12ihipStream_tbPNSt15iterator_traitsISI_E10value_typeEPNSO_ISJ_E10value_typeEPSK_NS1_7vsmem_tEENKUlT_SI_SJ_SK_E_clIPySD_S10_SD_EESH_SX_SI_SJ_SK_EUlSX_E1_NS1_11comp_targetILNS1_3genE4ELNS1_11target_archE910ELNS1_3gpuE8ELNS1_3repE0EEENS1_36merge_oddeven_config_static_selectorELNS0_4arch9wavefront6targetE1EEEvSJ_,comdat
.Lfunc_end415:
	.size	_ZN7rocprim17ROCPRIM_400000_NS6detail17trampoline_kernelINS0_14default_configENS1_38merge_sort_block_merge_config_selectorIyyEEZZNS1_27merge_sort_block_merge_implIS3_N6thrust23THRUST_200600_302600_NS6detail15normal_iteratorINS8_10device_ptrIyEEEESD_jNS1_19radix_merge_compareILb0ELb0EyNS0_19identity_decomposerEEEEE10hipError_tT0_T1_T2_jT3_P12ihipStream_tbPNSt15iterator_traitsISI_E10value_typeEPNSO_ISJ_E10value_typeEPSK_NS1_7vsmem_tEENKUlT_SI_SJ_SK_E_clIPySD_S10_SD_EESH_SX_SI_SJ_SK_EUlSX_E1_NS1_11comp_targetILNS1_3genE4ELNS1_11target_archE910ELNS1_3gpuE8ELNS1_3repE0EEENS1_36merge_oddeven_config_static_selectorELNS0_4arch9wavefront6targetE1EEEvSJ_, .Lfunc_end415-_ZN7rocprim17ROCPRIM_400000_NS6detail17trampoline_kernelINS0_14default_configENS1_38merge_sort_block_merge_config_selectorIyyEEZZNS1_27merge_sort_block_merge_implIS3_N6thrust23THRUST_200600_302600_NS6detail15normal_iteratorINS8_10device_ptrIyEEEESD_jNS1_19radix_merge_compareILb0ELb0EyNS0_19identity_decomposerEEEEE10hipError_tT0_T1_T2_jT3_P12ihipStream_tbPNSt15iterator_traitsISI_E10value_typeEPNSO_ISJ_E10value_typeEPSK_NS1_7vsmem_tEENKUlT_SI_SJ_SK_E_clIPySD_S10_SD_EESH_SX_SI_SJ_SK_EUlSX_E1_NS1_11comp_targetILNS1_3genE4ELNS1_11target_archE910ELNS1_3gpuE8ELNS1_3repE0EEENS1_36merge_oddeven_config_static_selectorELNS0_4arch9wavefront6targetE1EEEvSJ_
                                        ; -- End function
	.set _ZN7rocprim17ROCPRIM_400000_NS6detail17trampoline_kernelINS0_14default_configENS1_38merge_sort_block_merge_config_selectorIyyEEZZNS1_27merge_sort_block_merge_implIS3_N6thrust23THRUST_200600_302600_NS6detail15normal_iteratorINS8_10device_ptrIyEEEESD_jNS1_19radix_merge_compareILb0ELb0EyNS0_19identity_decomposerEEEEE10hipError_tT0_T1_T2_jT3_P12ihipStream_tbPNSt15iterator_traitsISI_E10value_typeEPNSO_ISJ_E10value_typeEPSK_NS1_7vsmem_tEENKUlT_SI_SJ_SK_E_clIPySD_S10_SD_EESH_SX_SI_SJ_SK_EUlSX_E1_NS1_11comp_targetILNS1_3genE4ELNS1_11target_archE910ELNS1_3gpuE8ELNS1_3repE0EEENS1_36merge_oddeven_config_static_selectorELNS0_4arch9wavefront6targetE1EEEvSJ_.num_vgpr, 0
	.set _ZN7rocprim17ROCPRIM_400000_NS6detail17trampoline_kernelINS0_14default_configENS1_38merge_sort_block_merge_config_selectorIyyEEZZNS1_27merge_sort_block_merge_implIS3_N6thrust23THRUST_200600_302600_NS6detail15normal_iteratorINS8_10device_ptrIyEEEESD_jNS1_19radix_merge_compareILb0ELb0EyNS0_19identity_decomposerEEEEE10hipError_tT0_T1_T2_jT3_P12ihipStream_tbPNSt15iterator_traitsISI_E10value_typeEPNSO_ISJ_E10value_typeEPSK_NS1_7vsmem_tEENKUlT_SI_SJ_SK_E_clIPySD_S10_SD_EESH_SX_SI_SJ_SK_EUlSX_E1_NS1_11comp_targetILNS1_3genE4ELNS1_11target_archE910ELNS1_3gpuE8ELNS1_3repE0EEENS1_36merge_oddeven_config_static_selectorELNS0_4arch9wavefront6targetE1EEEvSJ_.num_agpr, 0
	.set _ZN7rocprim17ROCPRIM_400000_NS6detail17trampoline_kernelINS0_14default_configENS1_38merge_sort_block_merge_config_selectorIyyEEZZNS1_27merge_sort_block_merge_implIS3_N6thrust23THRUST_200600_302600_NS6detail15normal_iteratorINS8_10device_ptrIyEEEESD_jNS1_19radix_merge_compareILb0ELb0EyNS0_19identity_decomposerEEEEE10hipError_tT0_T1_T2_jT3_P12ihipStream_tbPNSt15iterator_traitsISI_E10value_typeEPNSO_ISJ_E10value_typeEPSK_NS1_7vsmem_tEENKUlT_SI_SJ_SK_E_clIPySD_S10_SD_EESH_SX_SI_SJ_SK_EUlSX_E1_NS1_11comp_targetILNS1_3genE4ELNS1_11target_archE910ELNS1_3gpuE8ELNS1_3repE0EEENS1_36merge_oddeven_config_static_selectorELNS0_4arch9wavefront6targetE1EEEvSJ_.numbered_sgpr, 0
	.set _ZN7rocprim17ROCPRIM_400000_NS6detail17trampoline_kernelINS0_14default_configENS1_38merge_sort_block_merge_config_selectorIyyEEZZNS1_27merge_sort_block_merge_implIS3_N6thrust23THRUST_200600_302600_NS6detail15normal_iteratorINS8_10device_ptrIyEEEESD_jNS1_19radix_merge_compareILb0ELb0EyNS0_19identity_decomposerEEEEE10hipError_tT0_T1_T2_jT3_P12ihipStream_tbPNSt15iterator_traitsISI_E10value_typeEPNSO_ISJ_E10value_typeEPSK_NS1_7vsmem_tEENKUlT_SI_SJ_SK_E_clIPySD_S10_SD_EESH_SX_SI_SJ_SK_EUlSX_E1_NS1_11comp_targetILNS1_3genE4ELNS1_11target_archE910ELNS1_3gpuE8ELNS1_3repE0EEENS1_36merge_oddeven_config_static_selectorELNS0_4arch9wavefront6targetE1EEEvSJ_.num_named_barrier, 0
	.set _ZN7rocprim17ROCPRIM_400000_NS6detail17trampoline_kernelINS0_14default_configENS1_38merge_sort_block_merge_config_selectorIyyEEZZNS1_27merge_sort_block_merge_implIS3_N6thrust23THRUST_200600_302600_NS6detail15normal_iteratorINS8_10device_ptrIyEEEESD_jNS1_19radix_merge_compareILb0ELb0EyNS0_19identity_decomposerEEEEE10hipError_tT0_T1_T2_jT3_P12ihipStream_tbPNSt15iterator_traitsISI_E10value_typeEPNSO_ISJ_E10value_typeEPSK_NS1_7vsmem_tEENKUlT_SI_SJ_SK_E_clIPySD_S10_SD_EESH_SX_SI_SJ_SK_EUlSX_E1_NS1_11comp_targetILNS1_3genE4ELNS1_11target_archE910ELNS1_3gpuE8ELNS1_3repE0EEENS1_36merge_oddeven_config_static_selectorELNS0_4arch9wavefront6targetE1EEEvSJ_.private_seg_size, 0
	.set _ZN7rocprim17ROCPRIM_400000_NS6detail17trampoline_kernelINS0_14default_configENS1_38merge_sort_block_merge_config_selectorIyyEEZZNS1_27merge_sort_block_merge_implIS3_N6thrust23THRUST_200600_302600_NS6detail15normal_iteratorINS8_10device_ptrIyEEEESD_jNS1_19radix_merge_compareILb0ELb0EyNS0_19identity_decomposerEEEEE10hipError_tT0_T1_T2_jT3_P12ihipStream_tbPNSt15iterator_traitsISI_E10value_typeEPNSO_ISJ_E10value_typeEPSK_NS1_7vsmem_tEENKUlT_SI_SJ_SK_E_clIPySD_S10_SD_EESH_SX_SI_SJ_SK_EUlSX_E1_NS1_11comp_targetILNS1_3genE4ELNS1_11target_archE910ELNS1_3gpuE8ELNS1_3repE0EEENS1_36merge_oddeven_config_static_selectorELNS0_4arch9wavefront6targetE1EEEvSJ_.uses_vcc, 0
	.set _ZN7rocprim17ROCPRIM_400000_NS6detail17trampoline_kernelINS0_14default_configENS1_38merge_sort_block_merge_config_selectorIyyEEZZNS1_27merge_sort_block_merge_implIS3_N6thrust23THRUST_200600_302600_NS6detail15normal_iteratorINS8_10device_ptrIyEEEESD_jNS1_19radix_merge_compareILb0ELb0EyNS0_19identity_decomposerEEEEE10hipError_tT0_T1_T2_jT3_P12ihipStream_tbPNSt15iterator_traitsISI_E10value_typeEPNSO_ISJ_E10value_typeEPSK_NS1_7vsmem_tEENKUlT_SI_SJ_SK_E_clIPySD_S10_SD_EESH_SX_SI_SJ_SK_EUlSX_E1_NS1_11comp_targetILNS1_3genE4ELNS1_11target_archE910ELNS1_3gpuE8ELNS1_3repE0EEENS1_36merge_oddeven_config_static_selectorELNS0_4arch9wavefront6targetE1EEEvSJ_.uses_flat_scratch, 0
	.set _ZN7rocprim17ROCPRIM_400000_NS6detail17trampoline_kernelINS0_14default_configENS1_38merge_sort_block_merge_config_selectorIyyEEZZNS1_27merge_sort_block_merge_implIS3_N6thrust23THRUST_200600_302600_NS6detail15normal_iteratorINS8_10device_ptrIyEEEESD_jNS1_19radix_merge_compareILb0ELb0EyNS0_19identity_decomposerEEEEE10hipError_tT0_T1_T2_jT3_P12ihipStream_tbPNSt15iterator_traitsISI_E10value_typeEPNSO_ISJ_E10value_typeEPSK_NS1_7vsmem_tEENKUlT_SI_SJ_SK_E_clIPySD_S10_SD_EESH_SX_SI_SJ_SK_EUlSX_E1_NS1_11comp_targetILNS1_3genE4ELNS1_11target_archE910ELNS1_3gpuE8ELNS1_3repE0EEENS1_36merge_oddeven_config_static_selectorELNS0_4arch9wavefront6targetE1EEEvSJ_.has_dyn_sized_stack, 0
	.set _ZN7rocprim17ROCPRIM_400000_NS6detail17trampoline_kernelINS0_14default_configENS1_38merge_sort_block_merge_config_selectorIyyEEZZNS1_27merge_sort_block_merge_implIS3_N6thrust23THRUST_200600_302600_NS6detail15normal_iteratorINS8_10device_ptrIyEEEESD_jNS1_19radix_merge_compareILb0ELb0EyNS0_19identity_decomposerEEEEE10hipError_tT0_T1_T2_jT3_P12ihipStream_tbPNSt15iterator_traitsISI_E10value_typeEPNSO_ISJ_E10value_typeEPSK_NS1_7vsmem_tEENKUlT_SI_SJ_SK_E_clIPySD_S10_SD_EESH_SX_SI_SJ_SK_EUlSX_E1_NS1_11comp_targetILNS1_3genE4ELNS1_11target_archE910ELNS1_3gpuE8ELNS1_3repE0EEENS1_36merge_oddeven_config_static_selectorELNS0_4arch9wavefront6targetE1EEEvSJ_.has_recursion, 0
	.set _ZN7rocprim17ROCPRIM_400000_NS6detail17trampoline_kernelINS0_14default_configENS1_38merge_sort_block_merge_config_selectorIyyEEZZNS1_27merge_sort_block_merge_implIS3_N6thrust23THRUST_200600_302600_NS6detail15normal_iteratorINS8_10device_ptrIyEEEESD_jNS1_19radix_merge_compareILb0ELb0EyNS0_19identity_decomposerEEEEE10hipError_tT0_T1_T2_jT3_P12ihipStream_tbPNSt15iterator_traitsISI_E10value_typeEPNSO_ISJ_E10value_typeEPSK_NS1_7vsmem_tEENKUlT_SI_SJ_SK_E_clIPySD_S10_SD_EESH_SX_SI_SJ_SK_EUlSX_E1_NS1_11comp_targetILNS1_3genE4ELNS1_11target_archE910ELNS1_3gpuE8ELNS1_3repE0EEENS1_36merge_oddeven_config_static_selectorELNS0_4arch9wavefront6targetE1EEEvSJ_.has_indirect_call, 0
	.section	.AMDGPU.csdata,"",@progbits
; Kernel info:
; codeLenInByte = 0
; TotalNumSgprs: 6
; NumVgprs: 0
; NumAgprs: 0
; TotalNumVgprs: 0
; ScratchSize: 0
; MemoryBound: 0
; FloatMode: 240
; IeeeMode: 1
; LDSByteSize: 0 bytes/workgroup (compile time only)
; SGPRBlocks: 0
; VGPRBlocks: 0
; NumSGPRsForWavesPerEU: 6
; NumVGPRsForWavesPerEU: 1
; AccumOffset: 4
; Occupancy: 8
; WaveLimiterHint : 0
; COMPUTE_PGM_RSRC2:SCRATCH_EN: 0
; COMPUTE_PGM_RSRC2:USER_SGPR: 2
; COMPUTE_PGM_RSRC2:TRAP_HANDLER: 0
; COMPUTE_PGM_RSRC2:TGID_X_EN: 1
; COMPUTE_PGM_RSRC2:TGID_Y_EN: 0
; COMPUTE_PGM_RSRC2:TGID_Z_EN: 0
; COMPUTE_PGM_RSRC2:TIDIG_COMP_CNT: 0
; COMPUTE_PGM_RSRC3_GFX90A:ACCUM_OFFSET: 0
; COMPUTE_PGM_RSRC3_GFX90A:TG_SPLIT: 0
	.section	.text._ZN7rocprim17ROCPRIM_400000_NS6detail17trampoline_kernelINS0_14default_configENS1_38merge_sort_block_merge_config_selectorIyyEEZZNS1_27merge_sort_block_merge_implIS3_N6thrust23THRUST_200600_302600_NS6detail15normal_iteratorINS8_10device_ptrIyEEEESD_jNS1_19radix_merge_compareILb0ELb0EyNS0_19identity_decomposerEEEEE10hipError_tT0_T1_T2_jT3_P12ihipStream_tbPNSt15iterator_traitsISI_E10value_typeEPNSO_ISJ_E10value_typeEPSK_NS1_7vsmem_tEENKUlT_SI_SJ_SK_E_clIPySD_S10_SD_EESH_SX_SI_SJ_SK_EUlSX_E1_NS1_11comp_targetILNS1_3genE3ELNS1_11target_archE908ELNS1_3gpuE7ELNS1_3repE0EEENS1_36merge_oddeven_config_static_selectorELNS0_4arch9wavefront6targetE1EEEvSJ_,"axG",@progbits,_ZN7rocprim17ROCPRIM_400000_NS6detail17trampoline_kernelINS0_14default_configENS1_38merge_sort_block_merge_config_selectorIyyEEZZNS1_27merge_sort_block_merge_implIS3_N6thrust23THRUST_200600_302600_NS6detail15normal_iteratorINS8_10device_ptrIyEEEESD_jNS1_19radix_merge_compareILb0ELb0EyNS0_19identity_decomposerEEEEE10hipError_tT0_T1_T2_jT3_P12ihipStream_tbPNSt15iterator_traitsISI_E10value_typeEPNSO_ISJ_E10value_typeEPSK_NS1_7vsmem_tEENKUlT_SI_SJ_SK_E_clIPySD_S10_SD_EESH_SX_SI_SJ_SK_EUlSX_E1_NS1_11comp_targetILNS1_3genE3ELNS1_11target_archE908ELNS1_3gpuE7ELNS1_3repE0EEENS1_36merge_oddeven_config_static_selectorELNS0_4arch9wavefront6targetE1EEEvSJ_,comdat
	.protected	_ZN7rocprim17ROCPRIM_400000_NS6detail17trampoline_kernelINS0_14default_configENS1_38merge_sort_block_merge_config_selectorIyyEEZZNS1_27merge_sort_block_merge_implIS3_N6thrust23THRUST_200600_302600_NS6detail15normal_iteratorINS8_10device_ptrIyEEEESD_jNS1_19radix_merge_compareILb0ELb0EyNS0_19identity_decomposerEEEEE10hipError_tT0_T1_T2_jT3_P12ihipStream_tbPNSt15iterator_traitsISI_E10value_typeEPNSO_ISJ_E10value_typeEPSK_NS1_7vsmem_tEENKUlT_SI_SJ_SK_E_clIPySD_S10_SD_EESH_SX_SI_SJ_SK_EUlSX_E1_NS1_11comp_targetILNS1_3genE3ELNS1_11target_archE908ELNS1_3gpuE7ELNS1_3repE0EEENS1_36merge_oddeven_config_static_selectorELNS0_4arch9wavefront6targetE1EEEvSJ_ ; -- Begin function _ZN7rocprim17ROCPRIM_400000_NS6detail17trampoline_kernelINS0_14default_configENS1_38merge_sort_block_merge_config_selectorIyyEEZZNS1_27merge_sort_block_merge_implIS3_N6thrust23THRUST_200600_302600_NS6detail15normal_iteratorINS8_10device_ptrIyEEEESD_jNS1_19radix_merge_compareILb0ELb0EyNS0_19identity_decomposerEEEEE10hipError_tT0_T1_T2_jT3_P12ihipStream_tbPNSt15iterator_traitsISI_E10value_typeEPNSO_ISJ_E10value_typeEPSK_NS1_7vsmem_tEENKUlT_SI_SJ_SK_E_clIPySD_S10_SD_EESH_SX_SI_SJ_SK_EUlSX_E1_NS1_11comp_targetILNS1_3genE3ELNS1_11target_archE908ELNS1_3gpuE7ELNS1_3repE0EEENS1_36merge_oddeven_config_static_selectorELNS0_4arch9wavefront6targetE1EEEvSJ_
	.globl	_ZN7rocprim17ROCPRIM_400000_NS6detail17trampoline_kernelINS0_14default_configENS1_38merge_sort_block_merge_config_selectorIyyEEZZNS1_27merge_sort_block_merge_implIS3_N6thrust23THRUST_200600_302600_NS6detail15normal_iteratorINS8_10device_ptrIyEEEESD_jNS1_19radix_merge_compareILb0ELb0EyNS0_19identity_decomposerEEEEE10hipError_tT0_T1_T2_jT3_P12ihipStream_tbPNSt15iterator_traitsISI_E10value_typeEPNSO_ISJ_E10value_typeEPSK_NS1_7vsmem_tEENKUlT_SI_SJ_SK_E_clIPySD_S10_SD_EESH_SX_SI_SJ_SK_EUlSX_E1_NS1_11comp_targetILNS1_3genE3ELNS1_11target_archE908ELNS1_3gpuE7ELNS1_3repE0EEENS1_36merge_oddeven_config_static_selectorELNS0_4arch9wavefront6targetE1EEEvSJ_
	.p2align	8
	.type	_ZN7rocprim17ROCPRIM_400000_NS6detail17trampoline_kernelINS0_14default_configENS1_38merge_sort_block_merge_config_selectorIyyEEZZNS1_27merge_sort_block_merge_implIS3_N6thrust23THRUST_200600_302600_NS6detail15normal_iteratorINS8_10device_ptrIyEEEESD_jNS1_19radix_merge_compareILb0ELb0EyNS0_19identity_decomposerEEEEE10hipError_tT0_T1_T2_jT3_P12ihipStream_tbPNSt15iterator_traitsISI_E10value_typeEPNSO_ISJ_E10value_typeEPSK_NS1_7vsmem_tEENKUlT_SI_SJ_SK_E_clIPySD_S10_SD_EESH_SX_SI_SJ_SK_EUlSX_E1_NS1_11comp_targetILNS1_3genE3ELNS1_11target_archE908ELNS1_3gpuE7ELNS1_3repE0EEENS1_36merge_oddeven_config_static_selectorELNS0_4arch9wavefront6targetE1EEEvSJ_,@function
_ZN7rocprim17ROCPRIM_400000_NS6detail17trampoline_kernelINS0_14default_configENS1_38merge_sort_block_merge_config_selectorIyyEEZZNS1_27merge_sort_block_merge_implIS3_N6thrust23THRUST_200600_302600_NS6detail15normal_iteratorINS8_10device_ptrIyEEEESD_jNS1_19radix_merge_compareILb0ELb0EyNS0_19identity_decomposerEEEEE10hipError_tT0_T1_T2_jT3_P12ihipStream_tbPNSt15iterator_traitsISI_E10value_typeEPNSO_ISJ_E10value_typeEPSK_NS1_7vsmem_tEENKUlT_SI_SJ_SK_E_clIPySD_S10_SD_EESH_SX_SI_SJ_SK_EUlSX_E1_NS1_11comp_targetILNS1_3genE3ELNS1_11target_archE908ELNS1_3gpuE7ELNS1_3repE0EEENS1_36merge_oddeven_config_static_selectorELNS0_4arch9wavefront6targetE1EEEvSJ_: ; @_ZN7rocprim17ROCPRIM_400000_NS6detail17trampoline_kernelINS0_14default_configENS1_38merge_sort_block_merge_config_selectorIyyEEZZNS1_27merge_sort_block_merge_implIS3_N6thrust23THRUST_200600_302600_NS6detail15normal_iteratorINS8_10device_ptrIyEEEESD_jNS1_19radix_merge_compareILb0ELb0EyNS0_19identity_decomposerEEEEE10hipError_tT0_T1_T2_jT3_P12ihipStream_tbPNSt15iterator_traitsISI_E10value_typeEPNSO_ISJ_E10value_typeEPSK_NS1_7vsmem_tEENKUlT_SI_SJ_SK_E_clIPySD_S10_SD_EESH_SX_SI_SJ_SK_EUlSX_E1_NS1_11comp_targetILNS1_3genE3ELNS1_11target_archE908ELNS1_3gpuE7ELNS1_3repE0EEENS1_36merge_oddeven_config_static_selectorELNS0_4arch9wavefront6targetE1EEEvSJ_
; %bb.0:
	.section	.rodata,"a",@progbits
	.p2align	6, 0x0
	.amdhsa_kernel _ZN7rocprim17ROCPRIM_400000_NS6detail17trampoline_kernelINS0_14default_configENS1_38merge_sort_block_merge_config_selectorIyyEEZZNS1_27merge_sort_block_merge_implIS3_N6thrust23THRUST_200600_302600_NS6detail15normal_iteratorINS8_10device_ptrIyEEEESD_jNS1_19radix_merge_compareILb0ELb0EyNS0_19identity_decomposerEEEEE10hipError_tT0_T1_T2_jT3_P12ihipStream_tbPNSt15iterator_traitsISI_E10value_typeEPNSO_ISJ_E10value_typeEPSK_NS1_7vsmem_tEENKUlT_SI_SJ_SK_E_clIPySD_S10_SD_EESH_SX_SI_SJ_SK_EUlSX_E1_NS1_11comp_targetILNS1_3genE3ELNS1_11target_archE908ELNS1_3gpuE7ELNS1_3repE0EEENS1_36merge_oddeven_config_static_selectorELNS0_4arch9wavefront6targetE1EEEvSJ_
		.amdhsa_group_segment_fixed_size 0
		.amdhsa_private_segment_fixed_size 0
		.amdhsa_kernarg_size 48
		.amdhsa_user_sgpr_count 2
		.amdhsa_user_sgpr_dispatch_ptr 0
		.amdhsa_user_sgpr_queue_ptr 0
		.amdhsa_user_sgpr_kernarg_segment_ptr 1
		.amdhsa_user_sgpr_dispatch_id 0
		.amdhsa_user_sgpr_kernarg_preload_length 0
		.amdhsa_user_sgpr_kernarg_preload_offset 0
		.amdhsa_user_sgpr_private_segment_size 0
		.amdhsa_uses_dynamic_stack 0
		.amdhsa_enable_private_segment 0
		.amdhsa_system_sgpr_workgroup_id_x 1
		.amdhsa_system_sgpr_workgroup_id_y 0
		.amdhsa_system_sgpr_workgroup_id_z 0
		.amdhsa_system_sgpr_workgroup_info 0
		.amdhsa_system_vgpr_workitem_id 0
		.amdhsa_next_free_vgpr 1
		.amdhsa_next_free_sgpr 0
		.amdhsa_accum_offset 4
		.amdhsa_reserve_vcc 0
		.amdhsa_float_round_mode_32 0
		.amdhsa_float_round_mode_16_64 0
		.amdhsa_float_denorm_mode_32 3
		.amdhsa_float_denorm_mode_16_64 3
		.amdhsa_dx10_clamp 1
		.amdhsa_ieee_mode 1
		.amdhsa_fp16_overflow 0
		.amdhsa_tg_split 0
		.amdhsa_exception_fp_ieee_invalid_op 0
		.amdhsa_exception_fp_denorm_src 0
		.amdhsa_exception_fp_ieee_div_zero 0
		.amdhsa_exception_fp_ieee_overflow 0
		.amdhsa_exception_fp_ieee_underflow 0
		.amdhsa_exception_fp_ieee_inexact 0
		.amdhsa_exception_int_div_zero 0
	.end_amdhsa_kernel
	.section	.text._ZN7rocprim17ROCPRIM_400000_NS6detail17trampoline_kernelINS0_14default_configENS1_38merge_sort_block_merge_config_selectorIyyEEZZNS1_27merge_sort_block_merge_implIS3_N6thrust23THRUST_200600_302600_NS6detail15normal_iteratorINS8_10device_ptrIyEEEESD_jNS1_19radix_merge_compareILb0ELb0EyNS0_19identity_decomposerEEEEE10hipError_tT0_T1_T2_jT3_P12ihipStream_tbPNSt15iterator_traitsISI_E10value_typeEPNSO_ISJ_E10value_typeEPSK_NS1_7vsmem_tEENKUlT_SI_SJ_SK_E_clIPySD_S10_SD_EESH_SX_SI_SJ_SK_EUlSX_E1_NS1_11comp_targetILNS1_3genE3ELNS1_11target_archE908ELNS1_3gpuE7ELNS1_3repE0EEENS1_36merge_oddeven_config_static_selectorELNS0_4arch9wavefront6targetE1EEEvSJ_,"axG",@progbits,_ZN7rocprim17ROCPRIM_400000_NS6detail17trampoline_kernelINS0_14default_configENS1_38merge_sort_block_merge_config_selectorIyyEEZZNS1_27merge_sort_block_merge_implIS3_N6thrust23THRUST_200600_302600_NS6detail15normal_iteratorINS8_10device_ptrIyEEEESD_jNS1_19radix_merge_compareILb0ELb0EyNS0_19identity_decomposerEEEEE10hipError_tT0_T1_T2_jT3_P12ihipStream_tbPNSt15iterator_traitsISI_E10value_typeEPNSO_ISJ_E10value_typeEPSK_NS1_7vsmem_tEENKUlT_SI_SJ_SK_E_clIPySD_S10_SD_EESH_SX_SI_SJ_SK_EUlSX_E1_NS1_11comp_targetILNS1_3genE3ELNS1_11target_archE908ELNS1_3gpuE7ELNS1_3repE0EEENS1_36merge_oddeven_config_static_selectorELNS0_4arch9wavefront6targetE1EEEvSJ_,comdat
.Lfunc_end416:
	.size	_ZN7rocprim17ROCPRIM_400000_NS6detail17trampoline_kernelINS0_14default_configENS1_38merge_sort_block_merge_config_selectorIyyEEZZNS1_27merge_sort_block_merge_implIS3_N6thrust23THRUST_200600_302600_NS6detail15normal_iteratorINS8_10device_ptrIyEEEESD_jNS1_19radix_merge_compareILb0ELb0EyNS0_19identity_decomposerEEEEE10hipError_tT0_T1_T2_jT3_P12ihipStream_tbPNSt15iterator_traitsISI_E10value_typeEPNSO_ISJ_E10value_typeEPSK_NS1_7vsmem_tEENKUlT_SI_SJ_SK_E_clIPySD_S10_SD_EESH_SX_SI_SJ_SK_EUlSX_E1_NS1_11comp_targetILNS1_3genE3ELNS1_11target_archE908ELNS1_3gpuE7ELNS1_3repE0EEENS1_36merge_oddeven_config_static_selectorELNS0_4arch9wavefront6targetE1EEEvSJ_, .Lfunc_end416-_ZN7rocprim17ROCPRIM_400000_NS6detail17trampoline_kernelINS0_14default_configENS1_38merge_sort_block_merge_config_selectorIyyEEZZNS1_27merge_sort_block_merge_implIS3_N6thrust23THRUST_200600_302600_NS6detail15normal_iteratorINS8_10device_ptrIyEEEESD_jNS1_19radix_merge_compareILb0ELb0EyNS0_19identity_decomposerEEEEE10hipError_tT0_T1_T2_jT3_P12ihipStream_tbPNSt15iterator_traitsISI_E10value_typeEPNSO_ISJ_E10value_typeEPSK_NS1_7vsmem_tEENKUlT_SI_SJ_SK_E_clIPySD_S10_SD_EESH_SX_SI_SJ_SK_EUlSX_E1_NS1_11comp_targetILNS1_3genE3ELNS1_11target_archE908ELNS1_3gpuE7ELNS1_3repE0EEENS1_36merge_oddeven_config_static_selectorELNS0_4arch9wavefront6targetE1EEEvSJ_
                                        ; -- End function
	.set _ZN7rocprim17ROCPRIM_400000_NS6detail17trampoline_kernelINS0_14default_configENS1_38merge_sort_block_merge_config_selectorIyyEEZZNS1_27merge_sort_block_merge_implIS3_N6thrust23THRUST_200600_302600_NS6detail15normal_iteratorINS8_10device_ptrIyEEEESD_jNS1_19radix_merge_compareILb0ELb0EyNS0_19identity_decomposerEEEEE10hipError_tT0_T1_T2_jT3_P12ihipStream_tbPNSt15iterator_traitsISI_E10value_typeEPNSO_ISJ_E10value_typeEPSK_NS1_7vsmem_tEENKUlT_SI_SJ_SK_E_clIPySD_S10_SD_EESH_SX_SI_SJ_SK_EUlSX_E1_NS1_11comp_targetILNS1_3genE3ELNS1_11target_archE908ELNS1_3gpuE7ELNS1_3repE0EEENS1_36merge_oddeven_config_static_selectorELNS0_4arch9wavefront6targetE1EEEvSJ_.num_vgpr, 0
	.set _ZN7rocprim17ROCPRIM_400000_NS6detail17trampoline_kernelINS0_14default_configENS1_38merge_sort_block_merge_config_selectorIyyEEZZNS1_27merge_sort_block_merge_implIS3_N6thrust23THRUST_200600_302600_NS6detail15normal_iteratorINS8_10device_ptrIyEEEESD_jNS1_19radix_merge_compareILb0ELb0EyNS0_19identity_decomposerEEEEE10hipError_tT0_T1_T2_jT3_P12ihipStream_tbPNSt15iterator_traitsISI_E10value_typeEPNSO_ISJ_E10value_typeEPSK_NS1_7vsmem_tEENKUlT_SI_SJ_SK_E_clIPySD_S10_SD_EESH_SX_SI_SJ_SK_EUlSX_E1_NS1_11comp_targetILNS1_3genE3ELNS1_11target_archE908ELNS1_3gpuE7ELNS1_3repE0EEENS1_36merge_oddeven_config_static_selectorELNS0_4arch9wavefront6targetE1EEEvSJ_.num_agpr, 0
	.set _ZN7rocprim17ROCPRIM_400000_NS6detail17trampoline_kernelINS0_14default_configENS1_38merge_sort_block_merge_config_selectorIyyEEZZNS1_27merge_sort_block_merge_implIS3_N6thrust23THRUST_200600_302600_NS6detail15normal_iteratorINS8_10device_ptrIyEEEESD_jNS1_19radix_merge_compareILb0ELb0EyNS0_19identity_decomposerEEEEE10hipError_tT0_T1_T2_jT3_P12ihipStream_tbPNSt15iterator_traitsISI_E10value_typeEPNSO_ISJ_E10value_typeEPSK_NS1_7vsmem_tEENKUlT_SI_SJ_SK_E_clIPySD_S10_SD_EESH_SX_SI_SJ_SK_EUlSX_E1_NS1_11comp_targetILNS1_3genE3ELNS1_11target_archE908ELNS1_3gpuE7ELNS1_3repE0EEENS1_36merge_oddeven_config_static_selectorELNS0_4arch9wavefront6targetE1EEEvSJ_.numbered_sgpr, 0
	.set _ZN7rocprim17ROCPRIM_400000_NS6detail17trampoline_kernelINS0_14default_configENS1_38merge_sort_block_merge_config_selectorIyyEEZZNS1_27merge_sort_block_merge_implIS3_N6thrust23THRUST_200600_302600_NS6detail15normal_iteratorINS8_10device_ptrIyEEEESD_jNS1_19radix_merge_compareILb0ELb0EyNS0_19identity_decomposerEEEEE10hipError_tT0_T1_T2_jT3_P12ihipStream_tbPNSt15iterator_traitsISI_E10value_typeEPNSO_ISJ_E10value_typeEPSK_NS1_7vsmem_tEENKUlT_SI_SJ_SK_E_clIPySD_S10_SD_EESH_SX_SI_SJ_SK_EUlSX_E1_NS1_11comp_targetILNS1_3genE3ELNS1_11target_archE908ELNS1_3gpuE7ELNS1_3repE0EEENS1_36merge_oddeven_config_static_selectorELNS0_4arch9wavefront6targetE1EEEvSJ_.num_named_barrier, 0
	.set _ZN7rocprim17ROCPRIM_400000_NS6detail17trampoline_kernelINS0_14default_configENS1_38merge_sort_block_merge_config_selectorIyyEEZZNS1_27merge_sort_block_merge_implIS3_N6thrust23THRUST_200600_302600_NS6detail15normal_iteratorINS8_10device_ptrIyEEEESD_jNS1_19radix_merge_compareILb0ELb0EyNS0_19identity_decomposerEEEEE10hipError_tT0_T1_T2_jT3_P12ihipStream_tbPNSt15iterator_traitsISI_E10value_typeEPNSO_ISJ_E10value_typeEPSK_NS1_7vsmem_tEENKUlT_SI_SJ_SK_E_clIPySD_S10_SD_EESH_SX_SI_SJ_SK_EUlSX_E1_NS1_11comp_targetILNS1_3genE3ELNS1_11target_archE908ELNS1_3gpuE7ELNS1_3repE0EEENS1_36merge_oddeven_config_static_selectorELNS0_4arch9wavefront6targetE1EEEvSJ_.private_seg_size, 0
	.set _ZN7rocprim17ROCPRIM_400000_NS6detail17trampoline_kernelINS0_14default_configENS1_38merge_sort_block_merge_config_selectorIyyEEZZNS1_27merge_sort_block_merge_implIS3_N6thrust23THRUST_200600_302600_NS6detail15normal_iteratorINS8_10device_ptrIyEEEESD_jNS1_19radix_merge_compareILb0ELb0EyNS0_19identity_decomposerEEEEE10hipError_tT0_T1_T2_jT3_P12ihipStream_tbPNSt15iterator_traitsISI_E10value_typeEPNSO_ISJ_E10value_typeEPSK_NS1_7vsmem_tEENKUlT_SI_SJ_SK_E_clIPySD_S10_SD_EESH_SX_SI_SJ_SK_EUlSX_E1_NS1_11comp_targetILNS1_3genE3ELNS1_11target_archE908ELNS1_3gpuE7ELNS1_3repE0EEENS1_36merge_oddeven_config_static_selectorELNS0_4arch9wavefront6targetE1EEEvSJ_.uses_vcc, 0
	.set _ZN7rocprim17ROCPRIM_400000_NS6detail17trampoline_kernelINS0_14default_configENS1_38merge_sort_block_merge_config_selectorIyyEEZZNS1_27merge_sort_block_merge_implIS3_N6thrust23THRUST_200600_302600_NS6detail15normal_iteratorINS8_10device_ptrIyEEEESD_jNS1_19radix_merge_compareILb0ELb0EyNS0_19identity_decomposerEEEEE10hipError_tT0_T1_T2_jT3_P12ihipStream_tbPNSt15iterator_traitsISI_E10value_typeEPNSO_ISJ_E10value_typeEPSK_NS1_7vsmem_tEENKUlT_SI_SJ_SK_E_clIPySD_S10_SD_EESH_SX_SI_SJ_SK_EUlSX_E1_NS1_11comp_targetILNS1_3genE3ELNS1_11target_archE908ELNS1_3gpuE7ELNS1_3repE0EEENS1_36merge_oddeven_config_static_selectorELNS0_4arch9wavefront6targetE1EEEvSJ_.uses_flat_scratch, 0
	.set _ZN7rocprim17ROCPRIM_400000_NS6detail17trampoline_kernelINS0_14default_configENS1_38merge_sort_block_merge_config_selectorIyyEEZZNS1_27merge_sort_block_merge_implIS3_N6thrust23THRUST_200600_302600_NS6detail15normal_iteratorINS8_10device_ptrIyEEEESD_jNS1_19radix_merge_compareILb0ELb0EyNS0_19identity_decomposerEEEEE10hipError_tT0_T1_T2_jT3_P12ihipStream_tbPNSt15iterator_traitsISI_E10value_typeEPNSO_ISJ_E10value_typeEPSK_NS1_7vsmem_tEENKUlT_SI_SJ_SK_E_clIPySD_S10_SD_EESH_SX_SI_SJ_SK_EUlSX_E1_NS1_11comp_targetILNS1_3genE3ELNS1_11target_archE908ELNS1_3gpuE7ELNS1_3repE0EEENS1_36merge_oddeven_config_static_selectorELNS0_4arch9wavefront6targetE1EEEvSJ_.has_dyn_sized_stack, 0
	.set _ZN7rocprim17ROCPRIM_400000_NS6detail17trampoline_kernelINS0_14default_configENS1_38merge_sort_block_merge_config_selectorIyyEEZZNS1_27merge_sort_block_merge_implIS3_N6thrust23THRUST_200600_302600_NS6detail15normal_iteratorINS8_10device_ptrIyEEEESD_jNS1_19radix_merge_compareILb0ELb0EyNS0_19identity_decomposerEEEEE10hipError_tT0_T1_T2_jT3_P12ihipStream_tbPNSt15iterator_traitsISI_E10value_typeEPNSO_ISJ_E10value_typeEPSK_NS1_7vsmem_tEENKUlT_SI_SJ_SK_E_clIPySD_S10_SD_EESH_SX_SI_SJ_SK_EUlSX_E1_NS1_11comp_targetILNS1_3genE3ELNS1_11target_archE908ELNS1_3gpuE7ELNS1_3repE0EEENS1_36merge_oddeven_config_static_selectorELNS0_4arch9wavefront6targetE1EEEvSJ_.has_recursion, 0
	.set _ZN7rocprim17ROCPRIM_400000_NS6detail17trampoline_kernelINS0_14default_configENS1_38merge_sort_block_merge_config_selectorIyyEEZZNS1_27merge_sort_block_merge_implIS3_N6thrust23THRUST_200600_302600_NS6detail15normal_iteratorINS8_10device_ptrIyEEEESD_jNS1_19radix_merge_compareILb0ELb0EyNS0_19identity_decomposerEEEEE10hipError_tT0_T1_T2_jT3_P12ihipStream_tbPNSt15iterator_traitsISI_E10value_typeEPNSO_ISJ_E10value_typeEPSK_NS1_7vsmem_tEENKUlT_SI_SJ_SK_E_clIPySD_S10_SD_EESH_SX_SI_SJ_SK_EUlSX_E1_NS1_11comp_targetILNS1_3genE3ELNS1_11target_archE908ELNS1_3gpuE7ELNS1_3repE0EEENS1_36merge_oddeven_config_static_selectorELNS0_4arch9wavefront6targetE1EEEvSJ_.has_indirect_call, 0
	.section	.AMDGPU.csdata,"",@progbits
; Kernel info:
; codeLenInByte = 0
; TotalNumSgprs: 6
; NumVgprs: 0
; NumAgprs: 0
; TotalNumVgprs: 0
; ScratchSize: 0
; MemoryBound: 0
; FloatMode: 240
; IeeeMode: 1
; LDSByteSize: 0 bytes/workgroup (compile time only)
; SGPRBlocks: 0
; VGPRBlocks: 0
; NumSGPRsForWavesPerEU: 6
; NumVGPRsForWavesPerEU: 1
; AccumOffset: 4
; Occupancy: 8
; WaveLimiterHint : 0
; COMPUTE_PGM_RSRC2:SCRATCH_EN: 0
; COMPUTE_PGM_RSRC2:USER_SGPR: 2
; COMPUTE_PGM_RSRC2:TRAP_HANDLER: 0
; COMPUTE_PGM_RSRC2:TGID_X_EN: 1
; COMPUTE_PGM_RSRC2:TGID_Y_EN: 0
; COMPUTE_PGM_RSRC2:TGID_Z_EN: 0
; COMPUTE_PGM_RSRC2:TIDIG_COMP_CNT: 0
; COMPUTE_PGM_RSRC3_GFX90A:ACCUM_OFFSET: 0
; COMPUTE_PGM_RSRC3_GFX90A:TG_SPLIT: 0
	.section	.text._ZN7rocprim17ROCPRIM_400000_NS6detail17trampoline_kernelINS0_14default_configENS1_38merge_sort_block_merge_config_selectorIyyEEZZNS1_27merge_sort_block_merge_implIS3_N6thrust23THRUST_200600_302600_NS6detail15normal_iteratorINS8_10device_ptrIyEEEESD_jNS1_19radix_merge_compareILb0ELb0EyNS0_19identity_decomposerEEEEE10hipError_tT0_T1_T2_jT3_P12ihipStream_tbPNSt15iterator_traitsISI_E10value_typeEPNSO_ISJ_E10value_typeEPSK_NS1_7vsmem_tEENKUlT_SI_SJ_SK_E_clIPySD_S10_SD_EESH_SX_SI_SJ_SK_EUlSX_E1_NS1_11comp_targetILNS1_3genE2ELNS1_11target_archE906ELNS1_3gpuE6ELNS1_3repE0EEENS1_36merge_oddeven_config_static_selectorELNS0_4arch9wavefront6targetE1EEEvSJ_,"axG",@progbits,_ZN7rocprim17ROCPRIM_400000_NS6detail17trampoline_kernelINS0_14default_configENS1_38merge_sort_block_merge_config_selectorIyyEEZZNS1_27merge_sort_block_merge_implIS3_N6thrust23THRUST_200600_302600_NS6detail15normal_iteratorINS8_10device_ptrIyEEEESD_jNS1_19radix_merge_compareILb0ELb0EyNS0_19identity_decomposerEEEEE10hipError_tT0_T1_T2_jT3_P12ihipStream_tbPNSt15iterator_traitsISI_E10value_typeEPNSO_ISJ_E10value_typeEPSK_NS1_7vsmem_tEENKUlT_SI_SJ_SK_E_clIPySD_S10_SD_EESH_SX_SI_SJ_SK_EUlSX_E1_NS1_11comp_targetILNS1_3genE2ELNS1_11target_archE906ELNS1_3gpuE6ELNS1_3repE0EEENS1_36merge_oddeven_config_static_selectorELNS0_4arch9wavefront6targetE1EEEvSJ_,comdat
	.protected	_ZN7rocprim17ROCPRIM_400000_NS6detail17trampoline_kernelINS0_14default_configENS1_38merge_sort_block_merge_config_selectorIyyEEZZNS1_27merge_sort_block_merge_implIS3_N6thrust23THRUST_200600_302600_NS6detail15normal_iteratorINS8_10device_ptrIyEEEESD_jNS1_19radix_merge_compareILb0ELb0EyNS0_19identity_decomposerEEEEE10hipError_tT0_T1_T2_jT3_P12ihipStream_tbPNSt15iterator_traitsISI_E10value_typeEPNSO_ISJ_E10value_typeEPSK_NS1_7vsmem_tEENKUlT_SI_SJ_SK_E_clIPySD_S10_SD_EESH_SX_SI_SJ_SK_EUlSX_E1_NS1_11comp_targetILNS1_3genE2ELNS1_11target_archE906ELNS1_3gpuE6ELNS1_3repE0EEENS1_36merge_oddeven_config_static_selectorELNS0_4arch9wavefront6targetE1EEEvSJ_ ; -- Begin function _ZN7rocprim17ROCPRIM_400000_NS6detail17trampoline_kernelINS0_14default_configENS1_38merge_sort_block_merge_config_selectorIyyEEZZNS1_27merge_sort_block_merge_implIS3_N6thrust23THRUST_200600_302600_NS6detail15normal_iteratorINS8_10device_ptrIyEEEESD_jNS1_19radix_merge_compareILb0ELb0EyNS0_19identity_decomposerEEEEE10hipError_tT0_T1_T2_jT3_P12ihipStream_tbPNSt15iterator_traitsISI_E10value_typeEPNSO_ISJ_E10value_typeEPSK_NS1_7vsmem_tEENKUlT_SI_SJ_SK_E_clIPySD_S10_SD_EESH_SX_SI_SJ_SK_EUlSX_E1_NS1_11comp_targetILNS1_3genE2ELNS1_11target_archE906ELNS1_3gpuE6ELNS1_3repE0EEENS1_36merge_oddeven_config_static_selectorELNS0_4arch9wavefront6targetE1EEEvSJ_
	.globl	_ZN7rocprim17ROCPRIM_400000_NS6detail17trampoline_kernelINS0_14default_configENS1_38merge_sort_block_merge_config_selectorIyyEEZZNS1_27merge_sort_block_merge_implIS3_N6thrust23THRUST_200600_302600_NS6detail15normal_iteratorINS8_10device_ptrIyEEEESD_jNS1_19radix_merge_compareILb0ELb0EyNS0_19identity_decomposerEEEEE10hipError_tT0_T1_T2_jT3_P12ihipStream_tbPNSt15iterator_traitsISI_E10value_typeEPNSO_ISJ_E10value_typeEPSK_NS1_7vsmem_tEENKUlT_SI_SJ_SK_E_clIPySD_S10_SD_EESH_SX_SI_SJ_SK_EUlSX_E1_NS1_11comp_targetILNS1_3genE2ELNS1_11target_archE906ELNS1_3gpuE6ELNS1_3repE0EEENS1_36merge_oddeven_config_static_selectorELNS0_4arch9wavefront6targetE1EEEvSJ_
	.p2align	8
	.type	_ZN7rocprim17ROCPRIM_400000_NS6detail17trampoline_kernelINS0_14default_configENS1_38merge_sort_block_merge_config_selectorIyyEEZZNS1_27merge_sort_block_merge_implIS3_N6thrust23THRUST_200600_302600_NS6detail15normal_iteratorINS8_10device_ptrIyEEEESD_jNS1_19radix_merge_compareILb0ELb0EyNS0_19identity_decomposerEEEEE10hipError_tT0_T1_T2_jT3_P12ihipStream_tbPNSt15iterator_traitsISI_E10value_typeEPNSO_ISJ_E10value_typeEPSK_NS1_7vsmem_tEENKUlT_SI_SJ_SK_E_clIPySD_S10_SD_EESH_SX_SI_SJ_SK_EUlSX_E1_NS1_11comp_targetILNS1_3genE2ELNS1_11target_archE906ELNS1_3gpuE6ELNS1_3repE0EEENS1_36merge_oddeven_config_static_selectorELNS0_4arch9wavefront6targetE1EEEvSJ_,@function
_ZN7rocprim17ROCPRIM_400000_NS6detail17trampoline_kernelINS0_14default_configENS1_38merge_sort_block_merge_config_selectorIyyEEZZNS1_27merge_sort_block_merge_implIS3_N6thrust23THRUST_200600_302600_NS6detail15normal_iteratorINS8_10device_ptrIyEEEESD_jNS1_19radix_merge_compareILb0ELb0EyNS0_19identity_decomposerEEEEE10hipError_tT0_T1_T2_jT3_P12ihipStream_tbPNSt15iterator_traitsISI_E10value_typeEPNSO_ISJ_E10value_typeEPSK_NS1_7vsmem_tEENKUlT_SI_SJ_SK_E_clIPySD_S10_SD_EESH_SX_SI_SJ_SK_EUlSX_E1_NS1_11comp_targetILNS1_3genE2ELNS1_11target_archE906ELNS1_3gpuE6ELNS1_3repE0EEENS1_36merge_oddeven_config_static_selectorELNS0_4arch9wavefront6targetE1EEEvSJ_: ; @_ZN7rocprim17ROCPRIM_400000_NS6detail17trampoline_kernelINS0_14default_configENS1_38merge_sort_block_merge_config_selectorIyyEEZZNS1_27merge_sort_block_merge_implIS3_N6thrust23THRUST_200600_302600_NS6detail15normal_iteratorINS8_10device_ptrIyEEEESD_jNS1_19radix_merge_compareILb0ELb0EyNS0_19identity_decomposerEEEEE10hipError_tT0_T1_T2_jT3_P12ihipStream_tbPNSt15iterator_traitsISI_E10value_typeEPNSO_ISJ_E10value_typeEPSK_NS1_7vsmem_tEENKUlT_SI_SJ_SK_E_clIPySD_S10_SD_EESH_SX_SI_SJ_SK_EUlSX_E1_NS1_11comp_targetILNS1_3genE2ELNS1_11target_archE906ELNS1_3gpuE6ELNS1_3repE0EEENS1_36merge_oddeven_config_static_selectorELNS0_4arch9wavefront6targetE1EEEvSJ_
; %bb.0:
	.section	.rodata,"a",@progbits
	.p2align	6, 0x0
	.amdhsa_kernel _ZN7rocprim17ROCPRIM_400000_NS6detail17trampoline_kernelINS0_14default_configENS1_38merge_sort_block_merge_config_selectorIyyEEZZNS1_27merge_sort_block_merge_implIS3_N6thrust23THRUST_200600_302600_NS6detail15normal_iteratorINS8_10device_ptrIyEEEESD_jNS1_19radix_merge_compareILb0ELb0EyNS0_19identity_decomposerEEEEE10hipError_tT0_T1_T2_jT3_P12ihipStream_tbPNSt15iterator_traitsISI_E10value_typeEPNSO_ISJ_E10value_typeEPSK_NS1_7vsmem_tEENKUlT_SI_SJ_SK_E_clIPySD_S10_SD_EESH_SX_SI_SJ_SK_EUlSX_E1_NS1_11comp_targetILNS1_3genE2ELNS1_11target_archE906ELNS1_3gpuE6ELNS1_3repE0EEENS1_36merge_oddeven_config_static_selectorELNS0_4arch9wavefront6targetE1EEEvSJ_
		.amdhsa_group_segment_fixed_size 0
		.amdhsa_private_segment_fixed_size 0
		.amdhsa_kernarg_size 48
		.amdhsa_user_sgpr_count 2
		.amdhsa_user_sgpr_dispatch_ptr 0
		.amdhsa_user_sgpr_queue_ptr 0
		.amdhsa_user_sgpr_kernarg_segment_ptr 1
		.amdhsa_user_sgpr_dispatch_id 0
		.amdhsa_user_sgpr_kernarg_preload_length 0
		.amdhsa_user_sgpr_kernarg_preload_offset 0
		.amdhsa_user_sgpr_private_segment_size 0
		.amdhsa_uses_dynamic_stack 0
		.amdhsa_enable_private_segment 0
		.amdhsa_system_sgpr_workgroup_id_x 1
		.amdhsa_system_sgpr_workgroup_id_y 0
		.amdhsa_system_sgpr_workgroup_id_z 0
		.amdhsa_system_sgpr_workgroup_info 0
		.amdhsa_system_vgpr_workitem_id 0
		.amdhsa_next_free_vgpr 1
		.amdhsa_next_free_sgpr 0
		.amdhsa_accum_offset 4
		.amdhsa_reserve_vcc 0
		.amdhsa_float_round_mode_32 0
		.amdhsa_float_round_mode_16_64 0
		.amdhsa_float_denorm_mode_32 3
		.amdhsa_float_denorm_mode_16_64 3
		.amdhsa_dx10_clamp 1
		.amdhsa_ieee_mode 1
		.amdhsa_fp16_overflow 0
		.amdhsa_tg_split 0
		.amdhsa_exception_fp_ieee_invalid_op 0
		.amdhsa_exception_fp_denorm_src 0
		.amdhsa_exception_fp_ieee_div_zero 0
		.amdhsa_exception_fp_ieee_overflow 0
		.amdhsa_exception_fp_ieee_underflow 0
		.amdhsa_exception_fp_ieee_inexact 0
		.amdhsa_exception_int_div_zero 0
	.end_amdhsa_kernel
	.section	.text._ZN7rocprim17ROCPRIM_400000_NS6detail17trampoline_kernelINS0_14default_configENS1_38merge_sort_block_merge_config_selectorIyyEEZZNS1_27merge_sort_block_merge_implIS3_N6thrust23THRUST_200600_302600_NS6detail15normal_iteratorINS8_10device_ptrIyEEEESD_jNS1_19radix_merge_compareILb0ELb0EyNS0_19identity_decomposerEEEEE10hipError_tT0_T1_T2_jT3_P12ihipStream_tbPNSt15iterator_traitsISI_E10value_typeEPNSO_ISJ_E10value_typeEPSK_NS1_7vsmem_tEENKUlT_SI_SJ_SK_E_clIPySD_S10_SD_EESH_SX_SI_SJ_SK_EUlSX_E1_NS1_11comp_targetILNS1_3genE2ELNS1_11target_archE906ELNS1_3gpuE6ELNS1_3repE0EEENS1_36merge_oddeven_config_static_selectorELNS0_4arch9wavefront6targetE1EEEvSJ_,"axG",@progbits,_ZN7rocprim17ROCPRIM_400000_NS6detail17trampoline_kernelINS0_14default_configENS1_38merge_sort_block_merge_config_selectorIyyEEZZNS1_27merge_sort_block_merge_implIS3_N6thrust23THRUST_200600_302600_NS6detail15normal_iteratorINS8_10device_ptrIyEEEESD_jNS1_19radix_merge_compareILb0ELb0EyNS0_19identity_decomposerEEEEE10hipError_tT0_T1_T2_jT3_P12ihipStream_tbPNSt15iterator_traitsISI_E10value_typeEPNSO_ISJ_E10value_typeEPSK_NS1_7vsmem_tEENKUlT_SI_SJ_SK_E_clIPySD_S10_SD_EESH_SX_SI_SJ_SK_EUlSX_E1_NS1_11comp_targetILNS1_3genE2ELNS1_11target_archE906ELNS1_3gpuE6ELNS1_3repE0EEENS1_36merge_oddeven_config_static_selectorELNS0_4arch9wavefront6targetE1EEEvSJ_,comdat
.Lfunc_end417:
	.size	_ZN7rocprim17ROCPRIM_400000_NS6detail17trampoline_kernelINS0_14default_configENS1_38merge_sort_block_merge_config_selectorIyyEEZZNS1_27merge_sort_block_merge_implIS3_N6thrust23THRUST_200600_302600_NS6detail15normal_iteratorINS8_10device_ptrIyEEEESD_jNS1_19radix_merge_compareILb0ELb0EyNS0_19identity_decomposerEEEEE10hipError_tT0_T1_T2_jT3_P12ihipStream_tbPNSt15iterator_traitsISI_E10value_typeEPNSO_ISJ_E10value_typeEPSK_NS1_7vsmem_tEENKUlT_SI_SJ_SK_E_clIPySD_S10_SD_EESH_SX_SI_SJ_SK_EUlSX_E1_NS1_11comp_targetILNS1_3genE2ELNS1_11target_archE906ELNS1_3gpuE6ELNS1_3repE0EEENS1_36merge_oddeven_config_static_selectorELNS0_4arch9wavefront6targetE1EEEvSJ_, .Lfunc_end417-_ZN7rocprim17ROCPRIM_400000_NS6detail17trampoline_kernelINS0_14default_configENS1_38merge_sort_block_merge_config_selectorIyyEEZZNS1_27merge_sort_block_merge_implIS3_N6thrust23THRUST_200600_302600_NS6detail15normal_iteratorINS8_10device_ptrIyEEEESD_jNS1_19radix_merge_compareILb0ELb0EyNS0_19identity_decomposerEEEEE10hipError_tT0_T1_T2_jT3_P12ihipStream_tbPNSt15iterator_traitsISI_E10value_typeEPNSO_ISJ_E10value_typeEPSK_NS1_7vsmem_tEENKUlT_SI_SJ_SK_E_clIPySD_S10_SD_EESH_SX_SI_SJ_SK_EUlSX_E1_NS1_11comp_targetILNS1_3genE2ELNS1_11target_archE906ELNS1_3gpuE6ELNS1_3repE0EEENS1_36merge_oddeven_config_static_selectorELNS0_4arch9wavefront6targetE1EEEvSJ_
                                        ; -- End function
	.set _ZN7rocprim17ROCPRIM_400000_NS6detail17trampoline_kernelINS0_14default_configENS1_38merge_sort_block_merge_config_selectorIyyEEZZNS1_27merge_sort_block_merge_implIS3_N6thrust23THRUST_200600_302600_NS6detail15normal_iteratorINS8_10device_ptrIyEEEESD_jNS1_19radix_merge_compareILb0ELb0EyNS0_19identity_decomposerEEEEE10hipError_tT0_T1_T2_jT3_P12ihipStream_tbPNSt15iterator_traitsISI_E10value_typeEPNSO_ISJ_E10value_typeEPSK_NS1_7vsmem_tEENKUlT_SI_SJ_SK_E_clIPySD_S10_SD_EESH_SX_SI_SJ_SK_EUlSX_E1_NS1_11comp_targetILNS1_3genE2ELNS1_11target_archE906ELNS1_3gpuE6ELNS1_3repE0EEENS1_36merge_oddeven_config_static_selectorELNS0_4arch9wavefront6targetE1EEEvSJ_.num_vgpr, 0
	.set _ZN7rocprim17ROCPRIM_400000_NS6detail17trampoline_kernelINS0_14default_configENS1_38merge_sort_block_merge_config_selectorIyyEEZZNS1_27merge_sort_block_merge_implIS3_N6thrust23THRUST_200600_302600_NS6detail15normal_iteratorINS8_10device_ptrIyEEEESD_jNS1_19radix_merge_compareILb0ELb0EyNS0_19identity_decomposerEEEEE10hipError_tT0_T1_T2_jT3_P12ihipStream_tbPNSt15iterator_traitsISI_E10value_typeEPNSO_ISJ_E10value_typeEPSK_NS1_7vsmem_tEENKUlT_SI_SJ_SK_E_clIPySD_S10_SD_EESH_SX_SI_SJ_SK_EUlSX_E1_NS1_11comp_targetILNS1_3genE2ELNS1_11target_archE906ELNS1_3gpuE6ELNS1_3repE0EEENS1_36merge_oddeven_config_static_selectorELNS0_4arch9wavefront6targetE1EEEvSJ_.num_agpr, 0
	.set _ZN7rocprim17ROCPRIM_400000_NS6detail17trampoline_kernelINS0_14default_configENS1_38merge_sort_block_merge_config_selectorIyyEEZZNS1_27merge_sort_block_merge_implIS3_N6thrust23THRUST_200600_302600_NS6detail15normal_iteratorINS8_10device_ptrIyEEEESD_jNS1_19radix_merge_compareILb0ELb0EyNS0_19identity_decomposerEEEEE10hipError_tT0_T1_T2_jT3_P12ihipStream_tbPNSt15iterator_traitsISI_E10value_typeEPNSO_ISJ_E10value_typeEPSK_NS1_7vsmem_tEENKUlT_SI_SJ_SK_E_clIPySD_S10_SD_EESH_SX_SI_SJ_SK_EUlSX_E1_NS1_11comp_targetILNS1_3genE2ELNS1_11target_archE906ELNS1_3gpuE6ELNS1_3repE0EEENS1_36merge_oddeven_config_static_selectorELNS0_4arch9wavefront6targetE1EEEvSJ_.numbered_sgpr, 0
	.set _ZN7rocprim17ROCPRIM_400000_NS6detail17trampoline_kernelINS0_14default_configENS1_38merge_sort_block_merge_config_selectorIyyEEZZNS1_27merge_sort_block_merge_implIS3_N6thrust23THRUST_200600_302600_NS6detail15normal_iteratorINS8_10device_ptrIyEEEESD_jNS1_19radix_merge_compareILb0ELb0EyNS0_19identity_decomposerEEEEE10hipError_tT0_T1_T2_jT3_P12ihipStream_tbPNSt15iterator_traitsISI_E10value_typeEPNSO_ISJ_E10value_typeEPSK_NS1_7vsmem_tEENKUlT_SI_SJ_SK_E_clIPySD_S10_SD_EESH_SX_SI_SJ_SK_EUlSX_E1_NS1_11comp_targetILNS1_3genE2ELNS1_11target_archE906ELNS1_3gpuE6ELNS1_3repE0EEENS1_36merge_oddeven_config_static_selectorELNS0_4arch9wavefront6targetE1EEEvSJ_.num_named_barrier, 0
	.set _ZN7rocprim17ROCPRIM_400000_NS6detail17trampoline_kernelINS0_14default_configENS1_38merge_sort_block_merge_config_selectorIyyEEZZNS1_27merge_sort_block_merge_implIS3_N6thrust23THRUST_200600_302600_NS6detail15normal_iteratorINS8_10device_ptrIyEEEESD_jNS1_19radix_merge_compareILb0ELb0EyNS0_19identity_decomposerEEEEE10hipError_tT0_T1_T2_jT3_P12ihipStream_tbPNSt15iterator_traitsISI_E10value_typeEPNSO_ISJ_E10value_typeEPSK_NS1_7vsmem_tEENKUlT_SI_SJ_SK_E_clIPySD_S10_SD_EESH_SX_SI_SJ_SK_EUlSX_E1_NS1_11comp_targetILNS1_3genE2ELNS1_11target_archE906ELNS1_3gpuE6ELNS1_3repE0EEENS1_36merge_oddeven_config_static_selectorELNS0_4arch9wavefront6targetE1EEEvSJ_.private_seg_size, 0
	.set _ZN7rocprim17ROCPRIM_400000_NS6detail17trampoline_kernelINS0_14default_configENS1_38merge_sort_block_merge_config_selectorIyyEEZZNS1_27merge_sort_block_merge_implIS3_N6thrust23THRUST_200600_302600_NS6detail15normal_iteratorINS8_10device_ptrIyEEEESD_jNS1_19radix_merge_compareILb0ELb0EyNS0_19identity_decomposerEEEEE10hipError_tT0_T1_T2_jT3_P12ihipStream_tbPNSt15iterator_traitsISI_E10value_typeEPNSO_ISJ_E10value_typeEPSK_NS1_7vsmem_tEENKUlT_SI_SJ_SK_E_clIPySD_S10_SD_EESH_SX_SI_SJ_SK_EUlSX_E1_NS1_11comp_targetILNS1_3genE2ELNS1_11target_archE906ELNS1_3gpuE6ELNS1_3repE0EEENS1_36merge_oddeven_config_static_selectorELNS0_4arch9wavefront6targetE1EEEvSJ_.uses_vcc, 0
	.set _ZN7rocprim17ROCPRIM_400000_NS6detail17trampoline_kernelINS0_14default_configENS1_38merge_sort_block_merge_config_selectorIyyEEZZNS1_27merge_sort_block_merge_implIS3_N6thrust23THRUST_200600_302600_NS6detail15normal_iteratorINS8_10device_ptrIyEEEESD_jNS1_19radix_merge_compareILb0ELb0EyNS0_19identity_decomposerEEEEE10hipError_tT0_T1_T2_jT3_P12ihipStream_tbPNSt15iterator_traitsISI_E10value_typeEPNSO_ISJ_E10value_typeEPSK_NS1_7vsmem_tEENKUlT_SI_SJ_SK_E_clIPySD_S10_SD_EESH_SX_SI_SJ_SK_EUlSX_E1_NS1_11comp_targetILNS1_3genE2ELNS1_11target_archE906ELNS1_3gpuE6ELNS1_3repE0EEENS1_36merge_oddeven_config_static_selectorELNS0_4arch9wavefront6targetE1EEEvSJ_.uses_flat_scratch, 0
	.set _ZN7rocprim17ROCPRIM_400000_NS6detail17trampoline_kernelINS0_14default_configENS1_38merge_sort_block_merge_config_selectorIyyEEZZNS1_27merge_sort_block_merge_implIS3_N6thrust23THRUST_200600_302600_NS6detail15normal_iteratorINS8_10device_ptrIyEEEESD_jNS1_19radix_merge_compareILb0ELb0EyNS0_19identity_decomposerEEEEE10hipError_tT0_T1_T2_jT3_P12ihipStream_tbPNSt15iterator_traitsISI_E10value_typeEPNSO_ISJ_E10value_typeEPSK_NS1_7vsmem_tEENKUlT_SI_SJ_SK_E_clIPySD_S10_SD_EESH_SX_SI_SJ_SK_EUlSX_E1_NS1_11comp_targetILNS1_3genE2ELNS1_11target_archE906ELNS1_3gpuE6ELNS1_3repE0EEENS1_36merge_oddeven_config_static_selectorELNS0_4arch9wavefront6targetE1EEEvSJ_.has_dyn_sized_stack, 0
	.set _ZN7rocprim17ROCPRIM_400000_NS6detail17trampoline_kernelINS0_14default_configENS1_38merge_sort_block_merge_config_selectorIyyEEZZNS1_27merge_sort_block_merge_implIS3_N6thrust23THRUST_200600_302600_NS6detail15normal_iteratorINS8_10device_ptrIyEEEESD_jNS1_19radix_merge_compareILb0ELb0EyNS0_19identity_decomposerEEEEE10hipError_tT0_T1_T2_jT3_P12ihipStream_tbPNSt15iterator_traitsISI_E10value_typeEPNSO_ISJ_E10value_typeEPSK_NS1_7vsmem_tEENKUlT_SI_SJ_SK_E_clIPySD_S10_SD_EESH_SX_SI_SJ_SK_EUlSX_E1_NS1_11comp_targetILNS1_3genE2ELNS1_11target_archE906ELNS1_3gpuE6ELNS1_3repE0EEENS1_36merge_oddeven_config_static_selectorELNS0_4arch9wavefront6targetE1EEEvSJ_.has_recursion, 0
	.set _ZN7rocprim17ROCPRIM_400000_NS6detail17trampoline_kernelINS0_14default_configENS1_38merge_sort_block_merge_config_selectorIyyEEZZNS1_27merge_sort_block_merge_implIS3_N6thrust23THRUST_200600_302600_NS6detail15normal_iteratorINS8_10device_ptrIyEEEESD_jNS1_19radix_merge_compareILb0ELb0EyNS0_19identity_decomposerEEEEE10hipError_tT0_T1_T2_jT3_P12ihipStream_tbPNSt15iterator_traitsISI_E10value_typeEPNSO_ISJ_E10value_typeEPSK_NS1_7vsmem_tEENKUlT_SI_SJ_SK_E_clIPySD_S10_SD_EESH_SX_SI_SJ_SK_EUlSX_E1_NS1_11comp_targetILNS1_3genE2ELNS1_11target_archE906ELNS1_3gpuE6ELNS1_3repE0EEENS1_36merge_oddeven_config_static_selectorELNS0_4arch9wavefront6targetE1EEEvSJ_.has_indirect_call, 0
	.section	.AMDGPU.csdata,"",@progbits
; Kernel info:
; codeLenInByte = 0
; TotalNumSgprs: 6
; NumVgprs: 0
; NumAgprs: 0
; TotalNumVgprs: 0
; ScratchSize: 0
; MemoryBound: 0
; FloatMode: 240
; IeeeMode: 1
; LDSByteSize: 0 bytes/workgroup (compile time only)
; SGPRBlocks: 0
; VGPRBlocks: 0
; NumSGPRsForWavesPerEU: 6
; NumVGPRsForWavesPerEU: 1
; AccumOffset: 4
; Occupancy: 8
; WaveLimiterHint : 0
; COMPUTE_PGM_RSRC2:SCRATCH_EN: 0
; COMPUTE_PGM_RSRC2:USER_SGPR: 2
; COMPUTE_PGM_RSRC2:TRAP_HANDLER: 0
; COMPUTE_PGM_RSRC2:TGID_X_EN: 1
; COMPUTE_PGM_RSRC2:TGID_Y_EN: 0
; COMPUTE_PGM_RSRC2:TGID_Z_EN: 0
; COMPUTE_PGM_RSRC2:TIDIG_COMP_CNT: 0
; COMPUTE_PGM_RSRC3_GFX90A:ACCUM_OFFSET: 0
; COMPUTE_PGM_RSRC3_GFX90A:TG_SPLIT: 0
	.section	.text._ZN7rocprim17ROCPRIM_400000_NS6detail17trampoline_kernelINS0_14default_configENS1_38merge_sort_block_merge_config_selectorIyyEEZZNS1_27merge_sort_block_merge_implIS3_N6thrust23THRUST_200600_302600_NS6detail15normal_iteratorINS8_10device_ptrIyEEEESD_jNS1_19radix_merge_compareILb0ELb0EyNS0_19identity_decomposerEEEEE10hipError_tT0_T1_T2_jT3_P12ihipStream_tbPNSt15iterator_traitsISI_E10value_typeEPNSO_ISJ_E10value_typeEPSK_NS1_7vsmem_tEENKUlT_SI_SJ_SK_E_clIPySD_S10_SD_EESH_SX_SI_SJ_SK_EUlSX_E1_NS1_11comp_targetILNS1_3genE9ELNS1_11target_archE1100ELNS1_3gpuE3ELNS1_3repE0EEENS1_36merge_oddeven_config_static_selectorELNS0_4arch9wavefront6targetE1EEEvSJ_,"axG",@progbits,_ZN7rocprim17ROCPRIM_400000_NS6detail17trampoline_kernelINS0_14default_configENS1_38merge_sort_block_merge_config_selectorIyyEEZZNS1_27merge_sort_block_merge_implIS3_N6thrust23THRUST_200600_302600_NS6detail15normal_iteratorINS8_10device_ptrIyEEEESD_jNS1_19radix_merge_compareILb0ELb0EyNS0_19identity_decomposerEEEEE10hipError_tT0_T1_T2_jT3_P12ihipStream_tbPNSt15iterator_traitsISI_E10value_typeEPNSO_ISJ_E10value_typeEPSK_NS1_7vsmem_tEENKUlT_SI_SJ_SK_E_clIPySD_S10_SD_EESH_SX_SI_SJ_SK_EUlSX_E1_NS1_11comp_targetILNS1_3genE9ELNS1_11target_archE1100ELNS1_3gpuE3ELNS1_3repE0EEENS1_36merge_oddeven_config_static_selectorELNS0_4arch9wavefront6targetE1EEEvSJ_,comdat
	.protected	_ZN7rocprim17ROCPRIM_400000_NS6detail17trampoline_kernelINS0_14default_configENS1_38merge_sort_block_merge_config_selectorIyyEEZZNS1_27merge_sort_block_merge_implIS3_N6thrust23THRUST_200600_302600_NS6detail15normal_iteratorINS8_10device_ptrIyEEEESD_jNS1_19radix_merge_compareILb0ELb0EyNS0_19identity_decomposerEEEEE10hipError_tT0_T1_T2_jT3_P12ihipStream_tbPNSt15iterator_traitsISI_E10value_typeEPNSO_ISJ_E10value_typeEPSK_NS1_7vsmem_tEENKUlT_SI_SJ_SK_E_clIPySD_S10_SD_EESH_SX_SI_SJ_SK_EUlSX_E1_NS1_11comp_targetILNS1_3genE9ELNS1_11target_archE1100ELNS1_3gpuE3ELNS1_3repE0EEENS1_36merge_oddeven_config_static_selectorELNS0_4arch9wavefront6targetE1EEEvSJ_ ; -- Begin function _ZN7rocprim17ROCPRIM_400000_NS6detail17trampoline_kernelINS0_14default_configENS1_38merge_sort_block_merge_config_selectorIyyEEZZNS1_27merge_sort_block_merge_implIS3_N6thrust23THRUST_200600_302600_NS6detail15normal_iteratorINS8_10device_ptrIyEEEESD_jNS1_19radix_merge_compareILb0ELb0EyNS0_19identity_decomposerEEEEE10hipError_tT0_T1_T2_jT3_P12ihipStream_tbPNSt15iterator_traitsISI_E10value_typeEPNSO_ISJ_E10value_typeEPSK_NS1_7vsmem_tEENKUlT_SI_SJ_SK_E_clIPySD_S10_SD_EESH_SX_SI_SJ_SK_EUlSX_E1_NS1_11comp_targetILNS1_3genE9ELNS1_11target_archE1100ELNS1_3gpuE3ELNS1_3repE0EEENS1_36merge_oddeven_config_static_selectorELNS0_4arch9wavefront6targetE1EEEvSJ_
	.globl	_ZN7rocprim17ROCPRIM_400000_NS6detail17trampoline_kernelINS0_14default_configENS1_38merge_sort_block_merge_config_selectorIyyEEZZNS1_27merge_sort_block_merge_implIS3_N6thrust23THRUST_200600_302600_NS6detail15normal_iteratorINS8_10device_ptrIyEEEESD_jNS1_19radix_merge_compareILb0ELb0EyNS0_19identity_decomposerEEEEE10hipError_tT0_T1_T2_jT3_P12ihipStream_tbPNSt15iterator_traitsISI_E10value_typeEPNSO_ISJ_E10value_typeEPSK_NS1_7vsmem_tEENKUlT_SI_SJ_SK_E_clIPySD_S10_SD_EESH_SX_SI_SJ_SK_EUlSX_E1_NS1_11comp_targetILNS1_3genE9ELNS1_11target_archE1100ELNS1_3gpuE3ELNS1_3repE0EEENS1_36merge_oddeven_config_static_selectorELNS0_4arch9wavefront6targetE1EEEvSJ_
	.p2align	8
	.type	_ZN7rocprim17ROCPRIM_400000_NS6detail17trampoline_kernelINS0_14default_configENS1_38merge_sort_block_merge_config_selectorIyyEEZZNS1_27merge_sort_block_merge_implIS3_N6thrust23THRUST_200600_302600_NS6detail15normal_iteratorINS8_10device_ptrIyEEEESD_jNS1_19radix_merge_compareILb0ELb0EyNS0_19identity_decomposerEEEEE10hipError_tT0_T1_T2_jT3_P12ihipStream_tbPNSt15iterator_traitsISI_E10value_typeEPNSO_ISJ_E10value_typeEPSK_NS1_7vsmem_tEENKUlT_SI_SJ_SK_E_clIPySD_S10_SD_EESH_SX_SI_SJ_SK_EUlSX_E1_NS1_11comp_targetILNS1_3genE9ELNS1_11target_archE1100ELNS1_3gpuE3ELNS1_3repE0EEENS1_36merge_oddeven_config_static_selectorELNS0_4arch9wavefront6targetE1EEEvSJ_,@function
_ZN7rocprim17ROCPRIM_400000_NS6detail17trampoline_kernelINS0_14default_configENS1_38merge_sort_block_merge_config_selectorIyyEEZZNS1_27merge_sort_block_merge_implIS3_N6thrust23THRUST_200600_302600_NS6detail15normal_iteratorINS8_10device_ptrIyEEEESD_jNS1_19radix_merge_compareILb0ELb0EyNS0_19identity_decomposerEEEEE10hipError_tT0_T1_T2_jT3_P12ihipStream_tbPNSt15iterator_traitsISI_E10value_typeEPNSO_ISJ_E10value_typeEPSK_NS1_7vsmem_tEENKUlT_SI_SJ_SK_E_clIPySD_S10_SD_EESH_SX_SI_SJ_SK_EUlSX_E1_NS1_11comp_targetILNS1_3genE9ELNS1_11target_archE1100ELNS1_3gpuE3ELNS1_3repE0EEENS1_36merge_oddeven_config_static_selectorELNS0_4arch9wavefront6targetE1EEEvSJ_: ; @_ZN7rocprim17ROCPRIM_400000_NS6detail17trampoline_kernelINS0_14default_configENS1_38merge_sort_block_merge_config_selectorIyyEEZZNS1_27merge_sort_block_merge_implIS3_N6thrust23THRUST_200600_302600_NS6detail15normal_iteratorINS8_10device_ptrIyEEEESD_jNS1_19radix_merge_compareILb0ELb0EyNS0_19identity_decomposerEEEEE10hipError_tT0_T1_T2_jT3_P12ihipStream_tbPNSt15iterator_traitsISI_E10value_typeEPNSO_ISJ_E10value_typeEPSK_NS1_7vsmem_tEENKUlT_SI_SJ_SK_E_clIPySD_S10_SD_EESH_SX_SI_SJ_SK_EUlSX_E1_NS1_11comp_targetILNS1_3genE9ELNS1_11target_archE1100ELNS1_3gpuE3ELNS1_3repE0EEENS1_36merge_oddeven_config_static_selectorELNS0_4arch9wavefront6targetE1EEEvSJ_
; %bb.0:
	.section	.rodata,"a",@progbits
	.p2align	6, 0x0
	.amdhsa_kernel _ZN7rocprim17ROCPRIM_400000_NS6detail17trampoline_kernelINS0_14default_configENS1_38merge_sort_block_merge_config_selectorIyyEEZZNS1_27merge_sort_block_merge_implIS3_N6thrust23THRUST_200600_302600_NS6detail15normal_iteratorINS8_10device_ptrIyEEEESD_jNS1_19radix_merge_compareILb0ELb0EyNS0_19identity_decomposerEEEEE10hipError_tT0_T1_T2_jT3_P12ihipStream_tbPNSt15iterator_traitsISI_E10value_typeEPNSO_ISJ_E10value_typeEPSK_NS1_7vsmem_tEENKUlT_SI_SJ_SK_E_clIPySD_S10_SD_EESH_SX_SI_SJ_SK_EUlSX_E1_NS1_11comp_targetILNS1_3genE9ELNS1_11target_archE1100ELNS1_3gpuE3ELNS1_3repE0EEENS1_36merge_oddeven_config_static_selectorELNS0_4arch9wavefront6targetE1EEEvSJ_
		.amdhsa_group_segment_fixed_size 0
		.amdhsa_private_segment_fixed_size 0
		.amdhsa_kernarg_size 48
		.amdhsa_user_sgpr_count 2
		.amdhsa_user_sgpr_dispatch_ptr 0
		.amdhsa_user_sgpr_queue_ptr 0
		.amdhsa_user_sgpr_kernarg_segment_ptr 1
		.amdhsa_user_sgpr_dispatch_id 0
		.amdhsa_user_sgpr_kernarg_preload_length 0
		.amdhsa_user_sgpr_kernarg_preload_offset 0
		.amdhsa_user_sgpr_private_segment_size 0
		.amdhsa_uses_dynamic_stack 0
		.amdhsa_enable_private_segment 0
		.amdhsa_system_sgpr_workgroup_id_x 1
		.amdhsa_system_sgpr_workgroup_id_y 0
		.amdhsa_system_sgpr_workgroup_id_z 0
		.amdhsa_system_sgpr_workgroup_info 0
		.amdhsa_system_vgpr_workitem_id 0
		.amdhsa_next_free_vgpr 1
		.amdhsa_next_free_sgpr 0
		.amdhsa_accum_offset 4
		.amdhsa_reserve_vcc 0
		.amdhsa_float_round_mode_32 0
		.amdhsa_float_round_mode_16_64 0
		.amdhsa_float_denorm_mode_32 3
		.amdhsa_float_denorm_mode_16_64 3
		.amdhsa_dx10_clamp 1
		.amdhsa_ieee_mode 1
		.amdhsa_fp16_overflow 0
		.amdhsa_tg_split 0
		.amdhsa_exception_fp_ieee_invalid_op 0
		.amdhsa_exception_fp_denorm_src 0
		.amdhsa_exception_fp_ieee_div_zero 0
		.amdhsa_exception_fp_ieee_overflow 0
		.amdhsa_exception_fp_ieee_underflow 0
		.amdhsa_exception_fp_ieee_inexact 0
		.amdhsa_exception_int_div_zero 0
	.end_amdhsa_kernel
	.section	.text._ZN7rocprim17ROCPRIM_400000_NS6detail17trampoline_kernelINS0_14default_configENS1_38merge_sort_block_merge_config_selectorIyyEEZZNS1_27merge_sort_block_merge_implIS3_N6thrust23THRUST_200600_302600_NS6detail15normal_iteratorINS8_10device_ptrIyEEEESD_jNS1_19radix_merge_compareILb0ELb0EyNS0_19identity_decomposerEEEEE10hipError_tT0_T1_T2_jT3_P12ihipStream_tbPNSt15iterator_traitsISI_E10value_typeEPNSO_ISJ_E10value_typeEPSK_NS1_7vsmem_tEENKUlT_SI_SJ_SK_E_clIPySD_S10_SD_EESH_SX_SI_SJ_SK_EUlSX_E1_NS1_11comp_targetILNS1_3genE9ELNS1_11target_archE1100ELNS1_3gpuE3ELNS1_3repE0EEENS1_36merge_oddeven_config_static_selectorELNS0_4arch9wavefront6targetE1EEEvSJ_,"axG",@progbits,_ZN7rocprim17ROCPRIM_400000_NS6detail17trampoline_kernelINS0_14default_configENS1_38merge_sort_block_merge_config_selectorIyyEEZZNS1_27merge_sort_block_merge_implIS3_N6thrust23THRUST_200600_302600_NS6detail15normal_iteratorINS8_10device_ptrIyEEEESD_jNS1_19radix_merge_compareILb0ELb0EyNS0_19identity_decomposerEEEEE10hipError_tT0_T1_T2_jT3_P12ihipStream_tbPNSt15iterator_traitsISI_E10value_typeEPNSO_ISJ_E10value_typeEPSK_NS1_7vsmem_tEENKUlT_SI_SJ_SK_E_clIPySD_S10_SD_EESH_SX_SI_SJ_SK_EUlSX_E1_NS1_11comp_targetILNS1_3genE9ELNS1_11target_archE1100ELNS1_3gpuE3ELNS1_3repE0EEENS1_36merge_oddeven_config_static_selectorELNS0_4arch9wavefront6targetE1EEEvSJ_,comdat
.Lfunc_end418:
	.size	_ZN7rocprim17ROCPRIM_400000_NS6detail17trampoline_kernelINS0_14default_configENS1_38merge_sort_block_merge_config_selectorIyyEEZZNS1_27merge_sort_block_merge_implIS3_N6thrust23THRUST_200600_302600_NS6detail15normal_iteratorINS8_10device_ptrIyEEEESD_jNS1_19radix_merge_compareILb0ELb0EyNS0_19identity_decomposerEEEEE10hipError_tT0_T1_T2_jT3_P12ihipStream_tbPNSt15iterator_traitsISI_E10value_typeEPNSO_ISJ_E10value_typeEPSK_NS1_7vsmem_tEENKUlT_SI_SJ_SK_E_clIPySD_S10_SD_EESH_SX_SI_SJ_SK_EUlSX_E1_NS1_11comp_targetILNS1_3genE9ELNS1_11target_archE1100ELNS1_3gpuE3ELNS1_3repE0EEENS1_36merge_oddeven_config_static_selectorELNS0_4arch9wavefront6targetE1EEEvSJ_, .Lfunc_end418-_ZN7rocprim17ROCPRIM_400000_NS6detail17trampoline_kernelINS0_14default_configENS1_38merge_sort_block_merge_config_selectorIyyEEZZNS1_27merge_sort_block_merge_implIS3_N6thrust23THRUST_200600_302600_NS6detail15normal_iteratorINS8_10device_ptrIyEEEESD_jNS1_19radix_merge_compareILb0ELb0EyNS0_19identity_decomposerEEEEE10hipError_tT0_T1_T2_jT3_P12ihipStream_tbPNSt15iterator_traitsISI_E10value_typeEPNSO_ISJ_E10value_typeEPSK_NS1_7vsmem_tEENKUlT_SI_SJ_SK_E_clIPySD_S10_SD_EESH_SX_SI_SJ_SK_EUlSX_E1_NS1_11comp_targetILNS1_3genE9ELNS1_11target_archE1100ELNS1_3gpuE3ELNS1_3repE0EEENS1_36merge_oddeven_config_static_selectorELNS0_4arch9wavefront6targetE1EEEvSJ_
                                        ; -- End function
	.set _ZN7rocprim17ROCPRIM_400000_NS6detail17trampoline_kernelINS0_14default_configENS1_38merge_sort_block_merge_config_selectorIyyEEZZNS1_27merge_sort_block_merge_implIS3_N6thrust23THRUST_200600_302600_NS6detail15normal_iteratorINS8_10device_ptrIyEEEESD_jNS1_19radix_merge_compareILb0ELb0EyNS0_19identity_decomposerEEEEE10hipError_tT0_T1_T2_jT3_P12ihipStream_tbPNSt15iterator_traitsISI_E10value_typeEPNSO_ISJ_E10value_typeEPSK_NS1_7vsmem_tEENKUlT_SI_SJ_SK_E_clIPySD_S10_SD_EESH_SX_SI_SJ_SK_EUlSX_E1_NS1_11comp_targetILNS1_3genE9ELNS1_11target_archE1100ELNS1_3gpuE3ELNS1_3repE0EEENS1_36merge_oddeven_config_static_selectorELNS0_4arch9wavefront6targetE1EEEvSJ_.num_vgpr, 0
	.set _ZN7rocprim17ROCPRIM_400000_NS6detail17trampoline_kernelINS0_14default_configENS1_38merge_sort_block_merge_config_selectorIyyEEZZNS1_27merge_sort_block_merge_implIS3_N6thrust23THRUST_200600_302600_NS6detail15normal_iteratorINS8_10device_ptrIyEEEESD_jNS1_19radix_merge_compareILb0ELb0EyNS0_19identity_decomposerEEEEE10hipError_tT0_T1_T2_jT3_P12ihipStream_tbPNSt15iterator_traitsISI_E10value_typeEPNSO_ISJ_E10value_typeEPSK_NS1_7vsmem_tEENKUlT_SI_SJ_SK_E_clIPySD_S10_SD_EESH_SX_SI_SJ_SK_EUlSX_E1_NS1_11comp_targetILNS1_3genE9ELNS1_11target_archE1100ELNS1_3gpuE3ELNS1_3repE0EEENS1_36merge_oddeven_config_static_selectorELNS0_4arch9wavefront6targetE1EEEvSJ_.num_agpr, 0
	.set _ZN7rocprim17ROCPRIM_400000_NS6detail17trampoline_kernelINS0_14default_configENS1_38merge_sort_block_merge_config_selectorIyyEEZZNS1_27merge_sort_block_merge_implIS3_N6thrust23THRUST_200600_302600_NS6detail15normal_iteratorINS8_10device_ptrIyEEEESD_jNS1_19radix_merge_compareILb0ELb0EyNS0_19identity_decomposerEEEEE10hipError_tT0_T1_T2_jT3_P12ihipStream_tbPNSt15iterator_traitsISI_E10value_typeEPNSO_ISJ_E10value_typeEPSK_NS1_7vsmem_tEENKUlT_SI_SJ_SK_E_clIPySD_S10_SD_EESH_SX_SI_SJ_SK_EUlSX_E1_NS1_11comp_targetILNS1_3genE9ELNS1_11target_archE1100ELNS1_3gpuE3ELNS1_3repE0EEENS1_36merge_oddeven_config_static_selectorELNS0_4arch9wavefront6targetE1EEEvSJ_.numbered_sgpr, 0
	.set _ZN7rocprim17ROCPRIM_400000_NS6detail17trampoline_kernelINS0_14default_configENS1_38merge_sort_block_merge_config_selectorIyyEEZZNS1_27merge_sort_block_merge_implIS3_N6thrust23THRUST_200600_302600_NS6detail15normal_iteratorINS8_10device_ptrIyEEEESD_jNS1_19radix_merge_compareILb0ELb0EyNS0_19identity_decomposerEEEEE10hipError_tT0_T1_T2_jT3_P12ihipStream_tbPNSt15iterator_traitsISI_E10value_typeEPNSO_ISJ_E10value_typeEPSK_NS1_7vsmem_tEENKUlT_SI_SJ_SK_E_clIPySD_S10_SD_EESH_SX_SI_SJ_SK_EUlSX_E1_NS1_11comp_targetILNS1_3genE9ELNS1_11target_archE1100ELNS1_3gpuE3ELNS1_3repE0EEENS1_36merge_oddeven_config_static_selectorELNS0_4arch9wavefront6targetE1EEEvSJ_.num_named_barrier, 0
	.set _ZN7rocprim17ROCPRIM_400000_NS6detail17trampoline_kernelINS0_14default_configENS1_38merge_sort_block_merge_config_selectorIyyEEZZNS1_27merge_sort_block_merge_implIS3_N6thrust23THRUST_200600_302600_NS6detail15normal_iteratorINS8_10device_ptrIyEEEESD_jNS1_19radix_merge_compareILb0ELb0EyNS0_19identity_decomposerEEEEE10hipError_tT0_T1_T2_jT3_P12ihipStream_tbPNSt15iterator_traitsISI_E10value_typeEPNSO_ISJ_E10value_typeEPSK_NS1_7vsmem_tEENKUlT_SI_SJ_SK_E_clIPySD_S10_SD_EESH_SX_SI_SJ_SK_EUlSX_E1_NS1_11comp_targetILNS1_3genE9ELNS1_11target_archE1100ELNS1_3gpuE3ELNS1_3repE0EEENS1_36merge_oddeven_config_static_selectorELNS0_4arch9wavefront6targetE1EEEvSJ_.private_seg_size, 0
	.set _ZN7rocprim17ROCPRIM_400000_NS6detail17trampoline_kernelINS0_14default_configENS1_38merge_sort_block_merge_config_selectorIyyEEZZNS1_27merge_sort_block_merge_implIS3_N6thrust23THRUST_200600_302600_NS6detail15normal_iteratorINS8_10device_ptrIyEEEESD_jNS1_19radix_merge_compareILb0ELb0EyNS0_19identity_decomposerEEEEE10hipError_tT0_T1_T2_jT3_P12ihipStream_tbPNSt15iterator_traitsISI_E10value_typeEPNSO_ISJ_E10value_typeEPSK_NS1_7vsmem_tEENKUlT_SI_SJ_SK_E_clIPySD_S10_SD_EESH_SX_SI_SJ_SK_EUlSX_E1_NS1_11comp_targetILNS1_3genE9ELNS1_11target_archE1100ELNS1_3gpuE3ELNS1_3repE0EEENS1_36merge_oddeven_config_static_selectorELNS0_4arch9wavefront6targetE1EEEvSJ_.uses_vcc, 0
	.set _ZN7rocprim17ROCPRIM_400000_NS6detail17trampoline_kernelINS0_14default_configENS1_38merge_sort_block_merge_config_selectorIyyEEZZNS1_27merge_sort_block_merge_implIS3_N6thrust23THRUST_200600_302600_NS6detail15normal_iteratorINS8_10device_ptrIyEEEESD_jNS1_19radix_merge_compareILb0ELb0EyNS0_19identity_decomposerEEEEE10hipError_tT0_T1_T2_jT3_P12ihipStream_tbPNSt15iterator_traitsISI_E10value_typeEPNSO_ISJ_E10value_typeEPSK_NS1_7vsmem_tEENKUlT_SI_SJ_SK_E_clIPySD_S10_SD_EESH_SX_SI_SJ_SK_EUlSX_E1_NS1_11comp_targetILNS1_3genE9ELNS1_11target_archE1100ELNS1_3gpuE3ELNS1_3repE0EEENS1_36merge_oddeven_config_static_selectorELNS0_4arch9wavefront6targetE1EEEvSJ_.uses_flat_scratch, 0
	.set _ZN7rocprim17ROCPRIM_400000_NS6detail17trampoline_kernelINS0_14default_configENS1_38merge_sort_block_merge_config_selectorIyyEEZZNS1_27merge_sort_block_merge_implIS3_N6thrust23THRUST_200600_302600_NS6detail15normal_iteratorINS8_10device_ptrIyEEEESD_jNS1_19radix_merge_compareILb0ELb0EyNS0_19identity_decomposerEEEEE10hipError_tT0_T1_T2_jT3_P12ihipStream_tbPNSt15iterator_traitsISI_E10value_typeEPNSO_ISJ_E10value_typeEPSK_NS1_7vsmem_tEENKUlT_SI_SJ_SK_E_clIPySD_S10_SD_EESH_SX_SI_SJ_SK_EUlSX_E1_NS1_11comp_targetILNS1_3genE9ELNS1_11target_archE1100ELNS1_3gpuE3ELNS1_3repE0EEENS1_36merge_oddeven_config_static_selectorELNS0_4arch9wavefront6targetE1EEEvSJ_.has_dyn_sized_stack, 0
	.set _ZN7rocprim17ROCPRIM_400000_NS6detail17trampoline_kernelINS0_14default_configENS1_38merge_sort_block_merge_config_selectorIyyEEZZNS1_27merge_sort_block_merge_implIS3_N6thrust23THRUST_200600_302600_NS6detail15normal_iteratorINS8_10device_ptrIyEEEESD_jNS1_19radix_merge_compareILb0ELb0EyNS0_19identity_decomposerEEEEE10hipError_tT0_T1_T2_jT3_P12ihipStream_tbPNSt15iterator_traitsISI_E10value_typeEPNSO_ISJ_E10value_typeEPSK_NS1_7vsmem_tEENKUlT_SI_SJ_SK_E_clIPySD_S10_SD_EESH_SX_SI_SJ_SK_EUlSX_E1_NS1_11comp_targetILNS1_3genE9ELNS1_11target_archE1100ELNS1_3gpuE3ELNS1_3repE0EEENS1_36merge_oddeven_config_static_selectorELNS0_4arch9wavefront6targetE1EEEvSJ_.has_recursion, 0
	.set _ZN7rocprim17ROCPRIM_400000_NS6detail17trampoline_kernelINS0_14default_configENS1_38merge_sort_block_merge_config_selectorIyyEEZZNS1_27merge_sort_block_merge_implIS3_N6thrust23THRUST_200600_302600_NS6detail15normal_iteratorINS8_10device_ptrIyEEEESD_jNS1_19radix_merge_compareILb0ELb0EyNS0_19identity_decomposerEEEEE10hipError_tT0_T1_T2_jT3_P12ihipStream_tbPNSt15iterator_traitsISI_E10value_typeEPNSO_ISJ_E10value_typeEPSK_NS1_7vsmem_tEENKUlT_SI_SJ_SK_E_clIPySD_S10_SD_EESH_SX_SI_SJ_SK_EUlSX_E1_NS1_11comp_targetILNS1_3genE9ELNS1_11target_archE1100ELNS1_3gpuE3ELNS1_3repE0EEENS1_36merge_oddeven_config_static_selectorELNS0_4arch9wavefront6targetE1EEEvSJ_.has_indirect_call, 0
	.section	.AMDGPU.csdata,"",@progbits
; Kernel info:
; codeLenInByte = 0
; TotalNumSgprs: 6
; NumVgprs: 0
; NumAgprs: 0
; TotalNumVgprs: 0
; ScratchSize: 0
; MemoryBound: 0
; FloatMode: 240
; IeeeMode: 1
; LDSByteSize: 0 bytes/workgroup (compile time only)
; SGPRBlocks: 0
; VGPRBlocks: 0
; NumSGPRsForWavesPerEU: 6
; NumVGPRsForWavesPerEU: 1
; AccumOffset: 4
; Occupancy: 8
; WaveLimiterHint : 0
; COMPUTE_PGM_RSRC2:SCRATCH_EN: 0
; COMPUTE_PGM_RSRC2:USER_SGPR: 2
; COMPUTE_PGM_RSRC2:TRAP_HANDLER: 0
; COMPUTE_PGM_RSRC2:TGID_X_EN: 1
; COMPUTE_PGM_RSRC2:TGID_Y_EN: 0
; COMPUTE_PGM_RSRC2:TGID_Z_EN: 0
; COMPUTE_PGM_RSRC2:TIDIG_COMP_CNT: 0
; COMPUTE_PGM_RSRC3_GFX90A:ACCUM_OFFSET: 0
; COMPUTE_PGM_RSRC3_GFX90A:TG_SPLIT: 0
	.section	.text._ZN7rocprim17ROCPRIM_400000_NS6detail17trampoline_kernelINS0_14default_configENS1_38merge_sort_block_merge_config_selectorIyyEEZZNS1_27merge_sort_block_merge_implIS3_N6thrust23THRUST_200600_302600_NS6detail15normal_iteratorINS8_10device_ptrIyEEEESD_jNS1_19radix_merge_compareILb0ELb0EyNS0_19identity_decomposerEEEEE10hipError_tT0_T1_T2_jT3_P12ihipStream_tbPNSt15iterator_traitsISI_E10value_typeEPNSO_ISJ_E10value_typeEPSK_NS1_7vsmem_tEENKUlT_SI_SJ_SK_E_clIPySD_S10_SD_EESH_SX_SI_SJ_SK_EUlSX_E1_NS1_11comp_targetILNS1_3genE8ELNS1_11target_archE1030ELNS1_3gpuE2ELNS1_3repE0EEENS1_36merge_oddeven_config_static_selectorELNS0_4arch9wavefront6targetE1EEEvSJ_,"axG",@progbits,_ZN7rocprim17ROCPRIM_400000_NS6detail17trampoline_kernelINS0_14default_configENS1_38merge_sort_block_merge_config_selectorIyyEEZZNS1_27merge_sort_block_merge_implIS3_N6thrust23THRUST_200600_302600_NS6detail15normal_iteratorINS8_10device_ptrIyEEEESD_jNS1_19radix_merge_compareILb0ELb0EyNS0_19identity_decomposerEEEEE10hipError_tT0_T1_T2_jT3_P12ihipStream_tbPNSt15iterator_traitsISI_E10value_typeEPNSO_ISJ_E10value_typeEPSK_NS1_7vsmem_tEENKUlT_SI_SJ_SK_E_clIPySD_S10_SD_EESH_SX_SI_SJ_SK_EUlSX_E1_NS1_11comp_targetILNS1_3genE8ELNS1_11target_archE1030ELNS1_3gpuE2ELNS1_3repE0EEENS1_36merge_oddeven_config_static_selectorELNS0_4arch9wavefront6targetE1EEEvSJ_,comdat
	.protected	_ZN7rocprim17ROCPRIM_400000_NS6detail17trampoline_kernelINS0_14default_configENS1_38merge_sort_block_merge_config_selectorIyyEEZZNS1_27merge_sort_block_merge_implIS3_N6thrust23THRUST_200600_302600_NS6detail15normal_iteratorINS8_10device_ptrIyEEEESD_jNS1_19radix_merge_compareILb0ELb0EyNS0_19identity_decomposerEEEEE10hipError_tT0_T1_T2_jT3_P12ihipStream_tbPNSt15iterator_traitsISI_E10value_typeEPNSO_ISJ_E10value_typeEPSK_NS1_7vsmem_tEENKUlT_SI_SJ_SK_E_clIPySD_S10_SD_EESH_SX_SI_SJ_SK_EUlSX_E1_NS1_11comp_targetILNS1_3genE8ELNS1_11target_archE1030ELNS1_3gpuE2ELNS1_3repE0EEENS1_36merge_oddeven_config_static_selectorELNS0_4arch9wavefront6targetE1EEEvSJ_ ; -- Begin function _ZN7rocprim17ROCPRIM_400000_NS6detail17trampoline_kernelINS0_14default_configENS1_38merge_sort_block_merge_config_selectorIyyEEZZNS1_27merge_sort_block_merge_implIS3_N6thrust23THRUST_200600_302600_NS6detail15normal_iteratorINS8_10device_ptrIyEEEESD_jNS1_19radix_merge_compareILb0ELb0EyNS0_19identity_decomposerEEEEE10hipError_tT0_T1_T2_jT3_P12ihipStream_tbPNSt15iterator_traitsISI_E10value_typeEPNSO_ISJ_E10value_typeEPSK_NS1_7vsmem_tEENKUlT_SI_SJ_SK_E_clIPySD_S10_SD_EESH_SX_SI_SJ_SK_EUlSX_E1_NS1_11comp_targetILNS1_3genE8ELNS1_11target_archE1030ELNS1_3gpuE2ELNS1_3repE0EEENS1_36merge_oddeven_config_static_selectorELNS0_4arch9wavefront6targetE1EEEvSJ_
	.globl	_ZN7rocprim17ROCPRIM_400000_NS6detail17trampoline_kernelINS0_14default_configENS1_38merge_sort_block_merge_config_selectorIyyEEZZNS1_27merge_sort_block_merge_implIS3_N6thrust23THRUST_200600_302600_NS6detail15normal_iteratorINS8_10device_ptrIyEEEESD_jNS1_19radix_merge_compareILb0ELb0EyNS0_19identity_decomposerEEEEE10hipError_tT0_T1_T2_jT3_P12ihipStream_tbPNSt15iterator_traitsISI_E10value_typeEPNSO_ISJ_E10value_typeEPSK_NS1_7vsmem_tEENKUlT_SI_SJ_SK_E_clIPySD_S10_SD_EESH_SX_SI_SJ_SK_EUlSX_E1_NS1_11comp_targetILNS1_3genE8ELNS1_11target_archE1030ELNS1_3gpuE2ELNS1_3repE0EEENS1_36merge_oddeven_config_static_selectorELNS0_4arch9wavefront6targetE1EEEvSJ_
	.p2align	8
	.type	_ZN7rocprim17ROCPRIM_400000_NS6detail17trampoline_kernelINS0_14default_configENS1_38merge_sort_block_merge_config_selectorIyyEEZZNS1_27merge_sort_block_merge_implIS3_N6thrust23THRUST_200600_302600_NS6detail15normal_iteratorINS8_10device_ptrIyEEEESD_jNS1_19radix_merge_compareILb0ELb0EyNS0_19identity_decomposerEEEEE10hipError_tT0_T1_T2_jT3_P12ihipStream_tbPNSt15iterator_traitsISI_E10value_typeEPNSO_ISJ_E10value_typeEPSK_NS1_7vsmem_tEENKUlT_SI_SJ_SK_E_clIPySD_S10_SD_EESH_SX_SI_SJ_SK_EUlSX_E1_NS1_11comp_targetILNS1_3genE8ELNS1_11target_archE1030ELNS1_3gpuE2ELNS1_3repE0EEENS1_36merge_oddeven_config_static_selectorELNS0_4arch9wavefront6targetE1EEEvSJ_,@function
_ZN7rocprim17ROCPRIM_400000_NS6detail17trampoline_kernelINS0_14default_configENS1_38merge_sort_block_merge_config_selectorIyyEEZZNS1_27merge_sort_block_merge_implIS3_N6thrust23THRUST_200600_302600_NS6detail15normal_iteratorINS8_10device_ptrIyEEEESD_jNS1_19radix_merge_compareILb0ELb0EyNS0_19identity_decomposerEEEEE10hipError_tT0_T1_T2_jT3_P12ihipStream_tbPNSt15iterator_traitsISI_E10value_typeEPNSO_ISJ_E10value_typeEPSK_NS1_7vsmem_tEENKUlT_SI_SJ_SK_E_clIPySD_S10_SD_EESH_SX_SI_SJ_SK_EUlSX_E1_NS1_11comp_targetILNS1_3genE8ELNS1_11target_archE1030ELNS1_3gpuE2ELNS1_3repE0EEENS1_36merge_oddeven_config_static_selectorELNS0_4arch9wavefront6targetE1EEEvSJ_: ; @_ZN7rocprim17ROCPRIM_400000_NS6detail17trampoline_kernelINS0_14default_configENS1_38merge_sort_block_merge_config_selectorIyyEEZZNS1_27merge_sort_block_merge_implIS3_N6thrust23THRUST_200600_302600_NS6detail15normal_iteratorINS8_10device_ptrIyEEEESD_jNS1_19radix_merge_compareILb0ELb0EyNS0_19identity_decomposerEEEEE10hipError_tT0_T1_T2_jT3_P12ihipStream_tbPNSt15iterator_traitsISI_E10value_typeEPNSO_ISJ_E10value_typeEPSK_NS1_7vsmem_tEENKUlT_SI_SJ_SK_E_clIPySD_S10_SD_EESH_SX_SI_SJ_SK_EUlSX_E1_NS1_11comp_targetILNS1_3genE8ELNS1_11target_archE1030ELNS1_3gpuE2ELNS1_3repE0EEENS1_36merge_oddeven_config_static_selectorELNS0_4arch9wavefront6targetE1EEEvSJ_
; %bb.0:
	.section	.rodata,"a",@progbits
	.p2align	6, 0x0
	.amdhsa_kernel _ZN7rocprim17ROCPRIM_400000_NS6detail17trampoline_kernelINS0_14default_configENS1_38merge_sort_block_merge_config_selectorIyyEEZZNS1_27merge_sort_block_merge_implIS3_N6thrust23THRUST_200600_302600_NS6detail15normal_iteratorINS8_10device_ptrIyEEEESD_jNS1_19radix_merge_compareILb0ELb0EyNS0_19identity_decomposerEEEEE10hipError_tT0_T1_T2_jT3_P12ihipStream_tbPNSt15iterator_traitsISI_E10value_typeEPNSO_ISJ_E10value_typeEPSK_NS1_7vsmem_tEENKUlT_SI_SJ_SK_E_clIPySD_S10_SD_EESH_SX_SI_SJ_SK_EUlSX_E1_NS1_11comp_targetILNS1_3genE8ELNS1_11target_archE1030ELNS1_3gpuE2ELNS1_3repE0EEENS1_36merge_oddeven_config_static_selectorELNS0_4arch9wavefront6targetE1EEEvSJ_
		.amdhsa_group_segment_fixed_size 0
		.amdhsa_private_segment_fixed_size 0
		.amdhsa_kernarg_size 48
		.amdhsa_user_sgpr_count 2
		.amdhsa_user_sgpr_dispatch_ptr 0
		.amdhsa_user_sgpr_queue_ptr 0
		.amdhsa_user_sgpr_kernarg_segment_ptr 1
		.amdhsa_user_sgpr_dispatch_id 0
		.amdhsa_user_sgpr_kernarg_preload_length 0
		.amdhsa_user_sgpr_kernarg_preload_offset 0
		.amdhsa_user_sgpr_private_segment_size 0
		.amdhsa_uses_dynamic_stack 0
		.amdhsa_enable_private_segment 0
		.amdhsa_system_sgpr_workgroup_id_x 1
		.amdhsa_system_sgpr_workgroup_id_y 0
		.amdhsa_system_sgpr_workgroup_id_z 0
		.amdhsa_system_sgpr_workgroup_info 0
		.amdhsa_system_vgpr_workitem_id 0
		.amdhsa_next_free_vgpr 1
		.amdhsa_next_free_sgpr 0
		.amdhsa_accum_offset 4
		.amdhsa_reserve_vcc 0
		.amdhsa_float_round_mode_32 0
		.amdhsa_float_round_mode_16_64 0
		.amdhsa_float_denorm_mode_32 3
		.amdhsa_float_denorm_mode_16_64 3
		.amdhsa_dx10_clamp 1
		.amdhsa_ieee_mode 1
		.amdhsa_fp16_overflow 0
		.amdhsa_tg_split 0
		.amdhsa_exception_fp_ieee_invalid_op 0
		.amdhsa_exception_fp_denorm_src 0
		.amdhsa_exception_fp_ieee_div_zero 0
		.amdhsa_exception_fp_ieee_overflow 0
		.amdhsa_exception_fp_ieee_underflow 0
		.amdhsa_exception_fp_ieee_inexact 0
		.amdhsa_exception_int_div_zero 0
	.end_amdhsa_kernel
	.section	.text._ZN7rocprim17ROCPRIM_400000_NS6detail17trampoline_kernelINS0_14default_configENS1_38merge_sort_block_merge_config_selectorIyyEEZZNS1_27merge_sort_block_merge_implIS3_N6thrust23THRUST_200600_302600_NS6detail15normal_iteratorINS8_10device_ptrIyEEEESD_jNS1_19radix_merge_compareILb0ELb0EyNS0_19identity_decomposerEEEEE10hipError_tT0_T1_T2_jT3_P12ihipStream_tbPNSt15iterator_traitsISI_E10value_typeEPNSO_ISJ_E10value_typeEPSK_NS1_7vsmem_tEENKUlT_SI_SJ_SK_E_clIPySD_S10_SD_EESH_SX_SI_SJ_SK_EUlSX_E1_NS1_11comp_targetILNS1_3genE8ELNS1_11target_archE1030ELNS1_3gpuE2ELNS1_3repE0EEENS1_36merge_oddeven_config_static_selectorELNS0_4arch9wavefront6targetE1EEEvSJ_,"axG",@progbits,_ZN7rocprim17ROCPRIM_400000_NS6detail17trampoline_kernelINS0_14default_configENS1_38merge_sort_block_merge_config_selectorIyyEEZZNS1_27merge_sort_block_merge_implIS3_N6thrust23THRUST_200600_302600_NS6detail15normal_iteratorINS8_10device_ptrIyEEEESD_jNS1_19radix_merge_compareILb0ELb0EyNS0_19identity_decomposerEEEEE10hipError_tT0_T1_T2_jT3_P12ihipStream_tbPNSt15iterator_traitsISI_E10value_typeEPNSO_ISJ_E10value_typeEPSK_NS1_7vsmem_tEENKUlT_SI_SJ_SK_E_clIPySD_S10_SD_EESH_SX_SI_SJ_SK_EUlSX_E1_NS1_11comp_targetILNS1_3genE8ELNS1_11target_archE1030ELNS1_3gpuE2ELNS1_3repE0EEENS1_36merge_oddeven_config_static_selectorELNS0_4arch9wavefront6targetE1EEEvSJ_,comdat
.Lfunc_end419:
	.size	_ZN7rocprim17ROCPRIM_400000_NS6detail17trampoline_kernelINS0_14default_configENS1_38merge_sort_block_merge_config_selectorIyyEEZZNS1_27merge_sort_block_merge_implIS3_N6thrust23THRUST_200600_302600_NS6detail15normal_iteratorINS8_10device_ptrIyEEEESD_jNS1_19radix_merge_compareILb0ELb0EyNS0_19identity_decomposerEEEEE10hipError_tT0_T1_T2_jT3_P12ihipStream_tbPNSt15iterator_traitsISI_E10value_typeEPNSO_ISJ_E10value_typeEPSK_NS1_7vsmem_tEENKUlT_SI_SJ_SK_E_clIPySD_S10_SD_EESH_SX_SI_SJ_SK_EUlSX_E1_NS1_11comp_targetILNS1_3genE8ELNS1_11target_archE1030ELNS1_3gpuE2ELNS1_3repE0EEENS1_36merge_oddeven_config_static_selectorELNS0_4arch9wavefront6targetE1EEEvSJ_, .Lfunc_end419-_ZN7rocprim17ROCPRIM_400000_NS6detail17trampoline_kernelINS0_14default_configENS1_38merge_sort_block_merge_config_selectorIyyEEZZNS1_27merge_sort_block_merge_implIS3_N6thrust23THRUST_200600_302600_NS6detail15normal_iteratorINS8_10device_ptrIyEEEESD_jNS1_19radix_merge_compareILb0ELb0EyNS0_19identity_decomposerEEEEE10hipError_tT0_T1_T2_jT3_P12ihipStream_tbPNSt15iterator_traitsISI_E10value_typeEPNSO_ISJ_E10value_typeEPSK_NS1_7vsmem_tEENKUlT_SI_SJ_SK_E_clIPySD_S10_SD_EESH_SX_SI_SJ_SK_EUlSX_E1_NS1_11comp_targetILNS1_3genE8ELNS1_11target_archE1030ELNS1_3gpuE2ELNS1_3repE0EEENS1_36merge_oddeven_config_static_selectorELNS0_4arch9wavefront6targetE1EEEvSJ_
                                        ; -- End function
	.set _ZN7rocprim17ROCPRIM_400000_NS6detail17trampoline_kernelINS0_14default_configENS1_38merge_sort_block_merge_config_selectorIyyEEZZNS1_27merge_sort_block_merge_implIS3_N6thrust23THRUST_200600_302600_NS6detail15normal_iteratorINS8_10device_ptrIyEEEESD_jNS1_19radix_merge_compareILb0ELb0EyNS0_19identity_decomposerEEEEE10hipError_tT0_T1_T2_jT3_P12ihipStream_tbPNSt15iterator_traitsISI_E10value_typeEPNSO_ISJ_E10value_typeEPSK_NS1_7vsmem_tEENKUlT_SI_SJ_SK_E_clIPySD_S10_SD_EESH_SX_SI_SJ_SK_EUlSX_E1_NS1_11comp_targetILNS1_3genE8ELNS1_11target_archE1030ELNS1_3gpuE2ELNS1_3repE0EEENS1_36merge_oddeven_config_static_selectorELNS0_4arch9wavefront6targetE1EEEvSJ_.num_vgpr, 0
	.set _ZN7rocprim17ROCPRIM_400000_NS6detail17trampoline_kernelINS0_14default_configENS1_38merge_sort_block_merge_config_selectorIyyEEZZNS1_27merge_sort_block_merge_implIS3_N6thrust23THRUST_200600_302600_NS6detail15normal_iteratorINS8_10device_ptrIyEEEESD_jNS1_19radix_merge_compareILb0ELb0EyNS0_19identity_decomposerEEEEE10hipError_tT0_T1_T2_jT3_P12ihipStream_tbPNSt15iterator_traitsISI_E10value_typeEPNSO_ISJ_E10value_typeEPSK_NS1_7vsmem_tEENKUlT_SI_SJ_SK_E_clIPySD_S10_SD_EESH_SX_SI_SJ_SK_EUlSX_E1_NS1_11comp_targetILNS1_3genE8ELNS1_11target_archE1030ELNS1_3gpuE2ELNS1_3repE0EEENS1_36merge_oddeven_config_static_selectorELNS0_4arch9wavefront6targetE1EEEvSJ_.num_agpr, 0
	.set _ZN7rocprim17ROCPRIM_400000_NS6detail17trampoline_kernelINS0_14default_configENS1_38merge_sort_block_merge_config_selectorIyyEEZZNS1_27merge_sort_block_merge_implIS3_N6thrust23THRUST_200600_302600_NS6detail15normal_iteratorINS8_10device_ptrIyEEEESD_jNS1_19radix_merge_compareILb0ELb0EyNS0_19identity_decomposerEEEEE10hipError_tT0_T1_T2_jT3_P12ihipStream_tbPNSt15iterator_traitsISI_E10value_typeEPNSO_ISJ_E10value_typeEPSK_NS1_7vsmem_tEENKUlT_SI_SJ_SK_E_clIPySD_S10_SD_EESH_SX_SI_SJ_SK_EUlSX_E1_NS1_11comp_targetILNS1_3genE8ELNS1_11target_archE1030ELNS1_3gpuE2ELNS1_3repE0EEENS1_36merge_oddeven_config_static_selectorELNS0_4arch9wavefront6targetE1EEEvSJ_.numbered_sgpr, 0
	.set _ZN7rocprim17ROCPRIM_400000_NS6detail17trampoline_kernelINS0_14default_configENS1_38merge_sort_block_merge_config_selectorIyyEEZZNS1_27merge_sort_block_merge_implIS3_N6thrust23THRUST_200600_302600_NS6detail15normal_iteratorINS8_10device_ptrIyEEEESD_jNS1_19radix_merge_compareILb0ELb0EyNS0_19identity_decomposerEEEEE10hipError_tT0_T1_T2_jT3_P12ihipStream_tbPNSt15iterator_traitsISI_E10value_typeEPNSO_ISJ_E10value_typeEPSK_NS1_7vsmem_tEENKUlT_SI_SJ_SK_E_clIPySD_S10_SD_EESH_SX_SI_SJ_SK_EUlSX_E1_NS1_11comp_targetILNS1_3genE8ELNS1_11target_archE1030ELNS1_3gpuE2ELNS1_3repE0EEENS1_36merge_oddeven_config_static_selectorELNS0_4arch9wavefront6targetE1EEEvSJ_.num_named_barrier, 0
	.set _ZN7rocprim17ROCPRIM_400000_NS6detail17trampoline_kernelINS0_14default_configENS1_38merge_sort_block_merge_config_selectorIyyEEZZNS1_27merge_sort_block_merge_implIS3_N6thrust23THRUST_200600_302600_NS6detail15normal_iteratorINS8_10device_ptrIyEEEESD_jNS1_19radix_merge_compareILb0ELb0EyNS0_19identity_decomposerEEEEE10hipError_tT0_T1_T2_jT3_P12ihipStream_tbPNSt15iterator_traitsISI_E10value_typeEPNSO_ISJ_E10value_typeEPSK_NS1_7vsmem_tEENKUlT_SI_SJ_SK_E_clIPySD_S10_SD_EESH_SX_SI_SJ_SK_EUlSX_E1_NS1_11comp_targetILNS1_3genE8ELNS1_11target_archE1030ELNS1_3gpuE2ELNS1_3repE0EEENS1_36merge_oddeven_config_static_selectorELNS0_4arch9wavefront6targetE1EEEvSJ_.private_seg_size, 0
	.set _ZN7rocprim17ROCPRIM_400000_NS6detail17trampoline_kernelINS0_14default_configENS1_38merge_sort_block_merge_config_selectorIyyEEZZNS1_27merge_sort_block_merge_implIS3_N6thrust23THRUST_200600_302600_NS6detail15normal_iteratorINS8_10device_ptrIyEEEESD_jNS1_19radix_merge_compareILb0ELb0EyNS0_19identity_decomposerEEEEE10hipError_tT0_T1_T2_jT3_P12ihipStream_tbPNSt15iterator_traitsISI_E10value_typeEPNSO_ISJ_E10value_typeEPSK_NS1_7vsmem_tEENKUlT_SI_SJ_SK_E_clIPySD_S10_SD_EESH_SX_SI_SJ_SK_EUlSX_E1_NS1_11comp_targetILNS1_3genE8ELNS1_11target_archE1030ELNS1_3gpuE2ELNS1_3repE0EEENS1_36merge_oddeven_config_static_selectorELNS0_4arch9wavefront6targetE1EEEvSJ_.uses_vcc, 0
	.set _ZN7rocprim17ROCPRIM_400000_NS6detail17trampoline_kernelINS0_14default_configENS1_38merge_sort_block_merge_config_selectorIyyEEZZNS1_27merge_sort_block_merge_implIS3_N6thrust23THRUST_200600_302600_NS6detail15normal_iteratorINS8_10device_ptrIyEEEESD_jNS1_19radix_merge_compareILb0ELb0EyNS0_19identity_decomposerEEEEE10hipError_tT0_T1_T2_jT3_P12ihipStream_tbPNSt15iterator_traitsISI_E10value_typeEPNSO_ISJ_E10value_typeEPSK_NS1_7vsmem_tEENKUlT_SI_SJ_SK_E_clIPySD_S10_SD_EESH_SX_SI_SJ_SK_EUlSX_E1_NS1_11comp_targetILNS1_3genE8ELNS1_11target_archE1030ELNS1_3gpuE2ELNS1_3repE0EEENS1_36merge_oddeven_config_static_selectorELNS0_4arch9wavefront6targetE1EEEvSJ_.uses_flat_scratch, 0
	.set _ZN7rocprim17ROCPRIM_400000_NS6detail17trampoline_kernelINS0_14default_configENS1_38merge_sort_block_merge_config_selectorIyyEEZZNS1_27merge_sort_block_merge_implIS3_N6thrust23THRUST_200600_302600_NS6detail15normal_iteratorINS8_10device_ptrIyEEEESD_jNS1_19radix_merge_compareILb0ELb0EyNS0_19identity_decomposerEEEEE10hipError_tT0_T1_T2_jT3_P12ihipStream_tbPNSt15iterator_traitsISI_E10value_typeEPNSO_ISJ_E10value_typeEPSK_NS1_7vsmem_tEENKUlT_SI_SJ_SK_E_clIPySD_S10_SD_EESH_SX_SI_SJ_SK_EUlSX_E1_NS1_11comp_targetILNS1_3genE8ELNS1_11target_archE1030ELNS1_3gpuE2ELNS1_3repE0EEENS1_36merge_oddeven_config_static_selectorELNS0_4arch9wavefront6targetE1EEEvSJ_.has_dyn_sized_stack, 0
	.set _ZN7rocprim17ROCPRIM_400000_NS6detail17trampoline_kernelINS0_14default_configENS1_38merge_sort_block_merge_config_selectorIyyEEZZNS1_27merge_sort_block_merge_implIS3_N6thrust23THRUST_200600_302600_NS6detail15normal_iteratorINS8_10device_ptrIyEEEESD_jNS1_19radix_merge_compareILb0ELb0EyNS0_19identity_decomposerEEEEE10hipError_tT0_T1_T2_jT3_P12ihipStream_tbPNSt15iterator_traitsISI_E10value_typeEPNSO_ISJ_E10value_typeEPSK_NS1_7vsmem_tEENKUlT_SI_SJ_SK_E_clIPySD_S10_SD_EESH_SX_SI_SJ_SK_EUlSX_E1_NS1_11comp_targetILNS1_3genE8ELNS1_11target_archE1030ELNS1_3gpuE2ELNS1_3repE0EEENS1_36merge_oddeven_config_static_selectorELNS0_4arch9wavefront6targetE1EEEvSJ_.has_recursion, 0
	.set _ZN7rocprim17ROCPRIM_400000_NS6detail17trampoline_kernelINS0_14default_configENS1_38merge_sort_block_merge_config_selectorIyyEEZZNS1_27merge_sort_block_merge_implIS3_N6thrust23THRUST_200600_302600_NS6detail15normal_iteratorINS8_10device_ptrIyEEEESD_jNS1_19radix_merge_compareILb0ELb0EyNS0_19identity_decomposerEEEEE10hipError_tT0_T1_T2_jT3_P12ihipStream_tbPNSt15iterator_traitsISI_E10value_typeEPNSO_ISJ_E10value_typeEPSK_NS1_7vsmem_tEENKUlT_SI_SJ_SK_E_clIPySD_S10_SD_EESH_SX_SI_SJ_SK_EUlSX_E1_NS1_11comp_targetILNS1_3genE8ELNS1_11target_archE1030ELNS1_3gpuE2ELNS1_3repE0EEENS1_36merge_oddeven_config_static_selectorELNS0_4arch9wavefront6targetE1EEEvSJ_.has_indirect_call, 0
	.section	.AMDGPU.csdata,"",@progbits
; Kernel info:
; codeLenInByte = 0
; TotalNumSgprs: 6
; NumVgprs: 0
; NumAgprs: 0
; TotalNumVgprs: 0
; ScratchSize: 0
; MemoryBound: 0
; FloatMode: 240
; IeeeMode: 1
; LDSByteSize: 0 bytes/workgroup (compile time only)
; SGPRBlocks: 0
; VGPRBlocks: 0
; NumSGPRsForWavesPerEU: 6
; NumVGPRsForWavesPerEU: 1
; AccumOffset: 4
; Occupancy: 8
; WaveLimiterHint : 0
; COMPUTE_PGM_RSRC2:SCRATCH_EN: 0
; COMPUTE_PGM_RSRC2:USER_SGPR: 2
; COMPUTE_PGM_RSRC2:TRAP_HANDLER: 0
; COMPUTE_PGM_RSRC2:TGID_X_EN: 1
; COMPUTE_PGM_RSRC2:TGID_Y_EN: 0
; COMPUTE_PGM_RSRC2:TGID_Z_EN: 0
; COMPUTE_PGM_RSRC2:TIDIG_COMP_CNT: 0
; COMPUTE_PGM_RSRC3_GFX90A:ACCUM_OFFSET: 0
; COMPUTE_PGM_RSRC3_GFX90A:TG_SPLIT: 0
	.section	.text._ZN7rocprim17ROCPRIM_400000_NS6detail17trampoline_kernelINS0_14default_configENS1_38merge_sort_block_merge_config_selectorIyyEEZZNS1_27merge_sort_block_merge_implIS3_N6thrust23THRUST_200600_302600_NS6detail15normal_iteratorINS8_10device_ptrIyEEEESD_jNS1_19radix_merge_compareILb0ELb0EyNS0_19identity_decomposerEEEEE10hipError_tT0_T1_T2_jT3_P12ihipStream_tbPNSt15iterator_traitsISI_E10value_typeEPNSO_ISJ_E10value_typeEPSK_NS1_7vsmem_tEENKUlT_SI_SJ_SK_E_clISD_PySD_S10_EESH_SX_SI_SJ_SK_EUlSX_E_NS1_11comp_targetILNS1_3genE0ELNS1_11target_archE4294967295ELNS1_3gpuE0ELNS1_3repE0EEENS1_48merge_mergepath_partition_config_static_selectorELNS0_4arch9wavefront6targetE1EEEvSJ_,"axG",@progbits,_ZN7rocprim17ROCPRIM_400000_NS6detail17trampoline_kernelINS0_14default_configENS1_38merge_sort_block_merge_config_selectorIyyEEZZNS1_27merge_sort_block_merge_implIS3_N6thrust23THRUST_200600_302600_NS6detail15normal_iteratorINS8_10device_ptrIyEEEESD_jNS1_19radix_merge_compareILb0ELb0EyNS0_19identity_decomposerEEEEE10hipError_tT0_T1_T2_jT3_P12ihipStream_tbPNSt15iterator_traitsISI_E10value_typeEPNSO_ISJ_E10value_typeEPSK_NS1_7vsmem_tEENKUlT_SI_SJ_SK_E_clISD_PySD_S10_EESH_SX_SI_SJ_SK_EUlSX_E_NS1_11comp_targetILNS1_3genE0ELNS1_11target_archE4294967295ELNS1_3gpuE0ELNS1_3repE0EEENS1_48merge_mergepath_partition_config_static_selectorELNS0_4arch9wavefront6targetE1EEEvSJ_,comdat
	.protected	_ZN7rocprim17ROCPRIM_400000_NS6detail17trampoline_kernelINS0_14default_configENS1_38merge_sort_block_merge_config_selectorIyyEEZZNS1_27merge_sort_block_merge_implIS3_N6thrust23THRUST_200600_302600_NS6detail15normal_iteratorINS8_10device_ptrIyEEEESD_jNS1_19radix_merge_compareILb0ELb0EyNS0_19identity_decomposerEEEEE10hipError_tT0_T1_T2_jT3_P12ihipStream_tbPNSt15iterator_traitsISI_E10value_typeEPNSO_ISJ_E10value_typeEPSK_NS1_7vsmem_tEENKUlT_SI_SJ_SK_E_clISD_PySD_S10_EESH_SX_SI_SJ_SK_EUlSX_E_NS1_11comp_targetILNS1_3genE0ELNS1_11target_archE4294967295ELNS1_3gpuE0ELNS1_3repE0EEENS1_48merge_mergepath_partition_config_static_selectorELNS0_4arch9wavefront6targetE1EEEvSJ_ ; -- Begin function _ZN7rocprim17ROCPRIM_400000_NS6detail17trampoline_kernelINS0_14default_configENS1_38merge_sort_block_merge_config_selectorIyyEEZZNS1_27merge_sort_block_merge_implIS3_N6thrust23THRUST_200600_302600_NS6detail15normal_iteratorINS8_10device_ptrIyEEEESD_jNS1_19radix_merge_compareILb0ELb0EyNS0_19identity_decomposerEEEEE10hipError_tT0_T1_T2_jT3_P12ihipStream_tbPNSt15iterator_traitsISI_E10value_typeEPNSO_ISJ_E10value_typeEPSK_NS1_7vsmem_tEENKUlT_SI_SJ_SK_E_clISD_PySD_S10_EESH_SX_SI_SJ_SK_EUlSX_E_NS1_11comp_targetILNS1_3genE0ELNS1_11target_archE4294967295ELNS1_3gpuE0ELNS1_3repE0EEENS1_48merge_mergepath_partition_config_static_selectorELNS0_4arch9wavefront6targetE1EEEvSJ_
	.globl	_ZN7rocprim17ROCPRIM_400000_NS6detail17trampoline_kernelINS0_14default_configENS1_38merge_sort_block_merge_config_selectorIyyEEZZNS1_27merge_sort_block_merge_implIS3_N6thrust23THRUST_200600_302600_NS6detail15normal_iteratorINS8_10device_ptrIyEEEESD_jNS1_19radix_merge_compareILb0ELb0EyNS0_19identity_decomposerEEEEE10hipError_tT0_T1_T2_jT3_P12ihipStream_tbPNSt15iterator_traitsISI_E10value_typeEPNSO_ISJ_E10value_typeEPSK_NS1_7vsmem_tEENKUlT_SI_SJ_SK_E_clISD_PySD_S10_EESH_SX_SI_SJ_SK_EUlSX_E_NS1_11comp_targetILNS1_3genE0ELNS1_11target_archE4294967295ELNS1_3gpuE0ELNS1_3repE0EEENS1_48merge_mergepath_partition_config_static_selectorELNS0_4arch9wavefront6targetE1EEEvSJ_
	.p2align	8
	.type	_ZN7rocprim17ROCPRIM_400000_NS6detail17trampoline_kernelINS0_14default_configENS1_38merge_sort_block_merge_config_selectorIyyEEZZNS1_27merge_sort_block_merge_implIS3_N6thrust23THRUST_200600_302600_NS6detail15normal_iteratorINS8_10device_ptrIyEEEESD_jNS1_19radix_merge_compareILb0ELb0EyNS0_19identity_decomposerEEEEE10hipError_tT0_T1_T2_jT3_P12ihipStream_tbPNSt15iterator_traitsISI_E10value_typeEPNSO_ISJ_E10value_typeEPSK_NS1_7vsmem_tEENKUlT_SI_SJ_SK_E_clISD_PySD_S10_EESH_SX_SI_SJ_SK_EUlSX_E_NS1_11comp_targetILNS1_3genE0ELNS1_11target_archE4294967295ELNS1_3gpuE0ELNS1_3repE0EEENS1_48merge_mergepath_partition_config_static_selectorELNS0_4arch9wavefront6targetE1EEEvSJ_,@function
_ZN7rocprim17ROCPRIM_400000_NS6detail17trampoline_kernelINS0_14default_configENS1_38merge_sort_block_merge_config_selectorIyyEEZZNS1_27merge_sort_block_merge_implIS3_N6thrust23THRUST_200600_302600_NS6detail15normal_iteratorINS8_10device_ptrIyEEEESD_jNS1_19radix_merge_compareILb0ELb0EyNS0_19identity_decomposerEEEEE10hipError_tT0_T1_T2_jT3_P12ihipStream_tbPNSt15iterator_traitsISI_E10value_typeEPNSO_ISJ_E10value_typeEPSK_NS1_7vsmem_tEENKUlT_SI_SJ_SK_E_clISD_PySD_S10_EESH_SX_SI_SJ_SK_EUlSX_E_NS1_11comp_targetILNS1_3genE0ELNS1_11target_archE4294967295ELNS1_3gpuE0ELNS1_3repE0EEENS1_48merge_mergepath_partition_config_static_selectorELNS0_4arch9wavefront6targetE1EEEvSJ_: ; @_ZN7rocprim17ROCPRIM_400000_NS6detail17trampoline_kernelINS0_14default_configENS1_38merge_sort_block_merge_config_selectorIyyEEZZNS1_27merge_sort_block_merge_implIS3_N6thrust23THRUST_200600_302600_NS6detail15normal_iteratorINS8_10device_ptrIyEEEESD_jNS1_19radix_merge_compareILb0ELb0EyNS0_19identity_decomposerEEEEE10hipError_tT0_T1_T2_jT3_P12ihipStream_tbPNSt15iterator_traitsISI_E10value_typeEPNSO_ISJ_E10value_typeEPSK_NS1_7vsmem_tEENKUlT_SI_SJ_SK_E_clISD_PySD_S10_EESH_SX_SI_SJ_SK_EUlSX_E_NS1_11comp_targetILNS1_3genE0ELNS1_11target_archE4294967295ELNS1_3gpuE0ELNS1_3repE0EEENS1_48merge_mergepath_partition_config_static_selectorELNS0_4arch9wavefront6targetE1EEEvSJ_
; %bb.0:
	s_load_dword s3, s[0:1], 0x0
	v_lshl_or_b32 v0, s2, 7, v0
	s_waitcnt lgkmcnt(0)
	v_cmp_gt_u32_e32 vcc, s3, v0
	s_and_saveexec_b64 s[2:3], vcc
	s_cbranch_execz .LBB420_6
; %bb.1:
	s_load_dwordx2 s[4:5], s[0:1], 0x4
	s_load_dwordx2 s[2:3], s[0:1], 0x20
	s_waitcnt lgkmcnt(0)
	s_lshr_b32 s6, s4, 9
	s_and_b32 s6, s6, 0x7ffffe
	s_add_i32 s7, s6, -1
	s_sub_i32 s6, 0, s6
	v_and_b32_e32 v1, s6, v0
	v_lshlrev_b32_e32 v1, 10, v1
	v_min_u32_e32 v2, s5, v1
	v_add_u32_e32 v1, s4, v1
	v_min_u32_e32 v4, s5, v1
	v_add_u32_e32 v1, s4, v4
	v_and_b32_e32 v3, s7, v0
	v_min_u32_e32 v1, s5, v1
	v_sub_u32_e32 v5, v1, v2
	v_lshlrev_b32_e32 v3, 10, v3
	v_min_u32_e32 v10, v5, v3
	v_sub_u32_e32 v3, v4, v2
	v_sub_u32_e32 v1, v1, v4
	v_sub_u32_e64 v1, v10, v1 clamp
	v_min_u32_e32 v11, v10, v3
	v_cmp_lt_u32_e32 vcc, v1, v11
	s_and_saveexec_b64 s[4:5], vcc
	s_cbranch_execz .LBB420_5
; %bb.2:
	s_load_dwordx2 s[0:1], s[0:1], 0x10
	v_mov_b32_e32 v5, 0
	v_mov_b32_e32 v3, v5
	s_waitcnt lgkmcnt(0)
	v_lshl_add_u64 v[6:7], v[2:3], 3, s[0:1]
	v_lshl_add_u64 v[8:9], v[4:5], 3, s[0:1]
	s_mov_b64 s[0:1], 0
.LBB420_3:                              ; =>This Inner Loop Header: Depth=1
	v_add_u32_e32 v3, v11, v1
	v_lshrrev_b32_e32 v4, 1, v3
	v_mov_b32_e32 v13, v5
	v_xad_u32 v12, v4, -1, v10
	v_lshl_add_u64 v[14:15], v[4:5], 3, v[6:7]
	v_lshl_add_u64 v[12:13], v[12:13], 3, v[8:9]
	flat_load_dwordx2 v[16:17], v[14:15]
	flat_load_dwordx2 v[18:19], v[12:13]
	v_add_u32_e32 v3, 1, v4
	s_waitcnt vmcnt(0) lgkmcnt(0)
	v_cmp_gt_u64_e32 vcc, v[16:17], v[18:19]
	s_nop 1
	v_cndmask_b32_e32 v11, v11, v4, vcc
	v_cndmask_b32_e32 v1, v3, v1, vcc
	v_cmp_ge_u32_e32 vcc, v1, v11
	s_or_b64 s[0:1], vcc, s[0:1]
	s_andn2_b64 exec, exec, s[0:1]
	s_cbranch_execnz .LBB420_3
; %bb.4:
	s_or_b64 exec, exec, s[0:1]
.LBB420_5:
	s_or_b64 exec, exec, s[4:5]
	v_add_u32_e32 v2, v1, v2
	v_mov_b32_e32 v1, 0
	v_lshl_add_u64 v[0:1], v[0:1], 2, s[2:3]
	global_store_dword v[0:1], v2, off
.LBB420_6:
	s_endpgm
	.section	.rodata,"a",@progbits
	.p2align	6, 0x0
	.amdhsa_kernel _ZN7rocprim17ROCPRIM_400000_NS6detail17trampoline_kernelINS0_14default_configENS1_38merge_sort_block_merge_config_selectorIyyEEZZNS1_27merge_sort_block_merge_implIS3_N6thrust23THRUST_200600_302600_NS6detail15normal_iteratorINS8_10device_ptrIyEEEESD_jNS1_19radix_merge_compareILb0ELb0EyNS0_19identity_decomposerEEEEE10hipError_tT0_T1_T2_jT3_P12ihipStream_tbPNSt15iterator_traitsISI_E10value_typeEPNSO_ISJ_E10value_typeEPSK_NS1_7vsmem_tEENKUlT_SI_SJ_SK_E_clISD_PySD_S10_EESH_SX_SI_SJ_SK_EUlSX_E_NS1_11comp_targetILNS1_3genE0ELNS1_11target_archE4294967295ELNS1_3gpuE0ELNS1_3repE0EEENS1_48merge_mergepath_partition_config_static_selectorELNS0_4arch9wavefront6targetE1EEEvSJ_
		.amdhsa_group_segment_fixed_size 0
		.amdhsa_private_segment_fixed_size 0
		.amdhsa_kernarg_size 40
		.amdhsa_user_sgpr_count 2
		.amdhsa_user_sgpr_dispatch_ptr 0
		.amdhsa_user_sgpr_queue_ptr 0
		.amdhsa_user_sgpr_kernarg_segment_ptr 1
		.amdhsa_user_sgpr_dispatch_id 0
		.amdhsa_user_sgpr_kernarg_preload_length 0
		.amdhsa_user_sgpr_kernarg_preload_offset 0
		.amdhsa_user_sgpr_private_segment_size 0
		.amdhsa_uses_dynamic_stack 0
		.amdhsa_enable_private_segment 0
		.amdhsa_system_sgpr_workgroup_id_x 1
		.amdhsa_system_sgpr_workgroup_id_y 0
		.amdhsa_system_sgpr_workgroup_id_z 0
		.amdhsa_system_sgpr_workgroup_info 0
		.amdhsa_system_vgpr_workitem_id 0
		.amdhsa_next_free_vgpr 20
		.amdhsa_next_free_sgpr 8
		.amdhsa_accum_offset 20
		.amdhsa_reserve_vcc 1
		.amdhsa_float_round_mode_32 0
		.amdhsa_float_round_mode_16_64 0
		.amdhsa_float_denorm_mode_32 3
		.amdhsa_float_denorm_mode_16_64 3
		.amdhsa_dx10_clamp 1
		.amdhsa_ieee_mode 1
		.amdhsa_fp16_overflow 0
		.amdhsa_tg_split 0
		.amdhsa_exception_fp_ieee_invalid_op 0
		.amdhsa_exception_fp_denorm_src 0
		.amdhsa_exception_fp_ieee_div_zero 0
		.amdhsa_exception_fp_ieee_overflow 0
		.amdhsa_exception_fp_ieee_underflow 0
		.amdhsa_exception_fp_ieee_inexact 0
		.amdhsa_exception_int_div_zero 0
	.end_amdhsa_kernel
	.section	.text._ZN7rocprim17ROCPRIM_400000_NS6detail17trampoline_kernelINS0_14default_configENS1_38merge_sort_block_merge_config_selectorIyyEEZZNS1_27merge_sort_block_merge_implIS3_N6thrust23THRUST_200600_302600_NS6detail15normal_iteratorINS8_10device_ptrIyEEEESD_jNS1_19radix_merge_compareILb0ELb0EyNS0_19identity_decomposerEEEEE10hipError_tT0_T1_T2_jT3_P12ihipStream_tbPNSt15iterator_traitsISI_E10value_typeEPNSO_ISJ_E10value_typeEPSK_NS1_7vsmem_tEENKUlT_SI_SJ_SK_E_clISD_PySD_S10_EESH_SX_SI_SJ_SK_EUlSX_E_NS1_11comp_targetILNS1_3genE0ELNS1_11target_archE4294967295ELNS1_3gpuE0ELNS1_3repE0EEENS1_48merge_mergepath_partition_config_static_selectorELNS0_4arch9wavefront6targetE1EEEvSJ_,"axG",@progbits,_ZN7rocprim17ROCPRIM_400000_NS6detail17trampoline_kernelINS0_14default_configENS1_38merge_sort_block_merge_config_selectorIyyEEZZNS1_27merge_sort_block_merge_implIS3_N6thrust23THRUST_200600_302600_NS6detail15normal_iteratorINS8_10device_ptrIyEEEESD_jNS1_19radix_merge_compareILb0ELb0EyNS0_19identity_decomposerEEEEE10hipError_tT0_T1_T2_jT3_P12ihipStream_tbPNSt15iterator_traitsISI_E10value_typeEPNSO_ISJ_E10value_typeEPSK_NS1_7vsmem_tEENKUlT_SI_SJ_SK_E_clISD_PySD_S10_EESH_SX_SI_SJ_SK_EUlSX_E_NS1_11comp_targetILNS1_3genE0ELNS1_11target_archE4294967295ELNS1_3gpuE0ELNS1_3repE0EEENS1_48merge_mergepath_partition_config_static_selectorELNS0_4arch9wavefront6targetE1EEEvSJ_,comdat
.Lfunc_end420:
	.size	_ZN7rocprim17ROCPRIM_400000_NS6detail17trampoline_kernelINS0_14default_configENS1_38merge_sort_block_merge_config_selectorIyyEEZZNS1_27merge_sort_block_merge_implIS3_N6thrust23THRUST_200600_302600_NS6detail15normal_iteratorINS8_10device_ptrIyEEEESD_jNS1_19radix_merge_compareILb0ELb0EyNS0_19identity_decomposerEEEEE10hipError_tT0_T1_T2_jT3_P12ihipStream_tbPNSt15iterator_traitsISI_E10value_typeEPNSO_ISJ_E10value_typeEPSK_NS1_7vsmem_tEENKUlT_SI_SJ_SK_E_clISD_PySD_S10_EESH_SX_SI_SJ_SK_EUlSX_E_NS1_11comp_targetILNS1_3genE0ELNS1_11target_archE4294967295ELNS1_3gpuE0ELNS1_3repE0EEENS1_48merge_mergepath_partition_config_static_selectorELNS0_4arch9wavefront6targetE1EEEvSJ_, .Lfunc_end420-_ZN7rocprim17ROCPRIM_400000_NS6detail17trampoline_kernelINS0_14default_configENS1_38merge_sort_block_merge_config_selectorIyyEEZZNS1_27merge_sort_block_merge_implIS3_N6thrust23THRUST_200600_302600_NS6detail15normal_iteratorINS8_10device_ptrIyEEEESD_jNS1_19radix_merge_compareILb0ELb0EyNS0_19identity_decomposerEEEEE10hipError_tT0_T1_T2_jT3_P12ihipStream_tbPNSt15iterator_traitsISI_E10value_typeEPNSO_ISJ_E10value_typeEPSK_NS1_7vsmem_tEENKUlT_SI_SJ_SK_E_clISD_PySD_S10_EESH_SX_SI_SJ_SK_EUlSX_E_NS1_11comp_targetILNS1_3genE0ELNS1_11target_archE4294967295ELNS1_3gpuE0ELNS1_3repE0EEENS1_48merge_mergepath_partition_config_static_selectorELNS0_4arch9wavefront6targetE1EEEvSJ_
                                        ; -- End function
	.set _ZN7rocprim17ROCPRIM_400000_NS6detail17trampoline_kernelINS0_14default_configENS1_38merge_sort_block_merge_config_selectorIyyEEZZNS1_27merge_sort_block_merge_implIS3_N6thrust23THRUST_200600_302600_NS6detail15normal_iteratorINS8_10device_ptrIyEEEESD_jNS1_19radix_merge_compareILb0ELb0EyNS0_19identity_decomposerEEEEE10hipError_tT0_T1_T2_jT3_P12ihipStream_tbPNSt15iterator_traitsISI_E10value_typeEPNSO_ISJ_E10value_typeEPSK_NS1_7vsmem_tEENKUlT_SI_SJ_SK_E_clISD_PySD_S10_EESH_SX_SI_SJ_SK_EUlSX_E_NS1_11comp_targetILNS1_3genE0ELNS1_11target_archE4294967295ELNS1_3gpuE0ELNS1_3repE0EEENS1_48merge_mergepath_partition_config_static_selectorELNS0_4arch9wavefront6targetE1EEEvSJ_.num_vgpr, 20
	.set _ZN7rocprim17ROCPRIM_400000_NS6detail17trampoline_kernelINS0_14default_configENS1_38merge_sort_block_merge_config_selectorIyyEEZZNS1_27merge_sort_block_merge_implIS3_N6thrust23THRUST_200600_302600_NS6detail15normal_iteratorINS8_10device_ptrIyEEEESD_jNS1_19radix_merge_compareILb0ELb0EyNS0_19identity_decomposerEEEEE10hipError_tT0_T1_T2_jT3_P12ihipStream_tbPNSt15iterator_traitsISI_E10value_typeEPNSO_ISJ_E10value_typeEPSK_NS1_7vsmem_tEENKUlT_SI_SJ_SK_E_clISD_PySD_S10_EESH_SX_SI_SJ_SK_EUlSX_E_NS1_11comp_targetILNS1_3genE0ELNS1_11target_archE4294967295ELNS1_3gpuE0ELNS1_3repE0EEENS1_48merge_mergepath_partition_config_static_selectorELNS0_4arch9wavefront6targetE1EEEvSJ_.num_agpr, 0
	.set _ZN7rocprim17ROCPRIM_400000_NS6detail17trampoline_kernelINS0_14default_configENS1_38merge_sort_block_merge_config_selectorIyyEEZZNS1_27merge_sort_block_merge_implIS3_N6thrust23THRUST_200600_302600_NS6detail15normal_iteratorINS8_10device_ptrIyEEEESD_jNS1_19radix_merge_compareILb0ELb0EyNS0_19identity_decomposerEEEEE10hipError_tT0_T1_T2_jT3_P12ihipStream_tbPNSt15iterator_traitsISI_E10value_typeEPNSO_ISJ_E10value_typeEPSK_NS1_7vsmem_tEENKUlT_SI_SJ_SK_E_clISD_PySD_S10_EESH_SX_SI_SJ_SK_EUlSX_E_NS1_11comp_targetILNS1_3genE0ELNS1_11target_archE4294967295ELNS1_3gpuE0ELNS1_3repE0EEENS1_48merge_mergepath_partition_config_static_selectorELNS0_4arch9wavefront6targetE1EEEvSJ_.numbered_sgpr, 8
	.set _ZN7rocprim17ROCPRIM_400000_NS6detail17trampoline_kernelINS0_14default_configENS1_38merge_sort_block_merge_config_selectorIyyEEZZNS1_27merge_sort_block_merge_implIS3_N6thrust23THRUST_200600_302600_NS6detail15normal_iteratorINS8_10device_ptrIyEEEESD_jNS1_19radix_merge_compareILb0ELb0EyNS0_19identity_decomposerEEEEE10hipError_tT0_T1_T2_jT3_P12ihipStream_tbPNSt15iterator_traitsISI_E10value_typeEPNSO_ISJ_E10value_typeEPSK_NS1_7vsmem_tEENKUlT_SI_SJ_SK_E_clISD_PySD_S10_EESH_SX_SI_SJ_SK_EUlSX_E_NS1_11comp_targetILNS1_3genE0ELNS1_11target_archE4294967295ELNS1_3gpuE0ELNS1_3repE0EEENS1_48merge_mergepath_partition_config_static_selectorELNS0_4arch9wavefront6targetE1EEEvSJ_.num_named_barrier, 0
	.set _ZN7rocprim17ROCPRIM_400000_NS6detail17trampoline_kernelINS0_14default_configENS1_38merge_sort_block_merge_config_selectorIyyEEZZNS1_27merge_sort_block_merge_implIS3_N6thrust23THRUST_200600_302600_NS6detail15normal_iteratorINS8_10device_ptrIyEEEESD_jNS1_19radix_merge_compareILb0ELb0EyNS0_19identity_decomposerEEEEE10hipError_tT0_T1_T2_jT3_P12ihipStream_tbPNSt15iterator_traitsISI_E10value_typeEPNSO_ISJ_E10value_typeEPSK_NS1_7vsmem_tEENKUlT_SI_SJ_SK_E_clISD_PySD_S10_EESH_SX_SI_SJ_SK_EUlSX_E_NS1_11comp_targetILNS1_3genE0ELNS1_11target_archE4294967295ELNS1_3gpuE0ELNS1_3repE0EEENS1_48merge_mergepath_partition_config_static_selectorELNS0_4arch9wavefront6targetE1EEEvSJ_.private_seg_size, 0
	.set _ZN7rocprim17ROCPRIM_400000_NS6detail17trampoline_kernelINS0_14default_configENS1_38merge_sort_block_merge_config_selectorIyyEEZZNS1_27merge_sort_block_merge_implIS3_N6thrust23THRUST_200600_302600_NS6detail15normal_iteratorINS8_10device_ptrIyEEEESD_jNS1_19radix_merge_compareILb0ELb0EyNS0_19identity_decomposerEEEEE10hipError_tT0_T1_T2_jT3_P12ihipStream_tbPNSt15iterator_traitsISI_E10value_typeEPNSO_ISJ_E10value_typeEPSK_NS1_7vsmem_tEENKUlT_SI_SJ_SK_E_clISD_PySD_S10_EESH_SX_SI_SJ_SK_EUlSX_E_NS1_11comp_targetILNS1_3genE0ELNS1_11target_archE4294967295ELNS1_3gpuE0ELNS1_3repE0EEENS1_48merge_mergepath_partition_config_static_selectorELNS0_4arch9wavefront6targetE1EEEvSJ_.uses_vcc, 1
	.set _ZN7rocprim17ROCPRIM_400000_NS6detail17trampoline_kernelINS0_14default_configENS1_38merge_sort_block_merge_config_selectorIyyEEZZNS1_27merge_sort_block_merge_implIS3_N6thrust23THRUST_200600_302600_NS6detail15normal_iteratorINS8_10device_ptrIyEEEESD_jNS1_19radix_merge_compareILb0ELb0EyNS0_19identity_decomposerEEEEE10hipError_tT0_T1_T2_jT3_P12ihipStream_tbPNSt15iterator_traitsISI_E10value_typeEPNSO_ISJ_E10value_typeEPSK_NS1_7vsmem_tEENKUlT_SI_SJ_SK_E_clISD_PySD_S10_EESH_SX_SI_SJ_SK_EUlSX_E_NS1_11comp_targetILNS1_3genE0ELNS1_11target_archE4294967295ELNS1_3gpuE0ELNS1_3repE0EEENS1_48merge_mergepath_partition_config_static_selectorELNS0_4arch9wavefront6targetE1EEEvSJ_.uses_flat_scratch, 0
	.set _ZN7rocprim17ROCPRIM_400000_NS6detail17trampoline_kernelINS0_14default_configENS1_38merge_sort_block_merge_config_selectorIyyEEZZNS1_27merge_sort_block_merge_implIS3_N6thrust23THRUST_200600_302600_NS6detail15normal_iteratorINS8_10device_ptrIyEEEESD_jNS1_19radix_merge_compareILb0ELb0EyNS0_19identity_decomposerEEEEE10hipError_tT0_T1_T2_jT3_P12ihipStream_tbPNSt15iterator_traitsISI_E10value_typeEPNSO_ISJ_E10value_typeEPSK_NS1_7vsmem_tEENKUlT_SI_SJ_SK_E_clISD_PySD_S10_EESH_SX_SI_SJ_SK_EUlSX_E_NS1_11comp_targetILNS1_3genE0ELNS1_11target_archE4294967295ELNS1_3gpuE0ELNS1_3repE0EEENS1_48merge_mergepath_partition_config_static_selectorELNS0_4arch9wavefront6targetE1EEEvSJ_.has_dyn_sized_stack, 0
	.set _ZN7rocprim17ROCPRIM_400000_NS6detail17trampoline_kernelINS0_14default_configENS1_38merge_sort_block_merge_config_selectorIyyEEZZNS1_27merge_sort_block_merge_implIS3_N6thrust23THRUST_200600_302600_NS6detail15normal_iteratorINS8_10device_ptrIyEEEESD_jNS1_19radix_merge_compareILb0ELb0EyNS0_19identity_decomposerEEEEE10hipError_tT0_T1_T2_jT3_P12ihipStream_tbPNSt15iterator_traitsISI_E10value_typeEPNSO_ISJ_E10value_typeEPSK_NS1_7vsmem_tEENKUlT_SI_SJ_SK_E_clISD_PySD_S10_EESH_SX_SI_SJ_SK_EUlSX_E_NS1_11comp_targetILNS1_3genE0ELNS1_11target_archE4294967295ELNS1_3gpuE0ELNS1_3repE0EEENS1_48merge_mergepath_partition_config_static_selectorELNS0_4arch9wavefront6targetE1EEEvSJ_.has_recursion, 0
	.set _ZN7rocprim17ROCPRIM_400000_NS6detail17trampoline_kernelINS0_14default_configENS1_38merge_sort_block_merge_config_selectorIyyEEZZNS1_27merge_sort_block_merge_implIS3_N6thrust23THRUST_200600_302600_NS6detail15normal_iteratorINS8_10device_ptrIyEEEESD_jNS1_19radix_merge_compareILb0ELb0EyNS0_19identity_decomposerEEEEE10hipError_tT0_T1_T2_jT3_P12ihipStream_tbPNSt15iterator_traitsISI_E10value_typeEPNSO_ISJ_E10value_typeEPSK_NS1_7vsmem_tEENKUlT_SI_SJ_SK_E_clISD_PySD_S10_EESH_SX_SI_SJ_SK_EUlSX_E_NS1_11comp_targetILNS1_3genE0ELNS1_11target_archE4294967295ELNS1_3gpuE0ELNS1_3repE0EEENS1_48merge_mergepath_partition_config_static_selectorELNS0_4arch9wavefront6targetE1EEEvSJ_.has_indirect_call, 0
	.section	.AMDGPU.csdata,"",@progbits
; Kernel info:
; codeLenInByte = 316
; TotalNumSgprs: 14
; NumVgprs: 20
; NumAgprs: 0
; TotalNumVgprs: 20
; ScratchSize: 0
; MemoryBound: 0
; FloatMode: 240
; IeeeMode: 1
; LDSByteSize: 0 bytes/workgroup (compile time only)
; SGPRBlocks: 1
; VGPRBlocks: 2
; NumSGPRsForWavesPerEU: 14
; NumVGPRsForWavesPerEU: 20
; AccumOffset: 20
; Occupancy: 8
; WaveLimiterHint : 0
; COMPUTE_PGM_RSRC2:SCRATCH_EN: 0
; COMPUTE_PGM_RSRC2:USER_SGPR: 2
; COMPUTE_PGM_RSRC2:TRAP_HANDLER: 0
; COMPUTE_PGM_RSRC2:TGID_X_EN: 1
; COMPUTE_PGM_RSRC2:TGID_Y_EN: 0
; COMPUTE_PGM_RSRC2:TGID_Z_EN: 0
; COMPUTE_PGM_RSRC2:TIDIG_COMP_CNT: 0
; COMPUTE_PGM_RSRC3_GFX90A:ACCUM_OFFSET: 4
; COMPUTE_PGM_RSRC3_GFX90A:TG_SPLIT: 0
	.section	.text._ZN7rocprim17ROCPRIM_400000_NS6detail17trampoline_kernelINS0_14default_configENS1_38merge_sort_block_merge_config_selectorIyyEEZZNS1_27merge_sort_block_merge_implIS3_N6thrust23THRUST_200600_302600_NS6detail15normal_iteratorINS8_10device_ptrIyEEEESD_jNS1_19radix_merge_compareILb0ELb0EyNS0_19identity_decomposerEEEEE10hipError_tT0_T1_T2_jT3_P12ihipStream_tbPNSt15iterator_traitsISI_E10value_typeEPNSO_ISJ_E10value_typeEPSK_NS1_7vsmem_tEENKUlT_SI_SJ_SK_E_clISD_PySD_S10_EESH_SX_SI_SJ_SK_EUlSX_E_NS1_11comp_targetILNS1_3genE10ELNS1_11target_archE1201ELNS1_3gpuE5ELNS1_3repE0EEENS1_48merge_mergepath_partition_config_static_selectorELNS0_4arch9wavefront6targetE1EEEvSJ_,"axG",@progbits,_ZN7rocprim17ROCPRIM_400000_NS6detail17trampoline_kernelINS0_14default_configENS1_38merge_sort_block_merge_config_selectorIyyEEZZNS1_27merge_sort_block_merge_implIS3_N6thrust23THRUST_200600_302600_NS6detail15normal_iteratorINS8_10device_ptrIyEEEESD_jNS1_19radix_merge_compareILb0ELb0EyNS0_19identity_decomposerEEEEE10hipError_tT0_T1_T2_jT3_P12ihipStream_tbPNSt15iterator_traitsISI_E10value_typeEPNSO_ISJ_E10value_typeEPSK_NS1_7vsmem_tEENKUlT_SI_SJ_SK_E_clISD_PySD_S10_EESH_SX_SI_SJ_SK_EUlSX_E_NS1_11comp_targetILNS1_3genE10ELNS1_11target_archE1201ELNS1_3gpuE5ELNS1_3repE0EEENS1_48merge_mergepath_partition_config_static_selectorELNS0_4arch9wavefront6targetE1EEEvSJ_,comdat
	.protected	_ZN7rocprim17ROCPRIM_400000_NS6detail17trampoline_kernelINS0_14default_configENS1_38merge_sort_block_merge_config_selectorIyyEEZZNS1_27merge_sort_block_merge_implIS3_N6thrust23THRUST_200600_302600_NS6detail15normal_iteratorINS8_10device_ptrIyEEEESD_jNS1_19radix_merge_compareILb0ELb0EyNS0_19identity_decomposerEEEEE10hipError_tT0_T1_T2_jT3_P12ihipStream_tbPNSt15iterator_traitsISI_E10value_typeEPNSO_ISJ_E10value_typeEPSK_NS1_7vsmem_tEENKUlT_SI_SJ_SK_E_clISD_PySD_S10_EESH_SX_SI_SJ_SK_EUlSX_E_NS1_11comp_targetILNS1_3genE10ELNS1_11target_archE1201ELNS1_3gpuE5ELNS1_3repE0EEENS1_48merge_mergepath_partition_config_static_selectorELNS0_4arch9wavefront6targetE1EEEvSJ_ ; -- Begin function _ZN7rocprim17ROCPRIM_400000_NS6detail17trampoline_kernelINS0_14default_configENS1_38merge_sort_block_merge_config_selectorIyyEEZZNS1_27merge_sort_block_merge_implIS3_N6thrust23THRUST_200600_302600_NS6detail15normal_iteratorINS8_10device_ptrIyEEEESD_jNS1_19radix_merge_compareILb0ELb0EyNS0_19identity_decomposerEEEEE10hipError_tT0_T1_T2_jT3_P12ihipStream_tbPNSt15iterator_traitsISI_E10value_typeEPNSO_ISJ_E10value_typeEPSK_NS1_7vsmem_tEENKUlT_SI_SJ_SK_E_clISD_PySD_S10_EESH_SX_SI_SJ_SK_EUlSX_E_NS1_11comp_targetILNS1_3genE10ELNS1_11target_archE1201ELNS1_3gpuE5ELNS1_3repE0EEENS1_48merge_mergepath_partition_config_static_selectorELNS0_4arch9wavefront6targetE1EEEvSJ_
	.globl	_ZN7rocprim17ROCPRIM_400000_NS6detail17trampoline_kernelINS0_14default_configENS1_38merge_sort_block_merge_config_selectorIyyEEZZNS1_27merge_sort_block_merge_implIS3_N6thrust23THRUST_200600_302600_NS6detail15normal_iteratorINS8_10device_ptrIyEEEESD_jNS1_19radix_merge_compareILb0ELb0EyNS0_19identity_decomposerEEEEE10hipError_tT0_T1_T2_jT3_P12ihipStream_tbPNSt15iterator_traitsISI_E10value_typeEPNSO_ISJ_E10value_typeEPSK_NS1_7vsmem_tEENKUlT_SI_SJ_SK_E_clISD_PySD_S10_EESH_SX_SI_SJ_SK_EUlSX_E_NS1_11comp_targetILNS1_3genE10ELNS1_11target_archE1201ELNS1_3gpuE5ELNS1_3repE0EEENS1_48merge_mergepath_partition_config_static_selectorELNS0_4arch9wavefront6targetE1EEEvSJ_
	.p2align	8
	.type	_ZN7rocprim17ROCPRIM_400000_NS6detail17trampoline_kernelINS0_14default_configENS1_38merge_sort_block_merge_config_selectorIyyEEZZNS1_27merge_sort_block_merge_implIS3_N6thrust23THRUST_200600_302600_NS6detail15normal_iteratorINS8_10device_ptrIyEEEESD_jNS1_19radix_merge_compareILb0ELb0EyNS0_19identity_decomposerEEEEE10hipError_tT0_T1_T2_jT3_P12ihipStream_tbPNSt15iterator_traitsISI_E10value_typeEPNSO_ISJ_E10value_typeEPSK_NS1_7vsmem_tEENKUlT_SI_SJ_SK_E_clISD_PySD_S10_EESH_SX_SI_SJ_SK_EUlSX_E_NS1_11comp_targetILNS1_3genE10ELNS1_11target_archE1201ELNS1_3gpuE5ELNS1_3repE0EEENS1_48merge_mergepath_partition_config_static_selectorELNS0_4arch9wavefront6targetE1EEEvSJ_,@function
_ZN7rocprim17ROCPRIM_400000_NS6detail17trampoline_kernelINS0_14default_configENS1_38merge_sort_block_merge_config_selectorIyyEEZZNS1_27merge_sort_block_merge_implIS3_N6thrust23THRUST_200600_302600_NS6detail15normal_iteratorINS8_10device_ptrIyEEEESD_jNS1_19radix_merge_compareILb0ELb0EyNS0_19identity_decomposerEEEEE10hipError_tT0_T1_T2_jT3_P12ihipStream_tbPNSt15iterator_traitsISI_E10value_typeEPNSO_ISJ_E10value_typeEPSK_NS1_7vsmem_tEENKUlT_SI_SJ_SK_E_clISD_PySD_S10_EESH_SX_SI_SJ_SK_EUlSX_E_NS1_11comp_targetILNS1_3genE10ELNS1_11target_archE1201ELNS1_3gpuE5ELNS1_3repE0EEENS1_48merge_mergepath_partition_config_static_selectorELNS0_4arch9wavefront6targetE1EEEvSJ_: ; @_ZN7rocprim17ROCPRIM_400000_NS6detail17trampoline_kernelINS0_14default_configENS1_38merge_sort_block_merge_config_selectorIyyEEZZNS1_27merge_sort_block_merge_implIS3_N6thrust23THRUST_200600_302600_NS6detail15normal_iteratorINS8_10device_ptrIyEEEESD_jNS1_19radix_merge_compareILb0ELb0EyNS0_19identity_decomposerEEEEE10hipError_tT0_T1_T2_jT3_P12ihipStream_tbPNSt15iterator_traitsISI_E10value_typeEPNSO_ISJ_E10value_typeEPSK_NS1_7vsmem_tEENKUlT_SI_SJ_SK_E_clISD_PySD_S10_EESH_SX_SI_SJ_SK_EUlSX_E_NS1_11comp_targetILNS1_3genE10ELNS1_11target_archE1201ELNS1_3gpuE5ELNS1_3repE0EEENS1_48merge_mergepath_partition_config_static_selectorELNS0_4arch9wavefront6targetE1EEEvSJ_
; %bb.0:
	.section	.rodata,"a",@progbits
	.p2align	6, 0x0
	.amdhsa_kernel _ZN7rocprim17ROCPRIM_400000_NS6detail17trampoline_kernelINS0_14default_configENS1_38merge_sort_block_merge_config_selectorIyyEEZZNS1_27merge_sort_block_merge_implIS3_N6thrust23THRUST_200600_302600_NS6detail15normal_iteratorINS8_10device_ptrIyEEEESD_jNS1_19radix_merge_compareILb0ELb0EyNS0_19identity_decomposerEEEEE10hipError_tT0_T1_T2_jT3_P12ihipStream_tbPNSt15iterator_traitsISI_E10value_typeEPNSO_ISJ_E10value_typeEPSK_NS1_7vsmem_tEENKUlT_SI_SJ_SK_E_clISD_PySD_S10_EESH_SX_SI_SJ_SK_EUlSX_E_NS1_11comp_targetILNS1_3genE10ELNS1_11target_archE1201ELNS1_3gpuE5ELNS1_3repE0EEENS1_48merge_mergepath_partition_config_static_selectorELNS0_4arch9wavefront6targetE1EEEvSJ_
		.amdhsa_group_segment_fixed_size 0
		.amdhsa_private_segment_fixed_size 0
		.amdhsa_kernarg_size 40
		.amdhsa_user_sgpr_count 2
		.amdhsa_user_sgpr_dispatch_ptr 0
		.amdhsa_user_sgpr_queue_ptr 0
		.amdhsa_user_sgpr_kernarg_segment_ptr 1
		.amdhsa_user_sgpr_dispatch_id 0
		.amdhsa_user_sgpr_kernarg_preload_length 0
		.amdhsa_user_sgpr_kernarg_preload_offset 0
		.amdhsa_user_sgpr_private_segment_size 0
		.amdhsa_uses_dynamic_stack 0
		.amdhsa_enable_private_segment 0
		.amdhsa_system_sgpr_workgroup_id_x 1
		.amdhsa_system_sgpr_workgroup_id_y 0
		.amdhsa_system_sgpr_workgroup_id_z 0
		.amdhsa_system_sgpr_workgroup_info 0
		.amdhsa_system_vgpr_workitem_id 0
		.amdhsa_next_free_vgpr 1
		.amdhsa_next_free_sgpr 0
		.amdhsa_accum_offset 4
		.amdhsa_reserve_vcc 0
		.amdhsa_float_round_mode_32 0
		.amdhsa_float_round_mode_16_64 0
		.amdhsa_float_denorm_mode_32 3
		.amdhsa_float_denorm_mode_16_64 3
		.amdhsa_dx10_clamp 1
		.amdhsa_ieee_mode 1
		.amdhsa_fp16_overflow 0
		.amdhsa_tg_split 0
		.amdhsa_exception_fp_ieee_invalid_op 0
		.amdhsa_exception_fp_denorm_src 0
		.amdhsa_exception_fp_ieee_div_zero 0
		.amdhsa_exception_fp_ieee_overflow 0
		.amdhsa_exception_fp_ieee_underflow 0
		.amdhsa_exception_fp_ieee_inexact 0
		.amdhsa_exception_int_div_zero 0
	.end_amdhsa_kernel
	.section	.text._ZN7rocprim17ROCPRIM_400000_NS6detail17trampoline_kernelINS0_14default_configENS1_38merge_sort_block_merge_config_selectorIyyEEZZNS1_27merge_sort_block_merge_implIS3_N6thrust23THRUST_200600_302600_NS6detail15normal_iteratorINS8_10device_ptrIyEEEESD_jNS1_19radix_merge_compareILb0ELb0EyNS0_19identity_decomposerEEEEE10hipError_tT0_T1_T2_jT3_P12ihipStream_tbPNSt15iterator_traitsISI_E10value_typeEPNSO_ISJ_E10value_typeEPSK_NS1_7vsmem_tEENKUlT_SI_SJ_SK_E_clISD_PySD_S10_EESH_SX_SI_SJ_SK_EUlSX_E_NS1_11comp_targetILNS1_3genE10ELNS1_11target_archE1201ELNS1_3gpuE5ELNS1_3repE0EEENS1_48merge_mergepath_partition_config_static_selectorELNS0_4arch9wavefront6targetE1EEEvSJ_,"axG",@progbits,_ZN7rocprim17ROCPRIM_400000_NS6detail17trampoline_kernelINS0_14default_configENS1_38merge_sort_block_merge_config_selectorIyyEEZZNS1_27merge_sort_block_merge_implIS3_N6thrust23THRUST_200600_302600_NS6detail15normal_iteratorINS8_10device_ptrIyEEEESD_jNS1_19radix_merge_compareILb0ELb0EyNS0_19identity_decomposerEEEEE10hipError_tT0_T1_T2_jT3_P12ihipStream_tbPNSt15iterator_traitsISI_E10value_typeEPNSO_ISJ_E10value_typeEPSK_NS1_7vsmem_tEENKUlT_SI_SJ_SK_E_clISD_PySD_S10_EESH_SX_SI_SJ_SK_EUlSX_E_NS1_11comp_targetILNS1_3genE10ELNS1_11target_archE1201ELNS1_3gpuE5ELNS1_3repE0EEENS1_48merge_mergepath_partition_config_static_selectorELNS0_4arch9wavefront6targetE1EEEvSJ_,comdat
.Lfunc_end421:
	.size	_ZN7rocprim17ROCPRIM_400000_NS6detail17trampoline_kernelINS0_14default_configENS1_38merge_sort_block_merge_config_selectorIyyEEZZNS1_27merge_sort_block_merge_implIS3_N6thrust23THRUST_200600_302600_NS6detail15normal_iteratorINS8_10device_ptrIyEEEESD_jNS1_19radix_merge_compareILb0ELb0EyNS0_19identity_decomposerEEEEE10hipError_tT0_T1_T2_jT3_P12ihipStream_tbPNSt15iterator_traitsISI_E10value_typeEPNSO_ISJ_E10value_typeEPSK_NS1_7vsmem_tEENKUlT_SI_SJ_SK_E_clISD_PySD_S10_EESH_SX_SI_SJ_SK_EUlSX_E_NS1_11comp_targetILNS1_3genE10ELNS1_11target_archE1201ELNS1_3gpuE5ELNS1_3repE0EEENS1_48merge_mergepath_partition_config_static_selectorELNS0_4arch9wavefront6targetE1EEEvSJ_, .Lfunc_end421-_ZN7rocprim17ROCPRIM_400000_NS6detail17trampoline_kernelINS0_14default_configENS1_38merge_sort_block_merge_config_selectorIyyEEZZNS1_27merge_sort_block_merge_implIS3_N6thrust23THRUST_200600_302600_NS6detail15normal_iteratorINS8_10device_ptrIyEEEESD_jNS1_19radix_merge_compareILb0ELb0EyNS0_19identity_decomposerEEEEE10hipError_tT0_T1_T2_jT3_P12ihipStream_tbPNSt15iterator_traitsISI_E10value_typeEPNSO_ISJ_E10value_typeEPSK_NS1_7vsmem_tEENKUlT_SI_SJ_SK_E_clISD_PySD_S10_EESH_SX_SI_SJ_SK_EUlSX_E_NS1_11comp_targetILNS1_3genE10ELNS1_11target_archE1201ELNS1_3gpuE5ELNS1_3repE0EEENS1_48merge_mergepath_partition_config_static_selectorELNS0_4arch9wavefront6targetE1EEEvSJ_
                                        ; -- End function
	.set _ZN7rocprim17ROCPRIM_400000_NS6detail17trampoline_kernelINS0_14default_configENS1_38merge_sort_block_merge_config_selectorIyyEEZZNS1_27merge_sort_block_merge_implIS3_N6thrust23THRUST_200600_302600_NS6detail15normal_iteratorINS8_10device_ptrIyEEEESD_jNS1_19radix_merge_compareILb0ELb0EyNS0_19identity_decomposerEEEEE10hipError_tT0_T1_T2_jT3_P12ihipStream_tbPNSt15iterator_traitsISI_E10value_typeEPNSO_ISJ_E10value_typeEPSK_NS1_7vsmem_tEENKUlT_SI_SJ_SK_E_clISD_PySD_S10_EESH_SX_SI_SJ_SK_EUlSX_E_NS1_11comp_targetILNS1_3genE10ELNS1_11target_archE1201ELNS1_3gpuE5ELNS1_3repE0EEENS1_48merge_mergepath_partition_config_static_selectorELNS0_4arch9wavefront6targetE1EEEvSJ_.num_vgpr, 0
	.set _ZN7rocprim17ROCPRIM_400000_NS6detail17trampoline_kernelINS0_14default_configENS1_38merge_sort_block_merge_config_selectorIyyEEZZNS1_27merge_sort_block_merge_implIS3_N6thrust23THRUST_200600_302600_NS6detail15normal_iteratorINS8_10device_ptrIyEEEESD_jNS1_19radix_merge_compareILb0ELb0EyNS0_19identity_decomposerEEEEE10hipError_tT0_T1_T2_jT3_P12ihipStream_tbPNSt15iterator_traitsISI_E10value_typeEPNSO_ISJ_E10value_typeEPSK_NS1_7vsmem_tEENKUlT_SI_SJ_SK_E_clISD_PySD_S10_EESH_SX_SI_SJ_SK_EUlSX_E_NS1_11comp_targetILNS1_3genE10ELNS1_11target_archE1201ELNS1_3gpuE5ELNS1_3repE0EEENS1_48merge_mergepath_partition_config_static_selectorELNS0_4arch9wavefront6targetE1EEEvSJ_.num_agpr, 0
	.set _ZN7rocprim17ROCPRIM_400000_NS6detail17trampoline_kernelINS0_14default_configENS1_38merge_sort_block_merge_config_selectorIyyEEZZNS1_27merge_sort_block_merge_implIS3_N6thrust23THRUST_200600_302600_NS6detail15normal_iteratorINS8_10device_ptrIyEEEESD_jNS1_19radix_merge_compareILb0ELb0EyNS0_19identity_decomposerEEEEE10hipError_tT0_T1_T2_jT3_P12ihipStream_tbPNSt15iterator_traitsISI_E10value_typeEPNSO_ISJ_E10value_typeEPSK_NS1_7vsmem_tEENKUlT_SI_SJ_SK_E_clISD_PySD_S10_EESH_SX_SI_SJ_SK_EUlSX_E_NS1_11comp_targetILNS1_3genE10ELNS1_11target_archE1201ELNS1_3gpuE5ELNS1_3repE0EEENS1_48merge_mergepath_partition_config_static_selectorELNS0_4arch9wavefront6targetE1EEEvSJ_.numbered_sgpr, 0
	.set _ZN7rocprim17ROCPRIM_400000_NS6detail17trampoline_kernelINS0_14default_configENS1_38merge_sort_block_merge_config_selectorIyyEEZZNS1_27merge_sort_block_merge_implIS3_N6thrust23THRUST_200600_302600_NS6detail15normal_iteratorINS8_10device_ptrIyEEEESD_jNS1_19radix_merge_compareILb0ELb0EyNS0_19identity_decomposerEEEEE10hipError_tT0_T1_T2_jT3_P12ihipStream_tbPNSt15iterator_traitsISI_E10value_typeEPNSO_ISJ_E10value_typeEPSK_NS1_7vsmem_tEENKUlT_SI_SJ_SK_E_clISD_PySD_S10_EESH_SX_SI_SJ_SK_EUlSX_E_NS1_11comp_targetILNS1_3genE10ELNS1_11target_archE1201ELNS1_3gpuE5ELNS1_3repE0EEENS1_48merge_mergepath_partition_config_static_selectorELNS0_4arch9wavefront6targetE1EEEvSJ_.num_named_barrier, 0
	.set _ZN7rocprim17ROCPRIM_400000_NS6detail17trampoline_kernelINS0_14default_configENS1_38merge_sort_block_merge_config_selectorIyyEEZZNS1_27merge_sort_block_merge_implIS3_N6thrust23THRUST_200600_302600_NS6detail15normal_iteratorINS8_10device_ptrIyEEEESD_jNS1_19radix_merge_compareILb0ELb0EyNS0_19identity_decomposerEEEEE10hipError_tT0_T1_T2_jT3_P12ihipStream_tbPNSt15iterator_traitsISI_E10value_typeEPNSO_ISJ_E10value_typeEPSK_NS1_7vsmem_tEENKUlT_SI_SJ_SK_E_clISD_PySD_S10_EESH_SX_SI_SJ_SK_EUlSX_E_NS1_11comp_targetILNS1_3genE10ELNS1_11target_archE1201ELNS1_3gpuE5ELNS1_3repE0EEENS1_48merge_mergepath_partition_config_static_selectorELNS0_4arch9wavefront6targetE1EEEvSJ_.private_seg_size, 0
	.set _ZN7rocprim17ROCPRIM_400000_NS6detail17trampoline_kernelINS0_14default_configENS1_38merge_sort_block_merge_config_selectorIyyEEZZNS1_27merge_sort_block_merge_implIS3_N6thrust23THRUST_200600_302600_NS6detail15normal_iteratorINS8_10device_ptrIyEEEESD_jNS1_19radix_merge_compareILb0ELb0EyNS0_19identity_decomposerEEEEE10hipError_tT0_T1_T2_jT3_P12ihipStream_tbPNSt15iterator_traitsISI_E10value_typeEPNSO_ISJ_E10value_typeEPSK_NS1_7vsmem_tEENKUlT_SI_SJ_SK_E_clISD_PySD_S10_EESH_SX_SI_SJ_SK_EUlSX_E_NS1_11comp_targetILNS1_3genE10ELNS1_11target_archE1201ELNS1_3gpuE5ELNS1_3repE0EEENS1_48merge_mergepath_partition_config_static_selectorELNS0_4arch9wavefront6targetE1EEEvSJ_.uses_vcc, 0
	.set _ZN7rocprim17ROCPRIM_400000_NS6detail17trampoline_kernelINS0_14default_configENS1_38merge_sort_block_merge_config_selectorIyyEEZZNS1_27merge_sort_block_merge_implIS3_N6thrust23THRUST_200600_302600_NS6detail15normal_iteratorINS8_10device_ptrIyEEEESD_jNS1_19radix_merge_compareILb0ELb0EyNS0_19identity_decomposerEEEEE10hipError_tT0_T1_T2_jT3_P12ihipStream_tbPNSt15iterator_traitsISI_E10value_typeEPNSO_ISJ_E10value_typeEPSK_NS1_7vsmem_tEENKUlT_SI_SJ_SK_E_clISD_PySD_S10_EESH_SX_SI_SJ_SK_EUlSX_E_NS1_11comp_targetILNS1_3genE10ELNS1_11target_archE1201ELNS1_3gpuE5ELNS1_3repE0EEENS1_48merge_mergepath_partition_config_static_selectorELNS0_4arch9wavefront6targetE1EEEvSJ_.uses_flat_scratch, 0
	.set _ZN7rocprim17ROCPRIM_400000_NS6detail17trampoline_kernelINS0_14default_configENS1_38merge_sort_block_merge_config_selectorIyyEEZZNS1_27merge_sort_block_merge_implIS3_N6thrust23THRUST_200600_302600_NS6detail15normal_iteratorINS8_10device_ptrIyEEEESD_jNS1_19radix_merge_compareILb0ELb0EyNS0_19identity_decomposerEEEEE10hipError_tT0_T1_T2_jT3_P12ihipStream_tbPNSt15iterator_traitsISI_E10value_typeEPNSO_ISJ_E10value_typeEPSK_NS1_7vsmem_tEENKUlT_SI_SJ_SK_E_clISD_PySD_S10_EESH_SX_SI_SJ_SK_EUlSX_E_NS1_11comp_targetILNS1_3genE10ELNS1_11target_archE1201ELNS1_3gpuE5ELNS1_3repE0EEENS1_48merge_mergepath_partition_config_static_selectorELNS0_4arch9wavefront6targetE1EEEvSJ_.has_dyn_sized_stack, 0
	.set _ZN7rocprim17ROCPRIM_400000_NS6detail17trampoline_kernelINS0_14default_configENS1_38merge_sort_block_merge_config_selectorIyyEEZZNS1_27merge_sort_block_merge_implIS3_N6thrust23THRUST_200600_302600_NS6detail15normal_iteratorINS8_10device_ptrIyEEEESD_jNS1_19radix_merge_compareILb0ELb0EyNS0_19identity_decomposerEEEEE10hipError_tT0_T1_T2_jT3_P12ihipStream_tbPNSt15iterator_traitsISI_E10value_typeEPNSO_ISJ_E10value_typeEPSK_NS1_7vsmem_tEENKUlT_SI_SJ_SK_E_clISD_PySD_S10_EESH_SX_SI_SJ_SK_EUlSX_E_NS1_11comp_targetILNS1_3genE10ELNS1_11target_archE1201ELNS1_3gpuE5ELNS1_3repE0EEENS1_48merge_mergepath_partition_config_static_selectorELNS0_4arch9wavefront6targetE1EEEvSJ_.has_recursion, 0
	.set _ZN7rocprim17ROCPRIM_400000_NS6detail17trampoline_kernelINS0_14default_configENS1_38merge_sort_block_merge_config_selectorIyyEEZZNS1_27merge_sort_block_merge_implIS3_N6thrust23THRUST_200600_302600_NS6detail15normal_iteratorINS8_10device_ptrIyEEEESD_jNS1_19radix_merge_compareILb0ELb0EyNS0_19identity_decomposerEEEEE10hipError_tT0_T1_T2_jT3_P12ihipStream_tbPNSt15iterator_traitsISI_E10value_typeEPNSO_ISJ_E10value_typeEPSK_NS1_7vsmem_tEENKUlT_SI_SJ_SK_E_clISD_PySD_S10_EESH_SX_SI_SJ_SK_EUlSX_E_NS1_11comp_targetILNS1_3genE10ELNS1_11target_archE1201ELNS1_3gpuE5ELNS1_3repE0EEENS1_48merge_mergepath_partition_config_static_selectorELNS0_4arch9wavefront6targetE1EEEvSJ_.has_indirect_call, 0
	.section	.AMDGPU.csdata,"",@progbits
; Kernel info:
; codeLenInByte = 0
; TotalNumSgprs: 6
; NumVgprs: 0
; NumAgprs: 0
; TotalNumVgprs: 0
; ScratchSize: 0
; MemoryBound: 0
; FloatMode: 240
; IeeeMode: 1
; LDSByteSize: 0 bytes/workgroup (compile time only)
; SGPRBlocks: 0
; VGPRBlocks: 0
; NumSGPRsForWavesPerEU: 6
; NumVGPRsForWavesPerEU: 1
; AccumOffset: 4
; Occupancy: 8
; WaveLimiterHint : 0
; COMPUTE_PGM_RSRC2:SCRATCH_EN: 0
; COMPUTE_PGM_RSRC2:USER_SGPR: 2
; COMPUTE_PGM_RSRC2:TRAP_HANDLER: 0
; COMPUTE_PGM_RSRC2:TGID_X_EN: 1
; COMPUTE_PGM_RSRC2:TGID_Y_EN: 0
; COMPUTE_PGM_RSRC2:TGID_Z_EN: 0
; COMPUTE_PGM_RSRC2:TIDIG_COMP_CNT: 0
; COMPUTE_PGM_RSRC3_GFX90A:ACCUM_OFFSET: 0
; COMPUTE_PGM_RSRC3_GFX90A:TG_SPLIT: 0
	.section	.text._ZN7rocprim17ROCPRIM_400000_NS6detail17trampoline_kernelINS0_14default_configENS1_38merge_sort_block_merge_config_selectorIyyEEZZNS1_27merge_sort_block_merge_implIS3_N6thrust23THRUST_200600_302600_NS6detail15normal_iteratorINS8_10device_ptrIyEEEESD_jNS1_19radix_merge_compareILb0ELb0EyNS0_19identity_decomposerEEEEE10hipError_tT0_T1_T2_jT3_P12ihipStream_tbPNSt15iterator_traitsISI_E10value_typeEPNSO_ISJ_E10value_typeEPSK_NS1_7vsmem_tEENKUlT_SI_SJ_SK_E_clISD_PySD_S10_EESH_SX_SI_SJ_SK_EUlSX_E_NS1_11comp_targetILNS1_3genE5ELNS1_11target_archE942ELNS1_3gpuE9ELNS1_3repE0EEENS1_48merge_mergepath_partition_config_static_selectorELNS0_4arch9wavefront6targetE1EEEvSJ_,"axG",@progbits,_ZN7rocprim17ROCPRIM_400000_NS6detail17trampoline_kernelINS0_14default_configENS1_38merge_sort_block_merge_config_selectorIyyEEZZNS1_27merge_sort_block_merge_implIS3_N6thrust23THRUST_200600_302600_NS6detail15normal_iteratorINS8_10device_ptrIyEEEESD_jNS1_19radix_merge_compareILb0ELb0EyNS0_19identity_decomposerEEEEE10hipError_tT0_T1_T2_jT3_P12ihipStream_tbPNSt15iterator_traitsISI_E10value_typeEPNSO_ISJ_E10value_typeEPSK_NS1_7vsmem_tEENKUlT_SI_SJ_SK_E_clISD_PySD_S10_EESH_SX_SI_SJ_SK_EUlSX_E_NS1_11comp_targetILNS1_3genE5ELNS1_11target_archE942ELNS1_3gpuE9ELNS1_3repE0EEENS1_48merge_mergepath_partition_config_static_selectorELNS0_4arch9wavefront6targetE1EEEvSJ_,comdat
	.protected	_ZN7rocprim17ROCPRIM_400000_NS6detail17trampoline_kernelINS0_14default_configENS1_38merge_sort_block_merge_config_selectorIyyEEZZNS1_27merge_sort_block_merge_implIS3_N6thrust23THRUST_200600_302600_NS6detail15normal_iteratorINS8_10device_ptrIyEEEESD_jNS1_19radix_merge_compareILb0ELb0EyNS0_19identity_decomposerEEEEE10hipError_tT0_T1_T2_jT3_P12ihipStream_tbPNSt15iterator_traitsISI_E10value_typeEPNSO_ISJ_E10value_typeEPSK_NS1_7vsmem_tEENKUlT_SI_SJ_SK_E_clISD_PySD_S10_EESH_SX_SI_SJ_SK_EUlSX_E_NS1_11comp_targetILNS1_3genE5ELNS1_11target_archE942ELNS1_3gpuE9ELNS1_3repE0EEENS1_48merge_mergepath_partition_config_static_selectorELNS0_4arch9wavefront6targetE1EEEvSJ_ ; -- Begin function _ZN7rocprim17ROCPRIM_400000_NS6detail17trampoline_kernelINS0_14default_configENS1_38merge_sort_block_merge_config_selectorIyyEEZZNS1_27merge_sort_block_merge_implIS3_N6thrust23THRUST_200600_302600_NS6detail15normal_iteratorINS8_10device_ptrIyEEEESD_jNS1_19radix_merge_compareILb0ELb0EyNS0_19identity_decomposerEEEEE10hipError_tT0_T1_T2_jT3_P12ihipStream_tbPNSt15iterator_traitsISI_E10value_typeEPNSO_ISJ_E10value_typeEPSK_NS1_7vsmem_tEENKUlT_SI_SJ_SK_E_clISD_PySD_S10_EESH_SX_SI_SJ_SK_EUlSX_E_NS1_11comp_targetILNS1_3genE5ELNS1_11target_archE942ELNS1_3gpuE9ELNS1_3repE0EEENS1_48merge_mergepath_partition_config_static_selectorELNS0_4arch9wavefront6targetE1EEEvSJ_
	.globl	_ZN7rocprim17ROCPRIM_400000_NS6detail17trampoline_kernelINS0_14default_configENS1_38merge_sort_block_merge_config_selectorIyyEEZZNS1_27merge_sort_block_merge_implIS3_N6thrust23THRUST_200600_302600_NS6detail15normal_iteratorINS8_10device_ptrIyEEEESD_jNS1_19radix_merge_compareILb0ELb0EyNS0_19identity_decomposerEEEEE10hipError_tT0_T1_T2_jT3_P12ihipStream_tbPNSt15iterator_traitsISI_E10value_typeEPNSO_ISJ_E10value_typeEPSK_NS1_7vsmem_tEENKUlT_SI_SJ_SK_E_clISD_PySD_S10_EESH_SX_SI_SJ_SK_EUlSX_E_NS1_11comp_targetILNS1_3genE5ELNS1_11target_archE942ELNS1_3gpuE9ELNS1_3repE0EEENS1_48merge_mergepath_partition_config_static_selectorELNS0_4arch9wavefront6targetE1EEEvSJ_
	.p2align	8
	.type	_ZN7rocprim17ROCPRIM_400000_NS6detail17trampoline_kernelINS0_14default_configENS1_38merge_sort_block_merge_config_selectorIyyEEZZNS1_27merge_sort_block_merge_implIS3_N6thrust23THRUST_200600_302600_NS6detail15normal_iteratorINS8_10device_ptrIyEEEESD_jNS1_19radix_merge_compareILb0ELb0EyNS0_19identity_decomposerEEEEE10hipError_tT0_T1_T2_jT3_P12ihipStream_tbPNSt15iterator_traitsISI_E10value_typeEPNSO_ISJ_E10value_typeEPSK_NS1_7vsmem_tEENKUlT_SI_SJ_SK_E_clISD_PySD_S10_EESH_SX_SI_SJ_SK_EUlSX_E_NS1_11comp_targetILNS1_3genE5ELNS1_11target_archE942ELNS1_3gpuE9ELNS1_3repE0EEENS1_48merge_mergepath_partition_config_static_selectorELNS0_4arch9wavefront6targetE1EEEvSJ_,@function
_ZN7rocprim17ROCPRIM_400000_NS6detail17trampoline_kernelINS0_14default_configENS1_38merge_sort_block_merge_config_selectorIyyEEZZNS1_27merge_sort_block_merge_implIS3_N6thrust23THRUST_200600_302600_NS6detail15normal_iteratorINS8_10device_ptrIyEEEESD_jNS1_19radix_merge_compareILb0ELb0EyNS0_19identity_decomposerEEEEE10hipError_tT0_T1_T2_jT3_P12ihipStream_tbPNSt15iterator_traitsISI_E10value_typeEPNSO_ISJ_E10value_typeEPSK_NS1_7vsmem_tEENKUlT_SI_SJ_SK_E_clISD_PySD_S10_EESH_SX_SI_SJ_SK_EUlSX_E_NS1_11comp_targetILNS1_3genE5ELNS1_11target_archE942ELNS1_3gpuE9ELNS1_3repE0EEENS1_48merge_mergepath_partition_config_static_selectorELNS0_4arch9wavefront6targetE1EEEvSJ_: ; @_ZN7rocprim17ROCPRIM_400000_NS6detail17trampoline_kernelINS0_14default_configENS1_38merge_sort_block_merge_config_selectorIyyEEZZNS1_27merge_sort_block_merge_implIS3_N6thrust23THRUST_200600_302600_NS6detail15normal_iteratorINS8_10device_ptrIyEEEESD_jNS1_19radix_merge_compareILb0ELb0EyNS0_19identity_decomposerEEEEE10hipError_tT0_T1_T2_jT3_P12ihipStream_tbPNSt15iterator_traitsISI_E10value_typeEPNSO_ISJ_E10value_typeEPSK_NS1_7vsmem_tEENKUlT_SI_SJ_SK_E_clISD_PySD_S10_EESH_SX_SI_SJ_SK_EUlSX_E_NS1_11comp_targetILNS1_3genE5ELNS1_11target_archE942ELNS1_3gpuE9ELNS1_3repE0EEENS1_48merge_mergepath_partition_config_static_selectorELNS0_4arch9wavefront6targetE1EEEvSJ_
; %bb.0:
	.section	.rodata,"a",@progbits
	.p2align	6, 0x0
	.amdhsa_kernel _ZN7rocprim17ROCPRIM_400000_NS6detail17trampoline_kernelINS0_14default_configENS1_38merge_sort_block_merge_config_selectorIyyEEZZNS1_27merge_sort_block_merge_implIS3_N6thrust23THRUST_200600_302600_NS6detail15normal_iteratorINS8_10device_ptrIyEEEESD_jNS1_19radix_merge_compareILb0ELb0EyNS0_19identity_decomposerEEEEE10hipError_tT0_T1_T2_jT3_P12ihipStream_tbPNSt15iterator_traitsISI_E10value_typeEPNSO_ISJ_E10value_typeEPSK_NS1_7vsmem_tEENKUlT_SI_SJ_SK_E_clISD_PySD_S10_EESH_SX_SI_SJ_SK_EUlSX_E_NS1_11comp_targetILNS1_3genE5ELNS1_11target_archE942ELNS1_3gpuE9ELNS1_3repE0EEENS1_48merge_mergepath_partition_config_static_selectorELNS0_4arch9wavefront6targetE1EEEvSJ_
		.amdhsa_group_segment_fixed_size 0
		.amdhsa_private_segment_fixed_size 0
		.amdhsa_kernarg_size 40
		.amdhsa_user_sgpr_count 2
		.amdhsa_user_sgpr_dispatch_ptr 0
		.amdhsa_user_sgpr_queue_ptr 0
		.amdhsa_user_sgpr_kernarg_segment_ptr 1
		.amdhsa_user_sgpr_dispatch_id 0
		.amdhsa_user_sgpr_kernarg_preload_length 0
		.amdhsa_user_sgpr_kernarg_preload_offset 0
		.amdhsa_user_sgpr_private_segment_size 0
		.amdhsa_uses_dynamic_stack 0
		.amdhsa_enable_private_segment 0
		.amdhsa_system_sgpr_workgroup_id_x 1
		.amdhsa_system_sgpr_workgroup_id_y 0
		.amdhsa_system_sgpr_workgroup_id_z 0
		.amdhsa_system_sgpr_workgroup_info 0
		.amdhsa_system_vgpr_workitem_id 0
		.amdhsa_next_free_vgpr 1
		.amdhsa_next_free_sgpr 0
		.amdhsa_accum_offset 4
		.amdhsa_reserve_vcc 0
		.amdhsa_float_round_mode_32 0
		.amdhsa_float_round_mode_16_64 0
		.amdhsa_float_denorm_mode_32 3
		.amdhsa_float_denorm_mode_16_64 3
		.amdhsa_dx10_clamp 1
		.amdhsa_ieee_mode 1
		.amdhsa_fp16_overflow 0
		.amdhsa_tg_split 0
		.amdhsa_exception_fp_ieee_invalid_op 0
		.amdhsa_exception_fp_denorm_src 0
		.amdhsa_exception_fp_ieee_div_zero 0
		.amdhsa_exception_fp_ieee_overflow 0
		.amdhsa_exception_fp_ieee_underflow 0
		.amdhsa_exception_fp_ieee_inexact 0
		.amdhsa_exception_int_div_zero 0
	.end_amdhsa_kernel
	.section	.text._ZN7rocprim17ROCPRIM_400000_NS6detail17trampoline_kernelINS0_14default_configENS1_38merge_sort_block_merge_config_selectorIyyEEZZNS1_27merge_sort_block_merge_implIS3_N6thrust23THRUST_200600_302600_NS6detail15normal_iteratorINS8_10device_ptrIyEEEESD_jNS1_19radix_merge_compareILb0ELb0EyNS0_19identity_decomposerEEEEE10hipError_tT0_T1_T2_jT3_P12ihipStream_tbPNSt15iterator_traitsISI_E10value_typeEPNSO_ISJ_E10value_typeEPSK_NS1_7vsmem_tEENKUlT_SI_SJ_SK_E_clISD_PySD_S10_EESH_SX_SI_SJ_SK_EUlSX_E_NS1_11comp_targetILNS1_3genE5ELNS1_11target_archE942ELNS1_3gpuE9ELNS1_3repE0EEENS1_48merge_mergepath_partition_config_static_selectorELNS0_4arch9wavefront6targetE1EEEvSJ_,"axG",@progbits,_ZN7rocprim17ROCPRIM_400000_NS6detail17trampoline_kernelINS0_14default_configENS1_38merge_sort_block_merge_config_selectorIyyEEZZNS1_27merge_sort_block_merge_implIS3_N6thrust23THRUST_200600_302600_NS6detail15normal_iteratorINS8_10device_ptrIyEEEESD_jNS1_19radix_merge_compareILb0ELb0EyNS0_19identity_decomposerEEEEE10hipError_tT0_T1_T2_jT3_P12ihipStream_tbPNSt15iterator_traitsISI_E10value_typeEPNSO_ISJ_E10value_typeEPSK_NS1_7vsmem_tEENKUlT_SI_SJ_SK_E_clISD_PySD_S10_EESH_SX_SI_SJ_SK_EUlSX_E_NS1_11comp_targetILNS1_3genE5ELNS1_11target_archE942ELNS1_3gpuE9ELNS1_3repE0EEENS1_48merge_mergepath_partition_config_static_selectorELNS0_4arch9wavefront6targetE1EEEvSJ_,comdat
.Lfunc_end422:
	.size	_ZN7rocprim17ROCPRIM_400000_NS6detail17trampoline_kernelINS0_14default_configENS1_38merge_sort_block_merge_config_selectorIyyEEZZNS1_27merge_sort_block_merge_implIS3_N6thrust23THRUST_200600_302600_NS6detail15normal_iteratorINS8_10device_ptrIyEEEESD_jNS1_19radix_merge_compareILb0ELb0EyNS0_19identity_decomposerEEEEE10hipError_tT0_T1_T2_jT3_P12ihipStream_tbPNSt15iterator_traitsISI_E10value_typeEPNSO_ISJ_E10value_typeEPSK_NS1_7vsmem_tEENKUlT_SI_SJ_SK_E_clISD_PySD_S10_EESH_SX_SI_SJ_SK_EUlSX_E_NS1_11comp_targetILNS1_3genE5ELNS1_11target_archE942ELNS1_3gpuE9ELNS1_3repE0EEENS1_48merge_mergepath_partition_config_static_selectorELNS0_4arch9wavefront6targetE1EEEvSJ_, .Lfunc_end422-_ZN7rocprim17ROCPRIM_400000_NS6detail17trampoline_kernelINS0_14default_configENS1_38merge_sort_block_merge_config_selectorIyyEEZZNS1_27merge_sort_block_merge_implIS3_N6thrust23THRUST_200600_302600_NS6detail15normal_iteratorINS8_10device_ptrIyEEEESD_jNS1_19radix_merge_compareILb0ELb0EyNS0_19identity_decomposerEEEEE10hipError_tT0_T1_T2_jT3_P12ihipStream_tbPNSt15iterator_traitsISI_E10value_typeEPNSO_ISJ_E10value_typeEPSK_NS1_7vsmem_tEENKUlT_SI_SJ_SK_E_clISD_PySD_S10_EESH_SX_SI_SJ_SK_EUlSX_E_NS1_11comp_targetILNS1_3genE5ELNS1_11target_archE942ELNS1_3gpuE9ELNS1_3repE0EEENS1_48merge_mergepath_partition_config_static_selectorELNS0_4arch9wavefront6targetE1EEEvSJ_
                                        ; -- End function
	.set _ZN7rocprim17ROCPRIM_400000_NS6detail17trampoline_kernelINS0_14default_configENS1_38merge_sort_block_merge_config_selectorIyyEEZZNS1_27merge_sort_block_merge_implIS3_N6thrust23THRUST_200600_302600_NS6detail15normal_iteratorINS8_10device_ptrIyEEEESD_jNS1_19radix_merge_compareILb0ELb0EyNS0_19identity_decomposerEEEEE10hipError_tT0_T1_T2_jT3_P12ihipStream_tbPNSt15iterator_traitsISI_E10value_typeEPNSO_ISJ_E10value_typeEPSK_NS1_7vsmem_tEENKUlT_SI_SJ_SK_E_clISD_PySD_S10_EESH_SX_SI_SJ_SK_EUlSX_E_NS1_11comp_targetILNS1_3genE5ELNS1_11target_archE942ELNS1_3gpuE9ELNS1_3repE0EEENS1_48merge_mergepath_partition_config_static_selectorELNS0_4arch9wavefront6targetE1EEEvSJ_.num_vgpr, 0
	.set _ZN7rocprim17ROCPRIM_400000_NS6detail17trampoline_kernelINS0_14default_configENS1_38merge_sort_block_merge_config_selectorIyyEEZZNS1_27merge_sort_block_merge_implIS3_N6thrust23THRUST_200600_302600_NS6detail15normal_iteratorINS8_10device_ptrIyEEEESD_jNS1_19radix_merge_compareILb0ELb0EyNS0_19identity_decomposerEEEEE10hipError_tT0_T1_T2_jT3_P12ihipStream_tbPNSt15iterator_traitsISI_E10value_typeEPNSO_ISJ_E10value_typeEPSK_NS1_7vsmem_tEENKUlT_SI_SJ_SK_E_clISD_PySD_S10_EESH_SX_SI_SJ_SK_EUlSX_E_NS1_11comp_targetILNS1_3genE5ELNS1_11target_archE942ELNS1_3gpuE9ELNS1_3repE0EEENS1_48merge_mergepath_partition_config_static_selectorELNS0_4arch9wavefront6targetE1EEEvSJ_.num_agpr, 0
	.set _ZN7rocprim17ROCPRIM_400000_NS6detail17trampoline_kernelINS0_14default_configENS1_38merge_sort_block_merge_config_selectorIyyEEZZNS1_27merge_sort_block_merge_implIS3_N6thrust23THRUST_200600_302600_NS6detail15normal_iteratorINS8_10device_ptrIyEEEESD_jNS1_19radix_merge_compareILb0ELb0EyNS0_19identity_decomposerEEEEE10hipError_tT0_T1_T2_jT3_P12ihipStream_tbPNSt15iterator_traitsISI_E10value_typeEPNSO_ISJ_E10value_typeEPSK_NS1_7vsmem_tEENKUlT_SI_SJ_SK_E_clISD_PySD_S10_EESH_SX_SI_SJ_SK_EUlSX_E_NS1_11comp_targetILNS1_3genE5ELNS1_11target_archE942ELNS1_3gpuE9ELNS1_3repE0EEENS1_48merge_mergepath_partition_config_static_selectorELNS0_4arch9wavefront6targetE1EEEvSJ_.numbered_sgpr, 0
	.set _ZN7rocprim17ROCPRIM_400000_NS6detail17trampoline_kernelINS0_14default_configENS1_38merge_sort_block_merge_config_selectorIyyEEZZNS1_27merge_sort_block_merge_implIS3_N6thrust23THRUST_200600_302600_NS6detail15normal_iteratorINS8_10device_ptrIyEEEESD_jNS1_19radix_merge_compareILb0ELb0EyNS0_19identity_decomposerEEEEE10hipError_tT0_T1_T2_jT3_P12ihipStream_tbPNSt15iterator_traitsISI_E10value_typeEPNSO_ISJ_E10value_typeEPSK_NS1_7vsmem_tEENKUlT_SI_SJ_SK_E_clISD_PySD_S10_EESH_SX_SI_SJ_SK_EUlSX_E_NS1_11comp_targetILNS1_3genE5ELNS1_11target_archE942ELNS1_3gpuE9ELNS1_3repE0EEENS1_48merge_mergepath_partition_config_static_selectorELNS0_4arch9wavefront6targetE1EEEvSJ_.num_named_barrier, 0
	.set _ZN7rocprim17ROCPRIM_400000_NS6detail17trampoline_kernelINS0_14default_configENS1_38merge_sort_block_merge_config_selectorIyyEEZZNS1_27merge_sort_block_merge_implIS3_N6thrust23THRUST_200600_302600_NS6detail15normal_iteratorINS8_10device_ptrIyEEEESD_jNS1_19radix_merge_compareILb0ELb0EyNS0_19identity_decomposerEEEEE10hipError_tT0_T1_T2_jT3_P12ihipStream_tbPNSt15iterator_traitsISI_E10value_typeEPNSO_ISJ_E10value_typeEPSK_NS1_7vsmem_tEENKUlT_SI_SJ_SK_E_clISD_PySD_S10_EESH_SX_SI_SJ_SK_EUlSX_E_NS1_11comp_targetILNS1_3genE5ELNS1_11target_archE942ELNS1_3gpuE9ELNS1_3repE0EEENS1_48merge_mergepath_partition_config_static_selectorELNS0_4arch9wavefront6targetE1EEEvSJ_.private_seg_size, 0
	.set _ZN7rocprim17ROCPRIM_400000_NS6detail17trampoline_kernelINS0_14default_configENS1_38merge_sort_block_merge_config_selectorIyyEEZZNS1_27merge_sort_block_merge_implIS3_N6thrust23THRUST_200600_302600_NS6detail15normal_iteratorINS8_10device_ptrIyEEEESD_jNS1_19radix_merge_compareILb0ELb0EyNS0_19identity_decomposerEEEEE10hipError_tT0_T1_T2_jT3_P12ihipStream_tbPNSt15iterator_traitsISI_E10value_typeEPNSO_ISJ_E10value_typeEPSK_NS1_7vsmem_tEENKUlT_SI_SJ_SK_E_clISD_PySD_S10_EESH_SX_SI_SJ_SK_EUlSX_E_NS1_11comp_targetILNS1_3genE5ELNS1_11target_archE942ELNS1_3gpuE9ELNS1_3repE0EEENS1_48merge_mergepath_partition_config_static_selectorELNS0_4arch9wavefront6targetE1EEEvSJ_.uses_vcc, 0
	.set _ZN7rocprim17ROCPRIM_400000_NS6detail17trampoline_kernelINS0_14default_configENS1_38merge_sort_block_merge_config_selectorIyyEEZZNS1_27merge_sort_block_merge_implIS3_N6thrust23THRUST_200600_302600_NS6detail15normal_iteratorINS8_10device_ptrIyEEEESD_jNS1_19radix_merge_compareILb0ELb0EyNS0_19identity_decomposerEEEEE10hipError_tT0_T1_T2_jT3_P12ihipStream_tbPNSt15iterator_traitsISI_E10value_typeEPNSO_ISJ_E10value_typeEPSK_NS1_7vsmem_tEENKUlT_SI_SJ_SK_E_clISD_PySD_S10_EESH_SX_SI_SJ_SK_EUlSX_E_NS1_11comp_targetILNS1_3genE5ELNS1_11target_archE942ELNS1_3gpuE9ELNS1_3repE0EEENS1_48merge_mergepath_partition_config_static_selectorELNS0_4arch9wavefront6targetE1EEEvSJ_.uses_flat_scratch, 0
	.set _ZN7rocprim17ROCPRIM_400000_NS6detail17trampoline_kernelINS0_14default_configENS1_38merge_sort_block_merge_config_selectorIyyEEZZNS1_27merge_sort_block_merge_implIS3_N6thrust23THRUST_200600_302600_NS6detail15normal_iteratorINS8_10device_ptrIyEEEESD_jNS1_19radix_merge_compareILb0ELb0EyNS0_19identity_decomposerEEEEE10hipError_tT0_T1_T2_jT3_P12ihipStream_tbPNSt15iterator_traitsISI_E10value_typeEPNSO_ISJ_E10value_typeEPSK_NS1_7vsmem_tEENKUlT_SI_SJ_SK_E_clISD_PySD_S10_EESH_SX_SI_SJ_SK_EUlSX_E_NS1_11comp_targetILNS1_3genE5ELNS1_11target_archE942ELNS1_3gpuE9ELNS1_3repE0EEENS1_48merge_mergepath_partition_config_static_selectorELNS0_4arch9wavefront6targetE1EEEvSJ_.has_dyn_sized_stack, 0
	.set _ZN7rocprim17ROCPRIM_400000_NS6detail17trampoline_kernelINS0_14default_configENS1_38merge_sort_block_merge_config_selectorIyyEEZZNS1_27merge_sort_block_merge_implIS3_N6thrust23THRUST_200600_302600_NS6detail15normal_iteratorINS8_10device_ptrIyEEEESD_jNS1_19radix_merge_compareILb0ELb0EyNS0_19identity_decomposerEEEEE10hipError_tT0_T1_T2_jT3_P12ihipStream_tbPNSt15iterator_traitsISI_E10value_typeEPNSO_ISJ_E10value_typeEPSK_NS1_7vsmem_tEENKUlT_SI_SJ_SK_E_clISD_PySD_S10_EESH_SX_SI_SJ_SK_EUlSX_E_NS1_11comp_targetILNS1_3genE5ELNS1_11target_archE942ELNS1_3gpuE9ELNS1_3repE0EEENS1_48merge_mergepath_partition_config_static_selectorELNS0_4arch9wavefront6targetE1EEEvSJ_.has_recursion, 0
	.set _ZN7rocprim17ROCPRIM_400000_NS6detail17trampoline_kernelINS0_14default_configENS1_38merge_sort_block_merge_config_selectorIyyEEZZNS1_27merge_sort_block_merge_implIS3_N6thrust23THRUST_200600_302600_NS6detail15normal_iteratorINS8_10device_ptrIyEEEESD_jNS1_19radix_merge_compareILb0ELb0EyNS0_19identity_decomposerEEEEE10hipError_tT0_T1_T2_jT3_P12ihipStream_tbPNSt15iterator_traitsISI_E10value_typeEPNSO_ISJ_E10value_typeEPSK_NS1_7vsmem_tEENKUlT_SI_SJ_SK_E_clISD_PySD_S10_EESH_SX_SI_SJ_SK_EUlSX_E_NS1_11comp_targetILNS1_3genE5ELNS1_11target_archE942ELNS1_3gpuE9ELNS1_3repE0EEENS1_48merge_mergepath_partition_config_static_selectorELNS0_4arch9wavefront6targetE1EEEvSJ_.has_indirect_call, 0
	.section	.AMDGPU.csdata,"",@progbits
; Kernel info:
; codeLenInByte = 0
; TotalNumSgprs: 6
; NumVgprs: 0
; NumAgprs: 0
; TotalNumVgprs: 0
; ScratchSize: 0
; MemoryBound: 0
; FloatMode: 240
; IeeeMode: 1
; LDSByteSize: 0 bytes/workgroup (compile time only)
; SGPRBlocks: 0
; VGPRBlocks: 0
; NumSGPRsForWavesPerEU: 6
; NumVGPRsForWavesPerEU: 1
; AccumOffset: 4
; Occupancy: 8
; WaveLimiterHint : 0
; COMPUTE_PGM_RSRC2:SCRATCH_EN: 0
; COMPUTE_PGM_RSRC2:USER_SGPR: 2
; COMPUTE_PGM_RSRC2:TRAP_HANDLER: 0
; COMPUTE_PGM_RSRC2:TGID_X_EN: 1
; COMPUTE_PGM_RSRC2:TGID_Y_EN: 0
; COMPUTE_PGM_RSRC2:TGID_Z_EN: 0
; COMPUTE_PGM_RSRC2:TIDIG_COMP_CNT: 0
; COMPUTE_PGM_RSRC3_GFX90A:ACCUM_OFFSET: 0
; COMPUTE_PGM_RSRC3_GFX90A:TG_SPLIT: 0
	.section	.text._ZN7rocprim17ROCPRIM_400000_NS6detail17trampoline_kernelINS0_14default_configENS1_38merge_sort_block_merge_config_selectorIyyEEZZNS1_27merge_sort_block_merge_implIS3_N6thrust23THRUST_200600_302600_NS6detail15normal_iteratorINS8_10device_ptrIyEEEESD_jNS1_19radix_merge_compareILb0ELb0EyNS0_19identity_decomposerEEEEE10hipError_tT0_T1_T2_jT3_P12ihipStream_tbPNSt15iterator_traitsISI_E10value_typeEPNSO_ISJ_E10value_typeEPSK_NS1_7vsmem_tEENKUlT_SI_SJ_SK_E_clISD_PySD_S10_EESH_SX_SI_SJ_SK_EUlSX_E_NS1_11comp_targetILNS1_3genE4ELNS1_11target_archE910ELNS1_3gpuE8ELNS1_3repE0EEENS1_48merge_mergepath_partition_config_static_selectorELNS0_4arch9wavefront6targetE1EEEvSJ_,"axG",@progbits,_ZN7rocprim17ROCPRIM_400000_NS6detail17trampoline_kernelINS0_14default_configENS1_38merge_sort_block_merge_config_selectorIyyEEZZNS1_27merge_sort_block_merge_implIS3_N6thrust23THRUST_200600_302600_NS6detail15normal_iteratorINS8_10device_ptrIyEEEESD_jNS1_19radix_merge_compareILb0ELb0EyNS0_19identity_decomposerEEEEE10hipError_tT0_T1_T2_jT3_P12ihipStream_tbPNSt15iterator_traitsISI_E10value_typeEPNSO_ISJ_E10value_typeEPSK_NS1_7vsmem_tEENKUlT_SI_SJ_SK_E_clISD_PySD_S10_EESH_SX_SI_SJ_SK_EUlSX_E_NS1_11comp_targetILNS1_3genE4ELNS1_11target_archE910ELNS1_3gpuE8ELNS1_3repE0EEENS1_48merge_mergepath_partition_config_static_selectorELNS0_4arch9wavefront6targetE1EEEvSJ_,comdat
	.protected	_ZN7rocprim17ROCPRIM_400000_NS6detail17trampoline_kernelINS0_14default_configENS1_38merge_sort_block_merge_config_selectorIyyEEZZNS1_27merge_sort_block_merge_implIS3_N6thrust23THRUST_200600_302600_NS6detail15normal_iteratorINS8_10device_ptrIyEEEESD_jNS1_19radix_merge_compareILb0ELb0EyNS0_19identity_decomposerEEEEE10hipError_tT0_T1_T2_jT3_P12ihipStream_tbPNSt15iterator_traitsISI_E10value_typeEPNSO_ISJ_E10value_typeEPSK_NS1_7vsmem_tEENKUlT_SI_SJ_SK_E_clISD_PySD_S10_EESH_SX_SI_SJ_SK_EUlSX_E_NS1_11comp_targetILNS1_3genE4ELNS1_11target_archE910ELNS1_3gpuE8ELNS1_3repE0EEENS1_48merge_mergepath_partition_config_static_selectorELNS0_4arch9wavefront6targetE1EEEvSJ_ ; -- Begin function _ZN7rocprim17ROCPRIM_400000_NS6detail17trampoline_kernelINS0_14default_configENS1_38merge_sort_block_merge_config_selectorIyyEEZZNS1_27merge_sort_block_merge_implIS3_N6thrust23THRUST_200600_302600_NS6detail15normal_iteratorINS8_10device_ptrIyEEEESD_jNS1_19radix_merge_compareILb0ELb0EyNS0_19identity_decomposerEEEEE10hipError_tT0_T1_T2_jT3_P12ihipStream_tbPNSt15iterator_traitsISI_E10value_typeEPNSO_ISJ_E10value_typeEPSK_NS1_7vsmem_tEENKUlT_SI_SJ_SK_E_clISD_PySD_S10_EESH_SX_SI_SJ_SK_EUlSX_E_NS1_11comp_targetILNS1_3genE4ELNS1_11target_archE910ELNS1_3gpuE8ELNS1_3repE0EEENS1_48merge_mergepath_partition_config_static_selectorELNS0_4arch9wavefront6targetE1EEEvSJ_
	.globl	_ZN7rocprim17ROCPRIM_400000_NS6detail17trampoline_kernelINS0_14default_configENS1_38merge_sort_block_merge_config_selectorIyyEEZZNS1_27merge_sort_block_merge_implIS3_N6thrust23THRUST_200600_302600_NS6detail15normal_iteratorINS8_10device_ptrIyEEEESD_jNS1_19radix_merge_compareILb0ELb0EyNS0_19identity_decomposerEEEEE10hipError_tT0_T1_T2_jT3_P12ihipStream_tbPNSt15iterator_traitsISI_E10value_typeEPNSO_ISJ_E10value_typeEPSK_NS1_7vsmem_tEENKUlT_SI_SJ_SK_E_clISD_PySD_S10_EESH_SX_SI_SJ_SK_EUlSX_E_NS1_11comp_targetILNS1_3genE4ELNS1_11target_archE910ELNS1_3gpuE8ELNS1_3repE0EEENS1_48merge_mergepath_partition_config_static_selectorELNS0_4arch9wavefront6targetE1EEEvSJ_
	.p2align	8
	.type	_ZN7rocprim17ROCPRIM_400000_NS6detail17trampoline_kernelINS0_14default_configENS1_38merge_sort_block_merge_config_selectorIyyEEZZNS1_27merge_sort_block_merge_implIS3_N6thrust23THRUST_200600_302600_NS6detail15normal_iteratorINS8_10device_ptrIyEEEESD_jNS1_19radix_merge_compareILb0ELb0EyNS0_19identity_decomposerEEEEE10hipError_tT0_T1_T2_jT3_P12ihipStream_tbPNSt15iterator_traitsISI_E10value_typeEPNSO_ISJ_E10value_typeEPSK_NS1_7vsmem_tEENKUlT_SI_SJ_SK_E_clISD_PySD_S10_EESH_SX_SI_SJ_SK_EUlSX_E_NS1_11comp_targetILNS1_3genE4ELNS1_11target_archE910ELNS1_3gpuE8ELNS1_3repE0EEENS1_48merge_mergepath_partition_config_static_selectorELNS0_4arch9wavefront6targetE1EEEvSJ_,@function
_ZN7rocprim17ROCPRIM_400000_NS6detail17trampoline_kernelINS0_14default_configENS1_38merge_sort_block_merge_config_selectorIyyEEZZNS1_27merge_sort_block_merge_implIS3_N6thrust23THRUST_200600_302600_NS6detail15normal_iteratorINS8_10device_ptrIyEEEESD_jNS1_19radix_merge_compareILb0ELb0EyNS0_19identity_decomposerEEEEE10hipError_tT0_T1_T2_jT3_P12ihipStream_tbPNSt15iterator_traitsISI_E10value_typeEPNSO_ISJ_E10value_typeEPSK_NS1_7vsmem_tEENKUlT_SI_SJ_SK_E_clISD_PySD_S10_EESH_SX_SI_SJ_SK_EUlSX_E_NS1_11comp_targetILNS1_3genE4ELNS1_11target_archE910ELNS1_3gpuE8ELNS1_3repE0EEENS1_48merge_mergepath_partition_config_static_selectorELNS0_4arch9wavefront6targetE1EEEvSJ_: ; @_ZN7rocprim17ROCPRIM_400000_NS6detail17trampoline_kernelINS0_14default_configENS1_38merge_sort_block_merge_config_selectorIyyEEZZNS1_27merge_sort_block_merge_implIS3_N6thrust23THRUST_200600_302600_NS6detail15normal_iteratorINS8_10device_ptrIyEEEESD_jNS1_19radix_merge_compareILb0ELb0EyNS0_19identity_decomposerEEEEE10hipError_tT0_T1_T2_jT3_P12ihipStream_tbPNSt15iterator_traitsISI_E10value_typeEPNSO_ISJ_E10value_typeEPSK_NS1_7vsmem_tEENKUlT_SI_SJ_SK_E_clISD_PySD_S10_EESH_SX_SI_SJ_SK_EUlSX_E_NS1_11comp_targetILNS1_3genE4ELNS1_11target_archE910ELNS1_3gpuE8ELNS1_3repE0EEENS1_48merge_mergepath_partition_config_static_selectorELNS0_4arch9wavefront6targetE1EEEvSJ_
; %bb.0:
	.section	.rodata,"a",@progbits
	.p2align	6, 0x0
	.amdhsa_kernel _ZN7rocprim17ROCPRIM_400000_NS6detail17trampoline_kernelINS0_14default_configENS1_38merge_sort_block_merge_config_selectorIyyEEZZNS1_27merge_sort_block_merge_implIS3_N6thrust23THRUST_200600_302600_NS6detail15normal_iteratorINS8_10device_ptrIyEEEESD_jNS1_19radix_merge_compareILb0ELb0EyNS0_19identity_decomposerEEEEE10hipError_tT0_T1_T2_jT3_P12ihipStream_tbPNSt15iterator_traitsISI_E10value_typeEPNSO_ISJ_E10value_typeEPSK_NS1_7vsmem_tEENKUlT_SI_SJ_SK_E_clISD_PySD_S10_EESH_SX_SI_SJ_SK_EUlSX_E_NS1_11comp_targetILNS1_3genE4ELNS1_11target_archE910ELNS1_3gpuE8ELNS1_3repE0EEENS1_48merge_mergepath_partition_config_static_selectorELNS0_4arch9wavefront6targetE1EEEvSJ_
		.amdhsa_group_segment_fixed_size 0
		.amdhsa_private_segment_fixed_size 0
		.amdhsa_kernarg_size 40
		.amdhsa_user_sgpr_count 2
		.amdhsa_user_sgpr_dispatch_ptr 0
		.amdhsa_user_sgpr_queue_ptr 0
		.amdhsa_user_sgpr_kernarg_segment_ptr 1
		.amdhsa_user_sgpr_dispatch_id 0
		.amdhsa_user_sgpr_kernarg_preload_length 0
		.amdhsa_user_sgpr_kernarg_preload_offset 0
		.amdhsa_user_sgpr_private_segment_size 0
		.amdhsa_uses_dynamic_stack 0
		.amdhsa_enable_private_segment 0
		.amdhsa_system_sgpr_workgroup_id_x 1
		.amdhsa_system_sgpr_workgroup_id_y 0
		.amdhsa_system_sgpr_workgroup_id_z 0
		.amdhsa_system_sgpr_workgroup_info 0
		.amdhsa_system_vgpr_workitem_id 0
		.amdhsa_next_free_vgpr 1
		.amdhsa_next_free_sgpr 0
		.amdhsa_accum_offset 4
		.amdhsa_reserve_vcc 0
		.amdhsa_float_round_mode_32 0
		.amdhsa_float_round_mode_16_64 0
		.amdhsa_float_denorm_mode_32 3
		.amdhsa_float_denorm_mode_16_64 3
		.amdhsa_dx10_clamp 1
		.amdhsa_ieee_mode 1
		.amdhsa_fp16_overflow 0
		.amdhsa_tg_split 0
		.amdhsa_exception_fp_ieee_invalid_op 0
		.amdhsa_exception_fp_denorm_src 0
		.amdhsa_exception_fp_ieee_div_zero 0
		.amdhsa_exception_fp_ieee_overflow 0
		.amdhsa_exception_fp_ieee_underflow 0
		.amdhsa_exception_fp_ieee_inexact 0
		.amdhsa_exception_int_div_zero 0
	.end_amdhsa_kernel
	.section	.text._ZN7rocprim17ROCPRIM_400000_NS6detail17trampoline_kernelINS0_14default_configENS1_38merge_sort_block_merge_config_selectorIyyEEZZNS1_27merge_sort_block_merge_implIS3_N6thrust23THRUST_200600_302600_NS6detail15normal_iteratorINS8_10device_ptrIyEEEESD_jNS1_19radix_merge_compareILb0ELb0EyNS0_19identity_decomposerEEEEE10hipError_tT0_T1_T2_jT3_P12ihipStream_tbPNSt15iterator_traitsISI_E10value_typeEPNSO_ISJ_E10value_typeEPSK_NS1_7vsmem_tEENKUlT_SI_SJ_SK_E_clISD_PySD_S10_EESH_SX_SI_SJ_SK_EUlSX_E_NS1_11comp_targetILNS1_3genE4ELNS1_11target_archE910ELNS1_3gpuE8ELNS1_3repE0EEENS1_48merge_mergepath_partition_config_static_selectorELNS0_4arch9wavefront6targetE1EEEvSJ_,"axG",@progbits,_ZN7rocprim17ROCPRIM_400000_NS6detail17trampoline_kernelINS0_14default_configENS1_38merge_sort_block_merge_config_selectorIyyEEZZNS1_27merge_sort_block_merge_implIS3_N6thrust23THRUST_200600_302600_NS6detail15normal_iteratorINS8_10device_ptrIyEEEESD_jNS1_19radix_merge_compareILb0ELb0EyNS0_19identity_decomposerEEEEE10hipError_tT0_T1_T2_jT3_P12ihipStream_tbPNSt15iterator_traitsISI_E10value_typeEPNSO_ISJ_E10value_typeEPSK_NS1_7vsmem_tEENKUlT_SI_SJ_SK_E_clISD_PySD_S10_EESH_SX_SI_SJ_SK_EUlSX_E_NS1_11comp_targetILNS1_3genE4ELNS1_11target_archE910ELNS1_3gpuE8ELNS1_3repE0EEENS1_48merge_mergepath_partition_config_static_selectorELNS0_4arch9wavefront6targetE1EEEvSJ_,comdat
.Lfunc_end423:
	.size	_ZN7rocprim17ROCPRIM_400000_NS6detail17trampoline_kernelINS0_14default_configENS1_38merge_sort_block_merge_config_selectorIyyEEZZNS1_27merge_sort_block_merge_implIS3_N6thrust23THRUST_200600_302600_NS6detail15normal_iteratorINS8_10device_ptrIyEEEESD_jNS1_19radix_merge_compareILb0ELb0EyNS0_19identity_decomposerEEEEE10hipError_tT0_T1_T2_jT3_P12ihipStream_tbPNSt15iterator_traitsISI_E10value_typeEPNSO_ISJ_E10value_typeEPSK_NS1_7vsmem_tEENKUlT_SI_SJ_SK_E_clISD_PySD_S10_EESH_SX_SI_SJ_SK_EUlSX_E_NS1_11comp_targetILNS1_3genE4ELNS1_11target_archE910ELNS1_3gpuE8ELNS1_3repE0EEENS1_48merge_mergepath_partition_config_static_selectorELNS0_4arch9wavefront6targetE1EEEvSJ_, .Lfunc_end423-_ZN7rocprim17ROCPRIM_400000_NS6detail17trampoline_kernelINS0_14default_configENS1_38merge_sort_block_merge_config_selectorIyyEEZZNS1_27merge_sort_block_merge_implIS3_N6thrust23THRUST_200600_302600_NS6detail15normal_iteratorINS8_10device_ptrIyEEEESD_jNS1_19radix_merge_compareILb0ELb0EyNS0_19identity_decomposerEEEEE10hipError_tT0_T1_T2_jT3_P12ihipStream_tbPNSt15iterator_traitsISI_E10value_typeEPNSO_ISJ_E10value_typeEPSK_NS1_7vsmem_tEENKUlT_SI_SJ_SK_E_clISD_PySD_S10_EESH_SX_SI_SJ_SK_EUlSX_E_NS1_11comp_targetILNS1_3genE4ELNS1_11target_archE910ELNS1_3gpuE8ELNS1_3repE0EEENS1_48merge_mergepath_partition_config_static_selectorELNS0_4arch9wavefront6targetE1EEEvSJ_
                                        ; -- End function
	.set _ZN7rocprim17ROCPRIM_400000_NS6detail17trampoline_kernelINS0_14default_configENS1_38merge_sort_block_merge_config_selectorIyyEEZZNS1_27merge_sort_block_merge_implIS3_N6thrust23THRUST_200600_302600_NS6detail15normal_iteratorINS8_10device_ptrIyEEEESD_jNS1_19radix_merge_compareILb0ELb0EyNS0_19identity_decomposerEEEEE10hipError_tT0_T1_T2_jT3_P12ihipStream_tbPNSt15iterator_traitsISI_E10value_typeEPNSO_ISJ_E10value_typeEPSK_NS1_7vsmem_tEENKUlT_SI_SJ_SK_E_clISD_PySD_S10_EESH_SX_SI_SJ_SK_EUlSX_E_NS1_11comp_targetILNS1_3genE4ELNS1_11target_archE910ELNS1_3gpuE8ELNS1_3repE0EEENS1_48merge_mergepath_partition_config_static_selectorELNS0_4arch9wavefront6targetE1EEEvSJ_.num_vgpr, 0
	.set _ZN7rocprim17ROCPRIM_400000_NS6detail17trampoline_kernelINS0_14default_configENS1_38merge_sort_block_merge_config_selectorIyyEEZZNS1_27merge_sort_block_merge_implIS3_N6thrust23THRUST_200600_302600_NS6detail15normal_iteratorINS8_10device_ptrIyEEEESD_jNS1_19radix_merge_compareILb0ELb0EyNS0_19identity_decomposerEEEEE10hipError_tT0_T1_T2_jT3_P12ihipStream_tbPNSt15iterator_traitsISI_E10value_typeEPNSO_ISJ_E10value_typeEPSK_NS1_7vsmem_tEENKUlT_SI_SJ_SK_E_clISD_PySD_S10_EESH_SX_SI_SJ_SK_EUlSX_E_NS1_11comp_targetILNS1_3genE4ELNS1_11target_archE910ELNS1_3gpuE8ELNS1_3repE0EEENS1_48merge_mergepath_partition_config_static_selectorELNS0_4arch9wavefront6targetE1EEEvSJ_.num_agpr, 0
	.set _ZN7rocprim17ROCPRIM_400000_NS6detail17trampoline_kernelINS0_14default_configENS1_38merge_sort_block_merge_config_selectorIyyEEZZNS1_27merge_sort_block_merge_implIS3_N6thrust23THRUST_200600_302600_NS6detail15normal_iteratorINS8_10device_ptrIyEEEESD_jNS1_19radix_merge_compareILb0ELb0EyNS0_19identity_decomposerEEEEE10hipError_tT0_T1_T2_jT3_P12ihipStream_tbPNSt15iterator_traitsISI_E10value_typeEPNSO_ISJ_E10value_typeEPSK_NS1_7vsmem_tEENKUlT_SI_SJ_SK_E_clISD_PySD_S10_EESH_SX_SI_SJ_SK_EUlSX_E_NS1_11comp_targetILNS1_3genE4ELNS1_11target_archE910ELNS1_3gpuE8ELNS1_3repE0EEENS1_48merge_mergepath_partition_config_static_selectorELNS0_4arch9wavefront6targetE1EEEvSJ_.numbered_sgpr, 0
	.set _ZN7rocprim17ROCPRIM_400000_NS6detail17trampoline_kernelINS0_14default_configENS1_38merge_sort_block_merge_config_selectorIyyEEZZNS1_27merge_sort_block_merge_implIS3_N6thrust23THRUST_200600_302600_NS6detail15normal_iteratorINS8_10device_ptrIyEEEESD_jNS1_19radix_merge_compareILb0ELb0EyNS0_19identity_decomposerEEEEE10hipError_tT0_T1_T2_jT3_P12ihipStream_tbPNSt15iterator_traitsISI_E10value_typeEPNSO_ISJ_E10value_typeEPSK_NS1_7vsmem_tEENKUlT_SI_SJ_SK_E_clISD_PySD_S10_EESH_SX_SI_SJ_SK_EUlSX_E_NS1_11comp_targetILNS1_3genE4ELNS1_11target_archE910ELNS1_3gpuE8ELNS1_3repE0EEENS1_48merge_mergepath_partition_config_static_selectorELNS0_4arch9wavefront6targetE1EEEvSJ_.num_named_barrier, 0
	.set _ZN7rocprim17ROCPRIM_400000_NS6detail17trampoline_kernelINS0_14default_configENS1_38merge_sort_block_merge_config_selectorIyyEEZZNS1_27merge_sort_block_merge_implIS3_N6thrust23THRUST_200600_302600_NS6detail15normal_iteratorINS8_10device_ptrIyEEEESD_jNS1_19radix_merge_compareILb0ELb0EyNS0_19identity_decomposerEEEEE10hipError_tT0_T1_T2_jT3_P12ihipStream_tbPNSt15iterator_traitsISI_E10value_typeEPNSO_ISJ_E10value_typeEPSK_NS1_7vsmem_tEENKUlT_SI_SJ_SK_E_clISD_PySD_S10_EESH_SX_SI_SJ_SK_EUlSX_E_NS1_11comp_targetILNS1_3genE4ELNS1_11target_archE910ELNS1_3gpuE8ELNS1_3repE0EEENS1_48merge_mergepath_partition_config_static_selectorELNS0_4arch9wavefront6targetE1EEEvSJ_.private_seg_size, 0
	.set _ZN7rocprim17ROCPRIM_400000_NS6detail17trampoline_kernelINS0_14default_configENS1_38merge_sort_block_merge_config_selectorIyyEEZZNS1_27merge_sort_block_merge_implIS3_N6thrust23THRUST_200600_302600_NS6detail15normal_iteratorINS8_10device_ptrIyEEEESD_jNS1_19radix_merge_compareILb0ELb0EyNS0_19identity_decomposerEEEEE10hipError_tT0_T1_T2_jT3_P12ihipStream_tbPNSt15iterator_traitsISI_E10value_typeEPNSO_ISJ_E10value_typeEPSK_NS1_7vsmem_tEENKUlT_SI_SJ_SK_E_clISD_PySD_S10_EESH_SX_SI_SJ_SK_EUlSX_E_NS1_11comp_targetILNS1_3genE4ELNS1_11target_archE910ELNS1_3gpuE8ELNS1_3repE0EEENS1_48merge_mergepath_partition_config_static_selectorELNS0_4arch9wavefront6targetE1EEEvSJ_.uses_vcc, 0
	.set _ZN7rocprim17ROCPRIM_400000_NS6detail17trampoline_kernelINS0_14default_configENS1_38merge_sort_block_merge_config_selectorIyyEEZZNS1_27merge_sort_block_merge_implIS3_N6thrust23THRUST_200600_302600_NS6detail15normal_iteratorINS8_10device_ptrIyEEEESD_jNS1_19radix_merge_compareILb0ELb0EyNS0_19identity_decomposerEEEEE10hipError_tT0_T1_T2_jT3_P12ihipStream_tbPNSt15iterator_traitsISI_E10value_typeEPNSO_ISJ_E10value_typeEPSK_NS1_7vsmem_tEENKUlT_SI_SJ_SK_E_clISD_PySD_S10_EESH_SX_SI_SJ_SK_EUlSX_E_NS1_11comp_targetILNS1_3genE4ELNS1_11target_archE910ELNS1_3gpuE8ELNS1_3repE0EEENS1_48merge_mergepath_partition_config_static_selectorELNS0_4arch9wavefront6targetE1EEEvSJ_.uses_flat_scratch, 0
	.set _ZN7rocprim17ROCPRIM_400000_NS6detail17trampoline_kernelINS0_14default_configENS1_38merge_sort_block_merge_config_selectorIyyEEZZNS1_27merge_sort_block_merge_implIS3_N6thrust23THRUST_200600_302600_NS6detail15normal_iteratorINS8_10device_ptrIyEEEESD_jNS1_19radix_merge_compareILb0ELb0EyNS0_19identity_decomposerEEEEE10hipError_tT0_T1_T2_jT3_P12ihipStream_tbPNSt15iterator_traitsISI_E10value_typeEPNSO_ISJ_E10value_typeEPSK_NS1_7vsmem_tEENKUlT_SI_SJ_SK_E_clISD_PySD_S10_EESH_SX_SI_SJ_SK_EUlSX_E_NS1_11comp_targetILNS1_3genE4ELNS1_11target_archE910ELNS1_3gpuE8ELNS1_3repE0EEENS1_48merge_mergepath_partition_config_static_selectorELNS0_4arch9wavefront6targetE1EEEvSJ_.has_dyn_sized_stack, 0
	.set _ZN7rocprim17ROCPRIM_400000_NS6detail17trampoline_kernelINS0_14default_configENS1_38merge_sort_block_merge_config_selectorIyyEEZZNS1_27merge_sort_block_merge_implIS3_N6thrust23THRUST_200600_302600_NS6detail15normal_iteratorINS8_10device_ptrIyEEEESD_jNS1_19radix_merge_compareILb0ELb0EyNS0_19identity_decomposerEEEEE10hipError_tT0_T1_T2_jT3_P12ihipStream_tbPNSt15iterator_traitsISI_E10value_typeEPNSO_ISJ_E10value_typeEPSK_NS1_7vsmem_tEENKUlT_SI_SJ_SK_E_clISD_PySD_S10_EESH_SX_SI_SJ_SK_EUlSX_E_NS1_11comp_targetILNS1_3genE4ELNS1_11target_archE910ELNS1_3gpuE8ELNS1_3repE0EEENS1_48merge_mergepath_partition_config_static_selectorELNS0_4arch9wavefront6targetE1EEEvSJ_.has_recursion, 0
	.set _ZN7rocprim17ROCPRIM_400000_NS6detail17trampoline_kernelINS0_14default_configENS1_38merge_sort_block_merge_config_selectorIyyEEZZNS1_27merge_sort_block_merge_implIS3_N6thrust23THRUST_200600_302600_NS6detail15normal_iteratorINS8_10device_ptrIyEEEESD_jNS1_19radix_merge_compareILb0ELb0EyNS0_19identity_decomposerEEEEE10hipError_tT0_T1_T2_jT3_P12ihipStream_tbPNSt15iterator_traitsISI_E10value_typeEPNSO_ISJ_E10value_typeEPSK_NS1_7vsmem_tEENKUlT_SI_SJ_SK_E_clISD_PySD_S10_EESH_SX_SI_SJ_SK_EUlSX_E_NS1_11comp_targetILNS1_3genE4ELNS1_11target_archE910ELNS1_3gpuE8ELNS1_3repE0EEENS1_48merge_mergepath_partition_config_static_selectorELNS0_4arch9wavefront6targetE1EEEvSJ_.has_indirect_call, 0
	.section	.AMDGPU.csdata,"",@progbits
; Kernel info:
; codeLenInByte = 0
; TotalNumSgprs: 6
; NumVgprs: 0
; NumAgprs: 0
; TotalNumVgprs: 0
; ScratchSize: 0
; MemoryBound: 0
; FloatMode: 240
; IeeeMode: 1
; LDSByteSize: 0 bytes/workgroup (compile time only)
; SGPRBlocks: 0
; VGPRBlocks: 0
; NumSGPRsForWavesPerEU: 6
; NumVGPRsForWavesPerEU: 1
; AccumOffset: 4
; Occupancy: 8
; WaveLimiterHint : 0
; COMPUTE_PGM_RSRC2:SCRATCH_EN: 0
; COMPUTE_PGM_RSRC2:USER_SGPR: 2
; COMPUTE_PGM_RSRC2:TRAP_HANDLER: 0
; COMPUTE_PGM_RSRC2:TGID_X_EN: 1
; COMPUTE_PGM_RSRC2:TGID_Y_EN: 0
; COMPUTE_PGM_RSRC2:TGID_Z_EN: 0
; COMPUTE_PGM_RSRC2:TIDIG_COMP_CNT: 0
; COMPUTE_PGM_RSRC3_GFX90A:ACCUM_OFFSET: 0
; COMPUTE_PGM_RSRC3_GFX90A:TG_SPLIT: 0
	.section	.text._ZN7rocprim17ROCPRIM_400000_NS6detail17trampoline_kernelINS0_14default_configENS1_38merge_sort_block_merge_config_selectorIyyEEZZNS1_27merge_sort_block_merge_implIS3_N6thrust23THRUST_200600_302600_NS6detail15normal_iteratorINS8_10device_ptrIyEEEESD_jNS1_19radix_merge_compareILb0ELb0EyNS0_19identity_decomposerEEEEE10hipError_tT0_T1_T2_jT3_P12ihipStream_tbPNSt15iterator_traitsISI_E10value_typeEPNSO_ISJ_E10value_typeEPSK_NS1_7vsmem_tEENKUlT_SI_SJ_SK_E_clISD_PySD_S10_EESH_SX_SI_SJ_SK_EUlSX_E_NS1_11comp_targetILNS1_3genE3ELNS1_11target_archE908ELNS1_3gpuE7ELNS1_3repE0EEENS1_48merge_mergepath_partition_config_static_selectorELNS0_4arch9wavefront6targetE1EEEvSJ_,"axG",@progbits,_ZN7rocprim17ROCPRIM_400000_NS6detail17trampoline_kernelINS0_14default_configENS1_38merge_sort_block_merge_config_selectorIyyEEZZNS1_27merge_sort_block_merge_implIS3_N6thrust23THRUST_200600_302600_NS6detail15normal_iteratorINS8_10device_ptrIyEEEESD_jNS1_19radix_merge_compareILb0ELb0EyNS0_19identity_decomposerEEEEE10hipError_tT0_T1_T2_jT3_P12ihipStream_tbPNSt15iterator_traitsISI_E10value_typeEPNSO_ISJ_E10value_typeEPSK_NS1_7vsmem_tEENKUlT_SI_SJ_SK_E_clISD_PySD_S10_EESH_SX_SI_SJ_SK_EUlSX_E_NS1_11comp_targetILNS1_3genE3ELNS1_11target_archE908ELNS1_3gpuE7ELNS1_3repE0EEENS1_48merge_mergepath_partition_config_static_selectorELNS0_4arch9wavefront6targetE1EEEvSJ_,comdat
	.protected	_ZN7rocprim17ROCPRIM_400000_NS6detail17trampoline_kernelINS0_14default_configENS1_38merge_sort_block_merge_config_selectorIyyEEZZNS1_27merge_sort_block_merge_implIS3_N6thrust23THRUST_200600_302600_NS6detail15normal_iteratorINS8_10device_ptrIyEEEESD_jNS1_19radix_merge_compareILb0ELb0EyNS0_19identity_decomposerEEEEE10hipError_tT0_T1_T2_jT3_P12ihipStream_tbPNSt15iterator_traitsISI_E10value_typeEPNSO_ISJ_E10value_typeEPSK_NS1_7vsmem_tEENKUlT_SI_SJ_SK_E_clISD_PySD_S10_EESH_SX_SI_SJ_SK_EUlSX_E_NS1_11comp_targetILNS1_3genE3ELNS1_11target_archE908ELNS1_3gpuE7ELNS1_3repE0EEENS1_48merge_mergepath_partition_config_static_selectorELNS0_4arch9wavefront6targetE1EEEvSJ_ ; -- Begin function _ZN7rocprim17ROCPRIM_400000_NS6detail17trampoline_kernelINS0_14default_configENS1_38merge_sort_block_merge_config_selectorIyyEEZZNS1_27merge_sort_block_merge_implIS3_N6thrust23THRUST_200600_302600_NS6detail15normal_iteratorINS8_10device_ptrIyEEEESD_jNS1_19radix_merge_compareILb0ELb0EyNS0_19identity_decomposerEEEEE10hipError_tT0_T1_T2_jT3_P12ihipStream_tbPNSt15iterator_traitsISI_E10value_typeEPNSO_ISJ_E10value_typeEPSK_NS1_7vsmem_tEENKUlT_SI_SJ_SK_E_clISD_PySD_S10_EESH_SX_SI_SJ_SK_EUlSX_E_NS1_11comp_targetILNS1_3genE3ELNS1_11target_archE908ELNS1_3gpuE7ELNS1_3repE0EEENS1_48merge_mergepath_partition_config_static_selectorELNS0_4arch9wavefront6targetE1EEEvSJ_
	.globl	_ZN7rocprim17ROCPRIM_400000_NS6detail17trampoline_kernelINS0_14default_configENS1_38merge_sort_block_merge_config_selectorIyyEEZZNS1_27merge_sort_block_merge_implIS3_N6thrust23THRUST_200600_302600_NS6detail15normal_iteratorINS8_10device_ptrIyEEEESD_jNS1_19radix_merge_compareILb0ELb0EyNS0_19identity_decomposerEEEEE10hipError_tT0_T1_T2_jT3_P12ihipStream_tbPNSt15iterator_traitsISI_E10value_typeEPNSO_ISJ_E10value_typeEPSK_NS1_7vsmem_tEENKUlT_SI_SJ_SK_E_clISD_PySD_S10_EESH_SX_SI_SJ_SK_EUlSX_E_NS1_11comp_targetILNS1_3genE3ELNS1_11target_archE908ELNS1_3gpuE7ELNS1_3repE0EEENS1_48merge_mergepath_partition_config_static_selectorELNS0_4arch9wavefront6targetE1EEEvSJ_
	.p2align	8
	.type	_ZN7rocprim17ROCPRIM_400000_NS6detail17trampoline_kernelINS0_14default_configENS1_38merge_sort_block_merge_config_selectorIyyEEZZNS1_27merge_sort_block_merge_implIS3_N6thrust23THRUST_200600_302600_NS6detail15normal_iteratorINS8_10device_ptrIyEEEESD_jNS1_19radix_merge_compareILb0ELb0EyNS0_19identity_decomposerEEEEE10hipError_tT0_T1_T2_jT3_P12ihipStream_tbPNSt15iterator_traitsISI_E10value_typeEPNSO_ISJ_E10value_typeEPSK_NS1_7vsmem_tEENKUlT_SI_SJ_SK_E_clISD_PySD_S10_EESH_SX_SI_SJ_SK_EUlSX_E_NS1_11comp_targetILNS1_3genE3ELNS1_11target_archE908ELNS1_3gpuE7ELNS1_3repE0EEENS1_48merge_mergepath_partition_config_static_selectorELNS0_4arch9wavefront6targetE1EEEvSJ_,@function
_ZN7rocprim17ROCPRIM_400000_NS6detail17trampoline_kernelINS0_14default_configENS1_38merge_sort_block_merge_config_selectorIyyEEZZNS1_27merge_sort_block_merge_implIS3_N6thrust23THRUST_200600_302600_NS6detail15normal_iteratorINS8_10device_ptrIyEEEESD_jNS1_19radix_merge_compareILb0ELb0EyNS0_19identity_decomposerEEEEE10hipError_tT0_T1_T2_jT3_P12ihipStream_tbPNSt15iterator_traitsISI_E10value_typeEPNSO_ISJ_E10value_typeEPSK_NS1_7vsmem_tEENKUlT_SI_SJ_SK_E_clISD_PySD_S10_EESH_SX_SI_SJ_SK_EUlSX_E_NS1_11comp_targetILNS1_3genE3ELNS1_11target_archE908ELNS1_3gpuE7ELNS1_3repE0EEENS1_48merge_mergepath_partition_config_static_selectorELNS0_4arch9wavefront6targetE1EEEvSJ_: ; @_ZN7rocprim17ROCPRIM_400000_NS6detail17trampoline_kernelINS0_14default_configENS1_38merge_sort_block_merge_config_selectorIyyEEZZNS1_27merge_sort_block_merge_implIS3_N6thrust23THRUST_200600_302600_NS6detail15normal_iteratorINS8_10device_ptrIyEEEESD_jNS1_19radix_merge_compareILb0ELb0EyNS0_19identity_decomposerEEEEE10hipError_tT0_T1_T2_jT3_P12ihipStream_tbPNSt15iterator_traitsISI_E10value_typeEPNSO_ISJ_E10value_typeEPSK_NS1_7vsmem_tEENKUlT_SI_SJ_SK_E_clISD_PySD_S10_EESH_SX_SI_SJ_SK_EUlSX_E_NS1_11comp_targetILNS1_3genE3ELNS1_11target_archE908ELNS1_3gpuE7ELNS1_3repE0EEENS1_48merge_mergepath_partition_config_static_selectorELNS0_4arch9wavefront6targetE1EEEvSJ_
; %bb.0:
	.section	.rodata,"a",@progbits
	.p2align	6, 0x0
	.amdhsa_kernel _ZN7rocprim17ROCPRIM_400000_NS6detail17trampoline_kernelINS0_14default_configENS1_38merge_sort_block_merge_config_selectorIyyEEZZNS1_27merge_sort_block_merge_implIS3_N6thrust23THRUST_200600_302600_NS6detail15normal_iteratorINS8_10device_ptrIyEEEESD_jNS1_19radix_merge_compareILb0ELb0EyNS0_19identity_decomposerEEEEE10hipError_tT0_T1_T2_jT3_P12ihipStream_tbPNSt15iterator_traitsISI_E10value_typeEPNSO_ISJ_E10value_typeEPSK_NS1_7vsmem_tEENKUlT_SI_SJ_SK_E_clISD_PySD_S10_EESH_SX_SI_SJ_SK_EUlSX_E_NS1_11comp_targetILNS1_3genE3ELNS1_11target_archE908ELNS1_3gpuE7ELNS1_3repE0EEENS1_48merge_mergepath_partition_config_static_selectorELNS0_4arch9wavefront6targetE1EEEvSJ_
		.amdhsa_group_segment_fixed_size 0
		.amdhsa_private_segment_fixed_size 0
		.amdhsa_kernarg_size 40
		.amdhsa_user_sgpr_count 2
		.amdhsa_user_sgpr_dispatch_ptr 0
		.amdhsa_user_sgpr_queue_ptr 0
		.amdhsa_user_sgpr_kernarg_segment_ptr 1
		.amdhsa_user_sgpr_dispatch_id 0
		.amdhsa_user_sgpr_kernarg_preload_length 0
		.amdhsa_user_sgpr_kernarg_preload_offset 0
		.amdhsa_user_sgpr_private_segment_size 0
		.amdhsa_uses_dynamic_stack 0
		.amdhsa_enable_private_segment 0
		.amdhsa_system_sgpr_workgroup_id_x 1
		.amdhsa_system_sgpr_workgroup_id_y 0
		.amdhsa_system_sgpr_workgroup_id_z 0
		.amdhsa_system_sgpr_workgroup_info 0
		.amdhsa_system_vgpr_workitem_id 0
		.amdhsa_next_free_vgpr 1
		.amdhsa_next_free_sgpr 0
		.amdhsa_accum_offset 4
		.amdhsa_reserve_vcc 0
		.amdhsa_float_round_mode_32 0
		.amdhsa_float_round_mode_16_64 0
		.amdhsa_float_denorm_mode_32 3
		.amdhsa_float_denorm_mode_16_64 3
		.amdhsa_dx10_clamp 1
		.amdhsa_ieee_mode 1
		.amdhsa_fp16_overflow 0
		.amdhsa_tg_split 0
		.amdhsa_exception_fp_ieee_invalid_op 0
		.amdhsa_exception_fp_denorm_src 0
		.amdhsa_exception_fp_ieee_div_zero 0
		.amdhsa_exception_fp_ieee_overflow 0
		.amdhsa_exception_fp_ieee_underflow 0
		.amdhsa_exception_fp_ieee_inexact 0
		.amdhsa_exception_int_div_zero 0
	.end_amdhsa_kernel
	.section	.text._ZN7rocprim17ROCPRIM_400000_NS6detail17trampoline_kernelINS0_14default_configENS1_38merge_sort_block_merge_config_selectorIyyEEZZNS1_27merge_sort_block_merge_implIS3_N6thrust23THRUST_200600_302600_NS6detail15normal_iteratorINS8_10device_ptrIyEEEESD_jNS1_19radix_merge_compareILb0ELb0EyNS0_19identity_decomposerEEEEE10hipError_tT0_T1_T2_jT3_P12ihipStream_tbPNSt15iterator_traitsISI_E10value_typeEPNSO_ISJ_E10value_typeEPSK_NS1_7vsmem_tEENKUlT_SI_SJ_SK_E_clISD_PySD_S10_EESH_SX_SI_SJ_SK_EUlSX_E_NS1_11comp_targetILNS1_3genE3ELNS1_11target_archE908ELNS1_3gpuE7ELNS1_3repE0EEENS1_48merge_mergepath_partition_config_static_selectorELNS0_4arch9wavefront6targetE1EEEvSJ_,"axG",@progbits,_ZN7rocprim17ROCPRIM_400000_NS6detail17trampoline_kernelINS0_14default_configENS1_38merge_sort_block_merge_config_selectorIyyEEZZNS1_27merge_sort_block_merge_implIS3_N6thrust23THRUST_200600_302600_NS6detail15normal_iteratorINS8_10device_ptrIyEEEESD_jNS1_19radix_merge_compareILb0ELb0EyNS0_19identity_decomposerEEEEE10hipError_tT0_T1_T2_jT3_P12ihipStream_tbPNSt15iterator_traitsISI_E10value_typeEPNSO_ISJ_E10value_typeEPSK_NS1_7vsmem_tEENKUlT_SI_SJ_SK_E_clISD_PySD_S10_EESH_SX_SI_SJ_SK_EUlSX_E_NS1_11comp_targetILNS1_3genE3ELNS1_11target_archE908ELNS1_3gpuE7ELNS1_3repE0EEENS1_48merge_mergepath_partition_config_static_selectorELNS0_4arch9wavefront6targetE1EEEvSJ_,comdat
.Lfunc_end424:
	.size	_ZN7rocprim17ROCPRIM_400000_NS6detail17trampoline_kernelINS0_14default_configENS1_38merge_sort_block_merge_config_selectorIyyEEZZNS1_27merge_sort_block_merge_implIS3_N6thrust23THRUST_200600_302600_NS6detail15normal_iteratorINS8_10device_ptrIyEEEESD_jNS1_19radix_merge_compareILb0ELb0EyNS0_19identity_decomposerEEEEE10hipError_tT0_T1_T2_jT3_P12ihipStream_tbPNSt15iterator_traitsISI_E10value_typeEPNSO_ISJ_E10value_typeEPSK_NS1_7vsmem_tEENKUlT_SI_SJ_SK_E_clISD_PySD_S10_EESH_SX_SI_SJ_SK_EUlSX_E_NS1_11comp_targetILNS1_3genE3ELNS1_11target_archE908ELNS1_3gpuE7ELNS1_3repE0EEENS1_48merge_mergepath_partition_config_static_selectorELNS0_4arch9wavefront6targetE1EEEvSJ_, .Lfunc_end424-_ZN7rocprim17ROCPRIM_400000_NS6detail17trampoline_kernelINS0_14default_configENS1_38merge_sort_block_merge_config_selectorIyyEEZZNS1_27merge_sort_block_merge_implIS3_N6thrust23THRUST_200600_302600_NS6detail15normal_iteratorINS8_10device_ptrIyEEEESD_jNS1_19radix_merge_compareILb0ELb0EyNS0_19identity_decomposerEEEEE10hipError_tT0_T1_T2_jT3_P12ihipStream_tbPNSt15iterator_traitsISI_E10value_typeEPNSO_ISJ_E10value_typeEPSK_NS1_7vsmem_tEENKUlT_SI_SJ_SK_E_clISD_PySD_S10_EESH_SX_SI_SJ_SK_EUlSX_E_NS1_11comp_targetILNS1_3genE3ELNS1_11target_archE908ELNS1_3gpuE7ELNS1_3repE0EEENS1_48merge_mergepath_partition_config_static_selectorELNS0_4arch9wavefront6targetE1EEEvSJ_
                                        ; -- End function
	.set _ZN7rocprim17ROCPRIM_400000_NS6detail17trampoline_kernelINS0_14default_configENS1_38merge_sort_block_merge_config_selectorIyyEEZZNS1_27merge_sort_block_merge_implIS3_N6thrust23THRUST_200600_302600_NS6detail15normal_iteratorINS8_10device_ptrIyEEEESD_jNS1_19radix_merge_compareILb0ELb0EyNS0_19identity_decomposerEEEEE10hipError_tT0_T1_T2_jT3_P12ihipStream_tbPNSt15iterator_traitsISI_E10value_typeEPNSO_ISJ_E10value_typeEPSK_NS1_7vsmem_tEENKUlT_SI_SJ_SK_E_clISD_PySD_S10_EESH_SX_SI_SJ_SK_EUlSX_E_NS1_11comp_targetILNS1_3genE3ELNS1_11target_archE908ELNS1_3gpuE7ELNS1_3repE0EEENS1_48merge_mergepath_partition_config_static_selectorELNS0_4arch9wavefront6targetE1EEEvSJ_.num_vgpr, 0
	.set _ZN7rocprim17ROCPRIM_400000_NS6detail17trampoline_kernelINS0_14default_configENS1_38merge_sort_block_merge_config_selectorIyyEEZZNS1_27merge_sort_block_merge_implIS3_N6thrust23THRUST_200600_302600_NS6detail15normal_iteratorINS8_10device_ptrIyEEEESD_jNS1_19radix_merge_compareILb0ELb0EyNS0_19identity_decomposerEEEEE10hipError_tT0_T1_T2_jT3_P12ihipStream_tbPNSt15iterator_traitsISI_E10value_typeEPNSO_ISJ_E10value_typeEPSK_NS1_7vsmem_tEENKUlT_SI_SJ_SK_E_clISD_PySD_S10_EESH_SX_SI_SJ_SK_EUlSX_E_NS1_11comp_targetILNS1_3genE3ELNS1_11target_archE908ELNS1_3gpuE7ELNS1_3repE0EEENS1_48merge_mergepath_partition_config_static_selectorELNS0_4arch9wavefront6targetE1EEEvSJ_.num_agpr, 0
	.set _ZN7rocprim17ROCPRIM_400000_NS6detail17trampoline_kernelINS0_14default_configENS1_38merge_sort_block_merge_config_selectorIyyEEZZNS1_27merge_sort_block_merge_implIS3_N6thrust23THRUST_200600_302600_NS6detail15normal_iteratorINS8_10device_ptrIyEEEESD_jNS1_19radix_merge_compareILb0ELb0EyNS0_19identity_decomposerEEEEE10hipError_tT0_T1_T2_jT3_P12ihipStream_tbPNSt15iterator_traitsISI_E10value_typeEPNSO_ISJ_E10value_typeEPSK_NS1_7vsmem_tEENKUlT_SI_SJ_SK_E_clISD_PySD_S10_EESH_SX_SI_SJ_SK_EUlSX_E_NS1_11comp_targetILNS1_3genE3ELNS1_11target_archE908ELNS1_3gpuE7ELNS1_3repE0EEENS1_48merge_mergepath_partition_config_static_selectorELNS0_4arch9wavefront6targetE1EEEvSJ_.numbered_sgpr, 0
	.set _ZN7rocprim17ROCPRIM_400000_NS6detail17trampoline_kernelINS0_14default_configENS1_38merge_sort_block_merge_config_selectorIyyEEZZNS1_27merge_sort_block_merge_implIS3_N6thrust23THRUST_200600_302600_NS6detail15normal_iteratorINS8_10device_ptrIyEEEESD_jNS1_19radix_merge_compareILb0ELb0EyNS0_19identity_decomposerEEEEE10hipError_tT0_T1_T2_jT3_P12ihipStream_tbPNSt15iterator_traitsISI_E10value_typeEPNSO_ISJ_E10value_typeEPSK_NS1_7vsmem_tEENKUlT_SI_SJ_SK_E_clISD_PySD_S10_EESH_SX_SI_SJ_SK_EUlSX_E_NS1_11comp_targetILNS1_3genE3ELNS1_11target_archE908ELNS1_3gpuE7ELNS1_3repE0EEENS1_48merge_mergepath_partition_config_static_selectorELNS0_4arch9wavefront6targetE1EEEvSJ_.num_named_barrier, 0
	.set _ZN7rocprim17ROCPRIM_400000_NS6detail17trampoline_kernelINS0_14default_configENS1_38merge_sort_block_merge_config_selectorIyyEEZZNS1_27merge_sort_block_merge_implIS3_N6thrust23THRUST_200600_302600_NS6detail15normal_iteratorINS8_10device_ptrIyEEEESD_jNS1_19radix_merge_compareILb0ELb0EyNS0_19identity_decomposerEEEEE10hipError_tT0_T1_T2_jT3_P12ihipStream_tbPNSt15iterator_traitsISI_E10value_typeEPNSO_ISJ_E10value_typeEPSK_NS1_7vsmem_tEENKUlT_SI_SJ_SK_E_clISD_PySD_S10_EESH_SX_SI_SJ_SK_EUlSX_E_NS1_11comp_targetILNS1_3genE3ELNS1_11target_archE908ELNS1_3gpuE7ELNS1_3repE0EEENS1_48merge_mergepath_partition_config_static_selectorELNS0_4arch9wavefront6targetE1EEEvSJ_.private_seg_size, 0
	.set _ZN7rocprim17ROCPRIM_400000_NS6detail17trampoline_kernelINS0_14default_configENS1_38merge_sort_block_merge_config_selectorIyyEEZZNS1_27merge_sort_block_merge_implIS3_N6thrust23THRUST_200600_302600_NS6detail15normal_iteratorINS8_10device_ptrIyEEEESD_jNS1_19radix_merge_compareILb0ELb0EyNS0_19identity_decomposerEEEEE10hipError_tT0_T1_T2_jT3_P12ihipStream_tbPNSt15iterator_traitsISI_E10value_typeEPNSO_ISJ_E10value_typeEPSK_NS1_7vsmem_tEENKUlT_SI_SJ_SK_E_clISD_PySD_S10_EESH_SX_SI_SJ_SK_EUlSX_E_NS1_11comp_targetILNS1_3genE3ELNS1_11target_archE908ELNS1_3gpuE7ELNS1_3repE0EEENS1_48merge_mergepath_partition_config_static_selectorELNS0_4arch9wavefront6targetE1EEEvSJ_.uses_vcc, 0
	.set _ZN7rocprim17ROCPRIM_400000_NS6detail17trampoline_kernelINS0_14default_configENS1_38merge_sort_block_merge_config_selectorIyyEEZZNS1_27merge_sort_block_merge_implIS3_N6thrust23THRUST_200600_302600_NS6detail15normal_iteratorINS8_10device_ptrIyEEEESD_jNS1_19radix_merge_compareILb0ELb0EyNS0_19identity_decomposerEEEEE10hipError_tT0_T1_T2_jT3_P12ihipStream_tbPNSt15iterator_traitsISI_E10value_typeEPNSO_ISJ_E10value_typeEPSK_NS1_7vsmem_tEENKUlT_SI_SJ_SK_E_clISD_PySD_S10_EESH_SX_SI_SJ_SK_EUlSX_E_NS1_11comp_targetILNS1_3genE3ELNS1_11target_archE908ELNS1_3gpuE7ELNS1_3repE0EEENS1_48merge_mergepath_partition_config_static_selectorELNS0_4arch9wavefront6targetE1EEEvSJ_.uses_flat_scratch, 0
	.set _ZN7rocprim17ROCPRIM_400000_NS6detail17trampoline_kernelINS0_14default_configENS1_38merge_sort_block_merge_config_selectorIyyEEZZNS1_27merge_sort_block_merge_implIS3_N6thrust23THRUST_200600_302600_NS6detail15normal_iteratorINS8_10device_ptrIyEEEESD_jNS1_19radix_merge_compareILb0ELb0EyNS0_19identity_decomposerEEEEE10hipError_tT0_T1_T2_jT3_P12ihipStream_tbPNSt15iterator_traitsISI_E10value_typeEPNSO_ISJ_E10value_typeEPSK_NS1_7vsmem_tEENKUlT_SI_SJ_SK_E_clISD_PySD_S10_EESH_SX_SI_SJ_SK_EUlSX_E_NS1_11comp_targetILNS1_3genE3ELNS1_11target_archE908ELNS1_3gpuE7ELNS1_3repE0EEENS1_48merge_mergepath_partition_config_static_selectorELNS0_4arch9wavefront6targetE1EEEvSJ_.has_dyn_sized_stack, 0
	.set _ZN7rocprim17ROCPRIM_400000_NS6detail17trampoline_kernelINS0_14default_configENS1_38merge_sort_block_merge_config_selectorIyyEEZZNS1_27merge_sort_block_merge_implIS3_N6thrust23THRUST_200600_302600_NS6detail15normal_iteratorINS8_10device_ptrIyEEEESD_jNS1_19radix_merge_compareILb0ELb0EyNS0_19identity_decomposerEEEEE10hipError_tT0_T1_T2_jT3_P12ihipStream_tbPNSt15iterator_traitsISI_E10value_typeEPNSO_ISJ_E10value_typeEPSK_NS1_7vsmem_tEENKUlT_SI_SJ_SK_E_clISD_PySD_S10_EESH_SX_SI_SJ_SK_EUlSX_E_NS1_11comp_targetILNS1_3genE3ELNS1_11target_archE908ELNS1_3gpuE7ELNS1_3repE0EEENS1_48merge_mergepath_partition_config_static_selectorELNS0_4arch9wavefront6targetE1EEEvSJ_.has_recursion, 0
	.set _ZN7rocprim17ROCPRIM_400000_NS6detail17trampoline_kernelINS0_14default_configENS1_38merge_sort_block_merge_config_selectorIyyEEZZNS1_27merge_sort_block_merge_implIS3_N6thrust23THRUST_200600_302600_NS6detail15normal_iteratorINS8_10device_ptrIyEEEESD_jNS1_19radix_merge_compareILb0ELb0EyNS0_19identity_decomposerEEEEE10hipError_tT0_T1_T2_jT3_P12ihipStream_tbPNSt15iterator_traitsISI_E10value_typeEPNSO_ISJ_E10value_typeEPSK_NS1_7vsmem_tEENKUlT_SI_SJ_SK_E_clISD_PySD_S10_EESH_SX_SI_SJ_SK_EUlSX_E_NS1_11comp_targetILNS1_3genE3ELNS1_11target_archE908ELNS1_3gpuE7ELNS1_3repE0EEENS1_48merge_mergepath_partition_config_static_selectorELNS0_4arch9wavefront6targetE1EEEvSJ_.has_indirect_call, 0
	.section	.AMDGPU.csdata,"",@progbits
; Kernel info:
; codeLenInByte = 0
; TotalNumSgprs: 6
; NumVgprs: 0
; NumAgprs: 0
; TotalNumVgprs: 0
; ScratchSize: 0
; MemoryBound: 0
; FloatMode: 240
; IeeeMode: 1
; LDSByteSize: 0 bytes/workgroup (compile time only)
; SGPRBlocks: 0
; VGPRBlocks: 0
; NumSGPRsForWavesPerEU: 6
; NumVGPRsForWavesPerEU: 1
; AccumOffset: 4
; Occupancy: 8
; WaveLimiterHint : 0
; COMPUTE_PGM_RSRC2:SCRATCH_EN: 0
; COMPUTE_PGM_RSRC2:USER_SGPR: 2
; COMPUTE_PGM_RSRC2:TRAP_HANDLER: 0
; COMPUTE_PGM_RSRC2:TGID_X_EN: 1
; COMPUTE_PGM_RSRC2:TGID_Y_EN: 0
; COMPUTE_PGM_RSRC2:TGID_Z_EN: 0
; COMPUTE_PGM_RSRC2:TIDIG_COMP_CNT: 0
; COMPUTE_PGM_RSRC3_GFX90A:ACCUM_OFFSET: 0
; COMPUTE_PGM_RSRC3_GFX90A:TG_SPLIT: 0
	.section	.text._ZN7rocprim17ROCPRIM_400000_NS6detail17trampoline_kernelINS0_14default_configENS1_38merge_sort_block_merge_config_selectorIyyEEZZNS1_27merge_sort_block_merge_implIS3_N6thrust23THRUST_200600_302600_NS6detail15normal_iteratorINS8_10device_ptrIyEEEESD_jNS1_19radix_merge_compareILb0ELb0EyNS0_19identity_decomposerEEEEE10hipError_tT0_T1_T2_jT3_P12ihipStream_tbPNSt15iterator_traitsISI_E10value_typeEPNSO_ISJ_E10value_typeEPSK_NS1_7vsmem_tEENKUlT_SI_SJ_SK_E_clISD_PySD_S10_EESH_SX_SI_SJ_SK_EUlSX_E_NS1_11comp_targetILNS1_3genE2ELNS1_11target_archE906ELNS1_3gpuE6ELNS1_3repE0EEENS1_48merge_mergepath_partition_config_static_selectorELNS0_4arch9wavefront6targetE1EEEvSJ_,"axG",@progbits,_ZN7rocprim17ROCPRIM_400000_NS6detail17trampoline_kernelINS0_14default_configENS1_38merge_sort_block_merge_config_selectorIyyEEZZNS1_27merge_sort_block_merge_implIS3_N6thrust23THRUST_200600_302600_NS6detail15normal_iteratorINS8_10device_ptrIyEEEESD_jNS1_19radix_merge_compareILb0ELb0EyNS0_19identity_decomposerEEEEE10hipError_tT0_T1_T2_jT3_P12ihipStream_tbPNSt15iterator_traitsISI_E10value_typeEPNSO_ISJ_E10value_typeEPSK_NS1_7vsmem_tEENKUlT_SI_SJ_SK_E_clISD_PySD_S10_EESH_SX_SI_SJ_SK_EUlSX_E_NS1_11comp_targetILNS1_3genE2ELNS1_11target_archE906ELNS1_3gpuE6ELNS1_3repE0EEENS1_48merge_mergepath_partition_config_static_selectorELNS0_4arch9wavefront6targetE1EEEvSJ_,comdat
	.protected	_ZN7rocprim17ROCPRIM_400000_NS6detail17trampoline_kernelINS0_14default_configENS1_38merge_sort_block_merge_config_selectorIyyEEZZNS1_27merge_sort_block_merge_implIS3_N6thrust23THRUST_200600_302600_NS6detail15normal_iteratorINS8_10device_ptrIyEEEESD_jNS1_19radix_merge_compareILb0ELb0EyNS0_19identity_decomposerEEEEE10hipError_tT0_T1_T2_jT3_P12ihipStream_tbPNSt15iterator_traitsISI_E10value_typeEPNSO_ISJ_E10value_typeEPSK_NS1_7vsmem_tEENKUlT_SI_SJ_SK_E_clISD_PySD_S10_EESH_SX_SI_SJ_SK_EUlSX_E_NS1_11comp_targetILNS1_3genE2ELNS1_11target_archE906ELNS1_3gpuE6ELNS1_3repE0EEENS1_48merge_mergepath_partition_config_static_selectorELNS0_4arch9wavefront6targetE1EEEvSJ_ ; -- Begin function _ZN7rocprim17ROCPRIM_400000_NS6detail17trampoline_kernelINS0_14default_configENS1_38merge_sort_block_merge_config_selectorIyyEEZZNS1_27merge_sort_block_merge_implIS3_N6thrust23THRUST_200600_302600_NS6detail15normal_iteratorINS8_10device_ptrIyEEEESD_jNS1_19radix_merge_compareILb0ELb0EyNS0_19identity_decomposerEEEEE10hipError_tT0_T1_T2_jT3_P12ihipStream_tbPNSt15iterator_traitsISI_E10value_typeEPNSO_ISJ_E10value_typeEPSK_NS1_7vsmem_tEENKUlT_SI_SJ_SK_E_clISD_PySD_S10_EESH_SX_SI_SJ_SK_EUlSX_E_NS1_11comp_targetILNS1_3genE2ELNS1_11target_archE906ELNS1_3gpuE6ELNS1_3repE0EEENS1_48merge_mergepath_partition_config_static_selectorELNS0_4arch9wavefront6targetE1EEEvSJ_
	.globl	_ZN7rocprim17ROCPRIM_400000_NS6detail17trampoline_kernelINS0_14default_configENS1_38merge_sort_block_merge_config_selectorIyyEEZZNS1_27merge_sort_block_merge_implIS3_N6thrust23THRUST_200600_302600_NS6detail15normal_iteratorINS8_10device_ptrIyEEEESD_jNS1_19radix_merge_compareILb0ELb0EyNS0_19identity_decomposerEEEEE10hipError_tT0_T1_T2_jT3_P12ihipStream_tbPNSt15iterator_traitsISI_E10value_typeEPNSO_ISJ_E10value_typeEPSK_NS1_7vsmem_tEENKUlT_SI_SJ_SK_E_clISD_PySD_S10_EESH_SX_SI_SJ_SK_EUlSX_E_NS1_11comp_targetILNS1_3genE2ELNS1_11target_archE906ELNS1_3gpuE6ELNS1_3repE0EEENS1_48merge_mergepath_partition_config_static_selectorELNS0_4arch9wavefront6targetE1EEEvSJ_
	.p2align	8
	.type	_ZN7rocprim17ROCPRIM_400000_NS6detail17trampoline_kernelINS0_14default_configENS1_38merge_sort_block_merge_config_selectorIyyEEZZNS1_27merge_sort_block_merge_implIS3_N6thrust23THRUST_200600_302600_NS6detail15normal_iteratorINS8_10device_ptrIyEEEESD_jNS1_19radix_merge_compareILb0ELb0EyNS0_19identity_decomposerEEEEE10hipError_tT0_T1_T2_jT3_P12ihipStream_tbPNSt15iterator_traitsISI_E10value_typeEPNSO_ISJ_E10value_typeEPSK_NS1_7vsmem_tEENKUlT_SI_SJ_SK_E_clISD_PySD_S10_EESH_SX_SI_SJ_SK_EUlSX_E_NS1_11comp_targetILNS1_3genE2ELNS1_11target_archE906ELNS1_3gpuE6ELNS1_3repE0EEENS1_48merge_mergepath_partition_config_static_selectorELNS0_4arch9wavefront6targetE1EEEvSJ_,@function
_ZN7rocprim17ROCPRIM_400000_NS6detail17trampoline_kernelINS0_14default_configENS1_38merge_sort_block_merge_config_selectorIyyEEZZNS1_27merge_sort_block_merge_implIS3_N6thrust23THRUST_200600_302600_NS6detail15normal_iteratorINS8_10device_ptrIyEEEESD_jNS1_19radix_merge_compareILb0ELb0EyNS0_19identity_decomposerEEEEE10hipError_tT0_T1_T2_jT3_P12ihipStream_tbPNSt15iterator_traitsISI_E10value_typeEPNSO_ISJ_E10value_typeEPSK_NS1_7vsmem_tEENKUlT_SI_SJ_SK_E_clISD_PySD_S10_EESH_SX_SI_SJ_SK_EUlSX_E_NS1_11comp_targetILNS1_3genE2ELNS1_11target_archE906ELNS1_3gpuE6ELNS1_3repE0EEENS1_48merge_mergepath_partition_config_static_selectorELNS0_4arch9wavefront6targetE1EEEvSJ_: ; @_ZN7rocprim17ROCPRIM_400000_NS6detail17trampoline_kernelINS0_14default_configENS1_38merge_sort_block_merge_config_selectorIyyEEZZNS1_27merge_sort_block_merge_implIS3_N6thrust23THRUST_200600_302600_NS6detail15normal_iteratorINS8_10device_ptrIyEEEESD_jNS1_19radix_merge_compareILb0ELb0EyNS0_19identity_decomposerEEEEE10hipError_tT0_T1_T2_jT3_P12ihipStream_tbPNSt15iterator_traitsISI_E10value_typeEPNSO_ISJ_E10value_typeEPSK_NS1_7vsmem_tEENKUlT_SI_SJ_SK_E_clISD_PySD_S10_EESH_SX_SI_SJ_SK_EUlSX_E_NS1_11comp_targetILNS1_3genE2ELNS1_11target_archE906ELNS1_3gpuE6ELNS1_3repE0EEENS1_48merge_mergepath_partition_config_static_selectorELNS0_4arch9wavefront6targetE1EEEvSJ_
; %bb.0:
	.section	.rodata,"a",@progbits
	.p2align	6, 0x0
	.amdhsa_kernel _ZN7rocprim17ROCPRIM_400000_NS6detail17trampoline_kernelINS0_14default_configENS1_38merge_sort_block_merge_config_selectorIyyEEZZNS1_27merge_sort_block_merge_implIS3_N6thrust23THRUST_200600_302600_NS6detail15normal_iteratorINS8_10device_ptrIyEEEESD_jNS1_19radix_merge_compareILb0ELb0EyNS0_19identity_decomposerEEEEE10hipError_tT0_T1_T2_jT3_P12ihipStream_tbPNSt15iterator_traitsISI_E10value_typeEPNSO_ISJ_E10value_typeEPSK_NS1_7vsmem_tEENKUlT_SI_SJ_SK_E_clISD_PySD_S10_EESH_SX_SI_SJ_SK_EUlSX_E_NS1_11comp_targetILNS1_3genE2ELNS1_11target_archE906ELNS1_3gpuE6ELNS1_3repE0EEENS1_48merge_mergepath_partition_config_static_selectorELNS0_4arch9wavefront6targetE1EEEvSJ_
		.amdhsa_group_segment_fixed_size 0
		.amdhsa_private_segment_fixed_size 0
		.amdhsa_kernarg_size 40
		.amdhsa_user_sgpr_count 2
		.amdhsa_user_sgpr_dispatch_ptr 0
		.amdhsa_user_sgpr_queue_ptr 0
		.amdhsa_user_sgpr_kernarg_segment_ptr 1
		.amdhsa_user_sgpr_dispatch_id 0
		.amdhsa_user_sgpr_kernarg_preload_length 0
		.amdhsa_user_sgpr_kernarg_preload_offset 0
		.amdhsa_user_sgpr_private_segment_size 0
		.amdhsa_uses_dynamic_stack 0
		.amdhsa_enable_private_segment 0
		.amdhsa_system_sgpr_workgroup_id_x 1
		.amdhsa_system_sgpr_workgroup_id_y 0
		.amdhsa_system_sgpr_workgroup_id_z 0
		.amdhsa_system_sgpr_workgroup_info 0
		.amdhsa_system_vgpr_workitem_id 0
		.amdhsa_next_free_vgpr 1
		.amdhsa_next_free_sgpr 0
		.amdhsa_accum_offset 4
		.amdhsa_reserve_vcc 0
		.amdhsa_float_round_mode_32 0
		.amdhsa_float_round_mode_16_64 0
		.amdhsa_float_denorm_mode_32 3
		.amdhsa_float_denorm_mode_16_64 3
		.amdhsa_dx10_clamp 1
		.amdhsa_ieee_mode 1
		.amdhsa_fp16_overflow 0
		.amdhsa_tg_split 0
		.amdhsa_exception_fp_ieee_invalid_op 0
		.amdhsa_exception_fp_denorm_src 0
		.amdhsa_exception_fp_ieee_div_zero 0
		.amdhsa_exception_fp_ieee_overflow 0
		.amdhsa_exception_fp_ieee_underflow 0
		.amdhsa_exception_fp_ieee_inexact 0
		.amdhsa_exception_int_div_zero 0
	.end_amdhsa_kernel
	.section	.text._ZN7rocprim17ROCPRIM_400000_NS6detail17trampoline_kernelINS0_14default_configENS1_38merge_sort_block_merge_config_selectorIyyEEZZNS1_27merge_sort_block_merge_implIS3_N6thrust23THRUST_200600_302600_NS6detail15normal_iteratorINS8_10device_ptrIyEEEESD_jNS1_19radix_merge_compareILb0ELb0EyNS0_19identity_decomposerEEEEE10hipError_tT0_T1_T2_jT3_P12ihipStream_tbPNSt15iterator_traitsISI_E10value_typeEPNSO_ISJ_E10value_typeEPSK_NS1_7vsmem_tEENKUlT_SI_SJ_SK_E_clISD_PySD_S10_EESH_SX_SI_SJ_SK_EUlSX_E_NS1_11comp_targetILNS1_3genE2ELNS1_11target_archE906ELNS1_3gpuE6ELNS1_3repE0EEENS1_48merge_mergepath_partition_config_static_selectorELNS0_4arch9wavefront6targetE1EEEvSJ_,"axG",@progbits,_ZN7rocprim17ROCPRIM_400000_NS6detail17trampoline_kernelINS0_14default_configENS1_38merge_sort_block_merge_config_selectorIyyEEZZNS1_27merge_sort_block_merge_implIS3_N6thrust23THRUST_200600_302600_NS6detail15normal_iteratorINS8_10device_ptrIyEEEESD_jNS1_19radix_merge_compareILb0ELb0EyNS0_19identity_decomposerEEEEE10hipError_tT0_T1_T2_jT3_P12ihipStream_tbPNSt15iterator_traitsISI_E10value_typeEPNSO_ISJ_E10value_typeEPSK_NS1_7vsmem_tEENKUlT_SI_SJ_SK_E_clISD_PySD_S10_EESH_SX_SI_SJ_SK_EUlSX_E_NS1_11comp_targetILNS1_3genE2ELNS1_11target_archE906ELNS1_3gpuE6ELNS1_3repE0EEENS1_48merge_mergepath_partition_config_static_selectorELNS0_4arch9wavefront6targetE1EEEvSJ_,comdat
.Lfunc_end425:
	.size	_ZN7rocprim17ROCPRIM_400000_NS6detail17trampoline_kernelINS0_14default_configENS1_38merge_sort_block_merge_config_selectorIyyEEZZNS1_27merge_sort_block_merge_implIS3_N6thrust23THRUST_200600_302600_NS6detail15normal_iteratorINS8_10device_ptrIyEEEESD_jNS1_19radix_merge_compareILb0ELb0EyNS0_19identity_decomposerEEEEE10hipError_tT0_T1_T2_jT3_P12ihipStream_tbPNSt15iterator_traitsISI_E10value_typeEPNSO_ISJ_E10value_typeEPSK_NS1_7vsmem_tEENKUlT_SI_SJ_SK_E_clISD_PySD_S10_EESH_SX_SI_SJ_SK_EUlSX_E_NS1_11comp_targetILNS1_3genE2ELNS1_11target_archE906ELNS1_3gpuE6ELNS1_3repE0EEENS1_48merge_mergepath_partition_config_static_selectorELNS0_4arch9wavefront6targetE1EEEvSJ_, .Lfunc_end425-_ZN7rocprim17ROCPRIM_400000_NS6detail17trampoline_kernelINS0_14default_configENS1_38merge_sort_block_merge_config_selectorIyyEEZZNS1_27merge_sort_block_merge_implIS3_N6thrust23THRUST_200600_302600_NS6detail15normal_iteratorINS8_10device_ptrIyEEEESD_jNS1_19radix_merge_compareILb0ELb0EyNS0_19identity_decomposerEEEEE10hipError_tT0_T1_T2_jT3_P12ihipStream_tbPNSt15iterator_traitsISI_E10value_typeEPNSO_ISJ_E10value_typeEPSK_NS1_7vsmem_tEENKUlT_SI_SJ_SK_E_clISD_PySD_S10_EESH_SX_SI_SJ_SK_EUlSX_E_NS1_11comp_targetILNS1_3genE2ELNS1_11target_archE906ELNS1_3gpuE6ELNS1_3repE0EEENS1_48merge_mergepath_partition_config_static_selectorELNS0_4arch9wavefront6targetE1EEEvSJ_
                                        ; -- End function
	.set _ZN7rocprim17ROCPRIM_400000_NS6detail17trampoline_kernelINS0_14default_configENS1_38merge_sort_block_merge_config_selectorIyyEEZZNS1_27merge_sort_block_merge_implIS3_N6thrust23THRUST_200600_302600_NS6detail15normal_iteratorINS8_10device_ptrIyEEEESD_jNS1_19radix_merge_compareILb0ELb0EyNS0_19identity_decomposerEEEEE10hipError_tT0_T1_T2_jT3_P12ihipStream_tbPNSt15iterator_traitsISI_E10value_typeEPNSO_ISJ_E10value_typeEPSK_NS1_7vsmem_tEENKUlT_SI_SJ_SK_E_clISD_PySD_S10_EESH_SX_SI_SJ_SK_EUlSX_E_NS1_11comp_targetILNS1_3genE2ELNS1_11target_archE906ELNS1_3gpuE6ELNS1_3repE0EEENS1_48merge_mergepath_partition_config_static_selectorELNS0_4arch9wavefront6targetE1EEEvSJ_.num_vgpr, 0
	.set _ZN7rocprim17ROCPRIM_400000_NS6detail17trampoline_kernelINS0_14default_configENS1_38merge_sort_block_merge_config_selectorIyyEEZZNS1_27merge_sort_block_merge_implIS3_N6thrust23THRUST_200600_302600_NS6detail15normal_iteratorINS8_10device_ptrIyEEEESD_jNS1_19radix_merge_compareILb0ELb0EyNS0_19identity_decomposerEEEEE10hipError_tT0_T1_T2_jT3_P12ihipStream_tbPNSt15iterator_traitsISI_E10value_typeEPNSO_ISJ_E10value_typeEPSK_NS1_7vsmem_tEENKUlT_SI_SJ_SK_E_clISD_PySD_S10_EESH_SX_SI_SJ_SK_EUlSX_E_NS1_11comp_targetILNS1_3genE2ELNS1_11target_archE906ELNS1_3gpuE6ELNS1_3repE0EEENS1_48merge_mergepath_partition_config_static_selectorELNS0_4arch9wavefront6targetE1EEEvSJ_.num_agpr, 0
	.set _ZN7rocprim17ROCPRIM_400000_NS6detail17trampoline_kernelINS0_14default_configENS1_38merge_sort_block_merge_config_selectorIyyEEZZNS1_27merge_sort_block_merge_implIS3_N6thrust23THRUST_200600_302600_NS6detail15normal_iteratorINS8_10device_ptrIyEEEESD_jNS1_19radix_merge_compareILb0ELb0EyNS0_19identity_decomposerEEEEE10hipError_tT0_T1_T2_jT3_P12ihipStream_tbPNSt15iterator_traitsISI_E10value_typeEPNSO_ISJ_E10value_typeEPSK_NS1_7vsmem_tEENKUlT_SI_SJ_SK_E_clISD_PySD_S10_EESH_SX_SI_SJ_SK_EUlSX_E_NS1_11comp_targetILNS1_3genE2ELNS1_11target_archE906ELNS1_3gpuE6ELNS1_3repE0EEENS1_48merge_mergepath_partition_config_static_selectorELNS0_4arch9wavefront6targetE1EEEvSJ_.numbered_sgpr, 0
	.set _ZN7rocprim17ROCPRIM_400000_NS6detail17trampoline_kernelINS0_14default_configENS1_38merge_sort_block_merge_config_selectorIyyEEZZNS1_27merge_sort_block_merge_implIS3_N6thrust23THRUST_200600_302600_NS6detail15normal_iteratorINS8_10device_ptrIyEEEESD_jNS1_19radix_merge_compareILb0ELb0EyNS0_19identity_decomposerEEEEE10hipError_tT0_T1_T2_jT3_P12ihipStream_tbPNSt15iterator_traitsISI_E10value_typeEPNSO_ISJ_E10value_typeEPSK_NS1_7vsmem_tEENKUlT_SI_SJ_SK_E_clISD_PySD_S10_EESH_SX_SI_SJ_SK_EUlSX_E_NS1_11comp_targetILNS1_3genE2ELNS1_11target_archE906ELNS1_3gpuE6ELNS1_3repE0EEENS1_48merge_mergepath_partition_config_static_selectorELNS0_4arch9wavefront6targetE1EEEvSJ_.num_named_barrier, 0
	.set _ZN7rocprim17ROCPRIM_400000_NS6detail17trampoline_kernelINS0_14default_configENS1_38merge_sort_block_merge_config_selectorIyyEEZZNS1_27merge_sort_block_merge_implIS3_N6thrust23THRUST_200600_302600_NS6detail15normal_iteratorINS8_10device_ptrIyEEEESD_jNS1_19radix_merge_compareILb0ELb0EyNS0_19identity_decomposerEEEEE10hipError_tT0_T1_T2_jT3_P12ihipStream_tbPNSt15iterator_traitsISI_E10value_typeEPNSO_ISJ_E10value_typeEPSK_NS1_7vsmem_tEENKUlT_SI_SJ_SK_E_clISD_PySD_S10_EESH_SX_SI_SJ_SK_EUlSX_E_NS1_11comp_targetILNS1_3genE2ELNS1_11target_archE906ELNS1_3gpuE6ELNS1_3repE0EEENS1_48merge_mergepath_partition_config_static_selectorELNS0_4arch9wavefront6targetE1EEEvSJ_.private_seg_size, 0
	.set _ZN7rocprim17ROCPRIM_400000_NS6detail17trampoline_kernelINS0_14default_configENS1_38merge_sort_block_merge_config_selectorIyyEEZZNS1_27merge_sort_block_merge_implIS3_N6thrust23THRUST_200600_302600_NS6detail15normal_iteratorINS8_10device_ptrIyEEEESD_jNS1_19radix_merge_compareILb0ELb0EyNS0_19identity_decomposerEEEEE10hipError_tT0_T1_T2_jT3_P12ihipStream_tbPNSt15iterator_traitsISI_E10value_typeEPNSO_ISJ_E10value_typeEPSK_NS1_7vsmem_tEENKUlT_SI_SJ_SK_E_clISD_PySD_S10_EESH_SX_SI_SJ_SK_EUlSX_E_NS1_11comp_targetILNS1_3genE2ELNS1_11target_archE906ELNS1_3gpuE6ELNS1_3repE0EEENS1_48merge_mergepath_partition_config_static_selectorELNS0_4arch9wavefront6targetE1EEEvSJ_.uses_vcc, 0
	.set _ZN7rocprim17ROCPRIM_400000_NS6detail17trampoline_kernelINS0_14default_configENS1_38merge_sort_block_merge_config_selectorIyyEEZZNS1_27merge_sort_block_merge_implIS3_N6thrust23THRUST_200600_302600_NS6detail15normal_iteratorINS8_10device_ptrIyEEEESD_jNS1_19radix_merge_compareILb0ELb0EyNS0_19identity_decomposerEEEEE10hipError_tT0_T1_T2_jT3_P12ihipStream_tbPNSt15iterator_traitsISI_E10value_typeEPNSO_ISJ_E10value_typeEPSK_NS1_7vsmem_tEENKUlT_SI_SJ_SK_E_clISD_PySD_S10_EESH_SX_SI_SJ_SK_EUlSX_E_NS1_11comp_targetILNS1_3genE2ELNS1_11target_archE906ELNS1_3gpuE6ELNS1_3repE0EEENS1_48merge_mergepath_partition_config_static_selectorELNS0_4arch9wavefront6targetE1EEEvSJ_.uses_flat_scratch, 0
	.set _ZN7rocprim17ROCPRIM_400000_NS6detail17trampoline_kernelINS0_14default_configENS1_38merge_sort_block_merge_config_selectorIyyEEZZNS1_27merge_sort_block_merge_implIS3_N6thrust23THRUST_200600_302600_NS6detail15normal_iteratorINS8_10device_ptrIyEEEESD_jNS1_19radix_merge_compareILb0ELb0EyNS0_19identity_decomposerEEEEE10hipError_tT0_T1_T2_jT3_P12ihipStream_tbPNSt15iterator_traitsISI_E10value_typeEPNSO_ISJ_E10value_typeEPSK_NS1_7vsmem_tEENKUlT_SI_SJ_SK_E_clISD_PySD_S10_EESH_SX_SI_SJ_SK_EUlSX_E_NS1_11comp_targetILNS1_3genE2ELNS1_11target_archE906ELNS1_3gpuE6ELNS1_3repE0EEENS1_48merge_mergepath_partition_config_static_selectorELNS0_4arch9wavefront6targetE1EEEvSJ_.has_dyn_sized_stack, 0
	.set _ZN7rocprim17ROCPRIM_400000_NS6detail17trampoline_kernelINS0_14default_configENS1_38merge_sort_block_merge_config_selectorIyyEEZZNS1_27merge_sort_block_merge_implIS3_N6thrust23THRUST_200600_302600_NS6detail15normal_iteratorINS8_10device_ptrIyEEEESD_jNS1_19radix_merge_compareILb0ELb0EyNS0_19identity_decomposerEEEEE10hipError_tT0_T1_T2_jT3_P12ihipStream_tbPNSt15iterator_traitsISI_E10value_typeEPNSO_ISJ_E10value_typeEPSK_NS1_7vsmem_tEENKUlT_SI_SJ_SK_E_clISD_PySD_S10_EESH_SX_SI_SJ_SK_EUlSX_E_NS1_11comp_targetILNS1_3genE2ELNS1_11target_archE906ELNS1_3gpuE6ELNS1_3repE0EEENS1_48merge_mergepath_partition_config_static_selectorELNS0_4arch9wavefront6targetE1EEEvSJ_.has_recursion, 0
	.set _ZN7rocprim17ROCPRIM_400000_NS6detail17trampoline_kernelINS0_14default_configENS1_38merge_sort_block_merge_config_selectorIyyEEZZNS1_27merge_sort_block_merge_implIS3_N6thrust23THRUST_200600_302600_NS6detail15normal_iteratorINS8_10device_ptrIyEEEESD_jNS1_19radix_merge_compareILb0ELb0EyNS0_19identity_decomposerEEEEE10hipError_tT0_T1_T2_jT3_P12ihipStream_tbPNSt15iterator_traitsISI_E10value_typeEPNSO_ISJ_E10value_typeEPSK_NS1_7vsmem_tEENKUlT_SI_SJ_SK_E_clISD_PySD_S10_EESH_SX_SI_SJ_SK_EUlSX_E_NS1_11comp_targetILNS1_3genE2ELNS1_11target_archE906ELNS1_3gpuE6ELNS1_3repE0EEENS1_48merge_mergepath_partition_config_static_selectorELNS0_4arch9wavefront6targetE1EEEvSJ_.has_indirect_call, 0
	.section	.AMDGPU.csdata,"",@progbits
; Kernel info:
; codeLenInByte = 0
; TotalNumSgprs: 6
; NumVgprs: 0
; NumAgprs: 0
; TotalNumVgprs: 0
; ScratchSize: 0
; MemoryBound: 0
; FloatMode: 240
; IeeeMode: 1
; LDSByteSize: 0 bytes/workgroup (compile time only)
; SGPRBlocks: 0
; VGPRBlocks: 0
; NumSGPRsForWavesPerEU: 6
; NumVGPRsForWavesPerEU: 1
; AccumOffset: 4
; Occupancy: 8
; WaveLimiterHint : 0
; COMPUTE_PGM_RSRC2:SCRATCH_EN: 0
; COMPUTE_PGM_RSRC2:USER_SGPR: 2
; COMPUTE_PGM_RSRC2:TRAP_HANDLER: 0
; COMPUTE_PGM_RSRC2:TGID_X_EN: 1
; COMPUTE_PGM_RSRC2:TGID_Y_EN: 0
; COMPUTE_PGM_RSRC2:TGID_Z_EN: 0
; COMPUTE_PGM_RSRC2:TIDIG_COMP_CNT: 0
; COMPUTE_PGM_RSRC3_GFX90A:ACCUM_OFFSET: 0
; COMPUTE_PGM_RSRC3_GFX90A:TG_SPLIT: 0
	.section	.text._ZN7rocprim17ROCPRIM_400000_NS6detail17trampoline_kernelINS0_14default_configENS1_38merge_sort_block_merge_config_selectorIyyEEZZNS1_27merge_sort_block_merge_implIS3_N6thrust23THRUST_200600_302600_NS6detail15normal_iteratorINS8_10device_ptrIyEEEESD_jNS1_19radix_merge_compareILb0ELb0EyNS0_19identity_decomposerEEEEE10hipError_tT0_T1_T2_jT3_P12ihipStream_tbPNSt15iterator_traitsISI_E10value_typeEPNSO_ISJ_E10value_typeEPSK_NS1_7vsmem_tEENKUlT_SI_SJ_SK_E_clISD_PySD_S10_EESH_SX_SI_SJ_SK_EUlSX_E_NS1_11comp_targetILNS1_3genE9ELNS1_11target_archE1100ELNS1_3gpuE3ELNS1_3repE0EEENS1_48merge_mergepath_partition_config_static_selectorELNS0_4arch9wavefront6targetE1EEEvSJ_,"axG",@progbits,_ZN7rocprim17ROCPRIM_400000_NS6detail17trampoline_kernelINS0_14default_configENS1_38merge_sort_block_merge_config_selectorIyyEEZZNS1_27merge_sort_block_merge_implIS3_N6thrust23THRUST_200600_302600_NS6detail15normal_iteratorINS8_10device_ptrIyEEEESD_jNS1_19radix_merge_compareILb0ELb0EyNS0_19identity_decomposerEEEEE10hipError_tT0_T1_T2_jT3_P12ihipStream_tbPNSt15iterator_traitsISI_E10value_typeEPNSO_ISJ_E10value_typeEPSK_NS1_7vsmem_tEENKUlT_SI_SJ_SK_E_clISD_PySD_S10_EESH_SX_SI_SJ_SK_EUlSX_E_NS1_11comp_targetILNS1_3genE9ELNS1_11target_archE1100ELNS1_3gpuE3ELNS1_3repE0EEENS1_48merge_mergepath_partition_config_static_selectorELNS0_4arch9wavefront6targetE1EEEvSJ_,comdat
	.protected	_ZN7rocprim17ROCPRIM_400000_NS6detail17trampoline_kernelINS0_14default_configENS1_38merge_sort_block_merge_config_selectorIyyEEZZNS1_27merge_sort_block_merge_implIS3_N6thrust23THRUST_200600_302600_NS6detail15normal_iteratorINS8_10device_ptrIyEEEESD_jNS1_19radix_merge_compareILb0ELb0EyNS0_19identity_decomposerEEEEE10hipError_tT0_T1_T2_jT3_P12ihipStream_tbPNSt15iterator_traitsISI_E10value_typeEPNSO_ISJ_E10value_typeEPSK_NS1_7vsmem_tEENKUlT_SI_SJ_SK_E_clISD_PySD_S10_EESH_SX_SI_SJ_SK_EUlSX_E_NS1_11comp_targetILNS1_3genE9ELNS1_11target_archE1100ELNS1_3gpuE3ELNS1_3repE0EEENS1_48merge_mergepath_partition_config_static_selectorELNS0_4arch9wavefront6targetE1EEEvSJ_ ; -- Begin function _ZN7rocprim17ROCPRIM_400000_NS6detail17trampoline_kernelINS0_14default_configENS1_38merge_sort_block_merge_config_selectorIyyEEZZNS1_27merge_sort_block_merge_implIS3_N6thrust23THRUST_200600_302600_NS6detail15normal_iteratorINS8_10device_ptrIyEEEESD_jNS1_19radix_merge_compareILb0ELb0EyNS0_19identity_decomposerEEEEE10hipError_tT0_T1_T2_jT3_P12ihipStream_tbPNSt15iterator_traitsISI_E10value_typeEPNSO_ISJ_E10value_typeEPSK_NS1_7vsmem_tEENKUlT_SI_SJ_SK_E_clISD_PySD_S10_EESH_SX_SI_SJ_SK_EUlSX_E_NS1_11comp_targetILNS1_3genE9ELNS1_11target_archE1100ELNS1_3gpuE3ELNS1_3repE0EEENS1_48merge_mergepath_partition_config_static_selectorELNS0_4arch9wavefront6targetE1EEEvSJ_
	.globl	_ZN7rocprim17ROCPRIM_400000_NS6detail17trampoline_kernelINS0_14default_configENS1_38merge_sort_block_merge_config_selectorIyyEEZZNS1_27merge_sort_block_merge_implIS3_N6thrust23THRUST_200600_302600_NS6detail15normal_iteratorINS8_10device_ptrIyEEEESD_jNS1_19radix_merge_compareILb0ELb0EyNS0_19identity_decomposerEEEEE10hipError_tT0_T1_T2_jT3_P12ihipStream_tbPNSt15iterator_traitsISI_E10value_typeEPNSO_ISJ_E10value_typeEPSK_NS1_7vsmem_tEENKUlT_SI_SJ_SK_E_clISD_PySD_S10_EESH_SX_SI_SJ_SK_EUlSX_E_NS1_11comp_targetILNS1_3genE9ELNS1_11target_archE1100ELNS1_3gpuE3ELNS1_3repE0EEENS1_48merge_mergepath_partition_config_static_selectorELNS0_4arch9wavefront6targetE1EEEvSJ_
	.p2align	8
	.type	_ZN7rocprim17ROCPRIM_400000_NS6detail17trampoline_kernelINS0_14default_configENS1_38merge_sort_block_merge_config_selectorIyyEEZZNS1_27merge_sort_block_merge_implIS3_N6thrust23THRUST_200600_302600_NS6detail15normal_iteratorINS8_10device_ptrIyEEEESD_jNS1_19radix_merge_compareILb0ELb0EyNS0_19identity_decomposerEEEEE10hipError_tT0_T1_T2_jT3_P12ihipStream_tbPNSt15iterator_traitsISI_E10value_typeEPNSO_ISJ_E10value_typeEPSK_NS1_7vsmem_tEENKUlT_SI_SJ_SK_E_clISD_PySD_S10_EESH_SX_SI_SJ_SK_EUlSX_E_NS1_11comp_targetILNS1_3genE9ELNS1_11target_archE1100ELNS1_3gpuE3ELNS1_3repE0EEENS1_48merge_mergepath_partition_config_static_selectorELNS0_4arch9wavefront6targetE1EEEvSJ_,@function
_ZN7rocprim17ROCPRIM_400000_NS6detail17trampoline_kernelINS0_14default_configENS1_38merge_sort_block_merge_config_selectorIyyEEZZNS1_27merge_sort_block_merge_implIS3_N6thrust23THRUST_200600_302600_NS6detail15normal_iteratorINS8_10device_ptrIyEEEESD_jNS1_19radix_merge_compareILb0ELb0EyNS0_19identity_decomposerEEEEE10hipError_tT0_T1_T2_jT3_P12ihipStream_tbPNSt15iterator_traitsISI_E10value_typeEPNSO_ISJ_E10value_typeEPSK_NS1_7vsmem_tEENKUlT_SI_SJ_SK_E_clISD_PySD_S10_EESH_SX_SI_SJ_SK_EUlSX_E_NS1_11comp_targetILNS1_3genE9ELNS1_11target_archE1100ELNS1_3gpuE3ELNS1_3repE0EEENS1_48merge_mergepath_partition_config_static_selectorELNS0_4arch9wavefront6targetE1EEEvSJ_: ; @_ZN7rocprim17ROCPRIM_400000_NS6detail17trampoline_kernelINS0_14default_configENS1_38merge_sort_block_merge_config_selectorIyyEEZZNS1_27merge_sort_block_merge_implIS3_N6thrust23THRUST_200600_302600_NS6detail15normal_iteratorINS8_10device_ptrIyEEEESD_jNS1_19radix_merge_compareILb0ELb0EyNS0_19identity_decomposerEEEEE10hipError_tT0_T1_T2_jT3_P12ihipStream_tbPNSt15iterator_traitsISI_E10value_typeEPNSO_ISJ_E10value_typeEPSK_NS1_7vsmem_tEENKUlT_SI_SJ_SK_E_clISD_PySD_S10_EESH_SX_SI_SJ_SK_EUlSX_E_NS1_11comp_targetILNS1_3genE9ELNS1_11target_archE1100ELNS1_3gpuE3ELNS1_3repE0EEENS1_48merge_mergepath_partition_config_static_selectorELNS0_4arch9wavefront6targetE1EEEvSJ_
; %bb.0:
	.section	.rodata,"a",@progbits
	.p2align	6, 0x0
	.amdhsa_kernel _ZN7rocprim17ROCPRIM_400000_NS6detail17trampoline_kernelINS0_14default_configENS1_38merge_sort_block_merge_config_selectorIyyEEZZNS1_27merge_sort_block_merge_implIS3_N6thrust23THRUST_200600_302600_NS6detail15normal_iteratorINS8_10device_ptrIyEEEESD_jNS1_19radix_merge_compareILb0ELb0EyNS0_19identity_decomposerEEEEE10hipError_tT0_T1_T2_jT3_P12ihipStream_tbPNSt15iterator_traitsISI_E10value_typeEPNSO_ISJ_E10value_typeEPSK_NS1_7vsmem_tEENKUlT_SI_SJ_SK_E_clISD_PySD_S10_EESH_SX_SI_SJ_SK_EUlSX_E_NS1_11comp_targetILNS1_3genE9ELNS1_11target_archE1100ELNS1_3gpuE3ELNS1_3repE0EEENS1_48merge_mergepath_partition_config_static_selectorELNS0_4arch9wavefront6targetE1EEEvSJ_
		.amdhsa_group_segment_fixed_size 0
		.amdhsa_private_segment_fixed_size 0
		.amdhsa_kernarg_size 40
		.amdhsa_user_sgpr_count 2
		.amdhsa_user_sgpr_dispatch_ptr 0
		.amdhsa_user_sgpr_queue_ptr 0
		.amdhsa_user_sgpr_kernarg_segment_ptr 1
		.amdhsa_user_sgpr_dispatch_id 0
		.amdhsa_user_sgpr_kernarg_preload_length 0
		.amdhsa_user_sgpr_kernarg_preload_offset 0
		.amdhsa_user_sgpr_private_segment_size 0
		.amdhsa_uses_dynamic_stack 0
		.amdhsa_enable_private_segment 0
		.amdhsa_system_sgpr_workgroup_id_x 1
		.amdhsa_system_sgpr_workgroup_id_y 0
		.amdhsa_system_sgpr_workgroup_id_z 0
		.amdhsa_system_sgpr_workgroup_info 0
		.amdhsa_system_vgpr_workitem_id 0
		.amdhsa_next_free_vgpr 1
		.amdhsa_next_free_sgpr 0
		.amdhsa_accum_offset 4
		.amdhsa_reserve_vcc 0
		.amdhsa_float_round_mode_32 0
		.amdhsa_float_round_mode_16_64 0
		.amdhsa_float_denorm_mode_32 3
		.amdhsa_float_denorm_mode_16_64 3
		.amdhsa_dx10_clamp 1
		.amdhsa_ieee_mode 1
		.amdhsa_fp16_overflow 0
		.amdhsa_tg_split 0
		.amdhsa_exception_fp_ieee_invalid_op 0
		.amdhsa_exception_fp_denorm_src 0
		.amdhsa_exception_fp_ieee_div_zero 0
		.amdhsa_exception_fp_ieee_overflow 0
		.amdhsa_exception_fp_ieee_underflow 0
		.amdhsa_exception_fp_ieee_inexact 0
		.amdhsa_exception_int_div_zero 0
	.end_amdhsa_kernel
	.section	.text._ZN7rocprim17ROCPRIM_400000_NS6detail17trampoline_kernelINS0_14default_configENS1_38merge_sort_block_merge_config_selectorIyyEEZZNS1_27merge_sort_block_merge_implIS3_N6thrust23THRUST_200600_302600_NS6detail15normal_iteratorINS8_10device_ptrIyEEEESD_jNS1_19radix_merge_compareILb0ELb0EyNS0_19identity_decomposerEEEEE10hipError_tT0_T1_T2_jT3_P12ihipStream_tbPNSt15iterator_traitsISI_E10value_typeEPNSO_ISJ_E10value_typeEPSK_NS1_7vsmem_tEENKUlT_SI_SJ_SK_E_clISD_PySD_S10_EESH_SX_SI_SJ_SK_EUlSX_E_NS1_11comp_targetILNS1_3genE9ELNS1_11target_archE1100ELNS1_3gpuE3ELNS1_3repE0EEENS1_48merge_mergepath_partition_config_static_selectorELNS0_4arch9wavefront6targetE1EEEvSJ_,"axG",@progbits,_ZN7rocprim17ROCPRIM_400000_NS6detail17trampoline_kernelINS0_14default_configENS1_38merge_sort_block_merge_config_selectorIyyEEZZNS1_27merge_sort_block_merge_implIS3_N6thrust23THRUST_200600_302600_NS6detail15normal_iteratorINS8_10device_ptrIyEEEESD_jNS1_19radix_merge_compareILb0ELb0EyNS0_19identity_decomposerEEEEE10hipError_tT0_T1_T2_jT3_P12ihipStream_tbPNSt15iterator_traitsISI_E10value_typeEPNSO_ISJ_E10value_typeEPSK_NS1_7vsmem_tEENKUlT_SI_SJ_SK_E_clISD_PySD_S10_EESH_SX_SI_SJ_SK_EUlSX_E_NS1_11comp_targetILNS1_3genE9ELNS1_11target_archE1100ELNS1_3gpuE3ELNS1_3repE0EEENS1_48merge_mergepath_partition_config_static_selectorELNS0_4arch9wavefront6targetE1EEEvSJ_,comdat
.Lfunc_end426:
	.size	_ZN7rocprim17ROCPRIM_400000_NS6detail17trampoline_kernelINS0_14default_configENS1_38merge_sort_block_merge_config_selectorIyyEEZZNS1_27merge_sort_block_merge_implIS3_N6thrust23THRUST_200600_302600_NS6detail15normal_iteratorINS8_10device_ptrIyEEEESD_jNS1_19radix_merge_compareILb0ELb0EyNS0_19identity_decomposerEEEEE10hipError_tT0_T1_T2_jT3_P12ihipStream_tbPNSt15iterator_traitsISI_E10value_typeEPNSO_ISJ_E10value_typeEPSK_NS1_7vsmem_tEENKUlT_SI_SJ_SK_E_clISD_PySD_S10_EESH_SX_SI_SJ_SK_EUlSX_E_NS1_11comp_targetILNS1_3genE9ELNS1_11target_archE1100ELNS1_3gpuE3ELNS1_3repE0EEENS1_48merge_mergepath_partition_config_static_selectorELNS0_4arch9wavefront6targetE1EEEvSJ_, .Lfunc_end426-_ZN7rocprim17ROCPRIM_400000_NS6detail17trampoline_kernelINS0_14default_configENS1_38merge_sort_block_merge_config_selectorIyyEEZZNS1_27merge_sort_block_merge_implIS3_N6thrust23THRUST_200600_302600_NS6detail15normal_iteratorINS8_10device_ptrIyEEEESD_jNS1_19radix_merge_compareILb0ELb0EyNS0_19identity_decomposerEEEEE10hipError_tT0_T1_T2_jT3_P12ihipStream_tbPNSt15iterator_traitsISI_E10value_typeEPNSO_ISJ_E10value_typeEPSK_NS1_7vsmem_tEENKUlT_SI_SJ_SK_E_clISD_PySD_S10_EESH_SX_SI_SJ_SK_EUlSX_E_NS1_11comp_targetILNS1_3genE9ELNS1_11target_archE1100ELNS1_3gpuE3ELNS1_3repE0EEENS1_48merge_mergepath_partition_config_static_selectorELNS0_4arch9wavefront6targetE1EEEvSJ_
                                        ; -- End function
	.set _ZN7rocprim17ROCPRIM_400000_NS6detail17trampoline_kernelINS0_14default_configENS1_38merge_sort_block_merge_config_selectorIyyEEZZNS1_27merge_sort_block_merge_implIS3_N6thrust23THRUST_200600_302600_NS6detail15normal_iteratorINS8_10device_ptrIyEEEESD_jNS1_19radix_merge_compareILb0ELb0EyNS0_19identity_decomposerEEEEE10hipError_tT0_T1_T2_jT3_P12ihipStream_tbPNSt15iterator_traitsISI_E10value_typeEPNSO_ISJ_E10value_typeEPSK_NS1_7vsmem_tEENKUlT_SI_SJ_SK_E_clISD_PySD_S10_EESH_SX_SI_SJ_SK_EUlSX_E_NS1_11comp_targetILNS1_3genE9ELNS1_11target_archE1100ELNS1_3gpuE3ELNS1_3repE0EEENS1_48merge_mergepath_partition_config_static_selectorELNS0_4arch9wavefront6targetE1EEEvSJ_.num_vgpr, 0
	.set _ZN7rocprim17ROCPRIM_400000_NS6detail17trampoline_kernelINS0_14default_configENS1_38merge_sort_block_merge_config_selectorIyyEEZZNS1_27merge_sort_block_merge_implIS3_N6thrust23THRUST_200600_302600_NS6detail15normal_iteratorINS8_10device_ptrIyEEEESD_jNS1_19radix_merge_compareILb0ELb0EyNS0_19identity_decomposerEEEEE10hipError_tT0_T1_T2_jT3_P12ihipStream_tbPNSt15iterator_traitsISI_E10value_typeEPNSO_ISJ_E10value_typeEPSK_NS1_7vsmem_tEENKUlT_SI_SJ_SK_E_clISD_PySD_S10_EESH_SX_SI_SJ_SK_EUlSX_E_NS1_11comp_targetILNS1_3genE9ELNS1_11target_archE1100ELNS1_3gpuE3ELNS1_3repE0EEENS1_48merge_mergepath_partition_config_static_selectorELNS0_4arch9wavefront6targetE1EEEvSJ_.num_agpr, 0
	.set _ZN7rocprim17ROCPRIM_400000_NS6detail17trampoline_kernelINS0_14default_configENS1_38merge_sort_block_merge_config_selectorIyyEEZZNS1_27merge_sort_block_merge_implIS3_N6thrust23THRUST_200600_302600_NS6detail15normal_iteratorINS8_10device_ptrIyEEEESD_jNS1_19radix_merge_compareILb0ELb0EyNS0_19identity_decomposerEEEEE10hipError_tT0_T1_T2_jT3_P12ihipStream_tbPNSt15iterator_traitsISI_E10value_typeEPNSO_ISJ_E10value_typeEPSK_NS1_7vsmem_tEENKUlT_SI_SJ_SK_E_clISD_PySD_S10_EESH_SX_SI_SJ_SK_EUlSX_E_NS1_11comp_targetILNS1_3genE9ELNS1_11target_archE1100ELNS1_3gpuE3ELNS1_3repE0EEENS1_48merge_mergepath_partition_config_static_selectorELNS0_4arch9wavefront6targetE1EEEvSJ_.numbered_sgpr, 0
	.set _ZN7rocprim17ROCPRIM_400000_NS6detail17trampoline_kernelINS0_14default_configENS1_38merge_sort_block_merge_config_selectorIyyEEZZNS1_27merge_sort_block_merge_implIS3_N6thrust23THRUST_200600_302600_NS6detail15normal_iteratorINS8_10device_ptrIyEEEESD_jNS1_19radix_merge_compareILb0ELb0EyNS0_19identity_decomposerEEEEE10hipError_tT0_T1_T2_jT3_P12ihipStream_tbPNSt15iterator_traitsISI_E10value_typeEPNSO_ISJ_E10value_typeEPSK_NS1_7vsmem_tEENKUlT_SI_SJ_SK_E_clISD_PySD_S10_EESH_SX_SI_SJ_SK_EUlSX_E_NS1_11comp_targetILNS1_3genE9ELNS1_11target_archE1100ELNS1_3gpuE3ELNS1_3repE0EEENS1_48merge_mergepath_partition_config_static_selectorELNS0_4arch9wavefront6targetE1EEEvSJ_.num_named_barrier, 0
	.set _ZN7rocprim17ROCPRIM_400000_NS6detail17trampoline_kernelINS0_14default_configENS1_38merge_sort_block_merge_config_selectorIyyEEZZNS1_27merge_sort_block_merge_implIS3_N6thrust23THRUST_200600_302600_NS6detail15normal_iteratorINS8_10device_ptrIyEEEESD_jNS1_19radix_merge_compareILb0ELb0EyNS0_19identity_decomposerEEEEE10hipError_tT0_T1_T2_jT3_P12ihipStream_tbPNSt15iterator_traitsISI_E10value_typeEPNSO_ISJ_E10value_typeEPSK_NS1_7vsmem_tEENKUlT_SI_SJ_SK_E_clISD_PySD_S10_EESH_SX_SI_SJ_SK_EUlSX_E_NS1_11comp_targetILNS1_3genE9ELNS1_11target_archE1100ELNS1_3gpuE3ELNS1_3repE0EEENS1_48merge_mergepath_partition_config_static_selectorELNS0_4arch9wavefront6targetE1EEEvSJ_.private_seg_size, 0
	.set _ZN7rocprim17ROCPRIM_400000_NS6detail17trampoline_kernelINS0_14default_configENS1_38merge_sort_block_merge_config_selectorIyyEEZZNS1_27merge_sort_block_merge_implIS3_N6thrust23THRUST_200600_302600_NS6detail15normal_iteratorINS8_10device_ptrIyEEEESD_jNS1_19radix_merge_compareILb0ELb0EyNS0_19identity_decomposerEEEEE10hipError_tT0_T1_T2_jT3_P12ihipStream_tbPNSt15iterator_traitsISI_E10value_typeEPNSO_ISJ_E10value_typeEPSK_NS1_7vsmem_tEENKUlT_SI_SJ_SK_E_clISD_PySD_S10_EESH_SX_SI_SJ_SK_EUlSX_E_NS1_11comp_targetILNS1_3genE9ELNS1_11target_archE1100ELNS1_3gpuE3ELNS1_3repE0EEENS1_48merge_mergepath_partition_config_static_selectorELNS0_4arch9wavefront6targetE1EEEvSJ_.uses_vcc, 0
	.set _ZN7rocprim17ROCPRIM_400000_NS6detail17trampoline_kernelINS0_14default_configENS1_38merge_sort_block_merge_config_selectorIyyEEZZNS1_27merge_sort_block_merge_implIS3_N6thrust23THRUST_200600_302600_NS6detail15normal_iteratorINS8_10device_ptrIyEEEESD_jNS1_19radix_merge_compareILb0ELb0EyNS0_19identity_decomposerEEEEE10hipError_tT0_T1_T2_jT3_P12ihipStream_tbPNSt15iterator_traitsISI_E10value_typeEPNSO_ISJ_E10value_typeEPSK_NS1_7vsmem_tEENKUlT_SI_SJ_SK_E_clISD_PySD_S10_EESH_SX_SI_SJ_SK_EUlSX_E_NS1_11comp_targetILNS1_3genE9ELNS1_11target_archE1100ELNS1_3gpuE3ELNS1_3repE0EEENS1_48merge_mergepath_partition_config_static_selectorELNS0_4arch9wavefront6targetE1EEEvSJ_.uses_flat_scratch, 0
	.set _ZN7rocprim17ROCPRIM_400000_NS6detail17trampoline_kernelINS0_14default_configENS1_38merge_sort_block_merge_config_selectorIyyEEZZNS1_27merge_sort_block_merge_implIS3_N6thrust23THRUST_200600_302600_NS6detail15normal_iteratorINS8_10device_ptrIyEEEESD_jNS1_19radix_merge_compareILb0ELb0EyNS0_19identity_decomposerEEEEE10hipError_tT0_T1_T2_jT3_P12ihipStream_tbPNSt15iterator_traitsISI_E10value_typeEPNSO_ISJ_E10value_typeEPSK_NS1_7vsmem_tEENKUlT_SI_SJ_SK_E_clISD_PySD_S10_EESH_SX_SI_SJ_SK_EUlSX_E_NS1_11comp_targetILNS1_3genE9ELNS1_11target_archE1100ELNS1_3gpuE3ELNS1_3repE0EEENS1_48merge_mergepath_partition_config_static_selectorELNS0_4arch9wavefront6targetE1EEEvSJ_.has_dyn_sized_stack, 0
	.set _ZN7rocprim17ROCPRIM_400000_NS6detail17trampoline_kernelINS0_14default_configENS1_38merge_sort_block_merge_config_selectorIyyEEZZNS1_27merge_sort_block_merge_implIS3_N6thrust23THRUST_200600_302600_NS6detail15normal_iteratorINS8_10device_ptrIyEEEESD_jNS1_19radix_merge_compareILb0ELb0EyNS0_19identity_decomposerEEEEE10hipError_tT0_T1_T2_jT3_P12ihipStream_tbPNSt15iterator_traitsISI_E10value_typeEPNSO_ISJ_E10value_typeEPSK_NS1_7vsmem_tEENKUlT_SI_SJ_SK_E_clISD_PySD_S10_EESH_SX_SI_SJ_SK_EUlSX_E_NS1_11comp_targetILNS1_3genE9ELNS1_11target_archE1100ELNS1_3gpuE3ELNS1_3repE0EEENS1_48merge_mergepath_partition_config_static_selectorELNS0_4arch9wavefront6targetE1EEEvSJ_.has_recursion, 0
	.set _ZN7rocprim17ROCPRIM_400000_NS6detail17trampoline_kernelINS0_14default_configENS1_38merge_sort_block_merge_config_selectorIyyEEZZNS1_27merge_sort_block_merge_implIS3_N6thrust23THRUST_200600_302600_NS6detail15normal_iteratorINS8_10device_ptrIyEEEESD_jNS1_19radix_merge_compareILb0ELb0EyNS0_19identity_decomposerEEEEE10hipError_tT0_T1_T2_jT3_P12ihipStream_tbPNSt15iterator_traitsISI_E10value_typeEPNSO_ISJ_E10value_typeEPSK_NS1_7vsmem_tEENKUlT_SI_SJ_SK_E_clISD_PySD_S10_EESH_SX_SI_SJ_SK_EUlSX_E_NS1_11comp_targetILNS1_3genE9ELNS1_11target_archE1100ELNS1_3gpuE3ELNS1_3repE0EEENS1_48merge_mergepath_partition_config_static_selectorELNS0_4arch9wavefront6targetE1EEEvSJ_.has_indirect_call, 0
	.section	.AMDGPU.csdata,"",@progbits
; Kernel info:
; codeLenInByte = 0
; TotalNumSgprs: 6
; NumVgprs: 0
; NumAgprs: 0
; TotalNumVgprs: 0
; ScratchSize: 0
; MemoryBound: 0
; FloatMode: 240
; IeeeMode: 1
; LDSByteSize: 0 bytes/workgroup (compile time only)
; SGPRBlocks: 0
; VGPRBlocks: 0
; NumSGPRsForWavesPerEU: 6
; NumVGPRsForWavesPerEU: 1
; AccumOffset: 4
; Occupancy: 8
; WaveLimiterHint : 0
; COMPUTE_PGM_RSRC2:SCRATCH_EN: 0
; COMPUTE_PGM_RSRC2:USER_SGPR: 2
; COMPUTE_PGM_RSRC2:TRAP_HANDLER: 0
; COMPUTE_PGM_RSRC2:TGID_X_EN: 1
; COMPUTE_PGM_RSRC2:TGID_Y_EN: 0
; COMPUTE_PGM_RSRC2:TGID_Z_EN: 0
; COMPUTE_PGM_RSRC2:TIDIG_COMP_CNT: 0
; COMPUTE_PGM_RSRC3_GFX90A:ACCUM_OFFSET: 0
; COMPUTE_PGM_RSRC3_GFX90A:TG_SPLIT: 0
	.section	.text._ZN7rocprim17ROCPRIM_400000_NS6detail17trampoline_kernelINS0_14default_configENS1_38merge_sort_block_merge_config_selectorIyyEEZZNS1_27merge_sort_block_merge_implIS3_N6thrust23THRUST_200600_302600_NS6detail15normal_iteratorINS8_10device_ptrIyEEEESD_jNS1_19radix_merge_compareILb0ELb0EyNS0_19identity_decomposerEEEEE10hipError_tT0_T1_T2_jT3_P12ihipStream_tbPNSt15iterator_traitsISI_E10value_typeEPNSO_ISJ_E10value_typeEPSK_NS1_7vsmem_tEENKUlT_SI_SJ_SK_E_clISD_PySD_S10_EESH_SX_SI_SJ_SK_EUlSX_E_NS1_11comp_targetILNS1_3genE8ELNS1_11target_archE1030ELNS1_3gpuE2ELNS1_3repE0EEENS1_48merge_mergepath_partition_config_static_selectorELNS0_4arch9wavefront6targetE1EEEvSJ_,"axG",@progbits,_ZN7rocprim17ROCPRIM_400000_NS6detail17trampoline_kernelINS0_14default_configENS1_38merge_sort_block_merge_config_selectorIyyEEZZNS1_27merge_sort_block_merge_implIS3_N6thrust23THRUST_200600_302600_NS6detail15normal_iteratorINS8_10device_ptrIyEEEESD_jNS1_19radix_merge_compareILb0ELb0EyNS0_19identity_decomposerEEEEE10hipError_tT0_T1_T2_jT3_P12ihipStream_tbPNSt15iterator_traitsISI_E10value_typeEPNSO_ISJ_E10value_typeEPSK_NS1_7vsmem_tEENKUlT_SI_SJ_SK_E_clISD_PySD_S10_EESH_SX_SI_SJ_SK_EUlSX_E_NS1_11comp_targetILNS1_3genE8ELNS1_11target_archE1030ELNS1_3gpuE2ELNS1_3repE0EEENS1_48merge_mergepath_partition_config_static_selectorELNS0_4arch9wavefront6targetE1EEEvSJ_,comdat
	.protected	_ZN7rocprim17ROCPRIM_400000_NS6detail17trampoline_kernelINS0_14default_configENS1_38merge_sort_block_merge_config_selectorIyyEEZZNS1_27merge_sort_block_merge_implIS3_N6thrust23THRUST_200600_302600_NS6detail15normal_iteratorINS8_10device_ptrIyEEEESD_jNS1_19radix_merge_compareILb0ELb0EyNS0_19identity_decomposerEEEEE10hipError_tT0_T1_T2_jT3_P12ihipStream_tbPNSt15iterator_traitsISI_E10value_typeEPNSO_ISJ_E10value_typeEPSK_NS1_7vsmem_tEENKUlT_SI_SJ_SK_E_clISD_PySD_S10_EESH_SX_SI_SJ_SK_EUlSX_E_NS1_11comp_targetILNS1_3genE8ELNS1_11target_archE1030ELNS1_3gpuE2ELNS1_3repE0EEENS1_48merge_mergepath_partition_config_static_selectorELNS0_4arch9wavefront6targetE1EEEvSJ_ ; -- Begin function _ZN7rocprim17ROCPRIM_400000_NS6detail17trampoline_kernelINS0_14default_configENS1_38merge_sort_block_merge_config_selectorIyyEEZZNS1_27merge_sort_block_merge_implIS3_N6thrust23THRUST_200600_302600_NS6detail15normal_iteratorINS8_10device_ptrIyEEEESD_jNS1_19radix_merge_compareILb0ELb0EyNS0_19identity_decomposerEEEEE10hipError_tT0_T1_T2_jT3_P12ihipStream_tbPNSt15iterator_traitsISI_E10value_typeEPNSO_ISJ_E10value_typeEPSK_NS1_7vsmem_tEENKUlT_SI_SJ_SK_E_clISD_PySD_S10_EESH_SX_SI_SJ_SK_EUlSX_E_NS1_11comp_targetILNS1_3genE8ELNS1_11target_archE1030ELNS1_3gpuE2ELNS1_3repE0EEENS1_48merge_mergepath_partition_config_static_selectorELNS0_4arch9wavefront6targetE1EEEvSJ_
	.globl	_ZN7rocprim17ROCPRIM_400000_NS6detail17trampoline_kernelINS0_14default_configENS1_38merge_sort_block_merge_config_selectorIyyEEZZNS1_27merge_sort_block_merge_implIS3_N6thrust23THRUST_200600_302600_NS6detail15normal_iteratorINS8_10device_ptrIyEEEESD_jNS1_19radix_merge_compareILb0ELb0EyNS0_19identity_decomposerEEEEE10hipError_tT0_T1_T2_jT3_P12ihipStream_tbPNSt15iterator_traitsISI_E10value_typeEPNSO_ISJ_E10value_typeEPSK_NS1_7vsmem_tEENKUlT_SI_SJ_SK_E_clISD_PySD_S10_EESH_SX_SI_SJ_SK_EUlSX_E_NS1_11comp_targetILNS1_3genE8ELNS1_11target_archE1030ELNS1_3gpuE2ELNS1_3repE0EEENS1_48merge_mergepath_partition_config_static_selectorELNS0_4arch9wavefront6targetE1EEEvSJ_
	.p2align	8
	.type	_ZN7rocprim17ROCPRIM_400000_NS6detail17trampoline_kernelINS0_14default_configENS1_38merge_sort_block_merge_config_selectorIyyEEZZNS1_27merge_sort_block_merge_implIS3_N6thrust23THRUST_200600_302600_NS6detail15normal_iteratorINS8_10device_ptrIyEEEESD_jNS1_19radix_merge_compareILb0ELb0EyNS0_19identity_decomposerEEEEE10hipError_tT0_T1_T2_jT3_P12ihipStream_tbPNSt15iterator_traitsISI_E10value_typeEPNSO_ISJ_E10value_typeEPSK_NS1_7vsmem_tEENKUlT_SI_SJ_SK_E_clISD_PySD_S10_EESH_SX_SI_SJ_SK_EUlSX_E_NS1_11comp_targetILNS1_3genE8ELNS1_11target_archE1030ELNS1_3gpuE2ELNS1_3repE0EEENS1_48merge_mergepath_partition_config_static_selectorELNS0_4arch9wavefront6targetE1EEEvSJ_,@function
_ZN7rocprim17ROCPRIM_400000_NS6detail17trampoline_kernelINS0_14default_configENS1_38merge_sort_block_merge_config_selectorIyyEEZZNS1_27merge_sort_block_merge_implIS3_N6thrust23THRUST_200600_302600_NS6detail15normal_iteratorINS8_10device_ptrIyEEEESD_jNS1_19radix_merge_compareILb0ELb0EyNS0_19identity_decomposerEEEEE10hipError_tT0_T1_T2_jT3_P12ihipStream_tbPNSt15iterator_traitsISI_E10value_typeEPNSO_ISJ_E10value_typeEPSK_NS1_7vsmem_tEENKUlT_SI_SJ_SK_E_clISD_PySD_S10_EESH_SX_SI_SJ_SK_EUlSX_E_NS1_11comp_targetILNS1_3genE8ELNS1_11target_archE1030ELNS1_3gpuE2ELNS1_3repE0EEENS1_48merge_mergepath_partition_config_static_selectorELNS0_4arch9wavefront6targetE1EEEvSJ_: ; @_ZN7rocprim17ROCPRIM_400000_NS6detail17trampoline_kernelINS0_14default_configENS1_38merge_sort_block_merge_config_selectorIyyEEZZNS1_27merge_sort_block_merge_implIS3_N6thrust23THRUST_200600_302600_NS6detail15normal_iteratorINS8_10device_ptrIyEEEESD_jNS1_19radix_merge_compareILb0ELb0EyNS0_19identity_decomposerEEEEE10hipError_tT0_T1_T2_jT3_P12ihipStream_tbPNSt15iterator_traitsISI_E10value_typeEPNSO_ISJ_E10value_typeEPSK_NS1_7vsmem_tEENKUlT_SI_SJ_SK_E_clISD_PySD_S10_EESH_SX_SI_SJ_SK_EUlSX_E_NS1_11comp_targetILNS1_3genE8ELNS1_11target_archE1030ELNS1_3gpuE2ELNS1_3repE0EEENS1_48merge_mergepath_partition_config_static_selectorELNS0_4arch9wavefront6targetE1EEEvSJ_
; %bb.0:
	.section	.rodata,"a",@progbits
	.p2align	6, 0x0
	.amdhsa_kernel _ZN7rocprim17ROCPRIM_400000_NS6detail17trampoline_kernelINS0_14default_configENS1_38merge_sort_block_merge_config_selectorIyyEEZZNS1_27merge_sort_block_merge_implIS3_N6thrust23THRUST_200600_302600_NS6detail15normal_iteratorINS8_10device_ptrIyEEEESD_jNS1_19radix_merge_compareILb0ELb0EyNS0_19identity_decomposerEEEEE10hipError_tT0_T1_T2_jT3_P12ihipStream_tbPNSt15iterator_traitsISI_E10value_typeEPNSO_ISJ_E10value_typeEPSK_NS1_7vsmem_tEENKUlT_SI_SJ_SK_E_clISD_PySD_S10_EESH_SX_SI_SJ_SK_EUlSX_E_NS1_11comp_targetILNS1_3genE8ELNS1_11target_archE1030ELNS1_3gpuE2ELNS1_3repE0EEENS1_48merge_mergepath_partition_config_static_selectorELNS0_4arch9wavefront6targetE1EEEvSJ_
		.amdhsa_group_segment_fixed_size 0
		.amdhsa_private_segment_fixed_size 0
		.amdhsa_kernarg_size 40
		.amdhsa_user_sgpr_count 2
		.amdhsa_user_sgpr_dispatch_ptr 0
		.amdhsa_user_sgpr_queue_ptr 0
		.amdhsa_user_sgpr_kernarg_segment_ptr 1
		.amdhsa_user_sgpr_dispatch_id 0
		.amdhsa_user_sgpr_kernarg_preload_length 0
		.amdhsa_user_sgpr_kernarg_preload_offset 0
		.amdhsa_user_sgpr_private_segment_size 0
		.amdhsa_uses_dynamic_stack 0
		.amdhsa_enable_private_segment 0
		.amdhsa_system_sgpr_workgroup_id_x 1
		.amdhsa_system_sgpr_workgroup_id_y 0
		.amdhsa_system_sgpr_workgroup_id_z 0
		.amdhsa_system_sgpr_workgroup_info 0
		.amdhsa_system_vgpr_workitem_id 0
		.amdhsa_next_free_vgpr 1
		.amdhsa_next_free_sgpr 0
		.amdhsa_accum_offset 4
		.amdhsa_reserve_vcc 0
		.amdhsa_float_round_mode_32 0
		.amdhsa_float_round_mode_16_64 0
		.amdhsa_float_denorm_mode_32 3
		.amdhsa_float_denorm_mode_16_64 3
		.amdhsa_dx10_clamp 1
		.amdhsa_ieee_mode 1
		.amdhsa_fp16_overflow 0
		.amdhsa_tg_split 0
		.amdhsa_exception_fp_ieee_invalid_op 0
		.amdhsa_exception_fp_denorm_src 0
		.amdhsa_exception_fp_ieee_div_zero 0
		.amdhsa_exception_fp_ieee_overflow 0
		.amdhsa_exception_fp_ieee_underflow 0
		.amdhsa_exception_fp_ieee_inexact 0
		.amdhsa_exception_int_div_zero 0
	.end_amdhsa_kernel
	.section	.text._ZN7rocprim17ROCPRIM_400000_NS6detail17trampoline_kernelINS0_14default_configENS1_38merge_sort_block_merge_config_selectorIyyEEZZNS1_27merge_sort_block_merge_implIS3_N6thrust23THRUST_200600_302600_NS6detail15normal_iteratorINS8_10device_ptrIyEEEESD_jNS1_19radix_merge_compareILb0ELb0EyNS0_19identity_decomposerEEEEE10hipError_tT0_T1_T2_jT3_P12ihipStream_tbPNSt15iterator_traitsISI_E10value_typeEPNSO_ISJ_E10value_typeEPSK_NS1_7vsmem_tEENKUlT_SI_SJ_SK_E_clISD_PySD_S10_EESH_SX_SI_SJ_SK_EUlSX_E_NS1_11comp_targetILNS1_3genE8ELNS1_11target_archE1030ELNS1_3gpuE2ELNS1_3repE0EEENS1_48merge_mergepath_partition_config_static_selectorELNS0_4arch9wavefront6targetE1EEEvSJ_,"axG",@progbits,_ZN7rocprim17ROCPRIM_400000_NS6detail17trampoline_kernelINS0_14default_configENS1_38merge_sort_block_merge_config_selectorIyyEEZZNS1_27merge_sort_block_merge_implIS3_N6thrust23THRUST_200600_302600_NS6detail15normal_iteratorINS8_10device_ptrIyEEEESD_jNS1_19radix_merge_compareILb0ELb0EyNS0_19identity_decomposerEEEEE10hipError_tT0_T1_T2_jT3_P12ihipStream_tbPNSt15iterator_traitsISI_E10value_typeEPNSO_ISJ_E10value_typeEPSK_NS1_7vsmem_tEENKUlT_SI_SJ_SK_E_clISD_PySD_S10_EESH_SX_SI_SJ_SK_EUlSX_E_NS1_11comp_targetILNS1_3genE8ELNS1_11target_archE1030ELNS1_3gpuE2ELNS1_3repE0EEENS1_48merge_mergepath_partition_config_static_selectorELNS0_4arch9wavefront6targetE1EEEvSJ_,comdat
.Lfunc_end427:
	.size	_ZN7rocprim17ROCPRIM_400000_NS6detail17trampoline_kernelINS0_14default_configENS1_38merge_sort_block_merge_config_selectorIyyEEZZNS1_27merge_sort_block_merge_implIS3_N6thrust23THRUST_200600_302600_NS6detail15normal_iteratorINS8_10device_ptrIyEEEESD_jNS1_19radix_merge_compareILb0ELb0EyNS0_19identity_decomposerEEEEE10hipError_tT0_T1_T2_jT3_P12ihipStream_tbPNSt15iterator_traitsISI_E10value_typeEPNSO_ISJ_E10value_typeEPSK_NS1_7vsmem_tEENKUlT_SI_SJ_SK_E_clISD_PySD_S10_EESH_SX_SI_SJ_SK_EUlSX_E_NS1_11comp_targetILNS1_3genE8ELNS1_11target_archE1030ELNS1_3gpuE2ELNS1_3repE0EEENS1_48merge_mergepath_partition_config_static_selectorELNS0_4arch9wavefront6targetE1EEEvSJ_, .Lfunc_end427-_ZN7rocprim17ROCPRIM_400000_NS6detail17trampoline_kernelINS0_14default_configENS1_38merge_sort_block_merge_config_selectorIyyEEZZNS1_27merge_sort_block_merge_implIS3_N6thrust23THRUST_200600_302600_NS6detail15normal_iteratorINS8_10device_ptrIyEEEESD_jNS1_19radix_merge_compareILb0ELb0EyNS0_19identity_decomposerEEEEE10hipError_tT0_T1_T2_jT3_P12ihipStream_tbPNSt15iterator_traitsISI_E10value_typeEPNSO_ISJ_E10value_typeEPSK_NS1_7vsmem_tEENKUlT_SI_SJ_SK_E_clISD_PySD_S10_EESH_SX_SI_SJ_SK_EUlSX_E_NS1_11comp_targetILNS1_3genE8ELNS1_11target_archE1030ELNS1_3gpuE2ELNS1_3repE0EEENS1_48merge_mergepath_partition_config_static_selectorELNS0_4arch9wavefront6targetE1EEEvSJ_
                                        ; -- End function
	.set _ZN7rocprim17ROCPRIM_400000_NS6detail17trampoline_kernelINS0_14default_configENS1_38merge_sort_block_merge_config_selectorIyyEEZZNS1_27merge_sort_block_merge_implIS3_N6thrust23THRUST_200600_302600_NS6detail15normal_iteratorINS8_10device_ptrIyEEEESD_jNS1_19radix_merge_compareILb0ELb0EyNS0_19identity_decomposerEEEEE10hipError_tT0_T1_T2_jT3_P12ihipStream_tbPNSt15iterator_traitsISI_E10value_typeEPNSO_ISJ_E10value_typeEPSK_NS1_7vsmem_tEENKUlT_SI_SJ_SK_E_clISD_PySD_S10_EESH_SX_SI_SJ_SK_EUlSX_E_NS1_11comp_targetILNS1_3genE8ELNS1_11target_archE1030ELNS1_3gpuE2ELNS1_3repE0EEENS1_48merge_mergepath_partition_config_static_selectorELNS0_4arch9wavefront6targetE1EEEvSJ_.num_vgpr, 0
	.set _ZN7rocprim17ROCPRIM_400000_NS6detail17trampoline_kernelINS0_14default_configENS1_38merge_sort_block_merge_config_selectorIyyEEZZNS1_27merge_sort_block_merge_implIS3_N6thrust23THRUST_200600_302600_NS6detail15normal_iteratorINS8_10device_ptrIyEEEESD_jNS1_19radix_merge_compareILb0ELb0EyNS0_19identity_decomposerEEEEE10hipError_tT0_T1_T2_jT3_P12ihipStream_tbPNSt15iterator_traitsISI_E10value_typeEPNSO_ISJ_E10value_typeEPSK_NS1_7vsmem_tEENKUlT_SI_SJ_SK_E_clISD_PySD_S10_EESH_SX_SI_SJ_SK_EUlSX_E_NS1_11comp_targetILNS1_3genE8ELNS1_11target_archE1030ELNS1_3gpuE2ELNS1_3repE0EEENS1_48merge_mergepath_partition_config_static_selectorELNS0_4arch9wavefront6targetE1EEEvSJ_.num_agpr, 0
	.set _ZN7rocprim17ROCPRIM_400000_NS6detail17trampoline_kernelINS0_14default_configENS1_38merge_sort_block_merge_config_selectorIyyEEZZNS1_27merge_sort_block_merge_implIS3_N6thrust23THRUST_200600_302600_NS6detail15normal_iteratorINS8_10device_ptrIyEEEESD_jNS1_19radix_merge_compareILb0ELb0EyNS0_19identity_decomposerEEEEE10hipError_tT0_T1_T2_jT3_P12ihipStream_tbPNSt15iterator_traitsISI_E10value_typeEPNSO_ISJ_E10value_typeEPSK_NS1_7vsmem_tEENKUlT_SI_SJ_SK_E_clISD_PySD_S10_EESH_SX_SI_SJ_SK_EUlSX_E_NS1_11comp_targetILNS1_3genE8ELNS1_11target_archE1030ELNS1_3gpuE2ELNS1_3repE0EEENS1_48merge_mergepath_partition_config_static_selectorELNS0_4arch9wavefront6targetE1EEEvSJ_.numbered_sgpr, 0
	.set _ZN7rocprim17ROCPRIM_400000_NS6detail17trampoline_kernelINS0_14default_configENS1_38merge_sort_block_merge_config_selectorIyyEEZZNS1_27merge_sort_block_merge_implIS3_N6thrust23THRUST_200600_302600_NS6detail15normal_iteratorINS8_10device_ptrIyEEEESD_jNS1_19radix_merge_compareILb0ELb0EyNS0_19identity_decomposerEEEEE10hipError_tT0_T1_T2_jT3_P12ihipStream_tbPNSt15iterator_traitsISI_E10value_typeEPNSO_ISJ_E10value_typeEPSK_NS1_7vsmem_tEENKUlT_SI_SJ_SK_E_clISD_PySD_S10_EESH_SX_SI_SJ_SK_EUlSX_E_NS1_11comp_targetILNS1_3genE8ELNS1_11target_archE1030ELNS1_3gpuE2ELNS1_3repE0EEENS1_48merge_mergepath_partition_config_static_selectorELNS0_4arch9wavefront6targetE1EEEvSJ_.num_named_barrier, 0
	.set _ZN7rocprim17ROCPRIM_400000_NS6detail17trampoline_kernelINS0_14default_configENS1_38merge_sort_block_merge_config_selectorIyyEEZZNS1_27merge_sort_block_merge_implIS3_N6thrust23THRUST_200600_302600_NS6detail15normal_iteratorINS8_10device_ptrIyEEEESD_jNS1_19radix_merge_compareILb0ELb0EyNS0_19identity_decomposerEEEEE10hipError_tT0_T1_T2_jT3_P12ihipStream_tbPNSt15iterator_traitsISI_E10value_typeEPNSO_ISJ_E10value_typeEPSK_NS1_7vsmem_tEENKUlT_SI_SJ_SK_E_clISD_PySD_S10_EESH_SX_SI_SJ_SK_EUlSX_E_NS1_11comp_targetILNS1_3genE8ELNS1_11target_archE1030ELNS1_3gpuE2ELNS1_3repE0EEENS1_48merge_mergepath_partition_config_static_selectorELNS0_4arch9wavefront6targetE1EEEvSJ_.private_seg_size, 0
	.set _ZN7rocprim17ROCPRIM_400000_NS6detail17trampoline_kernelINS0_14default_configENS1_38merge_sort_block_merge_config_selectorIyyEEZZNS1_27merge_sort_block_merge_implIS3_N6thrust23THRUST_200600_302600_NS6detail15normal_iteratorINS8_10device_ptrIyEEEESD_jNS1_19radix_merge_compareILb0ELb0EyNS0_19identity_decomposerEEEEE10hipError_tT0_T1_T2_jT3_P12ihipStream_tbPNSt15iterator_traitsISI_E10value_typeEPNSO_ISJ_E10value_typeEPSK_NS1_7vsmem_tEENKUlT_SI_SJ_SK_E_clISD_PySD_S10_EESH_SX_SI_SJ_SK_EUlSX_E_NS1_11comp_targetILNS1_3genE8ELNS1_11target_archE1030ELNS1_3gpuE2ELNS1_3repE0EEENS1_48merge_mergepath_partition_config_static_selectorELNS0_4arch9wavefront6targetE1EEEvSJ_.uses_vcc, 0
	.set _ZN7rocprim17ROCPRIM_400000_NS6detail17trampoline_kernelINS0_14default_configENS1_38merge_sort_block_merge_config_selectorIyyEEZZNS1_27merge_sort_block_merge_implIS3_N6thrust23THRUST_200600_302600_NS6detail15normal_iteratorINS8_10device_ptrIyEEEESD_jNS1_19radix_merge_compareILb0ELb0EyNS0_19identity_decomposerEEEEE10hipError_tT0_T1_T2_jT3_P12ihipStream_tbPNSt15iterator_traitsISI_E10value_typeEPNSO_ISJ_E10value_typeEPSK_NS1_7vsmem_tEENKUlT_SI_SJ_SK_E_clISD_PySD_S10_EESH_SX_SI_SJ_SK_EUlSX_E_NS1_11comp_targetILNS1_3genE8ELNS1_11target_archE1030ELNS1_3gpuE2ELNS1_3repE0EEENS1_48merge_mergepath_partition_config_static_selectorELNS0_4arch9wavefront6targetE1EEEvSJ_.uses_flat_scratch, 0
	.set _ZN7rocprim17ROCPRIM_400000_NS6detail17trampoline_kernelINS0_14default_configENS1_38merge_sort_block_merge_config_selectorIyyEEZZNS1_27merge_sort_block_merge_implIS3_N6thrust23THRUST_200600_302600_NS6detail15normal_iteratorINS8_10device_ptrIyEEEESD_jNS1_19radix_merge_compareILb0ELb0EyNS0_19identity_decomposerEEEEE10hipError_tT0_T1_T2_jT3_P12ihipStream_tbPNSt15iterator_traitsISI_E10value_typeEPNSO_ISJ_E10value_typeEPSK_NS1_7vsmem_tEENKUlT_SI_SJ_SK_E_clISD_PySD_S10_EESH_SX_SI_SJ_SK_EUlSX_E_NS1_11comp_targetILNS1_3genE8ELNS1_11target_archE1030ELNS1_3gpuE2ELNS1_3repE0EEENS1_48merge_mergepath_partition_config_static_selectorELNS0_4arch9wavefront6targetE1EEEvSJ_.has_dyn_sized_stack, 0
	.set _ZN7rocprim17ROCPRIM_400000_NS6detail17trampoline_kernelINS0_14default_configENS1_38merge_sort_block_merge_config_selectorIyyEEZZNS1_27merge_sort_block_merge_implIS3_N6thrust23THRUST_200600_302600_NS6detail15normal_iteratorINS8_10device_ptrIyEEEESD_jNS1_19radix_merge_compareILb0ELb0EyNS0_19identity_decomposerEEEEE10hipError_tT0_T1_T2_jT3_P12ihipStream_tbPNSt15iterator_traitsISI_E10value_typeEPNSO_ISJ_E10value_typeEPSK_NS1_7vsmem_tEENKUlT_SI_SJ_SK_E_clISD_PySD_S10_EESH_SX_SI_SJ_SK_EUlSX_E_NS1_11comp_targetILNS1_3genE8ELNS1_11target_archE1030ELNS1_3gpuE2ELNS1_3repE0EEENS1_48merge_mergepath_partition_config_static_selectorELNS0_4arch9wavefront6targetE1EEEvSJ_.has_recursion, 0
	.set _ZN7rocprim17ROCPRIM_400000_NS6detail17trampoline_kernelINS0_14default_configENS1_38merge_sort_block_merge_config_selectorIyyEEZZNS1_27merge_sort_block_merge_implIS3_N6thrust23THRUST_200600_302600_NS6detail15normal_iteratorINS8_10device_ptrIyEEEESD_jNS1_19radix_merge_compareILb0ELb0EyNS0_19identity_decomposerEEEEE10hipError_tT0_T1_T2_jT3_P12ihipStream_tbPNSt15iterator_traitsISI_E10value_typeEPNSO_ISJ_E10value_typeEPSK_NS1_7vsmem_tEENKUlT_SI_SJ_SK_E_clISD_PySD_S10_EESH_SX_SI_SJ_SK_EUlSX_E_NS1_11comp_targetILNS1_3genE8ELNS1_11target_archE1030ELNS1_3gpuE2ELNS1_3repE0EEENS1_48merge_mergepath_partition_config_static_selectorELNS0_4arch9wavefront6targetE1EEEvSJ_.has_indirect_call, 0
	.section	.AMDGPU.csdata,"",@progbits
; Kernel info:
; codeLenInByte = 0
; TotalNumSgprs: 6
; NumVgprs: 0
; NumAgprs: 0
; TotalNumVgprs: 0
; ScratchSize: 0
; MemoryBound: 0
; FloatMode: 240
; IeeeMode: 1
; LDSByteSize: 0 bytes/workgroup (compile time only)
; SGPRBlocks: 0
; VGPRBlocks: 0
; NumSGPRsForWavesPerEU: 6
; NumVGPRsForWavesPerEU: 1
; AccumOffset: 4
; Occupancy: 8
; WaveLimiterHint : 0
; COMPUTE_PGM_RSRC2:SCRATCH_EN: 0
; COMPUTE_PGM_RSRC2:USER_SGPR: 2
; COMPUTE_PGM_RSRC2:TRAP_HANDLER: 0
; COMPUTE_PGM_RSRC2:TGID_X_EN: 1
; COMPUTE_PGM_RSRC2:TGID_Y_EN: 0
; COMPUTE_PGM_RSRC2:TGID_Z_EN: 0
; COMPUTE_PGM_RSRC2:TIDIG_COMP_CNT: 0
; COMPUTE_PGM_RSRC3_GFX90A:ACCUM_OFFSET: 0
; COMPUTE_PGM_RSRC3_GFX90A:TG_SPLIT: 0
	.section	.text._ZN7rocprim17ROCPRIM_400000_NS6detail17trampoline_kernelINS0_14default_configENS1_38merge_sort_block_merge_config_selectorIyyEEZZNS1_27merge_sort_block_merge_implIS3_N6thrust23THRUST_200600_302600_NS6detail15normal_iteratorINS8_10device_ptrIyEEEESD_jNS1_19radix_merge_compareILb0ELb0EyNS0_19identity_decomposerEEEEE10hipError_tT0_T1_T2_jT3_P12ihipStream_tbPNSt15iterator_traitsISI_E10value_typeEPNSO_ISJ_E10value_typeEPSK_NS1_7vsmem_tEENKUlT_SI_SJ_SK_E_clISD_PySD_S10_EESH_SX_SI_SJ_SK_EUlSX_E0_NS1_11comp_targetILNS1_3genE0ELNS1_11target_archE4294967295ELNS1_3gpuE0ELNS1_3repE0EEENS1_38merge_mergepath_config_static_selectorELNS0_4arch9wavefront6targetE1EEEvSJ_,"axG",@progbits,_ZN7rocprim17ROCPRIM_400000_NS6detail17trampoline_kernelINS0_14default_configENS1_38merge_sort_block_merge_config_selectorIyyEEZZNS1_27merge_sort_block_merge_implIS3_N6thrust23THRUST_200600_302600_NS6detail15normal_iteratorINS8_10device_ptrIyEEEESD_jNS1_19radix_merge_compareILb0ELb0EyNS0_19identity_decomposerEEEEE10hipError_tT0_T1_T2_jT3_P12ihipStream_tbPNSt15iterator_traitsISI_E10value_typeEPNSO_ISJ_E10value_typeEPSK_NS1_7vsmem_tEENKUlT_SI_SJ_SK_E_clISD_PySD_S10_EESH_SX_SI_SJ_SK_EUlSX_E0_NS1_11comp_targetILNS1_3genE0ELNS1_11target_archE4294967295ELNS1_3gpuE0ELNS1_3repE0EEENS1_38merge_mergepath_config_static_selectorELNS0_4arch9wavefront6targetE1EEEvSJ_,comdat
	.protected	_ZN7rocprim17ROCPRIM_400000_NS6detail17trampoline_kernelINS0_14default_configENS1_38merge_sort_block_merge_config_selectorIyyEEZZNS1_27merge_sort_block_merge_implIS3_N6thrust23THRUST_200600_302600_NS6detail15normal_iteratorINS8_10device_ptrIyEEEESD_jNS1_19radix_merge_compareILb0ELb0EyNS0_19identity_decomposerEEEEE10hipError_tT0_T1_T2_jT3_P12ihipStream_tbPNSt15iterator_traitsISI_E10value_typeEPNSO_ISJ_E10value_typeEPSK_NS1_7vsmem_tEENKUlT_SI_SJ_SK_E_clISD_PySD_S10_EESH_SX_SI_SJ_SK_EUlSX_E0_NS1_11comp_targetILNS1_3genE0ELNS1_11target_archE4294967295ELNS1_3gpuE0ELNS1_3repE0EEENS1_38merge_mergepath_config_static_selectorELNS0_4arch9wavefront6targetE1EEEvSJ_ ; -- Begin function _ZN7rocprim17ROCPRIM_400000_NS6detail17trampoline_kernelINS0_14default_configENS1_38merge_sort_block_merge_config_selectorIyyEEZZNS1_27merge_sort_block_merge_implIS3_N6thrust23THRUST_200600_302600_NS6detail15normal_iteratorINS8_10device_ptrIyEEEESD_jNS1_19radix_merge_compareILb0ELb0EyNS0_19identity_decomposerEEEEE10hipError_tT0_T1_T2_jT3_P12ihipStream_tbPNSt15iterator_traitsISI_E10value_typeEPNSO_ISJ_E10value_typeEPSK_NS1_7vsmem_tEENKUlT_SI_SJ_SK_E_clISD_PySD_S10_EESH_SX_SI_SJ_SK_EUlSX_E0_NS1_11comp_targetILNS1_3genE0ELNS1_11target_archE4294967295ELNS1_3gpuE0ELNS1_3repE0EEENS1_38merge_mergepath_config_static_selectorELNS0_4arch9wavefront6targetE1EEEvSJ_
	.globl	_ZN7rocprim17ROCPRIM_400000_NS6detail17trampoline_kernelINS0_14default_configENS1_38merge_sort_block_merge_config_selectorIyyEEZZNS1_27merge_sort_block_merge_implIS3_N6thrust23THRUST_200600_302600_NS6detail15normal_iteratorINS8_10device_ptrIyEEEESD_jNS1_19radix_merge_compareILb0ELb0EyNS0_19identity_decomposerEEEEE10hipError_tT0_T1_T2_jT3_P12ihipStream_tbPNSt15iterator_traitsISI_E10value_typeEPNSO_ISJ_E10value_typeEPSK_NS1_7vsmem_tEENKUlT_SI_SJ_SK_E_clISD_PySD_S10_EESH_SX_SI_SJ_SK_EUlSX_E0_NS1_11comp_targetILNS1_3genE0ELNS1_11target_archE4294967295ELNS1_3gpuE0ELNS1_3repE0EEENS1_38merge_mergepath_config_static_selectorELNS0_4arch9wavefront6targetE1EEEvSJ_
	.p2align	8
	.type	_ZN7rocprim17ROCPRIM_400000_NS6detail17trampoline_kernelINS0_14default_configENS1_38merge_sort_block_merge_config_selectorIyyEEZZNS1_27merge_sort_block_merge_implIS3_N6thrust23THRUST_200600_302600_NS6detail15normal_iteratorINS8_10device_ptrIyEEEESD_jNS1_19radix_merge_compareILb0ELb0EyNS0_19identity_decomposerEEEEE10hipError_tT0_T1_T2_jT3_P12ihipStream_tbPNSt15iterator_traitsISI_E10value_typeEPNSO_ISJ_E10value_typeEPSK_NS1_7vsmem_tEENKUlT_SI_SJ_SK_E_clISD_PySD_S10_EESH_SX_SI_SJ_SK_EUlSX_E0_NS1_11comp_targetILNS1_3genE0ELNS1_11target_archE4294967295ELNS1_3gpuE0ELNS1_3repE0EEENS1_38merge_mergepath_config_static_selectorELNS0_4arch9wavefront6targetE1EEEvSJ_,@function
_ZN7rocprim17ROCPRIM_400000_NS6detail17trampoline_kernelINS0_14default_configENS1_38merge_sort_block_merge_config_selectorIyyEEZZNS1_27merge_sort_block_merge_implIS3_N6thrust23THRUST_200600_302600_NS6detail15normal_iteratorINS8_10device_ptrIyEEEESD_jNS1_19radix_merge_compareILb0ELb0EyNS0_19identity_decomposerEEEEE10hipError_tT0_T1_T2_jT3_P12ihipStream_tbPNSt15iterator_traitsISI_E10value_typeEPNSO_ISJ_E10value_typeEPSK_NS1_7vsmem_tEENKUlT_SI_SJ_SK_E_clISD_PySD_S10_EESH_SX_SI_SJ_SK_EUlSX_E0_NS1_11comp_targetILNS1_3genE0ELNS1_11target_archE4294967295ELNS1_3gpuE0ELNS1_3repE0EEENS1_38merge_mergepath_config_static_selectorELNS0_4arch9wavefront6targetE1EEEvSJ_: ; @_ZN7rocprim17ROCPRIM_400000_NS6detail17trampoline_kernelINS0_14default_configENS1_38merge_sort_block_merge_config_selectorIyyEEZZNS1_27merge_sort_block_merge_implIS3_N6thrust23THRUST_200600_302600_NS6detail15normal_iteratorINS8_10device_ptrIyEEEESD_jNS1_19radix_merge_compareILb0ELb0EyNS0_19identity_decomposerEEEEE10hipError_tT0_T1_T2_jT3_P12ihipStream_tbPNSt15iterator_traitsISI_E10value_typeEPNSO_ISJ_E10value_typeEPSK_NS1_7vsmem_tEENKUlT_SI_SJ_SK_E_clISD_PySD_S10_EESH_SX_SI_SJ_SK_EUlSX_E0_NS1_11comp_targetILNS1_3genE0ELNS1_11target_archE4294967295ELNS1_3gpuE0ELNS1_3repE0EEENS1_38merge_mergepath_config_static_selectorELNS0_4arch9wavefront6targetE1EEEvSJ_
; %bb.0:
	s_load_dwordx2 s[28:29], s[0:1], 0x40
	s_load_dword s5, s[0:1], 0x30
	s_add_u32 s24, s0, 64
	s_addc_u32 s25, s1, 0
	s_waitcnt lgkmcnt(0)
	s_mul_i32 s4, s29, s4
	s_add_i32 s3, s4, s3
	s_mul_i32 s3, s3, s28
	s_add_i32 s26, s3, s2
	s_cmp_ge_u32 s26, s5
	s_cbranch_scc1 .LBB428_39
; %bb.1:
	s_load_dwordx8 s[4:11], s[0:1], 0x10
	s_load_dwordx2 s[20:21], s[0:1], 0x8
	s_load_dwordx2 s[12:13], s[0:1], 0x38
	s_mov_b32 s27, 0
	s_mov_b32 s23, s27
	s_waitcnt lgkmcnt(0)
	s_lshr_b32 s29, s10, 10
	s_cmp_lg_u32 s26, s29
	s_cselect_b64 s[14:15], -1, 0
	s_lshl_b64 s[0:1], s[26:27], 2
	s_add_u32 s0, s12, s0
	s_addc_u32 s1, s13, s1
	s_load_dwordx2 s[16:17], s[0:1], 0x0
	s_lshr_b32 s0, s11, 9
	s_and_b32 s0, s0, 0x7ffffe
	s_sub_i32 s0, 0, s0
	s_and_b32 s1, s26, s0
	s_lshl_b32 s3, s1, 10
	s_lshl_b32 s12, s26, 10
	s_lshl_b32 s1, s1, 11
	s_sub_i32 s13, s12, s3
	s_add_i32 s1, s1, s11
	s_add_i32 s13, s1, s13
	s_waitcnt lgkmcnt(0)
	s_sub_i32 s18, s13, s16
	s_sub_i32 s13, s13, s17
	;; [unrolled: 1-line block ×3, first 2 shown]
	s_min_u32 s22, s10, s18
	s_addk_i32 s13, 0x400
	s_or_b32 s0, s26, s0
	s_min_u32 s3, s10, s1
	s_add_i32 s1, s1, s11
	s_cmp_eq_u32 s0, -1
	s_cselect_b32 s0, s1, s13
	s_cselect_b32 s1, s3, s17
	s_mov_b32 s17, s27
	s_min_u32 s13, s0, s10
	s_sub_i32 s11, s1, s16
	s_lshl_b64 s[0:1], s[16:17], 3
	s_add_u32 s18, s20, s0
	s_addc_u32 s19, s21, s1
	s_lshl_b64 s[16:17], s[22:23], 3
	s_add_u32 s20, s20, s16
	s_addc_u32 s21, s21, s17
	s_cmp_lt_u32 s2, s28
	v_mov_b32_e32 v5, 0
	s_cselect_b32 s2, 12, 18
	global_load_dword v1, v5, s[24:25] offset:14
	s_add_u32 s2, s24, s2
	s_addc_u32 s3, s25, 0
	global_load_ushort v2, v5, s[2:3]
	s_cmp_eq_u32 s26, s29
	s_waitcnt vmcnt(1)
	v_lshrrev_b32_e32 v3, 16, v1
	v_and_b32_e32 v1, 0xffff, v1
	v_mul_lo_u32 v1, v1, v3
	s_waitcnt vmcnt(0)
	v_mul_lo_u32 v10, v1, v2
	v_lshlrev_b32_e32 v2, 3, v0
	v_add_u32_e32 v1, v10, v0
	s_cbranch_scc1 .LBB428_3
; %bb.2:
	v_mov_b32_e32 v3, v5
	v_subrev_co_u32_e32 v4, vcc, s11, v0
	v_lshl_add_u64 v[6:7], s[18:19], 0, v[2:3]
	v_lshl_add_u64 v[4:5], v[4:5], 3, s[20:21]
	v_cndmask_b32_e32 v5, v5, v7, vcc
	v_cndmask_b32_e32 v4, v4, v6, vcc
	global_load_dwordx2 v[4:5], v[4:5], off
	v_add_u32_e32 v8, v10, v0
	s_mov_b64 s[2:3], -1
	s_sub_i32 s13, s13, s22
	s_cbranch_execz .LBB428_4
	s_branch .LBB428_7
.LBB428_3:
	s_mov_b64 s[2:3], 0
                                        ; implicit-def: $vgpr8
                                        ; implicit-def: $vgpr4_vgpr5
	s_sub_i32 s13, s13, s22
.LBB428_4:
	s_add_i32 s22, s13, s11
	v_cmp_gt_u32_e32 vcc, s22, v0
	s_waitcnt vmcnt(0)
	v_mov_b64_e32 v[4:5], 0
	s_and_saveexec_b64 s[2:3], vcc
	s_cbranch_execz .LBB428_6
; %bb.5:
	v_mov_b32_e32 v3, 0
	v_subrev_co_u32_e32 v6, vcc, s11, v0
	v_mov_b32_e32 v7, v3
	v_lshl_add_u64 v[4:5], s[18:19], 0, v[2:3]
	v_lshl_add_u64 v[6:7], v[6:7], 3, s[20:21]
	v_cndmask_b32_e32 v5, v7, v5, vcc
	v_cndmask_b32_e32 v4, v6, v4, vcc
	global_load_dwordx2 v[4:5], v[4:5], off
.LBB428_6:
	s_or_b64 exec, exec, s[2:3]
	v_add_u32_e32 v8, v10, v0
	v_cmp_gt_u32_e64 s[2:3], s22, v8
.LBB428_7:
	v_mov_b64_e32 v[6:7], 0
	s_and_saveexec_b64 s[22:23], s[2:3]
	s_cbranch_execz .LBB428_9
; %bb.8:
	v_mov_b32_e32 v7, 0
	v_mov_b32_e32 v9, v7
	v_subrev_co_u32_e32 v6, vcc, s11, v8
	v_lshl_add_u64 v[12:13], v[8:9], 3, s[18:19]
	v_lshl_add_u64 v[6:7], v[6:7], 3, s[20:21]
	v_cndmask_b32_e32 v7, v7, v13, vcc
	v_cndmask_b32_e32 v6, v6, v12, vcc
	global_load_dwordx2 v[6:7], v[6:7], off
.LBB428_9:
	s_or_b64 exec, exec, s[22:23]
	s_add_u32 s0, s6, s0
	s_addc_u32 s1, s7, s1
	s_add_u32 s2, s6, s16
	v_mov_b32_e32 v9, 0
	s_addc_u32 s3, s7, s17
	s_andn2_b64 vcc, exec, s[14:15]
	s_waitcnt vmcnt(0)
	ds_write2st64_b64 v2, v[4:5], v[6:7] offset1:8
	s_cbranch_vccnz .LBB428_11
; %bb.10:
	v_mov_b32_e32 v3, v9
	v_subrev_co_u32_e32 v8, vcc, s11, v0
	v_lshl_add_u64 v[12:13], s[0:1], 0, v[2:3]
	v_lshl_add_u64 v[8:9], v[8:9], 3, s[2:3]
	v_cndmask_b32_e32 v9, v9, v13, vcc
	v_cndmask_b32_e32 v8, v8, v12, vcc
	global_load_dwordx2 v[8:9], v[8:9], off
	s_add_i32 s18, s13, s11
	v_add_u32_e32 v12, v10, v0
	s_mov_b64 s[6:7], -1
	v_mov_b32_e32 v3, s18
	s_cbranch_execz .LBB428_12
	s_branch .LBB428_15
.LBB428_11:
	s_mov_b64 s[6:7], 0
                                        ; implicit-def: $vgpr12
                                        ; implicit-def: $vgpr8_vgpr9
                                        ; implicit-def: $vgpr3
.LBB428_12:
	s_add_i32 s16, s13, s11
	v_cmp_gt_u32_e32 vcc, s16, v0
	s_waitcnt vmcnt(0)
	v_mov_b64_e32 v[8:9], 0
	s_and_saveexec_b64 s[6:7], vcc
	s_cbranch_execz .LBB428_14
; %bb.13:
	v_mov_b32_e32 v3, 0
	v_subrev_co_u32_e32 v10, vcc, s11, v0
	v_mov_b32_e32 v11, v3
	v_lshl_add_u64 v[8:9], s[0:1], 0, v[2:3]
	v_lshl_add_u64 v[10:11], v[10:11], 3, s[2:3]
	v_cndmask_b32_e32 v9, v11, v9, vcc
	v_cndmask_b32_e32 v8, v10, v8, vcc
	global_load_dwordx2 v[8:9], v[8:9], off
.LBB428_14:
	s_or_b64 exec, exec, s[6:7]
	v_cmp_gt_u32_e64 s[6:7], s16, v1
	v_mov_b32_e32 v3, s16
	v_mov_b32_e32 v12, v1
.LBB428_15:
	v_mov_b64_e32 v[10:11], 0
	s_and_saveexec_b64 s[16:17], s[6:7]
	s_cbranch_execz .LBB428_17
; %bb.16:
	v_mov_b32_e32 v11, 0
	v_mov_b32_e32 v13, v11
	v_subrev_co_u32_e32 v10, vcc, s11, v12
	v_lshl_add_u64 v[14:15], v[12:13], 3, s[0:1]
	v_lshl_add_u64 v[10:11], v[10:11], 3, s[2:3]
	v_cndmask_b32_e32 v11, v11, v15, vcc
	v_cndmask_b32_e32 v10, v10, v14, vcc
	global_load_dwordx2 v[10:11], v[10:11], off
.LBB428_17:
	s_or_b64 exec, exec, s[16:17]
	v_lshlrev_b32_e32 v1, 1, v0
	v_min_u32_e32 v12, v3, v1
	v_sub_u32_e64 v14, v12, s13 clamp
	v_min_u32_e32 v13, s11, v12
	v_cmp_lt_u32_e32 vcc, v14, v13
	s_waitcnt lgkmcnt(0)
	s_barrier
	s_and_saveexec_b64 s[0:1], vcc
	s_cbranch_execz .LBB428_21
; %bb.18:
	v_lshlrev_b32_e32 v15, 3, v12
	v_lshl_add_u32 v15, s11, 3, v15
	s_mov_b64 s[2:3], 0
.LBB428_19:                             ; =>This Inner Loop Header: Depth=1
	v_add_u32_e32 v16, v13, v14
	v_lshrrev_b32_e32 v20, 1, v16
	v_not_b32_e32 v16, v20
	v_lshlrev_b32_e32 v17, 3, v20
	v_lshl_add_u32 v18, v16, 3, v15
	ds_read_b64 v[16:17], v17
	ds_read_b64 v[18:19], v18
	v_add_u32_e32 v21, 1, v20
	s_waitcnt lgkmcnt(0)
	v_cmp_gt_u64_e32 vcc, v[16:17], v[18:19]
	s_nop 1
	v_cndmask_b32_e32 v13, v13, v20, vcc
	v_cndmask_b32_e32 v14, v21, v14, vcc
	v_cmp_ge_u32_e32 vcc, v14, v13
	s_or_b64 s[2:3], vcc, s[2:3]
	s_andn2_b64 exec, exec, s[2:3]
	s_cbranch_execnz .LBB428_19
; %bb.20:
	s_or_b64 exec, exec, s[2:3]
.LBB428_21:
	s_or_b64 exec, exec, s[0:1]
	v_sub_u32_e32 v12, v12, v14
	v_add_u32_e32 v15, s11, v12
	v_cmp_ge_u32_e32 vcc, s11, v14
	v_cmp_le_u32_e64 s[0:1], v15, v3
	s_or_b64 s[0:1], vcc, s[0:1]
	v_mov_b32_e32 v12, 0
	v_mov_b32_e32 v16, 0
	s_and_saveexec_b64 s[6:7], s[0:1]
	s_cbranch_execz .LBB428_27
; %bb.22:
	v_cmp_gt_u32_e32 vcc, s11, v14
                                        ; implicit-def: $vgpr6_vgpr7
	s_and_saveexec_b64 s[0:1], vcc
; %bb.23:
	v_lshlrev_b32_e32 v4, 3, v14
	ds_read_b64 v[6:7], v4
; %bb.24:
	s_or_b64 exec, exec, s[0:1]
	v_cmp_ge_u32_e64 s[0:1], v15, v3
	v_cmp_lt_u32_e64 s[2:3], v15, v3
                                        ; implicit-def: $vgpr12_vgpr13
	s_and_saveexec_b64 s[16:17], s[2:3]
; %bb.25:
	v_lshlrev_b32_e32 v4, 3, v15
	ds_read_b64 v[12:13], v4
; %bb.26:
	s_or_b64 exec, exec, s[16:17]
	s_waitcnt lgkmcnt(0)
	v_cmp_le_u64_e64 s[2:3], v[6:7], v[12:13]
	s_and_b64 s[2:3], vcc, s[2:3]
	s_or_b64 vcc, s[0:1], s[2:3]
	v_mov_b32_e32 v4, s11
	v_cndmask_b32_e32 v16, v15, v14, vcc
	v_cndmask_b32_e32 v4, v3, v4, vcc
	v_add_u32_e32 v17, 1, v16
	v_add_u32_e32 v4, -1, v4
	v_min_u32_e32 v4, v17, v4
	v_lshlrev_b32_e32 v4, 3, v4
	ds_read_b64 v[18:19], v4
	v_cndmask_b32_e32 v5, v13, v7, vcc
	v_cndmask_b32_e32 v4, v12, v6, vcc
	s_waitcnt lgkmcnt(0)
	v_cndmask_b32_e32 v21, v19, v13, vcc
	v_cndmask_b32_e32 v20, v18, v12, vcc
	;; [unrolled: 1-line block ×6, first 2 shown]
	v_cmp_gt_u32_e64 s[0:1], s11, v13
	v_cmp_le_u64_e64 s[2:3], v[6:7], v[20:21]
	v_cmp_ge_u32_e32 vcc, v12, v3
	s_and_b64 s[0:1], s[0:1], s[2:3]
	s_or_b64 vcc, vcc, s[0:1]
	v_cndmask_b32_e32 v12, v12, v13, vcc
	v_cndmask_b32_e32 v7, v21, v7, vcc
	;; [unrolled: 1-line block ×3, first 2 shown]
.LBB428_27:
	s_or_b64 exec, exec, s[6:7]
	s_barrier
	s_waitcnt vmcnt(0)
	ds_write2st64_b64 v2, v[8:9], v[10:11] offset1:8
	v_lshlrev_b32_e32 v3, 3, v16
	v_lshlrev_b32_e32 v10, 3, v12
	s_waitcnt lgkmcnt(0)
	s_barrier
	ds_read_b64 v[8:9], v3
	ds_read_b64 v[10:11], v10
	v_lshrrev_b32_e32 v3, 1, v0
	s_mov_b32 s13, 0
	v_and_b32_e32 v3, 0xf8, v3
	v_or_b32_e32 v14, 0x200, v0
	s_lshl_b64 s[2:3], s[12:13], 3
	v_lshl_add_u32 v12, v1, 3, v3
	v_lshrrev_b32_e32 v3, 2, v14
	s_add_u32 s0, s4, s2
	v_lshrrev_b32_e32 v1, 2, v0
	v_and_b32_e32 v3, 0xf8, v3
	s_addc_u32 s1, s5, s3
	v_and_b32_e32 v1, 0x78, v1
	v_add_u32_e32 v13, v3, v2
	v_mov_b32_e32 v3, 0
	s_waitcnt lgkmcnt(0)
	s_barrier
	s_barrier
	ds_write2_b64 v12, v[4:5], v[6:7] offset1:1
	v_add_u32_e32 v1, v1, v2
	v_lshl_add_u64 v[4:5], s[0:1], 0, v[2:3]
	s_and_b64 vcc, exec, s[14:15]
	s_waitcnt lgkmcnt(0)
	s_cbranch_vccz .LBB428_29
; %bb.28:
	s_barrier
	ds_read_b64 v[6:7], v1
	ds_read_b64 v[16:17], v13 offset:4096
	s_add_u32 s0, s8, s2
	s_addc_u32 s1, s9, s3
	s_mov_b64 s[4:5], -1
	s_waitcnt lgkmcnt(1)
	global_store_dwordx2 v[4:5], v[6:7], off
	v_add_co_u32_e32 v6, vcc, 0x1000, v4
	s_nop 1
	v_addc_co_u32_e32 v7, vcc, 0, v5, vcc
	s_waitcnt lgkmcnt(0)
	global_store_dwordx2 v[6:7], v[16:17], off
	s_barrier
	ds_write2_b64 v12, v[8:9], v[10:11] offset1:1
	s_waitcnt lgkmcnt(0)
	s_barrier
	ds_read_b64 v[16:17], v1
	ds_read_b64 v[6:7], v13 offset:4096
	s_waitcnt lgkmcnt(1)
	global_store_dwordx2 v2, v[16:17], s[0:1]
	s_cbranch_execz .LBB428_30
	s_branch .LBB428_37
.LBB428_29:
	s_mov_b64 s[4:5], 0
                                        ; implicit-def: $vgpr6_vgpr7
.LBB428_30:
	s_barrier
	s_waitcnt lgkmcnt(0)
	ds_read_b64 v[6:7], v13 offset:4096
	s_sub_i32 s6, s10, s12
	v_cmp_gt_u32_e64 s[0:1], s6, v0
	s_and_saveexec_b64 s[4:5], s[0:1]
	s_cbranch_execz .LBB428_32
; %bb.31:
	ds_read_b64 v[16:17], v1
	s_waitcnt lgkmcnt(0)
	global_store_dwordx2 v[4:5], v[16:17], off
.LBB428_32:
	s_or_b64 exec, exec, s[4:5]
	v_cmp_gt_u32_e64 s[4:5], s6, v14
	s_and_saveexec_b64 s[6:7], s[4:5]
	s_cbranch_execz .LBB428_34
; %bb.33:
	v_add_co_u32_e32 v4, vcc, 0x1000, v4
	s_nop 1
	v_addc_co_u32_e32 v5, vcc, 0, v5, vcc
	s_waitcnt lgkmcnt(0)
	global_store_dwordx2 v[4:5], v[6:7], off
.LBB428_34:
	s_or_b64 exec, exec, s[6:7]
	s_waitcnt lgkmcnt(0)
	s_barrier
	ds_write2_b64 v12, v[8:9], v[10:11] offset1:1
	s_waitcnt lgkmcnt(0)
	s_barrier
	ds_read_b64 v[6:7], v13 offset:4096
	s_and_saveexec_b64 s[6:7], s[0:1]
	s_cbranch_execz .LBB428_36
; %bb.35:
	ds_read_b64 v[0:1], v1
	s_add_u32 s0, s8, s2
	s_addc_u32 s1, s9, s3
	s_waitcnt lgkmcnt(0)
	global_store_dwordx2 v2, v[0:1], s[0:1]
.LBB428_36:
	s_or_b64 exec, exec, s[6:7]
.LBB428_37:
	s_and_saveexec_b64 s[0:1], s[4:5]
	s_cbranch_execz .LBB428_39
; %bb.38:
	s_add_u32 s0, s8, s2
	s_addc_u32 s1, s9, s3
	v_mov_b32_e32 v3, 0
	v_lshl_add_u64 v[0:1], s[0:1], 0, v[2:3]
	v_add_co_u32_e32 v0, vcc, 0x1000, v0
	s_nop 1
	v_addc_co_u32_e32 v1, vcc, 0, v1, vcc
	s_waitcnt lgkmcnt(0)
	global_store_dwordx2 v[0:1], v[6:7], off
.LBB428_39:
	s_endpgm
	.section	.rodata,"a",@progbits
	.p2align	6, 0x0
	.amdhsa_kernel _ZN7rocprim17ROCPRIM_400000_NS6detail17trampoline_kernelINS0_14default_configENS1_38merge_sort_block_merge_config_selectorIyyEEZZNS1_27merge_sort_block_merge_implIS3_N6thrust23THRUST_200600_302600_NS6detail15normal_iteratorINS8_10device_ptrIyEEEESD_jNS1_19radix_merge_compareILb0ELb0EyNS0_19identity_decomposerEEEEE10hipError_tT0_T1_T2_jT3_P12ihipStream_tbPNSt15iterator_traitsISI_E10value_typeEPNSO_ISJ_E10value_typeEPSK_NS1_7vsmem_tEENKUlT_SI_SJ_SK_E_clISD_PySD_S10_EESH_SX_SI_SJ_SK_EUlSX_E0_NS1_11comp_targetILNS1_3genE0ELNS1_11target_archE4294967295ELNS1_3gpuE0ELNS1_3repE0EEENS1_38merge_mergepath_config_static_selectorELNS0_4arch9wavefront6targetE1EEEvSJ_
		.amdhsa_group_segment_fixed_size 8448
		.amdhsa_private_segment_fixed_size 0
		.amdhsa_kernarg_size 320
		.amdhsa_user_sgpr_count 2
		.amdhsa_user_sgpr_dispatch_ptr 0
		.amdhsa_user_sgpr_queue_ptr 0
		.amdhsa_user_sgpr_kernarg_segment_ptr 1
		.amdhsa_user_sgpr_dispatch_id 0
		.amdhsa_user_sgpr_kernarg_preload_length 0
		.amdhsa_user_sgpr_kernarg_preload_offset 0
		.amdhsa_user_sgpr_private_segment_size 0
		.amdhsa_uses_dynamic_stack 0
		.amdhsa_enable_private_segment 0
		.amdhsa_system_sgpr_workgroup_id_x 1
		.amdhsa_system_sgpr_workgroup_id_y 1
		.amdhsa_system_sgpr_workgroup_id_z 1
		.amdhsa_system_sgpr_workgroup_info 0
		.amdhsa_system_vgpr_workitem_id 0
		.amdhsa_next_free_vgpr 22
		.amdhsa_next_free_sgpr 30
		.amdhsa_accum_offset 24
		.amdhsa_reserve_vcc 1
		.amdhsa_float_round_mode_32 0
		.amdhsa_float_round_mode_16_64 0
		.amdhsa_float_denorm_mode_32 3
		.amdhsa_float_denorm_mode_16_64 3
		.amdhsa_dx10_clamp 1
		.amdhsa_ieee_mode 1
		.amdhsa_fp16_overflow 0
		.amdhsa_tg_split 0
		.amdhsa_exception_fp_ieee_invalid_op 0
		.amdhsa_exception_fp_denorm_src 0
		.amdhsa_exception_fp_ieee_div_zero 0
		.amdhsa_exception_fp_ieee_overflow 0
		.amdhsa_exception_fp_ieee_underflow 0
		.amdhsa_exception_fp_ieee_inexact 0
		.amdhsa_exception_int_div_zero 0
	.end_amdhsa_kernel
	.section	.text._ZN7rocprim17ROCPRIM_400000_NS6detail17trampoline_kernelINS0_14default_configENS1_38merge_sort_block_merge_config_selectorIyyEEZZNS1_27merge_sort_block_merge_implIS3_N6thrust23THRUST_200600_302600_NS6detail15normal_iteratorINS8_10device_ptrIyEEEESD_jNS1_19radix_merge_compareILb0ELb0EyNS0_19identity_decomposerEEEEE10hipError_tT0_T1_T2_jT3_P12ihipStream_tbPNSt15iterator_traitsISI_E10value_typeEPNSO_ISJ_E10value_typeEPSK_NS1_7vsmem_tEENKUlT_SI_SJ_SK_E_clISD_PySD_S10_EESH_SX_SI_SJ_SK_EUlSX_E0_NS1_11comp_targetILNS1_3genE0ELNS1_11target_archE4294967295ELNS1_3gpuE0ELNS1_3repE0EEENS1_38merge_mergepath_config_static_selectorELNS0_4arch9wavefront6targetE1EEEvSJ_,"axG",@progbits,_ZN7rocprim17ROCPRIM_400000_NS6detail17trampoline_kernelINS0_14default_configENS1_38merge_sort_block_merge_config_selectorIyyEEZZNS1_27merge_sort_block_merge_implIS3_N6thrust23THRUST_200600_302600_NS6detail15normal_iteratorINS8_10device_ptrIyEEEESD_jNS1_19radix_merge_compareILb0ELb0EyNS0_19identity_decomposerEEEEE10hipError_tT0_T1_T2_jT3_P12ihipStream_tbPNSt15iterator_traitsISI_E10value_typeEPNSO_ISJ_E10value_typeEPSK_NS1_7vsmem_tEENKUlT_SI_SJ_SK_E_clISD_PySD_S10_EESH_SX_SI_SJ_SK_EUlSX_E0_NS1_11comp_targetILNS1_3genE0ELNS1_11target_archE4294967295ELNS1_3gpuE0ELNS1_3repE0EEENS1_38merge_mergepath_config_static_selectorELNS0_4arch9wavefront6targetE1EEEvSJ_,comdat
.Lfunc_end428:
	.size	_ZN7rocprim17ROCPRIM_400000_NS6detail17trampoline_kernelINS0_14default_configENS1_38merge_sort_block_merge_config_selectorIyyEEZZNS1_27merge_sort_block_merge_implIS3_N6thrust23THRUST_200600_302600_NS6detail15normal_iteratorINS8_10device_ptrIyEEEESD_jNS1_19radix_merge_compareILb0ELb0EyNS0_19identity_decomposerEEEEE10hipError_tT0_T1_T2_jT3_P12ihipStream_tbPNSt15iterator_traitsISI_E10value_typeEPNSO_ISJ_E10value_typeEPSK_NS1_7vsmem_tEENKUlT_SI_SJ_SK_E_clISD_PySD_S10_EESH_SX_SI_SJ_SK_EUlSX_E0_NS1_11comp_targetILNS1_3genE0ELNS1_11target_archE4294967295ELNS1_3gpuE0ELNS1_3repE0EEENS1_38merge_mergepath_config_static_selectorELNS0_4arch9wavefront6targetE1EEEvSJ_, .Lfunc_end428-_ZN7rocprim17ROCPRIM_400000_NS6detail17trampoline_kernelINS0_14default_configENS1_38merge_sort_block_merge_config_selectorIyyEEZZNS1_27merge_sort_block_merge_implIS3_N6thrust23THRUST_200600_302600_NS6detail15normal_iteratorINS8_10device_ptrIyEEEESD_jNS1_19radix_merge_compareILb0ELb0EyNS0_19identity_decomposerEEEEE10hipError_tT0_T1_T2_jT3_P12ihipStream_tbPNSt15iterator_traitsISI_E10value_typeEPNSO_ISJ_E10value_typeEPSK_NS1_7vsmem_tEENKUlT_SI_SJ_SK_E_clISD_PySD_S10_EESH_SX_SI_SJ_SK_EUlSX_E0_NS1_11comp_targetILNS1_3genE0ELNS1_11target_archE4294967295ELNS1_3gpuE0ELNS1_3repE0EEENS1_38merge_mergepath_config_static_selectorELNS0_4arch9wavefront6targetE1EEEvSJ_
                                        ; -- End function
	.set _ZN7rocprim17ROCPRIM_400000_NS6detail17trampoline_kernelINS0_14default_configENS1_38merge_sort_block_merge_config_selectorIyyEEZZNS1_27merge_sort_block_merge_implIS3_N6thrust23THRUST_200600_302600_NS6detail15normal_iteratorINS8_10device_ptrIyEEEESD_jNS1_19radix_merge_compareILb0ELb0EyNS0_19identity_decomposerEEEEE10hipError_tT0_T1_T2_jT3_P12ihipStream_tbPNSt15iterator_traitsISI_E10value_typeEPNSO_ISJ_E10value_typeEPSK_NS1_7vsmem_tEENKUlT_SI_SJ_SK_E_clISD_PySD_S10_EESH_SX_SI_SJ_SK_EUlSX_E0_NS1_11comp_targetILNS1_3genE0ELNS1_11target_archE4294967295ELNS1_3gpuE0ELNS1_3repE0EEENS1_38merge_mergepath_config_static_selectorELNS0_4arch9wavefront6targetE1EEEvSJ_.num_vgpr, 22
	.set _ZN7rocprim17ROCPRIM_400000_NS6detail17trampoline_kernelINS0_14default_configENS1_38merge_sort_block_merge_config_selectorIyyEEZZNS1_27merge_sort_block_merge_implIS3_N6thrust23THRUST_200600_302600_NS6detail15normal_iteratorINS8_10device_ptrIyEEEESD_jNS1_19radix_merge_compareILb0ELb0EyNS0_19identity_decomposerEEEEE10hipError_tT0_T1_T2_jT3_P12ihipStream_tbPNSt15iterator_traitsISI_E10value_typeEPNSO_ISJ_E10value_typeEPSK_NS1_7vsmem_tEENKUlT_SI_SJ_SK_E_clISD_PySD_S10_EESH_SX_SI_SJ_SK_EUlSX_E0_NS1_11comp_targetILNS1_3genE0ELNS1_11target_archE4294967295ELNS1_3gpuE0ELNS1_3repE0EEENS1_38merge_mergepath_config_static_selectorELNS0_4arch9wavefront6targetE1EEEvSJ_.num_agpr, 0
	.set _ZN7rocprim17ROCPRIM_400000_NS6detail17trampoline_kernelINS0_14default_configENS1_38merge_sort_block_merge_config_selectorIyyEEZZNS1_27merge_sort_block_merge_implIS3_N6thrust23THRUST_200600_302600_NS6detail15normal_iteratorINS8_10device_ptrIyEEEESD_jNS1_19radix_merge_compareILb0ELb0EyNS0_19identity_decomposerEEEEE10hipError_tT0_T1_T2_jT3_P12ihipStream_tbPNSt15iterator_traitsISI_E10value_typeEPNSO_ISJ_E10value_typeEPSK_NS1_7vsmem_tEENKUlT_SI_SJ_SK_E_clISD_PySD_S10_EESH_SX_SI_SJ_SK_EUlSX_E0_NS1_11comp_targetILNS1_3genE0ELNS1_11target_archE4294967295ELNS1_3gpuE0ELNS1_3repE0EEENS1_38merge_mergepath_config_static_selectorELNS0_4arch9wavefront6targetE1EEEvSJ_.numbered_sgpr, 30
	.set _ZN7rocprim17ROCPRIM_400000_NS6detail17trampoline_kernelINS0_14default_configENS1_38merge_sort_block_merge_config_selectorIyyEEZZNS1_27merge_sort_block_merge_implIS3_N6thrust23THRUST_200600_302600_NS6detail15normal_iteratorINS8_10device_ptrIyEEEESD_jNS1_19radix_merge_compareILb0ELb0EyNS0_19identity_decomposerEEEEE10hipError_tT0_T1_T2_jT3_P12ihipStream_tbPNSt15iterator_traitsISI_E10value_typeEPNSO_ISJ_E10value_typeEPSK_NS1_7vsmem_tEENKUlT_SI_SJ_SK_E_clISD_PySD_S10_EESH_SX_SI_SJ_SK_EUlSX_E0_NS1_11comp_targetILNS1_3genE0ELNS1_11target_archE4294967295ELNS1_3gpuE0ELNS1_3repE0EEENS1_38merge_mergepath_config_static_selectorELNS0_4arch9wavefront6targetE1EEEvSJ_.num_named_barrier, 0
	.set _ZN7rocprim17ROCPRIM_400000_NS6detail17trampoline_kernelINS0_14default_configENS1_38merge_sort_block_merge_config_selectorIyyEEZZNS1_27merge_sort_block_merge_implIS3_N6thrust23THRUST_200600_302600_NS6detail15normal_iteratorINS8_10device_ptrIyEEEESD_jNS1_19radix_merge_compareILb0ELb0EyNS0_19identity_decomposerEEEEE10hipError_tT0_T1_T2_jT3_P12ihipStream_tbPNSt15iterator_traitsISI_E10value_typeEPNSO_ISJ_E10value_typeEPSK_NS1_7vsmem_tEENKUlT_SI_SJ_SK_E_clISD_PySD_S10_EESH_SX_SI_SJ_SK_EUlSX_E0_NS1_11comp_targetILNS1_3genE0ELNS1_11target_archE4294967295ELNS1_3gpuE0ELNS1_3repE0EEENS1_38merge_mergepath_config_static_selectorELNS0_4arch9wavefront6targetE1EEEvSJ_.private_seg_size, 0
	.set _ZN7rocprim17ROCPRIM_400000_NS6detail17trampoline_kernelINS0_14default_configENS1_38merge_sort_block_merge_config_selectorIyyEEZZNS1_27merge_sort_block_merge_implIS3_N6thrust23THRUST_200600_302600_NS6detail15normal_iteratorINS8_10device_ptrIyEEEESD_jNS1_19radix_merge_compareILb0ELb0EyNS0_19identity_decomposerEEEEE10hipError_tT0_T1_T2_jT3_P12ihipStream_tbPNSt15iterator_traitsISI_E10value_typeEPNSO_ISJ_E10value_typeEPSK_NS1_7vsmem_tEENKUlT_SI_SJ_SK_E_clISD_PySD_S10_EESH_SX_SI_SJ_SK_EUlSX_E0_NS1_11comp_targetILNS1_3genE0ELNS1_11target_archE4294967295ELNS1_3gpuE0ELNS1_3repE0EEENS1_38merge_mergepath_config_static_selectorELNS0_4arch9wavefront6targetE1EEEvSJ_.uses_vcc, 1
	.set _ZN7rocprim17ROCPRIM_400000_NS6detail17trampoline_kernelINS0_14default_configENS1_38merge_sort_block_merge_config_selectorIyyEEZZNS1_27merge_sort_block_merge_implIS3_N6thrust23THRUST_200600_302600_NS6detail15normal_iteratorINS8_10device_ptrIyEEEESD_jNS1_19radix_merge_compareILb0ELb0EyNS0_19identity_decomposerEEEEE10hipError_tT0_T1_T2_jT3_P12ihipStream_tbPNSt15iterator_traitsISI_E10value_typeEPNSO_ISJ_E10value_typeEPSK_NS1_7vsmem_tEENKUlT_SI_SJ_SK_E_clISD_PySD_S10_EESH_SX_SI_SJ_SK_EUlSX_E0_NS1_11comp_targetILNS1_3genE0ELNS1_11target_archE4294967295ELNS1_3gpuE0ELNS1_3repE0EEENS1_38merge_mergepath_config_static_selectorELNS0_4arch9wavefront6targetE1EEEvSJ_.uses_flat_scratch, 0
	.set _ZN7rocprim17ROCPRIM_400000_NS6detail17trampoline_kernelINS0_14default_configENS1_38merge_sort_block_merge_config_selectorIyyEEZZNS1_27merge_sort_block_merge_implIS3_N6thrust23THRUST_200600_302600_NS6detail15normal_iteratorINS8_10device_ptrIyEEEESD_jNS1_19radix_merge_compareILb0ELb0EyNS0_19identity_decomposerEEEEE10hipError_tT0_T1_T2_jT3_P12ihipStream_tbPNSt15iterator_traitsISI_E10value_typeEPNSO_ISJ_E10value_typeEPSK_NS1_7vsmem_tEENKUlT_SI_SJ_SK_E_clISD_PySD_S10_EESH_SX_SI_SJ_SK_EUlSX_E0_NS1_11comp_targetILNS1_3genE0ELNS1_11target_archE4294967295ELNS1_3gpuE0ELNS1_3repE0EEENS1_38merge_mergepath_config_static_selectorELNS0_4arch9wavefront6targetE1EEEvSJ_.has_dyn_sized_stack, 0
	.set _ZN7rocprim17ROCPRIM_400000_NS6detail17trampoline_kernelINS0_14default_configENS1_38merge_sort_block_merge_config_selectorIyyEEZZNS1_27merge_sort_block_merge_implIS3_N6thrust23THRUST_200600_302600_NS6detail15normal_iteratorINS8_10device_ptrIyEEEESD_jNS1_19radix_merge_compareILb0ELb0EyNS0_19identity_decomposerEEEEE10hipError_tT0_T1_T2_jT3_P12ihipStream_tbPNSt15iterator_traitsISI_E10value_typeEPNSO_ISJ_E10value_typeEPSK_NS1_7vsmem_tEENKUlT_SI_SJ_SK_E_clISD_PySD_S10_EESH_SX_SI_SJ_SK_EUlSX_E0_NS1_11comp_targetILNS1_3genE0ELNS1_11target_archE4294967295ELNS1_3gpuE0ELNS1_3repE0EEENS1_38merge_mergepath_config_static_selectorELNS0_4arch9wavefront6targetE1EEEvSJ_.has_recursion, 0
	.set _ZN7rocprim17ROCPRIM_400000_NS6detail17trampoline_kernelINS0_14default_configENS1_38merge_sort_block_merge_config_selectorIyyEEZZNS1_27merge_sort_block_merge_implIS3_N6thrust23THRUST_200600_302600_NS6detail15normal_iteratorINS8_10device_ptrIyEEEESD_jNS1_19radix_merge_compareILb0ELb0EyNS0_19identity_decomposerEEEEE10hipError_tT0_T1_T2_jT3_P12ihipStream_tbPNSt15iterator_traitsISI_E10value_typeEPNSO_ISJ_E10value_typeEPSK_NS1_7vsmem_tEENKUlT_SI_SJ_SK_E_clISD_PySD_S10_EESH_SX_SI_SJ_SK_EUlSX_E0_NS1_11comp_targetILNS1_3genE0ELNS1_11target_archE4294967295ELNS1_3gpuE0ELNS1_3repE0EEENS1_38merge_mergepath_config_static_selectorELNS0_4arch9wavefront6targetE1EEEvSJ_.has_indirect_call, 0
	.section	.AMDGPU.csdata,"",@progbits
; Kernel info:
; codeLenInByte = 1724
; TotalNumSgprs: 36
; NumVgprs: 22
; NumAgprs: 0
; TotalNumVgprs: 22
; ScratchSize: 0
; MemoryBound: 0
; FloatMode: 240
; IeeeMode: 1
; LDSByteSize: 8448 bytes/workgroup (compile time only)
; SGPRBlocks: 4
; VGPRBlocks: 2
; NumSGPRsForWavesPerEU: 36
; NumVGPRsForWavesPerEU: 22
; AccumOffset: 24
; Occupancy: 8
; WaveLimiterHint : 1
; COMPUTE_PGM_RSRC2:SCRATCH_EN: 0
; COMPUTE_PGM_RSRC2:USER_SGPR: 2
; COMPUTE_PGM_RSRC2:TRAP_HANDLER: 0
; COMPUTE_PGM_RSRC2:TGID_X_EN: 1
; COMPUTE_PGM_RSRC2:TGID_Y_EN: 1
; COMPUTE_PGM_RSRC2:TGID_Z_EN: 1
; COMPUTE_PGM_RSRC2:TIDIG_COMP_CNT: 0
; COMPUTE_PGM_RSRC3_GFX90A:ACCUM_OFFSET: 5
; COMPUTE_PGM_RSRC3_GFX90A:TG_SPLIT: 0
	.section	.text._ZN7rocprim17ROCPRIM_400000_NS6detail17trampoline_kernelINS0_14default_configENS1_38merge_sort_block_merge_config_selectorIyyEEZZNS1_27merge_sort_block_merge_implIS3_N6thrust23THRUST_200600_302600_NS6detail15normal_iteratorINS8_10device_ptrIyEEEESD_jNS1_19radix_merge_compareILb0ELb0EyNS0_19identity_decomposerEEEEE10hipError_tT0_T1_T2_jT3_P12ihipStream_tbPNSt15iterator_traitsISI_E10value_typeEPNSO_ISJ_E10value_typeEPSK_NS1_7vsmem_tEENKUlT_SI_SJ_SK_E_clISD_PySD_S10_EESH_SX_SI_SJ_SK_EUlSX_E0_NS1_11comp_targetILNS1_3genE10ELNS1_11target_archE1201ELNS1_3gpuE5ELNS1_3repE0EEENS1_38merge_mergepath_config_static_selectorELNS0_4arch9wavefront6targetE1EEEvSJ_,"axG",@progbits,_ZN7rocprim17ROCPRIM_400000_NS6detail17trampoline_kernelINS0_14default_configENS1_38merge_sort_block_merge_config_selectorIyyEEZZNS1_27merge_sort_block_merge_implIS3_N6thrust23THRUST_200600_302600_NS6detail15normal_iteratorINS8_10device_ptrIyEEEESD_jNS1_19radix_merge_compareILb0ELb0EyNS0_19identity_decomposerEEEEE10hipError_tT0_T1_T2_jT3_P12ihipStream_tbPNSt15iterator_traitsISI_E10value_typeEPNSO_ISJ_E10value_typeEPSK_NS1_7vsmem_tEENKUlT_SI_SJ_SK_E_clISD_PySD_S10_EESH_SX_SI_SJ_SK_EUlSX_E0_NS1_11comp_targetILNS1_3genE10ELNS1_11target_archE1201ELNS1_3gpuE5ELNS1_3repE0EEENS1_38merge_mergepath_config_static_selectorELNS0_4arch9wavefront6targetE1EEEvSJ_,comdat
	.protected	_ZN7rocprim17ROCPRIM_400000_NS6detail17trampoline_kernelINS0_14default_configENS1_38merge_sort_block_merge_config_selectorIyyEEZZNS1_27merge_sort_block_merge_implIS3_N6thrust23THRUST_200600_302600_NS6detail15normal_iteratorINS8_10device_ptrIyEEEESD_jNS1_19radix_merge_compareILb0ELb0EyNS0_19identity_decomposerEEEEE10hipError_tT0_T1_T2_jT3_P12ihipStream_tbPNSt15iterator_traitsISI_E10value_typeEPNSO_ISJ_E10value_typeEPSK_NS1_7vsmem_tEENKUlT_SI_SJ_SK_E_clISD_PySD_S10_EESH_SX_SI_SJ_SK_EUlSX_E0_NS1_11comp_targetILNS1_3genE10ELNS1_11target_archE1201ELNS1_3gpuE5ELNS1_3repE0EEENS1_38merge_mergepath_config_static_selectorELNS0_4arch9wavefront6targetE1EEEvSJ_ ; -- Begin function _ZN7rocprim17ROCPRIM_400000_NS6detail17trampoline_kernelINS0_14default_configENS1_38merge_sort_block_merge_config_selectorIyyEEZZNS1_27merge_sort_block_merge_implIS3_N6thrust23THRUST_200600_302600_NS6detail15normal_iteratorINS8_10device_ptrIyEEEESD_jNS1_19radix_merge_compareILb0ELb0EyNS0_19identity_decomposerEEEEE10hipError_tT0_T1_T2_jT3_P12ihipStream_tbPNSt15iterator_traitsISI_E10value_typeEPNSO_ISJ_E10value_typeEPSK_NS1_7vsmem_tEENKUlT_SI_SJ_SK_E_clISD_PySD_S10_EESH_SX_SI_SJ_SK_EUlSX_E0_NS1_11comp_targetILNS1_3genE10ELNS1_11target_archE1201ELNS1_3gpuE5ELNS1_3repE0EEENS1_38merge_mergepath_config_static_selectorELNS0_4arch9wavefront6targetE1EEEvSJ_
	.globl	_ZN7rocprim17ROCPRIM_400000_NS6detail17trampoline_kernelINS0_14default_configENS1_38merge_sort_block_merge_config_selectorIyyEEZZNS1_27merge_sort_block_merge_implIS3_N6thrust23THRUST_200600_302600_NS6detail15normal_iteratorINS8_10device_ptrIyEEEESD_jNS1_19radix_merge_compareILb0ELb0EyNS0_19identity_decomposerEEEEE10hipError_tT0_T1_T2_jT3_P12ihipStream_tbPNSt15iterator_traitsISI_E10value_typeEPNSO_ISJ_E10value_typeEPSK_NS1_7vsmem_tEENKUlT_SI_SJ_SK_E_clISD_PySD_S10_EESH_SX_SI_SJ_SK_EUlSX_E0_NS1_11comp_targetILNS1_3genE10ELNS1_11target_archE1201ELNS1_3gpuE5ELNS1_3repE0EEENS1_38merge_mergepath_config_static_selectorELNS0_4arch9wavefront6targetE1EEEvSJ_
	.p2align	8
	.type	_ZN7rocprim17ROCPRIM_400000_NS6detail17trampoline_kernelINS0_14default_configENS1_38merge_sort_block_merge_config_selectorIyyEEZZNS1_27merge_sort_block_merge_implIS3_N6thrust23THRUST_200600_302600_NS6detail15normal_iteratorINS8_10device_ptrIyEEEESD_jNS1_19radix_merge_compareILb0ELb0EyNS0_19identity_decomposerEEEEE10hipError_tT0_T1_T2_jT3_P12ihipStream_tbPNSt15iterator_traitsISI_E10value_typeEPNSO_ISJ_E10value_typeEPSK_NS1_7vsmem_tEENKUlT_SI_SJ_SK_E_clISD_PySD_S10_EESH_SX_SI_SJ_SK_EUlSX_E0_NS1_11comp_targetILNS1_3genE10ELNS1_11target_archE1201ELNS1_3gpuE5ELNS1_3repE0EEENS1_38merge_mergepath_config_static_selectorELNS0_4arch9wavefront6targetE1EEEvSJ_,@function
_ZN7rocprim17ROCPRIM_400000_NS6detail17trampoline_kernelINS0_14default_configENS1_38merge_sort_block_merge_config_selectorIyyEEZZNS1_27merge_sort_block_merge_implIS3_N6thrust23THRUST_200600_302600_NS6detail15normal_iteratorINS8_10device_ptrIyEEEESD_jNS1_19radix_merge_compareILb0ELb0EyNS0_19identity_decomposerEEEEE10hipError_tT0_T1_T2_jT3_P12ihipStream_tbPNSt15iterator_traitsISI_E10value_typeEPNSO_ISJ_E10value_typeEPSK_NS1_7vsmem_tEENKUlT_SI_SJ_SK_E_clISD_PySD_S10_EESH_SX_SI_SJ_SK_EUlSX_E0_NS1_11comp_targetILNS1_3genE10ELNS1_11target_archE1201ELNS1_3gpuE5ELNS1_3repE0EEENS1_38merge_mergepath_config_static_selectorELNS0_4arch9wavefront6targetE1EEEvSJ_: ; @_ZN7rocprim17ROCPRIM_400000_NS6detail17trampoline_kernelINS0_14default_configENS1_38merge_sort_block_merge_config_selectorIyyEEZZNS1_27merge_sort_block_merge_implIS3_N6thrust23THRUST_200600_302600_NS6detail15normal_iteratorINS8_10device_ptrIyEEEESD_jNS1_19radix_merge_compareILb0ELb0EyNS0_19identity_decomposerEEEEE10hipError_tT0_T1_T2_jT3_P12ihipStream_tbPNSt15iterator_traitsISI_E10value_typeEPNSO_ISJ_E10value_typeEPSK_NS1_7vsmem_tEENKUlT_SI_SJ_SK_E_clISD_PySD_S10_EESH_SX_SI_SJ_SK_EUlSX_E0_NS1_11comp_targetILNS1_3genE10ELNS1_11target_archE1201ELNS1_3gpuE5ELNS1_3repE0EEENS1_38merge_mergepath_config_static_selectorELNS0_4arch9wavefront6targetE1EEEvSJ_
; %bb.0:
	.section	.rodata,"a",@progbits
	.p2align	6, 0x0
	.amdhsa_kernel _ZN7rocprim17ROCPRIM_400000_NS6detail17trampoline_kernelINS0_14default_configENS1_38merge_sort_block_merge_config_selectorIyyEEZZNS1_27merge_sort_block_merge_implIS3_N6thrust23THRUST_200600_302600_NS6detail15normal_iteratorINS8_10device_ptrIyEEEESD_jNS1_19radix_merge_compareILb0ELb0EyNS0_19identity_decomposerEEEEE10hipError_tT0_T1_T2_jT3_P12ihipStream_tbPNSt15iterator_traitsISI_E10value_typeEPNSO_ISJ_E10value_typeEPSK_NS1_7vsmem_tEENKUlT_SI_SJ_SK_E_clISD_PySD_S10_EESH_SX_SI_SJ_SK_EUlSX_E0_NS1_11comp_targetILNS1_3genE10ELNS1_11target_archE1201ELNS1_3gpuE5ELNS1_3repE0EEENS1_38merge_mergepath_config_static_selectorELNS0_4arch9wavefront6targetE1EEEvSJ_
		.amdhsa_group_segment_fixed_size 0
		.amdhsa_private_segment_fixed_size 0
		.amdhsa_kernarg_size 64
		.amdhsa_user_sgpr_count 2
		.amdhsa_user_sgpr_dispatch_ptr 0
		.amdhsa_user_sgpr_queue_ptr 0
		.amdhsa_user_sgpr_kernarg_segment_ptr 1
		.amdhsa_user_sgpr_dispatch_id 0
		.amdhsa_user_sgpr_kernarg_preload_length 0
		.amdhsa_user_sgpr_kernarg_preload_offset 0
		.amdhsa_user_sgpr_private_segment_size 0
		.amdhsa_uses_dynamic_stack 0
		.amdhsa_enable_private_segment 0
		.amdhsa_system_sgpr_workgroup_id_x 1
		.amdhsa_system_sgpr_workgroup_id_y 0
		.amdhsa_system_sgpr_workgroup_id_z 0
		.amdhsa_system_sgpr_workgroup_info 0
		.amdhsa_system_vgpr_workitem_id 0
		.amdhsa_next_free_vgpr 1
		.amdhsa_next_free_sgpr 0
		.amdhsa_accum_offset 4
		.amdhsa_reserve_vcc 0
		.amdhsa_float_round_mode_32 0
		.amdhsa_float_round_mode_16_64 0
		.amdhsa_float_denorm_mode_32 3
		.amdhsa_float_denorm_mode_16_64 3
		.amdhsa_dx10_clamp 1
		.amdhsa_ieee_mode 1
		.amdhsa_fp16_overflow 0
		.amdhsa_tg_split 0
		.amdhsa_exception_fp_ieee_invalid_op 0
		.amdhsa_exception_fp_denorm_src 0
		.amdhsa_exception_fp_ieee_div_zero 0
		.amdhsa_exception_fp_ieee_overflow 0
		.amdhsa_exception_fp_ieee_underflow 0
		.amdhsa_exception_fp_ieee_inexact 0
		.amdhsa_exception_int_div_zero 0
	.end_amdhsa_kernel
	.section	.text._ZN7rocprim17ROCPRIM_400000_NS6detail17trampoline_kernelINS0_14default_configENS1_38merge_sort_block_merge_config_selectorIyyEEZZNS1_27merge_sort_block_merge_implIS3_N6thrust23THRUST_200600_302600_NS6detail15normal_iteratorINS8_10device_ptrIyEEEESD_jNS1_19radix_merge_compareILb0ELb0EyNS0_19identity_decomposerEEEEE10hipError_tT0_T1_T2_jT3_P12ihipStream_tbPNSt15iterator_traitsISI_E10value_typeEPNSO_ISJ_E10value_typeEPSK_NS1_7vsmem_tEENKUlT_SI_SJ_SK_E_clISD_PySD_S10_EESH_SX_SI_SJ_SK_EUlSX_E0_NS1_11comp_targetILNS1_3genE10ELNS1_11target_archE1201ELNS1_3gpuE5ELNS1_3repE0EEENS1_38merge_mergepath_config_static_selectorELNS0_4arch9wavefront6targetE1EEEvSJ_,"axG",@progbits,_ZN7rocprim17ROCPRIM_400000_NS6detail17trampoline_kernelINS0_14default_configENS1_38merge_sort_block_merge_config_selectorIyyEEZZNS1_27merge_sort_block_merge_implIS3_N6thrust23THRUST_200600_302600_NS6detail15normal_iteratorINS8_10device_ptrIyEEEESD_jNS1_19radix_merge_compareILb0ELb0EyNS0_19identity_decomposerEEEEE10hipError_tT0_T1_T2_jT3_P12ihipStream_tbPNSt15iterator_traitsISI_E10value_typeEPNSO_ISJ_E10value_typeEPSK_NS1_7vsmem_tEENKUlT_SI_SJ_SK_E_clISD_PySD_S10_EESH_SX_SI_SJ_SK_EUlSX_E0_NS1_11comp_targetILNS1_3genE10ELNS1_11target_archE1201ELNS1_3gpuE5ELNS1_3repE0EEENS1_38merge_mergepath_config_static_selectorELNS0_4arch9wavefront6targetE1EEEvSJ_,comdat
.Lfunc_end429:
	.size	_ZN7rocprim17ROCPRIM_400000_NS6detail17trampoline_kernelINS0_14default_configENS1_38merge_sort_block_merge_config_selectorIyyEEZZNS1_27merge_sort_block_merge_implIS3_N6thrust23THRUST_200600_302600_NS6detail15normal_iteratorINS8_10device_ptrIyEEEESD_jNS1_19radix_merge_compareILb0ELb0EyNS0_19identity_decomposerEEEEE10hipError_tT0_T1_T2_jT3_P12ihipStream_tbPNSt15iterator_traitsISI_E10value_typeEPNSO_ISJ_E10value_typeEPSK_NS1_7vsmem_tEENKUlT_SI_SJ_SK_E_clISD_PySD_S10_EESH_SX_SI_SJ_SK_EUlSX_E0_NS1_11comp_targetILNS1_3genE10ELNS1_11target_archE1201ELNS1_3gpuE5ELNS1_3repE0EEENS1_38merge_mergepath_config_static_selectorELNS0_4arch9wavefront6targetE1EEEvSJ_, .Lfunc_end429-_ZN7rocprim17ROCPRIM_400000_NS6detail17trampoline_kernelINS0_14default_configENS1_38merge_sort_block_merge_config_selectorIyyEEZZNS1_27merge_sort_block_merge_implIS3_N6thrust23THRUST_200600_302600_NS6detail15normal_iteratorINS8_10device_ptrIyEEEESD_jNS1_19radix_merge_compareILb0ELb0EyNS0_19identity_decomposerEEEEE10hipError_tT0_T1_T2_jT3_P12ihipStream_tbPNSt15iterator_traitsISI_E10value_typeEPNSO_ISJ_E10value_typeEPSK_NS1_7vsmem_tEENKUlT_SI_SJ_SK_E_clISD_PySD_S10_EESH_SX_SI_SJ_SK_EUlSX_E0_NS1_11comp_targetILNS1_3genE10ELNS1_11target_archE1201ELNS1_3gpuE5ELNS1_3repE0EEENS1_38merge_mergepath_config_static_selectorELNS0_4arch9wavefront6targetE1EEEvSJ_
                                        ; -- End function
	.set _ZN7rocprim17ROCPRIM_400000_NS6detail17trampoline_kernelINS0_14default_configENS1_38merge_sort_block_merge_config_selectorIyyEEZZNS1_27merge_sort_block_merge_implIS3_N6thrust23THRUST_200600_302600_NS6detail15normal_iteratorINS8_10device_ptrIyEEEESD_jNS1_19radix_merge_compareILb0ELb0EyNS0_19identity_decomposerEEEEE10hipError_tT0_T1_T2_jT3_P12ihipStream_tbPNSt15iterator_traitsISI_E10value_typeEPNSO_ISJ_E10value_typeEPSK_NS1_7vsmem_tEENKUlT_SI_SJ_SK_E_clISD_PySD_S10_EESH_SX_SI_SJ_SK_EUlSX_E0_NS1_11comp_targetILNS1_3genE10ELNS1_11target_archE1201ELNS1_3gpuE5ELNS1_3repE0EEENS1_38merge_mergepath_config_static_selectorELNS0_4arch9wavefront6targetE1EEEvSJ_.num_vgpr, 0
	.set _ZN7rocprim17ROCPRIM_400000_NS6detail17trampoline_kernelINS0_14default_configENS1_38merge_sort_block_merge_config_selectorIyyEEZZNS1_27merge_sort_block_merge_implIS3_N6thrust23THRUST_200600_302600_NS6detail15normal_iteratorINS8_10device_ptrIyEEEESD_jNS1_19radix_merge_compareILb0ELb0EyNS0_19identity_decomposerEEEEE10hipError_tT0_T1_T2_jT3_P12ihipStream_tbPNSt15iterator_traitsISI_E10value_typeEPNSO_ISJ_E10value_typeEPSK_NS1_7vsmem_tEENKUlT_SI_SJ_SK_E_clISD_PySD_S10_EESH_SX_SI_SJ_SK_EUlSX_E0_NS1_11comp_targetILNS1_3genE10ELNS1_11target_archE1201ELNS1_3gpuE5ELNS1_3repE0EEENS1_38merge_mergepath_config_static_selectorELNS0_4arch9wavefront6targetE1EEEvSJ_.num_agpr, 0
	.set _ZN7rocprim17ROCPRIM_400000_NS6detail17trampoline_kernelINS0_14default_configENS1_38merge_sort_block_merge_config_selectorIyyEEZZNS1_27merge_sort_block_merge_implIS3_N6thrust23THRUST_200600_302600_NS6detail15normal_iteratorINS8_10device_ptrIyEEEESD_jNS1_19radix_merge_compareILb0ELb0EyNS0_19identity_decomposerEEEEE10hipError_tT0_T1_T2_jT3_P12ihipStream_tbPNSt15iterator_traitsISI_E10value_typeEPNSO_ISJ_E10value_typeEPSK_NS1_7vsmem_tEENKUlT_SI_SJ_SK_E_clISD_PySD_S10_EESH_SX_SI_SJ_SK_EUlSX_E0_NS1_11comp_targetILNS1_3genE10ELNS1_11target_archE1201ELNS1_3gpuE5ELNS1_3repE0EEENS1_38merge_mergepath_config_static_selectorELNS0_4arch9wavefront6targetE1EEEvSJ_.numbered_sgpr, 0
	.set _ZN7rocprim17ROCPRIM_400000_NS6detail17trampoline_kernelINS0_14default_configENS1_38merge_sort_block_merge_config_selectorIyyEEZZNS1_27merge_sort_block_merge_implIS3_N6thrust23THRUST_200600_302600_NS6detail15normal_iteratorINS8_10device_ptrIyEEEESD_jNS1_19radix_merge_compareILb0ELb0EyNS0_19identity_decomposerEEEEE10hipError_tT0_T1_T2_jT3_P12ihipStream_tbPNSt15iterator_traitsISI_E10value_typeEPNSO_ISJ_E10value_typeEPSK_NS1_7vsmem_tEENKUlT_SI_SJ_SK_E_clISD_PySD_S10_EESH_SX_SI_SJ_SK_EUlSX_E0_NS1_11comp_targetILNS1_3genE10ELNS1_11target_archE1201ELNS1_3gpuE5ELNS1_3repE0EEENS1_38merge_mergepath_config_static_selectorELNS0_4arch9wavefront6targetE1EEEvSJ_.num_named_barrier, 0
	.set _ZN7rocprim17ROCPRIM_400000_NS6detail17trampoline_kernelINS0_14default_configENS1_38merge_sort_block_merge_config_selectorIyyEEZZNS1_27merge_sort_block_merge_implIS3_N6thrust23THRUST_200600_302600_NS6detail15normal_iteratorINS8_10device_ptrIyEEEESD_jNS1_19radix_merge_compareILb0ELb0EyNS0_19identity_decomposerEEEEE10hipError_tT0_T1_T2_jT3_P12ihipStream_tbPNSt15iterator_traitsISI_E10value_typeEPNSO_ISJ_E10value_typeEPSK_NS1_7vsmem_tEENKUlT_SI_SJ_SK_E_clISD_PySD_S10_EESH_SX_SI_SJ_SK_EUlSX_E0_NS1_11comp_targetILNS1_3genE10ELNS1_11target_archE1201ELNS1_3gpuE5ELNS1_3repE0EEENS1_38merge_mergepath_config_static_selectorELNS0_4arch9wavefront6targetE1EEEvSJ_.private_seg_size, 0
	.set _ZN7rocprim17ROCPRIM_400000_NS6detail17trampoline_kernelINS0_14default_configENS1_38merge_sort_block_merge_config_selectorIyyEEZZNS1_27merge_sort_block_merge_implIS3_N6thrust23THRUST_200600_302600_NS6detail15normal_iteratorINS8_10device_ptrIyEEEESD_jNS1_19radix_merge_compareILb0ELb0EyNS0_19identity_decomposerEEEEE10hipError_tT0_T1_T2_jT3_P12ihipStream_tbPNSt15iterator_traitsISI_E10value_typeEPNSO_ISJ_E10value_typeEPSK_NS1_7vsmem_tEENKUlT_SI_SJ_SK_E_clISD_PySD_S10_EESH_SX_SI_SJ_SK_EUlSX_E0_NS1_11comp_targetILNS1_3genE10ELNS1_11target_archE1201ELNS1_3gpuE5ELNS1_3repE0EEENS1_38merge_mergepath_config_static_selectorELNS0_4arch9wavefront6targetE1EEEvSJ_.uses_vcc, 0
	.set _ZN7rocprim17ROCPRIM_400000_NS6detail17trampoline_kernelINS0_14default_configENS1_38merge_sort_block_merge_config_selectorIyyEEZZNS1_27merge_sort_block_merge_implIS3_N6thrust23THRUST_200600_302600_NS6detail15normal_iteratorINS8_10device_ptrIyEEEESD_jNS1_19radix_merge_compareILb0ELb0EyNS0_19identity_decomposerEEEEE10hipError_tT0_T1_T2_jT3_P12ihipStream_tbPNSt15iterator_traitsISI_E10value_typeEPNSO_ISJ_E10value_typeEPSK_NS1_7vsmem_tEENKUlT_SI_SJ_SK_E_clISD_PySD_S10_EESH_SX_SI_SJ_SK_EUlSX_E0_NS1_11comp_targetILNS1_3genE10ELNS1_11target_archE1201ELNS1_3gpuE5ELNS1_3repE0EEENS1_38merge_mergepath_config_static_selectorELNS0_4arch9wavefront6targetE1EEEvSJ_.uses_flat_scratch, 0
	.set _ZN7rocprim17ROCPRIM_400000_NS6detail17trampoline_kernelINS0_14default_configENS1_38merge_sort_block_merge_config_selectorIyyEEZZNS1_27merge_sort_block_merge_implIS3_N6thrust23THRUST_200600_302600_NS6detail15normal_iteratorINS8_10device_ptrIyEEEESD_jNS1_19radix_merge_compareILb0ELb0EyNS0_19identity_decomposerEEEEE10hipError_tT0_T1_T2_jT3_P12ihipStream_tbPNSt15iterator_traitsISI_E10value_typeEPNSO_ISJ_E10value_typeEPSK_NS1_7vsmem_tEENKUlT_SI_SJ_SK_E_clISD_PySD_S10_EESH_SX_SI_SJ_SK_EUlSX_E0_NS1_11comp_targetILNS1_3genE10ELNS1_11target_archE1201ELNS1_3gpuE5ELNS1_3repE0EEENS1_38merge_mergepath_config_static_selectorELNS0_4arch9wavefront6targetE1EEEvSJ_.has_dyn_sized_stack, 0
	.set _ZN7rocprim17ROCPRIM_400000_NS6detail17trampoline_kernelINS0_14default_configENS1_38merge_sort_block_merge_config_selectorIyyEEZZNS1_27merge_sort_block_merge_implIS3_N6thrust23THRUST_200600_302600_NS6detail15normal_iteratorINS8_10device_ptrIyEEEESD_jNS1_19radix_merge_compareILb0ELb0EyNS0_19identity_decomposerEEEEE10hipError_tT0_T1_T2_jT3_P12ihipStream_tbPNSt15iterator_traitsISI_E10value_typeEPNSO_ISJ_E10value_typeEPSK_NS1_7vsmem_tEENKUlT_SI_SJ_SK_E_clISD_PySD_S10_EESH_SX_SI_SJ_SK_EUlSX_E0_NS1_11comp_targetILNS1_3genE10ELNS1_11target_archE1201ELNS1_3gpuE5ELNS1_3repE0EEENS1_38merge_mergepath_config_static_selectorELNS0_4arch9wavefront6targetE1EEEvSJ_.has_recursion, 0
	.set _ZN7rocprim17ROCPRIM_400000_NS6detail17trampoline_kernelINS0_14default_configENS1_38merge_sort_block_merge_config_selectorIyyEEZZNS1_27merge_sort_block_merge_implIS3_N6thrust23THRUST_200600_302600_NS6detail15normal_iteratorINS8_10device_ptrIyEEEESD_jNS1_19radix_merge_compareILb0ELb0EyNS0_19identity_decomposerEEEEE10hipError_tT0_T1_T2_jT3_P12ihipStream_tbPNSt15iterator_traitsISI_E10value_typeEPNSO_ISJ_E10value_typeEPSK_NS1_7vsmem_tEENKUlT_SI_SJ_SK_E_clISD_PySD_S10_EESH_SX_SI_SJ_SK_EUlSX_E0_NS1_11comp_targetILNS1_3genE10ELNS1_11target_archE1201ELNS1_3gpuE5ELNS1_3repE0EEENS1_38merge_mergepath_config_static_selectorELNS0_4arch9wavefront6targetE1EEEvSJ_.has_indirect_call, 0
	.section	.AMDGPU.csdata,"",@progbits
; Kernel info:
; codeLenInByte = 0
; TotalNumSgprs: 6
; NumVgprs: 0
; NumAgprs: 0
; TotalNumVgprs: 0
; ScratchSize: 0
; MemoryBound: 0
; FloatMode: 240
; IeeeMode: 1
; LDSByteSize: 0 bytes/workgroup (compile time only)
; SGPRBlocks: 0
; VGPRBlocks: 0
; NumSGPRsForWavesPerEU: 6
; NumVGPRsForWavesPerEU: 1
; AccumOffset: 4
; Occupancy: 8
; WaveLimiterHint : 0
; COMPUTE_PGM_RSRC2:SCRATCH_EN: 0
; COMPUTE_PGM_RSRC2:USER_SGPR: 2
; COMPUTE_PGM_RSRC2:TRAP_HANDLER: 0
; COMPUTE_PGM_RSRC2:TGID_X_EN: 1
; COMPUTE_PGM_RSRC2:TGID_Y_EN: 0
; COMPUTE_PGM_RSRC2:TGID_Z_EN: 0
; COMPUTE_PGM_RSRC2:TIDIG_COMP_CNT: 0
; COMPUTE_PGM_RSRC3_GFX90A:ACCUM_OFFSET: 0
; COMPUTE_PGM_RSRC3_GFX90A:TG_SPLIT: 0
	.section	.text._ZN7rocprim17ROCPRIM_400000_NS6detail17trampoline_kernelINS0_14default_configENS1_38merge_sort_block_merge_config_selectorIyyEEZZNS1_27merge_sort_block_merge_implIS3_N6thrust23THRUST_200600_302600_NS6detail15normal_iteratorINS8_10device_ptrIyEEEESD_jNS1_19radix_merge_compareILb0ELb0EyNS0_19identity_decomposerEEEEE10hipError_tT0_T1_T2_jT3_P12ihipStream_tbPNSt15iterator_traitsISI_E10value_typeEPNSO_ISJ_E10value_typeEPSK_NS1_7vsmem_tEENKUlT_SI_SJ_SK_E_clISD_PySD_S10_EESH_SX_SI_SJ_SK_EUlSX_E0_NS1_11comp_targetILNS1_3genE5ELNS1_11target_archE942ELNS1_3gpuE9ELNS1_3repE0EEENS1_38merge_mergepath_config_static_selectorELNS0_4arch9wavefront6targetE1EEEvSJ_,"axG",@progbits,_ZN7rocprim17ROCPRIM_400000_NS6detail17trampoline_kernelINS0_14default_configENS1_38merge_sort_block_merge_config_selectorIyyEEZZNS1_27merge_sort_block_merge_implIS3_N6thrust23THRUST_200600_302600_NS6detail15normal_iteratorINS8_10device_ptrIyEEEESD_jNS1_19radix_merge_compareILb0ELb0EyNS0_19identity_decomposerEEEEE10hipError_tT0_T1_T2_jT3_P12ihipStream_tbPNSt15iterator_traitsISI_E10value_typeEPNSO_ISJ_E10value_typeEPSK_NS1_7vsmem_tEENKUlT_SI_SJ_SK_E_clISD_PySD_S10_EESH_SX_SI_SJ_SK_EUlSX_E0_NS1_11comp_targetILNS1_3genE5ELNS1_11target_archE942ELNS1_3gpuE9ELNS1_3repE0EEENS1_38merge_mergepath_config_static_selectorELNS0_4arch9wavefront6targetE1EEEvSJ_,comdat
	.protected	_ZN7rocprim17ROCPRIM_400000_NS6detail17trampoline_kernelINS0_14default_configENS1_38merge_sort_block_merge_config_selectorIyyEEZZNS1_27merge_sort_block_merge_implIS3_N6thrust23THRUST_200600_302600_NS6detail15normal_iteratorINS8_10device_ptrIyEEEESD_jNS1_19radix_merge_compareILb0ELb0EyNS0_19identity_decomposerEEEEE10hipError_tT0_T1_T2_jT3_P12ihipStream_tbPNSt15iterator_traitsISI_E10value_typeEPNSO_ISJ_E10value_typeEPSK_NS1_7vsmem_tEENKUlT_SI_SJ_SK_E_clISD_PySD_S10_EESH_SX_SI_SJ_SK_EUlSX_E0_NS1_11comp_targetILNS1_3genE5ELNS1_11target_archE942ELNS1_3gpuE9ELNS1_3repE0EEENS1_38merge_mergepath_config_static_selectorELNS0_4arch9wavefront6targetE1EEEvSJ_ ; -- Begin function _ZN7rocprim17ROCPRIM_400000_NS6detail17trampoline_kernelINS0_14default_configENS1_38merge_sort_block_merge_config_selectorIyyEEZZNS1_27merge_sort_block_merge_implIS3_N6thrust23THRUST_200600_302600_NS6detail15normal_iteratorINS8_10device_ptrIyEEEESD_jNS1_19radix_merge_compareILb0ELb0EyNS0_19identity_decomposerEEEEE10hipError_tT0_T1_T2_jT3_P12ihipStream_tbPNSt15iterator_traitsISI_E10value_typeEPNSO_ISJ_E10value_typeEPSK_NS1_7vsmem_tEENKUlT_SI_SJ_SK_E_clISD_PySD_S10_EESH_SX_SI_SJ_SK_EUlSX_E0_NS1_11comp_targetILNS1_3genE5ELNS1_11target_archE942ELNS1_3gpuE9ELNS1_3repE0EEENS1_38merge_mergepath_config_static_selectorELNS0_4arch9wavefront6targetE1EEEvSJ_
	.globl	_ZN7rocprim17ROCPRIM_400000_NS6detail17trampoline_kernelINS0_14default_configENS1_38merge_sort_block_merge_config_selectorIyyEEZZNS1_27merge_sort_block_merge_implIS3_N6thrust23THRUST_200600_302600_NS6detail15normal_iteratorINS8_10device_ptrIyEEEESD_jNS1_19radix_merge_compareILb0ELb0EyNS0_19identity_decomposerEEEEE10hipError_tT0_T1_T2_jT3_P12ihipStream_tbPNSt15iterator_traitsISI_E10value_typeEPNSO_ISJ_E10value_typeEPSK_NS1_7vsmem_tEENKUlT_SI_SJ_SK_E_clISD_PySD_S10_EESH_SX_SI_SJ_SK_EUlSX_E0_NS1_11comp_targetILNS1_3genE5ELNS1_11target_archE942ELNS1_3gpuE9ELNS1_3repE0EEENS1_38merge_mergepath_config_static_selectorELNS0_4arch9wavefront6targetE1EEEvSJ_
	.p2align	8
	.type	_ZN7rocprim17ROCPRIM_400000_NS6detail17trampoline_kernelINS0_14default_configENS1_38merge_sort_block_merge_config_selectorIyyEEZZNS1_27merge_sort_block_merge_implIS3_N6thrust23THRUST_200600_302600_NS6detail15normal_iteratorINS8_10device_ptrIyEEEESD_jNS1_19radix_merge_compareILb0ELb0EyNS0_19identity_decomposerEEEEE10hipError_tT0_T1_T2_jT3_P12ihipStream_tbPNSt15iterator_traitsISI_E10value_typeEPNSO_ISJ_E10value_typeEPSK_NS1_7vsmem_tEENKUlT_SI_SJ_SK_E_clISD_PySD_S10_EESH_SX_SI_SJ_SK_EUlSX_E0_NS1_11comp_targetILNS1_3genE5ELNS1_11target_archE942ELNS1_3gpuE9ELNS1_3repE0EEENS1_38merge_mergepath_config_static_selectorELNS0_4arch9wavefront6targetE1EEEvSJ_,@function
_ZN7rocprim17ROCPRIM_400000_NS6detail17trampoline_kernelINS0_14default_configENS1_38merge_sort_block_merge_config_selectorIyyEEZZNS1_27merge_sort_block_merge_implIS3_N6thrust23THRUST_200600_302600_NS6detail15normal_iteratorINS8_10device_ptrIyEEEESD_jNS1_19radix_merge_compareILb0ELb0EyNS0_19identity_decomposerEEEEE10hipError_tT0_T1_T2_jT3_P12ihipStream_tbPNSt15iterator_traitsISI_E10value_typeEPNSO_ISJ_E10value_typeEPSK_NS1_7vsmem_tEENKUlT_SI_SJ_SK_E_clISD_PySD_S10_EESH_SX_SI_SJ_SK_EUlSX_E0_NS1_11comp_targetILNS1_3genE5ELNS1_11target_archE942ELNS1_3gpuE9ELNS1_3repE0EEENS1_38merge_mergepath_config_static_selectorELNS0_4arch9wavefront6targetE1EEEvSJ_: ; @_ZN7rocprim17ROCPRIM_400000_NS6detail17trampoline_kernelINS0_14default_configENS1_38merge_sort_block_merge_config_selectorIyyEEZZNS1_27merge_sort_block_merge_implIS3_N6thrust23THRUST_200600_302600_NS6detail15normal_iteratorINS8_10device_ptrIyEEEESD_jNS1_19radix_merge_compareILb0ELb0EyNS0_19identity_decomposerEEEEE10hipError_tT0_T1_T2_jT3_P12ihipStream_tbPNSt15iterator_traitsISI_E10value_typeEPNSO_ISJ_E10value_typeEPSK_NS1_7vsmem_tEENKUlT_SI_SJ_SK_E_clISD_PySD_S10_EESH_SX_SI_SJ_SK_EUlSX_E0_NS1_11comp_targetILNS1_3genE5ELNS1_11target_archE942ELNS1_3gpuE9ELNS1_3repE0EEENS1_38merge_mergepath_config_static_selectorELNS0_4arch9wavefront6targetE1EEEvSJ_
; %bb.0:
	.section	.rodata,"a",@progbits
	.p2align	6, 0x0
	.amdhsa_kernel _ZN7rocprim17ROCPRIM_400000_NS6detail17trampoline_kernelINS0_14default_configENS1_38merge_sort_block_merge_config_selectorIyyEEZZNS1_27merge_sort_block_merge_implIS3_N6thrust23THRUST_200600_302600_NS6detail15normal_iteratorINS8_10device_ptrIyEEEESD_jNS1_19radix_merge_compareILb0ELb0EyNS0_19identity_decomposerEEEEE10hipError_tT0_T1_T2_jT3_P12ihipStream_tbPNSt15iterator_traitsISI_E10value_typeEPNSO_ISJ_E10value_typeEPSK_NS1_7vsmem_tEENKUlT_SI_SJ_SK_E_clISD_PySD_S10_EESH_SX_SI_SJ_SK_EUlSX_E0_NS1_11comp_targetILNS1_3genE5ELNS1_11target_archE942ELNS1_3gpuE9ELNS1_3repE0EEENS1_38merge_mergepath_config_static_selectorELNS0_4arch9wavefront6targetE1EEEvSJ_
		.amdhsa_group_segment_fixed_size 0
		.amdhsa_private_segment_fixed_size 0
		.amdhsa_kernarg_size 64
		.amdhsa_user_sgpr_count 2
		.amdhsa_user_sgpr_dispatch_ptr 0
		.amdhsa_user_sgpr_queue_ptr 0
		.amdhsa_user_sgpr_kernarg_segment_ptr 1
		.amdhsa_user_sgpr_dispatch_id 0
		.amdhsa_user_sgpr_kernarg_preload_length 0
		.amdhsa_user_sgpr_kernarg_preload_offset 0
		.amdhsa_user_sgpr_private_segment_size 0
		.amdhsa_uses_dynamic_stack 0
		.amdhsa_enable_private_segment 0
		.amdhsa_system_sgpr_workgroup_id_x 1
		.amdhsa_system_sgpr_workgroup_id_y 0
		.amdhsa_system_sgpr_workgroup_id_z 0
		.amdhsa_system_sgpr_workgroup_info 0
		.amdhsa_system_vgpr_workitem_id 0
		.amdhsa_next_free_vgpr 1
		.amdhsa_next_free_sgpr 0
		.amdhsa_accum_offset 4
		.amdhsa_reserve_vcc 0
		.amdhsa_float_round_mode_32 0
		.amdhsa_float_round_mode_16_64 0
		.amdhsa_float_denorm_mode_32 3
		.amdhsa_float_denorm_mode_16_64 3
		.amdhsa_dx10_clamp 1
		.amdhsa_ieee_mode 1
		.amdhsa_fp16_overflow 0
		.amdhsa_tg_split 0
		.amdhsa_exception_fp_ieee_invalid_op 0
		.amdhsa_exception_fp_denorm_src 0
		.amdhsa_exception_fp_ieee_div_zero 0
		.amdhsa_exception_fp_ieee_overflow 0
		.amdhsa_exception_fp_ieee_underflow 0
		.amdhsa_exception_fp_ieee_inexact 0
		.amdhsa_exception_int_div_zero 0
	.end_amdhsa_kernel
	.section	.text._ZN7rocprim17ROCPRIM_400000_NS6detail17trampoline_kernelINS0_14default_configENS1_38merge_sort_block_merge_config_selectorIyyEEZZNS1_27merge_sort_block_merge_implIS3_N6thrust23THRUST_200600_302600_NS6detail15normal_iteratorINS8_10device_ptrIyEEEESD_jNS1_19radix_merge_compareILb0ELb0EyNS0_19identity_decomposerEEEEE10hipError_tT0_T1_T2_jT3_P12ihipStream_tbPNSt15iterator_traitsISI_E10value_typeEPNSO_ISJ_E10value_typeEPSK_NS1_7vsmem_tEENKUlT_SI_SJ_SK_E_clISD_PySD_S10_EESH_SX_SI_SJ_SK_EUlSX_E0_NS1_11comp_targetILNS1_3genE5ELNS1_11target_archE942ELNS1_3gpuE9ELNS1_3repE0EEENS1_38merge_mergepath_config_static_selectorELNS0_4arch9wavefront6targetE1EEEvSJ_,"axG",@progbits,_ZN7rocprim17ROCPRIM_400000_NS6detail17trampoline_kernelINS0_14default_configENS1_38merge_sort_block_merge_config_selectorIyyEEZZNS1_27merge_sort_block_merge_implIS3_N6thrust23THRUST_200600_302600_NS6detail15normal_iteratorINS8_10device_ptrIyEEEESD_jNS1_19radix_merge_compareILb0ELb0EyNS0_19identity_decomposerEEEEE10hipError_tT0_T1_T2_jT3_P12ihipStream_tbPNSt15iterator_traitsISI_E10value_typeEPNSO_ISJ_E10value_typeEPSK_NS1_7vsmem_tEENKUlT_SI_SJ_SK_E_clISD_PySD_S10_EESH_SX_SI_SJ_SK_EUlSX_E0_NS1_11comp_targetILNS1_3genE5ELNS1_11target_archE942ELNS1_3gpuE9ELNS1_3repE0EEENS1_38merge_mergepath_config_static_selectorELNS0_4arch9wavefront6targetE1EEEvSJ_,comdat
.Lfunc_end430:
	.size	_ZN7rocprim17ROCPRIM_400000_NS6detail17trampoline_kernelINS0_14default_configENS1_38merge_sort_block_merge_config_selectorIyyEEZZNS1_27merge_sort_block_merge_implIS3_N6thrust23THRUST_200600_302600_NS6detail15normal_iteratorINS8_10device_ptrIyEEEESD_jNS1_19radix_merge_compareILb0ELb0EyNS0_19identity_decomposerEEEEE10hipError_tT0_T1_T2_jT3_P12ihipStream_tbPNSt15iterator_traitsISI_E10value_typeEPNSO_ISJ_E10value_typeEPSK_NS1_7vsmem_tEENKUlT_SI_SJ_SK_E_clISD_PySD_S10_EESH_SX_SI_SJ_SK_EUlSX_E0_NS1_11comp_targetILNS1_3genE5ELNS1_11target_archE942ELNS1_3gpuE9ELNS1_3repE0EEENS1_38merge_mergepath_config_static_selectorELNS0_4arch9wavefront6targetE1EEEvSJ_, .Lfunc_end430-_ZN7rocprim17ROCPRIM_400000_NS6detail17trampoline_kernelINS0_14default_configENS1_38merge_sort_block_merge_config_selectorIyyEEZZNS1_27merge_sort_block_merge_implIS3_N6thrust23THRUST_200600_302600_NS6detail15normal_iteratorINS8_10device_ptrIyEEEESD_jNS1_19radix_merge_compareILb0ELb0EyNS0_19identity_decomposerEEEEE10hipError_tT0_T1_T2_jT3_P12ihipStream_tbPNSt15iterator_traitsISI_E10value_typeEPNSO_ISJ_E10value_typeEPSK_NS1_7vsmem_tEENKUlT_SI_SJ_SK_E_clISD_PySD_S10_EESH_SX_SI_SJ_SK_EUlSX_E0_NS1_11comp_targetILNS1_3genE5ELNS1_11target_archE942ELNS1_3gpuE9ELNS1_3repE0EEENS1_38merge_mergepath_config_static_selectorELNS0_4arch9wavefront6targetE1EEEvSJ_
                                        ; -- End function
	.set _ZN7rocprim17ROCPRIM_400000_NS6detail17trampoline_kernelINS0_14default_configENS1_38merge_sort_block_merge_config_selectorIyyEEZZNS1_27merge_sort_block_merge_implIS3_N6thrust23THRUST_200600_302600_NS6detail15normal_iteratorINS8_10device_ptrIyEEEESD_jNS1_19radix_merge_compareILb0ELb0EyNS0_19identity_decomposerEEEEE10hipError_tT0_T1_T2_jT3_P12ihipStream_tbPNSt15iterator_traitsISI_E10value_typeEPNSO_ISJ_E10value_typeEPSK_NS1_7vsmem_tEENKUlT_SI_SJ_SK_E_clISD_PySD_S10_EESH_SX_SI_SJ_SK_EUlSX_E0_NS1_11comp_targetILNS1_3genE5ELNS1_11target_archE942ELNS1_3gpuE9ELNS1_3repE0EEENS1_38merge_mergepath_config_static_selectorELNS0_4arch9wavefront6targetE1EEEvSJ_.num_vgpr, 0
	.set _ZN7rocprim17ROCPRIM_400000_NS6detail17trampoline_kernelINS0_14default_configENS1_38merge_sort_block_merge_config_selectorIyyEEZZNS1_27merge_sort_block_merge_implIS3_N6thrust23THRUST_200600_302600_NS6detail15normal_iteratorINS8_10device_ptrIyEEEESD_jNS1_19radix_merge_compareILb0ELb0EyNS0_19identity_decomposerEEEEE10hipError_tT0_T1_T2_jT3_P12ihipStream_tbPNSt15iterator_traitsISI_E10value_typeEPNSO_ISJ_E10value_typeEPSK_NS1_7vsmem_tEENKUlT_SI_SJ_SK_E_clISD_PySD_S10_EESH_SX_SI_SJ_SK_EUlSX_E0_NS1_11comp_targetILNS1_3genE5ELNS1_11target_archE942ELNS1_3gpuE9ELNS1_3repE0EEENS1_38merge_mergepath_config_static_selectorELNS0_4arch9wavefront6targetE1EEEvSJ_.num_agpr, 0
	.set _ZN7rocprim17ROCPRIM_400000_NS6detail17trampoline_kernelINS0_14default_configENS1_38merge_sort_block_merge_config_selectorIyyEEZZNS1_27merge_sort_block_merge_implIS3_N6thrust23THRUST_200600_302600_NS6detail15normal_iteratorINS8_10device_ptrIyEEEESD_jNS1_19radix_merge_compareILb0ELb0EyNS0_19identity_decomposerEEEEE10hipError_tT0_T1_T2_jT3_P12ihipStream_tbPNSt15iterator_traitsISI_E10value_typeEPNSO_ISJ_E10value_typeEPSK_NS1_7vsmem_tEENKUlT_SI_SJ_SK_E_clISD_PySD_S10_EESH_SX_SI_SJ_SK_EUlSX_E0_NS1_11comp_targetILNS1_3genE5ELNS1_11target_archE942ELNS1_3gpuE9ELNS1_3repE0EEENS1_38merge_mergepath_config_static_selectorELNS0_4arch9wavefront6targetE1EEEvSJ_.numbered_sgpr, 0
	.set _ZN7rocprim17ROCPRIM_400000_NS6detail17trampoline_kernelINS0_14default_configENS1_38merge_sort_block_merge_config_selectorIyyEEZZNS1_27merge_sort_block_merge_implIS3_N6thrust23THRUST_200600_302600_NS6detail15normal_iteratorINS8_10device_ptrIyEEEESD_jNS1_19radix_merge_compareILb0ELb0EyNS0_19identity_decomposerEEEEE10hipError_tT0_T1_T2_jT3_P12ihipStream_tbPNSt15iterator_traitsISI_E10value_typeEPNSO_ISJ_E10value_typeEPSK_NS1_7vsmem_tEENKUlT_SI_SJ_SK_E_clISD_PySD_S10_EESH_SX_SI_SJ_SK_EUlSX_E0_NS1_11comp_targetILNS1_3genE5ELNS1_11target_archE942ELNS1_3gpuE9ELNS1_3repE0EEENS1_38merge_mergepath_config_static_selectorELNS0_4arch9wavefront6targetE1EEEvSJ_.num_named_barrier, 0
	.set _ZN7rocprim17ROCPRIM_400000_NS6detail17trampoline_kernelINS0_14default_configENS1_38merge_sort_block_merge_config_selectorIyyEEZZNS1_27merge_sort_block_merge_implIS3_N6thrust23THRUST_200600_302600_NS6detail15normal_iteratorINS8_10device_ptrIyEEEESD_jNS1_19radix_merge_compareILb0ELb0EyNS0_19identity_decomposerEEEEE10hipError_tT0_T1_T2_jT3_P12ihipStream_tbPNSt15iterator_traitsISI_E10value_typeEPNSO_ISJ_E10value_typeEPSK_NS1_7vsmem_tEENKUlT_SI_SJ_SK_E_clISD_PySD_S10_EESH_SX_SI_SJ_SK_EUlSX_E0_NS1_11comp_targetILNS1_3genE5ELNS1_11target_archE942ELNS1_3gpuE9ELNS1_3repE0EEENS1_38merge_mergepath_config_static_selectorELNS0_4arch9wavefront6targetE1EEEvSJ_.private_seg_size, 0
	.set _ZN7rocprim17ROCPRIM_400000_NS6detail17trampoline_kernelINS0_14default_configENS1_38merge_sort_block_merge_config_selectorIyyEEZZNS1_27merge_sort_block_merge_implIS3_N6thrust23THRUST_200600_302600_NS6detail15normal_iteratorINS8_10device_ptrIyEEEESD_jNS1_19radix_merge_compareILb0ELb0EyNS0_19identity_decomposerEEEEE10hipError_tT0_T1_T2_jT3_P12ihipStream_tbPNSt15iterator_traitsISI_E10value_typeEPNSO_ISJ_E10value_typeEPSK_NS1_7vsmem_tEENKUlT_SI_SJ_SK_E_clISD_PySD_S10_EESH_SX_SI_SJ_SK_EUlSX_E0_NS1_11comp_targetILNS1_3genE5ELNS1_11target_archE942ELNS1_3gpuE9ELNS1_3repE0EEENS1_38merge_mergepath_config_static_selectorELNS0_4arch9wavefront6targetE1EEEvSJ_.uses_vcc, 0
	.set _ZN7rocprim17ROCPRIM_400000_NS6detail17trampoline_kernelINS0_14default_configENS1_38merge_sort_block_merge_config_selectorIyyEEZZNS1_27merge_sort_block_merge_implIS3_N6thrust23THRUST_200600_302600_NS6detail15normal_iteratorINS8_10device_ptrIyEEEESD_jNS1_19radix_merge_compareILb0ELb0EyNS0_19identity_decomposerEEEEE10hipError_tT0_T1_T2_jT3_P12ihipStream_tbPNSt15iterator_traitsISI_E10value_typeEPNSO_ISJ_E10value_typeEPSK_NS1_7vsmem_tEENKUlT_SI_SJ_SK_E_clISD_PySD_S10_EESH_SX_SI_SJ_SK_EUlSX_E0_NS1_11comp_targetILNS1_3genE5ELNS1_11target_archE942ELNS1_3gpuE9ELNS1_3repE0EEENS1_38merge_mergepath_config_static_selectorELNS0_4arch9wavefront6targetE1EEEvSJ_.uses_flat_scratch, 0
	.set _ZN7rocprim17ROCPRIM_400000_NS6detail17trampoline_kernelINS0_14default_configENS1_38merge_sort_block_merge_config_selectorIyyEEZZNS1_27merge_sort_block_merge_implIS3_N6thrust23THRUST_200600_302600_NS6detail15normal_iteratorINS8_10device_ptrIyEEEESD_jNS1_19radix_merge_compareILb0ELb0EyNS0_19identity_decomposerEEEEE10hipError_tT0_T1_T2_jT3_P12ihipStream_tbPNSt15iterator_traitsISI_E10value_typeEPNSO_ISJ_E10value_typeEPSK_NS1_7vsmem_tEENKUlT_SI_SJ_SK_E_clISD_PySD_S10_EESH_SX_SI_SJ_SK_EUlSX_E0_NS1_11comp_targetILNS1_3genE5ELNS1_11target_archE942ELNS1_3gpuE9ELNS1_3repE0EEENS1_38merge_mergepath_config_static_selectorELNS0_4arch9wavefront6targetE1EEEvSJ_.has_dyn_sized_stack, 0
	.set _ZN7rocprim17ROCPRIM_400000_NS6detail17trampoline_kernelINS0_14default_configENS1_38merge_sort_block_merge_config_selectorIyyEEZZNS1_27merge_sort_block_merge_implIS3_N6thrust23THRUST_200600_302600_NS6detail15normal_iteratorINS8_10device_ptrIyEEEESD_jNS1_19radix_merge_compareILb0ELb0EyNS0_19identity_decomposerEEEEE10hipError_tT0_T1_T2_jT3_P12ihipStream_tbPNSt15iterator_traitsISI_E10value_typeEPNSO_ISJ_E10value_typeEPSK_NS1_7vsmem_tEENKUlT_SI_SJ_SK_E_clISD_PySD_S10_EESH_SX_SI_SJ_SK_EUlSX_E0_NS1_11comp_targetILNS1_3genE5ELNS1_11target_archE942ELNS1_3gpuE9ELNS1_3repE0EEENS1_38merge_mergepath_config_static_selectorELNS0_4arch9wavefront6targetE1EEEvSJ_.has_recursion, 0
	.set _ZN7rocprim17ROCPRIM_400000_NS6detail17trampoline_kernelINS0_14default_configENS1_38merge_sort_block_merge_config_selectorIyyEEZZNS1_27merge_sort_block_merge_implIS3_N6thrust23THRUST_200600_302600_NS6detail15normal_iteratorINS8_10device_ptrIyEEEESD_jNS1_19radix_merge_compareILb0ELb0EyNS0_19identity_decomposerEEEEE10hipError_tT0_T1_T2_jT3_P12ihipStream_tbPNSt15iterator_traitsISI_E10value_typeEPNSO_ISJ_E10value_typeEPSK_NS1_7vsmem_tEENKUlT_SI_SJ_SK_E_clISD_PySD_S10_EESH_SX_SI_SJ_SK_EUlSX_E0_NS1_11comp_targetILNS1_3genE5ELNS1_11target_archE942ELNS1_3gpuE9ELNS1_3repE0EEENS1_38merge_mergepath_config_static_selectorELNS0_4arch9wavefront6targetE1EEEvSJ_.has_indirect_call, 0
	.section	.AMDGPU.csdata,"",@progbits
; Kernel info:
; codeLenInByte = 0
; TotalNumSgprs: 6
; NumVgprs: 0
; NumAgprs: 0
; TotalNumVgprs: 0
; ScratchSize: 0
; MemoryBound: 0
; FloatMode: 240
; IeeeMode: 1
; LDSByteSize: 0 bytes/workgroup (compile time only)
; SGPRBlocks: 0
; VGPRBlocks: 0
; NumSGPRsForWavesPerEU: 6
; NumVGPRsForWavesPerEU: 1
; AccumOffset: 4
; Occupancy: 8
; WaveLimiterHint : 0
; COMPUTE_PGM_RSRC2:SCRATCH_EN: 0
; COMPUTE_PGM_RSRC2:USER_SGPR: 2
; COMPUTE_PGM_RSRC2:TRAP_HANDLER: 0
; COMPUTE_PGM_RSRC2:TGID_X_EN: 1
; COMPUTE_PGM_RSRC2:TGID_Y_EN: 0
; COMPUTE_PGM_RSRC2:TGID_Z_EN: 0
; COMPUTE_PGM_RSRC2:TIDIG_COMP_CNT: 0
; COMPUTE_PGM_RSRC3_GFX90A:ACCUM_OFFSET: 0
; COMPUTE_PGM_RSRC3_GFX90A:TG_SPLIT: 0
	.section	.text._ZN7rocprim17ROCPRIM_400000_NS6detail17trampoline_kernelINS0_14default_configENS1_38merge_sort_block_merge_config_selectorIyyEEZZNS1_27merge_sort_block_merge_implIS3_N6thrust23THRUST_200600_302600_NS6detail15normal_iteratorINS8_10device_ptrIyEEEESD_jNS1_19radix_merge_compareILb0ELb0EyNS0_19identity_decomposerEEEEE10hipError_tT0_T1_T2_jT3_P12ihipStream_tbPNSt15iterator_traitsISI_E10value_typeEPNSO_ISJ_E10value_typeEPSK_NS1_7vsmem_tEENKUlT_SI_SJ_SK_E_clISD_PySD_S10_EESH_SX_SI_SJ_SK_EUlSX_E0_NS1_11comp_targetILNS1_3genE4ELNS1_11target_archE910ELNS1_3gpuE8ELNS1_3repE0EEENS1_38merge_mergepath_config_static_selectorELNS0_4arch9wavefront6targetE1EEEvSJ_,"axG",@progbits,_ZN7rocprim17ROCPRIM_400000_NS6detail17trampoline_kernelINS0_14default_configENS1_38merge_sort_block_merge_config_selectorIyyEEZZNS1_27merge_sort_block_merge_implIS3_N6thrust23THRUST_200600_302600_NS6detail15normal_iteratorINS8_10device_ptrIyEEEESD_jNS1_19radix_merge_compareILb0ELb0EyNS0_19identity_decomposerEEEEE10hipError_tT0_T1_T2_jT3_P12ihipStream_tbPNSt15iterator_traitsISI_E10value_typeEPNSO_ISJ_E10value_typeEPSK_NS1_7vsmem_tEENKUlT_SI_SJ_SK_E_clISD_PySD_S10_EESH_SX_SI_SJ_SK_EUlSX_E0_NS1_11comp_targetILNS1_3genE4ELNS1_11target_archE910ELNS1_3gpuE8ELNS1_3repE0EEENS1_38merge_mergepath_config_static_selectorELNS0_4arch9wavefront6targetE1EEEvSJ_,comdat
	.protected	_ZN7rocprim17ROCPRIM_400000_NS6detail17trampoline_kernelINS0_14default_configENS1_38merge_sort_block_merge_config_selectorIyyEEZZNS1_27merge_sort_block_merge_implIS3_N6thrust23THRUST_200600_302600_NS6detail15normal_iteratorINS8_10device_ptrIyEEEESD_jNS1_19radix_merge_compareILb0ELb0EyNS0_19identity_decomposerEEEEE10hipError_tT0_T1_T2_jT3_P12ihipStream_tbPNSt15iterator_traitsISI_E10value_typeEPNSO_ISJ_E10value_typeEPSK_NS1_7vsmem_tEENKUlT_SI_SJ_SK_E_clISD_PySD_S10_EESH_SX_SI_SJ_SK_EUlSX_E0_NS1_11comp_targetILNS1_3genE4ELNS1_11target_archE910ELNS1_3gpuE8ELNS1_3repE0EEENS1_38merge_mergepath_config_static_selectorELNS0_4arch9wavefront6targetE1EEEvSJ_ ; -- Begin function _ZN7rocprim17ROCPRIM_400000_NS6detail17trampoline_kernelINS0_14default_configENS1_38merge_sort_block_merge_config_selectorIyyEEZZNS1_27merge_sort_block_merge_implIS3_N6thrust23THRUST_200600_302600_NS6detail15normal_iteratorINS8_10device_ptrIyEEEESD_jNS1_19radix_merge_compareILb0ELb0EyNS0_19identity_decomposerEEEEE10hipError_tT0_T1_T2_jT3_P12ihipStream_tbPNSt15iterator_traitsISI_E10value_typeEPNSO_ISJ_E10value_typeEPSK_NS1_7vsmem_tEENKUlT_SI_SJ_SK_E_clISD_PySD_S10_EESH_SX_SI_SJ_SK_EUlSX_E0_NS1_11comp_targetILNS1_3genE4ELNS1_11target_archE910ELNS1_3gpuE8ELNS1_3repE0EEENS1_38merge_mergepath_config_static_selectorELNS0_4arch9wavefront6targetE1EEEvSJ_
	.globl	_ZN7rocprim17ROCPRIM_400000_NS6detail17trampoline_kernelINS0_14default_configENS1_38merge_sort_block_merge_config_selectorIyyEEZZNS1_27merge_sort_block_merge_implIS3_N6thrust23THRUST_200600_302600_NS6detail15normal_iteratorINS8_10device_ptrIyEEEESD_jNS1_19radix_merge_compareILb0ELb0EyNS0_19identity_decomposerEEEEE10hipError_tT0_T1_T2_jT3_P12ihipStream_tbPNSt15iterator_traitsISI_E10value_typeEPNSO_ISJ_E10value_typeEPSK_NS1_7vsmem_tEENKUlT_SI_SJ_SK_E_clISD_PySD_S10_EESH_SX_SI_SJ_SK_EUlSX_E0_NS1_11comp_targetILNS1_3genE4ELNS1_11target_archE910ELNS1_3gpuE8ELNS1_3repE0EEENS1_38merge_mergepath_config_static_selectorELNS0_4arch9wavefront6targetE1EEEvSJ_
	.p2align	8
	.type	_ZN7rocprim17ROCPRIM_400000_NS6detail17trampoline_kernelINS0_14default_configENS1_38merge_sort_block_merge_config_selectorIyyEEZZNS1_27merge_sort_block_merge_implIS3_N6thrust23THRUST_200600_302600_NS6detail15normal_iteratorINS8_10device_ptrIyEEEESD_jNS1_19radix_merge_compareILb0ELb0EyNS0_19identity_decomposerEEEEE10hipError_tT0_T1_T2_jT3_P12ihipStream_tbPNSt15iterator_traitsISI_E10value_typeEPNSO_ISJ_E10value_typeEPSK_NS1_7vsmem_tEENKUlT_SI_SJ_SK_E_clISD_PySD_S10_EESH_SX_SI_SJ_SK_EUlSX_E0_NS1_11comp_targetILNS1_3genE4ELNS1_11target_archE910ELNS1_3gpuE8ELNS1_3repE0EEENS1_38merge_mergepath_config_static_selectorELNS0_4arch9wavefront6targetE1EEEvSJ_,@function
_ZN7rocprim17ROCPRIM_400000_NS6detail17trampoline_kernelINS0_14default_configENS1_38merge_sort_block_merge_config_selectorIyyEEZZNS1_27merge_sort_block_merge_implIS3_N6thrust23THRUST_200600_302600_NS6detail15normal_iteratorINS8_10device_ptrIyEEEESD_jNS1_19radix_merge_compareILb0ELb0EyNS0_19identity_decomposerEEEEE10hipError_tT0_T1_T2_jT3_P12ihipStream_tbPNSt15iterator_traitsISI_E10value_typeEPNSO_ISJ_E10value_typeEPSK_NS1_7vsmem_tEENKUlT_SI_SJ_SK_E_clISD_PySD_S10_EESH_SX_SI_SJ_SK_EUlSX_E0_NS1_11comp_targetILNS1_3genE4ELNS1_11target_archE910ELNS1_3gpuE8ELNS1_3repE0EEENS1_38merge_mergepath_config_static_selectorELNS0_4arch9wavefront6targetE1EEEvSJ_: ; @_ZN7rocprim17ROCPRIM_400000_NS6detail17trampoline_kernelINS0_14default_configENS1_38merge_sort_block_merge_config_selectorIyyEEZZNS1_27merge_sort_block_merge_implIS3_N6thrust23THRUST_200600_302600_NS6detail15normal_iteratorINS8_10device_ptrIyEEEESD_jNS1_19radix_merge_compareILb0ELb0EyNS0_19identity_decomposerEEEEE10hipError_tT0_T1_T2_jT3_P12ihipStream_tbPNSt15iterator_traitsISI_E10value_typeEPNSO_ISJ_E10value_typeEPSK_NS1_7vsmem_tEENKUlT_SI_SJ_SK_E_clISD_PySD_S10_EESH_SX_SI_SJ_SK_EUlSX_E0_NS1_11comp_targetILNS1_3genE4ELNS1_11target_archE910ELNS1_3gpuE8ELNS1_3repE0EEENS1_38merge_mergepath_config_static_selectorELNS0_4arch9wavefront6targetE1EEEvSJ_
; %bb.0:
	.section	.rodata,"a",@progbits
	.p2align	6, 0x0
	.amdhsa_kernel _ZN7rocprim17ROCPRIM_400000_NS6detail17trampoline_kernelINS0_14default_configENS1_38merge_sort_block_merge_config_selectorIyyEEZZNS1_27merge_sort_block_merge_implIS3_N6thrust23THRUST_200600_302600_NS6detail15normal_iteratorINS8_10device_ptrIyEEEESD_jNS1_19radix_merge_compareILb0ELb0EyNS0_19identity_decomposerEEEEE10hipError_tT0_T1_T2_jT3_P12ihipStream_tbPNSt15iterator_traitsISI_E10value_typeEPNSO_ISJ_E10value_typeEPSK_NS1_7vsmem_tEENKUlT_SI_SJ_SK_E_clISD_PySD_S10_EESH_SX_SI_SJ_SK_EUlSX_E0_NS1_11comp_targetILNS1_3genE4ELNS1_11target_archE910ELNS1_3gpuE8ELNS1_3repE0EEENS1_38merge_mergepath_config_static_selectorELNS0_4arch9wavefront6targetE1EEEvSJ_
		.amdhsa_group_segment_fixed_size 0
		.amdhsa_private_segment_fixed_size 0
		.amdhsa_kernarg_size 64
		.amdhsa_user_sgpr_count 2
		.amdhsa_user_sgpr_dispatch_ptr 0
		.amdhsa_user_sgpr_queue_ptr 0
		.amdhsa_user_sgpr_kernarg_segment_ptr 1
		.amdhsa_user_sgpr_dispatch_id 0
		.amdhsa_user_sgpr_kernarg_preload_length 0
		.amdhsa_user_sgpr_kernarg_preload_offset 0
		.amdhsa_user_sgpr_private_segment_size 0
		.amdhsa_uses_dynamic_stack 0
		.amdhsa_enable_private_segment 0
		.amdhsa_system_sgpr_workgroup_id_x 1
		.amdhsa_system_sgpr_workgroup_id_y 0
		.amdhsa_system_sgpr_workgroup_id_z 0
		.amdhsa_system_sgpr_workgroup_info 0
		.amdhsa_system_vgpr_workitem_id 0
		.amdhsa_next_free_vgpr 1
		.amdhsa_next_free_sgpr 0
		.amdhsa_accum_offset 4
		.amdhsa_reserve_vcc 0
		.amdhsa_float_round_mode_32 0
		.amdhsa_float_round_mode_16_64 0
		.amdhsa_float_denorm_mode_32 3
		.amdhsa_float_denorm_mode_16_64 3
		.amdhsa_dx10_clamp 1
		.amdhsa_ieee_mode 1
		.amdhsa_fp16_overflow 0
		.amdhsa_tg_split 0
		.amdhsa_exception_fp_ieee_invalid_op 0
		.amdhsa_exception_fp_denorm_src 0
		.amdhsa_exception_fp_ieee_div_zero 0
		.amdhsa_exception_fp_ieee_overflow 0
		.amdhsa_exception_fp_ieee_underflow 0
		.amdhsa_exception_fp_ieee_inexact 0
		.amdhsa_exception_int_div_zero 0
	.end_amdhsa_kernel
	.section	.text._ZN7rocprim17ROCPRIM_400000_NS6detail17trampoline_kernelINS0_14default_configENS1_38merge_sort_block_merge_config_selectorIyyEEZZNS1_27merge_sort_block_merge_implIS3_N6thrust23THRUST_200600_302600_NS6detail15normal_iteratorINS8_10device_ptrIyEEEESD_jNS1_19radix_merge_compareILb0ELb0EyNS0_19identity_decomposerEEEEE10hipError_tT0_T1_T2_jT3_P12ihipStream_tbPNSt15iterator_traitsISI_E10value_typeEPNSO_ISJ_E10value_typeEPSK_NS1_7vsmem_tEENKUlT_SI_SJ_SK_E_clISD_PySD_S10_EESH_SX_SI_SJ_SK_EUlSX_E0_NS1_11comp_targetILNS1_3genE4ELNS1_11target_archE910ELNS1_3gpuE8ELNS1_3repE0EEENS1_38merge_mergepath_config_static_selectorELNS0_4arch9wavefront6targetE1EEEvSJ_,"axG",@progbits,_ZN7rocprim17ROCPRIM_400000_NS6detail17trampoline_kernelINS0_14default_configENS1_38merge_sort_block_merge_config_selectorIyyEEZZNS1_27merge_sort_block_merge_implIS3_N6thrust23THRUST_200600_302600_NS6detail15normal_iteratorINS8_10device_ptrIyEEEESD_jNS1_19radix_merge_compareILb0ELb0EyNS0_19identity_decomposerEEEEE10hipError_tT0_T1_T2_jT3_P12ihipStream_tbPNSt15iterator_traitsISI_E10value_typeEPNSO_ISJ_E10value_typeEPSK_NS1_7vsmem_tEENKUlT_SI_SJ_SK_E_clISD_PySD_S10_EESH_SX_SI_SJ_SK_EUlSX_E0_NS1_11comp_targetILNS1_3genE4ELNS1_11target_archE910ELNS1_3gpuE8ELNS1_3repE0EEENS1_38merge_mergepath_config_static_selectorELNS0_4arch9wavefront6targetE1EEEvSJ_,comdat
.Lfunc_end431:
	.size	_ZN7rocprim17ROCPRIM_400000_NS6detail17trampoline_kernelINS0_14default_configENS1_38merge_sort_block_merge_config_selectorIyyEEZZNS1_27merge_sort_block_merge_implIS3_N6thrust23THRUST_200600_302600_NS6detail15normal_iteratorINS8_10device_ptrIyEEEESD_jNS1_19radix_merge_compareILb0ELb0EyNS0_19identity_decomposerEEEEE10hipError_tT0_T1_T2_jT3_P12ihipStream_tbPNSt15iterator_traitsISI_E10value_typeEPNSO_ISJ_E10value_typeEPSK_NS1_7vsmem_tEENKUlT_SI_SJ_SK_E_clISD_PySD_S10_EESH_SX_SI_SJ_SK_EUlSX_E0_NS1_11comp_targetILNS1_3genE4ELNS1_11target_archE910ELNS1_3gpuE8ELNS1_3repE0EEENS1_38merge_mergepath_config_static_selectorELNS0_4arch9wavefront6targetE1EEEvSJ_, .Lfunc_end431-_ZN7rocprim17ROCPRIM_400000_NS6detail17trampoline_kernelINS0_14default_configENS1_38merge_sort_block_merge_config_selectorIyyEEZZNS1_27merge_sort_block_merge_implIS3_N6thrust23THRUST_200600_302600_NS6detail15normal_iteratorINS8_10device_ptrIyEEEESD_jNS1_19radix_merge_compareILb0ELb0EyNS0_19identity_decomposerEEEEE10hipError_tT0_T1_T2_jT3_P12ihipStream_tbPNSt15iterator_traitsISI_E10value_typeEPNSO_ISJ_E10value_typeEPSK_NS1_7vsmem_tEENKUlT_SI_SJ_SK_E_clISD_PySD_S10_EESH_SX_SI_SJ_SK_EUlSX_E0_NS1_11comp_targetILNS1_3genE4ELNS1_11target_archE910ELNS1_3gpuE8ELNS1_3repE0EEENS1_38merge_mergepath_config_static_selectorELNS0_4arch9wavefront6targetE1EEEvSJ_
                                        ; -- End function
	.set _ZN7rocprim17ROCPRIM_400000_NS6detail17trampoline_kernelINS0_14default_configENS1_38merge_sort_block_merge_config_selectorIyyEEZZNS1_27merge_sort_block_merge_implIS3_N6thrust23THRUST_200600_302600_NS6detail15normal_iteratorINS8_10device_ptrIyEEEESD_jNS1_19radix_merge_compareILb0ELb0EyNS0_19identity_decomposerEEEEE10hipError_tT0_T1_T2_jT3_P12ihipStream_tbPNSt15iterator_traitsISI_E10value_typeEPNSO_ISJ_E10value_typeEPSK_NS1_7vsmem_tEENKUlT_SI_SJ_SK_E_clISD_PySD_S10_EESH_SX_SI_SJ_SK_EUlSX_E0_NS1_11comp_targetILNS1_3genE4ELNS1_11target_archE910ELNS1_3gpuE8ELNS1_3repE0EEENS1_38merge_mergepath_config_static_selectorELNS0_4arch9wavefront6targetE1EEEvSJ_.num_vgpr, 0
	.set _ZN7rocprim17ROCPRIM_400000_NS6detail17trampoline_kernelINS0_14default_configENS1_38merge_sort_block_merge_config_selectorIyyEEZZNS1_27merge_sort_block_merge_implIS3_N6thrust23THRUST_200600_302600_NS6detail15normal_iteratorINS8_10device_ptrIyEEEESD_jNS1_19radix_merge_compareILb0ELb0EyNS0_19identity_decomposerEEEEE10hipError_tT0_T1_T2_jT3_P12ihipStream_tbPNSt15iterator_traitsISI_E10value_typeEPNSO_ISJ_E10value_typeEPSK_NS1_7vsmem_tEENKUlT_SI_SJ_SK_E_clISD_PySD_S10_EESH_SX_SI_SJ_SK_EUlSX_E0_NS1_11comp_targetILNS1_3genE4ELNS1_11target_archE910ELNS1_3gpuE8ELNS1_3repE0EEENS1_38merge_mergepath_config_static_selectorELNS0_4arch9wavefront6targetE1EEEvSJ_.num_agpr, 0
	.set _ZN7rocprim17ROCPRIM_400000_NS6detail17trampoline_kernelINS0_14default_configENS1_38merge_sort_block_merge_config_selectorIyyEEZZNS1_27merge_sort_block_merge_implIS3_N6thrust23THRUST_200600_302600_NS6detail15normal_iteratorINS8_10device_ptrIyEEEESD_jNS1_19radix_merge_compareILb0ELb0EyNS0_19identity_decomposerEEEEE10hipError_tT0_T1_T2_jT3_P12ihipStream_tbPNSt15iterator_traitsISI_E10value_typeEPNSO_ISJ_E10value_typeEPSK_NS1_7vsmem_tEENKUlT_SI_SJ_SK_E_clISD_PySD_S10_EESH_SX_SI_SJ_SK_EUlSX_E0_NS1_11comp_targetILNS1_3genE4ELNS1_11target_archE910ELNS1_3gpuE8ELNS1_3repE0EEENS1_38merge_mergepath_config_static_selectorELNS0_4arch9wavefront6targetE1EEEvSJ_.numbered_sgpr, 0
	.set _ZN7rocprim17ROCPRIM_400000_NS6detail17trampoline_kernelINS0_14default_configENS1_38merge_sort_block_merge_config_selectorIyyEEZZNS1_27merge_sort_block_merge_implIS3_N6thrust23THRUST_200600_302600_NS6detail15normal_iteratorINS8_10device_ptrIyEEEESD_jNS1_19radix_merge_compareILb0ELb0EyNS0_19identity_decomposerEEEEE10hipError_tT0_T1_T2_jT3_P12ihipStream_tbPNSt15iterator_traitsISI_E10value_typeEPNSO_ISJ_E10value_typeEPSK_NS1_7vsmem_tEENKUlT_SI_SJ_SK_E_clISD_PySD_S10_EESH_SX_SI_SJ_SK_EUlSX_E0_NS1_11comp_targetILNS1_3genE4ELNS1_11target_archE910ELNS1_3gpuE8ELNS1_3repE0EEENS1_38merge_mergepath_config_static_selectorELNS0_4arch9wavefront6targetE1EEEvSJ_.num_named_barrier, 0
	.set _ZN7rocprim17ROCPRIM_400000_NS6detail17trampoline_kernelINS0_14default_configENS1_38merge_sort_block_merge_config_selectorIyyEEZZNS1_27merge_sort_block_merge_implIS3_N6thrust23THRUST_200600_302600_NS6detail15normal_iteratorINS8_10device_ptrIyEEEESD_jNS1_19radix_merge_compareILb0ELb0EyNS0_19identity_decomposerEEEEE10hipError_tT0_T1_T2_jT3_P12ihipStream_tbPNSt15iterator_traitsISI_E10value_typeEPNSO_ISJ_E10value_typeEPSK_NS1_7vsmem_tEENKUlT_SI_SJ_SK_E_clISD_PySD_S10_EESH_SX_SI_SJ_SK_EUlSX_E0_NS1_11comp_targetILNS1_3genE4ELNS1_11target_archE910ELNS1_3gpuE8ELNS1_3repE0EEENS1_38merge_mergepath_config_static_selectorELNS0_4arch9wavefront6targetE1EEEvSJ_.private_seg_size, 0
	.set _ZN7rocprim17ROCPRIM_400000_NS6detail17trampoline_kernelINS0_14default_configENS1_38merge_sort_block_merge_config_selectorIyyEEZZNS1_27merge_sort_block_merge_implIS3_N6thrust23THRUST_200600_302600_NS6detail15normal_iteratorINS8_10device_ptrIyEEEESD_jNS1_19radix_merge_compareILb0ELb0EyNS0_19identity_decomposerEEEEE10hipError_tT0_T1_T2_jT3_P12ihipStream_tbPNSt15iterator_traitsISI_E10value_typeEPNSO_ISJ_E10value_typeEPSK_NS1_7vsmem_tEENKUlT_SI_SJ_SK_E_clISD_PySD_S10_EESH_SX_SI_SJ_SK_EUlSX_E0_NS1_11comp_targetILNS1_3genE4ELNS1_11target_archE910ELNS1_3gpuE8ELNS1_3repE0EEENS1_38merge_mergepath_config_static_selectorELNS0_4arch9wavefront6targetE1EEEvSJ_.uses_vcc, 0
	.set _ZN7rocprim17ROCPRIM_400000_NS6detail17trampoline_kernelINS0_14default_configENS1_38merge_sort_block_merge_config_selectorIyyEEZZNS1_27merge_sort_block_merge_implIS3_N6thrust23THRUST_200600_302600_NS6detail15normal_iteratorINS8_10device_ptrIyEEEESD_jNS1_19radix_merge_compareILb0ELb0EyNS0_19identity_decomposerEEEEE10hipError_tT0_T1_T2_jT3_P12ihipStream_tbPNSt15iterator_traitsISI_E10value_typeEPNSO_ISJ_E10value_typeEPSK_NS1_7vsmem_tEENKUlT_SI_SJ_SK_E_clISD_PySD_S10_EESH_SX_SI_SJ_SK_EUlSX_E0_NS1_11comp_targetILNS1_3genE4ELNS1_11target_archE910ELNS1_3gpuE8ELNS1_3repE0EEENS1_38merge_mergepath_config_static_selectorELNS0_4arch9wavefront6targetE1EEEvSJ_.uses_flat_scratch, 0
	.set _ZN7rocprim17ROCPRIM_400000_NS6detail17trampoline_kernelINS0_14default_configENS1_38merge_sort_block_merge_config_selectorIyyEEZZNS1_27merge_sort_block_merge_implIS3_N6thrust23THRUST_200600_302600_NS6detail15normal_iteratorINS8_10device_ptrIyEEEESD_jNS1_19radix_merge_compareILb0ELb0EyNS0_19identity_decomposerEEEEE10hipError_tT0_T1_T2_jT3_P12ihipStream_tbPNSt15iterator_traitsISI_E10value_typeEPNSO_ISJ_E10value_typeEPSK_NS1_7vsmem_tEENKUlT_SI_SJ_SK_E_clISD_PySD_S10_EESH_SX_SI_SJ_SK_EUlSX_E0_NS1_11comp_targetILNS1_3genE4ELNS1_11target_archE910ELNS1_3gpuE8ELNS1_3repE0EEENS1_38merge_mergepath_config_static_selectorELNS0_4arch9wavefront6targetE1EEEvSJ_.has_dyn_sized_stack, 0
	.set _ZN7rocprim17ROCPRIM_400000_NS6detail17trampoline_kernelINS0_14default_configENS1_38merge_sort_block_merge_config_selectorIyyEEZZNS1_27merge_sort_block_merge_implIS3_N6thrust23THRUST_200600_302600_NS6detail15normal_iteratorINS8_10device_ptrIyEEEESD_jNS1_19radix_merge_compareILb0ELb0EyNS0_19identity_decomposerEEEEE10hipError_tT0_T1_T2_jT3_P12ihipStream_tbPNSt15iterator_traitsISI_E10value_typeEPNSO_ISJ_E10value_typeEPSK_NS1_7vsmem_tEENKUlT_SI_SJ_SK_E_clISD_PySD_S10_EESH_SX_SI_SJ_SK_EUlSX_E0_NS1_11comp_targetILNS1_3genE4ELNS1_11target_archE910ELNS1_3gpuE8ELNS1_3repE0EEENS1_38merge_mergepath_config_static_selectorELNS0_4arch9wavefront6targetE1EEEvSJ_.has_recursion, 0
	.set _ZN7rocprim17ROCPRIM_400000_NS6detail17trampoline_kernelINS0_14default_configENS1_38merge_sort_block_merge_config_selectorIyyEEZZNS1_27merge_sort_block_merge_implIS3_N6thrust23THRUST_200600_302600_NS6detail15normal_iteratorINS8_10device_ptrIyEEEESD_jNS1_19radix_merge_compareILb0ELb0EyNS0_19identity_decomposerEEEEE10hipError_tT0_T1_T2_jT3_P12ihipStream_tbPNSt15iterator_traitsISI_E10value_typeEPNSO_ISJ_E10value_typeEPSK_NS1_7vsmem_tEENKUlT_SI_SJ_SK_E_clISD_PySD_S10_EESH_SX_SI_SJ_SK_EUlSX_E0_NS1_11comp_targetILNS1_3genE4ELNS1_11target_archE910ELNS1_3gpuE8ELNS1_3repE0EEENS1_38merge_mergepath_config_static_selectorELNS0_4arch9wavefront6targetE1EEEvSJ_.has_indirect_call, 0
	.section	.AMDGPU.csdata,"",@progbits
; Kernel info:
; codeLenInByte = 0
; TotalNumSgprs: 6
; NumVgprs: 0
; NumAgprs: 0
; TotalNumVgprs: 0
; ScratchSize: 0
; MemoryBound: 0
; FloatMode: 240
; IeeeMode: 1
; LDSByteSize: 0 bytes/workgroup (compile time only)
; SGPRBlocks: 0
; VGPRBlocks: 0
; NumSGPRsForWavesPerEU: 6
; NumVGPRsForWavesPerEU: 1
; AccumOffset: 4
; Occupancy: 8
; WaveLimiterHint : 0
; COMPUTE_PGM_RSRC2:SCRATCH_EN: 0
; COMPUTE_PGM_RSRC2:USER_SGPR: 2
; COMPUTE_PGM_RSRC2:TRAP_HANDLER: 0
; COMPUTE_PGM_RSRC2:TGID_X_EN: 1
; COMPUTE_PGM_RSRC2:TGID_Y_EN: 0
; COMPUTE_PGM_RSRC2:TGID_Z_EN: 0
; COMPUTE_PGM_RSRC2:TIDIG_COMP_CNT: 0
; COMPUTE_PGM_RSRC3_GFX90A:ACCUM_OFFSET: 0
; COMPUTE_PGM_RSRC3_GFX90A:TG_SPLIT: 0
	.section	.text._ZN7rocprim17ROCPRIM_400000_NS6detail17trampoline_kernelINS0_14default_configENS1_38merge_sort_block_merge_config_selectorIyyEEZZNS1_27merge_sort_block_merge_implIS3_N6thrust23THRUST_200600_302600_NS6detail15normal_iteratorINS8_10device_ptrIyEEEESD_jNS1_19radix_merge_compareILb0ELb0EyNS0_19identity_decomposerEEEEE10hipError_tT0_T1_T2_jT3_P12ihipStream_tbPNSt15iterator_traitsISI_E10value_typeEPNSO_ISJ_E10value_typeEPSK_NS1_7vsmem_tEENKUlT_SI_SJ_SK_E_clISD_PySD_S10_EESH_SX_SI_SJ_SK_EUlSX_E0_NS1_11comp_targetILNS1_3genE3ELNS1_11target_archE908ELNS1_3gpuE7ELNS1_3repE0EEENS1_38merge_mergepath_config_static_selectorELNS0_4arch9wavefront6targetE1EEEvSJ_,"axG",@progbits,_ZN7rocprim17ROCPRIM_400000_NS6detail17trampoline_kernelINS0_14default_configENS1_38merge_sort_block_merge_config_selectorIyyEEZZNS1_27merge_sort_block_merge_implIS3_N6thrust23THRUST_200600_302600_NS6detail15normal_iteratorINS8_10device_ptrIyEEEESD_jNS1_19radix_merge_compareILb0ELb0EyNS0_19identity_decomposerEEEEE10hipError_tT0_T1_T2_jT3_P12ihipStream_tbPNSt15iterator_traitsISI_E10value_typeEPNSO_ISJ_E10value_typeEPSK_NS1_7vsmem_tEENKUlT_SI_SJ_SK_E_clISD_PySD_S10_EESH_SX_SI_SJ_SK_EUlSX_E0_NS1_11comp_targetILNS1_3genE3ELNS1_11target_archE908ELNS1_3gpuE7ELNS1_3repE0EEENS1_38merge_mergepath_config_static_selectorELNS0_4arch9wavefront6targetE1EEEvSJ_,comdat
	.protected	_ZN7rocprim17ROCPRIM_400000_NS6detail17trampoline_kernelINS0_14default_configENS1_38merge_sort_block_merge_config_selectorIyyEEZZNS1_27merge_sort_block_merge_implIS3_N6thrust23THRUST_200600_302600_NS6detail15normal_iteratorINS8_10device_ptrIyEEEESD_jNS1_19radix_merge_compareILb0ELb0EyNS0_19identity_decomposerEEEEE10hipError_tT0_T1_T2_jT3_P12ihipStream_tbPNSt15iterator_traitsISI_E10value_typeEPNSO_ISJ_E10value_typeEPSK_NS1_7vsmem_tEENKUlT_SI_SJ_SK_E_clISD_PySD_S10_EESH_SX_SI_SJ_SK_EUlSX_E0_NS1_11comp_targetILNS1_3genE3ELNS1_11target_archE908ELNS1_3gpuE7ELNS1_3repE0EEENS1_38merge_mergepath_config_static_selectorELNS0_4arch9wavefront6targetE1EEEvSJ_ ; -- Begin function _ZN7rocprim17ROCPRIM_400000_NS6detail17trampoline_kernelINS0_14default_configENS1_38merge_sort_block_merge_config_selectorIyyEEZZNS1_27merge_sort_block_merge_implIS3_N6thrust23THRUST_200600_302600_NS6detail15normal_iteratorINS8_10device_ptrIyEEEESD_jNS1_19radix_merge_compareILb0ELb0EyNS0_19identity_decomposerEEEEE10hipError_tT0_T1_T2_jT3_P12ihipStream_tbPNSt15iterator_traitsISI_E10value_typeEPNSO_ISJ_E10value_typeEPSK_NS1_7vsmem_tEENKUlT_SI_SJ_SK_E_clISD_PySD_S10_EESH_SX_SI_SJ_SK_EUlSX_E0_NS1_11comp_targetILNS1_3genE3ELNS1_11target_archE908ELNS1_3gpuE7ELNS1_3repE0EEENS1_38merge_mergepath_config_static_selectorELNS0_4arch9wavefront6targetE1EEEvSJ_
	.globl	_ZN7rocprim17ROCPRIM_400000_NS6detail17trampoline_kernelINS0_14default_configENS1_38merge_sort_block_merge_config_selectorIyyEEZZNS1_27merge_sort_block_merge_implIS3_N6thrust23THRUST_200600_302600_NS6detail15normal_iteratorINS8_10device_ptrIyEEEESD_jNS1_19radix_merge_compareILb0ELb0EyNS0_19identity_decomposerEEEEE10hipError_tT0_T1_T2_jT3_P12ihipStream_tbPNSt15iterator_traitsISI_E10value_typeEPNSO_ISJ_E10value_typeEPSK_NS1_7vsmem_tEENKUlT_SI_SJ_SK_E_clISD_PySD_S10_EESH_SX_SI_SJ_SK_EUlSX_E0_NS1_11comp_targetILNS1_3genE3ELNS1_11target_archE908ELNS1_3gpuE7ELNS1_3repE0EEENS1_38merge_mergepath_config_static_selectorELNS0_4arch9wavefront6targetE1EEEvSJ_
	.p2align	8
	.type	_ZN7rocprim17ROCPRIM_400000_NS6detail17trampoline_kernelINS0_14default_configENS1_38merge_sort_block_merge_config_selectorIyyEEZZNS1_27merge_sort_block_merge_implIS3_N6thrust23THRUST_200600_302600_NS6detail15normal_iteratorINS8_10device_ptrIyEEEESD_jNS1_19radix_merge_compareILb0ELb0EyNS0_19identity_decomposerEEEEE10hipError_tT0_T1_T2_jT3_P12ihipStream_tbPNSt15iterator_traitsISI_E10value_typeEPNSO_ISJ_E10value_typeEPSK_NS1_7vsmem_tEENKUlT_SI_SJ_SK_E_clISD_PySD_S10_EESH_SX_SI_SJ_SK_EUlSX_E0_NS1_11comp_targetILNS1_3genE3ELNS1_11target_archE908ELNS1_3gpuE7ELNS1_3repE0EEENS1_38merge_mergepath_config_static_selectorELNS0_4arch9wavefront6targetE1EEEvSJ_,@function
_ZN7rocprim17ROCPRIM_400000_NS6detail17trampoline_kernelINS0_14default_configENS1_38merge_sort_block_merge_config_selectorIyyEEZZNS1_27merge_sort_block_merge_implIS3_N6thrust23THRUST_200600_302600_NS6detail15normal_iteratorINS8_10device_ptrIyEEEESD_jNS1_19radix_merge_compareILb0ELb0EyNS0_19identity_decomposerEEEEE10hipError_tT0_T1_T2_jT3_P12ihipStream_tbPNSt15iterator_traitsISI_E10value_typeEPNSO_ISJ_E10value_typeEPSK_NS1_7vsmem_tEENKUlT_SI_SJ_SK_E_clISD_PySD_S10_EESH_SX_SI_SJ_SK_EUlSX_E0_NS1_11comp_targetILNS1_3genE3ELNS1_11target_archE908ELNS1_3gpuE7ELNS1_3repE0EEENS1_38merge_mergepath_config_static_selectorELNS0_4arch9wavefront6targetE1EEEvSJ_: ; @_ZN7rocprim17ROCPRIM_400000_NS6detail17trampoline_kernelINS0_14default_configENS1_38merge_sort_block_merge_config_selectorIyyEEZZNS1_27merge_sort_block_merge_implIS3_N6thrust23THRUST_200600_302600_NS6detail15normal_iteratorINS8_10device_ptrIyEEEESD_jNS1_19radix_merge_compareILb0ELb0EyNS0_19identity_decomposerEEEEE10hipError_tT0_T1_T2_jT3_P12ihipStream_tbPNSt15iterator_traitsISI_E10value_typeEPNSO_ISJ_E10value_typeEPSK_NS1_7vsmem_tEENKUlT_SI_SJ_SK_E_clISD_PySD_S10_EESH_SX_SI_SJ_SK_EUlSX_E0_NS1_11comp_targetILNS1_3genE3ELNS1_11target_archE908ELNS1_3gpuE7ELNS1_3repE0EEENS1_38merge_mergepath_config_static_selectorELNS0_4arch9wavefront6targetE1EEEvSJ_
; %bb.0:
	.section	.rodata,"a",@progbits
	.p2align	6, 0x0
	.amdhsa_kernel _ZN7rocprim17ROCPRIM_400000_NS6detail17trampoline_kernelINS0_14default_configENS1_38merge_sort_block_merge_config_selectorIyyEEZZNS1_27merge_sort_block_merge_implIS3_N6thrust23THRUST_200600_302600_NS6detail15normal_iteratorINS8_10device_ptrIyEEEESD_jNS1_19radix_merge_compareILb0ELb0EyNS0_19identity_decomposerEEEEE10hipError_tT0_T1_T2_jT3_P12ihipStream_tbPNSt15iterator_traitsISI_E10value_typeEPNSO_ISJ_E10value_typeEPSK_NS1_7vsmem_tEENKUlT_SI_SJ_SK_E_clISD_PySD_S10_EESH_SX_SI_SJ_SK_EUlSX_E0_NS1_11comp_targetILNS1_3genE3ELNS1_11target_archE908ELNS1_3gpuE7ELNS1_3repE0EEENS1_38merge_mergepath_config_static_selectorELNS0_4arch9wavefront6targetE1EEEvSJ_
		.amdhsa_group_segment_fixed_size 0
		.amdhsa_private_segment_fixed_size 0
		.amdhsa_kernarg_size 64
		.amdhsa_user_sgpr_count 2
		.amdhsa_user_sgpr_dispatch_ptr 0
		.amdhsa_user_sgpr_queue_ptr 0
		.amdhsa_user_sgpr_kernarg_segment_ptr 1
		.amdhsa_user_sgpr_dispatch_id 0
		.amdhsa_user_sgpr_kernarg_preload_length 0
		.amdhsa_user_sgpr_kernarg_preload_offset 0
		.amdhsa_user_sgpr_private_segment_size 0
		.amdhsa_uses_dynamic_stack 0
		.amdhsa_enable_private_segment 0
		.amdhsa_system_sgpr_workgroup_id_x 1
		.amdhsa_system_sgpr_workgroup_id_y 0
		.amdhsa_system_sgpr_workgroup_id_z 0
		.amdhsa_system_sgpr_workgroup_info 0
		.amdhsa_system_vgpr_workitem_id 0
		.amdhsa_next_free_vgpr 1
		.amdhsa_next_free_sgpr 0
		.amdhsa_accum_offset 4
		.amdhsa_reserve_vcc 0
		.amdhsa_float_round_mode_32 0
		.amdhsa_float_round_mode_16_64 0
		.amdhsa_float_denorm_mode_32 3
		.amdhsa_float_denorm_mode_16_64 3
		.amdhsa_dx10_clamp 1
		.amdhsa_ieee_mode 1
		.amdhsa_fp16_overflow 0
		.amdhsa_tg_split 0
		.amdhsa_exception_fp_ieee_invalid_op 0
		.amdhsa_exception_fp_denorm_src 0
		.amdhsa_exception_fp_ieee_div_zero 0
		.amdhsa_exception_fp_ieee_overflow 0
		.amdhsa_exception_fp_ieee_underflow 0
		.amdhsa_exception_fp_ieee_inexact 0
		.amdhsa_exception_int_div_zero 0
	.end_amdhsa_kernel
	.section	.text._ZN7rocprim17ROCPRIM_400000_NS6detail17trampoline_kernelINS0_14default_configENS1_38merge_sort_block_merge_config_selectorIyyEEZZNS1_27merge_sort_block_merge_implIS3_N6thrust23THRUST_200600_302600_NS6detail15normal_iteratorINS8_10device_ptrIyEEEESD_jNS1_19radix_merge_compareILb0ELb0EyNS0_19identity_decomposerEEEEE10hipError_tT0_T1_T2_jT3_P12ihipStream_tbPNSt15iterator_traitsISI_E10value_typeEPNSO_ISJ_E10value_typeEPSK_NS1_7vsmem_tEENKUlT_SI_SJ_SK_E_clISD_PySD_S10_EESH_SX_SI_SJ_SK_EUlSX_E0_NS1_11comp_targetILNS1_3genE3ELNS1_11target_archE908ELNS1_3gpuE7ELNS1_3repE0EEENS1_38merge_mergepath_config_static_selectorELNS0_4arch9wavefront6targetE1EEEvSJ_,"axG",@progbits,_ZN7rocprim17ROCPRIM_400000_NS6detail17trampoline_kernelINS0_14default_configENS1_38merge_sort_block_merge_config_selectorIyyEEZZNS1_27merge_sort_block_merge_implIS3_N6thrust23THRUST_200600_302600_NS6detail15normal_iteratorINS8_10device_ptrIyEEEESD_jNS1_19radix_merge_compareILb0ELb0EyNS0_19identity_decomposerEEEEE10hipError_tT0_T1_T2_jT3_P12ihipStream_tbPNSt15iterator_traitsISI_E10value_typeEPNSO_ISJ_E10value_typeEPSK_NS1_7vsmem_tEENKUlT_SI_SJ_SK_E_clISD_PySD_S10_EESH_SX_SI_SJ_SK_EUlSX_E0_NS1_11comp_targetILNS1_3genE3ELNS1_11target_archE908ELNS1_3gpuE7ELNS1_3repE0EEENS1_38merge_mergepath_config_static_selectorELNS0_4arch9wavefront6targetE1EEEvSJ_,comdat
.Lfunc_end432:
	.size	_ZN7rocprim17ROCPRIM_400000_NS6detail17trampoline_kernelINS0_14default_configENS1_38merge_sort_block_merge_config_selectorIyyEEZZNS1_27merge_sort_block_merge_implIS3_N6thrust23THRUST_200600_302600_NS6detail15normal_iteratorINS8_10device_ptrIyEEEESD_jNS1_19radix_merge_compareILb0ELb0EyNS0_19identity_decomposerEEEEE10hipError_tT0_T1_T2_jT3_P12ihipStream_tbPNSt15iterator_traitsISI_E10value_typeEPNSO_ISJ_E10value_typeEPSK_NS1_7vsmem_tEENKUlT_SI_SJ_SK_E_clISD_PySD_S10_EESH_SX_SI_SJ_SK_EUlSX_E0_NS1_11comp_targetILNS1_3genE3ELNS1_11target_archE908ELNS1_3gpuE7ELNS1_3repE0EEENS1_38merge_mergepath_config_static_selectorELNS0_4arch9wavefront6targetE1EEEvSJ_, .Lfunc_end432-_ZN7rocprim17ROCPRIM_400000_NS6detail17trampoline_kernelINS0_14default_configENS1_38merge_sort_block_merge_config_selectorIyyEEZZNS1_27merge_sort_block_merge_implIS3_N6thrust23THRUST_200600_302600_NS6detail15normal_iteratorINS8_10device_ptrIyEEEESD_jNS1_19radix_merge_compareILb0ELb0EyNS0_19identity_decomposerEEEEE10hipError_tT0_T1_T2_jT3_P12ihipStream_tbPNSt15iterator_traitsISI_E10value_typeEPNSO_ISJ_E10value_typeEPSK_NS1_7vsmem_tEENKUlT_SI_SJ_SK_E_clISD_PySD_S10_EESH_SX_SI_SJ_SK_EUlSX_E0_NS1_11comp_targetILNS1_3genE3ELNS1_11target_archE908ELNS1_3gpuE7ELNS1_3repE0EEENS1_38merge_mergepath_config_static_selectorELNS0_4arch9wavefront6targetE1EEEvSJ_
                                        ; -- End function
	.set _ZN7rocprim17ROCPRIM_400000_NS6detail17trampoline_kernelINS0_14default_configENS1_38merge_sort_block_merge_config_selectorIyyEEZZNS1_27merge_sort_block_merge_implIS3_N6thrust23THRUST_200600_302600_NS6detail15normal_iteratorINS8_10device_ptrIyEEEESD_jNS1_19radix_merge_compareILb0ELb0EyNS0_19identity_decomposerEEEEE10hipError_tT0_T1_T2_jT3_P12ihipStream_tbPNSt15iterator_traitsISI_E10value_typeEPNSO_ISJ_E10value_typeEPSK_NS1_7vsmem_tEENKUlT_SI_SJ_SK_E_clISD_PySD_S10_EESH_SX_SI_SJ_SK_EUlSX_E0_NS1_11comp_targetILNS1_3genE3ELNS1_11target_archE908ELNS1_3gpuE7ELNS1_3repE0EEENS1_38merge_mergepath_config_static_selectorELNS0_4arch9wavefront6targetE1EEEvSJ_.num_vgpr, 0
	.set _ZN7rocprim17ROCPRIM_400000_NS6detail17trampoline_kernelINS0_14default_configENS1_38merge_sort_block_merge_config_selectorIyyEEZZNS1_27merge_sort_block_merge_implIS3_N6thrust23THRUST_200600_302600_NS6detail15normal_iteratorINS8_10device_ptrIyEEEESD_jNS1_19radix_merge_compareILb0ELb0EyNS0_19identity_decomposerEEEEE10hipError_tT0_T1_T2_jT3_P12ihipStream_tbPNSt15iterator_traitsISI_E10value_typeEPNSO_ISJ_E10value_typeEPSK_NS1_7vsmem_tEENKUlT_SI_SJ_SK_E_clISD_PySD_S10_EESH_SX_SI_SJ_SK_EUlSX_E0_NS1_11comp_targetILNS1_3genE3ELNS1_11target_archE908ELNS1_3gpuE7ELNS1_3repE0EEENS1_38merge_mergepath_config_static_selectorELNS0_4arch9wavefront6targetE1EEEvSJ_.num_agpr, 0
	.set _ZN7rocprim17ROCPRIM_400000_NS6detail17trampoline_kernelINS0_14default_configENS1_38merge_sort_block_merge_config_selectorIyyEEZZNS1_27merge_sort_block_merge_implIS3_N6thrust23THRUST_200600_302600_NS6detail15normal_iteratorINS8_10device_ptrIyEEEESD_jNS1_19radix_merge_compareILb0ELb0EyNS0_19identity_decomposerEEEEE10hipError_tT0_T1_T2_jT3_P12ihipStream_tbPNSt15iterator_traitsISI_E10value_typeEPNSO_ISJ_E10value_typeEPSK_NS1_7vsmem_tEENKUlT_SI_SJ_SK_E_clISD_PySD_S10_EESH_SX_SI_SJ_SK_EUlSX_E0_NS1_11comp_targetILNS1_3genE3ELNS1_11target_archE908ELNS1_3gpuE7ELNS1_3repE0EEENS1_38merge_mergepath_config_static_selectorELNS0_4arch9wavefront6targetE1EEEvSJ_.numbered_sgpr, 0
	.set _ZN7rocprim17ROCPRIM_400000_NS6detail17trampoline_kernelINS0_14default_configENS1_38merge_sort_block_merge_config_selectorIyyEEZZNS1_27merge_sort_block_merge_implIS3_N6thrust23THRUST_200600_302600_NS6detail15normal_iteratorINS8_10device_ptrIyEEEESD_jNS1_19radix_merge_compareILb0ELb0EyNS0_19identity_decomposerEEEEE10hipError_tT0_T1_T2_jT3_P12ihipStream_tbPNSt15iterator_traitsISI_E10value_typeEPNSO_ISJ_E10value_typeEPSK_NS1_7vsmem_tEENKUlT_SI_SJ_SK_E_clISD_PySD_S10_EESH_SX_SI_SJ_SK_EUlSX_E0_NS1_11comp_targetILNS1_3genE3ELNS1_11target_archE908ELNS1_3gpuE7ELNS1_3repE0EEENS1_38merge_mergepath_config_static_selectorELNS0_4arch9wavefront6targetE1EEEvSJ_.num_named_barrier, 0
	.set _ZN7rocprim17ROCPRIM_400000_NS6detail17trampoline_kernelINS0_14default_configENS1_38merge_sort_block_merge_config_selectorIyyEEZZNS1_27merge_sort_block_merge_implIS3_N6thrust23THRUST_200600_302600_NS6detail15normal_iteratorINS8_10device_ptrIyEEEESD_jNS1_19radix_merge_compareILb0ELb0EyNS0_19identity_decomposerEEEEE10hipError_tT0_T1_T2_jT3_P12ihipStream_tbPNSt15iterator_traitsISI_E10value_typeEPNSO_ISJ_E10value_typeEPSK_NS1_7vsmem_tEENKUlT_SI_SJ_SK_E_clISD_PySD_S10_EESH_SX_SI_SJ_SK_EUlSX_E0_NS1_11comp_targetILNS1_3genE3ELNS1_11target_archE908ELNS1_3gpuE7ELNS1_3repE0EEENS1_38merge_mergepath_config_static_selectorELNS0_4arch9wavefront6targetE1EEEvSJ_.private_seg_size, 0
	.set _ZN7rocprim17ROCPRIM_400000_NS6detail17trampoline_kernelINS0_14default_configENS1_38merge_sort_block_merge_config_selectorIyyEEZZNS1_27merge_sort_block_merge_implIS3_N6thrust23THRUST_200600_302600_NS6detail15normal_iteratorINS8_10device_ptrIyEEEESD_jNS1_19radix_merge_compareILb0ELb0EyNS0_19identity_decomposerEEEEE10hipError_tT0_T1_T2_jT3_P12ihipStream_tbPNSt15iterator_traitsISI_E10value_typeEPNSO_ISJ_E10value_typeEPSK_NS1_7vsmem_tEENKUlT_SI_SJ_SK_E_clISD_PySD_S10_EESH_SX_SI_SJ_SK_EUlSX_E0_NS1_11comp_targetILNS1_3genE3ELNS1_11target_archE908ELNS1_3gpuE7ELNS1_3repE0EEENS1_38merge_mergepath_config_static_selectorELNS0_4arch9wavefront6targetE1EEEvSJ_.uses_vcc, 0
	.set _ZN7rocprim17ROCPRIM_400000_NS6detail17trampoline_kernelINS0_14default_configENS1_38merge_sort_block_merge_config_selectorIyyEEZZNS1_27merge_sort_block_merge_implIS3_N6thrust23THRUST_200600_302600_NS6detail15normal_iteratorINS8_10device_ptrIyEEEESD_jNS1_19radix_merge_compareILb0ELb0EyNS0_19identity_decomposerEEEEE10hipError_tT0_T1_T2_jT3_P12ihipStream_tbPNSt15iterator_traitsISI_E10value_typeEPNSO_ISJ_E10value_typeEPSK_NS1_7vsmem_tEENKUlT_SI_SJ_SK_E_clISD_PySD_S10_EESH_SX_SI_SJ_SK_EUlSX_E0_NS1_11comp_targetILNS1_3genE3ELNS1_11target_archE908ELNS1_3gpuE7ELNS1_3repE0EEENS1_38merge_mergepath_config_static_selectorELNS0_4arch9wavefront6targetE1EEEvSJ_.uses_flat_scratch, 0
	.set _ZN7rocprim17ROCPRIM_400000_NS6detail17trampoline_kernelINS0_14default_configENS1_38merge_sort_block_merge_config_selectorIyyEEZZNS1_27merge_sort_block_merge_implIS3_N6thrust23THRUST_200600_302600_NS6detail15normal_iteratorINS8_10device_ptrIyEEEESD_jNS1_19radix_merge_compareILb0ELb0EyNS0_19identity_decomposerEEEEE10hipError_tT0_T1_T2_jT3_P12ihipStream_tbPNSt15iterator_traitsISI_E10value_typeEPNSO_ISJ_E10value_typeEPSK_NS1_7vsmem_tEENKUlT_SI_SJ_SK_E_clISD_PySD_S10_EESH_SX_SI_SJ_SK_EUlSX_E0_NS1_11comp_targetILNS1_3genE3ELNS1_11target_archE908ELNS1_3gpuE7ELNS1_3repE0EEENS1_38merge_mergepath_config_static_selectorELNS0_4arch9wavefront6targetE1EEEvSJ_.has_dyn_sized_stack, 0
	.set _ZN7rocprim17ROCPRIM_400000_NS6detail17trampoline_kernelINS0_14default_configENS1_38merge_sort_block_merge_config_selectorIyyEEZZNS1_27merge_sort_block_merge_implIS3_N6thrust23THRUST_200600_302600_NS6detail15normal_iteratorINS8_10device_ptrIyEEEESD_jNS1_19radix_merge_compareILb0ELb0EyNS0_19identity_decomposerEEEEE10hipError_tT0_T1_T2_jT3_P12ihipStream_tbPNSt15iterator_traitsISI_E10value_typeEPNSO_ISJ_E10value_typeEPSK_NS1_7vsmem_tEENKUlT_SI_SJ_SK_E_clISD_PySD_S10_EESH_SX_SI_SJ_SK_EUlSX_E0_NS1_11comp_targetILNS1_3genE3ELNS1_11target_archE908ELNS1_3gpuE7ELNS1_3repE0EEENS1_38merge_mergepath_config_static_selectorELNS0_4arch9wavefront6targetE1EEEvSJ_.has_recursion, 0
	.set _ZN7rocprim17ROCPRIM_400000_NS6detail17trampoline_kernelINS0_14default_configENS1_38merge_sort_block_merge_config_selectorIyyEEZZNS1_27merge_sort_block_merge_implIS3_N6thrust23THRUST_200600_302600_NS6detail15normal_iteratorINS8_10device_ptrIyEEEESD_jNS1_19radix_merge_compareILb0ELb0EyNS0_19identity_decomposerEEEEE10hipError_tT0_T1_T2_jT3_P12ihipStream_tbPNSt15iterator_traitsISI_E10value_typeEPNSO_ISJ_E10value_typeEPSK_NS1_7vsmem_tEENKUlT_SI_SJ_SK_E_clISD_PySD_S10_EESH_SX_SI_SJ_SK_EUlSX_E0_NS1_11comp_targetILNS1_3genE3ELNS1_11target_archE908ELNS1_3gpuE7ELNS1_3repE0EEENS1_38merge_mergepath_config_static_selectorELNS0_4arch9wavefront6targetE1EEEvSJ_.has_indirect_call, 0
	.section	.AMDGPU.csdata,"",@progbits
; Kernel info:
; codeLenInByte = 0
; TotalNumSgprs: 6
; NumVgprs: 0
; NumAgprs: 0
; TotalNumVgprs: 0
; ScratchSize: 0
; MemoryBound: 0
; FloatMode: 240
; IeeeMode: 1
; LDSByteSize: 0 bytes/workgroup (compile time only)
; SGPRBlocks: 0
; VGPRBlocks: 0
; NumSGPRsForWavesPerEU: 6
; NumVGPRsForWavesPerEU: 1
; AccumOffset: 4
; Occupancy: 8
; WaveLimiterHint : 0
; COMPUTE_PGM_RSRC2:SCRATCH_EN: 0
; COMPUTE_PGM_RSRC2:USER_SGPR: 2
; COMPUTE_PGM_RSRC2:TRAP_HANDLER: 0
; COMPUTE_PGM_RSRC2:TGID_X_EN: 1
; COMPUTE_PGM_RSRC2:TGID_Y_EN: 0
; COMPUTE_PGM_RSRC2:TGID_Z_EN: 0
; COMPUTE_PGM_RSRC2:TIDIG_COMP_CNT: 0
; COMPUTE_PGM_RSRC3_GFX90A:ACCUM_OFFSET: 0
; COMPUTE_PGM_RSRC3_GFX90A:TG_SPLIT: 0
	.section	.text._ZN7rocprim17ROCPRIM_400000_NS6detail17trampoline_kernelINS0_14default_configENS1_38merge_sort_block_merge_config_selectorIyyEEZZNS1_27merge_sort_block_merge_implIS3_N6thrust23THRUST_200600_302600_NS6detail15normal_iteratorINS8_10device_ptrIyEEEESD_jNS1_19radix_merge_compareILb0ELb0EyNS0_19identity_decomposerEEEEE10hipError_tT0_T1_T2_jT3_P12ihipStream_tbPNSt15iterator_traitsISI_E10value_typeEPNSO_ISJ_E10value_typeEPSK_NS1_7vsmem_tEENKUlT_SI_SJ_SK_E_clISD_PySD_S10_EESH_SX_SI_SJ_SK_EUlSX_E0_NS1_11comp_targetILNS1_3genE2ELNS1_11target_archE906ELNS1_3gpuE6ELNS1_3repE0EEENS1_38merge_mergepath_config_static_selectorELNS0_4arch9wavefront6targetE1EEEvSJ_,"axG",@progbits,_ZN7rocprim17ROCPRIM_400000_NS6detail17trampoline_kernelINS0_14default_configENS1_38merge_sort_block_merge_config_selectorIyyEEZZNS1_27merge_sort_block_merge_implIS3_N6thrust23THRUST_200600_302600_NS6detail15normal_iteratorINS8_10device_ptrIyEEEESD_jNS1_19radix_merge_compareILb0ELb0EyNS0_19identity_decomposerEEEEE10hipError_tT0_T1_T2_jT3_P12ihipStream_tbPNSt15iterator_traitsISI_E10value_typeEPNSO_ISJ_E10value_typeEPSK_NS1_7vsmem_tEENKUlT_SI_SJ_SK_E_clISD_PySD_S10_EESH_SX_SI_SJ_SK_EUlSX_E0_NS1_11comp_targetILNS1_3genE2ELNS1_11target_archE906ELNS1_3gpuE6ELNS1_3repE0EEENS1_38merge_mergepath_config_static_selectorELNS0_4arch9wavefront6targetE1EEEvSJ_,comdat
	.protected	_ZN7rocprim17ROCPRIM_400000_NS6detail17trampoline_kernelINS0_14default_configENS1_38merge_sort_block_merge_config_selectorIyyEEZZNS1_27merge_sort_block_merge_implIS3_N6thrust23THRUST_200600_302600_NS6detail15normal_iteratorINS8_10device_ptrIyEEEESD_jNS1_19radix_merge_compareILb0ELb0EyNS0_19identity_decomposerEEEEE10hipError_tT0_T1_T2_jT3_P12ihipStream_tbPNSt15iterator_traitsISI_E10value_typeEPNSO_ISJ_E10value_typeEPSK_NS1_7vsmem_tEENKUlT_SI_SJ_SK_E_clISD_PySD_S10_EESH_SX_SI_SJ_SK_EUlSX_E0_NS1_11comp_targetILNS1_3genE2ELNS1_11target_archE906ELNS1_3gpuE6ELNS1_3repE0EEENS1_38merge_mergepath_config_static_selectorELNS0_4arch9wavefront6targetE1EEEvSJ_ ; -- Begin function _ZN7rocprim17ROCPRIM_400000_NS6detail17trampoline_kernelINS0_14default_configENS1_38merge_sort_block_merge_config_selectorIyyEEZZNS1_27merge_sort_block_merge_implIS3_N6thrust23THRUST_200600_302600_NS6detail15normal_iteratorINS8_10device_ptrIyEEEESD_jNS1_19radix_merge_compareILb0ELb0EyNS0_19identity_decomposerEEEEE10hipError_tT0_T1_T2_jT3_P12ihipStream_tbPNSt15iterator_traitsISI_E10value_typeEPNSO_ISJ_E10value_typeEPSK_NS1_7vsmem_tEENKUlT_SI_SJ_SK_E_clISD_PySD_S10_EESH_SX_SI_SJ_SK_EUlSX_E0_NS1_11comp_targetILNS1_3genE2ELNS1_11target_archE906ELNS1_3gpuE6ELNS1_3repE0EEENS1_38merge_mergepath_config_static_selectorELNS0_4arch9wavefront6targetE1EEEvSJ_
	.globl	_ZN7rocprim17ROCPRIM_400000_NS6detail17trampoline_kernelINS0_14default_configENS1_38merge_sort_block_merge_config_selectorIyyEEZZNS1_27merge_sort_block_merge_implIS3_N6thrust23THRUST_200600_302600_NS6detail15normal_iteratorINS8_10device_ptrIyEEEESD_jNS1_19radix_merge_compareILb0ELb0EyNS0_19identity_decomposerEEEEE10hipError_tT0_T1_T2_jT3_P12ihipStream_tbPNSt15iterator_traitsISI_E10value_typeEPNSO_ISJ_E10value_typeEPSK_NS1_7vsmem_tEENKUlT_SI_SJ_SK_E_clISD_PySD_S10_EESH_SX_SI_SJ_SK_EUlSX_E0_NS1_11comp_targetILNS1_3genE2ELNS1_11target_archE906ELNS1_3gpuE6ELNS1_3repE0EEENS1_38merge_mergepath_config_static_selectorELNS0_4arch9wavefront6targetE1EEEvSJ_
	.p2align	8
	.type	_ZN7rocprim17ROCPRIM_400000_NS6detail17trampoline_kernelINS0_14default_configENS1_38merge_sort_block_merge_config_selectorIyyEEZZNS1_27merge_sort_block_merge_implIS3_N6thrust23THRUST_200600_302600_NS6detail15normal_iteratorINS8_10device_ptrIyEEEESD_jNS1_19radix_merge_compareILb0ELb0EyNS0_19identity_decomposerEEEEE10hipError_tT0_T1_T2_jT3_P12ihipStream_tbPNSt15iterator_traitsISI_E10value_typeEPNSO_ISJ_E10value_typeEPSK_NS1_7vsmem_tEENKUlT_SI_SJ_SK_E_clISD_PySD_S10_EESH_SX_SI_SJ_SK_EUlSX_E0_NS1_11comp_targetILNS1_3genE2ELNS1_11target_archE906ELNS1_3gpuE6ELNS1_3repE0EEENS1_38merge_mergepath_config_static_selectorELNS0_4arch9wavefront6targetE1EEEvSJ_,@function
_ZN7rocprim17ROCPRIM_400000_NS6detail17trampoline_kernelINS0_14default_configENS1_38merge_sort_block_merge_config_selectorIyyEEZZNS1_27merge_sort_block_merge_implIS3_N6thrust23THRUST_200600_302600_NS6detail15normal_iteratorINS8_10device_ptrIyEEEESD_jNS1_19radix_merge_compareILb0ELb0EyNS0_19identity_decomposerEEEEE10hipError_tT0_T1_T2_jT3_P12ihipStream_tbPNSt15iterator_traitsISI_E10value_typeEPNSO_ISJ_E10value_typeEPSK_NS1_7vsmem_tEENKUlT_SI_SJ_SK_E_clISD_PySD_S10_EESH_SX_SI_SJ_SK_EUlSX_E0_NS1_11comp_targetILNS1_3genE2ELNS1_11target_archE906ELNS1_3gpuE6ELNS1_3repE0EEENS1_38merge_mergepath_config_static_selectorELNS0_4arch9wavefront6targetE1EEEvSJ_: ; @_ZN7rocprim17ROCPRIM_400000_NS6detail17trampoline_kernelINS0_14default_configENS1_38merge_sort_block_merge_config_selectorIyyEEZZNS1_27merge_sort_block_merge_implIS3_N6thrust23THRUST_200600_302600_NS6detail15normal_iteratorINS8_10device_ptrIyEEEESD_jNS1_19radix_merge_compareILb0ELb0EyNS0_19identity_decomposerEEEEE10hipError_tT0_T1_T2_jT3_P12ihipStream_tbPNSt15iterator_traitsISI_E10value_typeEPNSO_ISJ_E10value_typeEPSK_NS1_7vsmem_tEENKUlT_SI_SJ_SK_E_clISD_PySD_S10_EESH_SX_SI_SJ_SK_EUlSX_E0_NS1_11comp_targetILNS1_3genE2ELNS1_11target_archE906ELNS1_3gpuE6ELNS1_3repE0EEENS1_38merge_mergepath_config_static_selectorELNS0_4arch9wavefront6targetE1EEEvSJ_
; %bb.0:
	.section	.rodata,"a",@progbits
	.p2align	6, 0x0
	.amdhsa_kernel _ZN7rocprim17ROCPRIM_400000_NS6detail17trampoline_kernelINS0_14default_configENS1_38merge_sort_block_merge_config_selectorIyyEEZZNS1_27merge_sort_block_merge_implIS3_N6thrust23THRUST_200600_302600_NS6detail15normal_iteratorINS8_10device_ptrIyEEEESD_jNS1_19radix_merge_compareILb0ELb0EyNS0_19identity_decomposerEEEEE10hipError_tT0_T1_T2_jT3_P12ihipStream_tbPNSt15iterator_traitsISI_E10value_typeEPNSO_ISJ_E10value_typeEPSK_NS1_7vsmem_tEENKUlT_SI_SJ_SK_E_clISD_PySD_S10_EESH_SX_SI_SJ_SK_EUlSX_E0_NS1_11comp_targetILNS1_3genE2ELNS1_11target_archE906ELNS1_3gpuE6ELNS1_3repE0EEENS1_38merge_mergepath_config_static_selectorELNS0_4arch9wavefront6targetE1EEEvSJ_
		.amdhsa_group_segment_fixed_size 0
		.amdhsa_private_segment_fixed_size 0
		.amdhsa_kernarg_size 64
		.amdhsa_user_sgpr_count 2
		.amdhsa_user_sgpr_dispatch_ptr 0
		.amdhsa_user_sgpr_queue_ptr 0
		.amdhsa_user_sgpr_kernarg_segment_ptr 1
		.amdhsa_user_sgpr_dispatch_id 0
		.amdhsa_user_sgpr_kernarg_preload_length 0
		.amdhsa_user_sgpr_kernarg_preload_offset 0
		.amdhsa_user_sgpr_private_segment_size 0
		.amdhsa_uses_dynamic_stack 0
		.amdhsa_enable_private_segment 0
		.amdhsa_system_sgpr_workgroup_id_x 1
		.amdhsa_system_sgpr_workgroup_id_y 0
		.amdhsa_system_sgpr_workgroup_id_z 0
		.amdhsa_system_sgpr_workgroup_info 0
		.amdhsa_system_vgpr_workitem_id 0
		.amdhsa_next_free_vgpr 1
		.amdhsa_next_free_sgpr 0
		.amdhsa_accum_offset 4
		.amdhsa_reserve_vcc 0
		.amdhsa_float_round_mode_32 0
		.amdhsa_float_round_mode_16_64 0
		.amdhsa_float_denorm_mode_32 3
		.amdhsa_float_denorm_mode_16_64 3
		.amdhsa_dx10_clamp 1
		.amdhsa_ieee_mode 1
		.amdhsa_fp16_overflow 0
		.amdhsa_tg_split 0
		.amdhsa_exception_fp_ieee_invalid_op 0
		.amdhsa_exception_fp_denorm_src 0
		.amdhsa_exception_fp_ieee_div_zero 0
		.amdhsa_exception_fp_ieee_overflow 0
		.amdhsa_exception_fp_ieee_underflow 0
		.amdhsa_exception_fp_ieee_inexact 0
		.amdhsa_exception_int_div_zero 0
	.end_amdhsa_kernel
	.section	.text._ZN7rocprim17ROCPRIM_400000_NS6detail17trampoline_kernelINS0_14default_configENS1_38merge_sort_block_merge_config_selectorIyyEEZZNS1_27merge_sort_block_merge_implIS3_N6thrust23THRUST_200600_302600_NS6detail15normal_iteratorINS8_10device_ptrIyEEEESD_jNS1_19radix_merge_compareILb0ELb0EyNS0_19identity_decomposerEEEEE10hipError_tT0_T1_T2_jT3_P12ihipStream_tbPNSt15iterator_traitsISI_E10value_typeEPNSO_ISJ_E10value_typeEPSK_NS1_7vsmem_tEENKUlT_SI_SJ_SK_E_clISD_PySD_S10_EESH_SX_SI_SJ_SK_EUlSX_E0_NS1_11comp_targetILNS1_3genE2ELNS1_11target_archE906ELNS1_3gpuE6ELNS1_3repE0EEENS1_38merge_mergepath_config_static_selectorELNS0_4arch9wavefront6targetE1EEEvSJ_,"axG",@progbits,_ZN7rocprim17ROCPRIM_400000_NS6detail17trampoline_kernelINS0_14default_configENS1_38merge_sort_block_merge_config_selectorIyyEEZZNS1_27merge_sort_block_merge_implIS3_N6thrust23THRUST_200600_302600_NS6detail15normal_iteratorINS8_10device_ptrIyEEEESD_jNS1_19radix_merge_compareILb0ELb0EyNS0_19identity_decomposerEEEEE10hipError_tT0_T1_T2_jT3_P12ihipStream_tbPNSt15iterator_traitsISI_E10value_typeEPNSO_ISJ_E10value_typeEPSK_NS1_7vsmem_tEENKUlT_SI_SJ_SK_E_clISD_PySD_S10_EESH_SX_SI_SJ_SK_EUlSX_E0_NS1_11comp_targetILNS1_3genE2ELNS1_11target_archE906ELNS1_3gpuE6ELNS1_3repE0EEENS1_38merge_mergepath_config_static_selectorELNS0_4arch9wavefront6targetE1EEEvSJ_,comdat
.Lfunc_end433:
	.size	_ZN7rocprim17ROCPRIM_400000_NS6detail17trampoline_kernelINS0_14default_configENS1_38merge_sort_block_merge_config_selectorIyyEEZZNS1_27merge_sort_block_merge_implIS3_N6thrust23THRUST_200600_302600_NS6detail15normal_iteratorINS8_10device_ptrIyEEEESD_jNS1_19radix_merge_compareILb0ELb0EyNS0_19identity_decomposerEEEEE10hipError_tT0_T1_T2_jT3_P12ihipStream_tbPNSt15iterator_traitsISI_E10value_typeEPNSO_ISJ_E10value_typeEPSK_NS1_7vsmem_tEENKUlT_SI_SJ_SK_E_clISD_PySD_S10_EESH_SX_SI_SJ_SK_EUlSX_E0_NS1_11comp_targetILNS1_3genE2ELNS1_11target_archE906ELNS1_3gpuE6ELNS1_3repE0EEENS1_38merge_mergepath_config_static_selectorELNS0_4arch9wavefront6targetE1EEEvSJ_, .Lfunc_end433-_ZN7rocprim17ROCPRIM_400000_NS6detail17trampoline_kernelINS0_14default_configENS1_38merge_sort_block_merge_config_selectorIyyEEZZNS1_27merge_sort_block_merge_implIS3_N6thrust23THRUST_200600_302600_NS6detail15normal_iteratorINS8_10device_ptrIyEEEESD_jNS1_19radix_merge_compareILb0ELb0EyNS0_19identity_decomposerEEEEE10hipError_tT0_T1_T2_jT3_P12ihipStream_tbPNSt15iterator_traitsISI_E10value_typeEPNSO_ISJ_E10value_typeEPSK_NS1_7vsmem_tEENKUlT_SI_SJ_SK_E_clISD_PySD_S10_EESH_SX_SI_SJ_SK_EUlSX_E0_NS1_11comp_targetILNS1_3genE2ELNS1_11target_archE906ELNS1_3gpuE6ELNS1_3repE0EEENS1_38merge_mergepath_config_static_selectorELNS0_4arch9wavefront6targetE1EEEvSJ_
                                        ; -- End function
	.set _ZN7rocprim17ROCPRIM_400000_NS6detail17trampoline_kernelINS0_14default_configENS1_38merge_sort_block_merge_config_selectorIyyEEZZNS1_27merge_sort_block_merge_implIS3_N6thrust23THRUST_200600_302600_NS6detail15normal_iteratorINS8_10device_ptrIyEEEESD_jNS1_19radix_merge_compareILb0ELb0EyNS0_19identity_decomposerEEEEE10hipError_tT0_T1_T2_jT3_P12ihipStream_tbPNSt15iterator_traitsISI_E10value_typeEPNSO_ISJ_E10value_typeEPSK_NS1_7vsmem_tEENKUlT_SI_SJ_SK_E_clISD_PySD_S10_EESH_SX_SI_SJ_SK_EUlSX_E0_NS1_11comp_targetILNS1_3genE2ELNS1_11target_archE906ELNS1_3gpuE6ELNS1_3repE0EEENS1_38merge_mergepath_config_static_selectorELNS0_4arch9wavefront6targetE1EEEvSJ_.num_vgpr, 0
	.set _ZN7rocprim17ROCPRIM_400000_NS6detail17trampoline_kernelINS0_14default_configENS1_38merge_sort_block_merge_config_selectorIyyEEZZNS1_27merge_sort_block_merge_implIS3_N6thrust23THRUST_200600_302600_NS6detail15normal_iteratorINS8_10device_ptrIyEEEESD_jNS1_19radix_merge_compareILb0ELb0EyNS0_19identity_decomposerEEEEE10hipError_tT0_T1_T2_jT3_P12ihipStream_tbPNSt15iterator_traitsISI_E10value_typeEPNSO_ISJ_E10value_typeEPSK_NS1_7vsmem_tEENKUlT_SI_SJ_SK_E_clISD_PySD_S10_EESH_SX_SI_SJ_SK_EUlSX_E0_NS1_11comp_targetILNS1_3genE2ELNS1_11target_archE906ELNS1_3gpuE6ELNS1_3repE0EEENS1_38merge_mergepath_config_static_selectorELNS0_4arch9wavefront6targetE1EEEvSJ_.num_agpr, 0
	.set _ZN7rocprim17ROCPRIM_400000_NS6detail17trampoline_kernelINS0_14default_configENS1_38merge_sort_block_merge_config_selectorIyyEEZZNS1_27merge_sort_block_merge_implIS3_N6thrust23THRUST_200600_302600_NS6detail15normal_iteratorINS8_10device_ptrIyEEEESD_jNS1_19radix_merge_compareILb0ELb0EyNS0_19identity_decomposerEEEEE10hipError_tT0_T1_T2_jT3_P12ihipStream_tbPNSt15iterator_traitsISI_E10value_typeEPNSO_ISJ_E10value_typeEPSK_NS1_7vsmem_tEENKUlT_SI_SJ_SK_E_clISD_PySD_S10_EESH_SX_SI_SJ_SK_EUlSX_E0_NS1_11comp_targetILNS1_3genE2ELNS1_11target_archE906ELNS1_3gpuE6ELNS1_3repE0EEENS1_38merge_mergepath_config_static_selectorELNS0_4arch9wavefront6targetE1EEEvSJ_.numbered_sgpr, 0
	.set _ZN7rocprim17ROCPRIM_400000_NS6detail17trampoline_kernelINS0_14default_configENS1_38merge_sort_block_merge_config_selectorIyyEEZZNS1_27merge_sort_block_merge_implIS3_N6thrust23THRUST_200600_302600_NS6detail15normal_iteratorINS8_10device_ptrIyEEEESD_jNS1_19radix_merge_compareILb0ELb0EyNS0_19identity_decomposerEEEEE10hipError_tT0_T1_T2_jT3_P12ihipStream_tbPNSt15iterator_traitsISI_E10value_typeEPNSO_ISJ_E10value_typeEPSK_NS1_7vsmem_tEENKUlT_SI_SJ_SK_E_clISD_PySD_S10_EESH_SX_SI_SJ_SK_EUlSX_E0_NS1_11comp_targetILNS1_3genE2ELNS1_11target_archE906ELNS1_3gpuE6ELNS1_3repE0EEENS1_38merge_mergepath_config_static_selectorELNS0_4arch9wavefront6targetE1EEEvSJ_.num_named_barrier, 0
	.set _ZN7rocprim17ROCPRIM_400000_NS6detail17trampoline_kernelINS0_14default_configENS1_38merge_sort_block_merge_config_selectorIyyEEZZNS1_27merge_sort_block_merge_implIS3_N6thrust23THRUST_200600_302600_NS6detail15normal_iteratorINS8_10device_ptrIyEEEESD_jNS1_19radix_merge_compareILb0ELb0EyNS0_19identity_decomposerEEEEE10hipError_tT0_T1_T2_jT3_P12ihipStream_tbPNSt15iterator_traitsISI_E10value_typeEPNSO_ISJ_E10value_typeEPSK_NS1_7vsmem_tEENKUlT_SI_SJ_SK_E_clISD_PySD_S10_EESH_SX_SI_SJ_SK_EUlSX_E0_NS1_11comp_targetILNS1_3genE2ELNS1_11target_archE906ELNS1_3gpuE6ELNS1_3repE0EEENS1_38merge_mergepath_config_static_selectorELNS0_4arch9wavefront6targetE1EEEvSJ_.private_seg_size, 0
	.set _ZN7rocprim17ROCPRIM_400000_NS6detail17trampoline_kernelINS0_14default_configENS1_38merge_sort_block_merge_config_selectorIyyEEZZNS1_27merge_sort_block_merge_implIS3_N6thrust23THRUST_200600_302600_NS6detail15normal_iteratorINS8_10device_ptrIyEEEESD_jNS1_19radix_merge_compareILb0ELb0EyNS0_19identity_decomposerEEEEE10hipError_tT0_T1_T2_jT3_P12ihipStream_tbPNSt15iterator_traitsISI_E10value_typeEPNSO_ISJ_E10value_typeEPSK_NS1_7vsmem_tEENKUlT_SI_SJ_SK_E_clISD_PySD_S10_EESH_SX_SI_SJ_SK_EUlSX_E0_NS1_11comp_targetILNS1_3genE2ELNS1_11target_archE906ELNS1_3gpuE6ELNS1_3repE0EEENS1_38merge_mergepath_config_static_selectorELNS0_4arch9wavefront6targetE1EEEvSJ_.uses_vcc, 0
	.set _ZN7rocprim17ROCPRIM_400000_NS6detail17trampoline_kernelINS0_14default_configENS1_38merge_sort_block_merge_config_selectorIyyEEZZNS1_27merge_sort_block_merge_implIS3_N6thrust23THRUST_200600_302600_NS6detail15normal_iteratorINS8_10device_ptrIyEEEESD_jNS1_19radix_merge_compareILb0ELb0EyNS0_19identity_decomposerEEEEE10hipError_tT0_T1_T2_jT3_P12ihipStream_tbPNSt15iterator_traitsISI_E10value_typeEPNSO_ISJ_E10value_typeEPSK_NS1_7vsmem_tEENKUlT_SI_SJ_SK_E_clISD_PySD_S10_EESH_SX_SI_SJ_SK_EUlSX_E0_NS1_11comp_targetILNS1_3genE2ELNS1_11target_archE906ELNS1_3gpuE6ELNS1_3repE0EEENS1_38merge_mergepath_config_static_selectorELNS0_4arch9wavefront6targetE1EEEvSJ_.uses_flat_scratch, 0
	.set _ZN7rocprim17ROCPRIM_400000_NS6detail17trampoline_kernelINS0_14default_configENS1_38merge_sort_block_merge_config_selectorIyyEEZZNS1_27merge_sort_block_merge_implIS3_N6thrust23THRUST_200600_302600_NS6detail15normal_iteratorINS8_10device_ptrIyEEEESD_jNS1_19radix_merge_compareILb0ELb0EyNS0_19identity_decomposerEEEEE10hipError_tT0_T1_T2_jT3_P12ihipStream_tbPNSt15iterator_traitsISI_E10value_typeEPNSO_ISJ_E10value_typeEPSK_NS1_7vsmem_tEENKUlT_SI_SJ_SK_E_clISD_PySD_S10_EESH_SX_SI_SJ_SK_EUlSX_E0_NS1_11comp_targetILNS1_3genE2ELNS1_11target_archE906ELNS1_3gpuE6ELNS1_3repE0EEENS1_38merge_mergepath_config_static_selectorELNS0_4arch9wavefront6targetE1EEEvSJ_.has_dyn_sized_stack, 0
	.set _ZN7rocprim17ROCPRIM_400000_NS6detail17trampoline_kernelINS0_14default_configENS1_38merge_sort_block_merge_config_selectorIyyEEZZNS1_27merge_sort_block_merge_implIS3_N6thrust23THRUST_200600_302600_NS6detail15normal_iteratorINS8_10device_ptrIyEEEESD_jNS1_19radix_merge_compareILb0ELb0EyNS0_19identity_decomposerEEEEE10hipError_tT0_T1_T2_jT3_P12ihipStream_tbPNSt15iterator_traitsISI_E10value_typeEPNSO_ISJ_E10value_typeEPSK_NS1_7vsmem_tEENKUlT_SI_SJ_SK_E_clISD_PySD_S10_EESH_SX_SI_SJ_SK_EUlSX_E0_NS1_11comp_targetILNS1_3genE2ELNS1_11target_archE906ELNS1_3gpuE6ELNS1_3repE0EEENS1_38merge_mergepath_config_static_selectorELNS0_4arch9wavefront6targetE1EEEvSJ_.has_recursion, 0
	.set _ZN7rocprim17ROCPRIM_400000_NS6detail17trampoline_kernelINS0_14default_configENS1_38merge_sort_block_merge_config_selectorIyyEEZZNS1_27merge_sort_block_merge_implIS3_N6thrust23THRUST_200600_302600_NS6detail15normal_iteratorINS8_10device_ptrIyEEEESD_jNS1_19radix_merge_compareILb0ELb0EyNS0_19identity_decomposerEEEEE10hipError_tT0_T1_T2_jT3_P12ihipStream_tbPNSt15iterator_traitsISI_E10value_typeEPNSO_ISJ_E10value_typeEPSK_NS1_7vsmem_tEENKUlT_SI_SJ_SK_E_clISD_PySD_S10_EESH_SX_SI_SJ_SK_EUlSX_E0_NS1_11comp_targetILNS1_3genE2ELNS1_11target_archE906ELNS1_3gpuE6ELNS1_3repE0EEENS1_38merge_mergepath_config_static_selectorELNS0_4arch9wavefront6targetE1EEEvSJ_.has_indirect_call, 0
	.section	.AMDGPU.csdata,"",@progbits
; Kernel info:
; codeLenInByte = 0
; TotalNumSgprs: 6
; NumVgprs: 0
; NumAgprs: 0
; TotalNumVgprs: 0
; ScratchSize: 0
; MemoryBound: 0
; FloatMode: 240
; IeeeMode: 1
; LDSByteSize: 0 bytes/workgroup (compile time only)
; SGPRBlocks: 0
; VGPRBlocks: 0
; NumSGPRsForWavesPerEU: 6
; NumVGPRsForWavesPerEU: 1
; AccumOffset: 4
; Occupancy: 8
; WaveLimiterHint : 0
; COMPUTE_PGM_RSRC2:SCRATCH_EN: 0
; COMPUTE_PGM_RSRC2:USER_SGPR: 2
; COMPUTE_PGM_RSRC2:TRAP_HANDLER: 0
; COMPUTE_PGM_RSRC2:TGID_X_EN: 1
; COMPUTE_PGM_RSRC2:TGID_Y_EN: 0
; COMPUTE_PGM_RSRC2:TGID_Z_EN: 0
; COMPUTE_PGM_RSRC2:TIDIG_COMP_CNT: 0
; COMPUTE_PGM_RSRC3_GFX90A:ACCUM_OFFSET: 0
; COMPUTE_PGM_RSRC3_GFX90A:TG_SPLIT: 0
	.section	.text._ZN7rocprim17ROCPRIM_400000_NS6detail17trampoline_kernelINS0_14default_configENS1_38merge_sort_block_merge_config_selectorIyyEEZZNS1_27merge_sort_block_merge_implIS3_N6thrust23THRUST_200600_302600_NS6detail15normal_iteratorINS8_10device_ptrIyEEEESD_jNS1_19radix_merge_compareILb0ELb0EyNS0_19identity_decomposerEEEEE10hipError_tT0_T1_T2_jT3_P12ihipStream_tbPNSt15iterator_traitsISI_E10value_typeEPNSO_ISJ_E10value_typeEPSK_NS1_7vsmem_tEENKUlT_SI_SJ_SK_E_clISD_PySD_S10_EESH_SX_SI_SJ_SK_EUlSX_E0_NS1_11comp_targetILNS1_3genE9ELNS1_11target_archE1100ELNS1_3gpuE3ELNS1_3repE0EEENS1_38merge_mergepath_config_static_selectorELNS0_4arch9wavefront6targetE1EEEvSJ_,"axG",@progbits,_ZN7rocprim17ROCPRIM_400000_NS6detail17trampoline_kernelINS0_14default_configENS1_38merge_sort_block_merge_config_selectorIyyEEZZNS1_27merge_sort_block_merge_implIS3_N6thrust23THRUST_200600_302600_NS6detail15normal_iteratorINS8_10device_ptrIyEEEESD_jNS1_19radix_merge_compareILb0ELb0EyNS0_19identity_decomposerEEEEE10hipError_tT0_T1_T2_jT3_P12ihipStream_tbPNSt15iterator_traitsISI_E10value_typeEPNSO_ISJ_E10value_typeEPSK_NS1_7vsmem_tEENKUlT_SI_SJ_SK_E_clISD_PySD_S10_EESH_SX_SI_SJ_SK_EUlSX_E0_NS1_11comp_targetILNS1_3genE9ELNS1_11target_archE1100ELNS1_3gpuE3ELNS1_3repE0EEENS1_38merge_mergepath_config_static_selectorELNS0_4arch9wavefront6targetE1EEEvSJ_,comdat
	.protected	_ZN7rocprim17ROCPRIM_400000_NS6detail17trampoline_kernelINS0_14default_configENS1_38merge_sort_block_merge_config_selectorIyyEEZZNS1_27merge_sort_block_merge_implIS3_N6thrust23THRUST_200600_302600_NS6detail15normal_iteratorINS8_10device_ptrIyEEEESD_jNS1_19radix_merge_compareILb0ELb0EyNS0_19identity_decomposerEEEEE10hipError_tT0_T1_T2_jT3_P12ihipStream_tbPNSt15iterator_traitsISI_E10value_typeEPNSO_ISJ_E10value_typeEPSK_NS1_7vsmem_tEENKUlT_SI_SJ_SK_E_clISD_PySD_S10_EESH_SX_SI_SJ_SK_EUlSX_E0_NS1_11comp_targetILNS1_3genE9ELNS1_11target_archE1100ELNS1_3gpuE3ELNS1_3repE0EEENS1_38merge_mergepath_config_static_selectorELNS0_4arch9wavefront6targetE1EEEvSJ_ ; -- Begin function _ZN7rocprim17ROCPRIM_400000_NS6detail17trampoline_kernelINS0_14default_configENS1_38merge_sort_block_merge_config_selectorIyyEEZZNS1_27merge_sort_block_merge_implIS3_N6thrust23THRUST_200600_302600_NS6detail15normal_iteratorINS8_10device_ptrIyEEEESD_jNS1_19radix_merge_compareILb0ELb0EyNS0_19identity_decomposerEEEEE10hipError_tT0_T1_T2_jT3_P12ihipStream_tbPNSt15iterator_traitsISI_E10value_typeEPNSO_ISJ_E10value_typeEPSK_NS1_7vsmem_tEENKUlT_SI_SJ_SK_E_clISD_PySD_S10_EESH_SX_SI_SJ_SK_EUlSX_E0_NS1_11comp_targetILNS1_3genE9ELNS1_11target_archE1100ELNS1_3gpuE3ELNS1_3repE0EEENS1_38merge_mergepath_config_static_selectorELNS0_4arch9wavefront6targetE1EEEvSJ_
	.globl	_ZN7rocprim17ROCPRIM_400000_NS6detail17trampoline_kernelINS0_14default_configENS1_38merge_sort_block_merge_config_selectorIyyEEZZNS1_27merge_sort_block_merge_implIS3_N6thrust23THRUST_200600_302600_NS6detail15normal_iteratorINS8_10device_ptrIyEEEESD_jNS1_19radix_merge_compareILb0ELb0EyNS0_19identity_decomposerEEEEE10hipError_tT0_T1_T2_jT3_P12ihipStream_tbPNSt15iterator_traitsISI_E10value_typeEPNSO_ISJ_E10value_typeEPSK_NS1_7vsmem_tEENKUlT_SI_SJ_SK_E_clISD_PySD_S10_EESH_SX_SI_SJ_SK_EUlSX_E0_NS1_11comp_targetILNS1_3genE9ELNS1_11target_archE1100ELNS1_3gpuE3ELNS1_3repE0EEENS1_38merge_mergepath_config_static_selectorELNS0_4arch9wavefront6targetE1EEEvSJ_
	.p2align	8
	.type	_ZN7rocprim17ROCPRIM_400000_NS6detail17trampoline_kernelINS0_14default_configENS1_38merge_sort_block_merge_config_selectorIyyEEZZNS1_27merge_sort_block_merge_implIS3_N6thrust23THRUST_200600_302600_NS6detail15normal_iteratorINS8_10device_ptrIyEEEESD_jNS1_19radix_merge_compareILb0ELb0EyNS0_19identity_decomposerEEEEE10hipError_tT0_T1_T2_jT3_P12ihipStream_tbPNSt15iterator_traitsISI_E10value_typeEPNSO_ISJ_E10value_typeEPSK_NS1_7vsmem_tEENKUlT_SI_SJ_SK_E_clISD_PySD_S10_EESH_SX_SI_SJ_SK_EUlSX_E0_NS1_11comp_targetILNS1_3genE9ELNS1_11target_archE1100ELNS1_3gpuE3ELNS1_3repE0EEENS1_38merge_mergepath_config_static_selectorELNS0_4arch9wavefront6targetE1EEEvSJ_,@function
_ZN7rocprim17ROCPRIM_400000_NS6detail17trampoline_kernelINS0_14default_configENS1_38merge_sort_block_merge_config_selectorIyyEEZZNS1_27merge_sort_block_merge_implIS3_N6thrust23THRUST_200600_302600_NS6detail15normal_iteratorINS8_10device_ptrIyEEEESD_jNS1_19radix_merge_compareILb0ELb0EyNS0_19identity_decomposerEEEEE10hipError_tT0_T1_T2_jT3_P12ihipStream_tbPNSt15iterator_traitsISI_E10value_typeEPNSO_ISJ_E10value_typeEPSK_NS1_7vsmem_tEENKUlT_SI_SJ_SK_E_clISD_PySD_S10_EESH_SX_SI_SJ_SK_EUlSX_E0_NS1_11comp_targetILNS1_3genE9ELNS1_11target_archE1100ELNS1_3gpuE3ELNS1_3repE0EEENS1_38merge_mergepath_config_static_selectorELNS0_4arch9wavefront6targetE1EEEvSJ_: ; @_ZN7rocprim17ROCPRIM_400000_NS6detail17trampoline_kernelINS0_14default_configENS1_38merge_sort_block_merge_config_selectorIyyEEZZNS1_27merge_sort_block_merge_implIS3_N6thrust23THRUST_200600_302600_NS6detail15normal_iteratorINS8_10device_ptrIyEEEESD_jNS1_19radix_merge_compareILb0ELb0EyNS0_19identity_decomposerEEEEE10hipError_tT0_T1_T2_jT3_P12ihipStream_tbPNSt15iterator_traitsISI_E10value_typeEPNSO_ISJ_E10value_typeEPSK_NS1_7vsmem_tEENKUlT_SI_SJ_SK_E_clISD_PySD_S10_EESH_SX_SI_SJ_SK_EUlSX_E0_NS1_11comp_targetILNS1_3genE9ELNS1_11target_archE1100ELNS1_3gpuE3ELNS1_3repE0EEENS1_38merge_mergepath_config_static_selectorELNS0_4arch9wavefront6targetE1EEEvSJ_
; %bb.0:
	.section	.rodata,"a",@progbits
	.p2align	6, 0x0
	.amdhsa_kernel _ZN7rocprim17ROCPRIM_400000_NS6detail17trampoline_kernelINS0_14default_configENS1_38merge_sort_block_merge_config_selectorIyyEEZZNS1_27merge_sort_block_merge_implIS3_N6thrust23THRUST_200600_302600_NS6detail15normal_iteratorINS8_10device_ptrIyEEEESD_jNS1_19radix_merge_compareILb0ELb0EyNS0_19identity_decomposerEEEEE10hipError_tT0_T1_T2_jT3_P12ihipStream_tbPNSt15iterator_traitsISI_E10value_typeEPNSO_ISJ_E10value_typeEPSK_NS1_7vsmem_tEENKUlT_SI_SJ_SK_E_clISD_PySD_S10_EESH_SX_SI_SJ_SK_EUlSX_E0_NS1_11comp_targetILNS1_3genE9ELNS1_11target_archE1100ELNS1_3gpuE3ELNS1_3repE0EEENS1_38merge_mergepath_config_static_selectorELNS0_4arch9wavefront6targetE1EEEvSJ_
		.amdhsa_group_segment_fixed_size 0
		.amdhsa_private_segment_fixed_size 0
		.amdhsa_kernarg_size 64
		.amdhsa_user_sgpr_count 2
		.amdhsa_user_sgpr_dispatch_ptr 0
		.amdhsa_user_sgpr_queue_ptr 0
		.amdhsa_user_sgpr_kernarg_segment_ptr 1
		.amdhsa_user_sgpr_dispatch_id 0
		.amdhsa_user_sgpr_kernarg_preload_length 0
		.amdhsa_user_sgpr_kernarg_preload_offset 0
		.amdhsa_user_sgpr_private_segment_size 0
		.amdhsa_uses_dynamic_stack 0
		.amdhsa_enable_private_segment 0
		.amdhsa_system_sgpr_workgroup_id_x 1
		.amdhsa_system_sgpr_workgroup_id_y 0
		.amdhsa_system_sgpr_workgroup_id_z 0
		.amdhsa_system_sgpr_workgroup_info 0
		.amdhsa_system_vgpr_workitem_id 0
		.amdhsa_next_free_vgpr 1
		.amdhsa_next_free_sgpr 0
		.amdhsa_accum_offset 4
		.amdhsa_reserve_vcc 0
		.amdhsa_float_round_mode_32 0
		.amdhsa_float_round_mode_16_64 0
		.amdhsa_float_denorm_mode_32 3
		.amdhsa_float_denorm_mode_16_64 3
		.amdhsa_dx10_clamp 1
		.amdhsa_ieee_mode 1
		.amdhsa_fp16_overflow 0
		.amdhsa_tg_split 0
		.amdhsa_exception_fp_ieee_invalid_op 0
		.amdhsa_exception_fp_denorm_src 0
		.amdhsa_exception_fp_ieee_div_zero 0
		.amdhsa_exception_fp_ieee_overflow 0
		.amdhsa_exception_fp_ieee_underflow 0
		.amdhsa_exception_fp_ieee_inexact 0
		.amdhsa_exception_int_div_zero 0
	.end_amdhsa_kernel
	.section	.text._ZN7rocprim17ROCPRIM_400000_NS6detail17trampoline_kernelINS0_14default_configENS1_38merge_sort_block_merge_config_selectorIyyEEZZNS1_27merge_sort_block_merge_implIS3_N6thrust23THRUST_200600_302600_NS6detail15normal_iteratorINS8_10device_ptrIyEEEESD_jNS1_19radix_merge_compareILb0ELb0EyNS0_19identity_decomposerEEEEE10hipError_tT0_T1_T2_jT3_P12ihipStream_tbPNSt15iterator_traitsISI_E10value_typeEPNSO_ISJ_E10value_typeEPSK_NS1_7vsmem_tEENKUlT_SI_SJ_SK_E_clISD_PySD_S10_EESH_SX_SI_SJ_SK_EUlSX_E0_NS1_11comp_targetILNS1_3genE9ELNS1_11target_archE1100ELNS1_3gpuE3ELNS1_3repE0EEENS1_38merge_mergepath_config_static_selectorELNS0_4arch9wavefront6targetE1EEEvSJ_,"axG",@progbits,_ZN7rocprim17ROCPRIM_400000_NS6detail17trampoline_kernelINS0_14default_configENS1_38merge_sort_block_merge_config_selectorIyyEEZZNS1_27merge_sort_block_merge_implIS3_N6thrust23THRUST_200600_302600_NS6detail15normal_iteratorINS8_10device_ptrIyEEEESD_jNS1_19radix_merge_compareILb0ELb0EyNS0_19identity_decomposerEEEEE10hipError_tT0_T1_T2_jT3_P12ihipStream_tbPNSt15iterator_traitsISI_E10value_typeEPNSO_ISJ_E10value_typeEPSK_NS1_7vsmem_tEENKUlT_SI_SJ_SK_E_clISD_PySD_S10_EESH_SX_SI_SJ_SK_EUlSX_E0_NS1_11comp_targetILNS1_3genE9ELNS1_11target_archE1100ELNS1_3gpuE3ELNS1_3repE0EEENS1_38merge_mergepath_config_static_selectorELNS0_4arch9wavefront6targetE1EEEvSJ_,comdat
.Lfunc_end434:
	.size	_ZN7rocprim17ROCPRIM_400000_NS6detail17trampoline_kernelINS0_14default_configENS1_38merge_sort_block_merge_config_selectorIyyEEZZNS1_27merge_sort_block_merge_implIS3_N6thrust23THRUST_200600_302600_NS6detail15normal_iteratorINS8_10device_ptrIyEEEESD_jNS1_19radix_merge_compareILb0ELb0EyNS0_19identity_decomposerEEEEE10hipError_tT0_T1_T2_jT3_P12ihipStream_tbPNSt15iterator_traitsISI_E10value_typeEPNSO_ISJ_E10value_typeEPSK_NS1_7vsmem_tEENKUlT_SI_SJ_SK_E_clISD_PySD_S10_EESH_SX_SI_SJ_SK_EUlSX_E0_NS1_11comp_targetILNS1_3genE9ELNS1_11target_archE1100ELNS1_3gpuE3ELNS1_3repE0EEENS1_38merge_mergepath_config_static_selectorELNS0_4arch9wavefront6targetE1EEEvSJ_, .Lfunc_end434-_ZN7rocprim17ROCPRIM_400000_NS6detail17trampoline_kernelINS0_14default_configENS1_38merge_sort_block_merge_config_selectorIyyEEZZNS1_27merge_sort_block_merge_implIS3_N6thrust23THRUST_200600_302600_NS6detail15normal_iteratorINS8_10device_ptrIyEEEESD_jNS1_19radix_merge_compareILb0ELb0EyNS0_19identity_decomposerEEEEE10hipError_tT0_T1_T2_jT3_P12ihipStream_tbPNSt15iterator_traitsISI_E10value_typeEPNSO_ISJ_E10value_typeEPSK_NS1_7vsmem_tEENKUlT_SI_SJ_SK_E_clISD_PySD_S10_EESH_SX_SI_SJ_SK_EUlSX_E0_NS1_11comp_targetILNS1_3genE9ELNS1_11target_archE1100ELNS1_3gpuE3ELNS1_3repE0EEENS1_38merge_mergepath_config_static_selectorELNS0_4arch9wavefront6targetE1EEEvSJ_
                                        ; -- End function
	.set _ZN7rocprim17ROCPRIM_400000_NS6detail17trampoline_kernelINS0_14default_configENS1_38merge_sort_block_merge_config_selectorIyyEEZZNS1_27merge_sort_block_merge_implIS3_N6thrust23THRUST_200600_302600_NS6detail15normal_iteratorINS8_10device_ptrIyEEEESD_jNS1_19radix_merge_compareILb0ELb0EyNS0_19identity_decomposerEEEEE10hipError_tT0_T1_T2_jT3_P12ihipStream_tbPNSt15iterator_traitsISI_E10value_typeEPNSO_ISJ_E10value_typeEPSK_NS1_7vsmem_tEENKUlT_SI_SJ_SK_E_clISD_PySD_S10_EESH_SX_SI_SJ_SK_EUlSX_E0_NS1_11comp_targetILNS1_3genE9ELNS1_11target_archE1100ELNS1_3gpuE3ELNS1_3repE0EEENS1_38merge_mergepath_config_static_selectorELNS0_4arch9wavefront6targetE1EEEvSJ_.num_vgpr, 0
	.set _ZN7rocprim17ROCPRIM_400000_NS6detail17trampoline_kernelINS0_14default_configENS1_38merge_sort_block_merge_config_selectorIyyEEZZNS1_27merge_sort_block_merge_implIS3_N6thrust23THRUST_200600_302600_NS6detail15normal_iteratorINS8_10device_ptrIyEEEESD_jNS1_19radix_merge_compareILb0ELb0EyNS0_19identity_decomposerEEEEE10hipError_tT0_T1_T2_jT3_P12ihipStream_tbPNSt15iterator_traitsISI_E10value_typeEPNSO_ISJ_E10value_typeEPSK_NS1_7vsmem_tEENKUlT_SI_SJ_SK_E_clISD_PySD_S10_EESH_SX_SI_SJ_SK_EUlSX_E0_NS1_11comp_targetILNS1_3genE9ELNS1_11target_archE1100ELNS1_3gpuE3ELNS1_3repE0EEENS1_38merge_mergepath_config_static_selectorELNS0_4arch9wavefront6targetE1EEEvSJ_.num_agpr, 0
	.set _ZN7rocprim17ROCPRIM_400000_NS6detail17trampoline_kernelINS0_14default_configENS1_38merge_sort_block_merge_config_selectorIyyEEZZNS1_27merge_sort_block_merge_implIS3_N6thrust23THRUST_200600_302600_NS6detail15normal_iteratorINS8_10device_ptrIyEEEESD_jNS1_19radix_merge_compareILb0ELb0EyNS0_19identity_decomposerEEEEE10hipError_tT0_T1_T2_jT3_P12ihipStream_tbPNSt15iterator_traitsISI_E10value_typeEPNSO_ISJ_E10value_typeEPSK_NS1_7vsmem_tEENKUlT_SI_SJ_SK_E_clISD_PySD_S10_EESH_SX_SI_SJ_SK_EUlSX_E0_NS1_11comp_targetILNS1_3genE9ELNS1_11target_archE1100ELNS1_3gpuE3ELNS1_3repE0EEENS1_38merge_mergepath_config_static_selectorELNS0_4arch9wavefront6targetE1EEEvSJ_.numbered_sgpr, 0
	.set _ZN7rocprim17ROCPRIM_400000_NS6detail17trampoline_kernelINS0_14default_configENS1_38merge_sort_block_merge_config_selectorIyyEEZZNS1_27merge_sort_block_merge_implIS3_N6thrust23THRUST_200600_302600_NS6detail15normal_iteratorINS8_10device_ptrIyEEEESD_jNS1_19radix_merge_compareILb0ELb0EyNS0_19identity_decomposerEEEEE10hipError_tT0_T1_T2_jT3_P12ihipStream_tbPNSt15iterator_traitsISI_E10value_typeEPNSO_ISJ_E10value_typeEPSK_NS1_7vsmem_tEENKUlT_SI_SJ_SK_E_clISD_PySD_S10_EESH_SX_SI_SJ_SK_EUlSX_E0_NS1_11comp_targetILNS1_3genE9ELNS1_11target_archE1100ELNS1_3gpuE3ELNS1_3repE0EEENS1_38merge_mergepath_config_static_selectorELNS0_4arch9wavefront6targetE1EEEvSJ_.num_named_barrier, 0
	.set _ZN7rocprim17ROCPRIM_400000_NS6detail17trampoline_kernelINS0_14default_configENS1_38merge_sort_block_merge_config_selectorIyyEEZZNS1_27merge_sort_block_merge_implIS3_N6thrust23THRUST_200600_302600_NS6detail15normal_iteratorINS8_10device_ptrIyEEEESD_jNS1_19radix_merge_compareILb0ELb0EyNS0_19identity_decomposerEEEEE10hipError_tT0_T1_T2_jT3_P12ihipStream_tbPNSt15iterator_traitsISI_E10value_typeEPNSO_ISJ_E10value_typeEPSK_NS1_7vsmem_tEENKUlT_SI_SJ_SK_E_clISD_PySD_S10_EESH_SX_SI_SJ_SK_EUlSX_E0_NS1_11comp_targetILNS1_3genE9ELNS1_11target_archE1100ELNS1_3gpuE3ELNS1_3repE0EEENS1_38merge_mergepath_config_static_selectorELNS0_4arch9wavefront6targetE1EEEvSJ_.private_seg_size, 0
	.set _ZN7rocprim17ROCPRIM_400000_NS6detail17trampoline_kernelINS0_14default_configENS1_38merge_sort_block_merge_config_selectorIyyEEZZNS1_27merge_sort_block_merge_implIS3_N6thrust23THRUST_200600_302600_NS6detail15normal_iteratorINS8_10device_ptrIyEEEESD_jNS1_19radix_merge_compareILb0ELb0EyNS0_19identity_decomposerEEEEE10hipError_tT0_T1_T2_jT3_P12ihipStream_tbPNSt15iterator_traitsISI_E10value_typeEPNSO_ISJ_E10value_typeEPSK_NS1_7vsmem_tEENKUlT_SI_SJ_SK_E_clISD_PySD_S10_EESH_SX_SI_SJ_SK_EUlSX_E0_NS1_11comp_targetILNS1_3genE9ELNS1_11target_archE1100ELNS1_3gpuE3ELNS1_3repE0EEENS1_38merge_mergepath_config_static_selectorELNS0_4arch9wavefront6targetE1EEEvSJ_.uses_vcc, 0
	.set _ZN7rocprim17ROCPRIM_400000_NS6detail17trampoline_kernelINS0_14default_configENS1_38merge_sort_block_merge_config_selectorIyyEEZZNS1_27merge_sort_block_merge_implIS3_N6thrust23THRUST_200600_302600_NS6detail15normal_iteratorINS8_10device_ptrIyEEEESD_jNS1_19radix_merge_compareILb0ELb0EyNS0_19identity_decomposerEEEEE10hipError_tT0_T1_T2_jT3_P12ihipStream_tbPNSt15iterator_traitsISI_E10value_typeEPNSO_ISJ_E10value_typeEPSK_NS1_7vsmem_tEENKUlT_SI_SJ_SK_E_clISD_PySD_S10_EESH_SX_SI_SJ_SK_EUlSX_E0_NS1_11comp_targetILNS1_3genE9ELNS1_11target_archE1100ELNS1_3gpuE3ELNS1_3repE0EEENS1_38merge_mergepath_config_static_selectorELNS0_4arch9wavefront6targetE1EEEvSJ_.uses_flat_scratch, 0
	.set _ZN7rocprim17ROCPRIM_400000_NS6detail17trampoline_kernelINS0_14default_configENS1_38merge_sort_block_merge_config_selectorIyyEEZZNS1_27merge_sort_block_merge_implIS3_N6thrust23THRUST_200600_302600_NS6detail15normal_iteratorINS8_10device_ptrIyEEEESD_jNS1_19radix_merge_compareILb0ELb0EyNS0_19identity_decomposerEEEEE10hipError_tT0_T1_T2_jT3_P12ihipStream_tbPNSt15iterator_traitsISI_E10value_typeEPNSO_ISJ_E10value_typeEPSK_NS1_7vsmem_tEENKUlT_SI_SJ_SK_E_clISD_PySD_S10_EESH_SX_SI_SJ_SK_EUlSX_E0_NS1_11comp_targetILNS1_3genE9ELNS1_11target_archE1100ELNS1_3gpuE3ELNS1_3repE0EEENS1_38merge_mergepath_config_static_selectorELNS0_4arch9wavefront6targetE1EEEvSJ_.has_dyn_sized_stack, 0
	.set _ZN7rocprim17ROCPRIM_400000_NS6detail17trampoline_kernelINS0_14default_configENS1_38merge_sort_block_merge_config_selectorIyyEEZZNS1_27merge_sort_block_merge_implIS3_N6thrust23THRUST_200600_302600_NS6detail15normal_iteratorINS8_10device_ptrIyEEEESD_jNS1_19radix_merge_compareILb0ELb0EyNS0_19identity_decomposerEEEEE10hipError_tT0_T1_T2_jT3_P12ihipStream_tbPNSt15iterator_traitsISI_E10value_typeEPNSO_ISJ_E10value_typeEPSK_NS1_7vsmem_tEENKUlT_SI_SJ_SK_E_clISD_PySD_S10_EESH_SX_SI_SJ_SK_EUlSX_E0_NS1_11comp_targetILNS1_3genE9ELNS1_11target_archE1100ELNS1_3gpuE3ELNS1_3repE0EEENS1_38merge_mergepath_config_static_selectorELNS0_4arch9wavefront6targetE1EEEvSJ_.has_recursion, 0
	.set _ZN7rocprim17ROCPRIM_400000_NS6detail17trampoline_kernelINS0_14default_configENS1_38merge_sort_block_merge_config_selectorIyyEEZZNS1_27merge_sort_block_merge_implIS3_N6thrust23THRUST_200600_302600_NS6detail15normal_iteratorINS8_10device_ptrIyEEEESD_jNS1_19radix_merge_compareILb0ELb0EyNS0_19identity_decomposerEEEEE10hipError_tT0_T1_T2_jT3_P12ihipStream_tbPNSt15iterator_traitsISI_E10value_typeEPNSO_ISJ_E10value_typeEPSK_NS1_7vsmem_tEENKUlT_SI_SJ_SK_E_clISD_PySD_S10_EESH_SX_SI_SJ_SK_EUlSX_E0_NS1_11comp_targetILNS1_3genE9ELNS1_11target_archE1100ELNS1_3gpuE3ELNS1_3repE0EEENS1_38merge_mergepath_config_static_selectorELNS0_4arch9wavefront6targetE1EEEvSJ_.has_indirect_call, 0
	.section	.AMDGPU.csdata,"",@progbits
; Kernel info:
; codeLenInByte = 0
; TotalNumSgprs: 6
; NumVgprs: 0
; NumAgprs: 0
; TotalNumVgprs: 0
; ScratchSize: 0
; MemoryBound: 0
; FloatMode: 240
; IeeeMode: 1
; LDSByteSize: 0 bytes/workgroup (compile time only)
; SGPRBlocks: 0
; VGPRBlocks: 0
; NumSGPRsForWavesPerEU: 6
; NumVGPRsForWavesPerEU: 1
; AccumOffset: 4
; Occupancy: 8
; WaveLimiterHint : 0
; COMPUTE_PGM_RSRC2:SCRATCH_EN: 0
; COMPUTE_PGM_RSRC2:USER_SGPR: 2
; COMPUTE_PGM_RSRC2:TRAP_HANDLER: 0
; COMPUTE_PGM_RSRC2:TGID_X_EN: 1
; COMPUTE_PGM_RSRC2:TGID_Y_EN: 0
; COMPUTE_PGM_RSRC2:TGID_Z_EN: 0
; COMPUTE_PGM_RSRC2:TIDIG_COMP_CNT: 0
; COMPUTE_PGM_RSRC3_GFX90A:ACCUM_OFFSET: 0
; COMPUTE_PGM_RSRC3_GFX90A:TG_SPLIT: 0
	.section	.text._ZN7rocprim17ROCPRIM_400000_NS6detail17trampoline_kernelINS0_14default_configENS1_38merge_sort_block_merge_config_selectorIyyEEZZNS1_27merge_sort_block_merge_implIS3_N6thrust23THRUST_200600_302600_NS6detail15normal_iteratorINS8_10device_ptrIyEEEESD_jNS1_19radix_merge_compareILb0ELb0EyNS0_19identity_decomposerEEEEE10hipError_tT0_T1_T2_jT3_P12ihipStream_tbPNSt15iterator_traitsISI_E10value_typeEPNSO_ISJ_E10value_typeEPSK_NS1_7vsmem_tEENKUlT_SI_SJ_SK_E_clISD_PySD_S10_EESH_SX_SI_SJ_SK_EUlSX_E0_NS1_11comp_targetILNS1_3genE8ELNS1_11target_archE1030ELNS1_3gpuE2ELNS1_3repE0EEENS1_38merge_mergepath_config_static_selectorELNS0_4arch9wavefront6targetE1EEEvSJ_,"axG",@progbits,_ZN7rocprim17ROCPRIM_400000_NS6detail17trampoline_kernelINS0_14default_configENS1_38merge_sort_block_merge_config_selectorIyyEEZZNS1_27merge_sort_block_merge_implIS3_N6thrust23THRUST_200600_302600_NS6detail15normal_iteratorINS8_10device_ptrIyEEEESD_jNS1_19radix_merge_compareILb0ELb0EyNS0_19identity_decomposerEEEEE10hipError_tT0_T1_T2_jT3_P12ihipStream_tbPNSt15iterator_traitsISI_E10value_typeEPNSO_ISJ_E10value_typeEPSK_NS1_7vsmem_tEENKUlT_SI_SJ_SK_E_clISD_PySD_S10_EESH_SX_SI_SJ_SK_EUlSX_E0_NS1_11comp_targetILNS1_3genE8ELNS1_11target_archE1030ELNS1_3gpuE2ELNS1_3repE0EEENS1_38merge_mergepath_config_static_selectorELNS0_4arch9wavefront6targetE1EEEvSJ_,comdat
	.protected	_ZN7rocprim17ROCPRIM_400000_NS6detail17trampoline_kernelINS0_14default_configENS1_38merge_sort_block_merge_config_selectorIyyEEZZNS1_27merge_sort_block_merge_implIS3_N6thrust23THRUST_200600_302600_NS6detail15normal_iteratorINS8_10device_ptrIyEEEESD_jNS1_19radix_merge_compareILb0ELb0EyNS0_19identity_decomposerEEEEE10hipError_tT0_T1_T2_jT3_P12ihipStream_tbPNSt15iterator_traitsISI_E10value_typeEPNSO_ISJ_E10value_typeEPSK_NS1_7vsmem_tEENKUlT_SI_SJ_SK_E_clISD_PySD_S10_EESH_SX_SI_SJ_SK_EUlSX_E0_NS1_11comp_targetILNS1_3genE8ELNS1_11target_archE1030ELNS1_3gpuE2ELNS1_3repE0EEENS1_38merge_mergepath_config_static_selectorELNS0_4arch9wavefront6targetE1EEEvSJ_ ; -- Begin function _ZN7rocprim17ROCPRIM_400000_NS6detail17trampoline_kernelINS0_14default_configENS1_38merge_sort_block_merge_config_selectorIyyEEZZNS1_27merge_sort_block_merge_implIS3_N6thrust23THRUST_200600_302600_NS6detail15normal_iteratorINS8_10device_ptrIyEEEESD_jNS1_19radix_merge_compareILb0ELb0EyNS0_19identity_decomposerEEEEE10hipError_tT0_T1_T2_jT3_P12ihipStream_tbPNSt15iterator_traitsISI_E10value_typeEPNSO_ISJ_E10value_typeEPSK_NS1_7vsmem_tEENKUlT_SI_SJ_SK_E_clISD_PySD_S10_EESH_SX_SI_SJ_SK_EUlSX_E0_NS1_11comp_targetILNS1_3genE8ELNS1_11target_archE1030ELNS1_3gpuE2ELNS1_3repE0EEENS1_38merge_mergepath_config_static_selectorELNS0_4arch9wavefront6targetE1EEEvSJ_
	.globl	_ZN7rocprim17ROCPRIM_400000_NS6detail17trampoline_kernelINS0_14default_configENS1_38merge_sort_block_merge_config_selectorIyyEEZZNS1_27merge_sort_block_merge_implIS3_N6thrust23THRUST_200600_302600_NS6detail15normal_iteratorINS8_10device_ptrIyEEEESD_jNS1_19radix_merge_compareILb0ELb0EyNS0_19identity_decomposerEEEEE10hipError_tT0_T1_T2_jT3_P12ihipStream_tbPNSt15iterator_traitsISI_E10value_typeEPNSO_ISJ_E10value_typeEPSK_NS1_7vsmem_tEENKUlT_SI_SJ_SK_E_clISD_PySD_S10_EESH_SX_SI_SJ_SK_EUlSX_E0_NS1_11comp_targetILNS1_3genE8ELNS1_11target_archE1030ELNS1_3gpuE2ELNS1_3repE0EEENS1_38merge_mergepath_config_static_selectorELNS0_4arch9wavefront6targetE1EEEvSJ_
	.p2align	8
	.type	_ZN7rocprim17ROCPRIM_400000_NS6detail17trampoline_kernelINS0_14default_configENS1_38merge_sort_block_merge_config_selectorIyyEEZZNS1_27merge_sort_block_merge_implIS3_N6thrust23THRUST_200600_302600_NS6detail15normal_iteratorINS8_10device_ptrIyEEEESD_jNS1_19radix_merge_compareILb0ELb0EyNS0_19identity_decomposerEEEEE10hipError_tT0_T1_T2_jT3_P12ihipStream_tbPNSt15iterator_traitsISI_E10value_typeEPNSO_ISJ_E10value_typeEPSK_NS1_7vsmem_tEENKUlT_SI_SJ_SK_E_clISD_PySD_S10_EESH_SX_SI_SJ_SK_EUlSX_E0_NS1_11comp_targetILNS1_3genE8ELNS1_11target_archE1030ELNS1_3gpuE2ELNS1_3repE0EEENS1_38merge_mergepath_config_static_selectorELNS0_4arch9wavefront6targetE1EEEvSJ_,@function
_ZN7rocprim17ROCPRIM_400000_NS6detail17trampoline_kernelINS0_14default_configENS1_38merge_sort_block_merge_config_selectorIyyEEZZNS1_27merge_sort_block_merge_implIS3_N6thrust23THRUST_200600_302600_NS6detail15normal_iteratorINS8_10device_ptrIyEEEESD_jNS1_19radix_merge_compareILb0ELb0EyNS0_19identity_decomposerEEEEE10hipError_tT0_T1_T2_jT3_P12ihipStream_tbPNSt15iterator_traitsISI_E10value_typeEPNSO_ISJ_E10value_typeEPSK_NS1_7vsmem_tEENKUlT_SI_SJ_SK_E_clISD_PySD_S10_EESH_SX_SI_SJ_SK_EUlSX_E0_NS1_11comp_targetILNS1_3genE8ELNS1_11target_archE1030ELNS1_3gpuE2ELNS1_3repE0EEENS1_38merge_mergepath_config_static_selectorELNS0_4arch9wavefront6targetE1EEEvSJ_: ; @_ZN7rocprim17ROCPRIM_400000_NS6detail17trampoline_kernelINS0_14default_configENS1_38merge_sort_block_merge_config_selectorIyyEEZZNS1_27merge_sort_block_merge_implIS3_N6thrust23THRUST_200600_302600_NS6detail15normal_iteratorINS8_10device_ptrIyEEEESD_jNS1_19radix_merge_compareILb0ELb0EyNS0_19identity_decomposerEEEEE10hipError_tT0_T1_T2_jT3_P12ihipStream_tbPNSt15iterator_traitsISI_E10value_typeEPNSO_ISJ_E10value_typeEPSK_NS1_7vsmem_tEENKUlT_SI_SJ_SK_E_clISD_PySD_S10_EESH_SX_SI_SJ_SK_EUlSX_E0_NS1_11comp_targetILNS1_3genE8ELNS1_11target_archE1030ELNS1_3gpuE2ELNS1_3repE0EEENS1_38merge_mergepath_config_static_selectorELNS0_4arch9wavefront6targetE1EEEvSJ_
; %bb.0:
	.section	.rodata,"a",@progbits
	.p2align	6, 0x0
	.amdhsa_kernel _ZN7rocprim17ROCPRIM_400000_NS6detail17trampoline_kernelINS0_14default_configENS1_38merge_sort_block_merge_config_selectorIyyEEZZNS1_27merge_sort_block_merge_implIS3_N6thrust23THRUST_200600_302600_NS6detail15normal_iteratorINS8_10device_ptrIyEEEESD_jNS1_19radix_merge_compareILb0ELb0EyNS0_19identity_decomposerEEEEE10hipError_tT0_T1_T2_jT3_P12ihipStream_tbPNSt15iterator_traitsISI_E10value_typeEPNSO_ISJ_E10value_typeEPSK_NS1_7vsmem_tEENKUlT_SI_SJ_SK_E_clISD_PySD_S10_EESH_SX_SI_SJ_SK_EUlSX_E0_NS1_11comp_targetILNS1_3genE8ELNS1_11target_archE1030ELNS1_3gpuE2ELNS1_3repE0EEENS1_38merge_mergepath_config_static_selectorELNS0_4arch9wavefront6targetE1EEEvSJ_
		.amdhsa_group_segment_fixed_size 0
		.amdhsa_private_segment_fixed_size 0
		.amdhsa_kernarg_size 64
		.amdhsa_user_sgpr_count 2
		.amdhsa_user_sgpr_dispatch_ptr 0
		.amdhsa_user_sgpr_queue_ptr 0
		.amdhsa_user_sgpr_kernarg_segment_ptr 1
		.amdhsa_user_sgpr_dispatch_id 0
		.amdhsa_user_sgpr_kernarg_preload_length 0
		.amdhsa_user_sgpr_kernarg_preload_offset 0
		.amdhsa_user_sgpr_private_segment_size 0
		.amdhsa_uses_dynamic_stack 0
		.amdhsa_enable_private_segment 0
		.amdhsa_system_sgpr_workgroup_id_x 1
		.amdhsa_system_sgpr_workgroup_id_y 0
		.amdhsa_system_sgpr_workgroup_id_z 0
		.amdhsa_system_sgpr_workgroup_info 0
		.amdhsa_system_vgpr_workitem_id 0
		.amdhsa_next_free_vgpr 1
		.amdhsa_next_free_sgpr 0
		.amdhsa_accum_offset 4
		.amdhsa_reserve_vcc 0
		.amdhsa_float_round_mode_32 0
		.amdhsa_float_round_mode_16_64 0
		.amdhsa_float_denorm_mode_32 3
		.amdhsa_float_denorm_mode_16_64 3
		.amdhsa_dx10_clamp 1
		.amdhsa_ieee_mode 1
		.amdhsa_fp16_overflow 0
		.amdhsa_tg_split 0
		.amdhsa_exception_fp_ieee_invalid_op 0
		.amdhsa_exception_fp_denorm_src 0
		.amdhsa_exception_fp_ieee_div_zero 0
		.amdhsa_exception_fp_ieee_overflow 0
		.amdhsa_exception_fp_ieee_underflow 0
		.amdhsa_exception_fp_ieee_inexact 0
		.amdhsa_exception_int_div_zero 0
	.end_amdhsa_kernel
	.section	.text._ZN7rocprim17ROCPRIM_400000_NS6detail17trampoline_kernelINS0_14default_configENS1_38merge_sort_block_merge_config_selectorIyyEEZZNS1_27merge_sort_block_merge_implIS3_N6thrust23THRUST_200600_302600_NS6detail15normal_iteratorINS8_10device_ptrIyEEEESD_jNS1_19radix_merge_compareILb0ELb0EyNS0_19identity_decomposerEEEEE10hipError_tT0_T1_T2_jT3_P12ihipStream_tbPNSt15iterator_traitsISI_E10value_typeEPNSO_ISJ_E10value_typeEPSK_NS1_7vsmem_tEENKUlT_SI_SJ_SK_E_clISD_PySD_S10_EESH_SX_SI_SJ_SK_EUlSX_E0_NS1_11comp_targetILNS1_3genE8ELNS1_11target_archE1030ELNS1_3gpuE2ELNS1_3repE0EEENS1_38merge_mergepath_config_static_selectorELNS0_4arch9wavefront6targetE1EEEvSJ_,"axG",@progbits,_ZN7rocprim17ROCPRIM_400000_NS6detail17trampoline_kernelINS0_14default_configENS1_38merge_sort_block_merge_config_selectorIyyEEZZNS1_27merge_sort_block_merge_implIS3_N6thrust23THRUST_200600_302600_NS6detail15normal_iteratorINS8_10device_ptrIyEEEESD_jNS1_19radix_merge_compareILb0ELb0EyNS0_19identity_decomposerEEEEE10hipError_tT0_T1_T2_jT3_P12ihipStream_tbPNSt15iterator_traitsISI_E10value_typeEPNSO_ISJ_E10value_typeEPSK_NS1_7vsmem_tEENKUlT_SI_SJ_SK_E_clISD_PySD_S10_EESH_SX_SI_SJ_SK_EUlSX_E0_NS1_11comp_targetILNS1_3genE8ELNS1_11target_archE1030ELNS1_3gpuE2ELNS1_3repE0EEENS1_38merge_mergepath_config_static_selectorELNS0_4arch9wavefront6targetE1EEEvSJ_,comdat
.Lfunc_end435:
	.size	_ZN7rocprim17ROCPRIM_400000_NS6detail17trampoline_kernelINS0_14default_configENS1_38merge_sort_block_merge_config_selectorIyyEEZZNS1_27merge_sort_block_merge_implIS3_N6thrust23THRUST_200600_302600_NS6detail15normal_iteratorINS8_10device_ptrIyEEEESD_jNS1_19radix_merge_compareILb0ELb0EyNS0_19identity_decomposerEEEEE10hipError_tT0_T1_T2_jT3_P12ihipStream_tbPNSt15iterator_traitsISI_E10value_typeEPNSO_ISJ_E10value_typeEPSK_NS1_7vsmem_tEENKUlT_SI_SJ_SK_E_clISD_PySD_S10_EESH_SX_SI_SJ_SK_EUlSX_E0_NS1_11comp_targetILNS1_3genE8ELNS1_11target_archE1030ELNS1_3gpuE2ELNS1_3repE0EEENS1_38merge_mergepath_config_static_selectorELNS0_4arch9wavefront6targetE1EEEvSJ_, .Lfunc_end435-_ZN7rocprim17ROCPRIM_400000_NS6detail17trampoline_kernelINS0_14default_configENS1_38merge_sort_block_merge_config_selectorIyyEEZZNS1_27merge_sort_block_merge_implIS3_N6thrust23THRUST_200600_302600_NS6detail15normal_iteratorINS8_10device_ptrIyEEEESD_jNS1_19radix_merge_compareILb0ELb0EyNS0_19identity_decomposerEEEEE10hipError_tT0_T1_T2_jT3_P12ihipStream_tbPNSt15iterator_traitsISI_E10value_typeEPNSO_ISJ_E10value_typeEPSK_NS1_7vsmem_tEENKUlT_SI_SJ_SK_E_clISD_PySD_S10_EESH_SX_SI_SJ_SK_EUlSX_E0_NS1_11comp_targetILNS1_3genE8ELNS1_11target_archE1030ELNS1_3gpuE2ELNS1_3repE0EEENS1_38merge_mergepath_config_static_selectorELNS0_4arch9wavefront6targetE1EEEvSJ_
                                        ; -- End function
	.set _ZN7rocprim17ROCPRIM_400000_NS6detail17trampoline_kernelINS0_14default_configENS1_38merge_sort_block_merge_config_selectorIyyEEZZNS1_27merge_sort_block_merge_implIS3_N6thrust23THRUST_200600_302600_NS6detail15normal_iteratorINS8_10device_ptrIyEEEESD_jNS1_19radix_merge_compareILb0ELb0EyNS0_19identity_decomposerEEEEE10hipError_tT0_T1_T2_jT3_P12ihipStream_tbPNSt15iterator_traitsISI_E10value_typeEPNSO_ISJ_E10value_typeEPSK_NS1_7vsmem_tEENKUlT_SI_SJ_SK_E_clISD_PySD_S10_EESH_SX_SI_SJ_SK_EUlSX_E0_NS1_11comp_targetILNS1_3genE8ELNS1_11target_archE1030ELNS1_3gpuE2ELNS1_3repE0EEENS1_38merge_mergepath_config_static_selectorELNS0_4arch9wavefront6targetE1EEEvSJ_.num_vgpr, 0
	.set _ZN7rocprim17ROCPRIM_400000_NS6detail17trampoline_kernelINS0_14default_configENS1_38merge_sort_block_merge_config_selectorIyyEEZZNS1_27merge_sort_block_merge_implIS3_N6thrust23THRUST_200600_302600_NS6detail15normal_iteratorINS8_10device_ptrIyEEEESD_jNS1_19radix_merge_compareILb0ELb0EyNS0_19identity_decomposerEEEEE10hipError_tT0_T1_T2_jT3_P12ihipStream_tbPNSt15iterator_traitsISI_E10value_typeEPNSO_ISJ_E10value_typeEPSK_NS1_7vsmem_tEENKUlT_SI_SJ_SK_E_clISD_PySD_S10_EESH_SX_SI_SJ_SK_EUlSX_E0_NS1_11comp_targetILNS1_3genE8ELNS1_11target_archE1030ELNS1_3gpuE2ELNS1_3repE0EEENS1_38merge_mergepath_config_static_selectorELNS0_4arch9wavefront6targetE1EEEvSJ_.num_agpr, 0
	.set _ZN7rocprim17ROCPRIM_400000_NS6detail17trampoline_kernelINS0_14default_configENS1_38merge_sort_block_merge_config_selectorIyyEEZZNS1_27merge_sort_block_merge_implIS3_N6thrust23THRUST_200600_302600_NS6detail15normal_iteratorINS8_10device_ptrIyEEEESD_jNS1_19radix_merge_compareILb0ELb0EyNS0_19identity_decomposerEEEEE10hipError_tT0_T1_T2_jT3_P12ihipStream_tbPNSt15iterator_traitsISI_E10value_typeEPNSO_ISJ_E10value_typeEPSK_NS1_7vsmem_tEENKUlT_SI_SJ_SK_E_clISD_PySD_S10_EESH_SX_SI_SJ_SK_EUlSX_E0_NS1_11comp_targetILNS1_3genE8ELNS1_11target_archE1030ELNS1_3gpuE2ELNS1_3repE0EEENS1_38merge_mergepath_config_static_selectorELNS0_4arch9wavefront6targetE1EEEvSJ_.numbered_sgpr, 0
	.set _ZN7rocprim17ROCPRIM_400000_NS6detail17trampoline_kernelINS0_14default_configENS1_38merge_sort_block_merge_config_selectorIyyEEZZNS1_27merge_sort_block_merge_implIS3_N6thrust23THRUST_200600_302600_NS6detail15normal_iteratorINS8_10device_ptrIyEEEESD_jNS1_19radix_merge_compareILb0ELb0EyNS0_19identity_decomposerEEEEE10hipError_tT0_T1_T2_jT3_P12ihipStream_tbPNSt15iterator_traitsISI_E10value_typeEPNSO_ISJ_E10value_typeEPSK_NS1_7vsmem_tEENKUlT_SI_SJ_SK_E_clISD_PySD_S10_EESH_SX_SI_SJ_SK_EUlSX_E0_NS1_11comp_targetILNS1_3genE8ELNS1_11target_archE1030ELNS1_3gpuE2ELNS1_3repE0EEENS1_38merge_mergepath_config_static_selectorELNS0_4arch9wavefront6targetE1EEEvSJ_.num_named_barrier, 0
	.set _ZN7rocprim17ROCPRIM_400000_NS6detail17trampoline_kernelINS0_14default_configENS1_38merge_sort_block_merge_config_selectorIyyEEZZNS1_27merge_sort_block_merge_implIS3_N6thrust23THRUST_200600_302600_NS6detail15normal_iteratorINS8_10device_ptrIyEEEESD_jNS1_19radix_merge_compareILb0ELb0EyNS0_19identity_decomposerEEEEE10hipError_tT0_T1_T2_jT3_P12ihipStream_tbPNSt15iterator_traitsISI_E10value_typeEPNSO_ISJ_E10value_typeEPSK_NS1_7vsmem_tEENKUlT_SI_SJ_SK_E_clISD_PySD_S10_EESH_SX_SI_SJ_SK_EUlSX_E0_NS1_11comp_targetILNS1_3genE8ELNS1_11target_archE1030ELNS1_3gpuE2ELNS1_3repE0EEENS1_38merge_mergepath_config_static_selectorELNS0_4arch9wavefront6targetE1EEEvSJ_.private_seg_size, 0
	.set _ZN7rocprim17ROCPRIM_400000_NS6detail17trampoline_kernelINS0_14default_configENS1_38merge_sort_block_merge_config_selectorIyyEEZZNS1_27merge_sort_block_merge_implIS3_N6thrust23THRUST_200600_302600_NS6detail15normal_iteratorINS8_10device_ptrIyEEEESD_jNS1_19radix_merge_compareILb0ELb0EyNS0_19identity_decomposerEEEEE10hipError_tT0_T1_T2_jT3_P12ihipStream_tbPNSt15iterator_traitsISI_E10value_typeEPNSO_ISJ_E10value_typeEPSK_NS1_7vsmem_tEENKUlT_SI_SJ_SK_E_clISD_PySD_S10_EESH_SX_SI_SJ_SK_EUlSX_E0_NS1_11comp_targetILNS1_3genE8ELNS1_11target_archE1030ELNS1_3gpuE2ELNS1_3repE0EEENS1_38merge_mergepath_config_static_selectorELNS0_4arch9wavefront6targetE1EEEvSJ_.uses_vcc, 0
	.set _ZN7rocprim17ROCPRIM_400000_NS6detail17trampoline_kernelINS0_14default_configENS1_38merge_sort_block_merge_config_selectorIyyEEZZNS1_27merge_sort_block_merge_implIS3_N6thrust23THRUST_200600_302600_NS6detail15normal_iteratorINS8_10device_ptrIyEEEESD_jNS1_19radix_merge_compareILb0ELb0EyNS0_19identity_decomposerEEEEE10hipError_tT0_T1_T2_jT3_P12ihipStream_tbPNSt15iterator_traitsISI_E10value_typeEPNSO_ISJ_E10value_typeEPSK_NS1_7vsmem_tEENKUlT_SI_SJ_SK_E_clISD_PySD_S10_EESH_SX_SI_SJ_SK_EUlSX_E0_NS1_11comp_targetILNS1_3genE8ELNS1_11target_archE1030ELNS1_3gpuE2ELNS1_3repE0EEENS1_38merge_mergepath_config_static_selectorELNS0_4arch9wavefront6targetE1EEEvSJ_.uses_flat_scratch, 0
	.set _ZN7rocprim17ROCPRIM_400000_NS6detail17trampoline_kernelINS0_14default_configENS1_38merge_sort_block_merge_config_selectorIyyEEZZNS1_27merge_sort_block_merge_implIS3_N6thrust23THRUST_200600_302600_NS6detail15normal_iteratorINS8_10device_ptrIyEEEESD_jNS1_19radix_merge_compareILb0ELb0EyNS0_19identity_decomposerEEEEE10hipError_tT0_T1_T2_jT3_P12ihipStream_tbPNSt15iterator_traitsISI_E10value_typeEPNSO_ISJ_E10value_typeEPSK_NS1_7vsmem_tEENKUlT_SI_SJ_SK_E_clISD_PySD_S10_EESH_SX_SI_SJ_SK_EUlSX_E0_NS1_11comp_targetILNS1_3genE8ELNS1_11target_archE1030ELNS1_3gpuE2ELNS1_3repE0EEENS1_38merge_mergepath_config_static_selectorELNS0_4arch9wavefront6targetE1EEEvSJ_.has_dyn_sized_stack, 0
	.set _ZN7rocprim17ROCPRIM_400000_NS6detail17trampoline_kernelINS0_14default_configENS1_38merge_sort_block_merge_config_selectorIyyEEZZNS1_27merge_sort_block_merge_implIS3_N6thrust23THRUST_200600_302600_NS6detail15normal_iteratorINS8_10device_ptrIyEEEESD_jNS1_19radix_merge_compareILb0ELb0EyNS0_19identity_decomposerEEEEE10hipError_tT0_T1_T2_jT3_P12ihipStream_tbPNSt15iterator_traitsISI_E10value_typeEPNSO_ISJ_E10value_typeEPSK_NS1_7vsmem_tEENKUlT_SI_SJ_SK_E_clISD_PySD_S10_EESH_SX_SI_SJ_SK_EUlSX_E0_NS1_11comp_targetILNS1_3genE8ELNS1_11target_archE1030ELNS1_3gpuE2ELNS1_3repE0EEENS1_38merge_mergepath_config_static_selectorELNS0_4arch9wavefront6targetE1EEEvSJ_.has_recursion, 0
	.set _ZN7rocprim17ROCPRIM_400000_NS6detail17trampoline_kernelINS0_14default_configENS1_38merge_sort_block_merge_config_selectorIyyEEZZNS1_27merge_sort_block_merge_implIS3_N6thrust23THRUST_200600_302600_NS6detail15normal_iteratorINS8_10device_ptrIyEEEESD_jNS1_19radix_merge_compareILb0ELb0EyNS0_19identity_decomposerEEEEE10hipError_tT0_T1_T2_jT3_P12ihipStream_tbPNSt15iterator_traitsISI_E10value_typeEPNSO_ISJ_E10value_typeEPSK_NS1_7vsmem_tEENKUlT_SI_SJ_SK_E_clISD_PySD_S10_EESH_SX_SI_SJ_SK_EUlSX_E0_NS1_11comp_targetILNS1_3genE8ELNS1_11target_archE1030ELNS1_3gpuE2ELNS1_3repE0EEENS1_38merge_mergepath_config_static_selectorELNS0_4arch9wavefront6targetE1EEEvSJ_.has_indirect_call, 0
	.section	.AMDGPU.csdata,"",@progbits
; Kernel info:
; codeLenInByte = 0
; TotalNumSgprs: 6
; NumVgprs: 0
; NumAgprs: 0
; TotalNumVgprs: 0
; ScratchSize: 0
; MemoryBound: 0
; FloatMode: 240
; IeeeMode: 1
; LDSByteSize: 0 bytes/workgroup (compile time only)
; SGPRBlocks: 0
; VGPRBlocks: 0
; NumSGPRsForWavesPerEU: 6
; NumVGPRsForWavesPerEU: 1
; AccumOffset: 4
; Occupancy: 8
; WaveLimiterHint : 0
; COMPUTE_PGM_RSRC2:SCRATCH_EN: 0
; COMPUTE_PGM_RSRC2:USER_SGPR: 2
; COMPUTE_PGM_RSRC2:TRAP_HANDLER: 0
; COMPUTE_PGM_RSRC2:TGID_X_EN: 1
; COMPUTE_PGM_RSRC2:TGID_Y_EN: 0
; COMPUTE_PGM_RSRC2:TGID_Z_EN: 0
; COMPUTE_PGM_RSRC2:TIDIG_COMP_CNT: 0
; COMPUTE_PGM_RSRC3_GFX90A:ACCUM_OFFSET: 0
; COMPUTE_PGM_RSRC3_GFX90A:TG_SPLIT: 0
	.section	.text._ZN7rocprim17ROCPRIM_400000_NS6detail17trampoline_kernelINS0_14default_configENS1_38merge_sort_block_merge_config_selectorIyyEEZZNS1_27merge_sort_block_merge_implIS3_N6thrust23THRUST_200600_302600_NS6detail15normal_iteratorINS8_10device_ptrIyEEEESD_jNS1_19radix_merge_compareILb0ELb0EyNS0_19identity_decomposerEEEEE10hipError_tT0_T1_T2_jT3_P12ihipStream_tbPNSt15iterator_traitsISI_E10value_typeEPNSO_ISJ_E10value_typeEPSK_NS1_7vsmem_tEENKUlT_SI_SJ_SK_E_clISD_PySD_S10_EESH_SX_SI_SJ_SK_EUlSX_E1_NS1_11comp_targetILNS1_3genE0ELNS1_11target_archE4294967295ELNS1_3gpuE0ELNS1_3repE0EEENS1_36merge_oddeven_config_static_selectorELNS0_4arch9wavefront6targetE1EEEvSJ_,"axG",@progbits,_ZN7rocprim17ROCPRIM_400000_NS6detail17trampoline_kernelINS0_14default_configENS1_38merge_sort_block_merge_config_selectorIyyEEZZNS1_27merge_sort_block_merge_implIS3_N6thrust23THRUST_200600_302600_NS6detail15normal_iteratorINS8_10device_ptrIyEEEESD_jNS1_19radix_merge_compareILb0ELb0EyNS0_19identity_decomposerEEEEE10hipError_tT0_T1_T2_jT3_P12ihipStream_tbPNSt15iterator_traitsISI_E10value_typeEPNSO_ISJ_E10value_typeEPSK_NS1_7vsmem_tEENKUlT_SI_SJ_SK_E_clISD_PySD_S10_EESH_SX_SI_SJ_SK_EUlSX_E1_NS1_11comp_targetILNS1_3genE0ELNS1_11target_archE4294967295ELNS1_3gpuE0ELNS1_3repE0EEENS1_36merge_oddeven_config_static_selectorELNS0_4arch9wavefront6targetE1EEEvSJ_,comdat
	.protected	_ZN7rocprim17ROCPRIM_400000_NS6detail17trampoline_kernelINS0_14default_configENS1_38merge_sort_block_merge_config_selectorIyyEEZZNS1_27merge_sort_block_merge_implIS3_N6thrust23THRUST_200600_302600_NS6detail15normal_iteratorINS8_10device_ptrIyEEEESD_jNS1_19radix_merge_compareILb0ELb0EyNS0_19identity_decomposerEEEEE10hipError_tT0_T1_T2_jT3_P12ihipStream_tbPNSt15iterator_traitsISI_E10value_typeEPNSO_ISJ_E10value_typeEPSK_NS1_7vsmem_tEENKUlT_SI_SJ_SK_E_clISD_PySD_S10_EESH_SX_SI_SJ_SK_EUlSX_E1_NS1_11comp_targetILNS1_3genE0ELNS1_11target_archE4294967295ELNS1_3gpuE0ELNS1_3repE0EEENS1_36merge_oddeven_config_static_selectorELNS0_4arch9wavefront6targetE1EEEvSJ_ ; -- Begin function _ZN7rocprim17ROCPRIM_400000_NS6detail17trampoline_kernelINS0_14default_configENS1_38merge_sort_block_merge_config_selectorIyyEEZZNS1_27merge_sort_block_merge_implIS3_N6thrust23THRUST_200600_302600_NS6detail15normal_iteratorINS8_10device_ptrIyEEEESD_jNS1_19radix_merge_compareILb0ELb0EyNS0_19identity_decomposerEEEEE10hipError_tT0_T1_T2_jT3_P12ihipStream_tbPNSt15iterator_traitsISI_E10value_typeEPNSO_ISJ_E10value_typeEPSK_NS1_7vsmem_tEENKUlT_SI_SJ_SK_E_clISD_PySD_S10_EESH_SX_SI_SJ_SK_EUlSX_E1_NS1_11comp_targetILNS1_3genE0ELNS1_11target_archE4294967295ELNS1_3gpuE0ELNS1_3repE0EEENS1_36merge_oddeven_config_static_selectorELNS0_4arch9wavefront6targetE1EEEvSJ_
	.globl	_ZN7rocprim17ROCPRIM_400000_NS6detail17trampoline_kernelINS0_14default_configENS1_38merge_sort_block_merge_config_selectorIyyEEZZNS1_27merge_sort_block_merge_implIS3_N6thrust23THRUST_200600_302600_NS6detail15normal_iteratorINS8_10device_ptrIyEEEESD_jNS1_19radix_merge_compareILb0ELb0EyNS0_19identity_decomposerEEEEE10hipError_tT0_T1_T2_jT3_P12ihipStream_tbPNSt15iterator_traitsISI_E10value_typeEPNSO_ISJ_E10value_typeEPSK_NS1_7vsmem_tEENKUlT_SI_SJ_SK_E_clISD_PySD_S10_EESH_SX_SI_SJ_SK_EUlSX_E1_NS1_11comp_targetILNS1_3genE0ELNS1_11target_archE4294967295ELNS1_3gpuE0ELNS1_3repE0EEENS1_36merge_oddeven_config_static_selectorELNS0_4arch9wavefront6targetE1EEEvSJ_
	.p2align	8
	.type	_ZN7rocprim17ROCPRIM_400000_NS6detail17trampoline_kernelINS0_14default_configENS1_38merge_sort_block_merge_config_selectorIyyEEZZNS1_27merge_sort_block_merge_implIS3_N6thrust23THRUST_200600_302600_NS6detail15normal_iteratorINS8_10device_ptrIyEEEESD_jNS1_19radix_merge_compareILb0ELb0EyNS0_19identity_decomposerEEEEE10hipError_tT0_T1_T2_jT3_P12ihipStream_tbPNSt15iterator_traitsISI_E10value_typeEPNSO_ISJ_E10value_typeEPSK_NS1_7vsmem_tEENKUlT_SI_SJ_SK_E_clISD_PySD_S10_EESH_SX_SI_SJ_SK_EUlSX_E1_NS1_11comp_targetILNS1_3genE0ELNS1_11target_archE4294967295ELNS1_3gpuE0ELNS1_3repE0EEENS1_36merge_oddeven_config_static_selectorELNS0_4arch9wavefront6targetE1EEEvSJ_,@function
_ZN7rocprim17ROCPRIM_400000_NS6detail17trampoline_kernelINS0_14default_configENS1_38merge_sort_block_merge_config_selectorIyyEEZZNS1_27merge_sort_block_merge_implIS3_N6thrust23THRUST_200600_302600_NS6detail15normal_iteratorINS8_10device_ptrIyEEEESD_jNS1_19radix_merge_compareILb0ELb0EyNS0_19identity_decomposerEEEEE10hipError_tT0_T1_T2_jT3_P12ihipStream_tbPNSt15iterator_traitsISI_E10value_typeEPNSO_ISJ_E10value_typeEPSK_NS1_7vsmem_tEENKUlT_SI_SJ_SK_E_clISD_PySD_S10_EESH_SX_SI_SJ_SK_EUlSX_E1_NS1_11comp_targetILNS1_3genE0ELNS1_11target_archE4294967295ELNS1_3gpuE0ELNS1_3repE0EEENS1_36merge_oddeven_config_static_selectorELNS0_4arch9wavefront6targetE1EEEvSJ_: ; @_ZN7rocprim17ROCPRIM_400000_NS6detail17trampoline_kernelINS0_14default_configENS1_38merge_sort_block_merge_config_selectorIyyEEZZNS1_27merge_sort_block_merge_implIS3_N6thrust23THRUST_200600_302600_NS6detail15normal_iteratorINS8_10device_ptrIyEEEESD_jNS1_19radix_merge_compareILb0ELb0EyNS0_19identity_decomposerEEEEE10hipError_tT0_T1_T2_jT3_P12ihipStream_tbPNSt15iterator_traitsISI_E10value_typeEPNSO_ISJ_E10value_typeEPSK_NS1_7vsmem_tEENKUlT_SI_SJ_SK_E_clISD_PySD_S10_EESH_SX_SI_SJ_SK_EUlSX_E1_NS1_11comp_targetILNS1_3genE0ELNS1_11target_archE4294967295ELNS1_3gpuE0ELNS1_3repE0EEENS1_36merge_oddeven_config_static_selectorELNS0_4arch9wavefront6targetE1EEEvSJ_
; %bb.0:
	s_load_dword s18, s[0:1], 0x20
	s_waitcnt lgkmcnt(0)
	s_lshr_b32 s3, s18, 8
	s_cmp_eq_u32 s2, s3
	s_cselect_b64 s[6:7], -1, 0
	s_cmp_lg_u32 s2, s3
	s_cselect_b64 s[8:9], -1, 0
	s_lshl_b32 s16, s2, 8
	s_sub_i32 s3, s18, s16
	v_cmp_gt_u32_e64 s[4:5], s3, v0
	s_or_b64 s[8:9], s[8:9], s[4:5]
	s_and_saveexec_b64 s[10:11], s[8:9]
	s_cbranch_execz .LBB436_24
; %bb.1:
	s_load_dwordx8 s[8:15], s[0:1], 0x0
	s_mov_b32 s17, 0
	s_lshl_b64 s[20:21], s[16:17], 3
	v_lshlrev_b32_e32 v1, 3, v0
	s_load_dword s17, s[0:1], 0x24
	s_waitcnt lgkmcnt(0)
	s_add_u32 s22, s8, s20
	s_addc_u32 s23, s9, s21
	s_add_u32 s12, s12, s20
	s_addc_u32 s13, s13, s21
	global_load_dwordx2 v[2:3], v1, s[12:13]
	global_load_dwordx2 v[4:5], v1, s[22:23]
	s_lshr_b32 s0, s17, 8
	s_sub_i32 s1, 0, s0
	s_and_b32 s1, s2, s1
	s_and_b32 s0, s1, s0
	s_lshl_b32 s19, s1, 8
	s_sub_i32 s12, 0, s17
	s_cmp_eq_u32 s0, 0
	s_cselect_b64 s[0:1], -1, 0
	s_and_b64 s[2:3], s[0:1], exec
	s_cselect_b32 s12, s17, s12
	s_add_i32 s12, s12, s19
	s_mov_b64 s[2:3], -1
	s_cmp_gt_u32 s18, s12
	v_add_u32_e32 v0, s16, v0
	s_cbranch_scc1 .LBB436_9
; %bb.2:
	s_and_b64 vcc, exec, s[6:7]
	s_cbranch_vccz .LBB436_6
; %bb.3:
	v_cmp_gt_u32_e32 vcc, s18, v0
	s_and_saveexec_b64 s[2:3], vcc
	s_cbranch_execz .LBB436_5
; %bb.4:
	v_mov_b32_e32 v1, 0
	v_lshlrev_b64 v[6:7], 3, v[0:1]
	v_lshl_add_u64 v[8:9], s[10:11], 0, v[6:7]
	v_lshl_add_u64 v[6:7], s[14:15], 0, v[6:7]
	s_waitcnt vmcnt(0)
	global_store_dwordx2 v[8:9], v[4:5], off
	global_store_dwordx2 v[6:7], v[2:3], off
.LBB436_5:
	s_or_b64 exec, exec, s[2:3]
	s_mov_b64 s[2:3], 0
.LBB436_6:
	s_andn2_b64 vcc, exec, s[2:3]
	s_cbranch_vccnz .LBB436_8
; %bb.7:
	v_mov_b32_e32 v1, 0
	v_lshlrev_b64 v[6:7], 3, v[0:1]
	v_lshl_add_u64 v[8:9], s[10:11], 0, v[6:7]
	v_lshl_add_u64 v[6:7], s[14:15], 0, v[6:7]
	s_waitcnt vmcnt(0)
	global_store_dwordx2 v[8:9], v[4:5], off
	global_store_dwordx2 v[6:7], v[2:3], off
.LBB436_8:
	s_mov_b64 s[2:3], 0
.LBB436_9:
	s_andn2_b64 vcc, exec, s[2:3]
	s_cbranch_vccnz .LBB436_24
; %bb.10:
	s_min_u32 s13, s12, s18
	s_add_i32 s2, s13, s17
	s_min_u32 s16, s2, s18
	s_min_u32 s2, s19, s13
	s_add_i32 s19, s19, s13
	v_subrev_u32_e32 v0, s19, v0
	v_add_u32_e32 v6, s2, v0
	s_andn2_b64 vcc, exec, s[6:7]
	s_mov_b64 s[2:3], -1
	s_cbranch_vccnz .LBB436_18
; %bb.11:
	s_and_saveexec_b64 s[2:3], s[4:5]
	s_cbranch_execz .LBB436_17
; %bb.12:
	s_cmp_ge_u32 s12, s16
	v_mov_b32_e32 v7, s13
	s_cbranch_scc1 .LBB436_16
; %bb.13:
	s_mov_b64 s[4:5], 0
	v_mov_b32_e32 v8, s16
	v_mov_b32_e32 v7, s13
	;; [unrolled: 1-line block ×3, first 2 shown]
.LBB436_14:                             ; =>This Inner Loop Header: Depth=1
	v_add_u32_e32 v0, v7, v8
	v_lshrrev_b32_e32 v0, 1, v0
	v_lshl_add_u64 v[10:11], v[0:1], 3, s[8:9]
	global_load_dwordx2 v[10:11], v[10:11], off
	v_add_u32_e32 v9, 1, v0
	s_waitcnt vmcnt(0)
	v_cmp_gt_u64_e32 vcc, v[4:5], v[10:11]
	s_nop 1
	v_cndmask_b32_e64 v12, 0, 1, vcc
	v_cmp_le_u64_e32 vcc, v[10:11], v[4:5]
	s_nop 1
	v_cndmask_b32_e64 v10, 0, 1, vcc
	v_cndmask_b32_e64 v10, v10, v12, s[0:1]
	v_and_b32_e32 v10, 1, v10
	v_cmp_eq_u32_e32 vcc, 1, v10
	s_nop 1
	v_cndmask_b32_e32 v8, v0, v8, vcc
	v_cndmask_b32_e32 v7, v7, v9, vcc
	v_cmp_ge_u32_e32 vcc, v7, v8
	s_or_b64 s[4:5], vcc, s[4:5]
	s_andn2_b64 exec, exec, s[4:5]
	s_cbranch_execnz .LBB436_14
; %bb.15:
	s_or_b64 exec, exec, s[4:5]
.LBB436_16:
	v_add_u32_e32 v0, v7, v6
	v_mov_b32_e32 v1, 0
	v_lshlrev_b64 v[0:1], 3, v[0:1]
	v_lshl_add_u64 v[8:9], s[10:11], 0, v[0:1]
	v_lshl_add_u64 v[0:1], s[14:15], 0, v[0:1]
	s_waitcnt vmcnt(0)
	global_store_dwordx2 v[8:9], v[4:5], off
	global_store_dwordx2 v[0:1], v[2:3], off
.LBB436_17:
	s_or_b64 exec, exec, s[2:3]
	s_mov_b64 s[2:3], 0
.LBB436_18:
	s_andn2_b64 vcc, exec, s[2:3]
	s_cbranch_vccnz .LBB436_24
; %bb.19:
	s_cmp_ge_u32 s12, s16
	v_mov_b32_e32 v7, s13
	s_cbranch_scc1 .LBB436_23
; %bb.20:
	s_mov_b64 s[2:3], 0
	v_mov_b32_e32 v8, s16
	v_mov_b32_e32 v7, s13
	;; [unrolled: 1-line block ×3, first 2 shown]
.LBB436_21:                             ; =>This Inner Loop Header: Depth=1
	v_add_u32_e32 v0, v7, v8
	v_lshrrev_b32_e32 v0, 1, v0
	v_lshl_add_u64 v[10:11], v[0:1], 3, s[8:9]
	global_load_dwordx2 v[10:11], v[10:11], off
	v_add_u32_e32 v9, 1, v0
	s_waitcnt vmcnt(0)
	v_cmp_gt_u64_e32 vcc, v[4:5], v[10:11]
	s_nop 1
	v_cndmask_b32_e64 v12, 0, 1, vcc
	v_cmp_le_u64_e32 vcc, v[10:11], v[4:5]
	s_nop 1
	v_cndmask_b32_e64 v10, 0, 1, vcc
	v_cndmask_b32_e64 v10, v10, v12, s[0:1]
	v_and_b32_e32 v10, 1, v10
	v_cmp_eq_u32_e32 vcc, 1, v10
	s_nop 1
	v_cndmask_b32_e32 v8, v0, v8, vcc
	v_cndmask_b32_e32 v7, v7, v9, vcc
	v_cmp_ge_u32_e32 vcc, v7, v8
	s_or_b64 s[2:3], vcc, s[2:3]
	s_andn2_b64 exec, exec, s[2:3]
	s_cbranch_execnz .LBB436_21
; %bb.22:
	s_or_b64 exec, exec, s[2:3]
.LBB436_23:
	v_add_u32_e32 v0, v7, v6
	v_mov_b32_e32 v1, 0
	v_lshlrev_b64 v[0:1], 3, v[0:1]
	v_lshl_add_u64 v[6:7], s[10:11], 0, v[0:1]
	v_lshl_add_u64 v[0:1], s[14:15], 0, v[0:1]
	s_waitcnt vmcnt(0)
	global_store_dwordx2 v[6:7], v[4:5], off
	global_store_dwordx2 v[0:1], v[2:3], off
.LBB436_24:
	s_endpgm
	.section	.rodata,"a",@progbits
	.p2align	6, 0x0
	.amdhsa_kernel _ZN7rocprim17ROCPRIM_400000_NS6detail17trampoline_kernelINS0_14default_configENS1_38merge_sort_block_merge_config_selectorIyyEEZZNS1_27merge_sort_block_merge_implIS3_N6thrust23THRUST_200600_302600_NS6detail15normal_iteratorINS8_10device_ptrIyEEEESD_jNS1_19radix_merge_compareILb0ELb0EyNS0_19identity_decomposerEEEEE10hipError_tT0_T1_T2_jT3_P12ihipStream_tbPNSt15iterator_traitsISI_E10value_typeEPNSO_ISJ_E10value_typeEPSK_NS1_7vsmem_tEENKUlT_SI_SJ_SK_E_clISD_PySD_S10_EESH_SX_SI_SJ_SK_EUlSX_E1_NS1_11comp_targetILNS1_3genE0ELNS1_11target_archE4294967295ELNS1_3gpuE0ELNS1_3repE0EEENS1_36merge_oddeven_config_static_selectorELNS0_4arch9wavefront6targetE1EEEvSJ_
		.amdhsa_group_segment_fixed_size 0
		.amdhsa_private_segment_fixed_size 0
		.amdhsa_kernarg_size 48
		.amdhsa_user_sgpr_count 2
		.amdhsa_user_sgpr_dispatch_ptr 0
		.amdhsa_user_sgpr_queue_ptr 0
		.amdhsa_user_sgpr_kernarg_segment_ptr 1
		.amdhsa_user_sgpr_dispatch_id 0
		.amdhsa_user_sgpr_kernarg_preload_length 0
		.amdhsa_user_sgpr_kernarg_preload_offset 0
		.amdhsa_user_sgpr_private_segment_size 0
		.amdhsa_uses_dynamic_stack 0
		.amdhsa_enable_private_segment 0
		.amdhsa_system_sgpr_workgroup_id_x 1
		.amdhsa_system_sgpr_workgroup_id_y 0
		.amdhsa_system_sgpr_workgroup_id_z 0
		.amdhsa_system_sgpr_workgroup_info 0
		.amdhsa_system_vgpr_workitem_id 0
		.amdhsa_next_free_vgpr 13
		.amdhsa_next_free_sgpr 24
		.amdhsa_accum_offset 16
		.amdhsa_reserve_vcc 1
		.amdhsa_float_round_mode_32 0
		.amdhsa_float_round_mode_16_64 0
		.amdhsa_float_denorm_mode_32 3
		.amdhsa_float_denorm_mode_16_64 3
		.amdhsa_dx10_clamp 1
		.amdhsa_ieee_mode 1
		.amdhsa_fp16_overflow 0
		.amdhsa_tg_split 0
		.amdhsa_exception_fp_ieee_invalid_op 0
		.amdhsa_exception_fp_denorm_src 0
		.amdhsa_exception_fp_ieee_div_zero 0
		.amdhsa_exception_fp_ieee_overflow 0
		.amdhsa_exception_fp_ieee_underflow 0
		.amdhsa_exception_fp_ieee_inexact 0
		.amdhsa_exception_int_div_zero 0
	.end_amdhsa_kernel
	.section	.text._ZN7rocprim17ROCPRIM_400000_NS6detail17trampoline_kernelINS0_14default_configENS1_38merge_sort_block_merge_config_selectorIyyEEZZNS1_27merge_sort_block_merge_implIS3_N6thrust23THRUST_200600_302600_NS6detail15normal_iteratorINS8_10device_ptrIyEEEESD_jNS1_19radix_merge_compareILb0ELb0EyNS0_19identity_decomposerEEEEE10hipError_tT0_T1_T2_jT3_P12ihipStream_tbPNSt15iterator_traitsISI_E10value_typeEPNSO_ISJ_E10value_typeEPSK_NS1_7vsmem_tEENKUlT_SI_SJ_SK_E_clISD_PySD_S10_EESH_SX_SI_SJ_SK_EUlSX_E1_NS1_11comp_targetILNS1_3genE0ELNS1_11target_archE4294967295ELNS1_3gpuE0ELNS1_3repE0EEENS1_36merge_oddeven_config_static_selectorELNS0_4arch9wavefront6targetE1EEEvSJ_,"axG",@progbits,_ZN7rocprim17ROCPRIM_400000_NS6detail17trampoline_kernelINS0_14default_configENS1_38merge_sort_block_merge_config_selectorIyyEEZZNS1_27merge_sort_block_merge_implIS3_N6thrust23THRUST_200600_302600_NS6detail15normal_iteratorINS8_10device_ptrIyEEEESD_jNS1_19radix_merge_compareILb0ELb0EyNS0_19identity_decomposerEEEEE10hipError_tT0_T1_T2_jT3_P12ihipStream_tbPNSt15iterator_traitsISI_E10value_typeEPNSO_ISJ_E10value_typeEPSK_NS1_7vsmem_tEENKUlT_SI_SJ_SK_E_clISD_PySD_S10_EESH_SX_SI_SJ_SK_EUlSX_E1_NS1_11comp_targetILNS1_3genE0ELNS1_11target_archE4294967295ELNS1_3gpuE0ELNS1_3repE0EEENS1_36merge_oddeven_config_static_selectorELNS0_4arch9wavefront6targetE1EEEvSJ_,comdat
.Lfunc_end436:
	.size	_ZN7rocprim17ROCPRIM_400000_NS6detail17trampoline_kernelINS0_14default_configENS1_38merge_sort_block_merge_config_selectorIyyEEZZNS1_27merge_sort_block_merge_implIS3_N6thrust23THRUST_200600_302600_NS6detail15normal_iteratorINS8_10device_ptrIyEEEESD_jNS1_19radix_merge_compareILb0ELb0EyNS0_19identity_decomposerEEEEE10hipError_tT0_T1_T2_jT3_P12ihipStream_tbPNSt15iterator_traitsISI_E10value_typeEPNSO_ISJ_E10value_typeEPSK_NS1_7vsmem_tEENKUlT_SI_SJ_SK_E_clISD_PySD_S10_EESH_SX_SI_SJ_SK_EUlSX_E1_NS1_11comp_targetILNS1_3genE0ELNS1_11target_archE4294967295ELNS1_3gpuE0ELNS1_3repE0EEENS1_36merge_oddeven_config_static_selectorELNS0_4arch9wavefront6targetE1EEEvSJ_, .Lfunc_end436-_ZN7rocprim17ROCPRIM_400000_NS6detail17trampoline_kernelINS0_14default_configENS1_38merge_sort_block_merge_config_selectorIyyEEZZNS1_27merge_sort_block_merge_implIS3_N6thrust23THRUST_200600_302600_NS6detail15normal_iteratorINS8_10device_ptrIyEEEESD_jNS1_19radix_merge_compareILb0ELb0EyNS0_19identity_decomposerEEEEE10hipError_tT0_T1_T2_jT3_P12ihipStream_tbPNSt15iterator_traitsISI_E10value_typeEPNSO_ISJ_E10value_typeEPSK_NS1_7vsmem_tEENKUlT_SI_SJ_SK_E_clISD_PySD_S10_EESH_SX_SI_SJ_SK_EUlSX_E1_NS1_11comp_targetILNS1_3genE0ELNS1_11target_archE4294967295ELNS1_3gpuE0ELNS1_3repE0EEENS1_36merge_oddeven_config_static_selectorELNS0_4arch9wavefront6targetE1EEEvSJ_
                                        ; -- End function
	.set _ZN7rocprim17ROCPRIM_400000_NS6detail17trampoline_kernelINS0_14default_configENS1_38merge_sort_block_merge_config_selectorIyyEEZZNS1_27merge_sort_block_merge_implIS3_N6thrust23THRUST_200600_302600_NS6detail15normal_iteratorINS8_10device_ptrIyEEEESD_jNS1_19radix_merge_compareILb0ELb0EyNS0_19identity_decomposerEEEEE10hipError_tT0_T1_T2_jT3_P12ihipStream_tbPNSt15iterator_traitsISI_E10value_typeEPNSO_ISJ_E10value_typeEPSK_NS1_7vsmem_tEENKUlT_SI_SJ_SK_E_clISD_PySD_S10_EESH_SX_SI_SJ_SK_EUlSX_E1_NS1_11comp_targetILNS1_3genE0ELNS1_11target_archE4294967295ELNS1_3gpuE0ELNS1_3repE0EEENS1_36merge_oddeven_config_static_selectorELNS0_4arch9wavefront6targetE1EEEvSJ_.num_vgpr, 13
	.set _ZN7rocprim17ROCPRIM_400000_NS6detail17trampoline_kernelINS0_14default_configENS1_38merge_sort_block_merge_config_selectorIyyEEZZNS1_27merge_sort_block_merge_implIS3_N6thrust23THRUST_200600_302600_NS6detail15normal_iteratorINS8_10device_ptrIyEEEESD_jNS1_19radix_merge_compareILb0ELb0EyNS0_19identity_decomposerEEEEE10hipError_tT0_T1_T2_jT3_P12ihipStream_tbPNSt15iterator_traitsISI_E10value_typeEPNSO_ISJ_E10value_typeEPSK_NS1_7vsmem_tEENKUlT_SI_SJ_SK_E_clISD_PySD_S10_EESH_SX_SI_SJ_SK_EUlSX_E1_NS1_11comp_targetILNS1_3genE0ELNS1_11target_archE4294967295ELNS1_3gpuE0ELNS1_3repE0EEENS1_36merge_oddeven_config_static_selectorELNS0_4arch9wavefront6targetE1EEEvSJ_.num_agpr, 0
	.set _ZN7rocprim17ROCPRIM_400000_NS6detail17trampoline_kernelINS0_14default_configENS1_38merge_sort_block_merge_config_selectorIyyEEZZNS1_27merge_sort_block_merge_implIS3_N6thrust23THRUST_200600_302600_NS6detail15normal_iteratorINS8_10device_ptrIyEEEESD_jNS1_19radix_merge_compareILb0ELb0EyNS0_19identity_decomposerEEEEE10hipError_tT0_T1_T2_jT3_P12ihipStream_tbPNSt15iterator_traitsISI_E10value_typeEPNSO_ISJ_E10value_typeEPSK_NS1_7vsmem_tEENKUlT_SI_SJ_SK_E_clISD_PySD_S10_EESH_SX_SI_SJ_SK_EUlSX_E1_NS1_11comp_targetILNS1_3genE0ELNS1_11target_archE4294967295ELNS1_3gpuE0ELNS1_3repE0EEENS1_36merge_oddeven_config_static_selectorELNS0_4arch9wavefront6targetE1EEEvSJ_.numbered_sgpr, 24
	.set _ZN7rocprim17ROCPRIM_400000_NS6detail17trampoline_kernelINS0_14default_configENS1_38merge_sort_block_merge_config_selectorIyyEEZZNS1_27merge_sort_block_merge_implIS3_N6thrust23THRUST_200600_302600_NS6detail15normal_iteratorINS8_10device_ptrIyEEEESD_jNS1_19radix_merge_compareILb0ELb0EyNS0_19identity_decomposerEEEEE10hipError_tT0_T1_T2_jT3_P12ihipStream_tbPNSt15iterator_traitsISI_E10value_typeEPNSO_ISJ_E10value_typeEPSK_NS1_7vsmem_tEENKUlT_SI_SJ_SK_E_clISD_PySD_S10_EESH_SX_SI_SJ_SK_EUlSX_E1_NS1_11comp_targetILNS1_3genE0ELNS1_11target_archE4294967295ELNS1_3gpuE0ELNS1_3repE0EEENS1_36merge_oddeven_config_static_selectorELNS0_4arch9wavefront6targetE1EEEvSJ_.num_named_barrier, 0
	.set _ZN7rocprim17ROCPRIM_400000_NS6detail17trampoline_kernelINS0_14default_configENS1_38merge_sort_block_merge_config_selectorIyyEEZZNS1_27merge_sort_block_merge_implIS3_N6thrust23THRUST_200600_302600_NS6detail15normal_iteratorINS8_10device_ptrIyEEEESD_jNS1_19radix_merge_compareILb0ELb0EyNS0_19identity_decomposerEEEEE10hipError_tT0_T1_T2_jT3_P12ihipStream_tbPNSt15iterator_traitsISI_E10value_typeEPNSO_ISJ_E10value_typeEPSK_NS1_7vsmem_tEENKUlT_SI_SJ_SK_E_clISD_PySD_S10_EESH_SX_SI_SJ_SK_EUlSX_E1_NS1_11comp_targetILNS1_3genE0ELNS1_11target_archE4294967295ELNS1_3gpuE0ELNS1_3repE0EEENS1_36merge_oddeven_config_static_selectorELNS0_4arch9wavefront6targetE1EEEvSJ_.private_seg_size, 0
	.set _ZN7rocprim17ROCPRIM_400000_NS6detail17trampoline_kernelINS0_14default_configENS1_38merge_sort_block_merge_config_selectorIyyEEZZNS1_27merge_sort_block_merge_implIS3_N6thrust23THRUST_200600_302600_NS6detail15normal_iteratorINS8_10device_ptrIyEEEESD_jNS1_19radix_merge_compareILb0ELb0EyNS0_19identity_decomposerEEEEE10hipError_tT0_T1_T2_jT3_P12ihipStream_tbPNSt15iterator_traitsISI_E10value_typeEPNSO_ISJ_E10value_typeEPSK_NS1_7vsmem_tEENKUlT_SI_SJ_SK_E_clISD_PySD_S10_EESH_SX_SI_SJ_SK_EUlSX_E1_NS1_11comp_targetILNS1_3genE0ELNS1_11target_archE4294967295ELNS1_3gpuE0ELNS1_3repE0EEENS1_36merge_oddeven_config_static_selectorELNS0_4arch9wavefront6targetE1EEEvSJ_.uses_vcc, 1
	.set _ZN7rocprim17ROCPRIM_400000_NS6detail17trampoline_kernelINS0_14default_configENS1_38merge_sort_block_merge_config_selectorIyyEEZZNS1_27merge_sort_block_merge_implIS3_N6thrust23THRUST_200600_302600_NS6detail15normal_iteratorINS8_10device_ptrIyEEEESD_jNS1_19radix_merge_compareILb0ELb0EyNS0_19identity_decomposerEEEEE10hipError_tT0_T1_T2_jT3_P12ihipStream_tbPNSt15iterator_traitsISI_E10value_typeEPNSO_ISJ_E10value_typeEPSK_NS1_7vsmem_tEENKUlT_SI_SJ_SK_E_clISD_PySD_S10_EESH_SX_SI_SJ_SK_EUlSX_E1_NS1_11comp_targetILNS1_3genE0ELNS1_11target_archE4294967295ELNS1_3gpuE0ELNS1_3repE0EEENS1_36merge_oddeven_config_static_selectorELNS0_4arch9wavefront6targetE1EEEvSJ_.uses_flat_scratch, 0
	.set _ZN7rocprim17ROCPRIM_400000_NS6detail17trampoline_kernelINS0_14default_configENS1_38merge_sort_block_merge_config_selectorIyyEEZZNS1_27merge_sort_block_merge_implIS3_N6thrust23THRUST_200600_302600_NS6detail15normal_iteratorINS8_10device_ptrIyEEEESD_jNS1_19radix_merge_compareILb0ELb0EyNS0_19identity_decomposerEEEEE10hipError_tT0_T1_T2_jT3_P12ihipStream_tbPNSt15iterator_traitsISI_E10value_typeEPNSO_ISJ_E10value_typeEPSK_NS1_7vsmem_tEENKUlT_SI_SJ_SK_E_clISD_PySD_S10_EESH_SX_SI_SJ_SK_EUlSX_E1_NS1_11comp_targetILNS1_3genE0ELNS1_11target_archE4294967295ELNS1_3gpuE0ELNS1_3repE0EEENS1_36merge_oddeven_config_static_selectorELNS0_4arch9wavefront6targetE1EEEvSJ_.has_dyn_sized_stack, 0
	.set _ZN7rocprim17ROCPRIM_400000_NS6detail17trampoline_kernelINS0_14default_configENS1_38merge_sort_block_merge_config_selectorIyyEEZZNS1_27merge_sort_block_merge_implIS3_N6thrust23THRUST_200600_302600_NS6detail15normal_iteratorINS8_10device_ptrIyEEEESD_jNS1_19radix_merge_compareILb0ELb0EyNS0_19identity_decomposerEEEEE10hipError_tT0_T1_T2_jT3_P12ihipStream_tbPNSt15iterator_traitsISI_E10value_typeEPNSO_ISJ_E10value_typeEPSK_NS1_7vsmem_tEENKUlT_SI_SJ_SK_E_clISD_PySD_S10_EESH_SX_SI_SJ_SK_EUlSX_E1_NS1_11comp_targetILNS1_3genE0ELNS1_11target_archE4294967295ELNS1_3gpuE0ELNS1_3repE0EEENS1_36merge_oddeven_config_static_selectorELNS0_4arch9wavefront6targetE1EEEvSJ_.has_recursion, 0
	.set _ZN7rocprim17ROCPRIM_400000_NS6detail17trampoline_kernelINS0_14default_configENS1_38merge_sort_block_merge_config_selectorIyyEEZZNS1_27merge_sort_block_merge_implIS3_N6thrust23THRUST_200600_302600_NS6detail15normal_iteratorINS8_10device_ptrIyEEEESD_jNS1_19radix_merge_compareILb0ELb0EyNS0_19identity_decomposerEEEEE10hipError_tT0_T1_T2_jT3_P12ihipStream_tbPNSt15iterator_traitsISI_E10value_typeEPNSO_ISJ_E10value_typeEPSK_NS1_7vsmem_tEENKUlT_SI_SJ_SK_E_clISD_PySD_S10_EESH_SX_SI_SJ_SK_EUlSX_E1_NS1_11comp_targetILNS1_3genE0ELNS1_11target_archE4294967295ELNS1_3gpuE0ELNS1_3repE0EEENS1_36merge_oddeven_config_static_selectorELNS0_4arch9wavefront6targetE1EEEvSJ_.has_indirect_call, 0
	.section	.AMDGPU.csdata,"",@progbits
; Kernel info:
; codeLenInByte = 780
; TotalNumSgprs: 30
; NumVgprs: 13
; NumAgprs: 0
; TotalNumVgprs: 13
; ScratchSize: 0
; MemoryBound: 0
; FloatMode: 240
; IeeeMode: 1
; LDSByteSize: 0 bytes/workgroup (compile time only)
; SGPRBlocks: 3
; VGPRBlocks: 1
; NumSGPRsForWavesPerEU: 30
; NumVGPRsForWavesPerEU: 13
; AccumOffset: 16
; Occupancy: 8
; WaveLimiterHint : 0
; COMPUTE_PGM_RSRC2:SCRATCH_EN: 0
; COMPUTE_PGM_RSRC2:USER_SGPR: 2
; COMPUTE_PGM_RSRC2:TRAP_HANDLER: 0
; COMPUTE_PGM_RSRC2:TGID_X_EN: 1
; COMPUTE_PGM_RSRC2:TGID_Y_EN: 0
; COMPUTE_PGM_RSRC2:TGID_Z_EN: 0
; COMPUTE_PGM_RSRC2:TIDIG_COMP_CNT: 0
; COMPUTE_PGM_RSRC3_GFX90A:ACCUM_OFFSET: 3
; COMPUTE_PGM_RSRC3_GFX90A:TG_SPLIT: 0
	.section	.text._ZN7rocprim17ROCPRIM_400000_NS6detail17trampoline_kernelINS0_14default_configENS1_38merge_sort_block_merge_config_selectorIyyEEZZNS1_27merge_sort_block_merge_implIS3_N6thrust23THRUST_200600_302600_NS6detail15normal_iteratorINS8_10device_ptrIyEEEESD_jNS1_19radix_merge_compareILb0ELb0EyNS0_19identity_decomposerEEEEE10hipError_tT0_T1_T2_jT3_P12ihipStream_tbPNSt15iterator_traitsISI_E10value_typeEPNSO_ISJ_E10value_typeEPSK_NS1_7vsmem_tEENKUlT_SI_SJ_SK_E_clISD_PySD_S10_EESH_SX_SI_SJ_SK_EUlSX_E1_NS1_11comp_targetILNS1_3genE10ELNS1_11target_archE1201ELNS1_3gpuE5ELNS1_3repE0EEENS1_36merge_oddeven_config_static_selectorELNS0_4arch9wavefront6targetE1EEEvSJ_,"axG",@progbits,_ZN7rocprim17ROCPRIM_400000_NS6detail17trampoline_kernelINS0_14default_configENS1_38merge_sort_block_merge_config_selectorIyyEEZZNS1_27merge_sort_block_merge_implIS3_N6thrust23THRUST_200600_302600_NS6detail15normal_iteratorINS8_10device_ptrIyEEEESD_jNS1_19radix_merge_compareILb0ELb0EyNS0_19identity_decomposerEEEEE10hipError_tT0_T1_T2_jT3_P12ihipStream_tbPNSt15iterator_traitsISI_E10value_typeEPNSO_ISJ_E10value_typeEPSK_NS1_7vsmem_tEENKUlT_SI_SJ_SK_E_clISD_PySD_S10_EESH_SX_SI_SJ_SK_EUlSX_E1_NS1_11comp_targetILNS1_3genE10ELNS1_11target_archE1201ELNS1_3gpuE5ELNS1_3repE0EEENS1_36merge_oddeven_config_static_selectorELNS0_4arch9wavefront6targetE1EEEvSJ_,comdat
	.protected	_ZN7rocprim17ROCPRIM_400000_NS6detail17trampoline_kernelINS0_14default_configENS1_38merge_sort_block_merge_config_selectorIyyEEZZNS1_27merge_sort_block_merge_implIS3_N6thrust23THRUST_200600_302600_NS6detail15normal_iteratorINS8_10device_ptrIyEEEESD_jNS1_19radix_merge_compareILb0ELb0EyNS0_19identity_decomposerEEEEE10hipError_tT0_T1_T2_jT3_P12ihipStream_tbPNSt15iterator_traitsISI_E10value_typeEPNSO_ISJ_E10value_typeEPSK_NS1_7vsmem_tEENKUlT_SI_SJ_SK_E_clISD_PySD_S10_EESH_SX_SI_SJ_SK_EUlSX_E1_NS1_11comp_targetILNS1_3genE10ELNS1_11target_archE1201ELNS1_3gpuE5ELNS1_3repE0EEENS1_36merge_oddeven_config_static_selectorELNS0_4arch9wavefront6targetE1EEEvSJ_ ; -- Begin function _ZN7rocprim17ROCPRIM_400000_NS6detail17trampoline_kernelINS0_14default_configENS1_38merge_sort_block_merge_config_selectorIyyEEZZNS1_27merge_sort_block_merge_implIS3_N6thrust23THRUST_200600_302600_NS6detail15normal_iteratorINS8_10device_ptrIyEEEESD_jNS1_19radix_merge_compareILb0ELb0EyNS0_19identity_decomposerEEEEE10hipError_tT0_T1_T2_jT3_P12ihipStream_tbPNSt15iterator_traitsISI_E10value_typeEPNSO_ISJ_E10value_typeEPSK_NS1_7vsmem_tEENKUlT_SI_SJ_SK_E_clISD_PySD_S10_EESH_SX_SI_SJ_SK_EUlSX_E1_NS1_11comp_targetILNS1_3genE10ELNS1_11target_archE1201ELNS1_3gpuE5ELNS1_3repE0EEENS1_36merge_oddeven_config_static_selectorELNS0_4arch9wavefront6targetE1EEEvSJ_
	.globl	_ZN7rocprim17ROCPRIM_400000_NS6detail17trampoline_kernelINS0_14default_configENS1_38merge_sort_block_merge_config_selectorIyyEEZZNS1_27merge_sort_block_merge_implIS3_N6thrust23THRUST_200600_302600_NS6detail15normal_iteratorINS8_10device_ptrIyEEEESD_jNS1_19radix_merge_compareILb0ELb0EyNS0_19identity_decomposerEEEEE10hipError_tT0_T1_T2_jT3_P12ihipStream_tbPNSt15iterator_traitsISI_E10value_typeEPNSO_ISJ_E10value_typeEPSK_NS1_7vsmem_tEENKUlT_SI_SJ_SK_E_clISD_PySD_S10_EESH_SX_SI_SJ_SK_EUlSX_E1_NS1_11comp_targetILNS1_3genE10ELNS1_11target_archE1201ELNS1_3gpuE5ELNS1_3repE0EEENS1_36merge_oddeven_config_static_selectorELNS0_4arch9wavefront6targetE1EEEvSJ_
	.p2align	8
	.type	_ZN7rocprim17ROCPRIM_400000_NS6detail17trampoline_kernelINS0_14default_configENS1_38merge_sort_block_merge_config_selectorIyyEEZZNS1_27merge_sort_block_merge_implIS3_N6thrust23THRUST_200600_302600_NS6detail15normal_iteratorINS8_10device_ptrIyEEEESD_jNS1_19radix_merge_compareILb0ELb0EyNS0_19identity_decomposerEEEEE10hipError_tT0_T1_T2_jT3_P12ihipStream_tbPNSt15iterator_traitsISI_E10value_typeEPNSO_ISJ_E10value_typeEPSK_NS1_7vsmem_tEENKUlT_SI_SJ_SK_E_clISD_PySD_S10_EESH_SX_SI_SJ_SK_EUlSX_E1_NS1_11comp_targetILNS1_3genE10ELNS1_11target_archE1201ELNS1_3gpuE5ELNS1_3repE0EEENS1_36merge_oddeven_config_static_selectorELNS0_4arch9wavefront6targetE1EEEvSJ_,@function
_ZN7rocprim17ROCPRIM_400000_NS6detail17trampoline_kernelINS0_14default_configENS1_38merge_sort_block_merge_config_selectorIyyEEZZNS1_27merge_sort_block_merge_implIS3_N6thrust23THRUST_200600_302600_NS6detail15normal_iteratorINS8_10device_ptrIyEEEESD_jNS1_19radix_merge_compareILb0ELb0EyNS0_19identity_decomposerEEEEE10hipError_tT0_T1_T2_jT3_P12ihipStream_tbPNSt15iterator_traitsISI_E10value_typeEPNSO_ISJ_E10value_typeEPSK_NS1_7vsmem_tEENKUlT_SI_SJ_SK_E_clISD_PySD_S10_EESH_SX_SI_SJ_SK_EUlSX_E1_NS1_11comp_targetILNS1_3genE10ELNS1_11target_archE1201ELNS1_3gpuE5ELNS1_3repE0EEENS1_36merge_oddeven_config_static_selectorELNS0_4arch9wavefront6targetE1EEEvSJ_: ; @_ZN7rocprim17ROCPRIM_400000_NS6detail17trampoline_kernelINS0_14default_configENS1_38merge_sort_block_merge_config_selectorIyyEEZZNS1_27merge_sort_block_merge_implIS3_N6thrust23THRUST_200600_302600_NS6detail15normal_iteratorINS8_10device_ptrIyEEEESD_jNS1_19radix_merge_compareILb0ELb0EyNS0_19identity_decomposerEEEEE10hipError_tT0_T1_T2_jT3_P12ihipStream_tbPNSt15iterator_traitsISI_E10value_typeEPNSO_ISJ_E10value_typeEPSK_NS1_7vsmem_tEENKUlT_SI_SJ_SK_E_clISD_PySD_S10_EESH_SX_SI_SJ_SK_EUlSX_E1_NS1_11comp_targetILNS1_3genE10ELNS1_11target_archE1201ELNS1_3gpuE5ELNS1_3repE0EEENS1_36merge_oddeven_config_static_selectorELNS0_4arch9wavefront6targetE1EEEvSJ_
; %bb.0:
	.section	.rodata,"a",@progbits
	.p2align	6, 0x0
	.amdhsa_kernel _ZN7rocprim17ROCPRIM_400000_NS6detail17trampoline_kernelINS0_14default_configENS1_38merge_sort_block_merge_config_selectorIyyEEZZNS1_27merge_sort_block_merge_implIS3_N6thrust23THRUST_200600_302600_NS6detail15normal_iteratorINS8_10device_ptrIyEEEESD_jNS1_19radix_merge_compareILb0ELb0EyNS0_19identity_decomposerEEEEE10hipError_tT0_T1_T2_jT3_P12ihipStream_tbPNSt15iterator_traitsISI_E10value_typeEPNSO_ISJ_E10value_typeEPSK_NS1_7vsmem_tEENKUlT_SI_SJ_SK_E_clISD_PySD_S10_EESH_SX_SI_SJ_SK_EUlSX_E1_NS1_11comp_targetILNS1_3genE10ELNS1_11target_archE1201ELNS1_3gpuE5ELNS1_3repE0EEENS1_36merge_oddeven_config_static_selectorELNS0_4arch9wavefront6targetE1EEEvSJ_
		.amdhsa_group_segment_fixed_size 0
		.amdhsa_private_segment_fixed_size 0
		.amdhsa_kernarg_size 48
		.amdhsa_user_sgpr_count 2
		.amdhsa_user_sgpr_dispatch_ptr 0
		.amdhsa_user_sgpr_queue_ptr 0
		.amdhsa_user_sgpr_kernarg_segment_ptr 1
		.amdhsa_user_sgpr_dispatch_id 0
		.amdhsa_user_sgpr_kernarg_preload_length 0
		.amdhsa_user_sgpr_kernarg_preload_offset 0
		.amdhsa_user_sgpr_private_segment_size 0
		.amdhsa_uses_dynamic_stack 0
		.amdhsa_enable_private_segment 0
		.amdhsa_system_sgpr_workgroup_id_x 1
		.amdhsa_system_sgpr_workgroup_id_y 0
		.amdhsa_system_sgpr_workgroup_id_z 0
		.amdhsa_system_sgpr_workgroup_info 0
		.amdhsa_system_vgpr_workitem_id 0
		.amdhsa_next_free_vgpr 1
		.amdhsa_next_free_sgpr 0
		.amdhsa_accum_offset 4
		.amdhsa_reserve_vcc 0
		.amdhsa_float_round_mode_32 0
		.amdhsa_float_round_mode_16_64 0
		.amdhsa_float_denorm_mode_32 3
		.amdhsa_float_denorm_mode_16_64 3
		.amdhsa_dx10_clamp 1
		.amdhsa_ieee_mode 1
		.amdhsa_fp16_overflow 0
		.amdhsa_tg_split 0
		.amdhsa_exception_fp_ieee_invalid_op 0
		.amdhsa_exception_fp_denorm_src 0
		.amdhsa_exception_fp_ieee_div_zero 0
		.amdhsa_exception_fp_ieee_overflow 0
		.amdhsa_exception_fp_ieee_underflow 0
		.amdhsa_exception_fp_ieee_inexact 0
		.amdhsa_exception_int_div_zero 0
	.end_amdhsa_kernel
	.section	.text._ZN7rocprim17ROCPRIM_400000_NS6detail17trampoline_kernelINS0_14default_configENS1_38merge_sort_block_merge_config_selectorIyyEEZZNS1_27merge_sort_block_merge_implIS3_N6thrust23THRUST_200600_302600_NS6detail15normal_iteratorINS8_10device_ptrIyEEEESD_jNS1_19radix_merge_compareILb0ELb0EyNS0_19identity_decomposerEEEEE10hipError_tT0_T1_T2_jT3_P12ihipStream_tbPNSt15iterator_traitsISI_E10value_typeEPNSO_ISJ_E10value_typeEPSK_NS1_7vsmem_tEENKUlT_SI_SJ_SK_E_clISD_PySD_S10_EESH_SX_SI_SJ_SK_EUlSX_E1_NS1_11comp_targetILNS1_3genE10ELNS1_11target_archE1201ELNS1_3gpuE5ELNS1_3repE0EEENS1_36merge_oddeven_config_static_selectorELNS0_4arch9wavefront6targetE1EEEvSJ_,"axG",@progbits,_ZN7rocprim17ROCPRIM_400000_NS6detail17trampoline_kernelINS0_14default_configENS1_38merge_sort_block_merge_config_selectorIyyEEZZNS1_27merge_sort_block_merge_implIS3_N6thrust23THRUST_200600_302600_NS6detail15normal_iteratorINS8_10device_ptrIyEEEESD_jNS1_19radix_merge_compareILb0ELb0EyNS0_19identity_decomposerEEEEE10hipError_tT0_T1_T2_jT3_P12ihipStream_tbPNSt15iterator_traitsISI_E10value_typeEPNSO_ISJ_E10value_typeEPSK_NS1_7vsmem_tEENKUlT_SI_SJ_SK_E_clISD_PySD_S10_EESH_SX_SI_SJ_SK_EUlSX_E1_NS1_11comp_targetILNS1_3genE10ELNS1_11target_archE1201ELNS1_3gpuE5ELNS1_3repE0EEENS1_36merge_oddeven_config_static_selectorELNS0_4arch9wavefront6targetE1EEEvSJ_,comdat
.Lfunc_end437:
	.size	_ZN7rocprim17ROCPRIM_400000_NS6detail17trampoline_kernelINS0_14default_configENS1_38merge_sort_block_merge_config_selectorIyyEEZZNS1_27merge_sort_block_merge_implIS3_N6thrust23THRUST_200600_302600_NS6detail15normal_iteratorINS8_10device_ptrIyEEEESD_jNS1_19radix_merge_compareILb0ELb0EyNS0_19identity_decomposerEEEEE10hipError_tT0_T1_T2_jT3_P12ihipStream_tbPNSt15iterator_traitsISI_E10value_typeEPNSO_ISJ_E10value_typeEPSK_NS1_7vsmem_tEENKUlT_SI_SJ_SK_E_clISD_PySD_S10_EESH_SX_SI_SJ_SK_EUlSX_E1_NS1_11comp_targetILNS1_3genE10ELNS1_11target_archE1201ELNS1_3gpuE5ELNS1_3repE0EEENS1_36merge_oddeven_config_static_selectorELNS0_4arch9wavefront6targetE1EEEvSJ_, .Lfunc_end437-_ZN7rocprim17ROCPRIM_400000_NS6detail17trampoline_kernelINS0_14default_configENS1_38merge_sort_block_merge_config_selectorIyyEEZZNS1_27merge_sort_block_merge_implIS3_N6thrust23THRUST_200600_302600_NS6detail15normal_iteratorINS8_10device_ptrIyEEEESD_jNS1_19radix_merge_compareILb0ELb0EyNS0_19identity_decomposerEEEEE10hipError_tT0_T1_T2_jT3_P12ihipStream_tbPNSt15iterator_traitsISI_E10value_typeEPNSO_ISJ_E10value_typeEPSK_NS1_7vsmem_tEENKUlT_SI_SJ_SK_E_clISD_PySD_S10_EESH_SX_SI_SJ_SK_EUlSX_E1_NS1_11comp_targetILNS1_3genE10ELNS1_11target_archE1201ELNS1_3gpuE5ELNS1_3repE0EEENS1_36merge_oddeven_config_static_selectorELNS0_4arch9wavefront6targetE1EEEvSJ_
                                        ; -- End function
	.set _ZN7rocprim17ROCPRIM_400000_NS6detail17trampoline_kernelINS0_14default_configENS1_38merge_sort_block_merge_config_selectorIyyEEZZNS1_27merge_sort_block_merge_implIS3_N6thrust23THRUST_200600_302600_NS6detail15normal_iteratorINS8_10device_ptrIyEEEESD_jNS1_19radix_merge_compareILb0ELb0EyNS0_19identity_decomposerEEEEE10hipError_tT0_T1_T2_jT3_P12ihipStream_tbPNSt15iterator_traitsISI_E10value_typeEPNSO_ISJ_E10value_typeEPSK_NS1_7vsmem_tEENKUlT_SI_SJ_SK_E_clISD_PySD_S10_EESH_SX_SI_SJ_SK_EUlSX_E1_NS1_11comp_targetILNS1_3genE10ELNS1_11target_archE1201ELNS1_3gpuE5ELNS1_3repE0EEENS1_36merge_oddeven_config_static_selectorELNS0_4arch9wavefront6targetE1EEEvSJ_.num_vgpr, 0
	.set _ZN7rocprim17ROCPRIM_400000_NS6detail17trampoline_kernelINS0_14default_configENS1_38merge_sort_block_merge_config_selectorIyyEEZZNS1_27merge_sort_block_merge_implIS3_N6thrust23THRUST_200600_302600_NS6detail15normal_iteratorINS8_10device_ptrIyEEEESD_jNS1_19radix_merge_compareILb0ELb0EyNS0_19identity_decomposerEEEEE10hipError_tT0_T1_T2_jT3_P12ihipStream_tbPNSt15iterator_traitsISI_E10value_typeEPNSO_ISJ_E10value_typeEPSK_NS1_7vsmem_tEENKUlT_SI_SJ_SK_E_clISD_PySD_S10_EESH_SX_SI_SJ_SK_EUlSX_E1_NS1_11comp_targetILNS1_3genE10ELNS1_11target_archE1201ELNS1_3gpuE5ELNS1_3repE0EEENS1_36merge_oddeven_config_static_selectorELNS0_4arch9wavefront6targetE1EEEvSJ_.num_agpr, 0
	.set _ZN7rocprim17ROCPRIM_400000_NS6detail17trampoline_kernelINS0_14default_configENS1_38merge_sort_block_merge_config_selectorIyyEEZZNS1_27merge_sort_block_merge_implIS3_N6thrust23THRUST_200600_302600_NS6detail15normal_iteratorINS8_10device_ptrIyEEEESD_jNS1_19radix_merge_compareILb0ELb0EyNS0_19identity_decomposerEEEEE10hipError_tT0_T1_T2_jT3_P12ihipStream_tbPNSt15iterator_traitsISI_E10value_typeEPNSO_ISJ_E10value_typeEPSK_NS1_7vsmem_tEENKUlT_SI_SJ_SK_E_clISD_PySD_S10_EESH_SX_SI_SJ_SK_EUlSX_E1_NS1_11comp_targetILNS1_3genE10ELNS1_11target_archE1201ELNS1_3gpuE5ELNS1_3repE0EEENS1_36merge_oddeven_config_static_selectorELNS0_4arch9wavefront6targetE1EEEvSJ_.numbered_sgpr, 0
	.set _ZN7rocprim17ROCPRIM_400000_NS6detail17trampoline_kernelINS0_14default_configENS1_38merge_sort_block_merge_config_selectorIyyEEZZNS1_27merge_sort_block_merge_implIS3_N6thrust23THRUST_200600_302600_NS6detail15normal_iteratorINS8_10device_ptrIyEEEESD_jNS1_19radix_merge_compareILb0ELb0EyNS0_19identity_decomposerEEEEE10hipError_tT0_T1_T2_jT3_P12ihipStream_tbPNSt15iterator_traitsISI_E10value_typeEPNSO_ISJ_E10value_typeEPSK_NS1_7vsmem_tEENKUlT_SI_SJ_SK_E_clISD_PySD_S10_EESH_SX_SI_SJ_SK_EUlSX_E1_NS1_11comp_targetILNS1_3genE10ELNS1_11target_archE1201ELNS1_3gpuE5ELNS1_3repE0EEENS1_36merge_oddeven_config_static_selectorELNS0_4arch9wavefront6targetE1EEEvSJ_.num_named_barrier, 0
	.set _ZN7rocprim17ROCPRIM_400000_NS6detail17trampoline_kernelINS0_14default_configENS1_38merge_sort_block_merge_config_selectorIyyEEZZNS1_27merge_sort_block_merge_implIS3_N6thrust23THRUST_200600_302600_NS6detail15normal_iteratorINS8_10device_ptrIyEEEESD_jNS1_19radix_merge_compareILb0ELb0EyNS0_19identity_decomposerEEEEE10hipError_tT0_T1_T2_jT3_P12ihipStream_tbPNSt15iterator_traitsISI_E10value_typeEPNSO_ISJ_E10value_typeEPSK_NS1_7vsmem_tEENKUlT_SI_SJ_SK_E_clISD_PySD_S10_EESH_SX_SI_SJ_SK_EUlSX_E1_NS1_11comp_targetILNS1_3genE10ELNS1_11target_archE1201ELNS1_3gpuE5ELNS1_3repE0EEENS1_36merge_oddeven_config_static_selectorELNS0_4arch9wavefront6targetE1EEEvSJ_.private_seg_size, 0
	.set _ZN7rocprim17ROCPRIM_400000_NS6detail17trampoline_kernelINS0_14default_configENS1_38merge_sort_block_merge_config_selectorIyyEEZZNS1_27merge_sort_block_merge_implIS3_N6thrust23THRUST_200600_302600_NS6detail15normal_iteratorINS8_10device_ptrIyEEEESD_jNS1_19radix_merge_compareILb0ELb0EyNS0_19identity_decomposerEEEEE10hipError_tT0_T1_T2_jT3_P12ihipStream_tbPNSt15iterator_traitsISI_E10value_typeEPNSO_ISJ_E10value_typeEPSK_NS1_7vsmem_tEENKUlT_SI_SJ_SK_E_clISD_PySD_S10_EESH_SX_SI_SJ_SK_EUlSX_E1_NS1_11comp_targetILNS1_3genE10ELNS1_11target_archE1201ELNS1_3gpuE5ELNS1_3repE0EEENS1_36merge_oddeven_config_static_selectorELNS0_4arch9wavefront6targetE1EEEvSJ_.uses_vcc, 0
	.set _ZN7rocprim17ROCPRIM_400000_NS6detail17trampoline_kernelINS0_14default_configENS1_38merge_sort_block_merge_config_selectorIyyEEZZNS1_27merge_sort_block_merge_implIS3_N6thrust23THRUST_200600_302600_NS6detail15normal_iteratorINS8_10device_ptrIyEEEESD_jNS1_19radix_merge_compareILb0ELb0EyNS0_19identity_decomposerEEEEE10hipError_tT0_T1_T2_jT3_P12ihipStream_tbPNSt15iterator_traitsISI_E10value_typeEPNSO_ISJ_E10value_typeEPSK_NS1_7vsmem_tEENKUlT_SI_SJ_SK_E_clISD_PySD_S10_EESH_SX_SI_SJ_SK_EUlSX_E1_NS1_11comp_targetILNS1_3genE10ELNS1_11target_archE1201ELNS1_3gpuE5ELNS1_3repE0EEENS1_36merge_oddeven_config_static_selectorELNS0_4arch9wavefront6targetE1EEEvSJ_.uses_flat_scratch, 0
	.set _ZN7rocprim17ROCPRIM_400000_NS6detail17trampoline_kernelINS0_14default_configENS1_38merge_sort_block_merge_config_selectorIyyEEZZNS1_27merge_sort_block_merge_implIS3_N6thrust23THRUST_200600_302600_NS6detail15normal_iteratorINS8_10device_ptrIyEEEESD_jNS1_19radix_merge_compareILb0ELb0EyNS0_19identity_decomposerEEEEE10hipError_tT0_T1_T2_jT3_P12ihipStream_tbPNSt15iterator_traitsISI_E10value_typeEPNSO_ISJ_E10value_typeEPSK_NS1_7vsmem_tEENKUlT_SI_SJ_SK_E_clISD_PySD_S10_EESH_SX_SI_SJ_SK_EUlSX_E1_NS1_11comp_targetILNS1_3genE10ELNS1_11target_archE1201ELNS1_3gpuE5ELNS1_3repE0EEENS1_36merge_oddeven_config_static_selectorELNS0_4arch9wavefront6targetE1EEEvSJ_.has_dyn_sized_stack, 0
	.set _ZN7rocprim17ROCPRIM_400000_NS6detail17trampoline_kernelINS0_14default_configENS1_38merge_sort_block_merge_config_selectorIyyEEZZNS1_27merge_sort_block_merge_implIS3_N6thrust23THRUST_200600_302600_NS6detail15normal_iteratorINS8_10device_ptrIyEEEESD_jNS1_19radix_merge_compareILb0ELb0EyNS0_19identity_decomposerEEEEE10hipError_tT0_T1_T2_jT3_P12ihipStream_tbPNSt15iterator_traitsISI_E10value_typeEPNSO_ISJ_E10value_typeEPSK_NS1_7vsmem_tEENKUlT_SI_SJ_SK_E_clISD_PySD_S10_EESH_SX_SI_SJ_SK_EUlSX_E1_NS1_11comp_targetILNS1_3genE10ELNS1_11target_archE1201ELNS1_3gpuE5ELNS1_3repE0EEENS1_36merge_oddeven_config_static_selectorELNS0_4arch9wavefront6targetE1EEEvSJ_.has_recursion, 0
	.set _ZN7rocprim17ROCPRIM_400000_NS6detail17trampoline_kernelINS0_14default_configENS1_38merge_sort_block_merge_config_selectorIyyEEZZNS1_27merge_sort_block_merge_implIS3_N6thrust23THRUST_200600_302600_NS6detail15normal_iteratorINS8_10device_ptrIyEEEESD_jNS1_19radix_merge_compareILb0ELb0EyNS0_19identity_decomposerEEEEE10hipError_tT0_T1_T2_jT3_P12ihipStream_tbPNSt15iterator_traitsISI_E10value_typeEPNSO_ISJ_E10value_typeEPSK_NS1_7vsmem_tEENKUlT_SI_SJ_SK_E_clISD_PySD_S10_EESH_SX_SI_SJ_SK_EUlSX_E1_NS1_11comp_targetILNS1_3genE10ELNS1_11target_archE1201ELNS1_3gpuE5ELNS1_3repE0EEENS1_36merge_oddeven_config_static_selectorELNS0_4arch9wavefront6targetE1EEEvSJ_.has_indirect_call, 0
	.section	.AMDGPU.csdata,"",@progbits
; Kernel info:
; codeLenInByte = 0
; TotalNumSgprs: 6
; NumVgprs: 0
; NumAgprs: 0
; TotalNumVgprs: 0
; ScratchSize: 0
; MemoryBound: 0
; FloatMode: 240
; IeeeMode: 1
; LDSByteSize: 0 bytes/workgroup (compile time only)
; SGPRBlocks: 0
; VGPRBlocks: 0
; NumSGPRsForWavesPerEU: 6
; NumVGPRsForWavesPerEU: 1
; AccumOffset: 4
; Occupancy: 8
; WaveLimiterHint : 0
; COMPUTE_PGM_RSRC2:SCRATCH_EN: 0
; COMPUTE_PGM_RSRC2:USER_SGPR: 2
; COMPUTE_PGM_RSRC2:TRAP_HANDLER: 0
; COMPUTE_PGM_RSRC2:TGID_X_EN: 1
; COMPUTE_PGM_RSRC2:TGID_Y_EN: 0
; COMPUTE_PGM_RSRC2:TGID_Z_EN: 0
; COMPUTE_PGM_RSRC2:TIDIG_COMP_CNT: 0
; COMPUTE_PGM_RSRC3_GFX90A:ACCUM_OFFSET: 0
; COMPUTE_PGM_RSRC3_GFX90A:TG_SPLIT: 0
	.section	.text._ZN7rocprim17ROCPRIM_400000_NS6detail17trampoline_kernelINS0_14default_configENS1_38merge_sort_block_merge_config_selectorIyyEEZZNS1_27merge_sort_block_merge_implIS3_N6thrust23THRUST_200600_302600_NS6detail15normal_iteratorINS8_10device_ptrIyEEEESD_jNS1_19radix_merge_compareILb0ELb0EyNS0_19identity_decomposerEEEEE10hipError_tT0_T1_T2_jT3_P12ihipStream_tbPNSt15iterator_traitsISI_E10value_typeEPNSO_ISJ_E10value_typeEPSK_NS1_7vsmem_tEENKUlT_SI_SJ_SK_E_clISD_PySD_S10_EESH_SX_SI_SJ_SK_EUlSX_E1_NS1_11comp_targetILNS1_3genE5ELNS1_11target_archE942ELNS1_3gpuE9ELNS1_3repE0EEENS1_36merge_oddeven_config_static_selectorELNS0_4arch9wavefront6targetE1EEEvSJ_,"axG",@progbits,_ZN7rocprim17ROCPRIM_400000_NS6detail17trampoline_kernelINS0_14default_configENS1_38merge_sort_block_merge_config_selectorIyyEEZZNS1_27merge_sort_block_merge_implIS3_N6thrust23THRUST_200600_302600_NS6detail15normal_iteratorINS8_10device_ptrIyEEEESD_jNS1_19radix_merge_compareILb0ELb0EyNS0_19identity_decomposerEEEEE10hipError_tT0_T1_T2_jT3_P12ihipStream_tbPNSt15iterator_traitsISI_E10value_typeEPNSO_ISJ_E10value_typeEPSK_NS1_7vsmem_tEENKUlT_SI_SJ_SK_E_clISD_PySD_S10_EESH_SX_SI_SJ_SK_EUlSX_E1_NS1_11comp_targetILNS1_3genE5ELNS1_11target_archE942ELNS1_3gpuE9ELNS1_3repE0EEENS1_36merge_oddeven_config_static_selectorELNS0_4arch9wavefront6targetE1EEEvSJ_,comdat
	.protected	_ZN7rocprim17ROCPRIM_400000_NS6detail17trampoline_kernelINS0_14default_configENS1_38merge_sort_block_merge_config_selectorIyyEEZZNS1_27merge_sort_block_merge_implIS3_N6thrust23THRUST_200600_302600_NS6detail15normal_iteratorINS8_10device_ptrIyEEEESD_jNS1_19radix_merge_compareILb0ELb0EyNS0_19identity_decomposerEEEEE10hipError_tT0_T1_T2_jT3_P12ihipStream_tbPNSt15iterator_traitsISI_E10value_typeEPNSO_ISJ_E10value_typeEPSK_NS1_7vsmem_tEENKUlT_SI_SJ_SK_E_clISD_PySD_S10_EESH_SX_SI_SJ_SK_EUlSX_E1_NS1_11comp_targetILNS1_3genE5ELNS1_11target_archE942ELNS1_3gpuE9ELNS1_3repE0EEENS1_36merge_oddeven_config_static_selectorELNS0_4arch9wavefront6targetE1EEEvSJ_ ; -- Begin function _ZN7rocprim17ROCPRIM_400000_NS6detail17trampoline_kernelINS0_14default_configENS1_38merge_sort_block_merge_config_selectorIyyEEZZNS1_27merge_sort_block_merge_implIS3_N6thrust23THRUST_200600_302600_NS6detail15normal_iteratorINS8_10device_ptrIyEEEESD_jNS1_19radix_merge_compareILb0ELb0EyNS0_19identity_decomposerEEEEE10hipError_tT0_T1_T2_jT3_P12ihipStream_tbPNSt15iterator_traitsISI_E10value_typeEPNSO_ISJ_E10value_typeEPSK_NS1_7vsmem_tEENKUlT_SI_SJ_SK_E_clISD_PySD_S10_EESH_SX_SI_SJ_SK_EUlSX_E1_NS1_11comp_targetILNS1_3genE5ELNS1_11target_archE942ELNS1_3gpuE9ELNS1_3repE0EEENS1_36merge_oddeven_config_static_selectorELNS0_4arch9wavefront6targetE1EEEvSJ_
	.globl	_ZN7rocprim17ROCPRIM_400000_NS6detail17trampoline_kernelINS0_14default_configENS1_38merge_sort_block_merge_config_selectorIyyEEZZNS1_27merge_sort_block_merge_implIS3_N6thrust23THRUST_200600_302600_NS6detail15normal_iteratorINS8_10device_ptrIyEEEESD_jNS1_19radix_merge_compareILb0ELb0EyNS0_19identity_decomposerEEEEE10hipError_tT0_T1_T2_jT3_P12ihipStream_tbPNSt15iterator_traitsISI_E10value_typeEPNSO_ISJ_E10value_typeEPSK_NS1_7vsmem_tEENKUlT_SI_SJ_SK_E_clISD_PySD_S10_EESH_SX_SI_SJ_SK_EUlSX_E1_NS1_11comp_targetILNS1_3genE5ELNS1_11target_archE942ELNS1_3gpuE9ELNS1_3repE0EEENS1_36merge_oddeven_config_static_selectorELNS0_4arch9wavefront6targetE1EEEvSJ_
	.p2align	8
	.type	_ZN7rocprim17ROCPRIM_400000_NS6detail17trampoline_kernelINS0_14default_configENS1_38merge_sort_block_merge_config_selectorIyyEEZZNS1_27merge_sort_block_merge_implIS3_N6thrust23THRUST_200600_302600_NS6detail15normal_iteratorINS8_10device_ptrIyEEEESD_jNS1_19radix_merge_compareILb0ELb0EyNS0_19identity_decomposerEEEEE10hipError_tT0_T1_T2_jT3_P12ihipStream_tbPNSt15iterator_traitsISI_E10value_typeEPNSO_ISJ_E10value_typeEPSK_NS1_7vsmem_tEENKUlT_SI_SJ_SK_E_clISD_PySD_S10_EESH_SX_SI_SJ_SK_EUlSX_E1_NS1_11comp_targetILNS1_3genE5ELNS1_11target_archE942ELNS1_3gpuE9ELNS1_3repE0EEENS1_36merge_oddeven_config_static_selectorELNS0_4arch9wavefront6targetE1EEEvSJ_,@function
_ZN7rocprim17ROCPRIM_400000_NS6detail17trampoline_kernelINS0_14default_configENS1_38merge_sort_block_merge_config_selectorIyyEEZZNS1_27merge_sort_block_merge_implIS3_N6thrust23THRUST_200600_302600_NS6detail15normal_iteratorINS8_10device_ptrIyEEEESD_jNS1_19radix_merge_compareILb0ELb0EyNS0_19identity_decomposerEEEEE10hipError_tT0_T1_T2_jT3_P12ihipStream_tbPNSt15iterator_traitsISI_E10value_typeEPNSO_ISJ_E10value_typeEPSK_NS1_7vsmem_tEENKUlT_SI_SJ_SK_E_clISD_PySD_S10_EESH_SX_SI_SJ_SK_EUlSX_E1_NS1_11comp_targetILNS1_3genE5ELNS1_11target_archE942ELNS1_3gpuE9ELNS1_3repE0EEENS1_36merge_oddeven_config_static_selectorELNS0_4arch9wavefront6targetE1EEEvSJ_: ; @_ZN7rocprim17ROCPRIM_400000_NS6detail17trampoline_kernelINS0_14default_configENS1_38merge_sort_block_merge_config_selectorIyyEEZZNS1_27merge_sort_block_merge_implIS3_N6thrust23THRUST_200600_302600_NS6detail15normal_iteratorINS8_10device_ptrIyEEEESD_jNS1_19radix_merge_compareILb0ELb0EyNS0_19identity_decomposerEEEEE10hipError_tT0_T1_T2_jT3_P12ihipStream_tbPNSt15iterator_traitsISI_E10value_typeEPNSO_ISJ_E10value_typeEPSK_NS1_7vsmem_tEENKUlT_SI_SJ_SK_E_clISD_PySD_S10_EESH_SX_SI_SJ_SK_EUlSX_E1_NS1_11comp_targetILNS1_3genE5ELNS1_11target_archE942ELNS1_3gpuE9ELNS1_3repE0EEENS1_36merge_oddeven_config_static_selectorELNS0_4arch9wavefront6targetE1EEEvSJ_
; %bb.0:
	.section	.rodata,"a",@progbits
	.p2align	6, 0x0
	.amdhsa_kernel _ZN7rocprim17ROCPRIM_400000_NS6detail17trampoline_kernelINS0_14default_configENS1_38merge_sort_block_merge_config_selectorIyyEEZZNS1_27merge_sort_block_merge_implIS3_N6thrust23THRUST_200600_302600_NS6detail15normal_iteratorINS8_10device_ptrIyEEEESD_jNS1_19radix_merge_compareILb0ELb0EyNS0_19identity_decomposerEEEEE10hipError_tT0_T1_T2_jT3_P12ihipStream_tbPNSt15iterator_traitsISI_E10value_typeEPNSO_ISJ_E10value_typeEPSK_NS1_7vsmem_tEENKUlT_SI_SJ_SK_E_clISD_PySD_S10_EESH_SX_SI_SJ_SK_EUlSX_E1_NS1_11comp_targetILNS1_3genE5ELNS1_11target_archE942ELNS1_3gpuE9ELNS1_3repE0EEENS1_36merge_oddeven_config_static_selectorELNS0_4arch9wavefront6targetE1EEEvSJ_
		.amdhsa_group_segment_fixed_size 0
		.amdhsa_private_segment_fixed_size 0
		.amdhsa_kernarg_size 48
		.amdhsa_user_sgpr_count 2
		.amdhsa_user_sgpr_dispatch_ptr 0
		.amdhsa_user_sgpr_queue_ptr 0
		.amdhsa_user_sgpr_kernarg_segment_ptr 1
		.amdhsa_user_sgpr_dispatch_id 0
		.amdhsa_user_sgpr_kernarg_preload_length 0
		.amdhsa_user_sgpr_kernarg_preload_offset 0
		.amdhsa_user_sgpr_private_segment_size 0
		.amdhsa_uses_dynamic_stack 0
		.amdhsa_enable_private_segment 0
		.amdhsa_system_sgpr_workgroup_id_x 1
		.amdhsa_system_sgpr_workgroup_id_y 0
		.amdhsa_system_sgpr_workgroup_id_z 0
		.amdhsa_system_sgpr_workgroup_info 0
		.amdhsa_system_vgpr_workitem_id 0
		.amdhsa_next_free_vgpr 1
		.amdhsa_next_free_sgpr 0
		.amdhsa_accum_offset 4
		.amdhsa_reserve_vcc 0
		.amdhsa_float_round_mode_32 0
		.amdhsa_float_round_mode_16_64 0
		.amdhsa_float_denorm_mode_32 3
		.amdhsa_float_denorm_mode_16_64 3
		.amdhsa_dx10_clamp 1
		.amdhsa_ieee_mode 1
		.amdhsa_fp16_overflow 0
		.amdhsa_tg_split 0
		.amdhsa_exception_fp_ieee_invalid_op 0
		.amdhsa_exception_fp_denorm_src 0
		.amdhsa_exception_fp_ieee_div_zero 0
		.amdhsa_exception_fp_ieee_overflow 0
		.amdhsa_exception_fp_ieee_underflow 0
		.amdhsa_exception_fp_ieee_inexact 0
		.amdhsa_exception_int_div_zero 0
	.end_amdhsa_kernel
	.section	.text._ZN7rocprim17ROCPRIM_400000_NS6detail17trampoline_kernelINS0_14default_configENS1_38merge_sort_block_merge_config_selectorIyyEEZZNS1_27merge_sort_block_merge_implIS3_N6thrust23THRUST_200600_302600_NS6detail15normal_iteratorINS8_10device_ptrIyEEEESD_jNS1_19radix_merge_compareILb0ELb0EyNS0_19identity_decomposerEEEEE10hipError_tT0_T1_T2_jT3_P12ihipStream_tbPNSt15iterator_traitsISI_E10value_typeEPNSO_ISJ_E10value_typeEPSK_NS1_7vsmem_tEENKUlT_SI_SJ_SK_E_clISD_PySD_S10_EESH_SX_SI_SJ_SK_EUlSX_E1_NS1_11comp_targetILNS1_3genE5ELNS1_11target_archE942ELNS1_3gpuE9ELNS1_3repE0EEENS1_36merge_oddeven_config_static_selectorELNS0_4arch9wavefront6targetE1EEEvSJ_,"axG",@progbits,_ZN7rocprim17ROCPRIM_400000_NS6detail17trampoline_kernelINS0_14default_configENS1_38merge_sort_block_merge_config_selectorIyyEEZZNS1_27merge_sort_block_merge_implIS3_N6thrust23THRUST_200600_302600_NS6detail15normal_iteratorINS8_10device_ptrIyEEEESD_jNS1_19radix_merge_compareILb0ELb0EyNS0_19identity_decomposerEEEEE10hipError_tT0_T1_T2_jT3_P12ihipStream_tbPNSt15iterator_traitsISI_E10value_typeEPNSO_ISJ_E10value_typeEPSK_NS1_7vsmem_tEENKUlT_SI_SJ_SK_E_clISD_PySD_S10_EESH_SX_SI_SJ_SK_EUlSX_E1_NS1_11comp_targetILNS1_3genE5ELNS1_11target_archE942ELNS1_3gpuE9ELNS1_3repE0EEENS1_36merge_oddeven_config_static_selectorELNS0_4arch9wavefront6targetE1EEEvSJ_,comdat
.Lfunc_end438:
	.size	_ZN7rocprim17ROCPRIM_400000_NS6detail17trampoline_kernelINS0_14default_configENS1_38merge_sort_block_merge_config_selectorIyyEEZZNS1_27merge_sort_block_merge_implIS3_N6thrust23THRUST_200600_302600_NS6detail15normal_iteratorINS8_10device_ptrIyEEEESD_jNS1_19radix_merge_compareILb0ELb0EyNS0_19identity_decomposerEEEEE10hipError_tT0_T1_T2_jT3_P12ihipStream_tbPNSt15iterator_traitsISI_E10value_typeEPNSO_ISJ_E10value_typeEPSK_NS1_7vsmem_tEENKUlT_SI_SJ_SK_E_clISD_PySD_S10_EESH_SX_SI_SJ_SK_EUlSX_E1_NS1_11comp_targetILNS1_3genE5ELNS1_11target_archE942ELNS1_3gpuE9ELNS1_3repE0EEENS1_36merge_oddeven_config_static_selectorELNS0_4arch9wavefront6targetE1EEEvSJ_, .Lfunc_end438-_ZN7rocprim17ROCPRIM_400000_NS6detail17trampoline_kernelINS0_14default_configENS1_38merge_sort_block_merge_config_selectorIyyEEZZNS1_27merge_sort_block_merge_implIS3_N6thrust23THRUST_200600_302600_NS6detail15normal_iteratorINS8_10device_ptrIyEEEESD_jNS1_19radix_merge_compareILb0ELb0EyNS0_19identity_decomposerEEEEE10hipError_tT0_T1_T2_jT3_P12ihipStream_tbPNSt15iterator_traitsISI_E10value_typeEPNSO_ISJ_E10value_typeEPSK_NS1_7vsmem_tEENKUlT_SI_SJ_SK_E_clISD_PySD_S10_EESH_SX_SI_SJ_SK_EUlSX_E1_NS1_11comp_targetILNS1_3genE5ELNS1_11target_archE942ELNS1_3gpuE9ELNS1_3repE0EEENS1_36merge_oddeven_config_static_selectorELNS0_4arch9wavefront6targetE1EEEvSJ_
                                        ; -- End function
	.set _ZN7rocprim17ROCPRIM_400000_NS6detail17trampoline_kernelINS0_14default_configENS1_38merge_sort_block_merge_config_selectorIyyEEZZNS1_27merge_sort_block_merge_implIS3_N6thrust23THRUST_200600_302600_NS6detail15normal_iteratorINS8_10device_ptrIyEEEESD_jNS1_19radix_merge_compareILb0ELb0EyNS0_19identity_decomposerEEEEE10hipError_tT0_T1_T2_jT3_P12ihipStream_tbPNSt15iterator_traitsISI_E10value_typeEPNSO_ISJ_E10value_typeEPSK_NS1_7vsmem_tEENKUlT_SI_SJ_SK_E_clISD_PySD_S10_EESH_SX_SI_SJ_SK_EUlSX_E1_NS1_11comp_targetILNS1_3genE5ELNS1_11target_archE942ELNS1_3gpuE9ELNS1_3repE0EEENS1_36merge_oddeven_config_static_selectorELNS0_4arch9wavefront6targetE1EEEvSJ_.num_vgpr, 0
	.set _ZN7rocprim17ROCPRIM_400000_NS6detail17trampoline_kernelINS0_14default_configENS1_38merge_sort_block_merge_config_selectorIyyEEZZNS1_27merge_sort_block_merge_implIS3_N6thrust23THRUST_200600_302600_NS6detail15normal_iteratorINS8_10device_ptrIyEEEESD_jNS1_19radix_merge_compareILb0ELb0EyNS0_19identity_decomposerEEEEE10hipError_tT0_T1_T2_jT3_P12ihipStream_tbPNSt15iterator_traitsISI_E10value_typeEPNSO_ISJ_E10value_typeEPSK_NS1_7vsmem_tEENKUlT_SI_SJ_SK_E_clISD_PySD_S10_EESH_SX_SI_SJ_SK_EUlSX_E1_NS1_11comp_targetILNS1_3genE5ELNS1_11target_archE942ELNS1_3gpuE9ELNS1_3repE0EEENS1_36merge_oddeven_config_static_selectorELNS0_4arch9wavefront6targetE1EEEvSJ_.num_agpr, 0
	.set _ZN7rocprim17ROCPRIM_400000_NS6detail17trampoline_kernelINS0_14default_configENS1_38merge_sort_block_merge_config_selectorIyyEEZZNS1_27merge_sort_block_merge_implIS3_N6thrust23THRUST_200600_302600_NS6detail15normal_iteratorINS8_10device_ptrIyEEEESD_jNS1_19radix_merge_compareILb0ELb0EyNS0_19identity_decomposerEEEEE10hipError_tT0_T1_T2_jT3_P12ihipStream_tbPNSt15iterator_traitsISI_E10value_typeEPNSO_ISJ_E10value_typeEPSK_NS1_7vsmem_tEENKUlT_SI_SJ_SK_E_clISD_PySD_S10_EESH_SX_SI_SJ_SK_EUlSX_E1_NS1_11comp_targetILNS1_3genE5ELNS1_11target_archE942ELNS1_3gpuE9ELNS1_3repE0EEENS1_36merge_oddeven_config_static_selectorELNS0_4arch9wavefront6targetE1EEEvSJ_.numbered_sgpr, 0
	.set _ZN7rocprim17ROCPRIM_400000_NS6detail17trampoline_kernelINS0_14default_configENS1_38merge_sort_block_merge_config_selectorIyyEEZZNS1_27merge_sort_block_merge_implIS3_N6thrust23THRUST_200600_302600_NS6detail15normal_iteratorINS8_10device_ptrIyEEEESD_jNS1_19radix_merge_compareILb0ELb0EyNS0_19identity_decomposerEEEEE10hipError_tT0_T1_T2_jT3_P12ihipStream_tbPNSt15iterator_traitsISI_E10value_typeEPNSO_ISJ_E10value_typeEPSK_NS1_7vsmem_tEENKUlT_SI_SJ_SK_E_clISD_PySD_S10_EESH_SX_SI_SJ_SK_EUlSX_E1_NS1_11comp_targetILNS1_3genE5ELNS1_11target_archE942ELNS1_3gpuE9ELNS1_3repE0EEENS1_36merge_oddeven_config_static_selectorELNS0_4arch9wavefront6targetE1EEEvSJ_.num_named_barrier, 0
	.set _ZN7rocprim17ROCPRIM_400000_NS6detail17trampoline_kernelINS0_14default_configENS1_38merge_sort_block_merge_config_selectorIyyEEZZNS1_27merge_sort_block_merge_implIS3_N6thrust23THRUST_200600_302600_NS6detail15normal_iteratorINS8_10device_ptrIyEEEESD_jNS1_19radix_merge_compareILb0ELb0EyNS0_19identity_decomposerEEEEE10hipError_tT0_T1_T2_jT3_P12ihipStream_tbPNSt15iterator_traitsISI_E10value_typeEPNSO_ISJ_E10value_typeEPSK_NS1_7vsmem_tEENKUlT_SI_SJ_SK_E_clISD_PySD_S10_EESH_SX_SI_SJ_SK_EUlSX_E1_NS1_11comp_targetILNS1_3genE5ELNS1_11target_archE942ELNS1_3gpuE9ELNS1_3repE0EEENS1_36merge_oddeven_config_static_selectorELNS0_4arch9wavefront6targetE1EEEvSJ_.private_seg_size, 0
	.set _ZN7rocprim17ROCPRIM_400000_NS6detail17trampoline_kernelINS0_14default_configENS1_38merge_sort_block_merge_config_selectorIyyEEZZNS1_27merge_sort_block_merge_implIS3_N6thrust23THRUST_200600_302600_NS6detail15normal_iteratorINS8_10device_ptrIyEEEESD_jNS1_19radix_merge_compareILb0ELb0EyNS0_19identity_decomposerEEEEE10hipError_tT0_T1_T2_jT3_P12ihipStream_tbPNSt15iterator_traitsISI_E10value_typeEPNSO_ISJ_E10value_typeEPSK_NS1_7vsmem_tEENKUlT_SI_SJ_SK_E_clISD_PySD_S10_EESH_SX_SI_SJ_SK_EUlSX_E1_NS1_11comp_targetILNS1_3genE5ELNS1_11target_archE942ELNS1_3gpuE9ELNS1_3repE0EEENS1_36merge_oddeven_config_static_selectorELNS0_4arch9wavefront6targetE1EEEvSJ_.uses_vcc, 0
	.set _ZN7rocprim17ROCPRIM_400000_NS6detail17trampoline_kernelINS0_14default_configENS1_38merge_sort_block_merge_config_selectorIyyEEZZNS1_27merge_sort_block_merge_implIS3_N6thrust23THRUST_200600_302600_NS6detail15normal_iteratorINS8_10device_ptrIyEEEESD_jNS1_19radix_merge_compareILb0ELb0EyNS0_19identity_decomposerEEEEE10hipError_tT0_T1_T2_jT3_P12ihipStream_tbPNSt15iterator_traitsISI_E10value_typeEPNSO_ISJ_E10value_typeEPSK_NS1_7vsmem_tEENKUlT_SI_SJ_SK_E_clISD_PySD_S10_EESH_SX_SI_SJ_SK_EUlSX_E1_NS1_11comp_targetILNS1_3genE5ELNS1_11target_archE942ELNS1_3gpuE9ELNS1_3repE0EEENS1_36merge_oddeven_config_static_selectorELNS0_4arch9wavefront6targetE1EEEvSJ_.uses_flat_scratch, 0
	.set _ZN7rocprim17ROCPRIM_400000_NS6detail17trampoline_kernelINS0_14default_configENS1_38merge_sort_block_merge_config_selectorIyyEEZZNS1_27merge_sort_block_merge_implIS3_N6thrust23THRUST_200600_302600_NS6detail15normal_iteratorINS8_10device_ptrIyEEEESD_jNS1_19radix_merge_compareILb0ELb0EyNS0_19identity_decomposerEEEEE10hipError_tT0_T1_T2_jT3_P12ihipStream_tbPNSt15iterator_traitsISI_E10value_typeEPNSO_ISJ_E10value_typeEPSK_NS1_7vsmem_tEENKUlT_SI_SJ_SK_E_clISD_PySD_S10_EESH_SX_SI_SJ_SK_EUlSX_E1_NS1_11comp_targetILNS1_3genE5ELNS1_11target_archE942ELNS1_3gpuE9ELNS1_3repE0EEENS1_36merge_oddeven_config_static_selectorELNS0_4arch9wavefront6targetE1EEEvSJ_.has_dyn_sized_stack, 0
	.set _ZN7rocprim17ROCPRIM_400000_NS6detail17trampoline_kernelINS0_14default_configENS1_38merge_sort_block_merge_config_selectorIyyEEZZNS1_27merge_sort_block_merge_implIS3_N6thrust23THRUST_200600_302600_NS6detail15normal_iteratorINS8_10device_ptrIyEEEESD_jNS1_19radix_merge_compareILb0ELb0EyNS0_19identity_decomposerEEEEE10hipError_tT0_T1_T2_jT3_P12ihipStream_tbPNSt15iterator_traitsISI_E10value_typeEPNSO_ISJ_E10value_typeEPSK_NS1_7vsmem_tEENKUlT_SI_SJ_SK_E_clISD_PySD_S10_EESH_SX_SI_SJ_SK_EUlSX_E1_NS1_11comp_targetILNS1_3genE5ELNS1_11target_archE942ELNS1_3gpuE9ELNS1_3repE0EEENS1_36merge_oddeven_config_static_selectorELNS0_4arch9wavefront6targetE1EEEvSJ_.has_recursion, 0
	.set _ZN7rocprim17ROCPRIM_400000_NS6detail17trampoline_kernelINS0_14default_configENS1_38merge_sort_block_merge_config_selectorIyyEEZZNS1_27merge_sort_block_merge_implIS3_N6thrust23THRUST_200600_302600_NS6detail15normal_iteratorINS8_10device_ptrIyEEEESD_jNS1_19radix_merge_compareILb0ELb0EyNS0_19identity_decomposerEEEEE10hipError_tT0_T1_T2_jT3_P12ihipStream_tbPNSt15iterator_traitsISI_E10value_typeEPNSO_ISJ_E10value_typeEPSK_NS1_7vsmem_tEENKUlT_SI_SJ_SK_E_clISD_PySD_S10_EESH_SX_SI_SJ_SK_EUlSX_E1_NS1_11comp_targetILNS1_3genE5ELNS1_11target_archE942ELNS1_3gpuE9ELNS1_3repE0EEENS1_36merge_oddeven_config_static_selectorELNS0_4arch9wavefront6targetE1EEEvSJ_.has_indirect_call, 0
	.section	.AMDGPU.csdata,"",@progbits
; Kernel info:
; codeLenInByte = 0
; TotalNumSgprs: 6
; NumVgprs: 0
; NumAgprs: 0
; TotalNumVgprs: 0
; ScratchSize: 0
; MemoryBound: 0
; FloatMode: 240
; IeeeMode: 1
; LDSByteSize: 0 bytes/workgroup (compile time only)
; SGPRBlocks: 0
; VGPRBlocks: 0
; NumSGPRsForWavesPerEU: 6
; NumVGPRsForWavesPerEU: 1
; AccumOffset: 4
; Occupancy: 8
; WaveLimiterHint : 0
; COMPUTE_PGM_RSRC2:SCRATCH_EN: 0
; COMPUTE_PGM_RSRC2:USER_SGPR: 2
; COMPUTE_PGM_RSRC2:TRAP_HANDLER: 0
; COMPUTE_PGM_RSRC2:TGID_X_EN: 1
; COMPUTE_PGM_RSRC2:TGID_Y_EN: 0
; COMPUTE_PGM_RSRC2:TGID_Z_EN: 0
; COMPUTE_PGM_RSRC2:TIDIG_COMP_CNT: 0
; COMPUTE_PGM_RSRC3_GFX90A:ACCUM_OFFSET: 0
; COMPUTE_PGM_RSRC3_GFX90A:TG_SPLIT: 0
	.section	.text._ZN7rocprim17ROCPRIM_400000_NS6detail17trampoline_kernelINS0_14default_configENS1_38merge_sort_block_merge_config_selectorIyyEEZZNS1_27merge_sort_block_merge_implIS3_N6thrust23THRUST_200600_302600_NS6detail15normal_iteratorINS8_10device_ptrIyEEEESD_jNS1_19radix_merge_compareILb0ELb0EyNS0_19identity_decomposerEEEEE10hipError_tT0_T1_T2_jT3_P12ihipStream_tbPNSt15iterator_traitsISI_E10value_typeEPNSO_ISJ_E10value_typeEPSK_NS1_7vsmem_tEENKUlT_SI_SJ_SK_E_clISD_PySD_S10_EESH_SX_SI_SJ_SK_EUlSX_E1_NS1_11comp_targetILNS1_3genE4ELNS1_11target_archE910ELNS1_3gpuE8ELNS1_3repE0EEENS1_36merge_oddeven_config_static_selectorELNS0_4arch9wavefront6targetE1EEEvSJ_,"axG",@progbits,_ZN7rocprim17ROCPRIM_400000_NS6detail17trampoline_kernelINS0_14default_configENS1_38merge_sort_block_merge_config_selectorIyyEEZZNS1_27merge_sort_block_merge_implIS3_N6thrust23THRUST_200600_302600_NS6detail15normal_iteratorINS8_10device_ptrIyEEEESD_jNS1_19radix_merge_compareILb0ELb0EyNS0_19identity_decomposerEEEEE10hipError_tT0_T1_T2_jT3_P12ihipStream_tbPNSt15iterator_traitsISI_E10value_typeEPNSO_ISJ_E10value_typeEPSK_NS1_7vsmem_tEENKUlT_SI_SJ_SK_E_clISD_PySD_S10_EESH_SX_SI_SJ_SK_EUlSX_E1_NS1_11comp_targetILNS1_3genE4ELNS1_11target_archE910ELNS1_3gpuE8ELNS1_3repE0EEENS1_36merge_oddeven_config_static_selectorELNS0_4arch9wavefront6targetE1EEEvSJ_,comdat
	.protected	_ZN7rocprim17ROCPRIM_400000_NS6detail17trampoline_kernelINS0_14default_configENS1_38merge_sort_block_merge_config_selectorIyyEEZZNS1_27merge_sort_block_merge_implIS3_N6thrust23THRUST_200600_302600_NS6detail15normal_iteratorINS8_10device_ptrIyEEEESD_jNS1_19radix_merge_compareILb0ELb0EyNS0_19identity_decomposerEEEEE10hipError_tT0_T1_T2_jT3_P12ihipStream_tbPNSt15iterator_traitsISI_E10value_typeEPNSO_ISJ_E10value_typeEPSK_NS1_7vsmem_tEENKUlT_SI_SJ_SK_E_clISD_PySD_S10_EESH_SX_SI_SJ_SK_EUlSX_E1_NS1_11comp_targetILNS1_3genE4ELNS1_11target_archE910ELNS1_3gpuE8ELNS1_3repE0EEENS1_36merge_oddeven_config_static_selectorELNS0_4arch9wavefront6targetE1EEEvSJ_ ; -- Begin function _ZN7rocprim17ROCPRIM_400000_NS6detail17trampoline_kernelINS0_14default_configENS1_38merge_sort_block_merge_config_selectorIyyEEZZNS1_27merge_sort_block_merge_implIS3_N6thrust23THRUST_200600_302600_NS6detail15normal_iteratorINS8_10device_ptrIyEEEESD_jNS1_19radix_merge_compareILb0ELb0EyNS0_19identity_decomposerEEEEE10hipError_tT0_T1_T2_jT3_P12ihipStream_tbPNSt15iterator_traitsISI_E10value_typeEPNSO_ISJ_E10value_typeEPSK_NS1_7vsmem_tEENKUlT_SI_SJ_SK_E_clISD_PySD_S10_EESH_SX_SI_SJ_SK_EUlSX_E1_NS1_11comp_targetILNS1_3genE4ELNS1_11target_archE910ELNS1_3gpuE8ELNS1_3repE0EEENS1_36merge_oddeven_config_static_selectorELNS0_4arch9wavefront6targetE1EEEvSJ_
	.globl	_ZN7rocprim17ROCPRIM_400000_NS6detail17trampoline_kernelINS0_14default_configENS1_38merge_sort_block_merge_config_selectorIyyEEZZNS1_27merge_sort_block_merge_implIS3_N6thrust23THRUST_200600_302600_NS6detail15normal_iteratorINS8_10device_ptrIyEEEESD_jNS1_19radix_merge_compareILb0ELb0EyNS0_19identity_decomposerEEEEE10hipError_tT0_T1_T2_jT3_P12ihipStream_tbPNSt15iterator_traitsISI_E10value_typeEPNSO_ISJ_E10value_typeEPSK_NS1_7vsmem_tEENKUlT_SI_SJ_SK_E_clISD_PySD_S10_EESH_SX_SI_SJ_SK_EUlSX_E1_NS1_11comp_targetILNS1_3genE4ELNS1_11target_archE910ELNS1_3gpuE8ELNS1_3repE0EEENS1_36merge_oddeven_config_static_selectorELNS0_4arch9wavefront6targetE1EEEvSJ_
	.p2align	8
	.type	_ZN7rocprim17ROCPRIM_400000_NS6detail17trampoline_kernelINS0_14default_configENS1_38merge_sort_block_merge_config_selectorIyyEEZZNS1_27merge_sort_block_merge_implIS3_N6thrust23THRUST_200600_302600_NS6detail15normal_iteratorINS8_10device_ptrIyEEEESD_jNS1_19radix_merge_compareILb0ELb0EyNS0_19identity_decomposerEEEEE10hipError_tT0_T1_T2_jT3_P12ihipStream_tbPNSt15iterator_traitsISI_E10value_typeEPNSO_ISJ_E10value_typeEPSK_NS1_7vsmem_tEENKUlT_SI_SJ_SK_E_clISD_PySD_S10_EESH_SX_SI_SJ_SK_EUlSX_E1_NS1_11comp_targetILNS1_3genE4ELNS1_11target_archE910ELNS1_3gpuE8ELNS1_3repE0EEENS1_36merge_oddeven_config_static_selectorELNS0_4arch9wavefront6targetE1EEEvSJ_,@function
_ZN7rocprim17ROCPRIM_400000_NS6detail17trampoline_kernelINS0_14default_configENS1_38merge_sort_block_merge_config_selectorIyyEEZZNS1_27merge_sort_block_merge_implIS3_N6thrust23THRUST_200600_302600_NS6detail15normal_iteratorINS8_10device_ptrIyEEEESD_jNS1_19radix_merge_compareILb0ELb0EyNS0_19identity_decomposerEEEEE10hipError_tT0_T1_T2_jT3_P12ihipStream_tbPNSt15iterator_traitsISI_E10value_typeEPNSO_ISJ_E10value_typeEPSK_NS1_7vsmem_tEENKUlT_SI_SJ_SK_E_clISD_PySD_S10_EESH_SX_SI_SJ_SK_EUlSX_E1_NS1_11comp_targetILNS1_3genE4ELNS1_11target_archE910ELNS1_3gpuE8ELNS1_3repE0EEENS1_36merge_oddeven_config_static_selectorELNS0_4arch9wavefront6targetE1EEEvSJ_: ; @_ZN7rocprim17ROCPRIM_400000_NS6detail17trampoline_kernelINS0_14default_configENS1_38merge_sort_block_merge_config_selectorIyyEEZZNS1_27merge_sort_block_merge_implIS3_N6thrust23THRUST_200600_302600_NS6detail15normal_iteratorINS8_10device_ptrIyEEEESD_jNS1_19radix_merge_compareILb0ELb0EyNS0_19identity_decomposerEEEEE10hipError_tT0_T1_T2_jT3_P12ihipStream_tbPNSt15iterator_traitsISI_E10value_typeEPNSO_ISJ_E10value_typeEPSK_NS1_7vsmem_tEENKUlT_SI_SJ_SK_E_clISD_PySD_S10_EESH_SX_SI_SJ_SK_EUlSX_E1_NS1_11comp_targetILNS1_3genE4ELNS1_11target_archE910ELNS1_3gpuE8ELNS1_3repE0EEENS1_36merge_oddeven_config_static_selectorELNS0_4arch9wavefront6targetE1EEEvSJ_
; %bb.0:
	.section	.rodata,"a",@progbits
	.p2align	6, 0x0
	.amdhsa_kernel _ZN7rocprim17ROCPRIM_400000_NS6detail17trampoline_kernelINS0_14default_configENS1_38merge_sort_block_merge_config_selectorIyyEEZZNS1_27merge_sort_block_merge_implIS3_N6thrust23THRUST_200600_302600_NS6detail15normal_iteratorINS8_10device_ptrIyEEEESD_jNS1_19radix_merge_compareILb0ELb0EyNS0_19identity_decomposerEEEEE10hipError_tT0_T1_T2_jT3_P12ihipStream_tbPNSt15iterator_traitsISI_E10value_typeEPNSO_ISJ_E10value_typeEPSK_NS1_7vsmem_tEENKUlT_SI_SJ_SK_E_clISD_PySD_S10_EESH_SX_SI_SJ_SK_EUlSX_E1_NS1_11comp_targetILNS1_3genE4ELNS1_11target_archE910ELNS1_3gpuE8ELNS1_3repE0EEENS1_36merge_oddeven_config_static_selectorELNS0_4arch9wavefront6targetE1EEEvSJ_
		.amdhsa_group_segment_fixed_size 0
		.amdhsa_private_segment_fixed_size 0
		.amdhsa_kernarg_size 48
		.amdhsa_user_sgpr_count 2
		.amdhsa_user_sgpr_dispatch_ptr 0
		.amdhsa_user_sgpr_queue_ptr 0
		.amdhsa_user_sgpr_kernarg_segment_ptr 1
		.amdhsa_user_sgpr_dispatch_id 0
		.amdhsa_user_sgpr_kernarg_preload_length 0
		.amdhsa_user_sgpr_kernarg_preload_offset 0
		.amdhsa_user_sgpr_private_segment_size 0
		.amdhsa_uses_dynamic_stack 0
		.amdhsa_enable_private_segment 0
		.amdhsa_system_sgpr_workgroup_id_x 1
		.amdhsa_system_sgpr_workgroup_id_y 0
		.amdhsa_system_sgpr_workgroup_id_z 0
		.amdhsa_system_sgpr_workgroup_info 0
		.amdhsa_system_vgpr_workitem_id 0
		.amdhsa_next_free_vgpr 1
		.amdhsa_next_free_sgpr 0
		.amdhsa_accum_offset 4
		.amdhsa_reserve_vcc 0
		.amdhsa_float_round_mode_32 0
		.amdhsa_float_round_mode_16_64 0
		.amdhsa_float_denorm_mode_32 3
		.amdhsa_float_denorm_mode_16_64 3
		.amdhsa_dx10_clamp 1
		.amdhsa_ieee_mode 1
		.amdhsa_fp16_overflow 0
		.amdhsa_tg_split 0
		.amdhsa_exception_fp_ieee_invalid_op 0
		.amdhsa_exception_fp_denorm_src 0
		.amdhsa_exception_fp_ieee_div_zero 0
		.amdhsa_exception_fp_ieee_overflow 0
		.amdhsa_exception_fp_ieee_underflow 0
		.amdhsa_exception_fp_ieee_inexact 0
		.amdhsa_exception_int_div_zero 0
	.end_amdhsa_kernel
	.section	.text._ZN7rocprim17ROCPRIM_400000_NS6detail17trampoline_kernelINS0_14default_configENS1_38merge_sort_block_merge_config_selectorIyyEEZZNS1_27merge_sort_block_merge_implIS3_N6thrust23THRUST_200600_302600_NS6detail15normal_iteratorINS8_10device_ptrIyEEEESD_jNS1_19radix_merge_compareILb0ELb0EyNS0_19identity_decomposerEEEEE10hipError_tT0_T1_T2_jT3_P12ihipStream_tbPNSt15iterator_traitsISI_E10value_typeEPNSO_ISJ_E10value_typeEPSK_NS1_7vsmem_tEENKUlT_SI_SJ_SK_E_clISD_PySD_S10_EESH_SX_SI_SJ_SK_EUlSX_E1_NS1_11comp_targetILNS1_3genE4ELNS1_11target_archE910ELNS1_3gpuE8ELNS1_3repE0EEENS1_36merge_oddeven_config_static_selectorELNS0_4arch9wavefront6targetE1EEEvSJ_,"axG",@progbits,_ZN7rocprim17ROCPRIM_400000_NS6detail17trampoline_kernelINS0_14default_configENS1_38merge_sort_block_merge_config_selectorIyyEEZZNS1_27merge_sort_block_merge_implIS3_N6thrust23THRUST_200600_302600_NS6detail15normal_iteratorINS8_10device_ptrIyEEEESD_jNS1_19radix_merge_compareILb0ELb0EyNS0_19identity_decomposerEEEEE10hipError_tT0_T1_T2_jT3_P12ihipStream_tbPNSt15iterator_traitsISI_E10value_typeEPNSO_ISJ_E10value_typeEPSK_NS1_7vsmem_tEENKUlT_SI_SJ_SK_E_clISD_PySD_S10_EESH_SX_SI_SJ_SK_EUlSX_E1_NS1_11comp_targetILNS1_3genE4ELNS1_11target_archE910ELNS1_3gpuE8ELNS1_3repE0EEENS1_36merge_oddeven_config_static_selectorELNS0_4arch9wavefront6targetE1EEEvSJ_,comdat
.Lfunc_end439:
	.size	_ZN7rocprim17ROCPRIM_400000_NS6detail17trampoline_kernelINS0_14default_configENS1_38merge_sort_block_merge_config_selectorIyyEEZZNS1_27merge_sort_block_merge_implIS3_N6thrust23THRUST_200600_302600_NS6detail15normal_iteratorINS8_10device_ptrIyEEEESD_jNS1_19radix_merge_compareILb0ELb0EyNS0_19identity_decomposerEEEEE10hipError_tT0_T1_T2_jT3_P12ihipStream_tbPNSt15iterator_traitsISI_E10value_typeEPNSO_ISJ_E10value_typeEPSK_NS1_7vsmem_tEENKUlT_SI_SJ_SK_E_clISD_PySD_S10_EESH_SX_SI_SJ_SK_EUlSX_E1_NS1_11comp_targetILNS1_3genE4ELNS1_11target_archE910ELNS1_3gpuE8ELNS1_3repE0EEENS1_36merge_oddeven_config_static_selectorELNS0_4arch9wavefront6targetE1EEEvSJ_, .Lfunc_end439-_ZN7rocprim17ROCPRIM_400000_NS6detail17trampoline_kernelINS0_14default_configENS1_38merge_sort_block_merge_config_selectorIyyEEZZNS1_27merge_sort_block_merge_implIS3_N6thrust23THRUST_200600_302600_NS6detail15normal_iteratorINS8_10device_ptrIyEEEESD_jNS1_19radix_merge_compareILb0ELb0EyNS0_19identity_decomposerEEEEE10hipError_tT0_T1_T2_jT3_P12ihipStream_tbPNSt15iterator_traitsISI_E10value_typeEPNSO_ISJ_E10value_typeEPSK_NS1_7vsmem_tEENKUlT_SI_SJ_SK_E_clISD_PySD_S10_EESH_SX_SI_SJ_SK_EUlSX_E1_NS1_11comp_targetILNS1_3genE4ELNS1_11target_archE910ELNS1_3gpuE8ELNS1_3repE0EEENS1_36merge_oddeven_config_static_selectorELNS0_4arch9wavefront6targetE1EEEvSJ_
                                        ; -- End function
	.set _ZN7rocprim17ROCPRIM_400000_NS6detail17trampoline_kernelINS0_14default_configENS1_38merge_sort_block_merge_config_selectorIyyEEZZNS1_27merge_sort_block_merge_implIS3_N6thrust23THRUST_200600_302600_NS6detail15normal_iteratorINS8_10device_ptrIyEEEESD_jNS1_19radix_merge_compareILb0ELb0EyNS0_19identity_decomposerEEEEE10hipError_tT0_T1_T2_jT3_P12ihipStream_tbPNSt15iterator_traitsISI_E10value_typeEPNSO_ISJ_E10value_typeEPSK_NS1_7vsmem_tEENKUlT_SI_SJ_SK_E_clISD_PySD_S10_EESH_SX_SI_SJ_SK_EUlSX_E1_NS1_11comp_targetILNS1_3genE4ELNS1_11target_archE910ELNS1_3gpuE8ELNS1_3repE0EEENS1_36merge_oddeven_config_static_selectorELNS0_4arch9wavefront6targetE1EEEvSJ_.num_vgpr, 0
	.set _ZN7rocprim17ROCPRIM_400000_NS6detail17trampoline_kernelINS0_14default_configENS1_38merge_sort_block_merge_config_selectorIyyEEZZNS1_27merge_sort_block_merge_implIS3_N6thrust23THRUST_200600_302600_NS6detail15normal_iteratorINS8_10device_ptrIyEEEESD_jNS1_19radix_merge_compareILb0ELb0EyNS0_19identity_decomposerEEEEE10hipError_tT0_T1_T2_jT3_P12ihipStream_tbPNSt15iterator_traitsISI_E10value_typeEPNSO_ISJ_E10value_typeEPSK_NS1_7vsmem_tEENKUlT_SI_SJ_SK_E_clISD_PySD_S10_EESH_SX_SI_SJ_SK_EUlSX_E1_NS1_11comp_targetILNS1_3genE4ELNS1_11target_archE910ELNS1_3gpuE8ELNS1_3repE0EEENS1_36merge_oddeven_config_static_selectorELNS0_4arch9wavefront6targetE1EEEvSJ_.num_agpr, 0
	.set _ZN7rocprim17ROCPRIM_400000_NS6detail17trampoline_kernelINS0_14default_configENS1_38merge_sort_block_merge_config_selectorIyyEEZZNS1_27merge_sort_block_merge_implIS3_N6thrust23THRUST_200600_302600_NS6detail15normal_iteratorINS8_10device_ptrIyEEEESD_jNS1_19radix_merge_compareILb0ELb0EyNS0_19identity_decomposerEEEEE10hipError_tT0_T1_T2_jT3_P12ihipStream_tbPNSt15iterator_traitsISI_E10value_typeEPNSO_ISJ_E10value_typeEPSK_NS1_7vsmem_tEENKUlT_SI_SJ_SK_E_clISD_PySD_S10_EESH_SX_SI_SJ_SK_EUlSX_E1_NS1_11comp_targetILNS1_3genE4ELNS1_11target_archE910ELNS1_3gpuE8ELNS1_3repE0EEENS1_36merge_oddeven_config_static_selectorELNS0_4arch9wavefront6targetE1EEEvSJ_.numbered_sgpr, 0
	.set _ZN7rocprim17ROCPRIM_400000_NS6detail17trampoline_kernelINS0_14default_configENS1_38merge_sort_block_merge_config_selectorIyyEEZZNS1_27merge_sort_block_merge_implIS3_N6thrust23THRUST_200600_302600_NS6detail15normal_iteratorINS8_10device_ptrIyEEEESD_jNS1_19radix_merge_compareILb0ELb0EyNS0_19identity_decomposerEEEEE10hipError_tT0_T1_T2_jT3_P12ihipStream_tbPNSt15iterator_traitsISI_E10value_typeEPNSO_ISJ_E10value_typeEPSK_NS1_7vsmem_tEENKUlT_SI_SJ_SK_E_clISD_PySD_S10_EESH_SX_SI_SJ_SK_EUlSX_E1_NS1_11comp_targetILNS1_3genE4ELNS1_11target_archE910ELNS1_3gpuE8ELNS1_3repE0EEENS1_36merge_oddeven_config_static_selectorELNS0_4arch9wavefront6targetE1EEEvSJ_.num_named_barrier, 0
	.set _ZN7rocprim17ROCPRIM_400000_NS6detail17trampoline_kernelINS0_14default_configENS1_38merge_sort_block_merge_config_selectorIyyEEZZNS1_27merge_sort_block_merge_implIS3_N6thrust23THRUST_200600_302600_NS6detail15normal_iteratorINS8_10device_ptrIyEEEESD_jNS1_19radix_merge_compareILb0ELb0EyNS0_19identity_decomposerEEEEE10hipError_tT0_T1_T2_jT3_P12ihipStream_tbPNSt15iterator_traitsISI_E10value_typeEPNSO_ISJ_E10value_typeEPSK_NS1_7vsmem_tEENKUlT_SI_SJ_SK_E_clISD_PySD_S10_EESH_SX_SI_SJ_SK_EUlSX_E1_NS1_11comp_targetILNS1_3genE4ELNS1_11target_archE910ELNS1_3gpuE8ELNS1_3repE0EEENS1_36merge_oddeven_config_static_selectorELNS0_4arch9wavefront6targetE1EEEvSJ_.private_seg_size, 0
	.set _ZN7rocprim17ROCPRIM_400000_NS6detail17trampoline_kernelINS0_14default_configENS1_38merge_sort_block_merge_config_selectorIyyEEZZNS1_27merge_sort_block_merge_implIS3_N6thrust23THRUST_200600_302600_NS6detail15normal_iteratorINS8_10device_ptrIyEEEESD_jNS1_19radix_merge_compareILb0ELb0EyNS0_19identity_decomposerEEEEE10hipError_tT0_T1_T2_jT3_P12ihipStream_tbPNSt15iterator_traitsISI_E10value_typeEPNSO_ISJ_E10value_typeEPSK_NS1_7vsmem_tEENKUlT_SI_SJ_SK_E_clISD_PySD_S10_EESH_SX_SI_SJ_SK_EUlSX_E1_NS1_11comp_targetILNS1_3genE4ELNS1_11target_archE910ELNS1_3gpuE8ELNS1_3repE0EEENS1_36merge_oddeven_config_static_selectorELNS0_4arch9wavefront6targetE1EEEvSJ_.uses_vcc, 0
	.set _ZN7rocprim17ROCPRIM_400000_NS6detail17trampoline_kernelINS0_14default_configENS1_38merge_sort_block_merge_config_selectorIyyEEZZNS1_27merge_sort_block_merge_implIS3_N6thrust23THRUST_200600_302600_NS6detail15normal_iteratorINS8_10device_ptrIyEEEESD_jNS1_19radix_merge_compareILb0ELb0EyNS0_19identity_decomposerEEEEE10hipError_tT0_T1_T2_jT3_P12ihipStream_tbPNSt15iterator_traitsISI_E10value_typeEPNSO_ISJ_E10value_typeEPSK_NS1_7vsmem_tEENKUlT_SI_SJ_SK_E_clISD_PySD_S10_EESH_SX_SI_SJ_SK_EUlSX_E1_NS1_11comp_targetILNS1_3genE4ELNS1_11target_archE910ELNS1_3gpuE8ELNS1_3repE0EEENS1_36merge_oddeven_config_static_selectorELNS0_4arch9wavefront6targetE1EEEvSJ_.uses_flat_scratch, 0
	.set _ZN7rocprim17ROCPRIM_400000_NS6detail17trampoline_kernelINS0_14default_configENS1_38merge_sort_block_merge_config_selectorIyyEEZZNS1_27merge_sort_block_merge_implIS3_N6thrust23THRUST_200600_302600_NS6detail15normal_iteratorINS8_10device_ptrIyEEEESD_jNS1_19radix_merge_compareILb0ELb0EyNS0_19identity_decomposerEEEEE10hipError_tT0_T1_T2_jT3_P12ihipStream_tbPNSt15iterator_traitsISI_E10value_typeEPNSO_ISJ_E10value_typeEPSK_NS1_7vsmem_tEENKUlT_SI_SJ_SK_E_clISD_PySD_S10_EESH_SX_SI_SJ_SK_EUlSX_E1_NS1_11comp_targetILNS1_3genE4ELNS1_11target_archE910ELNS1_3gpuE8ELNS1_3repE0EEENS1_36merge_oddeven_config_static_selectorELNS0_4arch9wavefront6targetE1EEEvSJ_.has_dyn_sized_stack, 0
	.set _ZN7rocprim17ROCPRIM_400000_NS6detail17trampoline_kernelINS0_14default_configENS1_38merge_sort_block_merge_config_selectorIyyEEZZNS1_27merge_sort_block_merge_implIS3_N6thrust23THRUST_200600_302600_NS6detail15normal_iteratorINS8_10device_ptrIyEEEESD_jNS1_19radix_merge_compareILb0ELb0EyNS0_19identity_decomposerEEEEE10hipError_tT0_T1_T2_jT3_P12ihipStream_tbPNSt15iterator_traitsISI_E10value_typeEPNSO_ISJ_E10value_typeEPSK_NS1_7vsmem_tEENKUlT_SI_SJ_SK_E_clISD_PySD_S10_EESH_SX_SI_SJ_SK_EUlSX_E1_NS1_11comp_targetILNS1_3genE4ELNS1_11target_archE910ELNS1_3gpuE8ELNS1_3repE0EEENS1_36merge_oddeven_config_static_selectorELNS0_4arch9wavefront6targetE1EEEvSJ_.has_recursion, 0
	.set _ZN7rocprim17ROCPRIM_400000_NS6detail17trampoline_kernelINS0_14default_configENS1_38merge_sort_block_merge_config_selectorIyyEEZZNS1_27merge_sort_block_merge_implIS3_N6thrust23THRUST_200600_302600_NS6detail15normal_iteratorINS8_10device_ptrIyEEEESD_jNS1_19radix_merge_compareILb0ELb0EyNS0_19identity_decomposerEEEEE10hipError_tT0_T1_T2_jT3_P12ihipStream_tbPNSt15iterator_traitsISI_E10value_typeEPNSO_ISJ_E10value_typeEPSK_NS1_7vsmem_tEENKUlT_SI_SJ_SK_E_clISD_PySD_S10_EESH_SX_SI_SJ_SK_EUlSX_E1_NS1_11comp_targetILNS1_3genE4ELNS1_11target_archE910ELNS1_3gpuE8ELNS1_3repE0EEENS1_36merge_oddeven_config_static_selectorELNS0_4arch9wavefront6targetE1EEEvSJ_.has_indirect_call, 0
	.section	.AMDGPU.csdata,"",@progbits
; Kernel info:
; codeLenInByte = 0
; TotalNumSgprs: 6
; NumVgprs: 0
; NumAgprs: 0
; TotalNumVgprs: 0
; ScratchSize: 0
; MemoryBound: 0
; FloatMode: 240
; IeeeMode: 1
; LDSByteSize: 0 bytes/workgroup (compile time only)
; SGPRBlocks: 0
; VGPRBlocks: 0
; NumSGPRsForWavesPerEU: 6
; NumVGPRsForWavesPerEU: 1
; AccumOffset: 4
; Occupancy: 8
; WaveLimiterHint : 0
; COMPUTE_PGM_RSRC2:SCRATCH_EN: 0
; COMPUTE_PGM_RSRC2:USER_SGPR: 2
; COMPUTE_PGM_RSRC2:TRAP_HANDLER: 0
; COMPUTE_PGM_RSRC2:TGID_X_EN: 1
; COMPUTE_PGM_RSRC2:TGID_Y_EN: 0
; COMPUTE_PGM_RSRC2:TGID_Z_EN: 0
; COMPUTE_PGM_RSRC2:TIDIG_COMP_CNT: 0
; COMPUTE_PGM_RSRC3_GFX90A:ACCUM_OFFSET: 0
; COMPUTE_PGM_RSRC3_GFX90A:TG_SPLIT: 0
	.section	.text._ZN7rocprim17ROCPRIM_400000_NS6detail17trampoline_kernelINS0_14default_configENS1_38merge_sort_block_merge_config_selectorIyyEEZZNS1_27merge_sort_block_merge_implIS3_N6thrust23THRUST_200600_302600_NS6detail15normal_iteratorINS8_10device_ptrIyEEEESD_jNS1_19radix_merge_compareILb0ELb0EyNS0_19identity_decomposerEEEEE10hipError_tT0_T1_T2_jT3_P12ihipStream_tbPNSt15iterator_traitsISI_E10value_typeEPNSO_ISJ_E10value_typeEPSK_NS1_7vsmem_tEENKUlT_SI_SJ_SK_E_clISD_PySD_S10_EESH_SX_SI_SJ_SK_EUlSX_E1_NS1_11comp_targetILNS1_3genE3ELNS1_11target_archE908ELNS1_3gpuE7ELNS1_3repE0EEENS1_36merge_oddeven_config_static_selectorELNS0_4arch9wavefront6targetE1EEEvSJ_,"axG",@progbits,_ZN7rocprim17ROCPRIM_400000_NS6detail17trampoline_kernelINS0_14default_configENS1_38merge_sort_block_merge_config_selectorIyyEEZZNS1_27merge_sort_block_merge_implIS3_N6thrust23THRUST_200600_302600_NS6detail15normal_iteratorINS8_10device_ptrIyEEEESD_jNS1_19radix_merge_compareILb0ELb0EyNS0_19identity_decomposerEEEEE10hipError_tT0_T1_T2_jT3_P12ihipStream_tbPNSt15iterator_traitsISI_E10value_typeEPNSO_ISJ_E10value_typeEPSK_NS1_7vsmem_tEENKUlT_SI_SJ_SK_E_clISD_PySD_S10_EESH_SX_SI_SJ_SK_EUlSX_E1_NS1_11comp_targetILNS1_3genE3ELNS1_11target_archE908ELNS1_3gpuE7ELNS1_3repE0EEENS1_36merge_oddeven_config_static_selectorELNS0_4arch9wavefront6targetE1EEEvSJ_,comdat
	.protected	_ZN7rocprim17ROCPRIM_400000_NS6detail17trampoline_kernelINS0_14default_configENS1_38merge_sort_block_merge_config_selectorIyyEEZZNS1_27merge_sort_block_merge_implIS3_N6thrust23THRUST_200600_302600_NS6detail15normal_iteratorINS8_10device_ptrIyEEEESD_jNS1_19radix_merge_compareILb0ELb0EyNS0_19identity_decomposerEEEEE10hipError_tT0_T1_T2_jT3_P12ihipStream_tbPNSt15iterator_traitsISI_E10value_typeEPNSO_ISJ_E10value_typeEPSK_NS1_7vsmem_tEENKUlT_SI_SJ_SK_E_clISD_PySD_S10_EESH_SX_SI_SJ_SK_EUlSX_E1_NS1_11comp_targetILNS1_3genE3ELNS1_11target_archE908ELNS1_3gpuE7ELNS1_3repE0EEENS1_36merge_oddeven_config_static_selectorELNS0_4arch9wavefront6targetE1EEEvSJ_ ; -- Begin function _ZN7rocprim17ROCPRIM_400000_NS6detail17trampoline_kernelINS0_14default_configENS1_38merge_sort_block_merge_config_selectorIyyEEZZNS1_27merge_sort_block_merge_implIS3_N6thrust23THRUST_200600_302600_NS6detail15normal_iteratorINS8_10device_ptrIyEEEESD_jNS1_19radix_merge_compareILb0ELb0EyNS0_19identity_decomposerEEEEE10hipError_tT0_T1_T2_jT3_P12ihipStream_tbPNSt15iterator_traitsISI_E10value_typeEPNSO_ISJ_E10value_typeEPSK_NS1_7vsmem_tEENKUlT_SI_SJ_SK_E_clISD_PySD_S10_EESH_SX_SI_SJ_SK_EUlSX_E1_NS1_11comp_targetILNS1_3genE3ELNS1_11target_archE908ELNS1_3gpuE7ELNS1_3repE0EEENS1_36merge_oddeven_config_static_selectorELNS0_4arch9wavefront6targetE1EEEvSJ_
	.globl	_ZN7rocprim17ROCPRIM_400000_NS6detail17trampoline_kernelINS0_14default_configENS1_38merge_sort_block_merge_config_selectorIyyEEZZNS1_27merge_sort_block_merge_implIS3_N6thrust23THRUST_200600_302600_NS6detail15normal_iteratorINS8_10device_ptrIyEEEESD_jNS1_19radix_merge_compareILb0ELb0EyNS0_19identity_decomposerEEEEE10hipError_tT0_T1_T2_jT3_P12ihipStream_tbPNSt15iterator_traitsISI_E10value_typeEPNSO_ISJ_E10value_typeEPSK_NS1_7vsmem_tEENKUlT_SI_SJ_SK_E_clISD_PySD_S10_EESH_SX_SI_SJ_SK_EUlSX_E1_NS1_11comp_targetILNS1_3genE3ELNS1_11target_archE908ELNS1_3gpuE7ELNS1_3repE0EEENS1_36merge_oddeven_config_static_selectorELNS0_4arch9wavefront6targetE1EEEvSJ_
	.p2align	8
	.type	_ZN7rocprim17ROCPRIM_400000_NS6detail17trampoline_kernelINS0_14default_configENS1_38merge_sort_block_merge_config_selectorIyyEEZZNS1_27merge_sort_block_merge_implIS3_N6thrust23THRUST_200600_302600_NS6detail15normal_iteratorINS8_10device_ptrIyEEEESD_jNS1_19radix_merge_compareILb0ELb0EyNS0_19identity_decomposerEEEEE10hipError_tT0_T1_T2_jT3_P12ihipStream_tbPNSt15iterator_traitsISI_E10value_typeEPNSO_ISJ_E10value_typeEPSK_NS1_7vsmem_tEENKUlT_SI_SJ_SK_E_clISD_PySD_S10_EESH_SX_SI_SJ_SK_EUlSX_E1_NS1_11comp_targetILNS1_3genE3ELNS1_11target_archE908ELNS1_3gpuE7ELNS1_3repE0EEENS1_36merge_oddeven_config_static_selectorELNS0_4arch9wavefront6targetE1EEEvSJ_,@function
_ZN7rocprim17ROCPRIM_400000_NS6detail17trampoline_kernelINS0_14default_configENS1_38merge_sort_block_merge_config_selectorIyyEEZZNS1_27merge_sort_block_merge_implIS3_N6thrust23THRUST_200600_302600_NS6detail15normal_iteratorINS8_10device_ptrIyEEEESD_jNS1_19radix_merge_compareILb0ELb0EyNS0_19identity_decomposerEEEEE10hipError_tT0_T1_T2_jT3_P12ihipStream_tbPNSt15iterator_traitsISI_E10value_typeEPNSO_ISJ_E10value_typeEPSK_NS1_7vsmem_tEENKUlT_SI_SJ_SK_E_clISD_PySD_S10_EESH_SX_SI_SJ_SK_EUlSX_E1_NS1_11comp_targetILNS1_3genE3ELNS1_11target_archE908ELNS1_3gpuE7ELNS1_3repE0EEENS1_36merge_oddeven_config_static_selectorELNS0_4arch9wavefront6targetE1EEEvSJ_: ; @_ZN7rocprim17ROCPRIM_400000_NS6detail17trampoline_kernelINS0_14default_configENS1_38merge_sort_block_merge_config_selectorIyyEEZZNS1_27merge_sort_block_merge_implIS3_N6thrust23THRUST_200600_302600_NS6detail15normal_iteratorINS8_10device_ptrIyEEEESD_jNS1_19radix_merge_compareILb0ELb0EyNS0_19identity_decomposerEEEEE10hipError_tT0_T1_T2_jT3_P12ihipStream_tbPNSt15iterator_traitsISI_E10value_typeEPNSO_ISJ_E10value_typeEPSK_NS1_7vsmem_tEENKUlT_SI_SJ_SK_E_clISD_PySD_S10_EESH_SX_SI_SJ_SK_EUlSX_E1_NS1_11comp_targetILNS1_3genE3ELNS1_11target_archE908ELNS1_3gpuE7ELNS1_3repE0EEENS1_36merge_oddeven_config_static_selectorELNS0_4arch9wavefront6targetE1EEEvSJ_
; %bb.0:
	.section	.rodata,"a",@progbits
	.p2align	6, 0x0
	.amdhsa_kernel _ZN7rocprim17ROCPRIM_400000_NS6detail17trampoline_kernelINS0_14default_configENS1_38merge_sort_block_merge_config_selectorIyyEEZZNS1_27merge_sort_block_merge_implIS3_N6thrust23THRUST_200600_302600_NS6detail15normal_iteratorINS8_10device_ptrIyEEEESD_jNS1_19radix_merge_compareILb0ELb0EyNS0_19identity_decomposerEEEEE10hipError_tT0_T1_T2_jT3_P12ihipStream_tbPNSt15iterator_traitsISI_E10value_typeEPNSO_ISJ_E10value_typeEPSK_NS1_7vsmem_tEENKUlT_SI_SJ_SK_E_clISD_PySD_S10_EESH_SX_SI_SJ_SK_EUlSX_E1_NS1_11comp_targetILNS1_3genE3ELNS1_11target_archE908ELNS1_3gpuE7ELNS1_3repE0EEENS1_36merge_oddeven_config_static_selectorELNS0_4arch9wavefront6targetE1EEEvSJ_
		.amdhsa_group_segment_fixed_size 0
		.amdhsa_private_segment_fixed_size 0
		.amdhsa_kernarg_size 48
		.amdhsa_user_sgpr_count 2
		.amdhsa_user_sgpr_dispatch_ptr 0
		.amdhsa_user_sgpr_queue_ptr 0
		.amdhsa_user_sgpr_kernarg_segment_ptr 1
		.amdhsa_user_sgpr_dispatch_id 0
		.amdhsa_user_sgpr_kernarg_preload_length 0
		.amdhsa_user_sgpr_kernarg_preload_offset 0
		.amdhsa_user_sgpr_private_segment_size 0
		.amdhsa_uses_dynamic_stack 0
		.amdhsa_enable_private_segment 0
		.amdhsa_system_sgpr_workgroup_id_x 1
		.amdhsa_system_sgpr_workgroup_id_y 0
		.amdhsa_system_sgpr_workgroup_id_z 0
		.amdhsa_system_sgpr_workgroup_info 0
		.amdhsa_system_vgpr_workitem_id 0
		.amdhsa_next_free_vgpr 1
		.amdhsa_next_free_sgpr 0
		.amdhsa_accum_offset 4
		.amdhsa_reserve_vcc 0
		.amdhsa_float_round_mode_32 0
		.amdhsa_float_round_mode_16_64 0
		.amdhsa_float_denorm_mode_32 3
		.amdhsa_float_denorm_mode_16_64 3
		.amdhsa_dx10_clamp 1
		.amdhsa_ieee_mode 1
		.amdhsa_fp16_overflow 0
		.amdhsa_tg_split 0
		.amdhsa_exception_fp_ieee_invalid_op 0
		.amdhsa_exception_fp_denorm_src 0
		.amdhsa_exception_fp_ieee_div_zero 0
		.amdhsa_exception_fp_ieee_overflow 0
		.amdhsa_exception_fp_ieee_underflow 0
		.amdhsa_exception_fp_ieee_inexact 0
		.amdhsa_exception_int_div_zero 0
	.end_amdhsa_kernel
	.section	.text._ZN7rocprim17ROCPRIM_400000_NS6detail17trampoline_kernelINS0_14default_configENS1_38merge_sort_block_merge_config_selectorIyyEEZZNS1_27merge_sort_block_merge_implIS3_N6thrust23THRUST_200600_302600_NS6detail15normal_iteratorINS8_10device_ptrIyEEEESD_jNS1_19radix_merge_compareILb0ELb0EyNS0_19identity_decomposerEEEEE10hipError_tT0_T1_T2_jT3_P12ihipStream_tbPNSt15iterator_traitsISI_E10value_typeEPNSO_ISJ_E10value_typeEPSK_NS1_7vsmem_tEENKUlT_SI_SJ_SK_E_clISD_PySD_S10_EESH_SX_SI_SJ_SK_EUlSX_E1_NS1_11comp_targetILNS1_3genE3ELNS1_11target_archE908ELNS1_3gpuE7ELNS1_3repE0EEENS1_36merge_oddeven_config_static_selectorELNS0_4arch9wavefront6targetE1EEEvSJ_,"axG",@progbits,_ZN7rocprim17ROCPRIM_400000_NS6detail17trampoline_kernelINS0_14default_configENS1_38merge_sort_block_merge_config_selectorIyyEEZZNS1_27merge_sort_block_merge_implIS3_N6thrust23THRUST_200600_302600_NS6detail15normal_iteratorINS8_10device_ptrIyEEEESD_jNS1_19radix_merge_compareILb0ELb0EyNS0_19identity_decomposerEEEEE10hipError_tT0_T1_T2_jT3_P12ihipStream_tbPNSt15iterator_traitsISI_E10value_typeEPNSO_ISJ_E10value_typeEPSK_NS1_7vsmem_tEENKUlT_SI_SJ_SK_E_clISD_PySD_S10_EESH_SX_SI_SJ_SK_EUlSX_E1_NS1_11comp_targetILNS1_3genE3ELNS1_11target_archE908ELNS1_3gpuE7ELNS1_3repE0EEENS1_36merge_oddeven_config_static_selectorELNS0_4arch9wavefront6targetE1EEEvSJ_,comdat
.Lfunc_end440:
	.size	_ZN7rocprim17ROCPRIM_400000_NS6detail17trampoline_kernelINS0_14default_configENS1_38merge_sort_block_merge_config_selectorIyyEEZZNS1_27merge_sort_block_merge_implIS3_N6thrust23THRUST_200600_302600_NS6detail15normal_iteratorINS8_10device_ptrIyEEEESD_jNS1_19radix_merge_compareILb0ELb0EyNS0_19identity_decomposerEEEEE10hipError_tT0_T1_T2_jT3_P12ihipStream_tbPNSt15iterator_traitsISI_E10value_typeEPNSO_ISJ_E10value_typeEPSK_NS1_7vsmem_tEENKUlT_SI_SJ_SK_E_clISD_PySD_S10_EESH_SX_SI_SJ_SK_EUlSX_E1_NS1_11comp_targetILNS1_3genE3ELNS1_11target_archE908ELNS1_3gpuE7ELNS1_3repE0EEENS1_36merge_oddeven_config_static_selectorELNS0_4arch9wavefront6targetE1EEEvSJ_, .Lfunc_end440-_ZN7rocprim17ROCPRIM_400000_NS6detail17trampoline_kernelINS0_14default_configENS1_38merge_sort_block_merge_config_selectorIyyEEZZNS1_27merge_sort_block_merge_implIS3_N6thrust23THRUST_200600_302600_NS6detail15normal_iteratorINS8_10device_ptrIyEEEESD_jNS1_19radix_merge_compareILb0ELb0EyNS0_19identity_decomposerEEEEE10hipError_tT0_T1_T2_jT3_P12ihipStream_tbPNSt15iterator_traitsISI_E10value_typeEPNSO_ISJ_E10value_typeEPSK_NS1_7vsmem_tEENKUlT_SI_SJ_SK_E_clISD_PySD_S10_EESH_SX_SI_SJ_SK_EUlSX_E1_NS1_11comp_targetILNS1_3genE3ELNS1_11target_archE908ELNS1_3gpuE7ELNS1_3repE0EEENS1_36merge_oddeven_config_static_selectorELNS0_4arch9wavefront6targetE1EEEvSJ_
                                        ; -- End function
	.set _ZN7rocprim17ROCPRIM_400000_NS6detail17trampoline_kernelINS0_14default_configENS1_38merge_sort_block_merge_config_selectorIyyEEZZNS1_27merge_sort_block_merge_implIS3_N6thrust23THRUST_200600_302600_NS6detail15normal_iteratorINS8_10device_ptrIyEEEESD_jNS1_19radix_merge_compareILb0ELb0EyNS0_19identity_decomposerEEEEE10hipError_tT0_T1_T2_jT3_P12ihipStream_tbPNSt15iterator_traitsISI_E10value_typeEPNSO_ISJ_E10value_typeEPSK_NS1_7vsmem_tEENKUlT_SI_SJ_SK_E_clISD_PySD_S10_EESH_SX_SI_SJ_SK_EUlSX_E1_NS1_11comp_targetILNS1_3genE3ELNS1_11target_archE908ELNS1_3gpuE7ELNS1_3repE0EEENS1_36merge_oddeven_config_static_selectorELNS0_4arch9wavefront6targetE1EEEvSJ_.num_vgpr, 0
	.set _ZN7rocprim17ROCPRIM_400000_NS6detail17trampoline_kernelINS0_14default_configENS1_38merge_sort_block_merge_config_selectorIyyEEZZNS1_27merge_sort_block_merge_implIS3_N6thrust23THRUST_200600_302600_NS6detail15normal_iteratorINS8_10device_ptrIyEEEESD_jNS1_19radix_merge_compareILb0ELb0EyNS0_19identity_decomposerEEEEE10hipError_tT0_T1_T2_jT3_P12ihipStream_tbPNSt15iterator_traitsISI_E10value_typeEPNSO_ISJ_E10value_typeEPSK_NS1_7vsmem_tEENKUlT_SI_SJ_SK_E_clISD_PySD_S10_EESH_SX_SI_SJ_SK_EUlSX_E1_NS1_11comp_targetILNS1_3genE3ELNS1_11target_archE908ELNS1_3gpuE7ELNS1_3repE0EEENS1_36merge_oddeven_config_static_selectorELNS0_4arch9wavefront6targetE1EEEvSJ_.num_agpr, 0
	.set _ZN7rocprim17ROCPRIM_400000_NS6detail17trampoline_kernelINS0_14default_configENS1_38merge_sort_block_merge_config_selectorIyyEEZZNS1_27merge_sort_block_merge_implIS3_N6thrust23THRUST_200600_302600_NS6detail15normal_iteratorINS8_10device_ptrIyEEEESD_jNS1_19radix_merge_compareILb0ELb0EyNS0_19identity_decomposerEEEEE10hipError_tT0_T1_T2_jT3_P12ihipStream_tbPNSt15iterator_traitsISI_E10value_typeEPNSO_ISJ_E10value_typeEPSK_NS1_7vsmem_tEENKUlT_SI_SJ_SK_E_clISD_PySD_S10_EESH_SX_SI_SJ_SK_EUlSX_E1_NS1_11comp_targetILNS1_3genE3ELNS1_11target_archE908ELNS1_3gpuE7ELNS1_3repE0EEENS1_36merge_oddeven_config_static_selectorELNS0_4arch9wavefront6targetE1EEEvSJ_.numbered_sgpr, 0
	.set _ZN7rocprim17ROCPRIM_400000_NS6detail17trampoline_kernelINS0_14default_configENS1_38merge_sort_block_merge_config_selectorIyyEEZZNS1_27merge_sort_block_merge_implIS3_N6thrust23THRUST_200600_302600_NS6detail15normal_iteratorINS8_10device_ptrIyEEEESD_jNS1_19radix_merge_compareILb0ELb0EyNS0_19identity_decomposerEEEEE10hipError_tT0_T1_T2_jT3_P12ihipStream_tbPNSt15iterator_traitsISI_E10value_typeEPNSO_ISJ_E10value_typeEPSK_NS1_7vsmem_tEENKUlT_SI_SJ_SK_E_clISD_PySD_S10_EESH_SX_SI_SJ_SK_EUlSX_E1_NS1_11comp_targetILNS1_3genE3ELNS1_11target_archE908ELNS1_3gpuE7ELNS1_3repE0EEENS1_36merge_oddeven_config_static_selectorELNS0_4arch9wavefront6targetE1EEEvSJ_.num_named_barrier, 0
	.set _ZN7rocprim17ROCPRIM_400000_NS6detail17trampoline_kernelINS0_14default_configENS1_38merge_sort_block_merge_config_selectorIyyEEZZNS1_27merge_sort_block_merge_implIS3_N6thrust23THRUST_200600_302600_NS6detail15normal_iteratorINS8_10device_ptrIyEEEESD_jNS1_19radix_merge_compareILb0ELb0EyNS0_19identity_decomposerEEEEE10hipError_tT0_T1_T2_jT3_P12ihipStream_tbPNSt15iterator_traitsISI_E10value_typeEPNSO_ISJ_E10value_typeEPSK_NS1_7vsmem_tEENKUlT_SI_SJ_SK_E_clISD_PySD_S10_EESH_SX_SI_SJ_SK_EUlSX_E1_NS1_11comp_targetILNS1_3genE3ELNS1_11target_archE908ELNS1_3gpuE7ELNS1_3repE0EEENS1_36merge_oddeven_config_static_selectorELNS0_4arch9wavefront6targetE1EEEvSJ_.private_seg_size, 0
	.set _ZN7rocprim17ROCPRIM_400000_NS6detail17trampoline_kernelINS0_14default_configENS1_38merge_sort_block_merge_config_selectorIyyEEZZNS1_27merge_sort_block_merge_implIS3_N6thrust23THRUST_200600_302600_NS6detail15normal_iteratorINS8_10device_ptrIyEEEESD_jNS1_19radix_merge_compareILb0ELb0EyNS0_19identity_decomposerEEEEE10hipError_tT0_T1_T2_jT3_P12ihipStream_tbPNSt15iterator_traitsISI_E10value_typeEPNSO_ISJ_E10value_typeEPSK_NS1_7vsmem_tEENKUlT_SI_SJ_SK_E_clISD_PySD_S10_EESH_SX_SI_SJ_SK_EUlSX_E1_NS1_11comp_targetILNS1_3genE3ELNS1_11target_archE908ELNS1_3gpuE7ELNS1_3repE0EEENS1_36merge_oddeven_config_static_selectorELNS0_4arch9wavefront6targetE1EEEvSJ_.uses_vcc, 0
	.set _ZN7rocprim17ROCPRIM_400000_NS6detail17trampoline_kernelINS0_14default_configENS1_38merge_sort_block_merge_config_selectorIyyEEZZNS1_27merge_sort_block_merge_implIS3_N6thrust23THRUST_200600_302600_NS6detail15normal_iteratorINS8_10device_ptrIyEEEESD_jNS1_19radix_merge_compareILb0ELb0EyNS0_19identity_decomposerEEEEE10hipError_tT0_T1_T2_jT3_P12ihipStream_tbPNSt15iterator_traitsISI_E10value_typeEPNSO_ISJ_E10value_typeEPSK_NS1_7vsmem_tEENKUlT_SI_SJ_SK_E_clISD_PySD_S10_EESH_SX_SI_SJ_SK_EUlSX_E1_NS1_11comp_targetILNS1_3genE3ELNS1_11target_archE908ELNS1_3gpuE7ELNS1_3repE0EEENS1_36merge_oddeven_config_static_selectorELNS0_4arch9wavefront6targetE1EEEvSJ_.uses_flat_scratch, 0
	.set _ZN7rocprim17ROCPRIM_400000_NS6detail17trampoline_kernelINS0_14default_configENS1_38merge_sort_block_merge_config_selectorIyyEEZZNS1_27merge_sort_block_merge_implIS3_N6thrust23THRUST_200600_302600_NS6detail15normal_iteratorINS8_10device_ptrIyEEEESD_jNS1_19radix_merge_compareILb0ELb0EyNS0_19identity_decomposerEEEEE10hipError_tT0_T1_T2_jT3_P12ihipStream_tbPNSt15iterator_traitsISI_E10value_typeEPNSO_ISJ_E10value_typeEPSK_NS1_7vsmem_tEENKUlT_SI_SJ_SK_E_clISD_PySD_S10_EESH_SX_SI_SJ_SK_EUlSX_E1_NS1_11comp_targetILNS1_3genE3ELNS1_11target_archE908ELNS1_3gpuE7ELNS1_3repE0EEENS1_36merge_oddeven_config_static_selectorELNS0_4arch9wavefront6targetE1EEEvSJ_.has_dyn_sized_stack, 0
	.set _ZN7rocprim17ROCPRIM_400000_NS6detail17trampoline_kernelINS0_14default_configENS1_38merge_sort_block_merge_config_selectorIyyEEZZNS1_27merge_sort_block_merge_implIS3_N6thrust23THRUST_200600_302600_NS6detail15normal_iteratorINS8_10device_ptrIyEEEESD_jNS1_19radix_merge_compareILb0ELb0EyNS0_19identity_decomposerEEEEE10hipError_tT0_T1_T2_jT3_P12ihipStream_tbPNSt15iterator_traitsISI_E10value_typeEPNSO_ISJ_E10value_typeEPSK_NS1_7vsmem_tEENKUlT_SI_SJ_SK_E_clISD_PySD_S10_EESH_SX_SI_SJ_SK_EUlSX_E1_NS1_11comp_targetILNS1_3genE3ELNS1_11target_archE908ELNS1_3gpuE7ELNS1_3repE0EEENS1_36merge_oddeven_config_static_selectorELNS0_4arch9wavefront6targetE1EEEvSJ_.has_recursion, 0
	.set _ZN7rocprim17ROCPRIM_400000_NS6detail17trampoline_kernelINS0_14default_configENS1_38merge_sort_block_merge_config_selectorIyyEEZZNS1_27merge_sort_block_merge_implIS3_N6thrust23THRUST_200600_302600_NS6detail15normal_iteratorINS8_10device_ptrIyEEEESD_jNS1_19radix_merge_compareILb0ELb0EyNS0_19identity_decomposerEEEEE10hipError_tT0_T1_T2_jT3_P12ihipStream_tbPNSt15iterator_traitsISI_E10value_typeEPNSO_ISJ_E10value_typeEPSK_NS1_7vsmem_tEENKUlT_SI_SJ_SK_E_clISD_PySD_S10_EESH_SX_SI_SJ_SK_EUlSX_E1_NS1_11comp_targetILNS1_3genE3ELNS1_11target_archE908ELNS1_3gpuE7ELNS1_3repE0EEENS1_36merge_oddeven_config_static_selectorELNS0_4arch9wavefront6targetE1EEEvSJ_.has_indirect_call, 0
	.section	.AMDGPU.csdata,"",@progbits
; Kernel info:
; codeLenInByte = 0
; TotalNumSgprs: 6
; NumVgprs: 0
; NumAgprs: 0
; TotalNumVgprs: 0
; ScratchSize: 0
; MemoryBound: 0
; FloatMode: 240
; IeeeMode: 1
; LDSByteSize: 0 bytes/workgroup (compile time only)
; SGPRBlocks: 0
; VGPRBlocks: 0
; NumSGPRsForWavesPerEU: 6
; NumVGPRsForWavesPerEU: 1
; AccumOffset: 4
; Occupancy: 8
; WaveLimiterHint : 0
; COMPUTE_PGM_RSRC2:SCRATCH_EN: 0
; COMPUTE_PGM_RSRC2:USER_SGPR: 2
; COMPUTE_PGM_RSRC2:TRAP_HANDLER: 0
; COMPUTE_PGM_RSRC2:TGID_X_EN: 1
; COMPUTE_PGM_RSRC2:TGID_Y_EN: 0
; COMPUTE_PGM_RSRC2:TGID_Z_EN: 0
; COMPUTE_PGM_RSRC2:TIDIG_COMP_CNT: 0
; COMPUTE_PGM_RSRC3_GFX90A:ACCUM_OFFSET: 0
; COMPUTE_PGM_RSRC3_GFX90A:TG_SPLIT: 0
	.section	.text._ZN7rocprim17ROCPRIM_400000_NS6detail17trampoline_kernelINS0_14default_configENS1_38merge_sort_block_merge_config_selectorIyyEEZZNS1_27merge_sort_block_merge_implIS3_N6thrust23THRUST_200600_302600_NS6detail15normal_iteratorINS8_10device_ptrIyEEEESD_jNS1_19radix_merge_compareILb0ELb0EyNS0_19identity_decomposerEEEEE10hipError_tT0_T1_T2_jT3_P12ihipStream_tbPNSt15iterator_traitsISI_E10value_typeEPNSO_ISJ_E10value_typeEPSK_NS1_7vsmem_tEENKUlT_SI_SJ_SK_E_clISD_PySD_S10_EESH_SX_SI_SJ_SK_EUlSX_E1_NS1_11comp_targetILNS1_3genE2ELNS1_11target_archE906ELNS1_3gpuE6ELNS1_3repE0EEENS1_36merge_oddeven_config_static_selectorELNS0_4arch9wavefront6targetE1EEEvSJ_,"axG",@progbits,_ZN7rocprim17ROCPRIM_400000_NS6detail17trampoline_kernelINS0_14default_configENS1_38merge_sort_block_merge_config_selectorIyyEEZZNS1_27merge_sort_block_merge_implIS3_N6thrust23THRUST_200600_302600_NS6detail15normal_iteratorINS8_10device_ptrIyEEEESD_jNS1_19radix_merge_compareILb0ELb0EyNS0_19identity_decomposerEEEEE10hipError_tT0_T1_T2_jT3_P12ihipStream_tbPNSt15iterator_traitsISI_E10value_typeEPNSO_ISJ_E10value_typeEPSK_NS1_7vsmem_tEENKUlT_SI_SJ_SK_E_clISD_PySD_S10_EESH_SX_SI_SJ_SK_EUlSX_E1_NS1_11comp_targetILNS1_3genE2ELNS1_11target_archE906ELNS1_3gpuE6ELNS1_3repE0EEENS1_36merge_oddeven_config_static_selectorELNS0_4arch9wavefront6targetE1EEEvSJ_,comdat
	.protected	_ZN7rocprim17ROCPRIM_400000_NS6detail17trampoline_kernelINS0_14default_configENS1_38merge_sort_block_merge_config_selectorIyyEEZZNS1_27merge_sort_block_merge_implIS3_N6thrust23THRUST_200600_302600_NS6detail15normal_iteratorINS8_10device_ptrIyEEEESD_jNS1_19radix_merge_compareILb0ELb0EyNS0_19identity_decomposerEEEEE10hipError_tT0_T1_T2_jT3_P12ihipStream_tbPNSt15iterator_traitsISI_E10value_typeEPNSO_ISJ_E10value_typeEPSK_NS1_7vsmem_tEENKUlT_SI_SJ_SK_E_clISD_PySD_S10_EESH_SX_SI_SJ_SK_EUlSX_E1_NS1_11comp_targetILNS1_3genE2ELNS1_11target_archE906ELNS1_3gpuE6ELNS1_3repE0EEENS1_36merge_oddeven_config_static_selectorELNS0_4arch9wavefront6targetE1EEEvSJ_ ; -- Begin function _ZN7rocprim17ROCPRIM_400000_NS6detail17trampoline_kernelINS0_14default_configENS1_38merge_sort_block_merge_config_selectorIyyEEZZNS1_27merge_sort_block_merge_implIS3_N6thrust23THRUST_200600_302600_NS6detail15normal_iteratorINS8_10device_ptrIyEEEESD_jNS1_19radix_merge_compareILb0ELb0EyNS0_19identity_decomposerEEEEE10hipError_tT0_T1_T2_jT3_P12ihipStream_tbPNSt15iterator_traitsISI_E10value_typeEPNSO_ISJ_E10value_typeEPSK_NS1_7vsmem_tEENKUlT_SI_SJ_SK_E_clISD_PySD_S10_EESH_SX_SI_SJ_SK_EUlSX_E1_NS1_11comp_targetILNS1_3genE2ELNS1_11target_archE906ELNS1_3gpuE6ELNS1_3repE0EEENS1_36merge_oddeven_config_static_selectorELNS0_4arch9wavefront6targetE1EEEvSJ_
	.globl	_ZN7rocprim17ROCPRIM_400000_NS6detail17trampoline_kernelINS0_14default_configENS1_38merge_sort_block_merge_config_selectorIyyEEZZNS1_27merge_sort_block_merge_implIS3_N6thrust23THRUST_200600_302600_NS6detail15normal_iteratorINS8_10device_ptrIyEEEESD_jNS1_19radix_merge_compareILb0ELb0EyNS0_19identity_decomposerEEEEE10hipError_tT0_T1_T2_jT3_P12ihipStream_tbPNSt15iterator_traitsISI_E10value_typeEPNSO_ISJ_E10value_typeEPSK_NS1_7vsmem_tEENKUlT_SI_SJ_SK_E_clISD_PySD_S10_EESH_SX_SI_SJ_SK_EUlSX_E1_NS1_11comp_targetILNS1_3genE2ELNS1_11target_archE906ELNS1_3gpuE6ELNS1_3repE0EEENS1_36merge_oddeven_config_static_selectorELNS0_4arch9wavefront6targetE1EEEvSJ_
	.p2align	8
	.type	_ZN7rocprim17ROCPRIM_400000_NS6detail17trampoline_kernelINS0_14default_configENS1_38merge_sort_block_merge_config_selectorIyyEEZZNS1_27merge_sort_block_merge_implIS3_N6thrust23THRUST_200600_302600_NS6detail15normal_iteratorINS8_10device_ptrIyEEEESD_jNS1_19radix_merge_compareILb0ELb0EyNS0_19identity_decomposerEEEEE10hipError_tT0_T1_T2_jT3_P12ihipStream_tbPNSt15iterator_traitsISI_E10value_typeEPNSO_ISJ_E10value_typeEPSK_NS1_7vsmem_tEENKUlT_SI_SJ_SK_E_clISD_PySD_S10_EESH_SX_SI_SJ_SK_EUlSX_E1_NS1_11comp_targetILNS1_3genE2ELNS1_11target_archE906ELNS1_3gpuE6ELNS1_3repE0EEENS1_36merge_oddeven_config_static_selectorELNS0_4arch9wavefront6targetE1EEEvSJ_,@function
_ZN7rocprim17ROCPRIM_400000_NS6detail17trampoline_kernelINS0_14default_configENS1_38merge_sort_block_merge_config_selectorIyyEEZZNS1_27merge_sort_block_merge_implIS3_N6thrust23THRUST_200600_302600_NS6detail15normal_iteratorINS8_10device_ptrIyEEEESD_jNS1_19radix_merge_compareILb0ELb0EyNS0_19identity_decomposerEEEEE10hipError_tT0_T1_T2_jT3_P12ihipStream_tbPNSt15iterator_traitsISI_E10value_typeEPNSO_ISJ_E10value_typeEPSK_NS1_7vsmem_tEENKUlT_SI_SJ_SK_E_clISD_PySD_S10_EESH_SX_SI_SJ_SK_EUlSX_E1_NS1_11comp_targetILNS1_3genE2ELNS1_11target_archE906ELNS1_3gpuE6ELNS1_3repE0EEENS1_36merge_oddeven_config_static_selectorELNS0_4arch9wavefront6targetE1EEEvSJ_: ; @_ZN7rocprim17ROCPRIM_400000_NS6detail17trampoline_kernelINS0_14default_configENS1_38merge_sort_block_merge_config_selectorIyyEEZZNS1_27merge_sort_block_merge_implIS3_N6thrust23THRUST_200600_302600_NS6detail15normal_iteratorINS8_10device_ptrIyEEEESD_jNS1_19radix_merge_compareILb0ELb0EyNS0_19identity_decomposerEEEEE10hipError_tT0_T1_T2_jT3_P12ihipStream_tbPNSt15iterator_traitsISI_E10value_typeEPNSO_ISJ_E10value_typeEPSK_NS1_7vsmem_tEENKUlT_SI_SJ_SK_E_clISD_PySD_S10_EESH_SX_SI_SJ_SK_EUlSX_E1_NS1_11comp_targetILNS1_3genE2ELNS1_11target_archE906ELNS1_3gpuE6ELNS1_3repE0EEENS1_36merge_oddeven_config_static_selectorELNS0_4arch9wavefront6targetE1EEEvSJ_
; %bb.0:
	.section	.rodata,"a",@progbits
	.p2align	6, 0x0
	.amdhsa_kernel _ZN7rocprim17ROCPRIM_400000_NS6detail17trampoline_kernelINS0_14default_configENS1_38merge_sort_block_merge_config_selectorIyyEEZZNS1_27merge_sort_block_merge_implIS3_N6thrust23THRUST_200600_302600_NS6detail15normal_iteratorINS8_10device_ptrIyEEEESD_jNS1_19radix_merge_compareILb0ELb0EyNS0_19identity_decomposerEEEEE10hipError_tT0_T1_T2_jT3_P12ihipStream_tbPNSt15iterator_traitsISI_E10value_typeEPNSO_ISJ_E10value_typeEPSK_NS1_7vsmem_tEENKUlT_SI_SJ_SK_E_clISD_PySD_S10_EESH_SX_SI_SJ_SK_EUlSX_E1_NS1_11comp_targetILNS1_3genE2ELNS1_11target_archE906ELNS1_3gpuE6ELNS1_3repE0EEENS1_36merge_oddeven_config_static_selectorELNS0_4arch9wavefront6targetE1EEEvSJ_
		.amdhsa_group_segment_fixed_size 0
		.amdhsa_private_segment_fixed_size 0
		.amdhsa_kernarg_size 48
		.amdhsa_user_sgpr_count 2
		.amdhsa_user_sgpr_dispatch_ptr 0
		.amdhsa_user_sgpr_queue_ptr 0
		.amdhsa_user_sgpr_kernarg_segment_ptr 1
		.amdhsa_user_sgpr_dispatch_id 0
		.amdhsa_user_sgpr_kernarg_preload_length 0
		.amdhsa_user_sgpr_kernarg_preload_offset 0
		.amdhsa_user_sgpr_private_segment_size 0
		.amdhsa_uses_dynamic_stack 0
		.amdhsa_enable_private_segment 0
		.amdhsa_system_sgpr_workgroup_id_x 1
		.amdhsa_system_sgpr_workgroup_id_y 0
		.amdhsa_system_sgpr_workgroup_id_z 0
		.amdhsa_system_sgpr_workgroup_info 0
		.amdhsa_system_vgpr_workitem_id 0
		.amdhsa_next_free_vgpr 1
		.amdhsa_next_free_sgpr 0
		.amdhsa_accum_offset 4
		.amdhsa_reserve_vcc 0
		.amdhsa_float_round_mode_32 0
		.amdhsa_float_round_mode_16_64 0
		.amdhsa_float_denorm_mode_32 3
		.amdhsa_float_denorm_mode_16_64 3
		.amdhsa_dx10_clamp 1
		.amdhsa_ieee_mode 1
		.amdhsa_fp16_overflow 0
		.amdhsa_tg_split 0
		.amdhsa_exception_fp_ieee_invalid_op 0
		.amdhsa_exception_fp_denorm_src 0
		.amdhsa_exception_fp_ieee_div_zero 0
		.amdhsa_exception_fp_ieee_overflow 0
		.amdhsa_exception_fp_ieee_underflow 0
		.amdhsa_exception_fp_ieee_inexact 0
		.amdhsa_exception_int_div_zero 0
	.end_amdhsa_kernel
	.section	.text._ZN7rocprim17ROCPRIM_400000_NS6detail17trampoline_kernelINS0_14default_configENS1_38merge_sort_block_merge_config_selectorIyyEEZZNS1_27merge_sort_block_merge_implIS3_N6thrust23THRUST_200600_302600_NS6detail15normal_iteratorINS8_10device_ptrIyEEEESD_jNS1_19radix_merge_compareILb0ELb0EyNS0_19identity_decomposerEEEEE10hipError_tT0_T1_T2_jT3_P12ihipStream_tbPNSt15iterator_traitsISI_E10value_typeEPNSO_ISJ_E10value_typeEPSK_NS1_7vsmem_tEENKUlT_SI_SJ_SK_E_clISD_PySD_S10_EESH_SX_SI_SJ_SK_EUlSX_E1_NS1_11comp_targetILNS1_3genE2ELNS1_11target_archE906ELNS1_3gpuE6ELNS1_3repE0EEENS1_36merge_oddeven_config_static_selectorELNS0_4arch9wavefront6targetE1EEEvSJ_,"axG",@progbits,_ZN7rocprim17ROCPRIM_400000_NS6detail17trampoline_kernelINS0_14default_configENS1_38merge_sort_block_merge_config_selectorIyyEEZZNS1_27merge_sort_block_merge_implIS3_N6thrust23THRUST_200600_302600_NS6detail15normal_iteratorINS8_10device_ptrIyEEEESD_jNS1_19radix_merge_compareILb0ELb0EyNS0_19identity_decomposerEEEEE10hipError_tT0_T1_T2_jT3_P12ihipStream_tbPNSt15iterator_traitsISI_E10value_typeEPNSO_ISJ_E10value_typeEPSK_NS1_7vsmem_tEENKUlT_SI_SJ_SK_E_clISD_PySD_S10_EESH_SX_SI_SJ_SK_EUlSX_E1_NS1_11comp_targetILNS1_3genE2ELNS1_11target_archE906ELNS1_3gpuE6ELNS1_3repE0EEENS1_36merge_oddeven_config_static_selectorELNS0_4arch9wavefront6targetE1EEEvSJ_,comdat
.Lfunc_end441:
	.size	_ZN7rocprim17ROCPRIM_400000_NS6detail17trampoline_kernelINS0_14default_configENS1_38merge_sort_block_merge_config_selectorIyyEEZZNS1_27merge_sort_block_merge_implIS3_N6thrust23THRUST_200600_302600_NS6detail15normal_iteratorINS8_10device_ptrIyEEEESD_jNS1_19radix_merge_compareILb0ELb0EyNS0_19identity_decomposerEEEEE10hipError_tT0_T1_T2_jT3_P12ihipStream_tbPNSt15iterator_traitsISI_E10value_typeEPNSO_ISJ_E10value_typeEPSK_NS1_7vsmem_tEENKUlT_SI_SJ_SK_E_clISD_PySD_S10_EESH_SX_SI_SJ_SK_EUlSX_E1_NS1_11comp_targetILNS1_3genE2ELNS1_11target_archE906ELNS1_3gpuE6ELNS1_3repE0EEENS1_36merge_oddeven_config_static_selectorELNS0_4arch9wavefront6targetE1EEEvSJ_, .Lfunc_end441-_ZN7rocprim17ROCPRIM_400000_NS6detail17trampoline_kernelINS0_14default_configENS1_38merge_sort_block_merge_config_selectorIyyEEZZNS1_27merge_sort_block_merge_implIS3_N6thrust23THRUST_200600_302600_NS6detail15normal_iteratorINS8_10device_ptrIyEEEESD_jNS1_19radix_merge_compareILb0ELb0EyNS0_19identity_decomposerEEEEE10hipError_tT0_T1_T2_jT3_P12ihipStream_tbPNSt15iterator_traitsISI_E10value_typeEPNSO_ISJ_E10value_typeEPSK_NS1_7vsmem_tEENKUlT_SI_SJ_SK_E_clISD_PySD_S10_EESH_SX_SI_SJ_SK_EUlSX_E1_NS1_11comp_targetILNS1_3genE2ELNS1_11target_archE906ELNS1_3gpuE6ELNS1_3repE0EEENS1_36merge_oddeven_config_static_selectorELNS0_4arch9wavefront6targetE1EEEvSJ_
                                        ; -- End function
	.set _ZN7rocprim17ROCPRIM_400000_NS6detail17trampoline_kernelINS0_14default_configENS1_38merge_sort_block_merge_config_selectorIyyEEZZNS1_27merge_sort_block_merge_implIS3_N6thrust23THRUST_200600_302600_NS6detail15normal_iteratorINS8_10device_ptrIyEEEESD_jNS1_19radix_merge_compareILb0ELb0EyNS0_19identity_decomposerEEEEE10hipError_tT0_T1_T2_jT3_P12ihipStream_tbPNSt15iterator_traitsISI_E10value_typeEPNSO_ISJ_E10value_typeEPSK_NS1_7vsmem_tEENKUlT_SI_SJ_SK_E_clISD_PySD_S10_EESH_SX_SI_SJ_SK_EUlSX_E1_NS1_11comp_targetILNS1_3genE2ELNS1_11target_archE906ELNS1_3gpuE6ELNS1_3repE0EEENS1_36merge_oddeven_config_static_selectorELNS0_4arch9wavefront6targetE1EEEvSJ_.num_vgpr, 0
	.set _ZN7rocprim17ROCPRIM_400000_NS6detail17trampoline_kernelINS0_14default_configENS1_38merge_sort_block_merge_config_selectorIyyEEZZNS1_27merge_sort_block_merge_implIS3_N6thrust23THRUST_200600_302600_NS6detail15normal_iteratorINS8_10device_ptrIyEEEESD_jNS1_19radix_merge_compareILb0ELb0EyNS0_19identity_decomposerEEEEE10hipError_tT0_T1_T2_jT3_P12ihipStream_tbPNSt15iterator_traitsISI_E10value_typeEPNSO_ISJ_E10value_typeEPSK_NS1_7vsmem_tEENKUlT_SI_SJ_SK_E_clISD_PySD_S10_EESH_SX_SI_SJ_SK_EUlSX_E1_NS1_11comp_targetILNS1_3genE2ELNS1_11target_archE906ELNS1_3gpuE6ELNS1_3repE0EEENS1_36merge_oddeven_config_static_selectorELNS0_4arch9wavefront6targetE1EEEvSJ_.num_agpr, 0
	.set _ZN7rocprim17ROCPRIM_400000_NS6detail17trampoline_kernelINS0_14default_configENS1_38merge_sort_block_merge_config_selectorIyyEEZZNS1_27merge_sort_block_merge_implIS3_N6thrust23THRUST_200600_302600_NS6detail15normal_iteratorINS8_10device_ptrIyEEEESD_jNS1_19radix_merge_compareILb0ELb0EyNS0_19identity_decomposerEEEEE10hipError_tT0_T1_T2_jT3_P12ihipStream_tbPNSt15iterator_traitsISI_E10value_typeEPNSO_ISJ_E10value_typeEPSK_NS1_7vsmem_tEENKUlT_SI_SJ_SK_E_clISD_PySD_S10_EESH_SX_SI_SJ_SK_EUlSX_E1_NS1_11comp_targetILNS1_3genE2ELNS1_11target_archE906ELNS1_3gpuE6ELNS1_3repE0EEENS1_36merge_oddeven_config_static_selectorELNS0_4arch9wavefront6targetE1EEEvSJ_.numbered_sgpr, 0
	.set _ZN7rocprim17ROCPRIM_400000_NS6detail17trampoline_kernelINS0_14default_configENS1_38merge_sort_block_merge_config_selectorIyyEEZZNS1_27merge_sort_block_merge_implIS3_N6thrust23THRUST_200600_302600_NS6detail15normal_iteratorINS8_10device_ptrIyEEEESD_jNS1_19radix_merge_compareILb0ELb0EyNS0_19identity_decomposerEEEEE10hipError_tT0_T1_T2_jT3_P12ihipStream_tbPNSt15iterator_traitsISI_E10value_typeEPNSO_ISJ_E10value_typeEPSK_NS1_7vsmem_tEENKUlT_SI_SJ_SK_E_clISD_PySD_S10_EESH_SX_SI_SJ_SK_EUlSX_E1_NS1_11comp_targetILNS1_3genE2ELNS1_11target_archE906ELNS1_3gpuE6ELNS1_3repE0EEENS1_36merge_oddeven_config_static_selectorELNS0_4arch9wavefront6targetE1EEEvSJ_.num_named_barrier, 0
	.set _ZN7rocprim17ROCPRIM_400000_NS6detail17trampoline_kernelINS0_14default_configENS1_38merge_sort_block_merge_config_selectorIyyEEZZNS1_27merge_sort_block_merge_implIS3_N6thrust23THRUST_200600_302600_NS6detail15normal_iteratorINS8_10device_ptrIyEEEESD_jNS1_19radix_merge_compareILb0ELb0EyNS0_19identity_decomposerEEEEE10hipError_tT0_T1_T2_jT3_P12ihipStream_tbPNSt15iterator_traitsISI_E10value_typeEPNSO_ISJ_E10value_typeEPSK_NS1_7vsmem_tEENKUlT_SI_SJ_SK_E_clISD_PySD_S10_EESH_SX_SI_SJ_SK_EUlSX_E1_NS1_11comp_targetILNS1_3genE2ELNS1_11target_archE906ELNS1_3gpuE6ELNS1_3repE0EEENS1_36merge_oddeven_config_static_selectorELNS0_4arch9wavefront6targetE1EEEvSJ_.private_seg_size, 0
	.set _ZN7rocprim17ROCPRIM_400000_NS6detail17trampoline_kernelINS0_14default_configENS1_38merge_sort_block_merge_config_selectorIyyEEZZNS1_27merge_sort_block_merge_implIS3_N6thrust23THRUST_200600_302600_NS6detail15normal_iteratorINS8_10device_ptrIyEEEESD_jNS1_19radix_merge_compareILb0ELb0EyNS0_19identity_decomposerEEEEE10hipError_tT0_T1_T2_jT3_P12ihipStream_tbPNSt15iterator_traitsISI_E10value_typeEPNSO_ISJ_E10value_typeEPSK_NS1_7vsmem_tEENKUlT_SI_SJ_SK_E_clISD_PySD_S10_EESH_SX_SI_SJ_SK_EUlSX_E1_NS1_11comp_targetILNS1_3genE2ELNS1_11target_archE906ELNS1_3gpuE6ELNS1_3repE0EEENS1_36merge_oddeven_config_static_selectorELNS0_4arch9wavefront6targetE1EEEvSJ_.uses_vcc, 0
	.set _ZN7rocprim17ROCPRIM_400000_NS6detail17trampoline_kernelINS0_14default_configENS1_38merge_sort_block_merge_config_selectorIyyEEZZNS1_27merge_sort_block_merge_implIS3_N6thrust23THRUST_200600_302600_NS6detail15normal_iteratorINS8_10device_ptrIyEEEESD_jNS1_19radix_merge_compareILb0ELb0EyNS0_19identity_decomposerEEEEE10hipError_tT0_T1_T2_jT3_P12ihipStream_tbPNSt15iterator_traitsISI_E10value_typeEPNSO_ISJ_E10value_typeEPSK_NS1_7vsmem_tEENKUlT_SI_SJ_SK_E_clISD_PySD_S10_EESH_SX_SI_SJ_SK_EUlSX_E1_NS1_11comp_targetILNS1_3genE2ELNS1_11target_archE906ELNS1_3gpuE6ELNS1_3repE0EEENS1_36merge_oddeven_config_static_selectorELNS0_4arch9wavefront6targetE1EEEvSJ_.uses_flat_scratch, 0
	.set _ZN7rocprim17ROCPRIM_400000_NS6detail17trampoline_kernelINS0_14default_configENS1_38merge_sort_block_merge_config_selectorIyyEEZZNS1_27merge_sort_block_merge_implIS3_N6thrust23THRUST_200600_302600_NS6detail15normal_iteratorINS8_10device_ptrIyEEEESD_jNS1_19radix_merge_compareILb0ELb0EyNS0_19identity_decomposerEEEEE10hipError_tT0_T1_T2_jT3_P12ihipStream_tbPNSt15iterator_traitsISI_E10value_typeEPNSO_ISJ_E10value_typeEPSK_NS1_7vsmem_tEENKUlT_SI_SJ_SK_E_clISD_PySD_S10_EESH_SX_SI_SJ_SK_EUlSX_E1_NS1_11comp_targetILNS1_3genE2ELNS1_11target_archE906ELNS1_3gpuE6ELNS1_3repE0EEENS1_36merge_oddeven_config_static_selectorELNS0_4arch9wavefront6targetE1EEEvSJ_.has_dyn_sized_stack, 0
	.set _ZN7rocprim17ROCPRIM_400000_NS6detail17trampoline_kernelINS0_14default_configENS1_38merge_sort_block_merge_config_selectorIyyEEZZNS1_27merge_sort_block_merge_implIS3_N6thrust23THRUST_200600_302600_NS6detail15normal_iteratorINS8_10device_ptrIyEEEESD_jNS1_19radix_merge_compareILb0ELb0EyNS0_19identity_decomposerEEEEE10hipError_tT0_T1_T2_jT3_P12ihipStream_tbPNSt15iterator_traitsISI_E10value_typeEPNSO_ISJ_E10value_typeEPSK_NS1_7vsmem_tEENKUlT_SI_SJ_SK_E_clISD_PySD_S10_EESH_SX_SI_SJ_SK_EUlSX_E1_NS1_11comp_targetILNS1_3genE2ELNS1_11target_archE906ELNS1_3gpuE6ELNS1_3repE0EEENS1_36merge_oddeven_config_static_selectorELNS0_4arch9wavefront6targetE1EEEvSJ_.has_recursion, 0
	.set _ZN7rocprim17ROCPRIM_400000_NS6detail17trampoline_kernelINS0_14default_configENS1_38merge_sort_block_merge_config_selectorIyyEEZZNS1_27merge_sort_block_merge_implIS3_N6thrust23THRUST_200600_302600_NS6detail15normal_iteratorINS8_10device_ptrIyEEEESD_jNS1_19radix_merge_compareILb0ELb0EyNS0_19identity_decomposerEEEEE10hipError_tT0_T1_T2_jT3_P12ihipStream_tbPNSt15iterator_traitsISI_E10value_typeEPNSO_ISJ_E10value_typeEPSK_NS1_7vsmem_tEENKUlT_SI_SJ_SK_E_clISD_PySD_S10_EESH_SX_SI_SJ_SK_EUlSX_E1_NS1_11comp_targetILNS1_3genE2ELNS1_11target_archE906ELNS1_3gpuE6ELNS1_3repE0EEENS1_36merge_oddeven_config_static_selectorELNS0_4arch9wavefront6targetE1EEEvSJ_.has_indirect_call, 0
	.section	.AMDGPU.csdata,"",@progbits
; Kernel info:
; codeLenInByte = 0
; TotalNumSgprs: 6
; NumVgprs: 0
; NumAgprs: 0
; TotalNumVgprs: 0
; ScratchSize: 0
; MemoryBound: 0
; FloatMode: 240
; IeeeMode: 1
; LDSByteSize: 0 bytes/workgroup (compile time only)
; SGPRBlocks: 0
; VGPRBlocks: 0
; NumSGPRsForWavesPerEU: 6
; NumVGPRsForWavesPerEU: 1
; AccumOffset: 4
; Occupancy: 8
; WaveLimiterHint : 0
; COMPUTE_PGM_RSRC2:SCRATCH_EN: 0
; COMPUTE_PGM_RSRC2:USER_SGPR: 2
; COMPUTE_PGM_RSRC2:TRAP_HANDLER: 0
; COMPUTE_PGM_RSRC2:TGID_X_EN: 1
; COMPUTE_PGM_RSRC2:TGID_Y_EN: 0
; COMPUTE_PGM_RSRC2:TGID_Z_EN: 0
; COMPUTE_PGM_RSRC2:TIDIG_COMP_CNT: 0
; COMPUTE_PGM_RSRC3_GFX90A:ACCUM_OFFSET: 0
; COMPUTE_PGM_RSRC3_GFX90A:TG_SPLIT: 0
	.section	.text._ZN7rocprim17ROCPRIM_400000_NS6detail17trampoline_kernelINS0_14default_configENS1_38merge_sort_block_merge_config_selectorIyyEEZZNS1_27merge_sort_block_merge_implIS3_N6thrust23THRUST_200600_302600_NS6detail15normal_iteratorINS8_10device_ptrIyEEEESD_jNS1_19radix_merge_compareILb0ELb0EyNS0_19identity_decomposerEEEEE10hipError_tT0_T1_T2_jT3_P12ihipStream_tbPNSt15iterator_traitsISI_E10value_typeEPNSO_ISJ_E10value_typeEPSK_NS1_7vsmem_tEENKUlT_SI_SJ_SK_E_clISD_PySD_S10_EESH_SX_SI_SJ_SK_EUlSX_E1_NS1_11comp_targetILNS1_3genE9ELNS1_11target_archE1100ELNS1_3gpuE3ELNS1_3repE0EEENS1_36merge_oddeven_config_static_selectorELNS0_4arch9wavefront6targetE1EEEvSJ_,"axG",@progbits,_ZN7rocprim17ROCPRIM_400000_NS6detail17trampoline_kernelINS0_14default_configENS1_38merge_sort_block_merge_config_selectorIyyEEZZNS1_27merge_sort_block_merge_implIS3_N6thrust23THRUST_200600_302600_NS6detail15normal_iteratorINS8_10device_ptrIyEEEESD_jNS1_19radix_merge_compareILb0ELb0EyNS0_19identity_decomposerEEEEE10hipError_tT0_T1_T2_jT3_P12ihipStream_tbPNSt15iterator_traitsISI_E10value_typeEPNSO_ISJ_E10value_typeEPSK_NS1_7vsmem_tEENKUlT_SI_SJ_SK_E_clISD_PySD_S10_EESH_SX_SI_SJ_SK_EUlSX_E1_NS1_11comp_targetILNS1_3genE9ELNS1_11target_archE1100ELNS1_3gpuE3ELNS1_3repE0EEENS1_36merge_oddeven_config_static_selectorELNS0_4arch9wavefront6targetE1EEEvSJ_,comdat
	.protected	_ZN7rocprim17ROCPRIM_400000_NS6detail17trampoline_kernelINS0_14default_configENS1_38merge_sort_block_merge_config_selectorIyyEEZZNS1_27merge_sort_block_merge_implIS3_N6thrust23THRUST_200600_302600_NS6detail15normal_iteratorINS8_10device_ptrIyEEEESD_jNS1_19radix_merge_compareILb0ELb0EyNS0_19identity_decomposerEEEEE10hipError_tT0_T1_T2_jT3_P12ihipStream_tbPNSt15iterator_traitsISI_E10value_typeEPNSO_ISJ_E10value_typeEPSK_NS1_7vsmem_tEENKUlT_SI_SJ_SK_E_clISD_PySD_S10_EESH_SX_SI_SJ_SK_EUlSX_E1_NS1_11comp_targetILNS1_3genE9ELNS1_11target_archE1100ELNS1_3gpuE3ELNS1_3repE0EEENS1_36merge_oddeven_config_static_selectorELNS0_4arch9wavefront6targetE1EEEvSJ_ ; -- Begin function _ZN7rocprim17ROCPRIM_400000_NS6detail17trampoline_kernelINS0_14default_configENS1_38merge_sort_block_merge_config_selectorIyyEEZZNS1_27merge_sort_block_merge_implIS3_N6thrust23THRUST_200600_302600_NS6detail15normal_iteratorINS8_10device_ptrIyEEEESD_jNS1_19radix_merge_compareILb0ELb0EyNS0_19identity_decomposerEEEEE10hipError_tT0_T1_T2_jT3_P12ihipStream_tbPNSt15iterator_traitsISI_E10value_typeEPNSO_ISJ_E10value_typeEPSK_NS1_7vsmem_tEENKUlT_SI_SJ_SK_E_clISD_PySD_S10_EESH_SX_SI_SJ_SK_EUlSX_E1_NS1_11comp_targetILNS1_3genE9ELNS1_11target_archE1100ELNS1_3gpuE3ELNS1_3repE0EEENS1_36merge_oddeven_config_static_selectorELNS0_4arch9wavefront6targetE1EEEvSJ_
	.globl	_ZN7rocprim17ROCPRIM_400000_NS6detail17trampoline_kernelINS0_14default_configENS1_38merge_sort_block_merge_config_selectorIyyEEZZNS1_27merge_sort_block_merge_implIS3_N6thrust23THRUST_200600_302600_NS6detail15normal_iteratorINS8_10device_ptrIyEEEESD_jNS1_19radix_merge_compareILb0ELb0EyNS0_19identity_decomposerEEEEE10hipError_tT0_T1_T2_jT3_P12ihipStream_tbPNSt15iterator_traitsISI_E10value_typeEPNSO_ISJ_E10value_typeEPSK_NS1_7vsmem_tEENKUlT_SI_SJ_SK_E_clISD_PySD_S10_EESH_SX_SI_SJ_SK_EUlSX_E1_NS1_11comp_targetILNS1_3genE9ELNS1_11target_archE1100ELNS1_3gpuE3ELNS1_3repE0EEENS1_36merge_oddeven_config_static_selectorELNS0_4arch9wavefront6targetE1EEEvSJ_
	.p2align	8
	.type	_ZN7rocprim17ROCPRIM_400000_NS6detail17trampoline_kernelINS0_14default_configENS1_38merge_sort_block_merge_config_selectorIyyEEZZNS1_27merge_sort_block_merge_implIS3_N6thrust23THRUST_200600_302600_NS6detail15normal_iteratorINS8_10device_ptrIyEEEESD_jNS1_19radix_merge_compareILb0ELb0EyNS0_19identity_decomposerEEEEE10hipError_tT0_T1_T2_jT3_P12ihipStream_tbPNSt15iterator_traitsISI_E10value_typeEPNSO_ISJ_E10value_typeEPSK_NS1_7vsmem_tEENKUlT_SI_SJ_SK_E_clISD_PySD_S10_EESH_SX_SI_SJ_SK_EUlSX_E1_NS1_11comp_targetILNS1_3genE9ELNS1_11target_archE1100ELNS1_3gpuE3ELNS1_3repE0EEENS1_36merge_oddeven_config_static_selectorELNS0_4arch9wavefront6targetE1EEEvSJ_,@function
_ZN7rocprim17ROCPRIM_400000_NS6detail17trampoline_kernelINS0_14default_configENS1_38merge_sort_block_merge_config_selectorIyyEEZZNS1_27merge_sort_block_merge_implIS3_N6thrust23THRUST_200600_302600_NS6detail15normal_iteratorINS8_10device_ptrIyEEEESD_jNS1_19radix_merge_compareILb0ELb0EyNS0_19identity_decomposerEEEEE10hipError_tT0_T1_T2_jT3_P12ihipStream_tbPNSt15iterator_traitsISI_E10value_typeEPNSO_ISJ_E10value_typeEPSK_NS1_7vsmem_tEENKUlT_SI_SJ_SK_E_clISD_PySD_S10_EESH_SX_SI_SJ_SK_EUlSX_E1_NS1_11comp_targetILNS1_3genE9ELNS1_11target_archE1100ELNS1_3gpuE3ELNS1_3repE0EEENS1_36merge_oddeven_config_static_selectorELNS0_4arch9wavefront6targetE1EEEvSJ_: ; @_ZN7rocprim17ROCPRIM_400000_NS6detail17trampoline_kernelINS0_14default_configENS1_38merge_sort_block_merge_config_selectorIyyEEZZNS1_27merge_sort_block_merge_implIS3_N6thrust23THRUST_200600_302600_NS6detail15normal_iteratorINS8_10device_ptrIyEEEESD_jNS1_19radix_merge_compareILb0ELb0EyNS0_19identity_decomposerEEEEE10hipError_tT0_T1_T2_jT3_P12ihipStream_tbPNSt15iterator_traitsISI_E10value_typeEPNSO_ISJ_E10value_typeEPSK_NS1_7vsmem_tEENKUlT_SI_SJ_SK_E_clISD_PySD_S10_EESH_SX_SI_SJ_SK_EUlSX_E1_NS1_11comp_targetILNS1_3genE9ELNS1_11target_archE1100ELNS1_3gpuE3ELNS1_3repE0EEENS1_36merge_oddeven_config_static_selectorELNS0_4arch9wavefront6targetE1EEEvSJ_
; %bb.0:
	.section	.rodata,"a",@progbits
	.p2align	6, 0x0
	.amdhsa_kernel _ZN7rocprim17ROCPRIM_400000_NS6detail17trampoline_kernelINS0_14default_configENS1_38merge_sort_block_merge_config_selectorIyyEEZZNS1_27merge_sort_block_merge_implIS3_N6thrust23THRUST_200600_302600_NS6detail15normal_iteratorINS8_10device_ptrIyEEEESD_jNS1_19radix_merge_compareILb0ELb0EyNS0_19identity_decomposerEEEEE10hipError_tT0_T1_T2_jT3_P12ihipStream_tbPNSt15iterator_traitsISI_E10value_typeEPNSO_ISJ_E10value_typeEPSK_NS1_7vsmem_tEENKUlT_SI_SJ_SK_E_clISD_PySD_S10_EESH_SX_SI_SJ_SK_EUlSX_E1_NS1_11comp_targetILNS1_3genE9ELNS1_11target_archE1100ELNS1_3gpuE3ELNS1_3repE0EEENS1_36merge_oddeven_config_static_selectorELNS0_4arch9wavefront6targetE1EEEvSJ_
		.amdhsa_group_segment_fixed_size 0
		.amdhsa_private_segment_fixed_size 0
		.amdhsa_kernarg_size 48
		.amdhsa_user_sgpr_count 2
		.amdhsa_user_sgpr_dispatch_ptr 0
		.amdhsa_user_sgpr_queue_ptr 0
		.amdhsa_user_sgpr_kernarg_segment_ptr 1
		.amdhsa_user_sgpr_dispatch_id 0
		.amdhsa_user_sgpr_kernarg_preload_length 0
		.amdhsa_user_sgpr_kernarg_preload_offset 0
		.amdhsa_user_sgpr_private_segment_size 0
		.amdhsa_uses_dynamic_stack 0
		.amdhsa_enable_private_segment 0
		.amdhsa_system_sgpr_workgroup_id_x 1
		.amdhsa_system_sgpr_workgroup_id_y 0
		.amdhsa_system_sgpr_workgroup_id_z 0
		.amdhsa_system_sgpr_workgroup_info 0
		.amdhsa_system_vgpr_workitem_id 0
		.amdhsa_next_free_vgpr 1
		.amdhsa_next_free_sgpr 0
		.amdhsa_accum_offset 4
		.amdhsa_reserve_vcc 0
		.amdhsa_float_round_mode_32 0
		.amdhsa_float_round_mode_16_64 0
		.amdhsa_float_denorm_mode_32 3
		.amdhsa_float_denorm_mode_16_64 3
		.amdhsa_dx10_clamp 1
		.amdhsa_ieee_mode 1
		.amdhsa_fp16_overflow 0
		.amdhsa_tg_split 0
		.amdhsa_exception_fp_ieee_invalid_op 0
		.amdhsa_exception_fp_denorm_src 0
		.amdhsa_exception_fp_ieee_div_zero 0
		.amdhsa_exception_fp_ieee_overflow 0
		.amdhsa_exception_fp_ieee_underflow 0
		.amdhsa_exception_fp_ieee_inexact 0
		.amdhsa_exception_int_div_zero 0
	.end_amdhsa_kernel
	.section	.text._ZN7rocprim17ROCPRIM_400000_NS6detail17trampoline_kernelINS0_14default_configENS1_38merge_sort_block_merge_config_selectorIyyEEZZNS1_27merge_sort_block_merge_implIS3_N6thrust23THRUST_200600_302600_NS6detail15normal_iteratorINS8_10device_ptrIyEEEESD_jNS1_19radix_merge_compareILb0ELb0EyNS0_19identity_decomposerEEEEE10hipError_tT0_T1_T2_jT3_P12ihipStream_tbPNSt15iterator_traitsISI_E10value_typeEPNSO_ISJ_E10value_typeEPSK_NS1_7vsmem_tEENKUlT_SI_SJ_SK_E_clISD_PySD_S10_EESH_SX_SI_SJ_SK_EUlSX_E1_NS1_11comp_targetILNS1_3genE9ELNS1_11target_archE1100ELNS1_3gpuE3ELNS1_3repE0EEENS1_36merge_oddeven_config_static_selectorELNS0_4arch9wavefront6targetE1EEEvSJ_,"axG",@progbits,_ZN7rocprim17ROCPRIM_400000_NS6detail17trampoline_kernelINS0_14default_configENS1_38merge_sort_block_merge_config_selectorIyyEEZZNS1_27merge_sort_block_merge_implIS3_N6thrust23THRUST_200600_302600_NS6detail15normal_iteratorINS8_10device_ptrIyEEEESD_jNS1_19radix_merge_compareILb0ELb0EyNS0_19identity_decomposerEEEEE10hipError_tT0_T1_T2_jT3_P12ihipStream_tbPNSt15iterator_traitsISI_E10value_typeEPNSO_ISJ_E10value_typeEPSK_NS1_7vsmem_tEENKUlT_SI_SJ_SK_E_clISD_PySD_S10_EESH_SX_SI_SJ_SK_EUlSX_E1_NS1_11comp_targetILNS1_3genE9ELNS1_11target_archE1100ELNS1_3gpuE3ELNS1_3repE0EEENS1_36merge_oddeven_config_static_selectorELNS0_4arch9wavefront6targetE1EEEvSJ_,comdat
.Lfunc_end442:
	.size	_ZN7rocprim17ROCPRIM_400000_NS6detail17trampoline_kernelINS0_14default_configENS1_38merge_sort_block_merge_config_selectorIyyEEZZNS1_27merge_sort_block_merge_implIS3_N6thrust23THRUST_200600_302600_NS6detail15normal_iteratorINS8_10device_ptrIyEEEESD_jNS1_19radix_merge_compareILb0ELb0EyNS0_19identity_decomposerEEEEE10hipError_tT0_T1_T2_jT3_P12ihipStream_tbPNSt15iterator_traitsISI_E10value_typeEPNSO_ISJ_E10value_typeEPSK_NS1_7vsmem_tEENKUlT_SI_SJ_SK_E_clISD_PySD_S10_EESH_SX_SI_SJ_SK_EUlSX_E1_NS1_11comp_targetILNS1_3genE9ELNS1_11target_archE1100ELNS1_3gpuE3ELNS1_3repE0EEENS1_36merge_oddeven_config_static_selectorELNS0_4arch9wavefront6targetE1EEEvSJ_, .Lfunc_end442-_ZN7rocprim17ROCPRIM_400000_NS6detail17trampoline_kernelINS0_14default_configENS1_38merge_sort_block_merge_config_selectorIyyEEZZNS1_27merge_sort_block_merge_implIS3_N6thrust23THRUST_200600_302600_NS6detail15normal_iteratorINS8_10device_ptrIyEEEESD_jNS1_19radix_merge_compareILb0ELb0EyNS0_19identity_decomposerEEEEE10hipError_tT0_T1_T2_jT3_P12ihipStream_tbPNSt15iterator_traitsISI_E10value_typeEPNSO_ISJ_E10value_typeEPSK_NS1_7vsmem_tEENKUlT_SI_SJ_SK_E_clISD_PySD_S10_EESH_SX_SI_SJ_SK_EUlSX_E1_NS1_11comp_targetILNS1_3genE9ELNS1_11target_archE1100ELNS1_3gpuE3ELNS1_3repE0EEENS1_36merge_oddeven_config_static_selectorELNS0_4arch9wavefront6targetE1EEEvSJ_
                                        ; -- End function
	.set _ZN7rocprim17ROCPRIM_400000_NS6detail17trampoline_kernelINS0_14default_configENS1_38merge_sort_block_merge_config_selectorIyyEEZZNS1_27merge_sort_block_merge_implIS3_N6thrust23THRUST_200600_302600_NS6detail15normal_iteratorINS8_10device_ptrIyEEEESD_jNS1_19radix_merge_compareILb0ELb0EyNS0_19identity_decomposerEEEEE10hipError_tT0_T1_T2_jT3_P12ihipStream_tbPNSt15iterator_traitsISI_E10value_typeEPNSO_ISJ_E10value_typeEPSK_NS1_7vsmem_tEENKUlT_SI_SJ_SK_E_clISD_PySD_S10_EESH_SX_SI_SJ_SK_EUlSX_E1_NS1_11comp_targetILNS1_3genE9ELNS1_11target_archE1100ELNS1_3gpuE3ELNS1_3repE0EEENS1_36merge_oddeven_config_static_selectorELNS0_4arch9wavefront6targetE1EEEvSJ_.num_vgpr, 0
	.set _ZN7rocprim17ROCPRIM_400000_NS6detail17trampoline_kernelINS0_14default_configENS1_38merge_sort_block_merge_config_selectorIyyEEZZNS1_27merge_sort_block_merge_implIS3_N6thrust23THRUST_200600_302600_NS6detail15normal_iteratorINS8_10device_ptrIyEEEESD_jNS1_19radix_merge_compareILb0ELb0EyNS0_19identity_decomposerEEEEE10hipError_tT0_T1_T2_jT3_P12ihipStream_tbPNSt15iterator_traitsISI_E10value_typeEPNSO_ISJ_E10value_typeEPSK_NS1_7vsmem_tEENKUlT_SI_SJ_SK_E_clISD_PySD_S10_EESH_SX_SI_SJ_SK_EUlSX_E1_NS1_11comp_targetILNS1_3genE9ELNS1_11target_archE1100ELNS1_3gpuE3ELNS1_3repE0EEENS1_36merge_oddeven_config_static_selectorELNS0_4arch9wavefront6targetE1EEEvSJ_.num_agpr, 0
	.set _ZN7rocprim17ROCPRIM_400000_NS6detail17trampoline_kernelINS0_14default_configENS1_38merge_sort_block_merge_config_selectorIyyEEZZNS1_27merge_sort_block_merge_implIS3_N6thrust23THRUST_200600_302600_NS6detail15normal_iteratorINS8_10device_ptrIyEEEESD_jNS1_19radix_merge_compareILb0ELb0EyNS0_19identity_decomposerEEEEE10hipError_tT0_T1_T2_jT3_P12ihipStream_tbPNSt15iterator_traitsISI_E10value_typeEPNSO_ISJ_E10value_typeEPSK_NS1_7vsmem_tEENKUlT_SI_SJ_SK_E_clISD_PySD_S10_EESH_SX_SI_SJ_SK_EUlSX_E1_NS1_11comp_targetILNS1_3genE9ELNS1_11target_archE1100ELNS1_3gpuE3ELNS1_3repE0EEENS1_36merge_oddeven_config_static_selectorELNS0_4arch9wavefront6targetE1EEEvSJ_.numbered_sgpr, 0
	.set _ZN7rocprim17ROCPRIM_400000_NS6detail17trampoline_kernelINS0_14default_configENS1_38merge_sort_block_merge_config_selectorIyyEEZZNS1_27merge_sort_block_merge_implIS3_N6thrust23THRUST_200600_302600_NS6detail15normal_iteratorINS8_10device_ptrIyEEEESD_jNS1_19radix_merge_compareILb0ELb0EyNS0_19identity_decomposerEEEEE10hipError_tT0_T1_T2_jT3_P12ihipStream_tbPNSt15iterator_traitsISI_E10value_typeEPNSO_ISJ_E10value_typeEPSK_NS1_7vsmem_tEENKUlT_SI_SJ_SK_E_clISD_PySD_S10_EESH_SX_SI_SJ_SK_EUlSX_E1_NS1_11comp_targetILNS1_3genE9ELNS1_11target_archE1100ELNS1_3gpuE3ELNS1_3repE0EEENS1_36merge_oddeven_config_static_selectorELNS0_4arch9wavefront6targetE1EEEvSJ_.num_named_barrier, 0
	.set _ZN7rocprim17ROCPRIM_400000_NS6detail17trampoline_kernelINS0_14default_configENS1_38merge_sort_block_merge_config_selectorIyyEEZZNS1_27merge_sort_block_merge_implIS3_N6thrust23THRUST_200600_302600_NS6detail15normal_iteratorINS8_10device_ptrIyEEEESD_jNS1_19radix_merge_compareILb0ELb0EyNS0_19identity_decomposerEEEEE10hipError_tT0_T1_T2_jT3_P12ihipStream_tbPNSt15iterator_traitsISI_E10value_typeEPNSO_ISJ_E10value_typeEPSK_NS1_7vsmem_tEENKUlT_SI_SJ_SK_E_clISD_PySD_S10_EESH_SX_SI_SJ_SK_EUlSX_E1_NS1_11comp_targetILNS1_3genE9ELNS1_11target_archE1100ELNS1_3gpuE3ELNS1_3repE0EEENS1_36merge_oddeven_config_static_selectorELNS0_4arch9wavefront6targetE1EEEvSJ_.private_seg_size, 0
	.set _ZN7rocprim17ROCPRIM_400000_NS6detail17trampoline_kernelINS0_14default_configENS1_38merge_sort_block_merge_config_selectorIyyEEZZNS1_27merge_sort_block_merge_implIS3_N6thrust23THRUST_200600_302600_NS6detail15normal_iteratorINS8_10device_ptrIyEEEESD_jNS1_19radix_merge_compareILb0ELb0EyNS0_19identity_decomposerEEEEE10hipError_tT0_T1_T2_jT3_P12ihipStream_tbPNSt15iterator_traitsISI_E10value_typeEPNSO_ISJ_E10value_typeEPSK_NS1_7vsmem_tEENKUlT_SI_SJ_SK_E_clISD_PySD_S10_EESH_SX_SI_SJ_SK_EUlSX_E1_NS1_11comp_targetILNS1_3genE9ELNS1_11target_archE1100ELNS1_3gpuE3ELNS1_3repE0EEENS1_36merge_oddeven_config_static_selectorELNS0_4arch9wavefront6targetE1EEEvSJ_.uses_vcc, 0
	.set _ZN7rocprim17ROCPRIM_400000_NS6detail17trampoline_kernelINS0_14default_configENS1_38merge_sort_block_merge_config_selectorIyyEEZZNS1_27merge_sort_block_merge_implIS3_N6thrust23THRUST_200600_302600_NS6detail15normal_iteratorINS8_10device_ptrIyEEEESD_jNS1_19radix_merge_compareILb0ELb0EyNS0_19identity_decomposerEEEEE10hipError_tT0_T1_T2_jT3_P12ihipStream_tbPNSt15iterator_traitsISI_E10value_typeEPNSO_ISJ_E10value_typeEPSK_NS1_7vsmem_tEENKUlT_SI_SJ_SK_E_clISD_PySD_S10_EESH_SX_SI_SJ_SK_EUlSX_E1_NS1_11comp_targetILNS1_3genE9ELNS1_11target_archE1100ELNS1_3gpuE3ELNS1_3repE0EEENS1_36merge_oddeven_config_static_selectorELNS0_4arch9wavefront6targetE1EEEvSJ_.uses_flat_scratch, 0
	.set _ZN7rocprim17ROCPRIM_400000_NS6detail17trampoline_kernelINS0_14default_configENS1_38merge_sort_block_merge_config_selectorIyyEEZZNS1_27merge_sort_block_merge_implIS3_N6thrust23THRUST_200600_302600_NS6detail15normal_iteratorINS8_10device_ptrIyEEEESD_jNS1_19radix_merge_compareILb0ELb0EyNS0_19identity_decomposerEEEEE10hipError_tT0_T1_T2_jT3_P12ihipStream_tbPNSt15iterator_traitsISI_E10value_typeEPNSO_ISJ_E10value_typeEPSK_NS1_7vsmem_tEENKUlT_SI_SJ_SK_E_clISD_PySD_S10_EESH_SX_SI_SJ_SK_EUlSX_E1_NS1_11comp_targetILNS1_3genE9ELNS1_11target_archE1100ELNS1_3gpuE3ELNS1_3repE0EEENS1_36merge_oddeven_config_static_selectorELNS0_4arch9wavefront6targetE1EEEvSJ_.has_dyn_sized_stack, 0
	.set _ZN7rocprim17ROCPRIM_400000_NS6detail17trampoline_kernelINS0_14default_configENS1_38merge_sort_block_merge_config_selectorIyyEEZZNS1_27merge_sort_block_merge_implIS3_N6thrust23THRUST_200600_302600_NS6detail15normal_iteratorINS8_10device_ptrIyEEEESD_jNS1_19radix_merge_compareILb0ELb0EyNS0_19identity_decomposerEEEEE10hipError_tT0_T1_T2_jT3_P12ihipStream_tbPNSt15iterator_traitsISI_E10value_typeEPNSO_ISJ_E10value_typeEPSK_NS1_7vsmem_tEENKUlT_SI_SJ_SK_E_clISD_PySD_S10_EESH_SX_SI_SJ_SK_EUlSX_E1_NS1_11comp_targetILNS1_3genE9ELNS1_11target_archE1100ELNS1_3gpuE3ELNS1_3repE0EEENS1_36merge_oddeven_config_static_selectorELNS0_4arch9wavefront6targetE1EEEvSJ_.has_recursion, 0
	.set _ZN7rocprim17ROCPRIM_400000_NS6detail17trampoline_kernelINS0_14default_configENS1_38merge_sort_block_merge_config_selectorIyyEEZZNS1_27merge_sort_block_merge_implIS3_N6thrust23THRUST_200600_302600_NS6detail15normal_iteratorINS8_10device_ptrIyEEEESD_jNS1_19radix_merge_compareILb0ELb0EyNS0_19identity_decomposerEEEEE10hipError_tT0_T1_T2_jT3_P12ihipStream_tbPNSt15iterator_traitsISI_E10value_typeEPNSO_ISJ_E10value_typeEPSK_NS1_7vsmem_tEENKUlT_SI_SJ_SK_E_clISD_PySD_S10_EESH_SX_SI_SJ_SK_EUlSX_E1_NS1_11comp_targetILNS1_3genE9ELNS1_11target_archE1100ELNS1_3gpuE3ELNS1_3repE0EEENS1_36merge_oddeven_config_static_selectorELNS0_4arch9wavefront6targetE1EEEvSJ_.has_indirect_call, 0
	.section	.AMDGPU.csdata,"",@progbits
; Kernel info:
; codeLenInByte = 0
; TotalNumSgprs: 6
; NumVgprs: 0
; NumAgprs: 0
; TotalNumVgprs: 0
; ScratchSize: 0
; MemoryBound: 0
; FloatMode: 240
; IeeeMode: 1
; LDSByteSize: 0 bytes/workgroup (compile time only)
; SGPRBlocks: 0
; VGPRBlocks: 0
; NumSGPRsForWavesPerEU: 6
; NumVGPRsForWavesPerEU: 1
; AccumOffset: 4
; Occupancy: 8
; WaveLimiterHint : 0
; COMPUTE_PGM_RSRC2:SCRATCH_EN: 0
; COMPUTE_PGM_RSRC2:USER_SGPR: 2
; COMPUTE_PGM_RSRC2:TRAP_HANDLER: 0
; COMPUTE_PGM_RSRC2:TGID_X_EN: 1
; COMPUTE_PGM_RSRC2:TGID_Y_EN: 0
; COMPUTE_PGM_RSRC2:TGID_Z_EN: 0
; COMPUTE_PGM_RSRC2:TIDIG_COMP_CNT: 0
; COMPUTE_PGM_RSRC3_GFX90A:ACCUM_OFFSET: 0
; COMPUTE_PGM_RSRC3_GFX90A:TG_SPLIT: 0
	.section	.text._ZN7rocprim17ROCPRIM_400000_NS6detail17trampoline_kernelINS0_14default_configENS1_38merge_sort_block_merge_config_selectorIyyEEZZNS1_27merge_sort_block_merge_implIS3_N6thrust23THRUST_200600_302600_NS6detail15normal_iteratorINS8_10device_ptrIyEEEESD_jNS1_19radix_merge_compareILb0ELb0EyNS0_19identity_decomposerEEEEE10hipError_tT0_T1_T2_jT3_P12ihipStream_tbPNSt15iterator_traitsISI_E10value_typeEPNSO_ISJ_E10value_typeEPSK_NS1_7vsmem_tEENKUlT_SI_SJ_SK_E_clISD_PySD_S10_EESH_SX_SI_SJ_SK_EUlSX_E1_NS1_11comp_targetILNS1_3genE8ELNS1_11target_archE1030ELNS1_3gpuE2ELNS1_3repE0EEENS1_36merge_oddeven_config_static_selectorELNS0_4arch9wavefront6targetE1EEEvSJ_,"axG",@progbits,_ZN7rocprim17ROCPRIM_400000_NS6detail17trampoline_kernelINS0_14default_configENS1_38merge_sort_block_merge_config_selectorIyyEEZZNS1_27merge_sort_block_merge_implIS3_N6thrust23THRUST_200600_302600_NS6detail15normal_iteratorINS8_10device_ptrIyEEEESD_jNS1_19radix_merge_compareILb0ELb0EyNS0_19identity_decomposerEEEEE10hipError_tT0_T1_T2_jT3_P12ihipStream_tbPNSt15iterator_traitsISI_E10value_typeEPNSO_ISJ_E10value_typeEPSK_NS1_7vsmem_tEENKUlT_SI_SJ_SK_E_clISD_PySD_S10_EESH_SX_SI_SJ_SK_EUlSX_E1_NS1_11comp_targetILNS1_3genE8ELNS1_11target_archE1030ELNS1_3gpuE2ELNS1_3repE0EEENS1_36merge_oddeven_config_static_selectorELNS0_4arch9wavefront6targetE1EEEvSJ_,comdat
	.protected	_ZN7rocprim17ROCPRIM_400000_NS6detail17trampoline_kernelINS0_14default_configENS1_38merge_sort_block_merge_config_selectorIyyEEZZNS1_27merge_sort_block_merge_implIS3_N6thrust23THRUST_200600_302600_NS6detail15normal_iteratorINS8_10device_ptrIyEEEESD_jNS1_19radix_merge_compareILb0ELb0EyNS0_19identity_decomposerEEEEE10hipError_tT0_T1_T2_jT3_P12ihipStream_tbPNSt15iterator_traitsISI_E10value_typeEPNSO_ISJ_E10value_typeEPSK_NS1_7vsmem_tEENKUlT_SI_SJ_SK_E_clISD_PySD_S10_EESH_SX_SI_SJ_SK_EUlSX_E1_NS1_11comp_targetILNS1_3genE8ELNS1_11target_archE1030ELNS1_3gpuE2ELNS1_3repE0EEENS1_36merge_oddeven_config_static_selectorELNS0_4arch9wavefront6targetE1EEEvSJ_ ; -- Begin function _ZN7rocprim17ROCPRIM_400000_NS6detail17trampoline_kernelINS0_14default_configENS1_38merge_sort_block_merge_config_selectorIyyEEZZNS1_27merge_sort_block_merge_implIS3_N6thrust23THRUST_200600_302600_NS6detail15normal_iteratorINS8_10device_ptrIyEEEESD_jNS1_19radix_merge_compareILb0ELb0EyNS0_19identity_decomposerEEEEE10hipError_tT0_T1_T2_jT3_P12ihipStream_tbPNSt15iterator_traitsISI_E10value_typeEPNSO_ISJ_E10value_typeEPSK_NS1_7vsmem_tEENKUlT_SI_SJ_SK_E_clISD_PySD_S10_EESH_SX_SI_SJ_SK_EUlSX_E1_NS1_11comp_targetILNS1_3genE8ELNS1_11target_archE1030ELNS1_3gpuE2ELNS1_3repE0EEENS1_36merge_oddeven_config_static_selectorELNS0_4arch9wavefront6targetE1EEEvSJ_
	.globl	_ZN7rocprim17ROCPRIM_400000_NS6detail17trampoline_kernelINS0_14default_configENS1_38merge_sort_block_merge_config_selectorIyyEEZZNS1_27merge_sort_block_merge_implIS3_N6thrust23THRUST_200600_302600_NS6detail15normal_iteratorINS8_10device_ptrIyEEEESD_jNS1_19radix_merge_compareILb0ELb0EyNS0_19identity_decomposerEEEEE10hipError_tT0_T1_T2_jT3_P12ihipStream_tbPNSt15iterator_traitsISI_E10value_typeEPNSO_ISJ_E10value_typeEPSK_NS1_7vsmem_tEENKUlT_SI_SJ_SK_E_clISD_PySD_S10_EESH_SX_SI_SJ_SK_EUlSX_E1_NS1_11comp_targetILNS1_3genE8ELNS1_11target_archE1030ELNS1_3gpuE2ELNS1_3repE0EEENS1_36merge_oddeven_config_static_selectorELNS0_4arch9wavefront6targetE1EEEvSJ_
	.p2align	8
	.type	_ZN7rocprim17ROCPRIM_400000_NS6detail17trampoline_kernelINS0_14default_configENS1_38merge_sort_block_merge_config_selectorIyyEEZZNS1_27merge_sort_block_merge_implIS3_N6thrust23THRUST_200600_302600_NS6detail15normal_iteratorINS8_10device_ptrIyEEEESD_jNS1_19radix_merge_compareILb0ELb0EyNS0_19identity_decomposerEEEEE10hipError_tT0_T1_T2_jT3_P12ihipStream_tbPNSt15iterator_traitsISI_E10value_typeEPNSO_ISJ_E10value_typeEPSK_NS1_7vsmem_tEENKUlT_SI_SJ_SK_E_clISD_PySD_S10_EESH_SX_SI_SJ_SK_EUlSX_E1_NS1_11comp_targetILNS1_3genE8ELNS1_11target_archE1030ELNS1_3gpuE2ELNS1_3repE0EEENS1_36merge_oddeven_config_static_selectorELNS0_4arch9wavefront6targetE1EEEvSJ_,@function
_ZN7rocprim17ROCPRIM_400000_NS6detail17trampoline_kernelINS0_14default_configENS1_38merge_sort_block_merge_config_selectorIyyEEZZNS1_27merge_sort_block_merge_implIS3_N6thrust23THRUST_200600_302600_NS6detail15normal_iteratorINS8_10device_ptrIyEEEESD_jNS1_19radix_merge_compareILb0ELb0EyNS0_19identity_decomposerEEEEE10hipError_tT0_T1_T2_jT3_P12ihipStream_tbPNSt15iterator_traitsISI_E10value_typeEPNSO_ISJ_E10value_typeEPSK_NS1_7vsmem_tEENKUlT_SI_SJ_SK_E_clISD_PySD_S10_EESH_SX_SI_SJ_SK_EUlSX_E1_NS1_11comp_targetILNS1_3genE8ELNS1_11target_archE1030ELNS1_3gpuE2ELNS1_3repE0EEENS1_36merge_oddeven_config_static_selectorELNS0_4arch9wavefront6targetE1EEEvSJ_: ; @_ZN7rocprim17ROCPRIM_400000_NS6detail17trampoline_kernelINS0_14default_configENS1_38merge_sort_block_merge_config_selectorIyyEEZZNS1_27merge_sort_block_merge_implIS3_N6thrust23THRUST_200600_302600_NS6detail15normal_iteratorINS8_10device_ptrIyEEEESD_jNS1_19radix_merge_compareILb0ELb0EyNS0_19identity_decomposerEEEEE10hipError_tT0_T1_T2_jT3_P12ihipStream_tbPNSt15iterator_traitsISI_E10value_typeEPNSO_ISJ_E10value_typeEPSK_NS1_7vsmem_tEENKUlT_SI_SJ_SK_E_clISD_PySD_S10_EESH_SX_SI_SJ_SK_EUlSX_E1_NS1_11comp_targetILNS1_3genE8ELNS1_11target_archE1030ELNS1_3gpuE2ELNS1_3repE0EEENS1_36merge_oddeven_config_static_selectorELNS0_4arch9wavefront6targetE1EEEvSJ_
; %bb.0:
	.section	.rodata,"a",@progbits
	.p2align	6, 0x0
	.amdhsa_kernel _ZN7rocprim17ROCPRIM_400000_NS6detail17trampoline_kernelINS0_14default_configENS1_38merge_sort_block_merge_config_selectorIyyEEZZNS1_27merge_sort_block_merge_implIS3_N6thrust23THRUST_200600_302600_NS6detail15normal_iteratorINS8_10device_ptrIyEEEESD_jNS1_19radix_merge_compareILb0ELb0EyNS0_19identity_decomposerEEEEE10hipError_tT0_T1_T2_jT3_P12ihipStream_tbPNSt15iterator_traitsISI_E10value_typeEPNSO_ISJ_E10value_typeEPSK_NS1_7vsmem_tEENKUlT_SI_SJ_SK_E_clISD_PySD_S10_EESH_SX_SI_SJ_SK_EUlSX_E1_NS1_11comp_targetILNS1_3genE8ELNS1_11target_archE1030ELNS1_3gpuE2ELNS1_3repE0EEENS1_36merge_oddeven_config_static_selectorELNS0_4arch9wavefront6targetE1EEEvSJ_
		.amdhsa_group_segment_fixed_size 0
		.amdhsa_private_segment_fixed_size 0
		.amdhsa_kernarg_size 48
		.amdhsa_user_sgpr_count 2
		.amdhsa_user_sgpr_dispatch_ptr 0
		.amdhsa_user_sgpr_queue_ptr 0
		.amdhsa_user_sgpr_kernarg_segment_ptr 1
		.amdhsa_user_sgpr_dispatch_id 0
		.amdhsa_user_sgpr_kernarg_preload_length 0
		.amdhsa_user_sgpr_kernarg_preload_offset 0
		.amdhsa_user_sgpr_private_segment_size 0
		.amdhsa_uses_dynamic_stack 0
		.amdhsa_enable_private_segment 0
		.amdhsa_system_sgpr_workgroup_id_x 1
		.amdhsa_system_sgpr_workgroup_id_y 0
		.amdhsa_system_sgpr_workgroup_id_z 0
		.amdhsa_system_sgpr_workgroup_info 0
		.amdhsa_system_vgpr_workitem_id 0
		.amdhsa_next_free_vgpr 1
		.amdhsa_next_free_sgpr 0
		.amdhsa_accum_offset 4
		.amdhsa_reserve_vcc 0
		.amdhsa_float_round_mode_32 0
		.amdhsa_float_round_mode_16_64 0
		.amdhsa_float_denorm_mode_32 3
		.amdhsa_float_denorm_mode_16_64 3
		.amdhsa_dx10_clamp 1
		.amdhsa_ieee_mode 1
		.amdhsa_fp16_overflow 0
		.amdhsa_tg_split 0
		.amdhsa_exception_fp_ieee_invalid_op 0
		.amdhsa_exception_fp_denorm_src 0
		.amdhsa_exception_fp_ieee_div_zero 0
		.amdhsa_exception_fp_ieee_overflow 0
		.amdhsa_exception_fp_ieee_underflow 0
		.amdhsa_exception_fp_ieee_inexact 0
		.amdhsa_exception_int_div_zero 0
	.end_amdhsa_kernel
	.section	.text._ZN7rocprim17ROCPRIM_400000_NS6detail17trampoline_kernelINS0_14default_configENS1_38merge_sort_block_merge_config_selectorIyyEEZZNS1_27merge_sort_block_merge_implIS3_N6thrust23THRUST_200600_302600_NS6detail15normal_iteratorINS8_10device_ptrIyEEEESD_jNS1_19radix_merge_compareILb0ELb0EyNS0_19identity_decomposerEEEEE10hipError_tT0_T1_T2_jT3_P12ihipStream_tbPNSt15iterator_traitsISI_E10value_typeEPNSO_ISJ_E10value_typeEPSK_NS1_7vsmem_tEENKUlT_SI_SJ_SK_E_clISD_PySD_S10_EESH_SX_SI_SJ_SK_EUlSX_E1_NS1_11comp_targetILNS1_3genE8ELNS1_11target_archE1030ELNS1_3gpuE2ELNS1_3repE0EEENS1_36merge_oddeven_config_static_selectorELNS0_4arch9wavefront6targetE1EEEvSJ_,"axG",@progbits,_ZN7rocprim17ROCPRIM_400000_NS6detail17trampoline_kernelINS0_14default_configENS1_38merge_sort_block_merge_config_selectorIyyEEZZNS1_27merge_sort_block_merge_implIS3_N6thrust23THRUST_200600_302600_NS6detail15normal_iteratorINS8_10device_ptrIyEEEESD_jNS1_19radix_merge_compareILb0ELb0EyNS0_19identity_decomposerEEEEE10hipError_tT0_T1_T2_jT3_P12ihipStream_tbPNSt15iterator_traitsISI_E10value_typeEPNSO_ISJ_E10value_typeEPSK_NS1_7vsmem_tEENKUlT_SI_SJ_SK_E_clISD_PySD_S10_EESH_SX_SI_SJ_SK_EUlSX_E1_NS1_11comp_targetILNS1_3genE8ELNS1_11target_archE1030ELNS1_3gpuE2ELNS1_3repE0EEENS1_36merge_oddeven_config_static_selectorELNS0_4arch9wavefront6targetE1EEEvSJ_,comdat
.Lfunc_end443:
	.size	_ZN7rocprim17ROCPRIM_400000_NS6detail17trampoline_kernelINS0_14default_configENS1_38merge_sort_block_merge_config_selectorIyyEEZZNS1_27merge_sort_block_merge_implIS3_N6thrust23THRUST_200600_302600_NS6detail15normal_iteratorINS8_10device_ptrIyEEEESD_jNS1_19radix_merge_compareILb0ELb0EyNS0_19identity_decomposerEEEEE10hipError_tT0_T1_T2_jT3_P12ihipStream_tbPNSt15iterator_traitsISI_E10value_typeEPNSO_ISJ_E10value_typeEPSK_NS1_7vsmem_tEENKUlT_SI_SJ_SK_E_clISD_PySD_S10_EESH_SX_SI_SJ_SK_EUlSX_E1_NS1_11comp_targetILNS1_3genE8ELNS1_11target_archE1030ELNS1_3gpuE2ELNS1_3repE0EEENS1_36merge_oddeven_config_static_selectorELNS0_4arch9wavefront6targetE1EEEvSJ_, .Lfunc_end443-_ZN7rocprim17ROCPRIM_400000_NS6detail17trampoline_kernelINS0_14default_configENS1_38merge_sort_block_merge_config_selectorIyyEEZZNS1_27merge_sort_block_merge_implIS3_N6thrust23THRUST_200600_302600_NS6detail15normal_iteratorINS8_10device_ptrIyEEEESD_jNS1_19radix_merge_compareILb0ELb0EyNS0_19identity_decomposerEEEEE10hipError_tT0_T1_T2_jT3_P12ihipStream_tbPNSt15iterator_traitsISI_E10value_typeEPNSO_ISJ_E10value_typeEPSK_NS1_7vsmem_tEENKUlT_SI_SJ_SK_E_clISD_PySD_S10_EESH_SX_SI_SJ_SK_EUlSX_E1_NS1_11comp_targetILNS1_3genE8ELNS1_11target_archE1030ELNS1_3gpuE2ELNS1_3repE0EEENS1_36merge_oddeven_config_static_selectorELNS0_4arch9wavefront6targetE1EEEvSJ_
                                        ; -- End function
	.set _ZN7rocprim17ROCPRIM_400000_NS6detail17trampoline_kernelINS0_14default_configENS1_38merge_sort_block_merge_config_selectorIyyEEZZNS1_27merge_sort_block_merge_implIS3_N6thrust23THRUST_200600_302600_NS6detail15normal_iteratorINS8_10device_ptrIyEEEESD_jNS1_19radix_merge_compareILb0ELb0EyNS0_19identity_decomposerEEEEE10hipError_tT0_T1_T2_jT3_P12ihipStream_tbPNSt15iterator_traitsISI_E10value_typeEPNSO_ISJ_E10value_typeEPSK_NS1_7vsmem_tEENKUlT_SI_SJ_SK_E_clISD_PySD_S10_EESH_SX_SI_SJ_SK_EUlSX_E1_NS1_11comp_targetILNS1_3genE8ELNS1_11target_archE1030ELNS1_3gpuE2ELNS1_3repE0EEENS1_36merge_oddeven_config_static_selectorELNS0_4arch9wavefront6targetE1EEEvSJ_.num_vgpr, 0
	.set _ZN7rocprim17ROCPRIM_400000_NS6detail17trampoline_kernelINS0_14default_configENS1_38merge_sort_block_merge_config_selectorIyyEEZZNS1_27merge_sort_block_merge_implIS3_N6thrust23THRUST_200600_302600_NS6detail15normal_iteratorINS8_10device_ptrIyEEEESD_jNS1_19radix_merge_compareILb0ELb0EyNS0_19identity_decomposerEEEEE10hipError_tT0_T1_T2_jT3_P12ihipStream_tbPNSt15iterator_traitsISI_E10value_typeEPNSO_ISJ_E10value_typeEPSK_NS1_7vsmem_tEENKUlT_SI_SJ_SK_E_clISD_PySD_S10_EESH_SX_SI_SJ_SK_EUlSX_E1_NS1_11comp_targetILNS1_3genE8ELNS1_11target_archE1030ELNS1_3gpuE2ELNS1_3repE0EEENS1_36merge_oddeven_config_static_selectorELNS0_4arch9wavefront6targetE1EEEvSJ_.num_agpr, 0
	.set _ZN7rocprim17ROCPRIM_400000_NS6detail17trampoline_kernelINS0_14default_configENS1_38merge_sort_block_merge_config_selectorIyyEEZZNS1_27merge_sort_block_merge_implIS3_N6thrust23THRUST_200600_302600_NS6detail15normal_iteratorINS8_10device_ptrIyEEEESD_jNS1_19radix_merge_compareILb0ELb0EyNS0_19identity_decomposerEEEEE10hipError_tT0_T1_T2_jT3_P12ihipStream_tbPNSt15iterator_traitsISI_E10value_typeEPNSO_ISJ_E10value_typeEPSK_NS1_7vsmem_tEENKUlT_SI_SJ_SK_E_clISD_PySD_S10_EESH_SX_SI_SJ_SK_EUlSX_E1_NS1_11comp_targetILNS1_3genE8ELNS1_11target_archE1030ELNS1_3gpuE2ELNS1_3repE0EEENS1_36merge_oddeven_config_static_selectorELNS0_4arch9wavefront6targetE1EEEvSJ_.numbered_sgpr, 0
	.set _ZN7rocprim17ROCPRIM_400000_NS6detail17trampoline_kernelINS0_14default_configENS1_38merge_sort_block_merge_config_selectorIyyEEZZNS1_27merge_sort_block_merge_implIS3_N6thrust23THRUST_200600_302600_NS6detail15normal_iteratorINS8_10device_ptrIyEEEESD_jNS1_19radix_merge_compareILb0ELb0EyNS0_19identity_decomposerEEEEE10hipError_tT0_T1_T2_jT3_P12ihipStream_tbPNSt15iterator_traitsISI_E10value_typeEPNSO_ISJ_E10value_typeEPSK_NS1_7vsmem_tEENKUlT_SI_SJ_SK_E_clISD_PySD_S10_EESH_SX_SI_SJ_SK_EUlSX_E1_NS1_11comp_targetILNS1_3genE8ELNS1_11target_archE1030ELNS1_3gpuE2ELNS1_3repE0EEENS1_36merge_oddeven_config_static_selectorELNS0_4arch9wavefront6targetE1EEEvSJ_.num_named_barrier, 0
	.set _ZN7rocprim17ROCPRIM_400000_NS6detail17trampoline_kernelINS0_14default_configENS1_38merge_sort_block_merge_config_selectorIyyEEZZNS1_27merge_sort_block_merge_implIS3_N6thrust23THRUST_200600_302600_NS6detail15normal_iteratorINS8_10device_ptrIyEEEESD_jNS1_19radix_merge_compareILb0ELb0EyNS0_19identity_decomposerEEEEE10hipError_tT0_T1_T2_jT3_P12ihipStream_tbPNSt15iterator_traitsISI_E10value_typeEPNSO_ISJ_E10value_typeEPSK_NS1_7vsmem_tEENKUlT_SI_SJ_SK_E_clISD_PySD_S10_EESH_SX_SI_SJ_SK_EUlSX_E1_NS1_11comp_targetILNS1_3genE8ELNS1_11target_archE1030ELNS1_3gpuE2ELNS1_3repE0EEENS1_36merge_oddeven_config_static_selectorELNS0_4arch9wavefront6targetE1EEEvSJ_.private_seg_size, 0
	.set _ZN7rocprim17ROCPRIM_400000_NS6detail17trampoline_kernelINS0_14default_configENS1_38merge_sort_block_merge_config_selectorIyyEEZZNS1_27merge_sort_block_merge_implIS3_N6thrust23THRUST_200600_302600_NS6detail15normal_iteratorINS8_10device_ptrIyEEEESD_jNS1_19radix_merge_compareILb0ELb0EyNS0_19identity_decomposerEEEEE10hipError_tT0_T1_T2_jT3_P12ihipStream_tbPNSt15iterator_traitsISI_E10value_typeEPNSO_ISJ_E10value_typeEPSK_NS1_7vsmem_tEENKUlT_SI_SJ_SK_E_clISD_PySD_S10_EESH_SX_SI_SJ_SK_EUlSX_E1_NS1_11comp_targetILNS1_3genE8ELNS1_11target_archE1030ELNS1_3gpuE2ELNS1_3repE0EEENS1_36merge_oddeven_config_static_selectorELNS0_4arch9wavefront6targetE1EEEvSJ_.uses_vcc, 0
	.set _ZN7rocprim17ROCPRIM_400000_NS6detail17trampoline_kernelINS0_14default_configENS1_38merge_sort_block_merge_config_selectorIyyEEZZNS1_27merge_sort_block_merge_implIS3_N6thrust23THRUST_200600_302600_NS6detail15normal_iteratorINS8_10device_ptrIyEEEESD_jNS1_19radix_merge_compareILb0ELb0EyNS0_19identity_decomposerEEEEE10hipError_tT0_T1_T2_jT3_P12ihipStream_tbPNSt15iterator_traitsISI_E10value_typeEPNSO_ISJ_E10value_typeEPSK_NS1_7vsmem_tEENKUlT_SI_SJ_SK_E_clISD_PySD_S10_EESH_SX_SI_SJ_SK_EUlSX_E1_NS1_11comp_targetILNS1_3genE8ELNS1_11target_archE1030ELNS1_3gpuE2ELNS1_3repE0EEENS1_36merge_oddeven_config_static_selectorELNS0_4arch9wavefront6targetE1EEEvSJ_.uses_flat_scratch, 0
	.set _ZN7rocprim17ROCPRIM_400000_NS6detail17trampoline_kernelINS0_14default_configENS1_38merge_sort_block_merge_config_selectorIyyEEZZNS1_27merge_sort_block_merge_implIS3_N6thrust23THRUST_200600_302600_NS6detail15normal_iteratorINS8_10device_ptrIyEEEESD_jNS1_19radix_merge_compareILb0ELb0EyNS0_19identity_decomposerEEEEE10hipError_tT0_T1_T2_jT3_P12ihipStream_tbPNSt15iterator_traitsISI_E10value_typeEPNSO_ISJ_E10value_typeEPSK_NS1_7vsmem_tEENKUlT_SI_SJ_SK_E_clISD_PySD_S10_EESH_SX_SI_SJ_SK_EUlSX_E1_NS1_11comp_targetILNS1_3genE8ELNS1_11target_archE1030ELNS1_3gpuE2ELNS1_3repE0EEENS1_36merge_oddeven_config_static_selectorELNS0_4arch9wavefront6targetE1EEEvSJ_.has_dyn_sized_stack, 0
	.set _ZN7rocprim17ROCPRIM_400000_NS6detail17trampoline_kernelINS0_14default_configENS1_38merge_sort_block_merge_config_selectorIyyEEZZNS1_27merge_sort_block_merge_implIS3_N6thrust23THRUST_200600_302600_NS6detail15normal_iteratorINS8_10device_ptrIyEEEESD_jNS1_19radix_merge_compareILb0ELb0EyNS0_19identity_decomposerEEEEE10hipError_tT0_T1_T2_jT3_P12ihipStream_tbPNSt15iterator_traitsISI_E10value_typeEPNSO_ISJ_E10value_typeEPSK_NS1_7vsmem_tEENKUlT_SI_SJ_SK_E_clISD_PySD_S10_EESH_SX_SI_SJ_SK_EUlSX_E1_NS1_11comp_targetILNS1_3genE8ELNS1_11target_archE1030ELNS1_3gpuE2ELNS1_3repE0EEENS1_36merge_oddeven_config_static_selectorELNS0_4arch9wavefront6targetE1EEEvSJ_.has_recursion, 0
	.set _ZN7rocprim17ROCPRIM_400000_NS6detail17trampoline_kernelINS0_14default_configENS1_38merge_sort_block_merge_config_selectorIyyEEZZNS1_27merge_sort_block_merge_implIS3_N6thrust23THRUST_200600_302600_NS6detail15normal_iteratorINS8_10device_ptrIyEEEESD_jNS1_19radix_merge_compareILb0ELb0EyNS0_19identity_decomposerEEEEE10hipError_tT0_T1_T2_jT3_P12ihipStream_tbPNSt15iterator_traitsISI_E10value_typeEPNSO_ISJ_E10value_typeEPSK_NS1_7vsmem_tEENKUlT_SI_SJ_SK_E_clISD_PySD_S10_EESH_SX_SI_SJ_SK_EUlSX_E1_NS1_11comp_targetILNS1_3genE8ELNS1_11target_archE1030ELNS1_3gpuE2ELNS1_3repE0EEENS1_36merge_oddeven_config_static_selectorELNS0_4arch9wavefront6targetE1EEEvSJ_.has_indirect_call, 0
	.section	.AMDGPU.csdata,"",@progbits
; Kernel info:
; codeLenInByte = 0
; TotalNumSgprs: 6
; NumVgprs: 0
; NumAgprs: 0
; TotalNumVgprs: 0
; ScratchSize: 0
; MemoryBound: 0
; FloatMode: 240
; IeeeMode: 1
; LDSByteSize: 0 bytes/workgroup (compile time only)
; SGPRBlocks: 0
; VGPRBlocks: 0
; NumSGPRsForWavesPerEU: 6
; NumVGPRsForWavesPerEU: 1
; AccumOffset: 4
; Occupancy: 8
; WaveLimiterHint : 0
; COMPUTE_PGM_RSRC2:SCRATCH_EN: 0
; COMPUTE_PGM_RSRC2:USER_SGPR: 2
; COMPUTE_PGM_RSRC2:TRAP_HANDLER: 0
; COMPUTE_PGM_RSRC2:TGID_X_EN: 1
; COMPUTE_PGM_RSRC2:TGID_Y_EN: 0
; COMPUTE_PGM_RSRC2:TGID_Z_EN: 0
; COMPUTE_PGM_RSRC2:TIDIG_COMP_CNT: 0
; COMPUTE_PGM_RSRC3_GFX90A:ACCUM_OFFSET: 0
; COMPUTE_PGM_RSRC3_GFX90A:TG_SPLIT: 0
	.section	.text._ZN7rocprim17ROCPRIM_400000_NS6detail17trampoline_kernelINS0_14default_configENS1_25transform_config_selectorIyLb0EEEZNS1_14transform_implILb0ES3_S5_PyN6thrust23THRUST_200600_302600_NS6detail15normal_iteratorINS9_10device_ptrIyEEEENS0_8identityIyEEEE10hipError_tT2_T3_mT4_P12ihipStream_tbEUlT_E_NS1_11comp_targetILNS1_3genE0ELNS1_11target_archE4294967295ELNS1_3gpuE0ELNS1_3repE0EEENS1_30default_config_static_selectorELNS0_4arch9wavefront6targetE1EEEvT1_,"axG",@progbits,_ZN7rocprim17ROCPRIM_400000_NS6detail17trampoline_kernelINS0_14default_configENS1_25transform_config_selectorIyLb0EEEZNS1_14transform_implILb0ES3_S5_PyN6thrust23THRUST_200600_302600_NS6detail15normal_iteratorINS9_10device_ptrIyEEEENS0_8identityIyEEEE10hipError_tT2_T3_mT4_P12ihipStream_tbEUlT_E_NS1_11comp_targetILNS1_3genE0ELNS1_11target_archE4294967295ELNS1_3gpuE0ELNS1_3repE0EEENS1_30default_config_static_selectorELNS0_4arch9wavefront6targetE1EEEvT1_,comdat
	.protected	_ZN7rocprim17ROCPRIM_400000_NS6detail17trampoline_kernelINS0_14default_configENS1_25transform_config_selectorIyLb0EEEZNS1_14transform_implILb0ES3_S5_PyN6thrust23THRUST_200600_302600_NS6detail15normal_iteratorINS9_10device_ptrIyEEEENS0_8identityIyEEEE10hipError_tT2_T3_mT4_P12ihipStream_tbEUlT_E_NS1_11comp_targetILNS1_3genE0ELNS1_11target_archE4294967295ELNS1_3gpuE0ELNS1_3repE0EEENS1_30default_config_static_selectorELNS0_4arch9wavefront6targetE1EEEvT1_ ; -- Begin function _ZN7rocprim17ROCPRIM_400000_NS6detail17trampoline_kernelINS0_14default_configENS1_25transform_config_selectorIyLb0EEEZNS1_14transform_implILb0ES3_S5_PyN6thrust23THRUST_200600_302600_NS6detail15normal_iteratorINS9_10device_ptrIyEEEENS0_8identityIyEEEE10hipError_tT2_T3_mT4_P12ihipStream_tbEUlT_E_NS1_11comp_targetILNS1_3genE0ELNS1_11target_archE4294967295ELNS1_3gpuE0ELNS1_3repE0EEENS1_30default_config_static_selectorELNS0_4arch9wavefront6targetE1EEEvT1_
	.globl	_ZN7rocprim17ROCPRIM_400000_NS6detail17trampoline_kernelINS0_14default_configENS1_25transform_config_selectorIyLb0EEEZNS1_14transform_implILb0ES3_S5_PyN6thrust23THRUST_200600_302600_NS6detail15normal_iteratorINS9_10device_ptrIyEEEENS0_8identityIyEEEE10hipError_tT2_T3_mT4_P12ihipStream_tbEUlT_E_NS1_11comp_targetILNS1_3genE0ELNS1_11target_archE4294967295ELNS1_3gpuE0ELNS1_3repE0EEENS1_30default_config_static_selectorELNS0_4arch9wavefront6targetE1EEEvT1_
	.p2align	8
	.type	_ZN7rocprim17ROCPRIM_400000_NS6detail17trampoline_kernelINS0_14default_configENS1_25transform_config_selectorIyLb0EEEZNS1_14transform_implILb0ES3_S5_PyN6thrust23THRUST_200600_302600_NS6detail15normal_iteratorINS9_10device_ptrIyEEEENS0_8identityIyEEEE10hipError_tT2_T3_mT4_P12ihipStream_tbEUlT_E_NS1_11comp_targetILNS1_3genE0ELNS1_11target_archE4294967295ELNS1_3gpuE0ELNS1_3repE0EEENS1_30default_config_static_selectorELNS0_4arch9wavefront6targetE1EEEvT1_,@function
_ZN7rocprim17ROCPRIM_400000_NS6detail17trampoline_kernelINS0_14default_configENS1_25transform_config_selectorIyLb0EEEZNS1_14transform_implILb0ES3_S5_PyN6thrust23THRUST_200600_302600_NS6detail15normal_iteratorINS9_10device_ptrIyEEEENS0_8identityIyEEEE10hipError_tT2_T3_mT4_P12ihipStream_tbEUlT_E_NS1_11comp_targetILNS1_3genE0ELNS1_11target_archE4294967295ELNS1_3gpuE0ELNS1_3repE0EEENS1_30default_config_static_selectorELNS0_4arch9wavefront6targetE1EEEvT1_: ; @_ZN7rocprim17ROCPRIM_400000_NS6detail17trampoline_kernelINS0_14default_configENS1_25transform_config_selectorIyLb0EEEZNS1_14transform_implILb0ES3_S5_PyN6thrust23THRUST_200600_302600_NS6detail15normal_iteratorINS9_10device_ptrIyEEEENS0_8identityIyEEEE10hipError_tT2_T3_mT4_P12ihipStream_tbEUlT_E_NS1_11comp_targetILNS1_3genE0ELNS1_11target_archE4294967295ELNS1_3gpuE0ELNS1_3repE0EEENS1_30default_config_static_selectorELNS0_4arch9wavefront6targetE1EEEvT1_
; %bb.0:
	s_load_dword s3, s[0:1], 0x28
	s_load_dword s5, s[0:1], 0x10
	s_lshl_b32 s4, s2, 7
	s_waitcnt lgkmcnt(0)
	s_add_i32 s3, s3, -1
	s_cmp_lg_u32 s2, s3
	s_cselect_b64 s[2:3], -1, 0
	s_sub_i32 s5, s5, s4
	v_cmp_gt_u32_e32 vcc, s5, v0
	s_or_b64 s[2:3], vcc, s[2:3]
	s_and_saveexec_b64 s[6:7], s[2:3]
	s_cbranch_execz .LBB444_2
; %bb.1:
	s_load_dwordx4 s[8:11], s[0:1], 0x0
	s_load_dwordx2 s[2:3], s[0:1], 0x18
	s_mov_b32 s5, 0
	v_lshlrev_b32_e32 v0, 3, v0
	v_mov_b32_e32 v1, 0
	s_waitcnt lgkmcnt(0)
	s_lshl_b64 s[0:1], s[10:11], 3
	s_add_u32 s6, s8, s0
	s_addc_u32 s7, s9, s1
	s_lshl_b64 s[4:5], s[4:5], 3
	s_add_u32 s6, s6, s4
	s_addc_u32 s7, s7, s5
	global_load_dwordx2 v[2:3], v0, s[6:7]
	s_add_u32 s0, s2, s0
	s_addc_u32 s1, s3, s1
	s_add_u32 s0, s0, s4
	s_addc_u32 s1, s1, s5
	v_lshl_add_u64 v[0:1], s[0:1], 0, v[0:1]
	s_waitcnt vmcnt(0)
	flat_store_dwordx2 v[0:1], v[2:3]
.LBB444_2:
	s_endpgm
	.section	.rodata,"a",@progbits
	.p2align	6, 0x0
	.amdhsa_kernel _ZN7rocprim17ROCPRIM_400000_NS6detail17trampoline_kernelINS0_14default_configENS1_25transform_config_selectorIyLb0EEEZNS1_14transform_implILb0ES3_S5_PyN6thrust23THRUST_200600_302600_NS6detail15normal_iteratorINS9_10device_ptrIyEEEENS0_8identityIyEEEE10hipError_tT2_T3_mT4_P12ihipStream_tbEUlT_E_NS1_11comp_targetILNS1_3genE0ELNS1_11target_archE4294967295ELNS1_3gpuE0ELNS1_3repE0EEENS1_30default_config_static_selectorELNS0_4arch9wavefront6targetE1EEEvT1_
		.amdhsa_group_segment_fixed_size 0
		.amdhsa_private_segment_fixed_size 0
		.amdhsa_kernarg_size 296
		.amdhsa_user_sgpr_count 2
		.amdhsa_user_sgpr_dispatch_ptr 0
		.amdhsa_user_sgpr_queue_ptr 0
		.amdhsa_user_sgpr_kernarg_segment_ptr 1
		.amdhsa_user_sgpr_dispatch_id 0
		.amdhsa_user_sgpr_kernarg_preload_length 0
		.amdhsa_user_sgpr_kernarg_preload_offset 0
		.amdhsa_user_sgpr_private_segment_size 0
		.amdhsa_uses_dynamic_stack 0
		.amdhsa_enable_private_segment 0
		.amdhsa_system_sgpr_workgroup_id_x 1
		.amdhsa_system_sgpr_workgroup_id_y 0
		.amdhsa_system_sgpr_workgroup_id_z 0
		.amdhsa_system_sgpr_workgroup_info 0
		.amdhsa_system_vgpr_workitem_id 0
		.amdhsa_next_free_vgpr 4
		.amdhsa_next_free_sgpr 12
		.amdhsa_accum_offset 4
		.amdhsa_reserve_vcc 1
		.amdhsa_float_round_mode_32 0
		.amdhsa_float_round_mode_16_64 0
		.amdhsa_float_denorm_mode_32 3
		.amdhsa_float_denorm_mode_16_64 3
		.amdhsa_dx10_clamp 1
		.amdhsa_ieee_mode 1
		.amdhsa_fp16_overflow 0
		.amdhsa_tg_split 0
		.amdhsa_exception_fp_ieee_invalid_op 0
		.amdhsa_exception_fp_denorm_src 0
		.amdhsa_exception_fp_ieee_div_zero 0
		.amdhsa_exception_fp_ieee_overflow 0
		.amdhsa_exception_fp_ieee_underflow 0
		.amdhsa_exception_fp_ieee_inexact 0
		.amdhsa_exception_int_div_zero 0
	.end_amdhsa_kernel
	.section	.text._ZN7rocprim17ROCPRIM_400000_NS6detail17trampoline_kernelINS0_14default_configENS1_25transform_config_selectorIyLb0EEEZNS1_14transform_implILb0ES3_S5_PyN6thrust23THRUST_200600_302600_NS6detail15normal_iteratorINS9_10device_ptrIyEEEENS0_8identityIyEEEE10hipError_tT2_T3_mT4_P12ihipStream_tbEUlT_E_NS1_11comp_targetILNS1_3genE0ELNS1_11target_archE4294967295ELNS1_3gpuE0ELNS1_3repE0EEENS1_30default_config_static_selectorELNS0_4arch9wavefront6targetE1EEEvT1_,"axG",@progbits,_ZN7rocprim17ROCPRIM_400000_NS6detail17trampoline_kernelINS0_14default_configENS1_25transform_config_selectorIyLb0EEEZNS1_14transform_implILb0ES3_S5_PyN6thrust23THRUST_200600_302600_NS6detail15normal_iteratorINS9_10device_ptrIyEEEENS0_8identityIyEEEE10hipError_tT2_T3_mT4_P12ihipStream_tbEUlT_E_NS1_11comp_targetILNS1_3genE0ELNS1_11target_archE4294967295ELNS1_3gpuE0ELNS1_3repE0EEENS1_30default_config_static_selectorELNS0_4arch9wavefront6targetE1EEEvT1_,comdat
.Lfunc_end444:
	.size	_ZN7rocprim17ROCPRIM_400000_NS6detail17trampoline_kernelINS0_14default_configENS1_25transform_config_selectorIyLb0EEEZNS1_14transform_implILb0ES3_S5_PyN6thrust23THRUST_200600_302600_NS6detail15normal_iteratorINS9_10device_ptrIyEEEENS0_8identityIyEEEE10hipError_tT2_T3_mT4_P12ihipStream_tbEUlT_E_NS1_11comp_targetILNS1_3genE0ELNS1_11target_archE4294967295ELNS1_3gpuE0ELNS1_3repE0EEENS1_30default_config_static_selectorELNS0_4arch9wavefront6targetE1EEEvT1_, .Lfunc_end444-_ZN7rocprim17ROCPRIM_400000_NS6detail17trampoline_kernelINS0_14default_configENS1_25transform_config_selectorIyLb0EEEZNS1_14transform_implILb0ES3_S5_PyN6thrust23THRUST_200600_302600_NS6detail15normal_iteratorINS9_10device_ptrIyEEEENS0_8identityIyEEEE10hipError_tT2_T3_mT4_P12ihipStream_tbEUlT_E_NS1_11comp_targetILNS1_3genE0ELNS1_11target_archE4294967295ELNS1_3gpuE0ELNS1_3repE0EEENS1_30default_config_static_selectorELNS0_4arch9wavefront6targetE1EEEvT1_
                                        ; -- End function
	.set _ZN7rocprim17ROCPRIM_400000_NS6detail17trampoline_kernelINS0_14default_configENS1_25transform_config_selectorIyLb0EEEZNS1_14transform_implILb0ES3_S5_PyN6thrust23THRUST_200600_302600_NS6detail15normal_iteratorINS9_10device_ptrIyEEEENS0_8identityIyEEEE10hipError_tT2_T3_mT4_P12ihipStream_tbEUlT_E_NS1_11comp_targetILNS1_3genE0ELNS1_11target_archE4294967295ELNS1_3gpuE0ELNS1_3repE0EEENS1_30default_config_static_selectorELNS0_4arch9wavefront6targetE1EEEvT1_.num_vgpr, 4
	.set _ZN7rocprim17ROCPRIM_400000_NS6detail17trampoline_kernelINS0_14default_configENS1_25transform_config_selectorIyLb0EEEZNS1_14transform_implILb0ES3_S5_PyN6thrust23THRUST_200600_302600_NS6detail15normal_iteratorINS9_10device_ptrIyEEEENS0_8identityIyEEEE10hipError_tT2_T3_mT4_P12ihipStream_tbEUlT_E_NS1_11comp_targetILNS1_3genE0ELNS1_11target_archE4294967295ELNS1_3gpuE0ELNS1_3repE0EEENS1_30default_config_static_selectorELNS0_4arch9wavefront6targetE1EEEvT1_.num_agpr, 0
	.set _ZN7rocprim17ROCPRIM_400000_NS6detail17trampoline_kernelINS0_14default_configENS1_25transform_config_selectorIyLb0EEEZNS1_14transform_implILb0ES3_S5_PyN6thrust23THRUST_200600_302600_NS6detail15normal_iteratorINS9_10device_ptrIyEEEENS0_8identityIyEEEE10hipError_tT2_T3_mT4_P12ihipStream_tbEUlT_E_NS1_11comp_targetILNS1_3genE0ELNS1_11target_archE4294967295ELNS1_3gpuE0ELNS1_3repE0EEENS1_30default_config_static_selectorELNS0_4arch9wavefront6targetE1EEEvT1_.numbered_sgpr, 12
	.set _ZN7rocprim17ROCPRIM_400000_NS6detail17trampoline_kernelINS0_14default_configENS1_25transform_config_selectorIyLb0EEEZNS1_14transform_implILb0ES3_S5_PyN6thrust23THRUST_200600_302600_NS6detail15normal_iteratorINS9_10device_ptrIyEEEENS0_8identityIyEEEE10hipError_tT2_T3_mT4_P12ihipStream_tbEUlT_E_NS1_11comp_targetILNS1_3genE0ELNS1_11target_archE4294967295ELNS1_3gpuE0ELNS1_3repE0EEENS1_30default_config_static_selectorELNS0_4arch9wavefront6targetE1EEEvT1_.num_named_barrier, 0
	.set _ZN7rocprim17ROCPRIM_400000_NS6detail17trampoline_kernelINS0_14default_configENS1_25transform_config_selectorIyLb0EEEZNS1_14transform_implILb0ES3_S5_PyN6thrust23THRUST_200600_302600_NS6detail15normal_iteratorINS9_10device_ptrIyEEEENS0_8identityIyEEEE10hipError_tT2_T3_mT4_P12ihipStream_tbEUlT_E_NS1_11comp_targetILNS1_3genE0ELNS1_11target_archE4294967295ELNS1_3gpuE0ELNS1_3repE0EEENS1_30default_config_static_selectorELNS0_4arch9wavefront6targetE1EEEvT1_.private_seg_size, 0
	.set _ZN7rocprim17ROCPRIM_400000_NS6detail17trampoline_kernelINS0_14default_configENS1_25transform_config_selectorIyLb0EEEZNS1_14transform_implILb0ES3_S5_PyN6thrust23THRUST_200600_302600_NS6detail15normal_iteratorINS9_10device_ptrIyEEEENS0_8identityIyEEEE10hipError_tT2_T3_mT4_P12ihipStream_tbEUlT_E_NS1_11comp_targetILNS1_3genE0ELNS1_11target_archE4294967295ELNS1_3gpuE0ELNS1_3repE0EEENS1_30default_config_static_selectorELNS0_4arch9wavefront6targetE1EEEvT1_.uses_vcc, 1
	.set _ZN7rocprim17ROCPRIM_400000_NS6detail17trampoline_kernelINS0_14default_configENS1_25transform_config_selectorIyLb0EEEZNS1_14transform_implILb0ES3_S5_PyN6thrust23THRUST_200600_302600_NS6detail15normal_iteratorINS9_10device_ptrIyEEEENS0_8identityIyEEEE10hipError_tT2_T3_mT4_P12ihipStream_tbEUlT_E_NS1_11comp_targetILNS1_3genE0ELNS1_11target_archE4294967295ELNS1_3gpuE0ELNS1_3repE0EEENS1_30default_config_static_selectorELNS0_4arch9wavefront6targetE1EEEvT1_.uses_flat_scratch, 0
	.set _ZN7rocprim17ROCPRIM_400000_NS6detail17trampoline_kernelINS0_14default_configENS1_25transform_config_selectorIyLb0EEEZNS1_14transform_implILb0ES3_S5_PyN6thrust23THRUST_200600_302600_NS6detail15normal_iteratorINS9_10device_ptrIyEEEENS0_8identityIyEEEE10hipError_tT2_T3_mT4_P12ihipStream_tbEUlT_E_NS1_11comp_targetILNS1_3genE0ELNS1_11target_archE4294967295ELNS1_3gpuE0ELNS1_3repE0EEENS1_30default_config_static_selectorELNS0_4arch9wavefront6targetE1EEEvT1_.has_dyn_sized_stack, 0
	.set _ZN7rocprim17ROCPRIM_400000_NS6detail17trampoline_kernelINS0_14default_configENS1_25transform_config_selectorIyLb0EEEZNS1_14transform_implILb0ES3_S5_PyN6thrust23THRUST_200600_302600_NS6detail15normal_iteratorINS9_10device_ptrIyEEEENS0_8identityIyEEEE10hipError_tT2_T3_mT4_P12ihipStream_tbEUlT_E_NS1_11comp_targetILNS1_3genE0ELNS1_11target_archE4294967295ELNS1_3gpuE0ELNS1_3repE0EEENS1_30default_config_static_selectorELNS0_4arch9wavefront6targetE1EEEvT1_.has_recursion, 0
	.set _ZN7rocprim17ROCPRIM_400000_NS6detail17trampoline_kernelINS0_14default_configENS1_25transform_config_selectorIyLb0EEEZNS1_14transform_implILb0ES3_S5_PyN6thrust23THRUST_200600_302600_NS6detail15normal_iteratorINS9_10device_ptrIyEEEENS0_8identityIyEEEE10hipError_tT2_T3_mT4_P12ihipStream_tbEUlT_E_NS1_11comp_targetILNS1_3genE0ELNS1_11target_archE4294967295ELNS1_3gpuE0ELNS1_3repE0EEENS1_30default_config_static_selectorELNS0_4arch9wavefront6targetE1EEEvT1_.has_indirect_call, 0
	.section	.AMDGPU.csdata,"",@progbits
; Kernel info:
; codeLenInByte = 160
; TotalNumSgprs: 18
; NumVgprs: 4
; NumAgprs: 0
; TotalNumVgprs: 4
; ScratchSize: 0
; MemoryBound: 0
; FloatMode: 240
; IeeeMode: 1
; LDSByteSize: 0 bytes/workgroup (compile time only)
; SGPRBlocks: 2
; VGPRBlocks: 0
; NumSGPRsForWavesPerEU: 18
; NumVGPRsForWavesPerEU: 4
; AccumOffset: 4
; Occupancy: 8
; WaveLimiterHint : 0
; COMPUTE_PGM_RSRC2:SCRATCH_EN: 0
; COMPUTE_PGM_RSRC2:USER_SGPR: 2
; COMPUTE_PGM_RSRC2:TRAP_HANDLER: 0
; COMPUTE_PGM_RSRC2:TGID_X_EN: 1
; COMPUTE_PGM_RSRC2:TGID_Y_EN: 0
; COMPUTE_PGM_RSRC2:TGID_Z_EN: 0
; COMPUTE_PGM_RSRC2:TIDIG_COMP_CNT: 0
; COMPUTE_PGM_RSRC3_GFX90A:ACCUM_OFFSET: 0
; COMPUTE_PGM_RSRC3_GFX90A:TG_SPLIT: 0
	.section	.text._ZN7rocprim17ROCPRIM_400000_NS6detail17trampoline_kernelINS0_14default_configENS1_25transform_config_selectorIyLb0EEEZNS1_14transform_implILb0ES3_S5_PyN6thrust23THRUST_200600_302600_NS6detail15normal_iteratorINS9_10device_ptrIyEEEENS0_8identityIyEEEE10hipError_tT2_T3_mT4_P12ihipStream_tbEUlT_E_NS1_11comp_targetILNS1_3genE5ELNS1_11target_archE942ELNS1_3gpuE9ELNS1_3repE0EEENS1_30default_config_static_selectorELNS0_4arch9wavefront6targetE1EEEvT1_,"axG",@progbits,_ZN7rocprim17ROCPRIM_400000_NS6detail17trampoline_kernelINS0_14default_configENS1_25transform_config_selectorIyLb0EEEZNS1_14transform_implILb0ES3_S5_PyN6thrust23THRUST_200600_302600_NS6detail15normal_iteratorINS9_10device_ptrIyEEEENS0_8identityIyEEEE10hipError_tT2_T3_mT4_P12ihipStream_tbEUlT_E_NS1_11comp_targetILNS1_3genE5ELNS1_11target_archE942ELNS1_3gpuE9ELNS1_3repE0EEENS1_30default_config_static_selectorELNS0_4arch9wavefront6targetE1EEEvT1_,comdat
	.protected	_ZN7rocprim17ROCPRIM_400000_NS6detail17trampoline_kernelINS0_14default_configENS1_25transform_config_selectorIyLb0EEEZNS1_14transform_implILb0ES3_S5_PyN6thrust23THRUST_200600_302600_NS6detail15normal_iteratorINS9_10device_ptrIyEEEENS0_8identityIyEEEE10hipError_tT2_T3_mT4_P12ihipStream_tbEUlT_E_NS1_11comp_targetILNS1_3genE5ELNS1_11target_archE942ELNS1_3gpuE9ELNS1_3repE0EEENS1_30default_config_static_selectorELNS0_4arch9wavefront6targetE1EEEvT1_ ; -- Begin function _ZN7rocprim17ROCPRIM_400000_NS6detail17trampoline_kernelINS0_14default_configENS1_25transform_config_selectorIyLb0EEEZNS1_14transform_implILb0ES3_S5_PyN6thrust23THRUST_200600_302600_NS6detail15normal_iteratorINS9_10device_ptrIyEEEENS0_8identityIyEEEE10hipError_tT2_T3_mT4_P12ihipStream_tbEUlT_E_NS1_11comp_targetILNS1_3genE5ELNS1_11target_archE942ELNS1_3gpuE9ELNS1_3repE0EEENS1_30default_config_static_selectorELNS0_4arch9wavefront6targetE1EEEvT1_
	.globl	_ZN7rocprim17ROCPRIM_400000_NS6detail17trampoline_kernelINS0_14default_configENS1_25transform_config_selectorIyLb0EEEZNS1_14transform_implILb0ES3_S5_PyN6thrust23THRUST_200600_302600_NS6detail15normal_iteratorINS9_10device_ptrIyEEEENS0_8identityIyEEEE10hipError_tT2_T3_mT4_P12ihipStream_tbEUlT_E_NS1_11comp_targetILNS1_3genE5ELNS1_11target_archE942ELNS1_3gpuE9ELNS1_3repE0EEENS1_30default_config_static_selectorELNS0_4arch9wavefront6targetE1EEEvT1_
	.p2align	8
	.type	_ZN7rocprim17ROCPRIM_400000_NS6detail17trampoline_kernelINS0_14default_configENS1_25transform_config_selectorIyLb0EEEZNS1_14transform_implILb0ES3_S5_PyN6thrust23THRUST_200600_302600_NS6detail15normal_iteratorINS9_10device_ptrIyEEEENS0_8identityIyEEEE10hipError_tT2_T3_mT4_P12ihipStream_tbEUlT_E_NS1_11comp_targetILNS1_3genE5ELNS1_11target_archE942ELNS1_3gpuE9ELNS1_3repE0EEENS1_30default_config_static_selectorELNS0_4arch9wavefront6targetE1EEEvT1_,@function
_ZN7rocprim17ROCPRIM_400000_NS6detail17trampoline_kernelINS0_14default_configENS1_25transform_config_selectorIyLb0EEEZNS1_14transform_implILb0ES3_S5_PyN6thrust23THRUST_200600_302600_NS6detail15normal_iteratorINS9_10device_ptrIyEEEENS0_8identityIyEEEE10hipError_tT2_T3_mT4_P12ihipStream_tbEUlT_E_NS1_11comp_targetILNS1_3genE5ELNS1_11target_archE942ELNS1_3gpuE9ELNS1_3repE0EEENS1_30default_config_static_selectorELNS0_4arch9wavefront6targetE1EEEvT1_: ; @_ZN7rocprim17ROCPRIM_400000_NS6detail17trampoline_kernelINS0_14default_configENS1_25transform_config_selectorIyLb0EEEZNS1_14transform_implILb0ES3_S5_PyN6thrust23THRUST_200600_302600_NS6detail15normal_iteratorINS9_10device_ptrIyEEEENS0_8identityIyEEEE10hipError_tT2_T3_mT4_P12ihipStream_tbEUlT_E_NS1_11comp_targetILNS1_3genE5ELNS1_11target_archE942ELNS1_3gpuE9ELNS1_3repE0EEENS1_30default_config_static_selectorELNS0_4arch9wavefront6targetE1EEEvT1_
; %bb.0:
	.section	.rodata,"a",@progbits
	.p2align	6, 0x0
	.amdhsa_kernel _ZN7rocprim17ROCPRIM_400000_NS6detail17trampoline_kernelINS0_14default_configENS1_25transform_config_selectorIyLb0EEEZNS1_14transform_implILb0ES3_S5_PyN6thrust23THRUST_200600_302600_NS6detail15normal_iteratorINS9_10device_ptrIyEEEENS0_8identityIyEEEE10hipError_tT2_T3_mT4_P12ihipStream_tbEUlT_E_NS1_11comp_targetILNS1_3genE5ELNS1_11target_archE942ELNS1_3gpuE9ELNS1_3repE0EEENS1_30default_config_static_selectorELNS0_4arch9wavefront6targetE1EEEvT1_
		.amdhsa_group_segment_fixed_size 0
		.amdhsa_private_segment_fixed_size 0
		.amdhsa_kernarg_size 40
		.amdhsa_user_sgpr_count 2
		.amdhsa_user_sgpr_dispatch_ptr 0
		.amdhsa_user_sgpr_queue_ptr 0
		.amdhsa_user_sgpr_kernarg_segment_ptr 1
		.amdhsa_user_sgpr_dispatch_id 0
		.amdhsa_user_sgpr_kernarg_preload_length 0
		.amdhsa_user_sgpr_kernarg_preload_offset 0
		.amdhsa_user_sgpr_private_segment_size 0
		.amdhsa_uses_dynamic_stack 0
		.amdhsa_enable_private_segment 0
		.amdhsa_system_sgpr_workgroup_id_x 1
		.amdhsa_system_sgpr_workgroup_id_y 0
		.amdhsa_system_sgpr_workgroup_id_z 0
		.amdhsa_system_sgpr_workgroup_info 0
		.amdhsa_system_vgpr_workitem_id 0
		.amdhsa_next_free_vgpr 1
		.amdhsa_next_free_sgpr 0
		.amdhsa_accum_offset 4
		.amdhsa_reserve_vcc 0
		.amdhsa_float_round_mode_32 0
		.amdhsa_float_round_mode_16_64 0
		.amdhsa_float_denorm_mode_32 3
		.amdhsa_float_denorm_mode_16_64 3
		.amdhsa_dx10_clamp 1
		.amdhsa_ieee_mode 1
		.amdhsa_fp16_overflow 0
		.amdhsa_tg_split 0
		.amdhsa_exception_fp_ieee_invalid_op 0
		.amdhsa_exception_fp_denorm_src 0
		.amdhsa_exception_fp_ieee_div_zero 0
		.amdhsa_exception_fp_ieee_overflow 0
		.amdhsa_exception_fp_ieee_underflow 0
		.amdhsa_exception_fp_ieee_inexact 0
		.amdhsa_exception_int_div_zero 0
	.end_amdhsa_kernel
	.section	.text._ZN7rocprim17ROCPRIM_400000_NS6detail17trampoline_kernelINS0_14default_configENS1_25transform_config_selectorIyLb0EEEZNS1_14transform_implILb0ES3_S5_PyN6thrust23THRUST_200600_302600_NS6detail15normal_iteratorINS9_10device_ptrIyEEEENS0_8identityIyEEEE10hipError_tT2_T3_mT4_P12ihipStream_tbEUlT_E_NS1_11comp_targetILNS1_3genE5ELNS1_11target_archE942ELNS1_3gpuE9ELNS1_3repE0EEENS1_30default_config_static_selectorELNS0_4arch9wavefront6targetE1EEEvT1_,"axG",@progbits,_ZN7rocprim17ROCPRIM_400000_NS6detail17trampoline_kernelINS0_14default_configENS1_25transform_config_selectorIyLb0EEEZNS1_14transform_implILb0ES3_S5_PyN6thrust23THRUST_200600_302600_NS6detail15normal_iteratorINS9_10device_ptrIyEEEENS0_8identityIyEEEE10hipError_tT2_T3_mT4_P12ihipStream_tbEUlT_E_NS1_11comp_targetILNS1_3genE5ELNS1_11target_archE942ELNS1_3gpuE9ELNS1_3repE0EEENS1_30default_config_static_selectorELNS0_4arch9wavefront6targetE1EEEvT1_,comdat
.Lfunc_end445:
	.size	_ZN7rocprim17ROCPRIM_400000_NS6detail17trampoline_kernelINS0_14default_configENS1_25transform_config_selectorIyLb0EEEZNS1_14transform_implILb0ES3_S5_PyN6thrust23THRUST_200600_302600_NS6detail15normal_iteratorINS9_10device_ptrIyEEEENS0_8identityIyEEEE10hipError_tT2_T3_mT4_P12ihipStream_tbEUlT_E_NS1_11comp_targetILNS1_3genE5ELNS1_11target_archE942ELNS1_3gpuE9ELNS1_3repE0EEENS1_30default_config_static_selectorELNS0_4arch9wavefront6targetE1EEEvT1_, .Lfunc_end445-_ZN7rocprim17ROCPRIM_400000_NS6detail17trampoline_kernelINS0_14default_configENS1_25transform_config_selectorIyLb0EEEZNS1_14transform_implILb0ES3_S5_PyN6thrust23THRUST_200600_302600_NS6detail15normal_iteratorINS9_10device_ptrIyEEEENS0_8identityIyEEEE10hipError_tT2_T3_mT4_P12ihipStream_tbEUlT_E_NS1_11comp_targetILNS1_3genE5ELNS1_11target_archE942ELNS1_3gpuE9ELNS1_3repE0EEENS1_30default_config_static_selectorELNS0_4arch9wavefront6targetE1EEEvT1_
                                        ; -- End function
	.set _ZN7rocprim17ROCPRIM_400000_NS6detail17trampoline_kernelINS0_14default_configENS1_25transform_config_selectorIyLb0EEEZNS1_14transform_implILb0ES3_S5_PyN6thrust23THRUST_200600_302600_NS6detail15normal_iteratorINS9_10device_ptrIyEEEENS0_8identityIyEEEE10hipError_tT2_T3_mT4_P12ihipStream_tbEUlT_E_NS1_11comp_targetILNS1_3genE5ELNS1_11target_archE942ELNS1_3gpuE9ELNS1_3repE0EEENS1_30default_config_static_selectorELNS0_4arch9wavefront6targetE1EEEvT1_.num_vgpr, 0
	.set _ZN7rocprim17ROCPRIM_400000_NS6detail17trampoline_kernelINS0_14default_configENS1_25transform_config_selectorIyLb0EEEZNS1_14transform_implILb0ES3_S5_PyN6thrust23THRUST_200600_302600_NS6detail15normal_iteratorINS9_10device_ptrIyEEEENS0_8identityIyEEEE10hipError_tT2_T3_mT4_P12ihipStream_tbEUlT_E_NS1_11comp_targetILNS1_3genE5ELNS1_11target_archE942ELNS1_3gpuE9ELNS1_3repE0EEENS1_30default_config_static_selectorELNS0_4arch9wavefront6targetE1EEEvT1_.num_agpr, 0
	.set _ZN7rocprim17ROCPRIM_400000_NS6detail17trampoline_kernelINS0_14default_configENS1_25transform_config_selectorIyLb0EEEZNS1_14transform_implILb0ES3_S5_PyN6thrust23THRUST_200600_302600_NS6detail15normal_iteratorINS9_10device_ptrIyEEEENS0_8identityIyEEEE10hipError_tT2_T3_mT4_P12ihipStream_tbEUlT_E_NS1_11comp_targetILNS1_3genE5ELNS1_11target_archE942ELNS1_3gpuE9ELNS1_3repE0EEENS1_30default_config_static_selectorELNS0_4arch9wavefront6targetE1EEEvT1_.numbered_sgpr, 0
	.set _ZN7rocprim17ROCPRIM_400000_NS6detail17trampoline_kernelINS0_14default_configENS1_25transform_config_selectorIyLb0EEEZNS1_14transform_implILb0ES3_S5_PyN6thrust23THRUST_200600_302600_NS6detail15normal_iteratorINS9_10device_ptrIyEEEENS0_8identityIyEEEE10hipError_tT2_T3_mT4_P12ihipStream_tbEUlT_E_NS1_11comp_targetILNS1_3genE5ELNS1_11target_archE942ELNS1_3gpuE9ELNS1_3repE0EEENS1_30default_config_static_selectorELNS0_4arch9wavefront6targetE1EEEvT1_.num_named_barrier, 0
	.set _ZN7rocprim17ROCPRIM_400000_NS6detail17trampoline_kernelINS0_14default_configENS1_25transform_config_selectorIyLb0EEEZNS1_14transform_implILb0ES3_S5_PyN6thrust23THRUST_200600_302600_NS6detail15normal_iteratorINS9_10device_ptrIyEEEENS0_8identityIyEEEE10hipError_tT2_T3_mT4_P12ihipStream_tbEUlT_E_NS1_11comp_targetILNS1_3genE5ELNS1_11target_archE942ELNS1_3gpuE9ELNS1_3repE0EEENS1_30default_config_static_selectorELNS0_4arch9wavefront6targetE1EEEvT1_.private_seg_size, 0
	.set _ZN7rocprim17ROCPRIM_400000_NS6detail17trampoline_kernelINS0_14default_configENS1_25transform_config_selectorIyLb0EEEZNS1_14transform_implILb0ES3_S5_PyN6thrust23THRUST_200600_302600_NS6detail15normal_iteratorINS9_10device_ptrIyEEEENS0_8identityIyEEEE10hipError_tT2_T3_mT4_P12ihipStream_tbEUlT_E_NS1_11comp_targetILNS1_3genE5ELNS1_11target_archE942ELNS1_3gpuE9ELNS1_3repE0EEENS1_30default_config_static_selectorELNS0_4arch9wavefront6targetE1EEEvT1_.uses_vcc, 0
	.set _ZN7rocprim17ROCPRIM_400000_NS6detail17trampoline_kernelINS0_14default_configENS1_25transform_config_selectorIyLb0EEEZNS1_14transform_implILb0ES3_S5_PyN6thrust23THRUST_200600_302600_NS6detail15normal_iteratorINS9_10device_ptrIyEEEENS0_8identityIyEEEE10hipError_tT2_T3_mT4_P12ihipStream_tbEUlT_E_NS1_11comp_targetILNS1_3genE5ELNS1_11target_archE942ELNS1_3gpuE9ELNS1_3repE0EEENS1_30default_config_static_selectorELNS0_4arch9wavefront6targetE1EEEvT1_.uses_flat_scratch, 0
	.set _ZN7rocprim17ROCPRIM_400000_NS6detail17trampoline_kernelINS0_14default_configENS1_25transform_config_selectorIyLb0EEEZNS1_14transform_implILb0ES3_S5_PyN6thrust23THRUST_200600_302600_NS6detail15normal_iteratorINS9_10device_ptrIyEEEENS0_8identityIyEEEE10hipError_tT2_T3_mT4_P12ihipStream_tbEUlT_E_NS1_11comp_targetILNS1_3genE5ELNS1_11target_archE942ELNS1_3gpuE9ELNS1_3repE0EEENS1_30default_config_static_selectorELNS0_4arch9wavefront6targetE1EEEvT1_.has_dyn_sized_stack, 0
	.set _ZN7rocprim17ROCPRIM_400000_NS6detail17trampoline_kernelINS0_14default_configENS1_25transform_config_selectorIyLb0EEEZNS1_14transform_implILb0ES3_S5_PyN6thrust23THRUST_200600_302600_NS6detail15normal_iteratorINS9_10device_ptrIyEEEENS0_8identityIyEEEE10hipError_tT2_T3_mT4_P12ihipStream_tbEUlT_E_NS1_11comp_targetILNS1_3genE5ELNS1_11target_archE942ELNS1_3gpuE9ELNS1_3repE0EEENS1_30default_config_static_selectorELNS0_4arch9wavefront6targetE1EEEvT1_.has_recursion, 0
	.set _ZN7rocprim17ROCPRIM_400000_NS6detail17trampoline_kernelINS0_14default_configENS1_25transform_config_selectorIyLb0EEEZNS1_14transform_implILb0ES3_S5_PyN6thrust23THRUST_200600_302600_NS6detail15normal_iteratorINS9_10device_ptrIyEEEENS0_8identityIyEEEE10hipError_tT2_T3_mT4_P12ihipStream_tbEUlT_E_NS1_11comp_targetILNS1_3genE5ELNS1_11target_archE942ELNS1_3gpuE9ELNS1_3repE0EEENS1_30default_config_static_selectorELNS0_4arch9wavefront6targetE1EEEvT1_.has_indirect_call, 0
	.section	.AMDGPU.csdata,"",@progbits
; Kernel info:
; codeLenInByte = 0
; TotalNumSgprs: 6
; NumVgprs: 0
; NumAgprs: 0
; TotalNumVgprs: 0
; ScratchSize: 0
; MemoryBound: 0
; FloatMode: 240
; IeeeMode: 1
; LDSByteSize: 0 bytes/workgroup (compile time only)
; SGPRBlocks: 0
; VGPRBlocks: 0
; NumSGPRsForWavesPerEU: 6
; NumVGPRsForWavesPerEU: 1
; AccumOffset: 4
; Occupancy: 8
; WaveLimiterHint : 0
; COMPUTE_PGM_RSRC2:SCRATCH_EN: 0
; COMPUTE_PGM_RSRC2:USER_SGPR: 2
; COMPUTE_PGM_RSRC2:TRAP_HANDLER: 0
; COMPUTE_PGM_RSRC2:TGID_X_EN: 1
; COMPUTE_PGM_RSRC2:TGID_Y_EN: 0
; COMPUTE_PGM_RSRC2:TGID_Z_EN: 0
; COMPUTE_PGM_RSRC2:TIDIG_COMP_CNT: 0
; COMPUTE_PGM_RSRC3_GFX90A:ACCUM_OFFSET: 0
; COMPUTE_PGM_RSRC3_GFX90A:TG_SPLIT: 0
	.section	.text._ZN7rocprim17ROCPRIM_400000_NS6detail17trampoline_kernelINS0_14default_configENS1_25transform_config_selectorIyLb0EEEZNS1_14transform_implILb0ES3_S5_PyN6thrust23THRUST_200600_302600_NS6detail15normal_iteratorINS9_10device_ptrIyEEEENS0_8identityIyEEEE10hipError_tT2_T3_mT4_P12ihipStream_tbEUlT_E_NS1_11comp_targetILNS1_3genE4ELNS1_11target_archE910ELNS1_3gpuE8ELNS1_3repE0EEENS1_30default_config_static_selectorELNS0_4arch9wavefront6targetE1EEEvT1_,"axG",@progbits,_ZN7rocprim17ROCPRIM_400000_NS6detail17trampoline_kernelINS0_14default_configENS1_25transform_config_selectorIyLb0EEEZNS1_14transform_implILb0ES3_S5_PyN6thrust23THRUST_200600_302600_NS6detail15normal_iteratorINS9_10device_ptrIyEEEENS0_8identityIyEEEE10hipError_tT2_T3_mT4_P12ihipStream_tbEUlT_E_NS1_11comp_targetILNS1_3genE4ELNS1_11target_archE910ELNS1_3gpuE8ELNS1_3repE0EEENS1_30default_config_static_selectorELNS0_4arch9wavefront6targetE1EEEvT1_,comdat
	.protected	_ZN7rocprim17ROCPRIM_400000_NS6detail17trampoline_kernelINS0_14default_configENS1_25transform_config_selectorIyLb0EEEZNS1_14transform_implILb0ES3_S5_PyN6thrust23THRUST_200600_302600_NS6detail15normal_iteratorINS9_10device_ptrIyEEEENS0_8identityIyEEEE10hipError_tT2_T3_mT4_P12ihipStream_tbEUlT_E_NS1_11comp_targetILNS1_3genE4ELNS1_11target_archE910ELNS1_3gpuE8ELNS1_3repE0EEENS1_30default_config_static_selectorELNS0_4arch9wavefront6targetE1EEEvT1_ ; -- Begin function _ZN7rocprim17ROCPRIM_400000_NS6detail17trampoline_kernelINS0_14default_configENS1_25transform_config_selectorIyLb0EEEZNS1_14transform_implILb0ES3_S5_PyN6thrust23THRUST_200600_302600_NS6detail15normal_iteratorINS9_10device_ptrIyEEEENS0_8identityIyEEEE10hipError_tT2_T3_mT4_P12ihipStream_tbEUlT_E_NS1_11comp_targetILNS1_3genE4ELNS1_11target_archE910ELNS1_3gpuE8ELNS1_3repE0EEENS1_30default_config_static_selectorELNS0_4arch9wavefront6targetE1EEEvT1_
	.globl	_ZN7rocprim17ROCPRIM_400000_NS6detail17trampoline_kernelINS0_14default_configENS1_25transform_config_selectorIyLb0EEEZNS1_14transform_implILb0ES3_S5_PyN6thrust23THRUST_200600_302600_NS6detail15normal_iteratorINS9_10device_ptrIyEEEENS0_8identityIyEEEE10hipError_tT2_T3_mT4_P12ihipStream_tbEUlT_E_NS1_11comp_targetILNS1_3genE4ELNS1_11target_archE910ELNS1_3gpuE8ELNS1_3repE0EEENS1_30default_config_static_selectorELNS0_4arch9wavefront6targetE1EEEvT1_
	.p2align	8
	.type	_ZN7rocprim17ROCPRIM_400000_NS6detail17trampoline_kernelINS0_14default_configENS1_25transform_config_selectorIyLb0EEEZNS1_14transform_implILb0ES3_S5_PyN6thrust23THRUST_200600_302600_NS6detail15normal_iteratorINS9_10device_ptrIyEEEENS0_8identityIyEEEE10hipError_tT2_T3_mT4_P12ihipStream_tbEUlT_E_NS1_11comp_targetILNS1_3genE4ELNS1_11target_archE910ELNS1_3gpuE8ELNS1_3repE0EEENS1_30default_config_static_selectorELNS0_4arch9wavefront6targetE1EEEvT1_,@function
_ZN7rocprim17ROCPRIM_400000_NS6detail17trampoline_kernelINS0_14default_configENS1_25transform_config_selectorIyLb0EEEZNS1_14transform_implILb0ES3_S5_PyN6thrust23THRUST_200600_302600_NS6detail15normal_iteratorINS9_10device_ptrIyEEEENS0_8identityIyEEEE10hipError_tT2_T3_mT4_P12ihipStream_tbEUlT_E_NS1_11comp_targetILNS1_3genE4ELNS1_11target_archE910ELNS1_3gpuE8ELNS1_3repE0EEENS1_30default_config_static_selectorELNS0_4arch9wavefront6targetE1EEEvT1_: ; @_ZN7rocprim17ROCPRIM_400000_NS6detail17trampoline_kernelINS0_14default_configENS1_25transform_config_selectorIyLb0EEEZNS1_14transform_implILb0ES3_S5_PyN6thrust23THRUST_200600_302600_NS6detail15normal_iteratorINS9_10device_ptrIyEEEENS0_8identityIyEEEE10hipError_tT2_T3_mT4_P12ihipStream_tbEUlT_E_NS1_11comp_targetILNS1_3genE4ELNS1_11target_archE910ELNS1_3gpuE8ELNS1_3repE0EEENS1_30default_config_static_selectorELNS0_4arch9wavefront6targetE1EEEvT1_
; %bb.0:
	.section	.rodata,"a",@progbits
	.p2align	6, 0x0
	.amdhsa_kernel _ZN7rocprim17ROCPRIM_400000_NS6detail17trampoline_kernelINS0_14default_configENS1_25transform_config_selectorIyLb0EEEZNS1_14transform_implILb0ES3_S5_PyN6thrust23THRUST_200600_302600_NS6detail15normal_iteratorINS9_10device_ptrIyEEEENS0_8identityIyEEEE10hipError_tT2_T3_mT4_P12ihipStream_tbEUlT_E_NS1_11comp_targetILNS1_3genE4ELNS1_11target_archE910ELNS1_3gpuE8ELNS1_3repE0EEENS1_30default_config_static_selectorELNS0_4arch9wavefront6targetE1EEEvT1_
		.amdhsa_group_segment_fixed_size 0
		.amdhsa_private_segment_fixed_size 0
		.amdhsa_kernarg_size 40
		.amdhsa_user_sgpr_count 2
		.amdhsa_user_sgpr_dispatch_ptr 0
		.amdhsa_user_sgpr_queue_ptr 0
		.amdhsa_user_sgpr_kernarg_segment_ptr 1
		.amdhsa_user_sgpr_dispatch_id 0
		.amdhsa_user_sgpr_kernarg_preload_length 0
		.amdhsa_user_sgpr_kernarg_preload_offset 0
		.amdhsa_user_sgpr_private_segment_size 0
		.amdhsa_uses_dynamic_stack 0
		.amdhsa_enable_private_segment 0
		.amdhsa_system_sgpr_workgroup_id_x 1
		.amdhsa_system_sgpr_workgroup_id_y 0
		.amdhsa_system_sgpr_workgroup_id_z 0
		.amdhsa_system_sgpr_workgroup_info 0
		.amdhsa_system_vgpr_workitem_id 0
		.amdhsa_next_free_vgpr 1
		.amdhsa_next_free_sgpr 0
		.amdhsa_accum_offset 4
		.amdhsa_reserve_vcc 0
		.amdhsa_float_round_mode_32 0
		.amdhsa_float_round_mode_16_64 0
		.amdhsa_float_denorm_mode_32 3
		.amdhsa_float_denorm_mode_16_64 3
		.amdhsa_dx10_clamp 1
		.amdhsa_ieee_mode 1
		.amdhsa_fp16_overflow 0
		.amdhsa_tg_split 0
		.amdhsa_exception_fp_ieee_invalid_op 0
		.amdhsa_exception_fp_denorm_src 0
		.amdhsa_exception_fp_ieee_div_zero 0
		.amdhsa_exception_fp_ieee_overflow 0
		.amdhsa_exception_fp_ieee_underflow 0
		.amdhsa_exception_fp_ieee_inexact 0
		.amdhsa_exception_int_div_zero 0
	.end_amdhsa_kernel
	.section	.text._ZN7rocprim17ROCPRIM_400000_NS6detail17trampoline_kernelINS0_14default_configENS1_25transform_config_selectorIyLb0EEEZNS1_14transform_implILb0ES3_S5_PyN6thrust23THRUST_200600_302600_NS6detail15normal_iteratorINS9_10device_ptrIyEEEENS0_8identityIyEEEE10hipError_tT2_T3_mT4_P12ihipStream_tbEUlT_E_NS1_11comp_targetILNS1_3genE4ELNS1_11target_archE910ELNS1_3gpuE8ELNS1_3repE0EEENS1_30default_config_static_selectorELNS0_4arch9wavefront6targetE1EEEvT1_,"axG",@progbits,_ZN7rocprim17ROCPRIM_400000_NS6detail17trampoline_kernelINS0_14default_configENS1_25transform_config_selectorIyLb0EEEZNS1_14transform_implILb0ES3_S5_PyN6thrust23THRUST_200600_302600_NS6detail15normal_iteratorINS9_10device_ptrIyEEEENS0_8identityIyEEEE10hipError_tT2_T3_mT4_P12ihipStream_tbEUlT_E_NS1_11comp_targetILNS1_3genE4ELNS1_11target_archE910ELNS1_3gpuE8ELNS1_3repE0EEENS1_30default_config_static_selectorELNS0_4arch9wavefront6targetE1EEEvT1_,comdat
.Lfunc_end446:
	.size	_ZN7rocprim17ROCPRIM_400000_NS6detail17trampoline_kernelINS0_14default_configENS1_25transform_config_selectorIyLb0EEEZNS1_14transform_implILb0ES3_S5_PyN6thrust23THRUST_200600_302600_NS6detail15normal_iteratorINS9_10device_ptrIyEEEENS0_8identityIyEEEE10hipError_tT2_T3_mT4_P12ihipStream_tbEUlT_E_NS1_11comp_targetILNS1_3genE4ELNS1_11target_archE910ELNS1_3gpuE8ELNS1_3repE0EEENS1_30default_config_static_selectorELNS0_4arch9wavefront6targetE1EEEvT1_, .Lfunc_end446-_ZN7rocprim17ROCPRIM_400000_NS6detail17trampoline_kernelINS0_14default_configENS1_25transform_config_selectorIyLb0EEEZNS1_14transform_implILb0ES3_S5_PyN6thrust23THRUST_200600_302600_NS6detail15normal_iteratorINS9_10device_ptrIyEEEENS0_8identityIyEEEE10hipError_tT2_T3_mT4_P12ihipStream_tbEUlT_E_NS1_11comp_targetILNS1_3genE4ELNS1_11target_archE910ELNS1_3gpuE8ELNS1_3repE0EEENS1_30default_config_static_selectorELNS0_4arch9wavefront6targetE1EEEvT1_
                                        ; -- End function
	.set _ZN7rocprim17ROCPRIM_400000_NS6detail17trampoline_kernelINS0_14default_configENS1_25transform_config_selectorIyLb0EEEZNS1_14transform_implILb0ES3_S5_PyN6thrust23THRUST_200600_302600_NS6detail15normal_iteratorINS9_10device_ptrIyEEEENS0_8identityIyEEEE10hipError_tT2_T3_mT4_P12ihipStream_tbEUlT_E_NS1_11comp_targetILNS1_3genE4ELNS1_11target_archE910ELNS1_3gpuE8ELNS1_3repE0EEENS1_30default_config_static_selectorELNS0_4arch9wavefront6targetE1EEEvT1_.num_vgpr, 0
	.set _ZN7rocprim17ROCPRIM_400000_NS6detail17trampoline_kernelINS0_14default_configENS1_25transform_config_selectorIyLb0EEEZNS1_14transform_implILb0ES3_S5_PyN6thrust23THRUST_200600_302600_NS6detail15normal_iteratorINS9_10device_ptrIyEEEENS0_8identityIyEEEE10hipError_tT2_T3_mT4_P12ihipStream_tbEUlT_E_NS1_11comp_targetILNS1_3genE4ELNS1_11target_archE910ELNS1_3gpuE8ELNS1_3repE0EEENS1_30default_config_static_selectorELNS0_4arch9wavefront6targetE1EEEvT1_.num_agpr, 0
	.set _ZN7rocprim17ROCPRIM_400000_NS6detail17trampoline_kernelINS0_14default_configENS1_25transform_config_selectorIyLb0EEEZNS1_14transform_implILb0ES3_S5_PyN6thrust23THRUST_200600_302600_NS6detail15normal_iteratorINS9_10device_ptrIyEEEENS0_8identityIyEEEE10hipError_tT2_T3_mT4_P12ihipStream_tbEUlT_E_NS1_11comp_targetILNS1_3genE4ELNS1_11target_archE910ELNS1_3gpuE8ELNS1_3repE0EEENS1_30default_config_static_selectorELNS0_4arch9wavefront6targetE1EEEvT1_.numbered_sgpr, 0
	.set _ZN7rocprim17ROCPRIM_400000_NS6detail17trampoline_kernelINS0_14default_configENS1_25transform_config_selectorIyLb0EEEZNS1_14transform_implILb0ES3_S5_PyN6thrust23THRUST_200600_302600_NS6detail15normal_iteratorINS9_10device_ptrIyEEEENS0_8identityIyEEEE10hipError_tT2_T3_mT4_P12ihipStream_tbEUlT_E_NS1_11comp_targetILNS1_3genE4ELNS1_11target_archE910ELNS1_3gpuE8ELNS1_3repE0EEENS1_30default_config_static_selectorELNS0_4arch9wavefront6targetE1EEEvT1_.num_named_barrier, 0
	.set _ZN7rocprim17ROCPRIM_400000_NS6detail17trampoline_kernelINS0_14default_configENS1_25transform_config_selectorIyLb0EEEZNS1_14transform_implILb0ES3_S5_PyN6thrust23THRUST_200600_302600_NS6detail15normal_iteratorINS9_10device_ptrIyEEEENS0_8identityIyEEEE10hipError_tT2_T3_mT4_P12ihipStream_tbEUlT_E_NS1_11comp_targetILNS1_3genE4ELNS1_11target_archE910ELNS1_3gpuE8ELNS1_3repE0EEENS1_30default_config_static_selectorELNS0_4arch9wavefront6targetE1EEEvT1_.private_seg_size, 0
	.set _ZN7rocprim17ROCPRIM_400000_NS6detail17trampoline_kernelINS0_14default_configENS1_25transform_config_selectorIyLb0EEEZNS1_14transform_implILb0ES3_S5_PyN6thrust23THRUST_200600_302600_NS6detail15normal_iteratorINS9_10device_ptrIyEEEENS0_8identityIyEEEE10hipError_tT2_T3_mT4_P12ihipStream_tbEUlT_E_NS1_11comp_targetILNS1_3genE4ELNS1_11target_archE910ELNS1_3gpuE8ELNS1_3repE0EEENS1_30default_config_static_selectorELNS0_4arch9wavefront6targetE1EEEvT1_.uses_vcc, 0
	.set _ZN7rocprim17ROCPRIM_400000_NS6detail17trampoline_kernelINS0_14default_configENS1_25transform_config_selectorIyLb0EEEZNS1_14transform_implILb0ES3_S5_PyN6thrust23THRUST_200600_302600_NS6detail15normal_iteratorINS9_10device_ptrIyEEEENS0_8identityIyEEEE10hipError_tT2_T3_mT4_P12ihipStream_tbEUlT_E_NS1_11comp_targetILNS1_3genE4ELNS1_11target_archE910ELNS1_3gpuE8ELNS1_3repE0EEENS1_30default_config_static_selectorELNS0_4arch9wavefront6targetE1EEEvT1_.uses_flat_scratch, 0
	.set _ZN7rocprim17ROCPRIM_400000_NS6detail17trampoline_kernelINS0_14default_configENS1_25transform_config_selectorIyLb0EEEZNS1_14transform_implILb0ES3_S5_PyN6thrust23THRUST_200600_302600_NS6detail15normal_iteratorINS9_10device_ptrIyEEEENS0_8identityIyEEEE10hipError_tT2_T3_mT4_P12ihipStream_tbEUlT_E_NS1_11comp_targetILNS1_3genE4ELNS1_11target_archE910ELNS1_3gpuE8ELNS1_3repE0EEENS1_30default_config_static_selectorELNS0_4arch9wavefront6targetE1EEEvT1_.has_dyn_sized_stack, 0
	.set _ZN7rocprim17ROCPRIM_400000_NS6detail17trampoline_kernelINS0_14default_configENS1_25transform_config_selectorIyLb0EEEZNS1_14transform_implILb0ES3_S5_PyN6thrust23THRUST_200600_302600_NS6detail15normal_iteratorINS9_10device_ptrIyEEEENS0_8identityIyEEEE10hipError_tT2_T3_mT4_P12ihipStream_tbEUlT_E_NS1_11comp_targetILNS1_3genE4ELNS1_11target_archE910ELNS1_3gpuE8ELNS1_3repE0EEENS1_30default_config_static_selectorELNS0_4arch9wavefront6targetE1EEEvT1_.has_recursion, 0
	.set _ZN7rocprim17ROCPRIM_400000_NS6detail17trampoline_kernelINS0_14default_configENS1_25transform_config_selectorIyLb0EEEZNS1_14transform_implILb0ES3_S5_PyN6thrust23THRUST_200600_302600_NS6detail15normal_iteratorINS9_10device_ptrIyEEEENS0_8identityIyEEEE10hipError_tT2_T3_mT4_P12ihipStream_tbEUlT_E_NS1_11comp_targetILNS1_3genE4ELNS1_11target_archE910ELNS1_3gpuE8ELNS1_3repE0EEENS1_30default_config_static_selectorELNS0_4arch9wavefront6targetE1EEEvT1_.has_indirect_call, 0
	.section	.AMDGPU.csdata,"",@progbits
; Kernel info:
; codeLenInByte = 0
; TotalNumSgprs: 6
; NumVgprs: 0
; NumAgprs: 0
; TotalNumVgprs: 0
; ScratchSize: 0
; MemoryBound: 0
; FloatMode: 240
; IeeeMode: 1
; LDSByteSize: 0 bytes/workgroup (compile time only)
; SGPRBlocks: 0
; VGPRBlocks: 0
; NumSGPRsForWavesPerEU: 6
; NumVGPRsForWavesPerEU: 1
; AccumOffset: 4
; Occupancy: 8
; WaveLimiterHint : 0
; COMPUTE_PGM_RSRC2:SCRATCH_EN: 0
; COMPUTE_PGM_RSRC2:USER_SGPR: 2
; COMPUTE_PGM_RSRC2:TRAP_HANDLER: 0
; COMPUTE_PGM_RSRC2:TGID_X_EN: 1
; COMPUTE_PGM_RSRC2:TGID_Y_EN: 0
; COMPUTE_PGM_RSRC2:TGID_Z_EN: 0
; COMPUTE_PGM_RSRC2:TIDIG_COMP_CNT: 0
; COMPUTE_PGM_RSRC3_GFX90A:ACCUM_OFFSET: 0
; COMPUTE_PGM_RSRC3_GFX90A:TG_SPLIT: 0
	.section	.text._ZN7rocprim17ROCPRIM_400000_NS6detail17trampoline_kernelINS0_14default_configENS1_25transform_config_selectorIyLb0EEEZNS1_14transform_implILb0ES3_S5_PyN6thrust23THRUST_200600_302600_NS6detail15normal_iteratorINS9_10device_ptrIyEEEENS0_8identityIyEEEE10hipError_tT2_T3_mT4_P12ihipStream_tbEUlT_E_NS1_11comp_targetILNS1_3genE3ELNS1_11target_archE908ELNS1_3gpuE7ELNS1_3repE0EEENS1_30default_config_static_selectorELNS0_4arch9wavefront6targetE1EEEvT1_,"axG",@progbits,_ZN7rocprim17ROCPRIM_400000_NS6detail17trampoline_kernelINS0_14default_configENS1_25transform_config_selectorIyLb0EEEZNS1_14transform_implILb0ES3_S5_PyN6thrust23THRUST_200600_302600_NS6detail15normal_iteratorINS9_10device_ptrIyEEEENS0_8identityIyEEEE10hipError_tT2_T3_mT4_P12ihipStream_tbEUlT_E_NS1_11comp_targetILNS1_3genE3ELNS1_11target_archE908ELNS1_3gpuE7ELNS1_3repE0EEENS1_30default_config_static_selectorELNS0_4arch9wavefront6targetE1EEEvT1_,comdat
	.protected	_ZN7rocprim17ROCPRIM_400000_NS6detail17trampoline_kernelINS0_14default_configENS1_25transform_config_selectorIyLb0EEEZNS1_14transform_implILb0ES3_S5_PyN6thrust23THRUST_200600_302600_NS6detail15normal_iteratorINS9_10device_ptrIyEEEENS0_8identityIyEEEE10hipError_tT2_T3_mT4_P12ihipStream_tbEUlT_E_NS1_11comp_targetILNS1_3genE3ELNS1_11target_archE908ELNS1_3gpuE7ELNS1_3repE0EEENS1_30default_config_static_selectorELNS0_4arch9wavefront6targetE1EEEvT1_ ; -- Begin function _ZN7rocprim17ROCPRIM_400000_NS6detail17trampoline_kernelINS0_14default_configENS1_25transform_config_selectorIyLb0EEEZNS1_14transform_implILb0ES3_S5_PyN6thrust23THRUST_200600_302600_NS6detail15normal_iteratorINS9_10device_ptrIyEEEENS0_8identityIyEEEE10hipError_tT2_T3_mT4_P12ihipStream_tbEUlT_E_NS1_11comp_targetILNS1_3genE3ELNS1_11target_archE908ELNS1_3gpuE7ELNS1_3repE0EEENS1_30default_config_static_selectorELNS0_4arch9wavefront6targetE1EEEvT1_
	.globl	_ZN7rocprim17ROCPRIM_400000_NS6detail17trampoline_kernelINS0_14default_configENS1_25transform_config_selectorIyLb0EEEZNS1_14transform_implILb0ES3_S5_PyN6thrust23THRUST_200600_302600_NS6detail15normal_iteratorINS9_10device_ptrIyEEEENS0_8identityIyEEEE10hipError_tT2_T3_mT4_P12ihipStream_tbEUlT_E_NS1_11comp_targetILNS1_3genE3ELNS1_11target_archE908ELNS1_3gpuE7ELNS1_3repE0EEENS1_30default_config_static_selectorELNS0_4arch9wavefront6targetE1EEEvT1_
	.p2align	8
	.type	_ZN7rocprim17ROCPRIM_400000_NS6detail17trampoline_kernelINS0_14default_configENS1_25transform_config_selectorIyLb0EEEZNS1_14transform_implILb0ES3_S5_PyN6thrust23THRUST_200600_302600_NS6detail15normal_iteratorINS9_10device_ptrIyEEEENS0_8identityIyEEEE10hipError_tT2_T3_mT4_P12ihipStream_tbEUlT_E_NS1_11comp_targetILNS1_3genE3ELNS1_11target_archE908ELNS1_3gpuE7ELNS1_3repE0EEENS1_30default_config_static_selectorELNS0_4arch9wavefront6targetE1EEEvT1_,@function
_ZN7rocprim17ROCPRIM_400000_NS6detail17trampoline_kernelINS0_14default_configENS1_25transform_config_selectorIyLb0EEEZNS1_14transform_implILb0ES3_S5_PyN6thrust23THRUST_200600_302600_NS6detail15normal_iteratorINS9_10device_ptrIyEEEENS0_8identityIyEEEE10hipError_tT2_T3_mT4_P12ihipStream_tbEUlT_E_NS1_11comp_targetILNS1_3genE3ELNS1_11target_archE908ELNS1_3gpuE7ELNS1_3repE0EEENS1_30default_config_static_selectorELNS0_4arch9wavefront6targetE1EEEvT1_: ; @_ZN7rocprim17ROCPRIM_400000_NS6detail17trampoline_kernelINS0_14default_configENS1_25transform_config_selectorIyLb0EEEZNS1_14transform_implILb0ES3_S5_PyN6thrust23THRUST_200600_302600_NS6detail15normal_iteratorINS9_10device_ptrIyEEEENS0_8identityIyEEEE10hipError_tT2_T3_mT4_P12ihipStream_tbEUlT_E_NS1_11comp_targetILNS1_3genE3ELNS1_11target_archE908ELNS1_3gpuE7ELNS1_3repE0EEENS1_30default_config_static_selectorELNS0_4arch9wavefront6targetE1EEEvT1_
; %bb.0:
	.section	.rodata,"a",@progbits
	.p2align	6, 0x0
	.amdhsa_kernel _ZN7rocprim17ROCPRIM_400000_NS6detail17trampoline_kernelINS0_14default_configENS1_25transform_config_selectorIyLb0EEEZNS1_14transform_implILb0ES3_S5_PyN6thrust23THRUST_200600_302600_NS6detail15normal_iteratorINS9_10device_ptrIyEEEENS0_8identityIyEEEE10hipError_tT2_T3_mT4_P12ihipStream_tbEUlT_E_NS1_11comp_targetILNS1_3genE3ELNS1_11target_archE908ELNS1_3gpuE7ELNS1_3repE0EEENS1_30default_config_static_selectorELNS0_4arch9wavefront6targetE1EEEvT1_
		.amdhsa_group_segment_fixed_size 0
		.amdhsa_private_segment_fixed_size 0
		.amdhsa_kernarg_size 40
		.amdhsa_user_sgpr_count 2
		.amdhsa_user_sgpr_dispatch_ptr 0
		.amdhsa_user_sgpr_queue_ptr 0
		.amdhsa_user_sgpr_kernarg_segment_ptr 1
		.amdhsa_user_sgpr_dispatch_id 0
		.amdhsa_user_sgpr_kernarg_preload_length 0
		.amdhsa_user_sgpr_kernarg_preload_offset 0
		.amdhsa_user_sgpr_private_segment_size 0
		.amdhsa_uses_dynamic_stack 0
		.amdhsa_enable_private_segment 0
		.amdhsa_system_sgpr_workgroup_id_x 1
		.amdhsa_system_sgpr_workgroup_id_y 0
		.amdhsa_system_sgpr_workgroup_id_z 0
		.amdhsa_system_sgpr_workgroup_info 0
		.amdhsa_system_vgpr_workitem_id 0
		.amdhsa_next_free_vgpr 1
		.amdhsa_next_free_sgpr 0
		.amdhsa_accum_offset 4
		.amdhsa_reserve_vcc 0
		.amdhsa_float_round_mode_32 0
		.amdhsa_float_round_mode_16_64 0
		.amdhsa_float_denorm_mode_32 3
		.amdhsa_float_denorm_mode_16_64 3
		.amdhsa_dx10_clamp 1
		.amdhsa_ieee_mode 1
		.amdhsa_fp16_overflow 0
		.amdhsa_tg_split 0
		.amdhsa_exception_fp_ieee_invalid_op 0
		.amdhsa_exception_fp_denorm_src 0
		.amdhsa_exception_fp_ieee_div_zero 0
		.amdhsa_exception_fp_ieee_overflow 0
		.amdhsa_exception_fp_ieee_underflow 0
		.amdhsa_exception_fp_ieee_inexact 0
		.amdhsa_exception_int_div_zero 0
	.end_amdhsa_kernel
	.section	.text._ZN7rocprim17ROCPRIM_400000_NS6detail17trampoline_kernelINS0_14default_configENS1_25transform_config_selectorIyLb0EEEZNS1_14transform_implILb0ES3_S5_PyN6thrust23THRUST_200600_302600_NS6detail15normal_iteratorINS9_10device_ptrIyEEEENS0_8identityIyEEEE10hipError_tT2_T3_mT4_P12ihipStream_tbEUlT_E_NS1_11comp_targetILNS1_3genE3ELNS1_11target_archE908ELNS1_3gpuE7ELNS1_3repE0EEENS1_30default_config_static_selectorELNS0_4arch9wavefront6targetE1EEEvT1_,"axG",@progbits,_ZN7rocprim17ROCPRIM_400000_NS6detail17trampoline_kernelINS0_14default_configENS1_25transform_config_selectorIyLb0EEEZNS1_14transform_implILb0ES3_S5_PyN6thrust23THRUST_200600_302600_NS6detail15normal_iteratorINS9_10device_ptrIyEEEENS0_8identityIyEEEE10hipError_tT2_T3_mT4_P12ihipStream_tbEUlT_E_NS1_11comp_targetILNS1_3genE3ELNS1_11target_archE908ELNS1_3gpuE7ELNS1_3repE0EEENS1_30default_config_static_selectorELNS0_4arch9wavefront6targetE1EEEvT1_,comdat
.Lfunc_end447:
	.size	_ZN7rocprim17ROCPRIM_400000_NS6detail17trampoline_kernelINS0_14default_configENS1_25transform_config_selectorIyLb0EEEZNS1_14transform_implILb0ES3_S5_PyN6thrust23THRUST_200600_302600_NS6detail15normal_iteratorINS9_10device_ptrIyEEEENS0_8identityIyEEEE10hipError_tT2_T3_mT4_P12ihipStream_tbEUlT_E_NS1_11comp_targetILNS1_3genE3ELNS1_11target_archE908ELNS1_3gpuE7ELNS1_3repE0EEENS1_30default_config_static_selectorELNS0_4arch9wavefront6targetE1EEEvT1_, .Lfunc_end447-_ZN7rocprim17ROCPRIM_400000_NS6detail17trampoline_kernelINS0_14default_configENS1_25transform_config_selectorIyLb0EEEZNS1_14transform_implILb0ES3_S5_PyN6thrust23THRUST_200600_302600_NS6detail15normal_iteratorINS9_10device_ptrIyEEEENS0_8identityIyEEEE10hipError_tT2_T3_mT4_P12ihipStream_tbEUlT_E_NS1_11comp_targetILNS1_3genE3ELNS1_11target_archE908ELNS1_3gpuE7ELNS1_3repE0EEENS1_30default_config_static_selectorELNS0_4arch9wavefront6targetE1EEEvT1_
                                        ; -- End function
	.set _ZN7rocprim17ROCPRIM_400000_NS6detail17trampoline_kernelINS0_14default_configENS1_25transform_config_selectorIyLb0EEEZNS1_14transform_implILb0ES3_S5_PyN6thrust23THRUST_200600_302600_NS6detail15normal_iteratorINS9_10device_ptrIyEEEENS0_8identityIyEEEE10hipError_tT2_T3_mT4_P12ihipStream_tbEUlT_E_NS1_11comp_targetILNS1_3genE3ELNS1_11target_archE908ELNS1_3gpuE7ELNS1_3repE0EEENS1_30default_config_static_selectorELNS0_4arch9wavefront6targetE1EEEvT1_.num_vgpr, 0
	.set _ZN7rocprim17ROCPRIM_400000_NS6detail17trampoline_kernelINS0_14default_configENS1_25transform_config_selectorIyLb0EEEZNS1_14transform_implILb0ES3_S5_PyN6thrust23THRUST_200600_302600_NS6detail15normal_iteratorINS9_10device_ptrIyEEEENS0_8identityIyEEEE10hipError_tT2_T3_mT4_P12ihipStream_tbEUlT_E_NS1_11comp_targetILNS1_3genE3ELNS1_11target_archE908ELNS1_3gpuE7ELNS1_3repE0EEENS1_30default_config_static_selectorELNS0_4arch9wavefront6targetE1EEEvT1_.num_agpr, 0
	.set _ZN7rocprim17ROCPRIM_400000_NS6detail17trampoline_kernelINS0_14default_configENS1_25transform_config_selectorIyLb0EEEZNS1_14transform_implILb0ES3_S5_PyN6thrust23THRUST_200600_302600_NS6detail15normal_iteratorINS9_10device_ptrIyEEEENS0_8identityIyEEEE10hipError_tT2_T3_mT4_P12ihipStream_tbEUlT_E_NS1_11comp_targetILNS1_3genE3ELNS1_11target_archE908ELNS1_3gpuE7ELNS1_3repE0EEENS1_30default_config_static_selectorELNS0_4arch9wavefront6targetE1EEEvT1_.numbered_sgpr, 0
	.set _ZN7rocprim17ROCPRIM_400000_NS6detail17trampoline_kernelINS0_14default_configENS1_25transform_config_selectorIyLb0EEEZNS1_14transform_implILb0ES3_S5_PyN6thrust23THRUST_200600_302600_NS6detail15normal_iteratorINS9_10device_ptrIyEEEENS0_8identityIyEEEE10hipError_tT2_T3_mT4_P12ihipStream_tbEUlT_E_NS1_11comp_targetILNS1_3genE3ELNS1_11target_archE908ELNS1_3gpuE7ELNS1_3repE0EEENS1_30default_config_static_selectorELNS0_4arch9wavefront6targetE1EEEvT1_.num_named_barrier, 0
	.set _ZN7rocprim17ROCPRIM_400000_NS6detail17trampoline_kernelINS0_14default_configENS1_25transform_config_selectorIyLb0EEEZNS1_14transform_implILb0ES3_S5_PyN6thrust23THRUST_200600_302600_NS6detail15normal_iteratorINS9_10device_ptrIyEEEENS0_8identityIyEEEE10hipError_tT2_T3_mT4_P12ihipStream_tbEUlT_E_NS1_11comp_targetILNS1_3genE3ELNS1_11target_archE908ELNS1_3gpuE7ELNS1_3repE0EEENS1_30default_config_static_selectorELNS0_4arch9wavefront6targetE1EEEvT1_.private_seg_size, 0
	.set _ZN7rocprim17ROCPRIM_400000_NS6detail17trampoline_kernelINS0_14default_configENS1_25transform_config_selectorIyLb0EEEZNS1_14transform_implILb0ES3_S5_PyN6thrust23THRUST_200600_302600_NS6detail15normal_iteratorINS9_10device_ptrIyEEEENS0_8identityIyEEEE10hipError_tT2_T3_mT4_P12ihipStream_tbEUlT_E_NS1_11comp_targetILNS1_3genE3ELNS1_11target_archE908ELNS1_3gpuE7ELNS1_3repE0EEENS1_30default_config_static_selectorELNS0_4arch9wavefront6targetE1EEEvT1_.uses_vcc, 0
	.set _ZN7rocprim17ROCPRIM_400000_NS6detail17trampoline_kernelINS0_14default_configENS1_25transform_config_selectorIyLb0EEEZNS1_14transform_implILb0ES3_S5_PyN6thrust23THRUST_200600_302600_NS6detail15normal_iteratorINS9_10device_ptrIyEEEENS0_8identityIyEEEE10hipError_tT2_T3_mT4_P12ihipStream_tbEUlT_E_NS1_11comp_targetILNS1_3genE3ELNS1_11target_archE908ELNS1_3gpuE7ELNS1_3repE0EEENS1_30default_config_static_selectorELNS0_4arch9wavefront6targetE1EEEvT1_.uses_flat_scratch, 0
	.set _ZN7rocprim17ROCPRIM_400000_NS6detail17trampoline_kernelINS0_14default_configENS1_25transform_config_selectorIyLb0EEEZNS1_14transform_implILb0ES3_S5_PyN6thrust23THRUST_200600_302600_NS6detail15normal_iteratorINS9_10device_ptrIyEEEENS0_8identityIyEEEE10hipError_tT2_T3_mT4_P12ihipStream_tbEUlT_E_NS1_11comp_targetILNS1_3genE3ELNS1_11target_archE908ELNS1_3gpuE7ELNS1_3repE0EEENS1_30default_config_static_selectorELNS0_4arch9wavefront6targetE1EEEvT1_.has_dyn_sized_stack, 0
	.set _ZN7rocprim17ROCPRIM_400000_NS6detail17trampoline_kernelINS0_14default_configENS1_25transform_config_selectorIyLb0EEEZNS1_14transform_implILb0ES3_S5_PyN6thrust23THRUST_200600_302600_NS6detail15normal_iteratorINS9_10device_ptrIyEEEENS0_8identityIyEEEE10hipError_tT2_T3_mT4_P12ihipStream_tbEUlT_E_NS1_11comp_targetILNS1_3genE3ELNS1_11target_archE908ELNS1_3gpuE7ELNS1_3repE0EEENS1_30default_config_static_selectorELNS0_4arch9wavefront6targetE1EEEvT1_.has_recursion, 0
	.set _ZN7rocprim17ROCPRIM_400000_NS6detail17trampoline_kernelINS0_14default_configENS1_25transform_config_selectorIyLb0EEEZNS1_14transform_implILb0ES3_S5_PyN6thrust23THRUST_200600_302600_NS6detail15normal_iteratorINS9_10device_ptrIyEEEENS0_8identityIyEEEE10hipError_tT2_T3_mT4_P12ihipStream_tbEUlT_E_NS1_11comp_targetILNS1_3genE3ELNS1_11target_archE908ELNS1_3gpuE7ELNS1_3repE0EEENS1_30default_config_static_selectorELNS0_4arch9wavefront6targetE1EEEvT1_.has_indirect_call, 0
	.section	.AMDGPU.csdata,"",@progbits
; Kernel info:
; codeLenInByte = 0
; TotalNumSgprs: 6
; NumVgprs: 0
; NumAgprs: 0
; TotalNumVgprs: 0
; ScratchSize: 0
; MemoryBound: 0
; FloatMode: 240
; IeeeMode: 1
; LDSByteSize: 0 bytes/workgroup (compile time only)
; SGPRBlocks: 0
; VGPRBlocks: 0
; NumSGPRsForWavesPerEU: 6
; NumVGPRsForWavesPerEU: 1
; AccumOffset: 4
; Occupancy: 8
; WaveLimiterHint : 0
; COMPUTE_PGM_RSRC2:SCRATCH_EN: 0
; COMPUTE_PGM_RSRC2:USER_SGPR: 2
; COMPUTE_PGM_RSRC2:TRAP_HANDLER: 0
; COMPUTE_PGM_RSRC2:TGID_X_EN: 1
; COMPUTE_PGM_RSRC2:TGID_Y_EN: 0
; COMPUTE_PGM_RSRC2:TGID_Z_EN: 0
; COMPUTE_PGM_RSRC2:TIDIG_COMP_CNT: 0
; COMPUTE_PGM_RSRC3_GFX90A:ACCUM_OFFSET: 0
; COMPUTE_PGM_RSRC3_GFX90A:TG_SPLIT: 0
	.section	.text._ZN7rocprim17ROCPRIM_400000_NS6detail17trampoline_kernelINS0_14default_configENS1_25transform_config_selectorIyLb0EEEZNS1_14transform_implILb0ES3_S5_PyN6thrust23THRUST_200600_302600_NS6detail15normal_iteratorINS9_10device_ptrIyEEEENS0_8identityIyEEEE10hipError_tT2_T3_mT4_P12ihipStream_tbEUlT_E_NS1_11comp_targetILNS1_3genE2ELNS1_11target_archE906ELNS1_3gpuE6ELNS1_3repE0EEENS1_30default_config_static_selectorELNS0_4arch9wavefront6targetE1EEEvT1_,"axG",@progbits,_ZN7rocprim17ROCPRIM_400000_NS6detail17trampoline_kernelINS0_14default_configENS1_25transform_config_selectorIyLb0EEEZNS1_14transform_implILb0ES3_S5_PyN6thrust23THRUST_200600_302600_NS6detail15normal_iteratorINS9_10device_ptrIyEEEENS0_8identityIyEEEE10hipError_tT2_T3_mT4_P12ihipStream_tbEUlT_E_NS1_11comp_targetILNS1_3genE2ELNS1_11target_archE906ELNS1_3gpuE6ELNS1_3repE0EEENS1_30default_config_static_selectorELNS0_4arch9wavefront6targetE1EEEvT1_,comdat
	.protected	_ZN7rocprim17ROCPRIM_400000_NS6detail17trampoline_kernelINS0_14default_configENS1_25transform_config_selectorIyLb0EEEZNS1_14transform_implILb0ES3_S5_PyN6thrust23THRUST_200600_302600_NS6detail15normal_iteratorINS9_10device_ptrIyEEEENS0_8identityIyEEEE10hipError_tT2_T3_mT4_P12ihipStream_tbEUlT_E_NS1_11comp_targetILNS1_3genE2ELNS1_11target_archE906ELNS1_3gpuE6ELNS1_3repE0EEENS1_30default_config_static_selectorELNS0_4arch9wavefront6targetE1EEEvT1_ ; -- Begin function _ZN7rocprim17ROCPRIM_400000_NS6detail17trampoline_kernelINS0_14default_configENS1_25transform_config_selectorIyLb0EEEZNS1_14transform_implILb0ES3_S5_PyN6thrust23THRUST_200600_302600_NS6detail15normal_iteratorINS9_10device_ptrIyEEEENS0_8identityIyEEEE10hipError_tT2_T3_mT4_P12ihipStream_tbEUlT_E_NS1_11comp_targetILNS1_3genE2ELNS1_11target_archE906ELNS1_3gpuE6ELNS1_3repE0EEENS1_30default_config_static_selectorELNS0_4arch9wavefront6targetE1EEEvT1_
	.globl	_ZN7rocprim17ROCPRIM_400000_NS6detail17trampoline_kernelINS0_14default_configENS1_25transform_config_selectorIyLb0EEEZNS1_14transform_implILb0ES3_S5_PyN6thrust23THRUST_200600_302600_NS6detail15normal_iteratorINS9_10device_ptrIyEEEENS0_8identityIyEEEE10hipError_tT2_T3_mT4_P12ihipStream_tbEUlT_E_NS1_11comp_targetILNS1_3genE2ELNS1_11target_archE906ELNS1_3gpuE6ELNS1_3repE0EEENS1_30default_config_static_selectorELNS0_4arch9wavefront6targetE1EEEvT1_
	.p2align	8
	.type	_ZN7rocprim17ROCPRIM_400000_NS6detail17trampoline_kernelINS0_14default_configENS1_25transform_config_selectorIyLb0EEEZNS1_14transform_implILb0ES3_S5_PyN6thrust23THRUST_200600_302600_NS6detail15normal_iteratorINS9_10device_ptrIyEEEENS0_8identityIyEEEE10hipError_tT2_T3_mT4_P12ihipStream_tbEUlT_E_NS1_11comp_targetILNS1_3genE2ELNS1_11target_archE906ELNS1_3gpuE6ELNS1_3repE0EEENS1_30default_config_static_selectorELNS0_4arch9wavefront6targetE1EEEvT1_,@function
_ZN7rocprim17ROCPRIM_400000_NS6detail17trampoline_kernelINS0_14default_configENS1_25transform_config_selectorIyLb0EEEZNS1_14transform_implILb0ES3_S5_PyN6thrust23THRUST_200600_302600_NS6detail15normal_iteratorINS9_10device_ptrIyEEEENS0_8identityIyEEEE10hipError_tT2_T3_mT4_P12ihipStream_tbEUlT_E_NS1_11comp_targetILNS1_3genE2ELNS1_11target_archE906ELNS1_3gpuE6ELNS1_3repE0EEENS1_30default_config_static_selectorELNS0_4arch9wavefront6targetE1EEEvT1_: ; @_ZN7rocprim17ROCPRIM_400000_NS6detail17trampoline_kernelINS0_14default_configENS1_25transform_config_selectorIyLb0EEEZNS1_14transform_implILb0ES3_S5_PyN6thrust23THRUST_200600_302600_NS6detail15normal_iteratorINS9_10device_ptrIyEEEENS0_8identityIyEEEE10hipError_tT2_T3_mT4_P12ihipStream_tbEUlT_E_NS1_11comp_targetILNS1_3genE2ELNS1_11target_archE906ELNS1_3gpuE6ELNS1_3repE0EEENS1_30default_config_static_selectorELNS0_4arch9wavefront6targetE1EEEvT1_
; %bb.0:
	.section	.rodata,"a",@progbits
	.p2align	6, 0x0
	.amdhsa_kernel _ZN7rocprim17ROCPRIM_400000_NS6detail17trampoline_kernelINS0_14default_configENS1_25transform_config_selectorIyLb0EEEZNS1_14transform_implILb0ES3_S5_PyN6thrust23THRUST_200600_302600_NS6detail15normal_iteratorINS9_10device_ptrIyEEEENS0_8identityIyEEEE10hipError_tT2_T3_mT4_P12ihipStream_tbEUlT_E_NS1_11comp_targetILNS1_3genE2ELNS1_11target_archE906ELNS1_3gpuE6ELNS1_3repE0EEENS1_30default_config_static_selectorELNS0_4arch9wavefront6targetE1EEEvT1_
		.amdhsa_group_segment_fixed_size 0
		.amdhsa_private_segment_fixed_size 0
		.amdhsa_kernarg_size 40
		.amdhsa_user_sgpr_count 2
		.amdhsa_user_sgpr_dispatch_ptr 0
		.amdhsa_user_sgpr_queue_ptr 0
		.amdhsa_user_sgpr_kernarg_segment_ptr 1
		.amdhsa_user_sgpr_dispatch_id 0
		.amdhsa_user_sgpr_kernarg_preload_length 0
		.amdhsa_user_sgpr_kernarg_preload_offset 0
		.amdhsa_user_sgpr_private_segment_size 0
		.amdhsa_uses_dynamic_stack 0
		.amdhsa_enable_private_segment 0
		.amdhsa_system_sgpr_workgroup_id_x 1
		.amdhsa_system_sgpr_workgroup_id_y 0
		.amdhsa_system_sgpr_workgroup_id_z 0
		.amdhsa_system_sgpr_workgroup_info 0
		.amdhsa_system_vgpr_workitem_id 0
		.amdhsa_next_free_vgpr 1
		.amdhsa_next_free_sgpr 0
		.amdhsa_accum_offset 4
		.amdhsa_reserve_vcc 0
		.amdhsa_float_round_mode_32 0
		.amdhsa_float_round_mode_16_64 0
		.amdhsa_float_denorm_mode_32 3
		.amdhsa_float_denorm_mode_16_64 3
		.amdhsa_dx10_clamp 1
		.amdhsa_ieee_mode 1
		.amdhsa_fp16_overflow 0
		.amdhsa_tg_split 0
		.amdhsa_exception_fp_ieee_invalid_op 0
		.amdhsa_exception_fp_denorm_src 0
		.amdhsa_exception_fp_ieee_div_zero 0
		.amdhsa_exception_fp_ieee_overflow 0
		.amdhsa_exception_fp_ieee_underflow 0
		.amdhsa_exception_fp_ieee_inexact 0
		.amdhsa_exception_int_div_zero 0
	.end_amdhsa_kernel
	.section	.text._ZN7rocprim17ROCPRIM_400000_NS6detail17trampoline_kernelINS0_14default_configENS1_25transform_config_selectorIyLb0EEEZNS1_14transform_implILb0ES3_S5_PyN6thrust23THRUST_200600_302600_NS6detail15normal_iteratorINS9_10device_ptrIyEEEENS0_8identityIyEEEE10hipError_tT2_T3_mT4_P12ihipStream_tbEUlT_E_NS1_11comp_targetILNS1_3genE2ELNS1_11target_archE906ELNS1_3gpuE6ELNS1_3repE0EEENS1_30default_config_static_selectorELNS0_4arch9wavefront6targetE1EEEvT1_,"axG",@progbits,_ZN7rocprim17ROCPRIM_400000_NS6detail17trampoline_kernelINS0_14default_configENS1_25transform_config_selectorIyLb0EEEZNS1_14transform_implILb0ES3_S5_PyN6thrust23THRUST_200600_302600_NS6detail15normal_iteratorINS9_10device_ptrIyEEEENS0_8identityIyEEEE10hipError_tT2_T3_mT4_P12ihipStream_tbEUlT_E_NS1_11comp_targetILNS1_3genE2ELNS1_11target_archE906ELNS1_3gpuE6ELNS1_3repE0EEENS1_30default_config_static_selectorELNS0_4arch9wavefront6targetE1EEEvT1_,comdat
.Lfunc_end448:
	.size	_ZN7rocprim17ROCPRIM_400000_NS6detail17trampoline_kernelINS0_14default_configENS1_25transform_config_selectorIyLb0EEEZNS1_14transform_implILb0ES3_S5_PyN6thrust23THRUST_200600_302600_NS6detail15normal_iteratorINS9_10device_ptrIyEEEENS0_8identityIyEEEE10hipError_tT2_T3_mT4_P12ihipStream_tbEUlT_E_NS1_11comp_targetILNS1_3genE2ELNS1_11target_archE906ELNS1_3gpuE6ELNS1_3repE0EEENS1_30default_config_static_selectorELNS0_4arch9wavefront6targetE1EEEvT1_, .Lfunc_end448-_ZN7rocprim17ROCPRIM_400000_NS6detail17trampoline_kernelINS0_14default_configENS1_25transform_config_selectorIyLb0EEEZNS1_14transform_implILb0ES3_S5_PyN6thrust23THRUST_200600_302600_NS6detail15normal_iteratorINS9_10device_ptrIyEEEENS0_8identityIyEEEE10hipError_tT2_T3_mT4_P12ihipStream_tbEUlT_E_NS1_11comp_targetILNS1_3genE2ELNS1_11target_archE906ELNS1_3gpuE6ELNS1_3repE0EEENS1_30default_config_static_selectorELNS0_4arch9wavefront6targetE1EEEvT1_
                                        ; -- End function
	.set _ZN7rocprim17ROCPRIM_400000_NS6detail17trampoline_kernelINS0_14default_configENS1_25transform_config_selectorIyLb0EEEZNS1_14transform_implILb0ES3_S5_PyN6thrust23THRUST_200600_302600_NS6detail15normal_iteratorINS9_10device_ptrIyEEEENS0_8identityIyEEEE10hipError_tT2_T3_mT4_P12ihipStream_tbEUlT_E_NS1_11comp_targetILNS1_3genE2ELNS1_11target_archE906ELNS1_3gpuE6ELNS1_3repE0EEENS1_30default_config_static_selectorELNS0_4arch9wavefront6targetE1EEEvT1_.num_vgpr, 0
	.set _ZN7rocprim17ROCPRIM_400000_NS6detail17trampoline_kernelINS0_14default_configENS1_25transform_config_selectorIyLb0EEEZNS1_14transform_implILb0ES3_S5_PyN6thrust23THRUST_200600_302600_NS6detail15normal_iteratorINS9_10device_ptrIyEEEENS0_8identityIyEEEE10hipError_tT2_T3_mT4_P12ihipStream_tbEUlT_E_NS1_11comp_targetILNS1_3genE2ELNS1_11target_archE906ELNS1_3gpuE6ELNS1_3repE0EEENS1_30default_config_static_selectorELNS0_4arch9wavefront6targetE1EEEvT1_.num_agpr, 0
	.set _ZN7rocprim17ROCPRIM_400000_NS6detail17trampoline_kernelINS0_14default_configENS1_25transform_config_selectorIyLb0EEEZNS1_14transform_implILb0ES3_S5_PyN6thrust23THRUST_200600_302600_NS6detail15normal_iteratorINS9_10device_ptrIyEEEENS0_8identityIyEEEE10hipError_tT2_T3_mT4_P12ihipStream_tbEUlT_E_NS1_11comp_targetILNS1_3genE2ELNS1_11target_archE906ELNS1_3gpuE6ELNS1_3repE0EEENS1_30default_config_static_selectorELNS0_4arch9wavefront6targetE1EEEvT1_.numbered_sgpr, 0
	.set _ZN7rocprim17ROCPRIM_400000_NS6detail17trampoline_kernelINS0_14default_configENS1_25transform_config_selectorIyLb0EEEZNS1_14transform_implILb0ES3_S5_PyN6thrust23THRUST_200600_302600_NS6detail15normal_iteratorINS9_10device_ptrIyEEEENS0_8identityIyEEEE10hipError_tT2_T3_mT4_P12ihipStream_tbEUlT_E_NS1_11comp_targetILNS1_3genE2ELNS1_11target_archE906ELNS1_3gpuE6ELNS1_3repE0EEENS1_30default_config_static_selectorELNS0_4arch9wavefront6targetE1EEEvT1_.num_named_barrier, 0
	.set _ZN7rocprim17ROCPRIM_400000_NS6detail17trampoline_kernelINS0_14default_configENS1_25transform_config_selectorIyLb0EEEZNS1_14transform_implILb0ES3_S5_PyN6thrust23THRUST_200600_302600_NS6detail15normal_iteratorINS9_10device_ptrIyEEEENS0_8identityIyEEEE10hipError_tT2_T3_mT4_P12ihipStream_tbEUlT_E_NS1_11comp_targetILNS1_3genE2ELNS1_11target_archE906ELNS1_3gpuE6ELNS1_3repE0EEENS1_30default_config_static_selectorELNS0_4arch9wavefront6targetE1EEEvT1_.private_seg_size, 0
	.set _ZN7rocprim17ROCPRIM_400000_NS6detail17trampoline_kernelINS0_14default_configENS1_25transform_config_selectorIyLb0EEEZNS1_14transform_implILb0ES3_S5_PyN6thrust23THRUST_200600_302600_NS6detail15normal_iteratorINS9_10device_ptrIyEEEENS0_8identityIyEEEE10hipError_tT2_T3_mT4_P12ihipStream_tbEUlT_E_NS1_11comp_targetILNS1_3genE2ELNS1_11target_archE906ELNS1_3gpuE6ELNS1_3repE0EEENS1_30default_config_static_selectorELNS0_4arch9wavefront6targetE1EEEvT1_.uses_vcc, 0
	.set _ZN7rocprim17ROCPRIM_400000_NS6detail17trampoline_kernelINS0_14default_configENS1_25transform_config_selectorIyLb0EEEZNS1_14transform_implILb0ES3_S5_PyN6thrust23THRUST_200600_302600_NS6detail15normal_iteratorINS9_10device_ptrIyEEEENS0_8identityIyEEEE10hipError_tT2_T3_mT4_P12ihipStream_tbEUlT_E_NS1_11comp_targetILNS1_3genE2ELNS1_11target_archE906ELNS1_3gpuE6ELNS1_3repE0EEENS1_30default_config_static_selectorELNS0_4arch9wavefront6targetE1EEEvT1_.uses_flat_scratch, 0
	.set _ZN7rocprim17ROCPRIM_400000_NS6detail17trampoline_kernelINS0_14default_configENS1_25transform_config_selectorIyLb0EEEZNS1_14transform_implILb0ES3_S5_PyN6thrust23THRUST_200600_302600_NS6detail15normal_iteratorINS9_10device_ptrIyEEEENS0_8identityIyEEEE10hipError_tT2_T3_mT4_P12ihipStream_tbEUlT_E_NS1_11comp_targetILNS1_3genE2ELNS1_11target_archE906ELNS1_3gpuE6ELNS1_3repE0EEENS1_30default_config_static_selectorELNS0_4arch9wavefront6targetE1EEEvT1_.has_dyn_sized_stack, 0
	.set _ZN7rocprim17ROCPRIM_400000_NS6detail17trampoline_kernelINS0_14default_configENS1_25transform_config_selectorIyLb0EEEZNS1_14transform_implILb0ES3_S5_PyN6thrust23THRUST_200600_302600_NS6detail15normal_iteratorINS9_10device_ptrIyEEEENS0_8identityIyEEEE10hipError_tT2_T3_mT4_P12ihipStream_tbEUlT_E_NS1_11comp_targetILNS1_3genE2ELNS1_11target_archE906ELNS1_3gpuE6ELNS1_3repE0EEENS1_30default_config_static_selectorELNS0_4arch9wavefront6targetE1EEEvT1_.has_recursion, 0
	.set _ZN7rocprim17ROCPRIM_400000_NS6detail17trampoline_kernelINS0_14default_configENS1_25transform_config_selectorIyLb0EEEZNS1_14transform_implILb0ES3_S5_PyN6thrust23THRUST_200600_302600_NS6detail15normal_iteratorINS9_10device_ptrIyEEEENS0_8identityIyEEEE10hipError_tT2_T3_mT4_P12ihipStream_tbEUlT_E_NS1_11comp_targetILNS1_3genE2ELNS1_11target_archE906ELNS1_3gpuE6ELNS1_3repE0EEENS1_30default_config_static_selectorELNS0_4arch9wavefront6targetE1EEEvT1_.has_indirect_call, 0
	.section	.AMDGPU.csdata,"",@progbits
; Kernel info:
; codeLenInByte = 0
; TotalNumSgprs: 6
; NumVgprs: 0
; NumAgprs: 0
; TotalNumVgprs: 0
; ScratchSize: 0
; MemoryBound: 0
; FloatMode: 240
; IeeeMode: 1
; LDSByteSize: 0 bytes/workgroup (compile time only)
; SGPRBlocks: 0
; VGPRBlocks: 0
; NumSGPRsForWavesPerEU: 6
; NumVGPRsForWavesPerEU: 1
; AccumOffset: 4
; Occupancy: 8
; WaveLimiterHint : 0
; COMPUTE_PGM_RSRC2:SCRATCH_EN: 0
; COMPUTE_PGM_RSRC2:USER_SGPR: 2
; COMPUTE_PGM_RSRC2:TRAP_HANDLER: 0
; COMPUTE_PGM_RSRC2:TGID_X_EN: 1
; COMPUTE_PGM_RSRC2:TGID_Y_EN: 0
; COMPUTE_PGM_RSRC2:TGID_Z_EN: 0
; COMPUTE_PGM_RSRC2:TIDIG_COMP_CNT: 0
; COMPUTE_PGM_RSRC3_GFX90A:ACCUM_OFFSET: 0
; COMPUTE_PGM_RSRC3_GFX90A:TG_SPLIT: 0
	.section	.text._ZN7rocprim17ROCPRIM_400000_NS6detail17trampoline_kernelINS0_14default_configENS1_25transform_config_selectorIyLb0EEEZNS1_14transform_implILb0ES3_S5_PyN6thrust23THRUST_200600_302600_NS6detail15normal_iteratorINS9_10device_ptrIyEEEENS0_8identityIyEEEE10hipError_tT2_T3_mT4_P12ihipStream_tbEUlT_E_NS1_11comp_targetILNS1_3genE10ELNS1_11target_archE1201ELNS1_3gpuE5ELNS1_3repE0EEENS1_30default_config_static_selectorELNS0_4arch9wavefront6targetE1EEEvT1_,"axG",@progbits,_ZN7rocprim17ROCPRIM_400000_NS6detail17trampoline_kernelINS0_14default_configENS1_25transform_config_selectorIyLb0EEEZNS1_14transform_implILb0ES3_S5_PyN6thrust23THRUST_200600_302600_NS6detail15normal_iteratorINS9_10device_ptrIyEEEENS0_8identityIyEEEE10hipError_tT2_T3_mT4_P12ihipStream_tbEUlT_E_NS1_11comp_targetILNS1_3genE10ELNS1_11target_archE1201ELNS1_3gpuE5ELNS1_3repE0EEENS1_30default_config_static_selectorELNS0_4arch9wavefront6targetE1EEEvT1_,comdat
	.protected	_ZN7rocprim17ROCPRIM_400000_NS6detail17trampoline_kernelINS0_14default_configENS1_25transform_config_selectorIyLb0EEEZNS1_14transform_implILb0ES3_S5_PyN6thrust23THRUST_200600_302600_NS6detail15normal_iteratorINS9_10device_ptrIyEEEENS0_8identityIyEEEE10hipError_tT2_T3_mT4_P12ihipStream_tbEUlT_E_NS1_11comp_targetILNS1_3genE10ELNS1_11target_archE1201ELNS1_3gpuE5ELNS1_3repE0EEENS1_30default_config_static_selectorELNS0_4arch9wavefront6targetE1EEEvT1_ ; -- Begin function _ZN7rocprim17ROCPRIM_400000_NS6detail17trampoline_kernelINS0_14default_configENS1_25transform_config_selectorIyLb0EEEZNS1_14transform_implILb0ES3_S5_PyN6thrust23THRUST_200600_302600_NS6detail15normal_iteratorINS9_10device_ptrIyEEEENS0_8identityIyEEEE10hipError_tT2_T3_mT4_P12ihipStream_tbEUlT_E_NS1_11comp_targetILNS1_3genE10ELNS1_11target_archE1201ELNS1_3gpuE5ELNS1_3repE0EEENS1_30default_config_static_selectorELNS0_4arch9wavefront6targetE1EEEvT1_
	.globl	_ZN7rocprim17ROCPRIM_400000_NS6detail17trampoline_kernelINS0_14default_configENS1_25transform_config_selectorIyLb0EEEZNS1_14transform_implILb0ES3_S5_PyN6thrust23THRUST_200600_302600_NS6detail15normal_iteratorINS9_10device_ptrIyEEEENS0_8identityIyEEEE10hipError_tT2_T3_mT4_P12ihipStream_tbEUlT_E_NS1_11comp_targetILNS1_3genE10ELNS1_11target_archE1201ELNS1_3gpuE5ELNS1_3repE0EEENS1_30default_config_static_selectorELNS0_4arch9wavefront6targetE1EEEvT1_
	.p2align	8
	.type	_ZN7rocprim17ROCPRIM_400000_NS6detail17trampoline_kernelINS0_14default_configENS1_25transform_config_selectorIyLb0EEEZNS1_14transform_implILb0ES3_S5_PyN6thrust23THRUST_200600_302600_NS6detail15normal_iteratorINS9_10device_ptrIyEEEENS0_8identityIyEEEE10hipError_tT2_T3_mT4_P12ihipStream_tbEUlT_E_NS1_11comp_targetILNS1_3genE10ELNS1_11target_archE1201ELNS1_3gpuE5ELNS1_3repE0EEENS1_30default_config_static_selectorELNS0_4arch9wavefront6targetE1EEEvT1_,@function
_ZN7rocprim17ROCPRIM_400000_NS6detail17trampoline_kernelINS0_14default_configENS1_25transform_config_selectorIyLb0EEEZNS1_14transform_implILb0ES3_S5_PyN6thrust23THRUST_200600_302600_NS6detail15normal_iteratorINS9_10device_ptrIyEEEENS0_8identityIyEEEE10hipError_tT2_T3_mT4_P12ihipStream_tbEUlT_E_NS1_11comp_targetILNS1_3genE10ELNS1_11target_archE1201ELNS1_3gpuE5ELNS1_3repE0EEENS1_30default_config_static_selectorELNS0_4arch9wavefront6targetE1EEEvT1_: ; @_ZN7rocprim17ROCPRIM_400000_NS6detail17trampoline_kernelINS0_14default_configENS1_25transform_config_selectorIyLb0EEEZNS1_14transform_implILb0ES3_S5_PyN6thrust23THRUST_200600_302600_NS6detail15normal_iteratorINS9_10device_ptrIyEEEENS0_8identityIyEEEE10hipError_tT2_T3_mT4_P12ihipStream_tbEUlT_E_NS1_11comp_targetILNS1_3genE10ELNS1_11target_archE1201ELNS1_3gpuE5ELNS1_3repE0EEENS1_30default_config_static_selectorELNS0_4arch9wavefront6targetE1EEEvT1_
; %bb.0:
	.section	.rodata,"a",@progbits
	.p2align	6, 0x0
	.amdhsa_kernel _ZN7rocprim17ROCPRIM_400000_NS6detail17trampoline_kernelINS0_14default_configENS1_25transform_config_selectorIyLb0EEEZNS1_14transform_implILb0ES3_S5_PyN6thrust23THRUST_200600_302600_NS6detail15normal_iteratorINS9_10device_ptrIyEEEENS0_8identityIyEEEE10hipError_tT2_T3_mT4_P12ihipStream_tbEUlT_E_NS1_11comp_targetILNS1_3genE10ELNS1_11target_archE1201ELNS1_3gpuE5ELNS1_3repE0EEENS1_30default_config_static_selectorELNS0_4arch9wavefront6targetE1EEEvT1_
		.amdhsa_group_segment_fixed_size 0
		.amdhsa_private_segment_fixed_size 0
		.amdhsa_kernarg_size 40
		.amdhsa_user_sgpr_count 2
		.amdhsa_user_sgpr_dispatch_ptr 0
		.amdhsa_user_sgpr_queue_ptr 0
		.amdhsa_user_sgpr_kernarg_segment_ptr 1
		.amdhsa_user_sgpr_dispatch_id 0
		.amdhsa_user_sgpr_kernarg_preload_length 0
		.amdhsa_user_sgpr_kernarg_preload_offset 0
		.amdhsa_user_sgpr_private_segment_size 0
		.amdhsa_uses_dynamic_stack 0
		.amdhsa_enable_private_segment 0
		.amdhsa_system_sgpr_workgroup_id_x 1
		.amdhsa_system_sgpr_workgroup_id_y 0
		.amdhsa_system_sgpr_workgroup_id_z 0
		.amdhsa_system_sgpr_workgroup_info 0
		.amdhsa_system_vgpr_workitem_id 0
		.amdhsa_next_free_vgpr 1
		.amdhsa_next_free_sgpr 0
		.amdhsa_accum_offset 4
		.amdhsa_reserve_vcc 0
		.amdhsa_float_round_mode_32 0
		.amdhsa_float_round_mode_16_64 0
		.amdhsa_float_denorm_mode_32 3
		.amdhsa_float_denorm_mode_16_64 3
		.amdhsa_dx10_clamp 1
		.amdhsa_ieee_mode 1
		.amdhsa_fp16_overflow 0
		.amdhsa_tg_split 0
		.amdhsa_exception_fp_ieee_invalid_op 0
		.amdhsa_exception_fp_denorm_src 0
		.amdhsa_exception_fp_ieee_div_zero 0
		.amdhsa_exception_fp_ieee_overflow 0
		.amdhsa_exception_fp_ieee_underflow 0
		.amdhsa_exception_fp_ieee_inexact 0
		.amdhsa_exception_int_div_zero 0
	.end_amdhsa_kernel
	.section	.text._ZN7rocprim17ROCPRIM_400000_NS6detail17trampoline_kernelINS0_14default_configENS1_25transform_config_selectorIyLb0EEEZNS1_14transform_implILb0ES3_S5_PyN6thrust23THRUST_200600_302600_NS6detail15normal_iteratorINS9_10device_ptrIyEEEENS0_8identityIyEEEE10hipError_tT2_T3_mT4_P12ihipStream_tbEUlT_E_NS1_11comp_targetILNS1_3genE10ELNS1_11target_archE1201ELNS1_3gpuE5ELNS1_3repE0EEENS1_30default_config_static_selectorELNS0_4arch9wavefront6targetE1EEEvT1_,"axG",@progbits,_ZN7rocprim17ROCPRIM_400000_NS6detail17trampoline_kernelINS0_14default_configENS1_25transform_config_selectorIyLb0EEEZNS1_14transform_implILb0ES3_S5_PyN6thrust23THRUST_200600_302600_NS6detail15normal_iteratorINS9_10device_ptrIyEEEENS0_8identityIyEEEE10hipError_tT2_T3_mT4_P12ihipStream_tbEUlT_E_NS1_11comp_targetILNS1_3genE10ELNS1_11target_archE1201ELNS1_3gpuE5ELNS1_3repE0EEENS1_30default_config_static_selectorELNS0_4arch9wavefront6targetE1EEEvT1_,comdat
.Lfunc_end449:
	.size	_ZN7rocprim17ROCPRIM_400000_NS6detail17trampoline_kernelINS0_14default_configENS1_25transform_config_selectorIyLb0EEEZNS1_14transform_implILb0ES3_S5_PyN6thrust23THRUST_200600_302600_NS6detail15normal_iteratorINS9_10device_ptrIyEEEENS0_8identityIyEEEE10hipError_tT2_T3_mT4_P12ihipStream_tbEUlT_E_NS1_11comp_targetILNS1_3genE10ELNS1_11target_archE1201ELNS1_3gpuE5ELNS1_3repE0EEENS1_30default_config_static_selectorELNS0_4arch9wavefront6targetE1EEEvT1_, .Lfunc_end449-_ZN7rocprim17ROCPRIM_400000_NS6detail17trampoline_kernelINS0_14default_configENS1_25transform_config_selectorIyLb0EEEZNS1_14transform_implILb0ES3_S5_PyN6thrust23THRUST_200600_302600_NS6detail15normal_iteratorINS9_10device_ptrIyEEEENS0_8identityIyEEEE10hipError_tT2_T3_mT4_P12ihipStream_tbEUlT_E_NS1_11comp_targetILNS1_3genE10ELNS1_11target_archE1201ELNS1_3gpuE5ELNS1_3repE0EEENS1_30default_config_static_selectorELNS0_4arch9wavefront6targetE1EEEvT1_
                                        ; -- End function
	.set _ZN7rocprim17ROCPRIM_400000_NS6detail17trampoline_kernelINS0_14default_configENS1_25transform_config_selectorIyLb0EEEZNS1_14transform_implILb0ES3_S5_PyN6thrust23THRUST_200600_302600_NS6detail15normal_iteratorINS9_10device_ptrIyEEEENS0_8identityIyEEEE10hipError_tT2_T3_mT4_P12ihipStream_tbEUlT_E_NS1_11comp_targetILNS1_3genE10ELNS1_11target_archE1201ELNS1_3gpuE5ELNS1_3repE0EEENS1_30default_config_static_selectorELNS0_4arch9wavefront6targetE1EEEvT1_.num_vgpr, 0
	.set _ZN7rocprim17ROCPRIM_400000_NS6detail17trampoline_kernelINS0_14default_configENS1_25transform_config_selectorIyLb0EEEZNS1_14transform_implILb0ES3_S5_PyN6thrust23THRUST_200600_302600_NS6detail15normal_iteratorINS9_10device_ptrIyEEEENS0_8identityIyEEEE10hipError_tT2_T3_mT4_P12ihipStream_tbEUlT_E_NS1_11comp_targetILNS1_3genE10ELNS1_11target_archE1201ELNS1_3gpuE5ELNS1_3repE0EEENS1_30default_config_static_selectorELNS0_4arch9wavefront6targetE1EEEvT1_.num_agpr, 0
	.set _ZN7rocprim17ROCPRIM_400000_NS6detail17trampoline_kernelINS0_14default_configENS1_25transform_config_selectorIyLb0EEEZNS1_14transform_implILb0ES3_S5_PyN6thrust23THRUST_200600_302600_NS6detail15normal_iteratorINS9_10device_ptrIyEEEENS0_8identityIyEEEE10hipError_tT2_T3_mT4_P12ihipStream_tbEUlT_E_NS1_11comp_targetILNS1_3genE10ELNS1_11target_archE1201ELNS1_3gpuE5ELNS1_3repE0EEENS1_30default_config_static_selectorELNS0_4arch9wavefront6targetE1EEEvT1_.numbered_sgpr, 0
	.set _ZN7rocprim17ROCPRIM_400000_NS6detail17trampoline_kernelINS0_14default_configENS1_25transform_config_selectorIyLb0EEEZNS1_14transform_implILb0ES3_S5_PyN6thrust23THRUST_200600_302600_NS6detail15normal_iteratorINS9_10device_ptrIyEEEENS0_8identityIyEEEE10hipError_tT2_T3_mT4_P12ihipStream_tbEUlT_E_NS1_11comp_targetILNS1_3genE10ELNS1_11target_archE1201ELNS1_3gpuE5ELNS1_3repE0EEENS1_30default_config_static_selectorELNS0_4arch9wavefront6targetE1EEEvT1_.num_named_barrier, 0
	.set _ZN7rocprim17ROCPRIM_400000_NS6detail17trampoline_kernelINS0_14default_configENS1_25transform_config_selectorIyLb0EEEZNS1_14transform_implILb0ES3_S5_PyN6thrust23THRUST_200600_302600_NS6detail15normal_iteratorINS9_10device_ptrIyEEEENS0_8identityIyEEEE10hipError_tT2_T3_mT4_P12ihipStream_tbEUlT_E_NS1_11comp_targetILNS1_3genE10ELNS1_11target_archE1201ELNS1_3gpuE5ELNS1_3repE0EEENS1_30default_config_static_selectorELNS0_4arch9wavefront6targetE1EEEvT1_.private_seg_size, 0
	.set _ZN7rocprim17ROCPRIM_400000_NS6detail17trampoline_kernelINS0_14default_configENS1_25transform_config_selectorIyLb0EEEZNS1_14transform_implILb0ES3_S5_PyN6thrust23THRUST_200600_302600_NS6detail15normal_iteratorINS9_10device_ptrIyEEEENS0_8identityIyEEEE10hipError_tT2_T3_mT4_P12ihipStream_tbEUlT_E_NS1_11comp_targetILNS1_3genE10ELNS1_11target_archE1201ELNS1_3gpuE5ELNS1_3repE0EEENS1_30default_config_static_selectorELNS0_4arch9wavefront6targetE1EEEvT1_.uses_vcc, 0
	.set _ZN7rocprim17ROCPRIM_400000_NS6detail17trampoline_kernelINS0_14default_configENS1_25transform_config_selectorIyLb0EEEZNS1_14transform_implILb0ES3_S5_PyN6thrust23THRUST_200600_302600_NS6detail15normal_iteratorINS9_10device_ptrIyEEEENS0_8identityIyEEEE10hipError_tT2_T3_mT4_P12ihipStream_tbEUlT_E_NS1_11comp_targetILNS1_3genE10ELNS1_11target_archE1201ELNS1_3gpuE5ELNS1_3repE0EEENS1_30default_config_static_selectorELNS0_4arch9wavefront6targetE1EEEvT1_.uses_flat_scratch, 0
	.set _ZN7rocprim17ROCPRIM_400000_NS6detail17trampoline_kernelINS0_14default_configENS1_25transform_config_selectorIyLb0EEEZNS1_14transform_implILb0ES3_S5_PyN6thrust23THRUST_200600_302600_NS6detail15normal_iteratorINS9_10device_ptrIyEEEENS0_8identityIyEEEE10hipError_tT2_T3_mT4_P12ihipStream_tbEUlT_E_NS1_11comp_targetILNS1_3genE10ELNS1_11target_archE1201ELNS1_3gpuE5ELNS1_3repE0EEENS1_30default_config_static_selectorELNS0_4arch9wavefront6targetE1EEEvT1_.has_dyn_sized_stack, 0
	.set _ZN7rocprim17ROCPRIM_400000_NS6detail17trampoline_kernelINS0_14default_configENS1_25transform_config_selectorIyLb0EEEZNS1_14transform_implILb0ES3_S5_PyN6thrust23THRUST_200600_302600_NS6detail15normal_iteratorINS9_10device_ptrIyEEEENS0_8identityIyEEEE10hipError_tT2_T3_mT4_P12ihipStream_tbEUlT_E_NS1_11comp_targetILNS1_3genE10ELNS1_11target_archE1201ELNS1_3gpuE5ELNS1_3repE0EEENS1_30default_config_static_selectorELNS0_4arch9wavefront6targetE1EEEvT1_.has_recursion, 0
	.set _ZN7rocprim17ROCPRIM_400000_NS6detail17trampoline_kernelINS0_14default_configENS1_25transform_config_selectorIyLb0EEEZNS1_14transform_implILb0ES3_S5_PyN6thrust23THRUST_200600_302600_NS6detail15normal_iteratorINS9_10device_ptrIyEEEENS0_8identityIyEEEE10hipError_tT2_T3_mT4_P12ihipStream_tbEUlT_E_NS1_11comp_targetILNS1_3genE10ELNS1_11target_archE1201ELNS1_3gpuE5ELNS1_3repE0EEENS1_30default_config_static_selectorELNS0_4arch9wavefront6targetE1EEEvT1_.has_indirect_call, 0
	.section	.AMDGPU.csdata,"",@progbits
; Kernel info:
; codeLenInByte = 0
; TotalNumSgprs: 6
; NumVgprs: 0
; NumAgprs: 0
; TotalNumVgprs: 0
; ScratchSize: 0
; MemoryBound: 0
; FloatMode: 240
; IeeeMode: 1
; LDSByteSize: 0 bytes/workgroup (compile time only)
; SGPRBlocks: 0
; VGPRBlocks: 0
; NumSGPRsForWavesPerEU: 6
; NumVGPRsForWavesPerEU: 1
; AccumOffset: 4
; Occupancy: 8
; WaveLimiterHint : 0
; COMPUTE_PGM_RSRC2:SCRATCH_EN: 0
; COMPUTE_PGM_RSRC2:USER_SGPR: 2
; COMPUTE_PGM_RSRC2:TRAP_HANDLER: 0
; COMPUTE_PGM_RSRC2:TGID_X_EN: 1
; COMPUTE_PGM_RSRC2:TGID_Y_EN: 0
; COMPUTE_PGM_RSRC2:TGID_Z_EN: 0
; COMPUTE_PGM_RSRC2:TIDIG_COMP_CNT: 0
; COMPUTE_PGM_RSRC3_GFX90A:ACCUM_OFFSET: 0
; COMPUTE_PGM_RSRC3_GFX90A:TG_SPLIT: 0
	.section	.text._ZN7rocprim17ROCPRIM_400000_NS6detail17trampoline_kernelINS0_14default_configENS1_25transform_config_selectorIyLb0EEEZNS1_14transform_implILb0ES3_S5_PyN6thrust23THRUST_200600_302600_NS6detail15normal_iteratorINS9_10device_ptrIyEEEENS0_8identityIyEEEE10hipError_tT2_T3_mT4_P12ihipStream_tbEUlT_E_NS1_11comp_targetILNS1_3genE10ELNS1_11target_archE1200ELNS1_3gpuE4ELNS1_3repE0EEENS1_30default_config_static_selectorELNS0_4arch9wavefront6targetE1EEEvT1_,"axG",@progbits,_ZN7rocprim17ROCPRIM_400000_NS6detail17trampoline_kernelINS0_14default_configENS1_25transform_config_selectorIyLb0EEEZNS1_14transform_implILb0ES3_S5_PyN6thrust23THRUST_200600_302600_NS6detail15normal_iteratorINS9_10device_ptrIyEEEENS0_8identityIyEEEE10hipError_tT2_T3_mT4_P12ihipStream_tbEUlT_E_NS1_11comp_targetILNS1_3genE10ELNS1_11target_archE1200ELNS1_3gpuE4ELNS1_3repE0EEENS1_30default_config_static_selectorELNS0_4arch9wavefront6targetE1EEEvT1_,comdat
	.protected	_ZN7rocprim17ROCPRIM_400000_NS6detail17trampoline_kernelINS0_14default_configENS1_25transform_config_selectorIyLb0EEEZNS1_14transform_implILb0ES3_S5_PyN6thrust23THRUST_200600_302600_NS6detail15normal_iteratorINS9_10device_ptrIyEEEENS0_8identityIyEEEE10hipError_tT2_T3_mT4_P12ihipStream_tbEUlT_E_NS1_11comp_targetILNS1_3genE10ELNS1_11target_archE1200ELNS1_3gpuE4ELNS1_3repE0EEENS1_30default_config_static_selectorELNS0_4arch9wavefront6targetE1EEEvT1_ ; -- Begin function _ZN7rocprim17ROCPRIM_400000_NS6detail17trampoline_kernelINS0_14default_configENS1_25transform_config_selectorIyLb0EEEZNS1_14transform_implILb0ES3_S5_PyN6thrust23THRUST_200600_302600_NS6detail15normal_iteratorINS9_10device_ptrIyEEEENS0_8identityIyEEEE10hipError_tT2_T3_mT4_P12ihipStream_tbEUlT_E_NS1_11comp_targetILNS1_3genE10ELNS1_11target_archE1200ELNS1_3gpuE4ELNS1_3repE0EEENS1_30default_config_static_selectorELNS0_4arch9wavefront6targetE1EEEvT1_
	.globl	_ZN7rocprim17ROCPRIM_400000_NS6detail17trampoline_kernelINS0_14default_configENS1_25transform_config_selectorIyLb0EEEZNS1_14transform_implILb0ES3_S5_PyN6thrust23THRUST_200600_302600_NS6detail15normal_iteratorINS9_10device_ptrIyEEEENS0_8identityIyEEEE10hipError_tT2_T3_mT4_P12ihipStream_tbEUlT_E_NS1_11comp_targetILNS1_3genE10ELNS1_11target_archE1200ELNS1_3gpuE4ELNS1_3repE0EEENS1_30default_config_static_selectorELNS0_4arch9wavefront6targetE1EEEvT1_
	.p2align	8
	.type	_ZN7rocprim17ROCPRIM_400000_NS6detail17trampoline_kernelINS0_14default_configENS1_25transform_config_selectorIyLb0EEEZNS1_14transform_implILb0ES3_S5_PyN6thrust23THRUST_200600_302600_NS6detail15normal_iteratorINS9_10device_ptrIyEEEENS0_8identityIyEEEE10hipError_tT2_T3_mT4_P12ihipStream_tbEUlT_E_NS1_11comp_targetILNS1_3genE10ELNS1_11target_archE1200ELNS1_3gpuE4ELNS1_3repE0EEENS1_30default_config_static_selectorELNS0_4arch9wavefront6targetE1EEEvT1_,@function
_ZN7rocprim17ROCPRIM_400000_NS6detail17trampoline_kernelINS0_14default_configENS1_25transform_config_selectorIyLb0EEEZNS1_14transform_implILb0ES3_S5_PyN6thrust23THRUST_200600_302600_NS6detail15normal_iteratorINS9_10device_ptrIyEEEENS0_8identityIyEEEE10hipError_tT2_T3_mT4_P12ihipStream_tbEUlT_E_NS1_11comp_targetILNS1_3genE10ELNS1_11target_archE1200ELNS1_3gpuE4ELNS1_3repE0EEENS1_30default_config_static_selectorELNS0_4arch9wavefront6targetE1EEEvT1_: ; @_ZN7rocprim17ROCPRIM_400000_NS6detail17trampoline_kernelINS0_14default_configENS1_25transform_config_selectorIyLb0EEEZNS1_14transform_implILb0ES3_S5_PyN6thrust23THRUST_200600_302600_NS6detail15normal_iteratorINS9_10device_ptrIyEEEENS0_8identityIyEEEE10hipError_tT2_T3_mT4_P12ihipStream_tbEUlT_E_NS1_11comp_targetILNS1_3genE10ELNS1_11target_archE1200ELNS1_3gpuE4ELNS1_3repE0EEENS1_30default_config_static_selectorELNS0_4arch9wavefront6targetE1EEEvT1_
; %bb.0:
	.section	.rodata,"a",@progbits
	.p2align	6, 0x0
	.amdhsa_kernel _ZN7rocprim17ROCPRIM_400000_NS6detail17trampoline_kernelINS0_14default_configENS1_25transform_config_selectorIyLb0EEEZNS1_14transform_implILb0ES3_S5_PyN6thrust23THRUST_200600_302600_NS6detail15normal_iteratorINS9_10device_ptrIyEEEENS0_8identityIyEEEE10hipError_tT2_T3_mT4_P12ihipStream_tbEUlT_E_NS1_11comp_targetILNS1_3genE10ELNS1_11target_archE1200ELNS1_3gpuE4ELNS1_3repE0EEENS1_30default_config_static_selectorELNS0_4arch9wavefront6targetE1EEEvT1_
		.amdhsa_group_segment_fixed_size 0
		.amdhsa_private_segment_fixed_size 0
		.amdhsa_kernarg_size 40
		.amdhsa_user_sgpr_count 2
		.amdhsa_user_sgpr_dispatch_ptr 0
		.amdhsa_user_sgpr_queue_ptr 0
		.amdhsa_user_sgpr_kernarg_segment_ptr 1
		.amdhsa_user_sgpr_dispatch_id 0
		.amdhsa_user_sgpr_kernarg_preload_length 0
		.amdhsa_user_sgpr_kernarg_preload_offset 0
		.amdhsa_user_sgpr_private_segment_size 0
		.amdhsa_uses_dynamic_stack 0
		.amdhsa_enable_private_segment 0
		.amdhsa_system_sgpr_workgroup_id_x 1
		.amdhsa_system_sgpr_workgroup_id_y 0
		.amdhsa_system_sgpr_workgroup_id_z 0
		.amdhsa_system_sgpr_workgroup_info 0
		.amdhsa_system_vgpr_workitem_id 0
		.amdhsa_next_free_vgpr 1
		.amdhsa_next_free_sgpr 0
		.amdhsa_accum_offset 4
		.amdhsa_reserve_vcc 0
		.amdhsa_float_round_mode_32 0
		.amdhsa_float_round_mode_16_64 0
		.amdhsa_float_denorm_mode_32 3
		.amdhsa_float_denorm_mode_16_64 3
		.amdhsa_dx10_clamp 1
		.amdhsa_ieee_mode 1
		.amdhsa_fp16_overflow 0
		.amdhsa_tg_split 0
		.amdhsa_exception_fp_ieee_invalid_op 0
		.amdhsa_exception_fp_denorm_src 0
		.amdhsa_exception_fp_ieee_div_zero 0
		.amdhsa_exception_fp_ieee_overflow 0
		.amdhsa_exception_fp_ieee_underflow 0
		.amdhsa_exception_fp_ieee_inexact 0
		.amdhsa_exception_int_div_zero 0
	.end_amdhsa_kernel
	.section	.text._ZN7rocprim17ROCPRIM_400000_NS6detail17trampoline_kernelINS0_14default_configENS1_25transform_config_selectorIyLb0EEEZNS1_14transform_implILb0ES3_S5_PyN6thrust23THRUST_200600_302600_NS6detail15normal_iteratorINS9_10device_ptrIyEEEENS0_8identityIyEEEE10hipError_tT2_T3_mT4_P12ihipStream_tbEUlT_E_NS1_11comp_targetILNS1_3genE10ELNS1_11target_archE1200ELNS1_3gpuE4ELNS1_3repE0EEENS1_30default_config_static_selectorELNS0_4arch9wavefront6targetE1EEEvT1_,"axG",@progbits,_ZN7rocprim17ROCPRIM_400000_NS6detail17trampoline_kernelINS0_14default_configENS1_25transform_config_selectorIyLb0EEEZNS1_14transform_implILb0ES3_S5_PyN6thrust23THRUST_200600_302600_NS6detail15normal_iteratorINS9_10device_ptrIyEEEENS0_8identityIyEEEE10hipError_tT2_T3_mT4_P12ihipStream_tbEUlT_E_NS1_11comp_targetILNS1_3genE10ELNS1_11target_archE1200ELNS1_3gpuE4ELNS1_3repE0EEENS1_30default_config_static_selectorELNS0_4arch9wavefront6targetE1EEEvT1_,comdat
.Lfunc_end450:
	.size	_ZN7rocprim17ROCPRIM_400000_NS6detail17trampoline_kernelINS0_14default_configENS1_25transform_config_selectorIyLb0EEEZNS1_14transform_implILb0ES3_S5_PyN6thrust23THRUST_200600_302600_NS6detail15normal_iteratorINS9_10device_ptrIyEEEENS0_8identityIyEEEE10hipError_tT2_T3_mT4_P12ihipStream_tbEUlT_E_NS1_11comp_targetILNS1_3genE10ELNS1_11target_archE1200ELNS1_3gpuE4ELNS1_3repE0EEENS1_30default_config_static_selectorELNS0_4arch9wavefront6targetE1EEEvT1_, .Lfunc_end450-_ZN7rocprim17ROCPRIM_400000_NS6detail17trampoline_kernelINS0_14default_configENS1_25transform_config_selectorIyLb0EEEZNS1_14transform_implILb0ES3_S5_PyN6thrust23THRUST_200600_302600_NS6detail15normal_iteratorINS9_10device_ptrIyEEEENS0_8identityIyEEEE10hipError_tT2_T3_mT4_P12ihipStream_tbEUlT_E_NS1_11comp_targetILNS1_3genE10ELNS1_11target_archE1200ELNS1_3gpuE4ELNS1_3repE0EEENS1_30default_config_static_selectorELNS0_4arch9wavefront6targetE1EEEvT1_
                                        ; -- End function
	.set _ZN7rocprim17ROCPRIM_400000_NS6detail17trampoline_kernelINS0_14default_configENS1_25transform_config_selectorIyLb0EEEZNS1_14transform_implILb0ES3_S5_PyN6thrust23THRUST_200600_302600_NS6detail15normal_iteratorINS9_10device_ptrIyEEEENS0_8identityIyEEEE10hipError_tT2_T3_mT4_P12ihipStream_tbEUlT_E_NS1_11comp_targetILNS1_3genE10ELNS1_11target_archE1200ELNS1_3gpuE4ELNS1_3repE0EEENS1_30default_config_static_selectorELNS0_4arch9wavefront6targetE1EEEvT1_.num_vgpr, 0
	.set _ZN7rocprim17ROCPRIM_400000_NS6detail17trampoline_kernelINS0_14default_configENS1_25transform_config_selectorIyLb0EEEZNS1_14transform_implILb0ES3_S5_PyN6thrust23THRUST_200600_302600_NS6detail15normal_iteratorINS9_10device_ptrIyEEEENS0_8identityIyEEEE10hipError_tT2_T3_mT4_P12ihipStream_tbEUlT_E_NS1_11comp_targetILNS1_3genE10ELNS1_11target_archE1200ELNS1_3gpuE4ELNS1_3repE0EEENS1_30default_config_static_selectorELNS0_4arch9wavefront6targetE1EEEvT1_.num_agpr, 0
	.set _ZN7rocprim17ROCPRIM_400000_NS6detail17trampoline_kernelINS0_14default_configENS1_25transform_config_selectorIyLb0EEEZNS1_14transform_implILb0ES3_S5_PyN6thrust23THRUST_200600_302600_NS6detail15normal_iteratorINS9_10device_ptrIyEEEENS0_8identityIyEEEE10hipError_tT2_T3_mT4_P12ihipStream_tbEUlT_E_NS1_11comp_targetILNS1_3genE10ELNS1_11target_archE1200ELNS1_3gpuE4ELNS1_3repE0EEENS1_30default_config_static_selectorELNS0_4arch9wavefront6targetE1EEEvT1_.numbered_sgpr, 0
	.set _ZN7rocprim17ROCPRIM_400000_NS6detail17trampoline_kernelINS0_14default_configENS1_25transform_config_selectorIyLb0EEEZNS1_14transform_implILb0ES3_S5_PyN6thrust23THRUST_200600_302600_NS6detail15normal_iteratorINS9_10device_ptrIyEEEENS0_8identityIyEEEE10hipError_tT2_T3_mT4_P12ihipStream_tbEUlT_E_NS1_11comp_targetILNS1_3genE10ELNS1_11target_archE1200ELNS1_3gpuE4ELNS1_3repE0EEENS1_30default_config_static_selectorELNS0_4arch9wavefront6targetE1EEEvT1_.num_named_barrier, 0
	.set _ZN7rocprim17ROCPRIM_400000_NS6detail17trampoline_kernelINS0_14default_configENS1_25transform_config_selectorIyLb0EEEZNS1_14transform_implILb0ES3_S5_PyN6thrust23THRUST_200600_302600_NS6detail15normal_iteratorINS9_10device_ptrIyEEEENS0_8identityIyEEEE10hipError_tT2_T3_mT4_P12ihipStream_tbEUlT_E_NS1_11comp_targetILNS1_3genE10ELNS1_11target_archE1200ELNS1_3gpuE4ELNS1_3repE0EEENS1_30default_config_static_selectorELNS0_4arch9wavefront6targetE1EEEvT1_.private_seg_size, 0
	.set _ZN7rocprim17ROCPRIM_400000_NS6detail17trampoline_kernelINS0_14default_configENS1_25transform_config_selectorIyLb0EEEZNS1_14transform_implILb0ES3_S5_PyN6thrust23THRUST_200600_302600_NS6detail15normal_iteratorINS9_10device_ptrIyEEEENS0_8identityIyEEEE10hipError_tT2_T3_mT4_P12ihipStream_tbEUlT_E_NS1_11comp_targetILNS1_3genE10ELNS1_11target_archE1200ELNS1_3gpuE4ELNS1_3repE0EEENS1_30default_config_static_selectorELNS0_4arch9wavefront6targetE1EEEvT1_.uses_vcc, 0
	.set _ZN7rocprim17ROCPRIM_400000_NS6detail17trampoline_kernelINS0_14default_configENS1_25transform_config_selectorIyLb0EEEZNS1_14transform_implILb0ES3_S5_PyN6thrust23THRUST_200600_302600_NS6detail15normal_iteratorINS9_10device_ptrIyEEEENS0_8identityIyEEEE10hipError_tT2_T3_mT4_P12ihipStream_tbEUlT_E_NS1_11comp_targetILNS1_3genE10ELNS1_11target_archE1200ELNS1_3gpuE4ELNS1_3repE0EEENS1_30default_config_static_selectorELNS0_4arch9wavefront6targetE1EEEvT1_.uses_flat_scratch, 0
	.set _ZN7rocprim17ROCPRIM_400000_NS6detail17trampoline_kernelINS0_14default_configENS1_25transform_config_selectorIyLb0EEEZNS1_14transform_implILb0ES3_S5_PyN6thrust23THRUST_200600_302600_NS6detail15normal_iteratorINS9_10device_ptrIyEEEENS0_8identityIyEEEE10hipError_tT2_T3_mT4_P12ihipStream_tbEUlT_E_NS1_11comp_targetILNS1_3genE10ELNS1_11target_archE1200ELNS1_3gpuE4ELNS1_3repE0EEENS1_30default_config_static_selectorELNS0_4arch9wavefront6targetE1EEEvT1_.has_dyn_sized_stack, 0
	.set _ZN7rocprim17ROCPRIM_400000_NS6detail17trampoline_kernelINS0_14default_configENS1_25transform_config_selectorIyLb0EEEZNS1_14transform_implILb0ES3_S5_PyN6thrust23THRUST_200600_302600_NS6detail15normal_iteratorINS9_10device_ptrIyEEEENS0_8identityIyEEEE10hipError_tT2_T3_mT4_P12ihipStream_tbEUlT_E_NS1_11comp_targetILNS1_3genE10ELNS1_11target_archE1200ELNS1_3gpuE4ELNS1_3repE0EEENS1_30default_config_static_selectorELNS0_4arch9wavefront6targetE1EEEvT1_.has_recursion, 0
	.set _ZN7rocprim17ROCPRIM_400000_NS6detail17trampoline_kernelINS0_14default_configENS1_25transform_config_selectorIyLb0EEEZNS1_14transform_implILb0ES3_S5_PyN6thrust23THRUST_200600_302600_NS6detail15normal_iteratorINS9_10device_ptrIyEEEENS0_8identityIyEEEE10hipError_tT2_T3_mT4_P12ihipStream_tbEUlT_E_NS1_11comp_targetILNS1_3genE10ELNS1_11target_archE1200ELNS1_3gpuE4ELNS1_3repE0EEENS1_30default_config_static_selectorELNS0_4arch9wavefront6targetE1EEEvT1_.has_indirect_call, 0
	.section	.AMDGPU.csdata,"",@progbits
; Kernel info:
; codeLenInByte = 0
; TotalNumSgprs: 6
; NumVgprs: 0
; NumAgprs: 0
; TotalNumVgprs: 0
; ScratchSize: 0
; MemoryBound: 0
; FloatMode: 240
; IeeeMode: 1
; LDSByteSize: 0 bytes/workgroup (compile time only)
; SGPRBlocks: 0
; VGPRBlocks: 0
; NumSGPRsForWavesPerEU: 6
; NumVGPRsForWavesPerEU: 1
; AccumOffset: 4
; Occupancy: 8
; WaveLimiterHint : 0
; COMPUTE_PGM_RSRC2:SCRATCH_EN: 0
; COMPUTE_PGM_RSRC2:USER_SGPR: 2
; COMPUTE_PGM_RSRC2:TRAP_HANDLER: 0
; COMPUTE_PGM_RSRC2:TGID_X_EN: 1
; COMPUTE_PGM_RSRC2:TGID_Y_EN: 0
; COMPUTE_PGM_RSRC2:TGID_Z_EN: 0
; COMPUTE_PGM_RSRC2:TIDIG_COMP_CNT: 0
; COMPUTE_PGM_RSRC3_GFX90A:ACCUM_OFFSET: 0
; COMPUTE_PGM_RSRC3_GFX90A:TG_SPLIT: 0
	.section	.text._ZN7rocprim17ROCPRIM_400000_NS6detail17trampoline_kernelINS0_14default_configENS1_25transform_config_selectorIyLb0EEEZNS1_14transform_implILb0ES3_S5_PyN6thrust23THRUST_200600_302600_NS6detail15normal_iteratorINS9_10device_ptrIyEEEENS0_8identityIyEEEE10hipError_tT2_T3_mT4_P12ihipStream_tbEUlT_E_NS1_11comp_targetILNS1_3genE9ELNS1_11target_archE1100ELNS1_3gpuE3ELNS1_3repE0EEENS1_30default_config_static_selectorELNS0_4arch9wavefront6targetE1EEEvT1_,"axG",@progbits,_ZN7rocprim17ROCPRIM_400000_NS6detail17trampoline_kernelINS0_14default_configENS1_25transform_config_selectorIyLb0EEEZNS1_14transform_implILb0ES3_S5_PyN6thrust23THRUST_200600_302600_NS6detail15normal_iteratorINS9_10device_ptrIyEEEENS0_8identityIyEEEE10hipError_tT2_T3_mT4_P12ihipStream_tbEUlT_E_NS1_11comp_targetILNS1_3genE9ELNS1_11target_archE1100ELNS1_3gpuE3ELNS1_3repE0EEENS1_30default_config_static_selectorELNS0_4arch9wavefront6targetE1EEEvT1_,comdat
	.protected	_ZN7rocprim17ROCPRIM_400000_NS6detail17trampoline_kernelINS0_14default_configENS1_25transform_config_selectorIyLb0EEEZNS1_14transform_implILb0ES3_S5_PyN6thrust23THRUST_200600_302600_NS6detail15normal_iteratorINS9_10device_ptrIyEEEENS0_8identityIyEEEE10hipError_tT2_T3_mT4_P12ihipStream_tbEUlT_E_NS1_11comp_targetILNS1_3genE9ELNS1_11target_archE1100ELNS1_3gpuE3ELNS1_3repE0EEENS1_30default_config_static_selectorELNS0_4arch9wavefront6targetE1EEEvT1_ ; -- Begin function _ZN7rocprim17ROCPRIM_400000_NS6detail17trampoline_kernelINS0_14default_configENS1_25transform_config_selectorIyLb0EEEZNS1_14transform_implILb0ES3_S5_PyN6thrust23THRUST_200600_302600_NS6detail15normal_iteratorINS9_10device_ptrIyEEEENS0_8identityIyEEEE10hipError_tT2_T3_mT4_P12ihipStream_tbEUlT_E_NS1_11comp_targetILNS1_3genE9ELNS1_11target_archE1100ELNS1_3gpuE3ELNS1_3repE0EEENS1_30default_config_static_selectorELNS0_4arch9wavefront6targetE1EEEvT1_
	.globl	_ZN7rocprim17ROCPRIM_400000_NS6detail17trampoline_kernelINS0_14default_configENS1_25transform_config_selectorIyLb0EEEZNS1_14transform_implILb0ES3_S5_PyN6thrust23THRUST_200600_302600_NS6detail15normal_iteratorINS9_10device_ptrIyEEEENS0_8identityIyEEEE10hipError_tT2_T3_mT4_P12ihipStream_tbEUlT_E_NS1_11comp_targetILNS1_3genE9ELNS1_11target_archE1100ELNS1_3gpuE3ELNS1_3repE0EEENS1_30default_config_static_selectorELNS0_4arch9wavefront6targetE1EEEvT1_
	.p2align	8
	.type	_ZN7rocprim17ROCPRIM_400000_NS6detail17trampoline_kernelINS0_14default_configENS1_25transform_config_selectorIyLb0EEEZNS1_14transform_implILb0ES3_S5_PyN6thrust23THRUST_200600_302600_NS6detail15normal_iteratorINS9_10device_ptrIyEEEENS0_8identityIyEEEE10hipError_tT2_T3_mT4_P12ihipStream_tbEUlT_E_NS1_11comp_targetILNS1_3genE9ELNS1_11target_archE1100ELNS1_3gpuE3ELNS1_3repE0EEENS1_30default_config_static_selectorELNS0_4arch9wavefront6targetE1EEEvT1_,@function
_ZN7rocprim17ROCPRIM_400000_NS6detail17trampoline_kernelINS0_14default_configENS1_25transform_config_selectorIyLb0EEEZNS1_14transform_implILb0ES3_S5_PyN6thrust23THRUST_200600_302600_NS6detail15normal_iteratorINS9_10device_ptrIyEEEENS0_8identityIyEEEE10hipError_tT2_T3_mT4_P12ihipStream_tbEUlT_E_NS1_11comp_targetILNS1_3genE9ELNS1_11target_archE1100ELNS1_3gpuE3ELNS1_3repE0EEENS1_30default_config_static_selectorELNS0_4arch9wavefront6targetE1EEEvT1_: ; @_ZN7rocprim17ROCPRIM_400000_NS6detail17trampoline_kernelINS0_14default_configENS1_25transform_config_selectorIyLb0EEEZNS1_14transform_implILb0ES3_S5_PyN6thrust23THRUST_200600_302600_NS6detail15normal_iteratorINS9_10device_ptrIyEEEENS0_8identityIyEEEE10hipError_tT2_T3_mT4_P12ihipStream_tbEUlT_E_NS1_11comp_targetILNS1_3genE9ELNS1_11target_archE1100ELNS1_3gpuE3ELNS1_3repE0EEENS1_30default_config_static_selectorELNS0_4arch9wavefront6targetE1EEEvT1_
; %bb.0:
	.section	.rodata,"a",@progbits
	.p2align	6, 0x0
	.amdhsa_kernel _ZN7rocprim17ROCPRIM_400000_NS6detail17trampoline_kernelINS0_14default_configENS1_25transform_config_selectorIyLb0EEEZNS1_14transform_implILb0ES3_S5_PyN6thrust23THRUST_200600_302600_NS6detail15normal_iteratorINS9_10device_ptrIyEEEENS0_8identityIyEEEE10hipError_tT2_T3_mT4_P12ihipStream_tbEUlT_E_NS1_11comp_targetILNS1_3genE9ELNS1_11target_archE1100ELNS1_3gpuE3ELNS1_3repE0EEENS1_30default_config_static_selectorELNS0_4arch9wavefront6targetE1EEEvT1_
		.amdhsa_group_segment_fixed_size 0
		.amdhsa_private_segment_fixed_size 0
		.amdhsa_kernarg_size 40
		.amdhsa_user_sgpr_count 2
		.amdhsa_user_sgpr_dispatch_ptr 0
		.amdhsa_user_sgpr_queue_ptr 0
		.amdhsa_user_sgpr_kernarg_segment_ptr 1
		.amdhsa_user_sgpr_dispatch_id 0
		.amdhsa_user_sgpr_kernarg_preload_length 0
		.amdhsa_user_sgpr_kernarg_preload_offset 0
		.amdhsa_user_sgpr_private_segment_size 0
		.amdhsa_uses_dynamic_stack 0
		.amdhsa_enable_private_segment 0
		.amdhsa_system_sgpr_workgroup_id_x 1
		.amdhsa_system_sgpr_workgroup_id_y 0
		.amdhsa_system_sgpr_workgroup_id_z 0
		.amdhsa_system_sgpr_workgroup_info 0
		.amdhsa_system_vgpr_workitem_id 0
		.amdhsa_next_free_vgpr 1
		.amdhsa_next_free_sgpr 0
		.amdhsa_accum_offset 4
		.amdhsa_reserve_vcc 0
		.amdhsa_float_round_mode_32 0
		.amdhsa_float_round_mode_16_64 0
		.amdhsa_float_denorm_mode_32 3
		.amdhsa_float_denorm_mode_16_64 3
		.amdhsa_dx10_clamp 1
		.amdhsa_ieee_mode 1
		.amdhsa_fp16_overflow 0
		.amdhsa_tg_split 0
		.amdhsa_exception_fp_ieee_invalid_op 0
		.amdhsa_exception_fp_denorm_src 0
		.amdhsa_exception_fp_ieee_div_zero 0
		.amdhsa_exception_fp_ieee_overflow 0
		.amdhsa_exception_fp_ieee_underflow 0
		.amdhsa_exception_fp_ieee_inexact 0
		.amdhsa_exception_int_div_zero 0
	.end_amdhsa_kernel
	.section	.text._ZN7rocprim17ROCPRIM_400000_NS6detail17trampoline_kernelINS0_14default_configENS1_25transform_config_selectorIyLb0EEEZNS1_14transform_implILb0ES3_S5_PyN6thrust23THRUST_200600_302600_NS6detail15normal_iteratorINS9_10device_ptrIyEEEENS0_8identityIyEEEE10hipError_tT2_T3_mT4_P12ihipStream_tbEUlT_E_NS1_11comp_targetILNS1_3genE9ELNS1_11target_archE1100ELNS1_3gpuE3ELNS1_3repE0EEENS1_30default_config_static_selectorELNS0_4arch9wavefront6targetE1EEEvT1_,"axG",@progbits,_ZN7rocprim17ROCPRIM_400000_NS6detail17trampoline_kernelINS0_14default_configENS1_25transform_config_selectorIyLb0EEEZNS1_14transform_implILb0ES3_S5_PyN6thrust23THRUST_200600_302600_NS6detail15normal_iteratorINS9_10device_ptrIyEEEENS0_8identityIyEEEE10hipError_tT2_T3_mT4_P12ihipStream_tbEUlT_E_NS1_11comp_targetILNS1_3genE9ELNS1_11target_archE1100ELNS1_3gpuE3ELNS1_3repE0EEENS1_30default_config_static_selectorELNS0_4arch9wavefront6targetE1EEEvT1_,comdat
.Lfunc_end451:
	.size	_ZN7rocprim17ROCPRIM_400000_NS6detail17trampoline_kernelINS0_14default_configENS1_25transform_config_selectorIyLb0EEEZNS1_14transform_implILb0ES3_S5_PyN6thrust23THRUST_200600_302600_NS6detail15normal_iteratorINS9_10device_ptrIyEEEENS0_8identityIyEEEE10hipError_tT2_T3_mT4_P12ihipStream_tbEUlT_E_NS1_11comp_targetILNS1_3genE9ELNS1_11target_archE1100ELNS1_3gpuE3ELNS1_3repE0EEENS1_30default_config_static_selectorELNS0_4arch9wavefront6targetE1EEEvT1_, .Lfunc_end451-_ZN7rocprim17ROCPRIM_400000_NS6detail17trampoline_kernelINS0_14default_configENS1_25transform_config_selectorIyLb0EEEZNS1_14transform_implILb0ES3_S5_PyN6thrust23THRUST_200600_302600_NS6detail15normal_iteratorINS9_10device_ptrIyEEEENS0_8identityIyEEEE10hipError_tT2_T3_mT4_P12ihipStream_tbEUlT_E_NS1_11comp_targetILNS1_3genE9ELNS1_11target_archE1100ELNS1_3gpuE3ELNS1_3repE0EEENS1_30default_config_static_selectorELNS0_4arch9wavefront6targetE1EEEvT1_
                                        ; -- End function
	.set _ZN7rocprim17ROCPRIM_400000_NS6detail17trampoline_kernelINS0_14default_configENS1_25transform_config_selectorIyLb0EEEZNS1_14transform_implILb0ES3_S5_PyN6thrust23THRUST_200600_302600_NS6detail15normal_iteratorINS9_10device_ptrIyEEEENS0_8identityIyEEEE10hipError_tT2_T3_mT4_P12ihipStream_tbEUlT_E_NS1_11comp_targetILNS1_3genE9ELNS1_11target_archE1100ELNS1_3gpuE3ELNS1_3repE0EEENS1_30default_config_static_selectorELNS0_4arch9wavefront6targetE1EEEvT1_.num_vgpr, 0
	.set _ZN7rocprim17ROCPRIM_400000_NS6detail17trampoline_kernelINS0_14default_configENS1_25transform_config_selectorIyLb0EEEZNS1_14transform_implILb0ES3_S5_PyN6thrust23THRUST_200600_302600_NS6detail15normal_iteratorINS9_10device_ptrIyEEEENS0_8identityIyEEEE10hipError_tT2_T3_mT4_P12ihipStream_tbEUlT_E_NS1_11comp_targetILNS1_3genE9ELNS1_11target_archE1100ELNS1_3gpuE3ELNS1_3repE0EEENS1_30default_config_static_selectorELNS0_4arch9wavefront6targetE1EEEvT1_.num_agpr, 0
	.set _ZN7rocprim17ROCPRIM_400000_NS6detail17trampoline_kernelINS0_14default_configENS1_25transform_config_selectorIyLb0EEEZNS1_14transform_implILb0ES3_S5_PyN6thrust23THRUST_200600_302600_NS6detail15normal_iteratorINS9_10device_ptrIyEEEENS0_8identityIyEEEE10hipError_tT2_T3_mT4_P12ihipStream_tbEUlT_E_NS1_11comp_targetILNS1_3genE9ELNS1_11target_archE1100ELNS1_3gpuE3ELNS1_3repE0EEENS1_30default_config_static_selectorELNS0_4arch9wavefront6targetE1EEEvT1_.numbered_sgpr, 0
	.set _ZN7rocprim17ROCPRIM_400000_NS6detail17trampoline_kernelINS0_14default_configENS1_25transform_config_selectorIyLb0EEEZNS1_14transform_implILb0ES3_S5_PyN6thrust23THRUST_200600_302600_NS6detail15normal_iteratorINS9_10device_ptrIyEEEENS0_8identityIyEEEE10hipError_tT2_T3_mT4_P12ihipStream_tbEUlT_E_NS1_11comp_targetILNS1_3genE9ELNS1_11target_archE1100ELNS1_3gpuE3ELNS1_3repE0EEENS1_30default_config_static_selectorELNS0_4arch9wavefront6targetE1EEEvT1_.num_named_barrier, 0
	.set _ZN7rocprim17ROCPRIM_400000_NS6detail17trampoline_kernelINS0_14default_configENS1_25transform_config_selectorIyLb0EEEZNS1_14transform_implILb0ES3_S5_PyN6thrust23THRUST_200600_302600_NS6detail15normal_iteratorINS9_10device_ptrIyEEEENS0_8identityIyEEEE10hipError_tT2_T3_mT4_P12ihipStream_tbEUlT_E_NS1_11comp_targetILNS1_3genE9ELNS1_11target_archE1100ELNS1_3gpuE3ELNS1_3repE0EEENS1_30default_config_static_selectorELNS0_4arch9wavefront6targetE1EEEvT1_.private_seg_size, 0
	.set _ZN7rocprim17ROCPRIM_400000_NS6detail17trampoline_kernelINS0_14default_configENS1_25transform_config_selectorIyLb0EEEZNS1_14transform_implILb0ES3_S5_PyN6thrust23THRUST_200600_302600_NS6detail15normal_iteratorINS9_10device_ptrIyEEEENS0_8identityIyEEEE10hipError_tT2_T3_mT4_P12ihipStream_tbEUlT_E_NS1_11comp_targetILNS1_3genE9ELNS1_11target_archE1100ELNS1_3gpuE3ELNS1_3repE0EEENS1_30default_config_static_selectorELNS0_4arch9wavefront6targetE1EEEvT1_.uses_vcc, 0
	.set _ZN7rocprim17ROCPRIM_400000_NS6detail17trampoline_kernelINS0_14default_configENS1_25transform_config_selectorIyLb0EEEZNS1_14transform_implILb0ES3_S5_PyN6thrust23THRUST_200600_302600_NS6detail15normal_iteratorINS9_10device_ptrIyEEEENS0_8identityIyEEEE10hipError_tT2_T3_mT4_P12ihipStream_tbEUlT_E_NS1_11comp_targetILNS1_3genE9ELNS1_11target_archE1100ELNS1_3gpuE3ELNS1_3repE0EEENS1_30default_config_static_selectorELNS0_4arch9wavefront6targetE1EEEvT1_.uses_flat_scratch, 0
	.set _ZN7rocprim17ROCPRIM_400000_NS6detail17trampoline_kernelINS0_14default_configENS1_25transform_config_selectorIyLb0EEEZNS1_14transform_implILb0ES3_S5_PyN6thrust23THRUST_200600_302600_NS6detail15normal_iteratorINS9_10device_ptrIyEEEENS0_8identityIyEEEE10hipError_tT2_T3_mT4_P12ihipStream_tbEUlT_E_NS1_11comp_targetILNS1_3genE9ELNS1_11target_archE1100ELNS1_3gpuE3ELNS1_3repE0EEENS1_30default_config_static_selectorELNS0_4arch9wavefront6targetE1EEEvT1_.has_dyn_sized_stack, 0
	.set _ZN7rocprim17ROCPRIM_400000_NS6detail17trampoline_kernelINS0_14default_configENS1_25transform_config_selectorIyLb0EEEZNS1_14transform_implILb0ES3_S5_PyN6thrust23THRUST_200600_302600_NS6detail15normal_iteratorINS9_10device_ptrIyEEEENS0_8identityIyEEEE10hipError_tT2_T3_mT4_P12ihipStream_tbEUlT_E_NS1_11comp_targetILNS1_3genE9ELNS1_11target_archE1100ELNS1_3gpuE3ELNS1_3repE0EEENS1_30default_config_static_selectorELNS0_4arch9wavefront6targetE1EEEvT1_.has_recursion, 0
	.set _ZN7rocprim17ROCPRIM_400000_NS6detail17trampoline_kernelINS0_14default_configENS1_25transform_config_selectorIyLb0EEEZNS1_14transform_implILb0ES3_S5_PyN6thrust23THRUST_200600_302600_NS6detail15normal_iteratorINS9_10device_ptrIyEEEENS0_8identityIyEEEE10hipError_tT2_T3_mT4_P12ihipStream_tbEUlT_E_NS1_11comp_targetILNS1_3genE9ELNS1_11target_archE1100ELNS1_3gpuE3ELNS1_3repE0EEENS1_30default_config_static_selectorELNS0_4arch9wavefront6targetE1EEEvT1_.has_indirect_call, 0
	.section	.AMDGPU.csdata,"",@progbits
; Kernel info:
; codeLenInByte = 0
; TotalNumSgprs: 6
; NumVgprs: 0
; NumAgprs: 0
; TotalNumVgprs: 0
; ScratchSize: 0
; MemoryBound: 0
; FloatMode: 240
; IeeeMode: 1
; LDSByteSize: 0 bytes/workgroup (compile time only)
; SGPRBlocks: 0
; VGPRBlocks: 0
; NumSGPRsForWavesPerEU: 6
; NumVGPRsForWavesPerEU: 1
; AccumOffset: 4
; Occupancy: 8
; WaveLimiterHint : 0
; COMPUTE_PGM_RSRC2:SCRATCH_EN: 0
; COMPUTE_PGM_RSRC2:USER_SGPR: 2
; COMPUTE_PGM_RSRC2:TRAP_HANDLER: 0
; COMPUTE_PGM_RSRC2:TGID_X_EN: 1
; COMPUTE_PGM_RSRC2:TGID_Y_EN: 0
; COMPUTE_PGM_RSRC2:TGID_Z_EN: 0
; COMPUTE_PGM_RSRC2:TIDIG_COMP_CNT: 0
; COMPUTE_PGM_RSRC3_GFX90A:ACCUM_OFFSET: 0
; COMPUTE_PGM_RSRC3_GFX90A:TG_SPLIT: 0
	.section	.text._ZN7rocprim17ROCPRIM_400000_NS6detail17trampoline_kernelINS0_14default_configENS1_25transform_config_selectorIyLb0EEEZNS1_14transform_implILb0ES3_S5_PyN6thrust23THRUST_200600_302600_NS6detail15normal_iteratorINS9_10device_ptrIyEEEENS0_8identityIyEEEE10hipError_tT2_T3_mT4_P12ihipStream_tbEUlT_E_NS1_11comp_targetILNS1_3genE8ELNS1_11target_archE1030ELNS1_3gpuE2ELNS1_3repE0EEENS1_30default_config_static_selectorELNS0_4arch9wavefront6targetE1EEEvT1_,"axG",@progbits,_ZN7rocprim17ROCPRIM_400000_NS6detail17trampoline_kernelINS0_14default_configENS1_25transform_config_selectorIyLb0EEEZNS1_14transform_implILb0ES3_S5_PyN6thrust23THRUST_200600_302600_NS6detail15normal_iteratorINS9_10device_ptrIyEEEENS0_8identityIyEEEE10hipError_tT2_T3_mT4_P12ihipStream_tbEUlT_E_NS1_11comp_targetILNS1_3genE8ELNS1_11target_archE1030ELNS1_3gpuE2ELNS1_3repE0EEENS1_30default_config_static_selectorELNS0_4arch9wavefront6targetE1EEEvT1_,comdat
	.protected	_ZN7rocprim17ROCPRIM_400000_NS6detail17trampoline_kernelINS0_14default_configENS1_25transform_config_selectorIyLb0EEEZNS1_14transform_implILb0ES3_S5_PyN6thrust23THRUST_200600_302600_NS6detail15normal_iteratorINS9_10device_ptrIyEEEENS0_8identityIyEEEE10hipError_tT2_T3_mT4_P12ihipStream_tbEUlT_E_NS1_11comp_targetILNS1_3genE8ELNS1_11target_archE1030ELNS1_3gpuE2ELNS1_3repE0EEENS1_30default_config_static_selectorELNS0_4arch9wavefront6targetE1EEEvT1_ ; -- Begin function _ZN7rocprim17ROCPRIM_400000_NS6detail17trampoline_kernelINS0_14default_configENS1_25transform_config_selectorIyLb0EEEZNS1_14transform_implILb0ES3_S5_PyN6thrust23THRUST_200600_302600_NS6detail15normal_iteratorINS9_10device_ptrIyEEEENS0_8identityIyEEEE10hipError_tT2_T3_mT4_P12ihipStream_tbEUlT_E_NS1_11comp_targetILNS1_3genE8ELNS1_11target_archE1030ELNS1_3gpuE2ELNS1_3repE0EEENS1_30default_config_static_selectorELNS0_4arch9wavefront6targetE1EEEvT1_
	.globl	_ZN7rocprim17ROCPRIM_400000_NS6detail17trampoline_kernelINS0_14default_configENS1_25transform_config_selectorIyLb0EEEZNS1_14transform_implILb0ES3_S5_PyN6thrust23THRUST_200600_302600_NS6detail15normal_iteratorINS9_10device_ptrIyEEEENS0_8identityIyEEEE10hipError_tT2_T3_mT4_P12ihipStream_tbEUlT_E_NS1_11comp_targetILNS1_3genE8ELNS1_11target_archE1030ELNS1_3gpuE2ELNS1_3repE0EEENS1_30default_config_static_selectorELNS0_4arch9wavefront6targetE1EEEvT1_
	.p2align	8
	.type	_ZN7rocprim17ROCPRIM_400000_NS6detail17trampoline_kernelINS0_14default_configENS1_25transform_config_selectorIyLb0EEEZNS1_14transform_implILb0ES3_S5_PyN6thrust23THRUST_200600_302600_NS6detail15normal_iteratorINS9_10device_ptrIyEEEENS0_8identityIyEEEE10hipError_tT2_T3_mT4_P12ihipStream_tbEUlT_E_NS1_11comp_targetILNS1_3genE8ELNS1_11target_archE1030ELNS1_3gpuE2ELNS1_3repE0EEENS1_30default_config_static_selectorELNS0_4arch9wavefront6targetE1EEEvT1_,@function
_ZN7rocprim17ROCPRIM_400000_NS6detail17trampoline_kernelINS0_14default_configENS1_25transform_config_selectorIyLb0EEEZNS1_14transform_implILb0ES3_S5_PyN6thrust23THRUST_200600_302600_NS6detail15normal_iteratorINS9_10device_ptrIyEEEENS0_8identityIyEEEE10hipError_tT2_T3_mT4_P12ihipStream_tbEUlT_E_NS1_11comp_targetILNS1_3genE8ELNS1_11target_archE1030ELNS1_3gpuE2ELNS1_3repE0EEENS1_30default_config_static_selectorELNS0_4arch9wavefront6targetE1EEEvT1_: ; @_ZN7rocprim17ROCPRIM_400000_NS6detail17trampoline_kernelINS0_14default_configENS1_25transform_config_selectorIyLb0EEEZNS1_14transform_implILb0ES3_S5_PyN6thrust23THRUST_200600_302600_NS6detail15normal_iteratorINS9_10device_ptrIyEEEENS0_8identityIyEEEE10hipError_tT2_T3_mT4_P12ihipStream_tbEUlT_E_NS1_11comp_targetILNS1_3genE8ELNS1_11target_archE1030ELNS1_3gpuE2ELNS1_3repE0EEENS1_30default_config_static_selectorELNS0_4arch9wavefront6targetE1EEEvT1_
; %bb.0:
	.section	.rodata,"a",@progbits
	.p2align	6, 0x0
	.amdhsa_kernel _ZN7rocprim17ROCPRIM_400000_NS6detail17trampoline_kernelINS0_14default_configENS1_25transform_config_selectorIyLb0EEEZNS1_14transform_implILb0ES3_S5_PyN6thrust23THRUST_200600_302600_NS6detail15normal_iteratorINS9_10device_ptrIyEEEENS0_8identityIyEEEE10hipError_tT2_T3_mT4_P12ihipStream_tbEUlT_E_NS1_11comp_targetILNS1_3genE8ELNS1_11target_archE1030ELNS1_3gpuE2ELNS1_3repE0EEENS1_30default_config_static_selectorELNS0_4arch9wavefront6targetE1EEEvT1_
		.amdhsa_group_segment_fixed_size 0
		.amdhsa_private_segment_fixed_size 0
		.amdhsa_kernarg_size 40
		.amdhsa_user_sgpr_count 2
		.amdhsa_user_sgpr_dispatch_ptr 0
		.amdhsa_user_sgpr_queue_ptr 0
		.amdhsa_user_sgpr_kernarg_segment_ptr 1
		.amdhsa_user_sgpr_dispatch_id 0
		.amdhsa_user_sgpr_kernarg_preload_length 0
		.amdhsa_user_sgpr_kernarg_preload_offset 0
		.amdhsa_user_sgpr_private_segment_size 0
		.amdhsa_uses_dynamic_stack 0
		.amdhsa_enable_private_segment 0
		.amdhsa_system_sgpr_workgroup_id_x 1
		.amdhsa_system_sgpr_workgroup_id_y 0
		.amdhsa_system_sgpr_workgroup_id_z 0
		.amdhsa_system_sgpr_workgroup_info 0
		.amdhsa_system_vgpr_workitem_id 0
		.amdhsa_next_free_vgpr 1
		.amdhsa_next_free_sgpr 0
		.amdhsa_accum_offset 4
		.amdhsa_reserve_vcc 0
		.amdhsa_float_round_mode_32 0
		.amdhsa_float_round_mode_16_64 0
		.amdhsa_float_denorm_mode_32 3
		.amdhsa_float_denorm_mode_16_64 3
		.amdhsa_dx10_clamp 1
		.amdhsa_ieee_mode 1
		.amdhsa_fp16_overflow 0
		.amdhsa_tg_split 0
		.amdhsa_exception_fp_ieee_invalid_op 0
		.amdhsa_exception_fp_denorm_src 0
		.amdhsa_exception_fp_ieee_div_zero 0
		.amdhsa_exception_fp_ieee_overflow 0
		.amdhsa_exception_fp_ieee_underflow 0
		.amdhsa_exception_fp_ieee_inexact 0
		.amdhsa_exception_int_div_zero 0
	.end_amdhsa_kernel
	.section	.text._ZN7rocprim17ROCPRIM_400000_NS6detail17trampoline_kernelINS0_14default_configENS1_25transform_config_selectorIyLb0EEEZNS1_14transform_implILb0ES3_S5_PyN6thrust23THRUST_200600_302600_NS6detail15normal_iteratorINS9_10device_ptrIyEEEENS0_8identityIyEEEE10hipError_tT2_T3_mT4_P12ihipStream_tbEUlT_E_NS1_11comp_targetILNS1_3genE8ELNS1_11target_archE1030ELNS1_3gpuE2ELNS1_3repE0EEENS1_30default_config_static_selectorELNS0_4arch9wavefront6targetE1EEEvT1_,"axG",@progbits,_ZN7rocprim17ROCPRIM_400000_NS6detail17trampoline_kernelINS0_14default_configENS1_25transform_config_selectorIyLb0EEEZNS1_14transform_implILb0ES3_S5_PyN6thrust23THRUST_200600_302600_NS6detail15normal_iteratorINS9_10device_ptrIyEEEENS0_8identityIyEEEE10hipError_tT2_T3_mT4_P12ihipStream_tbEUlT_E_NS1_11comp_targetILNS1_3genE8ELNS1_11target_archE1030ELNS1_3gpuE2ELNS1_3repE0EEENS1_30default_config_static_selectorELNS0_4arch9wavefront6targetE1EEEvT1_,comdat
.Lfunc_end452:
	.size	_ZN7rocprim17ROCPRIM_400000_NS6detail17trampoline_kernelINS0_14default_configENS1_25transform_config_selectorIyLb0EEEZNS1_14transform_implILb0ES3_S5_PyN6thrust23THRUST_200600_302600_NS6detail15normal_iteratorINS9_10device_ptrIyEEEENS0_8identityIyEEEE10hipError_tT2_T3_mT4_P12ihipStream_tbEUlT_E_NS1_11comp_targetILNS1_3genE8ELNS1_11target_archE1030ELNS1_3gpuE2ELNS1_3repE0EEENS1_30default_config_static_selectorELNS0_4arch9wavefront6targetE1EEEvT1_, .Lfunc_end452-_ZN7rocprim17ROCPRIM_400000_NS6detail17trampoline_kernelINS0_14default_configENS1_25transform_config_selectorIyLb0EEEZNS1_14transform_implILb0ES3_S5_PyN6thrust23THRUST_200600_302600_NS6detail15normal_iteratorINS9_10device_ptrIyEEEENS0_8identityIyEEEE10hipError_tT2_T3_mT4_P12ihipStream_tbEUlT_E_NS1_11comp_targetILNS1_3genE8ELNS1_11target_archE1030ELNS1_3gpuE2ELNS1_3repE0EEENS1_30default_config_static_selectorELNS0_4arch9wavefront6targetE1EEEvT1_
                                        ; -- End function
	.set _ZN7rocprim17ROCPRIM_400000_NS6detail17trampoline_kernelINS0_14default_configENS1_25transform_config_selectorIyLb0EEEZNS1_14transform_implILb0ES3_S5_PyN6thrust23THRUST_200600_302600_NS6detail15normal_iteratorINS9_10device_ptrIyEEEENS0_8identityIyEEEE10hipError_tT2_T3_mT4_P12ihipStream_tbEUlT_E_NS1_11comp_targetILNS1_3genE8ELNS1_11target_archE1030ELNS1_3gpuE2ELNS1_3repE0EEENS1_30default_config_static_selectorELNS0_4arch9wavefront6targetE1EEEvT1_.num_vgpr, 0
	.set _ZN7rocprim17ROCPRIM_400000_NS6detail17trampoline_kernelINS0_14default_configENS1_25transform_config_selectorIyLb0EEEZNS1_14transform_implILb0ES3_S5_PyN6thrust23THRUST_200600_302600_NS6detail15normal_iteratorINS9_10device_ptrIyEEEENS0_8identityIyEEEE10hipError_tT2_T3_mT4_P12ihipStream_tbEUlT_E_NS1_11comp_targetILNS1_3genE8ELNS1_11target_archE1030ELNS1_3gpuE2ELNS1_3repE0EEENS1_30default_config_static_selectorELNS0_4arch9wavefront6targetE1EEEvT1_.num_agpr, 0
	.set _ZN7rocprim17ROCPRIM_400000_NS6detail17trampoline_kernelINS0_14default_configENS1_25transform_config_selectorIyLb0EEEZNS1_14transform_implILb0ES3_S5_PyN6thrust23THRUST_200600_302600_NS6detail15normal_iteratorINS9_10device_ptrIyEEEENS0_8identityIyEEEE10hipError_tT2_T3_mT4_P12ihipStream_tbEUlT_E_NS1_11comp_targetILNS1_3genE8ELNS1_11target_archE1030ELNS1_3gpuE2ELNS1_3repE0EEENS1_30default_config_static_selectorELNS0_4arch9wavefront6targetE1EEEvT1_.numbered_sgpr, 0
	.set _ZN7rocprim17ROCPRIM_400000_NS6detail17trampoline_kernelINS0_14default_configENS1_25transform_config_selectorIyLb0EEEZNS1_14transform_implILb0ES3_S5_PyN6thrust23THRUST_200600_302600_NS6detail15normal_iteratorINS9_10device_ptrIyEEEENS0_8identityIyEEEE10hipError_tT2_T3_mT4_P12ihipStream_tbEUlT_E_NS1_11comp_targetILNS1_3genE8ELNS1_11target_archE1030ELNS1_3gpuE2ELNS1_3repE0EEENS1_30default_config_static_selectorELNS0_4arch9wavefront6targetE1EEEvT1_.num_named_barrier, 0
	.set _ZN7rocprim17ROCPRIM_400000_NS6detail17trampoline_kernelINS0_14default_configENS1_25transform_config_selectorIyLb0EEEZNS1_14transform_implILb0ES3_S5_PyN6thrust23THRUST_200600_302600_NS6detail15normal_iteratorINS9_10device_ptrIyEEEENS0_8identityIyEEEE10hipError_tT2_T3_mT4_P12ihipStream_tbEUlT_E_NS1_11comp_targetILNS1_3genE8ELNS1_11target_archE1030ELNS1_3gpuE2ELNS1_3repE0EEENS1_30default_config_static_selectorELNS0_4arch9wavefront6targetE1EEEvT1_.private_seg_size, 0
	.set _ZN7rocprim17ROCPRIM_400000_NS6detail17trampoline_kernelINS0_14default_configENS1_25transform_config_selectorIyLb0EEEZNS1_14transform_implILb0ES3_S5_PyN6thrust23THRUST_200600_302600_NS6detail15normal_iteratorINS9_10device_ptrIyEEEENS0_8identityIyEEEE10hipError_tT2_T3_mT4_P12ihipStream_tbEUlT_E_NS1_11comp_targetILNS1_3genE8ELNS1_11target_archE1030ELNS1_3gpuE2ELNS1_3repE0EEENS1_30default_config_static_selectorELNS0_4arch9wavefront6targetE1EEEvT1_.uses_vcc, 0
	.set _ZN7rocprim17ROCPRIM_400000_NS6detail17trampoline_kernelINS0_14default_configENS1_25transform_config_selectorIyLb0EEEZNS1_14transform_implILb0ES3_S5_PyN6thrust23THRUST_200600_302600_NS6detail15normal_iteratorINS9_10device_ptrIyEEEENS0_8identityIyEEEE10hipError_tT2_T3_mT4_P12ihipStream_tbEUlT_E_NS1_11comp_targetILNS1_3genE8ELNS1_11target_archE1030ELNS1_3gpuE2ELNS1_3repE0EEENS1_30default_config_static_selectorELNS0_4arch9wavefront6targetE1EEEvT1_.uses_flat_scratch, 0
	.set _ZN7rocprim17ROCPRIM_400000_NS6detail17trampoline_kernelINS0_14default_configENS1_25transform_config_selectorIyLb0EEEZNS1_14transform_implILb0ES3_S5_PyN6thrust23THRUST_200600_302600_NS6detail15normal_iteratorINS9_10device_ptrIyEEEENS0_8identityIyEEEE10hipError_tT2_T3_mT4_P12ihipStream_tbEUlT_E_NS1_11comp_targetILNS1_3genE8ELNS1_11target_archE1030ELNS1_3gpuE2ELNS1_3repE0EEENS1_30default_config_static_selectorELNS0_4arch9wavefront6targetE1EEEvT1_.has_dyn_sized_stack, 0
	.set _ZN7rocprim17ROCPRIM_400000_NS6detail17trampoline_kernelINS0_14default_configENS1_25transform_config_selectorIyLb0EEEZNS1_14transform_implILb0ES3_S5_PyN6thrust23THRUST_200600_302600_NS6detail15normal_iteratorINS9_10device_ptrIyEEEENS0_8identityIyEEEE10hipError_tT2_T3_mT4_P12ihipStream_tbEUlT_E_NS1_11comp_targetILNS1_3genE8ELNS1_11target_archE1030ELNS1_3gpuE2ELNS1_3repE0EEENS1_30default_config_static_selectorELNS0_4arch9wavefront6targetE1EEEvT1_.has_recursion, 0
	.set _ZN7rocprim17ROCPRIM_400000_NS6detail17trampoline_kernelINS0_14default_configENS1_25transform_config_selectorIyLb0EEEZNS1_14transform_implILb0ES3_S5_PyN6thrust23THRUST_200600_302600_NS6detail15normal_iteratorINS9_10device_ptrIyEEEENS0_8identityIyEEEE10hipError_tT2_T3_mT4_P12ihipStream_tbEUlT_E_NS1_11comp_targetILNS1_3genE8ELNS1_11target_archE1030ELNS1_3gpuE2ELNS1_3repE0EEENS1_30default_config_static_selectorELNS0_4arch9wavefront6targetE1EEEvT1_.has_indirect_call, 0
	.section	.AMDGPU.csdata,"",@progbits
; Kernel info:
; codeLenInByte = 0
; TotalNumSgprs: 6
; NumVgprs: 0
; NumAgprs: 0
; TotalNumVgprs: 0
; ScratchSize: 0
; MemoryBound: 0
; FloatMode: 240
; IeeeMode: 1
; LDSByteSize: 0 bytes/workgroup (compile time only)
; SGPRBlocks: 0
; VGPRBlocks: 0
; NumSGPRsForWavesPerEU: 6
; NumVGPRsForWavesPerEU: 1
; AccumOffset: 4
; Occupancy: 8
; WaveLimiterHint : 0
; COMPUTE_PGM_RSRC2:SCRATCH_EN: 0
; COMPUTE_PGM_RSRC2:USER_SGPR: 2
; COMPUTE_PGM_RSRC2:TRAP_HANDLER: 0
; COMPUTE_PGM_RSRC2:TGID_X_EN: 1
; COMPUTE_PGM_RSRC2:TGID_Y_EN: 0
; COMPUTE_PGM_RSRC2:TGID_Z_EN: 0
; COMPUTE_PGM_RSRC2:TIDIG_COMP_CNT: 0
; COMPUTE_PGM_RSRC3_GFX90A:ACCUM_OFFSET: 0
; COMPUTE_PGM_RSRC3_GFX90A:TG_SPLIT: 0
	.section	.text._ZN7rocprim17ROCPRIM_400000_NS6detail17trampoline_kernelINS0_14default_configENS1_38merge_sort_block_merge_config_selectorIyyEEZZNS1_27merge_sort_block_merge_implIS3_N6thrust23THRUST_200600_302600_NS6detail15normal_iteratorINS8_10device_ptrIyEEEESD_jNS1_19radix_merge_compareILb0ELb1EyNS0_19identity_decomposerEEEEE10hipError_tT0_T1_T2_jT3_P12ihipStream_tbPNSt15iterator_traitsISI_E10value_typeEPNSO_ISJ_E10value_typeEPSK_NS1_7vsmem_tEENKUlT_SI_SJ_SK_E_clIPySD_S10_SD_EESH_SX_SI_SJ_SK_EUlSX_E_NS1_11comp_targetILNS1_3genE0ELNS1_11target_archE4294967295ELNS1_3gpuE0ELNS1_3repE0EEENS1_48merge_mergepath_partition_config_static_selectorELNS0_4arch9wavefront6targetE1EEEvSJ_,"axG",@progbits,_ZN7rocprim17ROCPRIM_400000_NS6detail17trampoline_kernelINS0_14default_configENS1_38merge_sort_block_merge_config_selectorIyyEEZZNS1_27merge_sort_block_merge_implIS3_N6thrust23THRUST_200600_302600_NS6detail15normal_iteratorINS8_10device_ptrIyEEEESD_jNS1_19radix_merge_compareILb0ELb1EyNS0_19identity_decomposerEEEEE10hipError_tT0_T1_T2_jT3_P12ihipStream_tbPNSt15iterator_traitsISI_E10value_typeEPNSO_ISJ_E10value_typeEPSK_NS1_7vsmem_tEENKUlT_SI_SJ_SK_E_clIPySD_S10_SD_EESH_SX_SI_SJ_SK_EUlSX_E_NS1_11comp_targetILNS1_3genE0ELNS1_11target_archE4294967295ELNS1_3gpuE0ELNS1_3repE0EEENS1_48merge_mergepath_partition_config_static_selectorELNS0_4arch9wavefront6targetE1EEEvSJ_,comdat
	.protected	_ZN7rocprim17ROCPRIM_400000_NS6detail17trampoline_kernelINS0_14default_configENS1_38merge_sort_block_merge_config_selectorIyyEEZZNS1_27merge_sort_block_merge_implIS3_N6thrust23THRUST_200600_302600_NS6detail15normal_iteratorINS8_10device_ptrIyEEEESD_jNS1_19radix_merge_compareILb0ELb1EyNS0_19identity_decomposerEEEEE10hipError_tT0_T1_T2_jT3_P12ihipStream_tbPNSt15iterator_traitsISI_E10value_typeEPNSO_ISJ_E10value_typeEPSK_NS1_7vsmem_tEENKUlT_SI_SJ_SK_E_clIPySD_S10_SD_EESH_SX_SI_SJ_SK_EUlSX_E_NS1_11comp_targetILNS1_3genE0ELNS1_11target_archE4294967295ELNS1_3gpuE0ELNS1_3repE0EEENS1_48merge_mergepath_partition_config_static_selectorELNS0_4arch9wavefront6targetE1EEEvSJ_ ; -- Begin function _ZN7rocprim17ROCPRIM_400000_NS6detail17trampoline_kernelINS0_14default_configENS1_38merge_sort_block_merge_config_selectorIyyEEZZNS1_27merge_sort_block_merge_implIS3_N6thrust23THRUST_200600_302600_NS6detail15normal_iteratorINS8_10device_ptrIyEEEESD_jNS1_19radix_merge_compareILb0ELb1EyNS0_19identity_decomposerEEEEE10hipError_tT0_T1_T2_jT3_P12ihipStream_tbPNSt15iterator_traitsISI_E10value_typeEPNSO_ISJ_E10value_typeEPSK_NS1_7vsmem_tEENKUlT_SI_SJ_SK_E_clIPySD_S10_SD_EESH_SX_SI_SJ_SK_EUlSX_E_NS1_11comp_targetILNS1_3genE0ELNS1_11target_archE4294967295ELNS1_3gpuE0ELNS1_3repE0EEENS1_48merge_mergepath_partition_config_static_selectorELNS0_4arch9wavefront6targetE1EEEvSJ_
	.globl	_ZN7rocprim17ROCPRIM_400000_NS6detail17trampoline_kernelINS0_14default_configENS1_38merge_sort_block_merge_config_selectorIyyEEZZNS1_27merge_sort_block_merge_implIS3_N6thrust23THRUST_200600_302600_NS6detail15normal_iteratorINS8_10device_ptrIyEEEESD_jNS1_19radix_merge_compareILb0ELb1EyNS0_19identity_decomposerEEEEE10hipError_tT0_T1_T2_jT3_P12ihipStream_tbPNSt15iterator_traitsISI_E10value_typeEPNSO_ISJ_E10value_typeEPSK_NS1_7vsmem_tEENKUlT_SI_SJ_SK_E_clIPySD_S10_SD_EESH_SX_SI_SJ_SK_EUlSX_E_NS1_11comp_targetILNS1_3genE0ELNS1_11target_archE4294967295ELNS1_3gpuE0ELNS1_3repE0EEENS1_48merge_mergepath_partition_config_static_selectorELNS0_4arch9wavefront6targetE1EEEvSJ_
	.p2align	8
	.type	_ZN7rocprim17ROCPRIM_400000_NS6detail17trampoline_kernelINS0_14default_configENS1_38merge_sort_block_merge_config_selectorIyyEEZZNS1_27merge_sort_block_merge_implIS3_N6thrust23THRUST_200600_302600_NS6detail15normal_iteratorINS8_10device_ptrIyEEEESD_jNS1_19radix_merge_compareILb0ELb1EyNS0_19identity_decomposerEEEEE10hipError_tT0_T1_T2_jT3_P12ihipStream_tbPNSt15iterator_traitsISI_E10value_typeEPNSO_ISJ_E10value_typeEPSK_NS1_7vsmem_tEENKUlT_SI_SJ_SK_E_clIPySD_S10_SD_EESH_SX_SI_SJ_SK_EUlSX_E_NS1_11comp_targetILNS1_3genE0ELNS1_11target_archE4294967295ELNS1_3gpuE0ELNS1_3repE0EEENS1_48merge_mergepath_partition_config_static_selectorELNS0_4arch9wavefront6targetE1EEEvSJ_,@function
_ZN7rocprim17ROCPRIM_400000_NS6detail17trampoline_kernelINS0_14default_configENS1_38merge_sort_block_merge_config_selectorIyyEEZZNS1_27merge_sort_block_merge_implIS3_N6thrust23THRUST_200600_302600_NS6detail15normal_iteratorINS8_10device_ptrIyEEEESD_jNS1_19radix_merge_compareILb0ELb1EyNS0_19identity_decomposerEEEEE10hipError_tT0_T1_T2_jT3_P12ihipStream_tbPNSt15iterator_traitsISI_E10value_typeEPNSO_ISJ_E10value_typeEPSK_NS1_7vsmem_tEENKUlT_SI_SJ_SK_E_clIPySD_S10_SD_EESH_SX_SI_SJ_SK_EUlSX_E_NS1_11comp_targetILNS1_3genE0ELNS1_11target_archE4294967295ELNS1_3gpuE0ELNS1_3repE0EEENS1_48merge_mergepath_partition_config_static_selectorELNS0_4arch9wavefront6targetE1EEEvSJ_: ; @_ZN7rocprim17ROCPRIM_400000_NS6detail17trampoline_kernelINS0_14default_configENS1_38merge_sort_block_merge_config_selectorIyyEEZZNS1_27merge_sort_block_merge_implIS3_N6thrust23THRUST_200600_302600_NS6detail15normal_iteratorINS8_10device_ptrIyEEEESD_jNS1_19radix_merge_compareILb0ELb1EyNS0_19identity_decomposerEEEEE10hipError_tT0_T1_T2_jT3_P12ihipStream_tbPNSt15iterator_traitsISI_E10value_typeEPNSO_ISJ_E10value_typeEPSK_NS1_7vsmem_tEENKUlT_SI_SJ_SK_E_clIPySD_S10_SD_EESH_SX_SI_SJ_SK_EUlSX_E_NS1_11comp_targetILNS1_3genE0ELNS1_11target_archE4294967295ELNS1_3gpuE0ELNS1_3repE0EEENS1_48merge_mergepath_partition_config_static_selectorELNS0_4arch9wavefront6targetE1EEEvSJ_
; %bb.0:
	s_load_dword s3, s[0:1], 0x0
	v_lshl_or_b32 v0, s2, 7, v0
	s_waitcnt lgkmcnt(0)
	v_cmp_gt_u32_e32 vcc, s3, v0
	s_and_saveexec_b64 s[2:3], vcc
	s_cbranch_execz .LBB453_6
; %bb.1:
	s_load_dwordx2 s[2:3], s[0:1], 0x4
	s_load_dwordx4 s[4:7], s[0:1], 0x18
	s_waitcnt lgkmcnt(0)
	s_lshr_b32 s8, s2, 9
	s_and_b32 s8, s8, 0x7ffffe
	s_add_i32 s9, s8, -1
	s_sub_i32 s8, 0, s8
	v_and_b32_e32 v1, s8, v0
	v_lshlrev_b32_e32 v1, 10, v1
	v_min_u32_e32 v2, s3, v1
	v_add_u32_e32 v1, s2, v1
	v_min_u32_e32 v4, s3, v1
	v_add_u32_e32 v1, s2, v4
	v_and_b32_e32 v3, s9, v0
	v_min_u32_e32 v1, s3, v1
	v_sub_u32_e32 v5, v1, v2
	v_lshlrev_b32_e32 v3, 10, v3
	v_min_u32_e32 v10, v5, v3
	v_sub_u32_e32 v3, v4, v2
	v_sub_u32_e32 v1, v1, v4
	v_sub_u32_e64 v1, v10, v1 clamp
	v_min_u32_e32 v11, v10, v3
	v_cmp_lt_u32_e32 vcc, v1, v11
	s_and_saveexec_b64 s[2:3], vcc
	s_cbranch_execz .LBB453_5
; %bb.2:
	s_load_dwordx2 s[0:1], s[0:1], 0x10
	v_mov_b32_e32 v5, 0
	v_mov_b32_e32 v3, v5
	s_waitcnt lgkmcnt(0)
	v_lshl_add_u64 v[6:7], v[2:3], 3, s[0:1]
	v_lshl_add_u64 v[8:9], v[4:5], 3, s[0:1]
	s_mov_b64 s[0:1], 0
.LBB453_3:                              ; =>This Inner Loop Header: Depth=1
	v_add_u32_e32 v3, v11, v1
	v_lshrrev_b32_e32 v4, 1, v3
	v_mov_b32_e32 v13, v5
	v_xad_u32 v12, v4, -1, v10
	v_lshl_add_u64 v[14:15], v[4:5], 3, v[6:7]
	v_lshl_add_u64 v[12:13], v[12:13], 3, v[8:9]
	global_load_dwordx2 v[14:15], v[14:15], off
	v_add_u32_e32 v3, 1, v4
	global_load_dwordx2 v[12:13], v[12:13], off
	s_waitcnt vmcnt(1)
	v_and_b32_e32 v15, s5, v15
	v_and_b32_e32 v14, s4, v14
	s_waitcnt vmcnt(0)
	v_and_b32_e32 v13, s5, v13
	v_and_b32_e32 v12, s4, v12
	v_cmp_gt_u64_e32 vcc, v[14:15], v[12:13]
	s_nop 1
	v_cndmask_b32_e32 v11, v11, v4, vcc
	v_cndmask_b32_e32 v1, v3, v1, vcc
	v_cmp_ge_u32_e32 vcc, v1, v11
	s_or_b64 s[0:1], vcc, s[0:1]
	s_andn2_b64 exec, exec, s[0:1]
	s_cbranch_execnz .LBB453_3
; %bb.4:
	s_or_b64 exec, exec, s[0:1]
.LBB453_5:
	s_or_b64 exec, exec, s[2:3]
	v_mov_b32_e32 v4, s6
	v_mov_b32_e32 v5, s7
	v_add_u32_e32 v2, v1, v2
	v_mov_b32_e32 v1, 0
	v_lshl_add_u64 v[0:1], v[0:1], 2, v[4:5]
	global_store_dword v[0:1], v2, off
.LBB453_6:
	s_endpgm
	.section	.rodata,"a",@progbits
	.p2align	6, 0x0
	.amdhsa_kernel _ZN7rocprim17ROCPRIM_400000_NS6detail17trampoline_kernelINS0_14default_configENS1_38merge_sort_block_merge_config_selectorIyyEEZZNS1_27merge_sort_block_merge_implIS3_N6thrust23THRUST_200600_302600_NS6detail15normal_iteratorINS8_10device_ptrIyEEEESD_jNS1_19radix_merge_compareILb0ELb1EyNS0_19identity_decomposerEEEEE10hipError_tT0_T1_T2_jT3_P12ihipStream_tbPNSt15iterator_traitsISI_E10value_typeEPNSO_ISJ_E10value_typeEPSK_NS1_7vsmem_tEENKUlT_SI_SJ_SK_E_clIPySD_S10_SD_EESH_SX_SI_SJ_SK_EUlSX_E_NS1_11comp_targetILNS1_3genE0ELNS1_11target_archE4294967295ELNS1_3gpuE0ELNS1_3repE0EEENS1_48merge_mergepath_partition_config_static_selectorELNS0_4arch9wavefront6targetE1EEEvSJ_
		.amdhsa_group_segment_fixed_size 0
		.amdhsa_private_segment_fixed_size 0
		.amdhsa_kernarg_size 40
		.amdhsa_user_sgpr_count 2
		.amdhsa_user_sgpr_dispatch_ptr 0
		.amdhsa_user_sgpr_queue_ptr 0
		.amdhsa_user_sgpr_kernarg_segment_ptr 1
		.amdhsa_user_sgpr_dispatch_id 0
		.amdhsa_user_sgpr_kernarg_preload_length 0
		.amdhsa_user_sgpr_kernarg_preload_offset 0
		.amdhsa_user_sgpr_private_segment_size 0
		.amdhsa_uses_dynamic_stack 0
		.amdhsa_enable_private_segment 0
		.amdhsa_system_sgpr_workgroup_id_x 1
		.amdhsa_system_sgpr_workgroup_id_y 0
		.amdhsa_system_sgpr_workgroup_id_z 0
		.amdhsa_system_sgpr_workgroup_info 0
		.amdhsa_system_vgpr_workitem_id 0
		.amdhsa_next_free_vgpr 16
		.amdhsa_next_free_sgpr 10
		.amdhsa_accum_offset 16
		.amdhsa_reserve_vcc 1
		.amdhsa_float_round_mode_32 0
		.amdhsa_float_round_mode_16_64 0
		.amdhsa_float_denorm_mode_32 3
		.amdhsa_float_denorm_mode_16_64 3
		.amdhsa_dx10_clamp 1
		.amdhsa_ieee_mode 1
		.amdhsa_fp16_overflow 0
		.amdhsa_tg_split 0
		.amdhsa_exception_fp_ieee_invalid_op 0
		.amdhsa_exception_fp_denorm_src 0
		.amdhsa_exception_fp_ieee_div_zero 0
		.amdhsa_exception_fp_ieee_overflow 0
		.amdhsa_exception_fp_ieee_underflow 0
		.amdhsa_exception_fp_ieee_inexact 0
		.amdhsa_exception_int_div_zero 0
	.end_amdhsa_kernel
	.section	.text._ZN7rocprim17ROCPRIM_400000_NS6detail17trampoline_kernelINS0_14default_configENS1_38merge_sort_block_merge_config_selectorIyyEEZZNS1_27merge_sort_block_merge_implIS3_N6thrust23THRUST_200600_302600_NS6detail15normal_iteratorINS8_10device_ptrIyEEEESD_jNS1_19radix_merge_compareILb0ELb1EyNS0_19identity_decomposerEEEEE10hipError_tT0_T1_T2_jT3_P12ihipStream_tbPNSt15iterator_traitsISI_E10value_typeEPNSO_ISJ_E10value_typeEPSK_NS1_7vsmem_tEENKUlT_SI_SJ_SK_E_clIPySD_S10_SD_EESH_SX_SI_SJ_SK_EUlSX_E_NS1_11comp_targetILNS1_3genE0ELNS1_11target_archE4294967295ELNS1_3gpuE0ELNS1_3repE0EEENS1_48merge_mergepath_partition_config_static_selectorELNS0_4arch9wavefront6targetE1EEEvSJ_,"axG",@progbits,_ZN7rocprim17ROCPRIM_400000_NS6detail17trampoline_kernelINS0_14default_configENS1_38merge_sort_block_merge_config_selectorIyyEEZZNS1_27merge_sort_block_merge_implIS3_N6thrust23THRUST_200600_302600_NS6detail15normal_iteratorINS8_10device_ptrIyEEEESD_jNS1_19radix_merge_compareILb0ELb1EyNS0_19identity_decomposerEEEEE10hipError_tT0_T1_T2_jT3_P12ihipStream_tbPNSt15iterator_traitsISI_E10value_typeEPNSO_ISJ_E10value_typeEPSK_NS1_7vsmem_tEENKUlT_SI_SJ_SK_E_clIPySD_S10_SD_EESH_SX_SI_SJ_SK_EUlSX_E_NS1_11comp_targetILNS1_3genE0ELNS1_11target_archE4294967295ELNS1_3gpuE0ELNS1_3repE0EEENS1_48merge_mergepath_partition_config_static_selectorELNS0_4arch9wavefront6targetE1EEEvSJ_,comdat
.Lfunc_end453:
	.size	_ZN7rocprim17ROCPRIM_400000_NS6detail17trampoline_kernelINS0_14default_configENS1_38merge_sort_block_merge_config_selectorIyyEEZZNS1_27merge_sort_block_merge_implIS3_N6thrust23THRUST_200600_302600_NS6detail15normal_iteratorINS8_10device_ptrIyEEEESD_jNS1_19radix_merge_compareILb0ELb1EyNS0_19identity_decomposerEEEEE10hipError_tT0_T1_T2_jT3_P12ihipStream_tbPNSt15iterator_traitsISI_E10value_typeEPNSO_ISJ_E10value_typeEPSK_NS1_7vsmem_tEENKUlT_SI_SJ_SK_E_clIPySD_S10_SD_EESH_SX_SI_SJ_SK_EUlSX_E_NS1_11comp_targetILNS1_3genE0ELNS1_11target_archE4294967295ELNS1_3gpuE0ELNS1_3repE0EEENS1_48merge_mergepath_partition_config_static_selectorELNS0_4arch9wavefront6targetE1EEEvSJ_, .Lfunc_end453-_ZN7rocprim17ROCPRIM_400000_NS6detail17trampoline_kernelINS0_14default_configENS1_38merge_sort_block_merge_config_selectorIyyEEZZNS1_27merge_sort_block_merge_implIS3_N6thrust23THRUST_200600_302600_NS6detail15normal_iteratorINS8_10device_ptrIyEEEESD_jNS1_19radix_merge_compareILb0ELb1EyNS0_19identity_decomposerEEEEE10hipError_tT0_T1_T2_jT3_P12ihipStream_tbPNSt15iterator_traitsISI_E10value_typeEPNSO_ISJ_E10value_typeEPSK_NS1_7vsmem_tEENKUlT_SI_SJ_SK_E_clIPySD_S10_SD_EESH_SX_SI_SJ_SK_EUlSX_E_NS1_11comp_targetILNS1_3genE0ELNS1_11target_archE4294967295ELNS1_3gpuE0ELNS1_3repE0EEENS1_48merge_mergepath_partition_config_static_selectorELNS0_4arch9wavefront6targetE1EEEvSJ_
                                        ; -- End function
	.set _ZN7rocprim17ROCPRIM_400000_NS6detail17trampoline_kernelINS0_14default_configENS1_38merge_sort_block_merge_config_selectorIyyEEZZNS1_27merge_sort_block_merge_implIS3_N6thrust23THRUST_200600_302600_NS6detail15normal_iteratorINS8_10device_ptrIyEEEESD_jNS1_19radix_merge_compareILb0ELb1EyNS0_19identity_decomposerEEEEE10hipError_tT0_T1_T2_jT3_P12ihipStream_tbPNSt15iterator_traitsISI_E10value_typeEPNSO_ISJ_E10value_typeEPSK_NS1_7vsmem_tEENKUlT_SI_SJ_SK_E_clIPySD_S10_SD_EESH_SX_SI_SJ_SK_EUlSX_E_NS1_11comp_targetILNS1_3genE0ELNS1_11target_archE4294967295ELNS1_3gpuE0ELNS1_3repE0EEENS1_48merge_mergepath_partition_config_static_selectorELNS0_4arch9wavefront6targetE1EEEvSJ_.num_vgpr, 16
	.set _ZN7rocprim17ROCPRIM_400000_NS6detail17trampoline_kernelINS0_14default_configENS1_38merge_sort_block_merge_config_selectorIyyEEZZNS1_27merge_sort_block_merge_implIS3_N6thrust23THRUST_200600_302600_NS6detail15normal_iteratorINS8_10device_ptrIyEEEESD_jNS1_19radix_merge_compareILb0ELb1EyNS0_19identity_decomposerEEEEE10hipError_tT0_T1_T2_jT3_P12ihipStream_tbPNSt15iterator_traitsISI_E10value_typeEPNSO_ISJ_E10value_typeEPSK_NS1_7vsmem_tEENKUlT_SI_SJ_SK_E_clIPySD_S10_SD_EESH_SX_SI_SJ_SK_EUlSX_E_NS1_11comp_targetILNS1_3genE0ELNS1_11target_archE4294967295ELNS1_3gpuE0ELNS1_3repE0EEENS1_48merge_mergepath_partition_config_static_selectorELNS0_4arch9wavefront6targetE1EEEvSJ_.num_agpr, 0
	.set _ZN7rocprim17ROCPRIM_400000_NS6detail17trampoline_kernelINS0_14default_configENS1_38merge_sort_block_merge_config_selectorIyyEEZZNS1_27merge_sort_block_merge_implIS3_N6thrust23THRUST_200600_302600_NS6detail15normal_iteratorINS8_10device_ptrIyEEEESD_jNS1_19radix_merge_compareILb0ELb1EyNS0_19identity_decomposerEEEEE10hipError_tT0_T1_T2_jT3_P12ihipStream_tbPNSt15iterator_traitsISI_E10value_typeEPNSO_ISJ_E10value_typeEPSK_NS1_7vsmem_tEENKUlT_SI_SJ_SK_E_clIPySD_S10_SD_EESH_SX_SI_SJ_SK_EUlSX_E_NS1_11comp_targetILNS1_3genE0ELNS1_11target_archE4294967295ELNS1_3gpuE0ELNS1_3repE0EEENS1_48merge_mergepath_partition_config_static_selectorELNS0_4arch9wavefront6targetE1EEEvSJ_.numbered_sgpr, 10
	.set _ZN7rocprim17ROCPRIM_400000_NS6detail17trampoline_kernelINS0_14default_configENS1_38merge_sort_block_merge_config_selectorIyyEEZZNS1_27merge_sort_block_merge_implIS3_N6thrust23THRUST_200600_302600_NS6detail15normal_iteratorINS8_10device_ptrIyEEEESD_jNS1_19radix_merge_compareILb0ELb1EyNS0_19identity_decomposerEEEEE10hipError_tT0_T1_T2_jT3_P12ihipStream_tbPNSt15iterator_traitsISI_E10value_typeEPNSO_ISJ_E10value_typeEPSK_NS1_7vsmem_tEENKUlT_SI_SJ_SK_E_clIPySD_S10_SD_EESH_SX_SI_SJ_SK_EUlSX_E_NS1_11comp_targetILNS1_3genE0ELNS1_11target_archE4294967295ELNS1_3gpuE0ELNS1_3repE0EEENS1_48merge_mergepath_partition_config_static_selectorELNS0_4arch9wavefront6targetE1EEEvSJ_.num_named_barrier, 0
	.set _ZN7rocprim17ROCPRIM_400000_NS6detail17trampoline_kernelINS0_14default_configENS1_38merge_sort_block_merge_config_selectorIyyEEZZNS1_27merge_sort_block_merge_implIS3_N6thrust23THRUST_200600_302600_NS6detail15normal_iteratorINS8_10device_ptrIyEEEESD_jNS1_19radix_merge_compareILb0ELb1EyNS0_19identity_decomposerEEEEE10hipError_tT0_T1_T2_jT3_P12ihipStream_tbPNSt15iterator_traitsISI_E10value_typeEPNSO_ISJ_E10value_typeEPSK_NS1_7vsmem_tEENKUlT_SI_SJ_SK_E_clIPySD_S10_SD_EESH_SX_SI_SJ_SK_EUlSX_E_NS1_11comp_targetILNS1_3genE0ELNS1_11target_archE4294967295ELNS1_3gpuE0ELNS1_3repE0EEENS1_48merge_mergepath_partition_config_static_selectorELNS0_4arch9wavefront6targetE1EEEvSJ_.private_seg_size, 0
	.set _ZN7rocprim17ROCPRIM_400000_NS6detail17trampoline_kernelINS0_14default_configENS1_38merge_sort_block_merge_config_selectorIyyEEZZNS1_27merge_sort_block_merge_implIS3_N6thrust23THRUST_200600_302600_NS6detail15normal_iteratorINS8_10device_ptrIyEEEESD_jNS1_19radix_merge_compareILb0ELb1EyNS0_19identity_decomposerEEEEE10hipError_tT0_T1_T2_jT3_P12ihipStream_tbPNSt15iterator_traitsISI_E10value_typeEPNSO_ISJ_E10value_typeEPSK_NS1_7vsmem_tEENKUlT_SI_SJ_SK_E_clIPySD_S10_SD_EESH_SX_SI_SJ_SK_EUlSX_E_NS1_11comp_targetILNS1_3genE0ELNS1_11target_archE4294967295ELNS1_3gpuE0ELNS1_3repE0EEENS1_48merge_mergepath_partition_config_static_selectorELNS0_4arch9wavefront6targetE1EEEvSJ_.uses_vcc, 1
	.set _ZN7rocprim17ROCPRIM_400000_NS6detail17trampoline_kernelINS0_14default_configENS1_38merge_sort_block_merge_config_selectorIyyEEZZNS1_27merge_sort_block_merge_implIS3_N6thrust23THRUST_200600_302600_NS6detail15normal_iteratorINS8_10device_ptrIyEEEESD_jNS1_19radix_merge_compareILb0ELb1EyNS0_19identity_decomposerEEEEE10hipError_tT0_T1_T2_jT3_P12ihipStream_tbPNSt15iterator_traitsISI_E10value_typeEPNSO_ISJ_E10value_typeEPSK_NS1_7vsmem_tEENKUlT_SI_SJ_SK_E_clIPySD_S10_SD_EESH_SX_SI_SJ_SK_EUlSX_E_NS1_11comp_targetILNS1_3genE0ELNS1_11target_archE4294967295ELNS1_3gpuE0ELNS1_3repE0EEENS1_48merge_mergepath_partition_config_static_selectorELNS0_4arch9wavefront6targetE1EEEvSJ_.uses_flat_scratch, 0
	.set _ZN7rocprim17ROCPRIM_400000_NS6detail17trampoline_kernelINS0_14default_configENS1_38merge_sort_block_merge_config_selectorIyyEEZZNS1_27merge_sort_block_merge_implIS3_N6thrust23THRUST_200600_302600_NS6detail15normal_iteratorINS8_10device_ptrIyEEEESD_jNS1_19radix_merge_compareILb0ELb1EyNS0_19identity_decomposerEEEEE10hipError_tT0_T1_T2_jT3_P12ihipStream_tbPNSt15iterator_traitsISI_E10value_typeEPNSO_ISJ_E10value_typeEPSK_NS1_7vsmem_tEENKUlT_SI_SJ_SK_E_clIPySD_S10_SD_EESH_SX_SI_SJ_SK_EUlSX_E_NS1_11comp_targetILNS1_3genE0ELNS1_11target_archE4294967295ELNS1_3gpuE0ELNS1_3repE0EEENS1_48merge_mergepath_partition_config_static_selectorELNS0_4arch9wavefront6targetE1EEEvSJ_.has_dyn_sized_stack, 0
	.set _ZN7rocprim17ROCPRIM_400000_NS6detail17trampoline_kernelINS0_14default_configENS1_38merge_sort_block_merge_config_selectorIyyEEZZNS1_27merge_sort_block_merge_implIS3_N6thrust23THRUST_200600_302600_NS6detail15normal_iteratorINS8_10device_ptrIyEEEESD_jNS1_19radix_merge_compareILb0ELb1EyNS0_19identity_decomposerEEEEE10hipError_tT0_T1_T2_jT3_P12ihipStream_tbPNSt15iterator_traitsISI_E10value_typeEPNSO_ISJ_E10value_typeEPSK_NS1_7vsmem_tEENKUlT_SI_SJ_SK_E_clIPySD_S10_SD_EESH_SX_SI_SJ_SK_EUlSX_E_NS1_11comp_targetILNS1_3genE0ELNS1_11target_archE4294967295ELNS1_3gpuE0ELNS1_3repE0EEENS1_48merge_mergepath_partition_config_static_selectorELNS0_4arch9wavefront6targetE1EEEvSJ_.has_recursion, 0
	.set _ZN7rocprim17ROCPRIM_400000_NS6detail17trampoline_kernelINS0_14default_configENS1_38merge_sort_block_merge_config_selectorIyyEEZZNS1_27merge_sort_block_merge_implIS3_N6thrust23THRUST_200600_302600_NS6detail15normal_iteratorINS8_10device_ptrIyEEEESD_jNS1_19radix_merge_compareILb0ELb1EyNS0_19identity_decomposerEEEEE10hipError_tT0_T1_T2_jT3_P12ihipStream_tbPNSt15iterator_traitsISI_E10value_typeEPNSO_ISJ_E10value_typeEPSK_NS1_7vsmem_tEENKUlT_SI_SJ_SK_E_clIPySD_S10_SD_EESH_SX_SI_SJ_SK_EUlSX_E_NS1_11comp_targetILNS1_3genE0ELNS1_11target_archE4294967295ELNS1_3gpuE0ELNS1_3repE0EEENS1_48merge_mergepath_partition_config_static_selectorELNS0_4arch9wavefront6targetE1EEEvSJ_.has_indirect_call, 0
	.section	.AMDGPU.csdata,"",@progbits
; Kernel info:
; codeLenInByte = 344
; TotalNumSgprs: 16
; NumVgprs: 16
; NumAgprs: 0
; TotalNumVgprs: 16
; ScratchSize: 0
; MemoryBound: 0
; FloatMode: 240
; IeeeMode: 1
; LDSByteSize: 0 bytes/workgroup (compile time only)
; SGPRBlocks: 1
; VGPRBlocks: 1
; NumSGPRsForWavesPerEU: 16
; NumVGPRsForWavesPerEU: 16
; AccumOffset: 16
; Occupancy: 8
; WaveLimiterHint : 0
; COMPUTE_PGM_RSRC2:SCRATCH_EN: 0
; COMPUTE_PGM_RSRC2:USER_SGPR: 2
; COMPUTE_PGM_RSRC2:TRAP_HANDLER: 0
; COMPUTE_PGM_RSRC2:TGID_X_EN: 1
; COMPUTE_PGM_RSRC2:TGID_Y_EN: 0
; COMPUTE_PGM_RSRC2:TGID_Z_EN: 0
; COMPUTE_PGM_RSRC2:TIDIG_COMP_CNT: 0
; COMPUTE_PGM_RSRC3_GFX90A:ACCUM_OFFSET: 3
; COMPUTE_PGM_RSRC3_GFX90A:TG_SPLIT: 0
	.section	.text._ZN7rocprim17ROCPRIM_400000_NS6detail17trampoline_kernelINS0_14default_configENS1_38merge_sort_block_merge_config_selectorIyyEEZZNS1_27merge_sort_block_merge_implIS3_N6thrust23THRUST_200600_302600_NS6detail15normal_iteratorINS8_10device_ptrIyEEEESD_jNS1_19radix_merge_compareILb0ELb1EyNS0_19identity_decomposerEEEEE10hipError_tT0_T1_T2_jT3_P12ihipStream_tbPNSt15iterator_traitsISI_E10value_typeEPNSO_ISJ_E10value_typeEPSK_NS1_7vsmem_tEENKUlT_SI_SJ_SK_E_clIPySD_S10_SD_EESH_SX_SI_SJ_SK_EUlSX_E_NS1_11comp_targetILNS1_3genE10ELNS1_11target_archE1201ELNS1_3gpuE5ELNS1_3repE0EEENS1_48merge_mergepath_partition_config_static_selectorELNS0_4arch9wavefront6targetE1EEEvSJ_,"axG",@progbits,_ZN7rocprim17ROCPRIM_400000_NS6detail17trampoline_kernelINS0_14default_configENS1_38merge_sort_block_merge_config_selectorIyyEEZZNS1_27merge_sort_block_merge_implIS3_N6thrust23THRUST_200600_302600_NS6detail15normal_iteratorINS8_10device_ptrIyEEEESD_jNS1_19radix_merge_compareILb0ELb1EyNS0_19identity_decomposerEEEEE10hipError_tT0_T1_T2_jT3_P12ihipStream_tbPNSt15iterator_traitsISI_E10value_typeEPNSO_ISJ_E10value_typeEPSK_NS1_7vsmem_tEENKUlT_SI_SJ_SK_E_clIPySD_S10_SD_EESH_SX_SI_SJ_SK_EUlSX_E_NS1_11comp_targetILNS1_3genE10ELNS1_11target_archE1201ELNS1_3gpuE5ELNS1_3repE0EEENS1_48merge_mergepath_partition_config_static_selectorELNS0_4arch9wavefront6targetE1EEEvSJ_,comdat
	.protected	_ZN7rocprim17ROCPRIM_400000_NS6detail17trampoline_kernelINS0_14default_configENS1_38merge_sort_block_merge_config_selectorIyyEEZZNS1_27merge_sort_block_merge_implIS3_N6thrust23THRUST_200600_302600_NS6detail15normal_iteratorINS8_10device_ptrIyEEEESD_jNS1_19radix_merge_compareILb0ELb1EyNS0_19identity_decomposerEEEEE10hipError_tT0_T1_T2_jT3_P12ihipStream_tbPNSt15iterator_traitsISI_E10value_typeEPNSO_ISJ_E10value_typeEPSK_NS1_7vsmem_tEENKUlT_SI_SJ_SK_E_clIPySD_S10_SD_EESH_SX_SI_SJ_SK_EUlSX_E_NS1_11comp_targetILNS1_3genE10ELNS1_11target_archE1201ELNS1_3gpuE5ELNS1_3repE0EEENS1_48merge_mergepath_partition_config_static_selectorELNS0_4arch9wavefront6targetE1EEEvSJ_ ; -- Begin function _ZN7rocprim17ROCPRIM_400000_NS6detail17trampoline_kernelINS0_14default_configENS1_38merge_sort_block_merge_config_selectorIyyEEZZNS1_27merge_sort_block_merge_implIS3_N6thrust23THRUST_200600_302600_NS6detail15normal_iteratorINS8_10device_ptrIyEEEESD_jNS1_19radix_merge_compareILb0ELb1EyNS0_19identity_decomposerEEEEE10hipError_tT0_T1_T2_jT3_P12ihipStream_tbPNSt15iterator_traitsISI_E10value_typeEPNSO_ISJ_E10value_typeEPSK_NS1_7vsmem_tEENKUlT_SI_SJ_SK_E_clIPySD_S10_SD_EESH_SX_SI_SJ_SK_EUlSX_E_NS1_11comp_targetILNS1_3genE10ELNS1_11target_archE1201ELNS1_3gpuE5ELNS1_3repE0EEENS1_48merge_mergepath_partition_config_static_selectorELNS0_4arch9wavefront6targetE1EEEvSJ_
	.globl	_ZN7rocprim17ROCPRIM_400000_NS6detail17trampoline_kernelINS0_14default_configENS1_38merge_sort_block_merge_config_selectorIyyEEZZNS1_27merge_sort_block_merge_implIS3_N6thrust23THRUST_200600_302600_NS6detail15normal_iteratorINS8_10device_ptrIyEEEESD_jNS1_19radix_merge_compareILb0ELb1EyNS0_19identity_decomposerEEEEE10hipError_tT0_T1_T2_jT3_P12ihipStream_tbPNSt15iterator_traitsISI_E10value_typeEPNSO_ISJ_E10value_typeEPSK_NS1_7vsmem_tEENKUlT_SI_SJ_SK_E_clIPySD_S10_SD_EESH_SX_SI_SJ_SK_EUlSX_E_NS1_11comp_targetILNS1_3genE10ELNS1_11target_archE1201ELNS1_3gpuE5ELNS1_3repE0EEENS1_48merge_mergepath_partition_config_static_selectorELNS0_4arch9wavefront6targetE1EEEvSJ_
	.p2align	8
	.type	_ZN7rocprim17ROCPRIM_400000_NS6detail17trampoline_kernelINS0_14default_configENS1_38merge_sort_block_merge_config_selectorIyyEEZZNS1_27merge_sort_block_merge_implIS3_N6thrust23THRUST_200600_302600_NS6detail15normal_iteratorINS8_10device_ptrIyEEEESD_jNS1_19radix_merge_compareILb0ELb1EyNS0_19identity_decomposerEEEEE10hipError_tT0_T1_T2_jT3_P12ihipStream_tbPNSt15iterator_traitsISI_E10value_typeEPNSO_ISJ_E10value_typeEPSK_NS1_7vsmem_tEENKUlT_SI_SJ_SK_E_clIPySD_S10_SD_EESH_SX_SI_SJ_SK_EUlSX_E_NS1_11comp_targetILNS1_3genE10ELNS1_11target_archE1201ELNS1_3gpuE5ELNS1_3repE0EEENS1_48merge_mergepath_partition_config_static_selectorELNS0_4arch9wavefront6targetE1EEEvSJ_,@function
_ZN7rocprim17ROCPRIM_400000_NS6detail17trampoline_kernelINS0_14default_configENS1_38merge_sort_block_merge_config_selectorIyyEEZZNS1_27merge_sort_block_merge_implIS3_N6thrust23THRUST_200600_302600_NS6detail15normal_iteratorINS8_10device_ptrIyEEEESD_jNS1_19radix_merge_compareILb0ELb1EyNS0_19identity_decomposerEEEEE10hipError_tT0_T1_T2_jT3_P12ihipStream_tbPNSt15iterator_traitsISI_E10value_typeEPNSO_ISJ_E10value_typeEPSK_NS1_7vsmem_tEENKUlT_SI_SJ_SK_E_clIPySD_S10_SD_EESH_SX_SI_SJ_SK_EUlSX_E_NS1_11comp_targetILNS1_3genE10ELNS1_11target_archE1201ELNS1_3gpuE5ELNS1_3repE0EEENS1_48merge_mergepath_partition_config_static_selectorELNS0_4arch9wavefront6targetE1EEEvSJ_: ; @_ZN7rocprim17ROCPRIM_400000_NS6detail17trampoline_kernelINS0_14default_configENS1_38merge_sort_block_merge_config_selectorIyyEEZZNS1_27merge_sort_block_merge_implIS3_N6thrust23THRUST_200600_302600_NS6detail15normal_iteratorINS8_10device_ptrIyEEEESD_jNS1_19radix_merge_compareILb0ELb1EyNS0_19identity_decomposerEEEEE10hipError_tT0_T1_T2_jT3_P12ihipStream_tbPNSt15iterator_traitsISI_E10value_typeEPNSO_ISJ_E10value_typeEPSK_NS1_7vsmem_tEENKUlT_SI_SJ_SK_E_clIPySD_S10_SD_EESH_SX_SI_SJ_SK_EUlSX_E_NS1_11comp_targetILNS1_3genE10ELNS1_11target_archE1201ELNS1_3gpuE5ELNS1_3repE0EEENS1_48merge_mergepath_partition_config_static_selectorELNS0_4arch9wavefront6targetE1EEEvSJ_
; %bb.0:
	.section	.rodata,"a",@progbits
	.p2align	6, 0x0
	.amdhsa_kernel _ZN7rocprim17ROCPRIM_400000_NS6detail17trampoline_kernelINS0_14default_configENS1_38merge_sort_block_merge_config_selectorIyyEEZZNS1_27merge_sort_block_merge_implIS3_N6thrust23THRUST_200600_302600_NS6detail15normal_iteratorINS8_10device_ptrIyEEEESD_jNS1_19radix_merge_compareILb0ELb1EyNS0_19identity_decomposerEEEEE10hipError_tT0_T1_T2_jT3_P12ihipStream_tbPNSt15iterator_traitsISI_E10value_typeEPNSO_ISJ_E10value_typeEPSK_NS1_7vsmem_tEENKUlT_SI_SJ_SK_E_clIPySD_S10_SD_EESH_SX_SI_SJ_SK_EUlSX_E_NS1_11comp_targetILNS1_3genE10ELNS1_11target_archE1201ELNS1_3gpuE5ELNS1_3repE0EEENS1_48merge_mergepath_partition_config_static_selectorELNS0_4arch9wavefront6targetE1EEEvSJ_
		.amdhsa_group_segment_fixed_size 0
		.amdhsa_private_segment_fixed_size 0
		.amdhsa_kernarg_size 40
		.amdhsa_user_sgpr_count 2
		.amdhsa_user_sgpr_dispatch_ptr 0
		.amdhsa_user_sgpr_queue_ptr 0
		.amdhsa_user_sgpr_kernarg_segment_ptr 1
		.amdhsa_user_sgpr_dispatch_id 0
		.amdhsa_user_sgpr_kernarg_preload_length 0
		.amdhsa_user_sgpr_kernarg_preload_offset 0
		.amdhsa_user_sgpr_private_segment_size 0
		.amdhsa_uses_dynamic_stack 0
		.amdhsa_enable_private_segment 0
		.amdhsa_system_sgpr_workgroup_id_x 1
		.amdhsa_system_sgpr_workgroup_id_y 0
		.amdhsa_system_sgpr_workgroup_id_z 0
		.amdhsa_system_sgpr_workgroup_info 0
		.amdhsa_system_vgpr_workitem_id 0
		.amdhsa_next_free_vgpr 1
		.amdhsa_next_free_sgpr 0
		.amdhsa_accum_offset 4
		.amdhsa_reserve_vcc 0
		.amdhsa_float_round_mode_32 0
		.amdhsa_float_round_mode_16_64 0
		.amdhsa_float_denorm_mode_32 3
		.amdhsa_float_denorm_mode_16_64 3
		.amdhsa_dx10_clamp 1
		.amdhsa_ieee_mode 1
		.amdhsa_fp16_overflow 0
		.amdhsa_tg_split 0
		.amdhsa_exception_fp_ieee_invalid_op 0
		.amdhsa_exception_fp_denorm_src 0
		.amdhsa_exception_fp_ieee_div_zero 0
		.amdhsa_exception_fp_ieee_overflow 0
		.amdhsa_exception_fp_ieee_underflow 0
		.amdhsa_exception_fp_ieee_inexact 0
		.amdhsa_exception_int_div_zero 0
	.end_amdhsa_kernel
	.section	.text._ZN7rocprim17ROCPRIM_400000_NS6detail17trampoline_kernelINS0_14default_configENS1_38merge_sort_block_merge_config_selectorIyyEEZZNS1_27merge_sort_block_merge_implIS3_N6thrust23THRUST_200600_302600_NS6detail15normal_iteratorINS8_10device_ptrIyEEEESD_jNS1_19radix_merge_compareILb0ELb1EyNS0_19identity_decomposerEEEEE10hipError_tT0_T1_T2_jT3_P12ihipStream_tbPNSt15iterator_traitsISI_E10value_typeEPNSO_ISJ_E10value_typeEPSK_NS1_7vsmem_tEENKUlT_SI_SJ_SK_E_clIPySD_S10_SD_EESH_SX_SI_SJ_SK_EUlSX_E_NS1_11comp_targetILNS1_3genE10ELNS1_11target_archE1201ELNS1_3gpuE5ELNS1_3repE0EEENS1_48merge_mergepath_partition_config_static_selectorELNS0_4arch9wavefront6targetE1EEEvSJ_,"axG",@progbits,_ZN7rocprim17ROCPRIM_400000_NS6detail17trampoline_kernelINS0_14default_configENS1_38merge_sort_block_merge_config_selectorIyyEEZZNS1_27merge_sort_block_merge_implIS3_N6thrust23THRUST_200600_302600_NS6detail15normal_iteratorINS8_10device_ptrIyEEEESD_jNS1_19radix_merge_compareILb0ELb1EyNS0_19identity_decomposerEEEEE10hipError_tT0_T1_T2_jT3_P12ihipStream_tbPNSt15iterator_traitsISI_E10value_typeEPNSO_ISJ_E10value_typeEPSK_NS1_7vsmem_tEENKUlT_SI_SJ_SK_E_clIPySD_S10_SD_EESH_SX_SI_SJ_SK_EUlSX_E_NS1_11comp_targetILNS1_3genE10ELNS1_11target_archE1201ELNS1_3gpuE5ELNS1_3repE0EEENS1_48merge_mergepath_partition_config_static_selectorELNS0_4arch9wavefront6targetE1EEEvSJ_,comdat
.Lfunc_end454:
	.size	_ZN7rocprim17ROCPRIM_400000_NS6detail17trampoline_kernelINS0_14default_configENS1_38merge_sort_block_merge_config_selectorIyyEEZZNS1_27merge_sort_block_merge_implIS3_N6thrust23THRUST_200600_302600_NS6detail15normal_iteratorINS8_10device_ptrIyEEEESD_jNS1_19radix_merge_compareILb0ELb1EyNS0_19identity_decomposerEEEEE10hipError_tT0_T1_T2_jT3_P12ihipStream_tbPNSt15iterator_traitsISI_E10value_typeEPNSO_ISJ_E10value_typeEPSK_NS1_7vsmem_tEENKUlT_SI_SJ_SK_E_clIPySD_S10_SD_EESH_SX_SI_SJ_SK_EUlSX_E_NS1_11comp_targetILNS1_3genE10ELNS1_11target_archE1201ELNS1_3gpuE5ELNS1_3repE0EEENS1_48merge_mergepath_partition_config_static_selectorELNS0_4arch9wavefront6targetE1EEEvSJ_, .Lfunc_end454-_ZN7rocprim17ROCPRIM_400000_NS6detail17trampoline_kernelINS0_14default_configENS1_38merge_sort_block_merge_config_selectorIyyEEZZNS1_27merge_sort_block_merge_implIS3_N6thrust23THRUST_200600_302600_NS6detail15normal_iteratorINS8_10device_ptrIyEEEESD_jNS1_19radix_merge_compareILb0ELb1EyNS0_19identity_decomposerEEEEE10hipError_tT0_T1_T2_jT3_P12ihipStream_tbPNSt15iterator_traitsISI_E10value_typeEPNSO_ISJ_E10value_typeEPSK_NS1_7vsmem_tEENKUlT_SI_SJ_SK_E_clIPySD_S10_SD_EESH_SX_SI_SJ_SK_EUlSX_E_NS1_11comp_targetILNS1_3genE10ELNS1_11target_archE1201ELNS1_3gpuE5ELNS1_3repE0EEENS1_48merge_mergepath_partition_config_static_selectorELNS0_4arch9wavefront6targetE1EEEvSJ_
                                        ; -- End function
	.set _ZN7rocprim17ROCPRIM_400000_NS6detail17trampoline_kernelINS0_14default_configENS1_38merge_sort_block_merge_config_selectorIyyEEZZNS1_27merge_sort_block_merge_implIS3_N6thrust23THRUST_200600_302600_NS6detail15normal_iteratorINS8_10device_ptrIyEEEESD_jNS1_19radix_merge_compareILb0ELb1EyNS0_19identity_decomposerEEEEE10hipError_tT0_T1_T2_jT3_P12ihipStream_tbPNSt15iterator_traitsISI_E10value_typeEPNSO_ISJ_E10value_typeEPSK_NS1_7vsmem_tEENKUlT_SI_SJ_SK_E_clIPySD_S10_SD_EESH_SX_SI_SJ_SK_EUlSX_E_NS1_11comp_targetILNS1_3genE10ELNS1_11target_archE1201ELNS1_3gpuE5ELNS1_3repE0EEENS1_48merge_mergepath_partition_config_static_selectorELNS0_4arch9wavefront6targetE1EEEvSJ_.num_vgpr, 0
	.set _ZN7rocprim17ROCPRIM_400000_NS6detail17trampoline_kernelINS0_14default_configENS1_38merge_sort_block_merge_config_selectorIyyEEZZNS1_27merge_sort_block_merge_implIS3_N6thrust23THRUST_200600_302600_NS6detail15normal_iteratorINS8_10device_ptrIyEEEESD_jNS1_19radix_merge_compareILb0ELb1EyNS0_19identity_decomposerEEEEE10hipError_tT0_T1_T2_jT3_P12ihipStream_tbPNSt15iterator_traitsISI_E10value_typeEPNSO_ISJ_E10value_typeEPSK_NS1_7vsmem_tEENKUlT_SI_SJ_SK_E_clIPySD_S10_SD_EESH_SX_SI_SJ_SK_EUlSX_E_NS1_11comp_targetILNS1_3genE10ELNS1_11target_archE1201ELNS1_3gpuE5ELNS1_3repE0EEENS1_48merge_mergepath_partition_config_static_selectorELNS0_4arch9wavefront6targetE1EEEvSJ_.num_agpr, 0
	.set _ZN7rocprim17ROCPRIM_400000_NS6detail17trampoline_kernelINS0_14default_configENS1_38merge_sort_block_merge_config_selectorIyyEEZZNS1_27merge_sort_block_merge_implIS3_N6thrust23THRUST_200600_302600_NS6detail15normal_iteratorINS8_10device_ptrIyEEEESD_jNS1_19radix_merge_compareILb0ELb1EyNS0_19identity_decomposerEEEEE10hipError_tT0_T1_T2_jT3_P12ihipStream_tbPNSt15iterator_traitsISI_E10value_typeEPNSO_ISJ_E10value_typeEPSK_NS1_7vsmem_tEENKUlT_SI_SJ_SK_E_clIPySD_S10_SD_EESH_SX_SI_SJ_SK_EUlSX_E_NS1_11comp_targetILNS1_3genE10ELNS1_11target_archE1201ELNS1_3gpuE5ELNS1_3repE0EEENS1_48merge_mergepath_partition_config_static_selectorELNS0_4arch9wavefront6targetE1EEEvSJ_.numbered_sgpr, 0
	.set _ZN7rocprim17ROCPRIM_400000_NS6detail17trampoline_kernelINS0_14default_configENS1_38merge_sort_block_merge_config_selectorIyyEEZZNS1_27merge_sort_block_merge_implIS3_N6thrust23THRUST_200600_302600_NS6detail15normal_iteratorINS8_10device_ptrIyEEEESD_jNS1_19radix_merge_compareILb0ELb1EyNS0_19identity_decomposerEEEEE10hipError_tT0_T1_T2_jT3_P12ihipStream_tbPNSt15iterator_traitsISI_E10value_typeEPNSO_ISJ_E10value_typeEPSK_NS1_7vsmem_tEENKUlT_SI_SJ_SK_E_clIPySD_S10_SD_EESH_SX_SI_SJ_SK_EUlSX_E_NS1_11comp_targetILNS1_3genE10ELNS1_11target_archE1201ELNS1_3gpuE5ELNS1_3repE0EEENS1_48merge_mergepath_partition_config_static_selectorELNS0_4arch9wavefront6targetE1EEEvSJ_.num_named_barrier, 0
	.set _ZN7rocprim17ROCPRIM_400000_NS6detail17trampoline_kernelINS0_14default_configENS1_38merge_sort_block_merge_config_selectorIyyEEZZNS1_27merge_sort_block_merge_implIS3_N6thrust23THRUST_200600_302600_NS6detail15normal_iteratorINS8_10device_ptrIyEEEESD_jNS1_19radix_merge_compareILb0ELb1EyNS0_19identity_decomposerEEEEE10hipError_tT0_T1_T2_jT3_P12ihipStream_tbPNSt15iterator_traitsISI_E10value_typeEPNSO_ISJ_E10value_typeEPSK_NS1_7vsmem_tEENKUlT_SI_SJ_SK_E_clIPySD_S10_SD_EESH_SX_SI_SJ_SK_EUlSX_E_NS1_11comp_targetILNS1_3genE10ELNS1_11target_archE1201ELNS1_3gpuE5ELNS1_3repE0EEENS1_48merge_mergepath_partition_config_static_selectorELNS0_4arch9wavefront6targetE1EEEvSJ_.private_seg_size, 0
	.set _ZN7rocprim17ROCPRIM_400000_NS6detail17trampoline_kernelINS0_14default_configENS1_38merge_sort_block_merge_config_selectorIyyEEZZNS1_27merge_sort_block_merge_implIS3_N6thrust23THRUST_200600_302600_NS6detail15normal_iteratorINS8_10device_ptrIyEEEESD_jNS1_19radix_merge_compareILb0ELb1EyNS0_19identity_decomposerEEEEE10hipError_tT0_T1_T2_jT3_P12ihipStream_tbPNSt15iterator_traitsISI_E10value_typeEPNSO_ISJ_E10value_typeEPSK_NS1_7vsmem_tEENKUlT_SI_SJ_SK_E_clIPySD_S10_SD_EESH_SX_SI_SJ_SK_EUlSX_E_NS1_11comp_targetILNS1_3genE10ELNS1_11target_archE1201ELNS1_3gpuE5ELNS1_3repE0EEENS1_48merge_mergepath_partition_config_static_selectorELNS0_4arch9wavefront6targetE1EEEvSJ_.uses_vcc, 0
	.set _ZN7rocprim17ROCPRIM_400000_NS6detail17trampoline_kernelINS0_14default_configENS1_38merge_sort_block_merge_config_selectorIyyEEZZNS1_27merge_sort_block_merge_implIS3_N6thrust23THRUST_200600_302600_NS6detail15normal_iteratorINS8_10device_ptrIyEEEESD_jNS1_19radix_merge_compareILb0ELb1EyNS0_19identity_decomposerEEEEE10hipError_tT0_T1_T2_jT3_P12ihipStream_tbPNSt15iterator_traitsISI_E10value_typeEPNSO_ISJ_E10value_typeEPSK_NS1_7vsmem_tEENKUlT_SI_SJ_SK_E_clIPySD_S10_SD_EESH_SX_SI_SJ_SK_EUlSX_E_NS1_11comp_targetILNS1_3genE10ELNS1_11target_archE1201ELNS1_3gpuE5ELNS1_3repE0EEENS1_48merge_mergepath_partition_config_static_selectorELNS0_4arch9wavefront6targetE1EEEvSJ_.uses_flat_scratch, 0
	.set _ZN7rocprim17ROCPRIM_400000_NS6detail17trampoline_kernelINS0_14default_configENS1_38merge_sort_block_merge_config_selectorIyyEEZZNS1_27merge_sort_block_merge_implIS3_N6thrust23THRUST_200600_302600_NS6detail15normal_iteratorINS8_10device_ptrIyEEEESD_jNS1_19radix_merge_compareILb0ELb1EyNS0_19identity_decomposerEEEEE10hipError_tT0_T1_T2_jT3_P12ihipStream_tbPNSt15iterator_traitsISI_E10value_typeEPNSO_ISJ_E10value_typeEPSK_NS1_7vsmem_tEENKUlT_SI_SJ_SK_E_clIPySD_S10_SD_EESH_SX_SI_SJ_SK_EUlSX_E_NS1_11comp_targetILNS1_3genE10ELNS1_11target_archE1201ELNS1_3gpuE5ELNS1_3repE0EEENS1_48merge_mergepath_partition_config_static_selectorELNS0_4arch9wavefront6targetE1EEEvSJ_.has_dyn_sized_stack, 0
	.set _ZN7rocprim17ROCPRIM_400000_NS6detail17trampoline_kernelINS0_14default_configENS1_38merge_sort_block_merge_config_selectorIyyEEZZNS1_27merge_sort_block_merge_implIS3_N6thrust23THRUST_200600_302600_NS6detail15normal_iteratorINS8_10device_ptrIyEEEESD_jNS1_19radix_merge_compareILb0ELb1EyNS0_19identity_decomposerEEEEE10hipError_tT0_T1_T2_jT3_P12ihipStream_tbPNSt15iterator_traitsISI_E10value_typeEPNSO_ISJ_E10value_typeEPSK_NS1_7vsmem_tEENKUlT_SI_SJ_SK_E_clIPySD_S10_SD_EESH_SX_SI_SJ_SK_EUlSX_E_NS1_11comp_targetILNS1_3genE10ELNS1_11target_archE1201ELNS1_3gpuE5ELNS1_3repE0EEENS1_48merge_mergepath_partition_config_static_selectorELNS0_4arch9wavefront6targetE1EEEvSJ_.has_recursion, 0
	.set _ZN7rocprim17ROCPRIM_400000_NS6detail17trampoline_kernelINS0_14default_configENS1_38merge_sort_block_merge_config_selectorIyyEEZZNS1_27merge_sort_block_merge_implIS3_N6thrust23THRUST_200600_302600_NS6detail15normal_iteratorINS8_10device_ptrIyEEEESD_jNS1_19radix_merge_compareILb0ELb1EyNS0_19identity_decomposerEEEEE10hipError_tT0_T1_T2_jT3_P12ihipStream_tbPNSt15iterator_traitsISI_E10value_typeEPNSO_ISJ_E10value_typeEPSK_NS1_7vsmem_tEENKUlT_SI_SJ_SK_E_clIPySD_S10_SD_EESH_SX_SI_SJ_SK_EUlSX_E_NS1_11comp_targetILNS1_3genE10ELNS1_11target_archE1201ELNS1_3gpuE5ELNS1_3repE0EEENS1_48merge_mergepath_partition_config_static_selectorELNS0_4arch9wavefront6targetE1EEEvSJ_.has_indirect_call, 0
	.section	.AMDGPU.csdata,"",@progbits
; Kernel info:
; codeLenInByte = 0
; TotalNumSgprs: 6
; NumVgprs: 0
; NumAgprs: 0
; TotalNumVgprs: 0
; ScratchSize: 0
; MemoryBound: 0
; FloatMode: 240
; IeeeMode: 1
; LDSByteSize: 0 bytes/workgroup (compile time only)
; SGPRBlocks: 0
; VGPRBlocks: 0
; NumSGPRsForWavesPerEU: 6
; NumVGPRsForWavesPerEU: 1
; AccumOffset: 4
; Occupancy: 8
; WaveLimiterHint : 0
; COMPUTE_PGM_RSRC2:SCRATCH_EN: 0
; COMPUTE_PGM_RSRC2:USER_SGPR: 2
; COMPUTE_PGM_RSRC2:TRAP_HANDLER: 0
; COMPUTE_PGM_RSRC2:TGID_X_EN: 1
; COMPUTE_PGM_RSRC2:TGID_Y_EN: 0
; COMPUTE_PGM_RSRC2:TGID_Z_EN: 0
; COMPUTE_PGM_RSRC2:TIDIG_COMP_CNT: 0
; COMPUTE_PGM_RSRC3_GFX90A:ACCUM_OFFSET: 0
; COMPUTE_PGM_RSRC3_GFX90A:TG_SPLIT: 0
	.section	.text._ZN7rocprim17ROCPRIM_400000_NS6detail17trampoline_kernelINS0_14default_configENS1_38merge_sort_block_merge_config_selectorIyyEEZZNS1_27merge_sort_block_merge_implIS3_N6thrust23THRUST_200600_302600_NS6detail15normal_iteratorINS8_10device_ptrIyEEEESD_jNS1_19radix_merge_compareILb0ELb1EyNS0_19identity_decomposerEEEEE10hipError_tT0_T1_T2_jT3_P12ihipStream_tbPNSt15iterator_traitsISI_E10value_typeEPNSO_ISJ_E10value_typeEPSK_NS1_7vsmem_tEENKUlT_SI_SJ_SK_E_clIPySD_S10_SD_EESH_SX_SI_SJ_SK_EUlSX_E_NS1_11comp_targetILNS1_3genE5ELNS1_11target_archE942ELNS1_3gpuE9ELNS1_3repE0EEENS1_48merge_mergepath_partition_config_static_selectorELNS0_4arch9wavefront6targetE1EEEvSJ_,"axG",@progbits,_ZN7rocprim17ROCPRIM_400000_NS6detail17trampoline_kernelINS0_14default_configENS1_38merge_sort_block_merge_config_selectorIyyEEZZNS1_27merge_sort_block_merge_implIS3_N6thrust23THRUST_200600_302600_NS6detail15normal_iteratorINS8_10device_ptrIyEEEESD_jNS1_19radix_merge_compareILb0ELb1EyNS0_19identity_decomposerEEEEE10hipError_tT0_T1_T2_jT3_P12ihipStream_tbPNSt15iterator_traitsISI_E10value_typeEPNSO_ISJ_E10value_typeEPSK_NS1_7vsmem_tEENKUlT_SI_SJ_SK_E_clIPySD_S10_SD_EESH_SX_SI_SJ_SK_EUlSX_E_NS1_11comp_targetILNS1_3genE5ELNS1_11target_archE942ELNS1_3gpuE9ELNS1_3repE0EEENS1_48merge_mergepath_partition_config_static_selectorELNS0_4arch9wavefront6targetE1EEEvSJ_,comdat
	.protected	_ZN7rocprim17ROCPRIM_400000_NS6detail17trampoline_kernelINS0_14default_configENS1_38merge_sort_block_merge_config_selectorIyyEEZZNS1_27merge_sort_block_merge_implIS3_N6thrust23THRUST_200600_302600_NS6detail15normal_iteratorINS8_10device_ptrIyEEEESD_jNS1_19radix_merge_compareILb0ELb1EyNS0_19identity_decomposerEEEEE10hipError_tT0_T1_T2_jT3_P12ihipStream_tbPNSt15iterator_traitsISI_E10value_typeEPNSO_ISJ_E10value_typeEPSK_NS1_7vsmem_tEENKUlT_SI_SJ_SK_E_clIPySD_S10_SD_EESH_SX_SI_SJ_SK_EUlSX_E_NS1_11comp_targetILNS1_3genE5ELNS1_11target_archE942ELNS1_3gpuE9ELNS1_3repE0EEENS1_48merge_mergepath_partition_config_static_selectorELNS0_4arch9wavefront6targetE1EEEvSJ_ ; -- Begin function _ZN7rocprim17ROCPRIM_400000_NS6detail17trampoline_kernelINS0_14default_configENS1_38merge_sort_block_merge_config_selectorIyyEEZZNS1_27merge_sort_block_merge_implIS3_N6thrust23THRUST_200600_302600_NS6detail15normal_iteratorINS8_10device_ptrIyEEEESD_jNS1_19radix_merge_compareILb0ELb1EyNS0_19identity_decomposerEEEEE10hipError_tT0_T1_T2_jT3_P12ihipStream_tbPNSt15iterator_traitsISI_E10value_typeEPNSO_ISJ_E10value_typeEPSK_NS1_7vsmem_tEENKUlT_SI_SJ_SK_E_clIPySD_S10_SD_EESH_SX_SI_SJ_SK_EUlSX_E_NS1_11comp_targetILNS1_3genE5ELNS1_11target_archE942ELNS1_3gpuE9ELNS1_3repE0EEENS1_48merge_mergepath_partition_config_static_selectorELNS0_4arch9wavefront6targetE1EEEvSJ_
	.globl	_ZN7rocprim17ROCPRIM_400000_NS6detail17trampoline_kernelINS0_14default_configENS1_38merge_sort_block_merge_config_selectorIyyEEZZNS1_27merge_sort_block_merge_implIS3_N6thrust23THRUST_200600_302600_NS6detail15normal_iteratorINS8_10device_ptrIyEEEESD_jNS1_19radix_merge_compareILb0ELb1EyNS0_19identity_decomposerEEEEE10hipError_tT0_T1_T2_jT3_P12ihipStream_tbPNSt15iterator_traitsISI_E10value_typeEPNSO_ISJ_E10value_typeEPSK_NS1_7vsmem_tEENKUlT_SI_SJ_SK_E_clIPySD_S10_SD_EESH_SX_SI_SJ_SK_EUlSX_E_NS1_11comp_targetILNS1_3genE5ELNS1_11target_archE942ELNS1_3gpuE9ELNS1_3repE0EEENS1_48merge_mergepath_partition_config_static_selectorELNS0_4arch9wavefront6targetE1EEEvSJ_
	.p2align	8
	.type	_ZN7rocprim17ROCPRIM_400000_NS6detail17trampoline_kernelINS0_14default_configENS1_38merge_sort_block_merge_config_selectorIyyEEZZNS1_27merge_sort_block_merge_implIS3_N6thrust23THRUST_200600_302600_NS6detail15normal_iteratorINS8_10device_ptrIyEEEESD_jNS1_19radix_merge_compareILb0ELb1EyNS0_19identity_decomposerEEEEE10hipError_tT0_T1_T2_jT3_P12ihipStream_tbPNSt15iterator_traitsISI_E10value_typeEPNSO_ISJ_E10value_typeEPSK_NS1_7vsmem_tEENKUlT_SI_SJ_SK_E_clIPySD_S10_SD_EESH_SX_SI_SJ_SK_EUlSX_E_NS1_11comp_targetILNS1_3genE5ELNS1_11target_archE942ELNS1_3gpuE9ELNS1_3repE0EEENS1_48merge_mergepath_partition_config_static_selectorELNS0_4arch9wavefront6targetE1EEEvSJ_,@function
_ZN7rocprim17ROCPRIM_400000_NS6detail17trampoline_kernelINS0_14default_configENS1_38merge_sort_block_merge_config_selectorIyyEEZZNS1_27merge_sort_block_merge_implIS3_N6thrust23THRUST_200600_302600_NS6detail15normal_iteratorINS8_10device_ptrIyEEEESD_jNS1_19radix_merge_compareILb0ELb1EyNS0_19identity_decomposerEEEEE10hipError_tT0_T1_T2_jT3_P12ihipStream_tbPNSt15iterator_traitsISI_E10value_typeEPNSO_ISJ_E10value_typeEPSK_NS1_7vsmem_tEENKUlT_SI_SJ_SK_E_clIPySD_S10_SD_EESH_SX_SI_SJ_SK_EUlSX_E_NS1_11comp_targetILNS1_3genE5ELNS1_11target_archE942ELNS1_3gpuE9ELNS1_3repE0EEENS1_48merge_mergepath_partition_config_static_selectorELNS0_4arch9wavefront6targetE1EEEvSJ_: ; @_ZN7rocprim17ROCPRIM_400000_NS6detail17trampoline_kernelINS0_14default_configENS1_38merge_sort_block_merge_config_selectorIyyEEZZNS1_27merge_sort_block_merge_implIS3_N6thrust23THRUST_200600_302600_NS6detail15normal_iteratorINS8_10device_ptrIyEEEESD_jNS1_19radix_merge_compareILb0ELb1EyNS0_19identity_decomposerEEEEE10hipError_tT0_T1_T2_jT3_P12ihipStream_tbPNSt15iterator_traitsISI_E10value_typeEPNSO_ISJ_E10value_typeEPSK_NS1_7vsmem_tEENKUlT_SI_SJ_SK_E_clIPySD_S10_SD_EESH_SX_SI_SJ_SK_EUlSX_E_NS1_11comp_targetILNS1_3genE5ELNS1_11target_archE942ELNS1_3gpuE9ELNS1_3repE0EEENS1_48merge_mergepath_partition_config_static_selectorELNS0_4arch9wavefront6targetE1EEEvSJ_
; %bb.0:
	.section	.rodata,"a",@progbits
	.p2align	6, 0x0
	.amdhsa_kernel _ZN7rocprim17ROCPRIM_400000_NS6detail17trampoline_kernelINS0_14default_configENS1_38merge_sort_block_merge_config_selectorIyyEEZZNS1_27merge_sort_block_merge_implIS3_N6thrust23THRUST_200600_302600_NS6detail15normal_iteratorINS8_10device_ptrIyEEEESD_jNS1_19radix_merge_compareILb0ELb1EyNS0_19identity_decomposerEEEEE10hipError_tT0_T1_T2_jT3_P12ihipStream_tbPNSt15iterator_traitsISI_E10value_typeEPNSO_ISJ_E10value_typeEPSK_NS1_7vsmem_tEENKUlT_SI_SJ_SK_E_clIPySD_S10_SD_EESH_SX_SI_SJ_SK_EUlSX_E_NS1_11comp_targetILNS1_3genE5ELNS1_11target_archE942ELNS1_3gpuE9ELNS1_3repE0EEENS1_48merge_mergepath_partition_config_static_selectorELNS0_4arch9wavefront6targetE1EEEvSJ_
		.amdhsa_group_segment_fixed_size 0
		.amdhsa_private_segment_fixed_size 0
		.amdhsa_kernarg_size 40
		.amdhsa_user_sgpr_count 2
		.amdhsa_user_sgpr_dispatch_ptr 0
		.amdhsa_user_sgpr_queue_ptr 0
		.amdhsa_user_sgpr_kernarg_segment_ptr 1
		.amdhsa_user_sgpr_dispatch_id 0
		.amdhsa_user_sgpr_kernarg_preload_length 0
		.amdhsa_user_sgpr_kernarg_preload_offset 0
		.amdhsa_user_sgpr_private_segment_size 0
		.amdhsa_uses_dynamic_stack 0
		.amdhsa_enable_private_segment 0
		.amdhsa_system_sgpr_workgroup_id_x 1
		.amdhsa_system_sgpr_workgroup_id_y 0
		.amdhsa_system_sgpr_workgroup_id_z 0
		.amdhsa_system_sgpr_workgroup_info 0
		.amdhsa_system_vgpr_workitem_id 0
		.amdhsa_next_free_vgpr 1
		.amdhsa_next_free_sgpr 0
		.amdhsa_accum_offset 4
		.amdhsa_reserve_vcc 0
		.amdhsa_float_round_mode_32 0
		.amdhsa_float_round_mode_16_64 0
		.amdhsa_float_denorm_mode_32 3
		.amdhsa_float_denorm_mode_16_64 3
		.amdhsa_dx10_clamp 1
		.amdhsa_ieee_mode 1
		.amdhsa_fp16_overflow 0
		.amdhsa_tg_split 0
		.amdhsa_exception_fp_ieee_invalid_op 0
		.amdhsa_exception_fp_denorm_src 0
		.amdhsa_exception_fp_ieee_div_zero 0
		.amdhsa_exception_fp_ieee_overflow 0
		.amdhsa_exception_fp_ieee_underflow 0
		.amdhsa_exception_fp_ieee_inexact 0
		.amdhsa_exception_int_div_zero 0
	.end_amdhsa_kernel
	.section	.text._ZN7rocprim17ROCPRIM_400000_NS6detail17trampoline_kernelINS0_14default_configENS1_38merge_sort_block_merge_config_selectorIyyEEZZNS1_27merge_sort_block_merge_implIS3_N6thrust23THRUST_200600_302600_NS6detail15normal_iteratorINS8_10device_ptrIyEEEESD_jNS1_19radix_merge_compareILb0ELb1EyNS0_19identity_decomposerEEEEE10hipError_tT0_T1_T2_jT3_P12ihipStream_tbPNSt15iterator_traitsISI_E10value_typeEPNSO_ISJ_E10value_typeEPSK_NS1_7vsmem_tEENKUlT_SI_SJ_SK_E_clIPySD_S10_SD_EESH_SX_SI_SJ_SK_EUlSX_E_NS1_11comp_targetILNS1_3genE5ELNS1_11target_archE942ELNS1_3gpuE9ELNS1_3repE0EEENS1_48merge_mergepath_partition_config_static_selectorELNS0_4arch9wavefront6targetE1EEEvSJ_,"axG",@progbits,_ZN7rocprim17ROCPRIM_400000_NS6detail17trampoline_kernelINS0_14default_configENS1_38merge_sort_block_merge_config_selectorIyyEEZZNS1_27merge_sort_block_merge_implIS3_N6thrust23THRUST_200600_302600_NS6detail15normal_iteratorINS8_10device_ptrIyEEEESD_jNS1_19radix_merge_compareILb0ELb1EyNS0_19identity_decomposerEEEEE10hipError_tT0_T1_T2_jT3_P12ihipStream_tbPNSt15iterator_traitsISI_E10value_typeEPNSO_ISJ_E10value_typeEPSK_NS1_7vsmem_tEENKUlT_SI_SJ_SK_E_clIPySD_S10_SD_EESH_SX_SI_SJ_SK_EUlSX_E_NS1_11comp_targetILNS1_3genE5ELNS1_11target_archE942ELNS1_3gpuE9ELNS1_3repE0EEENS1_48merge_mergepath_partition_config_static_selectorELNS0_4arch9wavefront6targetE1EEEvSJ_,comdat
.Lfunc_end455:
	.size	_ZN7rocprim17ROCPRIM_400000_NS6detail17trampoline_kernelINS0_14default_configENS1_38merge_sort_block_merge_config_selectorIyyEEZZNS1_27merge_sort_block_merge_implIS3_N6thrust23THRUST_200600_302600_NS6detail15normal_iteratorINS8_10device_ptrIyEEEESD_jNS1_19radix_merge_compareILb0ELb1EyNS0_19identity_decomposerEEEEE10hipError_tT0_T1_T2_jT3_P12ihipStream_tbPNSt15iterator_traitsISI_E10value_typeEPNSO_ISJ_E10value_typeEPSK_NS1_7vsmem_tEENKUlT_SI_SJ_SK_E_clIPySD_S10_SD_EESH_SX_SI_SJ_SK_EUlSX_E_NS1_11comp_targetILNS1_3genE5ELNS1_11target_archE942ELNS1_3gpuE9ELNS1_3repE0EEENS1_48merge_mergepath_partition_config_static_selectorELNS0_4arch9wavefront6targetE1EEEvSJ_, .Lfunc_end455-_ZN7rocprim17ROCPRIM_400000_NS6detail17trampoline_kernelINS0_14default_configENS1_38merge_sort_block_merge_config_selectorIyyEEZZNS1_27merge_sort_block_merge_implIS3_N6thrust23THRUST_200600_302600_NS6detail15normal_iteratorINS8_10device_ptrIyEEEESD_jNS1_19radix_merge_compareILb0ELb1EyNS0_19identity_decomposerEEEEE10hipError_tT0_T1_T2_jT3_P12ihipStream_tbPNSt15iterator_traitsISI_E10value_typeEPNSO_ISJ_E10value_typeEPSK_NS1_7vsmem_tEENKUlT_SI_SJ_SK_E_clIPySD_S10_SD_EESH_SX_SI_SJ_SK_EUlSX_E_NS1_11comp_targetILNS1_3genE5ELNS1_11target_archE942ELNS1_3gpuE9ELNS1_3repE0EEENS1_48merge_mergepath_partition_config_static_selectorELNS0_4arch9wavefront6targetE1EEEvSJ_
                                        ; -- End function
	.set _ZN7rocprim17ROCPRIM_400000_NS6detail17trampoline_kernelINS0_14default_configENS1_38merge_sort_block_merge_config_selectorIyyEEZZNS1_27merge_sort_block_merge_implIS3_N6thrust23THRUST_200600_302600_NS6detail15normal_iteratorINS8_10device_ptrIyEEEESD_jNS1_19radix_merge_compareILb0ELb1EyNS0_19identity_decomposerEEEEE10hipError_tT0_T1_T2_jT3_P12ihipStream_tbPNSt15iterator_traitsISI_E10value_typeEPNSO_ISJ_E10value_typeEPSK_NS1_7vsmem_tEENKUlT_SI_SJ_SK_E_clIPySD_S10_SD_EESH_SX_SI_SJ_SK_EUlSX_E_NS1_11comp_targetILNS1_3genE5ELNS1_11target_archE942ELNS1_3gpuE9ELNS1_3repE0EEENS1_48merge_mergepath_partition_config_static_selectorELNS0_4arch9wavefront6targetE1EEEvSJ_.num_vgpr, 0
	.set _ZN7rocprim17ROCPRIM_400000_NS6detail17trampoline_kernelINS0_14default_configENS1_38merge_sort_block_merge_config_selectorIyyEEZZNS1_27merge_sort_block_merge_implIS3_N6thrust23THRUST_200600_302600_NS6detail15normal_iteratorINS8_10device_ptrIyEEEESD_jNS1_19radix_merge_compareILb0ELb1EyNS0_19identity_decomposerEEEEE10hipError_tT0_T1_T2_jT3_P12ihipStream_tbPNSt15iterator_traitsISI_E10value_typeEPNSO_ISJ_E10value_typeEPSK_NS1_7vsmem_tEENKUlT_SI_SJ_SK_E_clIPySD_S10_SD_EESH_SX_SI_SJ_SK_EUlSX_E_NS1_11comp_targetILNS1_3genE5ELNS1_11target_archE942ELNS1_3gpuE9ELNS1_3repE0EEENS1_48merge_mergepath_partition_config_static_selectorELNS0_4arch9wavefront6targetE1EEEvSJ_.num_agpr, 0
	.set _ZN7rocprim17ROCPRIM_400000_NS6detail17trampoline_kernelINS0_14default_configENS1_38merge_sort_block_merge_config_selectorIyyEEZZNS1_27merge_sort_block_merge_implIS3_N6thrust23THRUST_200600_302600_NS6detail15normal_iteratorINS8_10device_ptrIyEEEESD_jNS1_19radix_merge_compareILb0ELb1EyNS0_19identity_decomposerEEEEE10hipError_tT0_T1_T2_jT3_P12ihipStream_tbPNSt15iterator_traitsISI_E10value_typeEPNSO_ISJ_E10value_typeEPSK_NS1_7vsmem_tEENKUlT_SI_SJ_SK_E_clIPySD_S10_SD_EESH_SX_SI_SJ_SK_EUlSX_E_NS1_11comp_targetILNS1_3genE5ELNS1_11target_archE942ELNS1_3gpuE9ELNS1_3repE0EEENS1_48merge_mergepath_partition_config_static_selectorELNS0_4arch9wavefront6targetE1EEEvSJ_.numbered_sgpr, 0
	.set _ZN7rocprim17ROCPRIM_400000_NS6detail17trampoline_kernelINS0_14default_configENS1_38merge_sort_block_merge_config_selectorIyyEEZZNS1_27merge_sort_block_merge_implIS3_N6thrust23THRUST_200600_302600_NS6detail15normal_iteratorINS8_10device_ptrIyEEEESD_jNS1_19radix_merge_compareILb0ELb1EyNS0_19identity_decomposerEEEEE10hipError_tT0_T1_T2_jT3_P12ihipStream_tbPNSt15iterator_traitsISI_E10value_typeEPNSO_ISJ_E10value_typeEPSK_NS1_7vsmem_tEENKUlT_SI_SJ_SK_E_clIPySD_S10_SD_EESH_SX_SI_SJ_SK_EUlSX_E_NS1_11comp_targetILNS1_3genE5ELNS1_11target_archE942ELNS1_3gpuE9ELNS1_3repE0EEENS1_48merge_mergepath_partition_config_static_selectorELNS0_4arch9wavefront6targetE1EEEvSJ_.num_named_barrier, 0
	.set _ZN7rocprim17ROCPRIM_400000_NS6detail17trampoline_kernelINS0_14default_configENS1_38merge_sort_block_merge_config_selectorIyyEEZZNS1_27merge_sort_block_merge_implIS3_N6thrust23THRUST_200600_302600_NS6detail15normal_iteratorINS8_10device_ptrIyEEEESD_jNS1_19radix_merge_compareILb0ELb1EyNS0_19identity_decomposerEEEEE10hipError_tT0_T1_T2_jT3_P12ihipStream_tbPNSt15iterator_traitsISI_E10value_typeEPNSO_ISJ_E10value_typeEPSK_NS1_7vsmem_tEENKUlT_SI_SJ_SK_E_clIPySD_S10_SD_EESH_SX_SI_SJ_SK_EUlSX_E_NS1_11comp_targetILNS1_3genE5ELNS1_11target_archE942ELNS1_3gpuE9ELNS1_3repE0EEENS1_48merge_mergepath_partition_config_static_selectorELNS0_4arch9wavefront6targetE1EEEvSJ_.private_seg_size, 0
	.set _ZN7rocprim17ROCPRIM_400000_NS6detail17trampoline_kernelINS0_14default_configENS1_38merge_sort_block_merge_config_selectorIyyEEZZNS1_27merge_sort_block_merge_implIS3_N6thrust23THRUST_200600_302600_NS6detail15normal_iteratorINS8_10device_ptrIyEEEESD_jNS1_19radix_merge_compareILb0ELb1EyNS0_19identity_decomposerEEEEE10hipError_tT0_T1_T2_jT3_P12ihipStream_tbPNSt15iterator_traitsISI_E10value_typeEPNSO_ISJ_E10value_typeEPSK_NS1_7vsmem_tEENKUlT_SI_SJ_SK_E_clIPySD_S10_SD_EESH_SX_SI_SJ_SK_EUlSX_E_NS1_11comp_targetILNS1_3genE5ELNS1_11target_archE942ELNS1_3gpuE9ELNS1_3repE0EEENS1_48merge_mergepath_partition_config_static_selectorELNS0_4arch9wavefront6targetE1EEEvSJ_.uses_vcc, 0
	.set _ZN7rocprim17ROCPRIM_400000_NS6detail17trampoline_kernelINS0_14default_configENS1_38merge_sort_block_merge_config_selectorIyyEEZZNS1_27merge_sort_block_merge_implIS3_N6thrust23THRUST_200600_302600_NS6detail15normal_iteratorINS8_10device_ptrIyEEEESD_jNS1_19radix_merge_compareILb0ELb1EyNS0_19identity_decomposerEEEEE10hipError_tT0_T1_T2_jT3_P12ihipStream_tbPNSt15iterator_traitsISI_E10value_typeEPNSO_ISJ_E10value_typeEPSK_NS1_7vsmem_tEENKUlT_SI_SJ_SK_E_clIPySD_S10_SD_EESH_SX_SI_SJ_SK_EUlSX_E_NS1_11comp_targetILNS1_3genE5ELNS1_11target_archE942ELNS1_3gpuE9ELNS1_3repE0EEENS1_48merge_mergepath_partition_config_static_selectorELNS0_4arch9wavefront6targetE1EEEvSJ_.uses_flat_scratch, 0
	.set _ZN7rocprim17ROCPRIM_400000_NS6detail17trampoline_kernelINS0_14default_configENS1_38merge_sort_block_merge_config_selectorIyyEEZZNS1_27merge_sort_block_merge_implIS3_N6thrust23THRUST_200600_302600_NS6detail15normal_iteratorINS8_10device_ptrIyEEEESD_jNS1_19radix_merge_compareILb0ELb1EyNS0_19identity_decomposerEEEEE10hipError_tT0_T1_T2_jT3_P12ihipStream_tbPNSt15iterator_traitsISI_E10value_typeEPNSO_ISJ_E10value_typeEPSK_NS1_7vsmem_tEENKUlT_SI_SJ_SK_E_clIPySD_S10_SD_EESH_SX_SI_SJ_SK_EUlSX_E_NS1_11comp_targetILNS1_3genE5ELNS1_11target_archE942ELNS1_3gpuE9ELNS1_3repE0EEENS1_48merge_mergepath_partition_config_static_selectorELNS0_4arch9wavefront6targetE1EEEvSJ_.has_dyn_sized_stack, 0
	.set _ZN7rocprim17ROCPRIM_400000_NS6detail17trampoline_kernelINS0_14default_configENS1_38merge_sort_block_merge_config_selectorIyyEEZZNS1_27merge_sort_block_merge_implIS3_N6thrust23THRUST_200600_302600_NS6detail15normal_iteratorINS8_10device_ptrIyEEEESD_jNS1_19radix_merge_compareILb0ELb1EyNS0_19identity_decomposerEEEEE10hipError_tT0_T1_T2_jT3_P12ihipStream_tbPNSt15iterator_traitsISI_E10value_typeEPNSO_ISJ_E10value_typeEPSK_NS1_7vsmem_tEENKUlT_SI_SJ_SK_E_clIPySD_S10_SD_EESH_SX_SI_SJ_SK_EUlSX_E_NS1_11comp_targetILNS1_3genE5ELNS1_11target_archE942ELNS1_3gpuE9ELNS1_3repE0EEENS1_48merge_mergepath_partition_config_static_selectorELNS0_4arch9wavefront6targetE1EEEvSJ_.has_recursion, 0
	.set _ZN7rocprim17ROCPRIM_400000_NS6detail17trampoline_kernelINS0_14default_configENS1_38merge_sort_block_merge_config_selectorIyyEEZZNS1_27merge_sort_block_merge_implIS3_N6thrust23THRUST_200600_302600_NS6detail15normal_iteratorINS8_10device_ptrIyEEEESD_jNS1_19radix_merge_compareILb0ELb1EyNS0_19identity_decomposerEEEEE10hipError_tT0_T1_T2_jT3_P12ihipStream_tbPNSt15iterator_traitsISI_E10value_typeEPNSO_ISJ_E10value_typeEPSK_NS1_7vsmem_tEENKUlT_SI_SJ_SK_E_clIPySD_S10_SD_EESH_SX_SI_SJ_SK_EUlSX_E_NS1_11comp_targetILNS1_3genE5ELNS1_11target_archE942ELNS1_3gpuE9ELNS1_3repE0EEENS1_48merge_mergepath_partition_config_static_selectorELNS0_4arch9wavefront6targetE1EEEvSJ_.has_indirect_call, 0
	.section	.AMDGPU.csdata,"",@progbits
; Kernel info:
; codeLenInByte = 0
; TotalNumSgprs: 6
; NumVgprs: 0
; NumAgprs: 0
; TotalNumVgprs: 0
; ScratchSize: 0
; MemoryBound: 0
; FloatMode: 240
; IeeeMode: 1
; LDSByteSize: 0 bytes/workgroup (compile time only)
; SGPRBlocks: 0
; VGPRBlocks: 0
; NumSGPRsForWavesPerEU: 6
; NumVGPRsForWavesPerEU: 1
; AccumOffset: 4
; Occupancy: 8
; WaveLimiterHint : 0
; COMPUTE_PGM_RSRC2:SCRATCH_EN: 0
; COMPUTE_PGM_RSRC2:USER_SGPR: 2
; COMPUTE_PGM_RSRC2:TRAP_HANDLER: 0
; COMPUTE_PGM_RSRC2:TGID_X_EN: 1
; COMPUTE_PGM_RSRC2:TGID_Y_EN: 0
; COMPUTE_PGM_RSRC2:TGID_Z_EN: 0
; COMPUTE_PGM_RSRC2:TIDIG_COMP_CNT: 0
; COMPUTE_PGM_RSRC3_GFX90A:ACCUM_OFFSET: 0
; COMPUTE_PGM_RSRC3_GFX90A:TG_SPLIT: 0
	.section	.text._ZN7rocprim17ROCPRIM_400000_NS6detail17trampoline_kernelINS0_14default_configENS1_38merge_sort_block_merge_config_selectorIyyEEZZNS1_27merge_sort_block_merge_implIS3_N6thrust23THRUST_200600_302600_NS6detail15normal_iteratorINS8_10device_ptrIyEEEESD_jNS1_19radix_merge_compareILb0ELb1EyNS0_19identity_decomposerEEEEE10hipError_tT0_T1_T2_jT3_P12ihipStream_tbPNSt15iterator_traitsISI_E10value_typeEPNSO_ISJ_E10value_typeEPSK_NS1_7vsmem_tEENKUlT_SI_SJ_SK_E_clIPySD_S10_SD_EESH_SX_SI_SJ_SK_EUlSX_E_NS1_11comp_targetILNS1_3genE4ELNS1_11target_archE910ELNS1_3gpuE8ELNS1_3repE0EEENS1_48merge_mergepath_partition_config_static_selectorELNS0_4arch9wavefront6targetE1EEEvSJ_,"axG",@progbits,_ZN7rocprim17ROCPRIM_400000_NS6detail17trampoline_kernelINS0_14default_configENS1_38merge_sort_block_merge_config_selectorIyyEEZZNS1_27merge_sort_block_merge_implIS3_N6thrust23THRUST_200600_302600_NS6detail15normal_iteratorINS8_10device_ptrIyEEEESD_jNS1_19radix_merge_compareILb0ELb1EyNS0_19identity_decomposerEEEEE10hipError_tT0_T1_T2_jT3_P12ihipStream_tbPNSt15iterator_traitsISI_E10value_typeEPNSO_ISJ_E10value_typeEPSK_NS1_7vsmem_tEENKUlT_SI_SJ_SK_E_clIPySD_S10_SD_EESH_SX_SI_SJ_SK_EUlSX_E_NS1_11comp_targetILNS1_3genE4ELNS1_11target_archE910ELNS1_3gpuE8ELNS1_3repE0EEENS1_48merge_mergepath_partition_config_static_selectorELNS0_4arch9wavefront6targetE1EEEvSJ_,comdat
	.protected	_ZN7rocprim17ROCPRIM_400000_NS6detail17trampoline_kernelINS0_14default_configENS1_38merge_sort_block_merge_config_selectorIyyEEZZNS1_27merge_sort_block_merge_implIS3_N6thrust23THRUST_200600_302600_NS6detail15normal_iteratorINS8_10device_ptrIyEEEESD_jNS1_19radix_merge_compareILb0ELb1EyNS0_19identity_decomposerEEEEE10hipError_tT0_T1_T2_jT3_P12ihipStream_tbPNSt15iterator_traitsISI_E10value_typeEPNSO_ISJ_E10value_typeEPSK_NS1_7vsmem_tEENKUlT_SI_SJ_SK_E_clIPySD_S10_SD_EESH_SX_SI_SJ_SK_EUlSX_E_NS1_11comp_targetILNS1_3genE4ELNS1_11target_archE910ELNS1_3gpuE8ELNS1_3repE0EEENS1_48merge_mergepath_partition_config_static_selectorELNS0_4arch9wavefront6targetE1EEEvSJ_ ; -- Begin function _ZN7rocprim17ROCPRIM_400000_NS6detail17trampoline_kernelINS0_14default_configENS1_38merge_sort_block_merge_config_selectorIyyEEZZNS1_27merge_sort_block_merge_implIS3_N6thrust23THRUST_200600_302600_NS6detail15normal_iteratorINS8_10device_ptrIyEEEESD_jNS1_19radix_merge_compareILb0ELb1EyNS0_19identity_decomposerEEEEE10hipError_tT0_T1_T2_jT3_P12ihipStream_tbPNSt15iterator_traitsISI_E10value_typeEPNSO_ISJ_E10value_typeEPSK_NS1_7vsmem_tEENKUlT_SI_SJ_SK_E_clIPySD_S10_SD_EESH_SX_SI_SJ_SK_EUlSX_E_NS1_11comp_targetILNS1_3genE4ELNS1_11target_archE910ELNS1_3gpuE8ELNS1_3repE0EEENS1_48merge_mergepath_partition_config_static_selectorELNS0_4arch9wavefront6targetE1EEEvSJ_
	.globl	_ZN7rocprim17ROCPRIM_400000_NS6detail17trampoline_kernelINS0_14default_configENS1_38merge_sort_block_merge_config_selectorIyyEEZZNS1_27merge_sort_block_merge_implIS3_N6thrust23THRUST_200600_302600_NS6detail15normal_iteratorINS8_10device_ptrIyEEEESD_jNS1_19radix_merge_compareILb0ELb1EyNS0_19identity_decomposerEEEEE10hipError_tT0_T1_T2_jT3_P12ihipStream_tbPNSt15iterator_traitsISI_E10value_typeEPNSO_ISJ_E10value_typeEPSK_NS1_7vsmem_tEENKUlT_SI_SJ_SK_E_clIPySD_S10_SD_EESH_SX_SI_SJ_SK_EUlSX_E_NS1_11comp_targetILNS1_3genE4ELNS1_11target_archE910ELNS1_3gpuE8ELNS1_3repE0EEENS1_48merge_mergepath_partition_config_static_selectorELNS0_4arch9wavefront6targetE1EEEvSJ_
	.p2align	8
	.type	_ZN7rocprim17ROCPRIM_400000_NS6detail17trampoline_kernelINS0_14default_configENS1_38merge_sort_block_merge_config_selectorIyyEEZZNS1_27merge_sort_block_merge_implIS3_N6thrust23THRUST_200600_302600_NS6detail15normal_iteratorINS8_10device_ptrIyEEEESD_jNS1_19radix_merge_compareILb0ELb1EyNS0_19identity_decomposerEEEEE10hipError_tT0_T1_T2_jT3_P12ihipStream_tbPNSt15iterator_traitsISI_E10value_typeEPNSO_ISJ_E10value_typeEPSK_NS1_7vsmem_tEENKUlT_SI_SJ_SK_E_clIPySD_S10_SD_EESH_SX_SI_SJ_SK_EUlSX_E_NS1_11comp_targetILNS1_3genE4ELNS1_11target_archE910ELNS1_3gpuE8ELNS1_3repE0EEENS1_48merge_mergepath_partition_config_static_selectorELNS0_4arch9wavefront6targetE1EEEvSJ_,@function
_ZN7rocprim17ROCPRIM_400000_NS6detail17trampoline_kernelINS0_14default_configENS1_38merge_sort_block_merge_config_selectorIyyEEZZNS1_27merge_sort_block_merge_implIS3_N6thrust23THRUST_200600_302600_NS6detail15normal_iteratorINS8_10device_ptrIyEEEESD_jNS1_19radix_merge_compareILb0ELb1EyNS0_19identity_decomposerEEEEE10hipError_tT0_T1_T2_jT3_P12ihipStream_tbPNSt15iterator_traitsISI_E10value_typeEPNSO_ISJ_E10value_typeEPSK_NS1_7vsmem_tEENKUlT_SI_SJ_SK_E_clIPySD_S10_SD_EESH_SX_SI_SJ_SK_EUlSX_E_NS1_11comp_targetILNS1_3genE4ELNS1_11target_archE910ELNS1_3gpuE8ELNS1_3repE0EEENS1_48merge_mergepath_partition_config_static_selectorELNS0_4arch9wavefront6targetE1EEEvSJ_: ; @_ZN7rocprim17ROCPRIM_400000_NS6detail17trampoline_kernelINS0_14default_configENS1_38merge_sort_block_merge_config_selectorIyyEEZZNS1_27merge_sort_block_merge_implIS3_N6thrust23THRUST_200600_302600_NS6detail15normal_iteratorINS8_10device_ptrIyEEEESD_jNS1_19radix_merge_compareILb0ELb1EyNS0_19identity_decomposerEEEEE10hipError_tT0_T1_T2_jT3_P12ihipStream_tbPNSt15iterator_traitsISI_E10value_typeEPNSO_ISJ_E10value_typeEPSK_NS1_7vsmem_tEENKUlT_SI_SJ_SK_E_clIPySD_S10_SD_EESH_SX_SI_SJ_SK_EUlSX_E_NS1_11comp_targetILNS1_3genE4ELNS1_11target_archE910ELNS1_3gpuE8ELNS1_3repE0EEENS1_48merge_mergepath_partition_config_static_selectorELNS0_4arch9wavefront6targetE1EEEvSJ_
; %bb.0:
	.section	.rodata,"a",@progbits
	.p2align	6, 0x0
	.amdhsa_kernel _ZN7rocprim17ROCPRIM_400000_NS6detail17trampoline_kernelINS0_14default_configENS1_38merge_sort_block_merge_config_selectorIyyEEZZNS1_27merge_sort_block_merge_implIS3_N6thrust23THRUST_200600_302600_NS6detail15normal_iteratorINS8_10device_ptrIyEEEESD_jNS1_19radix_merge_compareILb0ELb1EyNS0_19identity_decomposerEEEEE10hipError_tT0_T1_T2_jT3_P12ihipStream_tbPNSt15iterator_traitsISI_E10value_typeEPNSO_ISJ_E10value_typeEPSK_NS1_7vsmem_tEENKUlT_SI_SJ_SK_E_clIPySD_S10_SD_EESH_SX_SI_SJ_SK_EUlSX_E_NS1_11comp_targetILNS1_3genE4ELNS1_11target_archE910ELNS1_3gpuE8ELNS1_3repE0EEENS1_48merge_mergepath_partition_config_static_selectorELNS0_4arch9wavefront6targetE1EEEvSJ_
		.amdhsa_group_segment_fixed_size 0
		.amdhsa_private_segment_fixed_size 0
		.amdhsa_kernarg_size 40
		.amdhsa_user_sgpr_count 2
		.amdhsa_user_sgpr_dispatch_ptr 0
		.amdhsa_user_sgpr_queue_ptr 0
		.amdhsa_user_sgpr_kernarg_segment_ptr 1
		.amdhsa_user_sgpr_dispatch_id 0
		.amdhsa_user_sgpr_kernarg_preload_length 0
		.amdhsa_user_sgpr_kernarg_preload_offset 0
		.amdhsa_user_sgpr_private_segment_size 0
		.amdhsa_uses_dynamic_stack 0
		.amdhsa_enable_private_segment 0
		.amdhsa_system_sgpr_workgroup_id_x 1
		.amdhsa_system_sgpr_workgroup_id_y 0
		.amdhsa_system_sgpr_workgroup_id_z 0
		.amdhsa_system_sgpr_workgroup_info 0
		.amdhsa_system_vgpr_workitem_id 0
		.amdhsa_next_free_vgpr 1
		.amdhsa_next_free_sgpr 0
		.amdhsa_accum_offset 4
		.amdhsa_reserve_vcc 0
		.amdhsa_float_round_mode_32 0
		.amdhsa_float_round_mode_16_64 0
		.amdhsa_float_denorm_mode_32 3
		.amdhsa_float_denorm_mode_16_64 3
		.amdhsa_dx10_clamp 1
		.amdhsa_ieee_mode 1
		.amdhsa_fp16_overflow 0
		.amdhsa_tg_split 0
		.amdhsa_exception_fp_ieee_invalid_op 0
		.amdhsa_exception_fp_denorm_src 0
		.amdhsa_exception_fp_ieee_div_zero 0
		.amdhsa_exception_fp_ieee_overflow 0
		.amdhsa_exception_fp_ieee_underflow 0
		.amdhsa_exception_fp_ieee_inexact 0
		.amdhsa_exception_int_div_zero 0
	.end_amdhsa_kernel
	.section	.text._ZN7rocprim17ROCPRIM_400000_NS6detail17trampoline_kernelINS0_14default_configENS1_38merge_sort_block_merge_config_selectorIyyEEZZNS1_27merge_sort_block_merge_implIS3_N6thrust23THRUST_200600_302600_NS6detail15normal_iteratorINS8_10device_ptrIyEEEESD_jNS1_19radix_merge_compareILb0ELb1EyNS0_19identity_decomposerEEEEE10hipError_tT0_T1_T2_jT3_P12ihipStream_tbPNSt15iterator_traitsISI_E10value_typeEPNSO_ISJ_E10value_typeEPSK_NS1_7vsmem_tEENKUlT_SI_SJ_SK_E_clIPySD_S10_SD_EESH_SX_SI_SJ_SK_EUlSX_E_NS1_11comp_targetILNS1_3genE4ELNS1_11target_archE910ELNS1_3gpuE8ELNS1_3repE0EEENS1_48merge_mergepath_partition_config_static_selectorELNS0_4arch9wavefront6targetE1EEEvSJ_,"axG",@progbits,_ZN7rocprim17ROCPRIM_400000_NS6detail17trampoline_kernelINS0_14default_configENS1_38merge_sort_block_merge_config_selectorIyyEEZZNS1_27merge_sort_block_merge_implIS3_N6thrust23THRUST_200600_302600_NS6detail15normal_iteratorINS8_10device_ptrIyEEEESD_jNS1_19radix_merge_compareILb0ELb1EyNS0_19identity_decomposerEEEEE10hipError_tT0_T1_T2_jT3_P12ihipStream_tbPNSt15iterator_traitsISI_E10value_typeEPNSO_ISJ_E10value_typeEPSK_NS1_7vsmem_tEENKUlT_SI_SJ_SK_E_clIPySD_S10_SD_EESH_SX_SI_SJ_SK_EUlSX_E_NS1_11comp_targetILNS1_3genE4ELNS1_11target_archE910ELNS1_3gpuE8ELNS1_3repE0EEENS1_48merge_mergepath_partition_config_static_selectorELNS0_4arch9wavefront6targetE1EEEvSJ_,comdat
.Lfunc_end456:
	.size	_ZN7rocprim17ROCPRIM_400000_NS6detail17trampoline_kernelINS0_14default_configENS1_38merge_sort_block_merge_config_selectorIyyEEZZNS1_27merge_sort_block_merge_implIS3_N6thrust23THRUST_200600_302600_NS6detail15normal_iteratorINS8_10device_ptrIyEEEESD_jNS1_19radix_merge_compareILb0ELb1EyNS0_19identity_decomposerEEEEE10hipError_tT0_T1_T2_jT3_P12ihipStream_tbPNSt15iterator_traitsISI_E10value_typeEPNSO_ISJ_E10value_typeEPSK_NS1_7vsmem_tEENKUlT_SI_SJ_SK_E_clIPySD_S10_SD_EESH_SX_SI_SJ_SK_EUlSX_E_NS1_11comp_targetILNS1_3genE4ELNS1_11target_archE910ELNS1_3gpuE8ELNS1_3repE0EEENS1_48merge_mergepath_partition_config_static_selectorELNS0_4arch9wavefront6targetE1EEEvSJ_, .Lfunc_end456-_ZN7rocprim17ROCPRIM_400000_NS6detail17trampoline_kernelINS0_14default_configENS1_38merge_sort_block_merge_config_selectorIyyEEZZNS1_27merge_sort_block_merge_implIS3_N6thrust23THRUST_200600_302600_NS6detail15normal_iteratorINS8_10device_ptrIyEEEESD_jNS1_19radix_merge_compareILb0ELb1EyNS0_19identity_decomposerEEEEE10hipError_tT0_T1_T2_jT3_P12ihipStream_tbPNSt15iterator_traitsISI_E10value_typeEPNSO_ISJ_E10value_typeEPSK_NS1_7vsmem_tEENKUlT_SI_SJ_SK_E_clIPySD_S10_SD_EESH_SX_SI_SJ_SK_EUlSX_E_NS1_11comp_targetILNS1_3genE4ELNS1_11target_archE910ELNS1_3gpuE8ELNS1_3repE0EEENS1_48merge_mergepath_partition_config_static_selectorELNS0_4arch9wavefront6targetE1EEEvSJ_
                                        ; -- End function
	.set _ZN7rocprim17ROCPRIM_400000_NS6detail17trampoline_kernelINS0_14default_configENS1_38merge_sort_block_merge_config_selectorIyyEEZZNS1_27merge_sort_block_merge_implIS3_N6thrust23THRUST_200600_302600_NS6detail15normal_iteratorINS8_10device_ptrIyEEEESD_jNS1_19radix_merge_compareILb0ELb1EyNS0_19identity_decomposerEEEEE10hipError_tT0_T1_T2_jT3_P12ihipStream_tbPNSt15iterator_traitsISI_E10value_typeEPNSO_ISJ_E10value_typeEPSK_NS1_7vsmem_tEENKUlT_SI_SJ_SK_E_clIPySD_S10_SD_EESH_SX_SI_SJ_SK_EUlSX_E_NS1_11comp_targetILNS1_3genE4ELNS1_11target_archE910ELNS1_3gpuE8ELNS1_3repE0EEENS1_48merge_mergepath_partition_config_static_selectorELNS0_4arch9wavefront6targetE1EEEvSJ_.num_vgpr, 0
	.set _ZN7rocprim17ROCPRIM_400000_NS6detail17trampoline_kernelINS0_14default_configENS1_38merge_sort_block_merge_config_selectorIyyEEZZNS1_27merge_sort_block_merge_implIS3_N6thrust23THRUST_200600_302600_NS6detail15normal_iteratorINS8_10device_ptrIyEEEESD_jNS1_19radix_merge_compareILb0ELb1EyNS0_19identity_decomposerEEEEE10hipError_tT0_T1_T2_jT3_P12ihipStream_tbPNSt15iterator_traitsISI_E10value_typeEPNSO_ISJ_E10value_typeEPSK_NS1_7vsmem_tEENKUlT_SI_SJ_SK_E_clIPySD_S10_SD_EESH_SX_SI_SJ_SK_EUlSX_E_NS1_11comp_targetILNS1_3genE4ELNS1_11target_archE910ELNS1_3gpuE8ELNS1_3repE0EEENS1_48merge_mergepath_partition_config_static_selectorELNS0_4arch9wavefront6targetE1EEEvSJ_.num_agpr, 0
	.set _ZN7rocprim17ROCPRIM_400000_NS6detail17trampoline_kernelINS0_14default_configENS1_38merge_sort_block_merge_config_selectorIyyEEZZNS1_27merge_sort_block_merge_implIS3_N6thrust23THRUST_200600_302600_NS6detail15normal_iteratorINS8_10device_ptrIyEEEESD_jNS1_19radix_merge_compareILb0ELb1EyNS0_19identity_decomposerEEEEE10hipError_tT0_T1_T2_jT3_P12ihipStream_tbPNSt15iterator_traitsISI_E10value_typeEPNSO_ISJ_E10value_typeEPSK_NS1_7vsmem_tEENKUlT_SI_SJ_SK_E_clIPySD_S10_SD_EESH_SX_SI_SJ_SK_EUlSX_E_NS1_11comp_targetILNS1_3genE4ELNS1_11target_archE910ELNS1_3gpuE8ELNS1_3repE0EEENS1_48merge_mergepath_partition_config_static_selectorELNS0_4arch9wavefront6targetE1EEEvSJ_.numbered_sgpr, 0
	.set _ZN7rocprim17ROCPRIM_400000_NS6detail17trampoline_kernelINS0_14default_configENS1_38merge_sort_block_merge_config_selectorIyyEEZZNS1_27merge_sort_block_merge_implIS3_N6thrust23THRUST_200600_302600_NS6detail15normal_iteratorINS8_10device_ptrIyEEEESD_jNS1_19radix_merge_compareILb0ELb1EyNS0_19identity_decomposerEEEEE10hipError_tT0_T1_T2_jT3_P12ihipStream_tbPNSt15iterator_traitsISI_E10value_typeEPNSO_ISJ_E10value_typeEPSK_NS1_7vsmem_tEENKUlT_SI_SJ_SK_E_clIPySD_S10_SD_EESH_SX_SI_SJ_SK_EUlSX_E_NS1_11comp_targetILNS1_3genE4ELNS1_11target_archE910ELNS1_3gpuE8ELNS1_3repE0EEENS1_48merge_mergepath_partition_config_static_selectorELNS0_4arch9wavefront6targetE1EEEvSJ_.num_named_barrier, 0
	.set _ZN7rocprim17ROCPRIM_400000_NS6detail17trampoline_kernelINS0_14default_configENS1_38merge_sort_block_merge_config_selectorIyyEEZZNS1_27merge_sort_block_merge_implIS3_N6thrust23THRUST_200600_302600_NS6detail15normal_iteratorINS8_10device_ptrIyEEEESD_jNS1_19radix_merge_compareILb0ELb1EyNS0_19identity_decomposerEEEEE10hipError_tT0_T1_T2_jT3_P12ihipStream_tbPNSt15iterator_traitsISI_E10value_typeEPNSO_ISJ_E10value_typeEPSK_NS1_7vsmem_tEENKUlT_SI_SJ_SK_E_clIPySD_S10_SD_EESH_SX_SI_SJ_SK_EUlSX_E_NS1_11comp_targetILNS1_3genE4ELNS1_11target_archE910ELNS1_3gpuE8ELNS1_3repE0EEENS1_48merge_mergepath_partition_config_static_selectorELNS0_4arch9wavefront6targetE1EEEvSJ_.private_seg_size, 0
	.set _ZN7rocprim17ROCPRIM_400000_NS6detail17trampoline_kernelINS0_14default_configENS1_38merge_sort_block_merge_config_selectorIyyEEZZNS1_27merge_sort_block_merge_implIS3_N6thrust23THRUST_200600_302600_NS6detail15normal_iteratorINS8_10device_ptrIyEEEESD_jNS1_19radix_merge_compareILb0ELb1EyNS0_19identity_decomposerEEEEE10hipError_tT0_T1_T2_jT3_P12ihipStream_tbPNSt15iterator_traitsISI_E10value_typeEPNSO_ISJ_E10value_typeEPSK_NS1_7vsmem_tEENKUlT_SI_SJ_SK_E_clIPySD_S10_SD_EESH_SX_SI_SJ_SK_EUlSX_E_NS1_11comp_targetILNS1_3genE4ELNS1_11target_archE910ELNS1_3gpuE8ELNS1_3repE0EEENS1_48merge_mergepath_partition_config_static_selectorELNS0_4arch9wavefront6targetE1EEEvSJ_.uses_vcc, 0
	.set _ZN7rocprim17ROCPRIM_400000_NS6detail17trampoline_kernelINS0_14default_configENS1_38merge_sort_block_merge_config_selectorIyyEEZZNS1_27merge_sort_block_merge_implIS3_N6thrust23THRUST_200600_302600_NS6detail15normal_iteratorINS8_10device_ptrIyEEEESD_jNS1_19radix_merge_compareILb0ELb1EyNS0_19identity_decomposerEEEEE10hipError_tT0_T1_T2_jT3_P12ihipStream_tbPNSt15iterator_traitsISI_E10value_typeEPNSO_ISJ_E10value_typeEPSK_NS1_7vsmem_tEENKUlT_SI_SJ_SK_E_clIPySD_S10_SD_EESH_SX_SI_SJ_SK_EUlSX_E_NS1_11comp_targetILNS1_3genE4ELNS1_11target_archE910ELNS1_3gpuE8ELNS1_3repE0EEENS1_48merge_mergepath_partition_config_static_selectorELNS0_4arch9wavefront6targetE1EEEvSJ_.uses_flat_scratch, 0
	.set _ZN7rocprim17ROCPRIM_400000_NS6detail17trampoline_kernelINS0_14default_configENS1_38merge_sort_block_merge_config_selectorIyyEEZZNS1_27merge_sort_block_merge_implIS3_N6thrust23THRUST_200600_302600_NS6detail15normal_iteratorINS8_10device_ptrIyEEEESD_jNS1_19radix_merge_compareILb0ELb1EyNS0_19identity_decomposerEEEEE10hipError_tT0_T1_T2_jT3_P12ihipStream_tbPNSt15iterator_traitsISI_E10value_typeEPNSO_ISJ_E10value_typeEPSK_NS1_7vsmem_tEENKUlT_SI_SJ_SK_E_clIPySD_S10_SD_EESH_SX_SI_SJ_SK_EUlSX_E_NS1_11comp_targetILNS1_3genE4ELNS1_11target_archE910ELNS1_3gpuE8ELNS1_3repE0EEENS1_48merge_mergepath_partition_config_static_selectorELNS0_4arch9wavefront6targetE1EEEvSJ_.has_dyn_sized_stack, 0
	.set _ZN7rocprim17ROCPRIM_400000_NS6detail17trampoline_kernelINS0_14default_configENS1_38merge_sort_block_merge_config_selectorIyyEEZZNS1_27merge_sort_block_merge_implIS3_N6thrust23THRUST_200600_302600_NS6detail15normal_iteratorINS8_10device_ptrIyEEEESD_jNS1_19radix_merge_compareILb0ELb1EyNS0_19identity_decomposerEEEEE10hipError_tT0_T1_T2_jT3_P12ihipStream_tbPNSt15iterator_traitsISI_E10value_typeEPNSO_ISJ_E10value_typeEPSK_NS1_7vsmem_tEENKUlT_SI_SJ_SK_E_clIPySD_S10_SD_EESH_SX_SI_SJ_SK_EUlSX_E_NS1_11comp_targetILNS1_3genE4ELNS1_11target_archE910ELNS1_3gpuE8ELNS1_3repE0EEENS1_48merge_mergepath_partition_config_static_selectorELNS0_4arch9wavefront6targetE1EEEvSJ_.has_recursion, 0
	.set _ZN7rocprim17ROCPRIM_400000_NS6detail17trampoline_kernelINS0_14default_configENS1_38merge_sort_block_merge_config_selectorIyyEEZZNS1_27merge_sort_block_merge_implIS3_N6thrust23THRUST_200600_302600_NS6detail15normal_iteratorINS8_10device_ptrIyEEEESD_jNS1_19radix_merge_compareILb0ELb1EyNS0_19identity_decomposerEEEEE10hipError_tT0_T1_T2_jT3_P12ihipStream_tbPNSt15iterator_traitsISI_E10value_typeEPNSO_ISJ_E10value_typeEPSK_NS1_7vsmem_tEENKUlT_SI_SJ_SK_E_clIPySD_S10_SD_EESH_SX_SI_SJ_SK_EUlSX_E_NS1_11comp_targetILNS1_3genE4ELNS1_11target_archE910ELNS1_3gpuE8ELNS1_3repE0EEENS1_48merge_mergepath_partition_config_static_selectorELNS0_4arch9wavefront6targetE1EEEvSJ_.has_indirect_call, 0
	.section	.AMDGPU.csdata,"",@progbits
; Kernel info:
; codeLenInByte = 0
; TotalNumSgprs: 6
; NumVgprs: 0
; NumAgprs: 0
; TotalNumVgprs: 0
; ScratchSize: 0
; MemoryBound: 0
; FloatMode: 240
; IeeeMode: 1
; LDSByteSize: 0 bytes/workgroup (compile time only)
; SGPRBlocks: 0
; VGPRBlocks: 0
; NumSGPRsForWavesPerEU: 6
; NumVGPRsForWavesPerEU: 1
; AccumOffset: 4
; Occupancy: 8
; WaveLimiterHint : 0
; COMPUTE_PGM_RSRC2:SCRATCH_EN: 0
; COMPUTE_PGM_RSRC2:USER_SGPR: 2
; COMPUTE_PGM_RSRC2:TRAP_HANDLER: 0
; COMPUTE_PGM_RSRC2:TGID_X_EN: 1
; COMPUTE_PGM_RSRC2:TGID_Y_EN: 0
; COMPUTE_PGM_RSRC2:TGID_Z_EN: 0
; COMPUTE_PGM_RSRC2:TIDIG_COMP_CNT: 0
; COMPUTE_PGM_RSRC3_GFX90A:ACCUM_OFFSET: 0
; COMPUTE_PGM_RSRC3_GFX90A:TG_SPLIT: 0
	.section	.text._ZN7rocprim17ROCPRIM_400000_NS6detail17trampoline_kernelINS0_14default_configENS1_38merge_sort_block_merge_config_selectorIyyEEZZNS1_27merge_sort_block_merge_implIS3_N6thrust23THRUST_200600_302600_NS6detail15normal_iteratorINS8_10device_ptrIyEEEESD_jNS1_19radix_merge_compareILb0ELb1EyNS0_19identity_decomposerEEEEE10hipError_tT0_T1_T2_jT3_P12ihipStream_tbPNSt15iterator_traitsISI_E10value_typeEPNSO_ISJ_E10value_typeEPSK_NS1_7vsmem_tEENKUlT_SI_SJ_SK_E_clIPySD_S10_SD_EESH_SX_SI_SJ_SK_EUlSX_E_NS1_11comp_targetILNS1_3genE3ELNS1_11target_archE908ELNS1_3gpuE7ELNS1_3repE0EEENS1_48merge_mergepath_partition_config_static_selectorELNS0_4arch9wavefront6targetE1EEEvSJ_,"axG",@progbits,_ZN7rocprim17ROCPRIM_400000_NS6detail17trampoline_kernelINS0_14default_configENS1_38merge_sort_block_merge_config_selectorIyyEEZZNS1_27merge_sort_block_merge_implIS3_N6thrust23THRUST_200600_302600_NS6detail15normal_iteratorINS8_10device_ptrIyEEEESD_jNS1_19radix_merge_compareILb0ELb1EyNS0_19identity_decomposerEEEEE10hipError_tT0_T1_T2_jT3_P12ihipStream_tbPNSt15iterator_traitsISI_E10value_typeEPNSO_ISJ_E10value_typeEPSK_NS1_7vsmem_tEENKUlT_SI_SJ_SK_E_clIPySD_S10_SD_EESH_SX_SI_SJ_SK_EUlSX_E_NS1_11comp_targetILNS1_3genE3ELNS1_11target_archE908ELNS1_3gpuE7ELNS1_3repE0EEENS1_48merge_mergepath_partition_config_static_selectorELNS0_4arch9wavefront6targetE1EEEvSJ_,comdat
	.protected	_ZN7rocprim17ROCPRIM_400000_NS6detail17trampoline_kernelINS0_14default_configENS1_38merge_sort_block_merge_config_selectorIyyEEZZNS1_27merge_sort_block_merge_implIS3_N6thrust23THRUST_200600_302600_NS6detail15normal_iteratorINS8_10device_ptrIyEEEESD_jNS1_19radix_merge_compareILb0ELb1EyNS0_19identity_decomposerEEEEE10hipError_tT0_T1_T2_jT3_P12ihipStream_tbPNSt15iterator_traitsISI_E10value_typeEPNSO_ISJ_E10value_typeEPSK_NS1_7vsmem_tEENKUlT_SI_SJ_SK_E_clIPySD_S10_SD_EESH_SX_SI_SJ_SK_EUlSX_E_NS1_11comp_targetILNS1_3genE3ELNS1_11target_archE908ELNS1_3gpuE7ELNS1_3repE0EEENS1_48merge_mergepath_partition_config_static_selectorELNS0_4arch9wavefront6targetE1EEEvSJ_ ; -- Begin function _ZN7rocprim17ROCPRIM_400000_NS6detail17trampoline_kernelINS0_14default_configENS1_38merge_sort_block_merge_config_selectorIyyEEZZNS1_27merge_sort_block_merge_implIS3_N6thrust23THRUST_200600_302600_NS6detail15normal_iteratorINS8_10device_ptrIyEEEESD_jNS1_19radix_merge_compareILb0ELb1EyNS0_19identity_decomposerEEEEE10hipError_tT0_T1_T2_jT3_P12ihipStream_tbPNSt15iterator_traitsISI_E10value_typeEPNSO_ISJ_E10value_typeEPSK_NS1_7vsmem_tEENKUlT_SI_SJ_SK_E_clIPySD_S10_SD_EESH_SX_SI_SJ_SK_EUlSX_E_NS1_11comp_targetILNS1_3genE3ELNS1_11target_archE908ELNS1_3gpuE7ELNS1_3repE0EEENS1_48merge_mergepath_partition_config_static_selectorELNS0_4arch9wavefront6targetE1EEEvSJ_
	.globl	_ZN7rocprim17ROCPRIM_400000_NS6detail17trampoline_kernelINS0_14default_configENS1_38merge_sort_block_merge_config_selectorIyyEEZZNS1_27merge_sort_block_merge_implIS3_N6thrust23THRUST_200600_302600_NS6detail15normal_iteratorINS8_10device_ptrIyEEEESD_jNS1_19radix_merge_compareILb0ELb1EyNS0_19identity_decomposerEEEEE10hipError_tT0_T1_T2_jT3_P12ihipStream_tbPNSt15iterator_traitsISI_E10value_typeEPNSO_ISJ_E10value_typeEPSK_NS1_7vsmem_tEENKUlT_SI_SJ_SK_E_clIPySD_S10_SD_EESH_SX_SI_SJ_SK_EUlSX_E_NS1_11comp_targetILNS1_3genE3ELNS1_11target_archE908ELNS1_3gpuE7ELNS1_3repE0EEENS1_48merge_mergepath_partition_config_static_selectorELNS0_4arch9wavefront6targetE1EEEvSJ_
	.p2align	8
	.type	_ZN7rocprim17ROCPRIM_400000_NS6detail17trampoline_kernelINS0_14default_configENS1_38merge_sort_block_merge_config_selectorIyyEEZZNS1_27merge_sort_block_merge_implIS3_N6thrust23THRUST_200600_302600_NS6detail15normal_iteratorINS8_10device_ptrIyEEEESD_jNS1_19radix_merge_compareILb0ELb1EyNS0_19identity_decomposerEEEEE10hipError_tT0_T1_T2_jT3_P12ihipStream_tbPNSt15iterator_traitsISI_E10value_typeEPNSO_ISJ_E10value_typeEPSK_NS1_7vsmem_tEENKUlT_SI_SJ_SK_E_clIPySD_S10_SD_EESH_SX_SI_SJ_SK_EUlSX_E_NS1_11comp_targetILNS1_3genE3ELNS1_11target_archE908ELNS1_3gpuE7ELNS1_3repE0EEENS1_48merge_mergepath_partition_config_static_selectorELNS0_4arch9wavefront6targetE1EEEvSJ_,@function
_ZN7rocprim17ROCPRIM_400000_NS6detail17trampoline_kernelINS0_14default_configENS1_38merge_sort_block_merge_config_selectorIyyEEZZNS1_27merge_sort_block_merge_implIS3_N6thrust23THRUST_200600_302600_NS6detail15normal_iteratorINS8_10device_ptrIyEEEESD_jNS1_19radix_merge_compareILb0ELb1EyNS0_19identity_decomposerEEEEE10hipError_tT0_T1_T2_jT3_P12ihipStream_tbPNSt15iterator_traitsISI_E10value_typeEPNSO_ISJ_E10value_typeEPSK_NS1_7vsmem_tEENKUlT_SI_SJ_SK_E_clIPySD_S10_SD_EESH_SX_SI_SJ_SK_EUlSX_E_NS1_11comp_targetILNS1_3genE3ELNS1_11target_archE908ELNS1_3gpuE7ELNS1_3repE0EEENS1_48merge_mergepath_partition_config_static_selectorELNS0_4arch9wavefront6targetE1EEEvSJ_: ; @_ZN7rocprim17ROCPRIM_400000_NS6detail17trampoline_kernelINS0_14default_configENS1_38merge_sort_block_merge_config_selectorIyyEEZZNS1_27merge_sort_block_merge_implIS3_N6thrust23THRUST_200600_302600_NS6detail15normal_iteratorINS8_10device_ptrIyEEEESD_jNS1_19radix_merge_compareILb0ELb1EyNS0_19identity_decomposerEEEEE10hipError_tT0_T1_T2_jT3_P12ihipStream_tbPNSt15iterator_traitsISI_E10value_typeEPNSO_ISJ_E10value_typeEPSK_NS1_7vsmem_tEENKUlT_SI_SJ_SK_E_clIPySD_S10_SD_EESH_SX_SI_SJ_SK_EUlSX_E_NS1_11comp_targetILNS1_3genE3ELNS1_11target_archE908ELNS1_3gpuE7ELNS1_3repE0EEENS1_48merge_mergepath_partition_config_static_selectorELNS0_4arch9wavefront6targetE1EEEvSJ_
; %bb.0:
	.section	.rodata,"a",@progbits
	.p2align	6, 0x0
	.amdhsa_kernel _ZN7rocprim17ROCPRIM_400000_NS6detail17trampoline_kernelINS0_14default_configENS1_38merge_sort_block_merge_config_selectorIyyEEZZNS1_27merge_sort_block_merge_implIS3_N6thrust23THRUST_200600_302600_NS6detail15normal_iteratorINS8_10device_ptrIyEEEESD_jNS1_19radix_merge_compareILb0ELb1EyNS0_19identity_decomposerEEEEE10hipError_tT0_T1_T2_jT3_P12ihipStream_tbPNSt15iterator_traitsISI_E10value_typeEPNSO_ISJ_E10value_typeEPSK_NS1_7vsmem_tEENKUlT_SI_SJ_SK_E_clIPySD_S10_SD_EESH_SX_SI_SJ_SK_EUlSX_E_NS1_11comp_targetILNS1_3genE3ELNS1_11target_archE908ELNS1_3gpuE7ELNS1_3repE0EEENS1_48merge_mergepath_partition_config_static_selectorELNS0_4arch9wavefront6targetE1EEEvSJ_
		.amdhsa_group_segment_fixed_size 0
		.amdhsa_private_segment_fixed_size 0
		.amdhsa_kernarg_size 40
		.amdhsa_user_sgpr_count 2
		.amdhsa_user_sgpr_dispatch_ptr 0
		.amdhsa_user_sgpr_queue_ptr 0
		.amdhsa_user_sgpr_kernarg_segment_ptr 1
		.amdhsa_user_sgpr_dispatch_id 0
		.amdhsa_user_sgpr_kernarg_preload_length 0
		.amdhsa_user_sgpr_kernarg_preload_offset 0
		.amdhsa_user_sgpr_private_segment_size 0
		.amdhsa_uses_dynamic_stack 0
		.amdhsa_enable_private_segment 0
		.amdhsa_system_sgpr_workgroup_id_x 1
		.amdhsa_system_sgpr_workgroup_id_y 0
		.amdhsa_system_sgpr_workgroup_id_z 0
		.amdhsa_system_sgpr_workgroup_info 0
		.amdhsa_system_vgpr_workitem_id 0
		.amdhsa_next_free_vgpr 1
		.amdhsa_next_free_sgpr 0
		.amdhsa_accum_offset 4
		.amdhsa_reserve_vcc 0
		.amdhsa_float_round_mode_32 0
		.amdhsa_float_round_mode_16_64 0
		.amdhsa_float_denorm_mode_32 3
		.amdhsa_float_denorm_mode_16_64 3
		.amdhsa_dx10_clamp 1
		.amdhsa_ieee_mode 1
		.amdhsa_fp16_overflow 0
		.amdhsa_tg_split 0
		.amdhsa_exception_fp_ieee_invalid_op 0
		.amdhsa_exception_fp_denorm_src 0
		.amdhsa_exception_fp_ieee_div_zero 0
		.amdhsa_exception_fp_ieee_overflow 0
		.amdhsa_exception_fp_ieee_underflow 0
		.amdhsa_exception_fp_ieee_inexact 0
		.amdhsa_exception_int_div_zero 0
	.end_amdhsa_kernel
	.section	.text._ZN7rocprim17ROCPRIM_400000_NS6detail17trampoline_kernelINS0_14default_configENS1_38merge_sort_block_merge_config_selectorIyyEEZZNS1_27merge_sort_block_merge_implIS3_N6thrust23THRUST_200600_302600_NS6detail15normal_iteratorINS8_10device_ptrIyEEEESD_jNS1_19radix_merge_compareILb0ELb1EyNS0_19identity_decomposerEEEEE10hipError_tT0_T1_T2_jT3_P12ihipStream_tbPNSt15iterator_traitsISI_E10value_typeEPNSO_ISJ_E10value_typeEPSK_NS1_7vsmem_tEENKUlT_SI_SJ_SK_E_clIPySD_S10_SD_EESH_SX_SI_SJ_SK_EUlSX_E_NS1_11comp_targetILNS1_3genE3ELNS1_11target_archE908ELNS1_3gpuE7ELNS1_3repE0EEENS1_48merge_mergepath_partition_config_static_selectorELNS0_4arch9wavefront6targetE1EEEvSJ_,"axG",@progbits,_ZN7rocprim17ROCPRIM_400000_NS6detail17trampoline_kernelINS0_14default_configENS1_38merge_sort_block_merge_config_selectorIyyEEZZNS1_27merge_sort_block_merge_implIS3_N6thrust23THRUST_200600_302600_NS6detail15normal_iteratorINS8_10device_ptrIyEEEESD_jNS1_19radix_merge_compareILb0ELb1EyNS0_19identity_decomposerEEEEE10hipError_tT0_T1_T2_jT3_P12ihipStream_tbPNSt15iterator_traitsISI_E10value_typeEPNSO_ISJ_E10value_typeEPSK_NS1_7vsmem_tEENKUlT_SI_SJ_SK_E_clIPySD_S10_SD_EESH_SX_SI_SJ_SK_EUlSX_E_NS1_11comp_targetILNS1_3genE3ELNS1_11target_archE908ELNS1_3gpuE7ELNS1_3repE0EEENS1_48merge_mergepath_partition_config_static_selectorELNS0_4arch9wavefront6targetE1EEEvSJ_,comdat
.Lfunc_end457:
	.size	_ZN7rocprim17ROCPRIM_400000_NS6detail17trampoline_kernelINS0_14default_configENS1_38merge_sort_block_merge_config_selectorIyyEEZZNS1_27merge_sort_block_merge_implIS3_N6thrust23THRUST_200600_302600_NS6detail15normal_iteratorINS8_10device_ptrIyEEEESD_jNS1_19radix_merge_compareILb0ELb1EyNS0_19identity_decomposerEEEEE10hipError_tT0_T1_T2_jT3_P12ihipStream_tbPNSt15iterator_traitsISI_E10value_typeEPNSO_ISJ_E10value_typeEPSK_NS1_7vsmem_tEENKUlT_SI_SJ_SK_E_clIPySD_S10_SD_EESH_SX_SI_SJ_SK_EUlSX_E_NS1_11comp_targetILNS1_3genE3ELNS1_11target_archE908ELNS1_3gpuE7ELNS1_3repE0EEENS1_48merge_mergepath_partition_config_static_selectorELNS0_4arch9wavefront6targetE1EEEvSJ_, .Lfunc_end457-_ZN7rocprim17ROCPRIM_400000_NS6detail17trampoline_kernelINS0_14default_configENS1_38merge_sort_block_merge_config_selectorIyyEEZZNS1_27merge_sort_block_merge_implIS3_N6thrust23THRUST_200600_302600_NS6detail15normal_iteratorINS8_10device_ptrIyEEEESD_jNS1_19radix_merge_compareILb0ELb1EyNS0_19identity_decomposerEEEEE10hipError_tT0_T1_T2_jT3_P12ihipStream_tbPNSt15iterator_traitsISI_E10value_typeEPNSO_ISJ_E10value_typeEPSK_NS1_7vsmem_tEENKUlT_SI_SJ_SK_E_clIPySD_S10_SD_EESH_SX_SI_SJ_SK_EUlSX_E_NS1_11comp_targetILNS1_3genE3ELNS1_11target_archE908ELNS1_3gpuE7ELNS1_3repE0EEENS1_48merge_mergepath_partition_config_static_selectorELNS0_4arch9wavefront6targetE1EEEvSJ_
                                        ; -- End function
	.set _ZN7rocprim17ROCPRIM_400000_NS6detail17trampoline_kernelINS0_14default_configENS1_38merge_sort_block_merge_config_selectorIyyEEZZNS1_27merge_sort_block_merge_implIS3_N6thrust23THRUST_200600_302600_NS6detail15normal_iteratorINS8_10device_ptrIyEEEESD_jNS1_19radix_merge_compareILb0ELb1EyNS0_19identity_decomposerEEEEE10hipError_tT0_T1_T2_jT3_P12ihipStream_tbPNSt15iterator_traitsISI_E10value_typeEPNSO_ISJ_E10value_typeEPSK_NS1_7vsmem_tEENKUlT_SI_SJ_SK_E_clIPySD_S10_SD_EESH_SX_SI_SJ_SK_EUlSX_E_NS1_11comp_targetILNS1_3genE3ELNS1_11target_archE908ELNS1_3gpuE7ELNS1_3repE0EEENS1_48merge_mergepath_partition_config_static_selectorELNS0_4arch9wavefront6targetE1EEEvSJ_.num_vgpr, 0
	.set _ZN7rocprim17ROCPRIM_400000_NS6detail17trampoline_kernelINS0_14default_configENS1_38merge_sort_block_merge_config_selectorIyyEEZZNS1_27merge_sort_block_merge_implIS3_N6thrust23THRUST_200600_302600_NS6detail15normal_iteratorINS8_10device_ptrIyEEEESD_jNS1_19radix_merge_compareILb0ELb1EyNS0_19identity_decomposerEEEEE10hipError_tT0_T1_T2_jT3_P12ihipStream_tbPNSt15iterator_traitsISI_E10value_typeEPNSO_ISJ_E10value_typeEPSK_NS1_7vsmem_tEENKUlT_SI_SJ_SK_E_clIPySD_S10_SD_EESH_SX_SI_SJ_SK_EUlSX_E_NS1_11comp_targetILNS1_3genE3ELNS1_11target_archE908ELNS1_3gpuE7ELNS1_3repE0EEENS1_48merge_mergepath_partition_config_static_selectorELNS0_4arch9wavefront6targetE1EEEvSJ_.num_agpr, 0
	.set _ZN7rocprim17ROCPRIM_400000_NS6detail17trampoline_kernelINS0_14default_configENS1_38merge_sort_block_merge_config_selectorIyyEEZZNS1_27merge_sort_block_merge_implIS3_N6thrust23THRUST_200600_302600_NS6detail15normal_iteratorINS8_10device_ptrIyEEEESD_jNS1_19radix_merge_compareILb0ELb1EyNS0_19identity_decomposerEEEEE10hipError_tT0_T1_T2_jT3_P12ihipStream_tbPNSt15iterator_traitsISI_E10value_typeEPNSO_ISJ_E10value_typeEPSK_NS1_7vsmem_tEENKUlT_SI_SJ_SK_E_clIPySD_S10_SD_EESH_SX_SI_SJ_SK_EUlSX_E_NS1_11comp_targetILNS1_3genE3ELNS1_11target_archE908ELNS1_3gpuE7ELNS1_3repE0EEENS1_48merge_mergepath_partition_config_static_selectorELNS0_4arch9wavefront6targetE1EEEvSJ_.numbered_sgpr, 0
	.set _ZN7rocprim17ROCPRIM_400000_NS6detail17trampoline_kernelINS0_14default_configENS1_38merge_sort_block_merge_config_selectorIyyEEZZNS1_27merge_sort_block_merge_implIS3_N6thrust23THRUST_200600_302600_NS6detail15normal_iteratorINS8_10device_ptrIyEEEESD_jNS1_19radix_merge_compareILb0ELb1EyNS0_19identity_decomposerEEEEE10hipError_tT0_T1_T2_jT3_P12ihipStream_tbPNSt15iterator_traitsISI_E10value_typeEPNSO_ISJ_E10value_typeEPSK_NS1_7vsmem_tEENKUlT_SI_SJ_SK_E_clIPySD_S10_SD_EESH_SX_SI_SJ_SK_EUlSX_E_NS1_11comp_targetILNS1_3genE3ELNS1_11target_archE908ELNS1_3gpuE7ELNS1_3repE0EEENS1_48merge_mergepath_partition_config_static_selectorELNS0_4arch9wavefront6targetE1EEEvSJ_.num_named_barrier, 0
	.set _ZN7rocprim17ROCPRIM_400000_NS6detail17trampoline_kernelINS0_14default_configENS1_38merge_sort_block_merge_config_selectorIyyEEZZNS1_27merge_sort_block_merge_implIS3_N6thrust23THRUST_200600_302600_NS6detail15normal_iteratorINS8_10device_ptrIyEEEESD_jNS1_19radix_merge_compareILb0ELb1EyNS0_19identity_decomposerEEEEE10hipError_tT0_T1_T2_jT3_P12ihipStream_tbPNSt15iterator_traitsISI_E10value_typeEPNSO_ISJ_E10value_typeEPSK_NS1_7vsmem_tEENKUlT_SI_SJ_SK_E_clIPySD_S10_SD_EESH_SX_SI_SJ_SK_EUlSX_E_NS1_11comp_targetILNS1_3genE3ELNS1_11target_archE908ELNS1_3gpuE7ELNS1_3repE0EEENS1_48merge_mergepath_partition_config_static_selectorELNS0_4arch9wavefront6targetE1EEEvSJ_.private_seg_size, 0
	.set _ZN7rocprim17ROCPRIM_400000_NS6detail17trampoline_kernelINS0_14default_configENS1_38merge_sort_block_merge_config_selectorIyyEEZZNS1_27merge_sort_block_merge_implIS3_N6thrust23THRUST_200600_302600_NS6detail15normal_iteratorINS8_10device_ptrIyEEEESD_jNS1_19radix_merge_compareILb0ELb1EyNS0_19identity_decomposerEEEEE10hipError_tT0_T1_T2_jT3_P12ihipStream_tbPNSt15iterator_traitsISI_E10value_typeEPNSO_ISJ_E10value_typeEPSK_NS1_7vsmem_tEENKUlT_SI_SJ_SK_E_clIPySD_S10_SD_EESH_SX_SI_SJ_SK_EUlSX_E_NS1_11comp_targetILNS1_3genE3ELNS1_11target_archE908ELNS1_3gpuE7ELNS1_3repE0EEENS1_48merge_mergepath_partition_config_static_selectorELNS0_4arch9wavefront6targetE1EEEvSJ_.uses_vcc, 0
	.set _ZN7rocprim17ROCPRIM_400000_NS6detail17trampoline_kernelINS0_14default_configENS1_38merge_sort_block_merge_config_selectorIyyEEZZNS1_27merge_sort_block_merge_implIS3_N6thrust23THRUST_200600_302600_NS6detail15normal_iteratorINS8_10device_ptrIyEEEESD_jNS1_19radix_merge_compareILb0ELb1EyNS0_19identity_decomposerEEEEE10hipError_tT0_T1_T2_jT3_P12ihipStream_tbPNSt15iterator_traitsISI_E10value_typeEPNSO_ISJ_E10value_typeEPSK_NS1_7vsmem_tEENKUlT_SI_SJ_SK_E_clIPySD_S10_SD_EESH_SX_SI_SJ_SK_EUlSX_E_NS1_11comp_targetILNS1_3genE3ELNS1_11target_archE908ELNS1_3gpuE7ELNS1_3repE0EEENS1_48merge_mergepath_partition_config_static_selectorELNS0_4arch9wavefront6targetE1EEEvSJ_.uses_flat_scratch, 0
	.set _ZN7rocprim17ROCPRIM_400000_NS6detail17trampoline_kernelINS0_14default_configENS1_38merge_sort_block_merge_config_selectorIyyEEZZNS1_27merge_sort_block_merge_implIS3_N6thrust23THRUST_200600_302600_NS6detail15normal_iteratorINS8_10device_ptrIyEEEESD_jNS1_19radix_merge_compareILb0ELb1EyNS0_19identity_decomposerEEEEE10hipError_tT0_T1_T2_jT3_P12ihipStream_tbPNSt15iterator_traitsISI_E10value_typeEPNSO_ISJ_E10value_typeEPSK_NS1_7vsmem_tEENKUlT_SI_SJ_SK_E_clIPySD_S10_SD_EESH_SX_SI_SJ_SK_EUlSX_E_NS1_11comp_targetILNS1_3genE3ELNS1_11target_archE908ELNS1_3gpuE7ELNS1_3repE0EEENS1_48merge_mergepath_partition_config_static_selectorELNS0_4arch9wavefront6targetE1EEEvSJ_.has_dyn_sized_stack, 0
	.set _ZN7rocprim17ROCPRIM_400000_NS6detail17trampoline_kernelINS0_14default_configENS1_38merge_sort_block_merge_config_selectorIyyEEZZNS1_27merge_sort_block_merge_implIS3_N6thrust23THRUST_200600_302600_NS6detail15normal_iteratorINS8_10device_ptrIyEEEESD_jNS1_19radix_merge_compareILb0ELb1EyNS0_19identity_decomposerEEEEE10hipError_tT0_T1_T2_jT3_P12ihipStream_tbPNSt15iterator_traitsISI_E10value_typeEPNSO_ISJ_E10value_typeEPSK_NS1_7vsmem_tEENKUlT_SI_SJ_SK_E_clIPySD_S10_SD_EESH_SX_SI_SJ_SK_EUlSX_E_NS1_11comp_targetILNS1_3genE3ELNS1_11target_archE908ELNS1_3gpuE7ELNS1_3repE0EEENS1_48merge_mergepath_partition_config_static_selectorELNS0_4arch9wavefront6targetE1EEEvSJ_.has_recursion, 0
	.set _ZN7rocprim17ROCPRIM_400000_NS6detail17trampoline_kernelINS0_14default_configENS1_38merge_sort_block_merge_config_selectorIyyEEZZNS1_27merge_sort_block_merge_implIS3_N6thrust23THRUST_200600_302600_NS6detail15normal_iteratorINS8_10device_ptrIyEEEESD_jNS1_19radix_merge_compareILb0ELb1EyNS0_19identity_decomposerEEEEE10hipError_tT0_T1_T2_jT3_P12ihipStream_tbPNSt15iterator_traitsISI_E10value_typeEPNSO_ISJ_E10value_typeEPSK_NS1_7vsmem_tEENKUlT_SI_SJ_SK_E_clIPySD_S10_SD_EESH_SX_SI_SJ_SK_EUlSX_E_NS1_11comp_targetILNS1_3genE3ELNS1_11target_archE908ELNS1_3gpuE7ELNS1_3repE0EEENS1_48merge_mergepath_partition_config_static_selectorELNS0_4arch9wavefront6targetE1EEEvSJ_.has_indirect_call, 0
	.section	.AMDGPU.csdata,"",@progbits
; Kernel info:
; codeLenInByte = 0
; TotalNumSgprs: 6
; NumVgprs: 0
; NumAgprs: 0
; TotalNumVgprs: 0
; ScratchSize: 0
; MemoryBound: 0
; FloatMode: 240
; IeeeMode: 1
; LDSByteSize: 0 bytes/workgroup (compile time only)
; SGPRBlocks: 0
; VGPRBlocks: 0
; NumSGPRsForWavesPerEU: 6
; NumVGPRsForWavesPerEU: 1
; AccumOffset: 4
; Occupancy: 8
; WaveLimiterHint : 0
; COMPUTE_PGM_RSRC2:SCRATCH_EN: 0
; COMPUTE_PGM_RSRC2:USER_SGPR: 2
; COMPUTE_PGM_RSRC2:TRAP_HANDLER: 0
; COMPUTE_PGM_RSRC2:TGID_X_EN: 1
; COMPUTE_PGM_RSRC2:TGID_Y_EN: 0
; COMPUTE_PGM_RSRC2:TGID_Z_EN: 0
; COMPUTE_PGM_RSRC2:TIDIG_COMP_CNT: 0
; COMPUTE_PGM_RSRC3_GFX90A:ACCUM_OFFSET: 0
; COMPUTE_PGM_RSRC3_GFX90A:TG_SPLIT: 0
	.section	.text._ZN7rocprim17ROCPRIM_400000_NS6detail17trampoline_kernelINS0_14default_configENS1_38merge_sort_block_merge_config_selectorIyyEEZZNS1_27merge_sort_block_merge_implIS3_N6thrust23THRUST_200600_302600_NS6detail15normal_iteratorINS8_10device_ptrIyEEEESD_jNS1_19radix_merge_compareILb0ELb1EyNS0_19identity_decomposerEEEEE10hipError_tT0_T1_T2_jT3_P12ihipStream_tbPNSt15iterator_traitsISI_E10value_typeEPNSO_ISJ_E10value_typeEPSK_NS1_7vsmem_tEENKUlT_SI_SJ_SK_E_clIPySD_S10_SD_EESH_SX_SI_SJ_SK_EUlSX_E_NS1_11comp_targetILNS1_3genE2ELNS1_11target_archE906ELNS1_3gpuE6ELNS1_3repE0EEENS1_48merge_mergepath_partition_config_static_selectorELNS0_4arch9wavefront6targetE1EEEvSJ_,"axG",@progbits,_ZN7rocprim17ROCPRIM_400000_NS6detail17trampoline_kernelINS0_14default_configENS1_38merge_sort_block_merge_config_selectorIyyEEZZNS1_27merge_sort_block_merge_implIS3_N6thrust23THRUST_200600_302600_NS6detail15normal_iteratorINS8_10device_ptrIyEEEESD_jNS1_19radix_merge_compareILb0ELb1EyNS0_19identity_decomposerEEEEE10hipError_tT0_T1_T2_jT3_P12ihipStream_tbPNSt15iterator_traitsISI_E10value_typeEPNSO_ISJ_E10value_typeEPSK_NS1_7vsmem_tEENKUlT_SI_SJ_SK_E_clIPySD_S10_SD_EESH_SX_SI_SJ_SK_EUlSX_E_NS1_11comp_targetILNS1_3genE2ELNS1_11target_archE906ELNS1_3gpuE6ELNS1_3repE0EEENS1_48merge_mergepath_partition_config_static_selectorELNS0_4arch9wavefront6targetE1EEEvSJ_,comdat
	.protected	_ZN7rocprim17ROCPRIM_400000_NS6detail17trampoline_kernelINS0_14default_configENS1_38merge_sort_block_merge_config_selectorIyyEEZZNS1_27merge_sort_block_merge_implIS3_N6thrust23THRUST_200600_302600_NS6detail15normal_iteratorINS8_10device_ptrIyEEEESD_jNS1_19radix_merge_compareILb0ELb1EyNS0_19identity_decomposerEEEEE10hipError_tT0_T1_T2_jT3_P12ihipStream_tbPNSt15iterator_traitsISI_E10value_typeEPNSO_ISJ_E10value_typeEPSK_NS1_7vsmem_tEENKUlT_SI_SJ_SK_E_clIPySD_S10_SD_EESH_SX_SI_SJ_SK_EUlSX_E_NS1_11comp_targetILNS1_3genE2ELNS1_11target_archE906ELNS1_3gpuE6ELNS1_3repE0EEENS1_48merge_mergepath_partition_config_static_selectorELNS0_4arch9wavefront6targetE1EEEvSJ_ ; -- Begin function _ZN7rocprim17ROCPRIM_400000_NS6detail17trampoline_kernelINS0_14default_configENS1_38merge_sort_block_merge_config_selectorIyyEEZZNS1_27merge_sort_block_merge_implIS3_N6thrust23THRUST_200600_302600_NS6detail15normal_iteratorINS8_10device_ptrIyEEEESD_jNS1_19radix_merge_compareILb0ELb1EyNS0_19identity_decomposerEEEEE10hipError_tT0_T1_T2_jT3_P12ihipStream_tbPNSt15iterator_traitsISI_E10value_typeEPNSO_ISJ_E10value_typeEPSK_NS1_7vsmem_tEENKUlT_SI_SJ_SK_E_clIPySD_S10_SD_EESH_SX_SI_SJ_SK_EUlSX_E_NS1_11comp_targetILNS1_3genE2ELNS1_11target_archE906ELNS1_3gpuE6ELNS1_3repE0EEENS1_48merge_mergepath_partition_config_static_selectorELNS0_4arch9wavefront6targetE1EEEvSJ_
	.globl	_ZN7rocprim17ROCPRIM_400000_NS6detail17trampoline_kernelINS0_14default_configENS1_38merge_sort_block_merge_config_selectorIyyEEZZNS1_27merge_sort_block_merge_implIS3_N6thrust23THRUST_200600_302600_NS6detail15normal_iteratorINS8_10device_ptrIyEEEESD_jNS1_19radix_merge_compareILb0ELb1EyNS0_19identity_decomposerEEEEE10hipError_tT0_T1_T2_jT3_P12ihipStream_tbPNSt15iterator_traitsISI_E10value_typeEPNSO_ISJ_E10value_typeEPSK_NS1_7vsmem_tEENKUlT_SI_SJ_SK_E_clIPySD_S10_SD_EESH_SX_SI_SJ_SK_EUlSX_E_NS1_11comp_targetILNS1_3genE2ELNS1_11target_archE906ELNS1_3gpuE6ELNS1_3repE0EEENS1_48merge_mergepath_partition_config_static_selectorELNS0_4arch9wavefront6targetE1EEEvSJ_
	.p2align	8
	.type	_ZN7rocprim17ROCPRIM_400000_NS6detail17trampoline_kernelINS0_14default_configENS1_38merge_sort_block_merge_config_selectorIyyEEZZNS1_27merge_sort_block_merge_implIS3_N6thrust23THRUST_200600_302600_NS6detail15normal_iteratorINS8_10device_ptrIyEEEESD_jNS1_19radix_merge_compareILb0ELb1EyNS0_19identity_decomposerEEEEE10hipError_tT0_T1_T2_jT3_P12ihipStream_tbPNSt15iterator_traitsISI_E10value_typeEPNSO_ISJ_E10value_typeEPSK_NS1_7vsmem_tEENKUlT_SI_SJ_SK_E_clIPySD_S10_SD_EESH_SX_SI_SJ_SK_EUlSX_E_NS1_11comp_targetILNS1_3genE2ELNS1_11target_archE906ELNS1_3gpuE6ELNS1_3repE0EEENS1_48merge_mergepath_partition_config_static_selectorELNS0_4arch9wavefront6targetE1EEEvSJ_,@function
_ZN7rocprim17ROCPRIM_400000_NS6detail17trampoline_kernelINS0_14default_configENS1_38merge_sort_block_merge_config_selectorIyyEEZZNS1_27merge_sort_block_merge_implIS3_N6thrust23THRUST_200600_302600_NS6detail15normal_iteratorINS8_10device_ptrIyEEEESD_jNS1_19radix_merge_compareILb0ELb1EyNS0_19identity_decomposerEEEEE10hipError_tT0_T1_T2_jT3_P12ihipStream_tbPNSt15iterator_traitsISI_E10value_typeEPNSO_ISJ_E10value_typeEPSK_NS1_7vsmem_tEENKUlT_SI_SJ_SK_E_clIPySD_S10_SD_EESH_SX_SI_SJ_SK_EUlSX_E_NS1_11comp_targetILNS1_3genE2ELNS1_11target_archE906ELNS1_3gpuE6ELNS1_3repE0EEENS1_48merge_mergepath_partition_config_static_selectorELNS0_4arch9wavefront6targetE1EEEvSJ_: ; @_ZN7rocprim17ROCPRIM_400000_NS6detail17trampoline_kernelINS0_14default_configENS1_38merge_sort_block_merge_config_selectorIyyEEZZNS1_27merge_sort_block_merge_implIS3_N6thrust23THRUST_200600_302600_NS6detail15normal_iteratorINS8_10device_ptrIyEEEESD_jNS1_19radix_merge_compareILb0ELb1EyNS0_19identity_decomposerEEEEE10hipError_tT0_T1_T2_jT3_P12ihipStream_tbPNSt15iterator_traitsISI_E10value_typeEPNSO_ISJ_E10value_typeEPSK_NS1_7vsmem_tEENKUlT_SI_SJ_SK_E_clIPySD_S10_SD_EESH_SX_SI_SJ_SK_EUlSX_E_NS1_11comp_targetILNS1_3genE2ELNS1_11target_archE906ELNS1_3gpuE6ELNS1_3repE0EEENS1_48merge_mergepath_partition_config_static_selectorELNS0_4arch9wavefront6targetE1EEEvSJ_
; %bb.0:
	.section	.rodata,"a",@progbits
	.p2align	6, 0x0
	.amdhsa_kernel _ZN7rocprim17ROCPRIM_400000_NS6detail17trampoline_kernelINS0_14default_configENS1_38merge_sort_block_merge_config_selectorIyyEEZZNS1_27merge_sort_block_merge_implIS3_N6thrust23THRUST_200600_302600_NS6detail15normal_iteratorINS8_10device_ptrIyEEEESD_jNS1_19radix_merge_compareILb0ELb1EyNS0_19identity_decomposerEEEEE10hipError_tT0_T1_T2_jT3_P12ihipStream_tbPNSt15iterator_traitsISI_E10value_typeEPNSO_ISJ_E10value_typeEPSK_NS1_7vsmem_tEENKUlT_SI_SJ_SK_E_clIPySD_S10_SD_EESH_SX_SI_SJ_SK_EUlSX_E_NS1_11comp_targetILNS1_3genE2ELNS1_11target_archE906ELNS1_3gpuE6ELNS1_3repE0EEENS1_48merge_mergepath_partition_config_static_selectorELNS0_4arch9wavefront6targetE1EEEvSJ_
		.amdhsa_group_segment_fixed_size 0
		.amdhsa_private_segment_fixed_size 0
		.amdhsa_kernarg_size 40
		.amdhsa_user_sgpr_count 2
		.amdhsa_user_sgpr_dispatch_ptr 0
		.amdhsa_user_sgpr_queue_ptr 0
		.amdhsa_user_sgpr_kernarg_segment_ptr 1
		.amdhsa_user_sgpr_dispatch_id 0
		.amdhsa_user_sgpr_kernarg_preload_length 0
		.amdhsa_user_sgpr_kernarg_preload_offset 0
		.amdhsa_user_sgpr_private_segment_size 0
		.amdhsa_uses_dynamic_stack 0
		.amdhsa_enable_private_segment 0
		.amdhsa_system_sgpr_workgroup_id_x 1
		.amdhsa_system_sgpr_workgroup_id_y 0
		.amdhsa_system_sgpr_workgroup_id_z 0
		.amdhsa_system_sgpr_workgroup_info 0
		.amdhsa_system_vgpr_workitem_id 0
		.amdhsa_next_free_vgpr 1
		.amdhsa_next_free_sgpr 0
		.amdhsa_accum_offset 4
		.amdhsa_reserve_vcc 0
		.amdhsa_float_round_mode_32 0
		.amdhsa_float_round_mode_16_64 0
		.amdhsa_float_denorm_mode_32 3
		.amdhsa_float_denorm_mode_16_64 3
		.amdhsa_dx10_clamp 1
		.amdhsa_ieee_mode 1
		.amdhsa_fp16_overflow 0
		.amdhsa_tg_split 0
		.amdhsa_exception_fp_ieee_invalid_op 0
		.amdhsa_exception_fp_denorm_src 0
		.amdhsa_exception_fp_ieee_div_zero 0
		.amdhsa_exception_fp_ieee_overflow 0
		.amdhsa_exception_fp_ieee_underflow 0
		.amdhsa_exception_fp_ieee_inexact 0
		.amdhsa_exception_int_div_zero 0
	.end_amdhsa_kernel
	.section	.text._ZN7rocprim17ROCPRIM_400000_NS6detail17trampoline_kernelINS0_14default_configENS1_38merge_sort_block_merge_config_selectorIyyEEZZNS1_27merge_sort_block_merge_implIS3_N6thrust23THRUST_200600_302600_NS6detail15normal_iteratorINS8_10device_ptrIyEEEESD_jNS1_19radix_merge_compareILb0ELb1EyNS0_19identity_decomposerEEEEE10hipError_tT0_T1_T2_jT3_P12ihipStream_tbPNSt15iterator_traitsISI_E10value_typeEPNSO_ISJ_E10value_typeEPSK_NS1_7vsmem_tEENKUlT_SI_SJ_SK_E_clIPySD_S10_SD_EESH_SX_SI_SJ_SK_EUlSX_E_NS1_11comp_targetILNS1_3genE2ELNS1_11target_archE906ELNS1_3gpuE6ELNS1_3repE0EEENS1_48merge_mergepath_partition_config_static_selectorELNS0_4arch9wavefront6targetE1EEEvSJ_,"axG",@progbits,_ZN7rocprim17ROCPRIM_400000_NS6detail17trampoline_kernelINS0_14default_configENS1_38merge_sort_block_merge_config_selectorIyyEEZZNS1_27merge_sort_block_merge_implIS3_N6thrust23THRUST_200600_302600_NS6detail15normal_iteratorINS8_10device_ptrIyEEEESD_jNS1_19radix_merge_compareILb0ELb1EyNS0_19identity_decomposerEEEEE10hipError_tT0_T1_T2_jT3_P12ihipStream_tbPNSt15iterator_traitsISI_E10value_typeEPNSO_ISJ_E10value_typeEPSK_NS1_7vsmem_tEENKUlT_SI_SJ_SK_E_clIPySD_S10_SD_EESH_SX_SI_SJ_SK_EUlSX_E_NS1_11comp_targetILNS1_3genE2ELNS1_11target_archE906ELNS1_3gpuE6ELNS1_3repE0EEENS1_48merge_mergepath_partition_config_static_selectorELNS0_4arch9wavefront6targetE1EEEvSJ_,comdat
.Lfunc_end458:
	.size	_ZN7rocprim17ROCPRIM_400000_NS6detail17trampoline_kernelINS0_14default_configENS1_38merge_sort_block_merge_config_selectorIyyEEZZNS1_27merge_sort_block_merge_implIS3_N6thrust23THRUST_200600_302600_NS6detail15normal_iteratorINS8_10device_ptrIyEEEESD_jNS1_19radix_merge_compareILb0ELb1EyNS0_19identity_decomposerEEEEE10hipError_tT0_T1_T2_jT3_P12ihipStream_tbPNSt15iterator_traitsISI_E10value_typeEPNSO_ISJ_E10value_typeEPSK_NS1_7vsmem_tEENKUlT_SI_SJ_SK_E_clIPySD_S10_SD_EESH_SX_SI_SJ_SK_EUlSX_E_NS1_11comp_targetILNS1_3genE2ELNS1_11target_archE906ELNS1_3gpuE6ELNS1_3repE0EEENS1_48merge_mergepath_partition_config_static_selectorELNS0_4arch9wavefront6targetE1EEEvSJ_, .Lfunc_end458-_ZN7rocprim17ROCPRIM_400000_NS6detail17trampoline_kernelINS0_14default_configENS1_38merge_sort_block_merge_config_selectorIyyEEZZNS1_27merge_sort_block_merge_implIS3_N6thrust23THRUST_200600_302600_NS6detail15normal_iteratorINS8_10device_ptrIyEEEESD_jNS1_19radix_merge_compareILb0ELb1EyNS0_19identity_decomposerEEEEE10hipError_tT0_T1_T2_jT3_P12ihipStream_tbPNSt15iterator_traitsISI_E10value_typeEPNSO_ISJ_E10value_typeEPSK_NS1_7vsmem_tEENKUlT_SI_SJ_SK_E_clIPySD_S10_SD_EESH_SX_SI_SJ_SK_EUlSX_E_NS1_11comp_targetILNS1_3genE2ELNS1_11target_archE906ELNS1_3gpuE6ELNS1_3repE0EEENS1_48merge_mergepath_partition_config_static_selectorELNS0_4arch9wavefront6targetE1EEEvSJ_
                                        ; -- End function
	.set _ZN7rocprim17ROCPRIM_400000_NS6detail17trampoline_kernelINS0_14default_configENS1_38merge_sort_block_merge_config_selectorIyyEEZZNS1_27merge_sort_block_merge_implIS3_N6thrust23THRUST_200600_302600_NS6detail15normal_iteratorINS8_10device_ptrIyEEEESD_jNS1_19radix_merge_compareILb0ELb1EyNS0_19identity_decomposerEEEEE10hipError_tT0_T1_T2_jT3_P12ihipStream_tbPNSt15iterator_traitsISI_E10value_typeEPNSO_ISJ_E10value_typeEPSK_NS1_7vsmem_tEENKUlT_SI_SJ_SK_E_clIPySD_S10_SD_EESH_SX_SI_SJ_SK_EUlSX_E_NS1_11comp_targetILNS1_3genE2ELNS1_11target_archE906ELNS1_3gpuE6ELNS1_3repE0EEENS1_48merge_mergepath_partition_config_static_selectorELNS0_4arch9wavefront6targetE1EEEvSJ_.num_vgpr, 0
	.set _ZN7rocprim17ROCPRIM_400000_NS6detail17trampoline_kernelINS0_14default_configENS1_38merge_sort_block_merge_config_selectorIyyEEZZNS1_27merge_sort_block_merge_implIS3_N6thrust23THRUST_200600_302600_NS6detail15normal_iteratorINS8_10device_ptrIyEEEESD_jNS1_19radix_merge_compareILb0ELb1EyNS0_19identity_decomposerEEEEE10hipError_tT0_T1_T2_jT3_P12ihipStream_tbPNSt15iterator_traitsISI_E10value_typeEPNSO_ISJ_E10value_typeEPSK_NS1_7vsmem_tEENKUlT_SI_SJ_SK_E_clIPySD_S10_SD_EESH_SX_SI_SJ_SK_EUlSX_E_NS1_11comp_targetILNS1_3genE2ELNS1_11target_archE906ELNS1_3gpuE6ELNS1_3repE0EEENS1_48merge_mergepath_partition_config_static_selectorELNS0_4arch9wavefront6targetE1EEEvSJ_.num_agpr, 0
	.set _ZN7rocprim17ROCPRIM_400000_NS6detail17trampoline_kernelINS0_14default_configENS1_38merge_sort_block_merge_config_selectorIyyEEZZNS1_27merge_sort_block_merge_implIS3_N6thrust23THRUST_200600_302600_NS6detail15normal_iteratorINS8_10device_ptrIyEEEESD_jNS1_19radix_merge_compareILb0ELb1EyNS0_19identity_decomposerEEEEE10hipError_tT0_T1_T2_jT3_P12ihipStream_tbPNSt15iterator_traitsISI_E10value_typeEPNSO_ISJ_E10value_typeEPSK_NS1_7vsmem_tEENKUlT_SI_SJ_SK_E_clIPySD_S10_SD_EESH_SX_SI_SJ_SK_EUlSX_E_NS1_11comp_targetILNS1_3genE2ELNS1_11target_archE906ELNS1_3gpuE6ELNS1_3repE0EEENS1_48merge_mergepath_partition_config_static_selectorELNS0_4arch9wavefront6targetE1EEEvSJ_.numbered_sgpr, 0
	.set _ZN7rocprim17ROCPRIM_400000_NS6detail17trampoline_kernelINS0_14default_configENS1_38merge_sort_block_merge_config_selectorIyyEEZZNS1_27merge_sort_block_merge_implIS3_N6thrust23THRUST_200600_302600_NS6detail15normal_iteratorINS8_10device_ptrIyEEEESD_jNS1_19radix_merge_compareILb0ELb1EyNS0_19identity_decomposerEEEEE10hipError_tT0_T1_T2_jT3_P12ihipStream_tbPNSt15iterator_traitsISI_E10value_typeEPNSO_ISJ_E10value_typeEPSK_NS1_7vsmem_tEENKUlT_SI_SJ_SK_E_clIPySD_S10_SD_EESH_SX_SI_SJ_SK_EUlSX_E_NS1_11comp_targetILNS1_3genE2ELNS1_11target_archE906ELNS1_3gpuE6ELNS1_3repE0EEENS1_48merge_mergepath_partition_config_static_selectorELNS0_4arch9wavefront6targetE1EEEvSJ_.num_named_barrier, 0
	.set _ZN7rocprim17ROCPRIM_400000_NS6detail17trampoline_kernelINS0_14default_configENS1_38merge_sort_block_merge_config_selectorIyyEEZZNS1_27merge_sort_block_merge_implIS3_N6thrust23THRUST_200600_302600_NS6detail15normal_iteratorINS8_10device_ptrIyEEEESD_jNS1_19radix_merge_compareILb0ELb1EyNS0_19identity_decomposerEEEEE10hipError_tT0_T1_T2_jT3_P12ihipStream_tbPNSt15iterator_traitsISI_E10value_typeEPNSO_ISJ_E10value_typeEPSK_NS1_7vsmem_tEENKUlT_SI_SJ_SK_E_clIPySD_S10_SD_EESH_SX_SI_SJ_SK_EUlSX_E_NS1_11comp_targetILNS1_3genE2ELNS1_11target_archE906ELNS1_3gpuE6ELNS1_3repE0EEENS1_48merge_mergepath_partition_config_static_selectorELNS0_4arch9wavefront6targetE1EEEvSJ_.private_seg_size, 0
	.set _ZN7rocprim17ROCPRIM_400000_NS6detail17trampoline_kernelINS0_14default_configENS1_38merge_sort_block_merge_config_selectorIyyEEZZNS1_27merge_sort_block_merge_implIS3_N6thrust23THRUST_200600_302600_NS6detail15normal_iteratorINS8_10device_ptrIyEEEESD_jNS1_19radix_merge_compareILb0ELb1EyNS0_19identity_decomposerEEEEE10hipError_tT0_T1_T2_jT3_P12ihipStream_tbPNSt15iterator_traitsISI_E10value_typeEPNSO_ISJ_E10value_typeEPSK_NS1_7vsmem_tEENKUlT_SI_SJ_SK_E_clIPySD_S10_SD_EESH_SX_SI_SJ_SK_EUlSX_E_NS1_11comp_targetILNS1_3genE2ELNS1_11target_archE906ELNS1_3gpuE6ELNS1_3repE0EEENS1_48merge_mergepath_partition_config_static_selectorELNS0_4arch9wavefront6targetE1EEEvSJ_.uses_vcc, 0
	.set _ZN7rocprim17ROCPRIM_400000_NS6detail17trampoline_kernelINS0_14default_configENS1_38merge_sort_block_merge_config_selectorIyyEEZZNS1_27merge_sort_block_merge_implIS3_N6thrust23THRUST_200600_302600_NS6detail15normal_iteratorINS8_10device_ptrIyEEEESD_jNS1_19radix_merge_compareILb0ELb1EyNS0_19identity_decomposerEEEEE10hipError_tT0_T1_T2_jT3_P12ihipStream_tbPNSt15iterator_traitsISI_E10value_typeEPNSO_ISJ_E10value_typeEPSK_NS1_7vsmem_tEENKUlT_SI_SJ_SK_E_clIPySD_S10_SD_EESH_SX_SI_SJ_SK_EUlSX_E_NS1_11comp_targetILNS1_3genE2ELNS1_11target_archE906ELNS1_3gpuE6ELNS1_3repE0EEENS1_48merge_mergepath_partition_config_static_selectorELNS0_4arch9wavefront6targetE1EEEvSJ_.uses_flat_scratch, 0
	.set _ZN7rocprim17ROCPRIM_400000_NS6detail17trampoline_kernelINS0_14default_configENS1_38merge_sort_block_merge_config_selectorIyyEEZZNS1_27merge_sort_block_merge_implIS3_N6thrust23THRUST_200600_302600_NS6detail15normal_iteratorINS8_10device_ptrIyEEEESD_jNS1_19radix_merge_compareILb0ELb1EyNS0_19identity_decomposerEEEEE10hipError_tT0_T1_T2_jT3_P12ihipStream_tbPNSt15iterator_traitsISI_E10value_typeEPNSO_ISJ_E10value_typeEPSK_NS1_7vsmem_tEENKUlT_SI_SJ_SK_E_clIPySD_S10_SD_EESH_SX_SI_SJ_SK_EUlSX_E_NS1_11comp_targetILNS1_3genE2ELNS1_11target_archE906ELNS1_3gpuE6ELNS1_3repE0EEENS1_48merge_mergepath_partition_config_static_selectorELNS0_4arch9wavefront6targetE1EEEvSJ_.has_dyn_sized_stack, 0
	.set _ZN7rocprim17ROCPRIM_400000_NS6detail17trampoline_kernelINS0_14default_configENS1_38merge_sort_block_merge_config_selectorIyyEEZZNS1_27merge_sort_block_merge_implIS3_N6thrust23THRUST_200600_302600_NS6detail15normal_iteratorINS8_10device_ptrIyEEEESD_jNS1_19radix_merge_compareILb0ELb1EyNS0_19identity_decomposerEEEEE10hipError_tT0_T1_T2_jT3_P12ihipStream_tbPNSt15iterator_traitsISI_E10value_typeEPNSO_ISJ_E10value_typeEPSK_NS1_7vsmem_tEENKUlT_SI_SJ_SK_E_clIPySD_S10_SD_EESH_SX_SI_SJ_SK_EUlSX_E_NS1_11comp_targetILNS1_3genE2ELNS1_11target_archE906ELNS1_3gpuE6ELNS1_3repE0EEENS1_48merge_mergepath_partition_config_static_selectorELNS0_4arch9wavefront6targetE1EEEvSJ_.has_recursion, 0
	.set _ZN7rocprim17ROCPRIM_400000_NS6detail17trampoline_kernelINS0_14default_configENS1_38merge_sort_block_merge_config_selectorIyyEEZZNS1_27merge_sort_block_merge_implIS3_N6thrust23THRUST_200600_302600_NS6detail15normal_iteratorINS8_10device_ptrIyEEEESD_jNS1_19radix_merge_compareILb0ELb1EyNS0_19identity_decomposerEEEEE10hipError_tT0_T1_T2_jT3_P12ihipStream_tbPNSt15iterator_traitsISI_E10value_typeEPNSO_ISJ_E10value_typeEPSK_NS1_7vsmem_tEENKUlT_SI_SJ_SK_E_clIPySD_S10_SD_EESH_SX_SI_SJ_SK_EUlSX_E_NS1_11comp_targetILNS1_3genE2ELNS1_11target_archE906ELNS1_3gpuE6ELNS1_3repE0EEENS1_48merge_mergepath_partition_config_static_selectorELNS0_4arch9wavefront6targetE1EEEvSJ_.has_indirect_call, 0
	.section	.AMDGPU.csdata,"",@progbits
; Kernel info:
; codeLenInByte = 0
; TotalNumSgprs: 6
; NumVgprs: 0
; NumAgprs: 0
; TotalNumVgprs: 0
; ScratchSize: 0
; MemoryBound: 0
; FloatMode: 240
; IeeeMode: 1
; LDSByteSize: 0 bytes/workgroup (compile time only)
; SGPRBlocks: 0
; VGPRBlocks: 0
; NumSGPRsForWavesPerEU: 6
; NumVGPRsForWavesPerEU: 1
; AccumOffset: 4
; Occupancy: 8
; WaveLimiterHint : 0
; COMPUTE_PGM_RSRC2:SCRATCH_EN: 0
; COMPUTE_PGM_RSRC2:USER_SGPR: 2
; COMPUTE_PGM_RSRC2:TRAP_HANDLER: 0
; COMPUTE_PGM_RSRC2:TGID_X_EN: 1
; COMPUTE_PGM_RSRC2:TGID_Y_EN: 0
; COMPUTE_PGM_RSRC2:TGID_Z_EN: 0
; COMPUTE_PGM_RSRC2:TIDIG_COMP_CNT: 0
; COMPUTE_PGM_RSRC3_GFX90A:ACCUM_OFFSET: 0
; COMPUTE_PGM_RSRC3_GFX90A:TG_SPLIT: 0
	.section	.text._ZN7rocprim17ROCPRIM_400000_NS6detail17trampoline_kernelINS0_14default_configENS1_38merge_sort_block_merge_config_selectorIyyEEZZNS1_27merge_sort_block_merge_implIS3_N6thrust23THRUST_200600_302600_NS6detail15normal_iteratorINS8_10device_ptrIyEEEESD_jNS1_19radix_merge_compareILb0ELb1EyNS0_19identity_decomposerEEEEE10hipError_tT0_T1_T2_jT3_P12ihipStream_tbPNSt15iterator_traitsISI_E10value_typeEPNSO_ISJ_E10value_typeEPSK_NS1_7vsmem_tEENKUlT_SI_SJ_SK_E_clIPySD_S10_SD_EESH_SX_SI_SJ_SK_EUlSX_E_NS1_11comp_targetILNS1_3genE9ELNS1_11target_archE1100ELNS1_3gpuE3ELNS1_3repE0EEENS1_48merge_mergepath_partition_config_static_selectorELNS0_4arch9wavefront6targetE1EEEvSJ_,"axG",@progbits,_ZN7rocprim17ROCPRIM_400000_NS6detail17trampoline_kernelINS0_14default_configENS1_38merge_sort_block_merge_config_selectorIyyEEZZNS1_27merge_sort_block_merge_implIS3_N6thrust23THRUST_200600_302600_NS6detail15normal_iteratorINS8_10device_ptrIyEEEESD_jNS1_19radix_merge_compareILb0ELb1EyNS0_19identity_decomposerEEEEE10hipError_tT0_T1_T2_jT3_P12ihipStream_tbPNSt15iterator_traitsISI_E10value_typeEPNSO_ISJ_E10value_typeEPSK_NS1_7vsmem_tEENKUlT_SI_SJ_SK_E_clIPySD_S10_SD_EESH_SX_SI_SJ_SK_EUlSX_E_NS1_11comp_targetILNS1_3genE9ELNS1_11target_archE1100ELNS1_3gpuE3ELNS1_3repE0EEENS1_48merge_mergepath_partition_config_static_selectorELNS0_4arch9wavefront6targetE1EEEvSJ_,comdat
	.protected	_ZN7rocprim17ROCPRIM_400000_NS6detail17trampoline_kernelINS0_14default_configENS1_38merge_sort_block_merge_config_selectorIyyEEZZNS1_27merge_sort_block_merge_implIS3_N6thrust23THRUST_200600_302600_NS6detail15normal_iteratorINS8_10device_ptrIyEEEESD_jNS1_19radix_merge_compareILb0ELb1EyNS0_19identity_decomposerEEEEE10hipError_tT0_T1_T2_jT3_P12ihipStream_tbPNSt15iterator_traitsISI_E10value_typeEPNSO_ISJ_E10value_typeEPSK_NS1_7vsmem_tEENKUlT_SI_SJ_SK_E_clIPySD_S10_SD_EESH_SX_SI_SJ_SK_EUlSX_E_NS1_11comp_targetILNS1_3genE9ELNS1_11target_archE1100ELNS1_3gpuE3ELNS1_3repE0EEENS1_48merge_mergepath_partition_config_static_selectorELNS0_4arch9wavefront6targetE1EEEvSJ_ ; -- Begin function _ZN7rocprim17ROCPRIM_400000_NS6detail17trampoline_kernelINS0_14default_configENS1_38merge_sort_block_merge_config_selectorIyyEEZZNS1_27merge_sort_block_merge_implIS3_N6thrust23THRUST_200600_302600_NS6detail15normal_iteratorINS8_10device_ptrIyEEEESD_jNS1_19radix_merge_compareILb0ELb1EyNS0_19identity_decomposerEEEEE10hipError_tT0_T1_T2_jT3_P12ihipStream_tbPNSt15iterator_traitsISI_E10value_typeEPNSO_ISJ_E10value_typeEPSK_NS1_7vsmem_tEENKUlT_SI_SJ_SK_E_clIPySD_S10_SD_EESH_SX_SI_SJ_SK_EUlSX_E_NS1_11comp_targetILNS1_3genE9ELNS1_11target_archE1100ELNS1_3gpuE3ELNS1_3repE0EEENS1_48merge_mergepath_partition_config_static_selectorELNS0_4arch9wavefront6targetE1EEEvSJ_
	.globl	_ZN7rocprim17ROCPRIM_400000_NS6detail17trampoline_kernelINS0_14default_configENS1_38merge_sort_block_merge_config_selectorIyyEEZZNS1_27merge_sort_block_merge_implIS3_N6thrust23THRUST_200600_302600_NS6detail15normal_iteratorINS8_10device_ptrIyEEEESD_jNS1_19radix_merge_compareILb0ELb1EyNS0_19identity_decomposerEEEEE10hipError_tT0_T1_T2_jT3_P12ihipStream_tbPNSt15iterator_traitsISI_E10value_typeEPNSO_ISJ_E10value_typeEPSK_NS1_7vsmem_tEENKUlT_SI_SJ_SK_E_clIPySD_S10_SD_EESH_SX_SI_SJ_SK_EUlSX_E_NS1_11comp_targetILNS1_3genE9ELNS1_11target_archE1100ELNS1_3gpuE3ELNS1_3repE0EEENS1_48merge_mergepath_partition_config_static_selectorELNS0_4arch9wavefront6targetE1EEEvSJ_
	.p2align	8
	.type	_ZN7rocprim17ROCPRIM_400000_NS6detail17trampoline_kernelINS0_14default_configENS1_38merge_sort_block_merge_config_selectorIyyEEZZNS1_27merge_sort_block_merge_implIS3_N6thrust23THRUST_200600_302600_NS6detail15normal_iteratorINS8_10device_ptrIyEEEESD_jNS1_19radix_merge_compareILb0ELb1EyNS0_19identity_decomposerEEEEE10hipError_tT0_T1_T2_jT3_P12ihipStream_tbPNSt15iterator_traitsISI_E10value_typeEPNSO_ISJ_E10value_typeEPSK_NS1_7vsmem_tEENKUlT_SI_SJ_SK_E_clIPySD_S10_SD_EESH_SX_SI_SJ_SK_EUlSX_E_NS1_11comp_targetILNS1_3genE9ELNS1_11target_archE1100ELNS1_3gpuE3ELNS1_3repE0EEENS1_48merge_mergepath_partition_config_static_selectorELNS0_4arch9wavefront6targetE1EEEvSJ_,@function
_ZN7rocprim17ROCPRIM_400000_NS6detail17trampoline_kernelINS0_14default_configENS1_38merge_sort_block_merge_config_selectorIyyEEZZNS1_27merge_sort_block_merge_implIS3_N6thrust23THRUST_200600_302600_NS6detail15normal_iteratorINS8_10device_ptrIyEEEESD_jNS1_19radix_merge_compareILb0ELb1EyNS0_19identity_decomposerEEEEE10hipError_tT0_T1_T2_jT3_P12ihipStream_tbPNSt15iterator_traitsISI_E10value_typeEPNSO_ISJ_E10value_typeEPSK_NS1_7vsmem_tEENKUlT_SI_SJ_SK_E_clIPySD_S10_SD_EESH_SX_SI_SJ_SK_EUlSX_E_NS1_11comp_targetILNS1_3genE9ELNS1_11target_archE1100ELNS1_3gpuE3ELNS1_3repE0EEENS1_48merge_mergepath_partition_config_static_selectorELNS0_4arch9wavefront6targetE1EEEvSJ_: ; @_ZN7rocprim17ROCPRIM_400000_NS6detail17trampoline_kernelINS0_14default_configENS1_38merge_sort_block_merge_config_selectorIyyEEZZNS1_27merge_sort_block_merge_implIS3_N6thrust23THRUST_200600_302600_NS6detail15normal_iteratorINS8_10device_ptrIyEEEESD_jNS1_19radix_merge_compareILb0ELb1EyNS0_19identity_decomposerEEEEE10hipError_tT0_T1_T2_jT3_P12ihipStream_tbPNSt15iterator_traitsISI_E10value_typeEPNSO_ISJ_E10value_typeEPSK_NS1_7vsmem_tEENKUlT_SI_SJ_SK_E_clIPySD_S10_SD_EESH_SX_SI_SJ_SK_EUlSX_E_NS1_11comp_targetILNS1_3genE9ELNS1_11target_archE1100ELNS1_3gpuE3ELNS1_3repE0EEENS1_48merge_mergepath_partition_config_static_selectorELNS0_4arch9wavefront6targetE1EEEvSJ_
; %bb.0:
	.section	.rodata,"a",@progbits
	.p2align	6, 0x0
	.amdhsa_kernel _ZN7rocprim17ROCPRIM_400000_NS6detail17trampoline_kernelINS0_14default_configENS1_38merge_sort_block_merge_config_selectorIyyEEZZNS1_27merge_sort_block_merge_implIS3_N6thrust23THRUST_200600_302600_NS6detail15normal_iteratorINS8_10device_ptrIyEEEESD_jNS1_19radix_merge_compareILb0ELb1EyNS0_19identity_decomposerEEEEE10hipError_tT0_T1_T2_jT3_P12ihipStream_tbPNSt15iterator_traitsISI_E10value_typeEPNSO_ISJ_E10value_typeEPSK_NS1_7vsmem_tEENKUlT_SI_SJ_SK_E_clIPySD_S10_SD_EESH_SX_SI_SJ_SK_EUlSX_E_NS1_11comp_targetILNS1_3genE9ELNS1_11target_archE1100ELNS1_3gpuE3ELNS1_3repE0EEENS1_48merge_mergepath_partition_config_static_selectorELNS0_4arch9wavefront6targetE1EEEvSJ_
		.amdhsa_group_segment_fixed_size 0
		.amdhsa_private_segment_fixed_size 0
		.amdhsa_kernarg_size 40
		.amdhsa_user_sgpr_count 2
		.amdhsa_user_sgpr_dispatch_ptr 0
		.amdhsa_user_sgpr_queue_ptr 0
		.amdhsa_user_sgpr_kernarg_segment_ptr 1
		.amdhsa_user_sgpr_dispatch_id 0
		.amdhsa_user_sgpr_kernarg_preload_length 0
		.amdhsa_user_sgpr_kernarg_preload_offset 0
		.amdhsa_user_sgpr_private_segment_size 0
		.amdhsa_uses_dynamic_stack 0
		.amdhsa_enable_private_segment 0
		.amdhsa_system_sgpr_workgroup_id_x 1
		.amdhsa_system_sgpr_workgroup_id_y 0
		.amdhsa_system_sgpr_workgroup_id_z 0
		.amdhsa_system_sgpr_workgroup_info 0
		.amdhsa_system_vgpr_workitem_id 0
		.amdhsa_next_free_vgpr 1
		.amdhsa_next_free_sgpr 0
		.amdhsa_accum_offset 4
		.amdhsa_reserve_vcc 0
		.amdhsa_float_round_mode_32 0
		.amdhsa_float_round_mode_16_64 0
		.amdhsa_float_denorm_mode_32 3
		.amdhsa_float_denorm_mode_16_64 3
		.amdhsa_dx10_clamp 1
		.amdhsa_ieee_mode 1
		.amdhsa_fp16_overflow 0
		.amdhsa_tg_split 0
		.amdhsa_exception_fp_ieee_invalid_op 0
		.amdhsa_exception_fp_denorm_src 0
		.amdhsa_exception_fp_ieee_div_zero 0
		.amdhsa_exception_fp_ieee_overflow 0
		.amdhsa_exception_fp_ieee_underflow 0
		.amdhsa_exception_fp_ieee_inexact 0
		.amdhsa_exception_int_div_zero 0
	.end_amdhsa_kernel
	.section	.text._ZN7rocprim17ROCPRIM_400000_NS6detail17trampoline_kernelINS0_14default_configENS1_38merge_sort_block_merge_config_selectorIyyEEZZNS1_27merge_sort_block_merge_implIS3_N6thrust23THRUST_200600_302600_NS6detail15normal_iteratorINS8_10device_ptrIyEEEESD_jNS1_19radix_merge_compareILb0ELb1EyNS0_19identity_decomposerEEEEE10hipError_tT0_T1_T2_jT3_P12ihipStream_tbPNSt15iterator_traitsISI_E10value_typeEPNSO_ISJ_E10value_typeEPSK_NS1_7vsmem_tEENKUlT_SI_SJ_SK_E_clIPySD_S10_SD_EESH_SX_SI_SJ_SK_EUlSX_E_NS1_11comp_targetILNS1_3genE9ELNS1_11target_archE1100ELNS1_3gpuE3ELNS1_3repE0EEENS1_48merge_mergepath_partition_config_static_selectorELNS0_4arch9wavefront6targetE1EEEvSJ_,"axG",@progbits,_ZN7rocprim17ROCPRIM_400000_NS6detail17trampoline_kernelINS0_14default_configENS1_38merge_sort_block_merge_config_selectorIyyEEZZNS1_27merge_sort_block_merge_implIS3_N6thrust23THRUST_200600_302600_NS6detail15normal_iteratorINS8_10device_ptrIyEEEESD_jNS1_19radix_merge_compareILb0ELb1EyNS0_19identity_decomposerEEEEE10hipError_tT0_T1_T2_jT3_P12ihipStream_tbPNSt15iterator_traitsISI_E10value_typeEPNSO_ISJ_E10value_typeEPSK_NS1_7vsmem_tEENKUlT_SI_SJ_SK_E_clIPySD_S10_SD_EESH_SX_SI_SJ_SK_EUlSX_E_NS1_11comp_targetILNS1_3genE9ELNS1_11target_archE1100ELNS1_3gpuE3ELNS1_3repE0EEENS1_48merge_mergepath_partition_config_static_selectorELNS0_4arch9wavefront6targetE1EEEvSJ_,comdat
.Lfunc_end459:
	.size	_ZN7rocprim17ROCPRIM_400000_NS6detail17trampoline_kernelINS0_14default_configENS1_38merge_sort_block_merge_config_selectorIyyEEZZNS1_27merge_sort_block_merge_implIS3_N6thrust23THRUST_200600_302600_NS6detail15normal_iteratorINS8_10device_ptrIyEEEESD_jNS1_19radix_merge_compareILb0ELb1EyNS0_19identity_decomposerEEEEE10hipError_tT0_T1_T2_jT3_P12ihipStream_tbPNSt15iterator_traitsISI_E10value_typeEPNSO_ISJ_E10value_typeEPSK_NS1_7vsmem_tEENKUlT_SI_SJ_SK_E_clIPySD_S10_SD_EESH_SX_SI_SJ_SK_EUlSX_E_NS1_11comp_targetILNS1_3genE9ELNS1_11target_archE1100ELNS1_3gpuE3ELNS1_3repE0EEENS1_48merge_mergepath_partition_config_static_selectorELNS0_4arch9wavefront6targetE1EEEvSJ_, .Lfunc_end459-_ZN7rocprim17ROCPRIM_400000_NS6detail17trampoline_kernelINS0_14default_configENS1_38merge_sort_block_merge_config_selectorIyyEEZZNS1_27merge_sort_block_merge_implIS3_N6thrust23THRUST_200600_302600_NS6detail15normal_iteratorINS8_10device_ptrIyEEEESD_jNS1_19radix_merge_compareILb0ELb1EyNS0_19identity_decomposerEEEEE10hipError_tT0_T1_T2_jT3_P12ihipStream_tbPNSt15iterator_traitsISI_E10value_typeEPNSO_ISJ_E10value_typeEPSK_NS1_7vsmem_tEENKUlT_SI_SJ_SK_E_clIPySD_S10_SD_EESH_SX_SI_SJ_SK_EUlSX_E_NS1_11comp_targetILNS1_3genE9ELNS1_11target_archE1100ELNS1_3gpuE3ELNS1_3repE0EEENS1_48merge_mergepath_partition_config_static_selectorELNS0_4arch9wavefront6targetE1EEEvSJ_
                                        ; -- End function
	.set _ZN7rocprim17ROCPRIM_400000_NS6detail17trampoline_kernelINS0_14default_configENS1_38merge_sort_block_merge_config_selectorIyyEEZZNS1_27merge_sort_block_merge_implIS3_N6thrust23THRUST_200600_302600_NS6detail15normal_iteratorINS8_10device_ptrIyEEEESD_jNS1_19radix_merge_compareILb0ELb1EyNS0_19identity_decomposerEEEEE10hipError_tT0_T1_T2_jT3_P12ihipStream_tbPNSt15iterator_traitsISI_E10value_typeEPNSO_ISJ_E10value_typeEPSK_NS1_7vsmem_tEENKUlT_SI_SJ_SK_E_clIPySD_S10_SD_EESH_SX_SI_SJ_SK_EUlSX_E_NS1_11comp_targetILNS1_3genE9ELNS1_11target_archE1100ELNS1_3gpuE3ELNS1_3repE0EEENS1_48merge_mergepath_partition_config_static_selectorELNS0_4arch9wavefront6targetE1EEEvSJ_.num_vgpr, 0
	.set _ZN7rocprim17ROCPRIM_400000_NS6detail17trampoline_kernelINS0_14default_configENS1_38merge_sort_block_merge_config_selectorIyyEEZZNS1_27merge_sort_block_merge_implIS3_N6thrust23THRUST_200600_302600_NS6detail15normal_iteratorINS8_10device_ptrIyEEEESD_jNS1_19radix_merge_compareILb0ELb1EyNS0_19identity_decomposerEEEEE10hipError_tT0_T1_T2_jT3_P12ihipStream_tbPNSt15iterator_traitsISI_E10value_typeEPNSO_ISJ_E10value_typeEPSK_NS1_7vsmem_tEENKUlT_SI_SJ_SK_E_clIPySD_S10_SD_EESH_SX_SI_SJ_SK_EUlSX_E_NS1_11comp_targetILNS1_3genE9ELNS1_11target_archE1100ELNS1_3gpuE3ELNS1_3repE0EEENS1_48merge_mergepath_partition_config_static_selectorELNS0_4arch9wavefront6targetE1EEEvSJ_.num_agpr, 0
	.set _ZN7rocprim17ROCPRIM_400000_NS6detail17trampoline_kernelINS0_14default_configENS1_38merge_sort_block_merge_config_selectorIyyEEZZNS1_27merge_sort_block_merge_implIS3_N6thrust23THRUST_200600_302600_NS6detail15normal_iteratorINS8_10device_ptrIyEEEESD_jNS1_19radix_merge_compareILb0ELb1EyNS0_19identity_decomposerEEEEE10hipError_tT0_T1_T2_jT3_P12ihipStream_tbPNSt15iterator_traitsISI_E10value_typeEPNSO_ISJ_E10value_typeEPSK_NS1_7vsmem_tEENKUlT_SI_SJ_SK_E_clIPySD_S10_SD_EESH_SX_SI_SJ_SK_EUlSX_E_NS1_11comp_targetILNS1_3genE9ELNS1_11target_archE1100ELNS1_3gpuE3ELNS1_3repE0EEENS1_48merge_mergepath_partition_config_static_selectorELNS0_4arch9wavefront6targetE1EEEvSJ_.numbered_sgpr, 0
	.set _ZN7rocprim17ROCPRIM_400000_NS6detail17trampoline_kernelINS0_14default_configENS1_38merge_sort_block_merge_config_selectorIyyEEZZNS1_27merge_sort_block_merge_implIS3_N6thrust23THRUST_200600_302600_NS6detail15normal_iteratorINS8_10device_ptrIyEEEESD_jNS1_19radix_merge_compareILb0ELb1EyNS0_19identity_decomposerEEEEE10hipError_tT0_T1_T2_jT3_P12ihipStream_tbPNSt15iterator_traitsISI_E10value_typeEPNSO_ISJ_E10value_typeEPSK_NS1_7vsmem_tEENKUlT_SI_SJ_SK_E_clIPySD_S10_SD_EESH_SX_SI_SJ_SK_EUlSX_E_NS1_11comp_targetILNS1_3genE9ELNS1_11target_archE1100ELNS1_3gpuE3ELNS1_3repE0EEENS1_48merge_mergepath_partition_config_static_selectorELNS0_4arch9wavefront6targetE1EEEvSJ_.num_named_barrier, 0
	.set _ZN7rocprim17ROCPRIM_400000_NS6detail17trampoline_kernelINS0_14default_configENS1_38merge_sort_block_merge_config_selectorIyyEEZZNS1_27merge_sort_block_merge_implIS3_N6thrust23THRUST_200600_302600_NS6detail15normal_iteratorINS8_10device_ptrIyEEEESD_jNS1_19radix_merge_compareILb0ELb1EyNS0_19identity_decomposerEEEEE10hipError_tT0_T1_T2_jT3_P12ihipStream_tbPNSt15iterator_traitsISI_E10value_typeEPNSO_ISJ_E10value_typeEPSK_NS1_7vsmem_tEENKUlT_SI_SJ_SK_E_clIPySD_S10_SD_EESH_SX_SI_SJ_SK_EUlSX_E_NS1_11comp_targetILNS1_3genE9ELNS1_11target_archE1100ELNS1_3gpuE3ELNS1_3repE0EEENS1_48merge_mergepath_partition_config_static_selectorELNS0_4arch9wavefront6targetE1EEEvSJ_.private_seg_size, 0
	.set _ZN7rocprim17ROCPRIM_400000_NS6detail17trampoline_kernelINS0_14default_configENS1_38merge_sort_block_merge_config_selectorIyyEEZZNS1_27merge_sort_block_merge_implIS3_N6thrust23THRUST_200600_302600_NS6detail15normal_iteratorINS8_10device_ptrIyEEEESD_jNS1_19radix_merge_compareILb0ELb1EyNS0_19identity_decomposerEEEEE10hipError_tT0_T1_T2_jT3_P12ihipStream_tbPNSt15iterator_traitsISI_E10value_typeEPNSO_ISJ_E10value_typeEPSK_NS1_7vsmem_tEENKUlT_SI_SJ_SK_E_clIPySD_S10_SD_EESH_SX_SI_SJ_SK_EUlSX_E_NS1_11comp_targetILNS1_3genE9ELNS1_11target_archE1100ELNS1_3gpuE3ELNS1_3repE0EEENS1_48merge_mergepath_partition_config_static_selectorELNS0_4arch9wavefront6targetE1EEEvSJ_.uses_vcc, 0
	.set _ZN7rocprim17ROCPRIM_400000_NS6detail17trampoline_kernelINS0_14default_configENS1_38merge_sort_block_merge_config_selectorIyyEEZZNS1_27merge_sort_block_merge_implIS3_N6thrust23THRUST_200600_302600_NS6detail15normal_iteratorINS8_10device_ptrIyEEEESD_jNS1_19radix_merge_compareILb0ELb1EyNS0_19identity_decomposerEEEEE10hipError_tT0_T1_T2_jT3_P12ihipStream_tbPNSt15iterator_traitsISI_E10value_typeEPNSO_ISJ_E10value_typeEPSK_NS1_7vsmem_tEENKUlT_SI_SJ_SK_E_clIPySD_S10_SD_EESH_SX_SI_SJ_SK_EUlSX_E_NS1_11comp_targetILNS1_3genE9ELNS1_11target_archE1100ELNS1_3gpuE3ELNS1_3repE0EEENS1_48merge_mergepath_partition_config_static_selectorELNS0_4arch9wavefront6targetE1EEEvSJ_.uses_flat_scratch, 0
	.set _ZN7rocprim17ROCPRIM_400000_NS6detail17trampoline_kernelINS0_14default_configENS1_38merge_sort_block_merge_config_selectorIyyEEZZNS1_27merge_sort_block_merge_implIS3_N6thrust23THRUST_200600_302600_NS6detail15normal_iteratorINS8_10device_ptrIyEEEESD_jNS1_19radix_merge_compareILb0ELb1EyNS0_19identity_decomposerEEEEE10hipError_tT0_T1_T2_jT3_P12ihipStream_tbPNSt15iterator_traitsISI_E10value_typeEPNSO_ISJ_E10value_typeEPSK_NS1_7vsmem_tEENKUlT_SI_SJ_SK_E_clIPySD_S10_SD_EESH_SX_SI_SJ_SK_EUlSX_E_NS1_11comp_targetILNS1_3genE9ELNS1_11target_archE1100ELNS1_3gpuE3ELNS1_3repE0EEENS1_48merge_mergepath_partition_config_static_selectorELNS0_4arch9wavefront6targetE1EEEvSJ_.has_dyn_sized_stack, 0
	.set _ZN7rocprim17ROCPRIM_400000_NS6detail17trampoline_kernelINS0_14default_configENS1_38merge_sort_block_merge_config_selectorIyyEEZZNS1_27merge_sort_block_merge_implIS3_N6thrust23THRUST_200600_302600_NS6detail15normal_iteratorINS8_10device_ptrIyEEEESD_jNS1_19radix_merge_compareILb0ELb1EyNS0_19identity_decomposerEEEEE10hipError_tT0_T1_T2_jT3_P12ihipStream_tbPNSt15iterator_traitsISI_E10value_typeEPNSO_ISJ_E10value_typeEPSK_NS1_7vsmem_tEENKUlT_SI_SJ_SK_E_clIPySD_S10_SD_EESH_SX_SI_SJ_SK_EUlSX_E_NS1_11comp_targetILNS1_3genE9ELNS1_11target_archE1100ELNS1_3gpuE3ELNS1_3repE0EEENS1_48merge_mergepath_partition_config_static_selectorELNS0_4arch9wavefront6targetE1EEEvSJ_.has_recursion, 0
	.set _ZN7rocprim17ROCPRIM_400000_NS6detail17trampoline_kernelINS0_14default_configENS1_38merge_sort_block_merge_config_selectorIyyEEZZNS1_27merge_sort_block_merge_implIS3_N6thrust23THRUST_200600_302600_NS6detail15normal_iteratorINS8_10device_ptrIyEEEESD_jNS1_19radix_merge_compareILb0ELb1EyNS0_19identity_decomposerEEEEE10hipError_tT0_T1_T2_jT3_P12ihipStream_tbPNSt15iterator_traitsISI_E10value_typeEPNSO_ISJ_E10value_typeEPSK_NS1_7vsmem_tEENKUlT_SI_SJ_SK_E_clIPySD_S10_SD_EESH_SX_SI_SJ_SK_EUlSX_E_NS1_11comp_targetILNS1_3genE9ELNS1_11target_archE1100ELNS1_3gpuE3ELNS1_3repE0EEENS1_48merge_mergepath_partition_config_static_selectorELNS0_4arch9wavefront6targetE1EEEvSJ_.has_indirect_call, 0
	.section	.AMDGPU.csdata,"",@progbits
; Kernel info:
; codeLenInByte = 0
; TotalNumSgprs: 6
; NumVgprs: 0
; NumAgprs: 0
; TotalNumVgprs: 0
; ScratchSize: 0
; MemoryBound: 0
; FloatMode: 240
; IeeeMode: 1
; LDSByteSize: 0 bytes/workgroup (compile time only)
; SGPRBlocks: 0
; VGPRBlocks: 0
; NumSGPRsForWavesPerEU: 6
; NumVGPRsForWavesPerEU: 1
; AccumOffset: 4
; Occupancy: 8
; WaveLimiterHint : 0
; COMPUTE_PGM_RSRC2:SCRATCH_EN: 0
; COMPUTE_PGM_RSRC2:USER_SGPR: 2
; COMPUTE_PGM_RSRC2:TRAP_HANDLER: 0
; COMPUTE_PGM_RSRC2:TGID_X_EN: 1
; COMPUTE_PGM_RSRC2:TGID_Y_EN: 0
; COMPUTE_PGM_RSRC2:TGID_Z_EN: 0
; COMPUTE_PGM_RSRC2:TIDIG_COMP_CNT: 0
; COMPUTE_PGM_RSRC3_GFX90A:ACCUM_OFFSET: 0
; COMPUTE_PGM_RSRC3_GFX90A:TG_SPLIT: 0
	.section	.text._ZN7rocprim17ROCPRIM_400000_NS6detail17trampoline_kernelINS0_14default_configENS1_38merge_sort_block_merge_config_selectorIyyEEZZNS1_27merge_sort_block_merge_implIS3_N6thrust23THRUST_200600_302600_NS6detail15normal_iteratorINS8_10device_ptrIyEEEESD_jNS1_19radix_merge_compareILb0ELb1EyNS0_19identity_decomposerEEEEE10hipError_tT0_T1_T2_jT3_P12ihipStream_tbPNSt15iterator_traitsISI_E10value_typeEPNSO_ISJ_E10value_typeEPSK_NS1_7vsmem_tEENKUlT_SI_SJ_SK_E_clIPySD_S10_SD_EESH_SX_SI_SJ_SK_EUlSX_E_NS1_11comp_targetILNS1_3genE8ELNS1_11target_archE1030ELNS1_3gpuE2ELNS1_3repE0EEENS1_48merge_mergepath_partition_config_static_selectorELNS0_4arch9wavefront6targetE1EEEvSJ_,"axG",@progbits,_ZN7rocprim17ROCPRIM_400000_NS6detail17trampoline_kernelINS0_14default_configENS1_38merge_sort_block_merge_config_selectorIyyEEZZNS1_27merge_sort_block_merge_implIS3_N6thrust23THRUST_200600_302600_NS6detail15normal_iteratorINS8_10device_ptrIyEEEESD_jNS1_19radix_merge_compareILb0ELb1EyNS0_19identity_decomposerEEEEE10hipError_tT0_T1_T2_jT3_P12ihipStream_tbPNSt15iterator_traitsISI_E10value_typeEPNSO_ISJ_E10value_typeEPSK_NS1_7vsmem_tEENKUlT_SI_SJ_SK_E_clIPySD_S10_SD_EESH_SX_SI_SJ_SK_EUlSX_E_NS1_11comp_targetILNS1_3genE8ELNS1_11target_archE1030ELNS1_3gpuE2ELNS1_3repE0EEENS1_48merge_mergepath_partition_config_static_selectorELNS0_4arch9wavefront6targetE1EEEvSJ_,comdat
	.protected	_ZN7rocprim17ROCPRIM_400000_NS6detail17trampoline_kernelINS0_14default_configENS1_38merge_sort_block_merge_config_selectorIyyEEZZNS1_27merge_sort_block_merge_implIS3_N6thrust23THRUST_200600_302600_NS6detail15normal_iteratorINS8_10device_ptrIyEEEESD_jNS1_19radix_merge_compareILb0ELb1EyNS0_19identity_decomposerEEEEE10hipError_tT0_T1_T2_jT3_P12ihipStream_tbPNSt15iterator_traitsISI_E10value_typeEPNSO_ISJ_E10value_typeEPSK_NS1_7vsmem_tEENKUlT_SI_SJ_SK_E_clIPySD_S10_SD_EESH_SX_SI_SJ_SK_EUlSX_E_NS1_11comp_targetILNS1_3genE8ELNS1_11target_archE1030ELNS1_3gpuE2ELNS1_3repE0EEENS1_48merge_mergepath_partition_config_static_selectorELNS0_4arch9wavefront6targetE1EEEvSJ_ ; -- Begin function _ZN7rocprim17ROCPRIM_400000_NS6detail17trampoline_kernelINS0_14default_configENS1_38merge_sort_block_merge_config_selectorIyyEEZZNS1_27merge_sort_block_merge_implIS3_N6thrust23THRUST_200600_302600_NS6detail15normal_iteratorINS8_10device_ptrIyEEEESD_jNS1_19radix_merge_compareILb0ELb1EyNS0_19identity_decomposerEEEEE10hipError_tT0_T1_T2_jT3_P12ihipStream_tbPNSt15iterator_traitsISI_E10value_typeEPNSO_ISJ_E10value_typeEPSK_NS1_7vsmem_tEENKUlT_SI_SJ_SK_E_clIPySD_S10_SD_EESH_SX_SI_SJ_SK_EUlSX_E_NS1_11comp_targetILNS1_3genE8ELNS1_11target_archE1030ELNS1_3gpuE2ELNS1_3repE0EEENS1_48merge_mergepath_partition_config_static_selectorELNS0_4arch9wavefront6targetE1EEEvSJ_
	.globl	_ZN7rocprim17ROCPRIM_400000_NS6detail17trampoline_kernelINS0_14default_configENS1_38merge_sort_block_merge_config_selectorIyyEEZZNS1_27merge_sort_block_merge_implIS3_N6thrust23THRUST_200600_302600_NS6detail15normal_iteratorINS8_10device_ptrIyEEEESD_jNS1_19radix_merge_compareILb0ELb1EyNS0_19identity_decomposerEEEEE10hipError_tT0_T1_T2_jT3_P12ihipStream_tbPNSt15iterator_traitsISI_E10value_typeEPNSO_ISJ_E10value_typeEPSK_NS1_7vsmem_tEENKUlT_SI_SJ_SK_E_clIPySD_S10_SD_EESH_SX_SI_SJ_SK_EUlSX_E_NS1_11comp_targetILNS1_3genE8ELNS1_11target_archE1030ELNS1_3gpuE2ELNS1_3repE0EEENS1_48merge_mergepath_partition_config_static_selectorELNS0_4arch9wavefront6targetE1EEEvSJ_
	.p2align	8
	.type	_ZN7rocprim17ROCPRIM_400000_NS6detail17trampoline_kernelINS0_14default_configENS1_38merge_sort_block_merge_config_selectorIyyEEZZNS1_27merge_sort_block_merge_implIS3_N6thrust23THRUST_200600_302600_NS6detail15normal_iteratorINS8_10device_ptrIyEEEESD_jNS1_19radix_merge_compareILb0ELb1EyNS0_19identity_decomposerEEEEE10hipError_tT0_T1_T2_jT3_P12ihipStream_tbPNSt15iterator_traitsISI_E10value_typeEPNSO_ISJ_E10value_typeEPSK_NS1_7vsmem_tEENKUlT_SI_SJ_SK_E_clIPySD_S10_SD_EESH_SX_SI_SJ_SK_EUlSX_E_NS1_11comp_targetILNS1_3genE8ELNS1_11target_archE1030ELNS1_3gpuE2ELNS1_3repE0EEENS1_48merge_mergepath_partition_config_static_selectorELNS0_4arch9wavefront6targetE1EEEvSJ_,@function
_ZN7rocprim17ROCPRIM_400000_NS6detail17trampoline_kernelINS0_14default_configENS1_38merge_sort_block_merge_config_selectorIyyEEZZNS1_27merge_sort_block_merge_implIS3_N6thrust23THRUST_200600_302600_NS6detail15normal_iteratorINS8_10device_ptrIyEEEESD_jNS1_19radix_merge_compareILb0ELb1EyNS0_19identity_decomposerEEEEE10hipError_tT0_T1_T2_jT3_P12ihipStream_tbPNSt15iterator_traitsISI_E10value_typeEPNSO_ISJ_E10value_typeEPSK_NS1_7vsmem_tEENKUlT_SI_SJ_SK_E_clIPySD_S10_SD_EESH_SX_SI_SJ_SK_EUlSX_E_NS1_11comp_targetILNS1_3genE8ELNS1_11target_archE1030ELNS1_3gpuE2ELNS1_3repE0EEENS1_48merge_mergepath_partition_config_static_selectorELNS0_4arch9wavefront6targetE1EEEvSJ_: ; @_ZN7rocprim17ROCPRIM_400000_NS6detail17trampoline_kernelINS0_14default_configENS1_38merge_sort_block_merge_config_selectorIyyEEZZNS1_27merge_sort_block_merge_implIS3_N6thrust23THRUST_200600_302600_NS6detail15normal_iteratorINS8_10device_ptrIyEEEESD_jNS1_19radix_merge_compareILb0ELb1EyNS0_19identity_decomposerEEEEE10hipError_tT0_T1_T2_jT3_P12ihipStream_tbPNSt15iterator_traitsISI_E10value_typeEPNSO_ISJ_E10value_typeEPSK_NS1_7vsmem_tEENKUlT_SI_SJ_SK_E_clIPySD_S10_SD_EESH_SX_SI_SJ_SK_EUlSX_E_NS1_11comp_targetILNS1_3genE8ELNS1_11target_archE1030ELNS1_3gpuE2ELNS1_3repE0EEENS1_48merge_mergepath_partition_config_static_selectorELNS0_4arch9wavefront6targetE1EEEvSJ_
; %bb.0:
	.section	.rodata,"a",@progbits
	.p2align	6, 0x0
	.amdhsa_kernel _ZN7rocprim17ROCPRIM_400000_NS6detail17trampoline_kernelINS0_14default_configENS1_38merge_sort_block_merge_config_selectorIyyEEZZNS1_27merge_sort_block_merge_implIS3_N6thrust23THRUST_200600_302600_NS6detail15normal_iteratorINS8_10device_ptrIyEEEESD_jNS1_19radix_merge_compareILb0ELb1EyNS0_19identity_decomposerEEEEE10hipError_tT0_T1_T2_jT3_P12ihipStream_tbPNSt15iterator_traitsISI_E10value_typeEPNSO_ISJ_E10value_typeEPSK_NS1_7vsmem_tEENKUlT_SI_SJ_SK_E_clIPySD_S10_SD_EESH_SX_SI_SJ_SK_EUlSX_E_NS1_11comp_targetILNS1_3genE8ELNS1_11target_archE1030ELNS1_3gpuE2ELNS1_3repE0EEENS1_48merge_mergepath_partition_config_static_selectorELNS0_4arch9wavefront6targetE1EEEvSJ_
		.amdhsa_group_segment_fixed_size 0
		.amdhsa_private_segment_fixed_size 0
		.amdhsa_kernarg_size 40
		.amdhsa_user_sgpr_count 2
		.amdhsa_user_sgpr_dispatch_ptr 0
		.amdhsa_user_sgpr_queue_ptr 0
		.amdhsa_user_sgpr_kernarg_segment_ptr 1
		.amdhsa_user_sgpr_dispatch_id 0
		.amdhsa_user_sgpr_kernarg_preload_length 0
		.amdhsa_user_sgpr_kernarg_preload_offset 0
		.amdhsa_user_sgpr_private_segment_size 0
		.amdhsa_uses_dynamic_stack 0
		.amdhsa_enable_private_segment 0
		.amdhsa_system_sgpr_workgroup_id_x 1
		.amdhsa_system_sgpr_workgroup_id_y 0
		.amdhsa_system_sgpr_workgroup_id_z 0
		.amdhsa_system_sgpr_workgroup_info 0
		.amdhsa_system_vgpr_workitem_id 0
		.amdhsa_next_free_vgpr 1
		.amdhsa_next_free_sgpr 0
		.amdhsa_accum_offset 4
		.amdhsa_reserve_vcc 0
		.amdhsa_float_round_mode_32 0
		.amdhsa_float_round_mode_16_64 0
		.amdhsa_float_denorm_mode_32 3
		.amdhsa_float_denorm_mode_16_64 3
		.amdhsa_dx10_clamp 1
		.amdhsa_ieee_mode 1
		.amdhsa_fp16_overflow 0
		.amdhsa_tg_split 0
		.amdhsa_exception_fp_ieee_invalid_op 0
		.amdhsa_exception_fp_denorm_src 0
		.amdhsa_exception_fp_ieee_div_zero 0
		.amdhsa_exception_fp_ieee_overflow 0
		.amdhsa_exception_fp_ieee_underflow 0
		.amdhsa_exception_fp_ieee_inexact 0
		.amdhsa_exception_int_div_zero 0
	.end_amdhsa_kernel
	.section	.text._ZN7rocprim17ROCPRIM_400000_NS6detail17trampoline_kernelINS0_14default_configENS1_38merge_sort_block_merge_config_selectorIyyEEZZNS1_27merge_sort_block_merge_implIS3_N6thrust23THRUST_200600_302600_NS6detail15normal_iteratorINS8_10device_ptrIyEEEESD_jNS1_19radix_merge_compareILb0ELb1EyNS0_19identity_decomposerEEEEE10hipError_tT0_T1_T2_jT3_P12ihipStream_tbPNSt15iterator_traitsISI_E10value_typeEPNSO_ISJ_E10value_typeEPSK_NS1_7vsmem_tEENKUlT_SI_SJ_SK_E_clIPySD_S10_SD_EESH_SX_SI_SJ_SK_EUlSX_E_NS1_11comp_targetILNS1_3genE8ELNS1_11target_archE1030ELNS1_3gpuE2ELNS1_3repE0EEENS1_48merge_mergepath_partition_config_static_selectorELNS0_4arch9wavefront6targetE1EEEvSJ_,"axG",@progbits,_ZN7rocprim17ROCPRIM_400000_NS6detail17trampoline_kernelINS0_14default_configENS1_38merge_sort_block_merge_config_selectorIyyEEZZNS1_27merge_sort_block_merge_implIS3_N6thrust23THRUST_200600_302600_NS6detail15normal_iteratorINS8_10device_ptrIyEEEESD_jNS1_19radix_merge_compareILb0ELb1EyNS0_19identity_decomposerEEEEE10hipError_tT0_T1_T2_jT3_P12ihipStream_tbPNSt15iterator_traitsISI_E10value_typeEPNSO_ISJ_E10value_typeEPSK_NS1_7vsmem_tEENKUlT_SI_SJ_SK_E_clIPySD_S10_SD_EESH_SX_SI_SJ_SK_EUlSX_E_NS1_11comp_targetILNS1_3genE8ELNS1_11target_archE1030ELNS1_3gpuE2ELNS1_3repE0EEENS1_48merge_mergepath_partition_config_static_selectorELNS0_4arch9wavefront6targetE1EEEvSJ_,comdat
.Lfunc_end460:
	.size	_ZN7rocprim17ROCPRIM_400000_NS6detail17trampoline_kernelINS0_14default_configENS1_38merge_sort_block_merge_config_selectorIyyEEZZNS1_27merge_sort_block_merge_implIS3_N6thrust23THRUST_200600_302600_NS6detail15normal_iteratorINS8_10device_ptrIyEEEESD_jNS1_19radix_merge_compareILb0ELb1EyNS0_19identity_decomposerEEEEE10hipError_tT0_T1_T2_jT3_P12ihipStream_tbPNSt15iterator_traitsISI_E10value_typeEPNSO_ISJ_E10value_typeEPSK_NS1_7vsmem_tEENKUlT_SI_SJ_SK_E_clIPySD_S10_SD_EESH_SX_SI_SJ_SK_EUlSX_E_NS1_11comp_targetILNS1_3genE8ELNS1_11target_archE1030ELNS1_3gpuE2ELNS1_3repE0EEENS1_48merge_mergepath_partition_config_static_selectorELNS0_4arch9wavefront6targetE1EEEvSJ_, .Lfunc_end460-_ZN7rocprim17ROCPRIM_400000_NS6detail17trampoline_kernelINS0_14default_configENS1_38merge_sort_block_merge_config_selectorIyyEEZZNS1_27merge_sort_block_merge_implIS3_N6thrust23THRUST_200600_302600_NS6detail15normal_iteratorINS8_10device_ptrIyEEEESD_jNS1_19radix_merge_compareILb0ELb1EyNS0_19identity_decomposerEEEEE10hipError_tT0_T1_T2_jT3_P12ihipStream_tbPNSt15iterator_traitsISI_E10value_typeEPNSO_ISJ_E10value_typeEPSK_NS1_7vsmem_tEENKUlT_SI_SJ_SK_E_clIPySD_S10_SD_EESH_SX_SI_SJ_SK_EUlSX_E_NS1_11comp_targetILNS1_3genE8ELNS1_11target_archE1030ELNS1_3gpuE2ELNS1_3repE0EEENS1_48merge_mergepath_partition_config_static_selectorELNS0_4arch9wavefront6targetE1EEEvSJ_
                                        ; -- End function
	.set _ZN7rocprim17ROCPRIM_400000_NS6detail17trampoline_kernelINS0_14default_configENS1_38merge_sort_block_merge_config_selectorIyyEEZZNS1_27merge_sort_block_merge_implIS3_N6thrust23THRUST_200600_302600_NS6detail15normal_iteratorINS8_10device_ptrIyEEEESD_jNS1_19radix_merge_compareILb0ELb1EyNS0_19identity_decomposerEEEEE10hipError_tT0_T1_T2_jT3_P12ihipStream_tbPNSt15iterator_traitsISI_E10value_typeEPNSO_ISJ_E10value_typeEPSK_NS1_7vsmem_tEENKUlT_SI_SJ_SK_E_clIPySD_S10_SD_EESH_SX_SI_SJ_SK_EUlSX_E_NS1_11comp_targetILNS1_3genE8ELNS1_11target_archE1030ELNS1_3gpuE2ELNS1_3repE0EEENS1_48merge_mergepath_partition_config_static_selectorELNS0_4arch9wavefront6targetE1EEEvSJ_.num_vgpr, 0
	.set _ZN7rocprim17ROCPRIM_400000_NS6detail17trampoline_kernelINS0_14default_configENS1_38merge_sort_block_merge_config_selectorIyyEEZZNS1_27merge_sort_block_merge_implIS3_N6thrust23THRUST_200600_302600_NS6detail15normal_iteratorINS8_10device_ptrIyEEEESD_jNS1_19radix_merge_compareILb0ELb1EyNS0_19identity_decomposerEEEEE10hipError_tT0_T1_T2_jT3_P12ihipStream_tbPNSt15iterator_traitsISI_E10value_typeEPNSO_ISJ_E10value_typeEPSK_NS1_7vsmem_tEENKUlT_SI_SJ_SK_E_clIPySD_S10_SD_EESH_SX_SI_SJ_SK_EUlSX_E_NS1_11comp_targetILNS1_3genE8ELNS1_11target_archE1030ELNS1_3gpuE2ELNS1_3repE0EEENS1_48merge_mergepath_partition_config_static_selectorELNS0_4arch9wavefront6targetE1EEEvSJ_.num_agpr, 0
	.set _ZN7rocprim17ROCPRIM_400000_NS6detail17trampoline_kernelINS0_14default_configENS1_38merge_sort_block_merge_config_selectorIyyEEZZNS1_27merge_sort_block_merge_implIS3_N6thrust23THRUST_200600_302600_NS6detail15normal_iteratorINS8_10device_ptrIyEEEESD_jNS1_19radix_merge_compareILb0ELb1EyNS0_19identity_decomposerEEEEE10hipError_tT0_T1_T2_jT3_P12ihipStream_tbPNSt15iterator_traitsISI_E10value_typeEPNSO_ISJ_E10value_typeEPSK_NS1_7vsmem_tEENKUlT_SI_SJ_SK_E_clIPySD_S10_SD_EESH_SX_SI_SJ_SK_EUlSX_E_NS1_11comp_targetILNS1_3genE8ELNS1_11target_archE1030ELNS1_3gpuE2ELNS1_3repE0EEENS1_48merge_mergepath_partition_config_static_selectorELNS0_4arch9wavefront6targetE1EEEvSJ_.numbered_sgpr, 0
	.set _ZN7rocprim17ROCPRIM_400000_NS6detail17trampoline_kernelINS0_14default_configENS1_38merge_sort_block_merge_config_selectorIyyEEZZNS1_27merge_sort_block_merge_implIS3_N6thrust23THRUST_200600_302600_NS6detail15normal_iteratorINS8_10device_ptrIyEEEESD_jNS1_19radix_merge_compareILb0ELb1EyNS0_19identity_decomposerEEEEE10hipError_tT0_T1_T2_jT3_P12ihipStream_tbPNSt15iterator_traitsISI_E10value_typeEPNSO_ISJ_E10value_typeEPSK_NS1_7vsmem_tEENKUlT_SI_SJ_SK_E_clIPySD_S10_SD_EESH_SX_SI_SJ_SK_EUlSX_E_NS1_11comp_targetILNS1_3genE8ELNS1_11target_archE1030ELNS1_3gpuE2ELNS1_3repE0EEENS1_48merge_mergepath_partition_config_static_selectorELNS0_4arch9wavefront6targetE1EEEvSJ_.num_named_barrier, 0
	.set _ZN7rocprim17ROCPRIM_400000_NS6detail17trampoline_kernelINS0_14default_configENS1_38merge_sort_block_merge_config_selectorIyyEEZZNS1_27merge_sort_block_merge_implIS3_N6thrust23THRUST_200600_302600_NS6detail15normal_iteratorINS8_10device_ptrIyEEEESD_jNS1_19radix_merge_compareILb0ELb1EyNS0_19identity_decomposerEEEEE10hipError_tT0_T1_T2_jT3_P12ihipStream_tbPNSt15iterator_traitsISI_E10value_typeEPNSO_ISJ_E10value_typeEPSK_NS1_7vsmem_tEENKUlT_SI_SJ_SK_E_clIPySD_S10_SD_EESH_SX_SI_SJ_SK_EUlSX_E_NS1_11comp_targetILNS1_3genE8ELNS1_11target_archE1030ELNS1_3gpuE2ELNS1_3repE0EEENS1_48merge_mergepath_partition_config_static_selectorELNS0_4arch9wavefront6targetE1EEEvSJ_.private_seg_size, 0
	.set _ZN7rocprim17ROCPRIM_400000_NS6detail17trampoline_kernelINS0_14default_configENS1_38merge_sort_block_merge_config_selectorIyyEEZZNS1_27merge_sort_block_merge_implIS3_N6thrust23THRUST_200600_302600_NS6detail15normal_iteratorINS8_10device_ptrIyEEEESD_jNS1_19radix_merge_compareILb0ELb1EyNS0_19identity_decomposerEEEEE10hipError_tT0_T1_T2_jT3_P12ihipStream_tbPNSt15iterator_traitsISI_E10value_typeEPNSO_ISJ_E10value_typeEPSK_NS1_7vsmem_tEENKUlT_SI_SJ_SK_E_clIPySD_S10_SD_EESH_SX_SI_SJ_SK_EUlSX_E_NS1_11comp_targetILNS1_3genE8ELNS1_11target_archE1030ELNS1_3gpuE2ELNS1_3repE0EEENS1_48merge_mergepath_partition_config_static_selectorELNS0_4arch9wavefront6targetE1EEEvSJ_.uses_vcc, 0
	.set _ZN7rocprim17ROCPRIM_400000_NS6detail17trampoline_kernelINS0_14default_configENS1_38merge_sort_block_merge_config_selectorIyyEEZZNS1_27merge_sort_block_merge_implIS3_N6thrust23THRUST_200600_302600_NS6detail15normal_iteratorINS8_10device_ptrIyEEEESD_jNS1_19radix_merge_compareILb0ELb1EyNS0_19identity_decomposerEEEEE10hipError_tT0_T1_T2_jT3_P12ihipStream_tbPNSt15iterator_traitsISI_E10value_typeEPNSO_ISJ_E10value_typeEPSK_NS1_7vsmem_tEENKUlT_SI_SJ_SK_E_clIPySD_S10_SD_EESH_SX_SI_SJ_SK_EUlSX_E_NS1_11comp_targetILNS1_3genE8ELNS1_11target_archE1030ELNS1_3gpuE2ELNS1_3repE0EEENS1_48merge_mergepath_partition_config_static_selectorELNS0_4arch9wavefront6targetE1EEEvSJ_.uses_flat_scratch, 0
	.set _ZN7rocprim17ROCPRIM_400000_NS6detail17trampoline_kernelINS0_14default_configENS1_38merge_sort_block_merge_config_selectorIyyEEZZNS1_27merge_sort_block_merge_implIS3_N6thrust23THRUST_200600_302600_NS6detail15normal_iteratorINS8_10device_ptrIyEEEESD_jNS1_19radix_merge_compareILb0ELb1EyNS0_19identity_decomposerEEEEE10hipError_tT0_T1_T2_jT3_P12ihipStream_tbPNSt15iterator_traitsISI_E10value_typeEPNSO_ISJ_E10value_typeEPSK_NS1_7vsmem_tEENKUlT_SI_SJ_SK_E_clIPySD_S10_SD_EESH_SX_SI_SJ_SK_EUlSX_E_NS1_11comp_targetILNS1_3genE8ELNS1_11target_archE1030ELNS1_3gpuE2ELNS1_3repE0EEENS1_48merge_mergepath_partition_config_static_selectorELNS0_4arch9wavefront6targetE1EEEvSJ_.has_dyn_sized_stack, 0
	.set _ZN7rocprim17ROCPRIM_400000_NS6detail17trampoline_kernelINS0_14default_configENS1_38merge_sort_block_merge_config_selectorIyyEEZZNS1_27merge_sort_block_merge_implIS3_N6thrust23THRUST_200600_302600_NS6detail15normal_iteratorINS8_10device_ptrIyEEEESD_jNS1_19radix_merge_compareILb0ELb1EyNS0_19identity_decomposerEEEEE10hipError_tT0_T1_T2_jT3_P12ihipStream_tbPNSt15iterator_traitsISI_E10value_typeEPNSO_ISJ_E10value_typeEPSK_NS1_7vsmem_tEENKUlT_SI_SJ_SK_E_clIPySD_S10_SD_EESH_SX_SI_SJ_SK_EUlSX_E_NS1_11comp_targetILNS1_3genE8ELNS1_11target_archE1030ELNS1_3gpuE2ELNS1_3repE0EEENS1_48merge_mergepath_partition_config_static_selectorELNS0_4arch9wavefront6targetE1EEEvSJ_.has_recursion, 0
	.set _ZN7rocprim17ROCPRIM_400000_NS6detail17trampoline_kernelINS0_14default_configENS1_38merge_sort_block_merge_config_selectorIyyEEZZNS1_27merge_sort_block_merge_implIS3_N6thrust23THRUST_200600_302600_NS6detail15normal_iteratorINS8_10device_ptrIyEEEESD_jNS1_19radix_merge_compareILb0ELb1EyNS0_19identity_decomposerEEEEE10hipError_tT0_T1_T2_jT3_P12ihipStream_tbPNSt15iterator_traitsISI_E10value_typeEPNSO_ISJ_E10value_typeEPSK_NS1_7vsmem_tEENKUlT_SI_SJ_SK_E_clIPySD_S10_SD_EESH_SX_SI_SJ_SK_EUlSX_E_NS1_11comp_targetILNS1_3genE8ELNS1_11target_archE1030ELNS1_3gpuE2ELNS1_3repE0EEENS1_48merge_mergepath_partition_config_static_selectorELNS0_4arch9wavefront6targetE1EEEvSJ_.has_indirect_call, 0
	.section	.AMDGPU.csdata,"",@progbits
; Kernel info:
; codeLenInByte = 0
; TotalNumSgprs: 6
; NumVgprs: 0
; NumAgprs: 0
; TotalNumVgprs: 0
; ScratchSize: 0
; MemoryBound: 0
; FloatMode: 240
; IeeeMode: 1
; LDSByteSize: 0 bytes/workgroup (compile time only)
; SGPRBlocks: 0
; VGPRBlocks: 0
; NumSGPRsForWavesPerEU: 6
; NumVGPRsForWavesPerEU: 1
; AccumOffset: 4
; Occupancy: 8
; WaveLimiterHint : 0
; COMPUTE_PGM_RSRC2:SCRATCH_EN: 0
; COMPUTE_PGM_RSRC2:USER_SGPR: 2
; COMPUTE_PGM_RSRC2:TRAP_HANDLER: 0
; COMPUTE_PGM_RSRC2:TGID_X_EN: 1
; COMPUTE_PGM_RSRC2:TGID_Y_EN: 0
; COMPUTE_PGM_RSRC2:TGID_Z_EN: 0
; COMPUTE_PGM_RSRC2:TIDIG_COMP_CNT: 0
; COMPUTE_PGM_RSRC3_GFX90A:ACCUM_OFFSET: 0
; COMPUTE_PGM_RSRC3_GFX90A:TG_SPLIT: 0
	.section	.text._ZN7rocprim17ROCPRIM_400000_NS6detail17trampoline_kernelINS0_14default_configENS1_38merge_sort_block_merge_config_selectorIyyEEZZNS1_27merge_sort_block_merge_implIS3_N6thrust23THRUST_200600_302600_NS6detail15normal_iteratorINS8_10device_ptrIyEEEESD_jNS1_19radix_merge_compareILb0ELb1EyNS0_19identity_decomposerEEEEE10hipError_tT0_T1_T2_jT3_P12ihipStream_tbPNSt15iterator_traitsISI_E10value_typeEPNSO_ISJ_E10value_typeEPSK_NS1_7vsmem_tEENKUlT_SI_SJ_SK_E_clIPySD_S10_SD_EESH_SX_SI_SJ_SK_EUlSX_E0_NS1_11comp_targetILNS1_3genE0ELNS1_11target_archE4294967295ELNS1_3gpuE0ELNS1_3repE0EEENS1_38merge_mergepath_config_static_selectorELNS0_4arch9wavefront6targetE1EEEvSJ_,"axG",@progbits,_ZN7rocprim17ROCPRIM_400000_NS6detail17trampoline_kernelINS0_14default_configENS1_38merge_sort_block_merge_config_selectorIyyEEZZNS1_27merge_sort_block_merge_implIS3_N6thrust23THRUST_200600_302600_NS6detail15normal_iteratorINS8_10device_ptrIyEEEESD_jNS1_19radix_merge_compareILb0ELb1EyNS0_19identity_decomposerEEEEE10hipError_tT0_T1_T2_jT3_P12ihipStream_tbPNSt15iterator_traitsISI_E10value_typeEPNSO_ISJ_E10value_typeEPSK_NS1_7vsmem_tEENKUlT_SI_SJ_SK_E_clIPySD_S10_SD_EESH_SX_SI_SJ_SK_EUlSX_E0_NS1_11comp_targetILNS1_3genE0ELNS1_11target_archE4294967295ELNS1_3gpuE0ELNS1_3repE0EEENS1_38merge_mergepath_config_static_selectorELNS0_4arch9wavefront6targetE1EEEvSJ_,comdat
	.protected	_ZN7rocprim17ROCPRIM_400000_NS6detail17trampoline_kernelINS0_14default_configENS1_38merge_sort_block_merge_config_selectorIyyEEZZNS1_27merge_sort_block_merge_implIS3_N6thrust23THRUST_200600_302600_NS6detail15normal_iteratorINS8_10device_ptrIyEEEESD_jNS1_19radix_merge_compareILb0ELb1EyNS0_19identity_decomposerEEEEE10hipError_tT0_T1_T2_jT3_P12ihipStream_tbPNSt15iterator_traitsISI_E10value_typeEPNSO_ISJ_E10value_typeEPSK_NS1_7vsmem_tEENKUlT_SI_SJ_SK_E_clIPySD_S10_SD_EESH_SX_SI_SJ_SK_EUlSX_E0_NS1_11comp_targetILNS1_3genE0ELNS1_11target_archE4294967295ELNS1_3gpuE0ELNS1_3repE0EEENS1_38merge_mergepath_config_static_selectorELNS0_4arch9wavefront6targetE1EEEvSJ_ ; -- Begin function _ZN7rocprim17ROCPRIM_400000_NS6detail17trampoline_kernelINS0_14default_configENS1_38merge_sort_block_merge_config_selectorIyyEEZZNS1_27merge_sort_block_merge_implIS3_N6thrust23THRUST_200600_302600_NS6detail15normal_iteratorINS8_10device_ptrIyEEEESD_jNS1_19radix_merge_compareILb0ELb1EyNS0_19identity_decomposerEEEEE10hipError_tT0_T1_T2_jT3_P12ihipStream_tbPNSt15iterator_traitsISI_E10value_typeEPNSO_ISJ_E10value_typeEPSK_NS1_7vsmem_tEENKUlT_SI_SJ_SK_E_clIPySD_S10_SD_EESH_SX_SI_SJ_SK_EUlSX_E0_NS1_11comp_targetILNS1_3genE0ELNS1_11target_archE4294967295ELNS1_3gpuE0ELNS1_3repE0EEENS1_38merge_mergepath_config_static_selectorELNS0_4arch9wavefront6targetE1EEEvSJ_
	.globl	_ZN7rocprim17ROCPRIM_400000_NS6detail17trampoline_kernelINS0_14default_configENS1_38merge_sort_block_merge_config_selectorIyyEEZZNS1_27merge_sort_block_merge_implIS3_N6thrust23THRUST_200600_302600_NS6detail15normal_iteratorINS8_10device_ptrIyEEEESD_jNS1_19radix_merge_compareILb0ELb1EyNS0_19identity_decomposerEEEEE10hipError_tT0_T1_T2_jT3_P12ihipStream_tbPNSt15iterator_traitsISI_E10value_typeEPNSO_ISJ_E10value_typeEPSK_NS1_7vsmem_tEENKUlT_SI_SJ_SK_E_clIPySD_S10_SD_EESH_SX_SI_SJ_SK_EUlSX_E0_NS1_11comp_targetILNS1_3genE0ELNS1_11target_archE4294967295ELNS1_3gpuE0ELNS1_3repE0EEENS1_38merge_mergepath_config_static_selectorELNS0_4arch9wavefront6targetE1EEEvSJ_
	.p2align	8
	.type	_ZN7rocprim17ROCPRIM_400000_NS6detail17trampoline_kernelINS0_14default_configENS1_38merge_sort_block_merge_config_selectorIyyEEZZNS1_27merge_sort_block_merge_implIS3_N6thrust23THRUST_200600_302600_NS6detail15normal_iteratorINS8_10device_ptrIyEEEESD_jNS1_19radix_merge_compareILb0ELb1EyNS0_19identity_decomposerEEEEE10hipError_tT0_T1_T2_jT3_P12ihipStream_tbPNSt15iterator_traitsISI_E10value_typeEPNSO_ISJ_E10value_typeEPSK_NS1_7vsmem_tEENKUlT_SI_SJ_SK_E_clIPySD_S10_SD_EESH_SX_SI_SJ_SK_EUlSX_E0_NS1_11comp_targetILNS1_3genE0ELNS1_11target_archE4294967295ELNS1_3gpuE0ELNS1_3repE0EEENS1_38merge_mergepath_config_static_selectorELNS0_4arch9wavefront6targetE1EEEvSJ_,@function
_ZN7rocprim17ROCPRIM_400000_NS6detail17trampoline_kernelINS0_14default_configENS1_38merge_sort_block_merge_config_selectorIyyEEZZNS1_27merge_sort_block_merge_implIS3_N6thrust23THRUST_200600_302600_NS6detail15normal_iteratorINS8_10device_ptrIyEEEESD_jNS1_19radix_merge_compareILb0ELb1EyNS0_19identity_decomposerEEEEE10hipError_tT0_T1_T2_jT3_P12ihipStream_tbPNSt15iterator_traitsISI_E10value_typeEPNSO_ISJ_E10value_typeEPSK_NS1_7vsmem_tEENKUlT_SI_SJ_SK_E_clIPySD_S10_SD_EESH_SX_SI_SJ_SK_EUlSX_E0_NS1_11comp_targetILNS1_3genE0ELNS1_11target_archE4294967295ELNS1_3gpuE0ELNS1_3repE0EEENS1_38merge_mergepath_config_static_selectorELNS0_4arch9wavefront6targetE1EEEvSJ_: ; @_ZN7rocprim17ROCPRIM_400000_NS6detail17trampoline_kernelINS0_14default_configENS1_38merge_sort_block_merge_config_selectorIyyEEZZNS1_27merge_sort_block_merge_implIS3_N6thrust23THRUST_200600_302600_NS6detail15normal_iteratorINS8_10device_ptrIyEEEESD_jNS1_19radix_merge_compareILb0ELb1EyNS0_19identity_decomposerEEEEE10hipError_tT0_T1_T2_jT3_P12ihipStream_tbPNSt15iterator_traitsISI_E10value_typeEPNSO_ISJ_E10value_typeEPSK_NS1_7vsmem_tEENKUlT_SI_SJ_SK_E_clIPySD_S10_SD_EESH_SX_SI_SJ_SK_EUlSX_E0_NS1_11comp_targetILNS1_3genE0ELNS1_11target_archE4294967295ELNS1_3gpuE0ELNS1_3repE0EEENS1_38merge_mergepath_config_static_selectorELNS0_4arch9wavefront6targetE1EEEvSJ_
; %bb.0:
	s_load_dwordx2 s[30:31], s[0:1], 0x48
	s_load_dword s5, s[0:1], 0x30
	s_add_u32 s26, s0, 0x48
	s_addc_u32 s27, s1, 0
	s_waitcnt lgkmcnt(0)
	s_mul_i32 s4, s31, s4
	s_add_i32 s3, s4, s3
	s_mul_i32 s3, s3, s30
	s_add_i32 s28, s3, s2
	s_cmp_ge_u32 s28, s5
	s_cbranch_scc1 .LBB461_39
; %bb.1:
	s_load_dwordx8 s[4:11], s[0:1], 0x10
	s_load_dwordx2 s[22:23], s[0:1], 0x8
	s_load_dwordx2 s[12:13], s[0:1], 0x40
	s_mov_b32 s29, 0
	s_mov_b32 s25, s29
	s_waitcnt lgkmcnt(0)
	s_lshr_b32 s31, s10, 10
	s_cmp_lg_u32 s28, s31
	s_cselect_b64 s[14:15], -1, 0
	s_lshl_b64 s[16:17], s[28:29], 2
	s_add_u32 s12, s12, s16
	s_addc_u32 s13, s13, s17
	s_lshr_b32 s3, s11, 9
	s_and_b32 s3, s3, 0x7ffffe
	s_load_dwordx2 s[16:17], s[12:13], 0x0
	s_sub_i32 s3, 0, s3
	s_and_b32 s13, s28, s3
	s_lshl_b32 s18, s13, 10
	s_lshl_b32 s12, s28, 10
	;; [unrolled: 1-line block ×3, first 2 shown]
	s_sub_i32 s19, s12, s18
	s_add_i32 s13, s13, s11
	s_add_i32 s19, s13, s19
	s_waitcnt lgkmcnt(0)
	s_sub_i32 s20, s19, s16
	s_sub_i32 s19, s19, s17
	;; [unrolled: 1-line block ×3, first 2 shown]
	s_min_u32 s24, s10, s20
	s_addk_i32 s19, 0x400
	s_or_b32 s3, s28, s3
	s_min_u32 s18, s10, s13
	s_add_i32 s13, s13, s11
	s_cmp_eq_u32 s3, -1
	s_cselect_b32 s3, s13, s19
	s_cselect_b32 s11, s18, s17
	s_mov_b32 s17, s29
	s_min_u32 s13, s3, s10
	s_sub_i32 s11, s11, s16
	s_lshl_b64 s[16:17], s[16:17], 3
	s_add_u32 s20, s22, s16
	s_addc_u32 s21, s23, s17
	s_lshl_b64 s[18:19], s[24:25], 3
	s_add_u32 s22, s22, s18
	s_addc_u32 s23, s23, s19
	s_cmp_lt_u32 s2, s30
	v_mov_b32_e32 v3, 0
	s_cselect_b32 s2, 12, 18
	global_load_dword v1, v3, s[26:27] offset:14
	s_add_u32 s2, s26, s2
	s_addc_u32 s3, s27, 0
	global_load_ushort v2, v3, s[2:3]
	s_cmp_eq_u32 s28, s31
	s_waitcnt vmcnt(1)
	v_lshrrev_b32_e32 v4, 16, v1
	v_and_b32_e32 v1, 0xffff, v1
	v_mul_lo_u32 v1, v1, v4
	s_waitcnt vmcnt(0)
	v_mul_lo_u32 v1, v1, v2
	v_lshlrev_b32_e32 v2, 3, v0
	v_add_u32_e32 v12, v1, v0
	s_cbranch_scc1 .LBB461_3
; %bb.2:
	v_subrev_co_u32_e32 v6, vcc, s11, v0
	v_mov_b32_e32 v7, v3
	v_lshl_add_u64 v[4:5], s[20:21], 0, v[2:3]
	v_lshl_add_u64 v[6:7], v[6:7], 3, s[22:23]
	v_cndmask_b32_e32 v5, v7, v5, vcc
	v_cndmask_b32_e32 v4, v6, v4, vcc
	global_load_dwordx2 v[4:5], v[4:5], off
	v_add_u32_e32 v8, v1, v0
	s_mov_b64 s[2:3], -1
	s_sub_i32 s26, s13, s24
	s_cbranch_execz .LBB461_4
	s_branch .LBB461_7
.LBB461_3:
	s_mov_b64 s[2:3], 0
                                        ; implicit-def: $vgpr8
                                        ; implicit-def: $vgpr4_vgpr5
	s_sub_i32 s26, s13, s24
.LBB461_4:
	s_add_i32 s13, s26, s11
	v_cmp_gt_u32_e32 vcc, s13, v0
	s_waitcnt vmcnt(0)
	v_mov_b64_e32 v[4:5], 0
	s_and_saveexec_b64 s[2:3], vcc
	s_cbranch_execz .LBB461_6
; %bb.5:
	v_mov_b32_e32 v3, 0
	v_subrev_co_u32_e32 v6, vcc, s11, v0
	v_mov_b32_e32 v7, v3
	v_lshl_add_u64 v[4:5], s[20:21], 0, v[2:3]
	v_lshl_add_u64 v[6:7], v[6:7], 3, s[22:23]
	v_cndmask_b32_e32 v5, v7, v5, vcc
	v_cndmask_b32_e32 v4, v6, v4, vcc
	global_load_dwordx2 v[4:5], v[4:5], off
.LBB461_6:
	s_or_b64 exec, exec, s[2:3]
	v_cmp_gt_u32_e64 s[2:3], s13, v12
	v_mov_b32_e32 v8, v12
.LBB461_7:
	v_mov_b64_e32 v[6:7], 0
	s_and_saveexec_b64 s[24:25], s[2:3]
	s_cbranch_execz .LBB461_9
; %bb.8:
	v_mov_b32_e32 v9, 0
	v_lshl_add_u64 v[6:7], v[8:9], 3, s[20:21]
	v_subrev_co_u32_e32 v8, vcc, s11, v8
	v_lshl_add_u64 v[8:9], v[8:9], 3, s[22:23]
	s_nop 0
	v_cndmask_b32_e32 v7, v9, v7, vcc
	v_cndmask_b32_e32 v6, v8, v6, vcc
	global_load_dwordx2 v[6:7], v[6:7], off
.LBB461_9:
	s_or_b64 exec, exec, s[24:25]
	s_add_u32 s2, s6, s16
	s_addc_u32 s3, s7, s17
	s_add_u32 s16, s6, s18
	v_mov_b32_e32 v3, 0
	s_addc_u32 s17, s7, s19
	s_andn2_b64 vcc, exec, s[14:15]
	s_waitcnt vmcnt(0)
	ds_write2st64_b64 v2, v[4:5], v[6:7] offset1:8
	s_cbranch_vccnz .LBB461_11
; %bb.10:
	v_subrev_co_u32_e32 v10, vcc, s11, v0
	v_mov_b32_e32 v11, v3
	v_lshl_add_u64 v[8:9], s[2:3], 0, v[2:3]
	v_lshl_add_u64 v[10:11], v[10:11], 3, s[16:17]
	v_cndmask_b32_e32 v9, v11, v9, vcc
	v_cndmask_b32_e32 v8, v10, v8, vcc
	v_mov_b32_e32 v13, v3
	v_subrev_co_u32_e32 v14, vcc, s11, v12
	v_mov_b32_e32 v15, v3
	v_lshl_add_u64 v[10:11], v[12:13], 3, s[2:3]
	v_lshl_add_u64 v[14:15], v[14:15], 3, s[16:17]
	v_cndmask_b32_e32 v11, v15, v11, vcc
	v_cndmask_b32_e32 v10, v14, v10, vcc
	global_load_dwordx2 v[8:9], v[8:9], off
	s_add_i32 s13, s26, s11
	global_load_dwordx2 v[10:11], v[10:11], off
	s_load_dwordx2 s[6:7], s[0:1], 0x38
	s_cbranch_execz .LBB461_12
	s_branch .LBB461_17
.LBB461_11:
                                        ; implicit-def: $vgpr10_vgpr11
                                        ; implicit-def: $vgpr8_vgpr9
                                        ; implicit-def: $sgpr13
	s_load_dwordx2 s[6:7], s[0:1], 0x38
.LBB461_12:
	s_add_i32 s13, s26, s11
	v_cmp_gt_u32_e32 vcc, s13, v0
	s_waitcnt vmcnt(0)
	v_mov_b64_e32 v[10:11], 0
	v_mov_b64_e32 v[8:9], 0
	s_and_saveexec_b64 s[0:1], vcc
	s_cbranch_execz .LBB461_14
; %bb.13:
	v_mov_b32_e32 v3, 0
	v_subrev_co_u32_e32 v14, vcc, s11, v0
	v_mov_b32_e32 v15, v3
	v_lshl_add_u64 v[8:9], s[2:3], 0, v[2:3]
	v_lshl_add_u64 v[14:15], v[14:15], 3, s[16:17]
	v_cndmask_b32_e32 v9, v15, v9, vcc
	v_cndmask_b32_e32 v8, v14, v8, vcc
	global_load_dwordx2 v[8:9], v[8:9], off
.LBB461_14:
	s_or_b64 exec, exec, s[0:1]
	v_cmp_gt_u32_e32 vcc, s13, v12
	s_and_saveexec_b64 s[0:1], vcc
	s_cbranch_execz .LBB461_16
; %bb.15:
	v_mov_b32_e32 v13, 0
	v_lshl_add_u64 v[10:11], v[12:13], 3, s[2:3]
	v_subrev_co_u32_e32 v12, vcc, s11, v12
	v_lshl_add_u64 v[12:13], v[12:13], 3, s[16:17]
	s_nop 0
	v_cndmask_b32_e32 v11, v13, v11, vcc
	v_cndmask_b32_e32 v10, v12, v10, vcc
	global_load_dwordx2 v[10:11], v[10:11], off
.LBB461_16:
	s_or_b64 exec, exec, s[0:1]
.LBB461_17:
	v_lshlrev_b32_e32 v1, 1, v0
	v_min_u32_e32 v12, s13, v1
	v_sub_u32_e64 v3, v12, s26 clamp
	v_min_u32_e32 v13, s11, v12
	v_cmp_lt_u32_e32 vcc, v3, v13
	s_waitcnt lgkmcnt(0)
	s_barrier
	s_and_saveexec_b64 s[0:1], vcc
	s_cbranch_execz .LBB461_21
; %bb.18:
	v_lshlrev_b32_e32 v14, 3, v12
	v_lshl_add_u32 v14, s11, 3, v14
	s_mov_b64 s[2:3], 0
.LBB461_19:                             ; =>This Inner Loop Header: Depth=1
	v_add_u32_e32 v15, v13, v3
	v_lshrrev_b32_e32 v15, 1, v15
	v_not_b32_e32 v18, v15
	v_lshlrev_b32_e32 v16, 3, v15
	v_lshl_add_u32 v18, v18, 3, v14
	ds_read_b64 v[16:17], v16
	ds_read_b64 v[18:19], v18
	v_add_u32_e32 v20, 1, v15
	s_waitcnt lgkmcnt(1)
	v_and_b32_e32 v17, s7, v17
	v_and_b32_e32 v16, s6, v16
	s_waitcnt lgkmcnt(0)
	v_and_b32_e32 v19, s7, v19
	v_and_b32_e32 v18, s6, v18
	v_cmp_gt_u64_e32 vcc, v[16:17], v[18:19]
	s_nop 1
	v_cndmask_b32_e32 v13, v13, v15, vcc
	v_cndmask_b32_e32 v3, v20, v3, vcc
	v_cmp_ge_u32_e32 vcc, v3, v13
	s_or_b64 s[2:3], vcc, s[2:3]
	s_andn2_b64 exec, exec, s[2:3]
	s_cbranch_execnz .LBB461_19
; %bb.20:
	s_or_b64 exec, exec, s[2:3]
.LBB461_21:
	s_or_b64 exec, exec, s[0:1]
	v_sub_u32_e32 v12, v12, v3
	v_add_u32_e32 v14, s11, v12
	v_cmp_ge_u32_e32 vcc, s11, v3
	v_cmp_ge_u32_e64 s[0:1], s13, v14
	s_or_b64 s[0:1], vcc, s[0:1]
	v_mov_b32_e32 v12, 0
	v_mov_b32_e32 v15, 0
	s_and_saveexec_b64 s[16:17], s[0:1]
	s_cbranch_execz .LBB461_27
; %bb.22:
	v_cmp_gt_u32_e32 vcc, s11, v3
                                        ; implicit-def: $vgpr6_vgpr7
	s_and_saveexec_b64 s[0:1], vcc
; %bb.23:
	v_lshlrev_b32_e32 v4, 3, v3
	ds_read_b64 v[6:7], v4
; %bb.24:
	s_or_b64 exec, exec, s[0:1]
	v_cmp_le_u32_e64 s[0:1], s13, v14
	v_cmp_gt_u32_e64 s[2:3], s13, v14
                                        ; implicit-def: $vgpr12_vgpr13
	s_and_saveexec_b64 s[18:19], s[2:3]
; %bb.25:
	v_lshlrev_b32_e32 v4, 3, v14
	ds_read_b64 v[12:13], v4
; %bb.26:
	s_or_b64 exec, exec, s[18:19]
	s_waitcnt lgkmcnt(0)
	v_and_b32_e32 v5, s7, v13
	v_and_b32_e32 v4, s6, v12
	;; [unrolled: 1-line block ×4, first 2 shown]
	v_cmp_le_u64_e64 s[2:3], v[16:17], v[4:5]
	s_and_b64 s[2:3], vcc, s[2:3]
	s_or_b64 vcc, s[0:1], s[2:3]
	v_mov_b32_e32 v4, s13
	v_mov_b32_e32 v5, s11
	v_cndmask_b32_e32 v15, v14, v3, vcc
	v_cndmask_b32_e32 v4, v4, v5, vcc
	v_add_u32_e32 v18, 1, v15
	v_add_u32_e32 v4, -1, v4
	v_min_u32_e32 v4, v18, v4
	v_lshlrev_b32_e32 v4, 3, v4
	ds_read_b64 v[16:17], v4
	v_cndmask_b32_e32 v5, v13, v7, vcc
	v_cndmask_b32_e32 v4, v12, v6, vcc
	;; [unrolled: 1-line block ×4, first 2 shown]
	s_waitcnt lgkmcnt(0)
	v_cndmask_b32_e32 v19, v17, v13, vcc
	v_cndmask_b32_e32 v20, v16, v12, vcc
	v_cndmask_b32_e32 v17, v7, v17, vcc
	v_cndmask_b32_e32 v16, v6, v16, vcc
	v_and_b32_e32 v7, s7, v19
	v_and_b32_e32 v6, s6, v20
	;; [unrolled: 1-line block ×4, first 2 shown]
	v_cmp_gt_u32_e64 s[0:1], s11, v3
	v_cmp_le_u64_e64 s[2:3], v[12:13], v[6:7]
	v_cmp_le_u32_e32 vcc, s13, v14
	s_and_b64 s[0:1], s[0:1], s[2:3]
	s_or_b64 vcc, vcc, s[0:1]
	v_cndmask_b32_e32 v12, v14, v3, vcc
	v_cndmask_b32_e32 v7, v19, v17, vcc
	;; [unrolled: 1-line block ×3, first 2 shown]
.LBB461_27:
	s_or_b64 exec, exec, s[16:17]
	s_barrier
	s_waitcnt vmcnt(0)
	ds_write2st64_b64 v2, v[8:9], v[10:11] offset1:8
	v_lshlrev_b32_e32 v3, 3, v15
	v_lshlrev_b32_e32 v10, 3, v12
	s_waitcnt lgkmcnt(0)
	s_barrier
	ds_read_b64 v[8:9], v3
	ds_read_b64 v[10:11], v10
	v_lshrrev_b32_e32 v3, 1, v0
	s_mov_b32 s13, 0
	v_and_b32_e32 v3, 0xf8, v3
	v_or_b32_e32 v14, 0x200, v0
	s_lshl_b64 s[2:3], s[12:13], 3
	v_lshl_add_u32 v12, v1, 3, v3
	v_lshrrev_b32_e32 v3, 2, v14
	s_add_u32 s0, s4, s2
	v_lshrrev_b32_e32 v1, 2, v0
	v_and_b32_e32 v3, 0xf8, v3
	s_addc_u32 s1, s5, s3
	v_and_b32_e32 v1, 0x78, v1
	v_add_u32_e32 v13, v3, v2
	v_mov_b32_e32 v3, 0
	s_waitcnt lgkmcnt(0)
	s_barrier
	s_barrier
	ds_write2_b64 v12, v[4:5], v[6:7] offset1:1
	v_add_u32_e32 v1, v1, v2
	v_lshl_add_u64 v[4:5], s[0:1], 0, v[2:3]
	s_and_b64 vcc, exec, s[14:15]
	s_waitcnt lgkmcnt(0)
	s_cbranch_vccz .LBB461_29
; %bb.28:
	s_barrier
	ds_read_b64 v[6:7], v1
	ds_read_b64 v[16:17], v13 offset:4096
	s_add_u32 s0, s8, s2
	s_addc_u32 s1, s9, s3
	s_mov_b64 s[4:5], -1
	s_waitcnt lgkmcnt(1)
	global_store_dwordx2 v[4:5], v[6:7], off
	v_add_co_u32_e32 v6, vcc, 0x1000, v4
	s_nop 1
	v_addc_co_u32_e32 v7, vcc, 0, v5, vcc
	s_waitcnt lgkmcnt(0)
	global_store_dwordx2 v[6:7], v[16:17], off
	s_barrier
	ds_write2_b64 v12, v[8:9], v[10:11] offset1:1
	s_waitcnt lgkmcnt(0)
	s_barrier
	ds_read_b64 v[16:17], v1
	ds_read_b64 v[6:7], v13 offset:4096
	s_waitcnt lgkmcnt(1)
	global_store_dwordx2 v2, v[16:17], s[0:1]
	s_cbranch_execz .LBB461_30
	s_branch .LBB461_37
.LBB461_29:
	s_mov_b64 s[4:5], 0
                                        ; implicit-def: $vgpr6_vgpr7
.LBB461_30:
	s_barrier
	s_waitcnt lgkmcnt(0)
	ds_read_b64 v[6:7], v13 offset:4096
	s_sub_i32 s6, s10, s12
	v_cmp_gt_u32_e64 s[0:1], s6, v0
	s_and_saveexec_b64 s[4:5], s[0:1]
	s_cbranch_execz .LBB461_32
; %bb.31:
	ds_read_b64 v[16:17], v1
	s_waitcnt lgkmcnt(0)
	global_store_dwordx2 v[4:5], v[16:17], off
.LBB461_32:
	s_or_b64 exec, exec, s[4:5]
	v_cmp_gt_u32_e64 s[4:5], s6, v14
	s_and_saveexec_b64 s[6:7], s[4:5]
	s_cbranch_execz .LBB461_34
; %bb.33:
	v_add_co_u32_e32 v4, vcc, 0x1000, v4
	s_nop 1
	v_addc_co_u32_e32 v5, vcc, 0, v5, vcc
	s_waitcnt lgkmcnt(0)
	global_store_dwordx2 v[4:5], v[6:7], off
.LBB461_34:
	s_or_b64 exec, exec, s[6:7]
	s_waitcnt lgkmcnt(0)
	s_barrier
	ds_write2_b64 v12, v[8:9], v[10:11] offset1:1
	s_waitcnt lgkmcnt(0)
	s_barrier
	ds_read_b64 v[6:7], v13 offset:4096
	s_and_saveexec_b64 s[6:7], s[0:1]
	s_cbranch_execz .LBB461_36
; %bb.35:
	ds_read_b64 v[0:1], v1
	s_add_u32 s0, s8, s2
	s_addc_u32 s1, s9, s3
	s_waitcnt lgkmcnt(0)
	global_store_dwordx2 v2, v[0:1], s[0:1]
.LBB461_36:
	s_or_b64 exec, exec, s[6:7]
.LBB461_37:
	s_and_saveexec_b64 s[0:1], s[4:5]
	s_cbranch_execz .LBB461_39
; %bb.38:
	s_add_u32 s0, s8, s2
	s_addc_u32 s1, s9, s3
	v_mov_b32_e32 v3, 0
	v_lshl_add_u64 v[0:1], s[0:1], 0, v[2:3]
	v_add_co_u32_e32 v0, vcc, 0x1000, v0
	s_nop 1
	v_addc_co_u32_e32 v1, vcc, 0, v1, vcc
	s_waitcnt lgkmcnt(0)
	global_store_dwordx2 v[0:1], v[6:7], off
.LBB461_39:
	s_endpgm
	.section	.rodata,"a",@progbits
	.p2align	6, 0x0
	.amdhsa_kernel _ZN7rocprim17ROCPRIM_400000_NS6detail17trampoline_kernelINS0_14default_configENS1_38merge_sort_block_merge_config_selectorIyyEEZZNS1_27merge_sort_block_merge_implIS3_N6thrust23THRUST_200600_302600_NS6detail15normal_iteratorINS8_10device_ptrIyEEEESD_jNS1_19radix_merge_compareILb0ELb1EyNS0_19identity_decomposerEEEEE10hipError_tT0_T1_T2_jT3_P12ihipStream_tbPNSt15iterator_traitsISI_E10value_typeEPNSO_ISJ_E10value_typeEPSK_NS1_7vsmem_tEENKUlT_SI_SJ_SK_E_clIPySD_S10_SD_EESH_SX_SI_SJ_SK_EUlSX_E0_NS1_11comp_targetILNS1_3genE0ELNS1_11target_archE4294967295ELNS1_3gpuE0ELNS1_3repE0EEENS1_38merge_mergepath_config_static_selectorELNS0_4arch9wavefront6targetE1EEEvSJ_
		.amdhsa_group_segment_fixed_size 8448
		.amdhsa_private_segment_fixed_size 0
		.amdhsa_kernarg_size 328
		.amdhsa_user_sgpr_count 2
		.amdhsa_user_sgpr_dispatch_ptr 0
		.amdhsa_user_sgpr_queue_ptr 0
		.amdhsa_user_sgpr_kernarg_segment_ptr 1
		.amdhsa_user_sgpr_dispatch_id 0
		.amdhsa_user_sgpr_kernarg_preload_length 0
		.amdhsa_user_sgpr_kernarg_preload_offset 0
		.amdhsa_user_sgpr_private_segment_size 0
		.amdhsa_uses_dynamic_stack 0
		.amdhsa_enable_private_segment 0
		.amdhsa_system_sgpr_workgroup_id_x 1
		.amdhsa_system_sgpr_workgroup_id_y 1
		.amdhsa_system_sgpr_workgroup_id_z 1
		.amdhsa_system_sgpr_workgroup_info 0
		.amdhsa_system_vgpr_workitem_id 0
		.amdhsa_next_free_vgpr 21
		.amdhsa_next_free_sgpr 32
		.amdhsa_accum_offset 24
		.amdhsa_reserve_vcc 1
		.amdhsa_float_round_mode_32 0
		.amdhsa_float_round_mode_16_64 0
		.amdhsa_float_denorm_mode_32 3
		.amdhsa_float_denorm_mode_16_64 3
		.amdhsa_dx10_clamp 1
		.amdhsa_ieee_mode 1
		.amdhsa_fp16_overflow 0
		.amdhsa_tg_split 0
		.amdhsa_exception_fp_ieee_invalid_op 0
		.amdhsa_exception_fp_denorm_src 0
		.amdhsa_exception_fp_ieee_div_zero 0
		.amdhsa_exception_fp_ieee_overflow 0
		.amdhsa_exception_fp_ieee_underflow 0
		.amdhsa_exception_fp_ieee_inexact 0
		.amdhsa_exception_int_div_zero 0
	.end_amdhsa_kernel
	.section	.text._ZN7rocprim17ROCPRIM_400000_NS6detail17trampoline_kernelINS0_14default_configENS1_38merge_sort_block_merge_config_selectorIyyEEZZNS1_27merge_sort_block_merge_implIS3_N6thrust23THRUST_200600_302600_NS6detail15normal_iteratorINS8_10device_ptrIyEEEESD_jNS1_19radix_merge_compareILb0ELb1EyNS0_19identity_decomposerEEEEE10hipError_tT0_T1_T2_jT3_P12ihipStream_tbPNSt15iterator_traitsISI_E10value_typeEPNSO_ISJ_E10value_typeEPSK_NS1_7vsmem_tEENKUlT_SI_SJ_SK_E_clIPySD_S10_SD_EESH_SX_SI_SJ_SK_EUlSX_E0_NS1_11comp_targetILNS1_3genE0ELNS1_11target_archE4294967295ELNS1_3gpuE0ELNS1_3repE0EEENS1_38merge_mergepath_config_static_selectorELNS0_4arch9wavefront6targetE1EEEvSJ_,"axG",@progbits,_ZN7rocprim17ROCPRIM_400000_NS6detail17trampoline_kernelINS0_14default_configENS1_38merge_sort_block_merge_config_selectorIyyEEZZNS1_27merge_sort_block_merge_implIS3_N6thrust23THRUST_200600_302600_NS6detail15normal_iteratorINS8_10device_ptrIyEEEESD_jNS1_19radix_merge_compareILb0ELb1EyNS0_19identity_decomposerEEEEE10hipError_tT0_T1_T2_jT3_P12ihipStream_tbPNSt15iterator_traitsISI_E10value_typeEPNSO_ISJ_E10value_typeEPSK_NS1_7vsmem_tEENKUlT_SI_SJ_SK_E_clIPySD_S10_SD_EESH_SX_SI_SJ_SK_EUlSX_E0_NS1_11comp_targetILNS1_3genE0ELNS1_11target_archE4294967295ELNS1_3gpuE0ELNS1_3repE0EEENS1_38merge_mergepath_config_static_selectorELNS0_4arch9wavefront6targetE1EEEvSJ_,comdat
.Lfunc_end461:
	.size	_ZN7rocprim17ROCPRIM_400000_NS6detail17trampoline_kernelINS0_14default_configENS1_38merge_sort_block_merge_config_selectorIyyEEZZNS1_27merge_sort_block_merge_implIS3_N6thrust23THRUST_200600_302600_NS6detail15normal_iteratorINS8_10device_ptrIyEEEESD_jNS1_19radix_merge_compareILb0ELb1EyNS0_19identity_decomposerEEEEE10hipError_tT0_T1_T2_jT3_P12ihipStream_tbPNSt15iterator_traitsISI_E10value_typeEPNSO_ISJ_E10value_typeEPSK_NS1_7vsmem_tEENKUlT_SI_SJ_SK_E_clIPySD_S10_SD_EESH_SX_SI_SJ_SK_EUlSX_E0_NS1_11comp_targetILNS1_3genE0ELNS1_11target_archE4294967295ELNS1_3gpuE0ELNS1_3repE0EEENS1_38merge_mergepath_config_static_selectorELNS0_4arch9wavefront6targetE1EEEvSJ_, .Lfunc_end461-_ZN7rocprim17ROCPRIM_400000_NS6detail17trampoline_kernelINS0_14default_configENS1_38merge_sort_block_merge_config_selectorIyyEEZZNS1_27merge_sort_block_merge_implIS3_N6thrust23THRUST_200600_302600_NS6detail15normal_iteratorINS8_10device_ptrIyEEEESD_jNS1_19radix_merge_compareILb0ELb1EyNS0_19identity_decomposerEEEEE10hipError_tT0_T1_T2_jT3_P12ihipStream_tbPNSt15iterator_traitsISI_E10value_typeEPNSO_ISJ_E10value_typeEPSK_NS1_7vsmem_tEENKUlT_SI_SJ_SK_E_clIPySD_S10_SD_EESH_SX_SI_SJ_SK_EUlSX_E0_NS1_11comp_targetILNS1_3genE0ELNS1_11target_archE4294967295ELNS1_3gpuE0ELNS1_3repE0EEENS1_38merge_mergepath_config_static_selectorELNS0_4arch9wavefront6targetE1EEEvSJ_
                                        ; -- End function
	.set _ZN7rocprim17ROCPRIM_400000_NS6detail17trampoline_kernelINS0_14default_configENS1_38merge_sort_block_merge_config_selectorIyyEEZZNS1_27merge_sort_block_merge_implIS3_N6thrust23THRUST_200600_302600_NS6detail15normal_iteratorINS8_10device_ptrIyEEEESD_jNS1_19radix_merge_compareILb0ELb1EyNS0_19identity_decomposerEEEEE10hipError_tT0_T1_T2_jT3_P12ihipStream_tbPNSt15iterator_traitsISI_E10value_typeEPNSO_ISJ_E10value_typeEPSK_NS1_7vsmem_tEENKUlT_SI_SJ_SK_E_clIPySD_S10_SD_EESH_SX_SI_SJ_SK_EUlSX_E0_NS1_11comp_targetILNS1_3genE0ELNS1_11target_archE4294967295ELNS1_3gpuE0ELNS1_3repE0EEENS1_38merge_mergepath_config_static_selectorELNS0_4arch9wavefront6targetE1EEEvSJ_.num_vgpr, 21
	.set _ZN7rocprim17ROCPRIM_400000_NS6detail17trampoline_kernelINS0_14default_configENS1_38merge_sort_block_merge_config_selectorIyyEEZZNS1_27merge_sort_block_merge_implIS3_N6thrust23THRUST_200600_302600_NS6detail15normal_iteratorINS8_10device_ptrIyEEEESD_jNS1_19radix_merge_compareILb0ELb1EyNS0_19identity_decomposerEEEEE10hipError_tT0_T1_T2_jT3_P12ihipStream_tbPNSt15iterator_traitsISI_E10value_typeEPNSO_ISJ_E10value_typeEPSK_NS1_7vsmem_tEENKUlT_SI_SJ_SK_E_clIPySD_S10_SD_EESH_SX_SI_SJ_SK_EUlSX_E0_NS1_11comp_targetILNS1_3genE0ELNS1_11target_archE4294967295ELNS1_3gpuE0ELNS1_3repE0EEENS1_38merge_mergepath_config_static_selectorELNS0_4arch9wavefront6targetE1EEEvSJ_.num_agpr, 0
	.set _ZN7rocprim17ROCPRIM_400000_NS6detail17trampoline_kernelINS0_14default_configENS1_38merge_sort_block_merge_config_selectorIyyEEZZNS1_27merge_sort_block_merge_implIS3_N6thrust23THRUST_200600_302600_NS6detail15normal_iteratorINS8_10device_ptrIyEEEESD_jNS1_19radix_merge_compareILb0ELb1EyNS0_19identity_decomposerEEEEE10hipError_tT0_T1_T2_jT3_P12ihipStream_tbPNSt15iterator_traitsISI_E10value_typeEPNSO_ISJ_E10value_typeEPSK_NS1_7vsmem_tEENKUlT_SI_SJ_SK_E_clIPySD_S10_SD_EESH_SX_SI_SJ_SK_EUlSX_E0_NS1_11comp_targetILNS1_3genE0ELNS1_11target_archE4294967295ELNS1_3gpuE0ELNS1_3repE0EEENS1_38merge_mergepath_config_static_selectorELNS0_4arch9wavefront6targetE1EEEvSJ_.numbered_sgpr, 32
	.set _ZN7rocprim17ROCPRIM_400000_NS6detail17trampoline_kernelINS0_14default_configENS1_38merge_sort_block_merge_config_selectorIyyEEZZNS1_27merge_sort_block_merge_implIS3_N6thrust23THRUST_200600_302600_NS6detail15normal_iteratorINS8_10device_ptrIyEEEESD_jNS1_19radix_merge_compareILb0ELb1EyNS0_19identity_decomposerEEEEE10hipError_tT0_T1_T2_jT3_P12ihipStream_tbPNSt15iterator_traitsISI_E10value_typeEPNSO_ISJ_E10value_typeEPSK_NS1_7vsmem_tEENKUlT_SI_SJ_SK_E_clIPySD_S10_SD_EESH_SX_SI_SJ_SK_EUlSX_E0_NS1_11comp_targetILNS1_3genE0ELNS1_11target_archE4294967295ELNS1_3gpuE0ELNS1_3repE0EEENS1_38merge_mergepath_config_static_selectorELNS0_4arch9wavefront6targetE1EEEvSJ_.num_named_barrier, 0
	.set _ZN7rocprim17ROCPRIM_400000_NS6detail17trampoline_kernelINS0_14default_configENS1_38merge_sort_block_merge_config_selectorIyyEEZZNS1_27merge_sort_block_merge_implIS3_N6thrust23THRUST_200600_302600_NS6detail15normal_iteratorINS8_10device_ptrIyEEEESD_jNS1_19radix_merge_compareILb0ELb1EyNS0_19identity_decomposerEEEEE10hipError_tT0_T1_T2_jT3_P12ihipStream_tbPNSt15iterator_traitsISI_E10value_typeEPNSO_ISJ_E10value_typeEPSK_NS1_7vsmem_tEENKUlT_SI_SJ_SK_E_clIPySD_S10_SD_EESH_SX_SI_SJ_SK_EUlSX_E0_NS1_11comp_targetILNS1_3genE0ELNS1_11target_archE4294967295ELNS1_3gpuE0ELNS1_3repE0EEENS1_38merge_mergepath_config_static_selectorELNS0_4arch9wavefront6targetE1EEEvSJ_.private_seg_size, 0
	.set _ZN7rocprim17ROCPRIM_400000_NS6detail17trampoline_kernelINS0_14default_configENS1_38merge_sort_block_merge_config_selectorIyyEEZZNS1_27merge_sort_block_merge_implIS3_N6thrust23THRUST_200600_302600_NS6detail15normal_iteratorINS8_10device_ptrIyEEEESD_jNS1_19radix_merge_compareILb0ELb1EyNS0_19identity_decomposerEEEEE10hipError_tT0_T1_T2_jT3_P12ihipStream_tbPNSt15iterator_traitsISI_E10value_typeEPNSO_ISJ_E10value_typeEPSK_NS1_7vsmem_tEENKUlT_SI_SJ_SK_E_clIPySD_S10_SD_EESH_SX_SI_SJ_SK_EUlSX_E0_NS1_11comp_targetILNS1_3genE0ELNS1_11target_archE4294967295ELNS1_3gpuE0ELNS1_3repE0EEENS1_38merge_mergepath_config_static_selectorELNS0_4arch9wavefront6targetE1EEEvSJ_.uses_vcc, 1
	.set _ZN7rocprim17ROCPRIM_400000_NS6detail17trampoline_kernelINS0_14default_configENS1_38merge_sort_block_merge_config_selectorIyyEEZZNS1_27merge_sort_block_merge_implIS3_N6thrust23THRUST_200600_302600_NS6detail15normal_iteratorINS8_10device_ptrIyEEEESD_jNS1_19radix_merge_compareILb0ELb1EyNS0_19identity_decomposerEEEEE10hipError_tT0_T1_T2_jT3_P12ihipStream_tbPNSt15iterator_traitsISI_E10value_typeEPNSO_ISJ_E10value_typeEPSK_NS1_7vsmem_tEENKUlT_SI_SJ_SK_E_clIPySD_S10_SD_EESH_SX_SI_SJ_SK_EUlSX_E0_NS1_11comp_targetILNS1_3genE0ELNS1_11target_archE4294967295ELNS1_3gpuE0ELNS1_3repE0EEENS1_38merge_mergepath_config_static_selectorELNS0_4arch9wavefront6targetE1EEEvSJ_.uses_flat_scratch, 0
	.set _ZN7rocprim17ROCPRIM_400000_NS6detail17trampoline_kernelINS0_14default_configENS1_38merge_sort_block_merge_config_selectorIyyEEZZNS1_27merge_sort_block_merge_implIS3_N6thrust23THRUST_200600_302600_NS6detail15normal_iteratorINS8_10device_ptrIyEEEESD_jNS1_19radix_merge_compareILb0ELb1EyNS0_19identity_decomposerEEEEE10hipError_tT0_T1_T2_jT3_P12ihipStream_tbPNSt15iterator_traitsISI_E10value_typeEPNSO_ISJ_E10value_typeEPSK_NS1_7vsmem_tEENKUlT_SI_SJ_SK_E_clIPySD_S10_SD_EESH_SX_SI_SJ_SK_EUlSX_E0_NS1_11comp_targetILNS1_3genE0ELNS1_11target_archE4294967295ELNS1_3gpuE0ELNS1_3repE0EEENS1_38merge_mergepath_config_static_selectorELNS0_4arch9wavefront6targetE1EEEvSJ_.has_dyn_sized_stack, 0
	.set _ZN7rocprim17ROCPRIM_400000_NS6detail17trampoline_kernelINS0_14default_configENS1_38merge_sort_block_merge_config_selectorIyyEEZZNS1_27merge_sort_block_merge_implIS3_N6thrust23THRUST_200600_302600_NS6detail15normal_iteratorINS8_10device_ptrIyEEEESD_jNS1_19radix_merge_compareILb0ELb1EyNS0_19identity_decomposerEEEEE10hipError_tT0_T1_T2_jT3_P12ihipStream_tbPNSt15iterator_traitsISI_E10value_typeEPNSO_ISJ_E10value_typeEPSK_NS1_7vsmem_tEENKUlT_SI_SJ_SK_E_clIPySD_S10_SD_EESH_SX_SI_SJ_SK_EUlSX_E0_NS1_11comp_targetILNS1_3genE0ELNS1_11target_archE4294967295ELNS1_3gpuE0ELNS1_3repE0EEENS1_38merge_mergepath_config_static_selectorELNS0_4arch9wavefront6targetE1EEEvSJ_.has_recursion, 0
	.set _ZN7rocprim17ROCPRIM_400000_NS6detail17trampoline_kernelINS0_14default_configENS1_38merge_sort_block_merge_config_selectorIyyEEZZNS1_27merge_sort_block_merge_implIS3_N6thrust23THRUST_200600_302600_NS6detail15normal_iteratorINS8_10device_ptrIyEEEESD_jNS1_19radix_merge_compareILb0ELb1EyNS0_19identity_decomposerEEEEE10hipError_tT0_T1_T2_jT3_P12ihipStream_tbPNSt15iterator_traitsISI_E10value_typeEPNSO_ISJ_E10value_typeEPSK_NS1_7vsmem_tEENKUlT_SI_SJ_SK_E_clIPySD_S10_SD_EESH_SX_SI_SJ_SK_EUlSX_E0_NS1_11comp_targetILNS1_3genE0ELNS1_11target_archE4294967295ELNS1_3gpuE0ELNS1_3repE0EEENS1_38merge_mergepath_config_static_selectorELNS0_4arch9wavefront6targetE1EEEvSJ_.has_indirect_call, 0
	.section	.AMDGPU.csdata,"",@progbits
; Kernel info:
; codeLenInByte = 1816
; TotalNumSgprs: 38
; NumVgprs: 21
; NumAgprs: 0
; TotalNumVgprs: 21
; ScratchSize: 0
; MemoryBound: 0
; FloatMode: 240
; IeeeMode: 1
; LDSByteSize: 8448 bytes/workgroup (compile time only)
; SGPRBlocks: 4
; VGPRBlocks: 2
; NumSGPRsForWavesPerEU: 38
; NumVGPRsForWavesPerEU: 21
; AccumOffset: 24
; Occupancy: 8
; WaveLimiterHint : 1
; COMPUTE_PGM_RSRC2:SCRATCH_EN: 0
; COMPUTE_PGM_RSRC2:USER_SGPR: 2
; COMPUTE_PGM_RSRC2:TRAP_HANDLER: 0
; COMPUTE_PGM_RSRC2:TGID_X_EN: 1
; COMPUTE_PGM_RSRC2:TGID_Y_EN: 1
; COMPUTE_PGM_RSRC2:TGID_Z_EN: 1
; COMPUTE_PGM_RSRC2:TIDIG_COMP_CNT: 0
; COMPUTE_PGM_RSRC3_GFX90A:ACCUM_OFFSET: 5
; COMPUTE_PGM_RSRC3_GFX90A:TG_SPLIT: 0
	.section	.text._ZN7rocprim17ROCPRIM_400000_NS6detail17trampoline_kernelINS0_14default_configENS1_38merge_sort_block_merge_config_selectorIyyEEZZNS1_27merge_sort_block_merge_implIS3_N6thrust23THRUST_200600_302600_NS6detail15normal_iteratorINS8_10device_ptrIyEEEESD_jNS1_19radix_merge_compareILb0ELb1EyNS0_19identity_decomposerEEEEE10hipError_tT0_T1_T2_jT3_P12ihipStream_tbPNSt15iterator_traitsISI_E10value_typeEPNSO_ISJ_E10value_typeEPSK_NS1_7vsmem_tEENKUlT_SI_SJ_SK_E_clIPySD_S10_SD_EESH_SX_SI_SJ_SK_EUlSX_E0_NS1_11comp_targetILNS1_3genE10ELNS1_11target_archE1201ELNS1_3gpuE5ELNS1_3repE0EEENS1_38merge_mergepath_config_static_selectorELNS0_4arch9wavefront6targetE1EEEvSJ_,"axG",@progbits,_ZN7rocprim17ROCPRIM_400000_NS6detail17trampoline_kernelINS0_14default_configENS1_38merge_sort_block_merge_config_selectorIyyEEZZNS1_27merge_sort_block_merge_implIS3_N6thrust23THRUST_200600_302600_NS6detail15normal_iteratorINS8_10device_ptrIyEEEESD_jNS1_19radix_merge_compareILb0ELb1EyNS0_19identity_decomposerEEEEE10hipError_tT0_T1_T2_jT3_P12ihipStream_tbPNSt15iterator_traitsISI_E10value_typeEPNSO_ISJ_E10value_typeEPSK_NS1_7vsmem_tEENKUlT_SI_SJ_SK_E_clIPySD_S10_SD_EESH_SX_SI_SJ_SK_EUlSX_E0_NS1_11comp_targetILNS1_3genE10ELNS1_11target_archE1201ELNS1_3gpuE5ELNS1_3repE0EEENS1_38merge_mergepath_config_static_selectorELNS0_4arch9wavefront6targetE1EEEvSJ_,comdat
	.protected	_ZN7rocprim17ROCPRIM_400000_NS6detail17trampoline_kernelINS0_14default_configENS1_38merge_sort_block_merge_config_selectorIyyEEZZNS1_27merge_sort_block_merge_implIS3_N6thrust23THRUST_200600_302600_NS6detail15normal_iteratorINS8_10device_ptrIyEEEESD_jNS1_19radix_merge_compareILb0ELb1EyNS0_19identity_decomposerEEEEE10hipError_tT0_T1_T2_jT3_P12ihipStream_tbPNSt15iterator_traitsISI_E10value_typeEPNSO_ISJ_E10value_typeEPSK_NS1_7vsmem_tEENKUlT_SI_SJ_SK_E_clIPySD_S10_SD_EESH_SX_SI_SJ_SK_EUlSX_E0_NS1_11comp_targetILNS1_3genE10ELNS1_11target_archE1201ELNS1_3gpuE5ELNS1_3repE0EEENS1_38merge_mergepath_config_static_selectorELNS0_4arch9wavefront6targetE1EEEvSJ_ ; -- Begin function _ZN7rocprim17ROCPRIM_400000_NS6detail17trampoline_kernelINS0_14default_configENS1_38merge_sort_block_merge_config_selectorIyyEEZZNS1_27merge_sort_block_merge_implIS3_N6thrust23THRUST_200600_302600_NS6detail15normal_iteratorINS8_10device_ptrIyEEEESD_jNS1_19radix_merge_compareILb0ELb1EyNS0_19identity_decomposerEEEEE10hipError_tT0_T1_T2_jT3_P12ihipStream_tbPNSt15iterator_traitsISI_E10value_typeEPNSO_ISJ_E10value_typeEPSK_NS1_7vsmem_tEENKUlT_SI_SJ_SK_E_clIPySD_S10_SD_EESH_SX_SI_SJ_SK_EUlSX_E0_NS1_11comp_targetILNS1_3genE10ELNS1_11target_archE1201ELNS1_3gpuE5ELNS1_3repE0EEENS1_38merge_mergepath_config_static_selectorELNS0_4arch9wavefront6targetE1EEEvSJ_
	.globl	_ZN7rocprim17ROCPRIM_400000_NS6detail17trampoline_kernelINS0_14default_configENS1_38merge_sort_block_merge_config_selectorIyyEEZZNS1_27merge_sort_block_merge_implIS3_N6thrust23THRUST_200600_302600_NS6detail15normal_iteratorINS8_10device_ptrIyEEEESD_jNS1_19radix_merge_compareILb0ELb1EyNS0_19identity_decomposerEEEEE10hipError_tT0_T1_T2_jT3_P12ihipStream_tbPNSt15iterator_traitsISI_E10value_typeEPNSO_ISJ_E10value_typeEPSK_NS1_7vsmem_tEENKUlT_SI_SJ_SK_E_clIPySD_S10_SD_EESH_SX_SI_SJ_SK_EUlSX_E0_NS1_11comp_targetILNS1_3genE10ELNS1_11target_archE1201ELNS1_3gpuE5ELNS1_3repE0EEENS1_38merge_mergepath_config_static_selectorELNS0_4arch9wavefront6targetE1EEEvSJ_
	.p2align	8
	.type	_ZN7rocprim17ROCPRIM_400000_NS6detail17trampoline_kernelINS0_14default_configENS1_38merge_sort_block_merge_config_selectorIyyEEZZNS1_27merge_sort_block_merge_implIS3_N6thrust23THRUST_200600_302600_NS6detail15normal_iteratorINS8_10device_ptrIyEEEESD_jNS1_19radix_merge_compareILb0ELb1EyNS0_19identity_decomposerEEEEE10hipError_tT0_T1_T2_jT3_P12ihipStream_tbPNSt15iterator_traitsISI_E10value_typeEPNSO_ISJ_E10value_typeEPSK_NS1_7vsmem_tEENKUlT_SI_SJ_SK_E_clIPySD_S10_SD_EESH_SX_SI_SJ_SK_EUlSX_E0_NS1_11comp_targetILNS1_3genE10ELNS1_11target_archE1201ELNS1_3gpuE5ELNS1_3repE0EEENS1_38merge_mergepath_config_static_selectorELNS0_4arch9wavefront6targetE1EEEvSJ_,@function
_ZN7rocprim17ROCPRIM_400000_NS6detail17trampoline_kernelINS0_14default_configENS1_38merge_sort_block_merge_config_selectorIyyEEZZNS1_27merge_sort_block_merge_implIS3_N6thrust23THRUST_200600_302600_NS6detail15normal_iteratorINS8_10device_ptrIyEEEESD_jNS1_19radix_merge_compareILb0ELb1EyNS0_19identity_decomposerEEEEE10hipError_tT0_T1_T2_jT3_P12ihipStream_tbPNSt15iterator_traitsISI_E10value_typeEPNSO_ISJ_E10value_typeEPSK_NS1_7vsmem_tEENKUlT_SI_SJ_SK_E_clIPySD_S10_SD_EESH_SX_SI_SJ_SK_EUlSX_E0_NS1_11comp_targetILNS1_3genE10ELNS1_11target_archE1201ELNS1_3gpuE5ELNS1_3repE0EEENS1_38merge_mergepath_config_static_selectorELNS0_4arch9wavefront6targetE1EEEvSJ_: ; @_ZN7rocprim17ROCPRIM_400000_NS6detail17trampoline_kernelINS0_14default_configENS1_38merge_sort_block_merge_config_selectorIyyEEZZNS1_27merge_sort_block_merge_implIS3_N6thrust23THRUST_200600_302600_NS6detail15normal_iteratorINS8_10device_ptrIyEEEESD_jNS1_19radix_merge_compareILb0ELb1EyNS0_19identity_decomposerEEEEE10hipError_tT0_T1_T2_jT3_P12ihipStream_tbPNSt15iterator_traitsISI_E10value_typeEPNSO_ISJ_E10value_typeEPSK_NS1_7vsmem_tEENKUlT_SI_SJ_SK_E_clIPySD_S10_SD_EESH_SX_SI_SJ_SK_EUlSX_E0_NS1_11comp_targetILNS1_3genE10ELNS1_11target_archE1201ELNS1_3gpuE5ELNS1_3repE0EEENS1_38merge_mergepath_config_static_selectorELNS0_4arch9wavefront6targetE1EEEvSJ_
; %bb.0:
	.section	.rodata,"a",@progbits
	.p2align	6, 0x0
	.amdhsa_kernel _ZN7rocprim17ROCPRIM_400000_NS6detail17trampoline_kernelINS0_14default_configENS1_38merge_sort_block_merge_config_selectorIyyEEZZNS1_27merge_sort_block_merge_implIS3_N6thrust23THRUST_200600_302600_NS6detail15normal_iteratorINS8_10device_ptrIyEEEESD_jNS1_19radix_merge_compareILb0ELb1EyNS0_19identity_decomposerEEEEE10hipError_tT0_T1_T2_jT3_P12ihipStream_tbPNSt15iterator_traitsISI_E10value_typeEPNSO_ISJ_E10value_typeEPSK_NS1_7vsmem_tEENKUlT_SI_SJ_SK_E_clIPySD_S10_SD_EESH_SX_SI_SJ_SK_EUlSX_E0_NS1_11comp_targetILNS1_3genE10ELNS1_11target_archE1201ELNS1_3gpuE5ELNS1_3repE0EEENS1_38merge_mergepath_config_static_selectorELNS0_4arch9wavefront6targetE1EEEvSJ_
		.amdhsa_group_segment_fixed_size 0
		.amdhsa_private_segment_fixed_size 0
		.amdhsa_kernarg_size 72
		.amdhsa_user_sgpr_count 2
		.amdhsa_user_sgpr_dispatch_ptr 0
		.amdhsa_user_sgpr_queue_ptr 0
		.amdhsa_user_sgpr_kernarg_segment_ptr 1
		.amdhsa_user_sgpr_dispatch_id 0
		.amdhsa_user_sgpr_kernarg_preload_length 0
		.amdhsa_user_sgpr_kernarg_preload_offset 0
		.amdhsa_user_sgpr_private_segment_size 0
		.amdhsa_uses_dynamic_stack 0
		.amdhsa_enable_private_segment 0
		.amdhsa_system_sgpr_workgroup_id_x 1
		.amdhsa_system_sgpr_workgroup_id_y 0
		.amdhsa_system_sgpr_workgroup_id_z 0
		.amdhsa_system_sgpr_workgroup_info 0
		.amdhsa_system_vgpr_workitem_id 0
		.amdhsa_next_free_vgpr 1
		.amdhsa_next_free_sgpr 0
		.amdhsa_accum_offset 4
		.amdhsa_reserve_vcc 0
		.amdhsa_float_round_mode_32 0
		.amdhsa_float_round_mode_16_64 0
		.amdhsa_float_denorm_mode_32 3
		.amdhsa_float_denorm_mode_16_64 3
		.amdhsa_dx10_clamp 1
		.amdhsa_ieee_mode 1
		.amdhsa_fp16_overflow 0
		.amdhsa_tg_split 0
		.amdhsa_exception_fp_ieee_invalid_op 0
		.amdhsa_exception_fp_denorm_src 0
		.amdhsa_exception_fp_ieee_div_zero 0
		.amdhsa_exception_fp_ieee_overflow 0
		.amdhsa_exception_fp_ieee_underflow 0
		.amdhsa_exception_fp_ieee_inexact 0
		.amdhsa_exception_int_div_zero 0
	.end_amdhsa_kernel
	.section	.text._ZN7rocprim17ROCPRIM_400000_NS6detail17trampoline_kernelINS0_14default_configENS1_38merge_sort_block_merge_config_selectorIyyEEZZNS1_27merge_sort_block_merge_implIS3_N6thrust23THRUST_200600_302600_NS6detail15normal_iteratorINS8_10device_ptrIyEEEESD_jNS1_19radix_merge_compareILb0ELb1EyNS0_19identity_decomposerEEEEE10hipError_tT0_T1_T2_jT3_P12ihipStream_tbPNSt15iterator_traitsISI_E10value_typeEPNSO_ISJ_E10value_typeEPSK_NS1_7vsmem_tEENKUlT_SI_SJ_SK_E_clIPySD_S10_SD_EESH_SX_SI_SJ_SK_EUlSX_E0_NS1_11comp_targetILNS1_3genE10ELNS1_11target_archE1201ELNS1_3gpuE5ELNS1_3repE0EEENS1_38merge_mergepath_config_static_selectorELNS0_4arch9wavefront6targetE1EEEvSJ_,"axG",@progbits,_ZN7rocprim17ROCPRIM_400000_NS6detail17trampoline_kernelINS0_14default_configENS1_38merge_sort_block_merge_config_selectorIyyEEZZNS1_27merge_sort_block_merge_implIS3_N6thrust23THRUST_200600_302600_NS6detail15normal_iteratorINS8_10device_ptrIyEEEESD_jNS1_19radix_merge_compareILb0ELb1EyNS0_19identity_decomposerEEEEE10hipError_tT0_T1_T2_jT3_P12ihipStream_tbPNSt15iterator_traitsISI_E10value_typeEPNSO_ISJ_E10value_typeEPSK_NS1_7vsmem_tEENKUlT_SI_SJ_SK_E_clIPySD_S10_SD_EESH_SX_SI_SJ_SK_EUlSX_E0_NS1_11comp_targetILNS1_3genE10ELNS1_11target_archE1201ELNS1_3gpuE5ELNS1_3repE0EEENS1_38merge_mergepath_config_static_selectorELNS0_4arch9wavefront6targetE1EEEvSJ_,comdat
.Lfunc_end462:
	.size	_ZN7rocprim17ROCPRIM_400000_NS6detail17trampoline_kernelINS0_14default_configENS1_38merge_sort_block_merge_config_selectorIyyEEZZNS1_27merge_sort_block_merge_implIS3_N6thrust23THRUST_200600_302600_NS6detail15normal_iteratorINS8_10device_ptrIyEEEESD_jNS1_19radix_merge_compareILb0ELb1EyNS0_19identity_decomposerEEEEE10hipError_tT0_T1_T2_jT3_P12ihipStream_tbPNSt15iterator_traitsISI_E10value_typeEPNSO_ISJ_E10value_typeEPSK_NS1_7vsmem_tEENKUlT_SI_SJ_SK_E_clIPySD_S10_SD_EESH_SX_SI_SJ_SK_EUlSX_E0_NS1_11comp_targetILNS1_3genE10ELNS1_11target_archE1201ELNS1_3gpuE5ELNS1_3repE0EEENS1_38merge_mergepath_config_static_selectorELNS0_4arch9wavefront6targetE1EEEvSJ_, .Lfunc_end462-_ZN7rocprim17ROCPRIM_400000_NS6detail17trampoline_kernelINS0_14default_configENS1_38merge_sort_block_merge_config_selectorIyyEEZZNS1_27merge_sort_block_merge_implIS3_N6thrust23THRUST_200600_302600_NS6detail15normal_iteratorINS8_10device_ptrIyEEEESD_jNS1_19radix_merge_compareILb0ELb1EyNS0_19identity_decomposerEEEEE10hipError_tT0_T1_T2_jT3_P12ihipStream_tbPNSt15iterator_traitsISI_E10value_typeEPNSO_ISJ_E10value_typeEPSK_NS1_7vsmem_tEENKUlT_SI_SJ_SK_E_clIPySD_S10_SD_EESH_SX_SI_SJ_SK_EUlSX_E0_NS1_11comp_targetILNS1_3genE10ELNS1_11target_archE1201ELNS1_3gpuE5ELNS1_3repE0EEENS1_38merge_mergepath_config_static_selectorELNS0_4arch9wavefront6targetE1EEEvSJ_
                                        ; -- End function
	.set _ZN7rocprim17ROCPRIM_400000_NS6detail17trampoline_kernelINS0_14default_configENS1_38merge_sort_block_merge_config_selectorIyyEEZZNS1_27merge_sort_block_merge_implIS3_N6thrust23THRUST_200600_302600_NS6detail15normal_iteratorINS8_10device_ptrIyEEEESD_jNS1_19radix_merge_compareILb0ELb1EyNS0_19identity_decomposerEEEEE10hipError_tT0_T1_T2_jT3_P12ihipStream_tbPNSt15iterator_traitsISI_E10value_typeEPNSO_ISJ_E10value_typeEPSK_NS1_7vsmem_tEENKUlT_SI_SJ_SK_E_clIPySD_S10_SD_EESH_SX_SI_SJ_SK_EUlSX_E0_NS1_11comp_targetILNS1_3genE10ELNS1_11target_archE1201ELNS1_3gpuE5ELNS1_3repE0EEENS1_38merge_mergepath_config_static_selectorELNS0_4arch9wavefront6targetE1EEEvSJ_.num_vgpr, 0
	.set _ZN7rocprim17ROCPRIM_400000_NS6detail17trampoline_kernelINS0_14default_configENS1_38merge_sort_block_merge_config_selectorIyyEEZZNS1_27merge_sort_block_merge_implIS3_N6thrust23THRUST_200600_302600_NS6detail15normal_iteratorINS8_10device_ptrIyEEEESD_jNS1_19radix_merge_compareILb0ELb1EyNS0_19identity_decomposerEEEEE10hipError_tT0_T1_T2_jT3_P12ihipStream_tbPNSt15iterator_traitsISI_E10value_typeEPNSO_ISJ_E10value_typeEPSK_NS1_7vsmem_tEENKUlT_SI_SJ_SK_E_clIPySD_S10_SD_EESH_SX_SI_SJ_SK_EUlSX_E0_NS1_11comp_targetILNS1_3genE10ELNS1_11target_archE1201ELNS1_3gpuE5ELNS1_3repE0EEENS1_38merge_mergepath_config_static_selectorELNS0_4arch9wavefront6targetE1EEEvSJ_.num_agpr, 0
	.set _ZN7rocprim17ROCPRIM_400000_NS6detail17trampoline_kernelINS0_14default_configENS1_38merge_sort_block_merge_config_selectorIyyEEZZNS1_27merge_sort_block_merge_implIS3_N6thrust23THRUST_200600_302600_NS6detail15normal_iteratorINS8_10device_ptrIyEEEESD_jNS1_19radix_merge_compareILb0ELb1EyNS0_19identity_decomposerEEEEE10hipError_tT0_T1_T2_jT3_P12ihipStream_tbPNSt15iterator_traitsISI_E10value_typeEPNSO_ISJ_E10value_typeEPSK_NS1_7vsmem_tEENKUlT_SI_SJ_SK_E_clIPySD_S10_SD_EESH_SX_SI_SJ_SK_EUlSX_E0_NS1_11comp_targetILNS1_3genE10ELNS1_11target_archE1201ELNS1_3gpuE5ELNS1_3repE0EEENS1_38merge_mergepath_config_static_selectorELNS0_4arch9wavefront6targetE1EEEvSJ_.numbered_sgpr, 0
	.set _ZN7rocprim17ROCPRIM_400000_NS6detail17trampoline_kernelINS0_14default_configENS1_38merge_sort_block_merge_config_selectorIyyEEZZNS1_27merge_sort_block_merge_implIS3_N6thrust23THRUST_200600_302600_NS6detail15normal_iteratorINS8_10device_ptrIyEEEESD_jNS1_19radix_merge_compareILb0ELb1EyNS0_19identity_decomposerEEEEE10hipError_tT0_T1_T2_jT3_P12ihipStream_tbPNSt15iterator_traitsISI_E10value_typeEPNSO_ISJ_E10value_typeEPSK_NS1_7vsmem_tEENKUlT_SI_SJ_SK_E_clIPySD_S10_SD_EESH_SX_SI_SJ_SK_EUlSX_E0_NS1_11comp_targetILNS1_3genE10ELNS1_11target_archE1201ELNS1_3gpuE5ELNS1_3repE0EEENS1_38merge_mergepath_config_static_selectorELNS0_4arch9wavefront6targetE1EEEvSJ_.num_named_barrier, 0
	.set _ZN7rocprim17ROCPRIM_400000_NS6detail17trampoline_kernelINS0_14default_configENS1_38merge_sort_block_merge_config_selectorIyyEEZZNS1_27merge_sort_block_merge_implIS3_N6thrust23THRUST_200600_302600_NS6detail15normal_iteratorINS8_10device_ptrIyEEEESD_jNS1_19radix_merge_compareILb0ELb1EyNS0_19identity_decomposerEEEEE10hipError_tT0_T1_T2_jT3_P12ihipStream_tbPNSt15iterator_traitsISI_E10value_typeEPNSO_ISJ_E10value_typeEPSK_NS1_7vsmem_tEENKUlT_SI_SJ_SK_E_clIPySD_S10_SD_EESH_SX_SI_SJ_SK_EUlSX_E0_NS1_11comp_targetILNS1_3genE10ELNS1_11target_archE1201ELNS1_3gpuE5ELNS1_3repE0EEENS1_38merge_mergepath_config_static_selectorELNS0_4arch9wavefront6targetE1EEEvSJ_.private_seg_size, 0
	.set _ZN7rocprim17ROCPRIM_400000_NS6detail17trampoline_kernelINS0_14default_configENS1_38merge_sort_block_merge_config_selectorIyyEEZZNS1_27merge_sort_block_merge_implIS3_N6thrust23THRUST_200600_302600_NS6detail15normal_iteratorINS8_10device_ptrIyEEEESD_jNS1_19radix_merge_compareILb0ELb1EyNS0_19identity_decomposerEEEEE10hipError_tT0_T1_T2_jT3_P12ihipStream_tbPNSt15iterator_traitsISI_E10value_typeEPNSO_ISJ_E10value_typeEPSK_NS1_7vsmem_tEENKUlT_SI_SJ_SK_E_clIPySD_S10_SD_EESH_SX_SI_SJ_SK_EUlSX_E0_NS1_11comp_targetILNS1_3genE10ELNS1_11target_archE1201ELNS1_3gpuE5ELNS1_3repE0EEENS1_38merge_mergepath_config_static_selectorELNS0_4arch9wavefront6targetE1EEEvSJ_.uses_vcc, 0
	.set _ZN7rocprim17ROCPRIM_400000_NS6detail17trampoline_kernelINS0_14default_configENS1_38merge_sort_block_merge_config_selectorIyyEEZZNS1_27merge_sort_block_merge_implIS3_N6thrust23THRUST_200600_302600_NS6detail15normal_iteratorINS8_10device_ptrIyEEEESD_jNS1_19radix_merge_compareILb0ELb1EyNS0_19identity_decomposerEEEEE10hipError_tT0_T1_T2_jT3_P12ihipStream_tbPNSt15iterator_traitsISI_E10value_typeEPNSO_ISJ_E10value_typeEPSK_NS1_7vsmem_tEENKUlT_SI_SJ_SK_E_clIPySD_S10_SD_EESH_SX_SI_SJ_SK_EUlSX_E0_NS1_11comp_targetILNS1_3genE10ELNS1_11target_archE1201ELNS1_3gpuE5ELNS1_3repE0EEENS1_38merge_mergepath_config_static_selectorELNS0_4arch9wavefront6targetE1EEEvSJ_.uses_flat_scratch, 0
	.set _ZN7rocprim17ROCPRIM_400000_NS6detail17trampoline_kernelINS0_14default_configENS1_38merge_sort_block_merge_config_selectorIyyEEZZNS1_27merge_sort_block_merge_implIS3_N6thrust23THRUST_200600_302600_NS6detail15normal_iteratorINS8_10device_ptrIyEEEESD_jNS1_19radix_merge_compareILb0ELb1EyNS0_19identity_decomposerEEEEE10hipError_tT0_T1_T2_jT3_P12ihipStream_tbPNSt15iterator_traitsISI_E10value_typeEPNSO_ISJ_E10value_typeEPSK_NS1_7vsmem_tEENKUlT_SI_SJ_SK_E_clIPySD_S10_SD_EESH_SX_SI_SJ_SK_EUlSX_E0_NS1_11comp_targetILNS1_3genE10ELNS1_11target_archE1201ELNS1_3gpuE5ELNS1_3repE0EEENS1_38merge_mergepath_config_static_selectorELNS0_4arch9wavefront6targetE1EEEvSJ_.has_dyn_sized_stack, 0
	.set _ZN7rocprim17ROCPRIM_400000_NS6detail17trampoline_kernelINS0_14default_configENS1_38merge_sort_block_merge_config_selectorIyyEEZZNS1_27merge_sort_block_merge_implIS3_N6thrust23THRUST_200600_302600_NS6detail15normal_iteratorINS8_10device_ptrIyEEEESD_jNS1_19radix_merge_compareILb0ELb1EyNS0_19identity_decomposerEEEEE10hipError_tT0_T1_T2_jT3_P12ihipStream_tbPNSt15iterator_traitsISI_E10value_typeEPNSO_ISJ_E10value_typeEPSK_NS1_7vsmem_tEENKUlT_SI_SJ_SK_E_clIPySD_S10_SD_EESH_SX_SI_SJ_SK_EUlSX_E0_NS1_11comp_targetILNS1_3genE10ELNS1_11target_archE1201ELNS1_3gpuE5ELNS1_3repE0EEENS1_38merge_mergepath_config_static_selectorELNS0_4arch9wavefront6targetE1EEEvSJ_.has_recursion, 0
	.set _ZN7rocprim17ROCPRIM_400000_NS6detail17trampoline_kernelINS0_14default_configENS1_38merge_sort_block_merge_config_selectorIyyEEZZNS1_27merge_sort_block_merge_implIS3_N6thrust23THRUST_200600_302600_NS6detail15normal_iteratorINS8_10device_ptrIyEEEESD_jNS1_19radix_merge_compareILb0ELb1EyNS0_19identity_decomposerEEEEE10hipError_tT0_T1_T2_jT3_P12ihipStream_tbPNSt15iterator_traitsISI_E10value_typeEPNSO_ISJ_E10value_typeEPSK_NS1_7vsmem_tEENKUlT_SI_SJ_SK_E_clIPySD_S10_SD_EESH_SX_SI_SJ_SK_EUlSX_E0_NS1_11comp_targetILNS1_3genE10ELNS1_11target_archE1201ELNS1_3gpuE5ELNS1_3repE0EEENS1_38merge_mergepath_config_static_selectorELNS0_4arch9wavefront6targetE1EEEvSJ_.has_indirect_call, 0
	.section	.AMDGPU.csdata,"",@progbits
; Kernel info:
; codeLenInByte = 0
; TotalNumSgprs: 6
; NumVgprs: 0
; NumAgprs: 0
; TotalNumVgprs: 0
; ScratchSize: 0
; MemoryBound: 0
; FloatMode: 240
; IeeeMode: 1
; LDSByteSize: 0 bytes/workgroup (compile time only)
; SGPRBlocks: 0
; VGPRBlocks: 0
; NumSGPRsForWavesPerEU: 6
; NumVGPRsForWavesPerEU: 1
; AccumOffset: 4
; Occupancy: 8
; WaveLimiterHint : 0
; COMPUTE_PGM_RSRC2:SCRATCH_EN: 0
; COMPUTE_PGM_RSRC2:USER_SGPR: 2
; COMPUTE_PGM_RSRC2:TRAP_HANDLER: 0
; COMPUTE_PGM_RSRC2:TGID_X_EN: 1
; COMPUTE_PGM_RSRC2:TGID_Y_EN: 0
; COMPUTE_PGM_RSRC2:TGID_Z_EN: 0
; COMPUTE_PGM_RSRC2:TIDIG_COMP_CNT: 0
; COMPUTE_PGM_RSRC3_GFX90A:ACCUM_OFFSET: 0
; COMPUTE_PGM_RSRC3_GFX90A:TG_SPLIT: 0
	.section	.text._ZN7rocprim17ROCPRIM_400000_NS6detail17trampoline_kernelINS0_14default_configENS1_38merge_sort_block_merge_config_selectorIyyEEZZNS1_27merge_sort_block_merge_implIS3_N6thrust23THRUST_200600_302600_NS6detail15normal_iteratorINS8_10device_ptrIyEEEESD_jNS1_19radix_merge_compareILb0ELb1EyNS0_19identity_decomposerEEEEE10hipError_tT0_T1_T2_jT3_P12ihipStream_tbPNSt15iterator_traitsISI_E10value_typeEPNSO_ISJ_E10value_typeEPSK_NS1_7vsmem_tEENKUlT_SI_SJ_SK_E_clIPySD_S10_SD_EESH_SX_SI_SJ_SK_EUlSX_E0_NS1_11comp_targetILNS1_3genE5ELNS1_11target_archE942ELNS1_3gpuE9ELNS1_3repE0EEENS1_38merge_mergepath_config_static_selectorELNS0_4arch9wavefront6targetE1EEEvSJ_,"axG",@progbits,_ZN7rocprim17ROCPRIM_400000_NS6detail17trampoline_kernelINS0_14default_configENS1_38merge_sort_block_merge_config_selectorIyyEEZZNS1_27merge_sort_block_merge_implIS3_N6thrust23THRUST_200600_302600_NS6detail15normal_iteratorINS8_10device_ptrIyEEEESD_jNS1_19radix_merge_compareILb0ELb1EyNS0_19identity_decomposerEEEEE10hipError_tT0_T1_T2_jT3_P12ihipStream_tbPNSt15iterator_traitsISI_E10value_typeEPNSO_ISJ_E10value_typeEPSK_NS1_7vsmem_tEENKUlT_SI_SJ_SK_E_clIPySD_S10_SD_EESH_SX_SI_SJ_SK_EUlSX_E0_NS1_11comp_targetILNS1_3genE5ELNS1_11target_archE942ELNS1_3gpuE9ELNS1_3repE0EEENS1_38merge_mergepath_config_static_selectorELNS0_4arch9wavefront6targetE1EEEvSJ_,comdat
	.protected	_ZN7rocprim17ROCPRIM_400000_NS6detail17trampoline_kernelINS0_14default_configENS1_38merge_sort_block_merge_config_selectorIyyEEZZNS1_27merge_sort_block_merge_implIS3_N6thrust23THRUST_200600_302600_NS6detail15normal_iteratorINS8_10device_ptrIyEEEESD_jNS1_19radix_merge_compareILb0ELb1EyNS0_19identity_decomposerEEEEE10hipError_tT0_T1_T2_jT3_P12ihipStream_tbPNSt15iterator_traitsISI_E10value_typeEPNSO_ISJ_E10value_typeEPSK_NS1_7vsmem_tEENKUlT_SI_SJ_SK_E_clIPySD_S10_SD_EESH_SX_SI_SJ_SK_EUlSX_E0_NS1_11comp_targetILNS1_3genE5ELNS1_11target_archE942ELNS1_3gpuE9ELNS1_3repE0EEENS1_38merge_mergepath_config_static_selectorELNS0_4arch9wavefront6targetE1EEEvSJ_ ; -- Begin function _ZN7rocprim17ROCPRIM_400000_NS6detail17trampoline_kernelINS0_14default_configENS1_38merge_sort_block_merge_config_selectorIyyEEZZNS1_27merge_sort_block_merge_implIS3_N6thrust23THRUST_200600_302600_NS6detail15normal_iteratorINS8_10device_ptrIyEEEESD_jNS1_19radix_merge_compareILb0ELb1EyNS0_19identity_decomposerEEEEE10hipError_tT0_T1_T2_jT3_P12ihipStream_tbPNSt15iterator_traitsISI_E10value_typeEPNSO_ISJ_E10value_typeEPSK_NS1_7vsmem_tEENKUlT_SI_SJ_SK_E_clIPySD_S10_SD_EESH_SX_SI_SJ_SK_EUlSX_E0_NS1_11comp_targetILNS1_3genE5ELNS1_11target_archE942ELNS1_3gpuE9ELNS1_3repE0EEENS1_38merge_mergepath_config_static_selectorELNS0_4arch9wavefront6targetE1EEEvSJ_
	.globl	_ZN7rocprim17ROCPRIM_400000_NS6detail17trampoline_kernelINS0_14default_configENS1_38merge_sort_block_merge_config_selectorIyyEEZZNS1_27merge_sort_block_merge_implIS3_N6thrust23THRUST_200600_302600_NS6detail15normal_iteratorINS8_10device_ptrIyEEEESD_jNS1_19radix_merge_compareILb0ELb1EyNS0_19identity_decomposerEEEEE10hipError_tT0_T1_T2_jT3_P12ihipStream_tbPNSt15iterator_traitsISI_E10value_typeEPNSO_ISJ_E10value_typeEPSK_NS1_7vsmem_tEENKUlT_SI_SJ_SK_E_clIPySD_S10_SD_EESH_SX_SI_SJ_SK_EUlSX_E0_NS1_11comp_targetILNS1_3genE5ELNS1_11target_archE942ELNS1_3gpuE9ELNS1_3repE0EEENS1_38merge_mergepath_config_static_selectorELNS0_4arch9wavefront6targetE1EEEvSJ_
	.p2align	8
	.type	_ZN7rocprim17ROCPRIM_400000_NS6detail17trampoline_kernelINS0_14default_configENS1_38merge_sort_block_merge_config_selectorIyyEEZZNS1_27merge_sort_block_merge_implIS3_N6thrust23THRUST_200600_302600_NS6detail15normal_iteratorINS8_10device_ptrIyEEEESD_jNS1_19radix_merge_compareILb0ELb1EyNS0_19identity_decomposerEEEEE10hipError_tT0_T1_T2_jT3_P12ihipStream_tbPNSt15iterator_traitsISI_E10value_typeEPNSO_ISJ_E10value_typeEPSK_NS1_7vsmem_tEENKUlT_SI_SJ_SK_E_clIPySD_S10_SD_EESH_SX_SI_SJ_SK_EUlSX_E0_NS1_11comp_targetILNS1_3genE5ELNS1_11target_archE942ELNS1_3gpuE9ELNS1_3repE0EEENS1_38merge_mergepath_config_static_selectorELNS0_4arch9wavefront6targetE1EEEvSJ_,@function
_ZN7rocprim17ROCPRIM_400000_NS6detail17trampoline_kernelINS0_14default_configENS1_38merge_sort_block_merge_config_selectorIyyEEZZNS1_27merge_sort_block_merge_implIS3_N6thrust23THRUST_200600_302600_NS6detail15normal_iteratorINS8_10device_ptrIyEEEESD_jNS1_19radix_merge_compareILb0ELb1EyNS0_19identity_decomposerEEEEE10hipError_tT0_T1_T2_jT3_P12ihipStream_tbPNSt15iterator_traitsISI_E10value_typeEPNSO_ISJ_E10value_typeEPSK_NS1_7vsmem_tEENKUlT_SI_SJ_SK_E_clIPySD_S10_SD_EESH_SX_SI_SJ_SK_EUlSX_E0_NS1_11comp_targetILNS1_3genE5ELNS1_11target_archE942ELNS1_3gpuE9ELNS1_3repE0EEENS1_38merge_mergepath_config_static_selectorELNS0_4arch9wavefront6targetE1EEEvSJ_: ; @_ZN7rocprim17ROCPRIM_400000_NS6detail17trampoline_kernelINS0_14default_configENS1_38merge_sort_block_merge_config_selectorIyyEEZZNS1_27merge_sort_block_merge_implIS3_N6thrust23THRUST_200600_302600_NS6detail15normal_iteratorINS8_10device_ptrIyEEEESD_jNS1_19radix_merge_compareILb0ELb1EyNS0_19identity_decomposerEEEEE10hipError_tT0_T1_T2_jT3_P12ihipStream_tbPNSt15iterator_traitsISI_E10value_typeEPNSO_ISJ_E10value_typeEPSK_NS1_7vsmem_tEENKUlT_SI_SJ_SK_E_clIPySD_S10_SD_EESH_SX_SI_SJ_SK_EUlSX_E0_NS1_11comp_targetILNS1_3genE5ELNS1_11target_archE942ELNS1_3gpuE9ELNS1_3repE0EEENS1_38merge_mergepath_config_static_selectorELNS0_4arch9wavefront6targetE1EEEvSJ_
; %bb.0:
	.section	.rodata,"a",@progbits
	.p2align	6, 0x0
	.amdhsa_kernel _ZN7rocprim17ROCPRIM_400000_NS6detail17trampoline_kernelINS0_14default_configENS1_38merge_sort_block_merge_config_selectorIyyEEZZNS1_27merge_sort_block_merge_implIS3_N6thrust23THRUST_200600_302600_NS6detail15normal_iteratorINS8_10device_ptrIyEEEESD_jNS1_19radix_merge_compareILb0ELb1EyNS0_19identity_decomposerEEEEE10hipError_tT0_T1_T2_jT3_P12ihipStream_tbPNSt15iterator_traitsISI_E10value_typeEPNSO_ISJ_E10value_typeEPSK_NS1_7vsmem_tEENKUlT_SI_SJ_SK_E_clIPySD_S10_SD_EESH_SX_SI_SJ_SK_EUlSX_E0_NS1_11comp_targetILNS1_3genE5ELNS1_11target_archE942ELNS1_3gpuE9ELNS1_3repE0EEENS1_38merge_mergepath_config_static_selectorELNS0_4arch9wavefront6targetE1EEEvSJ_
		.amdhsa_group_segment_fixed_size 0
		.amdhsa_private_segment_fixed_size 0
		.amdhsa_kernarg_size 72
		.amdhsa_user_sgpr_count 2
		.amdhsa_user_sgpr_dispatch_ptr 0
		.amdhsa_user_sgpr_queue_ptr 0
		.amdhsa_user_sgpr_kernarg_segment_ptr 1
		.amdhsa_user_sgpr_dispatch_id 0
		.amdhsa_user_sgpr_kernarg_preload_length 0
		.amdhsa_user_sgpr_kernarg_preload_offset 0
		.amdhsa_user_sgpr_private_segment_size 0
		.amdhsa_uses_dynamic_stack 0
		.amdhsa_enable_private_segment 0
		.amdhsa_system_sgpr_workgroup_id_x 1
		.amdhsa_system_sgpr_workgroup_id_y 0
		.amdhsa_system_sgpr_workgroup_id_z 0
		.amdhsa_system_sgpr_workgroup_info 0
		.amdhsa_system_vgpr_workitem_id 0
		.amdhsa_next_free_vgpr 1
		.amdhsa_next_free_sgpr 0
		.amdhsa_accum_offset 4
		.amdhsa_reserve_vcc 0
		.amdhsa_float_round_mode_32 0
		.amdhsa_float_round_mode_16_64 0
		.amdhsa_float_denorm_mode_32 3
		.amdhsa_float_denorm_mode_16_64 3
		.amdhsa_dx10_clamp 1
		.amdhsa_ieee_mode 1
		.amdhsa_fp16_overflow 0
		.amdhsa_tg_split 0
		.amdhsa_exception_fp_ieee_invalid_op 0
		.amdhsa_exception_fp_denorm_src 0
		.amdhsa_exception_fp_ieee_div_zero 0
		.amdhsa_exception_fp_ieee_overflow 0
		.amdhsa_exception_fp_ieee_underflow 0
		.amdhsa_exception_fp_ieee_inexact 0
		.amdhsa_exception_int_div_zero 0
	.end_amdhsa_kernel
	.section	.text._ZN7rocprim17ROCPRIM_400000_NS6detail17trampoline_kernelINS0_14default_configENS1_38merge_sort_block_merge_config_selectorIyyEEZZNS1_27merge_sort_block_merge_implIS3_N6thrust23THRUST_200600_302600_NS6detail15normal_iteratorINS8_10device_ptrIyEEEESD_jNS1_19radix_merge_compareILb0ELb1EyNS0_19identity_decomposerEEEEE10hipError_tT0_T1_T2_jT3_P12ihipStream_tbPNSt15iterator_traitsISI_E10value_typeEPNSO_ISJ_E10value_typeEPSK_NS1_7vsmem_tEENKUlT_SI_SJ_SK_E_clIPySD_S10_SD_EESH_SX_SI_SJ_SK_EUlSX_E0_NS1_11comp_targetILNS1_3genE5ELNS1_11target_archE942ELNS1_3gpuE9ELNS1_3repE0EEENS1_38merge_mergepath_config_static_selectorELNS0_4arch9wavefront6targetE1EEEvSJ_,"axG",@progbits,_ZN7rocprim17ROCPRIM_400000_NS6detail17trampoline_kernelINS0_14default_configENS1_38merge_sort_block_merge_config_selectorIyyEEZZNS1_27merge_sort_block_merge_implIS3_N6thrust23THRUST_200600_302600_NS6detail15normal_iteratorINS8_10device_ptrIyEEEESD_jNS1_19radix_merge_compareILb0ELb1EyNS0_19identity_decomposerEEEEE10hipError_tT0_T1_T2_jT3_P12ihipStream_tbPNSt15iterator_traitsISI_E10value_typeEPNSO_ISJ_E10value_typeEPSK_NS1_7vsmem_tEENKUlT_SI_SJ_SK_E_clIPySD_S10_SD_EESH_SX_SI_SJ_SK_EUlSX_E0_NS1_11comp_targetILNS1_3genE5ELNS1_11target_archE942ELNS1_3gpuE9ELNS1_3repE0EEENS1_38merge_mergepath_config_static_selectorELNS0_4arch9wavefront6targetE1EEEvSJ_,comdat
.Lfunc_end463:
	.size	_ZN7rocprim17ROCPRIM_400000_NS6detail17trampoline_kernelINS0_14default_configENS1_38merge_sort_block_merge_config_selectorIyyEEZZNS1_27merge_sort_block_merge_implIS3_N6thrust23THRUST_200600_302600_NS6detail15normal_iteratorINS8_10device_ptrIyEEEESD_jNS1_19radix_merge_compareILb0ELb1EyNS0_19identity_decomposerEEEEE10hipError_tT0_T1_T2_jT3_P12ihipStream_tbPNSt15iterator_traitsISI_E10value_typeEPNSO_ISJ_E10value_typeEPSK_NS1_7vsmem_tEENKUlT_SI_SJ_SK_E_clIPySD_S10_SD_EESH_SX_SI_SJ_SK_EUlSX_E0_NS1_11comp_targetILNS1_3genE5ELNS1_11target_archE942ELNS1_3gpuE9ELNS1_3repE0EEENS1_38merge_mergepath_config_static_selectorELNS0_4arch9wavefront6targetE1EEEvSJ_, .Lfunc_end463-_ZN7rocprim17ROCPRIM_400000_NS6detail17trampoline_kernelINS0_14default_configENS1_38merge_sort_block_merge_config_selectorIyyEEZZNS1_27merge_sort_block_merge_implIS3_N6thrust23THRUST_200600_302600_NS6detail15normal_iteratorINS8_10device_ptrIyEEEESD_jNS1_19radix_merge_compareILb0ELb1EyNS0_19identity_decomposerEEEEE10hipError_tT0_T1_T2_jT3_P12ihipStream_tbPNSt15iterator_traitsISI_E10value_typeEPNSO_ISJ_E10value_typeEPSK_NS1_7vsmem_tEENKUlT_SI_SJ_SK_E_clIPySD_S10_SD_EESH_SX_SI_SJ_SK_EUlSX_E0_NS1_11comp_targetILNS1_3genE5ELNS1_11target_archE942ELNS1_3gpuE9ELNS1_3repE0EEENS1_38merge_mergepath_config_static_selectorELNS0_4arch9wavefront6targetE1EEEvSJ_
                                        ; -- End function
	.set _ZN7rocprim17ROCPRIM_400000_NS6detail17trampoline_kernelINS0_14default_configENS1_38merge_sort_block_merge_config_selectorIyyEEZZNS1_27merge_sort_block_merge_implIS3_N6thrust23THRUST_200600_302600_NS6detail15normal_iteratorINS8_10device_ptrIyEEEESD_jNS1_19radix_merge_compareILb0ELb1EyNS0_19identity_decomposerEEEEE10hipError_tT0_T1_T2_jT3_P12ihipStream_tbPNSt15iterator_traitsISI_E10value_typeEPNSO_ISJ_E10value_typeEPSK_NS1_7vsmem_tEENKUlT_SI_SJ_SK_E_clIPySD_S10_SD_EESH_SX_SI_SJ_SK_EUlSX_E0_NS1_11comp_targetILNS1_3genE5ELNS1_11target_archE942ELNS1_3gpuE9ELNS1_3repE0EEENS1_38merge_mergepath_config_static_selectorELNS0_4arch9wavefront6targetE1EEEvSJ_.num_vgpr, 0
	.set _ZN7rocprim17ROCPRIM_400000_NS6detail17trampoline_kernelINS0_14default_configENS1_38merge_sort_block_merge_config_selectorIyyEEZZNS1_27merge_sort_block_merge_implIS3_N6thrust23THRUST_200600_302600_NS6detail15normal_iteratorINS8_10device_ptrIyEEEESD_jNS1_19radix_merge_compareILb0ELb1EyNS0_19identity_decomposerEEEEE10hipError_tT0_T1_T2_jT3_P12ihipStream_tbPNSt15iterator_traitsISI_E10value_typeEPNSO_ISJ_E10value_typeEPSK_NS1_7vsmem_tEENKUlT_SI_SJ_SK_E_clIPySD_S10_SD_EESH_SX_SI_SJ_SK_EUlSX_E0_NS1_11comp_targetILNS1_3genE5ELNS1_11target_archE942ELNS1_3gpuE9ELNS1_3repE0EEENS1_38merge_mergepath_config_static_selectorELNS0_4arch9wavefront6targetE1EEEvSJ_.num_agpr, 0
	.set _ZN7rocprim17ROCPRIM_400000_NS6detail17trampoline_kernelINS0_14default_configENS1_38merge_sort_block_merge_config_selectorIyyEEZZNS1_27merge_sort_block_merge_implIS3_N6thrust23THRUST_200600_302600_NS6detail15normal_iteratorINS8_10device_ptrIyEEEESD_jNS1_19radix_merge_compareILb0ELb1EyNS0_19identity_decomposerEEEEE10hipError_tT0_T1_T2_jT3_P12ihipStream_tbPNSt15iterator_traitsISI_E10value_typeEPNSO_ISJ_E10value_typeEPSK_NS1_7vsmem_tEENKUlT_SI_SJ_SK_E_clIPySD_S10_SD_EESH_SX_SI_SJ_SK_EUlSX_E0_NS1_11comp_targetILNS1_3genE5ELNS1_11target_archE942ELNS1_3gpuE9ELNS1_3repE0EEENS1_38merge_mergepath_config_static_selectorELNS0_4arch9wavefront6targetE1EEEvSJ_.numbered_sgpr, 0
	.set _ZN7rocprim17ROCPRIM_400000_NS6detail17trampoline_kernelINS0_14default_configENS1_38merge_sort_block_merge_config_selectorIyyEEZZNS1_27merge_sort_block_merge_implIS3_N6thrust23THRUST_200600_302600_NS6detail15normal_iteratorINS8_10device_ptrIyEEEESD_jNS1_19radix_merge_compareILb0ELb1EyNS0_19identity_decomposerEEEEE10hipError_tT0_T1_T2_jT3_P12ihipStream_tbPNSt15iterator_traitsISI_E10value_typeEPNSO_ISJ_E10value_typeEPSK_NS1_7vsmem_tEENKUlT_SI_SJ_SK_E_clIPySD_S10_SD_EESH_SX_SI_SJ_SK_EUlSX_E0_NS1_11comp_targetILNS1_3genE5ELNS1_11target_archE942ELNS1_3gpuE9ELNS1_3repE0EEENS1_38merge_mergepath_config_static_selectorELNS0_4arch9wavefront6targetE1EEEvSJ_.num_named_barrier, 0
	.set _ZN7rocprim17ROCPRIM_400000_NS6detail17trampoline_kernelINS0_14default_configENS1_38merge_sort_block_merge_config_selectorIyyEEZZNS1_27merge_sort_block_merge_implIS3_N6thrust23THRUST_200600_302600_NS6detail15normal_iteratorINS8_10device_ptrIyEEEESD_jNS1_19radix_merge_compareILb0ELb1EyNS0_19identity_decomposerEEEEE10hipError_tT0_T1_T2_jT3_P12ihipStream_tbPNSt15iterator_traitsISI_E10value_typeEPNSO_ISJ_E10value_typeEPSK_NS1_7vsmem_tEENKUlT_SI_SJ_SK_E_clIPySD_S10_SD_EESH_SX_SI_SJ_SK_EUlSX_E0_NS1_11comp_targetILNS1_3genE5ELNS1_11target_archE942ELNS1_3gpuE9ELNS1_3repE0EEENS1_38merge_mergepath_config_static_selectorELNS0_4arch9wavefront6targetE1EEEvSJ_.private_seg_size, 0
	.set _ZN7rocprim17ROCPRIM_400000_NS6detail17trampoline_kernelINS0_14default_configENS1_38merge_sort_block_merge_config_selectorIyyEEZZNS1_27merge_sort_block_merge_implIS3_N6thrust23THRUST_200600_302600_NS6detail15normal_iteratorINS8_10device_ptrIyEEEESD_jNS1_19radix_merge_compareILb0ELb1EyNS0_19identity_decomposerEEEEE10hipError_tT0_T1_T2_jT3_P12ihipStream_tbPNSt15iterator_traitsISI_E10value_typeEPNSO_ISJ_E10value_typeEPSK_NS1_7vsmem_tEENKUlT_SI_SJ_SK_E_clIPySD_S10_SD_EESH_SX_SI_SJ_SK_EUlSX_E0_NS1_11comp_targetILNS1_3genE5ELNS1_11target_archE942ELNS1_3gpuE9ELNS1_3repE0EEENS1_38merge_mergepath_config_static_selectorELNS0_4arch9wavefront6targetE1EEEvSJ_.uses_vcc, 0
	.set _ZN7rocprim17ROCPRIM_400000_NS6detail17trampoline_kernelINS0_14default_configENS1_38merge_sort_block_merge_config_selectorIyyEEZZNS1_27merge_sort_block_merge_implIS3_N6thrust23THRUST_200600_302600_NS6detail15normal_iteratorINS8_10device_ptrIyEEEESD_jNS1_19radix_merge_compareILb0ELb1EyNS0_19identity_decomposerEEEEE10hipError_tT0_T1_T2_jT3_P12ihipStream_tbPNSt15iterator_traitsISI_E10value_typeEPNSO_ISJ_E10value_typeEPSK_NS1_7vsmem_tEENKUlT_SI_SJ_SK_E_clIPySD_S10_SD_EESH_SX_SI_SJ_SK_EUlSX_E0_NS1_11comp_targetILNS1_3genE5ELNS1_11target_archE942ELNS1_3gpuE9ELNS1_3repE0EEENS1_38merge_mergepath_config_static_selectorELNS0_4arch9wavefront6targetE1EEEvSJ_.uses_flat_scratch, 0
	.set _ZN7rocprim17ROCPRIM_400000_NS6detail17trampoline_kernelINS0_14default_configENS1_38merge_sort_block_merge_config_selectorIyyEEZZNS1_27merge_sort_block_merge_implIS3_N6thrust23THRUST_200600_302600_NS6detail15normal_iteratorINS8_10device_ptrIyEEEESD_jNS1_19radix_merge_compareILb0ELb1EyNS0_19identity_decomposerEEEEE10hipError_tT0_T1_T2_jT3_P12ihipStream_tbPNSt15iterator_traitsISI_E10value_typeEPNSO_ISJ_E10value_typeEPSK_NS1_7vsmem_tEENKUlT_SI_SJ_SK_E_clIPySD_S10_SD_EESH_SX_SI_SJ_SK_EUlSX_E0_NS1_11comp_targetILNS1_3genE5ELNS1_11target_archE942ELNS1_3gpuE9ELNS1_3repE0EEENS1_38merge_mergepath_config_static_selectorELNS0_4arch9wavefront6targetE1EEEvSJ_.has_dyn_sized_stack, 0
	.set _ZN7rocprim17ROCPRIM_400000_NS6detail17trampoline_kernelINS0_14default_configENS1_38merge_sort_block_merge_config_selectorIyyEEZZNS1_27merge_sort_block_merge_implIS3_N6thrust23THRUST_200600_302600_NS6detail15normal_iteratorINS8_10device_ptrIyEEEESD_jNS1_19radix_merge_compareILb0ELb1EyNS0_19identity_decomposerEEEEE10hipError_tT0_T1_T2_jT3_P12ihipStream_tbPNSt15iterator_traitsISI_E10value_typeEPNSO_ISJ_E10value_typeEPSK_NS1_7vsmem_tEENKUlT_SI_SJ_SK_E_clIPySD_S10_SD_EESH_SX_SI_SJ_SK_EUlSX_E0_NS1_11comp_targetILNS1_3genE5ELNS1_11target_archE942ELNS1_3gpuE9ELNS1_3repE0EEENS1_38merge_mergepath_config_static_selectorELNS0_4arch9wavefront6targetE1EEEvSJ_.has_recursion, 0
	.set _ZN7rocprim17ROCPRIM_400000_NS6detail17trampoline_kernelINS0_14default_configENS1_38merge_sort_block_merge_config_selectorIyyEEZZNS1_27merge_sort_block_merge_implIS3_N6thrust23THRUST_200600_302600_NS6detail15normal_iteratorINS8_10device_ptrIyEEEESD_jNS1_19radix_merge_compareILb0ELb1EyNS0_19identity_decomposerEEEEE10hipError_tT0_T1_T2_jT3_P12ihipStream_tbPNSt15iterator_traitsISI_E10value_typeEPNSO_ISJ_E10value_typeEPSK_NS1_7vsmem_tEENKUlT_SI_SJ_SK_E_clIPySD_S10_SD_EESH_SX_SI_SJ_SK_EUlSX_E0_NS1_11comp_targetILNS1_3genE5ELNS1_11target_archE942ELNS1_3gpuE9ELNS1_3repE0EEENS1_38merge_mergepath_config_static_selectorELNS0_4arch9wavefront6targetE1EEEvSJ_.has_indirect_call, 0
	.section	.AMDGPU.csdata,"",@progbits
; Kernel info:
; codeLenInByte = 0
; TotalNumSgprs: 6
; NumVgprs: 0
; NumAgprs: 0
; TotalNumVgprs: 0
; ScratchSize: 0
; MemoryBound: 0
; FloatMode: 240
; IeeeMode: 1
; LDSByteSize: 0 bytes/workgroup (compile time only)
; SGPRBlocks: 0
; VGPRBlocks: 0
; NumSGPRsForWavesPerEU: 6
; NumVGPRsForWavesPerEU: 1
; AccumOffset: 4
; Occupancy: 8
; WaveLimiterHint : 0
; COMPUTE_PGM_RSRC2:SCRATCH_EN: 0
; COMPUTE_PGM_RSRC2:USER_SGPR: 2
; COMPUTE_PGM_RSRC2:TRAP_HANDLER: 0
; COMPUTE_PGM_RSRC2:TGID_X_EN: 1
; COMPUTE_PGM_RSRC2:TGID_Y_EN: 0
; COMPUTE_PGM_RSRC2:TGID_Z_EN: 0
; COMPUTE_PGM_RSRC2:TIDIG_COMP_CNT: 0
; COMPUTE_PGM_RSRC3_GFX90A:ACCUM_OFFSET: 0
; COMPUTE_PGM_RSRC3_GFX90A:TG_SPLIT: 0
	.section	.text._ZN7rocprim17ROCPRIM_400000_NS6detail17trampoline_kernelINS0_14default_configENS1_38merge_sort_block_merge_config_selectorIyyEEZZNS1_27merge_sort_block_merge_implIS3_N6thrust23THRUST_200600_302600_NS6detail15normal_iteratorINS8_10device_ptrIyEEEESD_jNS1_19radix_merge_compareILb0ELb1EyNS0_19identity_decomposerEEEEE10hipError_tT0_T1_T2_jT3_P12ihipStream_tbPNSt15iterator_traitsISI_E10value_typeEPNSO_ISJ_E10value_typeEPSK_NS1_7vsmem_tEENKUlT_SI_SJ_SK_E_clIPySD_S10_SD_EESH_SX_SI_SJ_SK_EUlSX_E0_NS1_11comp_targetILNS1_3genE4ELNS1_11target_archE910ELNS1_3gpuE8ELNS1_3repE0EEENS1_38merge_mergepath_config_static_selectorELNS0_4arch9wavefront6targetE1EEEvSJ_,"axG",@progbits,_ZN7rocprim17ROCPRIM_400000_NS6detail17trampoline_kernelINS0_14default_configENS1_38merge_sort_block_merge_config_selectorIyyEEZZNS1_27merge_sort_block_merge_implIS3_N6thrust23THRUST_200600_302600_NS6detail15normal_iteratorINS8_10device_ptrIyEEEESD_jNS1_19radix_merge_compareILb0ELb1EyNS0_19identity_decomposerEEEEE10hipError_tT0_T1_T2_jT3_P12ihipStream_tbPNSt15iterator_traitsISI_E10value_typeEPNSO_ISJ_E10value_typeEPSK_NS1_7vsmem_tEENKUlT_SI_SJ_SK_E_clIPySD_S10_SD_EESH_SX_SI_SJ_SK_EUlSX_E0_NS1_11comp_targetILNS1_3genE4ELNS1_11target_archE910ELNS1_3gpuE8ELNS1_3repE0EEENS1_38merge_mergepath_config_static_selectorELNS0_4arch9wavefront6targetE1EEEvSJ_,comdat
	.protected	_ZN7rocprim17ROCPRIM_400000_NS6detail17trampoline_kernelINS0_14default_configENS1_38merge_sort_block_merge_config_selectorIyyEEZZNS1_27merge_sort_block_merge_implIS3_N6thrust23THRUST_200600_302600_NS6detail15normal_iteratorINS8_10device_ptrIyEEEESD_jNS1_19radix_merge_compareILb0ELb1EyNS0_19identity_decomposerEEEEE10hipError_tT0_T1_T2_jT3_P12ihipStream_tbPNSt15iterator_traitsISI_E10value_typeEPNSO_ISJ_E10value_typeEPSK_NS1_7vsmem_tEENKUlT_SI_SJ_SK_E_clIPySD_S10_SD_EESH_SX_SI_SJ_SK_EUlSX_E0_NS1_11comp_targetILNS1_3genE4ELNS1_11target_archE910ELNS1_3gpuE8ELNS1_3repE0EEENS1_38merge_mergepath_config_static_selectorELNS0_4arch9wavefront6targetE1EEEvSJ_ ; -- Begin function _ZN7rocprim17ROCPRIM_400000_NS6detail17trampoline_kernelINS0_14default_configENS1_38merge_sort_block_merge_config_selectorIyyEEZZNS1_27merge_sort_block_merge_implIS3_N6thrust23THRUST_200600_302600_NS6detail15normal_iteratorINS8_10device_ptrIyEEEESD_jNS1_19radix_merge_compareILb0ELb1EyNS0_19identity_decomposerEEEEE10hipError_tT0_T1_T2_jT3_P12ihipStream_tbPNSt15iterator_traitsISI_E10value_typeEPNSO_ISJ_E10value_typeEPSK_NS1_7vsmem_tEENKUlT_SI_SJ_SK_E_clIPySD_S10_SD_EESH_SX_SI_SJ_SK_EUlSX_E0_NS1_11comp_targetILNS1_3genE4ELNS1_11target_archE910ELNS1_3gpuE8ELNS1_3repE0EEENS1_38merge_mergepath_config_static_selectorELNS0_4arch9wavefront6targetE1EEEvSJ_
	.globl	_ZN7rocprim17ROCPRIM_400000_NS6detail17trampoline_kernelINS0_14default_configENS1_38merge_sort_block_merge_config_selectorIyyEEZZNS1_27merge_sort_block_merge_implIS3_N6thrust23THRUST_200600_302600_NS6detail15normal_iteratorINS8_10device_ptrIyEEEESD_jNS1_19radix_merge_compareILb0ELb1EyNS0_19identity_decomposerEEEEE10hipError_tT0_T1_T2_jT3_P12ihipStream_tbPNSt15iterator_traitsISI_E10value_typeEPNSO_ISJ_E10value_typeEPSK_NS1_7vsmem_tEENKUlT_SI_SJ_SK_E_clIPySD_S10_SD_EESH_SX_SI_SJ_SK_EUlSX_E0_NS1_11comp_targetILNS1_3genE4ELNS1_11target_archE910ELNS1_3gpuE8ELNS1_3repE0EEENS1_38merge_mergepath_config_static_selectorELNS0_4arch9wavefront6targetE1EEEvSJ_
	.p2align	8
	.type	_ZN7rocprim17ROCPRIM_400000_NS6detail17trampoline_kernelINS0_14default_configENS1_38merge_sort_block_merge_config_selectorIyyEEZZNS1_27merge_sort_block_merge_implIS3_N6thrust23THRUST_200600_302600_NS6detail15normal_iteratorINS8_10device_ptrIyEEEESD_jNS1_19radix_merge_compareILb0ELb1EyNS0_19identity_decomposerEEEEE10hipError_tT0_T1_T2_jT3_P12ihipStream_tbPNSt15iterator_traitsISI_E10value_typeEPNSO_ISJ_E10value_typeEPSK_NS1_7vsmem_tEENKUlT_SI_SJ_SK_E_clIPySD_S10_SD_EESH_SX_SI_SJ_SK_EUlSX_E0_NS1_11comp_targetILNS1_3genE4ELNS1_11target_archE910ELNS1_3gpuE8ELNS1_3repE0EEENS1_38merge_mergepath_config_static_selectorELNS0_4arch9wavefront6targetE1EEEvSJ_,@function
_ZN7rocprim17ROCPRIM_400000_NS6detail17trampoline_kernelINS0_14default_configENS1_38merge_sort_block_merge_config_selectorIyyEEZZNS1_27merge_sort_block_merge_implIS3_N6thrust23THRUST_200600_302600_NS6detail15normal_iteratorINS8_10device_ptrIyEEEESD_jNS1_19radix_merge_compareILb0ELb1EyNS0_19identity_decomposerEEEEE10hipError_tT0_T1_T2_jT3_P12ihipStream_tbPNSt15iterator_traitsISI_E10value_typeEPNSO_ISJ_E10value_typeEPSK_NS1_7vsmem_tEENKUlT_SI_SJ_SK_E_clIPySD_S10_SD_EESH_SX_SI_SJ_SK_EUlSX_E0_NS1_11comp_targetILNS1_3genE4ELNS1_11target_archE910ELNS1_3gpuE8ELNS1_3repE0EEENS1_38merge_mergepath_config_static_selectorELNS0_4arch9wavefront6targetE1EEEvSJ_: ; @_ZN7rocprim17ROCPRIM_400000_NS6detail17trampoline_kernelINS0_14default_configENS1_38merge_sort_block_merge_config_selectorIyyEEZZNS1_27merge_sort_block_merge_implIS3_N6thrust23THRUST_200600_302600_NS6detail15normal_iteratorINS8_10device_ptrIyEEEESD_jNS1_19radix_merge_compareILb0ELb1EyNS0_19identity_decomposerEEEEE10hipError_tT0_T1_T2_jT3_P12ihipStream_tbPNSt15iterator_traitsISI_E10value_typeEPNSO_ISJ_E10value_typeEPSK_NS1_7vsmem_tEENKUlT_SI_SJ_SK_E_clIPySD_S10_SD_EESH_SX_SI_SJ_SK_EUlSX_E0_NS1_11comp_targetILNS1_3genE4ELNS1_11target_archE910ELNS1_3gpuE8ELNS1_3repE0EEENS1_38merge_mergepath_config_static_selectorELNS0_4arch9wavefront6targetE1EEEvSJ_
; %bb.0:
	.section	.rodata,"a",@progbits
	.p2align	6, 0x0
	.amdhsa_kernel _ZN7rocprim17ROCPRIM_400000_NS6detail17trampoline_kernelINS0_14default_configENS1_38merge_sort_block_merge_config_selectorIyyEEZZNS1_27merge_sort_block_merge_implIS3_N6thrust23THRUST_200600_302600_NS6detail15normal_iteratorINS8_10device_ptrIyEEEESD_jNS1_19radix_merge_compareILb0ELb1EyNS0_19identity_decomposerEEEEE10hipError_tT0_T1_T2_jT3_P12ihipStream_tbPNSt15iterator_traitsISI_E10value_typeEPNSO_ISJ_E10value_typeEPSK_NS1_7vsmem_tEENKUlT_SI_SJ_SK_E_clIPySD_S10_SD_EESH_SX_SI_SJ_SK_EUlSX_E0_NS1_11comp_targetILNS1_3genE4ELNS1_11target_archE910ELNS1_3gpuE8ELNS1_3repE0EEENS1_38merge_mergepath_config_static_selectorELNS0_4arch9wavefront6targetE1EEEvSJ_
		.amdhsa_group_segment_fixed_size 0
		.amdhsa_private_segment_fixed_size 0
		.amdhsa_kernarg_size 72
		.amdhsa_user_sgpr_count 2
		.amdhsa_user_sgpr_dispatch_ptr 0
		.amdhsa_user_sgpr_queue_ptr 0
		.amdhsa_user_sgpr_kernarg_segment_ptr 1
		.amdhsa_user_sgpr_dispatch_id 0
		.amdhsa_user_sgpr_kernarg_preload_length 0
		.amdhsa_user_sgpr_kernarg_preload_offset 0
		.amdhsa_user_sgpr_private_segment_size 0
		.amdhsa_uses_dynamic_stack 0
		.amdhsa_enable_private_segment 0
		.amdhsa_system_sgpr_workgroup_id_x 1
		.amdhsa_system_sgpr_workgroup_id_y 0
		.amdhsa_system_sgpr_workgroup_id_z 0
		.amdhsa_system_sgpr_workgroup_info 0
		.amdhsa_system_vgpr_workitem_id 0
		.amdhsa_next_free_vgpr 1
		.amdhsa_next_free_sgpr 0
		.amdhsa_accum_offset 4
		.amdhsa_reserve_vcc 0
		.amdhsa_float_round_mode_32 0
		.amdhsa_float_round_mode_16_64 0
		.amdhsa_float_denorm_mode_32 3
		.amdhsa_float_denorm_mode_16_64 3
		.amdhsa_dx10_clamp 1
		.amdhsa_ieee_mode 1
		.amdhsa_fp16_overflow 0
		.amdhsa_tg_split 0
		.amdhsa_exception_fp_ieee_invalid_op 0
		.amdhsa_exception_fp_denorm_src 0
		.amdhsa_exception_fp_ieee_div_zero 0
		.amdhsa_exception_fp_ieee_overflow 0
		.amdhsa_exception_fp_ieee_underflow 0
		.amdhsa_exception_fp_ieee_inexact 0
		.amdhsa_exception_int_div_zero 0
	.end_amdhsa_kernel
	.section	.text._ZN7rocprim17ROCPRIM_400000_NS6detail17trampoline_kernelINS0_14default_configENS1_38merge_sort_block_merge_config_selectorIyyEEZZNS1_27merge_sort_block_merge_implIS3_N6thrust23THRUST_200600_302600_NS6detail15normal_iteratorINS8_10device_ptrIyEEEESD_jNS1_19radix_merge_compareILb0ELb1EyNS0_19identity_decomposerEEEEE10hipError_tT0_T1_T2_jT3_P12ihipStream_tbPNSt15iterator_traitsISI_E10value_typeEPNSO_ISJ_E10value_typeEPSK_NS1_7vsmem_tEENKUlT_SI_SJ_SK_E_clIPySD_S10_SD_EESH_SX_SI_SJ_SK_EUlSX_E0_NS1_11comp_targetILNS1_3genE4ELNS1_11target_archE910ELNS1_3gpuE8ELNS1_3repE0EEENS1_38merge_mergepath_config_static_selectorELNS0_4arch9wavefront6targetE1EEEvSJ_,"axG",@progbits,_ZN7rocprim17ROCPRIM_400000_NS6detail17trampoline_kernelINS0_14default_configENS1_38merge_sort_block_merge_config_selectorIyyEEZZNS1_27merge_sort_block_merge_implIS3_N6thrust23THRUST_200600_302600_NS6detail15normal_iteratorINS8_10device_ptrIyEEEESD_jNS1_19radix_merge_compareILb0ELb1EyNS0_19identity_decomposerEEEEE10hipError_tT0_T1_T2_jT3_P12ihipStream_tbPNSt15iterator_traitsISI_E10value_typeEPNSO_ISJ_E10value_typeEPSK_NS1_7vsmem_tEENKUlT_SI_SJ_SK_E_clIPySD_S10_SD_EESH_SX_SI_SJ_SK_EUlSX_E0_NS1_11comp_targetILNS1_3genE4ELNS1_11target_archE910ELNS1_3gpuE8ELNS1_3repE0EEENS1_38merge_mergepath_config_static_selectorELNS0_4arch9wavefront6targetE1EEEvSJ_,comdat
.Lfunc_end464:
	.size	_ZN7rocprim17ROCPRIM_400000_NS6detail17trampoline_kernelINS0_14default_configENS1_38merge_sort_block_merge_config_selectorIyyEEZZNS1_27merge_sort_block_merge_implIS3_N6thrust23THRUST_200600_302600_NS6detail15normal_iteratorINS8_10device_ptrIyEEEESD_jNS1_19radix_merge_compareILb0ELb1EyNS0_19identity_decomposerEEEEE10hipError_tT0_T1_T2_jT3_P12ihipStream_tbPNSt15iterator_traitsISI_E10value_typeEPNSO_ISJ_E10value_typeEPSK_NS1_7vsmem_tEENKUlT_SI_SJ_SK_E_clIPySD_S10_SD_EESH_SX_SI_SJ_SK_EUlSX_E0_NS1_11comp_targetILNS1_3genE4ELNS1_11target_archE910ELNS1_3gpuE8ELNS1_3repE0EEENS1_38merge_mergepath_config_static_selectorELNS0_4arch9wavefront6targetE1EEEvSJ_, .Lfunc_end464-_ZN7rocprim17ROCPRIM_400000_NS6detail17trampoline_kernelINS0_14default_configENS1_38merge_sort_block_merge_config_selectorIyyEEZZNS1_27merge_sort_block_merge_implIS3_N6thrust23THRUST_200600_302600_NS6detail15normal_iteratorINS8_10device_ptrIyEEEESD_jNS1_19radix_merge_compareILb0ELb1EyNS0_19identity_decomposerEEEEE10hipError_tT0_T1_T2_jT3_P12ihipStream_tbPNSt15iterator_traitsISI_E10value_typeEPNSO_ISJ_E10value_typeEPSK_NS1_7vsmem_tEENKUlT_SI_SJ_SK_E_clIPySD_S10_SD_EESH_SX_SI_SJ_SK_EUlSX_E0_NS1_11comp_targetILNS1_3genE4ELNS1_11target_archE910ELNS1_3gpuE8ELNS1_3repE0EEENS1_38merge_mergepath_config_static_selectorELNS0_4arch9wavefront6targetE1EEEvSJ_
                                        ; -- End function
	.set _ZN7rocprim17ROCPRIM_400000_NS6detail17trampoline_kernelINS0_14default_configENS1_38merge_sort_block_merge_config_selectorIyyEEZZNS1_27merge_sort_block_merge_implIS3_N6thrust23THRUST_200600_302600_NS6detail15normal_iteratorINS8_10device_ptrIyEEEESD_jNS1_19radix_merge_compareILb0ELb1EyNS0_19identity_decomposerEEEEE10hipError_tT0_T1_T2_jT3_P12ihipStream_tbPNSt15iterator_traitsISI_E10value_typeEPNSO_ISJ_E10value_typeEPSK_NS1_7vsmem_tEENKUlT_SI_SJ_SK_E_clIPySD_S10_SD_EESH_SX_SI_SJ_SK_EUlSX_E0_NS1_11comp_targetILNS1_3genE4ELNS1_11target_archE910ELNS1_3gpuE8ELNS1_3repE0EEENS1_38merge_mergepath_config_static_selectorELNS0_4arch9wavefront6targetE1EEEvSJ_.num_vgpr, 0
	.set _ZN7rocprim17ROCPRIM_400000_NS6detail17trampoline_kernelINS0_14default_configENS1_38merge_sort_block_merge_config_selectorIyyEEZZNS1_27merge_sort_block_merge_implIS3_N6thrust23THRUST_200600_302600_NS6detail15normal_iteratorINS8_10device_ptrIyEEEESD_jNS1_19radix_merge_compareILb0ELb1EyNS0_19identity_decomposerEEEEE10hipError_tT0_T1_T2_jT3_P12ihipStream_tbPNSt15iterator_traitsISI_E10value_typeEPNSO_ISJ_E10value_typeEPSK_NS1_7vsmem_tEENKUlT_SI_SJ_SK_E_clIPySD_S10_SD_EESH_SX_SI_SJ_SK_EUlSX_E0_NS1_11comp_targetILNS1_3genE4ELNS1_11target_archE910ELNS1_3gpuE8ELNS1_3repE0EEENS1_38merge_mergepath_config_static_selectorELNS0_4arch9wavefront6targetE1EEEvSJ_.num_agpr, 0
	.set _ZN7rocprim17ROCPRIM_400000_NS6detail17trampoline_kernelINS0_14default_configENS1_38merge_sort_block_merge_config_selectorIyyEEZZNS1_27merge_sort_block_merge_implIS3_N6thrust23THRUST_200600_302600_NS6detail15normal_iteratorINS8_10device_ptrIyEEEESD_jNS1_19radix_merge_compareILb0ELb1EyNS0_19identity_decomposerEEEEE10hipError_tT0_T1_T2_jT3_P12ihipStream_tbPNSt15iterator_traitsISI_E10value_typeEPNSO_ISJ_E10value_typeEPSK_NS1_7vsmem_tEENKUlT_SI_SJ_SK_E_clIPySD_S10_SD_EESH_SX_SI_SJ_SK_EUlSX_E0_NS1_11comp_targetILNS1_3genE4ELNS1_11target_archE910ELNS1_3gpuE8ELNS1_3repE0EEENS1_38merge_mergepath_config_static_selectorELNS0_4arch9wavefront6targetE1EEEvSJ_.numbered_sgpr, 0
	.set _ZN7rocprim17ROCPRIM_400000_NS6detail17trampoline_kernelINS0_14default_configENS1_38merge_sort_block_merge_config_selectorIyyEEZZNS1_27merge_sort_block_merge_implIS3_N6thrust23THRUST_200600_302600_NS6detail15normal_iteratorINS8_10device_ptrIyEEEESD_jNS1_19radix_merge_compareILb0ELb1EyNS0_19identity_decomposerEEEEE10hipError_tT0_T1_T2_jT3_P12ihipStream_tbPNSt15iterator_traitsISI_E10value_typeEPNSO_ISJ_E10value_typeEPSK_NS1_7vsmem_tEENKUlT_SI_SJ_SK_E_clIPySD_S10_SD_EESH_SX_SI_SJ_SK_EUlSX_E0_NS1_11comp_targetILNS1_3genE4ELNS1_11target_archE910ELNS1_3gpuE8ELNS1_3repE0EEENS1_38merge_mergepath_config_static_selectorELNS0_4arch9wavefront6targetE1EEEvSJ_.num_named_barrier, 0
	.set _ZN7rocprim17ROCPRIM_400000_NS6detail17trampoline_kernelINS0_14default_configENS1_38merge_sort_block_merge_config_selectorIyyEEZZNS1_27merge_sort_block_merge_implIS3_N6thrust23THRUST_200600_302600_NS6detail15normal_iteratorINS8_10device_ptrIyEEEESD_jNS1_19radix_merge_compareILb0ELb1EyNS0_19identity_decomposerEEEEE10hipError_tT0_T1_T2_jT3_P12ihipStream_tbPNSt15iterator_traitsISI_E10value_typeEPNSO_ISJ_E10value_typeEPSK_NS1_7vsmem_tEENKUlT_SI_SJ_SK_E_clIPySD_S10_SD_EESH_SX_SI_SJ_SK_EUlSX_E0_NS1_11comp_targetILNS1_3genE4ELNS1_11target_archE910ELNS1_3gpuE8ELNS1_3repE0EEENS1_38merge_mergepath_config_static_selectorELNS0_4arch9wavefront6targetE1EEEvSJ_.private_seg_size, 0
	.set _ZN7rocprim17ROCPRIM_400000_NS6detail17trampoline_kernelINS0_14default_configENS1_38merge_sort_block_merge_config_selectorIyyEEZZNS1_27merge_sort_block_merge_implIS3_N6thrust23THRUST_200600_302600_NS6detail15normal_iteratorINS8_10device_ptrIyEEEESD_jNS1_19radix_merge_compareILb0ELb1EyNS0_19identity_decomposerEEEEE10hipError_tT0_T1_T2_jT3_P12ihipStream_tbPNSt15iterator_traitsISI_E10value_typeEPNSO_ISJ_E10value_typeEPSK_NS1_7vsmem_tEENKUlT_SI_SJ_SK_E_clIPySD_S10_SD_EESH_SX_SI_SJ_SK_EUlSX_E0_NS1_11comp_targetILNS1_3genE4ELNS1_11target_archE910ELNS1_3gpuE8ELNS1_3repE0EEENS1_38merge_mergepath_config_static_selectorELNS0_4arch9wavefront6targetE1EEEvSJ_.uses_vcc, 0
	.set _ZN7rocprim17ROCPRIM_400000_NS6detail17trampoline_kernelINS0_14default_configENS1_38merge_sort_block_merge_config_selectorIyyEEZZNS1_27merge_sort_block_merge_implIS3_N6thrust23THRUST_200600_302600_NS6detail15normal_iteratorINS8_10device_ptrIyEEEESD_jNS1_19radix_merge_compareILb0ELb1EyNS0_19identity_decomposerEEEEE10hipError_tT0_T1_T2_jT3_P12ihipStream_tbPNSt15iterator_traitsISI_E10value_typeEPNSO_ISJ_E10value_typeEPSK_NS1_7vsmem_tEENKUlT_SI_SJ_SK_E_clIPySD_S10_SD_EESH_SX_SI_SJ_SK_EUlSX_E0_NS1_11comp_targetILNS1_3genE4ELNS1_11target_archE910ELNS1_3gpuE8ELNS1_3repE0EEENS1_38merge_mergepath_config_static_selectorELNS0_4arch9wavefront6targetE1EEEvSJ_.uses_flat_scratch, 0
	.set _ZN7rocprim17ROCPRIM_400000_NS6detail17trampoline_kernelINS0_14default_configENS1_38merge_sort_block_merge_config_selectorIyyEEZZNS1_27merge_sort_block_merge_implIS3_N6thrust23THRUST_200600_302600_NS6detail15normal_iteratorINS8_10device_ptrIyEEEESD_jNS1_19radix_merge_compareILb0ELb1EyNS0_19identity_decomposerEEEEE10hipError_tT0_T1_T2_jT3_P12ihipStream_tbPNSt15iterator_traitsISI_E10value_typeEPNSO_ISJ_E10value_typeEPSK_NS1_7vsmem_tEENKUlT_SI_SJ_SK_E_clIPySD_S10_SD_EESH_SX_SI_SJ_SK_EUlSX_E0_NS1_11comp_targetILNS1_3genE4ELNS1_11target_archE910ELNS1_3gpuE8ELNS1_3repE0EEENS1_38merge_mergepath_config_static_selectorELNS0_4arch9wavefront6targetE1EEEvSJ_.has_dyn_sized_stack, 0
	.set _ZN7rocprim17ROCPRIM_400000_NS6detail17trampoline_kernelINS0_14default_configENS1_38merge_sort_block_merge_config_selectorIyyEEZZNS1_27merge_sort_block_merge_implIS3_N6thrust23THRUST_200600_302600_NS6detail15normal_iteratorINS8_10device_ptrIyEEEESD_jNS1_19radix_merge_compareILb0ELb1EyNS0_19identity_decomposerEEEEE10hipError_tT0_T1_T2_jT3_P12ihipStream_tbPNSt15iterator_traitsISI_E10value_typeEPNSO_ISJ_E10value_typeEPSK_NS1_7vsmem_tEENKUlT_SI_SJ_SK_E_clIPySD_S10_SD_EESH_SX_SI_SJ_SK_EUlSX_E0_NS1_11comp_targetILNS1_3genE4ELNS1_11target_archE910ELNS1_3gpuE8ELNS1_3repE0EEENS1_38merge_mergepath_config_static_selectorELNS0_4arch9wavefront6targetE1EEEvSJ_.has_recursion, 0
	.set _ZN7rocprim17ROCPRIM_400000_NS6detail17trampoline_kernelINS0_14default_configENS1_38merge_sort_block_merge_config_selectorIyyEEZZNS1_27merge_sort_block_merge_implIS3_N6thrust23THRUST_200600_302600_NS6detail15normal_iteratorINS8_10device_ptrIyEEEESD_jNS1_19radix_merge_compareILb0ELb1EyNS0_19identity_decomposerEEEEE10hipError_tT0_T1_T2_jT3_P12ihipStream_tbPNSt15iterator_traitsISI_E10value_typeEPNSO_ISJ_E10value_typeEPSK_NS1_7vsmem_tEENKUlT_SI_SJ_SK_E_clIPySD_S10_SD_EESH_SX_SI_SJ_SK_EUlSX_E0_NS1_11comp_targetILNS1_3genE4ELNS1_11target_archE910ELNS1_3gpuE8ELNS1_3repE0EEENS1_38merge_mergepath_config_static_selectorELNS0_4arch9wavefront6targetE1EEEvSJ_.has_indirect_call, 0
	.section	.AMDGPU.csdata,"",@progbits
; Kernel info:
; codeLenInByte = 0
; TotalNumSgprs: 6
; NumVgprs: 0
; NumAgprs: 0
; TotalNumVgprs: 0
; ScratchSize: 0
; MemoryBound: 0
; FloatMode: 240
; IeeeMode: 1
; LDSByteSize: 0 bytes/workgroup (compile time only)
; SGPRBlocks: 0
; VGPRBlocks: 0
; NumSGPRsForWavesPerEU: 6
; NumVGPRsForWavesPerEU: 1
; AccumOffset: 4
; Occupancy: 8
; WaveLimiterHint : 0
; COMPUTE_PGM_RSRC2:SCRATCH_EN: 0
; COMPUTE_PGM_RSRC2:USER_SGPR: 2
; COMPUTE_PGM_RSRC2:TRAP_HANDLER: 0
; COMPUTE_PGM_RSRC2:TGID_X_EN: 1
; COMPUTE_PGM_RSRC2:TGID_Y_EN: 0
; COMPUTE_PGM_RSRC2:TGID_Z_EN: 0
; COMPUTE_PGM_RSRC2:TIDIG_COMP_CNT: 0
; COMPUTE_PGM_RSRC3_GFX90A:ACCUM_OFFSET: 0
; COMPUTE_PGM_RSRC3_GFX90A:TG_SPLIT: 0
	.section	.text._ZN7rocprim17ROCPRIM_400000_NS6detail17trampoline_kernelINS0_14default_configENS1_38merge_sort_block_merge_config_selectorIyyEEZZNS1_27merge_sort_block_merge_implIS3_N6thrust23THRUST_200600_302600_NS6detail15normal_iteratorINS8_10device_ptrIyEEEESD_jNS1_19radix_merge_compareILb0ELb1EyNS0_19identity_decomposerEEEEE10hipError_tT0_T1_T2_jT3_P12ihipStream_tbPNSt15iterator_traitsISI_E10value_typeEPNSO_ISJ_E10value_typeEPSK_NS1_7vsmem_tEENKUlT_SI_SJ_SK_E_clIPySD_S10_SD_EESH_SX_SI_SJ_SK_EUlSX_E0_NS1_11comp_targetILNS1_3genE3ELNS1_11target_archE908ELNS1_3gpuE7ELNS1_3repE0EEENS1_38merge_mergepath_config_static_selectorELNS0_4arch9wavefront6targetE1EEEvSJ_,"axG",@progbits,_ZN7rocprim17ROCPRIM_400000_NS6detail17trampoline_kernelINS0_14default_configENS1_38merge_sort_block_merge_config_selectorIyyEEZZNS1_27merge_sort_block_merge_implIS3_N6thrust23THRUST_200600_302600_NS6detail15normal_iteratorINS8_10device_ptrIyEEEESD_jNS1_19radix_merge_compareILb0ELb1EyNS0_19identity_decomposerEEEEE10hipError_tT0_T1_T2_jT3_P12ihipStream_tbPNSt15iterator_traitsISI_E10value_typeEPNSO_ISJ_E10value_typeEPSK_NS1_7vsmem_tEENKUlT_SI_SJ_SK_E_clIPySD_S10_SD_EESH_SX_SI_SJ_SK_EUlSX_E0_NS1_11comp_targetILNS1_3genE3ELNS1_11target_archE908ELNS1_3gpuE7ELNS1_3repE0EEENS1_38merge_mergepath_config_static_selectorELNS0_4arch9wavefront6targetE1EEEvSJ_,comdat
	.protected	_ZN7rocprim17ROCPRIM_400000_NS6detail17trampoline_kernelINS0_14default_configENS1_38merge_sort_block_merge_config_selectorIyyEEZZNS1_27merge_sort_block_merge_implIS3_N6thrust23THRUST_200600_302600_NS6detail15normal_iteratorINS8_10device_ptrIyEEEESD_jNS1_19radix_merge_compareILb0ELb1EyNS0_19identity_decomposerEEEEE10hipError_tT0_T1_T2_jT3_P12ihipStream_tbPNSt15iterator_traitsISI_E10value_typeEPNSO_ISJ_E10value_typeEPSK_NS1_7vsmem_tEENKUlT_SI_SJ_SK_E_clIPySD_S10_SD_EESH_SX_SI_SJ_SK_EUlSX_E0_NS1_11comp_targetILNS1_3genE3ELNS1_11target_archE908ELNS1_3gpuE7ELNS1_3repE0EEENS1_38merge_mergepath_config_static_selectorELNS0_4arch9wavefront6targetE1EEEvSJ_ ; -- Begin function _ZN7rocprim17ROCPRIM_400000_NS6detail17trampoline_kernelINS0_14default_configENS1_38merge_sort_block_merge_config_selectorIyyEEZZNS1_27merge_sort_block_merge_implIS3_N6thrust23THRUST_200600_302600_NS6detail15normal_iteratorINS8_10device_ptrIyEEEESD_jNS1_19radix_merge_compareILb0ELb1EyNS0_19identity_decomposerEEEEE10hipError_tT0_T1_T2_jT3_P12ihipStream_tbPNSt15iterator_traitsISI_E10value_typeEPNSO_ISJ_E10value_typeEPSK_NS1_7vsmem_tEENKUlT_SI_SJ_SK_E_clIPySD_S10_SD_EESH_SX_SI_SJ_SK_EUlSX_E0_NS1_11comp_targetILNS1_3genE3ELNS1_11target_archE908ELNS1_3gpuE7ELNS1_3repE0EEENS1_38merge_mergepath_config_static_selectorELNS0_4arch9wavefront6targetE1EEEvSJ_
	.globl	_ZN7rocprim17ROCPRIM_400000_NS6detail17trampoline_kernelINS0_14default_configENS1_38merge_sort_block_merge_config_selectorIyyEEZZNS1_27merge_sort_block_merge_implIS3_N6thrust23THRUST_200600_302600_NS6detail15normal_iteratorINS8_10device_ptrIyEEEESD_jNS1_19radix_merge_compareILb0ELb1EyNS0_19identity_decomposerEEEEE10hipError_tT0_T1_T2_jT3_P12ihipStream_tbPNSt15iterator_traitsISI_E10value_typeEPNSO_ISJ_E10value_typeEPSK_NS1_7vsmem_tEENKUlT_SI_SJ_SK_E_clIPySD_S10_SD_EESH_SX_SI_SJ_SK_EUlSX_E0_NS1_11comp_targetILNS1_3genE3ELNS1_11target_archE908ELNS1_3gpuE7ELNS1_3repE0EEENS1_38merge_mergepath_config_static_selectorELNS0_4arch9wavefront6targetE1EEEvSJ_
	.p2align	8
	.type	_ZN7rocprim17ROCPRIM_400000_NS6detail17trampoline_kernelINS0_14default_configENS1_38merge_sort_block_merge_config_selectorIyyEEZZNS1_27merge_sort_block_merge_implIS3_N6thrust23THRUST_200600_302600_NS6detail15normal_iteratorINS8_10device_ptrIyEEEESD_jNS1_19radix_merge_compareILb0ELb1EyNS0_19identity_decomposerEEEEE10hipError_tT0_T1_T2_jT3_P12ihipStream_tbPNSt15iterator_traitsISI_E10value_typeEPNSO_ISJ_E10value_typeEPSK_NS1_7vsmem_tEENKUlT_SI_SJ_SK_E_clIPySD_S10_SD_EESH_SX_SI_SJ_SK_EUlSX_E0_NS1_11comp_targetILNS1_3genE3ELNS1_11target_archE908ELNS1_3gpuE7ELNS1_3repE0EEENS1_38merge_mergepath_config_static_selectorELNS0_4arch9wavefront6targetE1EEEvSJ_,@function
_ZN7rocprim17ROCPRIM_400000_NS6detail17trampoline_kernelINS0_14default_configENS1_38merge_sort_block_merge_config_selectorIyyEEZZNS1_27merge_sort_block_merge_implIS3_N6thrust23THRUST_200600_302600_NS6detail15normal_iteratorINS8_10device_ptrIyEEEESD_jNS1_19radix_merge_compareILb0ELb1EyNS0_19identity_decomposerEEEEE10hipError_tT0_T1_T2_jT3_P12ihipStream_tbPNSt15iterator_traitsISI_E10value_typeEPNSO_ISJ_E10value_typeEPSK_NS1_7vsmem_tEENKUlT_SI_SJ_SK_E_clIPySD_S10_SD_EESH_SX_SI_SJ_SK_EUlSX_E0_NS1_11comp_targetILNS1_3genE3ELNS1_11target_archE908ELNS1_3gpuE7ELNS1_3repE0EEENS1_38merge_mergepath_config_static_selectorELNS0_4arch9wavefront6targetE1EEEvSJ_: ; @_ZN7rocprim17ROCPRIM_400000_NS6detail17trampoline_kernelINS0_14default_configENS1_38merge_sort_block_merge_config_selectorIyyEEZZNS1_27merge_sort_block_merge_implIS3_N6thrust23THRUST_200600_302600_NS6detail15normal_iteratorINS8_10device_ptrIyEEEESD_jNS1_19radix_merge_compareILb0ELb1EyNS0_19identity_decomposerEEEEE10hipError_tT0_T1_T2_jT3_P12ihipStream_tbPNSt15iterator_traitsISI_E10value_typeEPNSO_ISJ_E10value_typeEPSK_NS1_7vsmem_tEENKUlT_SI_SJ_SK_E_clIPySD_S10_SD_EESH_SX_SI_SJ_SK_EUlSX_E0_NS1_11comp_targetILNS1_3genE3ELNS1_11target_archE908ELNS1_3gpuE7ELNS1_3repE0EEENS1_38merge_mergepath_config_static_selectorELNS0_4arch9wavefront6targetE1EEEvSJ_
; %bb.0:
	.section	.rodata,"a",@progbits
	.p2align	6, 0x0
	.amdhsa_kernel _ZN7rocprim17ROCPRIM_400000_NS6detail17trampoline_kernelINS0_14default_configENS1_38merge_sort_block_merge_config_selectorIyyEEZZNS1_27merge_sort_block_merge_implIS3_N6thrust23THRUST_200600_302600_NS6detail15normal_iteratorINS8_10device_ptrIyEEEESD_jNS1_19radix_merge_compareILb0ELb1EyNS0_19identity_decomposerEEEEE10hipError_tT0_T1_T2_jT3_P12ihipStream_tbPNSt15iterator_traitsISI_E10value_typeEPNSO_ISJ_E10value_typeEPSK_NS1_7vsmem_tEENKUlT_SI_SJ_SK_E_clIPySD_S10_SD_EESH_SX_SI_SJ_SK_EUlSX_E0_NS1_11comp_targetILNS1_3genE3ELNS1_11target_archE908ELNS1_3gpuE7ELNS1_3repE0EEENS1_38merge_mergepath_config_static_selectorELNS0_4arch9wavefront6targetE1EEEvSJ_
		.amdhsa_group_segment_fixed_size 0
		.amdhsa_private_segment_fixed_size 0
		.amdhsa_kernarg_size 72
		.amdhsa_user_sgpr_count 2
		.amdhsa_user_sgpr_dispatch_ptr 0
		.amdhsa_user_sgpr_queue_ptr 0
		.amdhsa_user_sgpr_kernarg_segment_ptr 1
		.amdhsa_user_sgpr_dispatch_id 0
		.amdhsa_user_sgpr_kernarg_preload_length 0
		.amdhsa_user_sgpr_kernarg_preload_offset 0
		.amdhsa_user_sgpr_private_segment_size 0
		.amdhsa_uses_dynamic_stack 0
		.amdhsa_enable_private_segment 0
		.amdhsa_system_sgpr_workgroup_id_x 1
		.amdhsa_system_sgpr_workgroup_id_y 0
		.amdhsa_system_sgpr_workgroup_id_z 0
		.amdhsa_system_sgpr_workgroup_info 0
		.amdhsa_system_vgpr_workitem_id 0
		.amdhsa_next_free_vgpr 1
		.amdhsa_next_free_sgpr 0
		.amdhsa_accum_offset 4
		.amdhsa_reserve_vcc 0
		.amdhsa_float_round_mode_32 0
		.amdhsa_float_round_mode_16_64 0
		.amdhsa_float_denorm_mode_32 3
		.amdhsa_float_denorm_mode_16_64 3
		.amdhsa_dx10_clamp 1
		.amdhsa_ieee_mode 1
		.amdhsa_fp16_overflow 0
		.amdhsa_tg_split 0
		.amdhsa_exception_fp_ieee_invalid_op 0
		.amdhsa_exception_fp_denorm_src 0
		.amdhsa_exception_fp_ieee_div_zero 0
		.amdhsa_exception_fp_ieee_overflow 0
		.amdhsa_exception_fp_ieee_underflow 0
		.amdhsa_exception_fp_ieee_inexact 0
		.amdhsa_exception_int_div_zero 0
	.end_amdhsa_kernel
	.section	.text._ZN7rocprim17ROCPRIM_400000_NS6detail17trampoline_kernelINS0_14default_configENS1_38merge_sort_block_merge_config_selectorIyyEEZZNS1_27merge_sort_block_merge_implIS3_N6thrust23THRUST_200600_302600_NS6detail15normal_iteratorINS8_10device_ptrIyEEEESD_jNS1_19radix_merge_compareILb0ELb1EyNS0_19identity_decomposerEEEEE10hipError_tT0_T1_T2_jT3_P12ihipStream_tbPNSt15iterator_traitsISI_E10value_typeEPNSO_ISJ_E10value_typeEPSK_NS1_7vsmem_tEENKUlT_SI_SJ_SK_E_clIPySD_S10_SD_EESH_SX_SI_SJ_SK_EUlSX_E0_NS1_11comp_targetILNS1_3genE3ELNS1_11target_archE908ELNS1_3gpuE7ELNS1_3repE0EEENS1_38merge_mergepath_config_static_selectorELNS0_4arch9wavefront6targetE1EEEvSJ_,"axG",@progbits,_ZN7rocprim17ROCPRIM_400000_NS6detail17trampoline_kernelINS0_14default_configENS1_38merge_sort_block_merge_config_selectorIyyEEZZNS1_27merge_sort_block_merge_implIS3_N6thrust23THRUST_200600_302600_NS6detail15normal_iteratorINS8_10device_ptrIyEEEESD_jNS1_19radix_merge_compareILb0ELb1EyNS0_19identity_decomposerEEEEE10hipError_tT0_T1_T2_jT3_P12ihipStream_tbPNSt15iterator_traitsISI_E10value_typeEPNSO_ISJ_E10value_typeEPSK_NS1_7vsmem_tEENKUlT_SI_SJ_SK_E_clIPySD_S10_SD_EESH_SX_SI_SJ_SK_EUlSX_E0_NS1_11comp_targetILNS1_3genE3ELNS1_11target_archE908ELNS1_3gpuE7ELNS1_3repE0EEENS1_38merge_mergepath_config_static_selectorELNS0_4arch9wavefront6targetE1EEEvSJ_,comdat
.Lfunc_end465:
	.size	_ZN7rocprim17ROCPRIM_400000_NS6detail17trampoline_kernelINS0_14default_configENS1_38merge_sort_block_merge_config_selectorIyyEEZZNS1_27merge_sort_block_merge_implIS3_N6thrust23THRUST_200600_302600_NS6detail15normal_iteratorINS8_10device_ptrIyEEEESD_jNS1_19radix_merge_compareILb0ELb1EyNS0_19identity_decomposerEEEEE10hipError_tT0_T1_T2_jT3_P12ihipStream_tbPNSt15iterator_traitsISI_E10value_typeEPNSO_ISJ_E10value_typeEPSK_NS1_7vsmem_tEENKUlT_SI_SJ_SK_E_clIPySD_S10_SD_EESH_SX_SI_SJ_SK_EUlSX_E0_NS1_11comp_targetILNS1_3genE3ELNS1_11target_archE908ELNS1_3gpuE7ELNS1_3repE0EEENS1_38merge_mergepath_config_static_selectorELNS0_4arch9wavefront6targetE1EEEvSJ_, .Lfunc_end465-_ZN7rocprim17ROCPRIM_400000_NS6detail17trampoline_kernelINS0_14default_configENS1_38merge_sort_block_merge_config_selectorIyyEEZZNS1_27merge_sort_block_merge_implIS3_N6thrust23THRUST_200600_302600_NS6detail15normal_iteratorINS8_10device_ptrIyEEEESD_jNS1_19radix_merge_compareILb0ELb1EyNS0_19identity_decomposerEEEEE10hipError_tT0_T1_T2_jT3_P12ihipStream_tbPNSt15iterator_traitsISI_E10value_typeEPNSO_ISJ_E10value_typeEPSK_NS1_7vsmem_tEENKUlT_SI_SJ_SK_E_clIPySD_S10_SD_EESH_SX_SI_SJ_SK_EUlSX_E0_NS1_11comp_targetILNS1_3genE3ELNS1_11target_archE908ELNS1_3gpuE7ELNS1_3repE0EEENS1_38merge_mergepath_config_static_selectorELNS0_4arch9wavefront6targetE1EEEvSJ_
                                        ; -- End function
	.set _ZN7rocprim17ROCPRIM_400000_NS6detail17trampoline_kernelINS0_14default_configENS1_38merge_sort_block_merge_config_selectorIyyEEZZNS1_27merge_sort_block_merge_implIS3_N6thrust23THRUST_200600_302600_NS6detail15normal_iteratorINS8_10device_ptrIyEEEESD_jNS1_19radix_merge_compareILb0ELb1EyNS0_19identity_decomposerEEEEE10hipError_tT0_T1_T2_jT3_P12ihipStream_tbPNSt15iterator_traitsISI_E10value_typeEPNSO_ISJ_E10value_typeEPSK_NS1_7vsmem_tEENKUlT_SI_SJ_SK_E_clIPySD_S10_SD_EESH_SX_SI_SJ_SK_EUlSX_E0_NS1_11comp_targetILNS1_3genE3ELNS1_11target_archE908ELNS1_3gpuE7ELNS1_3repE0EEENS1_38merge_mergepath_config_static_selectorELNS0_4arch9wavefront6targetE1EEEvSJ_.num_vgpr, 0
	.set _ZN7rocprim17ROCPRIM_400000_NS6detail17trampoline_kernelINS0_14default_configENS1_38merge_sort_block_merge_config_selectorIyyEEZZNS1_27merge_sort_block_merge_implIS3_N6thrust23THRUST_200600_302600_NS6detail15normal_iteratorINS8_10device_ptrIyEEEESD_jNS1_19radix_merge_compareILb0ELb1EyNS0_19identity_decomposerEEEEE10hipError_tT0_T1_T2_jT3_P12ihipStream_tbPNSt15iterator_traitsISI_E10value_typeEPNSO_ISJ_E10value_typeEPSK_NS1_7vsmem_tEENKUlT_SI_SJ_SK_E_clIPySD_S10_SD_EESH_SX_SI_SJ_SK_EUlSX_E0_NS1_11comp_targetILNS1_3genE3ELNS1_11target_archE908ELNS1_3gpuE7ELNS1_3repE0EEENS1_38merge_mergepath_config_static_selectorELNS0_4arch9wavefront6targetE1EEEvSJ_.num_agpr, 0
	.set _ZN7rocprim17ROCPRIM_400000_NS6detail17trampoline_kernelINS0_14default_configENS1_38merge_sort_block_merge_config_selectorIyyEEZZNS1_27merge_sort_block_merge_implIS3_N6thrust23THRUST_200600_302600_NS6detail15normal_iteratorINS8_10device_ptrIyEEEESD_jNS1_19radix_merge_compareILb0ELb1EyNS0_19identity_decomposerEEEEE10hipError_tT0_T1_T2_jT3_P12ihipStream_tbPNSt15iterator_traitsISI_E10value_typeEPNSO_ISJ_E10value_typeEPSK_NS1_7vsmem_tEENKUlT_SI_SJ_SK_E_clIPySD_S10_SD_EESH_SX_SI_SJ_SK_EUlSX_E0_NS1_11comp_targetILNS1_3genE3ELNS1_11target_archE908ELNS1_3gpuE7ELNS1_3repE0EEENS1_38merge_mergepath_config_static_selectorELNS0_4arch9wavefront6targetE1EEEvSJ_.numbered_sgpr, 0
	.set _ZN7rocprim17ROCPRIM_400000_NS6detail17trampoline_kernelINS0_14default_configENS1_38merge_sort_block_merge_config_selectorIyyEEZZNS1_27merge_sort_block_merge_implIS3_N6thrust23THRUST_200600_302600_NS6detail15normal_iteratorINS8_10device_ptrIyEEEESD_jNS1_19radix_merge_compareILb0ELb1EyNS0_19identity_decomposerEEEEE10hipError_tT0_T1_T2_jT3_P12ihipStream_tbPNSt15iterator_traitsISI_E10value_typeEPNSO_ISJ_E10value_typeEPSK_NS1_7vsmem_tEENKUlT_SI_SJ_SK_E_clIPySD_S10_SD_EESH_SX_SI_SJ_SK_EUlSX_E0_NS1_11comp_targetILNS1_3genE3ELNS1_11target_archE908ELNS1_3gpuE7ELNS1_3repE0EEENS1_38merge_mergepath_config_static_selectorELNS0_4arch9wavefront6targetE1EEEvSJ_.num_named_barrier, 0
	.set _ZN7rocprim17ROCPRIM_400000_NS6detail17trampoline_kernelINS0_14default_configENS1_38merge_sort_block_merge_config_selectorIyyEEZZNS1_27merge_sort_block_merge_implIS3_N6thrust23THRUST_200600_302600_NS6detail15normal_iteratorINS8_10device_ptrIyEEEESD_jNS1_19radix_merge_compareILb0ELb1EyNS0_19identity_decomposerEEEEE10hipError_tT0_T1_T2_jT3_P12ihipStream_tbPNSt15iterator_traitsISI_E10value_typeEPNSO_ISJ_E10value_typeEPSK_NS1_7vsmem_tEENKUlT_SI_SJ_SK_E_clIPySD_S10_SD_EESH_SX_SI_SJ_SK_EUlSX_E0_NS1_11comp_targetILNS1_3genE3ELNS1_11target_archE908ELNS1_3gpuE7ELNS1_3repE0EEENS1_38merge_mergepath_config_static_selectorELNS0_4arch9wavefront6targetE1EEEvSJ_.private_seg_size, 0
	.set _ZN7rocprim17ROCPRIM_400000_NS6detail17trampoline_kernelINS0_14default_configENS1_38merge_sort_block_merge_config_selectorIyyEEZZNS1_27merge_sort_block_merge_implIS3_N6thrust23THRUST_200600_302600_NS6detail15normal_iteratorINS8_10device_ptrIyEEEESD_jNS1_19radix_merge_compareILb0ELb1EyNS0_19identity_decomposerEEEEE10hipError_tT0_T1_T2_jT3_P12ihipStream_tbPNSt15iterator_traitsISI_E10value_typeEPNSO_ISJ_E10value_typeEPSK_NS1_7vsmem_tEENKUlT_SI_SJ_SK_E_clIPySD_S10_SD_EESH_SX_SI_SJ_SK_EUlSX_E0_NS1_11comp_targetILNS1_3genE3ELNS1_11target_archE908ELNS1_3gpuE7ELNS1_3repE0EEENS1_38merge_mergepath_config_static_selectorELNS0_4arch9wavefront6targetE1EEEvSJ_.uses_vcc, 0
	.set _ZN7rocprim17ROCPRIM_400000_NS6detail17trampoline_kernelINS0_14default_configENS1_38merge_sort_block_merge_config_selectorIyyEEZZNS1_27merge_sort_block_merge_implIS3_N6thrust23THRUST_200600_302600_NS6detail15normal_iteratorINS8_10device_ptrIyEEEESD_jNS1_19radix_merge_compareILb0ELb1EyNS0_19identity_decomposerEEEEE10hipError_tT0_T1_T2_jT3_P12ihipStream_tbPNSt15iterator_traitsISI_E10value_typeEPNSO_ISJ_E10value_typeEPSK_NS1_7vsmem_tEENKUlT_SI_SJ_SK_E_clIPySD_S10_SD_EESH_SX_SI_SJ_SK_EUlSX_E0_NS1_11comp_targetILNS1_3genE3ELNS1_11target_archE908ELNS1_3gpuE7ELNS1_3repE0EEENS1_38merge_mergepath_config_static_selectorELNS0_4arch9wavefront6targetE1EEEvSJ_.uses_flat_scratch, 0
	.set _ZN7rocprim17ROCPRIM_400000_NS6detail17trampoline_kernelINS0_14default_configENS1_38merge_sort_block_merge_config_selectorIyyEEZZNS1_27merge_sort_block_merge_implIS3_N6thrust23THRUST_200600_302600_NS6detail15normal_iteratorINS8_10device_ptrIyEEEESD_jNS1_19radix_merge_compareILb0ELb1EyNS0_19identity_decomposerEEEEE10hipError_tT0_T1_T2_jT3_P12ihipStream_tbPNSt15iterator_traitsISI_E10value_typeEPNSO_ISJ_E10value_typeEPSK_NS1_7vsmem_tEENKUlT_SI_SJ_SK_E_clIPySD_S10_SD_EESH_SX_SI_SJ_SK_EUlSX_E0_NS1_11comp_targetILNS1_3genE3ELNS1_11target_archE908ELNS1_3gpuE7ELNS1_3repE0EEENS1_38merge_mergepath_config_static_selectorELNS0_4arch9wavefront6targetE1EEEvSJ_.has_dyn_sized_stack, 0
	.set _ZN7rocprim17ROCPRIM_400000_NS6detail17trampoline_kernelINS0_14default_configENS1_38merge_sort_block_merge_config_selectorIyyEEZZNS1_27merge_sort_block_merge_implIS3_N6thrust23THRUST_200600_302600_NS6detail15normal_iteratorINS8_10device_ptrIyEEEESD_jNS1_19radix_merge_compareILb0ELb1EyNS0_19identity_decomposerEEEEE10hipError_tT0_T1_T2_jT3_P12ihipStream_tbPNSt15iterator_traitsISI_E10value_typeEPNSO_ISJ_E10value_typeEPSK_NS1_7vsmem_tEENKUlT_SI_SJ_SK_E_clIPySD_S10_SD_EESH_SX_SI_SJ_SK_EUlSX_E0_NS1_11comp_targetILNS1_3genE3ELNS1_11target_archE908ELNS1_3gpuE7ELNS1_3repE0EEENS1_38merge_mergepath_config_static_selectorELNS0_4arch9wavefront6targetE1EEEvSJ_.has_recursion, 0
	.set _ZN7rocprim17ROCPRIM_400000_NS6detail17trampoline_kernelINS0_14default_configENS1_38merge_sort_block_merge_config_selectorIyyEEZZNS1_27merge_sort_block_merge_implIS3_N6thrust23THRUST_200600_302600_NS6detail15normal_iteratorINS8_10device_ptrIyEEEESD_jNS1_19radix_merge_compareILb0ELb1EyNS0_19identity_decomposerEEEEE10hipError_tT0_T1_T2_jT3_P12ihipStream_tbPNSt15iterator_traitsISI_E10value_typeEPNSO_ISJ_E10value_typeEPSK_NS1_7vsmem_tEENKUlT_SI_SJ_SK_E_clIPySD_S10_SD_EESH_SX_SI_SJ_SK_EUlSX_E0_NS1_11comp_targetILNS1_3genE3ELNS1_11target_archE908ELNS1_3gpuE7ELNS1_3repE0EEENS1_38merge_mergepath_config_static_selectorELNS0_4arch9wavefront6targetE1EEEvSJ_.has_indirect_call, 0
	.section	.AMDGPU.csdata,"",@progbits
; Kernel info:
; codeLenInByte = 0
; TotalNumSgprs: 6
; NumVgprs: 0
; NumAgprs: 0
; TotalNumVgprs: 0
; ScratchSize: 0
; MemoryBound: 0
; FloatMode: 240
; IeeeMode: 1
; LDSByteSize: 0 bytes/workgroup (compile time only)
; SGPRBlocks: 0
; VGPRBlocks: 0
; NumSGPRsForWavesPerEU: 6
; NumVGPRsForWavesPerEU: 1
; AccumOffset: 4
; Occupancy: 8
; WaveLimiterHint : 0
; COMPUTE_PGM_RSRC2:SCRATCH_EN: 0
; COMPUTE_PGM_RSRC2:USER_SGPR: 2
; COMPUTE_PGM_RSRC2:TRAP_HANDLER: 0
; COMPUTE_PGM_RSRC2:TGID_X_EN: 1
; COMPUTE_PGM_RSRC2:TGID_Y_EN: 0
; COMPUTE_PGM_RSRC2:TGID_Z_EN: 0
; COMPUTE_PGM_RSRC2:TIDIG_COMP_CNT: 0
; COMPUTE_PGM_RSRC3_GFX90A:ACCUM_OFFSET: 0
; COMPUTE_PGM_RSRC3_GFX90A:TG_SPLIT: 0
	.section	.text._ZN7rocprim17ROCPRIM_400000_NS6detail17trampoline_kernelINS0_14default_configENS1_38merge_sort_block_merge_config_selectorIyyEEZZNS1_27merge_sort_block_merge_implIS3_N6thrust23THRUST_200600_302600_NS6detail15normal_iteratorINS8_10device_ptrIyEEEESD_jNS1_19radix_merge_compareILb0ELb1EyNS0_19identity_decomposerEEEEE10hipError_tT0_T1_T2_jT3_P12ihipStream_tbPNSt15iterator_traitsISI_E10value_typeEPNSO_ISJ_E10value_typeEPSK_NS1_7vsmem_tEENKUlT_SI_SJ_SK_E_clIPySD_S10_SD_EESH_SX_SI_SJ_SK_EUlSX_E0_NS1_11comp_targetILNS1_3genE2ELNS1_11target_archE906ELNS1_3gpuE6ELNS1_3repE0EEENS1_38merge_mergepath_config_static_selectorELNS0_4arch9wavefront6targetE1EEEvSJ_,"axG",@progbits,_ZN7rocprim17ROCPRIM_400000_NS6detail17trampoline_kernelINS0_14default_configENS1_38merge_sort_block_merge_config_selectorIyyEEZZNS1_27merge_sort_block_merge_implIS3_N6thrust23THRUST_200600_302600_NS6detail15normal_iteratorINS8_10device_ptrIyEEEESD_jNS1_19radix_merge_compareILb0ELb1EyNS0_19identity_decomposerEEEEE10hipError_tT0_T1_T2_jT3_P12ihipStream_tbPNSt15iterator_traitsISI_E10value_typeEPNSO_ISJ_E10value_typeEPSK_NS1_7vsmem_tEENKUlT_SI_SJ_SK_E_clIPySD_S10_SD_EESH_SX_SI_SJ_SK_EUlSX_E0_NS1_11comp_targetILNS1_3genE2ELNS1_11target_archE906ELNS1_3gpuE6ELNS1_3repE0EEENS1_38merge_mergepath_config_static_selectorELNS0_4arch9wavefront6targetE1EEEvSJ_,comdat
	.protected	_ZN7rocprim17ROCPRIM_400000_NS6detail17trampoline_kernelINS0_14default_configENS1_38merge_sort_block_merge_config_selectorIyyEEZZNS1_27merge_sort_block_merge_implIS3_N6thrust23THRUST_200600_302600_NS6detail15normal_iteratorINS8_10device_ptrIyEEEESD_jNS1_19radix_merge_compareILb0ELb1EyNS0_19identity_decomposerEEEEE10hipError_tT0_T1_T2_jT3_P12ihipStream_tbPNSt15iterator_traitsISI_E10value_typeEPNSO_ISJ_E10value_typeEPSK_NS1_7vsmem_tEENKUlT_SI_SJ_SK_E_clIPySD_S10_SD_EESH_SX_SI_SJ_SK_EUlSX_E0_NS1_11comp_targetILNS1_3genE2ELNS1_11target_archE906ELNS1_3gpuE6ELNS1_3repE0EEENS1_38merge_mergepath_config_static_selectorELNS0_4arch9wavefront6targetE1EEEvSJ_ ; -- Begin function _ZN7rocprim17ROCPRIM_400000_NS6detail17trampoline_kernelINS0_14default_configENS1_38merge_sort_block_merge_config_selectorIyyEEZZNS1_27merge_sort_block_merge_implIS3_N6thrust23THRUST_200600_302600_NS6detail15normal_iteratorINS8_10device_ptrIyEEEESD_jNS1_19radix_merge_compareILb0ELb1EyNS0_19identity_decomposerEEEEE10hipError_tT0_T1_T2_jT3_P12ihipStream_tbPNSt15iterator_traitsISI_E10value_typeEPNSO_ISJ_E10value_typeEPSK_NS1_7vsmem_tEENKUlT_SI_SJ_SK_E_clIPySD_S10_SD_EESH_SX_SI_SJ_SK_EUlSX_E0_NS1_11comp_targetILNS1_3genE2ELNS1_11target_archE906ELNS1_3gpuE6ELNS1_3repE0EEENS1_38merge_mergepath_config_static_selectorELNS0_4arch9wavefront6targetE1EEEvSJ_
	.globl	_ZN7rocprim17ROCPRIM_400000_NS6detail17trampoline_kernelINS0_14default_configENS1_38merge_sort_block_merge_config_selectorIyyEEZZNS1_27merge_sort_block_merge_implIS3_N6thrust23THRUST_200600_302600_NS6detail15normal_iteratorINS8_10device_ptrIyEEEESD_jNS1_19radix_merge_compareILb0ELb1EyNS0_19identity_decomposerEEEEE10hipError_tT0_T1_T2_jT3_P12ihipStream_tbPNSt15iterator_traitsISI_E10value_typeEPNSO_ISJ_E10value_typeEPSK_NS1_7vsmem_tEENKUlT_SI_SJ_SK_E_clIPySD_S10_SD_EESH_SX_SI_SJ_SK_EUlSX_E0_NS1_11comp_targetILNS1_3genE2ELNS1_11target_archE906ELNS1_3gpuE6ELNS1_3repE0EEENS1_38merge_mergepath_config_static_selectorELNS0_4arch9wavefront6targetE1EEEvSJ_
	.p2align	8
	.type	_ZN7rocprim17ROCPRIM_400000_NS6detail17trampoline_kernelINS0_14default_configENS1_38merge_sort_block_merge_config_selectorIyyEEZZNS1_27merge_sort_block_merge_implIS3_N6thrust23THRUST_200600_302600_NS6detail15normal_iteratorINS8_10device_ptrIyEEEESD_jNS1_19radix_merge_compareILb0ELb1EyNS0_19identity_decomposerEEEEE10hipError_tT0_T1_T2_jT3_P12ihipStream_tbPNSt15iterator_traitsISI_E10value_typeEPNSO_ISJ_E10value_typeEPSK_NS1_7vsmem_tEENKUlT_SI_SJ_SK_E_clIPySD_S10_SD_EESH_SX_SI_SJ_SK_EUlSX_E0_NS1_11comp_targetILNS1_3genE2ELNS1_11target_archE906ELNS1_3gpuE6ELNS1_3repE0EEENS1_38merge_mergepath_config_static_selectorELNS0_4arch9wavefront6targetE1EEEvSJ_,@function
_ZN7rocprim17ROCPRIM_400000_NS6detail17trampoline_kernelINS0_14default_configENS1_38merge_sort_block_merge_config_selectorIyyEEZZNS1_27merge_sort_block_merge_implIS3_N6thrust23THRUST_200600_302600_NS6detail15normal_iteratorINS8_10device_ptrIyEEEESD_jNS1_19radix_merge_compareILb0ELb1EyNS0_19identity_decomposerEEEEE10hipError_tT0_T1_T2_jT3_P12ihipStream_tbPNSt15iterator_traitsISI_E10value_typeEPNSO_ISJ_E10value_typeEPSK_NS1_7vsmem_tEENKUlT_SI_SJ_SK_E_clIPySD_S10_SD_EESH_SX_SI_SJ_SK_EUlSX_E0_NS1_11comp_targetILNS1_3genE2ELNS1_11target_archE906ELNS1_3gpuE6ELNS1_3repE0EEENS1_38merge_mergepath_config_static_selectorELNS0_4arch9wavefront6targetE1EEEvSJ_: ; @_ZN7rocprim17ROCPRIM_400000_NS6detail17trampoline_kernelINS0_14default_configENS1_38merge_sort_block_merge_config_selectorIyyEEZZNS1_27merge_sort_block_merge_implIS3_N6thrust23THRUST_200600_302600_NS6detail15normal_iteratorINS8_10device_ptrIyEEEESD_jNS1_19radix_merge_compareILb0ELb1EyNS0_19identity_decomposerEEEEE10hipError_tT0_T1_T2_jT3_P12ihipStream_tbPNSt15iterator_traitsISI_E10value_typeEPNSO_ISJ_E10value_typeEPSK_NS1_7vsmem_tEENKUlT_SI_SJ_SK_E_clIPySD_S10_SD_EESH_SX_SI_SJ_SK_EUlSX_E0_NS1_11comp_targetILNS1_3genE2ELNS1_11target_archE906ELNS1_3gpuE6ELNS1_3repE0EEENS1_38merge_mergepath_config_static_selectorELNS0_4arch9wavefront6targetE1EEEvSJ_
; %bb.0:
	.section	.rodata,"a",@progbits
	.p2align	6, 0x0
	.amdhsa_kernel _ZN7rocprim17ROCPRIM_400000_NS6detail17trampoline_kernelINS0_14default_configENS1_38merge_sort_block_merge_config_selectorIyyEEZZNS1_27merge_sort_block_merge_implIS3_N6thrust23THRUST_200600_302600_NS6detail15normal_iteratorINS8_10device_ptrIyEEEESD_jNS1_19radix_merge_compareILb0ELb1EyNS0_19identity_decomposerEEEEE10hipError_tT0_T1_T2_jT3_P12ihipStream_tbPNSt15iterator_traitsISI_E10value_typeEPNSO_ISJ_E10value_typeEPSK_NS1_7vsmem_tEENKUlT_SI_SJ_SK_E_clIPySD_S10_SD_EESH_SX_SI_SJ_SK_EUlSX_E0_NS1_11comp_targetILNS1_3genE2ELNS1_11target_archE906ELNS1_3gpuE6ELNS1_3repE0EEENS1_38merge_mergepath_config_static_selectorELNS0_4arch9wavefront6targetE1EEEvSJ_
		.amdhsa_group_segment_fixed_size 0
		.amdhsa_private_segment_fixed_size 0
		.amdhsa_kernarg_size 72
		.amdhsa_user_sgpr_count 2
		.amdhsa_user_sgpr_dispatch_ptr 0
		.amdhsa_user_sgpr_queue_ptr 0
		.amdhsa_user_sgpr_kernarg_segment_ptr 1
		.amdhsa_user_sgpr_dispatch_id 0
		.amdhsa_user_sgpr_kernarg_preload_length 0
		.amdhsa_user_sgpr_kernarg_preload_offset 0
		.amdhsa_user_sgpr_private_segment_size 0
		.amdhsa_uses_dynamic_stack 0
		.amdhsa_enable_private_segment 0
		.amdhsa_system_sgpr_workgroup_id_x 1
		.amdhsa_system_sgpr_workgroup_id_y 0
		.amdhsa_system_sgpr_workgroup_id_z 0
		.amdhsa_system_sgpr_workgroup_info 0
		.amdhsa_system_vgpr_workitem_id 0
		.amdhsa_next_free_vgpr 1
		.amdhsa_next_free_sgpr 0
		.amdhsa_accum_offset 4
		.amdhsa_reserve_vcc 0
		.amdhsa_float_round_mode_32 0
		.amdhsa_float_round_mode_16_64 0
		.amdhsa_float_denorm_mode_32 3
		.amdhsa_float_denorm_mode_16_64 3
		.amdhsa_dx10_clamp 1
		.amdhsa_ieee_mode 1
		.amdhsa_fp16_overflow 0
		.amdhsa_tg_split 0
		.amdhsa_exception_fp_ieee_invalid_op 0
		.amdhsa_exception_fp_denorm_src 0
		.amdhsa_exception_fp_ieee_div_zero 0
		.amdhsa_exception_fp_ieee_overflow 0
		.amdhsa_exception_fp_ieee_underflow 0
		.amdhsa_exception_fp_ieee_inexact 0
		.amdhsa_exception_int_div_zero 0
	.end_amdhsa_kernel
	.section	.text._ZN7rocprim17ROCPRIM_400000_NS6detail17trampoline_kernelINS0_14default_configENS1_38merge_sort_block_merge_config_selectorIyyEEZZNS1_27merge_sort_block_merge_implIS3_N6thrust23THRUST_200600_302600_NS6detail15normal_iteratorINS8_10device_ptrIyEEEESD_jNS1_19radix_merge_compareILb0ELb1EyNS0_19identity_decomposerEEEEE10hipError_tT0_T1_T2_jT3_P12ihipStream_tbPNSt15iterator_traitsISI_E10value_typeEPNSO_ISJ_E10value_typeEPSK_NS1_7vsmem_tEENKUlT_SI_SJ_SK_E_clIPySD_S10_SD_EESH_SX_SI_SJ_SK_EUlSX_E0_NS1_11comp_targetILNS1_3genE2ELNS1_11target_archE906ELNS1_3gpuE6ELNS1_3repE0EEENS1_38merge_mergepath_config_static_selectorELNS0_4arch9wavefront6targetE1EEEvSJ_,"axG",@progbits,_ZN7rocprim17ROCPRIM_400000_NS6detail17trampoline_kernelINS0_14default_configENS1_38merge_sort_block_merge_config_selectorIyyEEZZNS1_27merge_sort_block_merge_implIS3_N6thrust23THRUST_200600_302600_NS6detail15normal_iteratorINS8_10device_ptrIyEEEESD_jNS1_19radix_merge_compareILb0ELb1EyNS0_19identity_decomposerEEEEE10hipError_tT0_T1_T2_jT3_P12ihipStream_tbPNSt15iterator_traitsISI_E10value_typeEPNSO_ISJ_E10value_typeEPSK_NS1_7vsmem_tEENKUlT_SI_SJ_SK_E_clIPySD_S10_SD_EESH_SX_SI_SJ_SK_EUlSX_E0_NS1_11comp_targetILNS1_3genE2ELNS1_11target_archE906ELNS1_3gpuE6ELNS1_3repE0EEENS1_38merge_mergepath_config_static_selectorELNS0_4arch9wavefront6targetE1EEEvSJ_,comdat
.Lfunc_end466:
	.size	_ZN7rocprim17ROCPRIM_400000_NS6detail17trampoline_kernelINS0_14default_configENS1_38merge_sort_block_merge_config_selectorIyyEEZZNS1_27merge_sort_block_merge_implIS3_N6thrust23THRUST_200600_302600_NS6detail15normal_iteratorINS8_10device_ptrIyEEEESD_jNS1_19radix_merge_compareILb0ELb1EyNS0_19identity_decomposerEEEEE10hipError_tT0_T1_T2_jT3_P12ihipStream_tbPNSt15iterator_traitsISI_E10value_typeEPNSO_ISJ_E10value_typeEPSK_NS1_7vsmem_tEENKUlT_SI_SJ_SK_E_clIPySD_S10_SD_EESH_SX_SI_SJ_SK_EUlSX_E0_NS1_11comp_targetILNS1_3genE2ELNS1_11target_archE906ELNS1_3gpuE6ELNS1_3repE0EEENS1_38merge_mergepath_config_static_selectorELNS0_4arch9wavefront6targetE1EEEvSJ_, .Lfunc_end466-_ZN7rocprim17ROCPRIM_400000_NS6detail17trampoline_kernelINS0_14default_configENS1_38merge_sort_block_merge_config_selectorIyyEEZZNS1_27merge_sort_block_merge_implIS3_N6thrust23THRUST_200600_302600_NS6detail15normal_iteratorINS8_10device_ptrIyEEEESD_jNS1_19radix_merge_compareILb0ELb1EyNS0_19identity_decomposerEEEEE10hipError_tT0_T1_T2_jT3_P12ihipStream_tbPNSt15iterator_traitsISI_E10value_typeEPNSO_ISJ_E10value_typeEPSK_NS1_7vsmem_tEENKUlT_SI_SJ_SK_E_clIPySD_S10_SD_EESH_SX_SI_SJ_SK_EUlSX_E0_NS1_11comp_targetILNS1_3genE2ELNS1_11target_archE906ELNS1_3gpuE6ELNS1_3repE0EEENS1_38merge_mergepath_config_static_selectorELNS0_4arch9wavefront6targetE1EEEvSJ_
                                        ; -- End function
	.set _ZN7rocprim17ROCPRIM_400000_NS6detail17trampoline_kernelINS0_14default_configENS1_38merge_sort_block_merge_config_selectorIyyEEZZNS1_27merge_sort_block_merge_implIS3_N6thrust23THRUST_200600_302600_NS6detail15normal_iteratorINS8_10device_ptrIyEEEESD_jNS1_19radix_merge_compareILb0ELb1EyNS0_19identity_decomposerEEEEE10hipError_tT0_T1_T2_jT3_P12ihipStream_tbPNSt15iterator_traitsISI_E10value_typeEPNSO_ISJ_E10value_typeEPSK_NS1_7vsmem_tEENKUlT_SI_SJ_SK_E_clIPySD_S10_SD_EESH_SX_SI_SJ_SK_EUlSX_E0_NS1_11comp_targetILNS1_3genE2ELNS1_11target_archE906ELNS1_3gpuE6ELNS1_3repE0EEENS1_38merge_mergepath_config_static_selectorELNS0_4arch9wavefront6targetE1EEEvSJ_.num_vgpr, 0
	.set _ZN7rocprim17ROCPRIM_400000_NS6detail17trampoline_kernelINS0_14default_configENS1_38merge_sort_block_merge_config_selectorIyyEEZZNS1_27merge_sort_block_merge_implIS3_N6thrust23THRUST_200600_302600_NS6detail15normal_iteratorINS8_10device_ptrIyEEEESD_jNS1_19radix_merge_compareILb0ELb1EyNS0_19identity_decomposerEEEEE10hipError_tT0_T1_T2_jT3_P12ihipStream_tbPNSt15iterator_traitsISI_E10value_typeEPNSO_ISJ_E10value_typeEPSK_NS1_7vsmem_tEENKUlT_SI_SJ_SK_E_clIPySD_S10_SD_EESH_SX_SI_SJ_SK_EUlSX_E0_NS1_11comp_targetILNS1_3genE2ELNS1_11target_archE906ELNS1_3gpuE6ELNS1_3repE0EEENS1_38merge_mergepath_config_static_selectorELNS0_4arch9wavefront6targetE1EEEvSJ_.num_agpr, 0
	.set _ZN7rocprim17ROCPRIM_400000_NS6detail17trampoline_kernelINS0_14default_configENS1_38merge_sort_block_merge_config_selectorIyyEEZZNS1_27merge_sort_block_merge_implIS3_N6thrust23THRUST_200600_302600_NS6detail15normal_iteratorINS8_10device_ptrIyEEEESD_jNS1_19radix_merge_compareILb0ELb1EyNS0_19identity_decomposerEEEEE10hipError_tT0_T1_T2_jT3_P12ihipStream_tbPNSt15iterator_traitsISI_E10value_typeEPNSO_ISJ_E10value_typeEPSK_NS1_7vsmem_tEENKUlT_SI_SJ_SK_E_clIPySD_S10_SD_EESH_SX_SI_SJ_SK_EUlSX_E0_NS1_11comp_targetILNS1_3genE2ELNS1_11target_archE906ELNS1_3gpuE6ELNS1_3repE0EEENS1_38merge_mergepath_config_static_selectorELNS0_4arch9wavefront6targetE1EEEvSJ_.numbered_sgpr, 0
	.set _ZN7rocprim17ROCPRIM_400000_NS6detail17trampoline_kernelINS0_14default_configENS1_38merge_sort_block_merge_config_selectorIyyEEZZNS1_27merge_sort_block_merge_implIS3_N6thrust23THRUST_200600_302600_NS6detail15normal_iteratorINS8_10device_ptrIyEEEESD_jNS1_19radix_merge_compareILb0ELb1EyNS0_19identity_decomposerEEEEE10hipError_tT0_T1_T2_jT3_P12ihipStream_tbPNSt15iterator_traitsISI_E10value_typeEPNSO_ISJ_E10value_typeEPSK_NS1_7vsmem_tEENKUlT_SI_SJ_SK_E_clIPySD_S10_SD_EESH_SX_SI_SJ_SK_EUlSX_E0_NS1_11comp_targetILNS1_3genE2ELNS1_11target_archE906ELNS1_3gpuE6ELNS1_3repE0EEENS1_38merge_mergepath_config_static_selectorELNS0_4arch9wavefront6targetE1EEEvSJ_.num_named_barrier, 0
	.set _ZN7rocprim17ROCPRIM_400000_NS6detail17trampoline_kernelINS0_14default_configENS1_38merge_sort_block_merge_config_selectorIyyEEZZNS1_27merge_sort_block_merge_implIS3_N6thrust23THRUST_200600_302600_NS6detail15normal_iteratorINS8_10device_ptrIyEEEESD_jNS1_19radix_merge_compareILb0ELb1EyNS0_19identity_decomposerEEEEE10hipError_tT0_T1_T2_jT3_P12ihipStream_tbPNSt15iterator_traitsISI_E10value_typeEPNSO_ISJ_E10value_typeEPSK_NS1_7vsmem_tEENKUlT_SI_SJ_SK_E_clIPySD_S10_SD_EESH_SX_SI_SJ_SK_EUlSX_E0_NS1_11comp_targetILNS1_3genE2ELNS1_11target_archE906ELNS1_3gpuE6ELNS1_3repE0EEENS1_38merge_mergepath_config_static_selectorELNS0_4arch9wavefront6targetE1EEEvSJ_.private_seg_size, 0
	.set _ZN7rocprim17ROCPRIM_400000_NS6detail17trampoline_kernelINS0_14default_configENS1_38merge_sort_block_merge_config_selectorIyyEEZZNS1_27merge_sort_block_merge_implIS3_N6thrust23THRUST_200600_302600_NS6detail15normal_iteratorINS8_10device_ptrIyEEEESD_jNS1_19radix_merge_compareILb0ELb1EyNS0_19identity_decomposerEEEEE10hipError_tT0_T1_T2_jT3_P12ihipStream_tbPNSt15iterator_traitsISI_E10value_typeEPNSO_ISJ_E10value_typeEPSK_NS1_7vsmem_tEENKUlT_SI_SJ_SK_E_clIPySD_S10_SD_EESH_SX_SI_SJ_SK_EUlSX_E0_NS1_11comp_targetILNS1_3genE2ELNS1_11target_archE906ELNS1_3gpuE6ELNS1_3repE0EEENS1_38merge_mergepath_config_static_selectorELNS0_4arch9wavefront6targetE1EEEvSJ_.uses_vcc, 0
	.set _ZN7rocprim17ROCPRIM_400000_NS6detail17trampoline_kernelINS0_14default_configENS1_38merge_sort_block_merge_config_selectorIyyEEZZNS1_27merge_sort_block_merge_implIS3_N6thrust23THRUST_200600_302600_NS6detail15normal_iteratorINS8_10device_ptrIyEEEESD_jNS1_19radix_merge_compareILb0ELb1EyNS0_19identity_decomposerEEEEE10hipError_tT0_T1_T2_jT3_P12ihipStream_tbPNSt15iterator_traitsISI_E10value_typeEPNSO_ISJ_E10value_typeEPSK_NS1_7vsmem_tEENKUlT_SI_SJ_SK_E_clIPySD_S10_SD_EESH_SX_SI_SJ_SK_EUlSX_E0_NS1_11comp_targetILNS1_3genE2ELNS1_11target_archE906ELNS1_3gpuE6ELNS1_3repE0EEENS1_38merge_mergepath_config_static_selectorELNS0_4arch9wavefront6targetE1EEEvSJ_.uses_flat_scratch, 0
	.set _ZN7rocprim17ROCPRIM_400000_NS6detail17trampoline_kernelINS0_14default_configENS1_38merge_sort_block_merge_config_selectorIyyEEZZNS1_27merge_sort_block_merge_implIS3_N6thrust23THRUST_200600_302600_NS6detail15normal_iteratorINS8_10device_ptrIyEEEESD_jNS1_19radix_merge_compareILb0ELb1EyNS0_19identity_decomposerEEEEE10hipError_tT0_T1_T2_jT3_P12ihipStream_tbPNSt15iterator_traitsISI_E10value_typeEPNSO_ISJ_E10value_typeEPSK_NS1_7vsmem_tEENKUlT_SI_SJ_SK_E_clIPySD_S10_SD_EESH_SX_SI_SJ_SK_EUlSX_E0_NS1_11comp_targetILNS1_3genE2ELNS1_11target_archE906ELNS1_3gpuE6ELNS1_3repE0EEENS1_38merge_mergepath_config_static_selectorELNS0_4arch9wavefront6targetE1EEEvSJ_.has_dyn_sized_stack, 0
	.set _ZN7rocprim17ROCPRIM_400000_NS6detail17trampoline_kernelINS0_14default_configENS1_38merge_sort_block_merge_config_selectorIyyEEZZNS1_27merge_sort_block_merge_implIS3_N6thrust23THRUST_200600_302600_NS6detail15normal_iteratorINS8_10device_ptrIyEEEESD_jNS1_19radix_merge_compareILb0ELb1EyNS0_19identity_decomposerEEEEE10hipError_tT0_T1_T2_jT3_P12ihipStream_tbPNSt15iterator_traitsISI_E10value_typeEPNSO_ISJ_E10value_typeEPSK_NS1_7vsmem_tEENKUlT_SI_SJ_SK_E_clIPySD_S10_SD_EESH_SX_SI_SJ_SK_EUlSX_E0_NS1_11comp_targetILNS1_3genE2ELNS1_11target_archE906ELNS1_3gpuE6ELNS1_3repE0EEENS1_38merge_mergepath_config_static_selectorELNS0_4arch9wavefront6targetE1EEEvSJ_.has_recursion, 0
	.set _ZN7rocprim17ROCPRIM_400000_NS6detail17trampoline_kernelINS0_14default_configENS1_38merge_sort_block_merge_config_selectorIyyEEZZNS1_27merge_sort_block_merge_implIS3_N6thrust23THRUST_200600_302600_NS6detail15normal_iteratorINS8_10device_ptrIyEEEESD_jNS1_19radix_merge_compareILb0ELb1EyNS0_19identity_decomposerEEEEE10hipError_tT0_T1_T2_jT3_P12ihipStream_tbPNSt15iterator_traitsISI_E10value_typeEPNSO_ISJ_E10value_typeEPSK_NS1_7vsmem_tEENKUlT_SI_SJ_SK_E_clIPySD_S10_SD_EESH_SX_SI_SJ_SK_EUlSX_E0_NS1_11comp_targetILNS1_3genE2ELNS1_11target_archE906ELNS1_3gpuE6ELNS1_3repE0EEENS1_38merge_mergepath_config_static_selectorELNS0_4arch9wavefront6targetE1EEEvSJ_.has_indirect_call, 0
	.section	.AMDGPU.csdata,"",@progbits
; Kernel info:
; codeLenInByte = 0
; TotalNumSgprs: 6
; NumVgprs: 0
; NumAgprs: 0
; TotalNumVgprs: 0
; ScratchSize: 0
; MemoryBound: 0
; FloatMode: 240
; IeeeMode: 1
; LDSByteSize: 0 bytes/workgroup (compile time only)
; SGPRBlocks: 0
; VGPRBlocks: 0
; NumSGPRsForWavesPerEU: 6
; NumVGPRsForWavesPerEU: 1
; AccumOffset: 4
; Occupancy: 8
; WaveLimiterHint : 0
; COMPUTE_PGM_RSRC2:SCRATCH_EN: 0
; COMPUTE_PGM_RSRC2:USER_SGPR: 2
; COMPUTE_PGM_RSRC2:TRAP_HANDLER: 0
; COMPUTE_PGM_RSRC2:TGID_X_EN: 1
; COMPUTE_PGM_RSRC2:TGID_Y_EN: 0
; COMPUTE_PGM_RSRC2:TGID_Z_EN: 0
; COMPUTE_PGM_RSRC2:TIDIG_COMP_CNT: 0
; COMPUTE_PGM_RSRC3_GFX90A:ACCUM_OFFSET: 0
; COMPUTE_PGM_RSRC3_GFX90A:TG_SPLIT: 0
	.section	.text._ZN7rocprim17ROCPRIM_400000_NS6detail17trampoline_kernelINS0_14default_configENS1_38merge_sort_block_merge_config_selectorIyyEEZZNS1_27merge_sort_block_merge_implIS3_N6thrust23THRUST_200600_302600_NS6detail15normal_iteratorINS8_10device_ptrIyEEEESD_jNS1_19radix_merge_compareILb0ELb1EyNS0_19identity_decomposerEEEEE10hipError_tT0_T1_T2_jT3_P12ihipStream_tbPNSt15iterator_traitsISI_E10value_typeEPNSO_ISJ_E10value_typeEPSK_NS1_7vsmem_tEENKUlT_SI_SJ_SK_E_clIPySD_S10_SD_EESH_SX_SI_SJ_SK_EUlSX_E0_NS1_11comp_targetILNS1_3genE9ELNS1_11target_archE1100ELNS1_3gpuE3ELNS1_3repE0EEENS1_38merge_mergepath_config_static_selectorELNS0_4arch9wavefront6targetE1EEEvSJ_,"axG",@progbits,_ZN7rocprim17ROCPRIM_400000_NS6detail17trampoline_kernelINS0_14default_configENS1_38merge_sort_block_merge_config_selectorIyyEEZZNS1_27merge_sort_block_merge_implIS3_N6thrust23THRUST_200600_302600_NS6detail15normal_iteratorINS8_10device_ptrIyEEEESD_jNS1_19radix_merge_compareILb0ELb1EyNS0_19identity_decomposerEEEEE10hipError_tT0_T1_T2_jT3_P12ihipStream_tbPNSt15iterator_traitsISI_E10value_typeEPNSO_ISJ_E10value_typeEPSK_NS1_7vsmem_tEENKUlT_SI_SJ_SK_E_clIPySD_S10_SD_EESH_SX_SI_SJ_SK_EUlSX_E0_NS1_11comp_targetILNS1_3genE9ELNS1_11target_archE1100ELNS1_3gpuE3ELNS1_3repE0EEENS1_38merge_mergepath_config_static_selectorELNS0_4arch9wavefront6targetE1EEEvSJ_,comdat
	.protected	_ZN7rocprim17ROCPRIM_400000_NS6detail17trampoline_kernelINS0_14default_configENS1_38merge_sort_block_merge_config_selectorIyyEEZZNS1_27merge_sort_block_merge_implIS3_N6thrust23THRUST_200600_302600_NS6detail15normal_iteratorINS8_10device_ptrIyEEEESD_jNS1_19radix_merge_compareILb0ELb1EyNS0_19identity_decomposerEEEEE10hipError_tT0_T1_T2_jT3_P12ihipStream_tbPNSt15iterator_traitsISI_E10value_typeEPNSO_ISJ_E10value_typeEPSK_NS1_7vsmem_tEENKUlT_SI_SJ_SK_E_clIPySD_S10_SD_EESH_SX_SI_SJ_SK_EUlSX_E0_NS1_11comp_targetILNS1_3genE9ELNS1_11target_archE1100ELNS1_3gpuE3ELNS1_3repE0EEENS1_38merge_mergepath_config_static_selectorELNS0_4arch9wavefront6targetE1EEEvSJ_ ; -- Begin function _ZN7rocprim17ROCPRIM_400000_NS6detail17trampoline_kernelINS0_14default_configENS1_38merge_sort_block_merge_config_selectorIyyEEZZNS1_27merge_sort_block_merge_implIS3_N6thrust23THRUST_200600_302600_NS6detail15normal_iteratorINS8_10device_ptrIyEEEESD_jNS1_19radix_merge_compareILb0ELb1EyNS0_19identity_decomposerEEEEE10hipError_tT0_T1_T2_jT3_P12ihipStream_tbPNSt15iterator_traitsISI_E10value_typeEPNSO_ISJ_E10value_typeEPSK_NS1_7vsmem_tEENKUlT_SI_SJ_SK_E_clIPySD_S10_SD_EESH_SX_SI_SJ_SK_EUlSX_E0_NS1_11comp_targetILNS1_3genE9ELNS1_11target_archE1100ELNS1_3gpuE3ELNS1_3repE0EEENS1_38merge_mergepath_config_static_selectorELNS0_4arch9wavefront6targetE1EEEvSJ_
	.globl	_ZN7rocprim17ROCPRIM_400000_NS6detail17trampoline_kernelINS0_14default_configENS1_38merge_sort_block_merge_config_selectorIyyEEZZNS1_27merge_sort_block_merge_implIS3_N6thrust23THRUST_200600_302600_NS6detail15normal_iteratorINS8_10device_ptrIyEEEESD_jNS1_19radix_merge_compareILb0ELb1EyNS0_19identity_decomposerEEEEE10hipError_tT0_T1_T2_jT3_P12ihipStream_tbPNSt15iterator_traitsISI_E10value_typeEPNSO_ISJ_E10value_typeEPSK_NS1_7vsmem_tEENKUlT_SI_SJ_SK_E_clIPySD_S10_SD_EESH_SX_SI_SJ_SK_EUlSX_E0_NS1_11comp_targetILNS1_3genE9ELNS1_11target_archE1100ELNS1_3gpuE3ELNS1_3repE0EEENS1_38merge_mergepath_config_static_selectorELNS0_4arch9wavefront6targetE1EEEvSJ_
	.p2align	8
	.type	_ZN7rocprim17ROCPRIM_400000_NS6detail17trampoline_kernelINS0_14default_configENS1_38merge_sort_block_merge_config_selectorIyyEEZZNS1_27merge_sort_block_merge_implIS3_N6thrust23THRUST_200600_302600_NS6detail15normal_iteratorINS8_10device_ptrIyEEEESD_jNS1_19radix_merge_compareILb0ELb1EyNS0_19identity_decomposerEEEEE10hipError_tT0_T1_T2_jT3_P12ihipStream_tbPNSt15iterator_traitsISI_E10value_typeEPNSO_ISJ_E10value_typeEPSK_NS1_7vsmem_tEENKUlT_SI_SJ_SK_E_clIPySD_S10_SD_EESH_SX_SI_SJ_SK_EUlSX_E0_NS1_11comp_targetILNS1_3genE9ELNS1_11target_archE1100ELNS1_3gpuE3ELNS1_3repE0EEENS1_38merge_mergepath_config_static_selectorELNS0_4arch9wavefront6targetE1EEEvSJ_,@function
_ZN7rocprim17ROCPRIM_400000_NS6detail17trampoline_kernelINS0_14default_configENS1_38merge_sort_block_merge_config_selectorIyyEEZZNS1_27merge_sort_block_merge_implIS3_N6thrust23THRUST_200600_302600_NS6detail15normal_iteratorINS8_10device_ptrIyEEEESD_jNS1_19radix_merge_compareILb0ELb1EyNS0_19identity_decomposerEEEEE10hipError_tT0_T1_T2_jT3_P12ihipStream_tbPNSt15iterator_traitsISI_E10value_typeEPNSO_ISJ_E10value_typeEPSK_NS1_7vsmem_tEENKUlT_SI_SJ_SK_E_clIPySD_S10_SD_EESH_SX_SI_SJ_SK_EUlSX_E0_NS1_11comp_targetILNS1_3genE9ELNS1_11target_archE1100ELNS1_3gpuE3ELNS1_3repE0EEENS1_38merge_mergepath_config_static_selectorELNS0_4arch9wavefront6targetE1EEEvSJ_: ; @_ZN7rocprim17ROCPRIM_400000_NS6detail17trampoline_kernelINS0_14default_configENS1_38merge_sort_block_merge_config_selectorIyyEEZZNS1_27merge_sort_block_merge_implIS3_N6thrust23THRUST_200600_302600_NS6detail15normal_iteratorINS8_10device_ptrIyEEEESD_jNS1_19radix_merge_compareILb0ELb1EyNS0_19identity_decomposerEEEEE10hipError_tT0_T1_T2_jT3_P12ihipStream_tbPNSt15iterator_traitsISI_E10value_typeEPNSO_ISJ_E10value_typeEPSK_NS1_7vsmem_tEENKUlT_SI_SJ_SK_E_clIPySD_S10_SD_EESH_SX_SI_SJ_SK_EUlSX_E0_NS1_11comp_targetILNS1_3genE9ELNS1_11target_archE1100ELNS1_3gpuE3ELNS1_3repE0EEENS1_38merge_mergepath_config_static_selectorELNS0_4arch9wavefront6targetE1EEEvSJ_
; %bb.0:
	.section	.rodata,"a",@progbits
	.p2align	6, 0x0
	.amdhsa_kernel _ZN7rocprim17ROCPRIM_400000_NS6detail17trampoline_kernelINS0_14default_configENS1_38merge_sort_block_merge_config_selectorIyyEEZZNS1_27merge_sort_block_merge_implIS3_N6thrust23THRUST_200600_302600_NS6detail15normal_iteratorINS8_10device_ptrIyEEEESD_jNS1_19radix_merge_compareILb0ELb1EyNS0_19identity_decomposerEEEEE10hipError_tT0_T1_T2_jT3_P12ihipStream_tbPNSt15iterator_traitsISI_E10value_typeEPNSO_ISJ_E10value_typeEPSK_NS1_7vsmem_tEENKUlT_SI_SJ_SK_E_clIPySD_S10_SD_EESH_SX_SI_SJ_SK_EUlSX_E0_NS1_11comp_targetILNS1_3genE9ELNS1_11target_archE1100ELNS1_3gpuE3ELNS1_3repE0EEENS1_38merge_mergepath_config_static_selectorELNS0_4arch9wavefront6targetE1EEEvSJ_
		.amdhsa_group_segment_fixed_size 0
		.amdhsa_private_segment_fixed_size 0
		.amdhsa_kernarg_size 72
		.amdhsa_user_sgpr_count 2
		.amdhsa_user_sgpr_dispatch_ptr 0
		.amdhsa_user_sgpr_queue_ptr 0
		.amdhsa_user_sgpr_kernarg_segment_ptr 1
		.amdhsa_user_sgpr_dispatch_id 0
		.amdhsa_user_sgpr_kernarg_preload_length 0
		.amdhsa_user_sgpr_kernarg_preload_offset 0
		.amdhsa_user_sgpr_private_segment_size 0
		.amdhsa_uses_dynamic_stack 0
		.amdhsa_enable_private_segment 0
		.amdhsa_system_sgpr_workgroup_id_x 1
		.amdhsa_system_sgpr_workgroup_id_y 0
		.amdhsa_system_sgpr_workgroup_id_z 0
		.amdhsa_system_sgpr_workgroup_info 0
		.amdhsa_system_vgpr_workitem_id 0
		.amdhsa_next_free_vgpr 1
		.amdhsa_next_free_sgpr 0
		.amdhsa_accum_offset 4
		.amdhsa_reserve_vcc 0
		.amdhsa_float_round_mode_32 0
		.amdhsa_float_round_mode_16_64 0
		.amdhsa_float_denorm_mode_32 3
		.amdhsa_float_denorm_mode_16_64 3
		.amdhsa_dx10_clamp 1
		.amdhsa_ieee_mode 1
		.amdhsa_fp16_overflow 0
		.amdhsa_tg_split 0
		.amdhsa_exception_fp_ieee_invalid_op 0
		.amdhsa_exception_fp_denorm_src 0
		.amdhsa_exception_fp_ieee_div_zero 0
		.amdhsa_exception_fp_ieee_overflow 0
		.amdhsa_exception_fp_ieee_underflow 0
		.amdhsa_exception_fp_ieee_inexact 0
		.amdhsa_exception_int_div_zero 0
	.end_amdhsa_kernel
	.section	.text._ZN7rocprim17ROCPRIM_400000_NS6detail17trampoline_kernelINS0_14default_configENS1_38merge_sort_block_merge_config_selectorIyyEEZZNS1_27merge_sort_block_merge_implIS3_N6thrust23THRUST_200600_302600_NS6detail15normal_iteratorINS8_10device_ptrIyEEEESD_jNS1_19radix_merge_compareILb0ELb1EyNS0_19identity_decomposerEEEEE10hipError_tT0_T1_T2_jT3_P12ihipStream_tbPNSt15iterator_traitsISI_E10value_typeEPNSO_ISJ_E10value_typeEPSK_NS1_7vsmem_tEENKUlT_SI_SJ_SK_E_clIPySD_S10_SD_EESH_SX_SI_SJ_SK_EUlSX_E0_NS1_11comp_targetILNS1_3genE9ELNS1_11target_archE1100ELNS1_3gpuE3ELNS1_3repE0EEENS1_38merge_mergepath_config_static_selectorELNS0_4arch9wavefront6targetE1EEEvSJ_,"axG",@progbits,_ZN7rocprim17ROCPRIM_400000_NS6detail17trampoline_kernelINS0_14default_configENS1_38merge_sort_block_merge_config_selectorIyyEEZZNS1_27merge_sort_block_merge_implIS3_N6thrust23THRUST_200600_302600_NS6detail15normal_iteratorINS8_10device_ptrIyEEEESD_jNS1_19radix_merge_compareILb0ELb1EyNS0_19identity_decomposerEEEEE10hipError_tT0_T1_T2_jT3_P12ihipStream_tbPNSt15iterator_traitsISI_E10value_typeEPNSO_ISJ_E10value_typeEPSK_NS1_7vsmem_tEENKUlT_SI_SJ_SK_E_clIPySD_S10_SD_EESH_SX_SI_SJ_SK_EUlSX_E0_NS1_11comp_targetILNS1_3genE9ELNS1_11target_archE1100ELNS1_3gpuE3ELNS1_3repE0EEENS1_38merge_mergepath_config_static_selectorELNS0_4arch9wavefront6targetE1EEEvSJ_,comdat
.Lfunc_end467:
	.size	_ZN7rocprim17ROCPRIM_400000_NS6detail17trampoline_kernelINS0_14default_configENS1_38merge_sort_block_merge_config_selectorIyyEEZZNS1_27merge_sort_block_merge_implIS3_N6thrust23THRUST_200600_302600_NS6detail15normal_iteratorINS8_10device_ptrIyEEEESD_jNS1_19radix_merge_compareILb0ELb1EyNS0_19identity_decomposerEEEEE10hipError_tT0_T1_T2_jT3_P12ihipStream_tbPNSt15iterator_traitsISI_E10value_typeEPNSO_ISJ_E10value_typeEPSK_NS1_7vsmem_tEENKUlT_SI_SJ_SK_E_clIPySD_S10_SD_EESH_SX_SI_SJ_SK_EUlSX_E0_NS1_11comp_targetILNS1_3genE9ELNS1_11target_archE1100ELNS1_3gpuE3ELNS1_3repE0EEENS1_38merge_mergepath_config_static_selectorELNS0_4arch9wavefront6targetE1EEEvSJ_, .Lfunc_end467-_ZN7rocprim17ROCPRIM_400000_NS6detail17trampoline_kernelINS0_14default_configENS1_38merge_sort_block_merge_config_selectorIyyEEZZNS1_27merge_sort_block_merge_implIS3_N6thrust23THRUST_200600_302600_NS6detail15normal_iteratorINS8_10device_ptrIyEEEESD_jNS1_19radix_merge_compareILb0ELb1EyNS0_19identity_decomposerEEEEE10hipError_tT0_T1_T2_jT3_P12ihipStream_tbPNSt15iterator_traitsISI_E10value_typeEPNSO_ISJ_E10value_typeEPSK_NS1_7vsmem_tEENKUlT_SI_SJ_SK_E_clIPySD_S10_SD_EESH_SX_SI_SJ_SK_EUlSX_E0_NS1_11comp_targetILNS1_3genE9ELNS1_11target_archE1100ELNS1_3gpuE3ELNS1_3repE0EEENS1_38merge_mergepath_config_static_selectorELNS0_4arch9wavefront6targetE1EEEvSJ_
                                        ; -- End function
	.set _ZN7rocprim17ROCPRIM_400000_NS6detail17trampoline_kernelINS0_14default_configENS1_38merge_sort_block_merge_config_selectorIyyEEZZNS1_27merge_sort_block_merge_implIS3_N6thrust23THRUST_200600_302600_NS6detail15normal_iteratorINS8_10device_ptrIyEEEESD_jNS1_19radix_merge_compareILb0ELb1EyNS0_19identity_decomposerEEEEE10hipError_tT0_T1_T2_jT3_P12ihipStream_tbPNSt15iterator_traitsISI_E10value_typeEPNSO_ISJ_E10value_typeEPSK_NS1_7vsmem_tEENKUlT_SI_SJ_SK_E_clIPySD_S10_SD_EESH_SX_SI_SJ_SK_EUlSX_E0_NS1_11comp_targetILNS1_3genE9ELNS1_11target_archE1100ELNS1_3gpuE3ELNS1_3repE0EEENS1_38merge_mergepath_config_static_selectorELNS0_4arch9wavefront6targetE1EEEvSJ_.num_vgpr, 0
	.set _ZN7rocprim17ROCPRIM_400000_NS6detail17trampoline_kernelINS0_14default_configENS1_38merge_sort_block_merge_config_selectorIyyEEZZNS1_27merge_sort_block_merge_implIS3_N6thrust23THRUST_200600_302600_NS6detail15normal_iteratorINS8_10device_ptrIyEEEESD_jNS1_19radix_merge_compareILb0ELb1EyNS0_19identity_decomposerEEEEE10hipError_tT0_T1_T2_jT3_P12ihipStream_tbPNSt15iterator_traitsISI_E10value_typeEPNSO_ISJ_E10value_typeEPSK_NS1_7vsmem_tEENKUlT_SI_SJ_SK_E_clIPySD_S10_SD_EESH_SX_SI_SJ_SK_EUlSX_E0_NS1_11comp_targetILNS1_3genE9ELNS1_11target_archE1100ELNS1_3gpuE3ELNS1_3repE0EEENS1_38merge_mergepath_config_static_selectorELNS0_4arch9wavefront6targetE1EEEvSJ_.num_agpr, 0
	.set _ZN7rocprim17ROCPRIM_400000_NS6detail17trampoline_kernelINS0_14default_configENS1_38merge_sort_block_merge_config_selectorIyyEEZZNS1_27merge_sort_block_merge_implIS3_N6thrust23THRUST_200600_302600_NS6detail15normal_iteratorINS8_10device_ptrIyEEEESD_jNS1_19radix_merge_compareILb0ELb1EyNS0_19identity_decomposerEEEEE10hipError_tT0_T1_T2_jT3_P12ihipStream_tbPNSt15iterator_traitsISI_E10value_typeEPNSO_ISJ_E10value_typeEPSK_NS1_7vsmem_tEENKUlT_SI_SJ_SK_E_clIPySD_S10_SD_EESH_SX_SI_SJ_SK_EUlSX_E0_NS1_11comp_targetILNS1_3genE9ELNS1_11target_archE1100ELNS1_3gpuE3ELNS1_3repE0EEENS1_38merge_mergepath_config_static_selectorELNS0_4arch9wavefront6targetE1EEEvSJ_.numbered_sgpr, 0
	.set _ZN7rocprim17ROCPRIM_400000_NS6detail17trampoline_kernelINS0_14default_configENS1_38merge_sort_block_merge_config_selectorIyyEEZZNS1_27merge_sort_block_merge_implIS3_N6thrust23THRUST_200600_302600_NS6detail15normal_iteratorINS8_10device_ptrIyEEEESD_jNS1_19radix_merge_compareILb0ELb1EyNS0_19identity_decomposerEEEEE10hipError_tT0_T1_T2_jT3_P12ihipStream_tbPNSt15iterator_traitsISI_E10value_typeEPNSO_ISJ_E10value_typeEPSK_NS1_7vsmem_tEENKUlT_SI_SJ_SK_E_clIPySD_S10_SD_EESH_SX_SI_SJ_SK_EUlSX_E0_NS1_11comp_targetILNS1_3genE9ELNS1_11target_archE1100ELNS1_3gpuE3ELNS1_3repE0EEENS1_38merge_mergepath_config_static_selectorELNS0_4arch9wavefront6targetE1EEEvSJ_.num_named_barrier, 0
	.set _ZN7rocprim17ROCPRIM_400000_NS6detail17trampoline_kernelINS0_14default_configENS1_38merge_sort_block_merge_config_selectorIyyEEZZNS1_27merge_sort_block_merge_implIS3_N6thrust23THRUST_200600_302600_NS6detail15normal_iteratorINS8_10device_ptrIyEEEESD_jNS1_19radix_merge_compareILb0ELb1EyNS0_19identity_decomposerEEEEE10hipError_tT0_T1_T2_jT3_P12ihipStream_tbPNSt15iterator_traitsISI_E10value_typeEPNSO_ISJ_E10value_typeEPSK_NS1_7vsmem_tEENKUlT_SI_SJ_SK_E_clIPySD_S10_SD_EESH_SX_SI_SJ_SK_EUlSX_E0_NS1_11comp_targetILNS1_3genE9ELNS1_11target_archE1100ELNS1_3gpuE3ELNS1_3repE0EEENS1_38merge_mergepath_config_static_selectorELNS0_4arch9wavefront6targetE1EEEvSJ_.private_seg_size, 0
	.set _ZN7rocprim17ROCPRIM_400000_NS6detail17trampoline_kernelINS0_14default_configENS1_38merge_sort_block_merge_config_selectorIyyEEZZNS1_27merge_sort_block_merge_implIS3_N6thrust23THRUST_200600_302600_NS6detail15normal_iteratorINS8_10device_ptrIyEEEESD_jNS1_19radix_merge_compareILb0ELb1EyNS0_19identity_decomposerEEEEE10hipError_tT0_T1_T2_jT3_P12ihipStream_tbPNSt15iterator_traitsISI_E10value_typeEPNSO_ISJ_E10value_typeEPSK_NS1_7vsmem_tEENKUlT_SI_SJ_SK_E_clIPySD_S10_SD_EESH_SX_SI_SJ_SK_EUlSX_E0_NS1_11comp_targetILNS1_3genE9ELNS1_11target_archE1100ELNS1_3gpuE3ELNS1_3repE0EEENS1_38merge_mergepath_config_static_selectorELNS0_4arch9wavefront6targetE1EEEvSJ_.uses_vcc, 0
	.set _ZN7rocprim17ROCPRIM_400000_NS6detail17trampoline_kernelINS0_14default_configENS1_38merge_sort_block_merge_config_selectorIyyEEZZNS1_27merge_sort_block_merge_implIS3_N6thrust23THRUST_200600_302600_NS6detail15normal_iteratorINS8_10device_ptrIyEEEESD_jNS1_19radix_merge_compareILb0ELb1EyNS0_19identity_decomposerEEEEE10hipError_tT0_T1_T2_jT3_P12ihipStream_tbPNSt15iterator_traitsISI_E10value_typeEPNSO_ISJ_E10value_typeEPSK_NS1_7vsmem_tEENKUlT_SI_SJ_SK_E_clIPySD_S10_SD_EESH_SX_SI_SJ_SK_EUlSX_E0_NS1_11comp_targetILNS1_3genE9ELNS1_11target_archE1100ELNS1_3gpuE3ELNS1_3repE0EEENS1_38merge_mergepath_config_static_selectorELNS0_4arch9wavefront6targetE1EEEvSJ_.uses_flat_scratch, 0
	.set _ZN7rocprim17ROCPRIM_400000_NS6detail17trampoline_kernelINS0_14default_configENS1_38merge_sort_block_merge_config_selectorIyyEEZZNS1_27merge_sort_block_merge_implIS3_N6thrust23THRUST_200600_302600_NS6detail15normal_iteratorINS8_10device_ptrIyEEEESD_jNS1_19radix_merge_compareILb0ELb1EyNS0_19identity_decomposerEEEEE10hipError_tT0_T1_T2_jT3_P12ihipStream_tbPNSt15iterator_traitsISI_E10value_typeEPNSO_ISJ_E10value_typeEPSK_NS1_7vsmem_tEENKUlT_SI_SJ_SK_E_clIPySD_S10_SD_EESH_SX_SI_SJ_SK_EUlSX_E0_NS1_11comp_targetILNS1_3genE9ELNS1_11target_archE1100ELNS1_3gpuE3ELNS1_3repE0EEENS1_38merge_mergepath_config_static_selectorELNS0_4arch9wavefront6targetE1EEEvSJ_.has_dyn_sized_stack, 0
	.set _ZN7rocprim17ROCPRIM_400000_NS6detail17trampoline_kernelINS0_14default_configENS1_38merge_sort_block_merge_config_selectorIyyEEZZNS1_27merge_sort_block_merge_implIS3_N6thrust23THRUST_200600_302600_NS6detail15normal_iteratorINS8_10device_ptrIyEEEESD_jNS1_19radix_merge_compareILb0ELb1EyNS0_19identity_decomposerEEEEE10hipError_tT0_T1_T2_jT3_P12ihipStream_tbPNSt15iterator_traitsISI_E10value_typeEPNSO_ISJ_E10value_typeEPSK_NS1_7vsmem_tEENKUlT_SI_SJ_SK_E_clIPySD_S10_SD_EESH_SX_SI_SJ_SK_EUlSX_E0_NS1_11comp_targetILNS1_3genE9ELNS1_11target_archE1100ELNS1_3gpuE3ELNS1_3repE0EEENS1_38merge_mergepath_config_static_selectorELNS0_4arch9wavefront6targetE1EEEvSJ_.has_recursion, 0
	.set _ZN7rocprim17ROCPRIM_400000_NS6detail17trampoline_kernelINS0_14default_configENS1_38merge_sort_block_merge_config_selectorIyyEEZZNS1_27merge_sort_block_merge_implIS3_N6thrust23THRUST_200600_302600_NS6detail15normal_iteratorINS8_10device_ptrIyEEEESD_jNS1_19radix_merge_compareILb0ELb1EyNS0_19identity_decomposerEEEEE10hipError_tT0_T1_T2_jT3_P12ihipStream_tbPNSt15iterator_traitsISI_E10value_typeEPNSO_ISJ_E10value_typeEPSK_NS1_7vsmem_tEENKUlT_SI_SJ_SK_E_clIPySD_S10_SD_EESH_SX_SI_SJ_SK_EUlSX_E0_NS1_11comp_targetILNS1_3genE9ELNS1_11target_archE1100ELNS1_3gpuE3ELNS1_3repE0EEENS1_38merge_mergepath_config_static_selectorELNS0_4arch9wavefront6targetE1EEEvSJ_.has_indirect_call, 0
	.section	.AMDGPU.csdata,"",@progbits
; Kernel info:
; codeLenInByte = 0
; TotalNumSgprs: 6
; NumVgprs: 0
; NumAgprs: 0
; TotalNumVgprs: 0
; ScratchSize: 0
; MemoryBound: 0
; FloatMode: 240
; IeeeMode: 1
; LDSByteSize: 0 bytes/workgroup (compile time only)
; SGPRBlocks: 0
; VGPRBlocks: 0
; NumSGPRsForWavesPerEU: 6
; NumVGPRsForWavesPerEU: 1
; AccumOffset: 4
; Occupancy: 8
; WaveLimiterHint : 0
; COMPUTE_PGM_RSRC2:SCRATCH_EN: 0
; COMPUTE_PGM_RSRC2:USER_SGPR: 2
; COMPUTE_PGM_RSRC2:TRAP_HANDLER: 0
; COMPUTE_PGM_RSRC2:TGID_X_EN: 1
; COMPUTE_PGM_RSRC2:TGID_Y_EN: 0
; COMPUTE_PGM_RSRC2:TGID_Z_EN: 0
; COMPUTE_PGM_RSRC2:TIDIG_COMP_CNT: 0
; COMPUTE_PGM_RSRC3_GFX90A:ACCUM_OFFSET: 0
; COMPUTE_PGM_RSRC3_GFX90A:TG_SPLIT: 0
	.section	.text._ZN7rocprim17ROCPRIM_400000_NS6detail17trampoline_kernelINS0_14default_configENS1_38merge_sort_block_merge_config_selectorIyyEEZZNS1_27merge_sort_block_merge_implIS3_N6thrust23THRUST_200600_302600_NS6detail15normal_iteratorINS8_10device_ptrIyEEEESD_jNS1_19radix_merge_compareILb0ELb1EyNS0_19identity_decomposerEEEEE10hipError_tT0_T1_T2_jT3_P12ihipStream_tbPNSt15iterator_traitsISI_E10value_typeEPNSO_ISJ_E10value_typeEPSK_NS1_7vsmem_tEENKUlT_SI_SJ_SK_E_clIPySD_S10_SD_EESH_SX_SI_SJ_SK_EUlSX_E0_NS1_11comp_targetILNS1_3genE8ELNS1_11target_archE1030ELNS1_3gpuE2ELNS1_3repE0EEENS1_38merge_mergepath_config_static_selectorELNS0_4arch9wavefront6targetE1EEEvSJ_,"axG",@progbits,_ZN7rocprim17ROCPRIM_400000_NS6detail17trampoline_kernelINS0_14default_configENS1_38merge_sort_block_merge_config_selectorIyyEEZZNS1_27merge_sort_block_merge_implIS3_N6thrust23THRUST_200600_302600_NS6detail15normal_iteratorINS8_10device_ptrIyEEEESD_jNS1_19radix_merge_compareILb0ELb1EyNS0_19identity_decomposerEEEEE10hipError_tT0_T1_T2_jT3_P12ihipStream_tbPNSt15iterator_traitsISI_E10value_typeEPNSO_ISJ_E10value_typeEPSK_NS1_7vsmem_tEENKUlT_SI_SJ_SK_E_clIPySD_S10_SD_EESH_SX_SI_SJ_SK_EUlSX_E0_NS1_11comp_targetILNS1_3genE8ELNS1_11target_archE1030ELNS1_3gpuE2ELNS1_3repE0EEENS1_38merge_mergepath_config_static_selectorELNS0_4arch9wavefront6targetE1EEEvSJ_,comdat
	.protected	_ZN7rocprim17ROCPRIM_400000_NS6detail17trampoline_kernelINS0_14default_configENS1_38merge_sort_block_merge_config_selectorIyyEEZZNS1_27merge_sort_block_merge_implIS3_N6thrust23THRUST_200600_302600_NS6detail15normal_iteratorINS8_10device_ptrIyEEEESD_jNS1_19radix_merge_compareILb0ELb1EyNS0_19identity_decomposerEEEEE10hipError_tT0_T1_T2_jT3_P12ihipStream_tbPNSt15iterator_traitsISI_E10value_typeEPNSO_ISJ_E10value_typeEPSK_NS1_7vsmem_tEENKUlT_SI_SJ_SK_E_clIPySD_S10_SD_EESH_SX_SI_SJ_SK_EUlSX_E0_NS1_11comp_targetILNS1_3genE8ELNS1_11target_archE1030ELNS1_3gpuE2ELNS1_3repE0EEENS1_38merge_mergepath_config_static_selectorELNS0_4arch9wavefront6targetE1EEEvSJ_ ; -- Begin function _ZN7rocprim17ROCPRIM_400000_NS6detail17trampoline_kernelINS0_14default_configENS1_38merge_sort_block_merge_config_selectorIyyEEZZNS1_27merge_sort_block_merge_implIS3_N6thrust23THRUST_200600_302600_NS6detail15normal_iteratorINS8_10device_ptrIyEEEESD_jNS1_19radix_merge_compareILb0ELb1EyNS0_19identity_decomposerEEEEE10hipError_tT0_T1_T2_jT3_P12ihipStream_tbPNSt15iterator_traitsISI_E10value_typeEPNSO_ISJ_E10value_typeEPSK_NS1_7vsmem_tEENKUlT_SI_SJ_SK_E_clIPySD_S10_SD_EESH_SX_SI_SJ_SK_EUlSX_E0_NS1_11comp_targetILNS1_3genE8ELNS1_11target_archE1030ELNS1_3gpuE2ELNS1_3repE0EEENS1_38merge_mergepath_config_static_selectorELNS0_4arch9wavefront6targetE1EEEvSJ_
	.globl	_ZN7rocprim17ROCPRIM_400000_NS6detail17trampoline_kernelINS0_14default_configENS1_38merge_sort_block_merge_config_selectorIyyEEZZNS1_27merge_sort_block_merge_implIS3_N6thrust23THRUST_200600_302600_NS6detail15normal_iteratorINS8_10device_ptrIyEEEESD_jNS1_19radix_merge_compareILb0ELb1EyNS0_19identity_decomposerEEEEE10hipError_tT0_T1_T2_jT3_P12ihipStream_tbPNSt15iterator_traitsISI_E10value_typeEPNSO_ISJ_E10value_typeEPSK_NS1_7vsmem_tEENKUlT_SI_SJ_SK_E_clIPySD_S10_SD_EESH_SX_SI_SJ_SK_EUlSX_E0_NS1_11comp_targetILNS1_3genE8ELNS1_11target_archE1030ELNS1_3gpuE2ELNS1_3repE0EEENS1_38merge_mergepath_config_static_selectorELNS0_4arch9wavefront6targetE1EEEvSJ_
	.p2align	8
	.type	_ZN7rocprim17ROCPRIM_400000_NS6detail17trampoline_kernelINS0_14default_configENS1_38merge_sort_block_merge_config_selectorIyyEEZZNS1_27merge_sort_block_merge_implIS3_N6thrust23THRUST_200600_302600_NS6detail15normal_iteratorINS8_10device_ptrIyEEEESD_jNS1_19radix_merge_compareILb0ELb1EyNS0_19identity_decomposerEEEEE10hipError_tT0_T1_T2_jT3_P12ihipStream_tbPNSt15iterator_traitsISI_E10value_typeEPNSO_ISJ_E10value_typeEPSK_NS1_7vsmem_tEENKUlT_SI_SJ_SK_E_clIPySD_S10_SD_EESH_SX_SI_SJ_SK_EUlSX_E0_NS1_11comp_targetILNS1_3genE8ELNS1_11target_archE1030ELNS1_3gpuE2ELNS1_3repE0EEENS1_38merge_mergepath_config_static_selectorELNS0_4arch9wavefront6targetE1EEEvSJ_,@function
_ZN7rocprim17ROCPRIM_400000_NS6detail17trampoline_kernelINS0_14default_configENS1_38merge_sort_block_merge_config_selectorIyyEEZZNS1_27merge_sort_block_merge_implIS3_N6thrust23THRUST_200600_302600_NS6detail15normal_iteratorINS8_10device_ptrIyEEEESD_jNS1_19radix_merge_compareILb0ELb1EyNS0_19identity_decomposerEEEEE10hipError_tT0_T1_T2_jT3_P12ihipStream_tbPNSt15iterator_traitsISI_E10value_typeEPNSO_ISJ_E10value_typeEPSK_NS1_7vsmem_tEENKUlT_SI_SJ_SK_E_clIPySD_S10_SD_EESH_SX_SI_SJ_SK_EUlSX_E0_NS1_11comp_targetILNS1_3genE8ELNS1_11target_archE1030ELNS1_3gpuE2ELNS1_3repE0EEENS1_38merge_mergepath_config_static_selectorELNS0_4arch9wavefront6targetE1EEEvSJ_: ; @_ZN7rocprim17ROCPRIM_400000_NS6detail17trampoline_kernelINS0_14default_configENS1_38merge_sort_block_merge_config_selectorIyyEEZZNS1_27merge_sort_block_merge_implIS3_N6thrust23THRUST_200600_302600_NS6detail15normal_iteratorINS8_10device_ptrIyEEEESD_jNS1_19radix_merge_compareILb0ELb1EyNS0_19identity_decomposerEEEEE10hipError_tT0_T1_T2_jT3_P12ihipStream_tbPNSt15iterator_traitsISI_E10value_typeEPNSO_ISJ_E10value_typeEPSK_NS1_7vsmem_tEENKUlT_SI_SJ_SK_E_clIPySD_S10_SD_EESH_SX_SI_SJ_SK_EUlSX_E0_NS1_11comp_targetILNS1_3genE8ELNS1_11target_archE1030ELNS1_3gpuE2ELNS1_3repE0EEENS1_38merge_mergepath_config_static_selectorELNS0_4arch9wavefront6targetE1EEEvSJ_
; %bb.0:
	.section	.rodata,"a",@progbits
	.p2align	6, 0x0
	.amdhsa_kernel _ZN7rocprim17ROCPRIM_400000_NS6detail17trampoline_kernelINS0_14default_configENS1_38merge_sort_block_merge_config_selectorIyyEEZZNS1_27merge_sort_block_merge_implIS3_N6thrust23THRUST_200600_302600_NS6detail15normal_iteratorINS8_10device_ptrIyEEEESD_jNS1_19radix_merge_compareILb0ELb1EyNS0_19identity_decomposerEEEEE10hipError_tT0_T1_T2_jT3_P12ihipStream_tbPNSt15iterator_traitsISI_E10value_typeEPNSO_ISJ_E10value_typeEPSK_NS1_7vsmem_tEENKUlT_SI_SJ_SK_E_clIPySD_S10_SD_EESH_SX_SI_SJ_SK_EUlSX_E0_NS1_11comp_targetILNS1_3genE8ELNS1_11target_archE1030ELNS1_3gpuE2ELNS1_3repE0EEENS1_38merge_mergepath_config_static_selectorELNS0_4arch9wavefront6targetE1EEEvSJ_
		.amdhsa_group_segment_fixed_size 0
		.amdhsa_private_segment_fixed_size 0
		.amdhsa_kernarg_size 72
		.amdhsa_user_sgpr_count 2
		.amdhsa_user_sgpr_dispatch_ptr 0
		.amdhsa_user_sgpr_queue_ptr 0
		.amdhsa_user_sgpr_kernarg_segment_ptr 1
		.amdhsa_user_sgpr_dispatch_id 0
		.amdhsa_user_sgpr_kernarg_preload_length 0
		.amdhsa_user_sgpr_kernarg_preload_offset 0
		.amdhsa_user_sgpr_private_segment_size 0
		.amdhsa_uses_dynamic_stack 0
		.amdhsa_enable_private_segment 0
		.amdhsa_system_sgpr_workgroup_id_x 1
		.amdhsa_system_sgpr_workgroup_id_y 0
		.amdhsa_system_sgpr_workgroup_id_z 0
		.amdhsa_system_sgpr_workgroup_info 0
		.amdhsa_system_vgpr_workitem_id 0
		.amdhsa_next_free_vgpr 1
		.amdhsa_next_free_sgpr 0
		.amdhsa_accum_offset 4
		.amdhsa_reserve_vcc 0
		.amdhsa_float_round_mode_32 0
		.amdhsa_float_round_mode_16_64 0
		.amdhsa_float_denorm_mode_32 3
		.amdhsa_float_denorm_mode_16_64 3
		.amdhsa_dx10_clamp 1
		.amdhsa_ieee_mode 1
		.amdhsa_fp16_overflow 0
		.amdhsa_tg_split 0
		.amdhsa_exception_fp_ieee_invalid_op 0
		.amdhsa_exception_fp_denorm_src 0
		.amdhsa_exception_fp_ieee_div_zero 0
		.amdhsa_exception_fp_ieee_overflow 0
		.amdhsa_exception_fp_ieee_underflow 0
		.amdhsa_exception_fp_ieee_inexact 0
		.amdhsa_exception_int_div_zero 0
	.end_amdhsa_kernel
	.section	.text._ZN7rocprim17ROCPRIM_400000_NS6detail17trampoline_kernelINS0_14default_configENS1_38merge_sort_block_merge_config_selectorIyyEEZZNS1_27merge_sort_block_merge_implIS3_N6thrust23THRUST_200600_302600_NS6detail15normal_iteratorINS8_10device_ptrIyEEEESD_jNS1_19radix_merge_compareILb0ELb1EyNS0_19identity_decomposerEEEEE10hipError_tT0_T1_T2_jT3_P12ihipStream_tbPNSt15iterator_traitsISI_E10value_typeEPNSO_ISJ_E10value_typeEPSK_NS1_7vsmem_tEENKUlT_SI_SJ_SK_E_clIPySD_S10_SD_EESH_SX_SI_SJ_SK_EUlSX_E0_NS1_11comp_targetILNS1_3genE8ELNS1_11target_archE1030ELNS1_3gpuE2ELNS1_3repE0EEENS1_38merge_mergepath_config_static_selectorELNS0_4arch9wavefront6targetE1EEEvSJ_,"axG",@progbits,_ZN7rocprim17ROCPRIM_400000_NS6detail17trampoline_kernelINS0_14default_configENS1_38merge_sort_block_merge_config_selectorIyyEEZZNS1_27merge_sort_block_merge_implIS3_N6thrust23THRUST_200600_302600_NS6detail15normal_iteratorINS8_10device_ptrIyEEEESD_jNS1_19radix_merge_compareILb0ELb1EyNS0_19identity_decomposerEEEEE10hipError_tT0_T1_T2_jT3_P12ihipStream_tbPNSt15iterator_traitsISI_E10value_typeEPNSO_ISJ_E10value_typeEPSK_NS1_7vsmem_tEENKUlT_SI_SJ_SK_E_clIPySD_S10_SD_EESH_SX_SI_SJ_SK_EUlSX_E0_NS1_11comp_targetILNS1_3genE8ELNS1_11target_archE1030ELNS1_3gpuE2ELNS1_3repE0EEENS1_38merge_mergepath_config_static_selectorELNS0_4arch9wavefront6targetE1EEEvSJ_,comdat
.Lfunc_end468:
	.size	_ZN7rocprim17ROCPRIM_400000_NS6detail17trampoline_kernelINS0_14default_configENS1_38merge_sort_block_merge_config_selectorIyyEEZZNS1_27merge_sort_block_merge_implIS3_N6thrust23THRUST_200600_302600_NS6detail15normal_iteratorINS8_10device_ptrIyEEEESD_jNS1_19radix_merge_compareILb0ELb1EyNS0_19identity_decomposerEEEEE10hipError_tT0_T1_T2_jT3_P12ihipStream_tbPNSt15iterator_traitsISI_E10value_typeEPNSO_ISJ_E10value_typeEPSK_NS1_7vsmem_tEENKUlT_SI_SJ_SK_E_clIPySD_S10_SD_EESH_SX_SI_SJ_SK_EUlSX_E0_NS1_11comp_targetILNS1_3genE8ELNS1_11target_archE1030ELNS1_3gpuE2ELNS1_3repE0EEENS1_38merge_mergepath_config_static_selectorELNS0_4arch9wavefront6targetE1EEEvSJ_, .Lfunc_end468-_ZN7rocprim17ROCPRIM_400000_NS6detail17trampoline_kernelINS0_14default_configENS1_38merge_sort_block_merge_config_selectorIyyEEZZNS1_27merge_sort_block_merge_implIS3_N6thrust23THRUST_200600_302600_NS6detail15normal_iteratorINS8_10device_ptrIyEEEESD_jNS1_19radix_merge_compareILb0ELb1EyNS0_19identity_decomposerEEEEE10hipError_tT0_T1_T2_jT3_P12ihipStream_tbPNSt15iterator_traitsISI_E10value_typeEPNSO_ISJ_E10value_typeEPSK_NS1_7vsmem_tEENKUlT_SI_SJ_SK_E_clIPySD_S10_SD_EESH_SX_SI_SJ_SK_EUlSX_E0_NS1_11comp_targetILNS1_3genE8ELNS1_11target_archE1030ELNS1_3gpuE2ELNS1_3repE0EEENS1_38merge_mergepath_config_static_selectorELNS0_4arch9wavefront6targetE1EEEvSJ_
                                        ; -- End function
	.set _ZN7rocprim17ROCPRIM_400000_NS6detail17trampoline_kernelINS0_14default_configENS1_38merge_sort_block_merge_config_selectorIyyEEZZNS1_27merge_sort_block_merge_implIS3_N6thrust23THRUST_200600_302600_NS6detail15normal_iteratorINS8_10device_ptrIyEEEESD_jNS1_19radix_merge_compareILb0ELb1EyNS0_19identity_decomposerEEEEE10hipError_tT0_T1_T2_jT3_P12ihipStream_tbPNSt15iterator_traitsISI_E10value_typeEPNSO_ISJ_E10value_typeEPSK_NS1_7vsmem_tEENKUlT_SI_SJ_SK_E_clIPySD_S10_SD_EESH_SX_SI_SJ_SK_EUlSX_E0_NS1_11comp_targetILNS1_3genE8ELNS1_11target_archE1030ELNS1_3gpuE2ELNS1_3repE0EEENS1_38merge_mergepath_config_static_selectorELNS0_4arch9wavefront6targetE1EEEvSJ_.num_vgpr, 0
	.set _ZN7rocprim17ROCPRIM_400000_NS6detail17trampoline_kernelINS0_14default_configENS1_38merge_sort_block_merge_config_selectorIyyEEZZNS1_27merge_sort_block_merge_implIS3_N6thrust23THRUST_200600_302600_NS6detail15normal_iteratorINS8_10device_ptrIyEEEESD_jNS1_19radix_merge_compareILb0ELb1EyNS0_19identity_decomposerEEEEE10hipError_tT0_T1_T2_jT3_P12ihipStream_tbPNSt15iterator_traitsISI_E10value_typeEPNSO_ISJ_E10value_typeEPSK_NS1_7vsmem_tEENKUlT_SI_SJ_SK_E_clIPySD_S10_SD_EESH_SX_SI_SJ_SK_EUlSX_E0_NS1_11comp_targetILNS1_3genE8ELNS1_11target_archE1030ELNS1_3gpuE2ELNS1_3repE0EEENS1_38merge_mergepath_config_static_selectorELNS0_4arch9wavefront6targetE1EEEvSJ_.num_agpr, 0
	.set _ZN7rocprim17ROCPRIM_400000_NS6detail17trampoline_kernelINS0_14default_configENS1_38merge_sort_block_merge_config_selectorIyyEEZZNS1_27merge_sort_block_merge_implIS3_N6thrust23THRUST_200600_302600_NS6detail15normal_iteratorINS8_10device_ptrIyEEEESD_jNS1_19radix_merge_compareILb0ELb1EyNS0_19identity_decomposerEEEEE10hipError_tT0_T1_T2_jT3_P12ihipStream_tbPNSt15iterator_traitsISI_E10value_typeEPNSO_ISJ_E10value_typeEPSK_NS1_7vsmem_tEENKUlT_SI_SJ_SK_E_clIPySD_S10_SD_EESH_SX_SI_SJ_SK_EUlSX_E0_NS1_11comp_targetILNS1_3genE8ELNS1_11target_archE1030ELNS1_3gpuE2ELNS1_3repE0EEENS1_38merge_mergepath_config_static_selectorELNS0_4arch9wavefront6targetE1EEEvSJ_.numbered_sgpr, 0
	.set _ZN7rocprim17ROCPRIM_400000_NS6detail17trampoline_kernelINS0_14default_configENS1_38merge_sort_block_merge_config_selectorIyyEEZZNS1_27merge_sort_block_merge_implIS3_N6thrust23THRUST_200600_302600_NS6detail15normal_iteratorINS8_10device_ptrIyEEEESD_jNS1_19radix_merge_compareILb0ELb1EyNS0_19identity_decomposerEEEEE10hipError_tT0_T1_T2_jT3_P12ihipStream_tbPNSt15iterator_traitsISI_E10value_typeEPNSO_ISJ_E10value_typeEPSK_NS1_7vsmem_tEENKUlT_SI_SJ_SK_E_clIPySD_S10_SD_EESH_SX_SI_SJ_SK_EUlSX_E0_NS1_11comp_targetILNS1_3genE8ELNS1_11target_archE1030ELNS1_3gpuE2ELNS1_3repE0EEENS1_38merge_mergepath_config_static_selectorELNS0_4arch9wavefront6targetE1EEEvSJ_.num_named_barrier, 0
	.set _ZN7rocprim17ROCPRIM_400000_NS6detail17trampoline_kernelINS0_14default_configENS1_38merge_sort_block_merge_config_selectorIyyEEZZNS1_27merge_sort_block_merge_implIS3_N6thrust23THRUST_200600_302600_NS6detail15normal_iteratorINS8_10device_ptrIyEEEESD_jNS1_19radix_merge_compareILb0ELb1EyNS0_19identity_decomposerEEEEE10hipError_tT0_T1_T2_jT3_P12ihipStream_tbPNSt15iterator_traitsISI_E10value_typeEPNSO_ISJ_E10value_typeEPSK_NS1_7vsmem_tEENKUlT_SI_SJ_SK_E_clIPySD_S10_SD_EESH_SX_SI_SJ_SK_EUlSX_E0_NS1_11comp_targetILNS1_3genE8ELNS1_11target_archE1030ELNS1_3gpuE2ELNS1_3repE0EEENS1_38merge_mergepath_config_static_selectorELNS0_4arch9wavefront6targetE1EEEvSJ_.private_seg_size, 0
	.set _ZN7rocprim17ROCPRIM_400000_NS6detail17trampoline_kernelINS0_14default_configENS1_38merge_sort_block_merge_config_selectorIyyEEZZNS1_27merge_sort_block_merge_implIS3_N6thrust23THRUST_200600_302600_NS6detail15normal_iteratorINS8_10device_ptrIyEEEESD_jNS1_19radix_merge_compareILb0ELb1EyNS0_19identity_decomposerEEEEE10hipError_tT0_T1_T2_jT3_P12ihipStream_tbPNSt15iterator_traitsISI_E10value_typeEPNSO_ISJ_E10value_typeEPSK_NS1_7vsmem_tEENKUlT_SI_SJ_SK_E_clIPySD_S10_SD_EESH_SX_SI_SJ_SK_EUlSX_E0_NS1_11comp_targetILNS1_3genE8ELNS1_11target_archE1030ELNS1_3gpuE2ELNS1_3repE0EEENS1_38merge_mergepath_config_static_selectorELNS0_4arch9wavefront6targetE1EEEvSJ_.uses_vcc, 0
	.set _ZN7rocprim17ROCPRIM_400000_NS6detail17trampoline_kernelINS0_14default_configENS1_38merge_sort_block_merge_config_selectorIyyEEZZNS1_27merge_sort_block_merge_implIS3_N6thrust23THRUST_200600_302600_NS6detail15normal_iteratorINS8_10device_ptrIyEEEESD_jNS1_19radix_merge_compareILb0ELb1EyNS0_19identity_decomposerEEEEE10hipError_tT0_T1_T2_jT3_P12ihipStream_tbPNSt15iterator_traitsISI_E10value_typeEPNSO_ISJ_E10value_typeEPSK_NS1_7vsmem_tEENKUlT_SI_SJ_SK_E_clIPySD_S10_SD_EESH_SX_SI_SJ_SK_EUlSX_E0_NS1_11comp_targetILNS1_3genE8ELNS1_11target_archE1030ELNS1_3gpuE2ELNS1_3repE0EEENS1_38merge_mergepath_config_static_selectorELNS0_4arch9wavefront6targetE1EEEvSJ_.uses_flat_scratch, 0
	.set _ZN7rocprim17ROCPRIM_400000_NS6detail17trampoline_kernelINS0_14default_configENS1_38merge_sort_block_merge_config_selectorIyyEEZZNS1_27merge_sort_block_merge_implIS3_N6thrust23THRUST_200600_302600_NS6detail15normal_iteratorINS8_10device_ptrIyEEEESD_jNS1_19radix_merge_compareILb0ELb1EyNS0_19identity_decomposerEEEEE10hipError_tT0_T1_T2_jT3_P12ihipStream_tbPNSt15iterator_traitsISI_E10value_typeEPNSO_ISJ_E10value_typeEPSK_NS1_7vsmem_tEENKUlT_SI_SJ_SK_E_clIPySD_S10_SD_EESH_SX_SI_SJ_SK_EUlSX_E0_NS1_11comp_targetILNS1_3genE8ELNS1_11target_archE1030ELNS1_3gpuE2ELNS1_3repE0EEENS1_38merge_mergepath_config_static_selectorELNS0_4arch9wavefront6targetE1EEEvSJ_.has_dyn_sized_stack, 0
	.set _ZN7rocprim17ROCPRIM_400000_NS6detail17trampoline_kernelINS0_14default_configENS1_38merge_sort_block_merge_config_selectorIyyEEZZNS1_27merge_sort_block_merge_implIS3_N6thrust23THRUST_200600_302600_NS6detail15normal_iteratorINS8_10device_ptrIyEEEESD_jNS1_19radix_merge_compareILb0ELb1EyNS0_19identity_decomposerEEEEE10hipError_tT0_T1_T2_jT3_P12ihipStream_tbPNSt15iterator_traitsISI_E10value_typeEPNSO_ISJ_E10value_typeEPSK_NS1_7vsmem_tEENKUlT_SI_SJ_SK_E_clIPySD_S10_SD_EESH_SX_SI_SJ_SK_EUlSX_E0_NS1_11comp_targetILNS1_3genE8ELNS1_11target_archE1030ELNS1_3gpuE2ELNS1_3repE0EEENS1_38merge_mergepath_config_static_selectorELNS0_4arch9wavefront6targetE1EEEvSJ_.has_recursion, 0
	.set _ZN7rocprim17ROCPRIM_400000_NS6detail17trampoline_kernelINS0_14default_configENS1_38merge_sort_block_merge_config_selectorIyyEEZZNS1_27merge_sort_block_merge_implIS3_N6thrust23THRUST_200600_302600_NS6detail15normal_iteratorINS8_10device_ptrIyEEEESD_jNS1_19radix_merge_compareILb0ELb1EyNS0_19identity_decomposerEEEEE10hipError_tT0_T1_T2_jT3_P12ihipStream_tbPNSt15iterator_traitsISI_E10value_typeEPNSO_ISJ_E10value_typeEPSK_NS1_7vsmem_tEENKUlT_SI_SJ_SK_E_clIPySD_S10_SD_EESH_SX_SI_SJ_SK_EUlSX_E0_NS1_11comp_targetILNS1_3genE8ELNS1_11target_archE1030ELNS1_3gpuE2ELNS1_3repE0EEENS1_38merge_mergepath_config_static_selectorELNS0_4arch9wavefront6targetE1EEEvSJ_.has_indirect_call, 0
	.section	.AMDGPU.csdata,"",@progbits
; Kernel info:
; codeLenInByte = 0
; TotalNumSgprs: 6
; NumVgprs: 0
; NumAgprs: 0
; TotalNumVgprs: 0
; ScratchSize: 0
; MemoryBound: 0
; FloatMode: 240
; IeeeMode: 1
; LDSByteSize: 0 bytes/workgroup (compile time only)
; SGPRBlocks: 0
; VGPRBlocks: 0
; NumSGPRsForWavesPerEU: 6
; NumVGPRsForWavesPerEU: 1
; AccumOffset: 4
; Occupancy: 8
; WaveLimiterHint : 0
; COMPUTE_PGM_RSRC2:SCRATCH_EN: 0
; COMPUTE_PGM_RSRC2:USER_SGPR: 2
; COMPUTE_PGM_RSRC2:TRAP_HANDLER: 0
; COMPUTE_PGM_RSRC2:TGID_X_EN: 1
; COMPUTE_PGM_RSRC2:TGID_Y_EN: 0
; COMPUTE_PGM_RSRC2:TGID_Z_EN: 0
; COMPUTE_PGM_RSRC2:TIDIG_COMP_CNT: 0
; COMPUTE_PGM_RSRC3_GFX90A:ACCUM_OFFSET: 0
; COMPUTE_PGM_RSRC3_GFX90A:TG_SPLIT: 0
	.section	.text._ZN7rocprim17ROCPRIM_400000_NS6detail17trampoline_kernelINS0_14default_configENS1_38merge_sort_block_merge_config_selectorIyyEEZZNS1_27merge_sort_block_merge_implIS3_N6thrust23THRUST_200600_302600_NS6detail15normal_iteratorINS8_10device_ptrIyEEEESD_jNS1_19radix_merge_compareILb0ELb1EyNS0_19identity_decomposerEEEEE10hipError_tT0_T1_T2_jT3_P12ihipStream_tbPNSt15iterator_traitsISI_E10value_typeEPNSO_ISJ_E10value_typeEPSK_NS1_7vsmem_tEENKUlT_SI_SJ_SK_E_clIPySD_S10_SD_EESH_SX_SI_SJ_SK_EUlSX_E1_NS1_11comp_targetILNS1_3genE0ELNS1_11target_archE4294967295ELNS1_3gpuE0ELNS1_3repE0EEENS1_36merge_oddeven_config_static_selectorELNS0_4arch9wavefront6targetE1EEEvSJ_,"axG",@progbits,_ZN7rocprim17ROCPRIM_400000_NS6detail17trampoline_kernelINS0_14default_configENS1_38merge_sort_block_merge_config_selectorIyyEEZZNS1_27merge_sort_block_merge_implIS3_N6thrust23THRUST_200600_302600_NS6detail15normal_iteratorINS8_10device_ptrIyEEEESD_jNS1_19radix_merge_compareILb0ELb1EyNS0_19identity_decomposerEEEEE10hipError_tT0_T1_T2_jT3_P12ihipStream_tbPNSt15iterator_traitsISI_E10value_typeEPNSO_ISJ_E10value_typeEPSK_NS1_7vsmem_tEENKUlT_SI_SJ_SK_E_clIPySD_S10_SD_EESH_SX_SI_SJ_SK_EUlSX_E1_NS1_11comp_targetILNS1_3genE0ELNS1_11target_archE4294967295ELNS1_3gpuE0ELNS1_3repE0EEENS1_36merge_oddeven_config_static_selectorELNS0_4arch9wavefront6targetE1EEEvSJ_,comdat
	.protected	_ZN7rocprim17ROCPRIM_400000_NS6detail17trampoline_kernelINS0_14default_configENS1_38merge_sort_block_merge_config_selectorIyyEEZZNS1_27merge_sort_block_merge_implIS3_N6thrust23THRUST_200600_302600_NS6detail15normal_iteratorINS8_10device_ptrIyEEEESD_jNS1_19radix_merge_compareILb0ELb1EyNS0_19identity_decomposerEEEEE10hipError_tT0_T1_T2_jT3_P12ihipStream_tbPNSt15iterator_traitsISI_E10value_typeEPNSO_ISJ_E10value_typeEPSK_NS1_7vsmem_tEENKUlT_SI_SJ_SK_E_clIPySD_S10_SD_EESH_SX_SI_SJ_SK_EUlSX_E1_NS1_11comp_targetILNS1_3genE0ELNS1_11target_archE4294967295ELNS1_3gpuE0ELNS1_3repE0EEENS1_36merge_oddeven_config_static_selectorELNS0_4arch9wavefront6targetE1EEEvSJ_ ; -- Begin function _ZN7rocprim17ROCPRIM_400000_NS6detail17trampoline_kernelINS0_14default_configENS1_38merge_sort_block_merge_config_selectorIyyEEZZNS1_27merge_sort_block_merge_implIS3_N6thrust23THRUST_200600_302600_NS6detail15normal_iteratorINS8_10device_ptrIyEEEESD_jNS1_19radix_merge_compareILb0ELb1EyNS0_19identity_decomposerEEEEE10hipError_tT0_T1_T2_jT3_P12ihipStream_tbPNSt15iterator_traitsISI_E10value_typeEPNSO_ISJ_E10value_typeEPSK_NS1_7vsmem_tEENKUlT_SI_SJ_SK_E_clIPySD_S10_SD_EESH_SX_SI_SJ_SK_EUlSX_E1_NS1_11comp_targetILNS1_3genE0ELNS1_11target_archE4294967295ELNS1_3gpuE0ELNS1_3repE0EEENS1_36merge_oddeven_config_static_selectorELNS0_4arch9wavefront6targetE1EEEvSJ_
	.globl	_ZN7rocprim17ROCPRIM_400000_NS6detail17trampoline_kernelINS0_14default_configENS1_38merge_sort_block_merge_config_selectorIyyEEZZNS1_27merge_sort_block_merge_implIS3_N6thrust23THRUST_200600_302600_NS6detail15normal_iteratorINS8_10device_ptrIyEEEESD_jNS1_19radix_merge_compareILb0ELb1EyNS0_19identity_decomposerEEEEE10hipError_tT0_T1_T2_jT3_P12ihipStream_tbPNSt15iterator_traitsISI_E10value_typeEPNSO_ISJ_E10value_typeEPSK_NS1_7vsmem_tEENKUlT_SI_SJ_SK_E_clIPySD_S10_SD_EESH_SX_SI_SJ_SK_EUlSX_E1_NS1_11comp_targetILNS1_3genE0ELNS1_11target_archE4294967295ELNS1_3gpuE0ELNS1_3repE0EEENS1_36merge_oddeven_config_static_selectorELNS0_4arch9wavefront6targetE1EEEvSJ_
	.p2align	8
	.type	_ZN7rocprim17ROCPRIM_400000_NS6detail17trampoline_kernelINS0_14default_configENS1_38merge_sort_block_merge_config_selectorIyyEEZZNS1_27merge_sort_block_merge_implIS3_N6thrust23THRUST_200600_302600_NS6detail15normal_iteratorINS8_10device_ptrIyEEEESD_jNS1_19radix_merge_compareILb0ELb1EyNS0_19identity_decomposerEEEEE10hipError_tT0_T1_T2_jT3_P12ihipStream_tbPNSt15iterator_traitsISI_E10value_typeEPNSO_ISJ_E10value_typeEPSK_NS1_7vsmem_tEENKUlT_SI_SJ_SK_E_clIPySD_S10_SD_EESH_SX_SI_SJ_SK_EUlSX_E1_NS1_11comp_targetILNS1_3genE0ELNS1_11target_archE4294967295ELNS1_3gpuE0ELNS1_3repE0EEENS1_36merge_oddeven_config_static_selectorELNS0_4arch9wavefront6targetE1EEEvSJ_,@function
_ZN7rocprim17ROCPRIM_400000_NS6detail17trampoline_kernelINS0_14default_configENS1_38merge_sort_block_merge_config_selectorIyyEEZZNS1_27merge_sort_block_merge_implIS3_N6thrust23THRUST_200600_302600_NS6detail15normal_iteratorINS8_10device_ptrIyEEEESD_jNS1_19radix_merge_compareILb0ELb1EyNS0_19identity_decomposerEEEEE10hipError_tT0_T1_T2_jT3_P12ihipStream_tbPNSt15iterator_traitsISI_E10value_typeEPNSO_ISJ_E10value_typeEPSK_NS1_7vsmem_tEENKUlT_SI_SJ_SK_E_clIPySD_S10_SD_EESH_SX_SI_SJ_SK_EUlSX_E1_NS1_11comp_targetILNS1_3genE0ELNS1_11target_archE4294967295ELNS1_3gpuE0ELNS1_3repE0EEENS1_36merge_oddeven_config_static_selectorELNS0_4arch9wavefront6targetE1EEEvSJ_: ; @_ZN7rocprim17ROCPRIM_400000_NS6detail17trampoline_kernelINS0_14default_configENS1_38merge_sort_block_merge_config_selectorIyyEEZZNS1_27merge_sort_block_merge_implIS3_N6thrust23THRUST_200600_302600_NS6detail15normal_iteratorINS8_10device_ptrIyEEEESD_jNS1_19radix_merge_compareILb0ELb1EyNS0_19identity_decomposerEEEEE10hipError_tT0_T1_T2_jT3_P12ihipStream_tbPNSt15iterator_traitsISI_E10value_typeEPNSO_ISJ_E10value_typeEPSK_NS1_7vsmem_tEENKUlT_SI_SJ_SK_E_clIPySD_S10_SD_EESH_SX_SI_SJ_SK_EUlSX_E1_NS1_11comp_targetILNS1_3genE0ELNS1_11target_archE4294967295ELNS1_3gpuE0ELNS1_3repE0EEENS1_36merge_oddeven_config_static_selectorELNS0_4arch9wavefront6targetE1EEEvSJ_
; %bb.0:
	s_load_dword s20, s[0:1], 0x20
	s_waitcnt lgkmcnt(0)
	s_lshr_b32 s3, s20, 8
	s_cmp_eq_u32 s2, s3
	s_cselect_b64 s[16:17], -1, 0
	s_cmp_lg_u32 s2, s3
	s_cselect_b64 s[4:5], -1, 0
	s_lshl_b32 s18, s2, 8
	s_sub_i32 s3, s20, s18
	v_cmp_gt_u32_e64 s[6:7], s3, v0
	s_or_b64 s[4:5], s[4:5], s[6:7]
	s_and_saveexec_b64 s[8:9], s[4:5]
	s_cbranch_execz .LBB469_24
; %bb.1:
	s_load_dwordx8 s[8:15], s[0:1], 0x0
	s_mov_b32 s19, 0
	s_lshl_b64 s[4:5], s[18:19], 3
	v_lshlrev_b32_e32 v1, 3, v0
	s_load_dword s19, s[0:1], 0x24
	s_waitcnt lgkmcnt(0)
	s_add_u32 s22, s8, s4
	s_addc_u32 s23, s9, s5
	s_add_u32 s4, s12, s4
	s_addc_u32 s5, s13, s5
	global_load_dwordx2 v[2:3], v1, s[4:5]
	global_load_dwordx2 v[4:5], v1, s[22:23]
	s_lshr_b32 s3, s19, 8
	s_sub_i32 s4, 0, s3
	s_and_b32 s2, s2, s4
	s_and_b32 s3, s2, s3
	s_lshl_b32 s21, s2, 8
	s_sub_i32 s12, 0, s19
	s_cmp_eq_u32 s3, 0
	s_cselect_b64 s[4:5], -1, 0
	s_and_b64 s[2:3], s[4:5], exec
	s_cselect_b32 s12, s19, s12
	s_add_i32 s12, s12, s21
	s_mov_b64 s[2:3], -1
	s_cmp_gt_u32 s20, s12
	v_add_u32_e32 v0, s18, v0
	s_cbranch_scc1 .LBB469_9
; %bb.2:
	s_and_b64 vcc, exec, s[16:17]
	s_cbranch_vccz .LBB469_6
; %bb.3:
	v_cmp_gt_u32_e32 vcc, s20, v0
	s_and_saveexec_b64 s[2:3], vcc
	s_cbranch_execz .LBB469_5
; %bb.4:
	v_mov_b32_e32 v1, 0
	v_lshlrev_b64 v[6:7], 3, v[0:1]
	v_lshl_add_u64 v[8:9], s[10:11], 0, v[6:7]
	v_lshl_add_u64 v[6:7], s[14:15], 0, v[6:7]
	s_waitcnt vmcnt(0)
	global_store_dwordx2 v[8:9], v[4:5], off
	global_store_dwordx2 v[6:7], v[2:3], off
.LBB469_5:
	s_or_b64 exec, exec, s[2:3]
	s_mov_b64 s[2:3], 0
.LBB469_6:
	s_andn2_b64 vcc, exec, s[2:3]
	s_cbranch_vccnz .LBB469_8
; %bb.7:
	v_mov_b32_e32 v1, 0
	v_lshlrev_b64 v[6:7], 3, v[0:1]
	v_lshl_add_u64 v[8:9], s[10:11], 0, v[6:7]
	v_lshl_add_u64 v[6:7], s[14:15], 0, v[6:7]
	s_waitcnt vmcnt(0)
	global_store_dwordx2 v[8:9], v[4:5], off
	global_store_dwordx2 v[6:7], v[2:3], off
.LBB469_8:
	s_mov_b64 s[2:3], 0
.LBB469_9:
	s_andn2_b64 vcc, exec, s[2:3]
	s_cbranch_vccnz .LBB469_24
; %bb.10:
	s_load_dwordx2 s[0:1], s[0:1], 0x28
	s_min_u32 s13, s12, s20
	s_add_i32 s2, s13, s19
	s_min_u32 s18, s2, s20
	s_min_u32 s2, s21, s13
	s_add_i32 s21, s21, s13
	v_subrev_u32_e32 v0, s21, v0
	v_add_u32_e32 v8, s2, v0
	s_waitcnt vmcnt(0) lgkmcnt(0)
	v_and_b32_e32 v1, s1, v5
	v_and_b32_e32 v0, s0, v4
	s_mov_b64 s[2:3], -1
	s_and_b64 vcc, exec, s[16:17]
	s_cbranch_vccz .LBB469_18
; %bb.11:
	s_and_saveexec_b64 s[2:3], s[6:7]
	s_cbranch_execz .LBB469_17
; %bb.12:
	s_cmp_ge_u32 s12, s18
	v_mov_b32_e32 v9, s13
	s_cbranch_scc1 .LBB469_16
; %bb.13:
	s_mov_b64 s[6:7], 0
	v_mov_b32_e32 v10, s18
	v_mov_b32_e32 v9, s13
	;; [unrolled: 1-line block ×3, first 2 shown]
.LBB469_14:                             ; =>This Inner Loop Header: Depth=1
	v_add_u32_e32 v6, v9, v10
	v_lshrrev_b32_e32 v6, 1, v6
	v_lshl_add_u64 v[12:13], v[6:7], 3, s[8:9]
	global_load_dwordx2 v[12:13], v[12:13], off
	v_add_u32_e32 v11, 1, v6
	s_waitcnt vmcnt(0)
	v_and_b32_e32 v13, s1, v13
	v_and_b32_e32 v12, s0, v12
	v_cmp_gt_u64_e32 vcc, v[0:1], v[12:13]
	s_nop 1
	v_cndmask_b32_e64 v14, 0, 1, vcc
	v_cmp_le_u64_e32 vcc, v[12:13], v[0:1]
	s_nop 1
	v_cndmask_b32_e64 v12, 0, 1, vcc
	v_cndmask_b32_e64 v12, v12, v14, s[4:5]
	v_and_b32_e32 v12, 1, v12
	v_cmp_eq_u32_e32 vcc, 1, v12
	s_nop 1
	v_cndmask_b32_e32 v10, v6, v10, vcc
	v_cndmask_b32_e32 v9, v9, v11, vcc
	v_cmp_ge_u32_e32 vcc, v9, v10
	s_or_b64 s[6:7], vcc, s[6:7]
	s_andn2_b64 exec, exec, s[6:7]
	s_cbranch_execnz .LBB469_14
; %bb.15:
	s_or_b64 exec, exec, s[6:7]
.LBB469_16:
	v_add_u32_e32 v6, v9, v8
	v_mov_b32_e32 v7, 0
	v_lshlrev_b64 v[6:7], 3, v[6:7]
	v_lshl_add_u64 v[10:11], s[10:11], 0, v[6:7]
	v_lshl_add_u64 v[6:7], s[14:15], 0, v[6:7]
	global_store_dwordx2 v[10:11], v[4:5], off
	global_store_dwordx2 v[6:7], v[2:3], off
.LBB469_17:
	s_or_b64 exec, exec, s[2:3]
	s_mov_b64 s[2:3], 0
.LBB469_18:
	s_andn2_b64 vcc, exec, s[2:3]
	s_cbranch_vccnz .LBB469_24
; %bb.19:
	s_cmp_ge_u32 s12, s18
	v_mov_b32_e32 v9, s13
	s_cbranch_scc1 .LBB469_23
; %bb.20:
	s_mov_b64 s[2:3], 0
	v_mov_b32_e32 v10, s18
	v_mov_b32_e32 v9, s13
	;; [unrolled: 1-line block ×3, first 2 shown]
.LBB469_21:                             ; =>This Inner Loop Header: Depth=1
	v_add_u32_e32 v6, v9, v10
	v_lshrrev_b32_e32 v6, 1, v6
	v_lshl_add_u64 v[12:13], v[6:7], 3, s[8:9]
	global_load_dwordx2 v[12:13], v[12:13], off
	v_add_u32_e32 v11, 1, v6
	s_waitcnt vmcnt(0)
	v_and_b32_e32 v13, s1, v13
	v_and_b32_e32 v12, s0, v12
	v_cmp_gt_u64_e32 vcc, v[0:1], v[12:13]
	s_nop 1
	v_cndmask_b32_e64 v14, 0, 1, vcc
	v_cmp_le_u64_e32 vcc, v[12:13], v[0:1]
	s_nop 1
	v_cndmask_b32_e64 v12, 0, 1, vcc
	v_cndmask_b32_e64 v12, v12, v14, s[4:5]
	v_and_b32_e32 v12, 1, v12
	v_cmp_eq_u32_e32 vcc, 1, v12
	s_nop 1
	v_cndmask_b32_e32 v10, v6, v10, vcc
	v_cndmask_b32_e32 v9, v9, v11, vcc
	v_cmp_ge_u32_e32 vcc, v9, v10
	s_or_b64 s[2:3], vcc, s[2:3]
	s_andn2_b64 exec, exec, s[2:3]
	s_cbranch_execnz .LBB469_21
; %bb.22:
	s_or_b64 exec, exec, s[2:3]
.LBB469_23:
	v_add_u32_e32 v0, v9, v8
	v_mov_b32_e32 v1, 0
	v_lshlrev_b64 v[0:1], 3, v[0:1]
	v_lshl_add_u64 v[6:7], s[10:11], 0, v[0:1]
	v_lshl_add_u64 v[0:1], s[14:15], 0, v[0:1]
	global_store_dwordx2 v[6:7], v[4:5], off
	global_store_dwordx2 v[0:1], v[2:3], off
.LBB469_24:
	s_endpgm
	.section	.rodata,"a",@progbits
	.p2align	6, 0x0
	.amdhsa_kernel _ZN7rocprim17ROCPRIM_400000_NS6detail17trampoline_kernelINS0_14default_configENS1_38merge_sort_block_merge_config_selectorIyyEEZZNS1_27merge_sort_block_merge_implIS3_N6thrust23THRUST_200600_302600_NS6detail15normal_iteratorINS8_10device_ptrIyEEEESD_jNS1_19radix_merge_compareILb0ELb1EyNS0_19identity_decomposerEEEEE10hipError_tT0_T1_T2_jT3_P12ihipStream_tbPNSt15iterator_traitsISI_E10value_typeEPNSO_ISJ_E10value_typeEPSK_NS1_7vsmem_tEENKUlT_SI_SJ_SK_E_clIPySD_S10_SD_EESH_SX_SI_SJ_SK_EUlSX_E1_NS1_11comp_targetILNS1_3genE0ELNS1_11target_archE4294967295ELNS1_3gpuE0ELNS1_3repE0EEENS1_36merge_oddeven_config_static_selectorELNS0_4arch9wavefront6targetE1EEEvSJ_
		.amdhsa_group_segment_fixed_size 0
		.amdhsa_private_segment_fixed_size 0
		.amdhsa_kernarg_size 48
		.amdhsa_user_sgpr_count 2
		.amdhsa_user_sgpr_dispatch_ptr 0
		.amdhsa_user_sgpr_queue_ptr 0
		.amdhsa_user_sgpr_kernarg_segment_ptr 1
		.amdhsa_user_sgpr_dispatch_id 0
		.amdhsa_user_sgpr_kernarg_preload_length 0
		.amdhsa_user_sgpr_kernarg_preload_offset 0
		.amdhsa_user_sgpr_private_segment_size 0
		.amdhsa_uses_dynamic_stack 0
		.amdhsa_enable_private_segment 0
		.amdhsa_system_sgpr_workgroup_id_x 1
		.amdhsa_system_sgpr_workgroup_id_y 0
		.amdhsa_system_sgpr_workgroup_id_z 0
		.amdhsa_system_sgpr_workgroup_info 0
		.amdhsa_system_vgpr_workitem_id 0
		.amdhsa_next_free_vgpr 15
		.amdhsa_next_free_sgpr 24
		.amdhsa_accum_offset 16
		.amdhsa_reserve_vcc 1
		.amdhsa_float_round_mode_32 0
		.amdhsa_float_round_mode_16_64 0
		.amdhsa_float_denorm_mode_32 3
		.amdhsa_float_denorm_mode_16_64 3
		.amdhsa_dx10_clamp 1
		.amdhsa_ieee_mode 1
		.amdhsa_fp16_overflow 0
		.amdhsa_tg_split 0
		.amdhsa_exception_fp_ieee_invalid_op 0
		.amdhsa_exception_fp_denorm_src 0
		.amdhsa_exception_fp_ieee_div_zero 0
		.amdhsa_exception_fp_ieee_overflow 0
		.amdhsa_exception_fp_ieee_underflow 0
		.amdhsa_exception_fp_ieee_inexact 0
		.amdhsa_exception_int_div_zero 0
	.end_amdhsa_kernel
	.section	.text._ZN7rocprim17ROCPRIM_400000_NS6detail17trampoline_kernelINS0_14default_configENS1_38merge_sort_block_merge_config_selectorIyyEEZZNS1_27merge_sort_block_merge_implIS3_N6thrust23THRUST_200600_302600_NS6detail15normal_iteratorINS8_10device_ptrIyEEEESD_jNS1_19radix_merge_compareILb0ELb1EyNS0_19identity_decomposerEEEEE10hipError_tT0_T1_T2_jT3_P12ihipStream_tbPNSt15iterator_traitsISI_E10value_typeEPNSO_ISJ_E10value_typeEPSK_NS1_7vsmem_tEENKUlT_SI_SJ_SK_E_clIPySD_S10_SD_EESH_SX_SI_SJ_SK_EUlSX_E1_NS1_11comp_targetILNS1_3genE0ELNS1_11target_archE4294967295ELNS1_3gpuE0ELNS1_3repE0EEENS1_36merge_oddeven_config_static_selectorELNS0_4arch9wavefront6targetE1EEEvSJ_,"axG",@progbits,_ZN7rocprim17ROCPRIM_400000_NS6detail17trampoline_kernelINS0_14default_configENS1_38merge_sort_block_merge_config_selectorIyyEEZZNS1_27merge_sort_block_merge_implIS3_N6thrust23THRUST_200600_302600_NS6detail15normal_iteratorINS8_10device_ptrIyEEEESD_jNS1_19radix_merge_compareILb0ELb1EyNS0_19identity_decomposerEEEEE10hipError_tT0_T1_T2_jT3_P12ihipStream_tbPNSt15iterator_traitsISI_E10value_typeEPNSO_ISJ_E10value_typeEPSK_NS1_7vsmem_tEENKUlT_SI_SJ_SK_E_clIPySD_S10_SD_EESH_SX_SI_SJ_SK_EUlSX_E1_NS1_11comp_targetILNS1_3genE0ELNS1_11target_archE4294967295ELNS1_3gpuE0ELNS1_3repE0EEENS1_36merge_oddeven_config_static_selectorELNS0_4arch9wavefront6targetE1EEEvSJ_,comdat
.Lfunc_end469:
	.size	_ZN7rocprim17ROCPRIM_400000_NS6detail17trampoline_kernelINS0_14default_configENS1_38merge_sort_block_merge_config_selectorIyyEEZZNS1_27merge_sort_block_merge_implIS3_N6thrust23THRUST_200600_302600_NS6detail15normal_iteratorINS8_10device_ptrIyEEEESD_jNS1_19radix_merge_compareILb0ELb1EyNS0_19identity_decomposerEEEEE10hipError_tT0_T1_T2_jT3_P12ihipStream_tbPNSt15iterator_traitsISI_E10value_typeEPNSO_ISJ_E10value_typeEPSK_NS1_7vsmem_tEENKUlT_SI_SJ_SK_E_clIPySD_S10_SD_EESH_SX_SI_SJ_SK_EUlSX_E1_NS1_11comp_targetILNS1_3genE0ELNS1_11target_archE4294967295ELNS1_3gpuE0ELNS1_3repE0EEENS1_36merge_oddeven_config_static_selectorELNS0_4arch9wavefront6targetE1EEEvSJ_, .Lfunc_end469-_ZN7rocprim17ROCPRIM_400000_NS6detail17trampoline_kernelINS0_14default_configENS1_38merge_sort_block_merge_config_selectorIyyEEZZNS1_27merge_sort_block_merge_implIS3_N6thrust23THRUST_200600_302600_NS6detail15normal_iteratorINS8_10device_ptrIyEEEESD_jNS1_19radix_merge_compareILb0ELb1EyNS0_19identity_decomposerEEEEE10hipError_tT0_T1_T2_jT3_P12ihipStream_tbPNSt15iterator_traitsISI_E10value_typeEPNSO_ISJ_E10value_typeEPSK_NS1_7vsmem_tEENKUlT_SI_SJ_SK_E_clIPySD_S10_SD_EESH_SX_SI_SJ_SK_EUlSX_E1_NS1_11comp_targetILNS1_3genE0ELNS1_11target_archE4294967295ELNS1_3gpuE0ELNS1_3repE0EEENS1_36merge_oddeven_config_static_selectorELNS0_4arch9wavefront6targetE1EEEvSJ_
                                        ; -- End function
	.set _ZN7rocprim17ROCPRIM_400000_NS6detail17trampoline_kernelINS0_14default_configENS1_38merge_sort_block_merge_config_selectorIyyEEZZNS1_27merge_sort_block_merge_implIS3_N6thrust23THRUST_200600_302600_NS6detail15normal_iteratorINS8_10device_ptrIyEEEESD_jNS1_19radix_merge_compareILb0ELb1EyNS0_19identity_decomposerEEEEE10hipError_tT0_T1_T2_jT3_P12ihipStream_tbPNSt15iterator_traitsISI_E10value_typeEPNSO_ISJ_E10value_typeEPSK_NS1_7vsmem_tEENKUlT_SI_SJ_SK_E_clIPySD_S10_SD_EESH_SX_SI_SJ_SK_EUlSX_E1_NS1_11comp_targetILNS1_3genE0ELNS1_11target_archE4294967295ELNS1_3gpuE0ELNS1_3repE0EEENS1_36merge_oddeven_config_static_selectorELNS0_4arch9wavefront6targetE1EEEvSJ_.num_vgpr, 15
	.set _ZN7rocprim17ROCPRIM_400000_NS6detail17trampoline_kernelINS0_14default_configENS1_38merge_sort_block_merge_config_selectorIyyEEZZNS1_27merge_sort_block_merge_implIS3_N6thrust23THRUST_200600_302600_NS6detail15normal_iteratorINS8_10device_ptrIyEEEESD_jNS1_19radix_merge_compareILb0ELb1EyNS0_19identity_decomposerEEEEE10hipError_tT0_T1_T2_jT3_P12ihipStream_tbPNSt15iterator_traitsISI_E10value_typeEPNSO_ISJ_E10value_typeEPSK_NS1_7vsmem_tEENKUlT_SI_SJ_SK_E_clIPySD_S10_SD_EESH_SX_SI_SJ_SK_EUlSX_E1_NS1_11comp_targetILNS1_3genE0ELNS1_11target_archE4294967295ELNS1_3gpuE0ELNS1_3repE0EEENS1_36merge_oddeven_config_static_selectorELNS0_4arch9wavefront6targetE1EEEvSJ_.num_agpr, 0
	.set _ZN7rocprim17ROCPRIM_400000_NS6detail17trampoline_kernelINS0_14default_configENS1_38merge_sort_block_merge_config_selectorIyyEEZZNS1_27merge_sort_block_merge_implIS3_N6thrust23THRUST_200600_302600_NS6detail15normal_iteratorINS8_10device_ptrIyEEEESD_jNS1_19radix_merge_compareILb0ELb1EyNS0_19identity_decomposerEEEEE10hipError_tT0_T1_T2_jT3_P12ihipStream_tbPNSt15iterator_traitsISI_E10value_typeEPNSO_ISJ_E10value_typeEPSK_NS1_7vsmem_tEENKUlT_SI_SJ_SK_E_clIPySD_S10_SD_EESH_SX_SI_SJ_SK_EUlSX_E1_NS1_11comp_targetILNS1_3genE0ELNS1_11target_archE4294967295ELNS1_3gpuE0ELNS1_3repE0EEENS1_36merge_oddeven_config_static_selectorELNS0_4arch9wavefront6targetE1EEEvSJ_.numbered_sgpr, 24
	.set _ZN7rocprim17ROCPRIM_400000_NS6detail17trampoline_kernelINS0_14default_configENS1_38merge_sort_block_merge_config_selectorIyyEEZZNS1_27merge_sort_block_merge_implIS3_N6thrust23THRUST_200600_302600_NS6detail15normal_iteratorINS8_10device_ptrIyEEEESD_jNS1_19radix_merge_compareILb0ELb1EyNS0_19identity_decomposerEEEEE10hipError_tT0_T1_T2_jT3_P12ihipStream_tbPNSt15iterator_traitsISI_E10value_typeEPNSO_ISJ_E10value_typeEPSK_NS1_7vsmem_tEENKUlT_SI_SJ_SK_E_clIPySD_S10_SD_EESH_SX_SI_SJ_SK_EUlSX_E1_NS1_11comp_targetILNS1_3genE0ELNS1_11target_archE4294967295ELNS1_3gpuE0ELNS1_3repE0EEENS1_36merge_oddeven_config_static_selectorELNS0_4arch9wavefront6targetE1EEEvSJ_.num_named_barrier, 0
	.set _ZN7rocprim17ROCPRIM_400000_NS6detail17trampoline_kernelINS0_14default_configENS1_38merge_sort_block_merge_config_selectorIyyEEZZNS1_27merge_sort_block_merge_implIS3_N6thrust23THRUST_200600_302600_NS6detail15normal_iteratorINS8_10device_ptrIyEEEESD_jNS1_19radix_merge_compareILb0ELb1EyNS0_19identity_decomposerEEEEE10hipError_tT0_T1_T2_jT3_P12ihipStream_tbPNSt15iterator_traitsISI_E10value_typeEPNSO_ISJ_E10value_typeEPSK_NS1_7vsmem_tEENKUlT_SI_SJ_SK_E_clIPySD_S10_SD_EESH_SX_SI_SJ_SK_EUlSX_E1_NS1_11comp_targetILNS1_3genE0ELNS1_11target_archE4294967295ELNS1_3gpuE0ELNS1_3repE0EEENS1_36merge_oddeven_config_static_selectorELNS0_4arch9wavefront6targetE1EEEvSJ_.private_seg_size, 0
	.set _ZN7rocprim17ROCPRIM_400000_NS6detail17trampoline_kernelINS0_14default_configENS1_38merge_sort_block_merge_config_selectorIyyEEZZNS1_27merge_sort_block_merge_implIS3_N6thrust23THRUST_200600_302600_NS6detail15normal_iteratorINS8_10device_ptrIyEEEESD_jNS1_19radix_merge_compareILb0ELb1EyNS0_19identity_decomposerEEEEE10hipError_tT0_T1_T2_jT3_P12ihipStream_tbPNSt15iterator_traitsISI_E10value_typeEPNSO_ISJ_E10value_typeEPSK_NS1_7vsmem_tEENKUlT_SI_SJ_SK_E_clIPySD_S10_SD_EESH_SX_SI_SJ_SK_EUlSX_E1_NS1_11comp_targetILNS1_3genE0ELNS1_11target_archE4294967295ELNS1_3gpuE0ELNS1_3repE0EEENS1_36merge_oddeven_config_static_selectorELNS0_4arch9wavefront6targetE1EEEvSJ_.uses_vcc, 1
	.set _ZN7rocprim17ROCPRIM_400000_NS6detail17trampoline_kernelINS0_14default_configENS1_38merge_sort_block_merge_config_selectorIyyEEZZNS1_27merge_sort_block_merge_implIS3_N6thrust23THRUST_200600_302600_NS6detail15normal_iteratorINS8_10device_ptrIyEEEESD_jNS1_19radix_merge_compareILb0ELb1EyNS0_19identity_decomposerEEEEE10hipError_tT0_T1_T2_jT3_P12ihipStream_tbPNSt15iterator_traitsISI_E10value_typeEPNSO_ISJ_E10value_typeEPSK_NS1_7vsmem_tEENKUlT_SI_SJ_SK_E_clIPySD_S10_SD_EESH_SX_SI_SJ_SK_EUlSX_E1_NS1_11comp_targetILNS1_3genE0ELNS1_11target_archE4294967295ELNS1_3gpuE0ELNS1_3repE0EEENS1_36merge_oddeven_config_static_selectorELNS0_4arch9wavefront6targetE1EEEvSJ_.uses_flat_scratch, 0
	.set _ZN7rocprim17ROCPRIM_400000_NS6detail17trampoline_kernelINS0_14default_configENS1_38merge_sort_block_merge_config_selectorIyyEEZZNS1_27merge_sort_block_merge_implIS3_N6thrust23THRUST_200600_302600_NS6detail15normal_iteratorINS8_10device_ptrIyEEEESD_jNS1_19radix_merge_compareILb0ELb1EyNS0_19identity_decomposerEEEEE10hipError_tT0_T1_T2_jT3_P12ihipStream_tbPNSt15iterator_traitsISI_E10value_typeEPNSO_ISJ_E10value_typeEPSK_NS1_7vsmem_tEENKUlT_SI_SJ_SK_E_clIPySD_S10_SD_EESH_SX_SI_SJ_SK_EUlSX_E1_NS1_11comp_targetILNS1_3genE0ELNS1_11target_archE4294967295ELNS1_3gpuE0ELNS1_3repE0EEENS1_36merge_oddeven_config_static_selectorELNS0_4arch9wavefront6targetE1EEEvSJ_.has_dyn_sized_stack, 0
	.set _ZN7rocprim17ROCPRIM_400000_NS6detail17trampoline_kernelINS0_14default_configENS1_38merge_sort_block_merge_config_selectorIyyEEZZNS1_27merge_sort_block_merge_implIS3_N6thrust23THRUST_200600_302600_NS6detail15normal_iteratorINS8_10device_ptrIyEEEESD_jNS1_19radix_merge_compareILb0ELb1EyNS0_19identity_decomposerEEEEE10hipError_tT0_T1_T2_jT3_P12ihipStream_tbPNSt15iterator_traitsISI_E10value_typeEPNSO_ISJ_E10value_typeEPSK_NS1_7vsmem_tEENKUlT_SI_SJ_SK_E_clIPySD_S10_SD_EESH_SX_SI_SJ_SK_EUlSX_E1_NS1_11comp_targetILNS1_3genE0ELNS1_11target_archE4294967295ELNS1_3gpuE0ELNS1_3repE0EEENS1_36merge_oddeven_config_static_selectorELNS0_4arch9wavefront6targetE1EEEvSJ_.has_recursion, 0
	.set _ZN7rocprim17ROCPRIM_400000_NS6detail17trampoline_kernelINS0_14default_configENS1_38merge_sort_block_merge_config_selectorIyyEEZZNS1_27merge_sort_block_merge_implIS3_N6thrust23THRUST_200600_302600_NS6detail15normal_iteratorINS8_10device_ptrIyEEEESD_jNS1_19radix_merge_compareILb0ELb1EyNS0_19identity_decomposerEEEEE10hipError_tT0_T1_T2_jT3_P12ihipStream_tbPNSt15iterator_traitsISI_E10value_typeEPNSO_ISJ_E10value_typeEPSK_NS1_7vsmem_tEENKUlT_SI_SJ_SK_E_clIPySD_S10_SD_EESH_SX_SI_SJ_SK_EUlSX_E1_NS1_11comp_targetILNS1_3genE0ELNS1_11target_archE4294967295ELNS1_3gpuE0ELNS1_3repE0EEENS1_36merge_oddeven_config_static_selectorELNS0_4arch9wavefront6targetE1EEEvSJ_.has_indirect_call, 0
	.section	.AMDGPU.csdata,"",@progbits
; Kernel info:
; codeLenInByte = 808
; TotalNumSgprs: 30
; NumVgprs: 15
; NumAgprs: 0
; TotalNumVgprs: 15
; ScratchSize: 0
; MemoryBound: 0
; FloatMode: 240
; IeeeMode: 1
; LDSByteSize: 0 bytes/workgroup (compile time only)
; SGPRBlocks: 3
; VGPRBlocks: 1
; NumSGPRsForWavesPerEU: 30
; NumVGPRsForWavesPerEU: 15
; AccumOffset: 16
; Occupancy: 8
; WaveLimiterHint : 0
; COMPUTE_PGM_RSRC2:SCRATCH_EN: 0
; COMPUTE_PGM_RSRC2:USER_SGPR: 2
; COMPUTE_PGM_RSRC2:TRAP_HANDLER: 0
; COMPUTE_PGM_RSRC2:TGID_X_EN: 1
; COMPUTE_PGM_RSRC2:TGID_Y_EN: 0
; COMPUTE_PGM_RSRC2:TGID_Z_EN: 0
; COMPUTE_PGM_RSRC2:TIDIG_COMP_CNT: 0
; COMPUTE_PGM_RSRC3_GFX90A:ACCUM_OFFSET: 3
; COMPUTE_PGM_RSRC3_GFX90A:TG_SPLIT: 0
	.section	.text._ZN7rocprim17ROCPRIM_400000_NS6detail17trampoline_kernelINS0_14default_configENS1_38merge_sort_block_merge_config_selectorIyyEEZZNS1_27merge_sort_block_merge_implIS3_N6thrust23THRUST_200600_302600_NS6detail15normal_iteratorINS8_10device_ptrIyEEEESD_jNS1_19radix_merge_compareILb0ELb1EyNS0_19identity_decomposerEEEEE10hipError_tT0_T1_T2_jT3_P12ihipStream_tbPNSt15iterator_traitsISI_E10value_typeEPNSO_ISJ_E10value_typeEPSK_NS1_7vsmem_tEENKUlT_SI_SJ_SK_E_clIPySD_S10_SD_EESH_SX_SI_SJ_SK_EUlSX_E1_NS1_11comp_targetILNS1_3genE10ELNS1_11target_archE1201ELNS1_3gpuE5ELNS1_3repE0EEENS1_36merge_oddeven_config_static_selectorELNS0_4arch9wavefront6targetE1EEEvSJ_,"axG",@progbits,_ZN7rocprim17ROCPRIM_400000_NS6detail17trampoline_kernelINS0_14default_configENS1_38merge_sort_block_merge_config_selectorIyyEEZZNS1_27merge_sort_block_merge_implIS3_N6thrust23THRUST_200600_302600_NS6detail15normal_iteratorINS8_10device_ptrIyEEEESD_jNS1_19radix_merge_compareILb0ELb1EyNS0_19identity_decomposerEEEEE10hipError_tT0_T1_T2_jT3_P12ihipStream_tbPNSt15iterator_traitsISI_E10value_typeEPNSO_ISJ_E10value_typeEPSK_NS1_7vsmem_tEENKUlT_SI_SJ_SK_E_clIPySD_S10_SD_EESH_SX_SI_SJ_SK_EUlSX_E1_NS1_11comp_targetILNS1_3genE10ELNS1_11target_archE1201ELNS1_3gpuE5ELNS1_3repE0EEENS1_36merge_oddeven_config_static_selectorELNS0_4arch9wavefront6targetE1EEEvSJ_,comdat
	.protected	_ZN7rocprim17ROCPRIM_400000_NS6detail17trampoline_kernelINS0_14default_configENS1_38merge_sort_block_merge_config_selectorIyyEEZZNS1_27merge_sort_block_merge_implIS3_N6thrust23THRUST_200600_302600_NS6detail15normal_iteratorINS8_10device_ptrIyEEEESD_jNS1_19radix_merge_compareILb0ELb1EyNS0_19identity_decomposerEEEEE10hipError_tT0_T1_T2_jT3_P12ihipStream_tbPNSt15iterator_traitsISI_E10value_typeEPNSO_ISJ_E10value_typeEPSK_NS1_7vsmem_tEENKUlT_SI_SJ_SK_E_clIPySD_S10_SD_EESH_SX_SI_SJ_SK_EUlSX_E1_NS1_11comp_targetILNS1_3genE10ELNS1_11target_archE1201ELNS1_3gpuE5ELNS1_3repE0EEENS1_36merge_oddeven_config_static_selectorELNS0_4arch9wavefront6targetE1EEEvSJ_ ; -- Begin function _ZN7rocprim17ROCPRIM_400000_NS6detail17trampoline_kernelINS0_14default_configENS1_38merge_sort_block_merge_config_selectorIyyEEZZNS1_27merge_sort_block_merge_implIS3_N6thrust23THRUST_200600_302600_NS6detail15normal_iteratorINS8_10device_ptrIyEEEESD_jNS1_19radix_merge_compareILb0ELb1EyNS0_19identity_decomposerEEEEE10hipError_tT0_T1_T2_jT3_P12ihipStream_tbPNSt15iterator_traitsISI_E10value_typeEPNSO_ISJ_E10value_typeEPSK_NS1_7vsmem_tEENKUlT_SI_SJ_SK_E_clIPySD_S10_SD_EESH_SX_SI_SJ_SK_EUlSX_E1_NS1_11comp_targetILNS1_3genE10ELNS1_11target_archE1201ELNS1_3gpuE5ELNS1_3repE0EEENS1_36merge_oddeven_config_static_selectorELNS0_4arch9wavefront6targetE1EEEvSJ_
	.globl	_ZN7rocprim17ROCPRIM_400000_NS6detail17trampoline_kernelINS0_14default_configENS1_38merge_sort_block_merge_config_selectorIyyEEZZNS1_27merge_sort_block_merge_implIS3_N6thrust23THRUST_200600_302600_NS6detail15normal_iteratorINS8_10device_ptrIyEEEESD_jNS1_19radix_merge_compareILb0ELb1EyNS0_19identity_decomposerEEEEE10hipError_tT0_T1_T2_jT3_P12ihipStream_tbPNSt15iterator_traitsISI_E10value_typeEPNSO_ISJ_E10value_typeEPSK_NS1_7vsmem_tEENKUlT_SI_SJ_SK_E_clIPySD_S10_SD_EESH_SX_SI_SJ_SK_EUlSX_E1_NS1_11comp_targetILNS1_3genE10ELNS1_11target_archE1201ELNS1_3gpuE5ELNS1_3repE0EEENS1_36merge_oddeven_config_static_selectorELNS0_4arch9wavefront6targetE1EEEvSJ_
	.p2align	8
	.type	_ZN7rocprim17ROCPRIM_400000_NS6detail17trampoline_kernelINS0_14default_configENS1_38merge_sort_block_merge_config_selectorIyyEEZZNS1_27merge_sort_block_merge_implIS3_N6thrust23THRUST_200600_302600_NS6detail15normal_iteratorINS8_10device_ptrIyEEEESD_jNS1_19radix_merge_compareILb0ELb1EyNS0_19identity_decomposerEEEEE10hipError_tT0_T1_T2_jT3_P12ihipStream_tbPNSt15iterator_traitsISI_E10value_typeEPNSO_ISJ_E10value_typeEPSK_NS1_7vsmem_tEENKUlT_SI_SJ_SK_E_clIPySD_S10_SD_EESH_SX_SI_SJ_SK_EUlSX_E1_NS1_11comp_targetILNS1_3genE10ELNS1_11target_archE1201ELNS1_3gpuE5ELNS1_3repE0EEENS1_36merge_oddeven_config_static_selectorELNS0_4arch9wavefront6targetE1EEEvSJ_,@function
_ZN7rocprim17ROCPRIM_400000_NS6detail17trampoline_kernelINS0_14default_configENS1_38merge_sort_block_merge_config_selectorIyyEEZZNS1_27merge_sort_block_merge_implIS3_N6thrust23THRUST_200600_302600_NS6detail15normal_iteratorINS8_10device_ptrIyEEEESD_jNS1_19radix_merge_compareILb0ELb1EyNS0_19identity_decomposerEEEEE10hipError_tT0_T1_T2_jT3_P12ihipStream_tbPNSt15iterator_traitsISI_E10value_typeEPNSO_ISJ_E10value_typeEPSK_NS1_7vsmem_tEENKUlT_SI_SJ_SK_E_clIPySD_S10_SD_EESH_SX_SI_SJ_SK_EUlSX_E1_NS1_11comp_targetILNS1_3genE10ELNS1_11target_archE1201ELNS1_3gpuE5ELNS1_3repE0EEENS1_36merge_oddeven_config_static_selectorELNS0_4arch9wavefront6targetE1EEEvSJ_: ; @_ZN7rocprim17ROCPRIM_400000_NS6detail17trampoline_kernelINS0_14default_configENS1_38merge_sort_block_merge_config_selectorIyyEEZZNS1_27merge_sort_block_merge_implIS3_N6thrust23THRUST_200600_302600_NS6detail15normal_iteratorINS8_10device_ptrIyEEEESD_jNS1_19radix_merge_compareILb0ELb1EyNS0_19identity_decomposerEEEEE10hipError_tT0_T1_T2_jT3_P12ihipStream_tbPNSt15iterator_traitsISI_E10value_typeEPNSO_ISJ_E10value_typeEPSK_NS1_7vsmem_tEENKUlT_SI_SJ_SK_E_clIPySD_S10_SD_EESH_SX_SI_SJ_SK_EUlSX_E1_NS1_11comp_targetILNS1_3genE10ELNS1_11target_archE1201ELNS1_3gpuE5ELNS1_3repE0EEENS1_36merge_oddeven_config_static_selectorELNS0_4arch9wavefront6targetE1EEEvSJ_
; %bb.0:
	.section	.rodata,"a",@progbits
	.p2align	6, 0x0
	.amdhsa_kernel _ZN7rocprim17ROCPRIM_400000_NS6detail17trampoline_kernelINS0_14default_configENS1_38merge_sort_block_merge_config_selectorIyyEEZZNS1_27merge_sort_block_merge_implIS3_N6thrust23THRUST_200600_302600_NS6detail15normal_iteratorINS8_10device_ptrIyEEEESD_jNS1_19radix_merge_compareILb0ELb1EyNS0_19identity_decomposerEEEEE10hipError_tT0_T1_T2_jT3_P12ihipStream_tbPNSt15iterator_traitsISI_E10value_typeEPNSO_ISJ_E10value_typeEPSK_NS1_7vsmem_tEENKUlT_SI_SJ_SK_E_clIPySD_S10_SD_EESH_SX_SI_SJ_SK_EUlSX_E1_NS1_11comp_targetILNS1_3genE10ELNS1_11target_archE1201ELNS1_3gpuE5ELNS1_3repE0EEENS1_36merge_oddeven_config_static_selectorELNS0_4arch9wavefront6targetE1EEEvSJ_
		.amdhsa_group_segment_fixed_size 0
		.amdhsa_private_segment_fixed_size 0
		.amdhsa_kernarg_size 48
		.amdhsa_user_sgpr_count 2
		.amdhsa_user_sgpr_dispatch_ptr 0
		.amdhsa_user_sgpr_queue_ptr 0
		.amdhsa_user_sgpr_kernarg_segment_ptr 1
		.amdhsa_user_sgpr_dispatch_id 0
		.amdhsa_user_sgpr_kernarg_preload_length 0
		.amdhsa_user_sgpr_kernarg_preload_offset 0
		.amdhsa_user_sgpr_private_segment_size 0
		.amdhsa_uses_dynamic_stack 0
		.amdhsa_enable_private_segment 0
		.amdhsa_system_sgpr_workgroup_id_x 1
		.amdhsa_system_sgpr_workgroup_id_y 0
		.amdhsa_system_sgpr_workgroup_id_z 0
		.amdhsa_system_sgpr_workgroup_info 0
		.amdhsa_system_vgpr_workitem_id 0
		.amdhsa_next_free_vgpr 1
		.amdhsa_next_free_sgpr 0
		.amdhsa_accum_offset 4
		.amdhsa_reserve_vcc 0
		.amdhsa_float_round_mode_32 0
		.amdhsa_float_round_mode_16_64 0
		.amdhsa_float_denorm_mode_32 3
		.amdhsa_float_denorm_mode_16_64 3
		.amdhsa_dx10_clamp 1
		.amdhsa_ieee_mode 1
		.amdhsa_fp16_overflow 0
		.amdhsa_tg_split 0
		.amdhsa_exception_fp_ieee_invalid_op 0
		.amdhsa_exception_fp_denorm_src 0
		.amdhsa_exception_fp_ieee_div_zero 0
		.amdhsa_exception_fp_ieee_overflow 0
		.amdhsa_exception_fp_ieee_underflow 0
		.amdhsa_exception_fp_ieee_inexact 0
		.amdhsa_exception_int_div_zero 0
	.end_amdhsa_kernel
	.section	.text._ZN7rocprim17ROCPRIM_400000_NS6detail17trampoline_kernelINS0_14default_configENS1_38merge_sort_block_merge_config_selectorIyyEEZZNS1_27merge_sort_block_merge_implIS3_N6thrust23THRUST_200600_302600_NS6detail15normal_iteratorINS8_10device_ptrIyEEEESD_jNS1_19radix_merge_compareILb0ELb1EyNS0_19identity_decomposerEEEEE10hipError_tT0_T1_T2_jT3_P12ihipStream_tbPNSt15iterator_traitsISI_E10value_typeEPNSO_ISJ_E10value_typeEPSK_NS1_7vsmem_tEENKUlT_SI_SJ_SK_E_clIPySD_S10_SD_EESH_SX_SI_SJ_SK_EUlSX_E1_NS1_11comp_targetILNS1_3genE10ELNS1_11target_archE1201ELNS1_3gpuE5ELNS1_3repE0EEENS1_36merge_oddeven_config_static_selectorELNS0_4arch9wavefront6targetE1EEEvSJ_,"axG",@progbits,_ZN7rocprim17ROCPRIM_400000_NS6detail17trampoline_kernelINS0_14default_configENS1_38merge_sort_block_merge_config_selectorIyyEEZZNS1_27merge_sort_block_merge_implIS3_N6thrust23THRUST_200600_302600_NS6detail15normal_iteratorINS8_10device_ptrIyEEEESD_jNS1_19radix_merge_compareILb0ELb1EyNS0_19identity_decomposerEEEEE10hipError_tT0_T1_T2_jT3_P12ihipStream_tbPNSt15iterator_traitsISI_E10value_typeEPNSO_ISJ_E10value_typeEPSK_NS1_7vsmem_tEENKUlT_SI_SJ_SK_E_clIPySD_S10_SD_EESH_SX_SI_SJ_SK_EUlSX_E1_NS1_11comp_targetILNS1_3genE10ELNS1_11target_archE1201ELNS1_3gpuE5ELNS1_3repE0EEENS1_36merge_oddeven_config_static_selectorELNS0_4arch9wavefront6targetE1EEEvSJ_,comdat
.Lfunc_end470:
	.size	_ZN7rocprim17ROCPRIM_400000_NS6detail17trampoline_kernelINS0_14default_configENS1_38merge_sort_block_merge_config_selectorIyyEEZZNS1_27merge_sort_block_merge_implIS3_N6thrust23THRUST_200600_302600_NS6detail15normal_iteratorINS8_10device_ptrIyEEEESD_jNS1_19radix_merge_compareILb0ELb1EyNS0_19identity_decomposerEEEEE10hipError_tT0_T1_T2_jT3_P12ihipStream_tbPNSt15iterator_traitsISI_E10value_typeEPNSO_ISJ_E10value_typeEPSK_NS1_7vsmem_tEENKUlT_SI_SJ_SK_E_clIPySD_S10_SD_EESH_SX_SI_SJ_SK_EUlSX_E1_NS1_11comp_targetILNS1_3genE10ELNS1_11target_archE1201ELNS1_3gpuE5ELNS1_3repE0EEENS1_36merge_oddeven_config_static_selectorELNS0_4arch9wavefront6targetE1EEEvSJ_, .Lfunc_end470-_ZN7rocprim17ROCPRIM_400000_NS6detail17trampoline_kernelINS0_14default_configENS1_38merge_sort_block_merge_config_selectorIyyEEZZNS1_27merge_sort_block_merge_implIS3_N6thrust23THRUST_200600_302600_NS6detail15normal_iteratorINS8_10device_ptrIyEEEESD_jNS1_19radix_merge_compareILb0ELb1EyNS0_19identity_decomposerEEEEE10hipError_tT0_T1_T2_jT3_P12ihipStream_tbPNSt15iterator_traitsISI_E10value_typeEPNSO_ISJ_E10value_typeEPSK_NS1_7vsmem_tEENKUlT_SI_SJ_SK_E_clIPySD_S10_SD_EESH_SX_SI_SJ_SK_EUlSX_E1_NS1_11comp_targetILNS1_3genE10ELNS1_11target_archE1201ELNS1_3gpuE5ELNS1_3repE0EEENS1_36merge_oddeven_config_static_selectorELNS0_4arch9wavefront6targetE1EEEvSJ_
                                        ; -- End function
	.set _ZN7rocprim17ROCPRIM_400000_NS6detail17trampoline_kernelINS0_14default_configENS1_38merge_sort_block_merge_config_selectorIyyEEZZNS1_27merge_sort_block_merge_implIS3_N6thrust23THRUST_200600_302600_NS6detail15normal_iteratorINS8_10device_ptrIyEEEESD_jNS1_19radix_merge_compareILb0ELb1EyNS0_19identity_decomposerEEEEE10hipError_tT0_T1_T2_jT3_P12ihipStream_tbPNSt15iterator_traitsISI_E10value_typeEPNSO_ISJ_E10value_typeEPSK_NS1_7vsmem_tEENKUlT_SI_SJ_SK_E_clIPySD_S10_SD_EESH_SX_SI_SJ_SK_EUlSX_E1_NS1_11comp_targetILNS1_3genE10ELNS1_11target_archE1201ELNS1_3gpuE5ELNS1_3repE0EEENS1_36merge_oddeven_config_static_selectorELNS0_4arch9wavefront6targetE1EEEvSJ_.num_vgpr, 0
	.set _ZN7rocprim17ROCPRIM_400000_NS6detail17trampoline_kernelINS0_14default_configENS1_38merge_sort_block_merge_config_selectorIyyEEZZNS1_27merge_sort_block_merge_implIS3_N6thrust23THRUST_200600_302600_NS6detail15normal_iteratorINS8_10device_ptrIyEEEESD_jNS1_19radix_merge_compareILb0ELb1EyNS0_19identity_decomposerEEEEE10hipError_tT0_T1_T2_jT3_P12ihipStream_tbPNSt15iterator_traitsISI_E10value_typeEPNSO_ISJ_E10value_typeEPSK_NS1_7vsmem_tEENKUlT_SI_SJ_SK_E_clIPySD_S10_SD_EESH_SX_SI_SJ_SK_EUlSX_E1_NS1_11comp_targetILNS1_3genE10ELNS1_11target_archE1201ELNS1_3gpuE5ELNS1_3repE0EEENS1_36merge_oddeven_config_static_selectorELNS0_4arch9wavefront6targetE1EEEvSJ_.num_agpr, 0
	.set _ZN7rocprim17ROCPRIM_400000_NS6detail17trampoline_kernelINS0_14default_configENS1_38merge_sort_block_merge_config_selectorIyyEEZZNS1_27merge_sort_block_merge_implIS3_N6thrust23THRUST_200600_302600_NS6detail15normal_iteratorINS8_10device_ptrIyEEEESD_jNS1_19radix_merge_compareILb0ELb1EyNS0_19identity_decomposerEEEEE10hipError_tT0_T1_T2_jT3_P12ihipStream_tbPNSt15iterator_traitsISI_E10value_typeEPNSO_ISJ_E10value_typeEPSK_NS1_7vsmem_tEENKUlT_SI_SJ_SK_E_clIPySD_S10_SD_EESH_SX_SI_SJ_SK_EUlSX_E1_NS1_11comp_targetILNS1_3genE10ELNS1_11target_archE1201ELNS1_3gpuE5ELNS1_3repE0EEENS1_36merge_oddeven_config_static_selectorELNS0_4arch9wavefront6targetE1EEEvSJ_.numbered_sgpr, 0
	.set _ZN7rocprim17ROCPRIM_400000_NS6detail17trampoline_kernelINS0_14default_configENS1_38merge_sort_block_merge_config_selectorIyyEEZZNS1_27merge_sort_block_merge_implIS3_N6thrust23THRUST_200600_302600_NS6detail15normal_iteratorINS8_10device_ptrIyEEEESD_jNS1_19radix_merge_compareILb0ELb1EyNS0_19identity_decomposerEEEEE10hipError_tT0_T1_T2_jT3_P12ihipStream_tbPNSt15iterator_traitsISI_E10value_typeEPNSO_ISJ_E10value_typeEPSK_NS1_7vsmem_tEENKUlT_SI_SJ_SK_E_clIPySD_S10_SD_EESH_SX_SI_SJ_SK_EUlSX_E1_NS1_11comp_targetILNS1_3genE10ELNS1_11target_archE1201ELNS1_3gpuE5ELNS1_3repE0EEENS1_36merge_oddeven_config_static_selectorELNS0_4arch9wavefront6targetE1EEEvSJ_.num_named_barrier, 0
	.set _ZN7rocprim17ROCPRIM_400000_NS6detail17trampoline_kernelINS0_14default_configENS1_38merge_sort_block_merge_config_selectorIyyEEZZNS1_27merge_sort_block_merge_implIS3_N6thrust23THRUST_200600_302600_NS6detail15normal_iteratorINS8_10device_ptrIyEEEESD_jNS1_19radix_merge_compareILb0ELb1EyNS0_19identity_decomposerEEEEE10hipError_tT0_T1_T2_jT3_P12ihipStream_tbPNSt15iterator_traitsISI_E10value_typeEPNSO_ISJ_E10value_typeEPSK_NS1_7vsmem_tEENKUlT_SI_SJ_SK_E_clIPySD_S10_SD_EESH_SX_SI_SJ_SK_EUlSX_E1_NS1_11comp_targetILNS1_3genE10ELNS1_11target_archE1201ELNS1_3gpuE5ELNS1_3repE0EEENS1_36merge_oddeven_config_static_selectorELNS0_4arch9wavefront6targetE1EEEvSJ_.private_seg_size, 0
	.set _ZN7rocprim17ROCPRIM_400000_NS6detail17trampoline_kernelINS0_14default_configENS1_38merge_sort_block_merge_config_selectorIyyEEZZNS1_27merge_sort_block_merge_implIS3_N6thrust23THRUST_200600_302600_NS6detail15normal_iteratorINS8_10device_ptrIyEEEESD_jNS1_19radix_merge_compareILb0ELb1EyNS0_19identity_decomposerEEEEE10hipError_tT0_T1_T2_jT3_P12ihipStream_tbPNSt15iterator_traitsISI_E10value_typeEPNSO_ISJ_E10value_typeEPSK_NS1_7vsmem_tEENKUlT_SI_SJ_SK_E_clIPySD_S10_SD_EESH_SX_SI_SJ_SK_EUlSX_E1_NS1_11comp_targetILNS1_3genE10ELNS1_11target_archE1201ELNS1_3gpuE5ELNS1_3repE0EEENS1_36merge_oddeven_config_static_selectorELNS0_4arch9wavefront6targetE1EEEvSJ_.uses_vcc, 0
	.set _ZN7rocprim17ROCPRIM_400000_NS6detail17trampoline_kernelINS0_14default_configENS1_38merge_sort_block_merge_config_selectorIyyEEZZNS1_27merge_sort_block_merge_implIS3_N6thrust23THRUST_200600_302600_NS6detail15normal_iteratorINS8_10device_ptrIyEEEESD_jNS1_19radix_merge_compareILb0ELb1EyNS0_19identity_decomposerEEEEE10hipError_tT0_T1_T2_jT3_P12ihipStream_tbPNSt15iterator_traitsISI_E10value_typeEPNSO_ISJ_E10value_typeEPSK_NS1_7vsmem_tEENKUlT_SI_SJ_SK_E_clIPySD_S10_SD_EESH_SX_SI_SJ_SK_EUlSX_E1_NS1_11comp_targetILNS1_3genE10ELNS1_11target_archE1201ELNS1_3gpuE5ELNS1_3repE0EEENS1_36merge_oddeven_config_static_selectorELNS0_4arch9wavefront6targetE1EEEvSJ_.uses_flat_scratch, 0
	.set _ZN7rocprim17ROCPRIM_400000_NS6detail17trampoline_kernelINS0_14default_configENS1_38merge_sort_block_merge_config_selectorIyyEEZZNS1_27merge_sort_block_merge_implIS3_N6thrust23THRUST_200600_302600_NS6detail15normal_iteratorINS8_10device_ptrIyEEEESD_jNS1_19radix_merge_compareILb0ELb1EyNS0_19identity_decomposerEEEEE10hipError_tT0_T1_T2_jT3_P12ihipStream_tbPNSt15iterator_traitsISI_E10value_typeEPNSO_ISJ_E10value_typeEPSK_NS1_7vsmem_tEENKUlT_SI_SJ_SK_E_clIPySD_S10_SD_EESH_SX_SI_SJ_SK_EUlSX_E1_NS1_11comp_targetILNS1_3genE10ELNS1_11target_archE1201ELNS1_3gpuE5ELNS1_3repE0EEENS1_36merge_oddeven_config_static_selectorELNS0_4arch9wavefront6targetE1EEEvSJ_.has_dyn_sized_stack, 0
	.set _ZN7rocprim17ROCPRIM_400000_NS6detail17trampoline_kernelINS0_14default_configENS1_38merge_sort_block_merge_config_selectorIyyEEZZNS1_27merge_sort_block_merge_implIS3_N6thrust23THRUST_200600_302600_NS6detail15normal_iteratorINS8_10device_ptrIyEEEESD_jNS1_19radix_merge_compareILb0ELb1EyNS0_19identity_decomposerEEEEE10hipError_tT0_T1_T2_jT3_P12ihipStream_tbPNSt15iterator_traitsISI_E10value_typeEPNSO_ISJ_E10value_typeEPSK_NS1_7vsmem_tEENKUlT_SI_SJ_SK_E_clIPySD_S10_SD_EESH_SX_SI_SJ_SK_EUlSX_E1_NS1_11comp_targetILNS1_3genE10ELNS1_11target_archE1201ELNS1_3gpuE5ELNS1_3repE0EEENS1_36merge_oddeven_config_static_selectorELNS0_4arch9wavefront6targetE1EEEvSJ_.has_recursion, 0
	.set _ZN7rocprim17ROCPRIM_400000_NS6detail17trampoline_kernelINS0_14default_configENS1_38merge_sort_block_merge_config_selectorIyyEEZZNS1_27merge_sort_block_merge_implIS3_N6thrust23THRUST_200600_302600_NS6detail15normal_iteratorINS8_10device_ptrIyEEEESD_jNS1_19radix_merge_compareILb0ELb1EyNS0_19identity_decomposerEEEEE10hipError_tT0_T1_T2_jT3_P12ihipStream_tbPNSt15iterator_traitsISI_E10value_typeEPNSO_ISJ_E10value_typeEPSK_NS1_7vsmem_tEENKUlT_SI_SJ_SK_E_clIPySD_S10_SD_EESH_SX_SI_SJ_SK_EUlSX_E1_NS1_11comp_targetILNS1_3genE10ELNS1_11target_archE1201ELNS1_3gpuE5ELNS1_3repE0EEENS1_36merge_oddeven_config_static_selectorELNS0_4arch9wavefront6targetE1EEEvSJ_.has_indirect_call, 0
	.section	.AMDGPU.csdata,"",@progbits
; Kernel info:
; codeLenInByte = 0
; TotalNumSgprs: 6
; NumVgprs: 0
; NumAgprs: 0
; TotalNumVgprs: 0
; ScratchSize: 0
; MemoryBound: 0
; FloatMode: 240
; IeeeMode: 1
; LDSByteSize: 0 bytes/workgroup (compile time only)
; SGPRBlocks: 0
; VGPRBlocks: 0
; NumSGPRsForWavesPerEU: 6
; NumVGPRsForWavesPerEU: 1
; AccumOffset: 4
; Occupancy: 8
; WaveLimiterHint : 0
; COMPUTE_PGM_RSRC2:SCRATCH_EN: 0
; COMPUTE_PGM_RSRC2:USER_SGPR: 2
; COMPUTE_PGM_RSRC2:TRAP_HANDLER: 0
; COMPUTE_PGM_RSRC2:TGID_X_EN: 1
; COMPUTE_PGM_RSRC2:TGID_Y_EN: 0
; COMPUTE_PGM_RSRC2:TGID_Z_EN: 0
; COMPUTE_PGM_RSRC2:TIDIG_COMP_CNT: 0
; COMPUTE_PGM_RSRC3_GFX90A:ACCUM_OFFSET: 0
; COMPUTE_PGM_RSRC3_GFX90A:TG_SPLIT: 0
	.section	.text._ZN7rocprim17ROCPRIM_400000_NS6detail17trampoline_kernelINS0_14default_configENS1_38merge_sort_block_merge_config_selectorIyyEEZZNS1_27merge_sort_block_merge_implIS3_N6thrust23THRUST_200600_302600_NS6detail15normal_iteratorINS8_10device_ptrIyEEEESD_jNS1_19radix_merge_compareILb0ELb1EyNS0_19identity_decomposerEEEEE10hipError_tT0_T1_T2_jT3_P12ihipStream_tbPNSt15iterator_traitsISI_E10value_typeEPNSO_ISJ_E10value_typeEPSK_NS1_7vsmem_tEENKUlT_SI_SJ_SK_E_clIPySD_S10_SD_EESH_SX_SI_SJ_SK_EUlSX_E1_NS1_11comp_targetILNS1_3genE5ELNS1_11target_archE942ELNS1_3gpuE9ELNS1_3repE0EEENS1_36merge_oddeven_config_static_selectorELNS0_4arch9wavefront6targetE1EEEvSJ_,"axG",@progbits,_ZN7rocprim17ROCPRIM_400000_NS6detail17trampoline_kernelINS0_14default_configENS1_38merge_sort_block_merge_config_selectorIyyEEZZNS1_27merge_sort_block_merge_implIS3_N6thrust23THRUST_200600_302600_NS6detail15normal_iteratorINS8_10device_ptrIyEEEESD_jNS1_19radix_merge_compareILb0ELb1EyNS0_19identity_decomposerEEEEE10hipError_tT0_T1_T2_jT3_P12ihipStream_tbPNSt15iterator_traitsISI_E10value_typeEPNSO_ISJ_E10value_typeEPSK_NS1_7vsmem_tEENKUlT_SI_SJ_SK_E_clIPySD_S10_SD_EESH_SX_SI_SJ_SK_EUlSX_E1_NS1_11comp_targetILNS1_3genE5ELNS1_11target_archE942ELNS1_3gpuE9ELNS1_3repE0EEENS1_36merge_oddeven_config_static_selectorELNS0_4arch9wavefront6targetE1EEEvSJ_,comdat
	.protected	_ZN7rocprim17ROCPRIM_400000_NS6detail17trampoline_kernelINS0_14default_configENS1_38merge_sort_block_merge_config_selectorIyyEEZZNS1_27merge_sort_block_merge_implIS3_N6thrust23THRUST_200600_302600_NS6detail15normal_iteratorINS8_10device_ptrIyEEEESD_jNS1_19radix_merge_compareILb0ELb1EyNS0_19identity_decomposerEEEEE10hipError_tT0_T1_T2_jT3_P12ihipStream_tbPNSt15iterator_traitsISI_E10value_typeEPNSO_ISJ_E10value_typeEPSK_NS1_7vsmem_tEENKUlT_SI_SJ_SK_E_clIPySD_S10_SD_EESH_SX_SI_SJ_SK_EUlSX_E1_NS1_11comp_targetILNS1_3genE5ELNS1_11target_archE942ELNS1_3gpuE9ELNS1_3repE0EEENS1_36merge_oddeven_config_static_selectorELNS0_4arch9wavefront6targetE1EEEvSJ_ ; -- Begin function _ZN7rocprim17ROCPRIM_400000_NS6detail17trampoline_kernelINS0_14default_configENS1_38merge_sort_block_merge_config_selectorIyyEEZZNS1_27merge_sort_block_merge_implIS3_N6thrust23THRUST_200600_302600_NS6detail15normal_iteratorINS8_10device_ptrIyEEEESD_jNS1_19radix_merge_compareILb0ELb1EyNS0_19identity_decomposerEEEEE10hipError_tT0_T1_T2_jT3_P12ihipStream_tbPNSt15iterator_traitsISI_E10value_typeEPNSO_ISJ_E10value_typeEPSK_NS1_7vsmem_tEENKUlT_SI_SJ_SK_E_clIPySD_S10_SD_EESH_SX_SI_SJ_SK_EUlSX_E1_NS1_11comp_targetILNS1_3genE5ELNS1_11target_archE942ELNS1_3gpuE9ELNS1_3repE0EEENS1_36merge_oddeven_config_static_selectorELNS0_4arch9wavefront6targetE1EEEvSJ_
	.globl	_ZN7rocprim17ROCPRIM_400000_NS6detail17trampoline_kernelINS0_14default_configENS1_38merge_sort_block_merge_config_selectorIyyEEZZNS1_27merge_sort_block_merge_implIS3_N6thrust23THRUST_200600_302600_NS6detail15normal_iteratorINS8_10device_ptrIyEEEESD_jNS1_19radix_merge_compareILb0ELb1EyNS0_19identity_decomposerEEEEE10hipError_tT0_T1_T2_jT3_P12ihipStream_tbPNSt15iterator_traitsISI_E10value_typeEPNSO_ISJ_E10value_typeEPSK_NS1_7vsmem_tEENKUlT_SI_SJ_SK_E_clIPySD_S10_SD_EESH_SX_SI_SJ_SK_EUlSX_E1_NS1_11comp_targetILNS1_3genE5ELNS1_11target_archE942ELNS1_3gpuE9ELNS1_3repE0EEENS1_36merge_oddeven_config_static_selectorELNS0_4arch9wavefront6targetE1EEEvSJ_
	.p2align	8
	.type	_ZN7rocprim17ROCPRIM_400000_NS6detail17trampoline_kernelINS0_14default_configENS1_38merge_sort_block_merge_config_selectorIyyEEZZNS1_27merge_sort_block_merge_implIS3_N6thrust23THRUST_200600_302600_NS6detail15normal_iteratorINS8_10device_ptrIyEEEESD_jNS1_19radix_merge_compareILb0ELb1EyNS0_19identity_decomposerEEEEE10hipError_tT0_T1_T2_jT3_P12ihipStream_tbPNSt15iterator_traitsISI_E10value_typeEPNSO_ISJ_E10value_typeEPSK_NS1_7vsmem_tEENKUlT_SI_SJ_SK_E_clIPySD_S10_SD_EESH_SX_SI_SJ_SK_EUlSX_E1_NS1_11comp_targetILNS1_3genE5ELNS1_11target_archE942ELNS1_3gpuE9ELNS1_3repE0EEENS1_36merge_oddeven_config_static_selectorELNS0_4arch9wavefront6targetE1EEEvSJ_,@function
_ZN7rocprim17ROCPRIM_400000_NS6detail17trampoline_kernelINS0_14default_configENS1_38merge_sort_block_merge_config_selectorIyyEEZZNS1_27merge_sort_block_merge_implIS3_N6thrust23THRUST_200600_302600_NS6detail15normal_iteratorINS8_10device_ptrIyEEEESD_jNS1_19radix_merge_compareILb0ELb1EyNS0_19identity_decomposerEEEEE10hipError_tT0_T1_T2_jT3_P12ihipStream_tbPNSt15iterator_traitsISI_E10value_typeEPNSO_ISJ_E10value_typeEPSK_NS1_7vsmem_tEENKUlT_SI_SJ_SK_E_clIPySD_S10_SD_EESH_SX_SI_SJ_SK_EUlSX_E1_NS1_11comp_targetILNS1_3genE5ELNS1_11target_archE942ELNS1_3gpuE9ELNS1_3repE0EEENS1_36merge_oddeven_config_static_selectorELNS0_4arch9wavefront6targetE1EEEvSJ_: ; @_ZN7rocprim17ROCPRIM_400000_NS6detail17trampoline_kernelINS0_14default_configENS1_38merge_sort_block_merge_config_selectorIyyEEZZNS1_27merge_sort_block_merge_implIS3_N6thrust23THRUST_200600_302600_NS6detail15normal_iteratorINS8_10device_ptrIyEEEESD_jNS1_19radix_merge_compareILb0ELb1EyNS0_19identity_decomposerEEEEE10hipError_tT0_T1_T2_jT3_P12ihipStream_tbPNSt15iterator_traitsISI_E10value_typeEPNSO_ISJ_E10value_typeEPSK_NS1_7vsmem_tEENKUlT_SI_SJ_SK_E_clIPySD_S10_SD_EESH_SX_SI_SJ_SK_EUlSX_E1_NS1_11comp_targetILNS1_3genE5ELNS1_11target_archE942ELNS1_3gpuE9ELNS1_3repE0EEENS1_36merge_oddeven_config_static_selectorELNS0_4arch9wavefront6targetE1EEEvSJ_
; %bb.0:
	.section	.rodata,"a",@progbits
	.p2align	6, 0x0
	.amdhsa_kernel _ZN7rocprim17ROCPRIM_400000_NS6detail17trampoline_kernelINS0_14default_configENS1_38merge_sort_block_merge_config_selectorIyyEEZZNS1_27merge_sort_block_merge_implIS3_N6thrust23THRUST_200600_302600_NS6detail15normal_iteratorINS8_10device_ptrIyEEEESD_jNS1_19radix_merge_compareILb0ELb1EyNS0_19identity_decomposerEEEEE10hipError_tT0_T1_T2_jT3_P12ihipStream_tbPNSt15iterator_traitsISI_E10value_typeEPNSO_ISJ_E10value_typeEPSK_NS1_7vsmem_tEENKUlT_SI_SJ_SK_E_clIPySD_S10_SD_EESH_SX_SI_SJ_SK_EUlSX_E1_NS1_11comp_targetILNS1_3genE5ELNS1_11target_archE942ELNS1_3gpuE9ELNS1_3repE0EEENS1_36merge_oddeven_config_static_selectorELNS0_4arch9wavefront6targetE1EEEvSJ_
		.amdhsa_group_segment_fixed_size 0
		.amdhsa_private_segment_fixed_size 0
		.amdhsa_kernarg_size 48
		.amdhsa_user_sgpr_count 2
		.amdhsa_user_sgpr_dispatch_ptr 0
		.amdhsa_user_sgpr_queue_ptr 0
		.amdhsa_user_sgpr_kernarg_segment_ptr 1
		.amdhsa_user_sgpr_dispatch_id 0
		.amdhsa_user_sgpr_kernarg_preload_length 0
		.amdhsa_user_sgpr_kernarg_preload_offset 0
		.amdhsa_user_sgpr_private_segment_size 0
		.amdhsa_uses_dynamic_stack 0
		.amdhsa_enable_private_segment 0
		.amdhsa_system_sgpr_workgroup_id_x 1
		.amdhsa_system_sgpr_workgroup_id_y 0
		.amdhsa_system_sgpr_workgroup_id_z 0
		.amdhsa_system_sgpr_workgroup_info 0
		.amdhsa_system_vgpr_workitem_id 0
		.amdhsa_next_free_vgpr 1
		.amdhsa_next_free_sgpr 0
		.amdhsa_accum_offset 4
		.amdhsa_reserve_vcc 0
		.amdhsa_float_round_mode_32 0
		.amdhsa_float_round_mode_16_64 0
		.amdhsa_float_denorm_mode_32 3
		.amdhsa_float_denorm_mode_16_64 3
		.amdhsa_dx10_clamp 1
		.amdhsa_ieee_mode 1
		.amdhsa_fp16_overflow 0
		.amdhsa_tg_split 0
		.amdhsa_exception_fp_ieee_invalid_op 0
		.amdhsa_exception_fp_denorm_src 0
		.amdhsa_exception_fp_ieee_div_zero 0
		.amdhsa_exception_fp_ieee_overflow 0
		.amdhsa_exception_fp_ieee_underflow 0
		.amdhsa_exception_fp_ieee_inexact 0
		.amdhsa_exception_int_div_zero 0
	.end_amdhsa_kernel
	.section	.text._ZN7rocprim17ROCPRIM_400000_NS6detail17trampoline_kernelINS0_14default_configENS1_38merge_sort_block_merge_config_selectorIyyEEZZNS1_27merge_sort_block_merge_implIS3_N6thrust23THRUST_200600_302600_NS6detail15normal_iteratorINS8_10device_ptrIyEEEESD_jNS1_19radix_merge_compareILb0ELb1EyNS0_19identity_decomposerEEEEE10hipError_tT0_T1_T2_jT3_P12ihipStream_tbPNSt15iterator_traitsISI_E10value_typeEPNSO_ISJ_E10value_typeEPSK_NS1_7vsmem_tEENKUlT_SI_SJ_SK_E_clIPySD_S10_SD_EESH_SX_SI_SJ_SK_EUlSX_E1_NS1_11comp_targetILNS1_3genE5ELNS1_11target_archE942ELNS1_3gpuE9ELNS1_3repE0EEENS1_36merge_oddeven_config_static_selectorELNS0_4arch9wavefront6targetE1EEEvSJ_,"axG",@progbits,_ZN7rocprim17ROCPRIM_400000_NS6detail17trampoline_kernelINS0_14default_configENS1_38merge_sort_block_merge_config_selectorIyyEEZZNS1_27merge_sort_block_merge_implIS3_N6thrust23THRUST_200600_302600_NS6detail15normal_iteratorINS8_10device_ptrIyEEEESD_jNS1_19radix_merge_compareILb0ELb1EyNS0_19identity_decomposerEEEEE10hipError_tT0_T1_T2_jT3_P12ihipStream_tbPNSt15iterator_traitsISI_E10value_typeEPNSO_ISJ_E10value_typeEPSK_NS1_7vsmem_tEENKUlT_SI_SJ_SK_E_clIPySD_S10_SD_EESH_SX_SI_SJ_SK_EUlSX_E1_NS1_11comp_targetILNS1_3genE5ELNS1_11target_archE942ELNS1_3gpuE9ELNS1_3repE0EEENS1_36merge_oddeven_config_static_selectorELNS0_4arch9wavefront6targetE1EEEvSJ_,comdat
.Lfunc_end471:
	.size	_ZN7rocprim17ROCPRIM_400000_NS6detail17trampoline_kernelINS0_14default_configENS1_38merge_sort_block_merge_config_selectorIyyEEZZNS1_27merge_sort_block_merge_implIS3_N6thrust23THRUST_200600_302600_NS6detail15normal_iteratorINS8_10device_ptrIyEEEESD_jNS1_19radix_merge_compareILb0ELb1EyNS0_19identity_decomposerEEEEE10hipError_tT0_T1_T2_jT3_P12ihipStream_tbPNSt15iterator_traitsISI_E10value_typeEPNSO_ISJ_E10value_typeEPSK_NS1_7vsmem_tEENKUlT_SI_SJ_SK_E_clIPySD_S10_SD_EESH_SX_SI_SJ_SK_EUlSX_E1_NS1_11comp_targetILNS1_3genE5ELNS1_11target_archE942ELNS1_3gpuE9ELNS1_3repE0EEENS1_36merge_oddeven_config_static_selectorELNS0_4arch9wavefront6targetE1EEEvSJ_, .Lfunc_end471-_ZN7rocprim17ROCPRIM_400000_NS6detail17trampoline_kernelINS0_14default_configENS1_38merge_sort_block_merge_config_selectorIyyEEZZNS1_27merge_sort_block_merge_implIS3_N6thrust23THRUST_200600_302600_NS6detail15normal_iteratorINS8_10device_ptrIyEEEESD_jNS1_19radix_merge_compareILb0ELb1EyNS0_19identity_decomposerEEEEE10hipError_tT0_T1_T2_jT3_P12ihipStream_tbPNSt15iterator_traitsISI_E10value_typeEPNSO_ISJ_E10value_typeEPSK_NS1_7vsmem_tEENKUlT_SI_SJ_SK_E_clIPySD_S10_SD_EESH_SX_SI_SJ_SK_EUlSX_E1_NS1_11comp_targetILNS1_3genE5ELNS1_11target_archE942ELNS1_3gpuE9ELNS1_3repE0EEENS1_36merge_oddeven_config_static_selectorELNS0_4arch9wavefront6targetE1EEEvSJ_
                                        ; -- End function
	.set _ZN7rocprim17ROCPRIM_400000_NS6detail17trampoline_kernelINS0_14default_configENS1_38merge_sort_block_merge_config_selectorIyyEEZZNS1_27merge_sort_block_merge_implIS3_N6thrust23THRUST_200600_302600_NS6detail15normal_iteratorINS8_10device_ptrIyEEEESD_jNS1_19radix_merge_compareILb0ELb1EyNS0_19identity_decomposerEEEEE10hipError_tT0_T1_T2_jT3_P12ihipStream_tbPNSt15iterator_traitsISI_E10value_typeEPNSO_ISJ_E10value_typeEPSK_NS1_7vsmem_tEENKUlT_SI_SJ_SK_E_clIPySD_S10_SD_EESH_SX_SI_SJ_SK_EUlSX_E1_NS1_11comp_targetILNS1_3genE5ELNS1_11target_archE942ELNS1_3gpuE9ELNS1_3repE0EEENS1_36merge_oddeven_config_static_selectorELNS0_4arch9wavefront6targetE1EEEvSJ_.num_vgpr, 0
	.set _ZN7rocprim17ROCPRIM_400000_NS6detail17trampoline_kernelINS0_14default_configENS1_38merge_sort_block_merge_config_selectorIyyEEZZNS1_27merge_sort_block_merge_implIS3_N6thrust23THRUST_200600_302600_NS6detail15normal_iteratorINS8_10device_ptrIyEEEESD_jNS1_19radix_merge_compareILb0ELb1EyNS0_19identity_decomposerEEEEE10hipError_tT0_T1_T2_jT3_P12ihipStream_tbPNSt15iterator_traitsISI_E10value_typeEPNSO_ISJ_E10value_typeEPSK_NS1_7vsmem_tEENKUlT_SI_SJ_SK_E_clIPySD_S10_SD_EESH_SX_SI_SJ_SK_EUlSX_E1_NS1_11comp_targetILNS1_3genE5ELNS1_11target_archE942ELNS1_3gpuE9ELNS1_3repE0EEENS1_36merge_oddeven_config_static_selectorELNS0_4arch9wavefront6targetE1EEEvSJ_.num_agpr, 0
	.set _ZN7rocprim17ROCPRIM_400000_NS6detail17trampoline_kernelINS0_14default_configENS1_38merge_sort_block_merge_config_selectorIyyEEZZNS1_27merge_sort_block_merge_implIS3_N6thrust23THRUST_200600_302600_NS6detail15normal_iteratorINS8_10device_ptrIyEEEESD_jNS1_19radix_merge_compareILb0ELb1EyNS0_19identity_decomposerEEEEE10hipError_tT0_T1_T2_jT3_P12ihipStream_tbPNSt15iterator_traitsISI_E10value_typeEPNSO_ISJ_E10value_typeEPSK_NS1_7vsmem_tEENKUlT_SI_SJ_SK_E_clIPySD_S10_SD_EESH_SX_SI_SJ_SK_EUlSX_E1_NS1_11comp_targetILNS1_3genE5ELNS1_11target_archE942ELNS1_3gpuE9ELNS1_3repE0EEENS1_36merge_oddeven_config_static_selectorELNS0_4arch9wavefront6targetE1EEEvSJ_.numbered_sgpr, 0
	.set _ZN7rocprim17ROCPRIM_400000_NS6detail17trampoline_kernelINS0_14default_configENS1_38merge_sort_block_merge_config_selectorIyyEEZZNS1_27merge_sort_block_merge_implIS3_N6thrust23THRUST_200600_302600_NS6detail15normal_iteratorINS8_10device_ptrIyEEEESD_jNS1_19radix_merge_compareILb0ELb1EyNS0_19identity_decomposerEEEEE10hipError_tT0_T1_T2_jT3_P12ihipStream_tbPNSt15iterator_traitsISI_E10value_typeEPNSO_ISJ_E10value_typeEPSK_NS1_7vsmem_tEENKUlT_SI_SJ_SK_E_clIPySD_S10_SD_EESH_SX_SI_SJ_SK_EUlSX_E1_NS1_11comp_targetILNS1_3genE5ELNS1_11target_archE942ELNS1_3gpuE9ELNS1_3repE0EEENS1_36merge_oddeven_config_static_selectorELNS0_4arch9wavefront6targetE1EEEvSJ_.num_named_barrier, 0
	.set _ZN7rocprim17ROCPRIM_400000_NS6detail17trampoline_kernelINS0_14default_configENS1_38merge_sort_block_merge_config_selectorIyyEEZZNS1_27merge_sort_block_merge_implIS3_N6thrust23THRUST_200600_302600_NS6detail15normal_iteratorINS8_10device_ptrIyEEEESD_jNS1_19radix_merge_compareILb0ELb1EyNS0_19identity_decomposerEEEEE10hipError_tT0_T1_T2_jT3_P12ihipStream_tbPNSt15iterator_traitsISI_E10value_typeEPNSO_ISJ_E10value_typeEPSK_NS1_7vsmem_tEENKUlT_SI_SJ_SK_E_clIPySD_S10_SD_EESH_SX_SI_SJ_SK_EUlSX_E1_NS1_11comp_targetILNS1_3genE5ELNS1_11target_archE942ELNS1_3gpuE9ELNS1_3repE0EEENS1_36merge_oddeven_config_static_selectorELNS0_4arch9wavefront6targetE1EEEvSJ_.private_seg_size, 0
	.set _ZN7rocprim17ROCPRIM_400000_NS6detail17trampoline_kernelINS0_14default_configENS1_38merge_sort_block_merge_config_selectorIyyEEZZNS1_27merge_sort_block_merge_implIS3_N6thrust23THRUST_200600_302600_NS6detail15normal_iteratorINS8_10device_ptrIyEEEESD_jNS1_19radix_merge_compareILb0ELb1EyNS0_19identity_decomposerEEEEE10hipError_tT0_T1_T2_jT3_P12ihipStream_tbPNSt15iterator_traitsISI_E10value_typeEPNSO_ISJ_E10value_typeEPSK_NS1_7vsmem_tEENKUlT_SI_SJ_SK_E_clIPySD_S10_SD_EESH_SX_SI_SJ_SK_EUlSX_E1_NS1_11comp_targetILNS1_3genE5ELNS1_11target_archE942ELNS1_3gpuE9ELNS1_3repE0EEENS1_36merge_oddeven_config_static_selectorELNS0_4arch9wavefront6targetE1EEEvSJ_.uses_vcc, 0
	.set _ZN7rocprim17ROCPRIM_400000_NS6detail17trampoline_kernelINS0_14default_configENS1_38merge_sort_block_merge_config_selectorIyyEEZZNS1_27merge_sort_block_merge_implIS3_N6thrust23THRUST_200600_302600_NS6detail15normal_iteratorINS8_10device_ptrIyEEEESD_jNS1_19radix_merge_compareILb0ELb1EyNS0_19identity_decomposerEEEEE10hipError_tT0_T1_T2_jT3_P12ihipStream_tbPNSt15iterator_traitsISI_E10value_typeEPNSO_ISJ_E10value_typeEPSK_NS1_7vsmem_tEENKUlT_SI_SJ_SK_E_clIPySD_S10_SD_EESH_SX_SI_SJ_SK_EUlSX_E1_NS1_11comp_targetILNS1_3genE5ELNS1_11target_archE942ELNS1_3gpuE9ELNS1_3repE0EEENS1_36merge_oddeven_config_static_selectorELNS0_4arch9wavefront6targetE1EEEvSJ_.uses_flat_scratch, 0
	.set _ZN7rocprim17ROCPRIM_400000_NS6detail17trampoline_kernelINS0_14default_configENS1_38merge_sort_block_merge_config_selectorIyyEEZZNS1_27merge_sort_block_merge_implIS3_N6thrust23THRUST_200600_302600_NS6detail15normal_iteratorINS8_10device_ptrIyEEEESD_jNS1_19radix_merge_compareILb0ELb1EyNS0_19identity_decomposerEEEEE10hipError_tT0_T1_T2_jT3_P12ihipStream_tbPNSt15iterator_traitsISI_E10value_typeEPNSO_ISJ_E10value_typeEPSK_NS1_7vsmem_tEENKUlT_SI_SJ_SK_E_clIPySD_S10_SD_EESH_SX_SI_SJ_SK_EUlSX_E1_NS1_11comp_targetILNS1_3genE5ELNS1_11target_archE942ELNS1_3gpuE9ELNS1_3repE0EEENS1_36merge_oddeven_config_static_selectorELNS0_4arch9wavefront6targetE1EEEvSJ_.has_dyn_sized_stack, 0
	.set _ZN7rocprim17ROCPRIM_400000_NS6detail17trampoline_kernelINS0_14default_configENS1_38merge_sort_block_merge_config_selectorIyyEEZZNS1_27merge_sort_block_merge_implIS3_N6thrust23THRUST_200600_302600_NS6detail15normal_iteratorINS8_10device_ptrIyEEEESD_jNS1_19radix_merge_compareILb0ELb1EyNS0_19identity_decomposerEEEEE10hipError_tT0_T1_T2_jT3_P12ihipStream_tbPNSt15iterator_traitsISI_E10value_typeEPNSO_ISJ_E10value_typeEPSK_NS1_7vsmem_tEENKUlT_SI_SJ_SK_E_clIPySD_S10_SD_EESH_SX_SI_SJ_SK_EUlSX_E1_NS1_11comp_targetILNS1_3genE5ELNS1_11target_archE942ELNS1_3gpuE9ELNS1_3repE0EEENS1_36merge_oddeven_config_static_selectorELNS0_4arch9wavefront6targetE1EEEvSJ_.has_recursion, 0
	.set _ZN7rocprim17ROCPRIM_400000_NS6detail17trampoline_kernelINS0_14default_configENS1_38merge_sort_block_merge_config_selectorIyyEEZZNS1_27merge_sort_block_merge_implIS3_N6thrust23THRUST_200600_302600_NS6detail15normal_iteratorINS8_10device_ptrIyEEEESD_jNS1_19radix_merge_compareILb0ELb1EyNS0_19identity_decomposerEEEEE10hipError_tT0_T1_T2_jT3_P12ihipStream_tbPNSt15iterator_traitsISI_E10value_typeEPNSO_ISJ_E10value_typeEPSK_NS1_7vsmem_tEENKUlT_SI_SJ_SK_E_clIPySD_S10_SD_EESH_SX_SI_SJ_SK_EUlSX_E1_NS1_11comp_targetILNS1_3genE5ELNS1_11target_archE942ELNS1_3gpuE9ELNS1_3repE0EEENS1_36merge_oddeven_config_static_selectorELNS0_4arch9wavefront6targetE1EEEvSJ_.has_indirect_call, 0
	.section	.AMDGPU.csdata,"",@progbits
; Kernel info:
; codeLenInByte = 0
; TotalNumSgprs: 6
; NumVgprs: 0
; NumAgprs: 0
; TotalNumVgprs: 0
; ScratchSize: 0
; MemoryBound: 0
; FloatMode: 240
; IeeeMode: 1
; LDSByteSize: 0 bytes/workgroup (compile time only)
; SGPRBlocks: 0
; VGPRBlocks: 0
; NumSGPRsForWavesPerEU: 6
; NumVGPRsForWavesPerEU: 1
; AccumOffset: 4
; Occupancy: 8
; WaveLimiterHint : 0
; COMPUTE_PGM_RSRC2:SCRATCH_EN: 0
; COMPUTE_PGM_RSRC2:USER_SGPR: 2
; COMPUTE_PGM_RSRC2:TRAP_HANDLER: 0
; COMPUTE_PGM_RSRC2:TGID_X_EN: 1
; COMPUTE_PGM_RSRC2:TGID_Y_EN: 0
; COMPUTE_PGM_RSRC2:TGID_Z_EN: 0
; COMPUTE_PGM_RSRC2:TIDIG_COMP_CNT: 0
; COMPUTE_PGM_RSRC3_GFX90A:ACCUM_OFFSET: 0
; COMPUTE_PGM_RSRC3_GFX90A:TG_SPLIT: 0
	.section	.text._ZN7rocprim17ROCPRIM_400000_NS6detail17trampoline_kernelINS0_14default_configENS1_38merge_sort_block_merge_config_selectorIyyEEZZNS1_27merge_sort_block_merge_implIS3_N6thrust23THRUST_200600_302600_NS6detail15normal_iteratorINS8_10device_ptrIyEEEESD_jNS1_19radix_merge_compareILb0ELb1EyNS0_19identity_decomposerEEEEE10hipError_tT0_T1_T2_jT3_P12ihipStream_tbPNSt15iterator_traitsISI_E10value_typeEPNSO_ISJ_E10value_typeEPSK_NS1_7vsmem_tEENKUlT_SI_SJ_SK_E_clIPySD_S10_SD_EESH_SX_SI_SJ_SK_EUlSX_E1_NS1_11comp_targetILNS1_3genE4ELNS1_11target_archE910ELNS1_3gpuE8ELNS1_3repE0EEENS1_36merge_oddeven_config_static_selectorELNS0_4arch9wavefront6targetE1EEEvSJ_,"axG",@progbits,_ZN7rocprim17ROCPRIM_400000_NS6detail17trampoline_kernelINS0_14default_configENS1_38merge_sort_block_merge_config_selectorIyyEEZZNS1_27merge_sort_block_merge_implIS3_N6thrust23THRUST_200600_302600_NS6detail15normal_iteratorINS8_10device_ptrIyEEEESD_jNS1_19radix_merge_compareILb0ELb1EyNS0_19identity_decomposerEEEEE10hipError_tT0_T1_T2_jT3_P12ihipStream_tbPNSt15iterator_traitsISI_E10value_typeEPNSO_ISJ_E10value_typeEPSK_NS1_7vsmem_tEENKUlT_SI_SJ_SK_E_clIPySD_S10_SD_EESH_SX_SI_SJ_SK_EUlSX_E1_NS1_11comp_targetILNS1_3genE4ELNS1_11target_archE910ELNS1_3gpuE8ELNS1_3repE0EEENS1_36merge_oddeven_config_static_selectorELNS0_4arch9wavefront6targetE1EEEvSJ_,comdat
	.protected	_ZN7rocprim17ROCPRIM_400000_NS6detail17trampoline_kernelINS0_14default_configENS1_38merge_sort_block_merge_config_selectorIyyEEZZNS1_27merge_sort_block_merge_implIS3_N6thrust23THRUST_200600_302600_NS6detail15normal_iteratorINS8_10device_ptrIyEEEESD_jNS1_19radix_merge_compareILb0ELb1EyNS0_19identity_decomposerEEEEE10hipError_tT0_T1_T2_jT3_P12ihipStream_tbPNSt15iterator_traitsISI_E10value_typeEPNSO_ISJ_E10value_typeEPSK_NS1_7vsmem_tEENKUlT_SI_SJ_SK_E_clIPySD_S10_SD_EESH_SX_SI_SJ_SK_EUlSX_E1_NS1_11comp_targetILNS1_3genE4ELNS1_11target_archE910ELNS1_3gpuE8ELNS1_3repE0EEENS1_36merge_oddeven_config_static_selectorELNS0_4arch9wavefront6targetE1EEEvSJ_ ; -- Begin function _ZN7rocprim17ROCPRIM_400000_NS6detail17trampoline_kernelINS0_14default_configENS1_38merge_sort_block_merge_config_selectorIyyEEZZNS1_27merge_sort_block_merge_implIS3_N6thrust23THRUST_200600_302600_NS6detail15normal_iteratorINS8_10device_ptrIyEEEESD_jNS1_19radix_merge_compareILb0ELb1EyNS0_19identity_decomposerEEEEE10hipError_tT0_T1_T2_jT3_P12ihipStream_tbPNSt15iterator_traitsISI_E10value_typeEPNSO_ISJ_E10value_typeEPSK_NS1_7vsmem_tEENKUlT_SI_SJ_SK_E_clIPySD_S10_SD_EESH_SX_SI_SJ_SK_EUlSX_E1_NS1_11comp_targetILNS1_3genE4ELNS1_11target_archE910ELNS1_3gpuE8ELNS1_3repE0EEENS1_36merge_oddeven_config_static_selectorELNS0_4arch9wavefront6targetE1EEEvSJ_
	.globl	_ZN7rocprim17ROCPRIM_400000_NS6detail17trampoline_kernelINS0_14default_configENS1_38merge_sort_block_merge_config_selectorIyyEEZZNS1_27merge_sort_block_merge_implIS3_N6thrust23THRUST_200600_302600_NS6detail15normal_iteratorINS8_10device_ptrIyEEEESD_jNS1_19radix_merge_compareILb0ELb1EyNS0_19identity_decomposerEEEEE10hipError_tT0_T1_T2_jT3_P12ihipStream_tbPNSt15iterator_traitsISI_E10value_typeEPNSO_ISJ_E10value_typeEPSK_NS1_7vsmem_tEENKUlT_SI_SJ_SK_E_clIPySD_S10_SD_EESH_SX_SI_SJ_SK_EUlSX_E1_NS1_11comp_targetILNS1_3genE4ELNS1_11target_archE910ELNS1_3gpuE8ELNS1_3repE0EEENS1_36merge_oddeven_config_static_selectorELNS0_4arch9wavefront6targetE1EEEvSJ_
	.p2align	8
	.type	_ZN7rocprim17ROCPRIM_400000_NS6detail17trampoline_kernelINS0_14default_configENS1_38merge_sort_block_merge_config_selectorIyyEEZZNS1_27merge_sort_block_merge_implIS3_N6thrust23THRUST_200600_302600_NS6detail15normal_iteratorINS8_10device_ptrIyEEEESD_jNS1_19radix_merge_compareILb0ELb1EyNS0_19identity_decomposerEEEEE10hipError_tT0_T1_T2_jT3_P12ihipStream_tbPNSt15iterator_traitsISI_E10value_typeEPNSO_ISJ_E10value_typeEPSK_NS1_7vsmem_tEENKUlT_SI_SJ_SK_E_clIPySD_S10_SD_EESH_SX_SI_SJ_SK_EUlSX_E1_NS1_11comp_targetILNS1_3genE4ELNS1_11target_archE910ELNS1_3gpuE8ELNS1_3repE0EEENS1_36merge_oddeven_config_static_selectorELNS0_4arch9wavefront6targetE1EEEvSJ_,@function
_ZN7rocprim17ROCPRIM_400000_NS6detail17trampoline_kernelINS0_14default_configENS1_38merge_sort_block_merge_config_selectorIyyEEZZNS1_27merge_sort_block_merge_implIS3_N6thrust23THRUST_200600_302600_NS6detail15normal_iteratorINS8_10device_ptrIyEEEESD_jNS1_19radix_merge_compareILb0ELb1EyNS0_19identity_decomposerEEEEE10hipError_tT0_T1_T2_jT3_P12ihipStream_tbPNSt15iterator_traitsISI_E10value_typeEPNSO_ISJ_E10value_typeEPSK_NS1_7vsmem_tEENKUlT_SI_SJ_SK_E_clIPySD_S10_SD_EESH_SX_SI_SJ_SK_EUlSX_E1_NS1_11comp_targetILNS1_3genE4ELNS1_11target_archE910ELNS1_3gpuE8ELNS1_3repE0EEENS1_36merge_oddeven_config_static_selectorELNS0_4arch9wavefront6targetE1EEEvSJ_: ; @_ZN7rocprim17ROCPRIM_400000_NS6detail17trampoline_kernelINS0_14default_configENS1_38merge_sort_block_merge_config_selectorIyyEEZZNS1_27merge_sort_block_merge_implIS3_N6thrust23THRUST_200600_302600_NS6detail15normal_iteratorINS8_10device_ptrIyEEEESD_jNS1_19radix_merge_compareILb0ELb1EyNS0_19identity_decomposerEEEEE10hipError_tT0_T1_T2_jT3_P12ihipStream_tbPNSt15iterator_traitsISI_E10value_typeEPNSO_ISJ_E10value_typeEPSK_NS1_7vsmem_tEENKUlT_SI_SJ_SK_E_clIPySD_S10_SD_EESH_SX_SI_SJ_SK_EUlSX_E1_NS1_11comp_targetILNS1_3genE4ELNS1_11target_archE910ELNS1_3gpuE8ELNS1_3repE0EEENS1_36merge_oddeven_config_static_selectorELNS0_4arch9wavefront6targetE1EEEvSJ_
; %bb.0:
	.section	.rodata,"a",@progbits
	.p2align	6, 0x0
	.amdhsa_kernel _ZN7rocprim17ROCPRIM_400000_NS6detail17trampoline_kernelINS0_14default_configENS1_38merge_sort_block_merge_config_selectorIyyEEZZNS1_27merge_sort_block_merge_implIS3_N6thrust23THRUST_200600_302600_NS6detail15normal_iteratorINS8_10device_ptrIyEEEESD_jNS1_19radix_merge_compareILb0ELb1EyNS0_19identity_decomposerEEEEE10hipError_tT0_T1_T2_jT3_P12ihipStream_tbPNSt15iterator_traitsISI_E10value_typeEPNSO_ISJ_E10value_typeEPSK_NS1_7vsmem_tEENKUlT_SI_SJ_SK_E_clIPySD_S10_SD_EESH_SX_SI_SJ_SK_EUlSX_E1_NS1_11comp_targetILNS1_3genE4ELNS1_11target_archE910ELNS1_3gpuE8ELNS1_3repE0EEENS1_36merge_oddeven_config_static_selectorELNS0_4arch9wavefront6targetE1EEEvSJ_
		.amdhsa_group_segment_fixed_size 0
		.amdhsa_private_segment_fixed_size 0
		.amdhsa_kernarg_size 48
		.amdhsa_user_sgpr_count 2
		.amdhsa_user_sgpr_dispatch_ptr 0
		.amdhsa_user_sgpr_queue_ptr 0
		.amdhsa_user_sgpr_kernarg_segment_ptr 1
		.amdhsa_user_sgpr_dispatch_id 0
		.amdhsa_user_sgpr_kernarg_preload_length 0
		.amdhsa_user_sgpr_kernarg_preload_offset 0
		.amdhsa_user_sgpr_private_segment_size 0
		.amdhsa_uses_dynamic_stack 0
		.amdhsa_enable_private_segment 0
		.amdhsa_system_sgpr_workgroup_id_x 1
		.amdhsa_system_sgpr_workgroup_id_y 0
		.amdhsa_system_sgpr_workgroup_id_z 0
		.amdhsa_system_sgpr_workgroup_info 0
		.amdhsa_system_vgpr_workitem_id 0
		.amdhsa_next_free_vgpr 1
		.amdhsa_next_free_sgpr 0
		.amdhsa_accum_offset 4
		.amdhsa_reserve_vcc 0
		.amdhsa_float_round_mode_32 0
		.amdhsa_float_round_mode_16_64 0
		.amdhsa_float_denorm_mode_32 3
		.amdhsa_float_denorm_mode_16_64 3
		.amdhsa_dx10_clamp 1
		.amdhsa_ieee_mode 1
		.amdhsa_fp16_overflow 0
		.amdhsa_tg_split 0
		.amdhsa_exception_fp_ieee_invalid_op 0
		.amdhsa_exception_fp_denorm_src 0
		.amdhsa_exception_fp_ieee_div_zero 0
		.amdhsa_exception_fp_ieee_overflow 0
		.amdhsa_exception_fp_ieee_underflow 0
		.amdhsa_exception_fp_ieee_inexact 0
		.amdhsa_exception_int_div_zero 0
	.end_amdhsa_kernel
	.section	.text._ZN7rocprim17ROCPRIM_400000_NS6detail17trampoline_kernelINS0_14default_configENS1_38merge_sort_block_merge_config_selectorIyyEEZZNS1_27merge_sort_block_merge_implIS3_N6thrust23THRUST_200600_302600_NS6detail15normal_iteratorINS8_10device_ptrIyEEEESD_jNS1_19radix_merge_compareILb0ELb1EyNS0_19identity_decomposerEEEEE10hipError_tT0_T1_T2_jT3_P12ihipStream_tbPNSt15iterator_traitsISI_E10value_typeEPNSO_ISJ_E10value_typeEPSK_NS1_7vsmem_tEENKUlT_SI_SJ_SK_E_clIPySD_S10_SD_EESH_SX_SI_SJ_SK_EUlSX_E1_NS1_11comp_targetILNS1_3genE4ELNS1_11target_archE910ELNS1_3gpuE8ELNS1_3repE0EEENS1_36merge_oddeven_config_static_selectorELNS0_4arch9wavefront6targetE1EEEvSJ_,"axG",@progbits,_ZN7rocprim17ROCPRIM_400000_NS6detail17trampoline_kernelINS0_14default_configENS1_38merge_sort_block_merge_config_selectorIyyEEZZNS1_27merge_sort_block_merge_implIS3_N6thrust23THRUST_200600_302600_NS6detail15normal_iteratorINS8_10device_ptrIyEEEESD_jNS1_19radix_merge_compareILb0ELb1EyNS0_19identity_decomposerEEEEE10hipError_tT0_T1_T2_jT3_P12ihipStream_tbPNSt15iterator_traitsISI_E10value_typeEPNSO_ISJ_E10value_typeEPSK_NS1_7vsmem_tEENKUlT_SI_SJ_SK_E_clIPySD_S10_SD_EESH_SX_SI_SJ_SK_EUlSX_E1_NS1_11comp_targetILNS1_3genE4ELNS1_11target_archE910ELNS1_3gpuE8ELNS1_3repE0EEENS1_36merge_oddeven_config_static_selectorELNS0_4arch9wavefront6targetE1EEEvSJ_,comdat
.Lfunc_end472:
	.size	_ZN7rocprim17ROCPRIM_400000_NS6detail17trampoline_kernelINS0_14default_configENS1_38merge_sort_block_merge_config_selectorIyyEEZZNS1_27merge_sort_block_merge_implIS3_N6thrust23THRUST_200600_302600_NS6detail15normal_iteratorINS8_10device_ptrIyEEEESD_jNS1_19radix_merge_compareILb0ELb1EyNS0_19identity_decomposerEEEEE10hipError_tT0_T1_T2_jT3_P12ihipStream_tbPNSt15iterator_traitsISI_E10value_typeEPNSO_ISJ_E10value_typeEPSK_NS1_7vsmem_tEENKUlT_SI_SJ_SK_E_clIPySD_S10_SD_EESH_SX_SI_SJ_SK_EUlSX_E1_NS1_11comp_targetILNS1_3genE4ELNS1_11target_archE910ELNS1_3gpuE8ELNS1_3repE0EEENS1_36merge_oddeven_config_static_selectorELNS0_4arch9wavefront6targetE1EEEvSJ_, .Lfunc_end472-_ZN7rocprim17ROCPRIM_400000_NS6detail17trampoline_kernelINS0_14default_configENS1_38merge_sort_block_merge_config_selectorIyyEEZZNS1_27merge_sort_block_merge_implIS3_N6thrust23THRUST_200600_302600_NS6detail15normal_iteratorINS8_10device_ptrIyEEEESD_jNS1_19radix_merge_compareILb0ELb1EyNS0_19identity_decomposerEEEEE10hipError_tT0_T1_T2_jT3_P12ihipStream_tbPNSt15iterator_traitsISI_E10value_typeEPNSO_ISJ_E10value_typeEPSK_NS1_7vsmem_tEENKUlT_SI_SJ_SK_E_clIPySD_S10_SD_EESH_SX_SI_SJ_SK_EUlSX_E1_NS1_11comp_targetILNS1_3genE4ELNS1_11target_archE910ELNS1_3gpuE8ELNS1_3repE0EEENS1_36merge_oddeven_config_static_selectorELNS0_4arch9wavefront6targetE1EEEvSJ_
                                        ; -- End function
	.set _ZN7rocprim17ROCPRIM_400000_NS6detail17trampoline_kernelINS0_14default_configENS1_38merge_sort_block_merge_config_selectorIyyEEZZNS1_27merge_sort_block_merge_implIS3_N6thrust23THRUST_200600_302600_NS6detail15normal_iteratorINS8_10device_ptrIyEEEESD_jNS1_19radix_merge_compareILb0ELb1EyNS0_19identity_decomposerEEEEE10hipError_tT0_T1_T2_jT3_P12ihipStream_tbPNSt15iterator_traitsISI_E10value_typeEPNSO_ISJ_E10value_typeEPSK_NS1_7vsmem_tEENKUlT_SI_SJ_SK_E_clIPySD_S10_SD_EESH_SX_SI_SJ_SK_EUlSX_E1_NS1_11comp_targetILNS1_3genE4ELNS1_11target_archE910ELNS1_3gpuE8ELNS1_3repE0EEENS1_36merge_oddeven_config_static_selectorELNS0_4arch9wavefront6targetE1EEEvSJ_.num_vgpr, 0
	.set _ZN7rocprim17ROCPRIM_400000_NS6detail17trampoline_kernelINS0_14default_configENS1_38merge_sort_block_merge_config_selectorIyyEEZZNS1_27merge_sort_block_merge_implIS3_N6thrust23THRUST_200600_302600_NS6detail15normal_iteratorINS8_10device_ptrIyEEEESD_jNS1_19radix_merge_compareILb0ELb1EyNS0_19identity_decomposerEEEEE10hipError_tT0_T1_T2_jT3_P12ihipStream_tbPNSt15iterator_traitsISI_E10value_typeEPNSO_ISJ_E10value_typeEPSK_NS1_7vsmem_tEENKUlT_SI_SJ_SK_E_clIPySD_S10_SD_EESH_SX_SI_SJ_SK_EUlSX_E1_NS1_11comp_targetILNS1_3genE4ELNS1_11target_archE910ELNS1_3gpuE8ELNS1_3repE0EEENS1_36merge_oddeven_config_static_selectorELNS0_4arch9wavefront6targetE1EEEvSJ_.num_agpr, 0
	.set _ZN7rocprim17ROCPRIM_400000_NS6detail17trampoline_kernelINS0_14default_configENS1_38merge_sort_block_merge_config_selectorIyyEEZZNS1_27merge_sort_block_merge_implIS3_N6thrust23THRUST_200600_302600_NS6detail15normal_iteratorINS8_10device_ptrIyEEEESD_jNS1_19radix_merge_compareILb0ELb1EyNS0_19identity_decomposerEEEEE10hipError_tT0_T1_T2_jT3_P12ihipStream_tbPNSt15iterator_traitsISI_E10value_typeEPNSO_ISJ_E10value_typeEPSK_NS1_7vsmem_tEENKUlT_SI_SJ_SK_E_clIPySD_S10_SD_EESH_SX_SI_SJ_SK_EUlSX_E1_NS1_11comp_targetILNS1_3genE4ELNS1_11target_archE910ELNS1_3gpuE8ELNS1_3repE0EEENS1_36merge_oddeven_config_static_selectorELNS0_4arch9wavefront6targetE1EEEvSJ_.numbered_sgpr, 0
	.set _ZN7rocprim17ROCPRIM_400000_NS6detail17trampoline_kernelINS0_14default_configENS1_38merge_sort_block_merge_config_selectorIyyEEZZNS1_27merge_sort_block_merge_implIS3_N6thrust23THRUST_200600_302600_NS6detail15normal_iteratorINS8_10device_ptrIyEEEESD_jNS1_19radix_merge_compareILb0ELb1EyNS0_19identity_decomposerEEEEE10hipError_tT0_T1_T2_jT3_P12ihipStream_tbPNSt15iterator_traitsISI_E10value_typeEPNSO_ISJ_E10value_typeEPSK_NS1_7vsmem_tEENKUlT_SI_SJ_SK_E_clIPySD_S10_SD_EESH_SX_SI_SJ_SK_EUlSX_E1_NS1_11comp_targetILNS1_3genE4ELNS1_11target_archE910ELNS1_3gpuE8ELNS1_3repE0EEENS1_36merge_oddeven_config_static_selectorELNS0_4arch9wavefront6targetE1EEEvSJ_.num_named_barrier, 0
	.set _ZN7rocprim17ROCPRIM_400000_NS6detail17trampoline_kernelINS0_14default_configENS1_38merge_sort_block_merge_config_selectorIyyEEZZNS1_27merge_sort_block_merge_implIS3_N6thrust23THRUST_200600_302600_NS6detail15normal_iteratorINS8_10device_ptrIyEEEESD_jNS1_19radix_merge_compareILb0ELb1EyNS0_19identity_decomposerEEEEE10hipError_tT0_T1_T2_jT3_P12ihipStream_tbPNSt15iterator_traitsISI_E10value_typeEPNSO_ISJ_E10value_typeEPSK_NS1_7vsmem_tEENKUlT_SI_SJ_SK_E_clIPySD_S10_SD_EESH_SX_SI_SJ_SK_EUlSX_E1_NS1_11comp_targetILNS1_3genE4ELNS1_11target_archE910ELNS1_3gpuE8ELNS1_3repE0EEENS1_36merge_oddeven_config_static_selectorELNS0_4arch9wavefront6targetE1EEEvSJ_.private_seg_size, 0
	.set _ZN7rocprim17ROCPRIM_400000_NS6detail17trampoline_kernelINS0_14default_configENS1_38merge_sort_block_merge_config_selectorIyyEEZZNS1_27merge_sort_block_merge_implIS3_N6thrust23THRUST_200600_302600_NS6detail15normal_iteratorINS8_10device_ptrIyEEEESD_jNS1_19radix_merge_compareILb0ELb1EyNS0_19identity_decomposerEEEEE10hipError_tT0_T1_T2_jT3_P12ihipStream_tbPNSt15iterator_traitsISI_E10value_typeEPNSO_ISJ_E10value_typeEPSK_NS1_7vsmem_tEENKUlT_SI_SJ_SK_E_clIPySD_S10_SD_EESH_SX_SI_SJ_SK_EUlSX_E1_NS1_11comp_targetILNS1_3genE4ELNS1_11target_archE910ELNS1_3gpuE8ELNS1_3repE0EEENS1_36merge_oddeven_config_static_selectorELNS0_4arch9wavefront6targetE1EEEvSJ_.uses_vcc, 0
	.set _ZN7rocprim17ROCPRIM_400000_NS6detail17trampoline_kernelINS0_14default_configENS1_38merge_sort_block_merge_config_selectorIyyEEZZNS1_27merge_sort_block_merge_implIS3_N6thrust23THRUST_200600_302600_NS6detail15normal_iteratorINS8_10device_ptrIyEEEESD_jNS1_19radix_merge_compareILb0ELb1EyNS0_19identity_decomposerEEEEE10hipError_tT0_T1_T2_jT3_P12ihipStream_tbPNSt15iterator_traitsISI_E10value_typeEPNSO_ISJ_E10value_typeEPSK_NS1_7vsmem_tEENKUlT_SI_SJ_SK_E_clIPySD_S10_SD_EESH_SX_SI_SJ_SK_EUlSX_E1_NS1_11comp_targetILNS1_3genE4ELNS1_11target_archE910ELNS1_3gpuE8ELNS1_3repE0EEENS1_36merge_oddeven_config_static_selectorELNS0_4arch9wavefront6targetE1EEEvSJ_.uses_flat_scratch, 0
	.set _ZN7rocprim17ROCPRIM_400000_NS6detail17trampoline_kernelINS0_14default_configENS1_38merge_sort_block_merge_config_selectorIyyEEZZNS1_27merge_sort_block_merge_implIS3_N6thrust23THRUST_200600_302600_NS6detail15normal_iteratorINS8_10device_ptrIyEEEESD_jNS1_19radix_merge_compareILb0ELb1EyNS0_19identity_decomposerEEEEE10hipError_tT0_T1_T2_jT3_P12ihipStream_tbPNSt15iterator_traitsISI_E10value_typeEPNSO_ISJ_E10value_typeEPSK_NS1_7vsmem_tEENKUlT_SI_SJ_SK_E_clIPySD_S10_SD_EESH_SX_SI_SJ_SK_EUlSX_E1_NS1_11comp_targetILNS1_3genE4ELNS1_11target_archE910ELNS1_3gpuE8ELNS1_3repE0EEENS1_36merge_oddeven_config_static_selectorELNS0_4arch9wavefront6targetE1EEEvSJ_.has_dyn_sized_stack, 0
	.set _ZN7rocprim17ROCPRIM_400000_NS6detail17trampoline_kernelINS0_14default_configENS1_38merge_sort_block_merge_config_selectorIyyEEZZNS1_27merge_sort_block_merge_implIS3_N6thrust23THRUST_200600_302600_NS6detail15normal_iteratorINS8_10device_ptrIyEEEESD_jNS1_19radix_merge_compareILb0ELb1EyNS0_19identity_decomposerEEEEE10hipError_tT0_T1_T2_jT3_P12ihipStream_tbPNSt15iterator_traitsISI_E10value_typeEPNSO_ISJ_E10value_typeEPSK_NS1_7vsmem_tEENKUlT_SI_SJ_SK_E_clIPySD_S10_SD_EESH_SX_SI_SJ_SK_EUlSX_E1_NS1_11comp_targetILNS1_3genE4ELNS1_11target_archE910ELNS1_3gpuE8ELNS1_3repE0EEENS1_36merge_oddeven_config_static_selectorELNS0_4arch9wavefront6targetE1EEEvSJ_.has_recursion, 0
	.set _ZN7rocprim17ROCPRIM_400000_NS6detail17trampoline_kernelINS0_14default_configENS1_38merge_sort_block_merge_config_selectorIyyEEZZNS1_27merge_sort_block_merge_implIS3_N6thrust23THRUST_200600_302600_NS6detail15normal_iteratorINS8_10device_ptrIyEEEESD_jNS1_19radix_merge_compareILb0ELb1EyNS0_19identity_decomposerEEEEE10hipError_tT0_T1_T2_jT3_P12ihipStream_tbPNSt15iterator_traitsISI_E10value_typeEPNSO_ISJ_E10value_typeEPSK_NS1_7vsmem_tEENKUlT_SI_SJ_SK_E_clIPySD_S10_SD_EESH_SX_SI_SJ_SK_EUlSX_E1_NS1_11comp_targetILNS1_3genE4ELNS1_11target_archE910ELNS1_3gpuE8ELNS1_3repE0EEENS1_36merge_oddeven_config_static_selectorELNS0_4arch9wavefront6targetE1EEEvSJ_.has_indirect_call, 0
	.section	.AMDGPU.csdata,"",@progbits
; Kernel info:
; codeLenInByte = 0
; TotalNumSgprs: 6
; NumVgprs: 0
; NumAgprs: 0
; TotalNumVgprs: 0
; ScratchSize: 0
; MemoryBound: 0
; FloatMode: 240
; IeeeMode: 1
; LDSByteSize: 0 bytes/workgroup (compile time only)
; SGPRBlocks: 0
; VGPRBlocks: 0
; NumSGPRsForWavesPerEU: 6
; NumVGPRsForWavesPerEU: 1
; AccumOffset: 4
; Occupancy: 8
; WaveLimiterHint : 0
; COMPUTE_PGM_RSRC2:SCRATCH_EN: 0
; COMPUTE_PGM_RSRC2:USER_SGPR: 2
; COMPUTE_PGM_RSRC2:TRAP_HANDLER: 0
; COMPUTE_PGM_RSRC2:TGID_X_EN: 1
; COMPUTE_PGM_RSRC2:TGID_Y_EN: 0
; COMPUTE_PGM_RSRC2:TGID_Z_EN: 0
; COMPUTE_PGM_RSRC2:TIDIG_COMP_CNT: 0
; COMPUTE_PGM_RSRC3_GFX90A:ACCUM_OFFSET: 0
; COMPUTE_PGM_RSRC3_GFX90A:TG_SPLIT: 0
	.section	.text._ZN7rocprim17ROCPRIM_400000_NS6detail17trampoline_kernelINS0_14default_configENS1_38merge_sort_block_merge_config_selectorIyyEEZZNS1_27merge_sort_block_merge_implIS3_N6thrust23THRUST_200600_302600_NS6detail15normal_iteratorINS8_10device_ptrIyEEEESD_jNS1_19radix_merge_compareILb0ELb1EyNS0_19identity_decomposerEEEEE10hipError_tT0_T1_T2_jT3_P12ihipStream_tbPNSt15iterator_traitsISI_E10value_typeEPNSO_ISJ_E10value_typeEPSK_NS1_7vsmem_tEENKUlT_SI_SJ_SK_E_clIPySD_S10_SD_EESH_SX_SI_SJ_SK_EUlSX_E1_NS1_11comp_targetILNS1_3genE3ELNS1_11target_archE908ELNS1_3gpuE7ELNS1_3repE0EEENS1_36merge_oddeven_config_static_selectorELNS0_4arch9wavefront6targetE1EEEvSJ_,"axG",@progbits,_ZN7rocprim17ROCPRIM_400000_NS6detail17trampoline_kernelINS0_14default_configENS1_38merge_sort_block_merge_config_selectorIyyEEZZNS1_27merge_sort_block_merge_implIS3_N6thrust23THRUST_200600_302600_NS6detail15normal_iteratorINS8_10device_ptrIyEEEESD_jNS1_19radix_merge_compareILb0ELb1EyNS0_19identity_decomposerEEEEE10hipError_tT0_T1_T2_jT3_P12ihipStream_tbPNSt15iterator_traitsISI_E10value_typeEPNSO_ISJ_E10value_typeEPSK_NS1_7vsmem_tEENKUlT_SI_SJ_SK_E_clIPySD_S10_SD_EESH_SX_SI_SJ_SK_EUlSX_E1_NS1_11comp_targetILNS1_3genE3ELNS1_11target_archE908ELNS1_3gpuE7ELNS1_3repE0EEENS1_36merge_oddeven_config_static_selectorELNS0_4arch9wavefront6targetE1EEEvSJ_,comdat
	.protected	_ZN7rocprim17ROCPRIM_400000_NS6detail17trampoline_kernelINS0_14default_configENS1_38merge_sort_block_merge_config_selectorIyyEEZZNS1_27merge_sort_block_merge_implIS3_N6thrust23THRUST_200600_302600_NS6detail15normal_iteratorINS8_10device_ptrIyEEEESD_jNS1_19radix_merge_compareILb0ELb1EyNS0_19identity_decomposerEEEEE10hipError_tT0_T1_T2_jT3_P12ihipStream_tbPNSt15iterator_traitsISI_E10value_typeEPNSO_ISJ_E10value_typeEPSK_NS1_7vsmem_tEENKUlT_SI_SJ_SK_E_clIPySD_S10_SD_EESH_SX_SI_SJ_SK_EUlSX_E1_NS1_11comp_targetILNS1_3genE3ELNS1_11target_archE908ELNS1_3gpuE7ELNS1_3repE0EEENS1_36merge_oddeven_config_static_selectorELNS0_4arch9wavefront6targetE1EEEvSJ_ ; -- Begin function _ZN7rocprim17ROCPRIM_400000_NS6detail17trampoline_kernelINS0_14default_configENS1_38merge_sort_block_merge_config_selectorIyyEEZZNS1_27merge_sort_block_merge_implIS3_N6thrust23THRUST_200600_302600_NS6detail15normal_iteratorINS8_10device_ptrIyEEEESD_jNS1_19radix_merge_compareILb0ELb1EyNS0_19identity_decomposerEEEEE10hipError_tT0_T1_T2_jT3_P12ihipStream_tbPNSt15iterator_traitsISI_E10value_typeEPNSO_ISJ_E10value_typeEPSK_NS1_7vsmem_tEENKUlT_SI_SJ_SK_E_clIPySD_S10_SD_EESH_SX_SI_SJ_SK_EUlSX_E1_NS1_11comp_targetILNS1_3genE3ELNS1_11target_archE908ELNS1_3gpuE7ELNS1_3repE0EEENS1_36merge_oddeven_config_static_selectorELNS0_4arch9wavefront6targetE1EEEvSJ_
	.globl	_ZN7rocprim17ROCPRIM_400000_NS6detail17trampoline_kernelINS0_14default_configENS1_38merge_sort_block_merge_config_selectorIyyEEZZNS1_27merge_sort_block_merge_implIS3_N6thrust23THRUST_200600_302600_NS6detail15normal_iteratorINS8_10device_ptrIyEEEESD_jNS1_19radix_merge_compareILb0ELb1EyNS0_19identity_decomposerEEEEE10hipError_tT0_T1_T2_jT3_P12ihipStream_tbPNSt15iterator_traitsISI_E10value_typeEPNSO_ISJ_E10value_typeEPSK_NS1_7vsmem_tEENKUlT_SI_SJ_SK_E_clIPySD_S10_SD_EESH_SX_SI_SJ_SK_EUlSX_E1_NS1_11comp_targetILNS1_3genE3ELNS1_11target_archE908ELNS1_3gpuE7ELNS1_3repE0EEENS1_36merge_oddeven_config_static_selectorELNS0_4arch9wavefront6targetE1EEEvSJ_
	.p2align	8
	.type	_ZN7rocprim17ROCPRIM_400000_NS6detail17trampoline_kernelINS0_14default_configENS1_38merge_sort_block_merge_config_selectorIyyEEZZNS1_27merge_sort_block_merge_implIS3_N6thrust23THRUST_200600_302600_NS6detail15normal_iteratorINS8_10device_ptrIyEEEESD_jNS1_19radix_merge_compareILb0ELb1EyNS0_19identity_decomposerEEEEE10hipError_tT0_T1_T2_jT3_P12ihipStream_tbPNSt15iterator_traitsISI_E10value_typeEPNSO_ISJ_E10value_typeEPSK_NS1_7vsmem_tEENKUlT_SI_SJ_SK_E_clIPySD_S10_SD_EESH_SX_SI_SJ_SK_EUlSX_E1_NS1_11comp_targetILNS1_3genE3ELNS1_11target_archE908ELNS1_3gpuE7ELNS1_3repE0EEENS1_36merge_oddeven_config_static_selectorELNS0_4arch9wavefront6targetE1EEEvSJ_,@function
_ZN7rocprim17ROCPRIM_400000_NS6detail17trampoline_kernelINS0_14default_configENS1_38merge_sort_block_merge_config_selectorIyyEEZZNS1_27merge_sort_block_merge_implIS3_N6thrust23THRUST_200600_302600_NS6detail15normal_iteratorINS8_10device_ptrIyEEEESD_jNS1_19radix_merge_compareILb0ELb1EyNS0_19identity_decomposerEEEEE10hipError_tT0_T1_T2_jT3_P12ihipStream_tbPNSt15iterator_traitsISI_E10value_typeEPNSO_ISJ_E10value_typeEPSK_NS1_7vsmem_tEENKUlT_SI_SJ_SK_E_clIPySD_S10_SD_EESH_SX_SI_SJ_SK_EUlSX_E1_NS1_11comp_targetILNS1_3genE3ELNS1_11target_archE908ELNS1_3gpuE7ELNS1_3repE0EEENS1_36merge_oddeven_config_static_selectorELNS0_4arch9wavefront6targetE1EEEvSJ_: ; @_ZN7rocprim17ROCPRIM_400000_NS6detail17trampoline_kernelINS0_14default_configENS1_38merge_sort_block_merge_config_selectorIyyEEZZNS1_27merge_sort_block_merge_implIS3_N6thrust23THRUST_200600_302600_NS6detail15normal_iteratorINS8_10device_ptrIyEEEESD_jNS1_19radix_merge_compareILb0ELb1EyNS0_19identity_decomposerEEEEE10hipError_tT0_T1_T2_jT3_P12ihipStream_tbPNSt15iterator_traitsISI_E10value_typeEPNSO_ISJ_E10value_typeEPSK_NS1_7vsmem_tEENKUlT_SI_SJ_SK_E_clIPySD_S10_SD_EESH_SX_SI_SJ_SK_EUlSX_E1_NS1_11comp_targetILNS1_3genE3ELNS1_11target_archE908ELNS1_3gpuE7ELNS1_3repE0EEENS1_36merge_oddeven_config_static_selectorELNS0_4arch9wavefront6targetE1EEEvSJ_
; %bb.0:
	.section	.rodata,"a",@progbits
	.p2align	6, 0x0
	.amdhsa_kernel _ZN7rocprim17ROCPRIM_400000_NS6detail17trampoline_kernelINS0_14default_configENS1_38merge_sort_block_merge_config_selectorIyyEEZZNS1_27merge_sort_block_merge_implIS3_N6thrust23THRUST_200600_302600_NS6detail15normal_iteratorINS8_10device_ptrIyEEEESD_jNS1_19radix_merge_compareILb0ELb1EyNS0_19identity_decomposerEEEEE10hipError_tT0_T1_T2_jT3_P12ihipStream_tbPNSt15iterator_traitsISI_E10value_typeEPNSO_ISJ_E10value_typeEPSK_NS1_7vsmem_tEENKUlT_SI_SJ_SK_E_clIPySD_S10_SD_EESH_SX_SI_SJ_SK_EUlSX_E1_NS1_11comp_targetILNS1_3genE3ELNS1_11target_archE908ELNS1_3gpuE7ELNS1_3repE0EEENS1_36merge_oddeven_config_static_selectorELNS0_4arch9wavefront6targetE1EEEvSJ_
		.amdhsa_group_segment_fixed_size 0
		.amdhsa_private_segment_fixed_size 0
		.amdhsa_kernarg_size 48
		.amdhsa_user_sgpr_count 2
		.amdhsa_user_sgpr_dispatch_ptr 0
		.amdhsa_user_sgpr_queue_ptr 0
		.amdhsa_user_sgpr_kernarg_segment_ptr 1
		.amdhsa_user_sgpr_dispatch_id 0
		.amdhsa_user_sgpr_kernarg_preload_length 0
		.amdhsa_user_sgpr_kernarg_preload_offset 0
		.amdhsa_user_sgpr_private_segment_size 0
		.amdhsa_uses_dynamic_stack 0
		.amdhsa_enable_private_segment 0
		.amdhsa_system_sgpr_workgroup_id_x 1
		.amdhsa_system_sgpr_workgroup_id_y 0
		.amdhsa_system_sgpr_workgroup_id_z 0
		.amdhsa_system_sgpr_workgroup_info 0
		.amdhsa_system_vgpr_workitem_id 0
		.amdhsa_next_free_vgpr 1
		.amdhsa_next_free_sgpr 0
		.amdhsa_accum_offset 4
		.amdhsa_reserve_vcc 0
		.amdhsa_float_round_mode_32 0
		.amdhsa_float_round_mode_16_64 0
		.amdhsa_float_denorm_mode_32 3
		.amdhsa_float_denorm_mode_16_64 3
		.amdhsa_dx10_clamp 1
		.amdhsa_ieee_mode 1
		.amdhsa_fp16_overflow 0
		.amdhsa_tg_split 0
		.amdhsa_exception_fp_ieee_invalid_op 0
		.amdhsa_exception_fp_denorm_src 0
		.amdhsa_exception_fp_ieee_div_zero 0
		.amdhsa_exception_fp_ieee_overflow 0
		.amdhsa_exception_fp_ieee_underflow 0
		.amdhsa_exception_fp_ieee_inexact 0
		.amdhsa_exception_int_div_zero 0
	.end_amdhsa_kernel
	.section	.text._ZN7rocprim17ROCPRIM_400000_NS6detail17trampoline_kernelINS0_14default_configENS1_38merge_sort_block_merge_config_selectorIyyEEZZNS1_27merge_sort_block_merge_implIS3_N6thrust23THRUST_200600_302600_NS6detail15normal_iteratorINS8_10device_ptrIyEEEESD_jNS1_19radix_merge_compareILb0ELb1EyNS0_19identity_decomposerEEEEE10hipError_tT0_T1_T2_jT3_P12ihipStream_tbPNSt15iterator_traitsISI_E10value_typeEPNSO_ISJ_E10value_typeEPSK_NS1_7vsmem_tEENKUlT_SI_SJ_SK_E_clIPySD_S10_SD_EESH_SX_SI_SJ_SK_EUlSX_E1_NS1_11comp_targetILNS1_3genE3ELNS1_11target_archE908ELNS1_3gpuE7ELNS1_3repE0EEENS1_36merge_oddeven_config_static_selectorELNS0_4arch9wavefront6targetE1EEEvSJ_,"axG",@progbits,_ZN7rocprim17ROCPRIM_400000_NS6detail17trampoline_kernelINS0_14default_configENS1_38merge_sort_block_merge_config_selectorIyyEEZZNS1_27merge_sort_block_merge_implIS3_N6thrust23THRUST_200600_302600_NS6detail15normal_iteratorINS8_10device_ptrIyEEEESD_jNS1_19radix_merge_compareILb0ELb1EyNS0_19identity_decomposerEEEEE10hipError_tT0_T1_T2_jT3_P12ihipStream_tbPNSt15iterator_traitsISI_E10value_typeEPNSO_ISJ_E10value_typeEPSK_NS1_7vsmem_tEENKUlT_SI_SJ_SK_E_clIPySD_S10_SD_EESH_SX_SI_SJ_SK_EUlSX_E1_NS1_11comp_targetILNS1_3genE3ELNS1_11target_archE908ELNS1_3gpuE7ELNS1_3repE0EEENS1_36merge_oddeven_config_static_selectorELNS0_4arch9wavefront6targetE1EEEvSJ_,comdat
.Lfunc_end473:
	.size	_ZN7rocprim17ROCPRIM_400000_NS6detail17trampoline_kernelINS0_14default_configENS1_38merge_sort_block_merge_config_selectorIyyEEZZNS1_27merge_sort_block_merge_implIS3_N6thrust23THRUST_200600_302600_NS6detail15normal_iteratorINS8_10device_ptrIyEEEESD_jNS1_19radix_merge_compareILb0ELb1EyNS0_19identity_decomposerEEEEE10hipError_tT0_T1_T2_jT3_P12ihipStream_tbPNSt15iterator_traitsISI_E10value_typeEPNSO_ISJ_E10value_typeEPSK_NS1_7vsmem_tEENKUlT_SI_SJ_SK_E_clIPySD_S10_SD_EESH_SX_SI_SJ_SK_EUlSX_E1_NS1_11comp_targetILNS1_3genE3ELNS1_11target_archE908ELNS1_3gpuE7ELNS1_3repE0EEENS1_36merge_oddeven_config_static_selectorELNS0_4arch9wavefront6targetE1EEEvSJ_, .Lfunc_end473-_ZN7rocprim17ROCPRIM_400000_NS6detail17trampoline_kernelINS0_14default_configENS1_38merge_sort_block_merge_config_selectorIyyEEZZNS1_27merge_sort_block_merge_implIS3_N6thrust23THRUST_200600_302600_NS6detail15normal_iteratorINS8_10device_ptrIyEEEESD_jNS1_19radix_merge_compareILb0ELb1EyNS0_19identity_decomposerEEEEE10hipError_tT0_T1_T2_jT3_P12ihipStream_tbPNSt15iterator_traitsISI_E10value_typeEPNSO_ISJ_E10value_typeEPSK_NS1_7vsmem_tEENKUlT_SI_SJ_SK_E_clIPySD_S10_SD_EESH_SX_SI_SJ_SK_EUlSX_E1_NS1_11comp_targetILNS1_3genE3ELNS1_11target_archE908ELNS1_3gpuE7ELNS1_3repE0EEENS1_36merge_oddeven_config_static_selectorELNS0_4arch9wavefront6targetE1EEEvSJ_
                                        ; -- End function
	.set _ZN7rocprim17ROCPRIM_400000_NS6detail17trampoline_kernelINS0_14default_configENS1_38merge_sort_block_merge_config_selectorIyyEEZZNS1_27merge_sort_block_merge_implIS3_N6thrust23THRUST_200600_302600_NS6detail15normal_iteratorINS8_10device_ptrIyEEEESD_jNS1_19radix_merge_compareILb0ELb1EyNS0_19identity_decomposerEEEEE10hipError_tT0_T1_T2_jT3_P12ihipStream_tbPNSt15iterator_traitsISI_E10value_typeEPNSO_ISJ_E10value_typeEPSK_NS1_7vsmem_tEENKUlT_SI_SJ_SK_E_clIPySD_S10_SD_EESH_SX_SI_SJ_SK_EUlSX_E1_NS1_11comp_targetILNS1_3genE3ELNS1_11target_archE908ELNS1_3gpuE7ELNS1_3repE0EEENS1_36merge_oddeven_config_static_selectorELNS0_4arch9wavefront6targetE1EEEvSJ_.num_vgpr, 0
	.set _ZN7rocprim17ROCPRIM_400000_NS6detail17trampoline_kernelINS0_14default_configENS1_38merge_sort_block_merge_config_selectorIyyEEZZNS1_27merge_sort_block_merge_implIS3_N6thrust23THRUST_200600_302600_NS6detail15normal_iteratorINS8_10device_ptrIyEEEESD_jNS1_19radix_merge_compareILb0ELb1EyNS0_19identity_decomposerEEEEE10hipError_tT0_T1_T2_jT3_P12ihipStream_tbPNSt15iterator_traitsISI_E10value_typeEPNSO_ISJ_E10value_typeEPSK_NS1_7vsmem_tEENKUlT_SI_SJ_SK_E_clIPySD_S10_SD_EESH_SX_SI_SJ_SK_EUlSX_E1_NS1_11comp_targetILNS1_3genE3ELNS1_11target_archE908ELNS1_3gpuE7ELNS1_3repE0EEENS1_36merge_oddeven_config_static_selectorELNS0_4arch9wavefront6targetE1EEEvSJ_.num_agpr, 0
	.set _ZN7rocprim17ROCPRIM_400000_NS6detail17trampoline_kernelINS0_14default_configENS1_38merge_sort_block_merge_config_selectorIyyEEZZNS1_27merge_sort_block_merge_implIS3_N6thrust23THRUST_200600_302600_NS6detail15normal_iteratorINS8_10device_ptrIyEEEESD_jNS1_19radix_merge_compareILb0ELb1EyNS0_19identity_decomposerEEEEE10hipError_tT0_T1_T2_jT3_P12ihipStream_tbPNSt15iterator_traitsISI_E10value_typeEPNSO_ISJ_E10value_typeEPSK_NS1_7vsmem_tEENKUlT_SI_SJ_SK_E_clIPySD_S10_SD_EESH_SX_SI_SJ_SK_EUlSX_E1_NS1_11comp_targetILNS1_3genE3ELNS1_11target_archE908ELNS1_3gpuE7ELNS1_3repE0EEENS1_36merge_oddeven_config_static_selectorELNS0_4arch9wavefront6targetE1EEEvSJ_.numbered_sgpr, 0
	.set _ZN7rocprim17ROCPRIM_400000_NS6detail17trampoline_kernelINS0_14default_configENS1_38merge_sort_block_merge_config_selectorIyyEEZZNS1_27merge_sort_block_merge_implIS3_N6thrust23THRUST_200600_302600_NS6detail15normal_iteratorINS8_10device_ptrIyEEEESD_jNS1_19radix_merge_compareILb0ELb1EyNS0_19identity_decomposerEEEEE10hipError_tT0_T1_T2_jT3_P12ihipStream_tbPNSt15iterator_traitsISI_E10value_typeEPNSO_ISJ_E10value_typeEPSK_NS1_7vsmem_tEENKUlT_SI_SJ_SK_E_clIPySD_S10_SD_EESH_SX_SI_SJ_SK_EUlSX_E1_NS1_11comp_targetILNS1_3genE3ELNS1_11target_archE908ELNS1_3gpuE7ELNS1_3repE0EEENS1_36merge_oddeven_config_static_selectorELNS0_4arch9wavefront6targetE1EEEvSJ_.num_named_barrier, 0
	.set _ZN7rocprim17ROCPRIM_400000_NS6detail17trampoline_kernelINS0_14default_configENS1_38merge_sort_block_merge_config_selectorIyyEEZZNS1_27merge_sort_block_merge_implIS3_N6thrust23THRUST_200600_302600_NS6detail15normal_iteratorINS8_10device_ptrIyEEEESD_jNS1_19radix_merge_compareILb0ELb1EyNS0_19identity_decomposerEEEEE10hipError_tT0_T1_T2_jT3_P12ihipStream_tbPNSt15iterator_traitsISI_E10value_typeEPNSO_ISJ_E10value_typeEPSK_NS1_7vsmem_tEENKUlT_SI_SJ_SK_E_clIPySD_S10_SD_EESH_SX_SI_SJ_SK_EUlSX_E1_NS1_11comp_targetILNS1_3genE3ELNS1_11target_archE908ELNS1_3gpuE7ELNS1_3repE0EEENS1_36merge_oddeven_config_static_selectorELNS0_4arch9wavefront6targetE1EEEvSJ_.private_seg_size, 0
	.set _ZN7rocprim17ROCPRIM_400000_NS6detail17trampoline_kernelINS0_14default_configENS1_38merge_sort_block_merge_config_selectorIyyEEZZNS1_27merge_sort_block_merge_implIS3_N6thrust23THRUST_200600_302600_NS6detail15normal_iteratorINS8_10device_ptrIyEEEESD_jNS1_19radix_merge_compareILb0ELb1EyNS0_19identity_decomposerEEEEE10hipError_tT0_T1_T2_jT3_P12ihipStream_tbPNSt15iterator_traitsISI_E10value_typeEPNSO_ISJ_E10value_typeEPSK_NS1_7vsmem_tEENKUlT_SI_SJ_SK_E_clIPySD_S10_SD_EESH_SX_SI_SJ_SK_EUlSX_E1_NS1_11comp_targetILNS1_3genE3ELNS1_11target_archE908ELNS1_3gpuE7ELNS1_3repE0EEENS1_36merge_oddeven_config_static_selectorELNS0_4arch9wavefront6targetE1EEEvSJ_.uses_vcc, 0
	.set _ZN7rocprim17ROCPRIM_400000_NS6detail17trampoline_kernelINS0_14default_configENS1_38merge_sort_block_merge_config_selectorIyyEEZZNS1_27merge_sort_block_merge_implIS3_N6thrust23THRUST_200600_302600_NS6detail15normal_iteratorINS8_10device_ptrIyEEEESD_jNS1_19radix_merge_compareILb0ELb1EyNS0_19identity_decomposerEEEEE10hipError_tT0_T1_T2_jT3_P12ihipStream_tbPNSt15iterator_traitsISI_E10value_typeEPNSO_ISJ_E10value_typeEPSK_NS1_7vsmem_tEENKUlT_SI_SJ_SK_E_clIPySD_S10_SD_EESH_SX_SI_SJ_SK_EUlSX_E1_NS1_11comp_targetILNS1_3genE3ELNS1_11target_archE908ELNS1_3gpuE7ELNS1_3repE0EEENS1_36merge_oddeven_config_static_selectorELNS0_4arch9wavefront6targetE1EEEvSJ_.uses_flat_scratch, 0
	.set _ZN7rocprim17ROCPRIM_400000_NS6detail17trampoline_kernelINS0_14default_configENS1_38merge_sort_block_merge_config_selectorIyyEEZZNS1_27merge_sort_block_merge_implIS3_N6thrust23THRUST_200600_302600_NS6detail15normal_iteratorINS8_10device_ptrIyEEEESD_jNS1_19radix_merge_compareILb0ELb1EyNS0_19identity_decomposerEEEEE10hipError_tT0_T1_T2_jT3_P12ihipStream_tbPNSt15iterator_traitsISI_E10value_typeEPNSO_ISJ_E10value_typeEPSK_NS1_7vsmem_tEENKUlT_SI_SJ_SK_E_clIPySD_S10_SD_EESH_SX_SI_SJ_SK_EUlSX_E1_NS1_11comp_targetILNS1_3genE3ELNS1_11target_archE908ELNS1_3gpuE7ELNS1_3repE0EEENS1_36merge_oddeven_config_static_selectorELNS0_4arch9wavefront6targetE1EEEvSJ_.has_dyn_sized_stack, 0
	.set _ZN7rocprim17ROCPRIM_400000_NS6detail17trampoline_kernelINS0_14default_configENS1_38merge_sort_block_merge_config_selectorIyyEEZZNS1_27merge_sort_block_merge_implIS3_N6thrust23THRUST_200600_302600_NS6detail15normal_iteratorINS8_10device_ptrIyEEEESD_jNS1_19radix_merge_compareILb0ELb1EyNS0_19identity_decomposerEEEEE10hipError_tT0_T1_T2_jT3_P12ihipStream_tbPNSt15iterator_traitsISI_E10value_typeEPNSO_ISJ_E10value_typeEPSK_NS1_7vsmem_tEENKUlT_SI_SJ_SK_E_clIPySD_S10_SD_EESH_SX_SI_SJ_SK_EUlSX_E1_NS1_11comp_targetILNS1_3genE3ELNS1_11target_archE908ELNS1_3gpuE7ELNS1_3repE0EEENS1_36merge_oddeven_config_static_selectorELNS0_4arch9wavefront6targetE1EEEvSJ_.has_recursion, 0
	.set _ZN7rocprim17ROCPRIM_400000_NS6detail17trampoline_kernelINS0_14default_configENS1_38merge_sort_block_merge_config_selectorIyyEEZZNS1_27merge_sort_block_merge_implIS3_N6thrust23THRUST_200600_302600_NS6detail15normal_iteratorINS8_10device_ptrIyEEEESD_jNS1_19radix_merge_compareILb0ELb1EyNS0_19identity_decomposerEEEEE10hipError_tT0_T1_T2_jT3_P12ihipStream_tbPNSt15iterator_traitsISI_E10value_typeEPNSO_ISJ_E10value_typeEPSK_NS1_7vsmem_tEENKUlT_SI_SJ_SK_E_clIPySD_S10_SD_EESH_SX_SI_SJ_SK_EUlSX_E1_NS1_11comp_targetILNS1_3genE3ELNS1_11target_archE908ELNS1_3gpuE7ELNS1_3repE0EEENS1_36merge_oddeven_config_static_selectorELNS0_4arch9wavefront6targetE1EEEvSJ_.has_indirect_call, 0
	.section	.AMDGPU.csdata,"",@progbits
; Kernel info:
; codeLenInByte = 0
; TotalNumSgprs: 6
; NumVgprs: 0
; NumAgprs: 0
; TotalNumVgprs: 0
; ScratchSize: 0
; MemoryBound: 0
; FloatMode: 240
; IeeeMode: 1
; LDSByteSize: 0 bytes/workgroup (compile time only)
; SGPRBlocks: 0
; VGPRBlocks: 0
; NumSGPRsForWavesPerEU: 6
; NumVGPRsForWavesPerEU: 1
; AccumOffset: 4
; Occupancy: 8
; WaveLimiterHint : 0
; COMPUTE_PGM_RSRC2:SCRATCH_EN: 0
; COMPUTE_PGM_RSRC2:USER_SGPR: 2
; COMPUTE_PGM_RSRC2:TRAP_HANDLER: 0
; COMPUTE_PGM_RSRC2:TGID_X_EN: 1
; COMPUTE_PGM_RSRC2:TGID_Y_EN: 0
; COMPUTE_PGM_RSRC2:TGID_Z_EN: 0
; COMPUTE_PGM_RSRC2:TIDIG_COMP_CNT: 0
; COMPUTE_PGM_RSRC3_GFX90A:ACCUM_OFFSET: 0
; COMPUTE_PGM_RSRC3_GFX90A:TG_SPLIT: 0
	.section	.text._ZN7rocprim17ROCPRIM_400000_NS6detail17trampoline_kernelINS0_14default_configENS1_38merge_sort_block_merge_config_selectorIyyEEZZNS1_27merge_sort_block_merge_implIS3_N6thrust23THRUST_200600_302600_NS6detail15normal_iteratorINS8_10device_ptrIyEEEESD_jNS1_19radix_merge_compareILb0ELb1EyNS0_19identity_decomposerEEEEE10hipError_tT0_T1_T2_jT3_P12ihipStream_tbPNSt15iterator_traitsISI_E10value_typeEPNSO_ISJ_E10value_typeEPSK_NS1_7vsmem_tEENKUlT_SI_SJ_SK_E_clIPySD_S10_SD_EESH_SX_SI_SJ_SK_EUlSX_E1_NS1_11comp_targetILNS1_3genE2ELNS1_11target_archE906ELNS1_3gpuE6ELNS1_3repE0EEENS1_36merge_oddeven_config_static_selectorELNS0_4arch9wavefront6targetE1EEEvSJ_,"axG",@progbits,_ZN7rocprim17ROCPRIM_400000_NS6detail17trampoline_kernelINS0_14default_configENS1_38merge_sort_block_merge_config_selectorIyyEEZZNS1_27merge_sort_block_merge_implIS3_N6thrust23THRUST_200600_302600_NS6detail15normal_iteratorINS8_10device_ptrIyEEEESD_jNS1_19radix_merge_compareILb0ELb1EyNS0_19identity_decomposerEEEEE10hipError_tT0_T1_T2_jT3_P12ihipStream_tbPNSt15iterator_traitsISI_E10value_typeEPNSO_ISJ_E10value_typeEPSK_NS1_7vsmem_tEENKUlT_SI_SJ_SK_E_clIPySD_S10_SD_EESH_SX_SI_SJ_SK_EUlSX_E1_NS1_11comp_targetILNS1_3genE2ELNS1_11target_archE906ELNS1_3gpuE6ELNS1_3repE0EEENS1_36merge_oddeven_config_static_selectorELNS0_4arch9wavefront6targetE1EEEvSJ_,comdat
	.protected	_ZN7rocprim17ROCPRIM_400000_NS6detail17trampoline_kernelINS0_14default_configENS1_38merge_sort_block_merge_config_selectorIyyEEZZNS1_27merge_sort_block_merge_implIS3_N6thrust23THRUST_200600_302600_NS6detail15normal_iteratorINS8_10device_ptrIyEEEESD_jNS1_19radix_merge_compareILb0ELb1EyNS0_19identity_decomposerEEEEE10hipError_tT0_T1_T2_jT3_P12ihipStream_tbPNSt15iterator_traitsISI_E10value_typeEPNSO_ISJ_E10value_typeEPSK_NS1_7vsmem_tEENKUlT_SI_SJ_SK_E_clIPySD_S10_SD_EESH_SX_SI_SJ_SK_EUlSX_E1_NS1_11comp_targetILNS1_3genE2ELNS1_11target_archE906ELNS1_3gpuE6ELNS1_3repE0EEENS1_36merge_oddeven_config_static_selectorELNS0_4arch9wavefront6targetE1EEEvSJ_ ; -- Begin function _ZN7rocprim17ROCPRIM_400000_NS6detail17trampoline_kernelINS0_14default_configENS1_38merge_sort_block_merge_config_selectorIyyEEZZNS1_27merge_sort_block_merge_implIS3_N6thrust23THRUST_200600_302600_NS6detail15normal_iteratorINS8_10device_ptrIyEEEESD_jNS1_19radix_merge_compareILb0ELb1EyNS0_19identity_decomposerEEEEE10hipError_tT0_T1_T2_jT3_P12ihipStream_tbPNSt15iterator_traitsISI_E10value_typeEPNSO_ISJ_E10value_typeEPSK_NS1_7vsmem_tEENKUlT_SI_SJ_SK_E_clIPySD_S10_SD_EESH_SX_SI_SJ_SK_EUlSX_E1_NS1_11comp_targetILNS1_3genE2ELNS1_11target_archE906ELNS1_3gpuE6ELNS1_3repE0EEENS1_36merge_oddeven_config_static_selectorELNS0_4arch9wavefront6targetE1EEEvSJ_
	.globl	_ZN7rocprim17ROCPRIM_400000_NS6detail17trampoline_kernelINS0_14default_configENS1_38merge_sort_block_merge_config_selectorIyyEEZZNS1_27merge_sort_block_merge_implIS3_N6thrust23THRUST_200600_302600_NS6detail15normal_iteratorINS8_10device_ptrIyEEEESD_jNS1_19radix_merge_compareILb0ELb1EyNS0_19identity_decomposerEEEEE10hipError_tT0_T1_T2_jT3_P12ihipStream_tbPNSt15iterator_traitsISI_E10value_typeEPNSO_ISJ_E10value_typeEPSK_NS1_7vsmem_tEENKUlT_SI_SJ_SK_E_clIPySD_S10_SD_EESH_SX_SI_SJ_SK_EUlSX_E1_NS1_11comp_targetILNS1_3genE2ELNS1_11target_archE906ELNS1_3gpuE6ELNS1_3repE0EEENS1_36merge_oddeven_config_static_selectorELNS0_4arch9wavefront6targetE1EEEvSJ_
	.p2align	8
	.type	_ZN7rocprim17ROCPRIM_400000_NS6detail17trampoline_kernelINS0_14default_configENS1_38merge_sort_block_merge_config_selectorIyyEEZZNS1_27merge_sort_block_merge_implIS3_N6thrust23THRUST_200600_302600_NS6detail15normal_iteratorINS8_10device_ptrIyEEEESD_jNS1_19radix_merge_compareILb0ELb1EyNS0_19identity_decomposerEEEEE10hipError_tT0_T1_T2_jT3_P12ihipStream_tbPNSt15iterator_traitsISI_E10value_typeEPNSO_ISJ_E10value_typeEPSK_NS1_7vsmem_tEENKUlT_SI_SJ_SK_E_clIPySD_S10_SD_EESH_SX_SI_SJ_SK_EUlSX_E1_NS1_11comp_targetILNS1_3genE2ELNS1_11target_archE906ELNS1_3gpuE6ELNS1_3repE0EEENS1_36merge_oddeven_config_static_selectorELNS0_4arch9wavefront6targetE1EEEvSJ_,@function
_ZN7rocprim17ROCPRIM_400000_NS6detail17trampoline_kernelINS0_14default_configENS1_38merge_sort_block_merge_config_selectorIyyEEZZNS1_27merge_sort_block_merge_implIS3_N6thrust23THRUST_200600_302600_NS6detail15normal_iteratorINS8_10device_ptrIyEEEESD_jNS1_19radix_merge_compareILb0ELb1EyNS0_19identity_decomposerEEEEE10hipError_tT0_T1_T2_jT3_P12ihipStream_tbPNSt15iterator_traitsISI_E10value_typeEPNSO_ISJ_E10value_typeEPSK_NS1_7vsmem_tEENKUlT_SI_SJ_SK_E_clIPySD_S10_SD_EESH_SX_SI_SJ_SK_EUlSX_E1_NS1_11comp_targetILNS1_3genE2ELNS1_11target_archE906ELNS1_3gpuE6ELNS1_3repE0EEENS1_36merge_oddeven_config_static_selectorELNS0_4arch9wavefront6targetE1EEEvSJ_: ; @_ZN7rocprim17ROCPRIM_400000_NS6detail17trampoline_kernelINS0_14default_configENS1_38merge_sort_block_merge_config_selectorIyyEEZZNS1_27merge_sort_block_merge_implIS3_N6thrust23THRUST_200600_302600_NS6detail15normal_iteratorINS8_10device_ptrIyEEEESD_jNS1_19radix_merge_compareILb0ELb1EyNS0_19identity_decomposerEEEEE10hipError_tT0_T1_T2_jT3_P12ihipStream_tbPNSt15iterator_traitsISI_E10value_typeEPNSO_ISJ_E10value_typeEPSK_NS1_7vsmem_tEENKUlT_SI_SJ_SK_E_clIPySD_S10_SD_EESH_SX_SI_SJ_SK_EUlSX_E1_NS1_11comp_targetILNS1_3genE2ELNS1_11target_archE906ELNS1_3gpuE6ELNS1_3repE0EEENS1_36merge_oddeven_config_static_selectorELNS0_4arch9wavefront6targetE1EEEvSJ_
; %bb.0:
	.section	.rodata,"a",@progbits
	.p2align	6, 0x0
	.amdhsa_kernel _ZN7rocprim17ROCPRIM_400000_NS6detail17trampoline_kernelINS0_14default_configENS1_38merge_sort_block_merge_config_selectorIyyEEZZNS1_27merge_sort_block_merge_implIS3_N6thrust23THRUST_200600_302600_NS6detail15normal_iteratorINS8_10device_ptrIyEEEESD_jNS1_19radix_merge_compareILb0ELb1EyNS0_19identity_decomposerEEEEE10hipError_tT0_T1_T2_jT3_P12ihipStream_tbPNSt15iterator_traitsISI_E10value_typeEPNSO_ISJ_E10value_typeEPSK_NS1_7vsmem_tEENKUlT_SI_SJ_SK_E_clIPySD_S10_SD_EESH_SX_SI_SJ_SK_EUlSX_E1_NS1_11comp_targetILNS1_3genE2ELNS1_11target_archE906ELNS1_3gpuE6ELNS1_3repE0EEENS1_36merge_oddeven_config_static_selectorELNS0_4arch9wavefront6targetE1EEEvSJ_
		.amdhsa_group_segment_fixed_size 0
		.amdhsa_private_segment_fixed_size 0
		.amdhsa_kernarg_size 48
		.amdhsa_user_sgpr_count 2
		.amdhsa_user_sgpr_dispatch_ptr 0
		.amdhsa_user_sgpr_queue_ptr 0
		.amdhsa_user_sgpr_kernarg_segment_ptr 1
		.amdhsa_user_sgpr_dispatch_id 0
		.amdhsa_user_sgpr_kernarg_preload_length 0
		.amdhsa_user_sgpr_kernarg_preload_offset 0
		.amdhsa_user_sgpr_private_segment_size 0
		.amdhsa_uses_dynamic_stack 0
		.amdhsa_enable_private_segment 0
		.amdhsa_system_sgpr_workgroup_id_x 1
		.amdhsa_system_sgpr_workgroup_id_y 0
		.amdhsa_system_sgpr_workgroup_id_z 0
		.amdhsa_system_sgpr_workgroup_info 0
		.amdhsa_system_vgpr_workitem_id 0
		.amdhsa_next_free_vgpr 1
		.amdhsa_next_free_sgpr 0
		.amdhsa_accum_offset 4
		.amdhsa_reserve_vcc 0
		.amdhsa_float_round_mode_32 0
		.amdhsa_float_round_mode_16_64 0
		.amdhsa_float_denorm_mode_32 3
		.amdhsa_float_denorm_mode_16_64 3
		.amdhsa_dx10_clamp 1
		.amdhsa_ieee_mode 1
		.amdhsa_fp16_overflow 0
		.amdhsa_tg_split 0
		.amdhsa_exception_fp_ieee_invalid_op 0
		.amdhsa_exception_fp_denorm_src 0
		.amdhsa_exception_fp_ieee_div_zero 0
		.amdhsa_exception_fp_ieee_overflow 0
		.amdhsa_exception_fp_ieee_underflow 0
		.amdhsa_exception_fp_ieee_inexact 0
		.amdhsa_exception_int_div_zero 0
	.end_amdhsa_kernel
	.section	.text._ZN7rocprim17ROCPRIM_400000_NS6detail17trampoline_kernelINS0_14default_configENS1_38merge_sort_block_merge_config_selectorIyyEEZZNS1_27merge_sort_block_merge_implIS3_N6thrust23THRUST_200600_302600_NS6detail15normal_iteratorINS8_10device_ptrIyEEEESD_jNS1_19radix_merge_compareILb0ELb1EyNS0_19identity_decomposerEEEEE10hipError_tT0_T1_T2_jT3_P12ihipStream_tbPNSt15iterator_traitsISI_E10value_typeEPNSO_ISJ_E10value_typeEPSK_NS1_7vsmem_tEENKUlT_SI_SJ_SK_E_clIPySD_S10_SD_EESH_SX_SI_SJ_SK_EUlSX_E1_NS1_11comp_targetILNS1_3genE2ELNS1_11target_archE906ELNS1_3gpuE6ELNS1_3repE0EEENS1_36merge_oddeven_config_static_selectorELNS0_4arch9wavefront6targetE1EEEvSJ_,"axG",@progbits,_ZN7rocprim17ROCPRIM_400000_NS6detail17trampoline_kernelINS0_14default_configENS1_38merge_sort_block_merge_config_selectorIyyEEZZNS1_27merge_sort_block_merge_implIS3_N6thrust23THRUST_200600_302600_NS6detail15normal_iteratorINS8_10device_ptrIyEEEESD_jNS1_19radix_merge_compareILb0ELb1EyNS0_19identity_decomposerEEEEE10hipError_tT0_T1_T2_jT3_P12ihipStream_tbPNSt15iterator_traitsISI_E10value_typeEPNSO_ISJ_E10value_typeEPSK_NS1_7vsmem_tEENKUlT_SI_SJ_SK_E_clIPySD_S10_SD_EESH_SX_SI_SJ_SK_EUlSX_E1_NS1_11comp_targetILNS1_3genE2ELNS1_11target_archE906ELNS1_3gpuE6ELNS1_3repE0EEENS1_36merge_oddeven_config_static_selectorELNS0_4arch9wavefront6targetE1EEEvSJ_,comdat
.Lfunc_end474:
	.size	_ZN7rocprim17ROCPRIM_400000_NS6detail17trampoline_kernelINS0_14default_configENS1_38merge_sort_block_merge_config_selectorIyyEEZZNS1_27merge_sort_block_merge_implIS3_N6thrust23THRUST_200600_302600_NS6detail15normal_iteratorINS8_10device_ptrIyEEEESD_jNS1_19radix_merge_compareILb0ELb1EyNS0_19identity_decomposerEEEEE10hipError_tT0_T1_T2_jT3_P12ihipStream_tbPNSt15iterator_traitsISI_E10value_typeEPNSO_ISJ_E10value_typeEPSK_NS1_7vsmem_tEENKUlT_SI_SJ_SK_E_clIPySD_S10_SD_EESH_SX_SI_SJ_SK_EUlSX_E1_NS1_11comp_targetILNS1_3genE2ELNS1_11target_archE906ELNS1_3gpuE6ELNS1_3repE0EEENS1_36merge_oddeven_config_static_selectorELNS0_4arch9wavefront6targetE1EEEvSJ_, .Lfunc_end474-_ZN7rocprim17ROCPRIM_400000_NS6detail17trampoline_kernelINS0_14default_configENS1_38merge_sort_block_merge_config_selectorIyyEEZZNS1_27merge_sort_block_merge_implIS3_N6thrust23THRUST_200600_302600_NS6detail15normal_iteratorINS8_10device_ptrIyEEEESD_jNS1_19radix_merge_compareILb0ELb1EyNS0_19identity_decomposerEEEEE10hipError_tT0_T1_T2_jT3_P12ihipStream_tbPNSt15iterator_traitsISI_E10value_typeEPNSO_ISJ_E10value_typeEPSK_NS1_7vsmem_tEENKUlT_SI_SJ_SK_E_clIPySD_S10_SD_EESH_SX_SI_SJ_SK_EUlSX_E1_NS1_11comp_targetILNS1_3genE2ELNS1_11target_archE906ELNS1_3gpuE6ELNS1_3repE0EEENS1_36merge_oddeven_config_static_selectorELNS0_4arch9wavefront6targetE1EEEvSJ_
                                        ; -- End function
	.set _ZN7rocprim17ROCPRIM_400000_NS6detail17trampoline_kernelINS0_14default_configENS1_38merge_sort_block_merge_config_selectorIyyEEZZNS1_27merge_sort_block_merge_implIS3_N6thrust23THRUST_200600_302600_NS6detail15normal_iteratorINS8_10device_ptrIyEEEESD_jNS1_19radix_merge_compareILb0ELb1EyNS0_19identity_decomposerEEEEE10hipError_tT0_T1_T2_jT3_P12ihipStream_tbPNSt15iterator_traitsISI_E10value_typeEPNSO_ISJ_E10value_typeEPSK_NS1_7vsmem_tEENKUlT_SI_SJ_SK_E_clIPySD_S10_SD_EESH_SX_SI_SJ_SK_EUlSX_E1_NS1_11comp_targetILNS1_3genE2ELNS1_11target_archE906ELNS1_3gpuE6ELNS1_3repE0EEENS1_36merge_oddeven_config_static_selectorELNS0_4arch9wavefront6targetE1EEEvSJ_.num_vgpr, 0
	.set _ZN7rocprim17ROCPRIM_400000_NS6detail17trampoline_kernelINS0_14default_configENS1_38merge_sort_block_merge_config_selectorIyyEEZZNS1_27merge_sort_block_merge_implIS3_N6thrust23THRUST_200600_302600_NS6detail15normal_iteratorINS8_10device_ptrIyEEEESD_jNS1_19radix_merge_compareILb0ELb1EyNS0_19identity_decomposerEEEEE10hipError_tT0_T1_T2_jT3_P12ihipStream_tbPNSt15iterator_traitsISI_E10value_typeEPNSO_ISJ_E10value_typeEPSK_NS1_7vsmem_tEENKUlT_SI_SJ_SK_E_clIPySD_S10_SD_EESH_SX_SI_SJ_SK_EUlSX_E1_NS1_11comp_targetILNS1_3genE2ELNS1_11target_archE906ELNS1_3gpuE6ELNS1_3repE0EEENS1_36merge_oddeven_config_static_selectorELNS0_4arch9wavefront6targetE1EEEvSJ_.num_agpr, 0
	.set _ZN7rocprim17ROCPRIM_400000_NS6detail17trampoline_kernelINS0_14default_configENS1_38merge_sort_block_merge_config_selectorIyyEEZZNS1_27merge_sort_block_merge_implIS3_N6thrust23THRUST_200600_302600_NS6detail15normal_iteratorINS8_10device_ptrIyEEEESD_jNS1_19radix_merge_compareILb0ELb1EyNS0_19identity_decomposerEEEEE10hipError_tT0_T1_T2_jT3_P12ihipStream_tbPNSt15iterator_traitsISI_E10value_typeEPNSO_ISJ_E10value_typeEPSK_NS1_7vsmem_tEENKUlT_SI_SJ_SK_E_clIPySD_S10_SD_EESH_SX_SI_SJ_SK_EUlSX_E1_NS1_11comp_targetILNS1_3genE2ELNS1_11target_archE906ELNS1_3gpuE6ELNS1_3repE0EEENS1_36merge_oddeven_config_static_selectorELNS0_4arch9wavefront6targetE1EEEvSJ_.numbered_sgpr, 0
	.set _ZN7rocprim17ROCPRIM_400000_NS6detail17trampoline_kernelINS0_14default_configENS1_38merge_sort_block_merge_config_selectorIyyEEZZNS1_27merge_sort_block_merge_implIS3_N6thrust23THRUST_200600_302600_NS6detail15normal_iteratorINS8_10device_ptrIyEEEESD_jNS1_19radix_merge_compareILb0ELb1EyNS0_19identity_decomposerEEEEE10hipError_tT0_T1_T2_jT3_P12ihipStream_tbPNSt15iterator_traitsISI_E10value_typeEPNSO_ISJ_E10value_typeEPSK_NS1_7vsmem_tEENKUlT_SI_SJ_SK_E_clIPySD_S10_SD_EESH_SX_SI_SJ_SK_EUlSX_E1_NS1_11comp_targetILNS1_3genE2ELNS1_11target_archE906ELNS1_3gpuE6ELNS1_3repE0EEENS1_36merge_oddeven_config_static_selectorELNS0_4arch9wavefront6targetE1EEEvSJ_.num_named_barrier, 0
	.set _ZN7rocprim17ROCPRIM_400000_NS6detail17trampoline_kernelINS0_14default_configENS1_38merge_sort_block_merge_config_selectorIyyEEZZNS1_27merge_sort_block_merge_implIS3_N6thrust23THRUST_200600_302600_NS6detail15normal_iteratorINS8_10device_ptrIyEEEESD_jNS1_19radix_merge_compareILb0ELb1EyNS0_19identity_decomposerEEEEE10hipError_tT0_T1_T2_jT3_P12ihipStream_tbPNSt15iterator_traitsISI_E10value_typeEPNSO_ISJ_E10value_typeEPSK_NS1_7vsmem_tEENKUlT_SI_SJ_SK_E_clIPySD_S10_SD_EESH_SX_SI_SJ_SK_EUlSX_E1_NS1_11comp_targetILNS1_3genE2ELNS1_11target_archE906ELNS1_3gpuE6ELNS1_3repE0EEENS1_36merge_oddeven_config_static_selectorELNS0_4arch9wavefront6targetE1EEEvSJ_.private_seg_size, 0
	.set _ZN7rocprim17ROCPRIM_400000_NS6detail17trampoline_kernelINS0_14default_configENS1_38merge_sort_block_merge_config_selectorIyyEEZZNS1_27merge_sort_block_merge_implIS3_N6thrust23THRUST_200600_302600_NS6detail15normal_iteratorINS8_10device_ptrIyEEEESD_jNS1_19radix_merge_compareILb0ELb1EyNS0_19identity_decomposerEEEEE10hipError_tT0_T1_T2_jT3_P12ihipStream_tbPNSt15iterator_traitsISI_E10value_typeEPNSO_ISJ_E10value_typeEPSK_NS1_7vsmem_tEENKUlT_SI_SJ_SK_E_clIPySD_S10_SD_EESH_SX_SI_SJ_SK_EUlSX_E1_NS1_11comp_targetILNS1_3genE2ELNS1_11target_archE906ELNS1_3gpuE6ELNS1_3repE0EEENS1_36merge_oddeven_config_static_selectorELNS0_4arch9wavefront6targetE1EEEvSJ_.uses_vcc, 0
	.set _ZN7rocprim17ROCPRIM_400000_NS6detail17trampoline_kernelINS0_14default_configENS1_38merge_sort_block_merge_config_selectorIyyEEZZNS1_27merge_sort_block_merge_implIS3_N6thrust23THRUST_200600_302600_NS6detail15normal_iteratorINS8_10device_ptrIyEEEESD_jNS1_19radix_merge_compareILb0ELb1EyNS0_19identity_decomposerEEEEE10hipError_tT0_T1_T2_jT3_P12ihipStream_tbPNSt15iterator_traitsISI_E10value_typeEPNSO_ISJ_E10value_typeEPSK_NS1_7vsmem_tEENKUlT_SI_SJ_SK_E_clIPySD_S10_SD_EESH_SX_SI_SJ_SK_EUlSX_E1_NS1_11comp_targetILNS1_3genE2ELNS1_11target_archE906ELNS1_3gpuE6ELNS1_3repE0EEENS1_36merge_oddeven_config_static_selectorELNS0_4arch9wavefront6targetE1EEEvSJ_.uses_flat_scratch, 0
	.set _ZN7rocprim17ROCPRIM_400000_NS6detail17trampoline_kernelINS0_14default_configENS1_38merge_sort_block_merge_config_selectorIyyEEZZNS1_27merge_sort_block_merge_implIS3_N6thrust23THRUST_200600_302600_NS6detail15normal_iteratorINS8_10device_ptrIyEEEESD_jNS1_19radix_merge_compareILb0ELb1EyNS0_19identity_decomposerEEEEE10hipError_tT0_T1_T2_jT3_P12ihipStream_tbPNSt15iterator_traitsISI_E10value_typeEPNSO_ISJ_E10value_typeEPSK_NS1_7vsmem_tEENKUlT_SI_SJ_SK_E_clIPySD_S10_SD_EESH_SX_SI_SJ_SK_EUlSX_E1_NS1_11comp_targetILNS1_3genE2ELNS1_11target_archE906ELNS1_3gpuE6ELNS1_3repE0EEENS1_36merge_oddeven_config_static_selectorELNS0_4arch9wavefront6targetE1EEEvSJ_.has_dyn_sized_stack, 0
	.set _ZN7rocprim17ROCPRIM_400000_NS6detail17trampoline_kernelINS0_14default_configENS1_38merge_sort_block_merge_config_selectorIyyEEZZNS1_27merge_sort_block_merge_implIS3_N6thrust23THRUST_200600_302600_NS6detail15normal_iteratorINS8_10device_ptrIyEEEESD_jNS1_19radix_merge_compareILb0ELb1EyNS0_19identity_decomposerEEEEE10hipError_tT0_T1_T2_jT3_P12ihipStream_tbPNSt15iterator_traitsISI_E10value_typeEPNSO_ISJ_E10value_typeEPSK_NS1_7vsmem_tEENKUlT_SI_SJ_SK_E_clIPySD_S10_SD_EESH_SX_SI_SJ_SK_EUlSX_E1_NS1_11comp_targetILNS1_3genE2ELNS1_11target_archE906ELNS1_3gpuE6ELNS1_3repE0EEENS1_36merge_oddeven_config_static_selectorELNS0_4arch9wavefront6targetE1EEEvSJ_.has_recursion, 0
	.set _ZN7rocprim17ROCPRIM_400000_NS6detail17trampoline_kernelINS0_14default_configENS1_38merge_sort_block_merge_config_selectorIyyEEZZNS1_27merge_sort_block_merge_implIS3_N6thrust23THRUST_200600_302600_NS6detail15normal_iteratorINS8_10device_ptrIyEEEESD_jNS1_19radix_merge_compareILb0ELb1EyNS0_19identity_decomposerEEEEE10hipError_tT0_T1_T2_jT3_P12ihipStream_tbPNSt15iterator_traitsISI_E10value_typeEPNSO_ISJ_E10value_typeEPSK_NS1_7vsmem_tEENKUlT_SI_SJ_SK_E_clIPySD_S10_SD_EESH_SX_SI_SJ_SK_EUlSX_E1_NS1_11comp_targetILNS1_3genE2ELNS1_11target_archE906ELNS1_3gpuE6ELNS1_3repE0EEENS1_36merge_oddeven_config_static_selectorELNS0_4arch9wavefront6targetE1EEEvSJ_.has_indirect_call, 0
	.section	.AMDGPU.csdata,"",@progbits
; Kernel info:
; codeLenInByte = 0
; TotalNumSgprs: 6
; NumVgprs: 0
; NumAgprs: 0
; TotalNumVgprs: 0
; ScratchSize: 0
; MemoryBound: 0
; FloatMode: 240
; IeeeMode: 1
; LDSByteSize: 0 bytes/workgroup (compile time only)
; SGPRBlocks: 0
; VGPRBlocks: 0
; NumSGPRsForWavesPerEU: 6
; NumVGPRsForWavesPerEU: 1
; AccumOffset: 4
; Occupancy: 8
; WaveLimiterHint : 0
; COMPUTE_PGM_RSRC2:SCRATCH_EN: 0
; COMPUTE_PGM_RSRC2:USER_SGPR: 2
; COMPUTE_PGM_RSRC2:TRAP_HANDLER: 0
; COMPUTE_PGM_RSRC2:TGID_X_EN: 1
; COMPUTE_PGM_RSRC2:TGID_Y_EN: 0
; COMPUTE_PGM_RSRC2:TGID_Z_EN: 0
; COMPUTE_PGM_RSRC2:TIDIG_COMP_CNT: 0
; COMPUTE_PGM_RSRC3_GFX90A:ACCUM_OFFSET: 0
; COMPUTE_PGM_RSRC3_GFX90A:TG_SPLIT: 0
	.section	.text._ZN7rocprim17ROCPRIM_400000_NS6detail17trampoline_kernelINS0_14default_configENS1_38merge_sort_block_merge_config_selectorIyyEEZZNS1_27merge_sort_block_merge_implIS3_N6thrust23THRUST_200600_302600_NS6detail15normal_iteratorINS8_10device_ptrIyEEEESD_jNS1_19radix_merge_compareILb0ELb1EyNS0_19identity_decomposerEEEEE10hipError_tT0_T1_T2_jT3_P12ihipStream_tbPNSt15iterator_traitsISI_E10value_typeEPNSO_ISJ_E10value_typeEPSK_NS1_7vsmem_tEENKUlT_SI_SJ_SK_E_clIPySD_S10_SD_EESH_SX_SI_SJ_SK_EUlSX_E1_NS1_11comp_targetILNS1_3genE9ELNS1_11target_archE1100ELNS1_3gpuE3ELNS1_3repE0EEENS1_36merge_oddeven_config_static_selectorELNS0_4arch9wavefront6targetE1EEEvSJ_,"axG",@progbits,_ZN7rocprim17ROCPRIM_400000_NS6detail17trampoline_kernelINS0_14default_configENS1_38merge_sort_block_merge_config_selectorIyyEEZZNS1_27merge_sort_block_merge_implIS3_N6thrust23THRUST_200600_302600_NS6detail15normal_iteratorINS8_10device_ptrIyEEEESD_jNS1_19radix_merge_compareILb0ELb1EyNS0_19identity_decomposerEEEEE10hipError_tT0_T1_T2_jT3_P12ihipStream_tbPNSt15iterator_traitsISI_E10value_typeEPNSO_ISJ_E10value_typeEPSK_NS1_7vsmem_tEENKUlT_SI_SJ_SK_E_clIPySD_S10_SD_EESH_SX_SI_SJ_SK_EUlSX_E1_NS1_11comp_targetILNS1_3genE9ELNS1_11target_archE1100ELNS1_3gpuE3ELNS1_3repE0EEENS1_36merge_oddeven_config_static_selectorELNS0_4arch9wavefront6targetE1EEEvSJ_,comdat
	.protected	_ZN7rocprim17ROCPRIM_400000_NS6detail17trampoline_kernelINS0_14default_configENS1_38merge_sort_block_merge_config_selectorIyyEEZZNS1_27merge_sort_block_merge_implIS3_N6thrust23THRUST_200600_302600_NS6detail15normal_iteratorINS8_10device_ptrIyEEEESD_jNS1_19radix_merge_compareILb0ELb1EyNS0_19identity_decomposerEEEEE10hipError_tT0_T1_T2_jT3_P12ihipStream_tbPNSt15iterator_traitsISI_E10value_typeEPNSO_ISJ_E10value_typeEPSK_NS1_7vsmem_tEENKUlT_SI_SJ_SK_E_clIPySD_S10_SD_EESH_SX_SI_SJ_SK_EUlSX_E1_NS1_11comp_targetILNS1_3genE9ELNS1_11target_archE1100ELNS1_3gpuE3ELNS1_3repE0EEENS1_36merge_oddeven_config_static_selectorELNS0_4arch9wavefront6targetE1EEEvSJ_ ; -- Begin function _ZN7rocprim17ROCPRIM_400000_NS6detail17trampoline_kernelINS0_14default_configENS1_38merge_sort_block_merge_config_selectorIyyEEZZNS1_27merge_sort_block_merge_implIS3_N6thrust23THRUST_200600_302600_NS6detail15normal_iteratorINS8_10device_ptrIyEEEESD_jNS1_19radix_merge_compareILb0ELb1EyNS0_19identity_decomposerEEEEE10hipError_tT0_T1_T2_jT3_P12ihipStream_tbPNSt15iterator_traitsISI_E10value_typeEPNSO_ISJ_E10value_typeEPSK_NS1_7vsmem_tEENKUlT_SI_SJ_SK_E_clIPySD_S10_SD_EESH_SX_SI_SJ_SK_EUlSX_E1_NS1_11comp_targetILNS1_3genE9ELNS1_11target_archE1100ELNS1_3gpuE3ELNS1_3repE0EEENS1_36merge_oddeven_config_static_selectorELNS0_4arch9wavefront6targetE1EEEvSJ_
	.globl	_ZN7rocprim17ROCPRIM_400000_NS6detail17trampoline_kernelINS0_14default_configENS1_38merge_sort_block_merge_config_selectorIyyEEZZNS1_27merge_sort_block_merge_implIS3_N6thrust23THRUST_200600_302600_NS6detail15normal_iteratorINS8_10device_ptrIyEEEESD_jNS1_19radix_merge_compareILb0ELb1EyNS0_19identity_decomposerEEEEE10hipError_tT0_T1_T2_jT3_P12ihipStream_tbPNSt15iterator_traitsISI_E10value_typeEPNSO_ISJ_E10value_typeEPSK_NS1_7vsmem_tEENKUlT_SI_SJ_SK_E_clIPySD_S10_SD_EESH_SX_SI_SJ_SK_EUlSX_E1_NS1_11comp_targetILNS1_3genE9ELNS1_11target_archE1100ELNS1_3gpuE3ELNS1_3repE0EEENS1_36merge_oddeven_config_static_selectorELNS0_4arch9wavefront6targetE1EEEvSJ_
	.p2align	8
	.type	_ZN7rocprim17ROCPRIM_400000_NS6detail17trampoline_kernelINS0_14default_configENS1_38merge_sort_block_merge_config_selectorIyyEEZZNS1_27merge_sort_block_merge_implIS3_N6thrust23THRUST_200600_302600_NS6detail15normal_iteratorINS8_10device_ptrIyEEEESD_jNS1_19radix_merge_compareILb0ELb1EyNS0_19identity_decomposerEEEEE10hipError_tT0_T1_T2_jT3_P12ihipStream_tbPNSt15iterator_traitsISI_E10value_typeEPNSO_ISJ_E10value_typeEPSK_NS1_7vsmem_tEENKUlT_SI_SJ_SK_E_clIPySD_S10_SD_EESH_SX_SI_SJ_SK_EUlSX_E1_NS1_11comp_targetILNS1_3genE9ELNS1_11target_archE1100ELNS1_3gpuE3ELNS1_3repE0EEENS1_36merge_oddeven_config_static_selectorELNS0_4arch9wavefront6targetE1EEEvSJ_,@function
_ZN7rocprim17ROCPRIM_400000_NS6detail17trampoline_kernelINS0_14default_configENS1_38merge_sort_block_merge_config_selectorIyyEEZZNS1_27merge_sort_block_merge_implIS3_N6thrust23THRUST_200600_302600_NS6detail15normal_iteratorINS8_10device_ptrIyEEEESD_jNS1_19radix_merge_compareILb0ELb1EyNS0_19identity_decomposerEEEEE10hipError_tT0_T1_T2_jT3_P12ihipStream_tbPNSt15iterator_traitsISI_E10value_typeEPNSO_ISJ_E10value_typeEPSK_NS1_7vsmem_tEENKUlT_SI_SJ_SK_E_clIPySD_S10_SD_EESH_SX_SI_SJ_SK_EUlSX_E1_NS1_11comp_targetILNS1_3genE9ELNS1_11target_archE1100ELNS1_3gpuE3ELNS1_3repE0EEENS1_36merge_oddeven_config_static_selectorELNS0_4arch9wavefront6targetE1EEEvSJ_: ; @_ZN7rocprim17ROCPRIM_400000_NS6detail17trampoline_kernelINS0_14default_configENS1_38merge_sort_block_merge_config_selectorIyyEEZZNS1_27merge_sort_block_merge_implIS3_N6thrust23THRUST_200600_302600_NS6detail15normal_iteratorINS8_10device_ptrIyEEEESD_jNS1_19radix_merge_compareILb0ELb1EyNS0_19identity_decomposerEEEEE10hipError_tT0_T1_T2_jT3_P12ihipStream_tbPNSt15iterator_traitsISI_E10value_typeEPNSO_ISJ_E10value_typeEPSK_NS1_7vsmem_tEENKUlT_SI_SJ_SK_E_clIPySD_S10_SD_EESH_SX_SI_SJ_SK_EUlSX_E1_NS1_11comp_targetILNS1_3genE9ELNS1_11target_archE1100ELNS1_3gpuE3ELNS1_3repE0EEENS1_36merge_oddeven_config_static_selectorELNS0_4arch9wavefront6targetE1EEEvSJ_
; %bb.0:
	.section	.rodata,"a",@progbits
	.p2align	6, 0x0
	.amdhsa_kernel _ZN7rocprim17ROCPRIM_400000_NS6detail17trampoline_kernelINS0_14default_configENS1_38merge_sort_block_merge_config_selectorIyyEEZZNS1_27merge_sort_block_merge_implIS3_N6thrust23THRUST_200600_302600_NS6detail15normal_iteratorINS8_10device_ptrIyEEEESD_jNS1_19radix_merge_compareILb0ELb1EyNS0_19identity_decomposerEEEEE10hipError_tT0_T1_T2_jT3_P12ihipStream_tbPNSt15iterator_traitsISI_E10value_typeEPNSO_ISJ_E10value_typeEPSK_NS1_7vsmem_tEENKUlT_SI_SJ_SK_E_clIPySD_S10_SD_EESH_SX_SI_SJ_SK_EUlSX_E1_NS1_11comp_targetILNS1_3genE9ELNS1_11target_archE1100ELNS1_3gpuE3ELNS1_3repE0EEENS1_36merge_oddeven_config_static_selectorELNS0_4arch9wavefront6targetE1EEEvSJ_
		.amdhsa_group_segment_fixed_size 0
		.amdhsa_private_segment_fixed_size 0
		.amdhsa_kernarg_size 48
		.amdhsa_user_sgpr_count 2
		.amdhsa_user_sgpr_dispatch_ptr 0
		.amdhsa_user_sgpr_queue_ptr 0
		.amdhsa_user_sgpr_kernarg_segment_ptr 1
		.amdhsa_user_sgpr_dispatch_id 0
		.amdhsa_user_sgpr_kernarg_preload_length 0
		.amdhsa_user_sgpr_kernarg_preload_offset 0
		.amdhsa_user_sgpr_private_segment_size 0
		.amdhsa_uses_dynamic_stack 0
		.amdhsa_enable_private_segment 0
		.amdhsa_system_sgpr_workgroup_id_x 1
		.amdhsa_system_sgpr_workgroup_id_y 0
		.amdhsa_system_sgpr_workgroup_id_z 0
		.amdhsa_system_sgpr_workgroup_info 0
		.amdhsa_system_vgpr_workitem_id 0
		.amdhsa_next_free_vgpr 1
		.amdhsa_next_free_sgpr 0
		.amdhsa_accum_offset 4
		.amdhsa_reserve_vcc 0
		.amdhsa_float_round_mode_32 0
		.amdhsa_float_round_mode_16_64 0
		.amdhsa_float_denorm_mode_32 3
		.amdhsa_float_denorm_mode_16_64 3
		.amdhsa_dx10_clamp 1
		.amdhsa_ieee_mode 1
		.amdhsa_fp16_overflow 0
		.amdhsa_tg_split 0
		.amdhsa_exception_fp_ieee_invalid_op 0
		.amdhsa_exception_fp_denorm_src 0
		.amdhsa_exception_fp_ieee_div_zero 0
		.amdhsa_exception_fp_ieee_overflow 0
		.amdhsa_exception_fp_ieee_underflow 0
		.amdhsa_exception_fp_ieee_inexact 0
		.amdhsa_exception_int_div_zero 0
	.end_amdhsa_kernel
	.section	.text._ZN7rocprim17ROCPRIM_400000_NS6detail17trampoline_kernelINS0_14default_configENS1_38merge_sort_block_merge_config_selectorIyyEEZZNS1_27merge_sort_block_merge_implIS3_N6thrust23THRUST_200600_302600_NS6detail15normal_iteratorINS8_10device_ptrIyEEEESD_jNS1_19radix_merge_compareILb0ELb1EyNS0_19identity_decomposerEEEEE10hipError_tT0_T1_T2_jT3_P12ihipStream_tbPNSt15iterator_traitsISI_E10value_typeEPNSO_ISJ_E10value_typeEPSK_NS1_7vsmem_tEENKUlT_SI_SJ_SK_E_clIPySD_S10_SD_EESH_SX_SI_SJ_SK_EUlSX_E1_NS1_11comp_targetILNS1_3genE9ELNS1_11target_archE1100ELNS1_3gpuE3ELNS1_3repE0EEENS1_36merge_oddeven_config_static_selectorELNS0_4arch9wavefront6targetE1EEEvSJ_,"axG",@progbits,_ZN7rocprim17ROCPRIM_400000_NS6detail17trampoline_kernelINS0_14default_configENS1_38merge_sort_block_merge_config_selectorIyyEEZZNS1_27merge_sort_block_merge_implIS3_N6thrust23THRUST_200600_302600_NS6detail15normal_iteratorINS8_10device_ptrIyEEEESD_jNS1_19radix_merge_compareILb0ELb1EyNS0_19identity_decomposerEEEEE10hipError_tT0_T1_T2_jT3_P12ihipStream_tbPNSt15iterator_traitsISI_E10value_typeEPNSO_ISJ_E10value_typeEPSK_NS1_7vsmem_tEENKUlT_SI_SJ_SK_E_clIPySD_S10_SD_EESH_SX_SI_SJ_SK_EUlSX_E1_NS1_11comp_targetILNS1_3genE9ELNS1_11target_archE1100ELNS1_3gpuE3ELNS1_3repE0EEENS1_36merge_oddeven_config_static_selectorELNS0_4arch9wavefront6targetE1EEEvSJ_,comdat
.Lfunc_end475:
	.size	_ZN7rocprim17ROCPRIM_400000_NS6detail17trampoline_kernelINS0_14default_configENS1_38merge_sort_block_merge_config_selectorIyyEEZZNS1_27merge_sort_block_merge_implIS3_N6thrust23THRUST_200600_302600_NS6detail15normal_iteratorINS8_10device_ptrIyEEEESD_jNS1_19radix_merge_compareILb0ELb1EyNS0_19identity_decomposerEEEEE10hipError_tT0_T1_T2_jT3_P12ihipStream_tbPNSt15iterator_traitsISI_E10value_typeEPNSO_ISJ_E10value_typeEPSK_NS1_7vsmem_tEENKUlT_SI_SJ_SK_E_clIPySD_S10_SD_EESH_SX_SI_SJ_SK_EUlSX_E1_NS1_11comp_targetILNS1_3genE9ELNS1_11target_archE1100ELNS1_3gpuE3ELNS1_3repE0EEENS1_36merge_oddeven_config_static_selectorELNS0_4arch9wavefront6targetE1EEEvSJ_, .Lfunc_end475-_ZN7rocprim17ROCPRIM_400000_NS6detail17trampoline_kernelINS0_14default_configENS1_38merge_sort_block_merge_config_selectorIyyEEZZNS1_27merge_sort_block_merge_implIS3_N6thrust23THRUST_200600_302600_NS6detail15normal_iteratorINS8_10device_ptrIyEEEESD_jNS1_19radix_merge_compareILb0ELb1EyNS0_19identity_decomposerEEEEE10hipError_tT0_T1_T2_jT3_P12ihipStream_tbPNSt15iterator_traitsISI_E10value_typeEPNSO_ISJ_E10value_typeEPSK_NS1_7vsmem_tEENKUlT_SI_SJ_SK_E_clIPySD_S10_SD_EESH_SX_SI_SJ_SK_EUlSX_E1_NS1_11comp_targetILNS1_3genE9ELNS1_11target_archE1100ELNS1_3gpuE3ELNS1_3repE0EEENS1_36merge_oddeven_config_static_selectorELNS0_4arch9wavefront6targetE1EEEvSJ_
                                        ; -- End function
	.set _ZN7rocprim17ROCPRIM_400000_NS6detail17trampoline_kernelINS0_14default_configENS1_38merge_sort_block_merge_config_selectorIyyEEZZNS1_27merge_sort_block_merge_implIS3_N6thrust23THRUST_200600_302600_NS6detail15normal_iteratorINS8_10device_ptrIyEEEESD_jNS1_19radix_merge_compareILb0ELb1EyNS0_19identity_decomposerEEEEE10hipError_tT0_T1_T2_jT3_P12ihipStream_tbPNSt15iterator_traitsISI_E10value_typeEPNSO_ISJ_E10value_typeEPSK_NS1_7vsmem_tEENKUlT_SI_SJ_SK_E_clIPySD_S10_SD_EESH_SX_SI_SJ_SK_EUlSX_E1_NS1_11comp_targetILNS1_3genE9ELNS1_11target_archE1100ELNS1_3gpuE3ELNS1_3repE0EEENS1_36merge_oddeven_config_static_selectorELNS0_4arch9wavefront6targetE1EEEvSJ_.num_vgpr, 0
	.set _ZN7rocprim17ROCPRIM_400000_NS6detail17trampoline_kernelINS0_14default_configENS1_38merge_sort_block_merge_config_selectorIyyEEZZNS1_27merge_sort_block_merge_implIS3_N6thrust23THRUST_200600_302600_NS6detail15normal_iteratorINS8_10device_ptrIyEEEESD_jNS1_19radix_merge_compareILb0ELb1EyNS0_19identity_decomposerEEEEE10hipError_tT0_T1_T2_jT3_P12ihipStream_tbPNSt15iterator_traitsISI_E10value_typeEPNSO_ISJ_E10value_typeEPSK_NS1_7vsmem_tEENKUlT_SI_SJ_SK_E_clIPySD_S10_SD_EESH_SX_SI_SJ_SK_EUlSX_E1_NS1_11comp_targetILNS1_3genE9ELNS1_11target_archE1100ELNS1_3gpuE3ELNS1_3repE0EEENS1_36merge_oddeven_config_static_selectorELNS0_4arch9wavefront6targetE1EEEvSJ_.num_agpr, 0
	.set _ZN7rocprim17ROCPRIM_400000_NS6detail17trampoline_kernelINS0_14default_configENS1_38merge_sort_block_merge_config_selectorIyyEEZZNS1_27merge_sort_block_merge_implIS3_N6thrust23THRUST_200600_302600_NS6detail15normal_iteratorINS8_10device_ptrIyEEEESD_jNS1_19radix_merge_compareILb0ELb1EyNS0_19identity_decomposerEEEEE10hipError_tT0_T1_T2_jT3_P12ihipStream_tbPNSt15iterator_traitsISI_E10value_typeEPNSO_ISJ_E10value_typeEPSK_NS1_7vsmem_tEENKUlT_SI_SJ_SK_E_clIPySD_S10_SD_EESH_SX_SI_SJ_SK_EUlSX_E1_NS1_11comp_targetILNS1_3genE9ELNS1_11target_archE1100ELNS1_3gpuE3ELNS1_3repE0EEENS1_36merge_oddeven_config_static_selectorELNS0_4arch9wavefront6targetE1EEEvSJ_.numbered_sgpr, 0
	.set _ZN7rocprim17ROCPRIM_400000_NS6detail17trampoline_kernelINS0_14default_configENS1_38merge_sort_block_merge_config_selectorIyyEEZZNS1_27merge_sort_block_merge_implIS3_N6thrust23THRUST_200600_302600_NS6detail15normal_iteratorINS8_10device_ptrIyEEEESD_jNS1_19radix_merge_compareILb0ELb1EyNS0_19identity_decomposerEEEEE10hipError_tT0_T1_T2_jT3_P12ihipStream_tbPNSt15iterator_traitsISI_E10value_typeEPNSO_ISJ_E10value_typeEPSK_NS1_7vsmem_tEENKUlT_SI_SJ_SK_E_clIPySD_S10_SD_EESH_SX_SI_SJ_SK_EUlSX_E1_NS1_11comp_targetILNS1_3genE9ELNS1_11target_archE1100ELNS1_3gpuE3ELNS1_3repE0EEENS1_36merge_oddeven_config_static_selectorELNS0_4arch9wavefront6targetE1EEEvSJ_.num_named_barrier, 0
	.set _ZN7rocprim17ROCPRIM_400000_NS6detail17trampoline_kernelINS0_14default_configENS1_38merge_sort_block_merge_config_selectorIyyEEZZNS1_27merge_sort_block_merge_implIS3_N6thrust23THRUST_200600_302600_NS6detail15normal_iteratorINS8_10device_ptrIyEEEESD_jNS1_19radix_merge_compareILb0ELb1EyNS0_19identity_decomposerEEEEE10hipError_tT0_T1_T2_jT3_P12ihipStream_tbPNSt15iterator_traitsISI_E10value_typeEPNSO_ISJ_E10value_typeEPSK_NS1_7vsmem_tEENKUlT_SI_SJ_SK_E_clIPySD_S10_SD_EESH_SX_SI_SJ_SK_EUlSX_E1_NS1_11comp_targetILNS1_3genE9ELNS1_11target_archE1100ELNS1_3gpuE3ELNS1_3repE0EEENS1_36merge_oddeven_config_static_selectorELNS0_4arch9wavefront6targetE1EEEvSJ_.private_seg_size, 0
	.set _ZN7rocprim17ROCPRIM_400000_NS6detail17trampoline_kernelINS0_14default_configENS1_38merge_sort_block_merge_config_selectorIyyEEZZNS1_27merge_sort_block_merge_implIS3_N6thrust23THRUST_200600_302600_NS6detail15normal_iteratorINS8_10device_ptrIyEEEESD_jNS1_19radix_merge_compareILb0ELb1EyNS0_19identity_decomposerEEEEE10hipError_tT0_T1_T2_jT3_P12ihipStream_tbPNSt15iterator_traitsISI_E10value_typeEPNSO_ISJ_E10value_typeEPSK_NS1_7vsmem_tEENKUlT_SI_SJ_SK_E_clIPySD_S10_SD_EESH_SX_SI_SJ_SK_EUlSX_E1_NS1_11comp_targetILNS1_3genE9ELNS1_11target_archE1100ELNS1_3gpuE3ELNS1_3repE0EEENS1_36merge_oddeven_config_static_selectorELNS0_4arch9wavefront6targetE1EEEvSJ_.uses_vcc, 0
	.set _ZN7rocprim17ROCPRIM_400000_NS6detail17trampoline_kernelINS0_14default_configENS1_38merge_sort_block_merge_config_selectorIyyEEZZNS1_27merge_sort_block_merge_implIS3_N6thrust23THRUST_200600_302600_NS6detail15normal_iteratorINS8_10device_ptrIyEEEESD_jNS1_19radix_merge_compareILb0ELb1EyNS0_19identity_decomposerEEEEE10hipError_tT0_T1_T2_jT3_P12ihipStream_tbPNSt15iterator_traitsISI_E10value_typeEPNSO_ISJ_E10value_typeEPSK_NS1_7vsmem_tEENKUlT_SI_SJ_SK_E_clIPySD_S10_SD_EESH_SX_SI_SJ_SK_EUlSX_E1_NS1_11comp_targetILNS1_3genE9ELNS1_11target_archE1100ELNS1_3gpuE3ELNS1_3repE0EEENS1_36merge_oddeven_config_static_selectorELNS0_4arch9wavefront6targetE1EEEvSJ_.uses_flat_scratch, 0
	.set _ZN7rocprim17ROCPRIM_400000_NS6detail17trampoline_kernelINS0_14default_configENS1_38merge_sort_block_merge_config_selectorIyyEEZZNS1_27merge_sort_block_merge_implIS3_N6thrust23THRUST_200600_302600_NS6detail15normal_iteratorINS8_10device_ptrIyEEEESD_jNS1_19radix_merge_compareILb0ELb1EyNS0_19identity_decomposerEEEEE10hipError_tT0_T1_T2_jT3_P12ihipStream_tbPNSt15iterator_traitsISI_E10value_typeEPNSO_ISJ_E10value_typeEPSK_NS1_7vsmem_tEENKUlT_SI_SJ_SK_E_clIPySD_S10_SD_EESH_SX_SI_SJ_SK_EUlSX_E1_NS1_11comp_targetILNS1_3genE9ELNS1_11target_archE1100ELNS1_3gpuE3ELNS1_3repE0EEENS1_36merge_oddeven_config_static_selectorELNS0_4arch9wavefront6targetE1EEEvSJ_.has_dyn_sized_stack, 0
	.set _ZN7rocprim17ROCPRIM_400000_NS6detail17trampoline_kernelINS0_14default_configENS1_38merge_sort_block_merge_config_selectorIyyEEZZNS1_27merge_sort_block_merge_implIS3_N6thrust23THRUST_200600_302600_NS6detail15normal_iteratorINS8_10device_ptrIyEEEESD_jNS1_19radix_merge_compareILb0ELb1EyNS0_19identity_decomposerEEEEE10hipError_tT0_T1_T2_jT3_P12ihipStream_tbPNSt15iterator_traitsISI_E10value_typeEPNSO_ISJ_E10value_typeEPSK_NS1_7vsmem_tEENKUlT_SI_SJ_SK_E_clIPySD_S10_SD_EESH_SX_SI_SJ_SK_EUlSX_E1_NS1_11comp_targetILNS1_3genE9ELNS1_11target_archE1100ELNS1_3gpuE3ELNS1_3repE0EEENS1_36merge_oddeven_config_static_selectorELNS0_4arch9wavefront6targetE1EEEvSJ_.has_recursion, 0
	.set _ZN7rocprim17ROCPRIM_400000_NS6detail17trampoline_kernelINS0_14default_configENS1_38merge_sort_block_merge_config_selectorIyyEEZZNS1_27merge_sort_block_merge_implIS3_N6thrust23THRUST_200600_302600_NS6detail15normal_iteratorINS8_10device_ptrIyEEEESD_jNS1_19radix_merge_compareILb0ELb1EyNS0_19identity_decomposerEEEEE10hipError_tT0_T1_T2_jT3_P12ihipStream_tbPNSt15iterator_traitsISI_E10value_typeEPNSO_ISJ_E10value_typeEPSK_NS1_7vsmem_tEENKUlT_SI_SJ_SK_E_clIPySD_S10_SD_EESH_SX_SI_SJ_SK_EUlSX_E1_NS1_11comp_targetILNS1_3genE9ELNS1_11target_archE1100ELNS1_3gpuE3ELNS1_3repE0EEENS1_36merge_oddeven_config_static_selectorELNS0_4arch9wavefront6targetE1EEEvSJ_.has_indirect_call, 0
	.section	.AMDGPU.csdata,"",@progbits
; Kernel info:
; codeLenInByte = 0
; TotalNumSgprs: 6
; NumVgprs: 0
; NumAgprs: 0
; TotalNumVgprs: 0
; ScratchSize: 0
; MemoryBound: 0
; FloatMode: 240
; IeeeMode: 1
; LDSByteSize: 0 bytes/workgroup (compile time only)
; SGPRBlocks: 0
; VGPRBlocks: 0
; NumSGPRsForWavesPerEU: 6
; NumVGPRsForWavesPerEU: 1
; AccumOffset: 4
; Occupancy: 8
; WaveLimiterHint : 0
; COMPUTE_PGM_RSRC2:SCRATCH_EN: 0
; COMPUTE_PGM_RSRC2:USER_SGPR: 2
; COMPUTE_PGM_RSRC2:TRAP_HANDLER: 0
; COMPUTE_PGM_RSRC2:TGID_X_EN: 1
; COMPUTE_PGM_RSRC2:TGID_Y_EN: 0
; COMPUTE_PGM_RSRC2:TGID_Z_EN: 0
; COMPUTE_PGM_RSRC2:TIDIG_COMP_CNT: 0
; COMPUTE_PGM_RSRC3_GFX90A:ACCUM_OFFSET: 0
; COMPUTE_PGM_RSRC3_GFX90A:TG_SPLIT: 0
	.section	.text._ZN7rocprim17ROCPRIM_400000_NS6detail17trampoline_kernelINS0_14default_configENS1_38merge_sort_block_merge_config_selectorIyyEEZZNS1_27merge_sort_block_merge_implIS3_N6thrust23THRUST_200600_302600_NS6detail15normal_iteratorINS8_10device_ptrIyEEEESD_jNS1_19radix_merge_compareILb0ELb1EyNS0_19identity_decomposerEEEEE10hipError_tT0_T1_T2_jT3_P12ihipStream_tbPNSt15iterator_traitsISI_E10value_typeEPNSO_ISJ_E10value_typeEPSK_NS1_7vsmem_tEENKUlT_SI_SJ_SK_E_clIPySD_S10_SD_EESH_SX_SI_SJ_SK_EUlSX_E1_NS1_11comp_targetILNS1_3genE8ELNS1_11target_archE1030ELNS1_3gpuE2ELNS1_3repE0EEENS1_36merge_oddeven_config_static_selectorELNS0_4arch9wavefront6targetE1EEEvSJ_,"axG",@progbits,_ZN7rocprim17ROCPRIM_400000_NS6detail17trampoline_kernelINS0_14default_configENS1_38merge_sort_block_merge_config_selectorIyyEEZZNS1_27merge_sort_block_merge_implIS3_N6thrust23THRUST_200600_302600_NS6detail15normal_iteratorINS8_10device_ptrIyEEEESD_jNS1_19radix_merge_compareILb0ELb1EyNS0_19identity_decomposerEEEEE10hipError_tT0_T1_T2_jT3_P12ihipStream_tbPNSt15iterator_traitsISI_E10value_typeEPNSO_ISJ_E10value_typeEPSK_NS1_7vsmem_tEENKUlT_SI_SJ_SK_E_clIPySD_S10_SD_EESH_SX_SI_SJ_SK_EUlSX_E1_NS1_11comp_targetILNS1_3genE8ELNS1_11target_archE1030ELNS1_3gpuE2ELNS1_3repE0EEENS1_36merge_oddeven_config_static_selectorELNS0_4arch9wavefront6targetE1EEEvSJ_,comdat
	.protected	_ZN7rocprim17ROCPRIM_400000_NS6detail17trampoline_kernelINS0_14default_configENS1_38merge_sort_block_merge_config_selectorIyyEEZZNS1_27merge_sort_block_merge_implIS3_N6thrust23THRUST_200600_302600_NS6detail15normal_iteratorINS8_10device_ptrIyEEEESD_jNS1_19radix_merge_compareILb0ELb1EyNS0_19identity_decomposerEEEEE10hipError_tT0_T1_T2_jT3_P12ihipStream_tbPNSt15iterator_traitsISI_E10value_typeEPNSO_ISJ_E10value_typeEPSK_NS1_7vsmem_tEENKUlT_SI_SJ_SK_E_clIPySD_S10_SD_EESH_SX_SI_SJ_SK_EUlSX_E1_NS1_11comp_targetILNS1_3genE8ELNS1_11target_archE1030ELNS1_3gpuE2ELNS1_3repE0EEENS1_36merge_oddeven_config_static_selectorELNS0_4arch9wavefront6targetE1EEEvSJ_ ; -- Begin function _ZN7rocprim17ROCPRIM_400000_NS6detail17trampoline_kernelINS0_14default_configENS1_38merge_sort_block_merge_config_selectorIyyEEZZNS1_27merge_sort_block_merge_implIS3_N6thrust23THRUST_200600_302600_NS6detail15normal_iteratorINS8_10device_ptrIyEEEESD_jNS1_19radix_merge_compareILb0ELb1EyNS0_19identity_decomposerEEEEE10hipError_tT0_T1_T2_jT3_P12ihipStream_tbPNSt15iterator_traitsISI_E10value_typeEPNSO_ISJ_E10value_typeEPSK_NS1_7vsmem_tEENKUlT_SI_SJ_SK_E_clIPySD_S10_SD_EESH_SX_SI_SJ_SK_EUlSX_E1_NS1_11comp_targetILNS1_3genE8ELNS1_11target_archE1030ELNS1_3gpuE2ELNS1_3repE0EEENS1_36merge_oddeven_config_static_selectorELNS0_4arch9wavefront6targetE1EEEvSJ_
	.globl	_ZN7rocprim17ROCPRIM_400000_NS6detail17trampoline_kernelINS0_14default_configENS1_38merge_sort_block_merge_config_selectorIyyEEZZNS1_27merge_sort_block_merge_implIS3_N6thrust23THRUST_200600_302600_NS6detail15normal_iteratorINS8_10device_ptrIyEEEESD_jNS1_19radix_merge_compareILb0ELb1EyNS0_19identity_decomposerEEEEE10hipError_tT0_T1_T2_jT3_P12ihipStream_tbPNSt15iterator_traitsISI_E10value_typeEPNSO_ISJ_E10value_typeEPSK_NS1_7vsmem_tEENKUlT_SI_SJ_SK_E_clIPySD_S10_SD_EESH_SX_SI_SJ_SK_EUlSX_E1_NS1_11comp_targetILNS1_3genE8ELNS1_11target_archE1030ELNS1_3gpuE2ELNS1_3repE0EEENS1_36merge_oddeven_config_static_selectorELNS0_4arch9wavefront6targetE1EEEvSJ_
	.p2align	8
	.type	_ZN7rocprim17ROCPRIM_400000_NS6detail17trampoline_kernelINS0_14default_configENS1_38merge_sort_block_merge_config_selectorIyyEEZZNS1_27merge_sort_block_merge_implIS3_N6thrust23THRUST_200600_302600_NS6detail15normal_iteratorINS8_10device_ptrIyEEEESD_jNS1_19radix_merge_compareILb0ELb1EyNS0_19identity_decomposerEEEEE10hipError_tT0_T1_T2_jT3_P12ihipStream_tbPNSt15iterator_traitsISI_E10value_typeEPNSO_ISJ_E10value_typeEPSK_NS1_7vsmem_tEENKUlT_SI_SJ_SK_E_clIPySD_S10_SD_EESH_SX_SI_SJ_SK_EUlSX_E1_NS1_11comp_targetILNS1_3genE8ELNS1_11target_archE1030ELNS1_3gpuE2ELNS1_3repE0EEENS1_36merge_oddeven_config_static_selectorELNS0_4arch9wavefront6targetE1EEEvSJ_,@function
_ZN7rocprim17ROCPRIM_400000_NS6detail17trampoline_kernelINS0_14default_configENS1_38merge_sort_block_merge_config_selectorIyyEEZZNS1_27merge_sort_block_merge_implIS3_N6thrust23THRUST_200600_302600_NS6detail15normal_iteratorINS8_10device_ptrIyEEEESD_jNS1_19radix_merge_compareILb0ELb1EyNS0_19identity_decomposerEEEEE10hipError_tT0_T1_T2_jT3_P12ihipStream_tbPNSt15iterator_traitsISI_E10value_typeEPNSO_ISJ_E10value_typeEPSK_NS1_7vsmem_tEENKUlT_SI_SJ_SK_E_clIPySD_S10_SD_EESH_SX_SI_SJ_SK_EUlSX_E1_NS1_11comp_targetILNS1_3genE8ELNS1_11target_archE1030ELNS1_3gpuE2ELNS1_3repE0EEENS1_36merge_oddeven_config_static_selectorELNS0_4arch9wavefront6targetE1EEEvSJ_: ; @_ZN7rocprim17ROCPRIM_400000_NS6detail17trampoline_kernelINS0_14default_configENS1_38merge_sort_block_merge_config_selectorIyyEEZZNS1_27merge_sort_block_merge_implIS3_N6thrust23THRUST_200600_302600_NS6detail15normal_iteratorINS8_10device_ptrIyEEEESD_jNS1_19radix_merge_compareILb0ELb1EyNS0_19identity_decomposerEEEEE10hipError_tT0_T1_T2_jT3_P12ihipStream_tbPNSt15iterator_traitsISI_E10value_typeEPNSO_ISJ_E10value_typeEPSK_NS1_7vsmem_tEENKUlT_SI_SJ_SK_E_clIPySD_S10_SD_EESH_SX_SI_SJ_SK_EUlSX_E1_NS1_11comp_targetILNS1_3genE8ELNS1_11target_archE1030ELNS1_3gpuE2ELNS1_3repE0EEENS1_36merge_oddeven_config_static_selectorELNS0_4arch9wavefront6targetE1EEEvSJ_
; %bb.0:
	.section	.rodata,"a",@progbits
	.p2align	6, 0x0
	.amdhsa_kernel _ZN7rocprim17ROCPRIM_400000_NS6detail17trampoline_kernelINS0_14default_configENS1_38merge_sort_block_merge_config_selectorIyyEEZZNS1_27merge_sort_block_merge_implIS3_N6thrust23THRUST_200600_302600_NS6detail15normal_iteratorINS8_10device_ptrIyEEEESD_jNS1_19radix_merge_compareILb0ELb1EyNS0_19identity_decomposerEEEEE10hipError_tT0_T1_T2_jT3_P12ihipStream_tbPNSt15iterator_traitsISI_E10value_typeEPNSO_ISJ_E10value_typeEPSK_NS1_7vsmem_tEENKUlT_SI_SJ_SK_E_clIPySD_S10_SD_EESH_SX_SI_SJ_SK_EUlSX_E1_NS1_11comp_targetILNS1_3genE8ELNS1_11target_archE1030ELNS1_3gpuE2ELNS1_3repE0EEENS1_36merge_oddeven_config_static_selectorELNS0_4arch9wavefront6targetE1EEEvSJ_
		.amdhsa_group_segment_fixed_size 0
		.amdhsa_private_segment_fixed_size 0
		.amdhsa_kernarg_size 48
		.amdhsa_user_sgpr_count 2
		.amdhsa_user_sgpr_dispatch_ptr 0
		.amdhsa_user_sgpr_queue_ptr 0
		.amdhsa_user_sgpr_kernarg_segment_ptr 1
		.amdhsa_user_sgpr_dispatch_id 0
		.amdhsa_user_sgpr_kernarg_preload_length 0
		.amdhsa_user_sgpr_kernarg_preload_offset 0
		.amdhsa_user_sgpr_private_segment_size 0
		.amdhsa_uses_dynamic_stack 0
		.amdhsa_enable_private_segment 0
		.amdhsa_system_sgpr_workgroup_id_x 1
		.amdhsa_system_sgpr_workgroup_id_y 0
		.amdhsa_system_sgpr_workgroup_id_z 0
		.amdhsa_system_sgpr_workgroup_info 0
		.amdhsa_system_vgpr_workitem_id 0
		.amdhsa_next_free_vgpr 1
		.amdhsa_next_free_sgpr 0
		.amdhsa_accum_offset 4
		.amdhsa_reserve_vcc 0
		.amdhsa_float_round_mode_32 0
		.amdhsa_float_round_mode_16_64 0
		.amdhsa_float_denorm_mode_32 3
		.amdhsa_float_denorm_mode_16_64 3
		.amdhsa_dx10_clamp 1
		.amdhsa_ieee_mode 1
		.amdhsa_fp16_overflow 0
		.amdhsa_tg_split 0
		.amdhsa_exception_fp_ieee_invalid_op 0
		.amdhsa_exception_fp_denorm_src 0
		.amdhsa_exception_fp_ieee_div_zero 0
		.amdhsa_exception_fp_ieee_overflow 0
		.amdhsa_exception_fp_ieee_underflow 0
		.amdhsa_exception_fp_ieee_inexact 0
		.amdhsa_exception_int_div_zero 0
	.end_amdhsa_kernel
	.section	.text._ZN7rocprim17ROCPRIM_400000_NS6detail17trampoline_kernelINS0_14default_configENS1_38merge_sort_block_merge_config_selectorIyyEEZZNS1_27merge_sort_block_merge_implIS3_N6thrust23THRUST_200600_302600_NS6detail15normal_iteratorINS8_10device_ptrIyEEEESD_jNS1_19radix_merge_compareILb0ELb1EyNS0_19identity_decomposerEEEEE10hipError_tT0_T1_T2_jT3_P12ihipStream_tbPNSt15iterator_traitsISI_E10value_typeEPNSO_ISJ_E10value_typeEPSK_NS1_7vsmem_tEENKUlT_SI_SJ_SK_E_clIPySD_S10_SD_EESH_SX_SI_SJ_SK_EUlSX_E1_NS1_11comp_targetILNS1_3genE8ELNS1_11target_archE1030ELNS1_3gpuE2ELNS1_3repE0EEENS1_36merge_oddeven_config_static_selectorELNS0_4arch9wavefront6targetE1EEEvSJ_,"axG",@progbits,_ZN7rocprim17ROCPRIM_400000_NS6detail17trampoline_kernelINS0_14default_configENS1_38merge_sort_block_merge_config_selectorIyyEEZZNS1_27merge_sort_block_merge_implIS3_N6thrust23THRUST_200600_302600_NS6detail15normal_iteratorINS8_10device_ptrIyEEEESD_jNS1_19radix_merge_compareILb0ELb1EyNS0_19identity_decomposerEEEEE10hipError_tT0_T1_T2_jT3_P12ihipStream_tbPNSt15iterator_traitsISI_E10value_typeEPNSO_ISJ_E10value_typeEPSK_NS1_7vsmem_tEENKUlT_SI_SJ_SK_E_clIPySD_S10_SD_EESH_SX_SI_SJ_SK_EUlSX_E1_NS1_11comp_targetILNS1_3genE8ELNS1_11target_archE1030ELNS1_3gpuE2ELNS1_3repE0EEENS1_36merge_oddeven_config_static_selectorELNS0_4arch9wavefront6targetE1EEEvSJ_,comdat
.Lfunc_end476:
	.size	_ZN7rocprim17ROCPRIM_400000_NS6detail17trampoline_kernelINS0_14default_configENS1_38merge_sort_block_merge_config_selectorIyyEEZZNS1_27merge_sort_block_merge_implIS3_N6thrust23THRUST_200600_302600_NS6detail15normal_iteratorINS8_10device_ptrIyEEEESD_jNS1_19radix_merge_compareILb0ELb1EyNS0_19identity_decomposerEEEEE10hipError_tT0_T1_T2_jT3_P12ihipStream_tbPNSt15iterator_traitsISI_E10value_typeEPNSO_ISJ_E10value_typeEPSK_NS1_7vsmem_tEENKUlT_SI_SJ_SK_E_clIPySD_S10_SD_EESH_SX_SI_SJ_SK_EUlSX_E1_NS1_11comp_targetILNS1_3genE8ELNS1_11target_archE1030ELNS1_3gpuE2ELNS1_3repE0EEENS1_36merge_oddeven_config_static_selectorELNS0_4arch9wavefront6targetE1EEEvSJ_, .Lfunc_end476-_ZN7rocprim17ROCPRIM_400000_NS6detail17trampoline_kernelINS0_14default_configENS1_38merge_sort_block_merge_config_selectorIyyEEZZNS1_27merge_sort_block_merge_implIS3_N6thrust23THRUST_200600_302600_NS6detail15normal_iteratorINS8_10device_ptrIyEEEESD_jNS1_19radix_merge_compareILb0ELb1EyNS0_19identity_decomposerEEEEE10hipError_tT0_T1_T2_jT3_P12ihipStream_tbPNSt15iterator_traitsISI_E10value_typeEPNSO_ISJ_E10value_typeEPSK_NS1_7vsmem_tEENKUlT_SI_SJ_SK_E_clIPySD_S10_SD_EESH_SX_SI_SJ_SK_EUlSX_E1_NS1_11comp_targetILNS1_3genE8ELNS1_11target_archE1030ELNS1_3gpuE2ELNS1_3repE0EEENS1_36merge_oddeven_config_static_selectorELNS0_4arch9wavefront6targetE1EEEvSJ_
                                        ; -- End function
	.set _ZN7rocprim17ROCPRIM_400000_NS6detail17trampoline_kernelINS0_14default_configENS1_38merge_sort_block_merge_config_selectorIyyEEZZNS1_27merge_sort_block_merge_implIS3_N6thrust23THRUST_200600_302600_NS6detail15normal_iteratorINS8_10device_ptrIyEEEESD_jNS1_19radix_merge_compareILb0ELb1EyNS0_19identity_decomposerEEEEE10hipError_tT0_T1_T2_jT3_P12ihipStream_tbPNSt15iterator_traitsISI_E10value_typeEPNSO_ISJ_E10value_typeEPSK_NS1_7vsmem_tEENKUlT_SI_SJ_SK_E_clIPySD_S10_SD_EESH_SX_SI_SJ_SK_EUlSX_E1_NS1_11comp_targetILNS1_3genE8ELNS1_11target_archE1030ELNS1_3gpuE2ELNS1_3repE0EEENS1_36merge_oddeven_config_static_selectorELNS0_4arch9wavefront6targetE1EEEvSJ_.num_vgpr, 0
	.set _ZN7rocprim17ROCPRIM_400000_NS6detail17trampoline_kernelINS0_14default_configENS1_38merge_sort_block_merge_config_selectorIyyEEZZNS1_27merge_sort_block_merge_implIS3_N6thrust23THRUST_200600_302600_NS6detail15normal_iteratorINS8_10device_ptrIyEEEESD_jNS1_19radix_merge_compareILb0ELb1EyNS0_19identity_decomposerEEEEE10hipError_tT0_T1_T2_jT3_P12ihipStream_tbPNSt15iterator_traitsISI_E10value_typeEPNSO_ISJ_E10value_typeEPSK_NS1_7vsmem_tEENKUlT_SI_SJ_SK_E_clIPySD_S10_SD_EESH_SX_SI_SJ_SK_EUlSX_E1_NS1_11comp_targetILNS1_3genE8ELNS1_11target_archE1030ELNS1_3gpuE2ELNS1_3repE0EEENS1_36merge_oddeven_config_static_selectorELNS0_4arch9wavefront6targetE1EEEvSJ_.num_agpr, 0
	.set _ZN7rocprim17ROCPRIM_400000_NS6detail17trampoline_kernelINS0_14default_configENS1_38merge_sort_block_merge_config_selectorIyyEEZZNS1_27merge_sort_block_merge_implIS3_N6thrust23THRUST_200600_302600_NS6detail15normal_iteratorINS8_10device_ptrIyEEEESD_jNS1_19radix_merge_compareILb0ELb1EyNS0_19identity_decomposerEEEEE10hipError_tT0_T1_T2_jT3_P12ihipStream_tbPNSt15iterator_traitsISI_E10value_typeEPNSO_ISJ_E10value_typeEPSK_NS1_7vsmem_tEENKUlT_SI_SJ_SK_E_clIPySD_S10_SD_EESH_SX_SI_SJ_SK_EUlSX_E1_NS1_11comp_targetILNS1_3genE8ELNS1_11target_archE1030ELNS1_3gpuE2ELNS1_3repE0EEENS1_36merge_oddeven_config_static_selectorELNS0_4arch9wavefront6targetE1EEEvSJ_.numbered_sgpr, 0
	.set _ZN7rocprim17ROCPRIM_400000_NS6detail17trampoline_kernelINS0_14default_configENS1_38merge_sort_block_merge_config_selectorIyyEEZZNS1_27merge_sort_block_merge_implIS3_N6thrust23THRUST_200600_302600_NS6detail15normal_iteratorINS8_10device_ptrIyEEEESD_jNS1_19radix_merge_compareILb0ELb1EyNS0_19identity_decomposerEEEEE10hipError_tT0_T1_T2_jT3_P12ihipStream_tbPNSt15iterator_traitsISI_E10value_typeEPNSO_ISJ_E10value_typeEPSK_NS1_7vsmem_tEENKUlT_SI_SJ_SK_E_clIPySD_S10_SD_EESH_SX_SI_SJ_SK_EUlSX_E1_NS1_11comp_targetILNS1_3genE8ELNS1_11target_archE1030ELNS1_3gpuE2ELNS1_3repE0EEENS1_36merge_oddeven_config_static_selectorELNS0_4arch9wavefront6targetE1EEEvSJ_.num_named_barrier, 0
	.set _ZN7rocprim17ROCPRIM_400000_NS6detail17trampoline_kernelINS0_14default_configENS1_38merge_sort_block_merge_config_selectorIyyEEZZNS1_27merge_sort_block_merge_implIS3_N6thrust23THRUST_200600_302600_NS6detail15normal_iteratorINS8_10device_ptrIyEEEESD_jNS1_19radix_merge_compareILb0ELb1EyNS0_19identity_decomposerEEEEE10hipError_tT0_T1_T2_jT3_P12ihipStream_tbPNSt15iterator_traitsISI_E10value_typeEPNSO_ISJ_E10value_typeEPSK_NS1_7vsmem_tEENKUlT_SI_SJ_SK_E_clIPySD_S10_SD_EESH_SX_SI_SJ_SK_EUlSX_E1_NS1_11comp_targetILNS1_3genE8ELNS1_11target_archE1030ELNS1_3gpuE2ELNS1_3repE0EEENS1_36merge_oddeven_config_static_selectorELNS0_4arch9wavefront6targetE1EEEvSJ_.private_seg_size, 0
	.set _ZN7rocprim17ROCPRIM_400000_NS6detail17trampoline_kernelINS0_14default_configENS1_38merge_sort_block_merge_config_selectorIyyEEZZNS1_27merge_sort_block_merge_implIS3_N6thrust23THRUST_200600_302600_NS6detail15normal_iteratorINS8_10device_ptrIyEEEESD_jNS1_19radix_merge_compareILb0ELb1EyNS0_19identity_decomposerEEEEE10hipError_tT0_T1_T2_jT3_P12ihipStream_tbPNSt15iterator_traitsISI_E10value_typeEPNSO_ISJ_E10value_typeEPSK_NS1_7vsmem_tEENKUlT_SI_SJ_SK_E_clIPySD_S10_SD_EESH_SX_SI_SJ_SK_EUlSX_E1_NS1_11comp_targetILNS1_3genE8ELNS1_11target_archE1030ELNS1_3gpuE2ELNS1_3repE0EEENS1_36merge_oddeven_config_static_selectorELNS0_4arch9wavefront6targetE1EEEvSJ_.uses_vcc, 0
	.set _ZN7rocprim17ROCPRIM_400000_NS6detail17trampoline_kernelINS0_14default_configENS1_38merge_sort_block_merge_config_selectorIyyEEZZNS1_27merge_sort_block_merge_implIS3_N6thrust23THRUST_200600_302600_NS6detail15normal_iteratorINS8_10device_ptrIyEEEESD_jNS1_19radix_merge_compareILb0ELb1EyNS0_19identity_decomposerEEEEE10hipError_tT0_T1_T2_jT3_P12ihipStream_tbPNSt15iterator_traitsISI_E10value_typeEPNSO_ISJ_E10value_typeEPSK_NS1_7vsmem_tEENKUlT_SI_SJ_SK_E_clIPySD_S10_SD_EESH_SX_SI_SJ_SK_EUlSX_E1_NS1_11comp_targetILNS1_3genE8ELNS1_11target_archE1030ELNS1_3gpuE2ELNS1_3repE0EEENS1_36merge_oddeven_config_static_selectorELNS0_4arch9wavefront6targetE1EEEvSJ_.uses_flat_scratch, 0
	.set _ZN7rocprim17ROCPRIM_400000_NS6detail17trampoline_kernelINS0_14default_configENS1_38merge_sort_block_merge_config_selectorIyyEEZZNS1_27merge_sort_block_merge_implIS3_N6thrust23THRUST_200600_302600_NS6detail15normal_iteratorINS8_10device_ptrIyEEEESD_jNS1_19radix_merge_compareILb0ELb1EyNS0_19identity_decomposerEEEEE10hipError_tT0_T1_T2_jT3_P12ihipStream_tbPNSt15iterator_traitsISI_E10value_typeEPNSO_ISJ_E10value_typeEPSK_NS1_7vsmem_tEENKUlT_SI_SJ_SK_E_clIPySD_S10_SD_EESH_SX_SI_SJ_SK_EUlSX_E1_NS1_11comp_targetILNS1_3genE8ELNS1_11target_archE1030ELNS1_3gpuE2ELNS1_3repE0EEENS1_36merge_oddeven_config_static_selectorELNS0_4arch9wavefront6targetE1EEEvSJ_.has_dyn_sized_stack, 0
	.set _ZN7rocprim17ROCPRIM_400000_NS6detail17trampoline_kernelINS0_14default_configENS1_38merge_sort_block_merge_config_selectorIyyEEZZNS1_27merge_sort_block_merge_implIS3_N6thrust23THRUST_200600_302600_NS6detail15normal_iteratorINS8_10device_ptrIyEEEESD_jNS1_19radix_merge_compareILb0ELb1EyNS0_19identity_decomposerEEEEE10hipError_tT0_T1_T2_jT3_P12ihipStream_tbPNSt15iterator_traitsISI_E10value_typeEPNSO_ISJ_E10value_typeEPSK_NS1_7vsmem_tEENKUlT_SI_SJ_SK_E_clIPySD_S10_SD_EESH_SX_SI_SJ_SK_EUlSX_E1_NS1_11comp_targetILNS1_3genE8ELNS1_11target_archE1030ELNS1_3gpuE2ELNS1_3repE0EEENS1_36merge_oddeven_config_static_selectorELNS0_4arch9wavefront6targetE1EEEvSJ_.has_recursion, 0
	.set _ZN7rocprim17ROCPRIM_400000_NS6detail17trampoline_kernelINS0_14default_configENS1_38merge_sort_block_merge_config_selectorIyyEEZZNS1_27merge_sort_block_merge_implIS3_N6thrust23THRUST_200600_302600_NS6detail15normal_iteratorINS8_10device_ptrIyEEEESD_jNS1_19radix_merge_compareILb0ELb1EyNS0_19identity_decomposerEEEEE10hipError_tT0_T1_T2_jT3_P12ihipStream_tbPNSt15iterator_traitsISI_E10value_typeEPNSO_ISJ_E10value_typeEPSK_NS1_7vsmem_tEENKUlT_SI_SJ_SK_E_clIPySD_S10_SD_EESH_SX_SI_SJ_SK_EUlSX_E1_NS1_11comp_targetILNS1_3genE8ELNS1_11target_archE1030ELNS1_3gpuE2ELNS1_3repE0EEENS1_36merge_oddeven_config_static_selectorELNS0_4arch9wavefront6targetE1EEEvSJ_.has_indirect_call, 0
	.section	.AMDGPU.csdata,"",@progbits
; Kernel info:
; codeLenInByte = 0
; TotalNumSgprs: 6
; NumVgprs: 0
; NumAgprs: 0
; TotalNumVgprs: 0
; ScratchSize: 0
; MemoryBound: 0
; FloatMode: 240
; IeeeMode: 1
; LDSByteSize: 0 bytes/workgroup (compile time only)
; SGPRBlocks: 0
; VGPRBlocks: 0
; NumSGPRsForWavesPerEU: 6
; NumVGPRsForWavesPerEU: 1
; AccumOffset: 4
; Occupancy: 8
; WaveLimiterHint : 0
; COMPUTE_PGM_RSRC2:SCRATCH_EN: 0
; COMPUTE_PGM_RSRC2:USER_SGPR: 2
; COMPUTE_PGM_RSRC2:TRAP_HANDLER: 0
; COMPUTE_PGM_RSRC2:TGID_X_EN: 1
; COMPUTE_PGM_RSRC2:TGID_Y_EN: 0
; COMPUTE_PGM_RSRC2:TGID_Z_EN: 0
; COMPUTE_PGM_RSRC2:TIDIG_COMP_CNT: 0
; COMPUTE_PGM_RSRC3_GFX90A:ACCUM_OFFSET: 0
; COMPUTE_PGM_RSRC3_GFX90A:TG_SPLIT: 0
	.section	.text._ZN7rocprim17ROCPRIM_400000_NS6detail17trampoline_kernelINS0_14default_configENS1_38merge_sort_block_merge_config_selectorIyyEEZZNS1_27merge_sort_block_merge_implIS3_N6thrust23THRUST_200600_302600_NS6detail15normal_iteratorINS8_10device_ptrIyEEEESD_jNS1_19radix_merge_compareILb0ELb1EyNS0_19identity_decomposerEEEEE10hipError_tT0_T1_T2_jT3_P12ihipStream_tbPNSt15iterator_traitsISI_E10value_typeEPNSO_ISJ_E10value_typeEPSK_NS1_7vsmem_tEENKUlT_SI_SJ_SK_E_clISD_PySD_S10_EESH_SX_SI_SJ_SK_EUlSX_E_NS1_11comp_targetILNS1_3genE0ELNS1_11target_archE4294967295ELNS1_3gpuE0ELNS1_3repE0EEENS1_48merge_mergepath_partition_config_static_selectorELNS0_4arch9wavefront6targetE1EEEvSJ_,"axG",@progbits,_ZN7rocprim17ROCPRIM_400000_NS6detail17trampoline_kernelINS0_14default_configENS1_38merge_sort_block_merge_config_selectorIyyEEZZNS1_27merge_sort_block_merge_implIS3_N6thrust23THRUST_200600_302600_NS6detail15normal_iteratorINS8_10device_ptrIyEEEESD_jNS1_19radix_merge_compareILb0ELb1EyNS0_19identity_decomposerEEEEE10hipError_tT0_T1_T2_jT3_P12ihipStream_tbPNSt15iterator_traitsISI_E10value_typeEPNSO_ISJ_E10value_typeEPSK_NS1_7vsmem_tEENKUlT_SI_SJ_SK_E_clISD_PySD_S10_EESH_SX_SI_SJ_SK_EUlSX_E_NS1_11comp_targetILNS1_3genE0ELNS1_11target_archE4294967295ELNS1_3gpuE0ELNS1_3repE0EEENS1_48merge_mergepath_partition_config_static_selectorELNS0_4arch9wavefront6targetE1EEEvSJ_,comdat
	.protected	_ZN7rocprim17ROCPRIM_400000_NS6detail17trampoline_kernelINS0_14default_configENS1_38merge_sort_block_merge_config_selectorIyyEEZZNS1_27merge_sort_block_merge_implIS3_N6thrust23THRUST_200600_302600_NS6detail15normal_iteratorINS8_10device_ptrIyEEEESD_jNS1_19radix_merge_compareILb0ELb1EyNS0_19identity_decomposerEEEEE10hipError_tT0_T1_T2_jT3_P12ihipStream_tbPNSt15iterator_traitsISI_E10value_typeEPNSO_ISJ_E10value_typeEPSK_NS1_7vsmem_tEENKUlT_SI_SJ_SK_E_clISD_PySD_S10_EESH_SX_SI_SJ_SK_EUlSX_E_NS1_11comp_targetILNS1_3genE0ELNS1_11target_archE4294967295ELNS1_3gpuE0ELNS1_3repE0EEENS1_48merge_mergepath_partition_config_static_selectorELNS0_4arch9wavefront6targetE1EEEvSJ_ ; -- Begin function _ZN7rocprim17ROCPRIM_400000_NS6detail17trampoline_kernelINS0_14default_configENS1_38merge_sort_block_merge_config_selectorIyyEEZZNS1_27merge_sort_block_merge_implIS3_N6thrust23THRUST_200600_302600_NS6detail15normal_iteratorINS8_10device_ptrIyEEEESD_jNS1_19radix_merge_compareILb0ELb1EyNS0_19identity_decomposerEEEEE10hipError_tT0_T1_T2_jT3_P12ihipStream_tbPNSt15iterator_traitsISI_E10value_typeEPNSO_ISJ_E10value_typeEPSK_NS1_7vsmem_tEENKUlT_SI_SJ_SK_E_clISD_PySD_S10_EESH_SX_SI_SJ_SK_EUlSX_E_NS1_11comp_targetILNS1_3genE0ELNS1_11target_archE4294967295ELNS1_3gpuE0ELNS1_3repE0EEENS1_48merge_mergepath_partition_config_static_selectorELNS0_4arch9wavefront6targetE1EEEvSJ_
	.globl	_ZN7rocprim17ROCPRIM_400000_NS6detail17trampoline_kernelINS0_14default_configENS1_38merge_sort_block_merge_config_selectorIyyEEZZNS1_27merge_sort_block_merge_implIS3_N6thrust23THRUST_200600_302600_NS6detail15normal_iteratorINS8_10device_ptrIyEEEESD_jNS1_19radix_merge_compareILb0ELb1EyNS0_19identity_decomposerEEEEE10hipError_tT0_T1_T2_jT3_P12ihipStream_tbPNSt15iterator_traitsISI_E10value_typeEPNSO_ISJ_E10value_typeEPSK_NS1_7vsmem_tEENKUlT_SI_SJ_SK_E_clISD_PySD_S10_EESH_SX_SI_SJ_SK_EUlSX_E_NS1_11comp_targetILNS1_3genE0ELNS1_11target_archE4294967295ELNS1_3gpuE0ELNS1_3repE0EEENS1_48merge_mergepath_partition_config_static_selectorELNS0_4arch9wavefront6targetE1EEEvSJ_
	.p2align	8
	.type	_ZN7rocprim17ROCPRIM_400000_NS6detail17trampoline_kernelINS0_14default_configENS1_38merge_sort_block_merge_config_selectorIyyEEZZNS1_27merge_sort_block_merge_implIS3_N6thrust23THRUST_200600_302600_NS6detail15normal_iteratorINS8_10device_ptrIyEEEESD_jNS1_19radix_merge_compareILb0ELb1EyNS0_19identity_decomposerEEEEE10hipError_tT0_T1_T2_jT3_P12ihipStream_tbPNSt15iterator_traitsISI_E10value_typeEPNSO_ISJ_E10value_typeEPSK_NS1_7vsmem_tEENKUlT_SI_SJ_SK_E_clISD_PySD_S10_EESH_SX_SI_SJ_SK_EUlSX_E_NS1_11comp_targetILNS1_3genE0ELNS1_11target_archE4294967295ELNS1_3gpuE0ELNS1_3repE0EEENS1_48merge_mergepath_partition_config_static_selectorELNS0_4arch9wavefront6targetE1EEEvSJ_,@function
_ZN7rocprim17ROCPRIM_400000_NS6detail17trampoline_kernelINS0_14default_configENS1_38merge_sort_block_merge_config_selectorIyyEEZZNS1_27merge_sort_block_merge_implIS3_N6thrust23THRUST_200600_302600_NS6detail15normal_iteratorINS8_10device_ptrIyEEEESD_jNS1_19radix_merge_compareILb0ELb1EyNS0_19identity_decomposerEEEEE10hipError_tT0_T1_T2_jT3_P12ihipStream_tbPNSt15iterator_traitsISI_E10value_typeEPNSO_ISJ_E10value_typeEPSK_NS1_7vsmem_tEENKUlT_SI_SJ_SK_E_clISD_PySD_S10_EESH_SX_SI_SJ_SK_EUlSX_E_NS1_11comp_targetILNS1_3genE0ELNS1_11target_archE4294967295ELNS1_3gpuE0ELNS1_3repE0EEENS1_48merge_mergepath_partition_config_static_selectorELNS0_4arch9wavefront6targetE1EEEvSJ_: ; @_ZN7rocprim17ROCPRIM_400000_NS6detail17trampoline_kernelINS0_14default_configENS1_38merge_sort_block_merge_config_selectorIyyEEZZNS1_27merge_sort_block_merge_implIS3_N6thrust23THRUST_200600_302600_NS6detail15normal_iteratorINS8_10device_ptrIyEEEESD_jNS1_19radix_merge_compareILb0ELb1EyNS0_19identity_decomposerEEEEE10hipError_tT0_T1_T2_jT3_P12ihipStream_tbPNSt15iterator_traitsISI_E10value_typeEPNSO_ISJ_E10value_typeEPSK_NS1_7vsmem_tEENKUlT_SI_SJ_SK_E_clISD_PySD_S10_EESH_SX_SI_SJ_SK_EUlSX_E_NS1_11comp_targetILNS1_3genE0ELNS1_11target_archE4294967295ELNS1_3gpuE0ELNS1_3repE0EEENS1_48merge_mergepath_partition_config_static_selectorELNS0_4arch9wavefront6targetE1EEEvSJ_
; %bb.0:
	s_load_dword s3, s[0:1], 0x0
	v_lshl_or_b32 v0, s2, 7, v0
	s_waitcnt lgkmcnt(0)
	v_cmp_gt_u32_e32 vcc, s3, v0
	s_and_saveexec_b64 s[2:3], vcc
	s_cbranch_execz .LBB477_6
; %bb.1:
	s_load_dwordx2 s[2:3], s[0:1], 0x4
	s_load_dwordx4 s[4:7], s[0:1], 0x18
	s_waitcnt lgkmcnt(0)
	s_lshr_b32 s8, s2, 9
	s_and_b32 s8, s8, 0x7ffffe
	s_add_i32 s9, s8, -1
	s_sub_i32 s8, 0, s8
	v_and_b32_e32 v1, s8, v0
	v_lshlrev_b32_e32 v1, 10, v1
	v_min_u32_e32 v2, s3, v1
	v_add_u32_e32 v1, s2, v1
	v_min_u32_e32 v4, s3, v1
	v_add_u32_e32 v1, s2, v4
	v_and_b32_e32 v3, s9, v0
	v_min_u32_e32 v1, s3, v1
	v_sub_u32_e32 v5, v1, v2
	v_lshlrev_b32_e32 v3, 10, v3
	v_min_u32_e32 v10, v5, v3
	v_sub_u32_e32 v3, v4, v2
	v_sub_u32_e32 v1, v1, v4
	v_sub_u32_e64 v1, v10, v1 clamp
	v_min_u32_e32 v11, v10, v3
	v_cmp_lt_u32_e32 vcc, v1, v11
	s_and_saveexec_b64 s[2:3], vcc
	s_cbranch_execz .LBB477_5
; %bb.2:
	s_load_dwordx2 s[0:1], s[0:1], 0x10
	v_mov_b32_e32 v5, 0
	v_mov_b32_e32 v3, v5
	s_waitcnt lgkmcnt(0)
	v_lshl_add_u64 v[6:7], v[2:3], 3, s[0:1]
	v_lshl_add_u64 v[8:9], v[4:5], 3, s[0:1]
	s_mov_b64 s[0:1], 0
.LBB477_3:                              ; =>This Inner Loop Header: Depth=1
	v_add_u32_e32 v3, v11, v1
	v_lshrrev_b32_e32 v4, 1, v3
	v_mov_b32_e32 v13, v5
	v_xad_u32 v12, v4, -1, v10
	v_lshl_add_u64 v[14:15], v[4:5], 3, v[6:7]
	v_lshl_add_u64 v[12:13], v[12:13], 3, v[8:9]
	flat_load_dwordx2 v[14:15], v[14:15]
	v_add_u32_e32 v3, 1, v4
	flat_load_dwordx2 v[12:13], v[12:13]
	s_waitcnt vmcnt(0) lgkmcnt(0)
	v_and_b32_e32 v15, s5, v15
	v_and_b32_e32 v14, s4, v14
	;; [unrolled: 1-line block ×4, first 2 shown]
	v_cmp_gt_u64_e32 vcc, v[14:15], v[12:13]
	s_nop 1
	v_cndmask_b32_e32 v11, v11, v4, vcc
	v_cndmask_b32_e32 v1, v3, v1, vcc
	v_cmp_ge_u32_e32 vcc, v1, v11
	s_or_b64 s[0:1], vcc, s[0:1]
	s_andn2_b64 exec, exec, s[0:1]
	s_cbranch_execnz .LBB477_3
; %bb.4:
	s_or_b64 exec, exec, s[0:1]
.LBB477_5:
	s_or_b64 exec, exec, s[2:3]
	v_mov_b32_e32 v4, s6
	v_mov_b32_e32 v5, s7
	v_add_u32_e32 v2, v1, v2
	v_mov_b32_e32 v1, 0
	v_lshl_add_u64 v[0:1], v[0:1], 2, v[4:5]
	global_store_dword v[0:1], v2, off
.LBB477_6:
	s_endpgm
	.section	.rodata,"a",@progbits
	.p2align	6, 0x0
	.amdhsa_kernel _ZN7rocprim17ROCPRIM_400000_NS6detail17trampoline_kernelINS0_14default_configENS1_38merge_sort_block_merge_config_selectorIyyEEZZNS1_27merge_sort_block_merge_implIS3_N6thrust23THRUST_200600_302600_NS6detail15normal_iteratorINS8_10device_ptrIyEEEESD_jNS1_19radix_merge_compareILb0ELb1EyNS0_19identity_decomposerEEEEE10hipError_tT0_T1_T2_jT3_P12ihipStream_tbPNSt15iterator_traitsISI_E10value_typeEPNSO_ISJ_E10value_typeEPSK_NS1_7vsmem_tEENKUlT_SI_SJ_SK_E_clISD_PySD_S10_EESH_SX_SI_SJ_SK_EUlSX_E_NS1_11comp_targetILNS1_3genE0ELNS1_11target_archE4294967295ELNS1_3gpuE0ELNS1_3repE0EEENS1_48merge_mergepath_partition_config_static_selectorELNS0_4arch9wavefront6targetE1EEEvSJ_
		.amdhsa_group_segment_fixed_size 0
		.amdhsa_private_segment_fixed_size 0
		.amdhsa_kernarg_size 40
		.amdhsa_user_sgpr_count 2
		.amdhsa_user_sgpr_dispatch_ptr 0
		.amdhsa_user_sgpr_queue_ptr 0
		.amdhsa_user_sgpr_kernarg_segment_ptr 1
		.amdhsa_user_sgpr_dispatch_id 0
		.amdhsa_user_sgpr_kernarg_preload_length 0
		.amdhsa_user_sgpr_kernarg_preload_offset 0
		.amdhsa_user_sgpr_private_segment_size 0
		.amdhsa_uses_dynamic_stack 0
		.amdhsa_enable_private_segment 0
		.amdhsa_system_sgpr_workgroup_id_x 1
		.amdhsa_system_sgpr_workgroup_id_y 0
		.amdhsa_system_sgpr_workgroup_id_z 0
		.amdhsa_system_sgpr_workgroup_info 0
		.amdhsa_system_vgpr_workitem_id 0
		.amdhsa_next_free_vgpr 16
		.amdhsa_next_free_sgpr 10
		.amdhsa_accum_offset 16
		.amdhsa_reserve_vcc 1
		.amdhsa_float_round_mode_32 0
		.amdhsa_float_round_mode_16_64 0
		.amdhsa_float_denorm_mode_32 3
		.amdhsa_float_denorm_mode_16_64 3
		.amdhsa_dx10_clamp 1
		.amdhsa_ieee_mode 1
		.amdhsa_fp16_overflow 0
		.amdhsa_tg_split 0
		.amdhsa_exception_fp_ieee_invalid_op 0
		.amdhsa_exception_fp_denorm_src 0
		.amdhsa_exception_fp_ieee_div_zero 0
		.amdhsa_exception_fp_ieee_overflow 0
		.amdhsa_exception_fp_ieee_underflow 0
		.amdhsa_exception_fp_ieee_inexact 0
		.amdhsa_exception_int_div_zero 0
	.end_amdhsa_kernel
	.section	.text._ZN7rocprim17ROCPRIM_400000_NS6detail17trampoline_kernelINS0_14default_configENS1_38merge_sort_block_merge_config_selectorIyyEEZZNS1_27merge_sort_block_merge_implIS3_N6thrust23THRUST_200600_302600_NS6detail15normal_iteratorINS8_10device_ptrIyEEEESD_jNS1_19radix_merge_compareILb0ELb1EyNS0_19identity_decomposerEEEEE10hipError_tT0_T1_T2_jT3_P12ihipStream_tbPNSt15iterator_traitsISI_E10value_typeEPNSO_ISJ_E10value_typeEPSK_NS1_7vsmem_tEENKUlT_SI_SJ_SK_E_clISD_PySD_S10_EESH_SX_SI_SJ_SK_EUlSX_E_NS1_11comp_targetILNS1_3genE0ELNS1_11target_archE4294967295ELNS1_3gpuE0ELNS1_3repE0EEENS1_48merge_mergepath_partition_config_static_selectorELNS0_4arch9wavefront6targetE1EEEvSJ_,"axG",@progbits,_ZN7rocprim17ROCPRIM_400000_NS6detail17trampoline_kernelINS0_14default_configENS1_38merge_sort_block_merge_config_selectorIyyEEZZNS1_27merge_sort_block_merge_implIS3_N6thrust23THRUST_200600_302600_NS6detail15normal_iteratorINS8_10device_ptrIyEEEESD_jNS1_19radix_merge_compareILb0ELb1EyNS0_19identity_decomposerEEEEE10hipError_tT0_T1_T2_jT3_P12ihipStream_tbPNSt15iterator_traitsISI_E10value_typeEPNSO_ISJ_E10value_typeEPSK_NS1_7vsmem_tEENKUlT_SI_SJ_SK_E_clISD_PySD_S10_EESH_SX_SI_SJ_SK_EUlSX_E_NS1_11comp_targetILNS1_3genE0ELNS1_11target_archE4294967295ELNS1_3gpuE0ELNS1_3repE0EEENS1_48merge_mergepath_partition_config_static_selectorELNS0_4arch9wavefront6targetE1EEEvSJ_,comdat
.Lfunc_end477:
	.size	_ZN7rocprim17ROCPRIM_400000_NS6detail17trampoline_kernelINS0_14default_configENS1_38merge_sort_block_merge_config_selectorIyyEEZZNS1_27merge_sort_block_merge_implIS3_N6thrust23THRUST_200600_302600_NS6detail15normal_iteratorINS8_10device_ptrIyEEEESD_jNS1_19radix_merge_compareILb0ELb1EyNS0_19identity_decomposerEEEEE10hipError_tT0_T1_T2_jT3_P12ihipStream_tbPNSt15iterator_traitsISI_E10value_typeEPNSO_ISJ_E10value_typeEPSK_NS1_7vsmem_tEENKUlT_SI_SJ_SK_E_clISD_PySD_S10_EESH_SX_SI_SJ_SK_EUlSX_E_NS1_11comp_targetILNS1_3genE0ELNS1_11target_archE4294967295ELNS1_3gpuE0ELNS1_3repE0EEENS1_48merge_mergepath_partition_config_static_selectorELNS0_4arch9wavefront6targetE1EEEvSJ_, .Lfunc_end477-_ZN7rocprim17ROCPRIM_400000_NS6detail17trampoline_kernelINS0_14default_configENS1_38merge_sort_block_merge_config_selectorIyyEEZZNS1_27merge_sort_block_merge_implIS3_N6thrust23THRUST_200600_302600_NS6detail15normal_iteratorINS8_10device_ptrIyEEEESD_jNS1_19radix_merge_compareILb0ELb1EyNS0_19identity_decomposerEEEEE10hipError_tT0_T1_T2_jT3_P12ihipStream_tbPNSt15iterator_traitsISI_E10value_typeEPNSO_ISJ_E10value_typeEPSK_NS1_7vsmem_tEENKUlT_SI_SJ_SK_E_clISD_PySD_S10_EESH_SX_SI_SJ_SK_EUlSX_E_NS1_11comp_targetILNS1_3genE0ELNS1_11target_archE4294967295ELNS1_3gpuE0ELNS1_3repE0EEENS1_48merge_mergepath_partition_config_static_selectorELNS0_4arch9wavefront6targetE1EEEvSJ_
                                        ; -- End function
	.set _ZN7rocprim17ROCPRIM_400000_NS6detail17trampoline_kernelINS0_14default_configENS1_38merge_sort_block_merge_config_selectorIyyEEZZNS1_27merge_sort_block_merge_implIS3_N6thrust23THRUST_200600_302600_NS6detail15normal_iteratorINS8_10device_ptrIyEEEESD_jNS1_19radix_merge_compareILb0ELb1EyNS0_19identity_decomposerEEEEE10hipError_tT0_T1_T2_jT3_P12ihipStream_tbPNSt15iterator_traitsISI_E10value_typeEPNSO_ISJ_E10value_typeEPSK_NS1_7vsmem_tEENKUlT_SI_SJ_SK_E_clISD_PySD_S10_EESH_SX_SI_SJ_SK_EUlSX_E_NS1_11comp_targetILNS1_3genE0ELNS1_11target_archE4294967295ELNS1_3gpuE0ELNS1_3repE0EEENS1_48merge_mergepath_partition_config_static_selectorELNS0_4arch9wavefront6targetE1EEEvSJ_.num_vgpr, 16
	.set _ZN7rocprim17ROCPRIM_400000_NS6detail17trampoline_kernelINS0_14default_configENS1_38merge_sort_block_merge_config_selectorIyyEEZZNS1_27merge_sort_block_merge_implIS3_N6thrust23THRUST_200600_302600_NS6detail15normal_iteratorINS8_10device_ptrIyEEEESD_jNS1_19radix_merge_compareILb0ELb1EyNS0_19identity_decomposerEEEEE10hipError_tT0_T1_T2_jT3_P12ihipStream_tbPNSt15iterator_traitsISI_E10value_typeEPNSO_ISJ_E10value_typeEPSK_NS1_7vsmem_tEENKUlT_SI_SJ_SK_E_clISD_PySD_S10_EESH_SX_SI_SJ_SK_EUlSX_E_NS1_11comp_targetILNS1_3genE0ELNS1_11target_archE4294967295ELNS1_3gpuE0ELNS1_3repE0EEENS1_48merge_mergepath_partition_config_static_selectorELNS0_4arch9wavefront6targetE1EEEvSJ_.num_agpr, 0
	.set _ZN7rocprim17ROCPRIM_400000_NS6detail17trampoline_kernelINS0_14default_configENS1_38merge_sort_block_merge_config_selectorIyyEEZZNS1_27merge_sort_block_merge_implIS3_N6thrust23THRUST_200600_302600_NS6detail15normal_iteratorINS8_10device_ptrIyEEEESD_jNS1_19radix_merge_compareILb0ELb1EyNS0_19identity_decomposerEEEEE10hipError_tT0_T1_T2_jT3_P12ihipStream_tbPNSt15iterator_traitsISI_E10value_typeEPNSO_ISJ_E10value_typeEPSK_NS1_7vsmem_tEENKUlT_SI_SJ_SK_E_clISD_PySD_S10_EESH_SX_SI_SJ_SK_EUlSX_E_NS1_11comp_targetILNS1_3genE0ELNS1_11target_archE4294967295ELNS1_3gpuE0ELNS1_3repE0EEENS1_48merge_mergepath_partition_config_static_selectorELNS0_4arch9wavefront6targetE1EEEvSJ_.numbered_sgpr, 10
	.set _ZN7rocprim17ROCPRIM_400000_NS6detail17trampoline_kernelINS0_14default_configENS1_38merge_sort_block_merge_config_selectorIyyEEZZNS1_27merge_sort_block_merge_implIS3_N6thrust23THRUST_200600_302600_NS6detail15normal_iteratorINS8_10device_ptrIyEEEESD_jNS1_19radix_merge_compareILb0ELb1EyNS0_19identity_decomposerEEEEE10hipError_tT0_T1_T2_jT3_P12ihipStream_tbPNSt15iterator_traitsISI_E10value_typeEPNSO_ISJ_E10value_typeEPSK_NS1_7vsmem_tEENKUlT_SI_SJ_SK_E_clISD_PySD_S10_EESH_SX_SI_SJ_SK_EUlSX_E_NS1_11comp_targetILNS1_3genE0ELNS1_11target_archE4294967295ELNS1_3gpuE0ELNS1_3repE0EEENS1_48merge_mergepath_partition_config_static_selectorELNS0_4arch9wavefront6targetE1EEEvSJ_.num_named_barrier, 0
	.set _ZN7rocprim17ROCPRIM_400000_NS6detail17trampoline_kernelINS0_14default_configENS1_38merge_sort_block_merge_config_selectorIyyEEZZNS1_27merge_sort_block_merge_implIS3_N6thrust23THRUST_200600_302600_NS6detail15normal_iteratorINS8_10device_ptrIyEEEESD_jNS1_19radix_merge_compareILb0ELb1EyNS0_19identity_decomposerEEEEE10hipError_tT0_T1_T2_jT3_P12ihipStream_tbPNSt15iterator_traitsISI_E10value_typeEPNSO_ISJ_E10value_typeEPSK_NS1_7vsmem_tEENKUlT_SI_SJ_SK_E_clISD_PySD_S10_EESH_SX_SI_SJ_SK_EUlSX_E_NS1_11comp_targetILNS1_3genE0ELNS1_11target_archE4294967295ELNS1_3gpuE0ELNS1_3repE0EEENS1_48merge_mergepath_partition_config_static_selectorELNS0_4arch9wavefront6targetE1EEEvSJ_.private_seg_size, 0
	.set _ZN7rocprim17ROCPRIM_400000_NS6detail17trampoline_kernelINS0_14default_configENS1_38merge_sort_block_merge_config_selectorIyyEEZZNS1_27merge_sort_block_merge_implIS3_N6thrust23THRUST_200600_302600_NS6detail15normal_iteratorINS8_10device_ptrIyEEEESD_jNS1_19radix_merge_compareILb0ELb1EyNS0_19identity_decomposerEEEEE10hipError_tT0_T1_T2_jT3_P12ihipStream_tbPNSt15iterator_traitsISI_E10value_typeEPNSO_ISJ_E10value_typeEPSK_NS1_7vsmem_tEENKUlT_SI_SJ_SK_E_clISD_PySD_S10_EESH_SX_SI_SJ_SK_EUlSX_E_NS1_11comp_targetILNS1_3genE0ELNS1_11target_archE4294967295ELNS1_3gpuE0ELNS1_3repE0EEENS1_48merge_mergepath_partition_config_static_selectorELNS0_4arch9wavefront6targetE1EEEvSJ_.uses_vcc, 1
	.set _ZN7rocprim17ROCPRIM_400000_NS6detail17trampoline_kernelINS0_14default_configENS1_38merge_sort_block_merge_config_selectorIyyEEZZNS1_27merge_sort_block_merge_implIS3_N6thrust23THRUST_200600_302600_NS6detail15normal_iteratorINS8_10device_ptrIyEEEESD_jNS1_19radix_merge_compareILb0ELb1EyNS0_19identity_decomposerEEEEE10hipError_tT0_T1_T2_jT3_P12ihipStream_tbPNSt15iterator_traitsISI_E10value_typeEPNSO_ISJ_E10value_typeEPSK_NS1_7vsmem_tEENKUlT_SI_SJ_SK_E_clISD_PySD_S10_EESH_SX_SI_SJ_SK_EUlSX_E_NS1_11comp_targetILNS1_3genE0ELNS1_11target_archE4294967295ELNS1_3gpuE0ELNS1_3repE0EEENS1_48merge_mergepath_partition_config_static_selectorELNS0_4arch9wavefront6targetE1EEEvSJ_.uses_flat_scratch, 0
	.set _ZN7rocprim17ROCPRIM_400000_NS6detail17trampoline_kernelINS0_14default_configENS1_38merge_sort_block_merge_config_selectorIyyEEZZNS1_27merge_sort_block_merge_implIS3_N6thrust23THRUST_200600_302600_NS6detail15normal_iteratorINS8_10device_ptrIyEEEESD_jNS1_19radix_merge_compareILb0ELb1EyNS0_19identity_decomposerEEEEE10hipError_tT0_T1_T2_jT3_P12ihipStream_tbPNSt15iterator_traitsISI_E10value_typeEPNSO_ISJ_E10value_typeEPSK_NS1_7vsmem_tEENKUlT_SI_SJ_SK_E_clISD_PySD_S10_EESH_SX_SI_SJ_SK_EUlSX_E_NS1_11comp_targetILNS1_3genE0ELNS1_11target_archE4294967295ELNS1_3gpuE0ELNS1_3repE0EEENS1_48merge_mergepath_partition_config_static_selectorELNS0_4arch9wavefront6targetE1EEEvSJ_.has_dyn_sized_stack, 0
	.set _ZN7rocprim17ROCPRIM_400000_NS6detail17trampoline_kernelINS0_14default_configENS1_38merge_sort_block_merge_config_selectorIyyEEZZNS1_27merge_sort_block_merge_implIS3_N6thrust23THRUST_200600_302600_NS6detail15normal_iteratorINS8_10device_ptrIyEEEESD_jNS1_19radix_merge_compareILb0ELb1EyNS0_19identity_decomposerEEEEE10hipError_tT0_T1_T2_jT3_P12ihipStream_tbPNSt15iterator_traitsISI_E10value_typeEPNSO_ISJ_E10value_typeEPSK_NS1_7vsmem_tEENKUlT_SI_SJ_SK_E_clISD_PySD_S10_EESH_SX_SI_SJ_SK_EUlSX_E_NS1_11comp_targetILNS1_3genE0ELNS1_11target_archE4294967295ELNS1_3gpuE0ELNS1_3repE0EEENS1_48merge_mergepath_partition_config_static_selectorELNS0_4arch9wavefront6targetE1EEEvSJ_.has_recursion, 0
	.set _ZN7rocprim17ROCPRIM_400000_NS6detail17trampoline_kernelINS0_14default_configENS1_38merge_sort_block_merge_config_selectorIyyEEZZNS1_27merge_sort_block_merge_implIS3_N6thrust23THRUST_200600_302600_NS6detail15normal_iteratorINS8_10device_ptrIyEEEESD_jNS1_19radix_merge_compareILb0ELb1EyNS0_19identity_decomposerEEEEE10hipError_tT0_T1_T2_jT3_P12ihipStream_tbPNSt15iterator_traitsISI_E10value_typeEPNSO_ISJ_E10value_typeEPSK_NS1_7vsmem_tEENKUlT_SI_SJ_SK_E_clISD_PySD_S10_EESH_SX_SI_SJ_SK_EUlSX_E_NS1_11comp_targetILNS1_3genE0ELNS1_11target_archE4294967295ELNS1_3gpuE0ELNS1_3repE0EEENS1_48merge_mergepath_partition_config_static_selectorELNS0_4arch9wavefront6targetE1EEEvSJ_.has_indirect_call, 0
	.section	.AMDGPU.csdata,"",@progbits
; Kernel info:
; codeLenInByte = 340
; TotalNumSgprs: 16
; NumVgprs: 16
; NumAgprs: 0
; TotalNumVgprs: 16
; ScratchSize: 0
; MemoryBound: 0
; FloatMode: 240
; IeeeMode: 1
; LDSByteSize: 0 bytes/workgroup (compile time only)
; SGPRBlocks: 1
; VGPRBlocks: 1
; NumSGPRsForWavesPerEU: 16
; NumVGPRsForWavesPerEU: 16
; AccumOffset: 16
; Occupancy: 8
; WaveLimiterHint : 0
; COMPUTE_PGM_RSRC2:SCRATCH_EN: 0
; COMPUTE_PGM_RSRC2:USER_SGPR: 2
; COMPUTE_PGM_RSRC2:TRAP_HANDLER: 0
; COMPUTE_PGM_RSRC2:TGID_X_EN: 1
; COMPUTE_PGM_RSRC2:TGID_Y_EN: 0
; COMPUTE_PGM_RSRC2:TGID_Z_EN: 0
; COMPUTE_PGM_RSRC2:TIDIG_COMP_CNT: 0
; COMPUTE_PGM_RSRC3_GFX90A:ACCUM_OFFSET: 3
; COMPUTE_PGM_RSRC3_GFX90A:TG_SPLIT: 0
	.section	.text._ZN7rocprim17ROCPRIM_400000_NS6detail17trampoline_kernelINS0_14default_configENS1_38merge_sort_block_merge_config_selectorIyyEEZZNS1_27merge_sort_block_merge_implIS3_N6thrust23THRUST_200600_302600_NS6detail15normal_iteratorINS8_10device_ptrIyEEEESD_jNS1_19radix_merge_compareILb0ELb1EyNS0_19identity_decomposerEEEEE10hipError_tT0_T1_T2_jT3_P12ihipStream_tbPNSt15iterator_traitsISI_E10value_typeEPNSO_ISJ_E10value_typeEPSK_NS1_7vsmem_tEENKUlT_SI_SJ_SK_E_clISD_PySD_S10_EESH_SX_SI_SJ_SK_EUlSX_E_NS1_11comp_targetILNS1_3genE10ELNS1_11target_archE1201ELNS1_3gpuE5ELNS1_3repE0EEENS1_48merge_mergepath_partition_config_static_selectorELNS0_4arch9wavefront6targetE1EEEvSJ_,"axG",@progbits,_ZN7rocprim17ROCPRIM_400000_NS6detail17trampoline_kernelINS0_14default_configENS1_38merge_sort_block_merge_config_selectorIyyEEZZNS1_27merge_sort_block_merge_implIS3_N6thrust23THRUST_200600_302600_NS6detail15normal_iteratorINS8_10device_ptrIyEEEESD_jNS1_19radix_merge_compareILb0ELb1EyNS0_19identity_decomposerEEEEE10hipError_tT0_T1_T2_jT3_P12ihipStream_tbPNSt15iterator_traitsISI_E10value_typeEPNSO_ISJ_E10value_typeEPSK_NS1_7vsmem_tEENKUlT_SI_SJ_SK_E_clISD_PySD_S10_EESH_SX_SI_SJ_SK_EUlSX_E_NS1_11comp_targetILNS1_3genE10ELNS1_11target_archE1201ELNS1_3gpuE5ELNS1_3repE0EEENS1_48merge_mergepath_partition_config_static_selectorELNS0_4arch9wavefront6targetE1EEEvSJ_,comdat
	.protected	_ZN7rocprim17ROCPRIM_400000_NS6detail17trampoline_kernelINS0_14default_configENS1_38merge_sort_block_merge_config_selectorIyyEEZZNS1_27merge_sort_block_merge_implIS3_N6thrust23THRUST_200600_302600_NS6detail15normal_iteratorINS8_10device_ptrIyEEEESD_jNS1_19radix_merge_compareILb0ELb1EyNS0_19identity_decomposerEEEEE10hipError_tT0_T1_T2_jT3_P12ihipStream_tbPNSt15iterator_traitsISI_E10value_typeEPNSO_ISJ_E10value_typeEPSK_NS1_7vsmem_tEENKUlT_SI_SJ_SK_E_clISD_PySD_S10_EESH_SX_SI_SJ_SK_EUlSX_E_NS1_11comp_targetILNS1_3genE10ELNS1_11target_archE1201ELNS1_3gpuE5ELNS1_3repE0EEENS1_48merge_mergepath_partition_config_static_selectorELNS0_4arch9wavefront6targetE1EEEvSJ_ ; -- Begin function _ZN7rocprim17ROCPRIM_400000_NS6detail17trampoline_kernelINS0_14default_configENS1_38merge_sort_block_merge_config_selectorIyyEEZZNS1_27merge_sort_block_merge_implIS3_N6thrust23THRUST_200600_302600_NS6detail15normal_iteratorINS8_10device_ptrIyEEEESD_jNS1_19radix_merge_compareILb0ELb1EyNS0_19identity_decomposerEEEEE10hipError_tT0_T1_T2_jT3_P12ihipStream_tbPNSt15iterator_traitsISI_E10value_typeEPNSO_ISJ_E10value_typeEPSK_NS1_7vsmem_tEENKUlT_SI_SJ_SK_E_clISD_PySD_S10_EESH_SX_SI_SJ_SK_EUlSX_E_NS1_11comp_targetILNS1_3genE10ELNS1_11target_archE1201ELNS1_3gpuE5ELNS1_3repE0EEENS1_48merge_mergepath_partition_config_static_selectorELNS0_4arch9wavefront6targetE1EEEvSJ_
	.globl	_ZN7rocprim17ROCPRIM_400000_NS6detail17trampoline_kernelINS0_14default_configENS1_38merge_sort_block_merge_config_selectorIyyEEZZNS1_27merge_sort_block_merge_implIS3_N6thrust23THRUST_200600_302600_NS6detail15normal_iteratorINS8_10device_ptrIyEEEESD_jNS1_19radix_merge_compareILb0ELb1EyNS0_19identity_decomposerEEEEE10hipError_tT0_T1_T2_jT3_P12ihipStream_tbPNSt15iterator_traitsISI_E10value_typeEPNSO_ISJ_E10value_typeEPSK_NS1_7vsmem_tEENKUlT_SI_SJ_SK_E_clISD_PySD_S10_EESH_SX_SI_SJ_SK_EUlSX_E_NS1_11comp_targetILNS1_3genE10ELNS1_11target_archE1201ELNS1_3gpuE5ELNS1_3repE0EEENS1_48merge_mergepath_partition_config_static_selectorELNS0_4arch9wavefront6targetE1EEEvSJ_
	.p2align	8
	.type	_ZN7rocprim17ROCPRIM_400000_NS6detail17trampoline_kernelINS0_14default_configENS1_38merge_sort_block_merge_config_selectorIyyEEZZNS1_27merge_sort_block_merge_implIS3_N6thrust23THRUST_200600_302600_NS6detail15normal_iteratorINS8_10device_ptrIyEEEESD_jNS1_19radix_merge_compareILb0ELb1EyNS0_19identity_decomposerEEEEE10hipError_tT0_T1_T2_jT3_P12ihipStream_tbPNSt15iterator_traitsISI_E10value_typeEPNSO_ISJ_E10value_typeEPSK_NS1_7vsmem_tEENKUlT_SI_SJ_SK_E_clISD_PySD_S10_EESH_SX_SI_SJ_SK_EUlSX_E_NS1_11comp_targetILNS1_3genE10ELNS1_11target_archE1201ELNS1_3gpuE5ELNS1_3repE0EEENS1_48merge_mergepath_partition_config_static_selectorELNS0_4arch9wavefront6targetE1EEEvSJ_,@function
_ZN7rocprim17ROCPRIM_400000_NS6detail17trampoline_kernelINS0_14default_configENS1_38merge_sort_block_merge_config_selectorIyyEEZZNS1_27merge_sort_block_merge_implIS3_N6thrust23THRUST_200600_302600_NS6detail15normal_iteratorINS8_10device_ptrIyEEEESD_jNS1_19radix_merge_compareILb0ELb1EyNS0_19identity_decomposerEEEEE10hipError_tT0_T1_T2_jT3_P12ihipStream_tbPNSt15iterator_traitsISI_E10value_typeEPNSO_ISJ_E10value_typeEPSK_NS1_7vsmem_tEENKUlT_SI_SJ_SK_E_clISD_PySD_S10_EESH_SX_SI_SJ_SK_EUlSX_E_NS1_11comp_targetILNS1_3genE10ELNS1_11target_archE1201ELNS1_3gpuE5ELNS1_3repE0EEENS1_48merge_mergepath_partition_config_static_selectorELNS0_4arch9wavefront6targetE1EEEvSJ_: ; @_ZN7rocprim17ROCPRIM_400000_NS6detail17trampoline_kernelINS0_14default_configENS1_38merge_sort_block_merge_config_selectorIyyEEZZNS1_27merge_sort_block_merge_implIS3_N6thrust23THRUST_200600_302600_NS6detail15normal_iteratorINS8_10device_ptrIyEEEESD_jNS1_19radix_merge_compareILb0ELb1EyNS0_19identity_decomposerEEEEE10hipError_tT0_T1_T2_jT3_P12ihipStream_tbPNSt15iterator_traitsISI_E10value_typeEPNSO_ISJ_E10value_typeEPSK_NS1_7vsmem_tEENKUlT_SI_SJ_SK_E_clISD_PySD_S10_EESH_SX_SI_SJ_SK_EUlSX_E_NS1_11comp_targetILNS1_3genE10ELNS1_11target_archE1201ELNS1_3gpuE5ELNS1_3repE0EEENS1_48merge_mergepath_partition_config_static_selectorELNS0_4arch9wavefront6targetE1EEEvSJ_
; %bb.0:
	.section	.rodata,"a",@progbits
	.p2align	6, 0x0
	.amdhsa_kernel _ZN7rocprim17ROCPRIM_400000_NS6detail17trampoline_kernelINS0_14default_configENS1_38merge_sort_block_merge_config_selectorIyyEEZZNS1_27merge_sort_block_merge_implIS3_N6thrust23THRUST_200600_302600_NS6detail15normal_iteratorINS8_10device_ptrIyEEEESD_jNS1_19radix_merge_compareILb0ELb1EyNS0_19identity_decomposerEEEEE10hipError_tT0_T1_T2_jT3_P12ihipStream_tbPNSt15iterator_traitsISI_E10value_typeEPNSO_ISJ_E10value_typeEPSK_NS1_7vsmem_tEENKUlT_SI_SJ_SK_E_clISD_PySD_S10_EESH_SX_SI_SJ_SK_EUlSX_E_NS1_11comp_targetILNS1_3genE10ELNS1_11target_archE1201ELNS1_3gpuE5ELNS1_3repE0EEENS1_48merge_mergepath_partition_config_static_selectorELNS0_4arch9wavefront6targetE1EEEvSJ_
		.amdhsa_group_segment_fixed_size 0
		.amdhsa_private_segment_fixed_size 0
		.amdhsa_kernarg_size 40
		.amdhsa_user_sgpr_count 2
		.amdhsa_user_sgpr_dispatch_ptr 0
		.amdhsa_user_sgpr_queue_ptr 0
		.amdhsa_user_sgpr_kernarg_segment_ptr 1
		.amdhsa_user_sgpr_dispatch_id 0
		.amdhsa_user_sgpr_kernarg_preload_length 0
		.amdhsa_user_sgpr_kernarg_preload_offset 0
		.amdhsa_user_sgpr_private_segment_size 0
		.amdhsa_uses_dynamic_stack 0
		.amdhsa_enable_private_segment 0
		.amdhsa_system_sgpr_workgroup_id_x 1
		.amdhsa_system_sgpr_workgroup_id_y 0
		.amdhsa_system_sgpr_workgroup_id_z 0
		.amdhsa_system_sgpr_workgroup_info 0
		.amdhsa_system_vgpr_workitem_id 0
		.amdhsa_next_free_vgpr 1
		.amdhsa_next_free_sgpr 0
		.amdhsa_accum_offset 4
		.amdhsa_reserve_vcc 0
		.amdhsa_float_round_mode_32 0
		.amdhsa_float_round_mode_16_64 0
		.amdhsa_float_denorm_mode_32 3
		.amdhsa_float_denorm_mode_16_64 3
		.amdhsa_dx10_clamp 1
		.amdhsa_ieee_mode 1
		.amdhsa_fp16_overflow 0
		.amdhsa_tg_split 0
		.amdhsa_exception_fp_ieee_invalid_op 0
		.amdhsa_exception_fp_denorm_src 0
		.amdhsa_exception_fp_ieee_div_zero 0
		.amdhsa_exception_fp_ieee_overflow 0
		.amdhsa_exception_fp_ieee_underflow 0
		.amdhsa_exception_fp_ieee_inexact 0
		.amdhsa_exception_int_div_zero 0
	.end_amdhsa_kernel
	.section	.text._ZN7rocprim17ROCPRIM_400000_NS6detail17trampoline_kernelINS0_14default_configENS1_38merge_sort_block_merge_config_selectorIyyEEZZNS1_27merge_sort_block_merge_implIS3_N6thrust23THRUST_200600_302600_NS6detail15normal_iteratorINS8_10device_ptrIyEEEESD_jNS1_19radix_merge_compareILb0ELb1EyNS0_19identity_decomposerEEEEE10hipError_tT0_T1_T2_jT3_P12ihipStream_tbPNSt15iterator_traitsISI_E10value_typeEPNSO_ISJ_E10value_typeEPSK_NS1_7vsmem_tEENKUlT_SI_SJ_SK_E_clISD_PySD_S10_EESH_SX_SI_SJ_SK_EUlSX_E_NS1_11comp_targetILNS1_3genE10ELNS1_11target_archE1201ELNS1_3gpuE5ELNS1_3repE0EEENS1_48merge_mergepath_partition_config_static_selectorELNS0_4arch9wavefront6targetE1EEEvSJ_,"axG",@progbits,_ZN7rocprim17ROCPRIM_400000_NS6detail17trampoline_kernelINS0_14default_configENS1_38merge_sort_block_merge_config_selectorIyyEEZZNS1_27merge_sort_block_merge_implIS3_N6thrust23THRUST_200600_302600_NS6detail15normal_iteratorINS8_10device_ptrIyEEEESD_jNS1_19radix_merge_compareILb0ELb1EyNS0_19identity_decomposerEEEEE10hipError_tT0_T1_T2_jT3_P12ihipStream_tbPNSt15iterator_traitsISI_E10value_typeEPNSO_ISJ_E10value_typeEPSK_NS1_7vsmem_tEENKUlT_SI_SJ_SK_E_clISD_PySD_S10_EESH_SX_SI_SJ_SK_EUlSX_E_NS1_11comp_targetILNS1_3genE10ELNS1_11target_archE1201ELNS1_3gpuE5ELNS1_3repE0EEENS1_48merge_mergepath_partition_config_static_selectorELNS0_4arch9wavefront6targetE1EEEvSJ_,comdat
.Lfunc_end478:
	.size	_ZN7rocprim17ROCPRIM_400000_NS6detail17trampoline_kernelINS0_14default_configENS1_38merge_sort_block_merge_config_selectorIyyEEZZNS1_27merge_sort_block_merge_implIS3_N6thrust23THRUST_200600_302600_NS6detail15normal_iteratorINS8_10device_ptrIyEEEESD_jNS1_19radix_merge_compareILb0ELb1EyNS0_19identity_decomposerEEEEE10hipError_tT0_T1_T2_jT3_P12ihipStream_tbPNSt15iterator_traitsISI_E10value_typeEPNSO_ISJ_E10value_typeEPSK_NS1_7vsmem_tEENKUlT_SI_SJ_SK_E_clISD_PySD_S10_EESH_SX_SI_SJ_SK_EUlSX_E_NS1_11comp_targetILNS1_3genE10ELNS1_11target_archE1201ELNS1_3gpuE5ELNS1_3repE0EEENS1_48merge_mergepath_partition_config_static_selectorELNS0_4arch9wavefront6targetE1EEEvSJ_, .Lfunc_end478-_ZN7rocprim17ROCPRIM_400000_NS6detail17trampoline_kernelINS0_14default_configENS1_38merge_sort_block_merge_config_selectorIyyEEZZNS1_27merge_sort_block_merge_implIS3_N6thrust23THRUST_200600_302600_NS6detail15normal_iteratorINS8_10device_ptrIyEEEESD_jNS1_19radix_merge_compareILb0ELb1EyNS0_19identity_decomposerEEEEE10hipError_tT0_T1_T2_jT3_P12ihipStream_tbPNSt15iterator_traitsISI_E10value_typeEPNSO_ISJ_E10value_typeEPSK_NS1_7vsmem_tEENKUlT_SI_SJ_SK_E_clISD_PySD_S10_EESH_SX_SI_SJ_SK_EUlSX_E_NS1_11comp_targetILNS1_3genE10ELNS1_11target_archE1201ELNS1_3gpuE5ELNS1_3repE0EEENS1_48merge_mergepath_partition_config_static_selectorELNS0_4arch9wavefront6targetE1EEEvSJ_
                                        ; -- End function
	.set _ZN7rocprim17ROCPRIM_400000_NS6detail17trampoline_kernelINS0_14default_configENS1_38merge_sort_block_merge_config_selectorIyyEEZZNS1_27merge_sort_block_merge_implIS3_N6thrust23THRUST_200600_302600_NS6detail15normal_iteratorINS8_10device_ptrIyEEEESD_jNS1_19radix_merge_compareILb0ELb1EyNS0_19identity_decomposerEEEEE10hipError_tT0_T1_T2_jT3_P12ihipStream_tbPNSt15iterator_traitsISI_E10value_typeEPNSO_ISJ_E10value_typeEPSK_NS1_7vsmem_tEENKUlT_SI_SJ_SK_E_clISD_PySD_S10_EESH_SX_SI_SJ_SK_EUlSX_E_NS1_11comp_targetILNS1_3genE10ELNS1_11target_archE1201ELNS1_3gpuE5ELNS1_3repE0EEENS1_48merge_mergepath_partition_config_static_selectorELNS0_4arch9wavefront6targetE1EEEvSJ_.num_vgpr, 0
	.set _ZN7rocprim17ROCPRIM_400000_NS6detail17trampoline_kernelINS0_14default_configENS1_38merge_sort_block_merge_config_selectorIyyEEZZNS1_27merge_sort_block_merge_implIS3_N6thrust23THRUST_200600_302600_NS6detail15normal_iteratorINS8_10device_ptrIyEEEESD_jNS1_19radix_merge_compareILb0ELb1EyNS0_19identity_decomposerEEEEE10hipError_tT0_T1_T2_jT3_P12ihipStream_tbPNSt15iterator_traitsISI_E10value_typeEPNSO_ISJ_E10value_typeEPSK_NS1_7vsmem_tEENKUlT_SI_SJ_SK_E_clISD_PySD_S10_EESH_SX_SI_SJ_SK_EUlSX_E_NS1_11comp_targetILNS1_3genE10ELNS1_11target_archE1201ELNS1_3gpuE5ELNS1_3repE0EEENS1_48merge_mergepath_partition_config_static_selectorELNS0_4arch9wavefront6targetE1EEEvSJ_.num_agpr, 0
	.set _ZN7rocprim17ROCPRIM_400000_NS6detail17trampoline_kernelINS0_14default_configENS1_38merge_sort_block_merge_config_selectorIyyEEZZNS1_27merge_sort_block_merge_implIS3_N6thrust23THRUST_200600_302600_NS6detail15normal_iteratorINS8_10device_ptrIyEEEESD_jNS1_19radix_merge_compareILb0ELb1EyNS0_19identity_decomposerEEEEE10hipError_tT0_T1_T2_jT3_P12ihipStream_tbPNSt15iterator_traitsISI_E10value_typeEPNSO_ISJ_E10value_typeEPSK_NS1_7vsmem_tEENKUlT_SI_SJ_SK_E_clISD_PySD_S10_EESH_SX_SI_SJ_SK_EUlSX_E_NS1_11comp_targetILNS1_3genE10ELNS1_11target_archE1201ELNS1_3gpuE5ELNS1_3repE0EEENS1_48merge_mergepath_partition_config_static_selectorELNS0_4arch9wavefront6targetE1EEEvSJ_.numbered_sgpr, 0
	.set _ZN7rocprim17ROCPRIM_400000_NS6detail17trampoline_kernelINS0_14default_configENS1_38merge_sort_block_merge_config_selectorIyyEEZZNS1_27merge_sort_block_merge_implIS3_N6thrust23THRUST_200600_302600_NS6detail15normal_iteratorINS8_10device_ptrIyEEEESD_jNS1_19radix_merge_compareILb0ELb1EyNS0_19identity_decomposerEEEEE10hipError_tT0_T1_T2_jT3_P12ihipStream_tbPNSt15iterator_traitsISI_E10value_typeEPNSO_ISJ_E10value_typeEPSK_NS1_7vsmem_tEENKUlT_SI_SJ_SK_E_clISD_PySD_S10_EESH_SX_SI_SJ_SK_EUlSX_E_NS1_11comp_targetILNS1_3genE10ELNS1_11target_archE1201ELNS1_3gpuE5ELNS1_3repE0EEENS1_48merge_mergepath_partition_config_static_selectorELNS0_4arch9wavefront6targetE1EEEvSJ_.num_named_barrier, 0
	.set _ZN7rocprim17ROCPRIM_400000_NS6detail17trampoline_kernelINS0_14default_configENS1_38merge_sort_block_merge_config_selectorIyyEEZZNS1_27merge_sort_block_merge_implIS3_N6thrust23THRUST_200600_302600_NS6detail15normal_iteratorINS8_10device_ptrIyEEEESD_jNS1_19radix_merge_compareILb0ELb1EyNS0_19identity_decomposerEEEEE10hipError_tT0_T1_T2_jT3_P12ihipStream_tbPNSt15iterator_traitsISI_E10value_typeEPNSO_ISJ_E10value_typeEPSK_NS1_7vsmem_tEENKUlT_SI_SJ_SK_E_clISD_PySD_S10_EESH_SX_SI_SJ_SK_EUlSX_E_NS1_11comp_targetILNS1_3genE10ELNS1_11target_archE1201ELNS1_3gpuE5ELNS1_3repE0EEENS1_48merge_mergepath_partition_config_static_selectorELNS0_4arch9wavefront6targetE1EEEvSJ_.private_seg_size, 0
	.set _ZN7rocprim17ROCPRIM_400000_NS6detail17trampoline_kernelINS0_14default_configENS1_38merge_sort_block_merge_config_selectorIyyEEZZNS1_27merge_sort_block_merge_implIS3_N6thrust23THRUST_200600_302600_NS6detail15normal_iteratorINS8_10device_ptrIyEEEESD_jNS1_19radix_merge_compareILb0ELb1EyNS0_19identity_decomposerEEEEE10hipError_tT0_T1_T2_jT3_P12ihipStream_tbPNSt15iterator_traitsISI_E10value_typeEPNSO_ISJ_E10value_typeEPSK_NS1_7vsmem_tEENKUlT_SI_SJ_SK_E_clISD_PySD_S10_EESH_SX_SI_SJ_SK_EUlSX_E_NS1_11comp_targetILNS1_3genE10ELNS1_11target_archE1201ELNS1_3gpuE5ELNS1_3repE0EEENS1_48merge_mergepath_partition_config_static_selectorELNS0_4arch9wavefront6targetE1EEEvSJ_.uses_vcc, 0
	.set _ZN7rocprim17ROCPRIM_400000_NS6detail17trampoline_kernelINS0_14default_configENS1_38merge_sort_block_merge_config_selectorIyyEEZZNS1_27merge_sort_block_merge_implIS3_N6thrust23THRUST_200600_302600_NS6detail15normal_iteratorINS8_10device_ptrIyEEEESD_jNS1_19radix_merge_compareILb0ELb1EyNS0_19identity_decomposerEEEEE10hipError_tT0_T1_T2_jT3_P12ihipStream_tbPNSt15iterator_traitsISI_E10value_typeEPNSO_ISJ_E10value_typeEPSK_NS1_7vsmem_tEENKUlT_SI_SJ_SK_E_clISD_PySD_S10_EESH_SX_SI_SJ_SK_EUlSX_E_NS1_11comp_targetILNS1_3genE10ELNS1_11target_archE1201ELNS1_3gpuE5ELNS1_3repE0EEENS1_48merge_mergepath_partition_config_static_selectorELNS0_4arch9wavefront6targetE1EEEvSJ_.uses_flat_scratch, 0
	.set _ZN7rocprim17ROCPRIM_400000_NS6detail17trampoline_kernelINS0_14default_configENS1_38merge_sort_block_merge_config_selectorIyyEEZZNS1_27merge_sort_block_merge_implIS3_N6thrust23THRUST_200600_302600_NS6detail15normal_iteratorINS8_10device_ptrIyEEEESD_jNS1_19radix_merge_compareILb0ELb1EyNS0_19identity_decomposerEEEEE10hipError_tT0_T1_T2_jT3_P12ihipStream_tbPNSt15iterator_traitsISI_E10value_typeEPNSO_ISJ_E10value_typeEPSK_NS1_7vsmem_tEENKUlT_SI_SJ_SK_E_clISD_PySD_S10_EESH_SX_SI_SJ_SK_EUlSX_E_NS1_11comp_targetILNS1_3genE10ELNS1_11target_archE1201ELNS1_3gpuE5ELNS1_3repE0EEENS1_48merge_mergepath_partition_config_static_selectorELNS0_4arch9wavefront6targetE1EEEvSJ_.has_dyn_sized_stack, 0
	.set _ZN7rocprim17ROCPRIM_400000_NS6detail17trampoline_kernelINS0_14default_configENS1_38merge_sort_block_merge_config_selectorIyyEEZZNS1_27merge_sort_block_merge_implIS3_N6thrust23THRUST_200600_302600_NS6detail15normal_iteratorINS8_10device_ptrIyEEEESD_jNS1_19radix_merge_compareILb0ELb1EyNS0_19identity_decomposerEEEEE10hipError_tT0_T1_T2_jT3_P12ihipStream_tbPNSt15iterator_traitsISI_E10value_typeEPNSO_ISJ_E10value_typeEPSK_NS1_7vsmem_tEENKUlT_SI_SJ_SK_E_clISD_PySD_S10_EESH_SX_SI_SJ_SK_EUlSX_E_NS1_11comp_targetILNS1_3genE10ELNS1_11target_archE1201ELNS1_3gpuE5ELNS1_3repE0EEENS1_48merge_mergepath_partition_config_static_selectorELNS0_4arch9wavefront6targetE1EEEvSJ_.has_recursion, 0
	.set _ZN7rocprim17ROCPRIM_400000_NS6detail17trampoline_kernelINS0_14default_configENS1_38merge_sort_block_merge_config_selectorIyyEEZZNS1_27merge_sort_block_merge_implIS3_N6thrust23THRUST_200600_302600_NS6detail15normal_iteratorINS8_10device_ptrIyEEEESD_jNS1_19radix_merge_compareILb0ELb1EyNS0_19identity_decomposerEEEEE10hipError_tT0_T1_T2_jT3_P12ihipStream_tbPNSt15iterator_traitsISI_E10value_typeEPNSO_ISJ_E10value_typeEPSK_NS1_7vsmem_tEENKUlT_SI_SJ_SK_E_clISD_PySD_S10_EESH_SX_SI_SJ_SK_EUlSX_E_NS1_11comp_targetILNS1_3genE10ELNS1_11target_archE1201ELNS1_3gpuE5ELNS1_3repE0EEENS1_48merge_mergepath_partition_config_static_selectorELNS0_4arch9wavefront6targetE1EEEvSJ_.has_indirect_call, 0
	.section	.AMDGPU.csdata,"",@progbits
; Kernel info:
; codeLenInByte = 0
; TotalNumSgprs: 6
; NumVgprs: 0
; NumAgprs: 0
; TotalNumVgprs: 0
; ScratchSize: 0
; MemoryBound: 0
; FloatMode: 240
; IeeeMode: 1
; LDSByteSize: 0 bytes/workgroup (compile time only)
; SGPRBlocks: 0
; VGPRBlocks: 0
; NumSGPRsForWavesPerEU: 6
; NumVGPRsForWavesPerEU: 1
; AccumOffset: 4
; Occupancy: 8
; WaveLimiterHint : 0
; COMPUTE_PGM_RSRC2:SCRATCH_EN: 0
; COMPUTE_PGM_RSRC2:USER_SGPR: 2
; COMPUTE_PGM_RSRC2:TRAP_HANDLER: 0
; COMPUTE_PGM_RSRC2:TGID_X_EN: 1
; COMPUTE_PGM_RSRC2:TGID_Y_EN: 0
; COMPUTE_PGM_RSRC2:TGID_Z_EN: 0
; COMPUTE_PGM_RSRC2:TIDIG_COMP_CNT: 0
; COMPUTE_PGM_RSRC3_GFX90A:ACCUM_OFFSET: 0
; COMPUTE_PGM_RSRC3_GFX90A:TG_SPLIT: 0
	.section	.text._ZN7rocprim17ROCPRIM_400000_NS6detail17trampoline_kernelINS0_14default_configENS1_38merge_sort_block_merge_config_selectorIyyEEZZNS1_27merge_sort_block_merge_implIS3_N6thrust23THRUST_200600_302600_NS6detail15normal_iteratorINS8_10device_ptrIyEEEESD_jNS1_19radix_merge_compareILb0ELb1EyNS0_19identity_decomposerEEEEE10hipError_tT0_T1_T2_jT3_P12ihipStream_tbPNSt15iterator_traitsISI_E10value_typeEPNSO_ISJ_E10value_typeEPSK_NS1_7vsmem_tEENKUlT_SI_SJ_SK_E_clISD_PySD_S10_EESH_SX_SI_SJ_SK_EUlSX_E_NS1_11comp_targetILNS1_3genE5ELNS1_11target_archE942ELNS1_3gpuE9ELNS1_3repE0EEENS1_48merge_mergepath_partition_config_static_selectorELNS0_4arch9wavefront6targetE1EEEvSJ_,"axG",@progbits,_ZN7rocprim17ROCPRIM_400000_NS6detail17trampoline_kernelINS0_14default_configENS1_38merge_sort_block_merge_config_selectorIyyEEZZNS1_27merge_sort_block_merge_implIS3_N6thrust23THRUST_200600_302600_NS6detail15normal_iteratorINS8_10device_ptrIyEEEESD_jNS1_19radix_merge_compareILb0ELb1EyNS0_19identity_decomposerEEEEE10hipError_tT0_T1_T2_jT3_P12ihipStream_tbPNSt15iterator_traitsISI_E10value_typeEPNSO_ISJ_E10value_typeEPSK_NS1_7vsmem_tEENKUlT_SI_SJ_SK_E_clISD_PySD_S10_EESH_SX_SI_SJ_SK_EUlSX_E_NS1_11comp_targetILNS1_3genE5ELNS1_11target_archE942ELNS1_3gpuE9ELNS1_3repE0EEENS1_48merge_mergepath_partition_config_static_selectorELNS0_4arch9wavefront6targetE1EEEvSJ_,comdat
	.protected	_ZN7rocprim17ROCPRIM_400000_NS6detail17trampoline_kernelINS0_14default_configENS1_38merge_sort_block_merge_config_selectorIyyEEZZNS1_27merge_sort_block_merge_implIS3_N6thrust23THRUST_200600_302600_NS6detail15normal_iteratorINS8_10device_ptrIyEEEESD_jNS1_19radix_merge_compareILb0ELb1EyNS0_19identity_decomposerEEEEE10hipError_tT0_T1_T2_jT3_P12ihipStream_tbPNSt15iterator_traitsISI_E10value_typeEPNSO_ISJ_E10value_typeEPSK_NS1_7vsmem_tEENKUlT_SI_SJ_SK_E_clISD_PySD_S10_EESH_SX_SI_SJ_SK_EUlSX_E_NS1_11comp_targetILNS1_3genE5ELNS1_11target_archE942ELNS1_3gpuE9ELNS1_3repE0EEENS1_48merge_mergepath_partition_config_static_selectorELNS0_4arch9wavefront6targetE1EEEvSJ_ ; -- Begin function _ZN7rocprim17ROCPRIM_400000_NS6detail17trampoline_kernelINS0_14default_configENS1_38merge_sort_block_merge_config_selectorIyyEEZZNS1_27merge_sort_block_merge_implIS3_N6thrust23THRUST_200600_302600_NS6detail15normal_iteratorINS8_10device_ptrIyEEEESD_jNS1_19radix_merge_compareILb0ELb1EyNS0_19identity_decomposerEEEEE10hipError_tT0_T1_T2_jT3_P12ihipStream_tbPNSt15iterator_traitsISI_E10value_typeEPNSO_ISJ_E10value_typeEPSK_NS1_7vsmem_tEENKUlT_SI_SJ_SK_E_clISD_PySD_S10_EESH_SX_SI_SJ_SK_EUlSX_E_NS1_11comp_targetILNS1_3genE5ELNS1_11target_archE942ELNS1_3gpuE9ELNS1_3repE0EEENS1_48merge_mergepath_partition_config_static_selectorELNS0_4arch9wavefront6targetE1EEEvSJ_
	.globl	_ZN7rocprim17ROCPRIM_400000_NS6detail17trampoline_kernelINS0_14default_configENS1_38merge_sort_block_merge_config_selectorIyyEEZZNS1_27merge_sort_block_merge_implIS3_N6thrust23THRUST_200600_302600_NS6detail15normal_iteratorINS8_10device_ptrIyEEEESD_jNS1_19radix_merge_compareILb0ELb1EyNS0_19identity_decomposerEEEEE10hipError_tT0_T1_T2_jT3_P12ihipStream_tbPNSt15iterator_traitsISI_E10value_typeEPNSO_ISJ_E10value_typeEPSK_NS1_7vsmem_tEENKUlT_SI_SJ_SK_E_clISD_PySD_S10_EESH_SX_SI_SJ_SK_EUlSX_E_NS1_11comp_targetILNS1_3genE5ELNS1_11target_archE942ELNS1_3gpuE9ELNS1_3repE0EEENS1_48merge_mergepath_partition_config_static_selectorELNS0_4arch9wavefront6targetE1EEEvSJ_
	.p2align	8
	.type	_ZN7rocprim17ROCPRIM_400000_NS6detail17trampoline_kernelINS0_14default_configENS1_38merge_sort_block_merge_config_selectorIyyEEZZNS1_27merge_sort_block_merge_implIS3_N6thrust23THRUST_200600_302600_NS6detail15normal_iteratorINS8_10device_ptrIyEEEESD_jNS1_19radix_merge_compareILb0ELb1EyNS0_19identity_decomposerEEEEE10hipError_tT0_T1_T2_jT3_P12ihipStream_tbPNSt15iterator_traitsISI_E10value_typeEPNSO_ISJ_E10value_typeEPSK_NS1_7vsmem_tEENKUlT_SI_SJ_SK_E_clISD_PySD_S10_EESH_SX_SI_SJ_SK_EUlSX_E_NS1_11comp_targetILNS1_3genE5ELNS1_11target_archE942ELNS1_3gpuE9ELNS1_3repE0EEENS1_48merge_mergepath_partition_config_static_selectorELNS0_4arch9wavefront6targetE1EEEvSJ_,@function
_ZN7rocprim17ROCPRIM_400000_NS6detail17trampoline_kernelINS0_14default_configENS1_38merge_sort_block_merge_config_selectorIyyEEZZNS1_27merge_sort_block_merge_implIS3_N6thrust23THRUST_200600_302600_NS6detail15normal_iteratorINS8_10device_ptrIyEEEESD_jNS1_19radix_merge_compareILb0ELb1EyNS0_19identity_decomposerEEEEE10hipError_tT0_T1_T2_jT3_P12ihipStream_tbPNSt15iterator_traitsISI_E10value_typeEPNSO_ISJ_E10value_typeEPSK_NS1_7vsmem_tEENKUlT_SI_SJ_SK_E_clISD_PySD_S10_EESH_SX_SI_SJ_SK_EUlSX_E_NS1_11comp_targetILNS1_3genE5ELNS1_11target_archE942ELNS1_3gpuE9ELNS1_3repE0EEENS1_48merge_mergepath_partition_config_static_selectorELNS0_4arch9wavefront6targetE1EEEvSJ_: ; @_ZN7rocprim17ROCPRIM_400000_NS6detail17trampoline_kernelINS0_14default_configENS1_38merge_sort_block_merge_config_selectorIyyEEZZNS1_27merge_sort_block_merge_implIS3_N6thrust23THRUST_200600_302600_NS6detail15normal_iteratorINS8_10device_ptrIyEEEESD_jNS1_19radix_merge_compareILb0ELb1EyNS0_19identity_decomposerEEEEE10hipError_tT0_T1_T2_jT3_P12ihipStream_tbPNSt15iterator_traitsISI_E10value_typeEPNSO_ISJ_E10value_typeEPSK_NS1_7vsmem_tEENKUlT_SI_SJ_SK_E_clISD_PySD_S10_EESH_SX_SI_SJ_SK_EUlSX_E_NS1_11comp_targetILNS1_3genE5ELNS1_11target_archE942ELNS1_3gpuE9ELNS1_3repE0EEENS1_48merge_mergepath_partition_config_static_selectorELNS0_4arch9wavefront6targetE1EEEvSJ_
; %bb.0:
	.section	.rodata,"a",@progbits
	.p2align	6, 0x0
	.amdhsa_kernel _ZN7rocprim17ROCPRIM_400000_NS6detail17trampoline_kernelINS0_14default_configENS1_38merge_sort_block_merge_config_selectorIyyEEZZNS1_27merge_sort_block_merge_implIS3_N6thrust23THRUST_200600_302600_NS6detail15normal_iteratorINS8_10device_ptrIyEEEESD_jNS1_19radix_merge_compareILb0ELb1EyNS0_19identity_decomposerEEEEE10hipError_tT0_T1_T2_jT3_P12ihipStream_tbPNSt15iterator_traitsISI_E10value_typeEPNSO_ISJ_E10value_typeEPSK_NS1_7vsmem_tEENKUlT_SI_SJ_SK_E_clISD_PySD_S10_EESH_SX_SI_SJ_SK_EUlSX_E_NS1_11comp_targetILNS1_3genE5ELNS1_11target_archE942ELNS1_3gpuE9ELNS1_3repE0EEENS1_48merge_mergepath_partition_config_static_selectorELNS0_4arch9wavefront6targetE1EEEvSJ_
		.amdhsa_group_segment_fixed_size 0
		.amdhsa_private_segment_fixed_size 0
		.amdhsa_kernarg_size 40
		.amdhsa_user_sgpr_count 2
		.amdhsa_user_sgpr_dispatch_ptr 0
		.amdhsa_user_sgpr_queue_ptr 0
		.amdhsa_user_sgpr_kernarg_segment_ptr 1
		.amdhsa_user_sgpr_dispatch_id 0
		.amdhsa_user_sgpr_kernarg_preload_length 0
		.amdhsa_user_sgpr_kernarg_preload_offset 0
		.amdhsa_user_sgpr_private_segment_size 0
		.amdhsa_uses_dynamic_stack 0
		.amdhsa_enable_private_segment 0
		.amdhsa_system_sgpr_workgroup_id_x 1
		.amdhsa_system_sgpr_workgroup_id_y 0
		.amdhsa_system_sgpr_workgroup_id_z 0
		.amdhsa_system_sgpr_workgroup_info 0
		.amdhsa_system_vgpr_workitem_id 0
		.amdhsa_next_free_vgpr 1
		.amdhsa_next_free_sgpr 0
		.amdhsa_accum_offset 4
		.amdhsa_reserve_vcc 0
		.amdhsa_float_round_mode_32 0
		.amdhsa_float_round_mode_16_64 0
		.amdhsa_float_denorm_mode_32 3
		.amdhsa_float_denorm_mode_16_64 3
		.amdhsa_dx10_clamp 1
		.amdhsa_ieee_mode 1
		.amdhsa_fp16_overflow 0
		.amdhsa_tg_split 0
		.amdhsa_exception_fp_ieee_invalid_op 0
		.amdhsa_exception_fp_denorm_src 0
		.amdhsa_exception_fp_ieee_div_zero 0
		.amdhsa_exception_fp_ieee_overflow 0
		.amdhsa_exception_fp_ieee_underflow 0
		.amdhsa_exception_fp_ieee_inexact 0
		.amdhsa_exception_int_div_zero 0
	.end_amdhsa_kernel
	.section	.text._ZN7rocprim17ROCPRIM_400000_NS6detail17trampoline_kernelINS0_14default_configENS1_38merge_sort_block_merge_config_selectorIyyEEZZNS1_27merge_sort_block_merge_implIS3_N6thrust23THRUST_200600_302600_NS6detail15normal_iteratorINS8_10device_ptrIyEEEESD_jNS1_19radix_merge_compareILb0ELb1EyNS0_19identity_decomposerEEEEE10hipError_tT0_T1_T2_jT3_P12ihipStream_tbPNSt15iterator_traitsISI_E10value_typeEPNSO_ISJ_E10value_typeEPSK_NS1_7vsmem_tEENKUlT_SI_SJ_SK_E_clISD_PySD_S10_EESH_SX_SI_SJ_SK_EUlSX_E_NS1_11comp_targetILNS1_3genE5ELNS1_11target_archE942ELNS1_3gpuE9ELNS1_3repE0EEENS1_48merge_mergepath_partition_config_static_selectorELNS0_4arch9wavefront6targetE1EEEvSJ_,"axG",@progbits,_ZN7rocprim17ROCPRIM_400000_NS6detail17trampoline_kernelINS0_14default_configENS1_38merge_sort_block_merge_config_selectorIyyEEZZNS1_27merge_sort_block_merge_implIS3_N6thrust23THRUST_200600_302600_NS6detail15normal_iteratorINS8_10device_ptrIyEEEESD_jNS1_19radix_merge_compareILb0ELb1EyNS0_19identity_decomposerEEEEE10hipError_tT0_T1_T2_jT3_P12ihipStream_tbPNSt15iterator_traitsISI_E10value_typeEPNSO_ISJ_E10value_typeEPSK_NS1_7vsmem_tEENKUlT_SI_SJ_SK_E_clISD_PySD_S10_EESH_SX_SI_SJ_SK_EUlSX_E_NS1_11comp_targetILNS1_3genE5ELNS1_11target_archE942ELNS1_3gpuE9ELNS1_3repE0EEENS1_48merge_mergepath_partition_config_static_selectorELNS0_4arch9wavefront6targetE1EEEvSJ_,comdat
.Lfunc_end479:
	.size	_ZN7rocprim17ROCPRIM_400000_NS6detail17trampoline_kernelINS0_14default_configENS1_38merge_sort_block_merge_config_selectorIyyEEZZNS1_27merge_sort_block_merge_implIS3_N6thrust23THRUST_200600_302600_NS6detail15normal_iteratorINS8_10device_ptrIyEEEESD_jNS1_19radix_merge_compareILb0ELb1EyNS0_19identity_decomposerEEEEE10hipError_tT0_T1_T2_jT3_P12ihipStream_tbPNSt15iterator_traitsISI_E10value_typeEPNSO_ISJ_E10value_typeEPSK_NS1_7vsmem_tEENKUlT_SI_SJ_SK_E_clISD_PySD_S10_EESH_SX_SI_SJ_SK_EUlSX_E_NS1_11comp_targetILNS1_3genE5ELNS1_11target_archE942ELNS1_3gpuE9ELNS1_3repE0EEENS1_48merge_mergepath_partition_config_static_selectorELNS0_4arch9wavefront6targetE1EEEvSJ_, .Lfunc_end479-_ZN7rocprim17ROCPRIM_400000_NS6detail17trampoline_kernelINS0_14default_configENS1_38merge_sort_block_merge_config_selectorIyyEEZZNS1_27merge_sort_block_merge_implIS3_N6thrust23THRUST_200600_302600_NS6detail15normal_iteratorINS8_10device_ptrIyEEEESD_jNS1_19radix_merge_compareILb0ELb1EyNS0_19identity_decomposerEEEEE10hipError_tT0_T1_T2_jT3_P12ihipStream_tbPNSt15iterator_traitsISI_E10value_typeEPNSO_ISJ_E10value_typeEPSK_NS1_7vsmem_tEENKUlT_SI_SJ_SK_E_clISD_PySD_S10_EESH_SX_SI_SJ_SK_EUlSX_E_NS1_11comp_targetILNS1_3genE5ELNS1_11target_archE942ELNS1_3gpuE9ELNS1_3repE0EEENS1_48merge_mergepath_partition_config_static_selectorELNS0_4arch9wavefront6targetE1EEEvSJ_
                                        ; -- End function
	.set _ZN7rocprim17ROCPRIM_400000_NS6detail17trampoline_kernelINS0_14default_configENS1_38merge_sort_block_merge_config_selectorIyyEEZZNS1_27merge_sort_block_merge_implIS3_N6thrust23THRUST_200600_302600_NS6detail15normal_iteratorINS8_10device_ptrIyEEEESD_jNS1_19radix_merge_compareILb0ELb1EyNS0_19identity_decomposerEEEEE10hipError_tT0_T1_T2_jT3_P12ihipStream_tbPNSt15iterator_traitsISI_E10value_typeEPNSO_ISJ_E10value_typeEPSK_NS1_7vsmem_tEENKUlT_SI_SJ_SK_E_clISD_PySD_S10_EESH_SX_SI_SJ_SK_EUlSX_E_NS1_11comp_targetILNS1_3genE5ELNS1_11target_archE942ELNS1_3gpuE9ELNS1_3repE0EEENS1_48merge_mergepath_partition_config_static_selectorELNS0_4arch9wavefront6targetE1EEEvSJ_.num_vgpr, 0
	.set _ZN7rocprim17ROCPRIM_400000_NS6detail17trampoline_kernelINS0_14default_configENS1_38merge_sort_block_merge_config_selectorIyyEEZZNS1_27merge_sort_block_merge_implIS3_N6thrust23THRUST_200600_302600_NS6detail15normal_iteratorINS8_10device_ptrIyEEEESD_jNS1_19radix_merge_compareILb0ELb1EyNS0_19identity_decomposerEEEEE10hipError_tT0_T1_T2_jT3_P12ihipStream_tbPNSt15iterator_traitsISI_E10value_typeEPNSO_ISJ_E10value_typeEPSK_NS1_7vsmem_tEENKUlT_SI_SJ_SK_E_clISD_PySD_S10_EESH_SX_SI_SJ_SK_EUlSX_E_NS1_11comp_targetILNS1_3genE5ELNS1_11target_archE942ELNS1_3gpuE9ELNS1_3repE0EEENS1_48merge_mergepath_partition_config_static_selectorELNS0_4arch9wavefront6targetE1EEEvSJ_.num_agpr, 0
	.set _ZN7rocprim17ROCPRIM_400000_NS6detail17trampoline_kernelINS0_14default_configENS1_38merge_sort_block_merge_config_selectorIyyEEZZNS1_27merge_sort_block_merge_implIS3_N6thrust23THRUST_200600_302600_NS6detail15normal_iteratorINS8_10device_ptrIyEEEESD_jNS1_19radix_merge_compareILb0ELb1EyNS0_19identity_decomposerEEEEE10hipError_tT0_T1_T2_jT3_P12ihipStream_tbPNSt15iterator_traitsISI_E10value_typeEPNSO_ISJ_E10value_typeEPSK_NS1_7vsmem_tEENKUlT_SI_SJ_SK_E_clISD_PySD_S10_EESH_SX_SI_SJ_SK_EUlSX_E_NS1_11comp_targetILNS1_3genE5ELNS1_11target_archE942ELNS1_3gpuE9ELNS1_3repE0EEENS1_48merge_mergepath_partition_config_static_selectorELNS0_4arch9wavefront6targetE1EEEvSJ_.numbered_sgpr, 0
	.set _ZN7rocprim17ROCPRIM_400000_NS6detail17trampoline_kernelINS0_14default_configENS1_38merge_sort_block_merge_config_selectorIyyEEZZNS1_27merge_sort_block_merge_implIS3_N6thrust23THRUST_200600_302600_NS6detail15normal_iteratorINS8_10device_ptrIyEEEESD_jNS1_19radix_merge_compareILb0ELb1EyNS0_19identity_decomposerEEEEE10hipError_tT0_T1_T2_jT3_P12ihipStream_tbPNSt15iterator_traitsISI_E10value_typeEPNSO_ISJ_E10value_typeEPSK_NS1_7vsmem_tEENKUlT_SI_SJ_SK_E_clISD_PySD_S10_EESH_SX_SI_SJ_SK_EUlSX_E_NS1_11comp_targetILNS1_3genE5ELNS1_11target_archE942ELNS1_3gpuE9ELNS1_3repE0EEENS1_48merge_mergepath_partition_config_static_selectorELNS0_4arch9wavefront6targetE1EEEvSJ_.num_named_barrier, 0
	.set _ZN7rocprim17ROCPRIM_400000_NS6detail17trampoline_kernelINS0_14default_configENS1_38merge_sort_block_merge_config_selectorIyyEEZZNS1_27merge_sort_block_merge_implIS3_N6thrust23THRUST_200600_302600_NS6detail15normal_iteratorINS8_10device_ptrIyEEEESD_jNS1_19radix_merge_compareILb0ELb1EyNS0_19identity_decomposerEEEEE10hipError_tT0_T1_T2_jT3_P12ihipStream_tbPNSt15iterator_traitsISI_E10value_typeEPNSO_ISJ_E10value_typeEPSK_NS1_7vsmem_tEENKUlT_SI_SJ_SK_E_clISD_PySD_S10_EESH_SX_SI_SJ_SK_EUlSX_E_NS1_11comp_targetILNS1_3genE5ELNS1_11target_archE942ELNS1_3gpuE9ELNS1_3repE0EEENS1_48merge_mergepath_partition_config_static_selectorELNS0_4arch9wavefront6targetE1EEEvSJ_.private_seg_size, 0
	.set _ZN7rocprim17ROCPRIM_400000_NS6detail17trampoline_kernelINS0_14default_configENS1_38merge_sort_block_merge_config_selectorIyyEEZZNS1_27merge_sort_block_merge_implIS3_N6thrust23THRUST_200600_302600_NS6detail15normal_iteratorINS8_10device_ptrIyEEEESD_jNS1_19radix_merge_compareILb0ELb1EyNS0_19identity_decomposerEEEEE10hipError_tT0_T1_T2_jT3_P12ihipStream_tbPNSt15iterator_traitsISI_E10value_typeEPNSO_ISJ_E10value_typeEPSK_NS1_7vsmem_tEENKUlT_SI_SJ_SK_E_clISD_PySD_S10_EESH_SX_SI_SJ_SK_EUlSX_E_NS1_11comp_targetILNS1_3genE5ELNS1_11target_archE942ELNS1_3gpuE9ELNS1_3repE0EEENS1_48merge_mergepath_partition_config_static_selectorELNS0_4arch9wavefront6targetE1EEEvSJ_.uses_vcc, 0
	.set _ZN7rocprim17ROCPRIM_400000_NS6detail17trampoline_kernelINS0_14default_configENS1_38merge_sort_block_merge_config_selectorIyyEEZZNS1_27merge_sort_block_merge_implIS3_N6thrust23THRUST_200600_302600_NS6detail15normal_iteratorINS8_10device_ptrIyEEEESD_jNS1_19radix_merge_compareILb0ELb1EyNS0_19identity_decomposerEEEEE10hipError_tT0_T1_T2_jT3_P12ihipStream_tbPNSt15iterator_traitsISI_E10value_typeEPNSO_ISJ_E10value_typeEPSK_NS1_7vsmem_tEENKUlT_SI_SJ_SK_E_clISD_PySD_S10_EESH_SX_SI_SJ_SK_EUlSX_E_NS1_11comp_targetILNS1_3genE5ELNS1_11target_archE942ELNS1_3gpuE9ELNS1_3repE0EEENS1_48merge_mergepath_partition_config_static_selectorELNS0_4arch9wavefront6targetE1EEEvSJ_.uses_flat_scratch, 0
	.set _ZN7rocprim17ROCPRIM_400000_NS6detail17trampoline_kernelINS0_14default_configENS1_38merge_sort_block_merge_config_selectorIyyEEZZNS1_27merge_sort_block_merge_implIS3_N6thrust23THRUST_200600_302600_NS6detail15normal_iteratorINS8_10device_ptrIyEEEESD_jNS1_19radix_merge_compareILb0ELb1EyNS0_19identity_decomposerEEEEE10hipError_tT0_T1_T2_jT3_P12ihipStream_tbPNSt15iterator_traitsISI_E10value_typeEPNSO_ISJ_E10value_typeEPSK_NS1_7vsmem_tEENKUlT_SI_SJ_SK_E_clISD_PySD_S10_EESH_SX_SI_SJ_SK_EUlSX_E_NS1_11comp_targetILNS1_3genE5ELNS1_11target_archE942ELNS1_3gpuE9ELNS1_3repE0EEENS1_48merge_mergepath_partition_config_static_selectorELNS0_4arch9wavefront6targetE1EEEvSJ_.has_dyn_sized_stack, 0
	.set _ZN7rocprim17ROCPRIM_400000_NS6detail17trampoline_kernelINS0_14default_configENS1_38merge_sort_block_merge_config_selectorIyyEEZZNS1_27merge_sort_block_merge_implIS3_N6thrust23THRUST_200600_302600_NS6detail15normal_iteratorINS8_10device_ptrIyEEEESD_jNS1_19radix_merge_compareILb0ELb1EyNS0_19identity_decomposerEEEEE10hipError_tT0_T1_T2_jT3_P12ihipStream_tbPNSt15iterator_traitsISI_E10value_typeEPNSO_ISJ_E10value_typeEPSK_NS1_7vsmem_tEENKUlT_SI_SJ_SK_E_clISD_PySD_S10_EESH_SX_SI_SJ_SK_EUlSX_E_NS1_11comp_targetILNS1_3genE5ELNS1_11target_archE942ELNS1_3gpuE9ELNS1_3repE0EEENS1_48merge_mergepath_partition_config_static_selectorELNS0_4arch9wavefront6targetE1EEEvSJ_.has_recursion, 0
	.set _ZN7rocprim17ROCPRIM_400000_NS6detail17trampoline_kernelINS0_14default_configENS1_38merge_sort_block_merge_config_selectorIyyEEZZNS1_27merge_sort_block_merge_implIS3_N6thrust23THRUST_200600_302600_NS6detail15normal_iteratorINS8_10device_ptrIyEEEESD_jNS1_19radix_merge_compareILb0ELb1EyNS0_19identity_decomposerEEEEE10hipError_tT0_T1_T2_jT3_P12ihipStream_tbPNSt15iterator_traitsISI_E10value_typeEPNSO_ISJ_E10value_typeEPSK_NS1_7vsmem_tEENKUlT_SI_SJ_SK_E_clISD_PySD_S10_EESH_SX_SI_SJ_SK_EUlSX_E_NS1_11comp_targetILNS1_3genE5ELNS1_11target_archE942ELNS1_3gpuE9ELNS1_3repE0EEENS1_48merge_mergepath_partition_config_static_selectorELNS0_4arch9wavefront6targetE1EEEvSJ_.has_indirect_call, 0
	.section	.AMDGPU.csdata,"",@progbits
; Kernel info:
; codeLenInByte = 0
; TotalNumSgprs: 6
; NumVgprs: 0
; NumAgprs: 0
; TotalNumVgprs: 0
; ScratchSize: 0
; MemoryBound: 0
; FloatMode: 240
; IeeeMode: 1
; LDSByteSize: 0 bytes/workgroup (compile time only)
; SGPRBlocks: 0
; VGPRBlocks: 0
; NumSGPRsForWavesPerEU: 6
; NumVGPRsForWavesPerEU: 1
; AccumOffset: 4
; Occupancy: 8
; WaveLimiterHint : 0
; COMPUTE_PGM_RSRC2:SCRATCH_EN: 0
; COMPUTE_PGM_RSRC2:USER_SGPR: 2
; COMPUTE_PGM_RSRC2:TRAP_HANDLER: 0
; COMPUTE_PGM_RSRC2:TGID_X_EN: 1
; COMPUTE_PGM_RSRC2:TGID_Y_EN: 0
; COMPUTE_PGM_RSRC2:TGID_Z_EN: 0
; COMPUTE_PGM_RSRC2:TIDIG_COMP_CNT: 0
; COMPUTE_PGM_RSRC3_GFX90A:ACCUM_OFFSET: 0
; COMPUTE_PGM_RSRC3_GFX90A:TG_SPLIT: 0
	.section	.text._ZN7rocprim17ROCPRIM_400000_NS6detail17trampoline_kernelINS0_14default_configENS1_38merge_sort_block_merge_config_selectorIyyEEZZNS1_27merge_sort_block_merge_implIS3_N6thrust23THRUST_200600_302600_NS6detail15normal_iteratorINS8_10device_ptrIyEEEESD_jNS1_19radix_merge_compareILb0ELb1EyNS0_19identity_decomposerEEEEE10hipError_tT0_T1_T2_jT3_P12ihipStream_tbPNSt15iterator_traitsISI_E10value_typeEPNSO_ISJ_E10value_typeEPSK_NS1_7vsmem_tEENKUlT_SI_SJ_SK_E_clISD_PySD_S10_EESH_SX_SI_SJ_SK_EUlSX_E_NS1_11comp_targetILNS1_3genE4ELNS1_11target_archE910ELNS1_3gpuE8ELNS1_3repE0EEENS1_48merge_mergepath_partition_config_static_selectorELNS0_4arch9wavefront6targetE1EEEvSJ_,"axG",@progbits,_ZN7rocprim17ROCPRIM_400000_NS6detail17trampoline_kernelINS0_14default_configENS1_38merge_sort_block_merge_config_selectorIyyEEZZNS1_27merge_sort_block_merge_implIS3_N6thrust23THRUST_200600_302600_NS6detail15normal_iteratorINS8_10device_ptrIyEEEESD_jNS1_19radix_merge_compareILb0ELb1EyNS0_19identity_decomposerEEEEE10hipError_tT0_T1_T2_jT3_P12ihipStream_tbPNSt15iterator_traitsISI_E10value_typeEPNSO_ISJ_E10value_typeEPSK_NS1_7vsmem_tEENKUlT_SI_SJ_SK_E_clISD_PySD_S10_EESH_SX_SI_SJ_SK_EUlSX_E_NS1_11comp_targetILNS1_3genE4ELNS1_11target_archE910ELNS1_3gpuE8ELNS1_3repE0EEENS1_48merge_mergepath_partition_config_static_selectorELNS0_4arch9wavefront6targetE1EEEvSJ_,comdat
	.protected	_ZN7rocprim17ROCPRIM_400000_NS6detail17trampoline_kernelINS0_14default_configENS1_38merge_sort_block_merge_config_selectorIyyEEZZNS1_27merge_sort_block_merge_implIS3_N6thrust23THRUST_200600_302600_NS6detail15normal_iteratorINS8_10device_ptrIyEEEESD_jNS1_19radix_merge_compareILb0ELb1EyNS0_19identity_decomposerEEEEE10hipError_tT0_T1_T2_jT3_P12ihipStream_tbPNSt15iterator_traitsISI_E10value_typeEPNSO_ISJ_E10value_typeEPSK_NS1_7vsmem_tEENKUlT_SI_SJ_SK_E_clISD_PySD_S10_EESH_SX_SI_SJ_SK_EUlSX_E_NS1_11comp_targetILNS1_3genE4ELNS1_11target_archE910ELNS1_3gpuE8ELNS1_3repE0EEENS1_48merge_mergepath_partition_config_static_selectorELNS0_4arch9wavefront6targetE1EEEvSJ_ ; -- Begin function _ZN7rocprim17ROCPRIM_400000_NS6detail17trampoline_kernelINS0_14default_configENS1_38merge_sort_block_merge_config_selectorIyyEEZZNS1_27merge_sort_block_merge_implIS3_N6thrust23THRUST_200600_302600_NS6detail15normal_iteratorINS8_10device_ptrIyEEEESD_jNS1_19radix_merge_compareILb0ELb1EyNS0_19identity_decomposerEEEEE10hipError_tT0_T1_T2_jT3_P12ihipStream_tbPNSt15iterator_traitsISI_E10value_typeEPNSO_ISJ_E10value_typeEPSK_NS1_7vsmem_tEENKUlT_SI_SJ_SK_E_clISD_PySD_S10_EESH_SX_SI_SJ_SK_EUlSX_E_NS1_11comp_targetILNS1_3genE4ELNS1_11target_archE910ELNS1_3gpuE8ELNS1_3repE0EEENS1_48merge_mergepath_partition_config_static_selectorELNS0_4arch9wavefront6targetE1EEEvSJ_
	.globl	_ZN7rocprim17ROCPRIM_400000_NS6detail17trampoline_kernelINS0_14default_configENS1_38merge_sort_block_merge_config_selectorIyyEEZZNS1_27merge_sort_block_merge_implIS3_N6thrust23THRUST_200600_302600_NS6detail15normal_iteratorINS8_10device_ptrIyEEEESD_jNS1_19radix_merge_compareILb0ELb1EyNS0_19identity_decomposerEEEEE10hipError_tT0_T1_T2_jT3_P12ihipStream_tbPNSt15iterator_traitsISI_E10value_typeEPNSO_ISJ_E10value_typeEPSK_NS1_7vsmem_tEENKUlT_SI_SJ_SK_E_clISD_PySD_S10_EESH_SX_SI_SJ_SK_EUlSX_E_NS1_11comp_targetILNS1_3genE4ELNS1_11target_archE910ELNS1_3gpuE8ELNS1_3repE0EEENS1_48merge_mergepath_partition_config_static_selectorELNS0_4arch9wavefront6targetE1EEEvSJ_
	.p2align	8
	.type	_ZN7rocprim17ROCPRIM_400000_NS6detail17trampoline_kernelINS0_14default_configENS1_38merge_sort_block_merge_config_selectorIyyEEZZNS1_27merge_sort_block_merge_implIS3_N6thrust23THRUST_200600_302600_NS6detail15normal_iteratorINS8_10device_ptrIyEEEESD_jNS1_19radix_merge_compareILb0ELb1EyNS0_19identity_decomposerEEEEE10hipError_tT0_T1_T2_jT3_P12ihipStream_tbPNSt15iterator_traitsISI_E10value_typeEPNSO_ISJ_E10value_typeEPSK_NS1_7vsmem_tEENKUlT_SI_SJ_SK_E_clISD_PySD_S10_EESH_SX_SI_SJ_SK_EUlSX_E_NS1_11comp_targetILNS1_3genE4ELNS1_11target_archE910ELNS1_3gpuE8ELNS1_3repE0EEENS1_48merge_mergepath_partition_config_static_selectorELNS0_4arch9wavefront6targetE1EEEvSJ_,@function
_ZN7rocprim17ROCPRIM_400000_NS6detail17trampoline_kernelINS0_14default_configENS1_38merge_sort_block_merge_config_selectorIyyEEZZNS1_27merge_sort_block_merge_implIS3_N6thrust23THRUST_200600_302600_NS6detail15normal_iteratorINS8_10device_ptrIyEEEESD_jNS1_19radix_merge_compareILb0ELb1EyNS0_19identity_decomposerEEEEE10hipError_tT0_T1_T2_jT3_P12ihipStream_tbPNSt15iterator_traitsISI_E10value_typeEPNSO_ISJ_E10value_typeEPSK_NS1_7vsmem_tEENKUlT_SI_SJ_SK_E_clISD_PySD_S10_EESH_SX_SI_SJ_SK_EUlSX_E_NS1_11comp_targetILNS1_3genE4ELNS1_11target_archE910ELNS1_3gpuE8ELNS1_3repE0EEENS1_48merge_mergepath_partition_config_static_selectorELNS0_4arch9wavefront6targetE1EEEvSJ_: ; @_ZN7rocprim17ROCPRIM_400000_NS6detail17trampoline_kernelINS0_14default_configENS1_38merge_sort_block_merge_config_selectorIyyEEZZNS1_27merge_sort_block_merge_implIS3_N6thrust23THRUST_200600_302600_NS6detail15normal_iteratorINS8_10device_ptrIyEEEESD_jNS1_19radix_merge_compareILb0ELb1EyNS0_19identity_decomposerEEEEE10hipError_tT0_T1_T2_jT3_P12ihipStream_tbPNSt15iterator_traitsISI_E10value_typeEPNSO_ISJ_E10value_typeEPSK_NS1_7vsmem_tEENKUlT_SI_SJ_SK_E_clISD_PySD_S10_EESH_SX_SI_SJ_SK_EUlSX_E_NS1_11comp_targetILNS1_3genE4ELNS1_11target_archE910ELNS1_3gpuE8ELNS1_3repE0EEENS1_48merge_mergepath_partition_config_static_selectorELNS0_4arch9wavefront6targetE1EEEvSJ_
; %bb.0:
	.section	.rodata,"a",@progbits
	.p2align	6, 0x0
	.amdhsa_kernel _ZN7rocprim17ROCPRIM_400000_NS6detail17trampoline_kernelINS0_14default_configENS1_38merge_sort_block_merge_config_selectorIyyEEZZNS1_27merge_sort_block_merge_implIS3_N6thrust23THRUST_200600_302600_NS6detail15normal_iteratorINS8_10device_ptrIyEEEESD_jNS1_19radix_merge_compareILb0ELb1EyNS0_19identity_decomposerEEEEE10hipError_tT0_T1_T2_jT3_P12ihipStream_tbPNSt15iterator_traitsISI_E10value_typeEPNSO_ISJ_E10value_typeEPSK_NS1_7vsmem_tEENKUlT_SI_SJ_SK_E_clISD_PySD_S10_EESH_SX_SI_SJ_SK_EUlSX_E_NS1_11comp_targetILNS1_3genE4ELNS1_11target_archE910ELNS1_3gpuE8ELNS1_3repE0EEENS1_48merge_mergepath_partition_config_static_selectorELNS0_4arch9wavefront6targetE1EEEvSJ_
		.amdhsa_group_segment_fixed_size 0
		.amdhsa_private_segment_fixed_size 0
		.amdhsa_kernarg_size 40
		.amdhsa_user_sgpr_count 2
		.amdhsa_user_sgpr_dispatch_ptr 0
		.amdhsa_user_sgpr_queue_ptr 0
		.amdhsa_user_sgpr_kernarg_segment_ptr 1
		.amdhsa_user_sgpr_dispatch_id 0
		.amdhsa_user_sgpr_kernarg_preload_length 0
		.amdhsa_user_sgpr_kernarg_preload_offset 0
		.amdhsa_user_sgpr_private_segment_size 0
		.amdhsa_uses_dynamic_stack 0
		.amdhsa_enable_private_segment 0
		.amdhsa_system_sgpr_workgroup_id_x 1
		.amdhsa_system_sgpr_workgroup_id_y 0
		.amdhsa_system_sgpr_workgroup_id_z 0
		.amdhsa_system_sgpr_workgroup_info 0
		.amdhsa_system_vgpr_workitem_id 0
		.amdhsa_next_free_vgpr 1
		.amdhsa_next_free_sgpr 0
		.amdhsa_accum_offset 4
		.amdhsa_reserve_vcc 0
		.amdhsa_float_round_mode_32 0
		.amdhsa_float_round_mode_16_64 0
		.amdhsa_float_denorm_mode_32 3
		.amdhsa_float_denorm_mode_16_64 3
		.amdhsa_dx10_clamp 1
		.amdhsa_ieee_mode 1
		.amdhsa_fp16_overflow 0
		.amdhsa_tg_split 0
		.amdhsa_exception_fp_ieee_invalid_op 0
		.amdhsa_exception_fp_denorm_src 0
		.amdhsa_exception_fp_ieee_div_zero 0
		.amdhsa_exception_fp_ieee_overflow 0
		.amdhsa_exception_fp_ieee_underflow 0
		.amdhsa_exception_fp_ieee_inexact 0
		.amdhsa_exception_int_div_zero 0
	.end_amdhsa_kernel
	.section	.text._ZN7rocprim17ROCPRIM_400000_NS6detail17trampoline_kernelINS0_14default_configENS1_38merge_sort_block_merge_config_selectorIyyEEZZNS1_27merge_sort_block_merge_implIS3_N6thrust23THRUST_200600_302600_NS6detail15normal_iteratorINS8_10device_ptrIyEEEESD_jNS1_19radix_merge_compareILb0ELb1EyNS0_19identity_decomposerEEEEE10hipError_tT0_T1_T2_jT3_P12ihipStream_tbPNSt15iterator_traitsISI_E10value_typeEPNSO_ISJ_E10value_typeEPSK_NS1_7vsmem_tEENKUlT_SI_SJ_SK_E_clISD_PySD_S10_EESH_SX_SI_SJ_SK_EUlSX_E_NS1_11comp_targetILNS1_3genE4ELNS1_11target_archE910ELNS1_3gpuE8ELNS1_3repE0EEENS1_48merge_mergepath_partition_config_static_selectorELNS0_4arch9wavefront6targetE1EEEvSJ_,"axG",@progbits,_ZN7rocprim17ROCPRIM_400000_NS6detail17trampoline_kernelINS0_14default_configENS1_38merge_sort_block_merge_config_selectorIyyEEZZNS1_27merge_sort_block_merge_implIS3_N6thrust23THRUST_200600_302600_NS6detail15normal_iteratorINS8_10device_ptrIyEEEESD_jNS1_19radix_merge_compareILb0ELb1EyNS0_19identity_decomposerEEEEE10hipError_tT0_T1_T2_jT3_P12ihipStream_tbPNSt15iterator_traitsISI_E10value_typeEPNSO_ISJ_E10value_typeEPSK_NS1_7vsmem_tEENKUlT_SI_SJ_SK_E_clISD_PySD_S10_EESH_SX_SI_SJ_SK_EUlSX_E_NS1_11comp_targetILNS1_3genE4ELNS1_11target_archE910ELNS1_3gpuE8ELNS1_3repE0EEENS1_48merge_mergepath_partition_config_static_selectorELNS0_4arch9wavefront6targetE1EEEvSJ_,comdat
.Lfunc_end480:
	.size	_ZN7rocprim17ROCPRIM_400000_NS6detail17trampoline_kernelINS0_14default_configENS1_38merge_sort_block_merge_config_selectorIyyEEZZNS1_27merge_sort_block_merge_implIS3_N6thrust23THRUST_200600_302600_NS6detail15normal_iteratorINS8_10device_ptrIyEEEESD_jNS1_19radix_merge_compareILb0ELb1EyNS0_19identity_decomposerEEEEE10hipError_tT0_T1_T2_jT3_P12ihipStream_tbPNSt15iterator_traitsISI_E10value_typeEPNSO_ISJ_E10value_typeEPSK_NS1_7vsmem_tEENKUlT_SI_SJ_SK_E_clISD_PySD_S10_EESH_SX_SI_SJ_SK_EUlSX_E_NS1_11comp_targetILNS1_3genE4ELNS1_11target_archE910ELNS1_3gpuE8ELNS1_3repE0EEENS1_48merge_mergepath_partition_config_static_selectorELNS0_4arch9wavefront6targetE1EEEvSJ_, .Lfunc_end480-_ZN7rocprim17ROCPRIM_400000_NS6detail17trampoline_kernelINS0_14default_configENS1_38merge_sort_block_merge_config_selectorIyyEEZZNS1_27merge_sort_block_merge_implIS3_N6thrust23THRUST_200600_302600_NS6detail15normal_iteratorINS8_10device_ptrIyEEEESD_jNS1_19radix_merge_compareILb0ELb1EyNS0_19identity_decomposerEEEEE10hipError_tT0_T1_T2_jT3_P12ihipStream_tbPNSt15iterator_traitsISI_E10value_typeEPNSO_ISJ_E10value_typeEPSK_NS1_7vsmem_tEENKUlT_SI_SJ_SK_E_clISD_PySD_S10_EESH_SX_SI_SJ_SK_EUlSX_E_NS1_11comp_targetILNS1_3genE4ELNS1_11target_archE910ELNS1_3gpuE8ELNS1_3repE0EEENS1_48merge_mergepath_partition_config_static_selectorELNS0_4arch9wavefront6targetE1EEEvSJ_
                                        ; -- End function
	.set _ZN7rocprim17ROCPRIM_400000_NS6detail17trampoline_kernelINS0_14default_configENS1_38merge_sort_block_merge_config_selectorIyyEEZZNS1_27merge_sort_block_merge_implIS3_N6thrust23THRUST_200600_302600_NS6detail15normal_iteratorINS8_10device_ptrIyEEEESD_jNS1_19radix_merge_compareILb0ELb1EyNS0_19identity_decomposerEEEEE10hipError_tT0_T1_T2_jT3_P12ihipStream_tbPNSt15iterator_traitsISI_E10value_typeEPNSO_ISJ_E10value_typeEPSK_NS1_7vsmem_tEENKUlT_SI_SJ_SK_E_clISD_PySD_S10_EESH_SX_SI_SJ_SK_EUlSX_E_NS1_11comp_targetILNS1_3genE4ELNS1_11target_archE910ELNS1_3gpuE8ELNS1_3repE0EEENS1_48merge_mergepath_partition_config_static_selectorELNS0_4arch9wavefront6targetE1EEEvSJ_.num_vgpr, 0
	.set _ZN7rocprim17ROCPRIM_400000_NS6detail17trampoline_kernelINS0_14default_configENS1_38merge_sort_block_merge_config_selectorIyyEEZZNS1_27merge_sort_block_merge_implIS3_N6thrust23THRUST_200600_302600_NS6detail15normal_iteratorINS8_10device_ptrIyEEEESD_jNS1_19radix_merge_compareILb0ELb1EyNS0_19identity_decomposerEEEEE10hipError_tT0_T1_T2_jT3_P12ihipStream_tbPNSt15iterator_traitsISI_E10value_typeEPNSO_ISJ_E10value_typeEPSK_NS1_7vsmem_tEENKUlT_SI_SJ_SK_E_clISD_PySD_S10_EESH_SX_SI_SJ_SK_EUlSX_E_NS1_11comp_targetILNS1_3genE4ELNS1_11target_archE910ELNS1_3gpuE8ELNS1_3repE0EEENS1_48merge_mergepath_partition_config_static_selectorELNS0_4arch9wavefront6targetE1EEEvSJ_.num_agpr, 0
	.set _ZN7rocprim17ROCPRIM_400000_NS6detail17trampoline_kernelINS0_14default_configENS1_38merge_sort_block_merge_config_selectorIyyEEZZNS1_27merge_sort_block_merge_implIS3_N6thrust23THRUST_200600_302600_NS6detail15normal_iteratorINS8_10device_ptrIyEEEESD_jNS1_19radix_merge_compareILb0ELb1EyNS0_19identity_decomposerEEEEE10hipError_tT0_T1_T2_jT3_P12ihipStream_tbPNSt15iterator_traitsISI_E10value_typeEPNSO_ISJ_E10value_typeEPSK_NS1_7vsmem_tEENKUlT_SI_SJ_SK_E_clISD_PySD_S10_EESH_SX_SI_SJ_SK_EUlSX_E_NS1_11comp_targetILNS1_3genE4ELNS1_11target_archE910ELNS1_3gpuE8ELNS1_3repE0EEENS1_48merge_mergepath_partition_config_static_selectorELNS0_4arch9wavefront6targetE1EEEvSJ_.numbered_sgpr, 0
	.set _ZN7rocprim17ROCPRIM_400000_NS6detail17trampoline_kernelINS0_14default_configENS1_38merge_sort_block_merge_config_selectorIyyEEZZNS1_27merge_sort_block_merge_implIS3_N6thrust23THRUST_200600_302600_NS6detail15normal_iteratorINS8_10device_ptrIyEEEESD_jNS1_19radix_merge_compareILb0ELb1EyNS0_19identity_decomposerEEEEE10hipError_tT0_T1_T2_jT3_P12ihipStream_tbPNSt15iterator_traitsISI_E10value_typeEPNSO_ISJ_E10value_typeEPSK_NS1_7vsmem_tEENKUlT_SI_SJ_SK_E_clISD_PySD_S10_EESH_SX_SI_SJ_SK_EUlSX_E_NS1_11comp_targetILNS1_3genE4ELNS1_11target_archE910ELNS1_3gpuE8ELNS1_3repE0EEENS1_48merge_mergepath_partition_config_static_selectorELNS0_4arch9wavefront6targetE1EEEvSJ_.num_named_barrier, 0
	.set _ZN7rocprim17ROCPRIM_400000_NS6detail17trampoline_kernelINS0_14default_configENS1_38merge_sort_block_merge_config_selectorIyyEEZZNS1_27merge_sort_block_merge_implIS3_N6thrust23THRUST_200600_302600_NS6detail15normal_iteratorINS8_10device_ptrIyEEEESD_jNS1_19radix_merge_compareILb0ELb1EyNS0_19identity_decomposerEEEEE10hipError_tT0_T1_T2_jT3_P12ihipStream_tbPNSt15iterator_traitsISI_E10value_typeEPNSO_ISJ_E10value_typeEPSK_NS1_7vsmem_tEENKUlT_SI_SJ_SK_E_clISD_PySD_S10_EESH_SX_SI_SJ_SK_EUlSX_E_NS1_11comp_targetILNS1_3genE4ELNS1_11target_archE910ELNS1_3gpuE8ELNS1_3repE0EEENS1_48merge_mergepath_partition_config_static_selectorELNS0_4arch9wavefront6targetE1EEEvSJ_.private_seg_size, 0
	.set _ZN7rocprim17ROCPRIM_400000_NS6detail17trampoline_kernelINS0_14default_configENS1_38merge_sort_block_merge_config_selectorIyyEEZZNS1_27merge_sort_block_merge_implIS3_N6thrust23THRUST_200600_302600_NS6detail15normal_iteratorINS8_10device_ptrIyEEEESD_jNS1_19radix_merge_compareILb0ELb1EyNS0_19identity_decomposerEEEEE10hipError_tT0_T1_T2_jT3_P12ihipStream_tbPNSt15iterator_traitsISI_E10value_typeEPNSO_ISJ_E10value_typeEPSK_NS1_7vsmem_tEENKUlT_SI_SJ_SK_E_clISD_PySD_S10_EESH_SX_SI_SJ_SK_EUlSX_E_NS1_11comp_targetILNS1_3genE4ELNS1_11target_archE910ELNS1_3gpuE8ELNS1_3repE0EEENS1_48merge_mergepath_partition_config_static_selectorELNS0_4arch9wavefront6targetE1EEEvSJ_.uses_vcc, 0
	.set _ZN7rocprim17ROCPRIM_400000_NS6detail17trampoline_kernelINS0_14default_configENS1_38merge_sort_block_merge_config_selectorIyyEEZZNS1_27merge_sort_block_merge_implIS3_N6thrust23THRUST_200600_302600_NS6detail15normal_iteratorINS8_10device_ptrIyEEEESD_jNS1_19radix_merge_compareILb0ELb1EyNS0_19identity_decomposerEEEEE10hipError_tT0_T1_T2_jT3_P12ihipStream_tbPNSt15iterator_traitsISI_E10value_typeEPNSO_ISJ_E10value_typeEPSK_NS1_7vsmem_tEENKUlT_SI_SJ_SK_E_clISD_PySD_S10_EESH_SX_SI_SJ_SK_EUlSX_E_NS1_11comp_targetILNS1_3genE4ELNS1_11target_archE910ELNS1_3gpuE8ELNS1_3repE0EEENS1_48merge_mergepath_partition_config_static_selectorELNS0_4arch9wavefront6targetE1EEEvSJ_.uses_flat_scratch, 0
	.set _ZN7rocprim17ROCPRIM_400000_NS6detail17trampoline_kernelINS0_14default_configENS1_38merge_sort_block_merge_config_selectorIyyEEZZNS1_27merge_sort_block_merge_implIS3_N6thrust23THRUST_200600_302600_NS6detail15normal_iteratorINS8_10device_ptrIyEEEESD_jNS1_19radix_merge_compareILb0ELb1EyNS0_19identity_decomposerEEEEE10hipError_tT0_T1_T2_jT3_P12ihipStream_tbPNSt15iterator_traitsISI_E10value_typeEPNSO_ISJ_E10value_typeEPSK_NS1_7vsmem_tEENKUlT_SI_SJ_SK_E_clISD_PySD_S10_EESH_SX_SI_SJ_SK_EUlSX_E_NS1_11comp_targetILNS1_3genE4ELNS1_11target_archE910ELNS1_3gpuE8ELNS1_3repE0EEENS1_48merge_mergepath_partition_config_static_selectorELNS0_4arch9wavefront6targetE1EEEvSJ_.has_dyn_sized_stack, 0
	.set _ZN7rocprim17ROCPRIM_400000_NS6detail17trampoline_kernelINS0_14default_configENS1_38merge_sort_block_merge_config_selectorIyyEEZZNS1_27merge_sort_block_merge_implIS3_N6thrust23THRUST_200600_302600_NS6detail15normal_iteratorINS8_10device_ptrIyEEEESD_jNS1_19radix_merge_compareILb0ELb1EyNS0_19identity_decomposerEEEEE10hipError_tT0_T1_T2_jT3_P12ihipStream_tbPNSt15iterator_traitsISI_E10value_typeEPNSO_ISJ_E10value_typeEPSK_NS1_7vsmem_tEENKUlT_SI_SJ_SK_E_clISD_PySD_S10_EESH_SX_SI_SJ_SK_EUlSX_E_NS1_11comp_targetILNS1_3genE4ELNS1_11target_archE910ELNS1_3gpuE8ELNS1_3repE0EEENS1_48merge_mergepath_partition_config_static_selectorELNS0_4arch9wavefront6targetE1EEEvSJ_.has_recursion, 0
	.set _ZN7rocprim17ROCPRIM_400000_NS6detail17trampoline_kernelINS0_14default_configENS1_38merge_sort_block_merge_config_selectorIyyEEZZNS1_27merge_sort_block_merge_implIS3_N6thrust23THRUST_200600_302600_NS6detail15normal_iteratorINS8_10device_ptrIyEEEESD_jNS1_19radix_merge_compareILb0ELb1EyNS0_19identity_decomposerEEEEE10hipError_tT0_T1_T2_jT3_P12ihipStream_tbPNSt15iterator_traitsISI_E10value_typeEPNSO_ISJ_E10value_typeEPSK_NS1_7vsmem_tEENKUlT_SI_SJ_SK_E_clISD_PySD_S10_EESH_SX_SI_SJ_SK_EUlSX_E_NS1_11comp_targetILNS1_3genE4ELNS1_11target_archE910ELNS1_3gpuE8ELNS1_3repE0EEENS1_48merge_mergepath_partition_config_static_selectorELNS0_4arch9wavefront6targetE1EEEvSJ_.has_indirect_call, 0
	.section	.AMDGPU.csdata,"",@progbits
; Kernel info:
; codeLenInByte = 0
; TotalNumSgprs: 6
; NumVgprs: 0
; NumAgprs: 0
; TotalNumVgprs: 0
; ScratchSize: 0
; MemoryBound: 0
; FloatMode: 240
; IeeeMode: 1
; LDSByteSize: 0 bytes/workgroup (compile time only)
; SGPRBlocks: 0
; VGPRBlocks: 0
; NumSGPRsForWavesPerEU: 6
; NumVGPRsForWavesPerEU: 1
; AccumOffset: 4
; Occupancy: 8
; WaveLimiterHint : 0
; COMPUTE_PGM_RSRC2:SCRATCH_EN: 0
; COMPUTE_PGM_RSRC2:USER_SGPR: 2
; COMPUTE_PGM_RSRC2:TRAP_HANDLER: 0
; COMPUTE_PGM_RSRC2:TGID_X_EN: 1
; COMPUTE_PGM_RSRC2:TGID_Y_EN: 0
; COMPUTE_PGM_RSRC2:TGID_Z_EN: 0
; COMPUTE_PGM_RSRC2:TIDIG_COMP_CNT: 0
; COMPUTE_PGM_RSRC3_GFX90A:ACCUM_OFFSET: 0
; COMPUTE_PGM_RSRC3_GFX90A:TG_SPLIT: 0
	.section	.text._ZN7rocprim17ROCPRIM_400000_NS6detail17trampoline_kernelINS0_14default_configENS1_38merge_sort_block_merge_config_selectorIyyEEZZNS1_27merge_sort_block_merge_implIS3_N6thrust23THRUST_200600_302600_NS6detail15normal_iteratorINS8_10device_ptrIyEEEESD_jNS1_19radix_merge_compareILb0ELb1EyNS0_19identity_decomposerEEEEE10hipError_tT0_T1_T2_jT3_P12ihipStream_tbPNSt15iterator_traitsISI_E10value_typeEPNSO_ISJ_E10value_typeEPSK_NS1_7vsmem_tEENKUlT_SI_SJ_SK_E_clISD_PySD_S10_EESH_SX_SI_SJ_SK_EUlSX_E_NS1_11comp_targetILNS1_3genE3ELNS1_11target_archE908ELNS1_3gpuE7ELNS1_3repE0EEENS1_48merge_mergepath_partition_config_static_selectorELNS0_4arch9wavefront6targetE1EEEvSJ_,"axG",@progbits,_ZN7rocprim17ROCPRIM_400000_NS6detail17trampoline_kernelINS0_14default_configENS1_38merge_sort_block_merge_config_selectorIyyEEZZNS1_27merge_sort_block_merge_implIS3_N6thrust23THRUST_200600_302600_NS6detail15normal_iteratorINS8_10device_ptrIyEEEESD_jNS1_19radix_merge_compareILb0ELb1EyNS0_19identity_decomposerEEEEE10hipError_tT0_T1_T2_jT3_P12ihipStream_tbPNSt15iterator_traitsISI_E10value_typeEPNSO_ISJ_E10value_typeEPSK_NS1_7vsmem_tEENKUlT_SI_SJ_SK_E_clISD_PySD_S10_EESH_SX_SI_SJ_SK_EUlSX_E_NS1_11comp_targetILNS1_3genE3ELNS1_11target_archE908ELNS1_3gpuE7ELNS1_3repE0EEENS1_48merge_mergepath_partition_config_static_selectorELNS0_4arch9wavefront6targetE1EEEvSJ_,comdat
	.protected	_ZN7rocprim17ROCPRIM_400000_NS6detail17trampoline_kernelINS0_14default_configENS1_38merge_sort_block_merge_config_selectorIyyEEZZNS1_27merge_sort_block_merge_implIS3_N6thrust23THRUST_200600_302600_NS6detail15normal_iteratorINS8_10device_ptrIyEEEESD_jNS1_19radix_merge_compareILb0ELb1EyNS0_19identity_decomposerEEEEE10hipError_tT0_T1_T2_jT3_P12ihipStream_tbPNSt15iterator_traitsISI_E10value_typeEPNSO_ISJ_E10value_typeEPSK_NS1_7vsmem_tEENKUlT_SI_SJ_SK_E_clISD_PySD_S10_EESH_SX_SI_SJ_SK_EUlSX_E_NS1_11comp_targetILNS1_3genE3ELNS1_11target_archE908ELNS1_3gpuE7ELNS1_3repE0EEENS1_48merge_mergepath_partition_config_static_selectorELNS0_4arch9wavefront6targetE1EEEvSJ_ ; -- Begin function _ZN7rocprim17ROCPRIM_400000_NS6detail17trampoline_kernelINS0_14default_configENS1_38merge_sort_block_merge_config_selectorIyyEEZZNS1_27merge_sort_block_merge_implIS3_N6thrust23THRUST_200600_302600_NS6detail15normal_iteratorINS8_10device_ptrIyEEEESD_jNS1_19radix_merge_compareILb0ELb1EyNS0_19identity_decomposerEEEEE10hipError_tT0_T1_T2_jT3_P12ihipStream_tbPNSt15iterator_traitsISI_E10value_typeEPNSO_ISJ_E10value_typeEPSK_NS1_7vsmem_tEENKUlT_SI_SJ_SK_E_clISD_PySD_S10_EESH_SX_SI_SJ_SK_EUlSX_E_NS1_11comp_targetILNS1_3genE3ELNS1_11target_archE908ELNS1_3gpuE7ELNS1_3repE0EEENS1_48merge_mergepath_partition_config_static_selectorELNS0_4arch9wavefront6targetE1EEEvSJ_
	.globl	_ZN7rocprim17ROCPRIM_400000_NS6detail17trampoline_kernelINS0_14default_configENS1_38merge_sort_block_merge_config_selectorIyyEEZZNS1_27merge_sort_block_merge_implIS3_N6thrust23THRUST_200600_302600_NS6detail15normal_iteratorINS8_10device_ptrIyEEEESD_jNS1_19radix_merge_compareILb0ELb1EyNS0_19identity_decomposerEEEEE10hipError_tT0_T1_T2_jT3_P12ihipStream_tbPNSt15iterator_traitsISI_E10value_typeEPNSO_ISJ_E10value_typeEPSK_NS1_7vsmem_tEENKUlT_SI_SJ_SK_E_clISD_PySD_S10_EESH_SX_SI_SJ_SK_EUlSX_E_NS1_11comp_targetILNS1_3genE3ELNS1_11target_archE908ELNS1_3gpuE7ELNS1_3repE0EEENS1_48merge_mergepath_partition_config_static_selectorELNS0_4arch9wavefront6targetE1EEEvSJ_
	.p2align	8
	.type	_ZN7rocprim17ROCPRIM_400000_NS6detail17trampoline_kernelINS0_14default_configENS1_38merge_sort_block_merge_config_selectorIyyEEZZNS1_27merge_sort_block_merge_implIS3_N6thrust23THRUST_200600_302600_NS6detail15normal_iteratorINS8_10device_ptrIyEEEESD_jNS1_19radix_merge_compareILb0ELb1EyNS0_19identity_decomposerEEEEE10hipError_tT0_T1_T2_jT3_P12ihipStream_tbPNSt15iterator_traitsISI_E10value_typeEPNSO_ISJ_E10value_typeEPSK_NS1_7vsmem_tEENKUlT_SI_SJ_SK_E_clISD_PySD_S10_EESH_SX_SI_SJ_SK_EUlSX_E_NS1_11comp_targetILNS1_3genE3ELNS1_11target_archE908ELNS1_3gpuE7ELNS1_3repE0EEENS1_48merge_mergepath_partition_config_static_selectorELNS0_4arch9wavefront6targetE1EEEvSJ_,@function
_ZN7rocprim17ROCPRIM_400000_NS6detail17trampoline_kernelINS0_14default_configENS1_38merge_sort_block_merge_config_selectorIyyEEZZNS1_27merge_sort_block_merge_implIS3_N6thrust23THRUST_200600_302600_NS6detail15normal_iteratorINS8_10device_ptrIyEEEESD_jNS1_19radix_merge_compareILb0ELb1EyNS0_19identity_decomposerEEEEE10hipError_tT0_T1_T2_jT3_P12ihipStream_tbPNSt15iterator_traitsISI_E10value_typeEPNSO_ISJ_E10value_typeEPSK_NS1_7vsmem_tEENKUlT_SI_SJ_SK_E_clISD_PySD_S10_EESH_SX_SI_SJ_SK_EUlSX_E_NS1_11comp_targetILNS1_3genE3ELNS1_11target_archE908ELNS1_3gpuE7ELNS1_3repE0EEENS1_48merge_mergepath_partition_config_static_selectorELNS0_4arch9wavefront6targetE1EEEvSJ_: ; @_ZN7rocprim17ROCPRIM_400000_NS6detail17trampoline_kernelINS0_14default_configENS1_38merge_sort_block_merge_config_selectorIyyEEZZNS1_27merge_sort_block_merge_implIS3_N6thrust23THRUST_200600_302600_NS6detail15normal_iteratorINS8_10device_ptrIyEEEESD_jNS1_19radix_merge_compareILb0ELb1EyNS0_19identity_decomposerEEEEE10hipError_tT0_T1_T2_jT3_P12ihipStream_tbPNSt15iterator_traitsISI_E10value_typeEPNSO_ISJ_E10value_typeEPSK_NS1_7vsmem_tEENKUlT_SI_SJ_SK_E_clISD_PySD_S10_EESH_SX_SI_SJ_SK_EUlSX_E_NS1_11comp_targetILNS1_3genE3ELNS1_11target_archE908ELNS1_3gpuE7ELNS1_3repE0EEENS1_48merge_mergepath_partition_config_static_selectorELNS0_4arch9wavefront6targetE1EEEvSJ_
; %bb.0:
	.section	.rodata,"a",@progbits
	.p2align	6, 0x0
	.amdhsa_kernel _ZN7rocprim17ROCPRIM_400000_NS6detail17trampoline_kernelINS0_14default_configENS1_38merge_sort_block_merge_config_selectorIyyEEZZNS1_27merge_sort_block_merge_implIS3_N6thrust23THRUST_200600_302600_NS6detail15normal_iteratorINS8_10device_ptrIyEEEESD_jNS1_19radix_merge_compareILb0ELb1EyNS0_19identity_decomposerEEEEE10hipError_tT0_T1_T2_jT3_P12ihipStream_tbPNSt15iterator_traitsISI_E10value_typeEPNSO_ISJ_E10value_typeEPSK_NS1_7vsmem_tEENKUlT_SI_SJ_SK_E_clISD_PySD_S10_EESH_SX_SI_SJ_SK_EUlSX_E_NS1_11comp_targetILNS1_3genE3ELNS1_11target_archE908ELNS1_3gpuE7ELNS1_3repE0EEENS1_48merge_mergepath_partition_config_static_selectorELNS0_4arch9wavefront6targetE1EEEvSJ_
		.amdhsa_group_segment_fixed_size 0
		.amdhsa_private_segment_fixed_size 0
		.amdhsa_kernarg_size 40
		.amdhsa_user_sgpr_count 2
		.amdhsa_user_sgpr_dispatch_ptr 0
		.amdhsa_user_sgpr_queue_ptr 0
		.amdhsa_user_sgpr_kernarg_segment_ptr 1
		.amdhsa_user_sgpr_dispatch_id 0
		.amdhsa_user_sgpr_kernarg_preload_length 0
		.amdhsa_user_sgpr_kernarg_preload_offset 0
		.amdhsa_user_sgpr_private_segment_size 0
		.amdhsa_uses_dynamic_stack 0
		.amdhsa_enable_private_segment 0
		.amdhsa_system_sgpr_workgroup_id_x 1
		.amdhsa_system_sgpr_workgroup_id_y 0
		.amdhsa_system_sgpr_workgroup_id_z 0
		.amdhsa_system_sgpr_workgroup_info 0
		.amdhsa_system_vgpr_workitem_id 0
		.amdhsa_next_free_vgpr 1
		.amdhsa_next_free_sgpr 0
		.amdhsa_accum_offset 4
		.amdhsa_reserve_vcc 0
		.amdhsa_float_round_mode_32 0
		.amdhsa_float_round_mode_16_64 0
		.amdhsa_float_denorm_mode_32 3
		.amdhsa_float_denorm_mode_16_64 3
		.amdhsa_dx10_clamp 1
		.amdhsa_ieee_mode 1
		.amdhsa_fp16_overflow 0
		.amdhsa_tg_split 0
		.amdhsa_exception_fp_ieee_invalid_op 0
		.amdhsa_exception_fp_denorm_src 0
		.amdhsa_exception_fp_ieee_div_zero 0
		.amdhsa_exception_fp_ieee_overflow 0
		.amdhsa_exception_fp_ieee_underflow 0
		.amdhsa_exception_fp_ieee_inexact 0
		.amdhsa_exception_int_div_zero 0
	.end_amdhsa_kernel
	.section	.text._ZN7rocprim17ROCPRIM_400000_NS6detail17trampoline_kernelINS0_14default_configENS1_38merge_sort_block_merge_config_selectorIyyEEZZNS1_27merge_sort_block_merge_implIS3_N6thrust23THRUST_200600_302600_NS6detail15normal_iteratorINS8_10device_ptrIyEEEESD_jNS1_19radix_merge_compareILb0ELb1EyNS0_19identity_decomposerEEEEE10hipError_tT0_T1_T2_jT3_P12ihipStream_tbPNSt15iterator_traitsISI_E10value_typeEPNSO_ISJ_E10value_typeEPSK_NS1_7vsmem_tEENKUlT_SI_SJ_SK_E_clISD_PySD_S10_EESH_SX_SI_SJ_SK_EUlSX_E_NS1_11comp_targetILNS1_3genE3ELNS1_11target_archE908ELNS1_3gpuE7ELNS1_3repE0EEENS1_48merge_mergepath_partition_config_static_selectorELNS0_4arch9wavefront6targetE1EEEvSJ_,"axG",@progbits,_ZN7rocprim17ROCPRIM_400000_NS6detail17trampoline_kernelINS0_14default_configENS1_38merge_sort_block_merge_config_selectorIyyEEZZNS1_27merge_sort_block_merge_implIS3_N6thrust23THRUST_200600_302600_NS6detail15normal_iteratorINS8_10device_ptrIyEEEESD_jNS1_19radix_merge_compareILb0ELb1EyNS0_19identity_decomposerEEEEE10hipError_tT0_T1_T2_jT3_P12ihipStream_tbPNSt15iterator_traitsISI_E10value_typeEPNSO_ISJ_E10value_typeEPSK_NS1_7vsmem_tEENKUlT_SI_SJ_SK_E_clISD_PySD_S10_EESH_SX_SI_SJ_SK_EUlSX_E_NS1_11comp_targetILNS1_3genE3ELNS1_11target_archE908ELNS1_3gpuE7ELNS1_3repE0EEENS1_48merge_mergepath_partition_config_static_selectorELNS0_4arch9wavefront6targetE1EEEvSJ_,comdat
.Lfunc_end481:
	.size	_ZN7rocprim17ROCPRIM_400000_NS6detail17trampoline_kernelINS0_14default_configENS1_38merge_sort_block_merge_config_selectorIyyEEZZNS1_27merge_sort_block_merge_implIS3_N6thrust23THRUST_200600_302600_NS6detail15normal_iteratorINS8_10device_ptrIyEEEESD_jNS1_19radix_merge_compareILb0ELb1EyNS0_19identity_decomposerEEEEE10hipError_tT0_T1_T2_jT3_P12ihipStream_tbPNSt15iterator_traitsISI_E10value_typeEPNSO_ISJ_E10value_typeEPSK_NS1_7vsmem_tEENKUlT_SI_SJ_SK_E_clISD_PySD_S10_EESH_SX_SI_SJ_SK_EUlSX_E_NS1_11comp_targetILNS1_3genE3ELNS1_11target_archE908ELNS1_3gpuE7ELNS1_3repE0EEENS1_48merge_mergepath_partition_config_static_selectorELNS0_4arch9wavefront6targetE1EEEvSJ_, .Lfunc_end481-_ZN7rocprim17ROCPRIM_400000_NS6detail17trampoline_kernelINS0_14default_configENS1_38merge_sort_block_merge_config_selectorIyyEEZZNS1_27merge_sort_block_merge_implIS3_N6thrust23THRUST_200600_302600_NS6detail15normal_iteratorINS8_10device_ptrIyEEEESD_jNS1_19radix_merge_compareILb0ELb1EyNS0_19identity_decomposerEEEEE10hipError_tT0_T1_T2_jT3_P12ihipStream_tbPNSt15iterator_traitsISI_E10value_typeEPNSO_ISJ_E10value_typeEPSK_NS1_7vsmem_tEENKUlT_SI_SJ_SK_E_clISD_PySD_S10_EESH_SX_SI_SJ_SK_EUlSX_E_NS1_11comp_targetILNS1_3genE3ELNS1_11target_archE908ELNS1_3gpuE7ELNS1_3repE0EEENS1_48merge_mergepath_partition_config_static_selectorELNS0_4arch9wavefront6targetE1EEEvSJ_
                                        ; -- End function
	.set _ZN7rocprim17ROCPRIM_400000_NS6detail17trampoline_kernelINS0_14default_configENS1_38merge_sort_block_merge_config_selectorIyyEEZZNS1_27merge_sort_block_merge_implIS3_N6thrust23THRUST_200600_302600_NS6detail15normal_iteratorINS8_10device_ptrIyEEEESD_jNS1_19radix_merge_compareILb0ELb1EyNS0_19identity_decomposerEEEEE10hipError_tT0_T1_T2_jT3_P12ihipStream_tbPNSt15iterator_traitsISI_E10value_typeEPNSO_ISJ_E10value_typeEPSK_NS1_7vsmem_tEENKUlT_SI_SJ_SK_E_clISD_PySD_S10_EESH_SX_SI_SJ_SK_EUlSX_E_NS1_11comp_targetILNS1_3genE3ELNS1_11target_archE908ELNS1_3gpuE7ELNS1_3repE0EEENS1_48merge_mergepath_partition_config_static_selectorELNS0_4arch9wavefront6targetE1EEEvSJ_.num_vgpr, 0
	.set _ZN7rocprim17ROCPRIM_400000_NS6detail17trampoline_kernelINS0_14default_configENS1_38merge_sort_block_merge_config_selectorIyyEEZZNS1_27merge_sort_block_merge_implIS3_N6thrust23THRUST_200600_302600_NS6detail15normal_iteratorINS8_10device_ptrIyEEEESD_jNS1_19radix_merge_compareILb0ELb1EyNS0_19identity_decomposerEEEEE10hipError_tT0_T1_T2_jT3_P12ihipStream_tbPNSt15iterator_traitsISI_E10value_typeEPNSO_ISJ_E10value_typeEPSK_NS1_7vsmem_tEENKUlT_SI_SJ_SK_E_clISD_PySD_S10_EESH_SX_SI_SJ_SK_EUlSX_E_NS1_11comp_targetILNS1_3genE3ELNS1_11target_archE908ELNS1_3gpuE7ELNS1_3repE0EEENS1_48merge_mergepath_partition_config_static_selectorELNS0_4arch9wavefront6targetE1EEEvSJ_.num_agpr, 0
	.set _ZN7rocprim17ROCPRIM_400000_NS6detail17trampoline_kernelINS0_14default_configENS1_38merge_sort_block_merge_config_selectorIyyEEZZNS1_27merge_sort_block_merge_implIS3_N6thrust23THRUST_200600_302600_NS6detail15normal_iteratorINS8_10device_ptrIyEEEESD_jNS1_19radix_merge_compareILb0ELb1EyNS0_19identity_decomposerEEEEE10hipError_tT0_T1_T2_jT3_P12ihipStream_tbPNSt15iterator_traitsISI_E10value_typeEPNSO_ISJ_E10value_typeEPSK_NS1_7vsmem_tEENKUlT_SI_SJ_SK_E_clISD_PySD_S10_EESH_SX_SI_SJ_SK_EUlSX_E_NS1_11comp_targetILNS1_3genE3ELNS1_11target_archE908ELNS1_3gpuE7ELNS1_3repE0EEENS1_48merge_mergepath_partition_config_static_selectorELNS0_4arch9wavefront6targetE1EEEvSJ_.numbered_sgpr, 0
	.set _ZN7rocprim17ROCPRIM_400000_NS6detail17trampoline_kernelINS0_14default_configENS1_38merge_sort_block_merge_config_selectorIyyEEZZNS1_27merge_sort_block_merge_implIS3_N6thrust23THRUST_200600_302600_NS6detail15normal_iteratorINS8_10device_ptrIyEEEESD_jNS1_19radix_merge_compareILb0ELb1EyNS0_19identity_decomposerEEEEE10hipError_tT0_T1_T2_jT3_P12ihipStream_tbPNSt15iterator_traitsISI_E10value_typeEPNSO_ISJ_E10value_typeEPSK_NS1_7vsmem_tEENKUlT_SI_SJ_SK_E_clISD_PySD_S10_EESH_SX_SI_SJ_SK_EUlSX_E_NS1_11comp_targetILNS1_3genE3ELNS1_11target_archE908ELNS1_3gpuE7ELNS1_3repE0EEENS1_48merge_mergepath_partition_config_static_selectorELNS0_4arch9wavefront6targetE1EEEvSJ_.num_named_barrier, 0
	.set _ZN7rocprim17ROCPRIM_400000_NS6detail17trampoline_kernelINS0_14default_configENS1_38merge_sort_block_merge_config_selectorIyyEEZZNS1_27merge_sort_block_merge_implIS3_N6thrust23THRUST_200600_302600_NS6detail15normal_iteratorINS8_10device_ptrIyEEEESD_jNS1_19radix_merge_compareILb0ELb1EyNS0_19identity_decomposerEEEEE10hipError_tT0_T1_T2_jT3_P12ihipStream_tbPNSt15iterator_traitsISI_E10value_typeEPNSO_ISJ_E10value_typeEPSK_NS1_7vsmem_tEENKUlT_SI_SJ_SK_E_clISD_PySD_S10_EESH_SX_SI_SJ_SK_EUlSX_E_NS1_11comp_targetILNS1_3genE3ELNS1_11target_archE908ELNS1_3gpuE7ELNS1_3repE0EEENS1_48merge_mergepath_partition_config_static_selectorELNS0_4arch9wavefront6targetE1EEEvSJ_.private_seg_size, 0
	.set _ZN7rocprim17ROCPRIM_400000_NS6detail17trampoline_kernelINS0_14default_configENS1_38merge_sort_block_merge_config_selectorIyyEEZZNS1_27merge_sort_block_merge_implIS3_N6thrust23THRUST_200600_302600_NS6detail15normal_iteratorINS8_10device_ptrIyEEEESD_jNS1_19radix_merge_compareILb0ELb1EyNS0_19identity_decomposerEEEEE10hipError_tT0_T1_T2_jT3_P12ihipStream_tbPNSt15iterator_traitsISI_E10value_typeEPNSO_ISJ_E10value_typeEPSK_NS1_7vsmem_tEENKUlT_SI_SJ_SK_E_clISD_PySD_S10_EESH_SX_SI_SJ_SK_EUlSX_E_NS1_11comp_targetILNS1_3genE3ELNS1_11target_archE908ELNS1_3gpuE7ELNS1_3repE0EEENS1_48merge_mergepath_partition_config_static_selectorELNS0_4arch9wavefront6targetE1EEEvSJ_.uses_vcc, 0
	.set _ZN7rocprim17ROCPRIM_400000_NS6detail17trampoline_kernelINS0_14default_configENS1_38merge_sort_block_merge_config_selectorIyyEEZZNS1_27merge_sort_block_merge_implIS3_N6thrust23THRUST_200600_302600_NS6detail15normal_iteratorINS8_10device_ptrIyEEEESD_jNS1_19radix_merge_compareILb0ELb1EyNS0_19identity_decomposerEEEEE10hipError_tT0_T1_T2_jT3_P12ihipStream_tbPNSt15iterator_traitsISI_E10value_typeEPNSO_ISJ_E10value_typeEPSK_NS1_7vsmem_tEENKUlT_SI_SJ_SK_E_clISD_PySD_S10_EESH_SX_SI_SJ_SK_EUlSX_E_NS1_11comp_targetILNS1_3genE3ELNS1_11target_archE908ELNS1_3gpuE7ELNS1_3repE0EEENS1_48merge_mergepath_partition_config_static_selectorELNS0_4arch9wavefront6targetE1EEEvSJ_.uses_flat_scratch, 0
	.set _ZN7rocprim17ROCPRIM_400000_NS6detail17trampoline_kernelINS0_14default_configENS1_38merge_sort_block_merge_config_selectorIyyEEZZNS1_27merge_sort_block_merge_implIS3_N6thrust23THRUST_200600_302600_NS6detail15normal_iteratorINS8_10device_ptrIyEEEESD_jNS1_19radix_merge_compareILb0ELb1EyNS0_19identity_decomposerEEEEE10hipError_tT0_T1_T2_jT3_P12ihipStream_tbPNSt15iterator_traitsISI_E10value_typeEPNSO_ISJ_E10value_typeEPSK_NS1_7vsmem_tEENKUlT_SI_SJ_SK_E_clISD_PySD_S10_EESH_SX_SI_SJ_SK_EUlSX_E_NS1_11comp_targetILNS1_3genE3ELNS1_11target_archE908ELNS1_3gpuE7ELNS1_3repE0EEENS1_48merge_mergepath_partition_config_static_selectorELNS0_4arch9wavefront6targetE1EEEvSJ_.has_dyn_sized_stack, 0
	.set _ZN7rocprim17ROCPRIM_400000_NS6detail17trampoline_kernelINS0_14default_configENS1_38merge_sort_block_merge_config_selectorIyyEEZZNS1_27merge_sort_block_merge_implIS3_N6thrust23THRUST_200600_302600_NS6detail15normal_iteratorINS8_10device_ptrIyEEEESD_jNS1_19radix_merge_compareILb0ELb1EyNS0_19identity_decomposerEEEEE10hipError_tT0_T1_T2_jT3_P12ihipStream_tbPNSt15iterator_traitsISI_E10value_typeEPNSO_ISJ_E10value_typeEPSK_NS1_7vsmem_tEENKUlT_SI_SJ_SK_E_clISD_PySD_S10_EESH_SX_SI_SJ_SK_EUlSX_E_NS1_11comp_targetILNS1_3genE3ELNS1_11target_archE908ELNS1_3gpuE7ELNS1_3repE0EEENS1_48merge_mergepath_partition_config_static_selectorELNS0_4arch9wavefront6targetE1EEEvSJ_.has_recursion, 0
	.set _ZN7rocprim17ROCPRIM_400000_NS6detail17trampoline_kernelINS0_14default_configENS1_38merge_sort_block_merge_config_selectorIyyEEZZNS1_27merge_sort_block_merge_implIS3_N6thrust23THRUST_200600_302600_NS6detail15normal_iteratorINS8_10device_ptrIyEEEESD_jNS1_19radix_merge_compareILb0ELb1EyNS0_19identity_decomposerEEEEE10hipError_tT0_T1_T2_jT3_P12ihipStream_tbPNSt15iterator_traitsISI_E10value_typeEPNSO_ISJ_E10value_typeEPSK_NS1_7vsmem_tEENKUlT_SI_SJ_SK_E_clISD_PySD_S10_EESH_SX_SI_SJ_SK_EUlSX_E_NS1_11comp_targetILNS1_3genE3ELNS1_11target_archE908ELNS1_3gpuE7ELNS1_3repE0EEENS1_48merge_mergepath_partition_config_static_selectorELNS0_4arch9wavefront6targetE1EEEvSJ_.has_indirect_call, 0
	.section	.AMDGPU.csdata,"",@progbits
; Kernel info:
; codeLenInByte = 0
; TotalNumSgprs: 6
; NumVgprs: 0
; NumAgprs: 0
; TotalNumVgprs: 0
; ScratchSize: 0
; MemoryBound: 0
; FloatMode: 240
; IeeeMode: 1
; LDSByteSize: 0 bytes/workgroup (compile time only)
; SGPRBlocks: 0
; VGPRBlocks: 0
; NumSGPRsForWavesPerEU: 6
; NumVGPRsForWavesPerEU: 1
; AccumOffset: 4
; Occupancy: 8
; WaveLimiterHint : 0
; COMPUTE_PGM_RSRC2:SCRATCH_EN: 0
; COMPUTE_PGM_RSRC2:USER_SGPR: 2
; COMPUTE_PGM_RSRC2:TRAP_HANDLER: 0
; COMPUTE_PGM_RSRC2:TGID_X_EN: 1
; COMPUTE_PGM_RSRC2:TGID_Y_EN: 0
; COMPUTE_PGM_RSRC2:TGID_Z_EN: 0
; COMPUTE_PGM_RSRC2:TIDIG_COMP_CNT: 0
; COMPUTE_PGM_RSRC3_GFX90A:ACCUM_OFFSET: 0
; COMPUTE_PGM_RSRC3_GFX90A:TG_SPLIT: 0
	.section	.text._ZN7rocprim17ROCPRIM_400000_NS6detail17trampoline_kernelINS0_14default_configENS1_38merge_sort_block_merge_config_selectorIyyEEZZNS1_27merge_sort_block_merge_implIS3_N6thrust23THRUST_200600_302600_NS6detail15normal_iteratorINS8_10device_ptrIyEEEESD_jNS1_19radix_merge_compareILb0ELb1EyNS0_19identity_decomposerEEEEE10hipError_tT0_T1_T2_jT3_P12ihipStream_tbPNSt15iterator_traitsISI_E10value_typeEPNSO_ISJ_E10value_typeEPSK_NS1_7vsmem_tEENKUlT_SI_SJ_SK_E_clISD_PySD_S10_EESH_SX_SI_SJ_SK_EUlSX_E_NS1_11comp_targetILNS1_3genE2ELNS1_11target_archE906ELNS1_3gpuE6ELNS1_3repE0EEENS1_48merge_mergepath_partition_config_static_selectorELNS0_4arch9wavefront6targetE1EEEvSJ_,"axG",@progbits,_ZN7rocprim17ROCPRIM_400000_NS6detail17trampoline_kernelINS0_14default_configENS1_38merge_sort_block_merge_config_selectorIyyEEZZNS1_27merge_sort_block_merge_implIS3_N6thrust23THRUST_200600_302600_NS6detail15normal_iteratorINS8_10device_ptrIyEEEESD_jNS1_19radix_merge_compareILb0ELb1EyNS0_19identity_decomposerEEEEE10hipError_tT0_T1_T2_jT3_P12ihipStream_tbPNSt15iterator_traitsISI_E10value_typeEPNSO_ISJ_E10value_typeEPSK_NS1_7vsmem_tEENKUlT_SI_SJ_SK_E_clISD_PySD_S10_EESH_SX_SI_SJ_SK_EUlSX_E_NS1_11comp_targetILNS1_3genE2ELNS1_11target_archE906ELNS1_3gpuE6ELNS1_3repE0EEENS1_48merge_mergepath_partition_config_static_selectorELNS0_4arch9wavefront6targetE1EEEvSJ_,comdat
	.protected	_ZN7rocprim17ROCPRIM_400000_NS6detail17trampoline_kernelINS0_14default_configENS1_38merge_sort_block_merge_config_selectorIyyEEZZNS1_27merge_sort_block_merge_implIS3_N6thrust23THRUST_200600_302600_NS6detail15normal_iteratorINS8_10device_ptrIyEEEESD_jNS1_19radix_merge_compareILb0ELb1EyNS0_19identity_decomposerEEEEE10hipError_tT0_T1_T2_jT3_P12ihipStream_tbPNSt15iterator_traitsISI_E10value_typeEPNSO_ISJ_E10value_typeEPSK_NS1_7vsmem_tEENKUlT_SI_SJ_SK_E_clISD_PySD_S10_EESH_SX_SI_SJ_SK_EUlSX_E_NS1_11comp_targetILNS1_3genE2ELNS1_11target_archE906ELNS1_3gpuE6ELNS1_3repE0EEENS1_48merge_mergepath_partition_config_static_selectorELNS0_4arch9wavefront6targetE1EEEvSJ_ ; -- Begin function _ZN7rocprim17ROCPRIM_400000_NS6detail17trampoline_kernelINS0_14default_configENS1_38merge_sort_block_merge_config_selectorIyyEEZZNS1_27merge_sort_block_merge_implIS3_N6thrust23THRUST_200600_302600_NS6detail15normal_iteratorINS8_10device_ptrIyEEEESD_jNS1_19radix_merge_compareILb0ELb1EyNS0_19identity_decomposerEEEEE10hipError_tT0_T1_T2_jT3_P12ihipStream_tbPNSt15iterator_traitsISI_E10value_typeEPNSO_ISJ_E10value_typeEPSK_NS1_7vsmem_tEENKUlT_SI_SJ_SK_E_clISD_PySD_S10_EESH_SX_SI_SJ_SK_EUlSX_E_NS1_11comp_targetILNS1_3genE2ELNS1_11target_archE906ELNS1_3gpuE6ELNS1_3repE0EEENS1_48merge_mergepath_partition_config_static_selectorELNS0_4arch9wavefront6targetE1EEEvSJ_
	.globl	_ZN7rocprim17ROCPRIM_400000_NS6detail17trampoline_kernelINS0_14default_configENS1_38merge_sort_block_merge_config_selectorIyyEEZZNS1_27merge_sort_block_merge_implIS3_N6thrust23THRUST_200600_302600_NS6detail15normal_iteratorINS8_10device_ptrIyEEEESD_jNS1_19radix_merge_compareILb0ELb1EyNS0_19identity_decomposerEEEEE10hipError_tT0_T1_T2_jT3_P12ihipStream_tbPNSt15iterator_traitsISI_E10value_typeEPNSO_ISJ_E10value_typeEPSK_NS1_7vsmem_tEENKUlT_SI_SJ_SK_E_clISD_PySD_S10_EESH_SX_SI_SJ_SK_EUlSX_E_NS1_11comp_targetILNS1_3genE2ELNS1_11target_archE906ELNS1_3gpuE6ELNS1_3repE0EEENS1_48merge_mergepath_partition_config_static_selectorELNS0_4arch9wavefront6targetE1EEEvSJ_
	.p2align	8
	.type	_ZN7rocprim17ROCPRIM_400000_NS6detail17trampoline_kernelINS0_14default_configENS1_38merge_sort_block_merge_config_selectorIyyEEZZNS1_27merge_sort_block_merge_implIS3_N6thrust23THRUST_200600_302600_NS6detail15normal_iteratorINS8_10device_ptrIyEEEESD_jNS1_19radix_merge_compareILb0ELb1EyNS0_19identity_decomposerEEEEE10hipError_tT0_T1_T2_jT3_P12ihipStream_tbPNSt15iterator_traitsISI_E10value_typeEPNSO_ISJ_E10value_typeEPSK_NS1_7vsmem_tEENKUlT_SI_SJ_SK_E_clISD_PySD_S10_EESH_SX_SI_SJ_SK_EUlSX_E_NS1_11comp_targetILNS1_3genE2ELNS1_11target_archE906ELNS1_3gpuE6ELNS1_3repE0EEENS1_48merge_mergepath_partition_config_static_selectorELNS0_4arch9wavefront6targetE1EEEvSJ_,@function
_ZN7rocprim17ROCPRIM_400000_NS6detail17trampoline_kernelINS0_14default_configENS1_38merge_sort_block_merge_config_selectorIyyEEZZNS1_27merge_sort_block_merge_implIS3_N6thrust23THRUST_200600_302600_NS6detail15normal_iteratorINS8_10device_ptrIyEEEESD_jNS1_19radix_merge_compareILb0ELb1EyNS0_19identity_decomposerEEEEE10hipError_tT0_T1_T2_jT3_P12ihipStream_tbPNSt15iterator_traitsISI_E10value_typeEPNSO_ISJ_E10value_typeEPSK_NS1_7vsmem_tEENKUlT_SI_SJ_SK_E_clISD_PySD_S10_EESH_SX_SI_SJ_SK_EUlSX_E_NS1_11comp_targetILNS1_3genE2ELNS1_11target_archE906ELNS1_3gpuE6ELNS1_3repE0EEENS1_48merge_mergepath_partition_config_static_selectorELNS0_4arch9wavefront6targetE1EEEvSJ_: ; @_ZN7rocprim17ROCPRIM_400000_NS6detail17trampoline_kernelINS0_14default_configENS1_38merge_sort_block_merge_config_selectorIyyEEZZNS1_27merge_sort_block_merge_implIS3_N6thrust23THRUST_200600_302600_NS6detail15normal_iteratorINS8_10device_ptrIyEEEESD_jNS1_19radix_merge_compareILb0ELb1EyNS0_19identity_decomposerEEEEE10hipError_tT0_T1_T2_jT3_P12ihipStream_tbPNSt15iterator_traitsISI_E10value_typeEPNSO_ISJ_E10value_typeEPSK_NS1_7vsmem_tEENKUlT_SI_SJ_SK_E_clISD_PySD_S10_EESH_SX_SI_SJ_SK_EUlSX_E_NS1_11comp_targetILNS1_3genE2ELNS1_11target_archE906ELNS1_3gpuE6ELNS1_3repE0EEENS1_48merge_mergepath_partition_config_static_selectorELNS0_4arch9wavefront6targetE1EEEvSJ_
; %bb.0:
	.section	.rodata,"a",@progbits
	.p2align	6, 0x0
	.amdhsa_kernel _ZN7rocprim17ROCPRIM_400000_NS6detail17trampoline_kernelINS0_14default_configENS1_38merge_sort_block_merge_config_selectorIyyEEZZNS1_27merge_sort_block_merge_implIS3_N6thrust23THRUST_200600_302600_NS6detail15normal_iteratorINS8_10device_ptrIyEEEESD_jNS1_19radix_merge_compareILb0ELb1EyNS0_19identity_decomposerEEEEE10hipError_tT0_T1_T2_jT3_P12ihipStream_tbPNSt15iterator_traitsISI_E10value_typeEPNSO_ISJ_E10value_typeEPSK_NS1_7vsmem_tEENKUlT_SI_SJ_SK_E_clISD_PySD_S10_EESH_SX_SI_SJ_SK_EUlSX_E_NS1_11comp_targetILNS1_3genE2ELNS1_11target_archE906ELNS1_3gpuE6ELNS1_3repE0EEENS1_48merge_mergepath_partition_config_static_selectorELNS0_4arch9wavefront6targetE1EEEvSJ_
		.amdhsa_group_segment_fixed_size 0
		.amdhsa_private_segment_fixed_size 0
		.amdhsa_kernarg_size 40
		.amdhsa_user_sgpr_count 2
		.amdhsa_user_sgpr_dispatch_ptr 0
		.amdhsa_user_sgpr_queue_ptr 0
		.amdhsa_user_sgpr_kernarg_segment_ptr 1
		.amdhsa_user_sgpr_dispatch_id 0
		.amdhsa_user_sgpr_kernarg_preload_length 0
		.amdhsa_user_sgpr_kernarg_preload_offset 0
		.amdhsa_user_sgpr_private_segment_size 0
		.amdhsa_uses_dynamic_stack 0
		.amdhsa_enable_private_segment 0
		.amdhsa_system_sgpr_workgroup_id_x 1
		.amdhsa_system_sgpr_workgroup_id_y 0
		.amdhsa_system_sgpr_workgroup_id_z 0
		.amdhsa_system_sgpr_workgroup_info 0
		.amdhsa_system_vgpr_workitem_id 0
		.amdhsa_next_free_vgpr 1
		.amdhsa_next_free_sgpr 0
		.amdhsa_accum_offset 4
		.amdhsa_reserve_vcc 0
		.amdhsa_float_round_mode_32 0
		.amdhsa_float_round_mode_16_64 0
		.amdhsa_float_denorm_mode_32 3
		.amdhsa_float_denorm_mode_16_64 3
		.amdhsa_dx10_clamp 1
		.amdhsa_ieee_mode 1
		.amdhsa_fp16_overflow 0
		.amdhsa_tg_split 0
		.amdhsa_exception_fp_ieee_invalid_op 0
		.amdhsa_exception_fp_denorm_src 0
		.amdhsa_exception_fp_ieee_div_zero 0
		.amdhsa_exception_fp_ieee_overflow 0
		.amdhsa_exception_fp_ieee_underflow 0
		.amdhsa_exception_fp_ieee_inexact 0
		.amdhsa_exception_int_div_zero 0
	.end_amdhsa_kernel
	.section	.text._ZN7rocprim17ROCPRIM_400000_NS6detail17trampoline_kernelINS0_14default_configENS1_38merge_sort_block_merge_config_selectorIyyEEZZNS1_27merge_sort_block_merge_implIS3_N6thrust23THRUST_200600_302600_NS6detail15normal_iteratorINS8_10device_ptrIyEEEESD_jNS1_19radix_merge_compareILb0ELb1EyNS0_19identity_decomposerEEEEE10hipError_tT0_T1_T2_jT3_P12ihipStream_tbPNSt15iterator_traitsISI_E10value_typeEPNSO_ISJ_E10value_typeEPSK_NS1_7vsmem_tEENKUlT_SI_SJ_SK_E_clISD_PySD_S10_EESH_SX_SI_SJ_SK_EUlSX_E_NS1_11comp_targetILNS1_3genE2ELNS1_11target_archE906ELNS1_3gpuE6ELNS1_3repE0EEENS1_48merge_mergepath_partition_config_static_selectorELNS0_4arch9wavefront6targetE1EEEvSJ_,"axG",@progbits,_ZN7rocprim17ROCPRIM_400000_NS6detail17trampoline_kernelINS0_14default_configENS1_38merge_sort_block_merge_config_selectorIyyEEZZNS1_27merge_sort_block_merge_implIS3_N6thrust23THRUST_200600_302600_NS6detail15normal_iteratorINS8_10device_ptrIyEEEESD_jNS1_19radix_merge_compareILb0ELb1EyNS0_19identity_decomposerEEEEE10hipError_tT0_T1_T2_jT3_P12ihipStream_tbPNSt15iterator_traitsISI_E10value_typeEPNSO_ISJ_E10value_typeEPSK_NS1_7vsmem_tEENKUlT_SI_SJ_SK_E_clISD_PySD_S10_EESH_SX_SI_SJ_SK_EUlSX_E_NS1_11comp_targetILNS1_3genE2ELNS1_11target_archE906ELNS1_3gpuE6ELNS1_3repE0EEENS1_48merge_mergepath_partition_config_static_selectorELNS0_4arch9wavefront6targetE1EEEvSJ_,comdat
.Lfunc_end482:
	.size	_ZN7rocprim17ROCPRIM_400000_NS6detail17trampoline_kernelINS0_14default_configENS1_38merge_sort_block_merge_config_selectorIyyEEZZNS1_27merge_sort_block_merge_implIS3_N6thrust23THRUST_200600_302600_NS6detail15normal_iteratorINS8_10device_ptrIyEEEESD_jNS1_19radix_merge_compareILb0ELb1EyNS0_19identity_decomposerEEEEE10hipError_tT0_T1_T2_jT3_P12ihipStream_tbPNSt15iterator_traitsISI_E10value_typeEPNSO_ISJ_E10value_typeEPSK_NS1_7vsmem_tEENKUlT_SI_SJ_SK_E_clISD_PySD_S10_EESH_SX_SI_SJ_SK_EUlSX_E_NS1_11comp_targetILNS1_3genE2ELNS1_11target_archE906ELNS1_3gpuE6ELNS1_3repE0EEENS1_48merge_mergepath_partition_config_static_selectorELNS0_4arch9wavefront6targetE1EEEvSJ_, .Lfunc_end482-_ZN7rocprim17ROCPRIM_400000_NS6detail17trampoline_kernelINS0_14default_configENS1_38merge_sort_block_merge_config_selectorIyyEEZZNS1_27merge_sort_block_merge_implIS3_N6thrust23THRUST_200600_302600_NS6detail15normal_iteratorINS8_10device_ptrIyEEEESD_jNS1_19radix_merge_compareILb0ELb1EyNS0_19identity_decomposerEEEEE10hipError_tT0_T1_T2_jT3_P12ihipStream_tbPNSt15iterator_traitsISI_E10value_typeEPNSO_ISJ_E10value_typeEPSK_NS1_7vsmem_tEENKUlT_SI_SJ_SK_E_clISD_PySD_S10_EESH_SX_SI_SJ_SK_EUlSX_E_NS1_11comp_targetILNS1_3genE2ELNS1_11target_archE906ELNS1_3gpuE6ELNS1_3repE0EEENS1_48merge_mergepath_partition_config_static_selectorELNS0_4arch9wavefront6targetE1EEEvSJ_
                                        ; -- End function
	.set _ZN7rocprim17ROCPRIM_400000_NS6detail17trampoline_kernelINS0_14default_configENS1_38merge_sort_block_merge_config_selectorIyyEEZZNS1_27merge_sort_block_merge_implIS3_N6thrust23THRUST_200600_302600_NS6detail15normal_iteratorINS8_10device_ptrIyEEEESD_jNS1_19radix_merge_compareILb0ELb1EyNS0_19identity_decomposerEEEEE10hipError_tT0_T1_T2_jT3_P12ihipStream_tbPNSt15iterator_traitsISI_E10value_typeEPNSO_ISJ_E10value_typeEPSK_NS1_7vsmem_tEENKUlT_SI_SJ_SK_E_clISD_PySD_S10_EESH_SX_SI_SJ_SK_EUlSX_E_NS1_11comp_targetILNS1_3genE2ELNS1_11target_archE906ELNS1_3gpuE6ELNS1_3repE0EEENS1_48merge_mergepath_partition_config_static_selectorELNS0_4arch9wavefront6targetE1EEEvSJ_.num_vgpr, 0
	.set _ZN7rocprim17ROCPRIM_400000_NS6detail17trampoline_kernelINS0_14default_configENS1_38merge_sort_block_merge_config_selectorIyyEEZZNS1_27merge_sort_block_merge_implIS3_N6thrust23THRUST_200600_302600_NS6detail15normal_iteratorINS8_10device_ptrIyEEEESD_jNS1_19radix_merge_compareILb0ELb1EyNS0_19identity_decomposerEEEEE10hipError_tT0_T1_T2_jT3_P12ihipStream_tbPNSt15iterator_traitsISI_E10value_typeEPNSO_ISJ_E10value_typeEPSK_NS1_7vsmem_tEENKUlT_SI_SJ_SK_E_clISD_PySD_S10_EESH_SX_SI_SJ_SK_EUlSX_E_NS1_11comp_targetILNS1_3genE2ELNS1_11target_archE906ELNS1_3gpuE6ELNS1_3repE0EEENS1_48merge_mergepath_partition_config_static_selectorELNS0_4arch9wavefront6targetE1EEEvSJ_.num_agpr, 0
	.set _ZN7rocprim17ROCPRIM_400000_NS6detail17trampoline_kernelINS0_14default_configENS1_38merge_sort_block_merge_config_selectorIyyEEZZNS1_27merge_sort_block_merge_implIS3_N6thrust23THRUST_200600_302600_NS6detail15normal_iteratorINS8_10device_ptrIyEEEESD_jNS1_19radix_merge_compareILb0ELb1EyNS0_19identity_decomposerEEEEE10hipError_tT0_T1_T2_jT3_P12ihipStream_tbPNSt15iterator_traitsISI_E10value_typeEPNSO_ISJ_E10value_typeEPSK_NS1_7vsmem_tEENKUlT_SI_SJ_SK_E_clISD_PySD_S10_EESH_SX_SI_SJ_SK_EUlSX_E_NS1_11comp_targetILNS1_3genE2ELNS1_11target_archE906ELNS1_3gpuE6ELNS1_3repE0EEENS1_48merge_mergepath_partition_config_static_selectorELNS0_4arch9wavefront6targetE1EEEvSJ_.numbered_sgpr, 0
	.set _ZN7rocprim17ROCPRIM_400000_NS6detail17trampoline_kernelINS0_14default_configENS1_38merge_sort_block_merge_config_selectorIyyEEZZNS1_27merge_sort_block_merge_implIS3_N6thrust23THRUST_200600_302600_NS6detail15normal_iteratorINS8_10device_ptrIyEEEESD_jNS1_19radix_merge_compareILb0ELb1EyNS0_19identity_decomposerEEEEE10hipError_tT0_T1_T2_jT3_P12ihipStream_tbPNSt15iterator_traitsISI_E10value_typeEPNSO_ISJ_E10value_typeEPSK_NS1_7vsmem_tEENKUlT_SI_SJ_SK_E_clISD_PySD_S10_EESH_SX_SI_SJ_SK_EUlSX_E_NS1_11comp_targetILNS1_3genE2ELNS1_11target_archE906ELNS1_3gpuE6ELNS1_3repE0EEENS1_48merge_mergepath_partition_config_static_selectorELNS0_4arch9wavefront6targetE1EEEvSJ_.num_named_barrier, 0
	.set _ZN7rocprim17ROCPRIM_400000_NS6detail17trampoline_kernelINS0_14default_configENS1_38merge_sort_block_merge_config_selectorIyyEEZZNS1_27merge_sort_block_merge_implIS3_N6thrust23THRUST_200600_302600_NS6detail15normal_iteratorINS8_10device_ptrIyEEEESD_jNS1_19radix_merge_compareILb0ELb1EyNS0_19identity_decomposerEEEEE10hipError_tT0_T1_T2_jT3_P12ihipStream_tbPNSt15iterator_traitsISI_E10value_typeEPNSO_ISJ_E10value_typeEPSK_NS1_7vsmem_tEENKUlT_SI_SJ_SK_E_clISD_PySD_S10_EESH_SX_SI_SJ_SK_EUlSX_E_NS1_11comp_targetILNS1_3genE2ELNS1_11target_archE906ELNS1_3gpuE6ELNS1_3repE0EEENS1_48merge_mergepath_partition_config_static_selectorELNS0_4arch9wavefront6targetE1EEEvSJ_.private_seg_size, 0
	.set _ZN7rocprim17ROCPRIM_400000_NS6detail17trampoline_kernelINS0_14default_configENS1_38merge_sort_block_merge_config_selectorIyyEEZZNS1_27merge_sort_block_merge_implIS3_N6thrust23THRUST_200600_302600_NS6detail15normal_iteratorINS8_10device_ptrIyEEEESD_jNS1_19radix_merge_compareILb0ELb1EyNS0_19identity_decomposerEEEEE10hipError_tT0_T1_T2_jT3_P12ihipStream_tbPNSt15iterator_traitsISI_E10value_typeEPNSO_ISJ_E10value_typeEPSK_NS1_7vsmem_tEENKUlT_SI_SJ_SK_E_clISD_PySD_S10_EESH_SX_SI_SJ_SK_EUlSX_E_NS1_11comp_targetILNS1_3genE2ELNS1_11target_archE906ELNS1_3gpuE6ELNS1_3repE0EEENS1_48merge_mergepath_partition_config_static_selectorELNS0_4arch9wavefront6targetE1EEEvSJ_.uses_vcc, 0
	.set _ZN7rocprim17ROCPRIM_400000_NS6detail17trampoline_kernelINS0_14default_configENS1_38merge_sort_block_merge_config_selectorIyyEEZZNS1_27merge_sort_block_merge_implIS3_N6thrust23THRUST_200600_302600_NS6detail15normal_iteratorINS8_10device_ptrIyEEEESD_jNS1_19radix_merge_compareILb0ELb1EyNS0_19identity_decomposerEEEEE10hipError_tT0_T1_T2_jT3_P12ihipStream_tbPNSt15iterator_traitsISI_E10value_typeEPNSO_ISJ_E10value_typeEPSK_NS1_7vsmem_tEENKUlT_SI_SJ_SK_E_clISD_PySD_S10_EESH_SX_SI_SJ_SK_EUlSX_E_NS1_11comp_targetILNS1_3genE2ELNS1_11target_archE906ELNS1_3gpuE6ELNS1_3repE0EEENS1_48merge_mergepath_partition_config_static_selectorELNS0_4arch9wavefront6targetE1EEEvSJ_.uses_flat_scratch, 0
	.set _ZN7rocprim17ROCPRIM_400000_NS6detail17trampoline_kernelINS0_14default_configENS1_38merge_sort_block_merge_config_selectorIyyEEZZNS1_27merge_sort_block_merge_implIS3_N6thrust23THRUST_200600_302600_NS6detail15normal_iteratorINS8_10device_ptrIyEEEESD_jNS1_19radix_merge_compareILb0ELb1EyNS0_19identity_decomposerEEEEE10hipError_tT0_T1_T2_jT3_P12ihipStream_tbPNSt15iterator_traitsISI_E10value_typeEPNSO_ISJ_E10value_typeEPSK_NS1_7vsmem_tEENKUlT_SI_SJ_SK_E_clISD_PySD_S10_EESH_SX_SI_SJ_SK_EUlSX_E_NS1_11comp_targetILNS1_3genE2ELNS1_11target_archE906ELNS1_3gpuE6ELNS1_3repE0EEENS1_48merge_mergepath_partition_config_static_selectorELNS0_4arch9wavefront6targetE1EEEvSJ_.has_dyn_sized_stack, 0
	.set _ZN7rocprim17ROCPRIM_400000_NS6detail17trampoline_kernelINS0_14default_configENS1_38merge_sort_block_merge_config_selectorIyyEEZZNS1_27merge_sort_block_merge_implIS3_N6thrust23THRUST_200600_302600_NS6detail15normal_iteratorINS8_10device_ptrIyEEEESD_jNS1_19radix_merge_compareILb0ELb1EyNS0_19identity_decomposerEEEEE10hipError_tT0_T1_T2_jT3_P12ihipStream_tbPNSt15iterator_traitsISI_E10value_typeEPNSO_ISJ_E10value_typeEPSK_NS1_7vsmem_tEENKUlT_SI_SJ_SK_E_clISD_PySD_S10_EESH_SX_SI_SJ_SK_EUlSX_E_NS1_11comp_targetILNS1_3genE2ELNS1_11target_archE906ELNS1_3gpuE6ELNS1_3repE0EEENS1_48merge_mergepath_partition_config_static_selectorELNS0_4arch9wavefront6targetE1EEEvSJ_.has_recursion, 0
	.set _ZN7rocprim17ROCPRIM_400000_NS6detail17trampoline_kernelINS0_14default_configENS1_38merge_sort_block_merge_config_selectorIyyEEZZNS1_27merge_sort_block_merge_implIS3_N6thrust23THRUST_200600_302600_NS6detail15normal_iteratorINS8_10device_ptrIyEEEESD_jNS1_19radix_merge_compareILb0ELb1EyNS0_19identity_decomposerEEEEE10hipError_tT0_T1_T2_jT3_P12ihipStream_tbPNSt15iterator_traitsISI_E10value_typeEPNSO_ISJ_E10value_typeEPSK_NS1_7vsmem_tEENKUlT_SI_SJ_SK_E_clISD_PySD_S10_EESH_SX_SI_SJ_SK_EUlSX_E_NS1_11comp_targetILNS1_3genE2ELNS1_11target_archE906ELNS1_3gpuE6ELNS1_3repE0EEENS1_48merge_mergepath_partition_config_static_selectorELNS0_4arch9wavefront6targetE1EEEvSJ_.has_indirect_call, 0
	.section	.AMDGPU.csdata,"",@progbits
; Kernel info:
; codeLenInByte = 0
; TotalNumSgprs: 6
; NumVgprs: 0
; NumAgprs: 0
; TotalNumVgprs: 0
; ScratchSize: 0
; MemoryBound: 0
; FloatMode: 240
; IeeeMode: 1
; LDSByteSize: 0 bytes/workgroup (compile time only)
; SGPRBlocks: 0
; VGPRBlocks: 0
; NumSGPRsForWavesPerEU: 6
; NumVGPRsForWavesPerEU: 1
; AccumOffset: 4
; Occupancy: 8
; WaveLimiterHint : 0
; COMPUTE_PGM_RSRC2:SCRATCH_EN: 0
; COMPUTE_PGM_RSRC2:USER_SGPR: 2
; COMPUTE_PGM_RSRC2:TRAP_HANDLER: 0
; COMPUTE_PGM_RSRC2:TGID_X_EN: 1
; COMPUTE_PGM_RSRC2:TGID_Y_EN: 0
; COMPUTE_PGM_RSRC2:TGID_Z_EN: 0
; COMPUTE_PGM_RSRC2:TIDIG_COMP_CNT: 0
; COMPUTE_PGM_RSRC3_GFX90A:ACCUM_OFFSET: 0
; COMPUTE_PGM_RSRC3_GFX90A:TG_SPLIT: 0
	.section	.text._ZN7rocprim17ROCPRIM_400000_NS6detail17trampoline_kernelINS0_14default_configENS1_38merge_sort_block_merge_config_selectorIyyEEZZNS1_27merge_sort_block_merge_implIS3_N6thrust23THRUST_200600_302600_NS6detail15normal_iteratorINS8_10device_ptrIyEEEESD_jNS1_19radix_merge_compareILb0ELb1EyNS0_19identity_decomposerEEEEE10hipError_tT0_T1_T2_jT3_P12ihipStream_tbPNSt15iterator_traitsISI_E10value_typeEPNSO_ISJ_E10value_typeEPSK_NS1_7vsmem_tEENKUlT_SI_SJ_SK_E_clISD_PySD_S10_EESH_SX_SI_SJ_SK_EUlSX_E_NS1_11comp_targetILNS1_3genE9ELNS1_11target_archE1100ELNS1_3gpuE3ELNS1_3repE0EEENS1_48merge_mergepath_partition_config_static_selectorELNS0_4arch9wavefront6targetE1EEEvSJ_,"axG",@progbits,_ZN7rocprim17ROCPRIM_400000_NS6detail17trampoline_kernelINS0_14default_configENS1_38merge_sort_block_merge_config_selectorIyyEEZZNS1_27merge_sort_block_merge_implIS3_N6thrust23THRUST_200600_302600_NS6detail15normal_iteratorINS8_10device_ptrIyEEEESD_jNS1_19radix_merge_compareILb0ELb1EyNS0_19identity_decomposerEEEEE10hipError_tT0_T1_T2_jT3_P12ihipStream_tbPNSt15iterator_traitsISI_E10value_typeEPNSO_ISJ_E10value_typeEPSK_NS1_7vsmem_tEENKUlT_SI_SJ_SK_E_clISD_PySD_S10_EESH_SX_SI_SJ_SK_EUlSX_E_NS1_11comp_targetILNS1_3genE9ELNS1_11target_archE1100ELNS1_3gpuE3ELNS1_3repE0EEENS1_48merge_mergepath_partition_config_static_selectorELNS0_4arch9wavefront6targetE1EEEvSJ_,comdat
	.protected	_ZN7rocprim17ROCPRIM_400000_NS6detail17trampoline_kernelINS0_14default_configENS1_38merge_sort_block_merge_config_selectorIyyEEZZNS1_27merge_sort_block_merge_implIS3_N6thrust23THRUST_200600_302600_NS6detail15normal_iteratorINS8_10device_ptrIyEEEESD_jNS1_19radix_merge_compareILb0ELb1EyNS0_19identity_decomposerEEEEE10hipError_tT0_T1_T2_jT3_P12ihipStream_tbPNSt15iterator_traitsISI_E10value_typeEPNSO_ISJ_E10value_typeEPSK_NS1_7vsmem_tEENKUlT_SI_SJ_SK_E_clISD_PySD_S10_EESH_SX_SI_SJ_SK_EUlSX_E_NS1_11comp_targetILNS1_3genE9ELNS1_11target_archE1100ELNS1_3gpuE3ELNS1_3repE0EEENS1_48merge_mergepath_partition_config_static_selectorELNS0_4arch9wavefront6targetE1EEEvSJ_ ; -- Begin function _ZN7rocprim17ROCPRIM_400000_NS6detail17trampoline_kernelINS0_14default_configENS1_38merge_sort_block_merge_config_selectorIyyEEZZNS1_27merge_sort_block_merge_implIS3_N6thrust23THRUST_200600_302600_NS6detail15normal_iteratorINS8_10device_ptrIyEEEESD_jNS1_19radix_merge_compareILb0ELb1EyNS0_19identity_decomposerEEEEE10hipError_tT0_T1_T2_jT3_P12ihipStream_tbPNSt15iterator_traitsISI_E10value_typeEPNSO_ISJ_E10value_typeEPSK_NS1_7vsmem_tEENKUlT_SI_SJ_SK_E_clISD_PySD_S10_EESH_SX_SI_SJ_SK_EUlSX_E_NS1_11comp_targetILNS1_3genE9ELNS1_11target_archE1100ELNS1_3gpuE3ELNS1_3repE0EEENS1_48merge_mergepath_partition_config_static_selectorELNS0_4arch9wavefront6targetE1EEEvSJ_
	.globl	_ZN7rocprim17ROCPRIM_400000_NS6detail17trampoline_kernelINS0_14default_configENS1_38merge_sort_block_merge_config_selectorIyyEEZZNS1_27merge_sort_block_merge_implIS3_N6thrust23THRUST_200600_302600_NS6detail15normal_iteratorINS8_10device_ptrIyEEEESD_jNS1_19radix_merge_compareILb0ELb1EyNS0_19identity_decomposerEEEEE10hipError_tT0_T1_T2_jT3_P12ihipStream_tbPNSt15iterator_traitsISI_E10value_typeEPNSO_ISJ_E10value_typeEPSK_NS1_7vsmem_tEENKUlT_SI_SJ_SK_E_clISD_PySD_S10_EESH_SX_SI_SJ_SK_EUlSX_E_NS1_11comp_targetILNS1_3genE9ELNS1_11target_archE1100ELNS1_3gpuE3ELNS1_3repE0EEENS1_48merge_mergepath_partition_config_static_selectorELNS0_4arch9wavefront6targetE1EEEvSJ_
	.p2align	8
	.type	_ZN7rocprim17ROCPRIM_400000_NS6detail17trampoline_kernelINS0_14default_configENS1_38merge_sort_block_merge_config_selectorIyyEEZZNS1_27merge_sort_block_merge_implIS3_N6thrust23THRUST_200600_302600_NS6detail15normal_iteratorINS8_10device_ptrIyEEEESD_jNS1_19radix_merge_compareILb0ELb1EyNS0_19identity_decomposerEEEEE10hipError_tT0_T1_T2_jT3_P12ihipStream_tbPNSt15iterator_traitsISI_E10value_typeEPNSO_ISJ_E10value_typeEPSK_NS1_7vsmem_tEENKUlT_SI_SJ_SK_E_clISD_PySD_S10_EESH_SX_SI_SJ_SK_EUlSX_E_NS1_11comp_targetILNS1_3genE9ELNS1_11target_archE1100ELNS1_3gpuE3ELNS1_3repE0EEENS1_48merge_mergepath_partition_config_static_selectorELNS0_4arch9wavefront6targetE1EEEvSJ_,@function
_ZN7rocprim17ROCPRIM_400000_NS6detail17trampoline_kernelINS0_14default_configENS1_38merge_sort_block_merge_config_selectorIyyEEZZNS1_27merge_sort_block_merge_implIS3_N6thrust23THRUST_200600_302600_NS6detail15normal_iteratorINS8_10device_ptrIyEEEESD_jNS1_19radix_merge_compareILb0ELb1EyNS0_19identity_decomposerEEEEE10hipError_tT0_T1_T2_jT3_P12ihipStream_tbPNSt15iterator_traitsISI_E10value_typeEPNSO_ISJ_E10value_typeEPSK_NS1_7vsmem_tEENKUlT_SI_SJ_SK_E_clISD_PySD_S10_EESH_SX_SI_SJ_SK_EUlSX_E_NS1_11comp_targetILNS1_3genE9ELNS1_11target_archE1100ELNS1_3gpuE3ELNS1_3repE0EEENS1_48merge_mergepath_partition_config_static_selectorELNS0_4arch9wavefront6targetE1EEEvSJ_: ; @_ZN7rocprim17ROCPRIM_400000_NS6detail17trampoline_kernelINS0_14default_configENS1_38merge_sort_block_merge_config_selectorIyyEEZZNS1_27merge_sort_block_merge_implIS3_N6thrust23THRUST_200600_302600_NS6detail15normal_iteratorINS8_10device_ptrIyEEEESD_jNS1_19radix_merge_compareILb0ELb1EyNS0_19identity_decomposerEEEEE10hipError_tT0_T1_T2_jT3_P12ihipStream_tbPNSt15iterator_traitsISI_E10value_typeEPNSO_ISJ_E10value_typeEPSK_NS1_7vsmem_tEENKUlT_SI_SJ_SK_E_clISD_PySD_S10_EESH_SX_SI_SJ_SK_EUlSX_E_NS1_11comp_targetILNS1_3genE9ELNS1_11target_archE1100ELNS1_3gpuE3ELNS1_3repE0EEENS1_48merge_mergepath_partition_config_static_selectorELNS0_4arch9wavefront6targetE1EEEvSJ_
; %bb.0:
	.section	.rodata,"a",@progbits
	.p2align	6, 0x0
	.amdhsa_kernel _ZN7rocprim17ROCPRIM_400000_NS6detail17trampoline_kernelINS0_14default_configENS1_38merge_sort_block_merge_config_selectorIyyEEZZNS1_27merge_sort_block_merge_implIS3_N6thrust23THRUST_200600_302600_NS6detail15normal_iteratorINS8_10device_ptrIyEEEESD_jNS1_19radix_merge_compareILb0ELb1EyNS0_19identity_decomposerEEEEE10hipError_tT0_T1_T2_jT3_P12ihipStream_tbPNSt15iterator_traitsISI_E10value_typeEPNSO_ISJ_E10value_typeEPSK_NS1_7vsmem_tEENKUlT_SI_SJ_SK_E_clISD_PySD_S10_EESH_SX_SI_SJ_SK_EUlSX_E_NS1_11comp_targetILNS1_3genE9ELNS1_11target_archE1100ELNS1_3gpuE3ELNS1_3repE0EEENS1_48merge_mergepath_partition_config_static_selectorELNS0_4arch9wavefront6targetE1EEEvSJ_
		.amdhsa_group_segment_fixed_size 0
		.amdhsa_private_segment_fixed_size 0
		.amdhsa_kernarg_size 40
		.amdhsa_user_sgpr_count 2
		.amdhsa_user_sgpr_dispatch_ptr 0
		.amdhsa_user_sgpr_queue_ptr 0
		.amdhsa_user_sgpr_kernarg_segment_ptr 1
		.amdhsa_user_sgpr_dispatch_id 0
		.amdhsa_user_sgpr_kernarg_preload_length 0
		.amdhsa_user_sgpr_kernarg_preload_offset 0
		.amdhsa_user_sgpr_private_segment_size 0
		.amdhsa_uses_dynamic_stack 0
		.amdhsa_enable_private_segment 0
		.amdhsa_system_sgpr_workgroup_id_x 1
		.amdhsa_system_sgpr_workgroup_id_y 0
		.amdhsa_system_sgpr_workgroup_id_z 0
		.amdhsa_system_sgpr_workgroup_info 0
		.amdhsa_system_vgpr_workitem_id 0
		.amdhsa_next_free_vgpr 1
		.amdhsa_next_free_sgpr 0
		.amdhsa_accum_offset 4
		.amdhsa_reserve_vcc 0
		.amdhsa_float_round_mode_32 0
		.amdhsa_float_round_mode_16_64 0
		.amdhsa_float_denorm_mode_32 3
		.amdhsa_float_denorm_mode_16_64 3
		.amdhsa_dx10_clamp 1
		.amdhsa_ieee_mode 1
		.amdhsa_fp16_overflow 0
		.amdhsa_tg_split 0
		.amdhsa_exception_fp_ieee_invalid_op 0
		.amdhsa_exception_fp_denorm_src 0
		.amdhsa_exception_fp_ieee_div_zero 0
		.amdhsa_exception_fp_ieee_overflow 0
		.amdhsa_exception_fp_ieee_underflow 0
		.amdhsa_exception_fp_ieee_inexact 0
		.amdhsa_exception_int_div_zero 0
	.end_amdhsa_kernel
	.section	.text._ZN7rocprim17ROCPRIM_400000_NS6detail17trampoline_kernelINS0_14default_configENS1_38merge_sort_block_merge_config_selectorIyyEEZZNS1_27merge_sort_block_merge_implIS3_N6thrust23THRUST_200600_302600_NS6detail15normal_iteratorINS8_10device_ptrIyEEEESD_jNS1_19radix_merge_compareILb0ELb1EyNS0_19identity_decomposerEEEEE10hipError_tT0_T1_T2_jT3_P12ihipStream_tbPNSt15iterator_traitsISI_E10value_typeEPNSO_ISJ_E10value_typeEPSK_NS1_7vsmem_tEENKUlT_SI_SJ_SK_E_clISD_PySD_S10_EESH_SX_SI_SJ_SK_EUlSX_E_NS1_11comp_targetILNS1_3genE9ELNS1_11target_archE1100ELNS1_3gpuE3ELNS1_3repE0EEENS1_48merge_mergepath_partition_config_static_selectorELNS0_4arch9wavefront6targetE1EEEvSJ_,"axG",@progbits,_ZN7rocprim17ROCPRIM_400000_NS6detail17trampoline_kernelINS0_14default_configENS1_38merge_sort_block_merge_config_selectorIyyEEZZNS1_27merge_sort_block_merge_implIS3_N6thrust23THRUST_200600_302600_NS6detail15normal_iteratorINS8_10device_ptrIyEEEESD_jNS1_19radix_merge_compareILb0ELb1EyNS0_19identity_decomposerEEEEE10hipError_tT0_T1_T2_jT3_P12ihipStream_tbPNSt15iterator_traitsISI_E10value_typeEPNSO_ISJ_E10value_typeEPSK_NS1_7vsmem_tEENKUlT_SI_SJ_SK_E_clISD_PySD_S10_EESH_SX_SI_SJ_SK_EUlSX_E_NS1_11comp_targetILNS1_3genE9ELNS1_11target_archE1100ELNS1_3gpuE3ELNS1_3repE0EEENS1_48merge_mergepath_partition_config_static_selectorELNS0_4arch9wavefront6targetE1EEEvSJ_,comdat
.Lfunc_end483:
	.size	_ZN7rocprim17ROCPRIM_400000_NS6detail17trampoline_kernelINS0_14default_configENS1_38merge_sort_block_merge_config_selectorIyyEEZZNS1_27merge_sort_block_merge_implIS3_N6thrust23THRUST_200600_302600_NS6detail15normal_iteratorINS8_10device_ptrIyEEEESD_jNS1_19radix_merge_compareILb0ELb1EyNS0_19identity_decomposerEEEEE10hipError_tT0_T1_T2_jT3_P12ihipStream_tbPNSt15iterator_traitsISI_E10value_typeEPNSO_ISJ_E10value_typeEPSK_NS1_7vsmem_tEENKUlT_SI_SJ_SK_E_clISD_PySD_S10_EESH_SX_SI_SJ_SK_EUlSX_E_NS1_11comp_targetILNS1_3genE9ELNS1_11target_archE1100ELNS1_3gpuE3ELNS1_3repE0EEENS1_48merge_mergepath_partition_config_static_selectorELNS0_4arch9wavefront6targetE1EEEvSJ_, .Lfunc_end483-_ZN7rocprim17ROCPRIM_400000_NS6detail17trampoline_kernelINS0_14default_configENS1_38merge_sort_block_merge_config_selectorIyyEEZZNS1_27merge_sort_block_merge_implIS3_N6thrust23THRUST_200600_302600_NS6detail15normal_iteratorINS8_10device_ptrIyEEEESD_jNS1_19radix_merge_compareILb0ELb1EyNS0_19identity_decomposerEEEEE10hipError_tT0_T1_T2_jT3_P12ihipStream_tbPNSt15iterator_traitsISI_E10value_typeEPNSO_ISJ_E10value_typeEPSK_NS1_7vsmem_tEENKUlT_SI_SJ_SK_E_clISD_PySD_S10_EESH_SX_SI_SJ_SK_EUlSX_E_NS1_11comp_targetILNS1_3genE9ELNS1_11target_archE1100ELNS1_3gpuE3ELNS1_3repE0EEENS1_48merge_mergepath_partition_config_static_selectorELNS0_4arch9wavefront6targetE1EEEvSJ_
                                        ; -- End function
	.set _ZN7rocprim17ROCPRIM_400000_NS6detail17trampoline_kernelINS0_14default_configENS1_38merge_sort_block_merge_config_selectorIyyEEZZNS1_27merge_sort_block_merge_implIS3_N6thrust23THRUST_200600_302600_NS6detail15normal_iteratorINS8_10device_ptrIyEEEESD_jNS1_19radix_merge_compareILb0ELb1EyNS0_19identity_decomposerEEEEE10hipError_tT0_T1_T2_jT3_P12ihipStream_tbPNSt15iterator_traitsISI_E10value_typeEPNSO_ISJ_E10value_typeEPSK_NS1_7vsmem_tEENKUlT_SI_SJ_SK_E_clISD_PySD_S10_EESH_SX_SI_SJ_SK_EUlSX_E_NS1_11comp_targetILNS1_3genE9ELNS1_11target_archE1100ELNS1_3gpuE3ELNS1_3repE0EEENS1_48merge_mergepath_partition_config_static_selectorELNS0_4arch9wavefront6targetE1EEEvSJ_.num_vgpr, 0
	.set _ZN7rocprim17ROCPRIM_400000_NS6detail17trampoline_kernelINS0_14default_configENS1_38merge_sort_block_merge_config_selectorIyyEEZZNS1_27merge_sort_block_merge_implIS3_N6thrust23THRUST_200600_302600_NS6detail15normal_iteratorINS8_10device_ptrIyEEEESD_jNS1_19radix_merge_compareILb0ELb1EyNS0_19identity_decomposerEEEEE10hipError_tT0_T1_T2_jT3_P12ihipStream_tbPNSt15iterator_traitsISI_E10value_typeEPNSO_ISJ_E10value_typeEPSK_NS1_7vsmem_tEENKUlT_SI_SJ_SK_E_clISD_PySD_S10_EESH_SX_SI_SJ_SK_EUlSX_E_NS1_11comp_targetILNS1_3genE9ELNS1_11target_archE1100ELNS1_3gpuE3ELNS1_3repE0EEENS1_48merge_mergepath_partition_config_static_selectorELNS0_4arch9wavefront6targetE1EEEvSJ_.num_agpr, 0
	.set _ZN7rocprim17ROCPRIM_400000_NS6detail17trampoline_kernelINS0_14default_configENS1_38merge_sort_block_merge_config_selectorIyyEEZZNS1_27merge_sort_block_merge_implIS3_N6thrust23THRUST_200600_302600_NS6detail15normal_iteratorINS8_10device_ptrIyEEEESD_jNS1_19radix_merge_compareILb0ELb1EyNS0_19identity_decomposerEEEEE10hipError_tT0_T1_T2_jT3_P12ihipStream_tbPNSt15iterator_traitsISI_E10value_typeEPNSO_ISJ_E10value_typeEPSK_NS1_7vsmem_tEENKUlT_SI_SJ_SK_E_clISD_PySD_S10_EESH_SX_SI_SJ_SK_EUlSX_E_NS1_11comp_targetILNS1_3genE9ELNS1_11target_archE1100ELNS1_3gpuE3ELNS1_3repE0EEENS1_48merge_mergepath_partition_config_static_selectorELNS0_4arch9wavefront6targetE1EEEvSJ_.numbered_sgpr, 0
	.set _ZN7rocprim17ROCPRIM_400000_NS6detail17trampoline_kernelINS0_14default_configENS1_38merge_sort_block_merge_config_selectorIyyEEZZNS1_27merge_sort_block_merge_implIS3_N6thrust23THRUST_200600_302600_NS6detail15normal_iteratorINS8_10device_ptrIyEEEESD_jNS1_19radix_merge_compareILb0ELb1EyNS0_19identity_decomposerEEEEE10hipError_tT0_T1_T2_jT3_P12ihipStream_tbPNSt15iterator_traitsISI_E10value_typeEPNSO_ISJ_E10value_typeEPSK_NS1_7vsmem_tEENKUlT_SI_SJ_SK_E_clISD_PySD_S10_EESH_SX_SI_SJ_SK_EUlSX_E_NS1_11comp_targetILNS1_3genE9ELNS1_11target_archE1100ELNS1_3gpuE3ELNS1_3repE0EEENS1_48merge_mergepath_partition_config_static_selectorELNS0_4arch9wavefront6targetE1EEEvSJ_.num_named_barrier, 0
	.set _ZN7rocprim17ROCPRIM_400000_NS6detail17trampoline_kernelINS0_14default_configENS1_38merge_sort_block_merge_config_selectorIyyEEZZNS1_27merge_sort_block_merge_implIS3_N6thrust23THRUST_200600_302600_NS6detail15normal_iteratorINS8_10device_ptrIyEEEESD_jNS1_19radix_merge_compareILb0ELb1EyNS0_19identity_decomposerEEEEE10hipError_tT0_T1_T2_jT3_P12ihipStream_tbPNSt15iterator_traitsISI_E10value_typeEPNSO_ISJ_E10value_typeEPSK_NS1_7vsmem_tEENKUlT_SI_SJ_SK_E_clISD_PySD_S10_EESH_SX_SI_SJ_SK_EUlSX_E_NS1_11comp_targetILNS1_3genE9ELNS1_11target_archE1100ELNS1_3gpuE3ELNS1_3repE0EEENS1_48merge_mergepath_partition_config_static_selectorELNS0_4arch9wavefront6targetE1EEEvSJ_.private_seg_size, 0
	.set _ZN7rocprim17ROCPRIM_400000_NS6detail17trampoline_kernelINS0_14default_configENS1_38merge_sort_block_merge_config_selectorIyyEEZZNS1_27merge_sort_block_merge_implIS3_N6thrust23THRUST_200600_302600_NS6detail15normal_iteratorINS8_10device_ptrIyEEEESD_jNS1_19radix_merge_compareILb0ELb1EyNS0_19identity_decomposerEEEEE10hipError_tT0_T1_T2_jT3_P12ihipStream_tbPNSt15iterator_traitsISI_E10value_typeEPNSO_ISJ_E10value_typeEPSK_NS1_7vsmem_tEENKUlT_SI_SJ_SK_E_clISD_PySD_S10_EESH_SX_SI_SJ_SK_EUlSX_E_NS1_11comp_targetILNS1_3genE9ELNS1_11target_archE1100ELNS1_3gpuE3ELNS1_3repE0EEENS1_48merge_mergepath_partition_config_static_selectorELNS0_4arch9wavefront6targetE1EEEvSJ_.uses_vcc, 0
	.set _ZN7rocprim17ROCPRIM_400000_NS6detail17trampoline_kernelINS0_14default_configENS1_38merge_sort_block_merge_config_selectorIyyEEZZNS1_27merge_sort_block_merge_implIS3_N6thrust23THRUST_200600_302600_NS6detail15normal_iteratorINS8_10device_ptrIyEEEESD_jNS1_19radix_merge_compareILb0ELb1EyNS0_19identity_decomposerEEEEE10hipError_tT0_T1_T2_jT3_P12ihipStream_tbPNSt15iterator_traitsISI_E10value_typeEPNSO_ISJ_E10value_typeEPSK_NS1_7vsmem_tEENKUlT_SI_SJ_SK_E_clISD_PySD_S10_EESH_SX_SI_SJ_SK_EUlSX_E_NS1_11comp_targetILNS1_3genE9ELNS1_11target_archE1100ELNS1_3gpuE3ELNS1_3repE0EEENS1_48merge_mergepath_partition_config_static_selectorELNS0_4arch9wavefront6targetE1EEEvSJ_.uses_flat_scratch, 0
	.set _ZN7rocprim17ROCPRIM_400000_NS6detail17trampoline_kernelINS0_14default_configENS1_38merge_sort_block_merge_config_selectorIyyEEZZNS1_27merge_sort_block_merge_implIS3_N6thrust23THRUST_200600_302600_NS6detail15normal_iteratorINS8_10device_ptrIyEEEESD_jNS1_19radix_merge_compareILb0ELb1EyNS0_19identity_decomposerEEEEE10hipError_tT0_T1_T2_jT3_P12ihipStream_tbPNSt15iterator_traitsISI_E10value_typeEPNSO_ISJ_E10value_typeEPSK_NS1_7vsmem_tEENKUlT_SI_SJ_SK_E_clISD_PySD_S10_EESH_SX_SI_SJ_SK_EUlSX_E_NS1_11comp_targetILNS1_3genE9ELNS1_11target_archE1100ELNS1_3gpuE3ELNS1_3repE0EEENS1_48merge_mergepath_partition_config_static_selectorELNS0_4arch9wavefront6targetE1EEEvSJ_.has_dyn_sized_stack, 0
	.set _ZN7rocprim17ROCPRIM_400000_NS6detail17trampoline_kernelINS0_14default_configENS1_38merge_sort_block_merge_config_selectorIyyEEZZNS1_27merge_sort_block_merge_implIS3_N6thrust23THRUST_200600_302600_NS6detail15normal_iteratorINS8_10device_ptrIyEEEESD_jNS1_19radix_merge_compareILb0ELb1EyNS0_19identity_decomposerEEEEE10hipError_tT0_T1_T2_jT3_P12ihipStream_tbPNSt15iterator_traitsISI_E10value_typeEPNSO_ISJ_E10value_typeEPSK_NS1_7vsmem_tEENKUlT_SI_SJ_SK_E_clISD_PySD_S10_EESH_SX_SI_SJ_SK_EUlSX_E_NS1_11comp_targetILNS1_3genE9ELNS1_11target_archE1100ELNS1_3gpuE3ELNS1_3repE0EEENS1_48merge_mergepath_partition_config_static_selectorELNS0_4arch9wavefront6targetE1EEEvSJ_.has_recursion, 0
	.set _ZN7rocprim17ROCPRIM_400000_NS6detail17trampoline_kernelINS0_14default_configENS1_38merge_sort_block_merge_config_selectorIyyEEZZNS1_27merge_sort_block_merge_implIS3_N6thrust23THRUST_200600_302600_NS6detail15normal_iteratorINS8_10device_ptrIyEEEESD_jNS1_19radix_merge_compareILb0ELb1EyNS0_19identity_decomposerEEEEE10hipError_tT0_T1_T2_jT3_P12ihipStream_tbPNSt15iterator_traitsISI_E10value_typeEPNSO_ISJ_E10value_typeEPSK_NS1_7vsmem_tEENKUlT_SI_SJ_SK_E_clISD_PySD_S10_EESH_SX_SI_SJ_SK_EUlSX_E_NS1_11comp_targetILNS1_3genE9ELNS1_11target_archE1100ELNS1_3gpuE3ELNS1_3repE0EEENS1_48merge_mergepath_partition_config_static_selectorELNS0_4arch9wavefront6targetE1EEEvSJ_.has_indirect_call, 0
	.section	.AMDGPU.csdata,"",@progbits
; Kernel info:
; codeLenInByte = 0
; TotalNumSgprs: 6
; NumVgprs: 0
; NumAgprs: 0
; TotalNumVgprs: 0
; ScratchSize: 0
; MemoryBound: 0
; FloatMode: 240
; IeeeMode: 1
; LDSByteSize: 0 bytes/workgroup (compile time only)
; SGPRBlocks: 0
; VGPRBlocks: 0
; NumSGPRsForWavesPerEU: 6
; NumVGPRsForWavesPerEU: 1
; AccumOffset: 4
; Occupancy: 8
; WaveLimiterHint : 0
; COMPUTE_PGM_RSRC2:SCRATCH_EN: 0
; COMPUTE_PGM_RSRC2:USER_SGPR: 2
; COMPUTE_PGM_RSRC2:TRAP_HANDLER: 0
; COMPUTE_PGM_RSRC2:TGID_X_EN: 1
; COMPUTE_PGM_RSRC2:TGID_Y_EN: 0
; COMPUTE_PGM_RSRC2:TGID_Z_EN: 0
; COMPUTE_PGM_RSRC2:TIDIG_COMP_CNT: 0
; COMPUTE_PGM_RSRC3_GFX90A:ACCUM_OFFSET: 0
; COMPUTE_PGM_RSRC3_GFX90A:TG_SPLIT: 0
	.section	.text._ZN7rocprim17ROCPRIM_400000_NS6detail17trampoline_kernelINS0_14default_configENS1_38merge_sort_block_merge_config_selectorIyyEEZZNS1_27merge_sort_block_merge_implIS3_N6thrust23THRUST_200600_302600_NS6detail15normal_iteratorINS8_10device_ptrIyEEEESD_jNS1_19radix_merge_compareILb0ELb1EyNS0_19identity_decomposerEEEEE10hipError_tT0_T1_T2_jT3_P12ihipStream_tbPNSt15iterator_traitsISI_E10value_typeEPNSO_ISJ_E10value_typeEPSK_NS1_7vsmem_tEENKUlT_SI_SJ_SK_E_clISD_PySD_S10_EESH_SX_SI_SJ_SK_EUlSX_E_NS1_11comp_targetILNS1_3genE8ELNS1_11target_archE1030ELNS1_3gpuE2ELNS1_3repE0EEENS1_48merge_mergepath_partition_config_static_selectorELNS0_4arch9wavefront6targetE1EEEvSJ_,"axG",@progbits,_ZN7rocprim17ROCPRIM_400000_NS6detail17trampoline_kernelINS0_14default_configENS1_38merge_sort_block_merge_config_selectorIyyEEZZNS1_27merge_sort_block_merge_implIS3_N6thrust23THRUST_200600_302600_NS6detail15normal_iteratorINS8_10device_ptrIyEEEESD_jNS1_19radix_merge_compareILb0ELb1EyNS0_19identity_decomposerEEEEE10hipError_tT0_T1_T2_jT3_P12ihipStream_tbPNSt15iterator_traitsISI_E10value_typeEPNSO_ISJ_E10value_typeEPSK_NS1_7vsmem_tEENKUlT_SI_SJ_SK_E_clISD_PySD_S10_EESH_SX_SI_SJ_SK_EUlSX_E_NS1_11comp_targetILNS1_3genE8ELNS1_11target_archE1030ELNS1_3gpuE2ELNS1_3repE0EEENS1_48merge_mergepath_partition_config_static_selectorELNS0_4arch9wavefront6targetE1EEEvSJ_,comdat
	.protected	_ZN7rocprim17ROCPRIM_400000_NS6detail17trampoline_kernelINS0_14default_configENS1_38merge_sort_block_merge_config_selectorIyyEEZZNS1_27merge_sort_block_merge_implIS3_N6thrust23THRUST_200600_302600_NS6detail15normal_iteratorINS8_10device_ptrIyEEEESD_jNS1_19radix_merge_compareILb0ELb1EyNS0_19identity_decomposerEEEEE10hipError_tT0_T1_T2_jT3_P12ihipStream_tbPNSt15iterator_traitsISI_E10value_typeEPNSO_ISJ_E10value_typeEPSK_NS1_7vsmem_tEENKUlT_SI_SJ_SK_E_clISD_PySD_S10_EESH_SX_SI_SJ_SK_EUlSX_E_NS1_11comp_targetILNS1_3genE8ELNS1_11target_archE1030ELNS1_3gpuE2ELNS1_3repE0EEENS1_48merge_mergepath_partition_config_static_selectorELNS0_4arch9wavefront6targetE1EEEvSJ_ ; -- Begin function _ZN7rocprim17ROCPRIM_400000_NS6detail17trampoline_kernelINS0_14default_configENS1_38merge_sort_block_merge_config_selectorIyyEEZZNS1_27merge_sort_block_merge_implIS3_N6thrust23THRUST_200600_302600_NS6detail15normal_iteratorINS8_10device_ptrIyEEEESD_jNS1_19radix_merge_compareILb0ELb1EyNS0_19identity_decomposerEEEEE10hipError_tT0_T1_T2_jT3_P12ihipStream_tbPNSt15iterator_traitsISI_E10value_typeEPNSO_ISJ_E10value_typeEPSK_NS1_7vsmem_tEENKUlT_SI_SJ_SK_E_clISD_PySD_S10_EESH_SX_SI_SJ_SK_EUlSX_E_NS1_11comp_targetILNS1_3genE8ELNS1_11target_archE1030ELNS1_3gpuE2ELNS1_3repE0EEENS1_48merge_mergepath_partition_config_static_selectorELNS0_4arch9wavefront6targetE1EEEvSJ_
	.globl	_ZN7rocprim17ROCPRIM_400000_NS6detail17trampoline_kernelINS0_14default_configENS1_38merge_sort_block_merge_config_selectorIyyEEZZNS1_27merge_sort_block_merge_implIS3_N6thrust23THRUST_200600_302600_NS6detail15normal_iteratorINS8_10device_ptrIyEEEESD_jNS1_19radix_merge_compareILb0ELb1EyNS0_19identity_decomposerEEEEE10hipError_tT0_T1_T2_jT3_P12ihipStream_tbPNSt15iterator_traitsISI_E10value_typeEPNSO_ISJ_E10value_typeEPSK_NS1_7vsmem_tEENKUlT_SI_SJ_SK_E_clISD_PySD_S10_EESH_SX_SI_SJ_SK_EUlSX_E_NS1_11comp_targetILNS1_3genE8ELNS1_11target_archE1030ELNS1_3gpuE2ELNS1_3repE0EEENS1_48merge_mergepath_partition_config_static_selectorELNS0_4arch9wavefront6targetE1EEEvSJ_
	.p2align	8
	.type	_ZN7rocprim17ROCPRIM_400000_NS6detail17trampoline_kernelINS0_14default_configENS1_38merge_sort_block_merge_config_selectorIyyEEZZNS1_27merge_sort_block_merge_implIS3_N6thrust23THRUST_200600_302600_NS6detail15normal_iteratorINS8_10device_ptrIyEEEESD_jNS1_19radix_merge_compareILb0ELb1EyNS0_19identity_decomposerEEEEE10hipError_tT0_T1_T2_jT3_P12ihipStream_tbPNSt15iterator_traitsISI_E10value_typeEPNSO_ISJ_E10value_typeEPSK_NS1_7vsmem_tEENKUlT_SI_SJ_SK_E_clISD_PySD_S10_EESH_SX_SI_SJ_SK_EUlSX_E_NS1_11comp_targetILNS1_3genE8ELNS1_11target_archE1030ELNS1_3gpuE2ELNS1_3repE0EEENS1_48merge_mergepath_partition_config_static_selectorELNS0_4arch9wavefront6targetE1EEEvSJ_,@function
_ZN7rocprim17ROCPRIM_400000_NS6detail17trampoline_kernelINS0_14default_configENS1_38merge_sort_block_merge_config_selectorIyyEEZZNS1_27merge_sort_block_merge_implIS3_N6thrust23THRUST_200600_302600_NS6detail15normal_iteratorINS8_10device_ptrIyEEEESD_jNS1_19radix_merge_compareILb0ELb1EyNS0_19identity_decomposerEEEEE10hipError_tT0_T1_T2_jT3_P12ihipStream_tbPNSt15iterator_traitsISI_E10value_typeEPNSO_ISJ_E10value_typeEPSK_NS1_7vsmem_tEENKUlT_SI_SJ_SK_E_clISD_PySD_S10_EESH_SX_SI_SJ_SK_EUlSX_E_NS1_11comp_targetILNS1_3genE8ELNS1_11target_archE1030ELNS1_3gpuE2ELNS1_3repE0EEENS1_48merge_mergepath_partition_config_static_selectorELNS0_4arch9wavefront6targetE1EEEvSJ_: ; @_ZN7rocprim17ROCPRIM_400000_NS6detail17trampoline_kernelINS0_14default_configENS1_38merge_sort_block_merge_config_selectorIyyEEZZNS1_27merge_sort_block_merge_implIS3_N6thrust23THRUST_200600_302600_NS6detail15normal_iteratorINS8_10device_ptrIyEEEESD_jNS1_19radix_merge_compareILb0ELb1EyNS0_19identity_decomposerEEEEE10hipError_tT0_T1_T2_jT3_P12ihipStream_tbPNSt15iterator_traitsISI_E10value_typeEPNSO_ISJ_E10value_typeEPSK_NS1_7vsmem_tEENKUlT_SI_SJ_SK_E_clISD_PySD_S10_EESH_SX_SI_SJ_SK_EUlSX_E_NS1_11comp_targetILNS1_3genE8ELNS1_11target_archE1030ELNS1_3gpuE2ELNS1_3repE0EEENS1_48merge_mergepath_partition_config_static_selectorELNS0_4arch9wavefront6targetE1EEEvSJ_
; %bb.0:
	.section	.rodata,"a",@progbits
	.p2align	6, 0x0
	.amdhsa_kernel _ZN7rocprim17ROCPRIM_400000_NS6detail17trampoline_kernelINS0_14default_configENS1_38merge_sort_block_merge_config_selectorIyyEEZZNS1_27merge_sort_block_merge_implIS3_N6thrust23THRUST_200600_302600_NS6detail15normal_iteratorINS8_10device_ptrIyEEEESD_jNS1_19radix_merge_compareILb0ELb1EyNS0_19identity_decomposerEEEEE10hipError_tT0_T1_T2_jT3_P12ihipStream_tbPNSt15iterator_traitsISI_E10value_typeEPNSO_ISJ_E10value_typeEPSK_NS1_7vsmem_tEENKUlT_SI_SJ_SK_E_clISD_PySD_S10_EESH_SX_SI_SJ_SK_EUlSX_E_NS1_11comp_targetILNS1_3genE8ELNS1_11target_archE1030ELNS1_3gpuE2ELNS1_3repE0EEENS1_48merge_mergepath_partition_config_static_selectorELNS0_4arch9wavefront6targetE1EEEvSJ_
		.amdhsa_group_segment_fixed_size 0
		.amdhsa_private_segment_fixed_size 0
		.amdhsa_kernarg_size 40
		.amdhsa_user_sgpr_count 2
		.amdhsa_user_sgpr_dispatch_ptr 0
		.amdhsa_user_sgpr_queue_ptr 0
		.amdhsa_user_sgpr_kernarg_segment_ptr 1
		.amdhsa_user_sgpr_dispatch_id 0
		.amdhsa_user_sgpr_kernarg_preload_length 0
		.amdhsa_user_sgpr_kernarg_preload_offset 0
		.amdhsa_user_sgpr_private_segment_size 0
		.amdhsa_uses_dynamic_stack 0
		.amdhsa_enable_private_segment 0
		.amdhsa_system_sgpr_workgroup_id_x 1
		.amdhsa_system_sgpr_workgroup_id_y 0
		.amdhsa_system_sgpr_workgroup_id_z 0
		.amdhsa_system_sgpr_workgroup_info 0
		.amdhsa_system_vgpr_workitem_id 0
		.amdhsa_next_free_vgpr 1
		.amdhsa_next_free_sgpr 0
		.amdhsa_accum_offset 4
		.amdhsa_reserve_vcc 0
		.amdhsa_float_round_mode_32 0
		.amdhsa_float_round_mode_16_64 0
		.amdhsa_float_denorm_mode_32 3
		.amdhsa_float_denorm_mode_16_64 3
		.amdhsa_dx10_clamp 1
		.amdhsa_ieee_mode 1
		.amdhsa_fp16_overflow 0
		.amdhsa_tg_split 0
		.amdhsa_exception_fp_ieee_invalid_op 0
		.amdhsa_exception_fp_denorm_src 0
		.amdhsa_exception_fp_ieee_div_zero 0
		.amdhsa_exception_fp_ieee_overflow 0
		.amdhsa_exception_fp_ieee_underflow 0
		.amdhsa_exception_fp_ieee_inexact 0
		.amdhsa_exception_int_div_zero 0
	.end_amdhsa_kernel
	.section	.text._ZN7rocprim17ROCPRIM_400000_NS6detail17trampoline_kernelINS0_14default_configENS1_38merge_sort_block_merge_config_selectorIyyEEZZNS1_27merge_sort_block_merge_implIS3_N6thrust23THRUST_200600_302600_NS6detail15normal_iteratorINS8_10device_ptrIyEEEESD_jNS1_19radix_merge_compareILb0ELb1EyNS0_19identity_decomposerEEEEE10hipError_tT0_T1_T2_jT3_P12ihipStream_tbPNSt15iterator_traitsISI_E10value_typeEPNSO_ISJ_E10value_typeEPSK_NS1_7vsmem_tEENKUlT_SI_SJ_SK_E_clISD_PySD_S10_EESH_SX_SI_SJ_SK_EUlSX_E_NS1_11comp_targetILNS1_3genE8ELNS1_11target_archE1030ELNS1_3gpuE2ELNS1_3repE0EEENS1_48merge_mergepath_partition_config_static_selectorELNS0_4arch9wavefront6targetE1EEEvSJ_,"axG",@progbits,_ZN7rocprim17ROCPRIM_400000_NS6detail17trampoline_kernelINS0_14default_configENS1_38merge_sort_block_merge_config_selectorIyyEEZZNS1_27merge_sort_block_merge_implIS3_N6thrust23THRUST_200600_302600_NS6detail15normal_iteratorINS8_10device_ptrIyEEEESD_jNS1_19radix_merge_compareILb0ELb1EyNS0_19identity_decomposerEEEEE10hipError_tT0_T1_T2_jT3_P12ihipStream_tbPNSt15iterator_traitsISI_E10value_typeEPNSO_ISJ_E10value_typeEPSK_NS1_7vsmem_tEENKUlT_SI_SJ_SK_E_clISD_PySD_S10_EESH_SX_SI_SJ_SK_EUlSX_E_NS1_11comp_targetILNS1_3genE8ELNS1_11target_archE1030ELNS1_3gpuE2ELNS1_3repE0EEENS1_48merge_mergepath_partition_config_static_selectorELNS0_4arch9wavefront6targetE1EEEvSJ_,comdat
.Lfunc_end484:
	.size	_ZN7rocprim17ROCPRIM_400000_NS6detail17trampoline_kernelINS0_14default_configENS1_38merge_sort_block_merge_config_selectorIyyEEZZNS1_27merge_sort_block_merge_implIS3_N6thrust23THRUST_200600_302600_NS6detail15normal_iteratorINS8_10device_ptrIyEEEESD_jNS1_19radix_merge_compareILb0ELb1EyNS0_19identity_decomposerEEEEE10hipError_tT0_T1_T2_jT3_P12ihipStream_tbPNSt15iterator_traitsISI_E10value_typeEPNSO_ISJ_E10value_typeEPSK_NS1_7vsmem_tEENKUlT_SI_SJ_SK_E_clISD_PySD_S10_EESH_SX_SI_SJ_SK_EUlSX_E_NS1_11comp_targetILNS1_3genE8ELNS1_11target_archE1030ELNS1_3gpuE2ELNS1_3repE0EEENS1_48merge_mergepath_partition_config_static_selectorELNS0_4arch9wavefront6targetE1EEEvSJ_, .Lfunc_end484-_ZN7rocprim17ROCPRIM_400000_NS6detail17trampoline_kernelINS0_14default_configENS1_38merge_sort_block_merge_config_selectorIyyEEZZNS1_27merge_sort_block_merge_implIS3_N6thrust23THRUST_200600_302600_NS6detail15normal_iteratorINS8_10device_ptrIyEEEESD_jNS1_19radix_merge_compareILb0ELb1EyNS0_19identity_decomposerEEEEE10hipError_tT0_T1_T2_jT3_P12ihipStream_tbPNSt15iterator_traitsISI_E10value_typeEPNSO_ISJ_E10value_typeEPSK_NS1_7vsmem_tEENKUlT_SI_SJ_SK_E_clISD_PySD_S10_EESH_SX_SI_SJ_SK_EUlSX_E_NS1_11comp_targetILNS1_3genE8ELNS1_11target_archE1030ELNS1_3gpuE2ELNS1_3repE0EEENS1_48merge_mergepath_partition_config_static_selectorELNS0_4arch9wavefront6targetE1EEEvSJ_
                                        ; -- End function
	.set _ZN7rocprim17ROCPRIM_400000_NS6detail17trampoline_kernelINS0_14default_configENS1_38merge_sort_block_merge_config_selectorIyyEEZZNS1_27merge_sort_block_merge_implIS3_N6thrust23THRUST_200600_302600_NS6detail15normal_iteratorINS8_10device_ptrIyEEEESD_jNS1_19radix_merge_compareILb0ELb1EyNS0_19identity_decomposerEEEEE10hipError_tT0_T1_T2_jT3_P12ihipStream_tbPNSt15iterator_traitsISI_E10value_typeEPNSO_ISJ_E10value_typeEPSK_NS1_7vsmem_tEENKUlT_SI_SJ_SK_E_clISD_PySD_S10_EESH_SX_SI_SJ_SK_EUlSX_E_NS1_11comp_targetILNS1_3genE8ELNS1_11target_archE1030ELNS1_3gpuE2ELNS1_3repE0EEENS1_48merge_mergepath_partition_config_static_selectorELNS0_4arch9wavefront6targetE1EEEvSJ_.num_vgpr, 0
	.set _ZN7rocprim17ROCPRIM_400000_NS6detail17trampoline_kernelINS0_14default_configENS1_38merge_sort_block_merge_config_selectorIyyEEZZNS1_27merge_sort_block_merge_implIS3_N6thrust23THRUST_200600_302600_NS6detail15normal_iteratorINS8_10device_ptrIyEEEESD_jNS1_19radix_merge_compareILb0ELb1EyNS0_19identity_decomposerEEEEE10hipError_tT0_T1_T2_jT3_P12ihipStream_tbPNSt15iterator_traitsISI_E10value_typeEPNSO_ISJ_E10value_typeEPSK_NS1_7vsmem_tEENKUlT_SI_SJ_SK_E_clISD_PySD_S10_EESH_SX_SI_SJ_SK_EUlSX_E_NS1_11comp_targetILNS1_3genE8ELNS1_11target_archE1030ELNS1_3gpuE2ELNS1_3repE0EEENS1_48merge_mergepath_partition_config_static_selectorELNS0_4arch9wavefront6targetE1EEEvSJ_.num_agpr, 0
	.set _ZN7rocprim17ROCPRIM_400000_NS6detail17trampoline_kernelINS0_14default_configENS1_38merge_sort_block_merge_config_selectorIyyEEZZNS1_27merge_sort_block_merge_implIS3_N6thrust23THRUST_200600_302600_NS6detail15normal_iteratorINS8_10device_ptrIyEEEESD_jNS1_19radix_merge_compareILb0ELb1EyNS0_19identity_decomposerEEEEE10hipError_tT0_T1_T2_jT3_P12ihipStream_tbPNSt15iterator_traitsISI_E10value_typeEPNSO_ISJ_E10value_typeEPSK_NS1_7vsmem_tEENKUlT_SI_SJ_SK_E_clISD_PySD_S10_EESH_SX_SI_SJ_SK_EUlSX_E_NS1_11comp_targetILNS1_3genE8ELNS1_11target_archE1030ELNS1_3gpuE2ELNS1_3repE0EEENS1_48merge_mergepath_partition_config_static_selectorELNS0_4arch9wavefront6targetE1EEEvSJ_.numbered_sgpr, 0
	.set _ZN7rocprim17ROCPRIM_400000_NS6detail17trampoline_kernelINS0_14default_configENS1_38merge_sort_block_merge_config_selectorIyyEEZZNS1_27merge_sort_block_merge_implIS3_N6thrust23THRUST_200600_302600_NS6detail15normal_iteratorINS8_10device_ptrIyEEEESD_jNS1_19radix_merge_compareILb0ELb1EyNS0_19identity_decomposerEEEEE10hipError_tT0_T1_T2_jT3_P12ihipStream_tbPNSt15iterator_traitsISI_E10value_typeEPNSO_ISJ_E10value_typeEPSK_NS1_7vsmem_tEENKUlT_SI_SJ_SK_E_clISD_PySD_S10_EESH_SX_SI_SJ_SK_EUlSX_E_NS1_11comp_targetILNS1_3genE8ELNS1_11target_archE1030ELNS1_3gpuE2ELNS1_3repE0EEENS1_48merge_mergepath_partition_config_static_selectorELNS0_4arch9wavefront6targetE1EEEvSJ_.num_named_barrier, 0
	.set _ZN7rocprim17ROCPRIM_400000_NS6detail17trampoline_kernelINS0_14default_configENS1_38merge_sort_block_merge_config_selectorIyyEEZZNS1_27merge_sort_block_merge_implIS3_N6thrust23THRUST_200600_302600_NS6detail15normal_iteratorINS8_10device_ptrIyEEEESD_jNS1_19radix_merge_compareILb0ELb1EyNS0_19identity_decomposerEEEEE10hipError_tT0_T1_T2_jT3_P12ihipStream_tbPNSt15iterator_traitsISI_E10value_typeEPNSO_ISJ_E10value_typeEPSK_NS1_7vsmem_tEENKUlT_SI_SJ_SK_E_clISD_PySD_S10_EESH_SX_SI_SJ_SK_EUlSX_E_NS1_11comp_targetILNS1_3genE8ELNS1_11target_archE1030ELNS1_3gpuE2ELNS1_3repE0EEENS1_48merge_mergepath_partition_config_static_selectorELNS0_4arch9wavefront6targetE1EEEvSJ_.private_seg_size, 0
	.set _ZN7rocprim17ROCPRIM_400000_NS6detail17trampoline_kernelINS0_14default_configENS1_38merge_sort_block_merge_config_selectorIyyEEZZNS1_27merge_sort_block_merge_implIS3_N6thrust23THRUST_200600_302600_NS6detail15normal_iteratorINS8_10device_ptrIyEEEESD_jNS1_19radix_merge_compareILb0ELb1EyNS0_19identity_decomposerEEEEE10hipError_tT0_T1_T2_jT3_P12ihipStream_tbPNSt15iterator_traitsISI_E10value_typeEPNSO_ISJ_E10value_typeEPSK_NS1_7vsmem_tEENKUlT_SI_SJ_SK_E_clISD_PySD_S10_EESH_SX_SI_SJ_SK_EUlSX_E_NS1_11comp_targetILNS1_3genE8ELNS1_11target_archE1030ELNS1_3gpuE2ELNS1_3repE0EEENS1_48merge_mergepath_partition_config_static_selectorELNS0_4arch9wavefront6targetE1EEEvSJ_.uses_vcc, 0
	.set _ZN7rocprim17ROCPRIM_400000_NS6detail17trampoline_kernelINS0_14default_configENS1_38merge_sort_block_merge_config_selectorIyyEEZZNS1_27merge_sort_block_merge_implIS3_N6thrust23THRUST_200600_302600_NS6detail15normal_iteratorINS8_10device_ptrIyEEEESD_jNS1_19radix_merge_compareILb0ELb1EyNS0_19identity_decomposerEEEEE10hipError_tT0_T1_T2_jT3_P12ihipStream_tbPNSt15iterator_traitsISI_E10value_typeEPNSO_ISJ_E10value_typeEPSK_NS1_7vsmem_tEENKUlT_SI_SJ_SK_E_clISD_PySD_S10_EESH_SX_SI_SJ_SK_EUlSX_E_NS1_11comp_targetILNS1_3genE8ELNS1_11target_archE1030ELNS1_3gpuE2ELNS1_3repE0EEENS1_48merge_mergepath_partition_config_static_selectorELNS0_4arch9wavefront6targetE1EEEvSJ_.uses_flat_scratch, 0
	.set _ZN7rocprim17ROCPRIM_400000_NS6detail17trampoline_kernelINS0_14default_configENS1_38merge_sort_block_merge_config_selectorIyyEEZZNS1_27merge_sort_block_merge_implIS3_N6thrust23THRUST_200600_302600_NS6detail15normal_iteratorINS8_10device_ptrIyEEEESD_jNS1_19radix_merge_compareILb0ELb1EyNS0_19identity_decomposerEEEEE10hipError_tT0_T1_T2_jT3_P12ihipStream_tbPNSt15iterator_traitsISI_E10value_typeEPNSO_ISJ_E10value_typeEPSK_NS1_7vsmem_tEENKUlT_SI_SJ_SK_E_clISD_PySD_S10_EESH_SX_SI_SJ_SK_EUlSX_E_NS1_11comp_targetILNS1_3genE8ELNS1_11target_archE1030ELNS1_3gpuE2ELNS1_3repE0EEENS1_48merge_mergepath_partition_config_static_selectorELNS0_4arch9wavefront6targetE1EEEvSJ_.has_dyn_sized_stack, 0
	.set _ZN7rocprim17ROCPRIM_400000_NS6detail17trampoline_kernelINS0_14default_configENS1_38merge_sort_block_merge_config_selectorIyyEEZZNS1_27merge_sort_block_merge_implIS3_N6thrust23THRUST_200600_302600_NS6detail15normal_iteratorINS8_10device_ptrIyEEEESD_jNS1_19radix_merge_compareILb0ELb1EyNS0_19identity_decomposerEEEEE10hipError_tT0_T1_T2_jT3_P12ihipStream_tbPNSt15iterator_traitsISI_E10value_typeEPNSO_ISJ_E10value_typeEPSK_NS1_7vsmem_tEENKUlT_SI_SJ_SK_E_clISD_PySD_S10_EESH_SX_SI_SJ_SK_EUlSX_E_NS1_11comp_targetILNS1_3genE8ELNS1_11target_archE1030ELNS1_3gpuE2ELNS1_3repE0EEENS1_48merge_mergepath_partition_config_static_selectorELNS0_4arch9wavefront6targetE1EEEvSJ_.has_recursion, 0
	.set _ZN7rocprim17ROCPRIM_400000_NS6detail17trampoline_kernelINS0_14default_configENS1_38merge_sort_block_merge_config_selectorIyyEEZZNS1_27merge_sort_block_merge_implIS3_N6thrust23THRUST_200600_302600_NS6detail15normal_iteratorINS8_10device_ptrIyEEEESD_jNS1_19radix_merge_compareILb0ELb1EyNS0_19identity_decomposerEEEEE10hipError_tT0_T1_T2_jT3_P12ihipStream_tbPNSt15iterator_traitsISI_E10value_typeEPNSO_ISJ_E10value_typeEPSK_NS1_7vsmem_tEENKUlT_SI_SJ_SK_E_clISD_PySD_S10_EESH_SX_SI_SJ_SK_EUlSX_E_NS1_11comp_targetILNS1_3genE8ELNS1_11target_archE1030ELNS1_3gpuE2ELNS1_3repE0EEENS1_48merge_mergepath_partition_config_static_selectorELNS0_4arch9wavefront6targetE1EEEvSJ_.has_indirect_call, 0
	.section	.AMDGPU.csdata,"",@progbits
; Kernel info:
; codeLenInByte = 0
; TotalNumSgprs: 6
; NumVgprs: 0
; NumAgprs: 0
; TotalNumVgprs: 0
; ScratchSize: 0
; MemoryBound: 0
; FloatMode: 240
; IeeeMode: 1
; LDSByteSize: 0 bytes/workgroup (compile time only)
; SGPRBlocks: 0
; VGPRBlocks: 0
; NumSGPRsForWavesPerEU: 6
; NumVGPRsForWavesPerEU: 1
; AccumOffset: 4
; Occupancy: 8
; WaveLimiterHint : 0
; COMPUTE_PGM_RSRC2:SCRATCH_EN: 0
; COMPUTE_PGM_RSRC2:USER_SGPR: 2
; COMPUTE_PGM_RSRC2:TRAP_HANDLER: 0
; COMPUTE_PGM_RSRC2:TGID_X_EN: 1
; COMPUTE_PGM_RSRC2:TGID_Y_EN: 0
; COMPUTE_PGM_RSRC2:TGID_Z_EN: 0
; COMPUTE_PGM_RSRC2:TIDIG_COMP_CNT: 0
; COMPUTE_PGM_RSRC3_GFX90A:ACCUM_OFFSET: 0
; COMPUTE_PGM_RSRC3_GFX90A:TG_SPLIT: 0
	.section	.text._ZN7rocprim17ROCPRIM_400000_NS6detail17trampoline_kernelINS0_14default_configENS1_38merge_sort_block_merge_config_selectorIyyEEZZNS1_27merge_sort_block_merge_implIS3_N6thrust23THRUST_200600_302600_NS6detail15normal_iteratorINS8_10device_ptrIyEEEESD_jNS1_19radix_merge_compareILb0ELb1EyNS0_19identity_decomposerEEEEE10hipError_tT0_T1_T2_jT3_P12ihipStream_tbPNSt15iterator_traitsISI_E10value_typeEPNSO_ISJ_E10value_typeEPSK_NS1_7vsmem_tEENKUlT_SI_SJ_SK_E_clISD_PySD_S10_EESH_SX_SI_SJ_SK_EUlSX_E0_NS1_11comp_targetILNS1_3genE0ELNS1_11target_archE4294967295ELNS1_3gpuE0ELNS1_3repE0EEENS1_38merge_mergepath_config_static_selectorELNS0_4arch9wavefront6targetE1EEEvSJ_,"axG",@progbits,_ZN7rocprim17ROCPRIM_400000_NS6detail17trampoline_kernelINS0_14default_configENS1_38merge_sort_block_merge_config_selectorIyyEEZZNS1_27merge_sort_block_merge_implIS3_N6thrust23THRUST_200600_302600_NS6detail15normal_iteratorINS8_10device_ptrIyEEEESD_jNS1_19radix_merge_compareILb0ELb1EyNS0_19identity_decomposerEEEEE10hipError_tT0_T1_T2_jT3_P12ihipStream_tbPNSt15iterator_traitsISI_E10value_typeEPNSO_ISJ_E10value_typeEPSK_NS1_7vsmem_tEENKUlT_SI_SJ_SK_E_clISD_PySD_S10_EESH_SX_SI_SJ_SK_EUlSX_E0_NS1_11comp_targetILNS1_3genE0ELNS1_11target_archE4294967295ELNS1_3gpuE0ELNS1_3repE0EEENS1_38merge_mergepath_config_static_selectorELNS0_4arch9wavefront6targetE1EEEvSJ_,comdat
	.protected	_ZN7rocprim17ROCPRIM_400000_NS6detail17trampoline_kernelINS0_14default_configENS1_38merge_sort_block_merge_config_selectorIyyEEZZNS1_27merge_sort_block_merge_implIS3_N6thrust23THRUST_200600_302600_NS6detail15normal_iteratorINS8_10device_ptrIyEEEESD_jNS1_19radix_merge_compareILb0ELb1EyNS0_19identity_decomposerEEEEE10hipError_tT0_T1_T2_jT3_P12ihipStream_tbPNSt15iterator_traitsISI_E10value_typeEPNSO_ISJ_E10value_typeEPSK_NS1_7vsmem_tEENKUlT_SI_SJ_SK_E_clISD_PySD_S10_EESH_SX_SI_SJ_SK_EUlSX_E0_NS1_11comp_targetILNS1_3genE0ELNS1_11target_archE4294967295ELNS1_3gpuE0ELNS1_3repE0EEENS1_38merge_mergepath_config_static_selectorELNS0_4arch9wavefront6targetE1EEEvSJ_ ; -- Begin function _ZN7rocprim17ROCPRIM_400000_NS6detail17trampoline_kernelINS0_14default_configENS1_38merge_sort_block_merge_config_selectorIyyEEZZNS1_27merge_sort_block_merge_implIS3_N6thrust23THRUST_200600_302600_NS6detail15normal_iteratorINS8_10device_ptrIyEEEESD_jNS1_19radix_merge_compareILb0ELb1EyNS0_19identity_decomposerEEEEE10hipError_tT0_T1_T2_jT3_P12ihipStream_tbPNSt15iterator_traitsISI_E10value_typeEPNSO_ISJ_E10value_typeEPSK_NS1_7vsmem_tEENKUlT_SI_SJ_SK_E_clISD_PySD_S10_EESH_SX_SI_SJ_SK_EUlSX_E0_NS1_11comp_targetILNS1_3genE0ELNS1_11target_archE4294967295ELNS1_3gpuE0ELNS1_3repE0EEENS1_38merge_mergepath_config_static_selectorELNS0_4arch9wavefront6targetE1EEEvSJ_
	.globl	_ZN7rocprim17ROCPRIM_400000_NS6detail17trampoline_kernelINS0_14default_configENS1_38merge_sort_block_merge_config_selectorIyyEEZZNS1_27merge_sort_block_merge_implIS3_N6thrust23THRUST_200600_302600_NS6detail15normal_iteratorINS8_10device_ptrIyEEEESD_jNS1_19radix_merge_compareILb0ELb1EyNS0_19identity_decomposerEEEEE10hipError_tT0_T1_T2_jT3_P12ihipStream_tbPNSt15iterator_traitsISI_E10value_typeEPNSO_ISJ_E10value_typeEPSK_NS1_7vsmem_tEENKUlT_SI_SJ_SK_E_clISD_PySD_S10_EESH_SX_SI_SJ_SK_EUlSX_E0_NS1_11comp_targetILNS1_3genE0ELNS1_11target_archE4294967295ELNS1_3gpuE0ELNS1_3repE0EEENS1_38merge_mergepath_config_static_selectorELNS0_4arch9wavefront6targetE1EEEvSJ_
	.p2align	8
	.type	_ZN7rocprim17ROCPRIM_400000_NS6detail17trampoline_kernelINS0_14default_configENS1_38merge_sort_block_merge_config_selectorIyyEEZZNS1_27merge_sort_block_merge_implIS3_N6thrust23THRUST_200600_302600_NS6detail15normal_iteratorINS8_10device_ptrIyEEEESD_jNS1_19radix_merge_compareILb0ELb1EyNS0_19identity_decomposerEEEEE10hipError_tT0_T1_T2_jT3_P12ihipStream_tbPNSt15iterator_traitsISI_E10value_typeEPNSO_ISJ_E10value_typeEPSK_NS1_7vsmem_tEENKUlT_SI_SJ_SK_E_clISD_PySD_S10_EESH_SX_SI_SJ_SK_EUlSX_E0_NS1_11comp_targetILNS1_3genE0ELNS1_11target_archE4294967295ELNS1_3gpuE0ELNS1_3repE0EEENS1_38merge_mergepath_config_static_selectorELNS0_4arch9wavefront6targetE1EEEvSJ_,@function
_ZN7rocprim17ROCPRIM_400000_NS6detail17trampoline_kernelINS0_14default_configENS1_38merge_sort_block_merge_config_selectorIyyEEZZNS1_27merge_sort_block_merge_implIS3_N6thrust23THRUST_200600_302600_NS6detail15normal_iteratorINS8_10device_ptrIyEEEESD_jNS1_19radix_merge_compareILb0ELb1EyNS0_19identity_decomposerEEEEE10hipError_tT0_T1_T2_jT3_P12ihipStream_tbPNSt15iterator_traitsISI_E10value_typeEPNSO_ISJ_E10value_typeEPSK_NS1_7vsmem_tEENKUlT_SI_SJ_SK_E_clISD_PySD_S10_EESH_SX_SI_SJ_SK_EUlSX_E0_NS1_11comp_targetILNS1_3genE0ELNS1_11target_archE4294967295ELNS1_3gpuE0ELNS1_3repE0EEENS1_38merge_mergepath_config_static_selectorELNS0_4arch9wavefront6targetE1EEEvSJ_: ; @_ZN7rocprim17ROCPRIM_400000_NS6detail17trampoline_kernelINS0_14default_configENS1_38merge_sort_block_merge_config_selectorIyyEEZZNS1_27merge_sort_block_merge_implIS3_N6thrust23THRUST_200600_302600_NS6detail15normal_iteratorINS8_10device_ptrIyEEEESD_jNS1_19radix_merge_compareILb0ELb1EyNS0_19identity_decomposerEEEEE10hipError_tT0_T1_T2_jT3_P12ihipStream_tbPNSt15iterator_traitsISI_E10value_typeEPNSO_ISJ_E10value_typeEPSK_NS1_7vsmem_tEENKUlT_SI_SJ_SK_E_clISD_PySD_S10_EESH_SX_SI_SJ_SK_EUlSX_E0_NS1_11comp_targetILNS1_3genE0ELNS1_11target_archE4294967295ELNS1_3gpuE0ELNS1_3repE0EEENS1_38merge_mergepath_config_static_selectorELNS0_4arch9wavefront6targetE1EEEvSJ_
; %bb.0:
	s_load_dwordx2 s[30:31], s[0:1], 0x48
	s_load_dword s5, s[0:1], 0x30
	s_add_u32 s26, s0, 0x48
	s_addc_u32 s27, s1, 0
	s_waitcnt lgkmcnt(0)
	s_mul_i32 s4, s31, s4
	s_add_i32 s3, s4, s3
	s_mul_i32 s3, s3, s30
	s_add_i32 s28, s3, s2
	s_cmp_ge_u32 s28, s5
	s_cbranch_scc1 .LBB485_39
; %bb.1:
	s_load_dwordx8 s[4:11], s[0:1], 0x10
	s_load_dwordx2 s[22:23], s[0:1], 0x8
	s_load_dwordx2 s[12:13], s[0:1], 0x40
	s_mov_b32 s29, 0
	s_mov_b32 s25, s29
	s_waitcnt lgkmcnt(0)
	s_lshr_b32 s31, s10, 10
	s_cmp_lg_u32 s28, s31
	s_cselect_b64 s[14:15], -1, 0
	s_lshl_b64 s[16:17], s[28:29], 2
	s_add_u32 s12, s12, s16
	s_addc_u32 s13, s13, s17
	s_lshr_b32 s3, s11, 9
	s_and_b32 s3, s3, 0x7ffffe
	s_load_dwordx2 s[16:17], s[12:13], 0x0
	s_sub_i32 s3, 0, s3
	s_and_b32 s13, s28, s3
	s_lshl_b32 s18, s13, 10
	s_lshl_b32 s12, s28, 10
	;; [unrolled: 1-line block ×3, first 2 shown]
	s_sub_i32 s19, s12, s18
	s_add_i32 s13, s13, s11
	s_add_i32 s19, s13, s19
	s_waitcnt lgkmcnt(0)
	s_sub_i32 s20, s19, s16
	s_sub_i32 s19, s19, s17
	;; [unrolled: 1-line block ×3, first 2 shown]
	s_min_u32 s24, s10, s20
	s_addk_i32 s19, 0x400
	s_or_b32 s3, s28, s3
	s_min_u32 s18, s10, s13
	s_add_i32 s13, s13, s11
	s_cmp_eq_u32 s3, -1
	s_cselect_b32 s3, s13, s19
	s_cselect_b32 s11, s18, s17
	s_mov_b32 s17, s29
	s_min_u32 s13, s3, s10
	s_sub_i32 s11, s11, s16
	s_lshl_b64 s[16:17], s[16:17], 3
	s_add_u32 s20, s22, s16
	s_addc_u32 s21, s23, s17
	s_lshl_b64 s[18:19], s[24:25], 3
	s_add_u32 s22, s22, s18
	s_addc_u32 s23, s23, s19
	s_cmp_lt_u32 s2, s30
	v_mov_b32_e32 v5, 0
	s_cselect_b32 s2, 12, 18
	global_load_dword v1, v5, s[26:27] offset:14
	s_add_u32 s2, s26, s2
	s_addc_u32 s3, s27, 0
	global_load_ushort v2, v5, s[2:3]
	s_cmp_eq_u32 s28, s31
	s_waitcnt vmcnt(1)
	v_lshrrev_b32_e32 v3, 16, v1
	v_and_b32_e32 v1, 0xffff, v1
	v_mul_lo_u32 v1, v1, v3
	s_waitcnt vmcnt(0)
	v_mul_lo_u32 v10, v1, v2
	v_lshlrev_b32_e32 v2, 3, v0
	v_add_u32_e32 v1, v10, v0
	s_cbranch_scc1 .LBB485_3
; %bb.2:
	v_mov_b32_e32 v3, v5
	v_subrev_co_u32_e32 v4, vcc, s11, v0
	v_lshl_add_u64 v[6:7], s[20:21], 0, v[2:3]
	v_lshl_add_u64 v[4:5], v[4:5], 3, s[22:23]
	v_cndmask_b32_e32 v5, v5, v7, vcc
	v_cndmask_b32_e32 v4, v4, v6, vcc
	global_load_dwordx2 v[4:5], v[4:5], off
	v_add_u32_e32 v8, v10, v0
	s_mov_b64 s[2:3], -1
	s_sub_i32 s13, s13, s24
	s_cbranch_execz .LBB485_4
	s_branch .LBB485_7
.LBB485_3:
	s_mov_b64 s[2:3], 0
                                        ; implicit-def: $vgpr8
                                        ; implicit-def: $vgpr4_vgpr5
	s_sub_i32 s13, s13, s24
.LBB485_4:
	s_add_i32 s24, s13, s11
	v_cmp_gt_u32_e32 vcc, s24, v0
	s_waitcnt vmcnt(0)
	v_mov_b64_e32 v[4:5], 0
	s_and_saveexec_b64 s[2:3], vcc
	s_cbranch_execz .LBB485_6
; %bb.5:
	v_mov_b32_e32 v3, 0
	v_subrev_co_u32_e32 v6, vcc, s11, v0
	v_mov_b32_e32 v7, v3
	v_lshl_add_u64 v[4:5], s[20:21], 0, v[2:3]
	v_lshl_add_u64 v[6:7], v[6:7], 3, s[22:23]
	v_cndmask_b32_e32 v5, v7, v5, vcc
	v_cndmask_b32_e32 v4, v6, v4, vcc
	global_load_dwordx2 v[4:5], v[4:5], off
.LBB485_6:
	s_or_b64 exec, exec, s[2:3]
	v_add_u32_e32 v8, v10, v0
	v_cmp_gt_u32_e64 s[2:3], s24, v8
.LBB485_7:
	v_mov_b64_e32 v[6:7], 0
	s_and_saveexec_b64 s[24:25], s[2:3]
	s_cbranch_execz .LBB485_9
; %bb.8:
	v_mov_b32_e32 v7, 0
	v_mov_b32_e32 v9, v7
	v_subrev_co_u32_e32 v6, vcc, s11, v8
	v_lshl_add_u64 v[12:13], v[8:9], 3, s[20:21]
	v_lshl_add_u64 v[6:7], v[6:7], 3, s[22:23]
	v_cndmask_b32_e32 v7, v7, v13, vcc
	v_cndmask_b32_e32 v6, v6, v12, vcc
	global_load_dwordx2 v[6:7], v[6:7], off
.LBB485_9:
	s_or_b64 exec, exec, s[24:25]
	s_add_u32 s2, s6, s16
	s_addc_u32 s3, s7, s17
	s_add_u32 s16, s6, s18
	v_mov_b32_e32 v9, 0
	s_addc_u32 s17, s7, s19
	s_andn2_b64 vcc, exec, s[14:15]
	s_waitcnt vmcnt(0)
	ds_write2st64_b64 v2, v[4:5], v[6:7] offset1:8
	s_cbranch_vccnz .LBB485_11
; %bb.10:
	v_mov_b32_e32 v3, v9
	v_subrev_co_u32_e32 v8, vcc, s11, v0
	v_lshl_add_u64 v[12:13], s[2:3], 0, v[2:3]
	v_lshl_add_u64 v[8:9], v[8:9], 3, s[16:17]
	v_cndmask_b32_e32 v9, v9, v13, vcc
	v_cndmask_b32_e32 v8, v8, v12, vcc
	global_load_dwordx2 v[8:9], v[8:9], off
	s_add_i32 s20, s13, s11
	v_add_u32_e32 v12, v10, v0
	s_mov_b64 s[18:19], -1
	v_mov_b32_e32 v3, s20
	s_cbranch_execz .LBB485_12
	s_branch .LBB485_15
.LBB485_11:
	s_mov_b64 s[18:19], 0
                                        ; implicit-def: $vgpr12
                                        ; implicit-def: $vgpr8_vgpr9
                                        ; implicit-def: $vgpr3
.LBB485_12:
	s_add_i32 s20, s13, s11
	v_cmp_gt_u32_e32 vcc, s20, v0
	s_waitcnt vmcnt(0)
	v_mov_b64_e32 v[8:9], 0
	s_and_saveexec_b64 s[6:7], vcc
	s_cbranch_execz .LBB485_14
; %bb.13:
	v_mov_b32_e32 v3, 0
	v_subrev_co_u32_e32 v10, vcc, s11, v0
	v_mov_b32_e32 v11, v3
	v_lshl_add_u64 v[8:9], s[2:3], 0, v[2:3]
	v_lshl_add_u64 v[10:11], v[10:11], 3, s[16:17]
	v_cndmask_b32_e32 v9, v11, v9, vcc
	v_cndmask_b32_e32 v8, v10, v8, vcc
	global_load_dwordx2 v[8:9], v[8:9], off
.LBB485_14:
	s_or_b64 exec, exec, s[6:7]
	v_cmp_gt_u32_e64 s[18:19], s20, v1
	v_mov_b32_e32 v3, s20
	v_mov_b32_e32 v12, v1
.LBB485_15:
	s_load_dwordx2 s[6:7], s[0:1], 0x38
	v_mov_b64_e32 v[10:11], 0
	s_and_saveexec_b64 s[0:1], s[18:19]
	s_cbranch_execz .LBB485_17
; %bb.16:
	v_mov_b32_e32 v11, 0
	v_mov_b32_e32 v13, v11
	v_subrev_co_u32_e32 v10, vcc, s11, v12
	v_lshl_add_u64 v[14:15], v[12:13], 3, s[2:3]
	v_lshl_add_u64 v[10:11], v[10:11], 3, s[16:17]
	v_cndmask_b32_e32 v11, v11, v15, vcc
	v_cndmask_b32_e32 v10, v10, v14, vcc
	global_load_dwordx2 v[10:11], v[10:11], off
.LBB485_17:
	s_or_b64 exec, exec, s[0:1]
	v_lshlrev_b32_e32 v1, 1, v0
	v_min_u32_e32 v12, v3, v1
	v_sub_u32_e64 v14, v12, s13 clamp
	v_min_u32_e32 v13, s11, v12
	v_cmp_lt_u32_e32 vcc, v14, v13
	s_waitcnt lgkmcnt(0)
	s_barrier
	s_and_saveexec_b64 s[0:1], vcc
	s_cbranch_execz .LBB485_21
; %bb.18:
	v_lshlrev_b32_e32 v15, 3, v12
	v_lshl_add_u32 v15, s11, 3, v15
	s_mov_b64 s[2:3], 0
.LBB485_19:                             ; =>This Inner Loop Header: Depth=1
	v_add_u32_e32 v16, v13, v14
	v_lshrrev_b32_e32 v20, 1, v16
	v_not_b32_e32 v18, v20
	v_lshlrev_b32_e32 v16, 3, v20
	v_lshl_add_u32 v18, v18, 3, v15
	ds_read_b64 v[16:17], v16
	ds_read_b64 v[18:19], v18
	v_add_u32_e32 v21, 1, v20
	s_waitcnt lgkmcnt(1)
	v_and_b32_e32 v17, s7, v17
	v_and_b32_e32 v16, s6, v16
	s_waitcnt lgkmcnt(0)
	v_and_b32_e32 v19, s7, v19
	v_and_b32_e32 v18, s6, v18
	v_cmp_gt_u64_e32 vcc, v[16:17], v[18:19]
	s_nop 1
	v_cndmask_b32_e32 v13, v13, v20, vcc
	v_cndmask_b32_e32 v14, v21, v14, vcc
	v_cmp_ge_u32_e32 vcc, v14, v13
	s_or_b64 s[2:3], vcc, s[2:3]
	s_andn2_b64 exec, exec, s[2:3]
	s_cbranch_execnz .LBB485_19
; %bb.20:
	s_or_b64 exec, exec, s[2:3]
.LBB485_21:
	s_or_b64 exec, exec, s[0:1]
	v_sub_u32_e32 v12, v12, v14
	v_add_u32_e32 v15, s11, v12
	v_cmp_ge_u32_e32 vcc, s11, v14
	v_cmp_le_u32_e64 s[0:1], v15, v3
	s_or_b64 s[0:1], vcc, s[0:1]
	v_mov_b32_e32 v12, 0
	v_mov_b32_e32 v16, 0
	s_and_saveexec_b64 s[16:17], s[0:1]
	s_cbranch_execz .LBB485_27
; %bb.22:
	v_cmp_gt_u32_e32 vcc, s11, v14
                                        ; implicit-def: $vgpr6_vgpr7
	s_and_saveexec_b64 s[0:1], vcc
; %bb.23:
	v_lshlrev_b32_e32 v4, 3, v14
	ds_read_b64 v[6:7], v4
; %bb.24:
	s_or_b64 exec, exec, s[0:1]
	v_cmp_ge_u32_e64 s[0:1], v15, v3
	v_cmp_lt_u32_e64 s[2:3], v15, v3
                                        ; implicit-def: $vgpr12_vgpr13
	s_and_saveexec_b64 s[18:19], s[2:3]
; %bb.25:
	v_lshlrev_b32_e32 v4, 3, v15
	ds_read_b64 v[12:13], v4
; %bb.26:
	s_or_b64 exec, exec, s[18:19]
	s_waitcnt lgkmcnt(0)
	v_and_b32_e32 v5, s7, v13
	v_and_b32_e32 v4, s6, v12
	;; [unrolled: 1-line block ×4, first 2 shown]
	v_cmp_le_u64_e64 s[2:3], v[16:17], v[4:5]
	s_and_b64 s[2:3], vcc, s[2:3]
	s_or_b64 vcc, s[0:1], s[2:3]
	v_mov_b32_e32 v4, s11
	v_cndmask_b32_e32 v16, v15, v14, vcc
	v_cndmask_b32_e32 v4, v3, v4, vcc
	v_add_u32_e32 v17, 1, v16
	v_add_u32_e32 v4, -1, v4
	v_min_u32_e32 v4, v17, v4
	v_lshlrev_b32_e32 v4, 3, v4
	ds_read_b64 v[18:19], v4
	v_cndmask_b32_e32 v5, v13, v7, vcc
	v_cndmask_b32_e32 v4, v12, v6, vcc
	;; [unrolled: 1-line block ×4, first 2 shown]
	s_waitcnt lgkmcnt(0)
	v_cndmask_b32_e32 v20, v19, v13, vcc
	v_cndmask_b32_e32 v21, v18, v12, vcc
	;; [unrolled: 1-line block ×4, first 2 shown]
	v_and_b32_e32 v7, s7, v20
	v_and_b32_e32 v6, s6, v21
	;; [unrolled: 1-line block ×4, first 2 shown]
	v_cmp_gt_u32_e64 s[0:1], s11, v14
	v_cmp_le_u64_e64 s[2:3], v[12:13], v[6:7]
	v_cmp_ge_u32_e32 vcc, v15, v3
	s_and_b64 s[0:1], s[0:1], s[2:3]
	s_or_b64 vcc, vcc, s[0:1]
	v_cndmask_b32_e32 v12, v15, v14, vcc
	v_cndmask_b32_e32 v7, v20, v19, vcc
	;; [unrolled: 1-line block ×3, first 2 shown]
.LBB485_27:
	s_or_b64 exec, exec, s[16:17]
	s_barrier
	s_waitcnt vmcnt(0)
	ds_write2st64_b64 v2, v[8:9], v[10:11] offset1:8
	v_lshlrev_b32_e32 v3, 3, v16
	v_lshlrev_b32_e32 v10, 3, v12
	s_waitcnt lgkmcnt(0)
	s_barrier
	ds_read_b64 v[8:9], v3
	ds_read_b64 v[10:11], v10
	v_lshrrev_b32_e32 v3, 1, v0
	s_mov_b32 s13, 0
	v_and_b32_e32 v3, 0xf8, v3
	v_or_b32_e32 v14, 0x200, v0
	s_lshl_b64 s[2:3], s[12:13], 3
	v_lshl_add_u32 v12, v1, 3, v3
	v_lshrrev_b32_e32 v3, 2, v14
	s_add_u32 s0, s4, s2
	v_lshrrev_b32_e32 v1, 2, v0
	v_and_b32_e32 v3, 0xf8, v3
	s_addc_u32 s1, s5, s3
	v_and_b32_e32 v1, 0x78, v1
	v_add_u32_e32 v13, v3, v2
	v_mov_b32_e32 v3, 0
	s_waitcnt lgkmcnt(0)
	s_barrier
	s_barrier
	ds_write2_b64 v12, v[4:5], v[6:7] offset1:1
	v_add_u32_e32 v1, v1, v2
	v_lshl_add_u64 v[4:5], s[0:1], 0, v[2:3]
	s_and_b64 vcc, exec, s[14:15]
	s_waitcnt lgkmcnt(0)
	s_cbranch_vccz .LBB485_29
; %bb.28:
	s_barrier
	ds_read_b64 v[6:7], v1
	ds_read_b64 v[16:17], v13 offset:4096
	s_add_u32 s0, s8, s2
	s_addc_u32 s1, s9, s3
	s_mov_b64 s[4:5], -1
	s_waitcnt lgkmcnt(1)
	global_store_dwordx2 v[4:5], v[6:7], off
	v_add_co_u32_e32 v6, vcc, 0x1000, v4
	s_nop 1
	v_addc_co_u32_e32 v7, vcc, 0, v5, vcc
	s_waitcnt lgkmcnt(0)
	global_store_dwordx2 v[6:7], v[16:17], off
	s_barrier
	ds_write2_b64 v12, v[8:9], v[10:11] offset1:1
	s_waitcnt lgkmcnt(0)
	s_barrier
	ds_read_b64 v[16:17], v1
	ds_read_b64 v[6:7], v13 offset:4096
	s_waitcnt lgkmcnt(1)
	global_store_dwordx2 v2, v[16:17], s[0:1]
	s_cbranch_execz .LBB485_30
	s_branch .LBB485_37
.LBB485_29:
	s_mov_b64 s[4:5], 0
                                        ; implicit-def: $vgpr6_vgpr7
.LBB485_30:
	s_barrier
	s_waitcnt lgkmcnt(0)
	ds_read_b64 v[6:7], v13 offset:4096
	s_sub_i32 s6, s10, s12
	v_cmp_gt_u32_e64 s[0:1], s6, v0
	s_and_saveexec_b64 s[4:5], s[0:1]
	s_cbranch_execz .LBB485_32
; %bb.31:
	ds_read_b64 v[16:17], v1
	s_waitcnt lgkmcnt(0)
	global_store_dwordx2 v[4:5], v[16:17], off
.LBB485_32:
	s_or_b64 exec, exec, s[4:5]
	v_cmp_gt_u32_e64 s[4:5], s6, v14
	s_and_saveexec_b64 s[6:7], s[4:5]
	s_cbranch_execz .LBB485_34
; %bb.33:
	v_add_co_u32_e32 v4, vcc, 0x1000, v4
	s_nop 1
	v_addc_co_u32_e32 v5, vcc, 0, v5, vcc
	s_waitcnt lgkmcnt(0)
	global_store_dwordx2 v[4:5], v[6:7], off
.LBB485_34:
	s_or_b64 exec, exec, s[6:7]
	s_waitcnt lgkmcnt(0)
	s_barrier
	ds_write2_b64 v12, v[8:9], v[10:11] offset1:1
	s_waitcnt lgkmcnt(0)
	s_barrier
	ds_read_b64 v[6:7], v13 offset:4096
	s_and_saveexec_b64 s[6:7], s[0:1]
	s_cbranch_execz .LBB485_36
; %bb.35:
	ds_read_b64 v[0:1], v1
	s_add_u32 s0, s8, s2
	s_addc_u32 s1, s9, s3
	s_waitcnt lgkmcnt(0)
	global_store_dwordx2 v2, v[0:1], s[0:1]
.LBB485_36:
	s_or_b64 exec, exec, s[6:7]
.LBB485_37:
	s_and_saveexec_b64 s[0:1], s[4:5]
	s_cbranch_execz .LBB485_39
; %bb.38:
	s_add_u32 s0, s8, s2
	s_addc_u32 s1, s9, s3
	v_mov_b32_e32 v3, 0
	v_lshl_add_u64 v[0:1], s[0:1], 0, v[2:3]
	v_add_co_u32_e32 v0, vcc, 0x1000, v0
	s_nop 1
	v_addc_co_u32_e32 v1, vcc, 0, v1, vcc
	s_waitcnt lgkmcnt(0)
	global_store_dwordx2 v[0:1], v[6:7], off
.LBB485_39:
	s_endpgm
	.section	.rodata,"a",@progbits
	.p2align	6, 0x0
	.amdhsa_kernel _ZN7rocprim17ROCPRIM_400000_NS6detail17trampoline_kernelINS0_14default_configENS1_38merge_sort_block_merge_config_selectorIyyEEZZNS1_27merge_sort_block_merge_implIS3_N6thrust23THRUST_200600_302600_NS6detail15normal_iteratorINS8_10device_ptrIyEEEESD_jNS1_19radix_merge_compareILb0ELb1EyNS0_19identity_decomposerEEEEE10hipError_tT0_T1_T2_jT3_P12ihipStream_tbPNSt15iterator_traitsISI_E10value_typeEPNSO_ISJ_E10value_typeEPSK_NS1_7vsmem_tEENKUlT_SI_SJ_SK_E_clISD_PySD_S10_EESH_SX_SI_SJ_SK_EUlSX_E0_NS1_11comp_targetILNS1_3genE0ELNS1_11target_archE4294967295ELNS1_3gpuE0ELNS1_3repE0EEENS1_38merge_mergepath_config_static_selectorELNS0_4arch9wavefront6targetE1EEEvSJ_
		.amdhsa_group_segment_fixed_size 8448
		.amdhsa_private_segment_fixed_size 0
		.amdhsa_kernarg_size 328
		.amdhsa_user_sgpr_count 2
		.amdhsa_user_sgpr_dispatch_ptr 0
		.amdhsa_user_sgpr_queue_ptr 0
		.amdhsa_user_sgpr_kernarg_segment_ptr 1
		.amdhsa_user_sgpr_dispatch_id 0
		.amdhsa_user_sgpr_kernarg_preload_length 0
		.amdhsa_user_sgpr_kernarg_preload_offset 0
		.amdhsa_user_sgpr_private_segment_size 0
		.amdhsa_uses_dynamic_stack 0
		.amdhsa_enable_private_segment 0
		.amdhsa_system_sgpr_workgroup_id_x 1
		.amdhsa_system_sgpr_workgroup_id_y 1
		.amdhsa_system_sgpr_workgroup_id_z 1
		.amdhsa_system_sgpr_workgroup_info 0
		.amdhsa_system_vgpr_workitem_id 0
		.amdhsa_next_free_vgpr 22
		.amdhsa_next_free_sgpr 32
		.amdhsa_accum_offset 24
		.amdhsa_reserve_vcc 1
		.amdhsa_float_round_mode_32 0
		.amdhsa_float_round_mode_16_64 0
		.amdhsa_float_denorm_mode_32 3
		.amdhsa_float_denorm_mode_16_64 3
		.amdhsa_dx10_clamp 1
		.amdhsa_ieee_mode 1
		.amdhsa_fp16_overflow 0
		.amdhsa_tg_split 0
		.amdhsa_exception_fp_ieee_invalid_op 0
		.amdhsa_exception_fp_denorm_src 0
		.amdhsa_exception_fp_ieee_div_zero 0
		.amdhsa_exception_fp_ieee_overflow 0
		.amdhsa_exception_fp_ieee_underflow 0
		.amdhsa_exception_fp_ieee_inexact 0
		.amdhsa_exception_int_div_zero 0
	.end_amdhsa_kernel
	.section	.text._ZN7rocprim17ROCPRIM_400000_NS6detail17trampoline_kernelINS0_14default_configENS1_38merge_sort_block_merge_config_selectorIyyEEZZNS1_27merge_sort_block_merge_implIS3_N6thrust23THRUST_200600_302600_NS6detail15normal_iteratorINS8_10device_ptrIyEEEESD_jNS1_19radix_merge_compareILb0ELb1EyNS0_19identity_decomposerEEEEE10hipError_tT0_T1_T2_jT3_P12ihipStream_tbPNSt15iterator_traitsISI_E10value_typeEPNSO_ISJ_E10value_typeEPSK_NS1_7vsmem_tEENKUlT_SI_SJ_SK_E_clISD_PySD_S10_EESH_SX_SI_SJ_SK_EUlSX_E0_NS1_11comp_targetILNS1_3genE0ELNS1_11target_archE4294967295ELNS1_3gpuE0ELNS1_3repE0EEENS1_38merge_mergepath_config_static_selectorELNS0_4arch9wavefront6targetE1EEEvSJ_,"axG",@progbits,_ZN7rocprim17ROCPRIM_400000_NS6detail17trampoline_kernelINS0_14default_configENS1_38merge_sort_block_merge_config_selectorIyyEEZZNS1_27merge_sort_block_merge_implIS3_N6thrust23THRUST_200600_302600_NS6detail15normal_iteratorINS8_10device_ptrIyEEEESD_jNS1_19radix_merge_compareILb0ELb1EyNS0_19identity_decomposerEEEEE10hipError_tT0_T1_T2_jT3_P12ihipStream_tbPNSt15iterator_traitsISI_E10value_typeEPNSO_ISJ_E10value_typeEPSK_NS1_7vsmem_tEENKUlT_SI_SJ_SK_E_clISD_PySD_S10_EESH_SX_SI_SJ_SK_EUlSX_E0_NS1_11comp_targetILNS1_3genE0ELNS1_11target_archE4294967295ELNS1_3gpuE0ELNS1_3repE0EEENS1_38merge_mergepath_config_static_selectorELNS0_4arch9wavefront6targetE1EEEvSJ_,comdat
.Lfunc_end485:
	.size	_ZN7rocprim17ROCPRIM_400000_NS6detail17trampoline_kernelINS0_14default_configENS1_38merge_sort_block_merge_config_selectorIyyEEZZNS1_27merge_sort_block_merge_implIS3_N6thrust23THRUST_200600_302600_NS6detail15normal_iteratorINS8_10device_ptrIyEEEESD_jNS1_19radix_merge_compareILb0ELb1EyNS0_19identity_decomposerEEEEE10hipError_tT0_T1_T2_jT3_P12ihipStream_tbPNSt15iterator_traitsISI_E10value_typeEPNSO_ISJ_E10value_typeEPSK_NS1_7vsmem_tEENKUlT_SI_SJ_SK_E_clISD_PySD_S10_EESH_SX_SI_SJ_SK_EUlSX_E0_NS1_11comp_targetILNS1_3genE0ELNS1_11target_archE4294967295ELNS1_3gpuE0ELNS1_3repE0EEENS1_38merge_mergepath_config_static_selectorELNS0_4arch9wavefront6targetE1EEEvSJ_, .Lfunc_end485-_ZN7rocprim17ROCPRIM_400000_NS6detail17trampoline_kernelINS0_14default_configENS1_38merge_sort_block_merge_config_selectorIyyEEZZNS1_27merge_sort_block_merge_implIS3_N6thrust23THRUST_200600_302600_NS6detail15normal_iteratorINS8_10device_ptrIyEEEESD_jNS1_19radix_merge_compareILb0ELb1EyNS0_19identity_decomposerEEEEE10hipError_tT0_T1_T2_jT3_P12ihipStream_tbPNSt15iterator_traitsISI_E10value_typeEPNSO_ISJ_E10value_typeEPSK_NS1_7vsmem_tEENKUlT_SI_SJ_SK_E_clISD_PySD_S10_EESH_SX_SI_SJ_SK_EUlSX_E0_NS1_11comp_targetILNS1_3genE0ELNS1_11target_archE4294967295ELNS1_3gpuE0ELNS1_3repE0EEENS1_38merge_mergepath_config_static_selectorELNS0_4arch9wavefront6targetE1EEEvSJ_
                                        ; -- End function
	.set _ZN7rocprim17ROCPRIM_400000_NS6detail17trampoline_kernelINS0_14default_configENS1_38merge_sort_block_merge_config_selectorIyyEEZZNS1_27merge_sort_block_merge_implIS3_N6thrust23THRUST_200600_302600_NS6detail15normal_iteratorINS8_10device_ptrIyEEEESD_jNS1_19radix_merge_compareILb0ELb1EyNS0_19identity_decomposerEEEEE10hipError_tT0_T1_T2_jT3_P12ihipStream_tbPNSt15iterator_traitsISI_E10value_typeEPNSO_ISJ_E10value_typeEPSK_NS1_7vsmem_tEENKUlT_SI_SJ_SK_E_clISD_PySD_S10_EESH_SX_SI_SJ_SK_EUlSX_E0_NS1_11comp_targetILNS1_3genE0ELNS1_11target_archE4294967295ELNS1_3gpuE0ELNS1_3repE0EEENS1_38merge_mergepath_config_static_selectorELNS0_4arch9wavefront6targetE1EEEvSJ_.num_vgpr, 22
	.set _ZN7rocprim17ROCPRIM_400000_NS6detail17trampoline_kernelINS0_14default_configENS1_38merge_sort_block_merge_config_selectorIyyEEZZNS1_27merge_sort_block_merge_implIS3_N6thrust23THRUST_200600_302600_NS6detail15normal_iteratorINS8_10device_ptrIyEEEESD_jNS1_19radix_merge_compareILb0ELb1EyNS0_19identity_decomposerEEEEE10hipError_tT0_T1_T2_jT3_P12ihipStream_tbPNSt15iterator_traitsISI_E10value_typeEPNSO_ISJ_E10value_typeEPSK_NS1_7vsmem_tEENKUlT_SI_SJ_SK_E_clISD_PySD_S10_EESH_SX_SI_SJ_SK_EUlSX_E0_NS1_11comp_targetILNS1_3genE0ELNS1_11target_archE4294967295ELNS1_3gpuE0ELNS1_3repE0EEENS1_38merge_mergepath_config_static_selectorELNS0_4arch9wavefront6targetE1EEEvSJ_.num_agpr, 0
	.set _ZN7rocprim17ROCPRIM_400000_NS6detail17trampoline_kernelINS0_14default_configENS1_38merge_sort_block_merge_config_selectorIyyEEZZNS1_27merge_sort_block_merge_implIS3_N6thrust23THRUST_200600_302600_NS6detail15normal_iteratorINS8_10device_ptrIyEEEESD_jNS1_19radix_merge_compareILb0ELb1EyNS0_19identity_decomposerEEEEE10hipError_tT0_T1_T2_jT3_P12ihipStream_tbPNSt15iterator_traitsISI_E10value_typeEPNSO_ISJ_E10value_typeEPSK_NS1_7vsmem_tEENKUlT_SI_SJ_SK_E_clISD_PySD_S10_EESH_SX_SI_SJ_SK_EUlSX_E0_NS1_11comp_targetILNS1_3genE0ELNS1_11target_archE4294967295ELNS1_3gpuE0ELNS1_3repE0EEENS1_38merge_mergepath_config_static_selectorELNS0_4arch9wavefront6targetE1EEEvSJ_.numbered_sgpr, 32
	.set _ZN7rocprim17ROCPRIM_400000_NS6detail17trampoline_kernelINS0_14default_configENS1_38merge_sort_block_merge_config_selectorIyyEEZZNS1_27merge_sort_block_merge_implIS3_N6thrust23THRUST_200600_302600_NS6detail15normal_iteratorINS8_10device_ptrIyEEEESD_jNS1_19radix_merge_compareILb0ELb1EyNS0_19identity_decomposerEEEEE10hipError_tT0_T1_T2_jT3_P12ihipStream_tbPNSt15iterator_traitsISI_E10value_typeEPNSO_ISJ_E10value_typeEPSK_NS1_7vsmem_tEENKUlT_SI_SJ_SK_E_clISD_PySD_S10_EESH_SX_SI_SJ_SK_EUlSX_E0_NS1_11comp_targetILNS1_3genE0ELNS1_11target_archE4294967295ELNS1_3gpuE0ELNS1_3repE0EEENS1_38merge_mergepath_config_static_selectorELNS0_4arch9wavefront6targetE1EEEvSJ_.num_named_barrier, 0
	.set _ZN7rocprim17ROCPRIM_400000_NS6detail17trampoline_kernelINS0_14default_configENS1_38merge_sort_block_merge_config_selectorIyyEEZZNS1_27merge_sort_block_merge_implIS3_N6thrust23THRUST_200600_302600_NS6detail15normal_iteratorINS8_10device_ptrIyEEEESD_jNS1_19radix_merge_compareILb0ELb1EyNS0_19identity_decomposerEEEEE10hipError_tT0_T1_T2_jT3_P12ihipStream_tbPNSt15iterator_traitsISI_E10value_typeEPNSO_ISJ_E10value_typeEPSK_NS1_7vsmem_tEENKUlT_SI_SJ_SK_E_clISD_PySD_S10_EESH_SX_SI_SJ_SK_EUlSX_E0_NS1_11comp_targetILNS1_3genE0ELNS1_11target_archE4294967295ELNS1_3gpuE0ELNS1_3repE0EEENS1_38merge_mergepath_config_static_selectorELNS0_4arch9wavefront6targetE1EEEvSJ_.private_seg_size, 0
	.set _ZN7rocprim17ROCPRIM_400000_NS6detail17trampoline_kernelINS0_14default_configENS1_38merge_sort_block_merge_config_selectorIyyEEZZNS1_27merge_sort_block_merge_implIS3_N6thrust23THRUST_200600_302600_NS6detail15normal_iteratorINS8_10device_ptrIyEEEESD_jNS1_19radix_merge_compareILb0ELb1EyNS0_19identity_decomposerEEEEE10hipError_tT0_T1_T2_jT3_P12ihipStream_tbPNSt15iterator_traitsISI_E10value_typeEPNSO_ISJ_E10value_typeEPSK_NS1_7vsmem_tEENKUlT_SI_SJ_SK_E_clISD_PySD_S10_EESH_SX_SI_SJ_SK_EUlSX_E0_NS1_11comp_targetILNS1_3genE0ELNS1_11target_archE4294967295ELNS1_3gpuE0ELNS1_3repE0EEENS1_38merge_mergepath_config_static_selectorELNS0_4arch9wavefront6targetE1EEEvSJ_.uses_vcc, 1
	.set _ZN7rocprim17ROCPRIM_400000_NS6detail17trampoline_kernelINS0_14default_configENS1_38merge_sort_block_merge_config_selectorIyyEEZZNS1_27merge_sort_block_merge_implIS3_N6thrust23THRUST_200600_302600_NS6detail15normal_iteratorINS8_10device_ptrIyEEEESD_jNS1_19radix_merge_compareILb0ELb1EyNS0_19identity_decomposerEEEEE10hipError_tT0_T1_T2_jT3_P12ihipStream_tbPNSt15iterator_traitsISI_E10value_typeEPNSO_ISJ_E10value_typeEPSK_NS1_7vsmem_tEENKUlT_SI_SJ_SK_E_clISD_PySD_S10_EESH_SX_SI_SJ_SK_EUlSX_E0_NS1_11comp_targetILNS1_3genE0ELNS1_11target_archE4294967295ELNS1_3gpuE0ELNS1_3repE0EEENS1_38merge_mergepath_config_static_selectorELNS0_4arch9wavefront6targetE1EEEvSJ_.uses_flat_scratch, 0
	.set _ZN7rocprim17ROCPRIM_400000_NS6detail17trampoline_kernelINS0_14default_configENS1_38merge_sort_block_merge_config_selectorIyyEEZZNS1_27merge_sort_block_merge_implIS3_N6thrust23THRUST_200600_302600_NS6detail15normal_iteratorINS8_10device_ptrIyEEEESD_jNS1_19radix_merge_compareILb0ELb1EyNS0_19identity_decomposerEEEEE10hipError_tT0_T1_T2_jT3_P12ihipStream_tbPNSt15iterator_traitsISI_E10value_typeEPNSO_ISJ_E10value_typeEPSK_NS1_7vsmem_tEENKUlT_SI_SJ_SK_E_clISD_PySD_S10_EESH_SX_SI_SJ_SK_EUlSX_E0_NS1_11comp_targetILNS1_3genE0ELNS1_11target_archE4294967295ELNS1_3gpuE0ELNS1_3repE0EEENS1_38merge_mergepath_config_static_selectorELNS0_4arch9wavefront6targetE1EEEvSJ_.has_dyn_sized_stack, 0
	.set _ZN7rocprim17ROCPRIM_400000_NS6detail17trampoline_kernelINS0_14default_configENS1_38merge_sort_block_merge_config_selectorIyyEEZZNS1_27merge_sort_block_merge_implIS3_N6thrust23THRUST_200600_302600_NS6detail15normal_iteratorINS8_10device_ptrIyEEEESD_jNS1_19radix_merge_compareILb0ELb1EyNS0_19identity_decomposerEEEEE10hipError_tT0_T1_T2_jT3_P12ihipStream_tbPNSt15iterator_traitsISI_E10value_typeEPNSO_ISJ_E10value_typeEPSK_NS1_7vsmem_tEENKUlT_SI_SJ_SK_E_clISD_PySD_S10_EESH_SX_SI_SJ_SK_EUlSX_E0_NS1_11comp_targetILNS1_3genE0ELNS1_11target_archE4294967295ELNS1_3gpuE0ELNS1_3repE0EEENS1_38merge_mergepath_config_static_selectorELNS0_4arch9wavefront6targetE1EEEvSJ_.has_recursion, 0
	.set _ZN7rocprim17ROCPRIM_400000_NS6detail17trampoline_kernelINS0_14default_configENS1_38merge_sort_block_merge_config_selectorIyyEEZZNS1_27merge_sort_block_merge_implIS3_N6thrust23THRUST_200600_302600_NS6detail15normal_iteratorINS8_10device_ptrIyEEEESD_jNS1_19radix_merge_compareILb0ELb1EyNS0_19identity_decomposerEEEEE10hipError_tT0_T1_T2_jT3_P12ihipStream_tbPNSt15iterator_traitsISI_E10value_typeEPNSO_ISJ_E10value_typeEPSK_NS1_7vsmem_tEENKUlT_SI_SJ_SK_E_clISD_PySD_S10_EESH_SX_SI_SJ_SK_EUlSX_E0_NS1_11comp_targetILNS1_3genE0ELNS1_11target_archE4294967295ELNS1_3gpuE0ELNS1_3repE0EEENS1_38merge_mergepath_config_static_selectorELNS0_4arch9wavefront6targetE1EEEvSJ_.has_indirect_call, 0
	.section	.AMDGPU.csdata,"",@progbits
; Kernel info:
; codeLenInByte = 1788
; TotalNumSgprs: 38
; NumVgprs: 22
; NumAgprs: 0
; TotalNumVgprs: 22
; ScratchSize: 0
; MemoryBound: 0
; FloatMode: 240
; IeeeMode: 1
; LDSByteSize: 8448 bytes/workgroup (compile time only)
; SGPRBlocks: 4
; VGPRBlocks: 2
; NumSGPRsForWavesPerEU: 38
; NumVGPRsForWavesPerEU: 22
; AccumOffset: 24
; Occupancy: 8
; WaveLimiterHint : 1
; COMPUTE_PGM_RSRC2:SCRATCH_EN: 0
; COMPUTE_PGM_RSRC2:USER_SGPR: 2
; COMPUTE_PGM_RSRC2:TRAP_HANDLER: 0
; COMPUTE_PGM_RSRC2:TGID_X_EN: 1
; COMPUTE_PGM_RSRC2:TGID_Y_EN: 1
; COMPUTE_PGM_RSRC2:TGID_Z_EN: 1
; COMPUTE_PGM_RSRC2:TIDIG_COMP_CNT: 0
; COMPUTE_PGM_RSRC3_GFX90A:ACCUM_OFFSET: 5
; COMPUTE_PGM_RSRC3_GFX90A:TG_SPLIT: 0
	.section	.text._ZN7rocprim17ROCPRIM_400000_NS6detail17trampoline_kernelINS0_14default_configENS1_38merge_sort_block_merge_config_selectorIyyEEZZNS1_27merge_sort_block_merge_implIS3_N6thrust23THRUST_200600_302600_NS6detail15normal_iteratorINS8_10device_ptrIyEEEESD_jNS1_19radix_merge_compareILb0ELb1EyNS0_19identity_decomposerEEEEE10hipError_tT0_T1_T2_jT3_P12ihipStream_tbPNSt15iterator_traitsISI_E10value_typeEPNSO_ISJ_E10value_typeEPSK_NS1_7vsmem_tEENKUlT_SI_SJ_SK_E_clISD_PySD_S10_EESH_SX_SI_SJ_SK_EUlSX_E0_NS1_11comp_targetILNS1_3genE10ELNS1_11target_archE1201ELNS1_3gpuE5ELNS1_3repE0EEENS1_38merge_mergepath_config_static_selectorELNS0_4arch9wavefront6targetE1EEEvSJ_,"axG",@progbits,_ZN7rocprim17ROCPRIM_400000_NS6detail17trampoline_kernelINS0_14default_configENS1_38merge_sort_block_merge_config_selectorIyyEEZZNS1_27merge_sort_block_merge_implIS3_N6thrust23THRUST_200600_302600_NS6detail15normal_iteratorINS8_10device_ptrIyEEEESD_jNS1_19radix_merge_compareILb0ELb1EyNS0_19identity_decomposerEEEEE10hipError_tT0_T1_T2_jT3_P12ihipStream_tbPNSt15iterator_traitsISI_E10value_typeEPNSO_ISJ_E10value_typeEPSK_NS1_7vsmem_tEENKUlT_SI_SJ_SK_E_clISD_PySD_S10_EESH_SX_SI_SJ_SK_EUlSX_E0_NS1_11comp_targetILNS1_3genE10ELNS1_11target_archE1201ELNS1_3gpuE5ELNS1_3repE0EEENS1_38merge_mergepath_config_static_selectorELNS0_4arch9wavefront6targetE1EEEvSJ_,comdat
	.protected	_ZN7rocprim17ROCPRIM_400000_NS6detail17trampoline_kernelINS0_14default_configENS1_38merge_sort_block_merge_config_selectorIyyEEZZNS1_27merge_sort_block_merge_implIS3_N6thrust23THRUST_200600_302600_NS6detail15normal_iteratorINS8_10device_ptrIyEEEESD_jNS1_19radix_merge_compareILb0ELb1EyNS0_19identity_decomposerEEEEE10hipError_tT0_T1_T2_jT3_P12ihipStream_tbPNSt15iterator_traitsISI_E10value_typeEPNSO_ISJ_E10value_typeEPSK_NS1_7vsmem_tEENKUlT_SI_SJ_SK_E_clISD_PySD_S10_EESH_SX_SI_SJ_SK_EUlSX_E0_NS1_11comp_targetILNS1_3genE10ELNS1_11target_archE1201ELNS1_3gpuE5ELNS1_3repE0EEENS1_38merge_mergepath_config_static_selectorELNS0_4arch9wavefront6targetE1EEEvSJ_ ; -- Begin function _ZN7rocprim17ROCPRIM_400000_NS6detail17trampoline_kernelINS0_14default_configENS1_38merge_sort_block_merge_config_selectorIyyEEZZNS1_27merge_sort_block_merge_implIS3_N6thrust23THRUST_200600_302600_NS6detail15normal_iteratorINS8_10device_ptrIyEEEESD_jNS1_19radix_merge_compareILb0ELb1EyNS0_19identity_decomposerEEEEE10hipError_tT0_T1_T2_jT3_P12ihipStream_tbPNSt15iterator_traitsISI_E10value_typeEPNSO_ISJ_E10value_typeEPSK_NS1_7vsmem_tEENKUlT_SI_SJ_SK_E_clISD_PySD_S10_EESH_SX_SI_SJ_SK_EUlSX_E0_NS1_11comp_targetILNS1_3genE10ELNS1_11target_archE1201ELNS1_3gpuE5ELNS1_3repE0EEENS1_38merge_mergepath_config_static_selectorELNS0_4arch9wavefront6targetE1EEEvSJ_
	.globl	_ZN7rocprim17ROCPRIM_400000_NS6detail17trampoline_kernelINS0_14default_configENS1_38merge_sort_block_merge_config_selectorIyyEEZZNS1_27merge_sort_block_merge_implIS3_N6thrust23THRUST_200600_302600_NS6detail15normal_iteratorINS8_10device_ptrIyEEEESD_jNS1_19radix_merge_compareILb0ELb1EyNS0_19identity_decomposerEEEEE10hipError_tT0_T1_T2_jT3_P12ihipStream_tbPNSt15iterator_traitsISI_E10value_typeEPNSO_ISJ_E10value_typeEPSK_NS1_7vsmem_tEENKUlT_SI_SJ_SK_E_clISD_PySD_S10_EESH_SX_SI_SJ_SK_EUlSX_E0_NS1_11comp_targetILNS1_3genE10ELNS1_11target_archE1201ELNS1_3gpuE5ELNS1_3repE0EEENS1_38merge_mergepath_config_static_selectorELNS0_4arch9wavefront6targetE1EEEvSJ_
	.p2align	8
	.type	_ZN7rocprim17ROCPRIM_400000_NS6detail17trampoline_kernelINS0_14default_configENS1_38merge_sort_block_merge_config_selectorIyyEEZZNS1_27merge_sort_block_merge_implIS3_N6thrust23THRUST_200600_302600_NS6detail15normal_iteratorINS8_10device_ptrIyEEEESD_jNS1_19radix_merge_compareILb0ELb1EyNS0_19identity_decomposerEEEEE10hipError_tT0_T1_T2_jT3_P12ihipStream_tbPNSt15iterator_traitsISI_E10value_typeEPNSO_ISJ_E10value_typeEPSK_NS1_7vsmem_tEENKUlT_SI_SJ_SK_E_clISD_PySD_S10_EESH_SX_SI_SJ_SK_EUlSX_E0_NS1_11comp_targetILNS1_3genE10ELNS1_11target_archE1201ELNS1_3gpuE5ELNS1_3repE0EEENS1_38merge_mergepath_config_static_selectorELNS0_4arch9wavefront6targetE1EEEvSJ_,@function
_ZN7rocprim17ROCPRIM_400000_NS6detail17trampoline_kernelINS0_14default_configENS1_38merge_sort_block_merge_config_selectorIyyEEZZNS1_27merge_sort_block_merge_implIS3_N6thrust23THRUST_200600_302600_NS6detail15normal_iteratorINS8_10device_ptrIyEEEESD_jNS1_19radix_merge_compareILb0ELb1EyNS0_19identity_decomposerEEEEE10hipError_tT0_T1_T2_jT3_P12ihipStream_tbPNSt15iterator_traitsISI_E10value_typeEPNSO_ISJ_E10value_typeEPSK_NS1_7vsmem_tEENKUlT_SI_SJ_SK_E_clISD_PySD_S10_EESH_SX_SI_SJ_SK_EUlSX_E0_NS1_11comp_targetILNS1_3genE10ELNS1_11target_archE1201ELNS1_3gpuE5ELNS1_3repE0EEENS1_38merge_mergepath_config_static_selectorELNS0_4arch9wavefront6targetE1EEEvSJ_: ; @_ZN7rocprim17ROCPRIM_400000_NS6detail17trampoline_kernelINS0_14default_configENS1_38merge_sort_block_merge_config_selectorIyyEEZZNS1_27merge_sort_block_merge_implIS3_N6thrust23THRUST_200600_302600_NS6detail15normal_iteratorINS8_10device_ptrIyEEEESD_jNS1_19radix_merge_compareILb0ELb1EyNS0_19identity_decomposerEEEEE10hipError_tT0_T1_T2_jT3_P12ihipStream_tbPNSt15iterator_traitsISI_E10value_typeEPNSO_ISJ_E10value_typeEPSK_NS1_7vsmem_tEENKUlT_SI_SJ_SK_E_clISD_PySD_S10_EESH_SX_SI_SJ_SK_EUlSX_E0_NS1_11comp_targetILNS1_3genE10ELNS1_11target_archE1201ELNS1_3gpuE5ELNS1_3repE0EEENS1_38merge_mergepath_config_static_selectorELNS0_4arch9wavefront6targetE1EEEvSJ_
; %bb.0:
	.section	.rodata,"a",@progbits
	.p2align	6, 0x0
	.amdhsa_kernel _ZN7rocprim17ROCPRIM_400000_NS6detail17trampoline_kernelINS0_14default_configENS1_38merge_sort_block_merge_config_selectorIyyEEZZNS1_27merge_sort_block_merge_implIS3_N6thrust23THRUST_200600_302600_NS6detail15normal_iteratorINS8_10device_ptrIyEEEESD_jNS1_19radix_merge_compareILb0ELb1EyNS0_19identity_decomposerEEEEE10hipError_tT0_T1_T2_jT3_P12ihipStream_tbPNSt15iterator_traitsISI_E10value_typeEPNSO_ISJ_E10value_typeEPSK_NS1_7vsmem_tEENKUlT_SI_SJ_SK_E_clISD_PySD_S10_EESH_SX_SI_SJ_SK_EUlSX_E0_NS1_11comp_targetILNS1_3genE10ELNS1_11target_archE1201ELNS1_3gpuE5ELNS1_3repE0EEENS1_38merge_mergepath_config_static_selectorELNS0_4arch9wavefront6targetE1EEEvSJ_
		.amdhsa_group_segment_fixed_size 0
		.amdhsa_private_segment_fixed_size 0
		.amdhsa_kernarg_size 72
		.amdhsa_user_sgpr_count 2
		.amdhsa_user_sgpr_dispatch_ptr 0
		.amdhsa_user_sgpr_queue_ptr 0
		.amdhsa_user_sgpr_kernarg_segment_ptr 1
		.amdhsa_user_sgpr_dispatch_id 0
		.amdhsa_user_sgpr_kernarg_preload_length 0
		.amdhsa_user_sgpr_kernarg_preload_offset 0
		.amdhsa_user_sgpr_private_segment_size 0
		.amdhsa_uses_dynamic_stack 0
		.amdhsa_enable_private_segment 0
		.amdhsa_system_sgpr_workgroup_id_x 1
		.amdhsa_system_sgpr_workgroup_id_y 0
		.amdhsa_system_sgpr_workgroup_id_z 0
		.amdhsa_system_sgpr_workgroup_info 0
		.amdhsa_system_vgpr_workitem_id 0
		.amdhsa_next_free_vgpr 1
		.amdhsa_next_free_sgpr 0
		.amdhsa_accum_offset 4
		.amdhsa_reserve_vcc 0
		.amdhsa_float_round_mode_32 0
		.amdhsa_float_round_mode_16_64 0
		.amdhsa_float_denorm_mode_32 3
		.amdhsa_float_denorm_mode_16_64 3
		.amdhsa_dx10_clamp 1
		.amdhsa_ieee_mode 1
		.amdhsa_fp16_overflow 0
		.amdhsa_tg_split 0
		.amdhsa_exception_fp_ieee_invalid_op 0
		.amdhsa_exception_fp_denorm_src 0
		.amdhsa_exception_fp_ieee_div_zero 0
		.amdhsa_exception_fp_ieee_overflow 0
		.amdhsa_exception_fp_ieee_underflow 0
		.amdhsa_exception_fp_ieee_inexact 0
		.amdhsa_exception_int_div_zero 0
	.end_amdhsa_kernel
	.section	.text._ZN7rocprim17ROCPRIM_400000_NS6detail17trampoline_kernelINS0_14default_configENS1_38merge_sort_block_merge_config_selectorIyyEEZZNS1_27merge_sort_block_merge_implIS3_N6thrust23THRUST_200600_302600_NS6detail15normal_iteratorINS8_10device_ptrIyEEEESD_jNS1_19radix_merge_compareILb0ELb1EyNS0_19identity_decomposerEEEEE10hipError_tT0_T1_T2_jT3_P12ihipStream_tbPNSt15iterator_traitsISI_E10value_typeEPNSO_ISJ_E10value_typeEPSK_NS1_7vsmem_tEENKUlT_SI_SJ_SK_E_clISD_PySD_S10_EESH_SX_SI_SJ_SK_EUlSX_E0_NS1_11comp_targetILNS1_3genE10ELNS1_11target_archE1201ELNS1_3gpuE5ELNS1_3repE0EEENS1_38merge_mergepath_config_static_selectorELNS0_4arch9wavefront6targetE1EEEvSJ_,"axG",@progbits,_ZN7rocprim17ROCPRIM_400000_NS6detail17trampoline_kernelINS0_14default_configENS1_38merge_sort_block_merge_config_selectorIyyEEZZNS1_27merge_sort_block_merge_implIS3_N6thrust23THRUST_200600_302600_NS6detail15normal_iteratorINS8_10device_ptrIyEEEESD_jNS1_19radix_merge_compareILb0ELb1EyNS0_19identity_decomposerEEEEE10hipError_tT0_T1_T2_jT3_P12ihipStream_tbPNSt15iterator_traitsISI_E10value_typeEPNSO_ISJ_E10value_typeEPSK_NS1_7vsmem_tEENKUlT_SI_SJ_SK_E_clISD_PySD_S10_EESH_SX_SI_SJ_SK_EUlSX_E0_NS1_11comp_targetILNS1_3genE10ELNS1_11target_archE1201ELNS1_3gpuE5ELNS1_3repE0EEENS1_38merge_mergepath_config_static_selectorELNS0_4arch9wavefront6targetE1EEEvSJ_,comdat
.Lfunc_end486:
	.size	_ZN7rocprim17ROCPRIM_400000_NS6detail17trampoline_kernelINS0_14default_configENS1_38merge_sort_block_merge_config_selectorIyyEEZZNS1_27merge_sort_block_merge_implIS3_N6thrust23THRUST_200600_302600_NS6detail15normal_iteratorINS8_10device_ptrIyEEEESD_jNS1_19radix_merge_compareILb0ELb1EyNS0_19identity_decomposerEEEEE10hipError_tT0_T1_T2_jT3_P12ihipStream_tbPNSt15iterator_traitsISI_E10value_typeEPNSO_ISJ_E10value_typeEPSK_NS1_7vsmem_tEENKUlT_SI_SJ_SK_E_clISD_PySD_S10_EESH_SX_SI_SJ_SK_EUlSX_E0_NS1_11comp_targetILNS1_3genE10ELNS1_11target_archE1201ELNS1_3gpuE5ELNS1_3repE0EEENS1_38merge_mergepath_config_static_selectorELNS0_4arch9wavefront6targetE1EEEvSJ_, .Lfunc_end486-_ZN7rocprim17ROCPRIM_400000_NS6detail17trampoline_kernelINS0_14default_configENS1_38merge_sort_block_merge_config_selectorIyyEEZZNS1_27merge_sort_block_merge_implIS3_N6thrust23THRUST_200600_302600_NS6detail15normal_iteratorINS8_10device_ptrIyEEEESD_jNS1_19radix_merge_compareILb0ELb1EyNS0_19identity_decomposerEEEEE10hipError_tT0_T1_T2_jT3_P12ihipStream_tbPNSt15iterator_traitsISI_E10value_typeEPNSO_ISJ_E10value_typeEPSK_NS1_7vsmem_tEENKUlT_SI_SJ_SK_E_clISD_PySD_S10_EESH_SX_SI_SJ_SK_EUlSX_E0_NS1_11comp_targetILNS1_3genE10ELNS1_11target_archE1201ELNS1_3gpuE5ELNS1_3repE0EEENS1_38merge_mergepath_config_static_selectorELNS0_4arch9wavefront6targetE1EEEvSJ_
                                        ; -- End function
	.set _ZN7rocprim17ROCPRIM_400000_NS6detail17trampoline_kernelINS0_14default_configENS1_38merge_sort_block_merge_config_selectorIyyEEZZNS1_27merge_sort_block_merge_implIS3_N6thrust23THRUST_200600_302600_NS6detail15normal_iteratorINS8_10device_ptrIyEEEESD_jNS1_19radix_merge_compareILb0ELb1EyNS0_19identity_decomposerEEEEE10hipError_tT0_T1_T2_jT3_P12ihipStream_tbPNSt15iterator_traitsISI_E10value_typeEPNSO_ISJ_E10value_typeEPSK_NS1_7vsmem_tEENKUlT_SI_SJ_SK_E_clISD_PySD_S10_EESH_SX_SI_SJ_SK_EUlSX_E0_NS1_11comp_targetILNS1_3genE10ELNS1_11target_archE1201ELNS1_3gpuE5ELNS1_3repE0EEENS1_38merge_mergepath_config_static_selectorELNS0_4arch9wavefront6targetE1EEEvSJ_.num_vgpr, 0
	.set _ZN7rocprim17ROCPRIM_400000_NS6detail17trampoline_kernelINS0_14default_configENS1_38merge_sort_block_merge_config_selectorIyyEEZZNS1_27merge_sort_block_merge_implIS3_N6thrust23THRUST_200600_302600_NS6detail15normal_iteratorINS8_10device_ptrIyEEEESD_jNS1_19radix_merge_compareILb0ELb1EyNS0_19identity_decomposerEEEEE10hipError_tT0_T1_T2_jT3_P12ihipStream_tbPNSt15iterator_traitsISI_E10value_typeEPNSO_ISJ_E10value_typeEPSK_NS1_7vsmem_tEENKUlT_SI_SJ_SK_E_clISD_PySD_S10_EESH_SX_SI_SJ_SK_EUlSX_E0_NS1_11comp_targetILNS1_3genE10ELNS1_11target_archE1201ELNS1_3gpuE5ELNS1_3repE0EEENS1_38merge_mergepath_config_static_selectorELNS0_4arch9wavefront6targetE1EEEvSJ_.num_agpr, 0
	.set _ZN7rocprim17ROCPRIM_400000_NS6detail17trampoline_kernelINS0_14default_configENS1_38merge_sort_block_merge_config_selectorIyyEEZZNS1_27merge_sort_block_merge_implIS3_N6thrust23THRUST_200600_302600_NS6detail15normal_iteratorINS8_10device_ptrIyEEEESD_jNS1_19radix_merge_compareILb0ELb1EyNS0_19identity_decomposerEEEEE10hipError_tT0_T1_T2_jT3_P12ihipStream_tbPNSt15iterator_traitsISI_E10value_typeEPNSO_ISJ_E10value_typeEPSK_NS1_7vsmem_tEENKUlT_SI_SJ_SK_E_clISD_PySD_S10_EESH_SX_SI_SJ_SK_EUlSX_E0_NS1_11comp_targetILNS1_3genE10ELNS1_11target_archE1201ELNS1_3gpuE5ELNS1_3repE0EEENS1_38merge_mergepath_config_static_selectorELNS0_4arch9wavefront6targetE1EEEvSJ_.numbered_sgpr, 0
	.set _ZN7rocprim17ROCPRIM_400000_NS6detail17trampoline_kernelINS0_14default_configENS1_38merge_sort_block_merge_config_selectorIyyEEZZNS1_27merge_sort_block_merge_implIS3_N6thrust23THRUST_200600_302600_NS6detail15normal_iteratorINS8_10device_ptrIyEEEESD_jNS1_19radix_merge_compareILb0ELb1EyNS0_19identity_decomposerEEEEE10hipError_tT0_T1_T2_jT3_P12ihipStream_tbPNSt15iterator_traitsISI_E10value_typeEPNSO_ISJ_E10value_typeEPSK_NS1_7vsmem_tEENKUlT_SI_SJ_SK_E_clISD_PySD_S10_EESH_SX_SI_SJ_SK_EUlSX_E0_NS1_11comp_targetILNS1_3genE10ELNS1_11target_archE1201ELNS1_3gpuE5ELNS1_3repE0EEENS1_38merge_mergepath_config_static_selectorELNS0_4arch9wavefront6targetE1EEEvSJ_.num_named_barrier, 0
	.set _ZN7rocprim17ROCPRIM_400000_NS6detail17trampoline_kernelINS0_14default_configENS1_38merge_sort_block_merge_config_selectorIyyEEZZNS1_27merge_sort_block_merge_implIS3_N6thrust23THRUST_200600_302600_NS6detail15normal_iteratorINS8_10device_ptrIyEEEESD_jNS1_19radix_merge_compareILb0ELb1EyNS0_19identity_decomposerEEEEE10hipError_tT0_T1_T2_jT3_P12ihipStream_tbPNSt15iterator_traitsISI_E10value_typeEPNSO_ISJ_E10value_typeEPSK_NS1_7vsmem_tEENKUlT_SI_SJ_SK_E_clISD_PySD_S10_EESH_SX_SI_SJ_SK_EUlSX_E0_NS1_11comp_targetILNS1_3genE10ELNS1_11target_archE1201ELNS1_3gpuE5ELNS1_3repE0EEENS1_38merge_mergepath_config_static_selectorELNS0_4arch9wavefront6targetE1EEEvSJ_.private_seg_size, 0
	.set _ZN7rocprim17ROCPRIM_400000_NS6detail17trampoline_kernelINS0_14default_configENS1_38merge_sort_block_merge_config_selectorIyyEEZZNS1_27merge_sort_block_merge_implIS3_N6thrust23THRUST_200600_302600_NS6detail15normal_iteratorINS8_10device_ptrIyEEEESD_jNS1_19radix_merge_compareILb0ELb1EyNS0_19identity_decomposerEEEEE10hipError_tT0_T1_T2_jT3_P12ihipStream_tbPNSt15iterator_traitsISI_E10value_typeEPNSO_ISJ_E10value_typeEPSK_NS1_7vsmem_tEENKUlT_SI_SJ_SK_E_clISD_PySD_S10_EESH_SX_SI_SJ_SK_EUlSX_E0_NS1_11comp_targetILNS1_3genE10ELNS1_11target_archE1201ELNS1_3gpuE5ELNS1_3repE0EEENS1_38merge_mergepath_config_static_selectorELNS0_4arch9wavefront6targetE1EEEvSJ_.uses_vcc, 0
	.set _ZN7rocprim17ROCPRIM_400000_NS6detail17trampoline_kernelINS0_14default_configENS1_38merge_sort_block_merge_config_selectorIyyEEZZNS1_27merge_sort_block_merge_implIS3_N6thrust23THRUST_200600_302600_NS6detail15normal_iteratorINS8_10device_ptrIyEEEESD_jNS1_19radix_merge_compareILb0ELb1EyNS0_19identity_decomposerEEEEE10hipError_tT0_T1_T2_jT3_P12ihipStream_tbPNSt15iterator_traitsISI_E10value_typeEPNSO_ISJ_E10value_typeEPSK_NS1_7vsmem_tEENKUlT_SI_SJ_SK_E_clISD_PySD_S10_EESH_SX_SI_SJ_SK_EUlSX_E0_NS1_11comp_targetILNS1_3genE10ELNS1_11target_archE1201ELNS1_3gpuE5ELNS1_3repE0EEENS1_38merge_mergepath_config_static_selectorELNS0_4arch9wavefront6targetE1EEEvSJ_.uses_flat_scratch, 0
	.set _ZN7rocprim17ROCPRIM_400000_NS6detail17trampoline_kernelINS0_14default_configENS1_38merge_sort_block_merge_config_selectorIyyEEZZNS1_27merge_sort_block_merge_implIS3_N6thrust23THRUST_200600_302600_NS6detail15normal_iteratorINS8_10device_ptrIyEEEESD_jNS1_19radix_merge_compareILb0ELb1EyNS0_19identity_decomposerEEEEE10hipError_tT0_T1_T2_jT3_P12ihipStream_tbPNSt15iterator_traitsISI_E10value_typeEPNSO_ISJ_E10value_typeEPSK_NS1_7vsmem_tEENKUlT_SI_SJ_SK_E_clISD_PySD_S10_EESH_SX_SI_SJ_SK_EUlSX_E0_NS1_11comp_targetILNS1_3genE10ELNS1_11target_archE1201ELNS1_3gpuE5ELNS1_3repE0EEENS1_38merge_mergepath_config_static_selectorELNS0_4arch9wavefront6targetE1EEEvSJ_.has_dyn_sized_stack, 0
	.set _ZN7rocprim17ROCPRIM_400000_NS6detail17trampoline_kernelINS0_14default_configENS1_38merge_sort_block_merge_config_selectorIyyEEZZNS1_27merge_sort_block_merge_implIS3_N6thrust23THRUST_200600_302600_NS6detail15normal_iteratorINS8_10device_ptrIyEEEESD_jNS1_19radix_merge_compareILb0ELb1EyNS0_19identity_decomposerEEEEE10hipError_tT0_T1_T2_jT3_P12ihipStream_tbPNSt15iterator_traitsISI_E10value_typeEPNSO_ISJ_E10value_typeEPSK_NS1_7vsmem_tEENKUlT_SI_SJ_SK_E_clISD_PySD_S10_EESH_SX_SI_SJ_SK_EUlSX_E0_NS1_11comp_targetILNS1_3genE10ELNS1_11target_archE1201ELNS1_3gpuE5ELNS1_3repE0EEENS1_38merge_mergepath_config_static_selectorELNS0_4arch9wavefront6targetE1EEEvSJ_.has_recursion, 0
	.set _ZN7rocprim17ROCPRIM_400000_NS6detail17trampoline_kernelINS0_14default_configENS1_38merge_sort_block_merge_config_selectorIyyEEZZNS1_27merge_sort_block_merge_implIS3_N6thrust23THRUST_200600_302600_NS6detail15normal_iteratorINS8_10device_ptrIyEEEESD_jNS1_19radix_merge_compareILb0ELb1EyNS0_19identity_decomposerEEEEE10hipError_tT0_T1_T2_jT3_P12ihipStream_tbPNSt15iterator_traitsISI_E10value_typeEPNSO_ISJ_E10value_typeEPSK_NS1_7vsmem_tEENKUlT_SI_SJ_SK_E_clISD_PySD_S10_EESH_SX_SI_SJ_SK_EUlSX_E0_NS1_11comp_targetILNS1_3genE10ELNS1_11target_archE1201ELNS1_3gpuE5ELNS1_3repE0EEENS1_38merge_mergepath_config_static_selectorELNS0_4arch9wavefront6targetE1EEEvSJ_.has_indirect_call, 0
	.section	.AMDGPU.csdata,"",@progbits
; Kernel info:
; codeLenInByte = 0
; TotalNumSgprs: 6
; NumVgprs: 0
; NumAgprs: 0
; TotalNumVgprs: 0
; ScratchSize: 0
; MemoryBound: 0
; FloatMode: 240
; IeeeMode: 1
; LDSByteSize: 0 bytes/workgroup (compile time only)
; SGPRBlocks: 0
; VGPRBlocks: 0
; NumSGPRsForWavesPerEU: 6
; NumVGPRsForWavesPerEU: 1
; AccumOffset: 4
; Occupancy: 8
; WaveLimiterHint : 0
; COMPUTE_PGM_RSRC2:SCRATCH_EN: 0
; COMPUTE_PGM_RSRC2:USER_SGPR: 2
; COMPUTE_PGM_RSRC2:TRAP_HANDLER: 0
; COMPUTE_PGM_RSRC2:TGID_X_EN: 1
; COMPUTE_PGM_RSRC2:TGID_Y_EN: 0
; COMPUTE_PGM_RSRC2:TGID_Z_EN: 0
; COMPUTE_PGM_RSRC2:TIDIG_COMP_CNT: 0
; COMPUTE_PGM_RSRC3_GFX90A:ACCUM_OFFSET: 0
; COMPUTE_PGM_RSRC3_GFX90A:TG_SPLIT: 0
	.section	.text._ZN7rocprim17ROCPRIM_400000_NS6detail17trampoline_kernelINS0_14default_configENS1_38merge_sort_block_merge_config_selectorIyyEEZZNS1_27merge_sort_block_merge_implIS3_N6thrust23THRUST_200600_302600_NS6detail15normal_iteratorINS8_10device_ptrIyEEEESD_jNS1_19radix_merge_compareILb0ELb1EyNS0_19identity_decomposerEEEEE10hipError_tT0_T1_T2_jT3_P12ihipStream_tbPNSt15iterator_traitsISI_E10value_typeEPNSO_ISJ_E10value_typeEPSK_NS1_7vsmem_tEENKUlT_SI_SJ_SK_E_clISD_PySD_S10_EESH_SX_SI_SJ_SK_EUlSX_E0_NS1_11comp_targetILNS1_3genE5ELNS1_11target_archE942ELNS1_3gpuE9ELNS1_3repE0EEENS1_38merge_mergepath_config_static_selectorELNS0_4arch9wavefront6targetE1EEEvSJ_,"axG",@progbits,_ZN7rocprim17ROCPRIM_400000_NS6detail17trampoline_kernelINS0_14default_configENS1_38merge_sort_block_merge_config_selectorIyyEEZZNS1_27merge_sort_block_merge_implIS3_N6thrust23THRUST_200600_302600_NS6detail15normal_iteratorINS8_10device_ptrIyEEEESD_jNS1_19radix_merge_compareILb0ELb1EyNS0_19identity_decomposerEEEEE10hipError_tT0_T1_T2_jT3_P12ihipStream_tbPNSt15iterator_traitsISI_E10value_typeEPNSO_ISJ_E10value_typeEPSK_NS1_7vsmem_tEENKUlT_SI_SJ_SK_E_clISD_PySD_S10_EESH_SX_SI_SJ_SK_EUlSX_E0_NS1_11comp_targetILNS1_3genE5ELNS1_11target_archE942ELNS1_3gpuE9ELNS1_3repE0EEENS1_38merge_mergepath_config_static_selectorELNS0_4arch9wavefront6targetE1EEEvSJ_,comdat
	.protected	_ZN7rocprim17ROCPRIM_400000_NS6detail17trampoline_kernelINS0_14default_configENS1_38merge_sort_block_merge_config_selectorIyyEEZZNS1_27merge_sort_block_merge_implIS3_N6thrust23THRUST_200600_302600_NS6detail15normal_iteratorINS8_10device_ptrIyEEEESD_jNS1_19radix_merge_compareILb0ELb1EyNS0_19identity_decomposerEEEEE10hipError_tT0_T1_T2_jT3_P12ihipStream_tbPNSt15iterator_traitsISI_E10value_typeEPNSO_ISJ_E10value_typeEPSK_NS1_7vsmem_tEENKUlT_SI_SJ_SK_E_clISD_PySD_S10_EESH_SX_SI_SJ_SK_EUlSX_E0_NS1_11comp_targetILNS1_3genE5ELNS1_11target_archE942ELNS1_3gpuE9ELNS1_3repE0EEENS1_38merge_mergepath_config_static_selectorELNS0_4arch9wavefront6targetE1EEEvSJ_ ; -- Begin function _ZN7rocprim17ROCPRIM_400000_NS6detail17trampoline_kernelINS0_14default_configENS1_38merge_sort_block_merge_config_selectorIyyEEZZNS1_27merge_sort_block_merge_implIS3_N6thrust23THRUST_200600_302600_NS6detail15normal_iteratorINS8_10device_ptrIyEEEESD_jNS1_19radix_merge_compareILb0ELb1EyNS0_19identity_decomposerEEEEE10hipError_tT0_T1_T2_jT3_P12ihipStream_tbPNSt15iterator_traitsISI_E10value_typeEPNSO_ISJ_E10value_typeEPSK_NS1_7vsmem_tEENKUlT_SI_SJ_SK_E_clISD_PySD_S10_EESH_SX_SI_SJ_SK_EUlSX_E0_NS1_11comp_targetILNS1_3genE5ELNS1_11target_archE942ELNS1_3gpuE9ELNS1_3repE0EEENS1_38merge_mergepath_config_static_selectorELNS0_4arch9wavefront6targetE1EEEvSJ_
	.globl	_ZN7rocprim17ROCPRIM_400000_NS6detail17trampoline_kernelINS0_14default_configENS1_38merge_sort_block_merge_config_selectorIyyEEZZNS1_27merge_sort_block_merge_implIS3_N6thrust23THRUST_200600_302600_NS6detail15normal_iteratorINS8_10device_ptrIyEEEESD_jNS1_19radix_merge_compareILb0ELb1EyNS0_19identity_decomposerEEEEE10hipError_tT0_T1_T2_jT3_P12ihipStream_tbPNSt15iterator_traitsISI_E10value_typeEPNSO_ISJ_E10value_typeEPSK_NS1_7vsmem_tEENKUlT_SI_SJ_SK_E_clISD_PySD_S10_EESH_SX_SI_SJ_SK_EUlSX_E0_NS1_11comp_targetILNS1_3genE5ELNS1_11target_archE942ELNS1_3gpuE9ELNS1_3repE0EEENS1_38merge_mergepath_config_static_selectorELNS0_4arch9wavefront6targetE1EEEvSJ_
	.p2align	8
	.type	_ZN7rocprim17ROCPRIM_400000_NS6detail17trampoline_kernelINS0_14default_configENS1_38merge_sort_block_merge_config_selectorIyyEEZZNS1_27merge_sort_block_merge_implIS3_N6thrust23THRUST_200600_302600_NS6detail15normal_iteratorINS8_10device_ptrIyEEEESD_jNS1_19radix_merge_compareILb0ELb1EyNS0_19identity_decomposerEEEEE10hipError_tT0_T1_T2_jT3_P12ihipStream_tbPNSt15iterator_traitsISI_E10value_typeEPNSO_ISJ_E10value_typeEPSK_NS1_7vsmem_tEENKUlT_SI_SJ_SK_E_clISD_PySD_S10_EESH_SX_SI_SJ_SK_EUlSX_E0_NS1_11comp_targetILNS1_3genE5ELNS1_11target_archE942ELNS1_3gpuE9ELNS1_3repE0EEENS1_38merge_mergepath_config_static_selectorELNS0_4arch9wavefront6targetE1EEEvSJ_,@function
_ZN7rocprim17ROCPRIM_400000_NS6detail17trampoline_kernelINS0_14default_configENS1_38merge_sort_block_merge_config_selectorIyyEEZZNS1_27merge_sort_block_merge_implIS3_N6thrust23THRUST_200600_302600_NS6detail15normal_iteratorINS8_10device_ptrIyEEEESD_jNS1_19radix_merge_compareILb0ELb1EyNS0_19identity_decomposerEEEEE10hipError_tT0_T1_T2_jT3_P12ihipStream_tbPNSt15iterator_traitsISI_E10value_typeEPNSO_ISJ_E10value_typeEPSK_NS1_7vsmem_tEENKUlT_SI_SJ_SK_E_clISD_PySD_S10_EESH_SX_SI_SJ_SK_EUlSX_E0_NS1_11comp_targetILNS1_3genE5ELNS1_11target_archE942ELNS1_3gpuE9ELNS1_3repE0EEENS1_38merge_mergepath_config_static_selectorELNS0_4arch9wavefront6targetE1EEEvSJ_: ; @_ZN7rocprim17ROCPRIM_400000_NS6detail17trampoline_kernelINS0_14default_configENS1_38merge_sort_block_merge_config_selectorIyyEEZZNS1_27merge_sort_block_merge_implIS3_N6thrust23THRUST_200600_302600_NS6detail15normal_iteratorINS8_10device_ptrIyEEEESD_jNS1_19radix_merge_compareILb0ELb1EyNS0_19identity_decomposerEEEEE10hipError_tT0_T1_T2_jT3_P12ihipStream_tbPNSt15iterator_traitsISI_E10value_typeEPNSO_ISJ_E10value_typeEPSK_NS1_7vsmem_tEENKUlT_SI_SJ_SK_E_clISD_PySD_S10_EESH_SX_SI_SJ_SK_EUlSX_E0_NS1_11comp_targetILNS1_3genE5ELNS1_11target_archE942ELNS1_3gpuE9ELNS1_3repE0EEENS1_38merge_mergepath_config_static_selectorELNS0_4arch9wavefront6targetE1EEEvSJ_
; %bb.0:
	.section	.rodata,"a",@progbits
	.p2align	6, 0x0
	.amdhsa_kernel _ZN7rocprim17ROCPRIM_400000_NS6detail17trampoline_kernelINS0_14default_configENS1_38merge_sort_block_merge_config_selectorIyyEEZZNS1_27merge_sort_block_merge_implIS3_N6thrust23THRUST_200600_302600_NS6detail15normal_iteratorINS8_10device_ptrIyEEEESD_jNS1_19radix_merge_compareILb0ELb1EyNS0_19identity_decomposerEEEEE10hipError_tT0_T1_T2_jT3_P12ihipStream_tbPNSt15iterator_traitsISI_E10value_typeEPNSO_ISJ_E10value_typeEPSK_NS1_7vsmem_tEENKUlT_SI_SJ_SK_E_clISD_PySD_S10_EESH_SX_SI_SJ_SK_EUlSX_E0_NS1_11comp_targetILNS1_3genE5ELNS1_11target_archE942ELNS1_3gpuE9ELNS1_3repE0EEENS1_38merge_mergepath_config_static_selectorELNS0_4arch9wavefront6targetE1EEEvSJ_
		.amdhsa_group_segment_fixed_size 0
		.amdhsa_private_segment_fixed_size 0
		.amdhsa_kernarg_size 72
		.amdhsa_user_sgpr_count 2
		.amdhsa_user_sgpr_dispatch_ptr 0
		.amdhsa_user_sgpr_queue_ptr 0
		.amdhsa_user_sgpr_kernarg_segment_ptr 1
		.amdhsa_user_sgpr_dispatch_id 0
		.amdhsa_user_sgpr_kernarg_preload_length 0
		.amdhsa_user_sgpr_kernarg_preload_offset 0
		.amdhsa_user_sgpr_private_segment_size 0
		.amdhsa_uses_dynamic_stack 0
		.amdhsa_enable_private_segment 0
		.amdhsa_system_sgpr_workgroup_id_x 1
		.amdhsa_system_sgpr_workgroup_id_y 0
		.amdhsa_system_sgpr_workgroup_id_z 0
		.amdhsa_system_sgpr_workgroup_info 0
		.amdhsa_system_vgpr_workitem_id 0
		.amdhsa_next_free_vgpr 1
		.amdhsa_next_free_sgpr 0
		.amdhsa_accum_offset 4
		.amdhsa_reserve_vcc 0
		.amdhsa_float_round_mode_32 0
		.amdhsa_float_round_mode_16_64 0
		.amdhsa_float_denorm_mode_32 3
		.amdhsa_float_denorm_mode_16_64 3
		.amdhsa_dx10_clamp 1
		.amdhsa_ieee_mode 1
		.amdhsa_fp16_overflow 0
		.amdhsa_tg_split 0
		.amdhsa_exception_fp_ieee_invalid_op 0
		.amdhsa_exception_fp_denorm_src 0
		.amdhsa_exception_fp_ieee_div_zero 0
		.amdhsa_exception_fp_ieee_overflow 0
		.amdhsa_exception_fp_ieee_underflow 0
		.amdhsa_exception_fp_ieee_inexact 0
		.amdhsa_exception_int_div_zero 0
	.end_amdhsa_kernel
	.section	.text._ZN7rocprim17ROCPRIM_400000_NS6detail17trampoline_kernelINS0_14default_configENS1_38merge_sort_block_merge_config_selectorIyyEEZZNS1_27merge_sort_block_merge_implIS3_N6thrust23THRUST_200600_302600_NS6detail15normal_iteratorINS8_10device_ptrIyEEEESD_jNS1_19radix_merge_compareILb0ELb1EyNS0_19identity_decomposerEEEEE10hipError_tT0_T1_T2_jT3_P12ihipStream_tbPNSt15iterator_traitsISI_E10value_typeEPNSO_ISJ_E10value_typeEPSK_NS1_7vsmem_tEENKUlT_SI_SJ_SK_E_clISD_PySD_S10_EESH_SX_SI_SJ_SK_EUlSX_E0_NS1_11comp_targetILNS1_3genE5ELNS1_11target_archE942ELNS1_3gpuE9ELNS1_3repE0EEENS1_38merge_mergepath_config_static_selectorELNS0_4arch9wavefront6targetE1EEEvSJ_,"axG",@progbits,_ZN7rocprim17ROCPRIM_400000_NS6detail17trampoline_kernelINS0_14default_configENS1_38merge_sort_block_merge_config_selectorIyyEEZZNS1_27merge_sort_block_merge_implIS3_N6thrust23THRUST_200600_302600_NS6detail15normal_iteratorINS8_10device_ptrIyEEEESD_jNS1_19radix_merge_compareILb0ELb1EyNS0_19identity_decomposerEEEEE10hipError_tT0_T1_T2_jT3_P12ihipStream_tbPNSt15iterator_traitsISI_E10value_typeEPNSO_ISJ_E10value_typeEPSK_NS1_7vsmem_tEENKUlT_SI_SJ_SK_E_clISD_PySD_S10_EESH_SX_SI_SJ_SK_EUlSX_E0_NS1_11comp_targetILNS1_3genE5ELNS1_11target_archE942ELNS1_3gpuE9ELNS1_3repE0EEENS1_38merge_mergepath_config_static_selectorELNS0_4arch9wavefront6targetE1EEEvSJ_,comdat
.Lfunc_end487:
	.size	_ZN7rocprim17ROCPRIM_400000_NS6detail17trampoline_kernelINS0_14default_configENS1_38merge_sort_block_merge_config_selectorIyyEEZZNS1_27merge_sort_block_merge_implIS3_N6thrust23THRUST_200600_302600_NS6detail15normal_iteratorINS8_10device_ptrIyEEEESD_jNS1_19radix_merge_compareILb0ELb1EyNS0_19identity_decomposerEEEEE10hipError_tT0_T1_T2_jT3_P12ihipStream_tbPNSt15iterator_traitsISI_E10value_typeEPNSO_ISJ_E10value_typeEPSK_NS1_7vsmem_tEENKUlT_SI_SJ_SK_E_clISD_PySD_S10_EESH_SX_SI_SJ_SK_EUlSX_E0_NS1_11comp_targetILNS1_3genE5ELNS1_11target_archE942ELNS1_3gpuE9ELNS1_3repE0EEENS1_38merge_mergepath_config_static_selectorELNS0_4arch9wavefront6targetE1EEEvSJ_, .Lfunc_end487-_ZN7rocprim17ROCPRIM_400000_NS6detail17trampoline_kernelINS0_14default_configENS1_38merge_sort_block_merge_config_selectorIyyEEZZNS1_27merge_sort_block_merge_implIS3_N6thrust23THRUST_200600_302600_NS6detail15normal_iteratorINS8_10device_ptrIyEEEESD_jNS1_19radix_merge_compareILb0ELb1EyNS0_19identity_decomposerEEEEE10hipError_tT0_T1_T2_jT3_P12ihipStream_tbPNSt15iterator_traitsISI_E10value_typeEPNSO_ISJ_E10value_typeEPSK_NS1_7vsmem_tEENKUlT_SI_SJ_SK_E_clISD_PySD_S10_EESH_SX_SI_SJ_SK_EUlSX_E0_NS1_11comp_targetILNS1_3genE5ELNS1_11target_archE942ELNS1_3gpuE9ELNS1_3repE0EEENS1_38merge_mergepath_config_static_selectorELNS0_4arch9wavefront6targetE1EEEvSJ_
                                        ; -- End function
	.set _ZN7rocprim17ROCPRIM_400000_NS6detail17trampoline_kernelINS0_14default_configENS1_38merge_sort_block_merge_config_selectorIyyEEZZNS1_27merge_sort_block_merge_implIS3_N6thrust23THRUST_200600_302600_NS6detail15normal_iteratorINS8_10device_ptrIyEEEESD_jNS1_19radix_merge_compareILb0ELb1EyNS0_19identity_decomposerEEEEE10hipError_tT0_T1_T2_jT3_P12ihipStream_tbPNSt15iterator_traitsISI_E10value_typeEPNSO_ISJ_E10value_typeEPSK_NS1_7vsmem_tEENKUlT_SI_SJ_SK_E_clISD_PySD_S10_EESH_SX_SI_SJ_SK_EUlSX_E0_NS1_11comp_targetILNS1_3genE5ELNS1_11target_archE942ELNS1_3gpuE9ELNS1_3repE0EEENS1_38merge_mergepath_config_static_selectorELNS0_4arch9wavefront6targetE1EEEvSJ_.num_vgpr, 0
	.set _ZN7rocprim17ROCPRIM_400000_NS6detail17trampoline_kernelINS0_14default_configENS1_38merge_sort_block_merge_config_selectorIyyEEZZNS1_27merge_sort_block_merge_implIS3_N6thrust23THRUST_200600_302600_NS6detail15normal_iteratorINS8_10device_ptrIyEEEESD_jNS1_19radix_merge_compareILb0ELb1EyNS0_19identity_decomposerEEEEE10hipError_tT0_T1_T2_jT3_P12ihipStream_tbPNSt15iterator_traitsISI_E10value_typeEPNSO_ISJ_E10value_typeEPSK_NS1_7vsmem_tEENKUlT_SI_SJ_SK_E_clISD_PySD_S10_EESH_SX_SI_SJ_SK_EUlSX_E0_NS1_11comp_targetILNS1_3genE5ELNS1_11target_archE942ELNS1_3gpuE9ELNS1_3repE0EEENS1_38merge_mergepath_config_static_selectorELNS0_4arch9wavefront6targetE1EEEvSJ_.num_agpr, 0
	.set _ZN7rocprim17ROCPRIM_400000_NS6detail17trampoline_kernelINS0_14default_configENS1_38merge_sort_block_merge_config_selectorIyyEEZZNS1_27merge_sort_block_merge_implIS3_N6thrust23THRUST_200600_302600_NS6detail15normal_iteratorINS8_10device_ptrIyEEEESD_jNS1_19radix_merge_compareILb0ELb1EyNS0_19identity_decomposerEEEEE10hipError_tT0_T1_T2_jT3_P12ihipStream_tbPNSt15iterator_traitsISI_E10value_typeEPNSO_ISJ_E10value_typeEPSK_NS1_7vsmem_tEENKUlT_SI_SJ_SK_E_clISD_PySD_S10_EESH_SX_SI_SJ_SK_EUlSX_E0_NS1_11comp_targetILNS1_3genE5ELNS1_11target_archE942ELNS1_3gpuE9ELNS1_3repE0EEENS1_38merge_mergepath_config_static_selectorELNS0_4arch9wavefront6targetE1EEEvSJ_.numbered_sgpr, 0
	.set _ZN7rocprim17ROCPRIM_400000_NS6detail17trampoline_kernelINS0_14default_configENS1_38merge_sort_block_merge_config_selectorIyyEEZZNS1_27merge_sort_block_merge_implIS3_N6thrust23THRUST_200600_302600_NS6detail15normal_iteratorINS8_10device_ptrIyEEEESD_jNS1_19radix_merge_compareILb0ELb1EyNS0_19identity_decomposerEEEEE10hipError_tT0_T1_T2_jT3_P12ihipStream_tbPNSt15iterator_traitsISI_E10value_typeEPNSO_ISJ_E10value_typeEPSK_NS1_7vsmem_tEENKUlT_SI_SJ_SK_E_clISD_PySD_S10_EESH_SX_SI_SJ_SK_EUlSX_E0_NS1_11comp_targetILNS1_3genE5ELNS1_11target_archE942ELNS1_3gpuE9ELNS1_3repE0EEENS1_38merge_mergepath_config_static_selectorELNS0_4arch9wavefront6targetE1EEEvSJ_.num_named_barrier, 0
	.set _ZN7rocprim17ROCPRIM_400000_NS6detail17trampoline_kernelINS0_14default_configENS1_38merge_sort_block_merge_config_selectorIyyEEZZNS1_27merge_sort_block_merge_implIS3_N6thrust23THRUST_200600_302600_NS6detail15normal_iteratorINS8_10device_ptrIyEEEESD_jNS1_19radix_merge_compareILb0ELb1EyNS0_19identity_decomposerEEEEE10hipError_tT0_T1_T2_jT3_P12ihipStream_tbPNSt15iterator_traitsISI_E10value_typeEPNSO_ISJ_E10value_typeEPSK_NS1_7vsmem_tEENKUlT_SI_SJ_SK_E_clISD_PySD_S10_EESH_SX_SI_SJ_SK_EUlSX_E0_NS1_11comp_targetILNS1_3genE5ELNS1_11target_archE942ELNS1_3gpuE9ELNS1_3repE0EEENS1_38merge_mergepath_config_static_selectorELNS0_4arch9wavefront6targetE1EEEvSJ_.private_seg_size, 0
	.set _ZN7rocprim17ROCPRIM_400000_NS6detail17trampoline_kernelINS0_14default_configENS1_38merge_sort_block_merge_config_selectorIyyEEZZNS1_27merge_sort_block_merge_implIS3_N6thrust23THRUST_200600_302600_NS6detail15normal_iteratorINS8_10device_ptrIyEEEESD_jNS1_19radix_merge_compareILb0ELb1EyNS0_19identity_decomposerEEEEE10hipError_tT0_T1_T2_jT3_P12ihipStream_tbPNSt15iterator_traitsISI_E10value_typeEPNSO_ISJ_E10value_typeEPSK_NS1_7vsmem_tEENKUlT_SI_SJ_SK_E_clISD_PySD_S10_EESH_SX_SI_SJ_SK_EUlSX_E0_NS1_11comp_targetILNS1_3genE5ELNS1_11target_archE942ELNS1_3gpuE9ELNS1_3repE0EEENS1_38merge_mergepath_config_static_selectorELNS0_4arch9wavefront6targetE1EEEvSJ_.uses_vcc, 0
	.set _ZN7rocprim17ROCPRIM_400000_NS6detail17trampoline_kernelINS0_14default_configENS1_38merge_sort_block_merge_config_selectorIyyEEZZNS1_27merge_sort_block_merge_implIS3_N6thrust23THRUST_200600_302600_NS6detail15normal_iteratorINS8_10device_ptrIyEEEESD_jNS1_19radix_merge_compareILb0ELb1EyNS0_19identity_decomposerEEEEE10hipError_tT0_T1_T2_jT3_P12ihipStream_tbPNSt15iterator_traitsISI_E10value_typeEPNSO_ISJ_E10value_typeEPSK_NS1_7vsmem_tEENKUlT_SI_SJ_SK_E_clISD_PySD_S10_EESH_SX_SI_SJ_SK_EUlSX_E0_NS1_11comp_targetILNS1_3genE5ELNS1_11target_archE942ELNS1_3gpuE9ELNS1_3repE0EEENS1_38merge_mergepath_config_static_selectorELNS0_4arch9wavefront6targetE1EEEvSJ_.uses_flat_scratch, 0
	.set _ZN7rocprim17ROCPRIM_400000_NS6detail17trampoline_kernelINS0_14default_configENS1_38merge_sort_block_merge_config_selectorIyyEEZZNS1_27merge_sort_block_merge_implIS3_N6thrust23THRUST_200600_302600_NS6detail15normal_iteratorINS8_10device_ptrIyEEEESD_jNS1_19radix_merge_compareILb0ELb1EyNS0_19identity_decomposerEEEEE10hipError_tT0_T1_T2_jT3_P12ihipStream_tbPNSt15iterator_traitsISI_E10value_typeEPNSO_ISJ_E10value_typeEPSK_NS1_7vsmem_tEENKUlT_SI_SJ_SK_E_clISD_PySD_S10_EESH_SX_SI_SJ_SK_EUlSX_E0_NS1_11comp_targetILNS1_3genE5ELNS1_11target_archE942ELNS1_3gpuE9ELNS1_3repE0EEENS1_38merge_mergepath_config_static_selectorELNS0_4arch9wavefront6targetE1EEEvSJ_.has_dyn_sized_stack, 0
	.set _ZN7rocprim17ROCPRIM_400000_NS6detail17trampoline_kernelINS0_14default_configENS1_38merge_sort_block_merge_config_selectorIyyEEZZNS1_27merge_sort_block_merge_implIS3_N6thrust23THRUST_200600_302600_NS6detail15normal_iteratorINS8_10device_ptrIyEEEESD_jNS1_19radix_merge_compareILb0ELb1EyNS0_19identity_decomposerEEEEE10hipError_tT0_T1_T2_jT3_P12ihipStream_tbPNSt15iterator_traitsISI_E10value_typeEPNSO_ISJ_E10value_typeEPSK_NS1_7vsmem_tEENKUlT_SI_SJ_SK_E_clISD_PySD_S10_EESH_SX_SI_SJ_SK_EUlSX_E0_NS1_11comp_targetILNS1_3genE5ELNS1_11target_archE942ELNS1_3gpuE9ELNS1_3repE0EEENS1_38merge_mergepath_config_static_selectorELNS0_4arch9wavefront6targetE1EEEvSJ_.has_recursion, 0
	.set _ZN7rocprim17ROCPRIM_400000_NS6detail17trampoline_kernelINS0_14default_configENS1_38merge_sort_block_merge_config_selectorIyyEEZZNS1_27merge_sort_block_merge_implIS3_N6thrust23THRUST_200600_302600_NS6detail15normal_iteratorINS8_10device_ptrIyEEEESD_jNS1_19radix_merge_compareILb0ELb1EyNS0_19identity_decomposerEEEEE10hipError_tT0_T1_T2_jT3_P12ihipStream_tbPNSt15iterator_traitsISI_E10value_typeEPNSO_ISJ_E10value_typeEPSK_NS1_7vsmem_tEENKUlT_SI_SJ_SK_E_clISD_PySD_S10_EESH_SX_SI_SJ_SK_EUlSX_E0_NS1_11comp_targetILNS1_3genE5ELNS1_11target_archE942ELNS1_3gpuE9ELNS1_3repE0EEENS1_38merge_mergepath_config_static_selectorELNS0_4arch9wavefront6targetE1EEEvSJ_.has_indirect_call, 0
	.section	.AMDGPU.csdata,"",@progbits
; Kernel info:
; codeLenInByte = 0
; TotalNumSgprs: 6
; NumVgprs: 0
; NumAgprs: 0
; TotalNumVgprs: 0
; ScratchSize: 0
; MemoryBound: 0
; FloatMode: 240
; IeeeMode: 1
; LDSByteSize: 0 bytes/workgroup (compile time only)
; SGPRBlocks: 0
; VGPRBlocks: 0
; NumSGPRsForWavesPerEU: 6
; NumVGPRsForWavesPerEU: 1
; AccumOffset: 4
; Occupancy: 8
; WaveLimiterHint : 0
; COMPUTE_PGM_RSRC2:SCRATCH_EN: 0
; COMPUTE_PGM_RSRC2:USER_SGPR: 2
; COMPUTE_PGM_RSRC2:TRAP_HANDLER: 0
; COMPUTE_PGM_RSRC2:TGID_X_EN: 1
; COMPUTE_PGM_RSRC2:TGID_Y_EN: 0
; COMPUTE_PGM_RSRC2:TGID_Z_EN: 0
; COMPUTE_PGM_RSRC2:TIDIG_COMP_CNT: 0
; COMPUTE_PGM_RSRC3_GFX90A:ACCUM_OFFSET: 0
; COMPUTE_PGM_RSRC3_GFX90A:TG_SPLIT: 0
	.section	.text._ZN7rocprim17ROCPRIM_400000_NS6detail17trampoline_kernelINS0_14default_configENS1_38merge_sort_block_merge_config_selectorIyyEEZZNS1_27merge_sort_block_merge_implIS3_N6thrust23THRUST_200600_302600_NS6detail15normal_iteratorINS8_10device_ptrIyEEEESD_jNS1_19radix_merge_compareILb0ELb1EyNS0_19identity_decomposerEEEEE10hipError_tT0_T1_T2_jT3_P12ihipStream_tbPNSt15iterator_traitsISI_E10value_typeEPNSO_ISJ_E10value_typeEPSK_NS1_7vsmem_tEENKUlT_SI_SJ_SK_E_clISD_PySD_S10_EESH_SX_SI_SJ_SK_EUlSX_E0_NS1_11comp_targetILNS1_3genE4ELNS1_11target_archE910ELNS1_3gpuE8ELNS1_3repE0EEENS1_38merge_mergepath_config_static_selectorELNS0_4arch9wavefront6targetE1EEEvSJ_,"axG",@progbits,_ZN7rocprim17ROCPRIM_400000_NS6detail17trampoline_kernelINS0_14default_configENS1_38merge_sort_block_merge_config_selectorIyyEEZZNS1_27merge_sort_block_merge_implIS3_N6thrust23THRUST_200600_302600_NS6detail15normal_iteratorINS8_10device_ptrIyEEEESD_jNS1_19radix_merge_compareILb0ELb1EyNS0_19identity_decomposerEEEEE10hipError_tT0_T1_T2_jT3_P12ihipStream_tbPNSt15iterator_traitsISI_E10value_typeEPNSO_ISJ_E10value_typeEPSK_NS1_7vsmem_tEENKUlT_SI_SJ_SK_E_clISD_PySD_S10_EESH_SX_SI_SJ_SK_EUlSX_E0_NS1_11comp_targetILNS1_3genE4ELNS1_11target_archE910ELNS1_3gpuE8ELNS1_3repE0EEENS1_38merge_mergepath_config_static_selectorELNS0_4arch9wavefront6targetE1EEEvSJ_,comdat
	.protected	_ZN7rocprim17ROCPRIM_400000_NS6detail17trampoline_kernelINS0_14default_configENS1_38merge_sort_block_merge_config_selectorIyyEEZZNS1_27merge_sort_block_merge_implIS3_N6thrust23THRUST_200600_302600_NS6detail15normal_iteratorINS8_10device_ptrIyEEEESD_jNS1_19radix_merge_compareILb0ELb1EyNS0_19identity_decomposerEEEEE10hipError_tT0_T1_T2_jT3_P12ihipStream_tbPNSt15iterator_traitsISI_E10value_typeEPNSO_ISJ_E10value_typeEPSK_NS1_7vsmem_tEENKUlT_SI_SJ_SK_E_clISD_PySD_S10_EESH_SX_SI_SJ_SK_EUlSX_E0_NS1_11comp_targetILNS1_3genE4ELNS1_11target_archE910ELNS1_3gpuE8ELNS1_3repE0EEENS1_38merge_mergepath_config_static_selectorELNS0_4arch9wavefront6targetE1EEEvSJ_ ; -- Begin function _ZN7rocprim17ROCPRIM_400000_NS6detail17trampoline_kernelINS0_14default_configENS1_38merge_sort_block_merge_config_selectorIyyEEZZNS1_27merge_sort_block_merge_implIS3_N6thrust23THRUST_200600_302600_NS6detail15normal_iteratorINS8_10device_ptrIyEEEESD_jNS1_19radix_merge_compareILb0ELb1EyNS0_19identity_decomposerEEEEE10hipError_tT0_T1_T2_jT3_P12ihipStream_tbPNSt15iterator_traitsISI_E10value_typeEPNSO_ISJ_E10value_typeEPSK_NS1_7vsmem_tEENKUlT_SI_SJ_SK_E_clISD_PySD_S10_EESH_SX_SI_SJ_SK_EUlSX_E0_NS1_11comp_targetILNS1_3genE4ELNS1_11target_archE910ELNS1_3gpuE8ELNS1_3repE0EEENS1_38merge_mergepath_config_static_selectorELNS0_4arch9wavefront6targetE1EEEvSJ_
	.globl	_ZN7rocprim17ROCPRIM_400000_NS6detail17trampoline_kernelINS0_14default_configENS1_38merge_sort_block_merge_config_selectorIyyEEZZNS1_27merge_sort_block_merge_implIS3_N6thrust23THRUST_200600_302600_NS6detail15normal_iteratorINS8_10device_ptrIyEEEESD_jNS1_19radix_merge_compareILb0ELb1EyNS0_19identity_decomposerEEEEE10hipError_tT0_T1_T2_jT3_P12ihipStream_tbPNSt15iterator_traitsISI_E10value_typeEPNSO_ISJ_E10value_typeEPSK_NS1_7vsmem_tEENKUlT_SI_SJ_SK_E_clISD_PySD_S10_EESH_SX_SI_SJ_SK_EUlSX_E0_NS1_11comp_targetILNS1_3genE4ELNS1_11target_archE910ELNS1_3gpuE8ELNS1_3repE0EEENS1_38merge_mergepath_config_static_selectorELNS0_4arch9wavefront6targetE1EEEvSJ_
	.p2align	8
	.type	_ZN7rocprim17ROCPRIM_400000_NS6detail17trampoline_kernelINS0_14default_configENS1_38merge_sort_block_merge_config_selectorIyyEEZZNS1_27merge_sort_block_merge_implIS3_N6thrust23THRUST_200600_302600_NS6detail15normal_iteratorINS8_10device_ptrIyEEEESD_jNS1_19radix_merge_compareILb0ELb1EyNS0_19identity_decomposerEEEEE10hipError_tT0_T1_T2_jT3_P12ihipStream_tbPNSt15iterator_traitsISI_E10value_typeEPNSO_ISJ_E10value_typeEPSK_NS1_7vsmem_tEENKUlT_SI_SJ_SK_E_clISD_PySD_S10_EESH_SX_SI_SJ_SK_EUlSX_E0_NS1_11comp_targetILNS1_3genE4ELNS1_11target_archE910ELNS1_3gpuE8ELNS1_3repE0EEENS1_38merge_mergepath_config_static_selectorELNS0_4arch9wavefront6targetE1EEEvSJ_,@function
_ZN7rocprim17ROCPRIM_400000_NS6detail17trampoline_kernelINS0_14default_configENS1_38merge_sort_block_merge_config_selectorIyyEEZZNS1_27merge_sort_block_merge_implIS3_N6thrust23THRUST_200600_302600_NS6detail15normal_iteratorINS8_10device_ptrIyEEEESD_jNS1_19radix_merge_compareILb0ELb1EyNS0_19identity_decomposerEEEEE10hipError_tT0_T1_T2_jT3_P12ihipStream_tbPNSt15iterator_traitsISI_E10value_typeEPNSO_ISJ_E10value_typeEPSK_NS1_7vsmem_tEENKUlT_SI_SJ_SK_E_clISD_PySD_S10_EESH_SX_SI_SJ_SK_EUlSX_E0_NS1_11comp_targetILNS1_3genE4ELNS1_11target_archE910ELNS1_3gpuE8ELNS1_3repE0EEENS1_38merge_mergepath_config_static_selectorELNS0_4arch9wavefront6targetE1EEEvSJ_: ; @_ZN7rocprim17ROCPRIM_400000_NS6detail17trampoline_kernelINS0_14default_configENS1_38merge_sort_block_merge_config_selectorIyyEEZZNS1_27merge_sort_block_merge_implIS3_N6thrust23THRUST_200600_302600_NS6detail15normal_iteratorINS8_10device_ptrIyEEEESD_jNS1_19radix_merge_compareILb0ELb1EyNS0_19identity_decomposerEEEEE10hipError_tT0_T1_T2_jT3_P12ihipStream_tbPNSt15iterator_traitsISI_E10value_typeEPNSO_ISJ_E10value_typeEPSK_NS1_7vsmem_tEENKUlT_SI_SJ_SK_E_clISD_PySD_S10_EESH_SX_SI_SJ_SK_EUlSX_E0_NS1_11comp_targetILNS1_3genE4ELNS1_11target_archE910ELNS1_3gpuE8ELNS1_3repE0EEENS1_38merge_mergepath_config_static_selectorELNS0_4arch9wavefront6targetE1EEEvSJ_
; %bb.0:
	.section	.rodata,"a",@progbits
	.p2align	6, 0x0
	.amdhsa_kernel _ZN7rocprim17ROCPRIM_400000_NS6detail17trampoline_kernelINS0_14default_configENS1_38merge_sort_block_merge_config_selectorIyyEEZZNS1_27merge_sort_block_merge_implIS3_N6thrust23THRUST_200600_302600_NS6detail15normal_iteratorINS8_10device_ptrIyEEEESD_jNS1_19radix_merge_compareILb0ELb1EyNS0_19identity_decomposerEEEEE10hipError_tT0_T1_T2_jT3_P12ihipStream_tbPNSt15iterator_traitsISI_E10value_typeEPNSO_ISJ_E10value_typeEPSK_NS1_7vsmem_tEENKUlT_SI_SJ_SK_E_clISD_PySD_S10_EESH_SX_SI_SJ_SK_EUlSX_E0_NS1_11comp_targetILNS1_3genE4ELNS1_11target_archE910ELNS1_3gpuE8ELNS1_3repE0EEENS1_38merge_mergepath_config_static_selectorELNS0_4arch9wavefront6targetE1EEEvSJ_
		.amdhsa_group_segment_fixed_size 0
		.amdhsa_private_segment_fixed_size 0
		.amdhsa_kernarg_size 72
		.amdhsa_user_sgpr_count 2
		.amdhsa_user_sgpr_dispatch_ptr 0
		.amdhsa_user_sgpr_queue_ptr 0
		.amdhsa_user_sgpr_kernarg_segment_ptr 1
		.amdhsa_user_sgpr_dispatch_id 0
		.amdhsa_user_sgpr_kernarg_preload_length 0
		.amdhsa_user_sgpr_kernarg_preload_offset 0
		.amdhsa_user_sgpr_private_segment_size 0
		.amdhsa_uses_dynamic_stack 0
		.amdhsa_enable_private_segment 0
		.amdhsa_system_sgpr_workgroup_id_x 1
		.amdhsa_system_sgpr_workgroup_id_y 0
		.amdhsa_system_sgpr_workgroup_id_z 0
		.amdhsa_system_sgpr_workgroup_info 0
		.amdhsa_system_vgpr_workitem_id 0
		.amdhsa_next_free_vgpr 1
		.amdhsa_next_free_sgpr 0
		.amdhsa_accum_offset 4
		.amdhsa_reserve_vcc 0
		.amdhsa_float_round_mode_32 0
		.amdhsa_float_round_mode_16_64 0
		.amdhsa_float_denorm_mode_32 3
		.amdhsa_float_denorm_mode_16_64 3
		.amdhsa_dx10_clamp 1
		.amdhsa_ieee_mode 1
		.amdhsa_fp16_overflow 0
		.amdhsa_tg_split 0
		.amdhsa_exception_fp_ieee_invalid_op 0
		.amdhsa_exception_fp_denorm_src 0
		.amdhsa_exception_fp_ieee_div_zero 0
		.amdhsa_exception_fp_ieee_overflow 0
		.amdhsa_exception_fp_ieee_underflow 0
		.amdhsa_exception_fp_ieee_inexact 0
		.amdhsa_exception_int_div_zero 0
	.end_amdhsa_kernel
	.section	.text._ZN7rocprim17ROCPRIM_400000_NS6detail17trampoline_kernelINS0_14default_configENS1_38merge_sort_block_merge_config_selectorIyyEEZZNS1_27merge_sort_block_merge_implIS3_N6thrust23THRUST_200600_302600_NS6detail15normal_iteratorINS8_10device_ptrIyEEEESD_jNS1_19radix_merge_compareILb0ELb1EyNS0_19identity_decomposerEEEEE10hipError_tT0_T1_T2_jT3_P12ihipStream_tbPNSt15iterator_traitsISI_E10value_typeEPNSO_ISJ_E10value_typeEPSK_NS1_7vsmem_tEENKUlT_SI_SJ_SK_E_clISD_PySD_S10_EESH_SX_SI_SJ_SK_EUlSX_E0_NS1_11comp_targetILNS1_3genE4ELNS1_11target_archE910ELNS1_3gpuE8ELNS1_3repE0EEENS1_38merge_mergepath_config_static_selectorELNS0_4arch9wavefront6targetE1EEEvSJ_,"axG",@progbits,_ZN7rocprim17ROCPRIM_400000_NS6detail17trampoline_kernelINS0_14default_configENS1_38merge_sort_block_merge_config_selectorIyyEEZZNS1_27merge_sort_block_merge_implIS3_N6thrust23THRUST_200600_302600_NS6detail15normal_iteratorINS8_10device_ptrIyEEEESD_jNS1_19radix_merge_compareILb0ELb1EyNS0_19identity_decomposerEEEEE10hipError_tT0_T1_T2_jT3_P12ihipStream_tbPNSt15iterator_traitsISI_E10value_typeEPNSO_ISJ_E10value_typeEPSK_NS1_7vsmem_tEENKUlT_SI_SJ_SK_E_clISD_PySD_S10_EESH_SX_SI_SJ_SK_EUlSX_E0_NS1_11comp_targetILNS1_3genE4ELNS1_11target_archE910ELNS1_3gpuE8ELNS1_3repE0EEENS1_38merge_mergepath_config_static_selectorELNS0_4arch9wavefront6targetE1EEEvSJ_,comdat
.Lfunc_end488:
	.size	_ZN7rocprim17ROCPRIM_400000_NS6detail17trampoline_kernelINS0_14default_configENS1_38merge_sort_block_merge_config_selectorIyyEEZZNS1_27merge_sort_block_merge_implIS3_N6thrust23THRUST_200600_302600_NS6detail15normal_iteratorINS8_10device_ptrIyEEEESD_jNS1_19radix_merge_compareILb0ELb1EyNS0_19identity_decomposerEEEEE10hipError_tT0_T1_T2_jT3_P12ihipStream_tbPNSt15iterator_traitsISI_E10value_typeEPNSO_ISJ_E10value_typeEPSK_NS1_7vsmem_tEENKUlT_SI_SJ_SK_E_clISD_PySD_S10_EESH_SX_SI_SJ_SK_EUlSX_E0_NS1_11comp_targetILNS1_3genE4ELNS1_11target_archE910ELNS1_3gpuE8ELNS1_3repE0EEENS1_38merge_mergepath_config_static_selectorELNS0_4arch9wavefront6targetE1EEEvSJ_, .Lfunc_end488-_ZN7rocprim17ROCPRIM_400000_NS6detail17trampoline_kernelINS0_14default_configENS1_38merge_sort_block_merge_config_selectorIyyEEZZNS1_27merge_sort_block_merge_implIS3_N6thrust23THRUST_200600_302600_NS6detail15normal_iteratorINS8_10device_ptrIyEEEESD_jNS1_19radix_merge_compareILb0ELb1EyNS0_19identity_decomposerEEEEE10hipError_tT0_T1_T2_jT3_P12ihipStream_tbPNSt15iterator_traitsISI_E10value_typeEPNSO_ISJ_E10value_typeEPSK_NS1_7vsmem_tEENKUlT_SI_SJ_SK_E_clISD_PySD_S10_EESH_SX_SI_SJ_SK_EUlSX_E0_NS1_11comp_targetILNS1_3genE4ELNS1_11target_archE910ELNS1_3gpuE8ELNS1_3repE0EEENS1_38merge_mergepath_config_static_selectorELNS0_4arch9wavefront6targetE1EEEvSJ_
                                        ; -- End function
	.set _ZN7rocprim17ROCPRIM_400000_NS6detail17trampoline_kernelINS0_14default_configENS1_38merge_sort_block_merge_config_selectorIyyEEZZNS1_27merge_sort_block_merge_implIS3_N6thrust23THRUST_200600_302600_NS6detail15normal_iteratorINS8_10device_ptrIyEEEESD_jNS1_19radix_merge_compareILb0ELb1EyNS0_19identity_decomposerEEEEE10hipError_tT0_T1_T2_jT3_P12ihipStream_tbPNSt15iterator_traitsISI_E10value_typeEPNSO_ISJ_E10value_typeEPSK_NS1_7vsmem_tEENKUlT_SI_SJ_SK_E_clISD_PySD_S10_EESH_SX_SI_SJ_SK_EUlSX_E0_NS1_11comp_targetILNS1_3genE4ELNS1_11target_archE910ELNS1_3gpuE8ELNS1_3repE0EEENS1_38merge_mergepath_config_static_selectorELNS0_4arch9wavefront6targetE1EEEvSJ_.num_vgpr, 0
	.set _ZN7rocprim17ROCPRIM_400000_NS6detail17trampoline_kernelINS0_14default_configENS1_38merge_sort_block_merge_config_selectorIyyEEZZNS1_27merge_sort_block_merge_implIS3_N6thrust23THRUST_200600_302600_NS6detail15normal_iteratorINS8_10device_ptrIyEEEESD_jNS1_19radix_merge_compareILb0ELb1EyNS0_19identity_decomposerEEEEE10hipError_tT0_T1_T2_jT3_P12ihipStream_tbPNSt15iterator_traitsISI_E10value_typeEPNSO_ISJ_E10value_typeEPSK_NS1_7vsmem_tEENKUlT_SI_SJ_SK_E_clISD_PySD_S10_EESH_SX_SI_SJ_SK_EUlSX_E0_NS1_11comp_targetILNS1_3genE4ELNS1_11target_archE910ELNS1_3gpuE8ELNS1_3repE0EEENS1_38merge_mergepath_config_static_selectorELNS0_4arch9wavefront6targetE1EEEvSJ_.num_agpr, 0
	.set _ZN7rocprim17ROCPRIM_400000_NS6detail17trampoline_kernelINS0_14default_configENS1_38merge_sort_block_merge_config_selectorIyyEEZZNS1_27merge_sort_block_merge_implIS3_N6thrust23THRUST_200600_302600_NS6detail15normal_iteratorINS8_10device_ptrIyEEEESD_jNS1_19radix_merge_compareILb0ELb1EyNS0_19identity_decomposerEEEEE10hipError_tT0_T1_T2_jT3_P12ihipStream_tbPNSt15iterator_traitsISI_E10value_typeEPNSO_ISJ_E10value_typeEPSK_NS1_7vsmem_tEENKUlT_SI_SJ_SK_E_clISD_PySD_S10_EESH_SX_SI_SJ_SK_EUlSX_E0_NS1_11comp_targetILNS1_3genE4ELNS1_11target_archE910ELNS1_3gpuE8ELNS1_3repE0EEENS1_38merge_mergepath_config_static_selectorELNS0_4arch9wavefront6targetE1EEEvSJ_.numbered_sgpr, 0
	.set _ZN7rocprim17ROCPRIM_400000_NS6detail17trampoline_kernelINS0_14default_configENS1_38merge_sort_block_merge_config_selectorIyyEEZZNS1_27merge_sort_block_merge_implIS3_N6thrust23THRUST_200600_302600_NS6detail15normal_iteratorINS8_10device_ptrIyEEEESD_jNS1_19radix_merge_compareILb0ELb1EyNS0_19identity_decomposerEEEEE10hipError_tT0_T1_T2_jT3_P12ihipStream_tbPNSt15iterator_traitsISI_E10value_typeEPNSO_ISJ_E10value_typeEPSK_NS1_7vsmem_tEENKUlT_SI_SJ_SK_E_clISD_PySD_S10_EESH_SX_SI_SJ_SK_EUlSX_E0_NS1_11comp_targetILNS1_3genE4ELNS1_11target_archE910ELNS1_3gpuE8ELNS1_3repE0EEENS1_38merge_mergepath_config_static_selectorELNS0_4arch9wavefront6targetE1EEEvSJ_.num_named_barrier, 0
	.set _ZN7rocprim17ROCPRIM_400000_NS6detail17trampoline_kernelINS0_14default_configENS1_38merge_sort_block_merge_config_selectorIyyEEZZNS1_27merge_sort_block_merge_implIS3_N6thrust23THRUST_200600_302600_NS6detail15normal_iteratorINS8_10device_ptrIyEEEESD_jNS1_19radix_merge_compareILb0ELb1EyNS0_19identity_decomposerEEEEE10hipError_tT0_T1_T2_jT3_P12ihipStream_tbPNSt15iterator_traitsISI_E10value_typeEPNSO_ISJ_E10value_typeEPSK_NS1_7vsmem_tEENKUlT_SI_SJ_SK_E_clISD_PySD_S10_EESH_SX_SI_SJ_SK_EUlSX_E0_NS1_11comp_targetILNS1_3genE4ELNS1_11target_archE910ELNS1_3gpuE8ELNS1_3repE0EEENS1_38merge_mergepath_config_static_selectorELNS0_4arch9wavefront6targetE1EEEvSJ_.private_seg_size, 0
	.set _ZN7rocprim17ROCPRIM_400000_NS6detail17trampoline_kernelINS0_14default_configENS1_38merge_sort_block_merge_config_selectorIyyEEZZNS1_27merge_sort_block_merge_implIS3_N6thrust23THRUST_200600_302600_NS6detail15normal_iteratorINS8_10device_ptrIyEEEESD_jNS1_19radix_merge_compareILb0ELb1EyNS0_19identity_decomposerEEEEE10hipError_tT0_T1_T2_jT3_P12ihipStream_tbPNSt15iterator_traitsISI_E10value_typeEPNSO_ISJ_E10value_typeEPSK_NS1_7vsmem_tEENKUlT_SI_SJ_SK_E_clISD_PySD_S10_EESH_SX_SI_SJ_SK_EUlSX_E0_NS1_11comp_targetILNS1_3genE4ELNS1_11target_archE910ELNS1_3gpuE8ELNS1_3repE0EEENS1_38merge_mergepath_config_static_selectorELNS0_4arch9wavefront6targetE1EEEvSJ_.uses_vcc, 0
	.set _ZN7rocprim17ROCPRIM_400000_NS6detail17trampoline_kernelINS0_14default_configENS1_38merge_sort_block_merge_config_selectorIyyEEZZNS1_27merge_sort_block_merge_implIS3_N6thrust23THRUST_200600_302600_NS6detail15normal_iteratorINS8_10device_ptrIyEEEESD_jNS1_19radix_merge_compareILb0ELb1EyNS0_19identity_decomposerEEEEE10hipError_tT0_T1_T2_jT3_P12ihipStream_tbPNSt15iterator_traitsISI_E10value_typeEPNSO_ISJ_E10value_typeEPSK_NS1_7vsmem_tEENKUlT_SI_SJ_SK_E_clISD_PySD_S10_EESH_SX_SI_SJ_SK_EUlSX_E0_NS1_11comp_targetILNS1_3genE4ELNS1_11target_archE910ELNS1_3gpuE8ELNS1_3repE0EEENS1_38merge_mergepath_config_static_selectorELNS0_4arch9wavefront6targetE1EEEvSJ_.uses_flat_scratch, 0
	.set _ZN7rocprim17ROCPRIM_400000_NS6detail17trampoline_kernelINS0_14default_configENS1_38merge_sort_block_merge_config_selectorIyyEEZZNS1_27merge_sort_block_merge_implIS3_N6thrust23THRUST_200600_302600_NS6detail15normal_iteratorINS8_10device_ptrIyEEEESD_jNS1_19radix_merge_compareILb0ELb1EyNS0_19identity_decomposerEEEEE10hipError_tT0_T1_T2_jT3_P12ihipStream_tbPNSt15iterator_traitsISI_E10value_typeEPNSO_ISJ_E10value_typeEPSK_NS1_7vsmem_tEENKUlT_SI_SJ_SK_E_clISD_PySD_S10_EESH_SX_SI_SJ_SK_EUlSX_E0_NS1_11comp_targetILNS1_3genE4ELNS1_11target_archE910ELNS1_3gpuE8ELNS1_3repE0EEENS1_38merge_mergepath_config_static_selectorELNS0_4arch9wavefront6targetE1EEEvSJ_.has_dyn_sized_stack, 0
	.set _ZN7rocprim17ROCPRIM_400000_NS6detail17trampoline_kernelINS0_14default_configENS1_38merge_sort_block_merge_config_selectorIyyEEZZNS1_27merge_sort_block_merge_implIS3_N6thrust23THRUST_200600_302600_NS6detail15normal_iteratorINS8_10device_ptrIyEEEESD_jNS1_19radix_merge_compareILb0ELb1EyNS0_19identity_decomposerEEEEE10hipError_tT0_T1_T2_jT3_P12ihipStream_tbPNSt15iterator_traitsISI_E10value_typeEPNSO_ISJ_E10value_typeEPSK_NS1_7vsmem_tEENKUlT_SI_SJ_SK_E_clISD_PySD_S10_EESH_SX_SI_SJ_SK_EUlSX_E0_NS1_11comp_targetILNS1_3genE4ELNS1_11target_archE910ELNS1_3gpuE8ELNS1_3repE0EEENS1_38merge_mergepath_config_static_selectorELNS0_4arch9wavefront6targetE1EEEvSJ_.has_recursion, 0
	.set _ZN7rocprim17ROCPRIM_400000_NS6detail17trampoline_kernelINS0_14default_configENS1_38merge_sort_block_merge_config_selectorIyyEEZZNS1_27merge_sort_block_merge_implIS3_N6thrust23THRUST_200600_302600_NS6detail15normal_iteratorINS8_10device_ptrIyEEEESD_jNS1_19radix_merge_compareILb0ELb1EyNS0_19identity_decomposerEEEEE10hipError_tT0_T1_T2_jT3_P12ihipStream_tbPNSt15iterator_traitsISI_E10value_typeEPNSO_ISJ_E10value_typeEPSK_NS1_7vsmem_tEENKUlT_SI_SJ_SK_E_clISD_PySD_S10_EESH_SX_SI_SJ_SK_EUlSX_E0_NS1_11comp_targetILNS1_3genE4ELNS1_11target_archE910ELNS1_3gpuE8ELNS1_3repE0EEENS1_38merge_mergepath_config_static_selectorELNS0_4arch9wavefront6targetE1EEEvSJ_.has_indirect_call, 0
	.section	.AMDGPU.csdata,"",@progbits
; Kernel info:
; codeLenInByte = 0
; TotalNumSgprs: 6
; NumVgprs: 0
; NumAgprs: 0
; TotalNumVgprs: 0
; ScratchSize: 0
; MemoryBound: 0
; FloatMode: 240
; IeeeMode: 1
; LDSByteSize: 0 bytes/workgroup (compile time only)
; SGPRBlocks: 0
; VGPRBlocks: 0
; NumSGPRsForWavesPerEU: 6
; NumVGPRsForWavesPerEU: 1
; AccumOffset: 4
; Occupancy: 8
; WaveLimiterHint : 0
; COMPUTE_PGM_RSRC2:SCRATCH_EN: 0
; COMPUTE_PGM_RSRC2:USER_SGPR: 2
; COMPUTE_PGM_RSRC2:TRAP_HANDLER: 0
; COMPUTE_PGM_RSRC2:TGID_X_EN: 1
; COMPUTE_PGM_RSRC2:TGID_Y_EN: 0
; COMPUTE_PGM_RSRC2:TGID_Z_EN: 0
; COMPUTE_PGM_RSRC2:TIDIG_COMP_CNT: 0
; COMPUTE_PGM_RSRC3_GFX90A:ACCUM_OFFSET: 0
; COMPUTE_PGM_RSRC3_GFX90A:TG_SPLIT: 0
	.section	.text._ZN7rocprim17ROCPRIM_400000_NS6detail17trampoline_kernelINS0_14default_configENS1_38merge_sort_block_merge_config_selectorIyyEEZZNS1_27merge_sort_block_merge_implIS3_N6thrust23THRUST_200600_302600_NS6detail15normal_iteratorINS8_10device_ptrIyEEEESD_jNS1_19radix_merge_compareILb0ELb1EyNS0_19identity_decomposerEEEEE10hipError_tT0_T1_T2_jT3_P12ihipStream_tbPNSt15iterator_traitsISI_E10value_typeEPNSO_ISJ_E10value_typeEPSK_NS1_7vsmem_tEENKUlT_SI_SJ_SK_E_clISD_PySD_S10_EESH_SX_SI_SJ_SK_EUlSX_E0_NS1_11comp_targetILNS1_3genE3ELNS1_11target_archE908ELNS1_3gpuE7ELNS1_3repE0EEENS1_38merge_mergepath_config_static_selectorELNS0_4arch9wavefront6targetE1EEEvSJ_,"axG",@progbits,_ZN7rocprim17ROCPRIM_400000_NS6detail17trampoline_kernelINS0_14default_configENS1_38merge_sort_block_merge_config_selectorIyyEEZZNS1_27merge_sort_block_merge_implIS3_N6thrust23THRUST_200600_302600_NS6detail15normal_iteratorINS8_10device_ptrIyEEEESD_jNS1_19radix_merge_compareILb0ELb1EyNS0_19identity_decomposerEEEEE10hipError_tT0_T1_T2_jT3_P12ihipStream_tbPNSt15iterator_traitsISI_E10value_typeEPNSO_ISJ_E10value_typeEPSK_NS1_7vsmem_tEENKUlT_SI_SJ_SK_E_clISD_PySD_S10_EESH_SX_SI_SJ_SK_EUlSX_E0_NS1_11comp_targetILNS1_3genE3ELNS1_11target_archE908ELNS1_3gpuE7ELNS1_3repE0EEENS1_38merge_mergepath_config_static_selectorELNS0_4arch9wavefront6targetE1EEEvSJ_,comdat
	.protected	_ZN7rocprim17ROCPRIM_400000_NS6detail17trampoline_kernelINS0_14default_configENS1_38merge_sort_block_merge_config_selectorIyyEEZZNS1_27merge_sort_block_merge_implIS3_N6thrust23THRUST_200600_302600_NS6detail15normal_iteratorINS8_10device_ptrIyEEEESD_jNS1_19radix_merge_compareILb0ELb1EyNS0_19identity_decomposerEEEEE10hipError_tT0_T1_T2_jT3_P12ihipStream_tbPNSt15iterator_traitsISI_E10value_typeEPNSO_ISJ_E10value_typeEPSK_NS1_7vsmem_tEENKUlT_SI_SJ_SK_E_clISD_PySD_S10_EESH_SX_SI_SJ_SK_EUlSX_E0_NS1_11comp_targetILNS1_3genE3ELNS1_11target_archE908ELNS1_3gpuE7ELNS1_3repE0EEENS1_38merge_mergepath_config_static_selectorELNS0_4arch9wavefront6targetE1EEEvSJ_ ; -- Begin function _ZN7rocprim17ROCPRIM_400000_NS6detail17trampoline_kernelINS0_14default_configENS1_38merge_sort_block_merge_config_selectorIyyEEZZNS1_27merge_sort_block_merge_implIS3_N6thrust23THRUST_200600_302600_NS6detail15normal_iteratorINS8_10device_ptrIyEEEESD_jNS1_19radix_merge_compareILb0ELb1EyNS0_19identity_decomposerEEEEE10hipError_tT0_T1_T2_jT3_P12ihipStream_tbPNSt15iterator_traitsISI_E10value_typeEPNSO_ISJ_E10value_typeEPSK_NS1_7vsmem_tEENKUlT_SI_SJ_SK_E_clISD_PySD_S10_EESH_SX_SI_SJ_SK_EUlSX_E0_NS1_11comp_targetILNS1_3genE3ELNS1_11target_archE908ELNS1_3gpuE7ELNS1_3repE0EEENS1_38merge_mergepath_config_static_selectorELNS0_4arch9wavefront6targetE1EEEvSJ_
	.globl	_ZN7rocprim17ROCPRIM_400000_NS6detail17trampoline_kernelINS0_14default_configENS1_38merge_sort_block_merge_config_selectorIyyEEZZNS1_27merge_sort_block_merge_implIS3_N6thrust23THRUST_200600_302600_NS6detail15normal_iteratorINS8_10device_ptrIyEEEESD_jNS1_19radix_merge_compareILb0ELb1EyNS0_19identity_decomposerEEEEE10hipError_tT0_T1_T2_jT3_P12ihipStream_tbPNSt15iterator_traitsISI_E10value_typeEPNSO_ISJ_E10value_typeEPSK_NS1_7vsmem_tEENKUlT_SI_SJ_SK_E_clISD_PySD_S10_EESH_SX_SI_SJ_SK_EUlSX_E0_NS1_11comp_targetILNS1_3genE3ELNS1_11target_archE908ELNS1_3gpuE7ELNS1_3repE0EEENS1_38merge_mergepath_config_static_selectorELNS0_4arch9wavefront6targetE1EEEvSJ_
	.p2align	8
	.type	_ZN7rocprim17ROCPRIM_400000_NS6detail17trampoline_kernelINS0_14default_configENS1_38merge_sort_block_merge_config_selectorIyyEEZZNS1_27merge_sort_block_merge_implIS3_N6thrust23THRUST_200600_302600_NS6detail15normal_iteratorINS8_10device_ptrIyEEEESD_jNS1_19radix_merge_compareILb0ELb1EyNS0_19identity_decomposerEEEEE10hipError_tT0_T1_T2_jT3_P12ihipStream_tbPNSt15iterator_traitsISI_E10value_typeEPNSO_ISJ_E10value_typeEPSK_NS1_7vsmem_tEENKUlT_SI_SJ_SK_E_clISD_PySD_S10_EESH_SX_SI_SJ_SK_EUlSX_E0_NS1_11comp_targetILNS1_3genE3ELNS1_11target_archE908ELNS1_3gpuE7ELNS1_3repE0EEENS1_38merge_mergepath_config_static_selectorELNS0_4arch9wavefront6targetE1EEEvSJ_,@function
_ZN7rocprim17ROCPRIM_400000_NS6detail17trampoline_kernelINS0_14default_configENS1_38merge_sort_block_merge_config_selectorIyyEEZZNS1_27merge_sort_block_merge_implIS3_N6thrust23THRUST_200600_302600_NS6detail15normal_iteratorINS8_10device_ptrIyEEEESD_jNS1_19radix_merge_compareILb0ELb1EyNS0_19identity_decomposerEEEEE10hipError_tT0_T1_T2_jT3_P12ihipStream_tbPNSt15iterator_traitsISI_E10value_typeEPNSO_ISJ_E10value_typeEPSK_NS1_7vsmem_tEENKUlT_SI_SJ_SK_E_clISD_PySD_S10_EESH_SX_SI_SJ_SK_EUlSX_E0_NS1_11comp_targetILNS1_3genE3ELNS1_11target_archE908ELNS1_3gpuE7ELNS1_3repE0EEENS1_38merge_mergepath_config_static_selectorELNS0_4arch9wavefront6targetE1EEEvSJ_: ; @_ZN7rocprim17ROCPRIM_400000_NS6detail17trampoline_kernelINS0_14default_configENS1_38merge_sort_block_merge_config_selectorIyyEEZZNS1_27merge_sort_block_merge_implIS3_N6thrust23THRUST_200600_302600_NS6detail15normal_iteratorINS8_10device_ptrIyEEEESD_jNS1_19radix_merge_compareILb0ELb1EyNS0_19identity_decomposerEEEEE10hipError_tT0_T1_T2_jT3_P12ihipStream_tbPNSt15iterator_traitsISI_E10value_typeEPNSO_ISJ_E10value_typeEPSK_NS1_7vsmem_tEENKUlT_SI_SJ_SK_E_clISD_PySD_S10_EESH_SX_SI_SJ_SK_EUlSX_E0_NS1_11comp_targetILNS1_3genE3ELNS1_11target_archE908ELNS1_3gpuE7ELNS1_3repE0EEENS1_38merge_mergepath_config_static_selectorELNS0_4arch9wavefront6targetE1EEEvSJ_
; %bb.0:
	.section	.rodata,"a",@progbits
	.p2align	6, 0x0
	.amdhsa_kernel _ZN7rocprim17ROCPRIM_400000_NS6detail17trampoline_kernelINS0_14default_configENS1_38merge_sort_block_merge_config_selectorIyyEEZZNS1_27merge_sort_block_merge_implIS3_N6thrust23THRUST_200600_302600_NS6detail15normal_iteratorINS8_10device_ptrIyEEEESD_jNS1_19radix_merge_compareILb0ELb1EyNS0_19identity_decomposerEEEEE10hipError_tT0_T1_T2_jT3_P12ihipStream_tbPNSt15iterator_traitsISI_E10value_typeEPNSO_ISJ_E10value_typeEPSK_NS1_7vsmem_tEENKUlT_SI_SJ_SK_E_clISD_PySD_S10_EESH_SX_SI_SJ_SK_EUlSX_E0_NS1_11comp_targetILNS1_3genE3ELNS1_11target_archE908ELNS1_3gpuE7ELNS1_3repE0EEENS1_38merge_mergepath_config_static_selectorELNS0_4arch9wavefront6targetE1EEEvSJ_
		.amdhsa_group_segment_fixed_size 0
		.amdhsa_private_segment_fixed_size 0
		.amdhsa_kernarg_size 72
		.amdhsa_user_sgpr_count 2
		.amdhsa_user_sgpr_dispatch_ptr 0
		.amdhsa_user_sgpr_queue_ptr 0
		.amdhsa_user_sgpr_kernarg_segment_ptr 1
		.amdhsa_user_sgpr_dispatch_id 0
		.amdhsa_user_sgpr_kernarg_preload_length 0
		.amdhsa_user_sgpr_kernarg_preload_offset 0
		.amdhsa_user_sgpr_private_segment_size 0
		.amdhsa_uses_dynamic_stack 0
		.amdhsa_enable_private_segment 0
		.amdhsa_system_sgpr_workgroup_id_x 1
		.amdhsa_system_sgpr_workgroup_id_y 0
		.amdhsa_system_sgpr_workgroup_id_z 0
		.amdhsa_system_sgpr_workgroup_info 0
		.amdhsa_system_vgpr_workitem_id 0
		.amdhsa_next_free_vgpr 1
		.amdhsa_next_free_sgpr 0
		.amdhsa_accum_offset 4
		.amdhsa_reserve_vcc 0
		.amdhsa_float_round_mode_32 0
		.amdhsa_float_round_mode_16_64 0
		.amdhsa_float_denorm_mode_32 3
		.amdhsa_float_denorm_mode_16_64 3
		.amdhsa_dx10_clamp 1
		.amdhsa_ieee_mode 1
		.amdhsa_fp16_overflow 0
		.amdhsa_tg_split 0
		.amdhsa_exception_fp_ieee_invalid_op 0
		.amdhsa_exception_fp_denorm_src 0
		.amdhsa_exception_fp_ieee_div_zero 0
		.amdhsa_exception_fp_ieee_overflow 0
		.amdhsa_exception_fp_ieee_underflow 0
		.amdhsa_exception_fp_ieee_inexact 0
		.amdhsa_exception_int_div_zero 0
	.end_amdhsa_kernel
	.section	.text._ZN7rocprim17ROCPRIM_400000_NS6detail17trampoline_kernelINS0_14default_configENS1_38merge_sort_block_merge_config_selectorIyyEEZZNS1_27merge_sort_block_merge_implIS3_N6thrust23THRUST_200600_302600_NS6detail15normal_iteratorINS8_10device_ptrIyEEEESD_jNS1_19radix_merge_compareILb0ELb1EyNS0_19identity_decomposerEEEEE10hipError_tT0_T1_T2_jT3_P12ihipStream_tbPNSt15iterator_traitsISI_E10value_typeEPNSO_ISJ_E10value_typeEPSK_NS1_7vsmem_tEENKUlT_SI_SJ_SK_E_clISD_PySD_S10_EESH_SX_SI_SJ_SK_EUlSX_E0_NS1_11comp_targetILNS1_3genE3ELNS1_11target_archE908ELNS1_3gpuE7ELNS1_3repE0EEENS1_38merge_mergepath_config_static_selectorELNS0_4arch9wavefront6targetE1EEEvSJ_,"axG",@progbits,_ZN7rocprim17ROCPRIM_400000_NS6detail17trampoline_kernelINS0_14default_configENS1_38merge_sort_block_merge_config_selectorIyyEEZZNS1_27merge_sort_block_merge_implIS3_N6thrust23THRUST_200600_302600_NS6detail15normal_iteratorINS8_10device_ptrIyEEEESD_jNS1_19radix_merge_compareILb0ELb1EyNS0_19identity_decomposerEEEEE10hipError_tT0_T1_T2_jT3_P12ihipStream_tbPNSt15iterator_traitsISI_E10value_typeEPNSO_ISJ_E10value_typeEPSK_NS1_7vsmem_tEENKUlT_SI_SJ_SK_E_clISD_PySD_S10_EESH_SX_SI_SJ_SK_EUlSX_E0_NS1_11comp_targetILNS1_3genE3ELNS1_11target_archE908ELNS1_3gpuE7ELNS1_3repE0EEENS1_38merge_mergepath_config_static_selectorELNS0_4arch9wavefront6targetE1EEEvSJ_,comdat
.Lfunc_end489:
	.size	_ZN7rocprim17ROCPRIM_400000_NS6detail17trampoline_kernelINS0_14default_configENS1_38merge_sort_block_merge_config_selectorIyyEEZZNS1_27merge_sort_block_merge_implIS3_N6thrust23THRUST_200600_302600_NS6detail15normal_iteratorINS8_10device_ptrIyEEEESD_jNS1_19radix_merge_compareILb0ELb1EyNS0_19identity_decomposerEEEEE10hipError_tT0_T1_T2_jT3_P12ihipStream_tbPNSt15iterator_traitsISI_E10value_typeEPNSO_ISJ_E10value_typeEPSK_NS1_7vsmem_tEENKUlT_SI_SJ_SK_E_clISD_PySD_S10_EESH_SX_SI_SJ_SK_EUlSX_E0_NS1_11comp_targetILNS1_3genE3ELNS1_11target_archE908ELNS1_3gpuE7ELNS1_3repE0EEENS1_38merge_mergepath_config_static_selectorELNS0_4arch9wavefront6targetE1EEEvSJ_, .Lfunc_end489-_ZN7rocprim17ROCPRIM_400000_NS6detail17trampoline_kernelINS0_14default_configENS1_38merge_sort_block_merge_config_selectorIyyEEZZNS1_27merge_sort_block_merge_implIS3_N6thrust23THRUST_200600_302600_NS6detail15normal_iteratorINS8_10device_ptrIyEEEESD_jNS1_19radix_merge_compareILb0ELb1EyNS0_19identity_decomposerEEEEE10hipError_tT0_T1_T2_jT3_P12ihipStream_tbPNSt15iterator_traitsISI_E10value_typeEPNSO_ISJ_E10value_typeEPSK_NS1_7vsmem_tEENKUlT_SI_SJ_SK_E_clISD_PySD_S10_EESH_SX_SI_SJ_SK_EUlSX_E0_NS1_11comp_targetILNS1_3genE3ELNS1_11target_archE908ELNS1_3gpuE7ELNS1_3repE0EEENS1_38merge_mergepath_config_static_selectorELNS0_4arch9wavefront6targetE1EEEvSJ_
                                        ; -- End function
	.set _ZN7rocprim17ROCPRIM_400000_NS6detail17trampoline_kernelINS0_14default_configENS1_38merge_sort_block_merge_config_selectorIyyEEZZNS1_27merge_sort_block_merge_implIS3_N6thrust23THRUST_200600_302600_NS6detail15normal_iteratorINS8_10device_ptrIyEEEESD_jNS1_19radix_merge_compareILb0ELb1EyNS0_19identity_decomposerEEEEE10hipError_tT0_T1_T2_jT3_P12ihipStream_tbPNSt15iterator_traitsISI_E10value_typeEPNSO_ISJ_E10value_typeEPSK_NS1_7vsmem_tEENKUlT_SI_SJ_SK_E_clISD_PySD_S10_EESH_SX_SI_SJ_SK_EUlSX_E0_NS1_11comp_targetILNS1_3genE3ELNS1_11target_archE908ELNS1_3gpuE7ELNS1_3repE0EEENS1_38merge_mergepath_config_static_selectorELNS0_4arch9wavefront6targetE1EEEvSJ_.num_vgpr, 0
	.set _ZN7rocprim17ROCPRIM_400000_NS6detail17trampoline_kernelINS0_14default_configENS1_38merge_sort_block_merge_config_selectorIyyEEZZNS1_27merge_sort_block_merge_implIS3_N6thrust23THRUST_200600_302600_NS6detail15normal_iteratorINS8_10device_ptrIyEEEESD_jNS1_19radix_merge_compareILb0ELb1EyNS0_19identity_decomposerEEEEE10hipError_tT0_T1_T2_jT3_P12ihipStream_tbPNSt15iterator_traitsISI_E10value_typeEPNSO_ISJ_E10value_typeEPSK_NS1_7vsmem_tEENKUlT_SI_SJ_SK_E_clISD_PySD_S10_EESH_SX_SI_SJ_SK_EUlSX_E0_NS1_11comp_targetILNS1_3genE3ELNS1_11target_archE908ELNS1_3gpuE7ELNS1_3repE0EEENS1_38merge_mergepath_config_static_selectorELNS0_4arch9wavefront6targetE1EEEvSJ_.num_agpr, 0
	.set _ZN7rocprim17ROCPRIM_400000_NS6detail17trampoline_kernelINS0_14default_configENS1_38merge_sort_block_merge_config_selectorIyyEEZZNS1_27merge_sort_block_merge_implIS3_N6thrust23THRUST_200600_302600_NS6detail15normal_iteratorINS8_10device_ptrIyEEEESD_jNS1_19radix_merge_compareILb0ELb1EyNS0_19identity_decomposerEEEEE10hipError_tT0_T1_T2_jT3_P12ihipStream_tbPNSt15iterator_traitsISI_E10value_typeEPNSO_ISJ_E10value_typeEPSK_NS1_7vsmem_tEENKUlT_SI_SJ_SK_E_clISD_PySD_S10_EESH_SX_SI_SJ_SK_EUlSX_E0_NS1_11comp_targetILNS1_3genE3ELNS1_11target_archE908ELNS1_3gpuE7ELNS1_3repE0EEENS1_38merge_mergepath_config_static_selectorELNS0_4arch9wavefront6targetE1EEEvSJ_.numbered_sgpr, 0
	.set _ZN7rocprim17ROCPRIM_400000_NS6detail17trampoline_kernelINS0_14default_configENS1_38merge_sort_block_merge_config_selectorIyyEEZZNS1_27merge_sort_block_merge_implIS3_N6thrust23THRUST_200600_302600_NS6detail15normal_iteratorINS8_10device_ptrIyEEEESD_jNS1_19radix_merge_compareILb0ELb1EyNS0_19identity_decomposerEEEEE10hipError_tT0_T1_T2_jT3_P12ihipStream_tbPNSt15iterator_traitsISI_E10value_typeEPNSO_ISJ_E10value_typeEPSK_NS1_7vsmem_tEENKUlT_SI_SJ_SK_E_clISD_PySD_S10_EESH_SX_SI_SJ_SK_EUlSX_E0_NS1_11comp_targetILNS1_3genE3ELNS1_11target_archE908ELNS1_3gpuE7ELNS1_3repE0EEENS1_38merge_mergepath_config_static_selectorELNS0_4arch9wavefront6targetE1EEEvSJ_.num_named_barrier, 0
	.set _ZN7rocprim17ROCPRIM_400000_NS6detail17trampoline_kernelINS0_14default_configENS1_38merge_sort_block_merge_config_selectorIyyEEZZNS1_27merge_sort_block_merge_implIS3_N6thrust23THRUST_200600_302600_NS6detail15normal_iteratorINS8_10device_ptrIyEEEESD_jNS1_19radix_merge_compareILb0ELb1EyNS0_19identity_decomposerEEEEE10hipError_tT0_T1_T2_jT3_P12ihipStream_tbPNSt15iterator_traitsISI_E10value_typeEPNSO_ISJ_E10value_typeEPSK_NS1_7vsmem_tEENKUlT_SI_SJ_SK_E_clISD_PySD_S10_EESH_SX_SI_SJ_SK_EUlSX_E0_NS1_11comp_targetILNS1_3genE3ELNS1_11target_archE908ELNS1_3gpuE7ELNS1_3repE0EEENS1_38merge_mergepath_config_static_selectorELNS0_4arch9wavefront6targetE1EEEvSJ_.private_seg_size, 0
	.set _ZN7rocprim17ROCPRIM_400000_NS6detail17trampoline_kernelINS0_14default_configENS1_38merge_sort_block_merge_config_selectorIyyEEZZNS1_27merge_sort_block_merge_implIS3_N6thrust23THRUST_200600_302600_NS6detail15normal_iteratorINS8_10device_ptrIyEEEESD_jNS1_19radix_merge_compareILb0ELb1EyNS0_19identity_decomposerEEEEE10hipError_tT0_T1_T2_jT3_P12ihipStream_tbPNSt15iterator_traitsISI_E10value_typeEPNSO_ISJ_E10value_typeEPSK_NS1_7vsmem_tEENKUlT_SI_SJ_SK_E_clISD_PySD_S10_EESH_SX_SI_SJ_SK_EUlSX_E0_NS1_11comp_targetILNS1_3genE3ELNS1_11target_archE908ELNS1_3gpuE7ELNS1_3repE0EEENS1_38merge_mergepath_config_static_selectorELNS0_4arch9wavefront6targetE1EEEvSJ_.uses_vcc, 0
	.set _ZN7rocprim17ROCPRIM_400000_NS6detail17trampoline_kernelINS0_14default_configENS1_38merge_sort_block_merge_config_selectorIyyEEZZNS1_27merge_sort_block_merge_implIS3_N6thrust23THRUST_200600_302600_NS6detail15normal_iteratorINS8_10device_ptrIyEEEESD_jNS1_19radix_merge_compareILb0ELb1EyNS0_19identity_decomposerEEEEE10hipError_tT0_T1_T2_jT3_P12ihipStream_tbPNSt15iterator_traitsISI_E10value_typeEPNSO_ISJ_E10value_typeEPSK_NS1_7vsmem_tEENKUlT_SI_SJ_SK_E_clISD_PySD_S10_EESH_SX_SI_SJ_SK_EUlSX_E0_NS1_11comp_targetILNS1_3genE3ELNS1_11target_archE908ELNS1_3gpuE7ELNS1_3repE0EEENS1_38merge_mergepath_config_static_selectorELNS0_4arch9wavefront6targetE1EEEvSJ_.uses_flat_scratch, 0
	.set _ZN7rocprim17ROCPRIM_400000_NS6detail17trampoline_kernelINS0_14default_configENS1_38merge_sort_block_merge_config_selectorIyyEEZZNS1_27merge_sort_block_merge_implIS3_N6thrust23THRUST_200600_302600_NS6detail15normal_iteratorINS8_10device_ptrIyEEEESD_jNS1_19radix_merge_compareILb0ELb1EyNS0_19identity_decomposerEEEEE10hipError_tT0_T1_T2_jT3_P12ihipStream_tbPNSt15iterator_traitsISI_E10value_typeEPNSO_ISJ_E10value_typeEPSK_NS1_7vsmem_tEENKUlT_SI_SJ_SK_E_clISD_PySD_S10_EESH_SX_SI_SJ_SK_EUlSX_E0_NS1_11comp_targetILNS1_3genE3ELNS1_11target_archE908ELNS1_3gpuE7ELNS1_3repE0EEENS1_38merge_mergepath_config_static_selectorELNS0_4arch9wavefront6targetE1EEEvSJ_.has_dyn_sized_stack, 0
	.set _ZN7rocprim17ROCPRIM_400000_NS6detail17trampoline_kernelINS0_14default_configENS1_38merge_sort_block_merge_config_selectorIyyEEZZNS1_27merge_sort_block_merge_implIS3_N6thrust23THRUST_200600_302600_NS6detail15normal_iteratorINS8_10device_ptrIyEEEESD_jNS1_19radix_merge_compareILb0ELb1EyNS0_19identity_decomposerEEEEE10hipError_tT0_T1_T2_jT3_P12ihipStream_tbPNSt15iterator_traitsISI_E10value_typeEPNSO_ISJ_E10value_typeEPSK_NS1_7vsmem_tEENKUlT_SI_SJ_SK_E_clISD_PySD_S10_EESH_SX_SI_SJ_SK_EUlSX_E0_NS1_11comp_targetILNS1_3genE3ELNS1_11target_archE908ELNS1_3gpuE7ELNS1_3repE0EEENS1_38merge_mergepath_config_static_selectorELNS0_4arch9wavefront6targetE1EEEvSJ_.has_recursion, 0
	.set _ZN7rocprim17ROCPRIM_400000_NS6detail17trampoline_kernelINS0_14default_configENS1_38merge_sort_block_merge_config_selectorIyyEEZZNS1_27merge_sort_block_merge_implIS3_N6thrust23THRUST_200600_302600_NS6detail15normal_iteratorINS8_10device_ptrIyEEEESD_jNS1_19radix_merge_compareILb0ELb1EyNS0_19identity_decomposerEEEEE10hipError_tT0_T1_T2_jT3_P12ihipStream_tbPNSt15iterator_traitsISI_E10value_typeEPNSO_ISJ_E10value_typeEPSK_NS1_7vsmem_tEENKUlT_SI_SJ_SK_E_clISD_PySD_S10_EESH_SX_SI_SJ_SK_EUlSX_E0_NS1_11comp_targetILNS1_3genE3ELNS1_11target_archE908ELNS1_3gpuE7ELNS1_3repE0EEENS1_38merge_mergepath_config_static_selectorELNS0_4arch9wavefront6targetE1EEEvSJ_.has_indirect_call, 0
	.section	.AMDGPU.csdata,"",@progbits
; Kernel info:
; codeLenInByte = 0
; TotalNumSgprs: 6
; NumVgprs: 0
; NumAgprs: 0
; TotalNumVgprs: 0
; ScratchSize: 0
; MemoryBound: 0
; FloatMode: 240
; IeeeMode: 1
; LDSByteSize: 0 bytes/workgroup (compile time only)
; SGPRBlocks: 0
; VGPRBlocks: 0
; NumSGPRsForWavesPerEU: 6
; NumVGPRsForWavesPerEU: 1
; AccumOffset: 4
; Occupancy: 8
; WaveLimiterHint : 0
; COMPUTE_PGM_RSRC2:SCRATCH_EN: 0
; COMPUTE_PGM_RSRC2:USER_SGPR: 2
; COMPUTE_PGM_RSRC2:TRAP_HANDLER: 0
; COMPUTE_PGM_RSRC2:TGID_X_EN: 1
; COMPUTE_PGM_RSRC2:TGID_Y_EN: 0
; COMPUTE_PGM_RSRC2:TGID_Z_EN: 0
; COMPUTE_PGM_RSRC2:TIDIG_COMP_CNT: 0
; COMPUTE_PGM_RSRC3_GFX90A:ACCUM_OFFSET: 0
; COMPUTE_PGM_RSRC3_GFX90A:TG_SPLIT: 0
	.section	.text._ZN7rocprim17ROCPRIM_400000_NS6detail17trampoline_kernelINS0_14default_configENS1_38merge_sort_block_merge_config_selectorIyyEEZZNS1_27merge_sort_block_merge_implIS3_N6thrust23THRUST_200600_302600_NS6detail15normal_iteratorINS8_10device_ptrIyEEEESD_jNS1_19radix_merge_compareILb0ELb1EyNS0_19identity_decomposerEEEEE10hipError_tT0_T1_T2_jT3_P12ihipStream_tbPNSt15iterator_traitsISI_E10value_typeEPNSO_ISJ_E10value_typeEPSK_NS1_7vsmem_tEENKUlT_SI_SJ_SK_E_clISD_PySD_S10_EESH_SX_SI_SJ_SK_EUlSX_E0_NS1_11comp_targetILNS1_3genE2ELNS1_11target_archE906ELNS1_3gpuE6ELNS1_3repE0EEENS1_38merge_mergepath_config_static_selectorELNS0_4arch9wavefront6targetE1EEEvSJ_,"axG",@progbits,_ZN7rocprim17ROCPRIM_400000_NS6detail17trampoline_kernelINS0_14default_configENS1_38merge_sort_block_merge_config_selectorIyyEEZZNS1_27merge_sort_block_merge_implIS3_N6thrust23THRUST_200600_302600_NS6detail15normal_iteratorINS8_10device_ptrIyEEEESD_jNS1_19radix_merge_compareILb0ELb1EyNS0_19identity_decomposerEEEEE10hipError_tT0_T1_T2_jT3_P12ihipStream_tbPNSt15iterator_traitsISI_E10value_typeEPNSO_ISJ_E10value_typeEPSK_NS1_7vsmem_tEENKUlT_SI_SJ_SK_E_clISD_PySD_S10_EESH_SX_SI_SJ_SK_EUlSX_E0_NS1_11comp_targetILNS1_3genE2ELNS1_11target_archE906ELNS1_3gpuE6ELNS1_3repE0EEENS1_38merge_mergepath_config_static_selectorELNS0_4arch9wavefront6targetE1EEEvSJ_,comdat
	.protected	_ZN7rocprim17ROCPRIM_400000_NS6detail17trampoline_kernelINS0_14default_configENS1_38merge_sort_block_merge_config_selectorIyyEEZZNS1_27merge_sort_block_merge_implIS3_N6thrust23THRUST_200600_302600_NS6detail15normal_iteratorINS8_10device_ptrIyEEEESD_jNS1_19radix_merge_compareILb0ELb1EyNS0_19identity_decomposerEEEEE10hipError_tT0_T1_T2_jT3_P12ihipStream_tbPNSt15iterator_traitsISI_E10value_typeEPNSO_ISJ_E10value_typeEPSK_NS1_7vsmem_tEENKUlT_SI_SJ_SK_E_clISD_PySD_S10_EESH_SX_SI_SJ_SK_EUlSX_E0_NS1_11comp_targetILNS1_3genE2ELNS1_11target_archE906ELNS1_3gpuE6ELNS1_3repE0EEENS1_38merge_mergepath_config_static_selectorELNS0_4arch9wavefront6targetE1EEEvSJ_ ; -- Begin function _ZN7rocprim17ROCPRIM_400000_NS6detail17trampoline_kernelINS0_14default_configENS1_38merge_sort_block_merge_config_selectorIyyEEZZNS1_27merge_sort_block_merge_implIS3_N6thrust23THRUST_200600_302600_NS6detail15normal_iteratorINS8_10device_ptrIyEEEESD_jNS1_19radix_merge_compareILb0ELb1EyNS0_19identity_decomposerEEEEE10hipError_tT0_T1_T2_jT3_P12ihipStream_tbPNSt15iterator_traitsISI_E10value_typeEPNSO_ISJ_E10value_typeEPSK_NS1_7vsmem_tEENKUlT_SI_SJ_SK_E_clISD_PySD_S10_EESH_SX_SI_SJ_SK_EUlSX_E0_NS1_11comp_targetILNS1_3genE2ELNS1_11target_archE906ELNS1_3gpuE6ELNS1_3repE0EEENS1_38merge_mergepath_config_static_selectorELNS0_4arch9wavefront6targetE1EEEvSJ_
	.globl	_ZN7rocprim17ROCPRIM_400000_NS6detail17trampoline_kernelINS0_14default_configENS1_38merge_sort_block_merge_config_selectorIyyEEZZNS1_27merge_sort_block_merge_implIS3_N6thrust23THRUST_200600_302600_NS6detail15normal_iteratorINS8_10device_ptrIyEEEESD_jNS1_19radix_merge_compareILb0ELb1EyNS0_19identity_decomposerEEEEE10hipError_tT0_T1_T2_jT3_P12ihipStream_tbPNSt15iterator_traitsISI_E10value_typeEPNSO_ISJ_E10value_typeEPSK_NS1_7vsmem_tEENKUlT_SI_SJ_SK_E_clISD_PySD_S10_EESH_SX_SI_SJ_SK_EUlSX_E0_NS1_11comp_targetILNS1_3genE2ELNS1_11target_archE906ELNS1_3gpuE6ELNS1_3repE0EEENS1_38merge_mergepath_config_static_selectorELNS0_4arch9wavefront6targetE1EEEvSJ_
	.p2align	8
	.type	_ZN7rocprim17ROCPRIM_400000_NS6detail17trampoline_kernelINS0_14default_configENS1_38merge_sort_block_merge_config_selectorIyyEEZZNS1_27merge_sort_block_merge_implIS3_N6thrust23THRUST_200600_302600_NS6detail15normal_iteratorINS8_10device_ptrIyEEEESD_jNS1_19radix_merge_compareILb0ELb1EyNS0_19identity_decomposerEEEEE10hipError_tT0_T1_T2_jT3_P12ihipStream_tbPNSt15iterator_traitsISI_E10value_typeEPNSO_ISJ_E10value_typeEPSK_NS1_7vsmem_tEENKUlT_SI_SJ_SK_E_clISD_PySD_S10_EESH_SX_SI_SJ_SK_EUlSX_E0_NS1_11comp_targetILNS1_3genE2ELNS1_11target_archE906ELNS1_3gpuE6ELNS1_3repE0EEENS1_38merge_mergepath_config_static_selectorELNS0_4arch9wavefront6targetE1EEEvSJ_,@function
_ZN7rocprim17ROCPRIM_400000_NS6detail17trampoline_kernelINS0_14default_configENS1_38merge_sort_block_merge_config_selectorIyyEEZZNS1_27merge_sort_block_merge_implIS3_N6thrust23THRUST_200600_302600_NS6detail15normal_iteratorINS8_10device_ptrIyEEEESD_jNS1_19radix_merge_compareILb0ELb1EyNS0_19identity_decomposerEEEEE10hipError_tT0_T1_T2_jT3_P12ihipStream_tbPNSt15iterator_traitsISI_E10value_typeEPNSO_ISJ_E10value_typeEPSK_NS1_7vsmem_tEENKUlT_SI_SJ_SK_E_clISD_PySD_S10_EESH_SX_SI_SJ_SK_EUlSX_E0_NS1_11comp_targetILNS1_3genE2ELNS1_11target_archE906ELNS1_3gpuE6ELNS1_3repE0EEENS1_38merge_mergepath_config_static_selectorELNS0_4arch9wavefront6targetE1EEEvSJ_: ; @_ZN7rocprim17ROCPRIM_400000_NS6detail17trampoline_kernelINS0_14default_configENS1_38merge_sort_block_merge_config_selectorIyyEEZZNS1_27merge_sort_block_merge_implIS3_N6thrust23THRUST_200600_302600_NS6detail15normal_iteratorINS8_10device_ptrIyEEEESD_jNS1_19radix_merge_compareILb0ELb1EyNS0_19identity_decomposerEEEEE10hipError_tT0_T1_T2_jT3_P12ihipStream_tbPNSt15iterator_traitsISI_E10value_typeEPNSO_ISJ_E10value_typeEPSK_NS1_7vsmem_tEENKUlT_SI_SJ_SK_E_clISD_PySD_S10_EESH_SX_SI_SJ_SK_EUlSX_E0_NS1_11comp_targetILNS1_3genE2ELNS1_11target_archE906ELNS1_3gpuE6ELNS1_3repE0EEENS1_38merge_mergepath_config_static_selectorELNS0_4arch9wavefront6targetE1EEEvSJ_
; %bb.0:
	.section	.rodata,"a",@progbits
	.p2align	6, 0x0
	.amdhsa_kernel _ZN7rocprim17ROCPRIM_400000_NS6detail17trampoline_kernelINS0_14default_configENS1_38merge_sort_block_merge_config_selectorIyyEEZZNS1_27merge_sort_block_merge_implIS3_N6thrust23THRUST_200600_302600_NS6detail15normal_iteratorINS8_10device_ptrIyEEEESD_jNS1_19radix_merge_compareILb0ELb1EyNS0_19identity_decomposerEEEEE10hipError_tT0_T1_T2_jT3_P12ihipStream_tbPNSt15iterator_traitsISI_E10value_typeEPNSO_ISJ_E10value_typeEPSK_NS1_7vsmem_tEENKUlT_SI_SJ_SK_E_clISD_PySD_S10_EESH_SX_SI_SJ_SK_EUlSX_E0_NS1_11comp_targetILNS1_3genE2ELNS1_11target_archE906ELNS1_3gpuE6ELNS1_3repE0EEENS1_38merge_mergepath_config_static_selectorELNS0_4arch9wavefront6targetE1EEEvSJ_
		.amdhsa_group_segment_fixed_size 0
		.amdhsa_private_segment_fixed_size 0
		.amdhsa_kernarg_size 72
		.amdhsa_user_sgpr_count 2
		.amdhsa_user_sgpr_dispatch_ptr 0
		.amdhsa_user_sgpr_queue_ptr 0
		.amdhsa_user_sgpr_kernarg_segment_ptr 1
		.amdhsa_user_sgpr_dispatch_id 0
		.amdhsa_user_sgpr_kernarg_preload_length 0
		.amdhsa_user_sgpr_kernarg_preload_offset 0
		.amdhsa_user_sgpr_private_segment_size 0
		.amdhsa_uses_dynamic_stack 0
		.amdhsa_enable_private_segment 0
		.amdhsa_system_sgpr_workgroup_id_x 1
		.amdhsa_system_sgpr_workgroup_id_y 0
		.amdhsa_system_sgpr_workgroup_id_z 0
		.amdhsa_system_sgpr_workgroup_info 0
		.amdhsa_system_vgpr_workitem_id 0
		.amdhsa_next_free_vgpr 1
		.amdhsa_next_free_sgpr 0
		.amdhsa_accum_offset 4
		.amdhsa_reserve_vcc 0
		.amdhsa_float_round_mode_32 0
		.amdhsa_float_round_mode_16_64 0
		.amdhsa_float_denorm_mode_32 3
		.amdhsa_float_denorm_mode_16_64 3
		.amdhsa_dx10_clamp 1
		.amdhsa_ieee_mode 1
		.amdhsa_fp16_overflow 0
		.amdhsa_tg_split 0
		.amdhsa_exception_fp_ieee_invalid_op 0
		.amdhsa_exception_fp_denorm_src 0
		.amdhsa_exception_fp_ieee_div_zero 0
		.amdhsa_exception_fp_ieee_overflow 0
		.amdhsa_exception_fp_ieee_underflow 0
		.amdhsa_exception_fp_ieee_inexact 0
		.amdhsa_exception_int_div_zero 0
	.end_amdhsa_kernel
	.section	.text._ZN7rocprim17ROCPRIM_400000_NS6detail17trampoline_kernelINS0_14default_configENS1_38merge_sort_block_merge_config_selectorIyyEEZZNS1_27merge_sort_block_merge_implIS3_N6thrust23THRUST_200600_302600_NS6detail15normal_iteratorINS8_10device_ptrIyEEEESD_jNS1_19radix_merge_compareILb0ELb1EyNS0_19identity_decomposerEEEEE10hipError_tT0_T1_T2_jT3_P12ihipStream_tbPNSt15iterator_traitsISI_E10value_typeEPNSO_ISJ_E10value_typeEPSK_NS1_7vsmem_tEENKUlT_SI_SJ_SK_E_clISD_PySD_S10_EESH_SX_SI_SJ_SK_EUlSX_E0_NS1_11comp_targetILNS1_3genE2ELNS1_11target_archE906ELNS1_3gpuE6ELNS1_3repE0EEENS1_38merge_mergepath_config_static_selectorELNS0_4arch9wavefront6targetE1EEEvSJ_,"axG",@progbits,_ZN7rocprim17ROCPRIM_400000_NS6detail17trampoline_kernelINS0_14default_configENS1_38merge_sort_block_merge_config_selectorIyyEEZZNS1_27merge_sort_block_merge_implIS3_N6thrust23THRUST_200600_302600_NS6detail15normal_iteratorINS8_10device_ptrIyEEEESD_jNS1_19radix_merge_compareILb0ELb1EyNS0_19identity_decomposerEEEEE10hipError_tT0_T1_T2_jT3_P12ihipStream_tbPNSt15iterator_traitsISI_E10value_typeEPNSO_ISJ_E10value_typeEPSK_NS1_7vsmem_tEENKUlT_SI_SJ_SK_E_clISD_PySD_S10_EESH_SX_SI_SJ_SK_EUlSX_E0_NS1_11comp_targetILNS1_3genE2ELNS1_11target_archE906ELNS1_3gpuE6ELNS1_3repE0EEENS1_38merge_mergepath_config_static_selectorELNS0_4arch9wavefront6targetE1EEEvSJ_,comdat
.Lfunc_end490:
	.size	_ZN7rocprim17ROCPRIM_400000_NS6detail17trampoline_kernelINS0_14default_configENS1_38merge_sort_block_merge_config_selectorIyyEEZZNS1_27merge_sort_block_merge_implIS3_N6thrust23THRUST_200600_302600_NS6detail15normal_iteratorINS8_10device_ptrIyEEEESD_jNS1_19radix_merge_compareILb0ELb1EyNS0_19identity_decomposerEEEEE10hipError_tT0_T1_T2_jT3_P12ihipStream_tbPNSt15iterator_traitsISI_E10value_typeEPNSO_ISJ_E10value_typeEPSK_NS1_7vsmem_tEENKUlT_SI_SJ_SK_E_clISD_PySD_S10_EESH_SX_SI_SJ_SK_EUlSX_E0_NS1_11comp_targetILNS1_3genE2ELNS1_11target_archE906ELNS1_3gpuE6ELNS1_3repE0EEENS1_38merge_mergepath_config_static_selectorELNS0_4arch9wavefront6targetE1EEEvSJ_, .Lfunc_end490-_ZN7rocprim17ROCPRIM_400000_NS6detail17trampoline_kernelINS0_14default_configENS1_38merge_sort_block_merge_config_selectorIyyEEZZNS1_27merge_sort_block_merge_implIS3_N6thrust23THRUST_200600_302600_NS6detail15normal_iteratorINS8_10device_ptrIyEEEESD_jNS1_19radix_merge_compareILb0ELb1EyNS0_19identity_decomposerEEEEE10hipError_tT0_T1_T2_jT3_P12ihipStream_tbPNSt15iterator_traitsISI_E10value_typeEPNSO_ISJ_E10value_typeEPSK_NS1_7vsmem_tEENKUlT_SI_SJ_SK_E_clISD_PySD_S10_EESH_SX_SI_SJ_SK_EUlSX_E0_NS1_11comp_targetILNS1_3genE2ELNS1_11target_archE906ELNS1_3gpuE6ELNS1_3repE0EEENS1_38merge_mergepath_config_static_selectorELNS0_4arch9wavefront6targetE1EEEvSJ_
                                        ; -- End function
	.set _ZN7rocprim17ROCPRIM_400000_NS6detail17trampoline_kernelINS0_14default_configENS1_38merge_sort_block_merge_config_selectorIyyEEZZNS1_27merge_sort_block_merge_implIS3_N6thrust23THRUST_200600_302600_NS6detail15normal_iteratorINS8_10device_ptrIyEEEESD_jNS1_19radix_merge_compareILb0ELb1EyNS0_19identity_decomposerEEEEE10hipError_tT0_T1_T2_jT3_P12ihipStream_tbPNSt15iterator_traitsISI_E10value_typeEPNSO_ISJ_E10value_typeEPSK_NS1_7vsmem_tEENKUlT_SI_SJ_SK_E_clISD_PySD_S10_EESH_SX_SI_SJ_SK_EUlSX_E0_NS1_11comp_targetILNS1_3genE2ELNS1_11target_archE906ELNS1_3gpuE6ELNS1_3repE0EEENS1_38merge_mergepath_config_static_selectorELNS0_4arch9wavefront6targetE1EEEvSJ_.num_vgpr, 0
	.set _ZN7rocprim17ROCPRIM_400000_NS6detail17trampoline_kernelINS0_14default_configENS1_38merge_sort_block_merge_config_selectorIyyEEZZNS1_27merge_sort_block_merge_implIS3_N6thrust23THRUST_200600_302600_NS6detail15normal_iteratorINS8_10device_ptrIyEEEESD_jNS1_19radix_merge_compareILb0ELb1EyNS0_19identity_decomposerEEEEE10hipError_tT0_T1_T2_jT3_P12ihipStream_tbPNSt15iterator_traitsISI_E10value_typeEPNSO_ISJ_E10value_typeEPSK_NS1_7vsmem_tEENKUlT_SI_SJ_SK_E_clISD_PySD_S10_EESH_SX_SI_SJ_SK_EUlSX_E0_NS1_11comp_targetILNS1_3genE2ELNS1_11target_archE906ELNS1_3gpuE6ELNS1_3repE0EEENS1_38merge_mergepath_config_static_selectorELNS0_4arch9wavefront6targetE1EEEvSJ_.num_agpr, 0
	.set _ZN7rocprim17ROCPRIM_400000_NS6detail17trampoline_kernelINS0_14default_configENS1_38merge_sort_block_merge_config_selectorIyyEEZZNS1_27merge_sort_block_merge_implIS3_N6thrust23THRUST_200600_302600_NS6detail15normal_iteratorINS8_10device_ptrIyEEEESD_jNS1_19radix_merge_compareILb0ELb1EyNS0_19identity_decomposerEEEEE10hipError_tT0_T1_T2_jT3_P12ihipStream_tbPNSt15iterator_traitsISI_E10value_typeEPNSO_ISJ_E10value_typeEPSK_NS1_7vsmem_tEENKUlT_SI_SJ_SK_E_clISD_PySD_S10_EESH_SX_SI_SJ_SK_EUlSX_E0_NS1_11comp_targetILNS1_3genE2ELNS1_11target_archE906ELNS1_3gpuE6ELNS1_3repE0EEENS1_38merge_mergepath_config_static_selectorELNS0_4arch9wavefront6targetE1EEEvSJ_.numbered_sgpr, 0
	.set _ZN7rocprim17ROCPRIM_400000_NS6detail17trampoline_kernelINS0_14default_configENS1_38merge_sort_block_merge_config_selectorIyyEEZZNS1_27merge_sort_block_merge_implIS3_N6thrust23THRUST_200600_302600_NS6detail15normal_iteratorINS8_10device_ptrIyEEEESD_jNS1_19radix_merge_compareILb0ELb1EyNS0_19identity_decomposerEEEEE10hipError_tT0_T1_T2_jT3_P12ihipStream_tbPNSt15iterator_traitsISI_E10value_typeEPNSO_ISJ_E10value_typeEPSK_NS1_7vsmem_tEENKUlT_SI_SJ_SK_E_clISD_PySD_S10_EESH_SX_SI_SJ_SK_EUlSX_E0_NS1_11comp_targetILNS1_3genE2ELNS1_11target_archE906ELNS1_3gpuE6ELNS1_3repE0EEENS1_38merge_mergepath_config_static_selectorELNS0_4arch9wavefront6targetE1EEEvSJ_.num_named_barrier, 0
	.set _ZN7rocprim17ROCPRIM_400000_NS6detail17trampoline_kernelINS0_14default_configENS1_38merge_sort_block_merge_config_selectorIyyEEZZNS1_27merge_sort_block_merge_implIS3_N6thrust23THRUST_200600_302600_NS6detail15normal_iteratorINS8_10device_ptrIyEEEESD_jNS1_19radix_merge_compareILb0ELb1EyNS0_19identity_decomposerEEEEE10hipError_tT0_T1_T2_jT3_P12ihipStream_tbPNSt15iterator_traitsISI_E10value_typeEPNSO_ISJ_E10value_typeEPSK_NS1_7vsmem_tEENKUlT_SI_SJ_SK_E_clISD_PySD_S10_EESH_SX_SI_SJ_SK_EUlSX_E0_NS1_11comp_targetILNS1_3genE2ELNS1_11target_archE906ELNS1_3gpuE6ELNS1_3repE0EEENS1_38merge_mergepath_config_static_selectorELNS0_4arch9wavefront6targetE1EEEvSJ_.private_seg_size, 0
	.set _ZN7rocprim17ROCPRIM_400000_NS6detail17trampoline_kernelINS0_14default_configENS1_38merge_sort_block_merge_config_selectorIyyEEZZNS1_27merge_sort_block_merge_implIS3_N6thrust23THRUST_200600_302600_NS6detail15normal_iteratorINS8_10device_ptrIyEEEESD_jNS1_19radix_merge_compareILb0ELb1EyNS0_19identity_decomposerEEEEE10hipError_tT0_T1_T2_jT3_P12ihipStream_tbPNSt15iterator_traitsISI_E10value_typeEPNSO_ISJ_E10value_typeEPSK_NS1_7vsmem_tEENKUlT_SI_SJ_SK_E_clISD_PySD_S10_EESH_SX_SI_SJ_SK_EUlSX_E0_NS1_11comp_targetILNS1_3genE2ELNS1_11target_archE906ELNS1_3gpuE6ELNS1_3repE0EEENS1_38merge_mergepath_config_static_selectorELNS0_4arch9wavefront6targetE1EEEvSJ_.uses_vcc, 0
	.set _ZN7rocprim17ROCPRIM_400000_NS6detail17trampoline_kernelINS0_14default_configENS1_38merge_sort_block_merge_config_selectorIyyEEZZNS1_27merge_sort_block_merge_implIS3_N6thrust23THRUST_200600_302600_NS6detail15normal_iteratorINS8_10device_ptrIyEEEESD_jNS1_19radix_merge_compareILb0ELb1EyNS0_19identity_decomposerEEEEE10hipError_tT0_T1_T2_jT3_P12ihipStream_tbPNSt15iterator_traitsISI_E10value_typeEPNSO_ISJ_E10value_typeEPSK_NS1_7vsmem_tEENKUlT_SI_SJ_SK_E_clISD_PySD_S10_EESH_SX_SI_SJ_SK_EUlSX_E0_NS1_11comp_targetILNS1_3genE2ELNS1_11target_archE906ELNS1_3gpuE6ELNS1_3repE0EEENS1_38merge_mergepath_config_static_selectorELNS0_4arch9wavefront6targetE1EEEvSJ_.uses_flat_scratch, 0
	.set _ZN7rocprim17ROCPRIM_400000_NS6detail17trampoline_kernelINS0_14default_configENS1_38merge_sort_block_merge_config_selectorIyyEEZZNS1_27merge_sort_block_merge_implIS3_N6thrust23THRUST_200600_302600_NS6detail15normal_iteratorINS8_10device_ptrIyEEEESD_jNS1_19radix_merge_compareILb0ELb1EyNS0_19identity_decomposerEEEEE10hipError_tT0_T1_T2_jT3_P12ihipStream_tbPNSt15iterator_traitsISI_E10value_typeEPNSO_ISJ_E10value_typeEPSK_NS1_7vsmem_tEENKUlT_SI_SJ_SK_E_clISD_PySD_S10_EESH_SX_SI_SJ_SK_EUlSX_E0_NS1_11comp_targetILNS1_3genE2ELNS1_11target_archE906ELNS1_3gpuE6ELNS1_3repE0EEENS1_38merge_mergepath_config_static_selectorELNS0_4arch9wavefront6targetE1EEEvSJ_.has_dyn_sized_stack, 0
	.set _ZN7rocprim17ROCPRIM_400000_NS6detail17trampoline_kernelINS0_14default_configENS1_38merge_sort_block_merge_config_selectorIyyEEZZNS1_27merge_sort_block_merge_implIS3_N6thrust23THRUST_200600_302600_NS6detail15normal_iteratorINS8_10device_ptrIyEEEESD_jNS1_19radix_merge_compareILb0ELb1EyNS0_19identity_decomposerEEEEE10hipError_tT0_T1_T2_jT3_P12ihipStream_tbPNSt15iterator_traitsISI_E10value_typeEPNSO_ISJ_E10value_typeEPSK_NS1_7vsmem_tEENKUlT_SI_SJ_SK_E_clISD_PySD_S10_EESH_SX_SI_SJ_SK_EUlSX_E0_NS1_11comp_targetILNS1_3genE2ELNS1_11target_archE906ELNS1_3gpuE6ELNS1_3repE0EEENS1_38merge_mergepath_config_static_selectorELNS0_4arch9wavefront6targetE1EEEvSJ_.has_recursion, 0
	.set _ZN7rocprim17ROCPRIM_400000_NS6detail17trampoline_kernelINS0_14default_configENS1_38merge_sort_block_merge_config_selectorIyyEEZZNS1_27merge_sort_block_merge_implIS3_N6thrust23THRUST_200600_302600_NS6detail15normal_iteratorINS8_10device_ptrIyEEEESD_jNS1_19radix_merge_compareILb0ELb1EyNS0_19identity_decomposerEEEEE10hipError_tT0_T1_T2_jT3_P12ihipStream_tbPNSt15iterator_traitsISI_E10value_typeEPNSO_ISJ_E10value_typeEPSK_NS1_7vsmem_tEENKUlT_SI_SJ_SK_E_clISD_PySD_S10_EESH_SX_SI_SJ_SK_EUlSX_E0_NS1_11comp_targetILNS1_3genE2ELNS1_11target_archE906ELNS1_3gpuE6ELNS1_3repE0EEENS1_38merge_mergepath_config_static_selectorELNS0_4arch9wavefront6targetE1EEEvSJ_.has_indirect_call, 0
	.section	.AMDGPU.csdata,"",@progbits
; Kernel info:
; codeLenInByte = 0
; TotalNumSgprs: 6
; NumVgprs: 0
; NumAgprs: 0
; TotalNumVgprs: 0
; ScratchSize: 0
; MemoryBound: 0
; FloatMode: 240
; IeeeMode: 1
; LDSByteSize: 0 bytes/workgroup (compile time only)
; SGPRBlocks: 0
; VGPRBlocks: 0
; NumSGPRsForWavesPerEU: 6
; NumVGPRsForWavesPerEU: 1
; AccumOffset: 4
; Occupancy: 8
; WaveLimiterHint : 0
; COMPUTE_PGM_RSRC2:SCRATCH_EN: 0
; COMPUTE_PGM_RSRC2:USER_SGPR: 2
; COMPUTE_PGM_RSRC2:TRAP_HANDLER: 0
; COMPUTE_PGM_RSRC2:TGID_X_EN: 1
; COMPUTE_PGM_RSRC2:TGID_Y_EN: 0
; COMPUTE_PGM_RSRC2:TGID_Z_EN: 0
; COMPUTE_PGM_RSRC2:TIDIG_COMP_CNT: 0
; COMPUTE_PGM_RSRC3_GFX90A:ACCUM_OFFSET: 0
; COMPUTE_PGM_RSRC3_GFX90A:TG_SPLIT: 0
	.section	.text._ZN7rocprim17ROCPRIM_400000_NS6detail17trampoline_kernelINS0_14default_configENS1_38merge_sort_block_merge_config_selectorIyyEEZZNS1_27merge_sort_block_merge_implIS3_N6thrust23THRUST_200600_302600_NS6detail15normal_iteratorINS8_10device_ptrIyEEEESD_jNS1_19radix_merge_compareILb0ELb1EyNS0_19identity_decomposerEEEEE10hipError_tT0_T1_T2_jT3_P12ihipStream_tbPNSt15iterator_traitsISI_E10value_typeEPNSO_ISJ_E10value_typeEPSK_NS1_7vsmem_tEENKUlT_SI_SJ_SK_E_clISD_PySD_S10_EESH_SX_SI_SJ_SK_EUlSX_E0_NS1_11comp_targetILNS1_3genE9ELNS1_11target_archE1100ELNS1_3gpuE3ELNS1_3repE0EEENS1_38merge_mergepath_config_static_selectorELNS0_4arch9wavefront6targetE1EEEvSJ_,"axG",@progbits,_ZN7rocprim17ROCPRIM_400000_NS6detail17trampoline_kernelINS0_14default_configENS1_38merge_sort_block_merge_config_selectorIyyEEZZNS1_27merge_sort_block_merge_implIS3_N6thrust23THRUST_200600_302600_NS6detail15normal_iteratorINS8_10device_ptrIyEEEESD_jNS1_19radix_merge_compareILb0ELb1EyNS0_19identity_decomposerEEEEE10hipError_tT0_T1_T2_jT3_P12ihipStream_tbPNSt15iterator_traitsISI_E10value_typeEPNSO_ISJ_E10value_typeEPSK_NS1_7vsmem_tEENKUlT_SI_SJ_SK_E_clISD_PySD_S10_EESH_SX_SI_SJ_SK_EUlSX_E0_NS1_11comp_targetILNS1_3genE9ELNS1_11target_archE1100ELNS1_3gpuE3ELNS1_3repE0EEENS1_38merge_mergepath_config_static_selectorELNS0_4arch9wavefront6targetE1EEEvSJ_,comdat
	.protected	_ZN7rocprim17ROCPRIM_400000_NS6detail17trampoline_kernelINS0_14default_configENS1_38merge_sort_block_merge_config_selectorIyyEEZZNS1_27merge_sort_block_merge_implIS3_N6thrust23THRUST_200600_302600_NS6detail15normal_iteratorINS8_10device_ptrIyEEEESD_jNS1_19radix_merge_compareILb0ELb1EyNS0_19identity_decomposerEEEEE10hipError_tT0_T1_T2_jT3_P12ihipStream_tbPNSt15iterator_traitsISI_E10value_typeEPNSO_ISJ_E10value_typeEPSK_NS1_7vsmem_tEENKUlT_SI_SJ_SK_E_clISD_PySD_S10_EESH_SX_SI_SJ_SK_EUlSX_E0_NS1_11comp_targetILNS1_3genE9ELNS1_11target_archE1100ELNS1_3gpuE3ELNS1_3repE0EEENS1_38merge_mergepath_config_static_selectorELNS0_4arch9wavefront6targetE1EEEvSJ_ ; -- Begin function _ZN7rocprim17ROCPRIM_400000_NS6detail17trampoline_kernelINS0_14default_configENS1_38merge_sort_block_merge_config_selectorIyyEEZZNS1_27merge_sort_block_merge_implIS3_N6thrust23THRUST_200600_302600_NS6detail15normal_iteratorINS8_10device_ptrIyEEEESD_jNS1_19radix_merge_compareILb0ELb1EyNS0_19identity_decomposerEEEEE10hipError_tT0_T1_T2_jT3_P12ihipStream_tbPNSt15iterator_traitsISI_E10value_typeEPNSO_ISJ_E10value_typeEPSK_NS1_7vsmem_tEENKUlT_SI_SJ_SK_E_clISD_PySD_S10_EESH_SX_SI_SJ_SK_EUlSX_E0_NS1_11comp_targetILNS1_3genE9ELNS1_11target_archE1100ELNS1_3gpuE3ELNS1_3repE0EEENS1_38merge_mergepath_config_static_selectorELNS0_4arch9wavefront6targetE1EEEvSJ_
	.globl	_ZN7rocprim17ROCPRIM_400000_NS6detail17trampoline_kernelINS0_14default_configENS1_38merge_sort_block_merge_config_selectorIyyEEZZNS1_27merge_sort_block_merge_implIS3_N6thrust23THRUST_200600_302600_NS6detail15normal_iteratorINS8_10device_ptrIyEEEESD_jNS1_19radix_merge_compareILb0ELb1EyNS0_19identity_decomposerEEEEE10hipError_tT0_T1_T2_jT3_P12ihipStream_tbPNSt15iterator_traitsISI_E10value_typeEPNSO_ISJ_E10value_typeEPSK_NS1_7vsmem_tEENKUlT_SI_SJ_SK_E_clISD_PySD_S10_EESH_SX_SI_SJ_SK_EUlSX_E0_NS1_11comp_targetILNS1_3genE9ELNS1_11target_archE1100ELNS1_3gpuE3ELNS1_3repE0EEENS1_38merge_mergepath_config_static_selectorELNS0_4arch9wavefront6targetE1EEEvSJ_
	.p2align	8
	.type	_ZN7rocprim17ROCPRIM_400000_NS6detail17trampoline_kernelINS0_14default_configENS1_38merge_sort_block_merge_config_selectorIyyEEZZNS1_27merge_sort_block_merge_implIS3_N6thrust23THRUST_200600_302600_NS6detail15normal_iteratorINS8_10device_ptrIyEEEESD_jNS1_19radix_merge_compareILb0ELb1EyNS0_19identity_decomposerEEEEE10hipError_tT0_T1_T2_jT3_P12ihipStream_tbPNSt15iterator_traitsISI_E10value_typeEPNSO_ISJ_E10value_typeEPSK_NS1_7vsmem_tEENKUlT_SI_SJ_SK_E_clISD_PySD_S10_EESH_SX_SI_SJ_SK_EUlSX_E0_NS1_11comp_targetILNS1_3genE9ELNS1_11target_archE1100ELNS1_3gpuE3ELNS1_3repE0EEENS1_38merge_mergepath_config_static_selectorELNS0_4arch9wavefront6targetE1EEEvSJ_,@function
_ZN7rocprim17ROCPRIM_400000_NS6detail17trampoline_kernelINS0_14default_configENS1_38merge_sort_block_merge_config_selectorIyyEEZZNS1_27merge_sort_block_merge_implIS3_N6thrust23THRUST_200600_302600_NS6detail15normal_iteratorINS8_10device_ptrIyEEEESD_jNS1_19radix_merge_compareILb0ELb1EyNS0_19identity_decomposerEEEEE10hipError_tT0_T1_T2_jT3_P12ihipStream_tbPNSt15iterator_traitsISI_E10value_typeEPNSO_ISJ_E10value_typeEPSK_NS1_7vsmem_tEENKUlT_SI_SJ_SK_E_clISD_PySD_S10_EESH_SX_SI_SJ_SK_EUlSX_E0_NS1_11comp_targetILNS1_3genE9ELNS1_11target_archE1100ELNS1_3gpuE3ELNS1_3repE0EEENS1_38merge_mergepath_config_static_selectorELNS0_4arch9wavefront6targetE1EEEvSJ_: ; @_ZN7rocprim17ROCPRIM_400000_NS6detail17trampoline_kernelINS0_14default_configENS1_38merge_sort_block_merge_config_selectorIyyEEZZNS1_27merge_sort_block_merge_implIS3_N6thrust23THRUST_200600_302600_NS6detail15normal_iteratorINS8_10device_ptrIyEEEESD_jNS1_19radix_merge_compareILb0ELb1EyNS0_19identity_decomposerEEEEE10hipError_tT0_T1_T2_jT3_P12ihipStream_tbPNSt15iterator_traitsISI_E10value_typeEPNSO_ISJ_E10value_typeEPSK_NS1_7vsmem_tEENKUlT_SI_SJ_SK_E_clISD_PySD_S10_EESH_SX_SI_SJ_SK_EUlSX_E0_NS1_11comp_targetILNS1_3genE9ELNS1_11target_archE1100ELNS1_3gpuE3ELNS1_3repE0EEENS1_38merge_mergepath_config_static_selectorELNS0_4arch9wavefront6targetE1EEEvSJ_
; %bb.0:
	.section	.rodata,"a",@progbits
	.p2align	6, 0x0
	.amdhsa_kernel _ZN7rocprim17ROCPRIM_400000_NS6detail17trampoline_kernelINS0_14default_configENS1_38merge_sort_block_merge_config_selectorIyyEEZZNS1_27merge_sort_block_merge_implIS3_N6thrust23THRUST_200600_302600_NS6detail15normal_iteratorINS8_10device_ptrIyEEEESD_jNS1_19radix_merge_compareILb0ELb1EyNS0_19identity_decomposerEEEEE10hipError_tT0_T1_T2_jT3_P12ihipStream_tbPNSt15iterator_traitsISI_E10value_typeEPNSO_ISJ_E10value_typeEPSK_NS1_7vsmem_tEENKUlT_SI_SJ_SK_E_clISD_PySD_S10_EESH_SX_SI_SJ_SK_EUlSX_E0_NS1_11comp_targetILNS1_3genE9ELNS1_11target_archE1100ELNS1_3gpuE3ELNS1_3repE0EEENS1_38merge_mergepath_config_static_selectorELNS0_4arch9wavefront6targetE1EEEvSJ_
		.amdhsa_group_segment_fixed_size 0
		.amdhsa_private_segment_fixed_size 0
		.amdhsa_kernarg_size 72
		.amdhsa_user_sgpr_count 2
		.amdhsa_user_sgpr_dispatch_ptr 0
		.amdhsa_user_sgpr_queue_ptr 0
		.amdhsa_user_sgpr_kernarg_segment_ptr 1
		.amdhsa_user_sgpr_dispatch_id 0
		.amdhsa_user_sgpr_kernarg_preload_length 0
		.amdhsa_user_sgpr_kernarg_preload_offset 0
		.amdhsa_user_sgpr_private_segment_size 0
		.amdhsa_uses_dynamic_stack 0
		.amdhsa_enable_private_segment 0
		.amdhsa_system_sgpr_workgroup_id_x 1
		.amdhsa_system_sgpr_workgroup_id_y 0
		.amdhsa_system_sgpr_workgroup_id_z 0
		.amdhsa_system_sgpr_workgroup_info 0
		.amdhsa_system_vgpr_workitem_id 0
		.amdhsa_next_free_vgpr 1
		.amdhsa_next_free_sgpr 0
		.amdhsa_accum_offset 4
		.amdhsa_reserve_vcc 0
		.amdhsa_float_round_mode_32 0
		.amdhsa_float_round_mode_16_64 0
		.amdhsa_float_denorm_mode_32 3
		.amdhsa_float_denorm_mode_16_64 3
		.amdhsa_dx10_clamp 1
		.amdhsa_ieee_mode 1
		.amdhsa_fp16_overflow 0
		.amdhsa_tg_split 0
		.amdhsa_exception_fp_ieee_invalid_op 0
		.amdhsa_exception_fp_denorm_src 0
		.amdhsa_exception_fp_ieee_div_zero 0
		.amdhsa_exception_fp_ieee_overflow 0
		.amdhsa_exception_fp_ieee_underflow 0
		.amdhsa_exception_fp_ieee_inexact 0
		.amdhsa_exception_int_div_zero 0
	.end_amdhsa_kernel
	.section	.text._ZN7rocprim17ROCPRIM_400000_NS6detail17trampoline_kernelINS0_14default_configENS1_38merge_sort_block_merge_config_selectorIyyEEZZNS1_27merge_sort_block_merge_implIS3_N6thrust23THRUST_200600_302600_NS6detail15normal_iteratorINS8_10device_ptrIyEEEESD_jNS1_19radix_merge_compareILb0ELb1EyNS0_19identity_decomposerEEEEE10hipError_tT0_T1_T2_jT3_P12ihipStream_tbPNSt15iterator_traitsISI_E10value_typeEPNSO_ISJ_E10value_typeEPSK_NS1_7vsmem_tEENKUlT_SI_SJ_SK_E_clISD_PySD_S10_EESH_SX_SI_SJ_SK_EUlSX_E0_NS1_11comp_targetILNS1_3genE9ELNS1_11target_archE1100ELNS1_3gpuE3ELNS1_3repE0EEENS1_38merge_mergepath_config_static_selectorELNS0_4arch9wavefront6targetE1EEEvSJ_,"axG",@progbits,_ZN7rocprim17ROCPRIM_400000_NS6detail17trampoline_kernelINS0_14default_configENS1_38merge_sort_block_merge_config_selectorIyyEEZZNS1_27merge_sort_block_merge_implIS3_N6thrust23THRUST_200600_302600_NS6detail15normal_iteratorINS8_10device_ptrIyEEEESD_jNS1_19radix_merge_compareILb0ELb1EyNS0_19identity_decomposerEEEEE10hipError_tT0_T1_T2_jT3_P12ihipStream_tbPNSt15iterator_traitsISI_E10value_typeEPNSO_ISJ_E10value_typeEPSK_NS1_7vsmem_tEENKUlT_SI_SJ_SK_E_clISD_PySD_S10_EESH_SX_SI_SJ_SK_EUlSX_E0_NS1_11comp_targetILNS1_3genE9ELNS1_11target_archE1100ELNS1_3gpuE3ELNS1_3repE0EEENS1_38merge_mergepath_config_static_selectorELNS0_4arch9wavefront6targetE1EEEvSJ_,comdat
.Lfunc_end491:
	.size	_ZN7rocprim17ROCPRIM_400000_NS6detail17trampoline_kernelINS0_14default_configENS1_38merge_sort_block_merge_config_selectorIyyEEZZNS1_27merge_sort_block_merge_implIS3_N6thrust23THRUST_200600_302600_NS6detail15normal_iteratorINS8_10device_ptrIyEEEESD_jNS1_19radix_merge_compareILb0ELb1EyNS0_19identity_decomposerEEEEE10hipError_tT0_T1_T2_jT3_P12ihipStream_tbPNSt15iterator_traitsISI_E10value_typeEPNSO_ISJ_E10value_typeEPSK_NS1_7vsmem_tEENKUlT_SI_SJ_SK_E_clISD_PySD_S10_EESH_SX_SI_SJ_SK_EUlSX_E0_NS1_11comp_targetILNS1_3genE9ELNS1_11target_archE1100ELNS1_3gpuE3ELNS1_3repE0EEENS1_38merge_mergepath_config_static_selectorELNS0_4arch9wavefront6targetE1EEEvSJ_, .Lfunc_end491-_ZN7rocprim17ROCPRIM_400000_NS6detail17trampoline_kernelINS0_14default_configENS1_38merge_sort_block_merge_config_selectorIyyEEZZNS1_27merge_sort_block_merge_implIS3_N6thrust23THRUST_200600_302600_NS6detail15normal_iteratorINS8_10device_ptrIyEEEESD_jNS1_19radix_merge_compareILb0ELb1EyNS0_19identity_decomposerEEEEE10hipError_tT0_T1_T2_jT3_P12ihipStream_tbPNSt15iterator_traitsISI_E10value_typeEPNSO_ISJ_E10value_typeEPSK_NS1_7vsmem_tEENKUlT_SI_SJ_SK_E_clISD_PySD_S10_EESH_SX_SI_SJ_SK_EUlSX_E0_NS1_11comp_targetILNS1_3genE9ELNS1_11target_archE1100ELNS1_3gpuE3ELNS1_3repE0EEENS1_38merge_mergepath_config_static_selectorELNS0_4arch9wavefront6targetE1EEEvSJ_
                                        ; -- End function
	.set _ZN7rocprim17ROCPRIM_400000_NS6detail17trampoline_kernelINS0_14default_configENS1_38merge_sort_block_merge_config_selectorIyyEEZZNS1_27merge_sort_block_merge_implIS3_N6thrust23THRUST_200600_302600_NS6detail15normal_iteratorINS8_10device_ptrIyEEEESD_jNS1_19radix_merge_compareILb0ELb1EyNS0_19identity_decomposerEEEEE10hipError_tT0_T1_T2_jT3_P12ihipStream_tbPNSt15iterator_traitsISI_E10value_typeEPNSO_ISJ_E10value_typeEPSK_NS1_7vsmem_tEENKUlT_SI_SJ_SK_E_clISD_PySD_S10_EESH_SX_SI_SJ_SK_EUlSX_E0_NS1_11comp_targetILNS1_3genE9ELNS1_11target_archE1100ELNS1_3gpuE3ELNS1_3repE0EEENS1_38merge_mergepath_config_static_selectorELNS0_4arch9wavefront6targetE1EEEvSJ_.num_vgpr, 0
	.set _ZN7rocprim17ROCPRIM_400000_NS6detail17trampoline_kernelINS0_14default_configENS1_38merge_sort_block_merge_config_selectorIyyEEZZNS1_27merge_sort_block_merge_implIS3_N6thrust23THRUST_200600_302600_NS6detail15normal_iteratorINS8_10device_ptrIyEEEESD_jNS1_19radix_merge_compareILb0ELb1EyNS0_19identity_decomposerEEEEE10hipError_tT0_T1_T2_jT3_P12ihipStream_tbPNSt15iterator_traitsISI_E10value_typeEPNSO_ISJ_E10value_typeEPSK_NS1_7vsmem_tEENKUlT_SI_SJ_SK_E_clISD_PySD_S10_EESH_SX_SI_SJ_SK_EUlSX_E0_NS1_11comp_targetILNS1_3genE9ELNS1_11target_archE1100ELNS1_3gpuE3ELNS1_3repE0EEENS1_38merge_mergepath_config_static_selectorELNS0_4arch9wavefront6targetE1EEEvSJ_.num_agpr, 0
	.set _ZN7rocprim17ROCPRIM_400000_NS6detail17trampoline_kernelINS0_14default_configENS1_38merge_sort_block_merge_config_selectorIyyEEZZNS1_27merge_sort_block_merge_implIS3_N6thrust23THRUST_200600_302600_NS6detail15normal_iteratorINS8_10device_ptrIyEEEESD_jNS1_19radix_merge_compareILb0ELb1EyNS0_19identity_decomposerEEEEE10hipError_tT0_T1_T2_jT3_P12ihipStream_tbPNSt15iterator_traitsISI_E10value_typeEPNSO_ISJ_E10value_typeEPSK_NS1_7vsmem_tEENKUlT_SI_SJ_SK_E_clISD_PySD_S10_EESH_SX_SI_SJ_SK_EUlSX_E0_NS1_11comp_targetILNS1_3genE9ELNS1_11target_archE1100ELNS1_3gpuE3ELNS1_3repE0EEENS1_38merge_mergepath_config_static_selectorELNS0_4arch9wavefront6targetE1EEEvSJ_.numbered_sgpr, 0
	.set _ZN7rocprim17ROCPRIM_400000_NS6detail17trampoline_kernelINS0_14default_configENS1_38merge_sort_block_merge_config_selectorIyyEEZZNS1_27merge_sort_block_merge_implIS3_N6thrust23THRUST_200600_302600_NS6detail15normal_iteratorINS8_10device_ptrIyEEEESD_jNS1_19radix_merge_compareILb0ELb1EyNS0_19identity_decomposerEEEEE10hipError_tT0_T1_T2_jT3_P12ihipStream_tbPNSt15iterator_traitsISI_E10value_typeEPNSO_ISJ_E10value_typeEPSK_NS1_7vsmem_tEENKUlT_SI_SJ_SK_E_clISD_PySD_S10_EESH_SX_SI_SJ_SK_EUlSX_E0_NS1_11comp_targetILNS1_3genE9ELNS1_11target_archE1100ELNS1_3gpuE3ELNS1_3repE0EEENS1_38merge_mergepath_config_static_selectorELNS0_4arch9wavefront6targetE1EEEvSJ_.num_named_barrier, 0
	.set _ZN7rocprim17ROCPRIM_400000_NS6detail17trampoline_kernelINS0_14default_configENS1_38merge_sort_block_merge_config_selectorIyyEEZZNS1_27merge_sort_block_merge_implIS3_N6thrust23THRUST_200600_302600_NS6detail15normal_iteratorINS8_10device_ptrIyEEEESD_jNS1_19radix_merge_compareILb0ELb1EyNS0_19identity_decomposerEEEEE10hipError_tT0_T1_T2_jT3_P12ihipStream_tbPNSt15iterator_traitsISI_E10value_typeEPNSO_ISJ_E10value_typeEPSK_NS1_7vsmem_tEENKUlT_SI_SJ_SK_E_clISD_PySD_S10_EESH_SX_SI_SJ_SK_EUlSX_E0_NS1_11comp_targetILNS1_3genE9ELNS1_11target_archE1100ELNS1_3gpuE3ELNS1_3repE0EEENS1_38merge_mergepath_config_static_selectorELNS0_4arch9wavefront6targetE1EEEvSJ_.private_seg_size, 0
	.set _ZN7rocprim17ROCPRIM_400000_NS6detail17trampoline_kernelINS0_14default_configENS1_38merge_sort_block_merge_config_selectorIyyEEZZNS1_27merge_sort_block_merge_implIS3_N6thrust23THRUST_200600_302600_NS6detail15normal_iteratorINS8_10device_ptrIyEEEESD_jNS1_19radix_merge_compareILb0ELb1EyNS0_19identity_decomposerEEEEE10hipError_tT0_T1_T2_jT3_P12ihipStream_tbPNSt15iterator_traitsISI_E10value_typeEPNSO_ISJ_E10value_typeEPSK_NS1_7vsmem_tEENKUlT_SI_SJ_SK_E_clISD_PySD_S10_EESH_SX_SI_SJ_SK_EUlSX_E0_NS1_11comp_targetILNS1_3genE9ELNS1_11target_archE1100ELNS1_3gpuE3ELNS1_3repE0EEENS1_38merge_mergepath_config_static_selectorELNS0_4arch9wavefront6targetE1EEEvSJ_.uses_vcc, 0
	.set _ZN7rocprim17ROCPRIM_400000_NS6detail17trampoline_kernelINS0_14default_configENS1_38merge_sort_block_merge_config_selectorIyyEEZZNS1_27merge_sort_block_merge_implIS3_N6thrust23THRUST_200600_302600_NS6detail15normal_iteratorINS8_10device_ptrIyEEEESD_jNS1_19radix_merge_compareILb0ELb1EyNS0_19identity_decomposerEEEEE10hipError_tT0_T1_T2_jT3_P12ihipStream_tbPNSt15iterator_traitsISI_E10value_typeEPNSO_ISJ_E10value_typeEPSK_NS1_7vsmem_tEENKUlT_SI_SJ_SK_E_clISD_PySD_S10_EESH_SX_SI_SJ_SK_EUlSX_E0_NS1_11comp_targetILNS1_3genE9ELNS1_11target_archE1100ELNS1_3gpuE3ELNS1_3repE0EEENS1_38merge_mergepath_config_static_selectorELNS0_4arch9wavefront6targetE1EEEvSJ_.uses_flat_scratch, 0
	.set _ZN7rocprim17ROCPRIM_400000_NS6detail17trampoline_kernelINS0_14default_configENS1_38merge_sort_block_merge_config_selectorIyyEEZZNS1_27merge_sort_block_merge_implIS3_N6thrust23THRUST_200600_302600_NS6detail15normal_iteratorINS8_10device_ptrIyEEEESD_jNS1_19radix_merge_compareILb0ELb1EyNS0_19identity_decomposerEEEEE10hipError_tT0_T1_T2_jT3_P12ihipStream_tbPNSt15iterator_traitsISI_E10value_typeEPNSO_ISJ_E10value_typeEPSK_NS1_7vsmem_tEENKUlT_SI_SJ_SK_E_clISD_PySD_S10_EESH_SX_SI_SJ_SK_EUlSX_E0_NS1_11comp_targetILNS1_3genE9ELNS1_11target_archE1100ELNS1_3gpuE3ELNS1_3repE0EEENS1_38merge_mergepath_config_static_selectorELNS0_4arch9wavefront6targetE1EEEvSJ_.has_dyn_sized_stack, 0
	.set _ZN7rocprim17ROCPRIM_400000_NS6detail17trampoline_kernelINS0_14default_configENS1_38merge_sort_block_merge_config_selectorIyyEEZZNS1_27merge_sort_block_merge_implIS3_N6thrust23THRUST_200600_302600_NS6detail15normal_iteratorINS8_10device_ptrIyEEEESD_jNS1_19radix_merge_compareILb0ELb1EyNS0_19identity_decomposerEEEEE10hipError_tT0_T1_T2_jT3_P12ihipStream_tbPNSt15iterator_traitsISI_E10value_typeEPNSO_ISJ_E10value_typeEPSK_NS1_7vsmem_tEENKUlT_SI_SJ_SK_E_clISD_PySD_S10_EESH_SX_SI_SJ_SK_EUlSX_E0_NS1_11comp_targetILNS1_3genE9ELNS1_11target_archE1100ELNS1_3gpuE3ELNS1_3repE0EEENS1_38merge_mergepath_config_static_selectorELNS0_4arch9wavefront6targetE1EEEvSJ_.has_recursion, 0
	.set _ZN7rocprim17ROCPRIM_400000_NS6detail17trampoline_kernelINS0_14default_configENS1_38merge_sort_block_merge_config_selectorIyyEEZZNS1_27merge_sort_block_merge_implIS3_N6thrust23THRUST_200600_302600_NS6detail15normal_iteratorINS8_10device_ptrIyEEEESD_jNS1_19radix_merge_compareILb0ELb1EyNS0_19identity_decomposerEEEEE10hipError_tT0_T1_T2_jT3_P12ihipStream_tbPNSt15iterator_traitsISI_E10value_typeEPNSO_ISJ_E10value_typeEPSK_NS1_7vsmem_tEENKUlT_SI_SJ_SK_E_clISD_PySD_S10_EESH_SX_SI_SJ_SK_EUlSX_E0_NS1_11comp_targetILNS1_3genE9ELNS1_11target_archE1100ELNS1_3gpuE3ELNS1_3repE0EEENS1_38merge_mergepath_config_static_selectorELNS0_4arch9wavefront6targetE1EEEvSJ_.has_indirect_call, 0
	.section	.AMDGPU.csdata,"",@progbits
; Kernel info:
; codeLenInByte = 0
; TotalNumSgprs: 6
; NumVgprs: 0
; NumAgprs: 0
; TotalNumVgprs: 0
; ScratchSize: 0
; MemoryBound: 0
; FloatMode: 240
; IeeeMode: 1
; LDSByteSize: 0 bytes/workgroup (compile time only)
; SGPRBlocks: 0
; VGPRBlocks: 0
; NumSGPRsForWavesPerEU: 6
; NumVGPRsForWavesPerEU: 1
; AccumOffset: 4
; Occupancy: 8
; WaveLimiterHint : 0
; COMPUTE_PGM_RSRC2:SCRATCH_EN: 0
; COMPUTE_PGM_RSRC2:USER_SGPR: 2
; COMPUTE_PGM_RSRC2:TRAP_HANDLER: 0
; COMPUTE_PGM_RSRC2:TGID_X_EN: 1
; COMPUTE_PGM_RSRC2:TGID_Y_EN: 0
; COMPUTE_PGM_RSRC2:TGID_Z_EN: 0
; COMPUTE_PGM_RSRC2:TIDIG_COMP_CNT: 0
; COMPUTE_PGM_RSRC3_GFX90A:ACCUM_OFFSET: 0
; COMPUTE_PGM_RSRC3_GFX90A:TG_SPLIT: 0
	.section	.text._ZN7rocprim17ROCPRIM_400000_NS6detail17trampoline_kernelINS0_14default_configENS1_38merge_sort_block_merge_config_selectorIyyEEZZNS1_27merge_sort_block_merge_implIS3_N6thrust23THRUST_200600_302600_NS6detail15normal_iteratorINS8_10device_ptrIyEEEESD_jNS1_19radix_merge_compareILb0ELb1EyNS0_19identity_decomposerEEEEE10hipError_tT0_T1_T2_jT3_P12ihipStream_tbPNSt15iterator_traitsISI_E10value_typeEPNSO_ISJ_E10value_typeEPSK_NS1_7vsmem_tEENKUlT_SI_SJ_SK_E_clISD_PySD_S10_EESH_SX_SI_SJ_SK_EUlSX_E0_NS1_11comp_targetILNS1_3genE8ELNS1_11target_archE1030ELNS1_3gpuE2ELNS1_3repE0EEENS1_38merge_mergepath_config_static_selectorELNS0_4arch9wavefront6targetE1EEEvSJ_,"axG",@progbits,_ZN7rocprim17ROCPRIM_400000_NS6detail17trampoline_kernelINS0_14default_configENS1_38merge_sort_block_merge_config_selectorIyyEEZZNS1_27merge_sort_block_merge_implIS3_N6thrust23THRUST_200600_302600_NS6detail15normal_iteratorINS8_10device_ptrIyEEEESD_jNS1_19radix_merge_compareILb0ELb1EyNS0_19identity_decomposerEEEEE10hipError_tT0_T1_T2_jT3_P12ihipStream_tbPNSt15iterator_traitsISI_E10value_typeEPNSO_ISJ_E10value_typeEPSK_NS1_7vsmem_tEENKUlT_SI_SJ_SK_E_clISD_PySD_S10_EESH_SX_SI_SJ_SK_EUlSX_E0_NS1_11comp_targetILNS1_3genE8ELNS1_11target_archE1030ELNS1_3gpuE2ELNS1_3repE0EEENS1_38merge_mergepath_config_static_selectorELNS0_4arch9wavefront6targetE1EEEvSJ_,comdat
	.protected	_ZN7rocprim17ROCPRIM_400000_NS6detail17trampoline_kernelINS0_14default_configENS1_38merge_sort_block_merge_config_selectorIyyEEZZNS1_27merge_sort_block_merge_implIS3_N6thrust23THRUST_200600_302600_NS6detail15normal_iteratorINS8_10device_ptrIyEEEESD_jNS1_19radix_merge_compareILb0ELb1EyNS0_19identity_decomposerEEEEE10hipError_tT0_T1_T2_jT3_P12ihipStream_tbPNSt15iterator_traitsISI_E10value_typeEPNSO_ISJ_E10value_typeEPSK_NS1_7vsmem_tEENKUlT_SI_SJ_SK_E_clISD_PySD_S10_EESH_SX_SI_SJ_SK_EUlSX_E0_NS1_11comp_targetILNS1_3genE8ELNS1_11target_archE1030ELNS1_3gpuE2ELNS1_3repE0EEENS1_38merge_mergepath_config_static_selectorELNS0_4arch9wavefront6targetE1EEEvSJ_ ; -- Begin function _ZN7rocprim17ROCPRIM_400000_NS6detail17trampoline_kernelINS0_14default_configENS1_38merge_sort_block_merge_config_selectorIyyEEZZNS1_27merge_sort_block_merge_implIS3_N6thrust23THRUST_200600_302600_NS6detail15normal_iteratorINS8_10device_ptrIyEEEESD_jNS1_19radix_merge_compareILb0ELb1EyNS0_19identity_decomposerEEEEE10hipError_tT0_T1_T2_jT3_P12ihipStream_tbPNSt15iterator_traitsISI_E10value_typeEPNSO_ISJ_E10value_typeEPSK_NS1_7vsmem_tEENKUlT_SI_SJ_SK_E_clISD_PySD_S10_EESH_SX_SI_SJ_SK_EUlSX_E0_NS1_11comp_targetILNS1_3genE8ELNS1_11target_archE1030ELNS1_3gpuE2ELNS1_3repE0EEENS1_38merge_mergepath_config_static_selectorELNS0_4arch9wavefront6targetE1EEEvSJ_
	.globl	_ZN7rocprim17ROCPRIM_400000_NS6detail17trampoline_kernelINS0_14default_configENS1_38merge_sort_block_merge_config_selectorIyyEEZZNS1_27merge_sort_block_merge_implIS3_N6thrust23THRUST_200600_302600_NS6detail15normal_iteratorINS8_10device_ptrIyEEEESD_jNS1_19radix_merge_compareILb0ELb1EyNS0_19identity_decomposerEEEEE10hipError_tT0_T1_T2_jT3_P12ihipStream_tbPNSt15iterator_traitsISI_E10value_typeEPNSO_ISJ_E10value_typeEPSK_NS1_7vsmem_tEENKUlT_SI_SJ_SK_E_clISD_PySD_S10_EESH_SX_SI_SJ_SK_EUlSX_E0_NS1_11comp_targetILNS1_3genE8ELNS1_11target_archE1030ELNS1_3gpuE2ELNS1_3repE0EEENS1_38merge_mergepath_config_static_selectorELNS0_4arch9wavefront6targetE1EEEvSJ_
	.p2align	8
	.type	_ZN7rocprim17ROCPRIM_400000_NS6detail17trampoline_kernelINS0_14default_configENS1_38merge_sort_block_merge_config_selectorIyyEEZZNS1_27merge_sort_block_merge_implIS3_N6thrust23THRUST_200600_302600_NS6detail15normal_iteratorINS8_10device_ptrIyEEEESD_jNS1_19radix_merge_compareILb0ELb1EyNS0_19identity_decomposerEEEEE10hipError_tT0_T1_T2_jT3_P12ihipStream_tbPNSt15iterator_traitsISI_E10value_typeEPNSO_ISJ_E10value_typeEPSK_NS1_7vsmem_tEENKUlT_SI_SJ_SK_E_clISD_PySD_S10_EESH_SX_SI_SJ_SK_EUlSX_E0_NS1_11comp_targetILNS1_3genE8ELNS1_11target_archE1030ELNS1_3gpuE2ELNS1_3repE0EEENS1_38merge_mergepath_config_static_selectorELNS0_4arch9wavefront6targetE1EEEvSJ_,@function
_ZN7rocprim17ROCPRIM_400000_NS6detail17trampoline_kernelINS0_14default_configENS1_38merge_sort_block_merge_config_selectorIyyEEZZNS1_27merge_sort_block_merge_implIS3_N6thrust23THRUST_200600_302600_NS6detail15normal_iteratorINS8_10device_ptrIyEEEESD_jNS1_19radix_merge_compareILb0ELb1EyNS0_19identity_decomposerEEEEE10hipError_tT0_T1_T2_jT3_P12ihipStream_tbPNSt15iterator_traitsISI_E10value_typeEPNSO_ISJ_E10value_typeEPSK_NS1_7vsmem_tEENKUlT_SI_SJ_SK_E_clISD_PySD_S10_EESH_SX_SI_SJ_SK_EUlSX_E0_NS1_11comp_targetILNS1_3genE8ELNS1_11target_archE1030ELNS1_3gpuE2ELNS1_3repE0EEENS1_38merge_mergepath_config_static_selectorELNS0_4arch9wavefront6targetE1EEEvSJ_: ; @_ZN7rocprim17ROCPRIM_400000_NS6detail17trampoline_kernelINS0_14default_configENS1_38merge_sort_block_merge_config_selectorIyyEEZZNS1_27merge_sort_block_merge_implIS3_N6thrust23THRUST_200600_302600_NS6detail15normal_iteratorINS8_10device_ptrIyEEEESD_jNS1_19radix_merge_compareILb0ELb1EyNS0_19identity_decomposerEEEEE10hipError_tT0_T1_T2_jT3_P12ihipStream_tbPNSt15iterator_traitsISI_E10value_typeEPNSO_ISJ_E10value_typeEPSK_NS1_7vsmem_tEENKUlT_SI_SJ_SK_E_clISD_PySD_S10_EESH_SX_SI_SJ_SK_EUlSX_E0_NS1_11comp_targetILNS1_3genE8ELNS1_11target_archE1030ELNS1_3gpuE2ELNS1_3repE0EEENS1_38merge_mergepath_config_static_selectorELNS0_4arch9wavefront6targetE1EEEvSJ_
; %bb.0:
	.section	.rodata,"a",@progbits
	.p2align	6, 0x0
	.amdhsa_kernel _ZN7rocprim17ROCPRIM_400000_NS6detail17trampoline_kernelINS0_14default_configENS1_38merge_sort_block_merge_config_selectorIyyEEZZNS1_27merge_sort_block_merge_implIS3_N6thrust23THRUST_200600_302600_NS6detail15normal_iteratorINS8_10device_ptrIyEEEESD_jNS1_19radix_merge_compareILb0ELb1EyNS0_19identity_decomposerEEEEE10hipError_tT0_T1_T2_jT3_P12ihipStream_tbPNSt15iterator_traitsISI_E10value_typeEPNSO_ISJ_E10value_typeEPSK_NS1_7vsmem_tEENKUlT_SI_SJ_SK_E_clISD_PySD_S10_EESH_SX_SI_SJ_SK_EUlSX_E0_NS1_11comp_targetILNS1_3genE8ELNS1_11target_archE1030ELNS1_3gpuE2ELNS1_3repE0EEENS1_38merge_mergepath_config_static_selectorELNS0_4arch9wavefront6targetE1EEEvSJ_
		.amdhsa_group_segment_fixed_size 0
		.amdhsa_private_segment_fixed_size 0
		.amdhsa_kernarg_size 72
		.amdhsa_user_sgpr_count 2
		.amdhsa_user_sgpr_dispatch_ptr 0
		.amdhsa_user_sgpr_queue_ptr 0
		.amdhsa_user_sgpr_kernarg_segment_ptr 1
		.amdhsa_user_sgpr_dispatch_id 0
		.amdhsa_user_sgpr_kernarg_preload_length 0
		.amdhsa_user_sgpr_kernarg_preload_offset 0
		.amdhsa_user_sgpr_private_segment_size 0
		.amdhsa_uses_dynamic_stack 0
		.amdhsa_enable_private_segment 0
		.amdhsa_system_sgpr_workgroup_id_x 1
		.amdhsa_system_sgpr_workgroup_id_y 0
		.amdhsa_system_sgpr_workgroup_id_z 0
		.amdhsa_system_sgpr_workgroup_info 0
		.amdhsa_system_vgpr_workitem_id 0
		.amdhsa_next_free_vgpr 1
		.amdhsa_next_free_sgpr 0
		.amdhsa_accum_offset 4
		.amdhsa_reserve_vcc 0
		.amdhsa_float_round_mode_32 0
		.amdhsa_float_round_mode_16_64 0
		.amdhsa_float_denorm_mode_32 3
		.amdhsa_float_denorm_mode_16_64 3
		.amdhsa_dx10_clamp 1
		.amdhsa_ieee_mode 1
		.amdhsa_fp16_overflow 0
		.amdhsa_tg_split 0
		.amdhsa_exception_fp_ieee_invalid_op 0
		.amdhsa_exception_fp_denorm_src 0
		.amdhsa_exception_fp_ieee_div_zero 0
		.amdhsa_exception_fp_ieee_overflow 0
		.amdhsa_exception_fp_ieee_underflow 0
		.amdhsa_exception_fp_ieee_inexact 0
		.amdhsa_exception_int_div_zero 0
	.end_amdhsa_kernel
	.section	.text._ZN7rocprim17ROCPRIM_400000_NS6detail17trampoline_kernelINS0_14default_configENS1_38merge_sort_block_merge_config_selectorIyyEEZZNS1_27merge_sort_block_merge_implIS3_N6thrust23THRUST_200600_302600_NS6detail15normal_iteratorINS8_10device_ptrIyEEEESD_jNS1_19radix_merge_compareILb0ELb1EyNS0_19identity_decomposerEEEEE10hipError_tT0_T1_T2_jT3_P12ihipStream_tbPNSt15iterator_traitsISI_E10value_typeEPNSO_ISJ_E10value_typeEPSK_NS1_7vsmem_tEENKUlT_SI_SJ_SK_E_clISD_PySD_S10_EESH_SX_SI_SJ_SK_EUlSX_E0_NS1_11comp_targetILNS1_3genE8ELNS1_11target_archE1030ELNS1_3gpuE2ELNS1_3repE0EEENS1_38merge_mergepath_config_static_selectorELNS0_4arch9wavefront6targetE1EEEvSJ_,"axG",@progbits,_ZN7rocprim17ROCPRIM_400000_NS6detail17trampoline_kernelINS0_14default_configENS1_38merge_sort_block_merge_config_selectorIyyEEZZNS1_27merge_sort_block_merge_implIS3_N6thrust23THRUST_200600_302600_NS6detail15normal_iteratorINS8_10device_ptrIyEEEESD_jNS1_19radix_merge_compareILb0ELb1EyNS0_19identity_decomposerEEEEE10hipError_tT0_T1_T2_jT3_P12ihipStream_tbPNSt15iterator_traitsISI_E10value_typeEPNSO_ISJ_E10value_typeEPSK_NS1_7vsmem_tEENKUlT_SI_SJ_SK_E_clISD_PySD_S10_EESH_SX_SI_SJ_SK_EUlSX_E0_NS1_11comp_targetILNS1_3genE8ELNS1_11target_archE1030ELNS1_3gpuE2ELNS1_3repE0EEENS1_38merge_mergepath_config_static_selectorELNS0_4arch9wavefront6targetE1EEEvSJ_,comdat
.Lfunc_end492:
	.size	_ZN7rocprim17ROCPRIM_400000_NS6detail17trampoline_kernelINS0_14default_configENS1_38merge_sort_block_merge_config_selectorIyyEEZZNS1_27merge_sort_block_merge_implIS3_N6thrust23THRUST_200600_302600_NS6detail15normal_iteratorINS8_10device_ptrIyEEEESD_jNS1_19radix_merge_compareILb0ELb1EyNS0_19identity_decomposerEEEEE10hipError_tT0_T1_T2_jT3_P12ihipStream_tbPNSt15iterator_traitsISI_E10value_typeEPNSO_ISJ_E10value_typeEPSK_NS1_7vsmem_tEENKUlT_SI_SJ_SK_E_clISD_PySD_S10_EESH_SX_SI_SJ_SK_EUlSX_E0_NS1_11comp_targetILNS1_3genE8ELNS1_11target_archE1030ELNS1_3gpuE2ELNS1_3repE0EEENS1_38merge_mergepath_config_static_selectorELNS0_4arch9wavefront6targetE1EEEvSJ_, .Lfunc_end492-_ZN7rocprim17ROCPRIM_400000_NS6detail17trampoline_kernelINS0_14default_configENS1_38merge_sort_block_merge_config_selectorIyyEEZZNS1_27merge_sort_block_merge_implIS3_N6thrust23THRUST_200600_302600_NS6detail15normal_iteratorINS8_10device_ptrIyEEEESD_jNS1_19radix_merge_compareILb0ELb1EyNS0_19identity_decomposerEEEEE10hipError_tT0_T1_T2_jT3_P12ihipStream_tbPNSt15iterator_traitsISI_E10value_typeEPNSO_ISJ_E10value_typeEPSK_NS1_7vsmem_tEENKUlT_SI_SJ_SK_E_clISD_PySD_S10_EESH_SX_SI_SJ_SK_EUlSX_E0_NS1_11comp_targetILNS1_3genE8ELNS1_11target_archE1030ELNS1_3gpuE2ELNS1_3repE0EEENS1_38merge_mergepath_config_static_selectorELNS0_4arch9wavefront6targetE1EEEvSJ_
                                        ; -- End function
	.set _ZN7rocprim17ROCPRIM_400000_NS6detail17trampoline_kernelINS0_14default_configENS1_38merge_sort_block_merge_config_selectorIyyEEZZNS1_27merge_sort_block_merge_implIS3_N6thrust23THRUST_200600_302600_NS6detail15normal_iteratorINS8_10device_ptrIyEEEESD_jNS1_19radix_merge_compareILb0ELb1EyNS0_19identity_decomposerEEEEE10hipError_tT0_T1_T2_jT3_P12ihipStream_tbPNSt15iterator_traitsISI_E10value_typeEPNSO_ISJ_E10value_typeEPSK_NS1_7vsmem_tEENKUlT_SI_SJ_SK_E_clISD_PySD_S10_EESH_SX_SI_SJ_SK_EUlSX_E0_NS1_11comp_targetILNS1_3genE8ELNS1_11target_archE1030ELNS1_3gpuE2ELNS1_3repE0EEENS1_38merge_mergepath_config_static_selectorELNS0_4arch9wavefront6targetE1EEEvSJ_.num_vgpr, 0
	.set _ZN7rocprim17ROCPRIM_400000_NS6detail17trampoline_kernelINS0_14default_configENS1_38merge_sort_block_merge_config_selectorIyyEEZZNS1_27merge_sort_block_merge_implIS3_N6thrust23THRUST_200600_302600_NS6detail15normal_iteratorINS8_10device_ptrIyEEEESD_jNS1_19radix_merge_compareILb0ELb1EyNS0_19identity_decomposerEEEEE10hipError_tT0_T1_T2_jT3_P12ihipStream_tbPNSt15iterator_traitsISI_E10value_typeEPNSO_ISJ_E10value_typeEPSK_NS1_7vsmem_tEENKUlT_SI_SJ_SK_E_clISD_PySD_S10_EESH_SX_SI_SJ_SK_EUlSX_E0_NS1_11comp_targetILNS1_3genE8ELNS1_11target_archE1030ELNS1_3gpuE2ELNS1_3repE0EEENS1_38merge_mergepath_config_static_selectorELNS0_4arch9wavefront6targetE1EEEvSJ_.num_agpr, 0
	.set _ZN7rocprim17ROCPRIM_400000_NS6detail17trampoline_kernelINS0_14default_configENS1_38merge_sort_block_merge_config_selectorIyyEEZZNS1_27merge_sort_block_merge_implIS3_N6thrust23THRUST_200600_302600_NS6detail15normal_iteratorINS8_10device_ptrIyEEEESD_jNS1_19radix_merge_compareILb0ELb1EyNS0_19identity_decomposerEEEEE10hipError_tT0_T1_T2_jT3_P12ihipStream_tbPNSt15iterator_traitsISI_E10value_typeEPNSO_ISJ_E10value_typeEPSK_NS1_7vsmem_tEENKUlT_SI_SJ_SK_E_clISD_PySD_S10_EESH_SX_SI_SJ_SK_EUlSX_E0_NS1_11comp_targetILNS1_3genE8ELNS1_11target_archE1030ELNS1_3gpuE2ELNS1_3repE0EEENS1_38merge_mergepath_config_static_selectorELNS0_4arch9wavefront6targetE1EEEvSJ_.numbered_sgpr, 0
	.set _ZN7rocprim17ROCPRIM_400000_NS6detail17trampoline_kernelINS0_14default_configENS1_38merge_sort_block_merge_config_selectorIyyEEZZNS1_27merge_sort_block_merge_implIS3_N6thrust23THRUST_200600_302600_NS6detail15normal_iteratorINS8_10device_ptrIyEEEESD_jNS1_19radix_merge_compareILb0ELb1EyNS0_19identity_decomposerEEEEE10hipError_tT0_T1_T2_jT3_P12ihipStream_tbPNSt15iterator_traitsISI_E10value_typeEPNSO_ISJ_E10value_typeEPSK_NS1_7vsmem_tEENKUlT_SI_SJ_SK_E_clISD_PySD_S10_EESH_SX_SI_SJ_SK_EUlSX_E0_NS1_11comp_targetILNS1_3genE8ELNS1_11target_archE1030ELNS1_3gpuE2ELNS1_3repE0EEENS1_38merge_mergepath_config_static_selectorELNS0_4arch9wavefront6targetE1EEEvSJ_.num_named_barrier, 0
	.set _ZN7rocprim17ROCPRIM_400000_NS6detail17trampoline_kernelINS0_14default_configENS1_38merge_sort_block_merge_config_selectorIyyEEZZNS1_27merge_sort_block_merge_implIS3_N6thrust23THRUST_200600_302600_NS6detail15normal_iteratorINS8_10device_ptrIyEEEESD_jNS1_19radix_merge_compareILb0ELb1EyNS0_19identity_decomposerEEEEE10hipError_tT0_T1_T2_jT3_P12ihipStream_tbPNSt15iterator_traitsISI_E10value_typeEPNSO_ISJ_E10value_typeEPSK_NS1_7vsmem_tEENKUlT_SI_SJ_SK_E_clISD_PySD_S10_EESH_SX_SI_SJ_SK_EUlSX_E0_NS1_11comp_targetILNS1_3genE8ELNS1_11target_archE1030ELNS1_3gpuE2ELNS1_3repE0EEENS1_38merge_mergepath_config_static_selectorELNS0_4arch9wavefront6targetE1EEEvSJ_.private_seg_size, 0
	.set _ZN7rocprim17ROCPRIM_400000_NS6detail17trampoline_kernelINS0_14default_configENS1_38merge_sort_block_merge_config_selectorIyyEEZZNS1_27merge_sort_block_merge_implIS3_N6thrust23THRUST_200600_302600_NS6detail15normal_iteratorINS8_10device_ptrIyEEEESD_jNS1_19radix_merge_compareILb0ELb1EyNS0_19identity_decomposerEEEEE10hipError_tT0_T1_T2_jT3_P12ihipStream_tbPNSt15iterator_traitsISI_E10value_typeEPNSO_ISJ_E10value_typeEPSK_NS1_7vsmem_tEENKUlT_SI_SJ_SK_E_clISD_PySD_S10_EESH_SX_SI_SJ_SK_EUlSX_E0_NS1_11comp_targetILNS1_3genE8ELNS1_11target_archE1030ELNS1_3gpuE2ELNS1_3repE0EEENS1_38merge_mergepath_config_static_selectorELNS0_4arch9wavefront6targetE1EEEvSJ_.uses_vcc, 0
	.set _ZN7rocprim17ROCPRIM_400000_NS6detail17trampoline_kernelINS0_14default_configENS1_38merge_sort_block_merge_config_selectorIyyEEZZNS1_27merge_sort_block_merge_implIS3_N6thrust23THRUST_200600_302600_NS6detail15normal_iteratorINS8_10device_ptrIyEEEESD_jNS1_19radix_merge_compareILb0ELb1EyNS0_19identity_decomposerEEEEE10hipError_tT0_T1_T2_jT3_P12ihipStream_tbPNSt15iterator_traitsISI_E10value_typeEPNSO_ISJ_E10value_typeEPSK_NS1_7vsmem_tEENKUlT_SI_SJ_SK_E_clISD_PySD_S10_EESH_SX_SI_SJ_SK_EUlSX_E0_NS1_11comp_targetILNS1_3genE8ELNS1_11target_archE1030ELNS1_3gpuE2ELNS1_3repE0EEENS1_38merge_mergepath_config_static_selectorELNS0_4arch9wavefront6targetE1EEEvSJ_.uses_flat_scratch, 0
	.set _ZN7rocprim17ROCPRIM_400000_NS6detail17trampoline_kernelINS0_14default_configENS1_38merge_sort_block_merge_config_selectorIyyEEZZNS1_27merge_sort_block_merge_implIS3_N6thrust23THRUST_200600_302600_NS6detail15normal_iteratorINS8_10device_ptrIyEEEESD_jNS1_19radix_merge_compareILb0ELb1EyNS0_19identity_decomposerEEEEE10hipError_tT0_T1_T2_jT3_P12ihipStream_tbPNSt15iterator_traitsISI_E10value_typeEPNSO_ISJ_E10value_typeEPSK_NS1_7vsmem_tEENKUlT_SI_SJ_SK_E_clISD_PySD_S10_EESH_SX_SI_SJ_SK_EUlSX_E0_NS1_11comp_targetILNS1_3genE8ELNS1_11target_archE1030ELNS1_3gpuE2ELNS1_3repE0EEENS1_38merge_mergepath_config_static_selectorELNS0_4arch9wavefront6targetE1EEEvSJ_.has_dyn_sized_stack, 0
	.set _ZN7rocprim17ROCPRIM_400000_NS6detail17trampoline_kernelINS0_14default_configENS1_38merge_sort_block_merge_config_selectorIyyEEZZNS1_27merge_sort_block_merge_implIS3_N6thrust23THRUST_200600_302600_NS6detail15normal_iteratorINS8_10device_ptrIyEEEESD_jNS1_19radix_merge_compareILb0ELb1EyNS0_19identity_decomposerEEEEE10hipError_tT0_T1_T2_jT3_P12ihipStream_tbPNSt15iterator_traitsISI_E10value_typeEPNSO_ISJ_E10value_typeEPSK_NS1_7vsmem_tEENKUlT_SI_SJ_SK_E_clISD_PySD_S10_EESH_SX_SI_SJ_SK_EUlSX_E0_NS1_11comp_targetILNS1_3genE8ELNS1_11target_archE1030ELNS1_3gpuE2ELNS1_3repE0EEENS1_38merge_mergepath_config_static_selectorELNS0_4arch9wavefront6targetE1EEEvSJ_.has_recursion, 0
	.set _ZN7rocprim17ROCPRIM_400000_NS6detail17trampoline_kernelINS0_14default_configENS1_38merge_sort_block_merge_config_selectorIyyEEZZNS1_27merge_sort_block_merge_implIS3_N6thrust23THRUST_200600_302600_NS6detail15normal_iteratorINS8_10device_ptrIyEEEESD_jNS1_19radix_merge_compareILb0ELb1EyNS0_19identity_decomposerEEEEE10hipError_tT0_T1_T2_jT3_P12ihipStream_tbPNSt15iterator_traitsISI_E10value_typeEPNSO_ISJ_E10value_typeEPSK_NS1_7vsmem_tEENKUlT_SI_SJ_SK_E_clISD_PySD_S10_EESH_SX_SI_SJ_SK_EUlSX_E0_NS1_11comp_targetILNS1_3genE8ELNS1_11target_archE1030ELNS1_3gpuE2ELNS1_3repE0EEENS1_38merge_mergepath_config_static_selectorELNS0_4arch9wavefront6targetE1EEEvSJ_.has_indirect_call, 0
	.section	.AMDGPU.csdata,"",@progbits
; Kernel info:
; codeLenInByte = 0
; TotalNumSgprs: 6
; NumVgprs: 0
; NumAgprs: 0
; TotalNumVgprs: 0
; ScratchSize: 0
; MemoryBound: 0
; FloatMode: 240
; IeeeMode: 1
; LDSByteSize: 0 bytes/workgroup (compile time only)
; SGPRBlocks: 0
; VGPRBlocks: 0
; NumSGPRsForWavesPerEU: 6
; NumVGPRsForWavesPerEU: 1
; AccumOffset: 4
; Occupancy: 8
; WaveLimiterHint : 0
; COMPUTE_PGM_RSRC2:SCRATCH_EN: 0
; COMPUTE_PGM_RSRC2:USER_SGPR: 2
; COMPUTE_PGM_RSRC2:TRAP_HANDLER: 0
; COMPUTE_PGM_RSRC2:TGID_X_EN: 1
; COMPUTE_PGM_RSRC2:TGID_Y_EN: 0
; COMPUTE_PGM_RSRC2:TGID_Z_EN: 0
; COMPUTE_PGM_RSRC2:TIDIG_COMP_CNT: 0
; COMPUTE_PGM_RSRC3_GFX90A:ACCUM_OFFSET: 0
; COMPUTE_PGM_RSRC3_GFX90A:TG_SPLIT: 0
	.section	.text._ZN7rocprim17ROCPRIM_400000_NS6detail17trampoline_kernelINS0_14default_configENS1_38merge_sort_block_merge_config_selectorIyyEEZZNS1_27merge_sort_block_merge_implIS3_N6thrust23THRUST_200600_302600_NS6detail15normal_iteratorINS8_10device_ptrIyEEEESD_jNS1_19radix_merge_compareILb0ELb1EyNS0_19identity_decomposerEEEEE10hipError_tT0_T1_T2_jT3_P12ihipStream_tbPNSt15iterator_traitsISI_E10value_typeEPNSO_ISJ_E10value_typeEPSK_NS1_7vsmem_tEENKUlT_SI_SJ_SK_E_clISD_PySD_S10_EESH_SX_SI_SJ_SK_EUlSX_E1_NS1_11comp_targetILNS1_3genE0ELNS1_11target_archE4294967295ELNS1_3gpuE0ELNS1_3repE0EEENS1_36merge_oddeven_config_static_selectorELNS0_4arch9wavefront6targetE1EEEvSJ_,"axG",@progbits,_ZN7rocprim17ROCPRIM_400000_NS6detail17trampoline_kernelINS0_14default_configENS1_38merge_sort_block_merge_config_selectorIyyEEZZNS1_27merge_sort_block_merge_implIS3_N6thrust23THRUST_200600_302600_NS6detail15normal_iteratorINS8_10device_ptrIyEEEESD_jNS1_19radix_merge_compareILb0ELb1EyNS0_19identity_decomposerEEEEE10hipError_tT0_T1_T2_jT3_P12ihipStream_tbPNSt15iterator_traitsISI_E10value_typeEPNSO_ISJ_E10value_typeEPSK_NS1_7vsmem_tEENKUlT_SI_SJ_SK_E_clISD_PySD_S10_EESH_SX_SI_SJ_SK_EUlSX_E1_NS1_11comp_targetILNS1_3genE0ELNS1_11target_archE4294967295ELNS1_3gpuE0ELNS1_3repE0EEENS1_36merge_oddeven_config_static_selectorELNS0_4arch9wavefront6targetE1EEEvSJ_,comdat
	.protected	_ZN7rocprim17ROCPRIM_400000_NS6detail17trampoline_kernelINS0_14default_configENS1_38merge_sort_block_merge_config_selectorIyyEEZZNS1_27merge_sort_block_merge_implIS3_N6thrust23THRUST_200600_302600_NS6detail15normal_iteratorINS8_10device_ptrIyEEEESD_jNS1_19radix_merge_compareILb0ELb1EyNS0_19identity_decomposerEEEEE10hipError_tT0_T1_T2_jT3_P12ihipStream_tbPNSt15iterator_traitsISI_E10value_typeEPNSO_ISJ_E10value_typeEPSK_NS1_7vsmem_tEENKUlT_SI_SJ_SK_E_clISD_PySD_S10_EESH_SX_SI_SJ_SK_EUlSX_E1_NS1_11comp_targetILNS1_3genE0ELNS1_11target_archE4294967295ELNS1_3gpuE0ELNS1_3repE0EEENS1_36merge_oddeven_config_static_selectorELNS0_4arch9wavefront6targetE1EEEvSJ_ ; -- Begin function _ZN7rocprim17ROCPRIM_400000_NS6detail17trampoline_kernelINS0_14default_configENS1_38merge_sort_block_merge_config_selectorIyyEEZZNS1_27merge_sort_block_merge_implIS3_N6thrust23THRUST_200600_302600_NS6detail15normal_iteratorINS8_10device_ptrIyEEEESD_jNS1_19radix_merge_compareILb0ELb1EyNS0_19identity_decomposerEEEEE10hipError_tT0_T1_T2_jT3_P12ihipStream_tbPNSt15iterator_traitsISI_E10value_typeEPNSO_ISJ_E10value_typeEPSK_NS1_7vsmem_tEENKUlT_SI_SJ_SK_E_clISD_PySD_S10_EESH_SX_SI_SJ_SK_EUlSX_E1_NS1_11comp_targetILNS1_3genE0ELNS1_11target_archE4294967295ELNS1_3gpuE0ELNS1_3repE0EEENS1_36merge_oddeven_config_static_selectorELNS0_4arch9wavefront6targetE1EEEvSJ_
	.globl	_ZN7rocprim17ROCPRIM_400000_NS6detail17trampoline_kernelINS0_14default_configENS1_38merge_sort_block_merge_config_selectorIyyEEZZNS1_27merge_sort_block_merge_implIS3_N6thrust23THRUST_200600_302600_NS6detail15normal_iteratorINS8_10device_ptrIyEEEESD_jNS1_19radix_merge_compareILb0ELb1EyNS0_19identity_decomposerEEEEE10hipError_tT0_T1_T2_jT3_P12ihipStream_tbPNSt15iterator_traitsISI_E10value_typeEPNSO_ISJ_E10value_typeEPSK_NS1_7vsmem_tEENKUlT_SI_SJ_SK_E_clISD_PySD_S10_EESH_SX_SI_SJ_SK_EUlSX_E1_NS1_11comp_targetILNS1_3genE0ELNS1_11target_archE4294967295ELNS1_3gpuE0ELNS1_3repE0EEENS1_36merge_oddeven_config_static_selectorELNS0_4arch9wavefront6targetE1EEEvSJ_
	.p2align	8
	.type	_ZN7rocprim17ROCPRIM_400000_NS6detail17trampoline_kernelINS0_14default_configENS1_38merge_sort_block_merge_config_selectorIyyEEZZNS1_27merge_sort_block_merge_implIS3_N6thrust23THRUST_200600_302600_NS6detail15normal_iteratorINS8_10device_ptrIyEEEESD_jNS1_19radix_merge_compareILb0ELb1EyNS0_19identity_decomposerEEEEE10hipError_tT0_T1_T2_jT3_P12ihipStream_tbPNSt15iterator_traitsISI_E10value_typeEPNSO_ISJ_E10value_typeEPSK_NS1_7vsmem_tEENKUlT_SI_SJ_SK_E_clISD_PySD_S10_EESH_SX_SI_SJ_SK_EUlSX_E1_NS1_11comp_targetILNS1_3genE0ELNS1_11target_archE4294967295ELNS1_3gpuE0ELNS1_3repE0EEENS1_36merge_oddeven_config_static_selectorELNS0_4arch9wavefront6targetE1EEEvSJ_,@function
_ZN7rocprim17ROCPRIM_400000_NS6detail17trampoline_kernelINS0_14default_configENS1_38merge_sort_block_merge_config_selectorIyyEEZZNS1_27merge_sort_block_merge_implIS3_N6thrust23THRUST_200600_302600_NS6detail15normal_iteratorINS8_10device_ptrIyEEEESD_jNS1_19radix_merge_compareILb0ELb1EyNS0_19identity_decomposerEEEEE10hipError_tT0_T1_T2_jT3_P12ihipStream_tbPNSt15iterator_traitsISI_E10value_typeEPNSO_ISJ_E10value_typeEPSK_NS1_7vsmem_tEENKUlT_SI_SJ_SK_E_clISD_PySD_S10_EESH_SX_SI_SJ_SK_EUlSX_E1_NS1_11comp_targetILNS1_3genE0ELNS1_11target_archE4294967295ELNS1_3gpuE0ELNS1_3repE0EEENS1_36merge_oddeven_config_static_selectorELNS0_4arch9wavefront6targetE1EEEvSJ_: ; @_ZN7rocprim17ROCPRIM_400000_NS6detail17trampoline_kernelINS0_14default_configENS1_38merge_sort_block_merge_config_selectorIyyEEZZNS1_27merge_sort_block_merge_implIS3_N6thrust23THRUST_200600_302600_NS6detail15normal_iteratorINS8_10device_ptrIyEEEESD_jNS1_19radix_merge_compareILb0ELb1EyNS0_19identity_decomposerEEEEE10hipError_tT0_T1_T2_jT3_P12ihipStream_tbPNSt15iterator_traitsISI_E10value_typeEPNSO_ISJ_E10value_typeEPSK_NS1_7vsmem_tEENKUlT_SI_SJ_SK_E_clISD_PySD_S10_EESH_SX_SI_SJ_SK_EUlSX_E1_NS1_11comp_targetILNS1_3genE0ELNS1_11target_archE4294967295ELNS1_3gpuE0ELNS1_3repE0EEENS1_36merge_oddeven_config_static_selectorELNS0_4arch9wavefront6targetE1EEEvSJ_
; %bb.0:
	s_load_dword s20, s[0:1], 0x20
	s_waitcnt lgkmcnt(0)
	s_lshr_b32 s3, s20, 8
	s_cmp_eq_u32 s2, s3
	s_cselect_b64 s[16:17], -1, 0
	s_cmp_lg_u32 s2, s3
	s_cselect_b64 s[4:5], -1, 0
	s_lshl_b32 s18, s2, 8
	s_sub_i32 s3, s20, s18
	v_cmp_gt_u32_e64 s[6:7], s3, v0
	s_or_b64 s[4:5], s[4:5], s[6:7]
	s_and_saveexec_b64 s[8:9], s[4:5]
	s_cbranch_execz .LBB493_24
; %bb.1:
	s_load_dwordx8 s[8:15], s[0:1], 0x0
	s_mov_b32 s19, 0
	s_lshl_b64 s[4:5], s[18:19], 3
	v_lshlrev_b32_e32 v1, 3, v0
	s_load_dword s19, s[0:1], 0x24
	s_waitcnt lgkmcnt(0)
	s_add_u32 s22, s8, s4
	s_addc_u32 s23, s9, s5
	s_add_u32 s4, s12, s4
	s_addc_u32 s5, s13, s5
	global_load_dwordx2 v[2:3], v1, s[4:5]
	global_load_dwordx2 v[4:5], v1, s[22:23]
	s_lshr_b32 s3, s19, 8
	s_sub_i32 s4, 0, s3
	s_and_b32 s2, s2, s4
	s_and_b32 s3, s2, s3
	s_lshl_b32 s21, s2, 8
	s_sub_i32 s12, 0, s19
	s_cmp_eq_u32 s3, 0
	s_cselect_b64 s[4:5], -1, 0
	s_and_b64 s[2:3], s[4:5], exec
	s_cselect_b32 s12, s19, s12
	s_add_i32 s12, s12, s21
	s_mov_b64 s[2:3], -1
	s_cmp_gt_u32 s20, s12
	v_add_u32_e32 v0, s18, v0
	s_cbranch_scc1 .LBB493_9
; %bb.2:
	s_and_b64 vcc, exec, s[16:17]
	s_cbranch_vccz .LBB493_6
; %bb.3:
	v_cmp_gt_u32_e32 vcc, s20, v0
	s_and_saveexec_b64 s[2:3], vcc
	s_cbranch_execz .LBB493_5
; %bb.4:
	v_mov_b32_e32 v1, 0
	v_lshlrev_b64 v[6:7], 3, v[0:1]
	v_lshl_add_u64 v[8:9], s[10:11], 0, v[6:7]
	v_lshl_add_u64 v[6:7], s[14:15], 0, v[6:7]
	s_waitcnt vmcnt(0)
	global_store_dwordx2 v[8:9], v[4:5], off
	global_store_dwordx2 v[6:7], v[2:3], off
.LBB493_5:
	s_or_b64 exec, exec, s[2:3]
	s_mov_b64 s[2:3], 0
.LBB493_6:
	s_andn2_b64 vcc, exec, s[2:3]
	s_cbranch_vccnz .LBB493_8
; %bb.7:
	v_mov_b32_e32 v1, 0
	v_lshlrev_b64 v[6:7], 3, v[0:1]
	v_lshl_add_u64 v[8:9], s[10:11], 0, v[6:7]
	v_lshl_add_u64 v[6:7], s[14:15], 0, v[6:7]
	s_waitcnt vmcnt(0)
	global_store_dwordx2 v[8:9], v[4:5], off
	global_store_dwordx2 v[6:7], v[2:3], off
.LBB493_8:
	s_mov_b64 s[2:3], 0
.LBB493_9:
	s_andn2_b64 vcc, exec, s[2:3]
	s_cbranch_vccnz .LBB493_24
; %bb.10:
	s_load_dwordx2 s[0:1], s[0:1], 0x28
	s_min_u32 s13, s12, s20
	s_add_i32 s2, s13, s19
	s_min_u32 s18, s2, s20
	s_min_u32 s2, s21, s13
	s_add_i32 s21, s21, s13
	v_subrev_u32_e32 v0, s21, v0
	v_add_u32_e32 v8, s2, v0
	s_waitcnt vmcnt(0) lgkmcnt(0)
	v_and_b32_e32 v1, s1, v5
	v_and_b32_e32 v0, s0, v4
	s_mov_b64 s[2:3], -1
	s_and_b64 vcc, exec, s[16:17]
	s_cbranch_vccz .LBB493_18
; %bb.11:
	s_and_saveexec_b64 s[2:3], s[6:7]
	s_cbranch_execz .LBB493_17
; %bb.12:
	s_cmp_ge_u32 s12, s18
	v_mov_b32_e32 v9, s13
	s_cbranch_scc1 .LBB493_16
; %bb.13:
	s_mov_b64 s[6:7], 0
	v_mov_b32_e32 v10, s18
	v_mov_b32_e32 v9, s13
	;; [unrolled: 1-line block ×3, first 2 shown]
.LBB493_14:                             ; =>This Inner Loop Header: Depth=1
	v_add_u32_e32 v6, v9, v10
	v_lshrrev_b32_e32 v6, 1, v6
	v_lshl_add_u64 v[12:13], v[6:7], 3, s[8:9]
	global_load_dwordx2 v[12:13], v[12:13], off
	v_add_u32_e32 v11, 1, v6
	s_waitcnt vmcnt(0)
	v_and_b32_e32 v13, s1, v13
	v_and_b32_e32 v12, s0, v12
	v_cmp_gt_u64_e32 vcc, v[0:1], v[12:13]
	s_nop 1
	v_cndmask_b32_e64 v14, 0, 1, vcc
	v_cmp_le_u64_e32 vcc, v[12:13], v[0:1]
	s_nop 1
	v_cndmask_b32_e64 v12, 0, 1, vcc
	v_cndmask_b32_e64 v12, v12, v14, s[4:5]
	v_and_b32_e32 v12, 1, v12
	v_cmp_eq_u32_e32 vcc, 1, v12
	s_nop 1
	v_cndmask_b32_e32 v10, v6, v10, vcc
	v_cndmask_b32_e32 v9, v9, v11, vcc
	v_cmp_ge_u32_e32 vcc, v9, v10
	s_or_b64 s[6:7], vcc, s[6:7]
	s_andn2_b64 exec, exec, s[6:7]
	s_cbranch_execnz .LBB493_14
; %bb.15:
	s_or_b64 exec, exec, s[6:7]
.LBB493_16:
	v_add_u32_e32 v6, v9, v8
	v_mov_b32_e32 v7, 0
	v_lshlrev_b64 v[6:7], 3, v[6:7]
	v_lshl_add_u64 v[10:11], s[10:11], 0, v[6:7]
	v_lshl_add_u64 v[6:7], s[14:15], 0, v[6:7]
	global_store_dwordx2 v[10:11], v[4:5], off
	global_store_dwordx2 v[6:7], v[2:3], off
.LBB493_17:
	s_or_b64 exec, exec, s[2:3]
	s_mov_b64 s[2:3], 0
.LBB493_18:
	s_andn2_b64 vcc, exec, s[2:3]
	s_cbranch_vccnz .LBB493_24
; %bb.19:
	s_cmp_ge_u32 s12, s18
	v_mov_b32_e32 v9, s13
	s_cbranch_scc1 .LBB493_23
; %bb.20:
	s_mov_b64 s[2:3], 0
	v_mov_b32_e32 v10, s18
	v_mov_b32_e32 v9, s13
	;; [unrolled: 1-line block ×3, first 2 shown]
.LBB493_21:                             ; =>This Inner Loop Header: Depth=1
	v_add_u32_e32 v6, v9, v10
	v_lshrrev_b32_e32 v6, 1, v6
	v_lshl_add_u64 v[12:13], v[6:7], 3, s[8:9]
	global_load_dwordx2 v[12:13], v[12:13], off
	v_add_u32_e32 v11, 1, v6
	s_waitcnt vmcnt(0)
	v_and_b32_e32 v13, s1, v13
	v_and_b32_e32 v12, s0, v12
	v_cmp_gt_u64_e32 vcc, v[0:1], v[12:13]
	s_nop 1
	v_cndmask_b32_e64 v14, 0, 1, vcc
	v_cmp_le_u64_e32 vcc, v[12:13], v[0:1]
	s_nop 1
	v_cndmask_b32_e64 v12, 0, 1, vcc
	v_cndmask_b32_e64 v12, v12, v14, s[4:5]
	v_and_b32_e32 v12, 1, v12
	v_cmp_eq_u32_e32 vcc, 1, v12
	s_nop 1
	v_cndmask_b32_e32 v10, v6, v10, vcc
	v_cndmask_b32_e32 v9, v9, v11, vcc
	v_cmp_ge_u32_e32 vcc, v9, v10
	s_or_b64 s[2:3], vcc, s[2:3]
	s_andn2_b64 exec, exec, s[2:3]
	s_cbranch_execnz .LBB493_21
; %bb.22:
	s_or_b64 exec, exec, s[2:3]
.LBB493_23:
	v_add_u32_e32 v0, v9, v8
	v_mov_b32_e32 v1, 0
	v_lshlrev_b64 v[0:1], 3, v[0:1]
	v_lshl_add_u64 v[6:7], s[10:11], 0, v[0:1]
	v_lshl_add_u64 v[0:1], s[14:15], 0, v[0:1]
	global_store_dwordx2 v[6:7], v[4:5], off
	global_store_dwordx2 v[0:1], v[2:3], off
.LBB493_24:
	s_endpgm
	.section	.rodata,"a",@progbits
	.p2align	6, 0x0
	.amdhsa_kernel _ZN7rocprim17ROCPRIM_400000_NS6detail17trampoline_kernelINS0_14default_configENS1_38merge_sort_block_merge_config_selectorIyyEEZZNS1_27merge_sort_block_merge_implIS3_N6thrust23THRUST_200600_302600_NS6detail15normal_iteratorINS8_10device_ptrIyEEEESD_jNS1_19radix_merge_compareILb0ELb1EyNS0_19identity_decomposerEEEEE10hipError_tT0_T1_T2_jT3_P12ihipStream_tbPNSt15iterator_traitsISI_E10value_typeEPNSO_ISJ_E10value_typeEPSK_NS1_7vsmem_tEENKUlT_SI_SJ_SK_E_clISD_PySD_S10_EESH_SX_SI_SJ_SK_EUlSX_E1_NS1_11comp_targetILNS1_3genE0ELNS1_11target_archE4294967295ELNS1_3gpuE0ELNS1_3repE0EEENS1_36merge_oddeven_config_static_selectorELNS0_4arch9wavefront6targetE1EEEvSJ_
		.amdhsa_group_segment_fixed_size 0
		.amdhsa_private_segment_fixed_size 0
		.amdhsa_kernarg_size 48
		.amdhsa_user_sgpr_count 2
		.amdhsa_user_sgpr_dispatch_ptr 0
		.amdhsa_user_sgpr_queue_ptr 0
		.amdhsa_user_sgpr_kernarg_segment_ptr 1
		.amdhsa_user_sgpr_dispatch_id 0
		.amdhsa_user_sgpr_kernarg_preload_length 0
		.amdhsa_user_sgpr_kernarg_preload_offset 0
		.amdhsa_user_sgpr_private_segment_size 0
		.amdhsa_uses_dynamic_stack 0
		.amdhsa_enable_private_segment 0
		.amdhsa_system_sgpr_workgroup_id_x 1
		.amdhsa_system_sgpr_workgroup_id_y 0
		.amdhsa_system_sgpr_workgroup_id_z 0
		.amdhsa_system_sgpr_workgroup_info 0
		.amdhsa_system_vgpr_workitem_id 0
		.amdhsa_next_free_vgpr 15
		.amdhsa_next_free_sgpr 24
		.amdhsa_accum_offset 16
		.amdhsa_reserve_vcc 1
		.amdhsa_float_round_mode_32 0
		.amdhsa_float_round_mode_16_64 0
		.amdhsa_float_denorm_mode_32 3
		.amdhsa_float_denorm_mode_16_64 3
		.amdhsa_dx10_clamp 1
		.amdhsa_ieee_mode 1
		.amdhsa_fp16_overflow 0
		.amdhsa_tg_split 0
		.amdhsa_exception_fp_ieee_invalid_op 0
		.amdhsa_exception_fp_denorm_src 0
		.amdhsa_exception_fp_ieee_div_zero 0
		.amdhsa_exception_fp_ieee_overflow 0
		.amdhsa_exception_fp_ieee_underflow 0
		.amdhsa_exception_fp_ieee_inexact 0
		.amdhsa_exception_int_div_zero 0
	.end_amdhsa_kernel
	.section	.text._ZN7rocprim17ROCPRIM_400000_NS6detail17trampoline_kernelINS0_14default_configENS1_38merge_sort_block_merge_config_selectorIyyEEZZNS1_27merge_sort_block_merge_implIS3_N6thrust23THRUST_200600_302600_NS6detail15normal_iteratorINS8_10device_ptrIyEEEESD_jNS1_19radix_merge_compareILb0ELb1EyNS0_19identity_decomposerEEEEE10hipError_tT0_T1_T2_jT3_P12ihipStream_tbPNSt15iterator_traitsISI_E10value_typeEPNSO_ISJ_E10value_typeEPSK_NS1_7vsmem_tEENKUlT_SI_SJ_SK_E_clISD_PySD_S10_EESH_SX_SI_SJ_SK_EUlSX_E1_NS1_11comp_targetILNS1_3genE0ELNS1_11target_archE4294967295ELNS1_3gpuE0ELNS1_3repE0EEENS1_36merge_oddeven_config_static_selectorELNS0_4arch9wavefront6targetE1EEEvSJ_,"axG",@progbits,_ZN7rocprim17ROCPRIM_400000_NS6detail17trampoline_kernelINS0_14default_configENS1_38merge_sort_block_merge_config_selectorIyyEEZZNS1_27merge_sort_block_merge_implIS3_N6thrust23THRUST_200600_302600_NS6detail15normal_iteratorINS8_10device_ptrIyEEEESD_jNS1_19radix_merge_compareILb0ELb1EyNS0_19identity_decomposerEEEEE10hipError_tT0_T1_T2_jT3_P12ihipStream_tbPNSt15iterator_traitsISI_E10value_typeEPNSO_ISJ_E10value_typeEPSK_NS1_7vsmem_tEENKUlT_SI_SJ_SK_E_clISD_PySD_S10_EESH_SX_SI_SJ_SK_EUlSX_E1_NS1_11comp_targetILNS1_3genE0ELNS1_11target_archE4294967295ELNS1_3gpuE0ELNS1_3repE0EEENS1_36merge_oddeven_config_static_selectorELNS0_4arch9wavefront6targetE1EEEvSJ_,comdat
.Lfunc_end493:
	.size	_ZN7rocprim17ROCPRIM_400000_NS6detail17trampoline_kernelINS0_14default_configENS1_38merge_sort_block_merge_config_selectorIyyEEZZNS1_27merge_sort_block_merge_implIS3_N6thrust23THRUST_200600_302600_NS6detail15normal_iteratorINS8_10device_ptrIyEEEESD_jNS1_19radix_merge_compareILb0ELb1EyNS0_19identity_decomposerEEEEE10hipError_tT0_T1_T2_jT3_P12ihipStream_tbPNSt15iterator_traitsISI_E10value_typeEPNSO_ISJ_E10value_typeEPSK_NS1_7vsmem_tEENKUlT_SI_SJ_SK_E_clISD_PySD_S10_EESH_SX_SI_SJ_SK_EUlSX_E1_NS1_11comp_targetILNS1_3genE0ELNS1_11target_archE4294967295ELNS1_3gpuE0ELNS1_3repE0EEENS1_36merge_oddeven_config_static_selectorELNS0_4arch9wavefront6targetE1EEEvSJ_, .Lfunc_end493-_ZN7rocprim17ROCPRIM_400000_NS6detail17trampoline_kernelINS0_14default_configENS1_38merge_sort_block_merge_config_selectorIyyEEZZNS1_27merge_sort_block_merge_implIS3_N6thrust23THRUST_200600_302600_NS6detail15normal_iteratorINS8_10device_ptrIyEEEESD_jNS1_19radix_merge_compareILb0ELb1EyNS0_19identity_decomposerEEEEE10hipError_tT0_T1_T2_jT3_P12ihipStream_tbPNSt15iterator_traitsISI_E10value_typeEPNSO_ISJ_E10value_typeEPSK_NS1_7vsmem_tEENKUlT_SI_SJ_SK_E_clISD_PySD_S10_EESH_SX_SI_SJ_SK_EUlSX_E1_NS1_11comp_targetILNS1_3genE0ELNS1_11target_archE4294967295ELNS1_3gpuE0ELNS1_3repE0EEENS1_36merge_oddeven_config_static_selectorELNS0_4arch9wavefront6targetE1EEEvSJ_
                                        ; -- End function
	.set _ZN7rocprim17ROCPRIM_400000_NS6detail17trampoline_kernelINS0_14default_configENS1_38merge_sort_block_merge_config_selectorIyyEEZZNS1_27merge_sort_block_merge_implIS3_N6thrust23THRUST_200600_302600_NS6detail15normal_iteratorINS8_10device_ptrIyEEEESD_jNS1_19radix_merge_compareILb0ELb1EyNS0_19identity_decomposerEEEEE10hipError_tT0_T1_T2_jT3_P12ihipStream_tbPNSt15iterator_traitsISI_E10value_typeEPNSO_ISJ_E10value_typeEPSK_NS1_7vsmem_tEENKUlT_SI_SJ_SK_E_clISD_PySD_S10_EESH_SX_SI_SJ_SK_EUlSX_E1_NS1_11comp_targetILNS1_3genE0ELNS1_11target_archE4294967295ELNS1_3gpuE0ELNS1_3repE0EEENS1_36merge_oddeven_config_static_selectorELNS0_4arch9wavefront6targetE1EEEvSJ_.num_vgpr, 15
	.set _ZN7rocprim17ROCPRIM_400000_NS6detail17trampoline_kernelINS0_14default_configENS1_38merge_sort_block_merge_config_selectorIyyEEZZNS1_27merge_sort_block_merge_implIS3_N6thrust23THRUST_200600_302600_NS6detail15normal_iteratorINS8_10device_ptrIyEEEESD_jNS1_19radix_merge_compareILb0ELb1EyNS0_19identity_decomposerEEEEE10hipError_tT0_T1_T2_jT3_P12ihipStream_tbPNSt15iterator_traitsISI_E10value_typeEPNSO_ISJ_E10value_typeEPSK_NS1_7vsmem_tEENKUlT_SI_SJ_SK_E_clISD_PySD_S10_EESH_SX_SI_SJ_SK_EUlSX_E1_NS1_11comp_targetILNS1_3genE0ELNS1_11target_archE4294967295ELNS1_3gpuE0ELNS1_3repE0EEENS1_36merge_oddeven_config_static_selectorELNS0_4arch9wavefront6targetE1EEEvSJ_.num_agpr, 0
	.set _ZN7rocprim17ROCPRIM_400000_NS6detail17trampoline_kernelINS0_14default_configENS1_38merge_sort_block_merge_config_selectorIyyEEZZNS1_27merge_sort_block_merge_implIS3_N6thrust23THRUST_200600_302600_NS6detail15normal_iteratorINS8_10device_ptrIyEEEESD_jNS1_19radix_merge_compareILb0ELb1EyNS0_19identity_decomposerEEEEE10hipError_tT0_T1_T2_jT3_P12ihipStream_tbPNSt15iterator_traitsISI_E10value_typeEPNSO_ISJ_E10value_typeEPSK_NS1_7vsmem_tEENKUlT_SI_SJ_SK_E_clISD_PySD_S10_EESH_SX_SI_SJ_SK_EUlSX_E1_NS1_11comp_targetILNS1_3genE0ELNS1_11target_archE4294967295ELNS1_3gpuE0ELNS1_3repE0EEENS1_36merge_oddeven_config_static_selectorELNS0_4arch9wavefront6targetE1EEEvSJ_.numbered_sgpr, 24
	.set _ZN7rocprim17ROCPRIM_400000_NS6detail17trampoline_kernelINS0_14default_configENS1_38merge_sort_block_merge_config_selectorIyyEEZZNS1_27merge_sort_block_merge_implIS3_N6thrust23THRUST_200600_302600_NS6detail15normal_iteratorINS8_10device_ptrIyEEEESD_jNS1_19radix_merge_compareILb0ELb1EyNS0_19identity_decomposerEEEEE10hipError_tT0_T1_T2_jT3_P12ihipStream_tbPNSt15iterator_traitsISI_E10value_typeEPNSO_ISJ_E10value_typeEPSK_NS1_7vsmem_tEENKUlT_SI_SJ_SK_E_clISD_PySD_S10_EESH_SX_SI_SJ_SK_EUlSX_E1_NS1_11comp_targetILNS1_3genE0ELNS1_11target_archE4294967295ELNS1_3gpuE0ELNS1_3repE0EEENS1_36merge_oddeven_config_static_selectorELNS0_4arch9wavefront6targetE1EEEvSJ_.num_named_barrier, 0
	.set _ZN7rocprim17ROCPRIM_400000_NS6detail17trampoline_kernelINS0_14default_configENS1_38merge_sort_block_merge_config_selectorIyyEEZZNS1_27merge_sort_block_merge_implIS3_N6thrust23THRUST_200600_302600_NS6detail15normal_iteratorINS8_10device_ptrIyEEEESD_jNS1_19radix_merge_compareILb0ELb1EyNS0_19identity_decomposerEEEEE10hipError_tT0_T1_T2_jT3_P12ihipStream_tbPNSt15iterator_traitsISI_E10value_typeEPNSO_ISJ_E10value_typeEPSK_NS1_7vsmem_tEENKUlT_SI_SJ_SK_E_clISD_PySD_S10_EESH_SX_SI_SJ_SK_EUlSX_E1_NS1_11comp_targetILNS1_3genE0ELNS1_11target_archE4294967295ELNS1_3gpuE0ELNS1_3repE0EEENS1_36merge_oddeven_config_static_selectorELNS0_4arch9wavefront6targetE1EEEvSJ_.private_seg_size, 0
	.set _ZN7rocprim17ROCPRIM_400000_NS6detail17trampoline_kernelINS0_14default_configENS1_38merge_sort_block_merge_config_selectorIyyEEZZNS1_27merge_sort_block_merge_implIS3_N6thrust23THRUST_200600_302600_NS6detail15normal_iteratorINS8_10device_ptrIyEEEESD_jNS1_19radix_merge_compareILb0ELb1EyNS0_19identity_decomposerEEEEE10hipError_tT0_T1_T2_jT3_P12ihipStream_tbPNSt15iterator_traitsISI_E10value_typeEPNSO_ISJ_E10value_typeEPSK_NS1_7vsmem_tEENKUlT_SI_SJ_SK_E_clISD_PySD_S10_EESH_SX_SI_SJ_SK_EUlSX_E1_NS1_11comp_targetILNS1_3genE0ELNS1_11target_archE4294967295ELNS1_3gpuE0ELNS1_3repE0EEENS1_36merge_oddeven_config_static_selectorELNS0_4arch9wavefront6targetE1EEEvSJ_.uses_vcc, 1
	.set _ZN7rocprim17ROCPRIM_400000_NS6detail17trampoline_kernelINS0_14default_configENS1_38merge_sort_block_merge_config_selectorIyyEEZZNS1_27merge_sort_block_merge_implIS3_N6thrust23THRUST_200600_302600_NS6detail15normal_iteratorINS8_10device_ptrIyEEEESD_jNS1_19radix_merge_compareILb0ELb1EyNS0_19identity_decomposerEEEEE10hipError_tT0_T1_T2_jT3_P12ihipStream_tbPNSt15iterator_traitsISI_E10value_typeEPNSO_ISJ_E10value_typeEPSK_NS1_7vsmem_tEENKUlT_SI_SJ_SK_E_clISD_PySD_S10_EESH_SX_SI_SJ_SK_EUlSX_E1_NS1_11comp_targetILNS1_3genE0ELNS1_11target_archE4294967295ELNS1_3gpuE0ELNS1_3repE0EEENS1_36merge_oddeven_config_static_selectorELNS0_4arch9wavefront6targetE1EEEvSJ_.uses_flat_scratch, 0
	.set _ZN7rocprim17ROCPRIM_400000_NS6detail17trampoline_kernelINS0_14default_configENS1_38merge_sort_block_merge_config_selectorIyyEEZZNS1_27merge_sort_block_merge_implIS3_N6thrust23THRUST_200600_302600_NS6detail15normal_iteratorINS8_10device_ptrIyEEEESD_jNS1_19radix_merge_compareILb0ELb1EyNS0_19identity_decomposerEEEEE10hipError_tT0_T1_T2_jT3_P12ihipStream_tbPNSt15iterator_traitsISI_E10value_typeEPNSO_ISJ_E10value_typeEPSK_NS1_7vsmem_tEENKUlT_SI_SJ_SK_E_clISD_PySD_S10_EESH_SX_SI_SJ_SK_EUlSX_E1_NS1_11comp_targetILNS1_3genE0ELNS1_11target_archE4294967295ELNS1_3gpuE0ELNS1_3repE0EEENS1_36merge_oddeven_config_static_selectorELNS0_4arch9wavefront6targetE1EEEvSJ_.has_dyn_sized_stack, 0
	.set _ZN7rocprim17ROCPRIM_400000_NS6detail17trampoline_kernelINS0_14default_configENS1_38merge_sort_block_merge_config_selectorIyyEEZZNS1_27merge_sort_block_merge_implIS3_N6thrust23THRUST_200600_302600_NS6detail15normal_iteratorINS8_10device_ptrIyEEEESD_jNS1_19radix_merge_compareILb0ELb1EyNS0_19identity_decomposerEEEEE10hipError_tT0_T1_T2_jT3_P12ihipStream_tbPNSt15iterator_traitsISI_E10value_typeEPNSO_ISJ_E10value_typeEPSK_NS1_7vsmem_tEENKUlT_SI_SJ_SK_E_clISD_PySD_S10_EESH_SX_SI_SJ_SK_EUlSX_E1_NS1_11comp_targetILNS1_3genE0ELNS1_11target_archE4294967295ELNS1_3gpuE0ELNS1_3repE0EEENS1_36merge_oddeven_config_static_selectorELNS0_4arch9wavefront6targetE1EEEvSJ_.has_recursion, 0
	.set _ZN7rocprim17ROCPRIM_400000_NS6detail17trampoline_kernelINS0_14default_configENS1_38merge_sort_block_merge_config_selectorIyyEEZZNS1_27merge_sort_block_merge_implIS3_N6thrust23THRUST_200600_302600_NS6detail15normal_iteratorINS8_10device_ptrIyEEEESD_jNS1_19radix_merge_compareILb0ELb1EyNS0_19identity_decomposerEEEEE10hipError_tT0_T1_T2_jT3_P12ihipStream_tbPNSt15iterator_traitsISI_E10value_typeEPNSO_ISJ_E10value_typeEPSK_NS1_7vsmem_tEENKUlT_SI_SJ_SK_E_clISD_PySD_S10_EESH_SX_SI_SJ_SK_EUlSX_E1_NS1_11comp_targetILNS1_3genE0ELNS1_11target_archE4294967295ELNS1_3gpuE0ELNS1_3repE0EEENS1_36merge_oddeven_config_static_selectorELNS0_4arch9wavefront6targetE1EEEvSJ_.has_indirect_call, 0
	.section	.AMDGPU.csdata,"",@progbits
; Kernel info:
; codeLenInByte = 808
; TotalNumSgprs: 30
; NumVgprs: 15
; NumAgprs: 0
; TotalNumVgprs: 15
; ScratchSize: 0
; MemoryBound: 0
; FloatMode: 240
; IeeeMode: 1
; LDSByteSize: 0 bytes/workgroup (compile time only)
; SGPRBlocks: 3
; VGPRBlocks: 1
; NumSGPRsForWavesPerEU: 30
; NumVGPRsForWavesPerEU: 15
; AccumOffset: 16
; Occupancy: 8
; WaveLimiterHint : 0
; COMPUTE_PGM_RSRC2:SCRATCH_EN: 0
; COMPUTE_PGM_RSRC2:USER_SGPR: 2
; COMPUTE_PGM_RSRC2:TRAP_HANDLER: 0
; COMPUTE_PGM_RSRC2:TGID_X_EN: 1
; COMPUTE_PGM_RSRC2:TGID_Y_EN: 0
; COMPUTE_PGM_RSRC2:TGID_Z_EN: 0
; COMPUTE_PGM_RSRC2:TIDIG_COMP_CNT: 0
; COMPUTE_PGM_RSRC3_GFX90A:ACCUM_OFFSET: 3
; COMPUTE_PGM_RSRC3_GFX90A:TG_SPLIT: 0
	.section	.text._ZN7rocprim17ROCPRIM_400000_NS6detail17trampoline_kernelINS0_14default_configENS1_38merge_sort_block_merge_config_selectorIyyEEZZNS1_27merge_sort_block_merge_implIS3_N6thrust23THRUST_200600_302600_NS6detail15normal_iteratorINS8_10device_ptrIyEEEESD_jNS1_19radix_merge_compareILb0ELb1EyNS0_19identity_decomposerEEEEE10hipError_tT0_T1_T2_jT3_P12ihipStream_tbPNSt15iterator_traitsISI_E10value_typeEPNSO_ISJ_E10value_typeEPSK_NS1_7vsmem_tEENKUlT_SI_SJ_SK_E_clISD_PySD_S10_EESH_SX_SI_SJ_SK_EUlSX_E1_NS1_11comp_targetILNS1_3genE10ELNS1_11target_archE1201ELNS1_3gpuE5ELNS1_3repE0EEENS1_36merge_oddeven_config_static_selectorELNS0_4arch9wavefront6targetE1EEEvSJ_,"axG",@progbits,_ZN7rocprim17ROCPRIM_400000_NS6detail17trampoline_kernelINS0_14default_configENS1_38merge_sort_block_merge_config_selectorIyyEEZZNS1_27merge_sort_block_merge_implIS3_N6thrust23THRUST_200600_302600_NS6detail15normal_iteratorINS8_10device_ptrIyEEEESD_jNS1_19radix_merge_compareILb0ELb1EyNS0_19identity_decomposerEEEEE10hipError_tT0_T1_T2_jT3_P12ihipStream_tbPNSt15iterator_traitsISI_E10value_typeEPNSO_ISJ_E10value_typeEPSK_NS1_7vsmem_tEENKUlT_SI_SJ_SK_E_clISD_PySD_S10_EESH_SX_SI_SJ_SK_EUlSX_E1_NS1_11comp_targetILNS1_3genE10ELNS1_11target_archE1201ELNS1_3gpuE5ELNS1_3repE0EEENS1_36merge_oddeven_config_static_selectorELNS0_4arch9wavefront6targetE1EEEvSJ_,comdat
	.protected	_ZN7rocprim17ROCPRIM_400000_NS6detail17trampoline_kernelINS0_14default_configENS1_38merge_sort_block_merge_config_selectorIyyEEZZNS1_27merge_sort_block_merge_implIS3_N6thrust23THRUST_200600_302600_NS6detail15normal_iteratorINS8_10device_ptrIyEEEESD_jNS1_19radix_merge_compareILb0ELb1EyNS0_19identity_decomposerEEEEE10hipError_tT0_T1_T2_jT3_P12ihipStream_tbPNSt15iterator_traitsISI_E10value_typeEPNSO_ISJ_E10value_typeEPSK_NS1_7vsmem_tEENKUlT_SI_SJ_SK_E_clISD_PySD_S10_EESH_SX_SI_SJ_SK_EUlSX_E1_NS1_11comp_targetILNS1_3genE10ELNS1_11target_archE1201ELNS1_3gpuE5ELNS1_3repE0EEENS1_36merge_oddeven_config_static_selectorELNS0_4arch9wavefront6targetE1EEEvSJ_ ; -- Begin function _ZN7rocprim17ROCPRIM_400000_NS6detail17trampoline_kernelINS0_14default_configENS1_38merge_sort_block_merge_config_selectorIyyEEZZNS1_27merge_sort_block_merge_implIS3_N6thrust23THRUST_200600_302600_NS6detail15normal_iteratorINS8_10device_ptrIyEEEESD_jNS1_19radix_merge_compareILb0ELb1EyNS0_19identity_decomposerEEEEE10hipError_tT0_T1_T2_jT3_P12ihipStream_tbPNSt15iterator_traitsISI_E10value_typeEPNSO_ISJ_E10value_typeEPSK_NS1_7vsmem_tEENKUlT_SI_SJ_SK_E_clISD_PySD_S10_EESH_SX_SI_SJ_SK_EUlSX_E1_NS1_11comp_targetILNS1_3genE10ELNS1_11target_archE1201ELNS1_3gpuE5ELNS1_3repE0EEENS1_36merge_oddeven_config_static_selectorELNS0_4arch9wavefront6targetE1EEEvSJ_
	.globl	_ZN7rocprim17ROCPRIM_400000_NS6detail17trampoline_kernelINS0_14default_configENS1_38merge_sort_block_merge_config_selectorIyyEEZZNS1_27merge_sort_block_merge_implIS3_N6thrust23THRUST_200600_302600_NS6detail15normal_iteratorINS8_10device_ptrIyEEEESD_jNS1_19radix_merge_compareILb0ELb1EyNS0_19identity_decomposerEEEEE10hipError_tT0_T1_T2_jT3_P12ihipStream_tbPNSt15iterator_traitsISI_E10value_typeEPNSO_ISJ_E10value_typeEPSK_NS1_7vsmem_tEENKUlT_SI_SJ_SK_E_clISD_PySD_S10_EESH_SX_SI_SJ_SK_EUlSX_E1_NS1_11comp_targetILNS1_3genE10ELNS1_11target_archE1201ELNS1_3gpuE5ELNS1_3repE0EEENS1_36merge_oddeven_config_static_selectorELNS0_4arch9wavefront6targetE1EEEvSJ_
	.p2align	8
	.type	_ZN7rocprim17ROCPRIM_400000_NS6detail17trampoline_kernelINS0_14default_configENS1_38merge_sort_block_merge_config_selectorIyyEEZZNS1_27merge_sort_block_merge_implIS3_N6thrust23THRUST_200600_302600_NS6detail15normal_iteratorINS8_10device_ptrIyEEEESD_jNS1_19radix_merge_compareILb0ELb1EyNS0_19identity_decomposerEEEEE10hipError_tT0_T1_T2_jT3_P12ihipStream_tbPNSt15iterator_traitsISI_E10value_typeEPNSO_ISJ_E10value_typeEPSK_NS1_7vsmem_tEENKUlT_SI_SJ_SK_E_clISD_PySD_S10_EESH_SX_SI_SJ_SK_EUlSX_E1_NS1_11comp_targetILNS1_3genE10ELNS1_11target_archE1201ELNS1_3gpuE5ELNS1_3repE0EEENS1_36merge_oddeven_config_static_selectorELNS0_4arch9wavefront6targetE1EEEvSJ_,@function
_ZN7rocprim17ROCPRIM_400000_NS6detail17trampoline_kernelINS0_14default_configENS1_38merge_sort_block_merge_config_selectorIyyEEZZNS1_27merge_sort_block_merge_implIS3_N6thrust23THRUST_200600_302600_NS6detail15normal_iteratorINS8_10device_ptrIyEEEESD_jNS1_19radix_merge_compareILb0ELb1EyNS0_19identity_decomposerEEEEE10hipError_tT0_T1_T2_jT3_P12ihipStream_tbPNSt15iterator_traitsISI_E10value_typeEPNSO_ISJ_E10value_typeEPSK_NS1_7vsmem_tEENKUlT_SI_SJ_SK_E_clISD_PySD_S10_EESH_SX_SI_SJ_SK_EUlSX_E1_NS1_11comp_targetILNS1_3genE10ELNS1_11target_archE1201ELNS1_3gpuE5ELNS1_3repE0EEENS1_36merge_oddeven_config_static_selectorELNS0_4arch9wavefront6targetE1EEEvSJ_: ; @_ZN7rocprim17ROCPRIM_400000_NS6detail17trampoline_kernelINS0_14default_configENS1_38merge_sort_block_merge_config_selectorIyyEEZZNS1_27merge_sort_block_merge_implIS3_N6thrust23THRUST_200600_302600_NS6detail15normal_iteratorINS8_10device_ptrIyEEEESD_jNS1_19radix_merge_compareILb0ELb1EyNS0_19identity_decomposerEEEEE10hipError_tT0_T1_T2_jT3_P12ihipStream_tbPNSt15iterator_traitsISI_E10value_typeEPNSO_ISJ_E10value_typeEPSK_NS1_7vsmem_tEENKUlT_SI_SJ_SK_E_clISD_PySD_S10_EESH_SX_SI_SJ_SK_EUlSX_E1_NS1_11comp_targetILNS1_3genE10ELNS1_11target_archE1201ELNS1_3gpuE5ELNS1_3repE0EEENS1_36merge_oddeven_config_static_selectorELNS0_4arch9wavefront6targetE1EEEvSJ_
; %bb.0:
	.section	.rodata,"a",@progbits
	.p2align	6, 0x0
	.amdhsa_kernel _ZN7rocprim17ROCPRIM_400000_NS6detail17trampoline_kernelINS0_14default_configENS1_38merge_sort_block_merge_config_selectorIyyEEZZNS1_27merge_sort_block_merge_implIS3_N6thrust23THRUST_200600_302600_NS6detail15normal_iteratorINS8_10device_ptrIyEEEESD_jNS1_19radix_merge_compareILb0ELb1EyNS0_19identity_decomposerEEEEE10hipError_tT0_T1_T2_jT3_P12ihipStream_tbPNSt15iterator_traitsISI_E10value_typeEPNSO_ISJ_E10value_typeEPSK_NS1_7vsmem_tEENKUlT_SI_SJ_SK_E_clISD_PySD_S10_EESH_SX_SI_SJ_SK_EUlSX_E1_NS1_11comp_targetILNS1_3genE10ELNS1_11target_archE1201ELNS1_3gpuE5ELNS1_3repE0EEENS1_36merge_oddeven_config_static_selectorELNS0_4arch9wavefront6targetE1EEEvSJ_
		.amdhsa_group_segment_fixed_size 0
		.amdhsa_private_segment_fixed_size 0
		.amdhsa_kernarg_size 48
		.amdhsa_user_sgpr_count 2
		.amdhsa_user_sgpr_dispatch_ptr 0
		.amdhsa_user_sgpr_queue_ptr 0
		.amdhsa_user_sgpr_kernarg_segment_ptr 1
		.amdhsa_user_sgpr_dispatch_id 0
		.amdhsa_user_sgpr_kernarg_preload_length 0
		.amdhsa_user_sgpr_kernarg_preload_offset 0
		.amdhsa_user_sgpr_private_segment_size 0
		.amdhsa_uses_dynamic_stack 0
		.amdhsa_enable_private_segment 0
		.amdhsa_system_sgpr_workgroup_id_x 1
		.amdhsa_system_sgpr_workgroup_id_y 0
		.amdhsa_system_sgpr_workgroup_id_z 0
		.amdhsa_system_sgpr_workgroup_info 0
		.amdhsa_system_vgpr_workitem_id 0
		.amdhsa_next_free_vgpr 1
		.amdhsa_next_free_sgpr 0
		.amdhsa_accum_offset 4
		.amdhsa_reserve_vcc 0
		.amdhsa_float_round_mode_32 0
		.amdhsa_float_round_mode_16_64 0
		.amdhsa_float_denorm_mode_32 3
		.amdhsa_float_denorm_mode_16_64 3
		.amdhsa_dx10_clamp 1
		.amdhsa_ieee_mode 1
		.amdhsa_fp16_overflow 0
		.amdhsa_tg_split 0
		.amdhsa_exception_fp_ieee_invalid_op 0
		.amdhsa_exception_fp_denorm_src 0
		.amdhsa_exception_fp_ieee_div_zero 0
		.amdhsa_exception_fp_ieee_overflow 0
		.amdhsa_exception_fp_ieee_underflow 0
		.amdhsa_exception_fp_ieee_inexact 0
		.amdhsa_exception_int_div_zero 0
	.end_amdhsa_kernel
	.section	.text._ZN7rocprim17ROCPRIM_400000_NS6detail17trampoline_kernelINS0_14default_configENS1_38merge_sort_block_merge_config_selectorIyyEEZZNS1_27merge_sort_block_merge_implIS3_N6thrust23THRUST_200600_302600_NS6detail15normal_iteratorINS8_10device_ptrIyEEEESD_jNS1_19radix_merge_compareILb0ELb1EyNS0_19identity_decomposerEEEEE10hipError_tT0_T1_T2_jT3_P12ihipStream_tbPNSt15iterator_traitsISI_E10value_typeEPNSO_ISJ_E10value_typeEPSK_NS1_7vsmem_tEENKUlT_SI_SJ_SK_E_clISD_PySD_S10_EESH_SX_SI_SJ_SK_EUlSX_E1_NS1_11comp_targetILNS1_3genE10ELNS1_11target_archE1201ELNS1_3gpuE5ELNS1_3repE0EEENS1_36merge_oddeven_config_static_selectorELNS0_4arch9wavefront6targetE1EEEvSJ_,"axG",@progbits,_ZN7rocprim17ROCPRIM_400000_NS6detail17trampoline_kernelINS0_14default_configENS1_38merge_sort_block_merge_config_selectorIyyEEZZNS1_27merge_sort_block_merge_implIS3_N6thrust23THRUST_200600_302600_NS6detail15normal_iteratorINS8_10device_ptrIyEEEESD_jNS1_19radix_merge_compareILb0ELb1EyNS0_19identity_decomposerEEEEE10hipError_tT0_T1_T2_jT3_P12ihipStream_tbPNSt15iterator_traitsISI_E10value_typeEPNSO_ISJ_E10value_typeEPSK_NS1_7vsmem_tEENKUlT_SI_SJ_SK_E_clISD_PySD_S10_EESH_SX_SI_SJ_SK_EUlSX_E1_NS1_11comp_targetILNS1_3genE10ELNS1_11target_archE1201ELNS1_3gpuE5ELNS1_3repE0EEENS1_36merge_oddeven_config_static_selectorELNS0_4arch9wavefront6targetE1EEEvSJ_,comdat
.Lfunc_end494:
	.size	_ZN7rocprim17ROCPRIM_400000_NS6detail17trampoline_kernelINS0_14default_configENS1_38merge_sort_block_merge_config_selectorIyyEEZZNS1_27merge_sort_block_merge_implIS3_N6thrust23THRUST_200600_302600_NS6detail15normal_iteratorINS8_10device_ptrIyEEEESD_jNS1_19radix_merge_compareILb0ELb1EyNS0_19identity_decomposerEEEEE10hipError_tT0_T1_T2_jT3_P12ihipStream_tbPNSt15iterator_traitsISI_E10value_typeEPNSO_ISJ_E10value_typeEPSK_NS1_7vsmem_tEENKUlT_SI_SJ_SK_E_clISD_PySD_S10_EESH_SX_SI_SJ_SK_EUlSX_E1_NS1_11comp_targetILNS1_3genE10ELNS1_11target_archE1201ELNS1_3gpuE5ELNS1_3repE0EEENS1_36merge_oddeven_config_static_selectorELNS0_4arch9wavefront6targetE1EEEvSJ_, .Lfunc_end494-_ZN7rocprim17ROCPRIM_400000_NS6detail17trampoline_kernelINS0_14default_configENS1_38merge_sort_block_merge_config_selectorIyyEEZZNS1_27merge_sort_block_merge_implIS3_N6thrust23THRUST_200600_302600_NS6detail15normal_iteratorINS8_10device_ptrIyEEEESD_jNS1_19radix_merge_compareILb0ELb1EyNS0_19identity_decomposerEEEEE10hipError_tT0_T1_T2_jT3_P12ihipStream_tbPNSt15iterator_traitsISI_E10value_typeEPNSO_ISJ_E10value_typeEPSK_NS1_7vsmem_tEENKUlT_SI_SJ_SK_E_clISD_PySD_S10_EESH_SX_SI_SJ_SK_EUlSX_E1_NS1_11comp_targetILNS1_3genE10ELNS1_11target_archE1201ELNS1_3gpuE5ELNS1_3repE0EEENS1_36merge_oddeven_config_static_selectorELNS0_4arch9wavefront6targetE1EEEvSJ_
                                        ; -- End function
	.set _ZN7rocprim17ROCPRIM_400000_NS6detail17trampoline_kernelINS0_14default_configENS1_38merge_sort_block_merge_config_selectorIyyEEZZNS1_27merge_sort_block_merge_implIS3_N6thrust23THRUST_200600_302600_NS6detail15normal_iteratorINS8_10device_ptrIyEEEESD_jNS1_19radix_merge_compareILb0ELb1EyNS0_19identity_decomposerEEEEE10hipError_tT0_T1_T2_jT3_P12ihipStream_tbPNSt15iterator_traitsISI_E10value_typeEPNSO_ISJ_E10value_typeEPSK_NS1_7vsmem_tEENKUlT_SI_SJ_SK_E_clISD_PySD_S10_EESH_SX_SI_SJ_SK_EUlSX_E1_NS1_11comp_targetILNS1_3genE10ELNS1_11target_archE1201ELNS1_3gpuE5ELNS1_3repE0EEENS1_36merge_oddeven_config_static_selectorELNS0_4arch9wavefront6targetE1EEEvSJ_.num_vgpr, 0
	.set _ZN7rocprim17ROCPRIM_400000_NS6detail17trampoline_kernelINS0_14default_configENS1_38merge_sort_block_merge_config_selectorIyyEEZZNS1_27merge_sort_block_merge_implIS3_N6thrust23THRUST_200600_302600_NS6detail15normal_iteratorINS8_10device_ptrIyEEEESD_jNS1_19radix_merge_compareILb0ELb1EyNS0_19identity_decomposerEEEEE10hipError_tT0_T1_T2_jT3_P12ihipStream_tbPNSt15iterator_traitsISI_E10value_typeEPNSO_ISJ_E10value_typeEPSK_NS1_7vsmem_tEENKUlT_SI_SJ_SK_E_clISD_PySD_S10_EESH_SX_SI_SJ_SK_EUlSX_E1_NS1_11comp_targetILNS1_3genE10ELNS1_11target_archE1201ELNS1_3gpuE5ELNS1_3repE0EEENS1_36merge_oddeven_config_static_selectorELNS0_4arch9wavefront6targetE1EEEvSJ_.num_agpr, 0
	.set _ZN7rocprim17ROCPRIM_400000_NS6detail17trampoline_kernelINS0_14default_configENS1_38merge_sort_block_merge_config_selectorIyyEEZZNS1_27merge_sort_block_merge_implIS3_N6thrust23THRUST_200600_302600_NS6detail15normal_iteratorINS8_10device_ptrIyEEEESD_jNS1_19radix_merge_compareILb0ELb1EyNS0_19identity_decomposerEEEEE10hipError_tT0_T1_T2_jT3_P12ihipStream_tbPNSt15iterator_traitsISI_E10value_typeEPNSO_ISJ_E10value_typeEPSK_NS1_7vsmem_tEENKUlT_SI_SJ_SK_E_clISD_PySD_S10_EESH_SX_SI_SJ_SK_EUlSX_E1_NS1_11comp_targetILNS1_3genE10ELNS1_11target_archE1201ELNS1_3gpuE5ELNS1_3repE0EEENS1_36merge_oddeven_config_static_selectorELNS0_4arch9wavefront6targetE1EEEvSJ_.numbered_sgpr, 0
	.set _ZN7rocprim17ROCPRIM_400000_NS6detail17trampoline_kernelINS0_14default_configENS1_38merge_sort_block_merge_config_selectorIyyEEZZNS1_27merge_sort_block_merge_implIS3_N6thrust23THRUST_200600_302600_NS6detail15normal_iteratorINS8_10device_ptrIyEEEESD_jNS1_19radix_merge_compareILb0ELb1EyNS0_19identity_decomposerEEEEE10hipError_tT0_T1_T2_jT3_P12ihipStream_tbPNSt15iterator_traitsISI_E10value_typeEPNSO_ISJ_E10value_typeEPSK_NS1_7vsmem_tEENKUlT_SI_SJ_SK_E_clISD_PySD_S10_EESH_SX_SI_SJ_SK_EUlSX_E1_NS1_11comp_targetILNS1_3genE10ELNS1_11target_archE1201ELNS1_3gpuE5ELNS1_3repE0EEENS1_36merge_oddeven_config_static_selectorELNS0_4arch9wavefront6targetE1EEEvSJ_.num_named_barrier, 0
	.set _ZN7rocprim17ROCPRIM_400000_NS6detail17trampoline_kernelINS0_14default_configENS1_38merge_sort_block_merge_config_selectorIyyEEZZNS1_27merge_sort_block_merge_implIS3_N6thrust23THRUST_200600_302600_NS6detail15normal_iteratorINS8_10device_ptrIyEEEESD_jNS1_19radix_merge_compareILb0ELb1EyNS0_19identity_decomposerEEEEE10hipError_tT0_T1_T2_jT3_P12ihipStream_tbPNSt15iterator_traitsISI_E10value_typeEPNSO_ISJ_E10value_typeEPSK_NS1_7vsmem_tEENKUlT_SI_SJ_SK_E_clISD_PySD_S10_EESH_SX_SI_SJ_SK_EUlSX_E1_NS1_11comp_targetILNS1_3genE10ELNS1_11target_archE1201ELNS1_3gpuE5ELNS1_3repE0EEENS1_36merge_oddeven_config_static_selectorELNS0_4arch9wavefront6targetE1EEEvSJ_.private_seg_size, 0
	.set _ZN7rocprim17ROCPRIM_400000_NS6detail17trampoline_kernelINS0_14default_configENS1_38merge_sort_block_merge_config_selectorIyyEEZZNS1_27merge_sort_block_merge_implIS3_N6thrust23THRUST_200600_302600_NS6detail15normal_iteratorINS8_10device_ptrIyEEEESD_jNS1_19radix_merge_compareILb0ELb1EyNS0_19identity_decomposerEEEEE10hipError_tT0_T1_T2_jT3_P12ihipStream_tbPNSt15iterator_traitsISI_E10value_typeEPNSO_ISJ_E10value_typeEPSK_NS1_7vsmem_tEENKUlT_SI_SJ_SK_E_clISD_PySD_S10_EESH_SX_SI_SJ_SK_EUlSX_E1_NS1_11comp_targetILNS1_3genE10ELNS1_11target_archE1201ELNS1_3gpuE5ELNS1_3repE0EEENS1_36merge_oddeven_config_static_selectorELNS0_4arch9wavefront6targetE1EEEvSJ_.uses_vcc, 0
	.set _ZN7rocprim17ROCPRIM_400000_NS6detail17trampoline_kernelINS0_14default_configENS1_38merge_sort_block_merge_config_selectorIyyEEZZNS1_27merge_sort_block_merge_implIS3_N6thrust23THRUST_200600_302600_NS6detail15normal_iteratorINS8_10device_ptrIyEEEESD_jNS1_19radix_merge_compareILb0ELb1EyNS0_19identity_decomposerEEEEE10hipError_tT0_T1_T2_jT3_P12ihipStream_tbPNSt15iterator_traitsISI_E10value_typeEPNSO_ISJ_E10value_typeEPSK_NS1_7vsmem_tEENKUlT_SI_SJ_SK_E_clISD_PySD_S10_EESH_SX_SI_SJ_SK_EUlSX_E1_NS1_11comp_targetILNS1_3genE10ELNS1_11target_archE1201ELNS1_3gpuE5ELNS1_3repE0EEENS1_36merge_oddeven_config_static_selectorELNS0_4arch9wavefront6targetE1EEEvSJ_.uses_flat_scratch, 0
	.set _ZN7rocprim17ROCPRIM_400000_NS6detail17trampoline_kernelINS0_14default_configENS1_38merge_sort_block_merge_config_selectorIyyEEZZNS1_27merge_sort_block_merge_implIS3_N6thrust23THRUST_200600_302600_NS6detail15normal_iteratorINS8_10device_ptrIyEEEESD_jNS1_19radix_merge_compareILb0ELb1EyNS0_19identity_decomposerEEEEE10hipError_tT0_T1_T2_jT3_P12ihipStream_tbPNSt15iterator_traitsISI_E10value_typeEPNSO_ISJ_E10value_typeEPSK_NS1_7vsmem_tEENKUlT_SI_SJ_SK_E_clISD_PySD_S10_EESH_SX_SI_SJ_SK_EUlSX_E1_NS1_11comp_targetILNS1_3genE10ELNS1_11target_archE1201ELNS1_3gpuE5ELNS1_3repE0EEENS1_36merge_oddeven_config_static_selectorELNS0_4arch9wavefront6targetE1EEEvSJ_.has_dyn_sized_stack, 0
	.set _ZN7rocprim17ROCPRIM_400000_NS6detail17trampoline_kernelINS0_14default_configENS1_38merge_sort_block_merge_config_selectorIyyEEZZNS1_27merge_sort_block_merge_implIS3_N6thrust23THRUST_200600_302600_NS6detail15normal_iteratorINS8_10device_ptrIyEEEESD_jNS1_19radix_merge_compareILb0ELb1EyNS0_19identity_decomposerEEEEE10hipError_tT0_T1_T2_jT3_P12ihipStream_tbPNSt15iterator_traitsISI_E10value_typeEPNSO_ISJ_E10value_typeEPSK_NS1_7vsmem_tEENKUlT_SI_SJ_SK_E_clISD_PySD_S10_EESH_SX_SI_SJ_SK_EUlSX_E1_NS1_11comp_targetILNS1_3genE10ELNS1_11target_archE1201ELNS1_3gpuE5ELNS1_3repE0EEENS1_36merge_oddeven_config_static_selectorELNS0_4arch9wavefront6targetE1EEEvSJ_.has_recursion, 0
	.set _ZN7rocprim17ROCPRIM_400000_NS6detail17trampoline_kernelINS0_14default_configENS1_38merge_sort_block_merge_config_selectorIyyEEZZNS1_27merge_sort_block_merge_implIS3_N6thrust23THRUST_200600_302600_NS6detail15normal_iteratorINS8_10device_ptrIyEEEESD_jNS1_19radix_merge_compareILb0ELb1EyNS0_19identity_decomposerEEEEE10hipError_tT0_T1_T2_jT3_P12ihipStream_tbPNSt15iterator_traitsISI_E10value_typeEPNSO_ISJ_E10value_typeEPSK_NS1_7vsmem_tEENKUlT_SI_SJ_SK_E_clISD_PySD_S10_EESH_SX_SI_SJ_SK_EUlSX_E1_NS1_11comp_targetILNS1_3genE10ELNS1_11target_archE1201ELNS1_3gpuE5ELNS1_3repE0EEENS1_36merge_oddeven_config_static_selectorELNS0_4arch9wavefront6targetE1EEEvSJ_.has_indirect_call, 0
	.section	.AMDGPU.csdata,"",@progbits
; Kernel info:
; codeLenInByte = 0
; TotalNumSgprs: 6
; NumVgprs: 0
; NumAgprs: 0
; TotalNumVgprs: 0
; ScratchSize: 0
; MemoryBound: 0
; FloatMode: 240
; IeeeMode: 1
; LDSByteSize: 0 bytes/workgroup (compile time only)
; SGPRBlocks: 0
; VGPRBlocks: 0
; NumSGPRsForWavesPerEU: 6
; NumVGPRsForWavesPerEU: 1
; AccumOffset: 4
; Occupancy: 8
; WaveLimiterHint : 0
; COMPUTE_PGM_RSRC2:SCRATCH_EN: 0
; COMPUTE_PGM_RSRC2:USER_SGPR: 2
; COMPUTE_PGM_RSRC2:TRAP_HANDLER: 0
; COMPUTE_PGM_RSRC2:TGID_X_EN: 1
; COMPUTE_PGM_RSRC2:TGID_Y_EN: 0
; COMPUTE_PGM_RSRC2:TGID_Z_EN: 0
; COMPUTE_PGM_RSRC2:TIDIG_COMP_CNT: 0
; COMPUTE_PGM_RSRC3_GFX90A:ACCUM_OFFSET: 0
; COMPUTE_PGM_RSRC3_GFX90A:TG_SPLIT: 0
	.section	.text._ZN7rocprim17ROCPRIM_400000_NS6detail17trampoline_kernelINS0_14default_configENS1_38merge_sort_block_merge_config_selectorIyyEEZZNS1_27merge_sort_block_merge_implIS3_N6thrust23THRUST_200600_302600_NS6detail15normal_iteratorINS8_10device_ptrIyEEEESD_jNS1_19radix_merge_compareILb0ELb1EyNS0_19identity_decomposerEEEEE10hipError_tT0_T1_T2_jT3_P12ihipStream_tbPNSt15iterator_traitsISI_E10value_typeEPNSO_ISJ_E10value_typeEPSK_NS1_7vsmem_tEENKUlT_SI_SJ_SK_E_clISD_PySD_S10_EESH_SX_SI_SJ_SK_EUlSX_E1_NS1_11comp_targetILNS1_3genE5ELNS1_11target_archE942ELNS1_3gpuE9ELNS1_3repE0EEENS1_36merge_oddeven_config_static_selectorELNS0_4arch9wavefront6targetE1EEEvSJ_,"axG",@progbits,_ZN7rocprim17ROCPRIM_400000_NS6detail17trampoline_kernelINS0_14default_configENS1_38merge_sort_block_merge_config_selectorIyyEEZZNS1_27merge_sort_block_merge_implIS3_N6thrust23THRUST_200600_302600_NS6detail15normal_iteratorINS8_10device_ptrIyEEEESD_jNS1_19radix_merge_compareILb0ELb1EyNS0_19identity_decomposerEEEEE10hipError_tT0_T1_T2_jT3_P12ihipStream_tbPNSt15iterator_traitsISI_E10value_typeEPNSO_ISJ_E10value_typeEPSK_NS1_7vsmem_tEENKUlT_SI_SJ_SK_E_clISD_PySD_S10_EESH_SX_SI_SJ_SK_EUlSX_E1_NS1_11comp_targetILNS1_3genE5ELNS1_11target_archE942ELNS1_3gpuE9ELNS1_3repE0EEENS1_36merge_oddeven_config_static_selectorELNS0_4arch9wavefront6targetE1EEEvSJ_,comdat
	.protected	_ZN7rocprim17ROCPRIM_400000_NS6detail17trampoline_kernelINS0_14default_configENS1_38merge_sort_block_merge_config_selectorIyyEEZZNS1_27merge_sort_block_merge_implIS3_N6thrust23THRUST_200600_302600_NS6detail15normal_iteratorINS8_10device_ptrIyEEEESD_jNS1_19radix_merge_compareILb0ELb1EyNS0_19identity_decomposerEEEEE10hipError_tT0_T1_T2_jT3_P12ihipStream_tbPNSt15iterator_traitsISI_E10value_typeEPNSO_ISJ_E10value_typeEPSK_NS1_7vsmem_tEENKUlT_SI_SJ_SK_E_clISD_PySD_S10_EESH_SX_SI_SJ_SK_EUlSX_E1_NS1_11comp_targetILNS1_3genE5ELNS1_11target_archE942ELNS1_3gpuE9ELNS1_3repE0EEENS1_36merge_oddeven_config_static_selectorELNS0_4arch9wavefront6targetE1EEEvSJ_ ; -- Begin function _ZN7rocprim17ROCPRIM_400000_NS6detail17trampoline_kernelINS0_14default_configENS1_38merge_sort_block_merge_config_selectorIyyEEZZNS1_27merge_sort_block_merge_implIS3_N6thrust23THRUST_200600_302600_NS6detail15normal_iteratorINS8_10device_ptrIyEEEESD_jNS1_19radix_merge_compareILb0ELb1EyNS0_19identity_decomposerEEEEE10hipError_tT0_T1_T2_jT3_P12ihipStream_tbPNSt15iterator_traitsISI_E10value_typeEPNSO_ISJ_E10value_typeEPSK_NS1_7vsmem_tEENKUlT_SI_SJ_SK_E_clISD_PySD_S10_EESH_SX_SI_SJ_SK_EUlSX_E1_NS1_11comp_targetILNS1_3genE5ELNS1_11target_archE942ELNS1_3gpuE9ELNS1_3repE0EEENS1_36merge_oddeven_config_static_selectorELNS0_4arch9wavefront6targetE1EEEvSJ_
	.globl	_ZN7rocprim17ROCPRIM_400000_NS6detail17trampoline_kernelINS0_14default_configENS1_38merge_sort_block_merge_config_selectorIyyEEZZNS1_27merge_sort_block_merge_implIS3_N6thrust23THRUST_200600_302600_NS6detail15normal_iteratorINS8_10device_ptrIyEEEESD_jNS1_19radix_merge_compareILb0ELb1EyNS0_19identity_decomposerEEEEE10hipError_tT0_T1_T2_jT3_P12ihipStream_tbPNSt15iterator_traitsISI_E10value_typeEPNSO_ISJ_E10value_typeEPSK_NS1_7vsmem_tEENKUlT_SI_SJ_SK_E_clISD_PySD_S10_EESH_SX_SI_SJ_SK_EUlSX_E1_NS1_11comp_targetILNS1_3genE5ELNS1_11target_archE942ELNS1_3gpuE9ELNS1_3repE0EEENS1_36merge_oddeven_config_static_selectorELNS0_4arch9wavefront6targetE1EEEvSJ_
	.p2align	8
	.type	_ZN7rocprim17ROCPRIM_400000_NS6detail17trampoline_kernelINS0_14default_configENS1_38merge_sort_block_merge_config_selectorIyyEEZZNS1_27merge_sort_block_merge_implIS3_N6thrust23THRUST_200600_302600_NS6detail15normal_iteratorINS8_10device_ptrIyEEEESD_jNS1_19radix_merge_compareILb0ELb1EyNS0_19identity_decomposerEEEEE10hipError_tT0_T1_T2_jT3_P12ihipStream_tbPNSt15iterator_traitsISI_E10value_typeEPNSO_ISJ_E10value_typeEPSK_NS1_7vsmem_tEENKUlT_SI_SJ_SK_E_clISD_PySD_S10_EESH_SX_SI_SJ_SK_EUlSX_E1_NS1_11comp_targetILNS1_3genE5ELNS1_11target_archE942ELNS1_3gpuE9ELNS1_3repE0EEENS1_36merge_oddeven_config_static_selectorELNS0_4arch9wavefront6targetE1EEEvSJ_,@function
_ZN7rocprim17ROCPRIM_400000_NS6detail17trampoline_kernelINS0_14default_configENS1_38merge_sort_block_merge_config_selectorIyyEEZZNS1_27merge_sort_block_merge_implIS3_N6thrust23THRUST_200600_302600_NS6detail15normal_iteratorINS8_10device_ptrIyEEEESD_jNS1_19radix_merge_compareILb0ELb1EyNS0_19identity_decomposerEEEEE10hipError_tT0_T1_T2_jT3_P12ihipStream_tbPNSt15iterator_traitsISI_E10value_typeEPNSO_ISJ_E10value_typeEPSK_NS1_7vsmem_tEENKUlT_SI_SJ_SK_E_clISD_PySD_S10_EESH_SX_SI_SJ_SK_EUlSX_E1_NS1_11comp_targetILNS1_3genE5ELNS1_11target_archE942ELNS1_3gpuE9ELNS1_3repE0EEENS1_36merge_oddeven_config_static_selectorELNS0_4arch9wavefront6targetE1EEEvSJ_: ; @_ZN7rocprim17ROCPRIM_400000_NS6detail17trampoline_kernelINS0_14default_configENS1_38merge_sort_block_merge_config_selectorIyyEEZZNS1_27merge_sort_block_merge_implIS3_N6thrust23THRUST_200600_302600_NS6detail15normal_iteratorINS8_10device_ptrIyEEEESD_jNS1_19radix_merge_compareILb0ELb1EyNS0_19identity_decomposerEEEEE10hipError_tT0_T1_T2_jT3_P12ihipStream_tbPNSt15iterator_traitsISI_E10value_typeEPNSO_ISJ_E10value_typeEPSK_NS1_7vsmem_tEENKUlT_SI_SJ_SK_E_clISD_PySD_S10_EESH_SX_SI_SJ_SK_EUlSX_E1_NS1_11comp_targetILNS1_3genE5ELNS1_11target_archE942ELNS1_3gpuE9ELNS1_3repE0EEENS1_36merge_oddeven_config_static_selectorELNS0_4arch9wavefront6targetE1EEEvSJ_
; %bb.0:
	.section	.rodata,"a",@progbits
	.p2align	6, 0x0
	.amdhsa_kernel _ZN7rocprim17ROCPRIM_400000_NS6detail17trampoline_kernelINS0_14default_configENS1_38merge_sort_block_merge_config_selectorIyyEEZZNS1_27merge_sort_block_merge_implIS3_N6thrust23THRUST_200600_302600_NS6detail15normal_iteratorINS8_10device_ptrIyEEEESD_jNS1_19radix_merge_compareILb0ELb1EyNS0_19identity_decomposerEEEEE10hipError_tT0_T1_T2_jT3_P12ihipStream_tbPNSt15iterator_traitsISI_E10value_typeEPNSO_ISJ_E10value_typeEPSK_NS1_7vsmem_tEENKUlT_SI_SJ_SK_E_clISD_PySD_S10_EESH_SX_SI_SJ_SK_EUlSX_E1_NS1_11comp_targetILNS1_3genE5ELNS1_11target_archE942ELNS1_3gpuE9ELNS1_3repE0EEENS1_36merge_oddeven_config_static_selectorELNS0_4arch9wavefront6targetE1EEEvSJ_
		.amdhsa_group_segment_fixed_size 0
		.amdhsa_private_segment_fixed_size 0
		.amdhsa_kernarg_size 48
		.amdhsa_user_sgpr_count 2
		.amdhsa_user_sgpr_dispatch_ptr 0
		.amdhsa_user_sgpr_queue_ptr 0
		.amdhsa_user_sgpr_kernarg_segment_ptr 1
		.amdhsa_user_sgpr_dispatch_id 0
		.amdhsa_user_sgpr_kernarg_preload_length 0
		.amdhsa_user_sgpr_kernarg_preload_offset 0
		.amdhsa_user_sgpr_private_segment_size 0
		.amdhsa_uses_dynamic_stack 0
		.amdhsa_enable_private_segment 0
		.amdhsa_system_sgpr_workgroup_id_x 1
		.amdhsa_system_sgpr_workgroup_id_y 0
		.amdhsa_system_sgpr_workgroup_id_z 0
		.amdhsa_system_sgpr_workgroup_info 0
		.amdhsa_system_vgpr_workitem_id 0
		.amdhsa_next_free_vgpr 1
		.amdhsa_next_free_sgpr 0
		.amdhsa_accum_offset 4
		.amdhsa_reserve_vcc 0
		.amdhsa_float_round_mode_32 0
		.amdhsa_float_round_mode_16_64 0
		.amdhsa_float_denorm_mode_32 3
		.amdhsa_float_denorm_mode_16_64 3
		.amdhsa_dx10_clamp 1
		.amdhsa_ieee_mode 1
		.amdhsa_fp16_overflow 0
		.amdhsa_tg_split 0
		.amdhsa_exception_fp_ieee_invalid_op 0
		.amdhsa_exception_fp_denorm_src 0
		.amdhsa_exception_fp_ieee_div_zero 0
		.amdhsa_exception_fp_ieee_overflow 0
		.amdhsa_exception_fp_ieee_underflow 0
		.amdhsa_exception_fp_ieee_inexact 0
		.amdhsa_exception_int_div_zero 0
	.end_amdhsa_kernel
	.section	.text._ZN7rocprim17ROCPRIM_400000_NS6detail17trampoline_kernelINS0_14default_configENS1_38merge_sort_block_merge_config_selectorIyyEEZZNS1_27merge_sort_block_merge_implIS3_N6thrust23THRUST_200600_302600_NS6detail15normal_iteratorINS8_10device_ptrIyEEEESD_jNS1_19radix_merge_compareILb0ELb1EyNS0_19identity_decomposerEEEEE10hipError_tT0_T1_T2_jT3_P12ihipStream_tbPNSt15iterator_traitsISI_E10value_typeEPNSO_ISJ_E10value_typeEPSK_NS1_7vsmem_tEENKUlT_SI_SJ_SK_E_clISD_PySD_S10_EESH_SX_SI_SJ_SK_EUlSX_E1_NS1_11comp_targetILNS1_3genE5ELNS1_11target_archE942ELNS1_3gpuE9ELNS1_3repE0EEENS1_36merge_oddeven_config_static_selectorELNS0_4arch9wavefront6targetE1EEEvSJ_,"axG",@progbits,_ZN7rocprim17ROCPRIM_400000_NS6detail17trampoline_kernelINS0_14default_configENS1_38merge_sort_block_merge_config_selectorIyyEEZZNS1_27merge_sort_block_merge_implIS3_N6thrust23THRUST_200600_302600_NS6detail15normal_iteratorINS8_10device_ptrIyEEEESD_jNS1_19radix_merge_compareILb0ELb1EyNS0_19identity_decomposerEEEEE10hipError_tT0_T1_T2_jT3_P12ihipStream_tbPNSt15iterator_traitsISI_E10value_typeEPNSO_ISJ_E10value_typeEPSK_NS1_7vsmem_tEENKUlT_SI_SJ_SK_E_clISD_PySD_S10_EESH_SX_SI_SJ_SK_EUlSX_E1_NS1_11comp_targetILNS1_3genE5ELNS1_11target_archE942ELNS1_3gpuE9ELNS1_3repE0EEENS1_36merge_oddeven_config_static_selectorELNS0_4arch9wavefront6targetE1EEEvSJ_,comdat
.Lfunc_end495:
	.size	_ZN7rocprim17ROCPRIM_400000_NS6detail17trampoline_kernelINS0_14default_configENS1_38merge_sort_block_merge_config_selectorIyyEEZZNS1_27merge_sort_block_merge_implIS3_N6thrust23THRUST_200600_302600_NS6detail15normal_iteratorINS8_10device_ptrIyEEEESD_jNS1_19radix_merge_compareILb0ELb1EyNS0_19identity_decomposerEEEEE10hipError_tT0_T1_T2_jT3_P12ihipStream_tbPNSt15iterator_traitsISI_E10value_typeEPNSO_ISJ_E10value_typeEPSK_NS1_7vsmem_tEENKUlT_SI_SJ_SK_E_clISD_PySD_S10_EESH_SX_SI_SJ_SK_EUlSX_E1_NS1_11comp_targetILNS1_3genE5ELNS1_11target_archE942ELNS1_3gpuE9ELNS1_3repE0EEENS1_36merge_oddeven_config_static_selectorELNS0_4arch9wavefront6targetE1EEEvSJ_, .Lfunc_end495-_ZN7rocprim17ROCPRIM_400000_NS6detail17trampoline_kernelINS0_14default_configENS1_38merge_sort_block_merge_config_selectorIyyEEZZNS1_27merge_sort_block_merge_implIS3_N6thrust23THRUST_200600_302600_NS6detail15normal_iteratorINS8_10device_ptrIyEEEESD_jNS1_19radix_merge_compareILb0ELb1EyNS0_19identity_decomposerEEEEE10hipError_tT0_T1_T2_jT3_P12ihipStream_tbPNSt15iterator_traitsISI_E10value_typeEPNSO_ISJ_E10value_typeEPSK_NS1_7vsmem_tEENKUlT_SI_SJ_SK_E_clISD_PySD_S10_EESH_SX_SI_SJ_SK_EUlSX_E1_NS1_11comp_targetILNS1_3genE5ELNS1_11target_archE942ELNS1_3gpuE9ELNS1_3repE0EEENS1_36merge_oddeven_config_static_selectorELNS0_4arch9wavefront6targetE1EEEvSJ_
                                        ; -- End function
	.set _ZN7rocprim17ROCPRIM_400000_NS6detail17trampoline_kernelINS0_14default_configENS1_38merge_sort_block_merge_config_selectorIyyEEZZNS1_27merge_sort_block_merge_implIS3_N6thrust23THRUST_200600_302600_NS6detail15normal_iteratorINS8_10device_ptrIyEEEESD_jNS1_19radix_merge_compareILb0ELb1EyNS0_19identity_decomposerEEEEE10hipError_tT0_T1_T2_jT3_P12ihipStream_tbPNSt15iterator_traitsISI_E10value_typeEPNSO_ISJ_E10value_typeEPSK_NS1_7vsmem_tEENKUlT_SI_SJ_SK_E_clISD_PySD_S10_EESH_SX_SI_SJ_SK_EUlSX_E1_NS1_11comp_targetILNS1_3genE5ELNS1_11target_archE942ELNS1_3gpuE9ELNS1_3repE0EEENS1_36merge_oddeven_config_static_selectorELNS0_4arch9wavefront6targetE1EEEvSJ_.num_vgpr, 0
	.set _ZN7rocprim17ROCPRIM_400000_NS6detail17trampoline_kernelINS0_14default_configENS1_38merge_sort_block_merge_config_selectorIyyEEZZNS1_27merge_sort_block_merge_implIS3_N6thrust23THRUST_200600_302600_NS6detail15normal_iteratorINS8_10device_ptrIyEEEESD_jNS1_19radix_merge_compareILb0ELb1EyNS0_19identity_decomposerEEEEE10hipError_tT0_T1_T2_jT3_P12ihipStream_tbPNSt15iterator_traitsISI_E10value_typeEPNSO_ISJ_E10value_typeEPSK_NS1_7vsmem_tEENKUlT_SI_SJ_SK_E_clISD_PySD_S10_EESH_SX_SI_SJ_SK_EUlSX_E1_NS1_11comp_targetILNS1_3genE5ELNS1_11target_archE942ELNS1_3gpuE9ELNS1_3repE0EEENS1_36merge_oddeven_config_static_selectorELNS0_4arch9wavefront6targetE1EEEvSJ_.num_agpr, 0
	.set _ZN7rocprim17ROCPRIM_400000_NS6detail17trampoline_kernelINS0_14default_configENS1_38merge_sort_block_merge_config_selectorIyyEEZZNS1_27merge_sort_block_merge_implIS3_N6thrust23THRUST_200600_302600_NS6detail15normal_iteratorINS8_10device_ptrIyEEEESD_jNS1_19radix_merge_compareILb0ELb1EyNS0_19identity_decomposerEEEEE10hipError_tT0_T1_T2_jT3_P12ihipStream_tbPNSt15iterator_traitsISI_E10value_typeEPNSO_ISJ_E10value_typeEPSK_NS1_7vsmem_tEENKUlT_SI_SJ_SK_E_clISD_PySD_S10_EESH_SX_SI_SJ_SK_EUlSX_E1_NS1_11comp_targetILNS1_3genE5ELNS1_11target_archE942ELNS1_3gpuE9ELNS1_3repE0EEENS1_36merge_oddeven_config_static_selectorELNS0_4arch9wavefront6targetE1EEEvSJ_.numbered_sgpr, 0
	.set _ZN7rocprim17ROCPRIM_400000_NS6detail17trampoline_kernelINS0_14default_configENS1_38merge_sort_block_merge_config_selectorIyyEEZZNS1_27merge_sort_block_merge_implIS3_N6thrust23THRUST_200600_302600_NS6detail15normal_iteratorINS8_10device_ptrIyEEEESD_jNS1_19radix_merge_compareILb0ELb1EyNS0_19identity_decomposerEEEEE10hipError_tT0_T1_T2_jT3_P12ihipStream_tbPNSt15iterator_traitsISI_E10value_typeEPNSO_ISJ_E10value_typeEPSK_NS1_7vsmem_tEENKUlT_SI_SJ_SK_E_clISD_PySD_S10_EESH_SX_SI_SJ_SK_EUlSX_E1_NS1_11comp_targetILNS1_3genE5ELNS1_11target_archE942ELNS1_3gpuE9ELNS1_3repE0EEENS1_36merge_oddeven_config_static_selectorELNS0_4arch9wavefront6targetE1EEEvSJ_.num_named_barrier, 0
	.set _ZN7rocprim17ROCPRIM_400000_NS6detail17trampoline_kernelINS0_14default_configENS1_38merge_sort_block_merge_config_selectorIyyEEZZNS1_27merge_sort_block_merge_implIS3_N6thrust23THRUST_200600_302600_NS6detail15normal_iteratorINS8_10device_ptrIyEEEESD_jNS1_19radix_merge_compareILb0ELb1EyNS0_19identity_decomposerEEEEE10hipError_tT0_T1_T2_jT3_P12ihipStream_tbPNSt15iterator_traitsISI_E10value_typeEPNSO_ISJ_E10value_typeEPSK_NS1_7vsmem_tEENKUlT_SI_SJ_SK_E_clISD_PySD_S10_EESH_SX_SI_SJ_SK_EUlSX_E1_NS1_11comp_targetILNS1_3genE5ELNS1_11target_archE942ELNS1_3gpuE9ELNS1_3repE0EEENS1_36merge_oddeven_config_static_selectorELNS0_4arch9wavefront6targetE1EEEvSJ_.private_seg_size, 0
	.set _ZN7rocprim17ROCPRIM_400000_NS6detail17trampoline_kernelINS0_14default_configENS1_38merge_sort_block_merge_config_selectorIyyEEZZNS1_27merge_sort_block_merge_implIS3_N6thrust23THRUST_200600_302600_NS6detail15normal_iteratorINS8_10device_ptrIyEEEESD_jNS1_19radix_merge_compareILb0ELb1EyNS0_19identity_decomposerEEEEE10hipError_tT0_T1_T2_jT3_P12ihipStream_tbPNSt15iterator_traitsISI_E10value_typeEPNSO_ISJ_E10value_typeEPSK_NS1_7vsmem_tEENKUlT_SI_SJ_SK_E_clISD_PySD_S10_EESH_SX_SI_SJ_SK_EUlSX_E1_NS1_11comp_targetILNS1_3genE5ELNS1_11target_archE942ELNS1_3gpuE9ELNS1_3repE0EEENS1_36merge_oddeven_config_static_selectorELNS0_4arch9wavefront6targetE1EEEvSJ_.uses_vcc, 0
	.set _ZN7rocprim17ROCPRIM_400000_NS6detail17trampoline_kernelINS0_14default_configENS1_38merge_sort_block_merge_config_selectorIyyEEZZNS1_27merge_sort_block_merge_implIS3_N6thrust23THRUST_200600_302600_NS6detail15normal_iteratorINS8_10device_ptrIyEEEESD_jNS1_19radix_merge_compareILb0ELb1EyNS0_19identity_decomposerEEEEE10hipError_tT0_T1_T2_jT3_P12ihipStream_tbPNSt15iterator_traitsISI_E10value_typeEPNSO_ISJ_E10value_typeEPSK_NS1_7vsmem_tEENKUlT_SI_SJ_SK_E_clISD_PySD_S10_EESH_SX_SI_SJ_SK_EUlSX_E1_NS1_11comp_targetILNS1_3genE5ELNS1_11target_archE942ELNS1_3gpuE9ELNS1_3repE0EEENS1_36merge_oddeven_config_static_selectorELNS0_4arch9wavefront6targetE1EEEvSJ_.uses_flat_scratch, 0
	.set _ZN7rocprim17ROCPRIM_400000_NS6detail17trampoline_kernelINS0_14default_configENS1_38merge_sort_block_merge_config_selectorIyyEEZZNS1_27merge_sort_block_merge_implIS3_N6thrust23THRUST_200600_302600_NS6detail15normal_iteratorINS8_10device_ptrIyEEEESD_jNS1_19radix_merge_compareILb0ELb1EyNS0_19identity_decomposerEEEEE10hipError_tT0_T1_T2_jT3_P12ihipStream_tbPNSt15iterator_traitsISI_E10value_typeEPNSO_ISJ_E10value_typeEPSK_NS1_7vsmem_tEENKUlT_SI_SJ_SK_E_clISD_PySD_S10_EESH_SX_SI_SJ_SK_EUlSX_E1_NS1_11comp_targetILNS1_3genE5ELNS1_11target_archE942ELNS1_3gpuE9ELNS1_3repE0EEENS1_36merge_oddeven_config_static_selectorELNS0_4arch9wavefront6targetE1EEEvSJ_.has_dyn_sized_stack, 0
	.set _ZN7rocprim17ROCPRIM_400000_NS6detail17trampoline_kernelINS0_14default_configENS1_38merge_sort_block_merge_config_selectorIyyEEZZNS1_27merge_sort_block_merge_implIS3_N6thrust23THRUST_200600_302600_NS6detail15normal_iteratorINS8_10device_ptrIyEEEESD_jNS1_19radix_merge_compareILb0ELb1EyNS0_19identity_decomposerEEEEE10hipError_tT0_T1_T2_jT3_P12ihipStream_tbPNSt15iterator_traitsISI_E10value_typeEPNSO_ISJ_E10value_typeEPSK_NS1_7vsmem_tEENKUlT_SI_SJ_SK_E_clISD_PySD_S10_EESH_SX_SI_SJ_SK_EUlSX_E1_NS1_11comp_targetILNS1_3genE5ELNS1_11target_archE942ELNS1_3gpuE9ELNS1_3repE0EEENS1_36merge_oddeven_config_static_selectorELNS0_4arch9wavefront6targetE1EEEvSJ_.has_recursion, 0
	.set _ZN7rocprim17ROCPRIM_400000_NS6detail17trampoline_kernelINS0_14default_configENS1_38merge_sort_block_merge_config_selectorIyyEEZZNS1_27merge_sort_block_merge_implIS3_N6thrust23THRUST_200600_302600_NS6detail15normal_iteratorINS8_10device_ptrIyEEEESD_jNS1_19radix_merge_compareILb0ELb1EyNS0_19identity_decomposerEEEEE10hipError_tT0_T1_T2_jT3_P12ihipStream_tbPNSt15iterator_traitsISI_E10value_typeEPNSO_ISJ_E10value_typeEPSK_NS1_7vsmem_tEENKUlT_SI_SJ_SK_E_clISD_PySD_S10_EESH_SX_SI_SJ_SK_EUlSX_E1_NS1_11comp_targetILNS1_3genE5ELNS1_11target_archE942ELNS1_3gpuE9ELNS1_3repE0EEENS1_36merge_oddeven_config_static_selectorELNS0_4arch9wavefront6targetE1EEEvSJ_.has_indirect_call, 0
	.section	.AMDGPU.csdata,"",@progbits
; Kernel info:
; codeLenInByte = 0
; TotalNumSgprs: 6
; NumVgprs: 0
; NumAgprs: 0
; TotalNumVgprs: 0
; ScratchSize: 0
; MemoryBound: 0
; FloatMode: 240
; IeeeMode: 1
; LDSByteSize: 0 bytes/workgroup (compile time only)
; SGPRBlocks: 0
; VGPRBlocks: 0
; NumSGPRsForWavesPerEU: 6
; NumVGPRsForWavesPerEU: 1
; AccumOffset: 4
; Occupancy: 8
; WaveLimiterHint : 0
; COMPUTE_PGM_RSRC2:SCRATCH_EN: 0
; COMPUTE_PGM_RSRC2:USER_SGPR: 2
; COMPUTE_PGM_RSRC2:TRAP_HANDLER: 0
; COMPUTE_PGM_RSRC2:TGID_X_EN: 1
; COMPUTE_PGM_RSRC2:TGID_Y_EN: 0
; COMPUTE_PGM_RSRC2:TGID_Z_EN: 0
; COMPUTE_PGM_RSRC2:TIDIG_COMP_CNT: 0
; COMPUTE_PGM_RSRC3_GFX90A:ACCUM_OFFSET: 0
; COMPUTE_PGM_RSRC3_GFX90A:TG_SPLIT: 0
	.section	.text._ZN7rocprim17ROCPRIM_400000_NS6detail17trampoline_kernelINS0_14default_configENS1_38merge_sort_block_merge_config_selectorIyyEEZZNS1_27merge_sort_block_merge_implIS3_N6thrust23THRUST_200600_302600_NS6detail15normal_iteratorINS8_10device_ptrIyEEEESD_jNS1_19radix_merge_compareILb0ELb1EyNS0_19identity_decomposerEEEEE10hipError_tT0_T1_T2_jT3_P12ihipStream_tbPNSt15iterator_traitsISI_E10value_typeEPNSO_ISJ_E10value_typeEPSK_NS1_7vsmem_tEENKUlT_SI_SJ_SK_E_clISD_PySD_S10_EESH_SX_SI_SJ_SK_EUlSX_E1_NS1_11comp_targetILNS1_3genE4ELNS1_11target_archE910ELNS1_3gpuE8ELNS1_3repE0EEENS1_36merge_oddeven_config_static_selectorELNS0_4arch9wavefront6targetE1EEEvSJ_,"axG",@progbits,_ZN7rocprim17ROCPRIM_400000_NS6detail17trampoline_kernelINS0_14default_configENS1_38merge_sort_block_merge_config_selectorIyyEEZZNS1_27merge_sort_block_merge_implIS3_N6thrust23THRUST_200600_302600_NS6detail15normal_iteratorINS8_10device_ptrIyEEEESD_jNS1_19radix_merge_compareILb0ELb1EyNS0_19identity_decomposerEEEEE10hipError_tT0_T1_T2_jT3_P12ihipStream_tbPNSt15iterator_traitsISI_E10value_typeEPNSO_ISJ_E10value_typeEPSK_NS1_7vsmem_tEENKUlT_SI_SJ_SK_E_clISD_PySD_S10_EESH_SX_SI_SJ_SK_EUlSX_E1_NS1_11comp_targetILNS1_3genE4ELNS1_11target_archE910ELNS1_3gpuE8ELNS1_3repE0EEENS1_36merge_oddeven_config_static_selectorELNS0_4arch9wavefront6targetE1EEEvSJ_,comdat
	.protected	_ZN7rocprim17ROCPRIM_400000_NS6detail17trampoline_kernelINS0_14default_configENS1_38merge_sort_block_merge_config_selectorIyyEEZZNS1_27merge_sort_block_merge_implIS3_N6thrust23THRUST_200600_302600_NS6detail15normal_iteratorINS8_10device_ptrIyEEEESD_jNS1_19radix_merge_compareILb0ELb1EyNS0_19identity_decomposerEEEEE10hipError_tT0_T1_T2_jT3_P12ihipStream_tbPNSt15iterator_traitsISI_E10value_typeEPNSO_ISJ_E10value_typeEPSK_NS1_7vsmem_tEENKUlT_SI_SJ_SK_E_clISD_PySD_S10_EESH_SX_SI_SJ_SK_EUlSX_E1_NS1_11comp_targetILNS1_3genE4ELNS1_11target_archE910ELNS1_3gpuE8ELNS1_3repE0EEENS1_36merge_oddeven_config_static_selectorELNS0_4arch9wavefront6targetE1EEEvSJ_ ; -- Begin function _ZN7rocprim17ROCPRIM_400000_NS6detail17trampoline_kernelINS0_14default_configENS1_38merge_sort_block_merge_config_selectorIyyEEZZNS1_27merge_sort_block_merge_implIS3_N6thrust23THRUST_200600_302600_NS6detail15normal_iteratorINS8_10device_ptrIyEEEESD_jNS1_19radix_merge_compareILb0ELb1EyNS0_19identity_decomposerEEEEE10hipError_tT0_T1_T2_jT3_P12ihipStream_tbPNSt15iterator_traitsISI_E10value_typeEPNSO_ISJ_E10value_typeEPSK_NS1_7vsmem_tEENKUlT_SI_SJ_SK_E_clISD_PySD_S10_EESH_SX_SI_SJ_SK_EUlSX_E1_NS1_11comp_targetILNS1_3genE4ELNS1_11target_archE910ELNS1_3gpuE8ELNS1_3repE0EEENS1_36merge_oddeven_config_static_selectorELNS0_4arch9wavefront6targetE1EEEvSJ_
	.globl	_ZN7rocprim17ROCPRIM_400000_NS6detail17trampoline_kernelINS0_14default_configENS1_38merge_sort_block_merge_config_selectorIyyEEZZNS1_27merge_sort_block_merge_implIS3_N6thrust23THRUST_200600_302600_NS6detail15normal_iteratorINS8_10device_ptrIyEEEESD_jNS1_19radix_merge_compareILb0ELb1EyNS0_19identity_decomposerEEEEE10hipError_tT0_T1_T2_jT3_P12ihipStream_tbPNSt15iterator_traitsISI_E10value_typeEPNSO_ISJ_E10value_typeEPSK_NS1_7vsmem_tEENKUlT_SI_SJ_SK_E_clISD_PySD_S10_EESH_SX_SI_SJ_SK_EUlSX_E1_NS1_11comp_targetILNS1_3genE4ELNS1_11target_archE910ELNS1_3gpuE8ELNS1_3repE0EEENS1_36merge_oddeven_config_static_selectorELNS0_4arch9wavefront6targetE1EEEvSJ_
	.p2align	8
	.type	_ZN7rocprim17ROCPRIM_400000_NS6detail17trampoline_kernelINS0_14default_configENS1_38merge_sort_block_merge_config_selectorIyyEEZZNS1_27merge_sort_block_merge_implIS3_N6thrust23THRUST_200600_302600_NS6detail15normal_iteratorINS8_10device_ptrIyEEEESD_jNS1_19radix_merge_compareILb0ELb1EyNS0_19identity_decomposerEEEEE10hipError_tT0_T1_T2_jT3_P12ihipStream_tbPNSt15iterator_traitsISI_E10value_typeEPNSO_ISJ_E10value_typeEPSK_NS1_7vsmem_tEENKUlT_SI_SJ_SK_E_clISD_PySD_S10_EESH_SX_SI_SJ_SK_EUlSX_E1_NS1_11comp_targetILNS1_3genE4ELNS1_11target_archE910ELNS1_3gpuE8ELNS1_3repE0EEENS1_36merge_oddeven_config_static_selectorELNS0_4arch9wavefront6targetE1EEEvSJ_,@function
_ZN7rocprim17ROCPRIM_400000_NS6detail17trampoline_kernelINS0_14default_configENS1_38merge_sort_block_merge_config_selectorIyyEEZZNS1_27merge_sort_block_merge_implIS3_N6thrust23THRUST_200600_302600_NS6detail15normal_iteratorINS8_10device_ptrIyEEEESD_jNS1_19radix_merge_compareILb0ELb1EyNS0_19identity_decomposerEEEEE10hipError_tT0_T1_T2_jT3_P12ihipStream_tbPNSt15iterator_traitsISI_E10value_typeEPNSO_ISJ_E10value_typeEPSK_NS1_7vsmem_tEENKUlT_SI_SJ_SK_E_clISD_PySD_S10_EESH_SX_SI_SJ_SK_EUlSX_E1_NS1_11comp_targetILNS1_3genE4ELNS1_11target_archE910ELNS1_3gpuE8ELNS1_3repE0EEENS1_36merge_oddeven_config_static_selectorELNS0_4arch9wavefront6targetE1EEEvSJ_: ; @_ZN7rocprim17ROCPRIM_400000_NS6detail17trampoline_kernelINS0_14default_configENS1_38merge_sort_block_merge_config_selectorIyyEEZZNS1_27merge_sort_block_merge_implIS3_N6thrust23THRUST_200600_302600_NS6detail15normal_iteratorINS8_10device_ptrIyEEEESD_jNS1_19radix_merge_compareILb0ELb1EyNS0_19identity_decomposerEEEEE10hipError_tT0_T1_T2_jT3_P12ihipStream_tbPNSt15iterator_traitsISI_E10value_typeEPNSO_ISJ_E10value_typeEPSK_NS1_7vsmem_tEENKUlT_SI_SJ_SK_E_clISD_PySD_S10_EESH_SX_SI_SJ_SK_EUlSX_E1_NS1_11comp_targetILNS1_3genE4ELNS1_11target_archE910ELNS1_3gpuE8ELNS1_3repE0EEENS1_36merge_oddeven_config_static_selectorELNS0_4arch9wavefront6targetE1EEEvSJ_
; %bb.0:
	.section	.rodata,"a",@progbits
	.p2align	6, 0x0
	.amdhsa_kernel _ZN7rocprim17ROCPRIM_400000_NS6detail17trampoline_kernelINS0_14default_configENS1_38merge_sort_block_merge_config_selectorIyyEEZZNS1_27merge_sort_block_merge_implIS3_N6thrust23THRUST_200600_302600_NS6detail15normal_iteratorINS8_10device_ptrIyEEEESD_jNS1_19radix_merge_compareILb0ELb1EyNS0_19identity_decomposerEEEEE10hipError_tT0_T1_T2_jT3_P12ihipStream_tbPNSt15iterator_traitsISI_E10value_typeEPNSO_ISJ_E10value_typeEPSK_NS1_7vsmem_tEENKUlT_SI_SJ_SK_E_clISD_PySD_S10_EESH_SX_SI_SJ_SK_EUlSX_E1_NS1_11comp_targetILNS1_3genE4ELNS1_11target_archE910ELNS1_3gpuE8ELNS1_3repE0EEENS1_36merge_oddeven_config_static_selectorELNS0_4arch9wavefront6targetE1EEEvSJ_
		.amdhsa_group_segment_fixed_size 0
		.amdhsa_private_segment_fixed_size 0
		.amdhsa_kernarg_size 48
		.amdhsa_user_sgpr_count 2
		.amdhsa_user_sgpr_dispatch_ptr 0
		.amdhsa_user_sgpr_queue_ptr 0
		.amdhsa_user_sgpr_kernarg_segment_ptr 1
		.amdhsa_user_sgpr_dispatch_id 0
		.amdhsa_user_sgpr_kernarg_preload_length 0
		.amdhsa_user_sgpr_kernarg_preload_offset 0
		.amdhsa_user_sgpr_private_segment_size 0
		.amdhsa_uses_dynamic_stack 0
		.amdhsa_enable_private_segment 0
		.amdhsa_system_sgpr_workgroup_id_x 1
		.amdhsa_system_sgpr_workgroup_id_y 0
		.amdhsa_system_sgpr_workgroup_id_z 0
		.amdhsa_system_sgpr_workgroup_info 0
		.amdhsa_system_vgpr_workitem_id 0
		.amdhsa_next_free_vgpr 1
		.amdhsa_next_free_sgpr 0
		.amdhsa_accum_offset 4
		.amdhsa_reserve_vcc 0
		.amdhsa_float_round_mode_32 0
		.amdhsa_float_round_mode_16_64 0
		.amdhsa_float_denorm_mode_32 3
		.amdhsa_float_denorm_mode_16_64 3
		.amdhsa_dx10_clamp 1
		.amdhsa_ieee_mode 1
		.amdhsa_fp16_overflow 0
		.amdhsa_tg_split 0
		.amdhsa_exception_fp_ieee_invalid_op 0
		.amdhsa_exception_fp_denorm_src 0
		.amdhsa_exception_fp_ieee_div_zero 0
		.amdhsa_exception_fp_ieee_overflow 0
		.amdhsa_exception_fp_ieee_underflow 0
		.amdhsa_exception_fp_ieee_inexact 0
		.amdhsa_exception_int_div_zero 0
	.end_amdhsa_kernel
	.section	.text._ZN7rocprim17ROCPRIM_400000_NS6detail17trampoline_kernelINS0_14default_configENS1_38merge_sort_block_merge_config_selectorIyyEEZZNS1_27merge_sort_block_merge_implIS3_N6thrust23THRUST_200600_302600_NS6detail15normal_iteratorINS8_10device_ptrIyEEEESD_jNS1_19radix_merge_compareILb0ELb1EyNS0_19identity_decomposerEEEEE10hipError_tT0_T1_T2_jT3_P12ihipStream_tbPNSt15iterator_traitsISI_E10value_typeEPNSO_ISJ_E10value_typeEPSK_NS1_7vsmem_tEENKUlT_SI_SJ_SK_E_clISD_PySD_S10_EESH_SX_SI_SJ_SK_EUlSX_E1_NS1_11comp_targetILNS1_3genE4ELNS1_11target_archE910ELNS1_3gpuE8ELNS1_3repE0EEENS1_36merge_oddeven_config_static_selectorELNS0_4arch9wavefront6targetE1EEEvSJ_,"axG",@progbits,_ZN7rocprim17ROCPRIM_400000_NS6detail17trampoline_kernelINS0_14default_configENS1_38merge_sort_block_merge_config_selectorIyyEEZZNS1_27merge_sort_block_merge_implIS3_N6thrust23THRUST_200600_302600_NS6detail15normal_iteratorINS8_10device_ptrIyEEEESD_jNS1_19radix_merge_compareILb0ELb1EyNS0_19identity_decomposerEEEEE10hipError_tT0_T1_T2_jT3_P12ihipStream_tbPNSt15iterator_traitsISI_E10value_typeEPNSO_ISJ_E10value_typeEPSK_NS1_7vsmem_tEENKUlT_SI_SJ_SK_E_clISD_PySD_S10_EESH_SX_SI_SJ_SK_EUlSX_E1_NS1_11comp_targetILNS1_3genE4ELNS1_11target_archE910ELNS1_3gpuE8ELNS1_3repE0EEENS1_36merge_oddeven_config_static_selectorELNS0_4arch9wavefront6targetE1EEEvSJ_,comdat
.Lfunc_end496:
	.size	_ZN7rocprim17ROCPRIM_400000_NS6detail17trampoline_kernelINS0_14default_configENS1_38merge_sort_block_merge_config_selectorIyyEEZZNS1_27merge_sort_block_merge_implIS3_N6thrust23THRUST_200600_302600_NS6detail15normal_iteratorINS8_10device_ptrIyEEEESD_jNS1_19radix_merge_compareILb0ELb1EyNS0_19identity_decomposerEEEEE10hipError_tT0_T1_T2_jT3_P12ihipStream_tbPNSt15iterator_traitsISI_E10value_typeEPNSO_ISJ_E10value_typeEPSK_NS1_7vsmem_tEENKUlT_SI_SJ_SK_E_clISD_PySD_S10_EESH_SX_SI_SJ_SK_EUlSX_E1_NS1_11comp_targetILNS1_3genE4ELNS1_11target_archE910ELNS1_3gpuE8ELNS1_3repE0EEENS1_36merge_oddeven_config_static_selectorELNS0_4arch9wavefront6targetE1EEEvSJ_, .Lfunc_end496-_ZN7rocprim17ROCPRIM_400000_NS6detail17trampoline_kernelINS0_14default_configENS1_38merge_sort_block_merge_config_selectorIyyEEZZNS1_27merge_sort_block_merge_implIS3_N6thrust23THRUST_200600_302600_NS6detail15normal_iteratorINS8_10device_ptrIyEEEESD_jNS1_19radix_merge_compareILb0ELb1EyNS0_19identity_decomposerEEEEE10hipError_tT0_T1_T2_jT3_P12ihipStream_tbPNSt15iterator_traitsISI_E10value_typeEPNSO_ISJ_E10value_typeEPSK_NS1_7vsmem_tEENKUlT_SI_SJ_SK_E_clISD_PySD_S10_EESH_SX_SI_SJ_SK_EUlSX_E1_NS1_11comp_targetILNS1_3genE4ELNS1_11target_archE910ELNS1_3gpuE8ELNS1_3repE0EEENS1_36merge_oddeven_config_static_selectorELNS0_4arch9wavefront6targetE1EEEvSJ_
                                        ; -- End function
	.set _ZN7rocprim17ROCPRIM_400000_NS6detail17trampoline_kernelINS0_14default_configENS1_38merge_sort_block_merge_config_selectorIyyEEZZNS1_27merge_sort_block_merge_implIS3_N6thrust23THRUST_200600_302600_NS6detail15normal_iteratorINS8_10device_ptrIyEEEESD_jNS1_19radix_merge_compareILb0ELb1EyNS0_19identity_decomposerEEEEE10hipError_tT0_T1_T2_jT3_P12ihipStream_tbPNSt15iterator_traitsISI_E10value_typeEPNSO_ISJ_E10value_typeEPSK_NS1_7vsmem_tEENKUlT_SI_SJ_SK_E_clISD_PySD_S10_EESH_SX_SI_SJ_SK_EUlSX_E1_NS1_11comp_targetILNS1_3genE4ELNS1_11target_archE910ELNS1_3gpuE8ELNS1_3repE0EEENS1_36merge_oddeven_config_static_selectorELNS0_4arch9wavefront6targetE1EEEvSJ_.num_vgpr, 0
	.set _ZN7rocprim17ROCPRIM_400000_NS6detail17trampoline_kernelINS0_14default_configENS1_38merge_sort_block_merge_config_selectorIyyEEZZNS1_27merge_sort_block_merge_implIS3_N6thrust23THRUST_200600_302600_NS6detail15normal_iteratorINS8_10device_ptrIyEEEESD_jNS1_19radix_merge_compareILb0ELb1EyNS0_19identity_decomposerEEEEE10hipError_tT0_T1_T2_jT3_P12ihipStream_tbPNSt15iterator_traitsISI_E10value_typeEPNSO_ISJ_E10value_typeEPSK_NS1_7vsmem_tEENKUlT_SI_SJ_SK_E_clISD_PySD_S10_EESH_SX_SI_SJ_SK_EUlSX_E1_NS1_11comp_targetILNS1_3genE4ELNS1_11target_archE910ELNS1_3gpuE8ELNS1_3repE0EEENS1_36merge_oddeven_config_static_selectorELNS0_4arch9wavefront6targetE1EEEvSJ_.num_agpr, 0
	.set _ZN7rocprim17ROCPRIM_400000_NS6detail17trampoline_kernelINS0_14default_configENS1_38merge_sort_block_merge_config_selectorIyyEEZZNS1_27merge_sort_block_merge_implIS3_N6thrust23THRUST_200600_302600_NS6detail15normal_iteratorINS8_10device_ptrIyEEEESD_jNS1_19radix_merge_compareILb0ELb1EyNS0_19identity_decomposerEEEEE10hipError_tT0_T1_T2_jT3_P12ihipStream_tbPNSt15iterator_traitsISI_E10value_typeEPNSO_ISJ_E10value_typeEPSK_NS1_7vsmem_tEENKUlT_SI_SJ_SK_E_clISD_PySD_S10_EESH_SX_SI_SJ_SK_EUlSX_E1_NS1_11comp_targetILNS1_3genE4ELNS1_11target_archE910ELNS1_3gpuE8ELNS1_3repE0EEENS1_36merge_oddeven_config_static_selectorELNS0_4arch9wavefront6targetE1EEEvSJ_.numbered_sgpr, 0
	.set _ZN7rocprim17ROCPRIM_400000_NS6detail17trampoline_kernelINS0_14default_configENS1_38merge_sort_block_merge_config_selectorIyyEEZZNS1_27merge_sort_block_merge_implIS3_N6thrust23THRUST_200600_302600_NS6detail15normal_iteratorINS8_10device_ptrIyEEEESD_jNS1_19radix_merge_compareILb0ELb1EyNS0_19identity_decomposerEEEEE10hipError_tT0_T1_T2_jT3_P12ihipStream_tbPNSt15iterator_traitsISI_E10value_typeEPNSO_ISJ_E10value_typeEPSK_NS1_7vsmem_tEENKUlT_SI_SJ_SK_E_clISD_PySD_S10_EESH_SX_SI_SJ_SK_EUlSX_E1_NS1_11comp_targetILNS1_3genE4ELNS1_11target_archE910ELNS1_3gpuE8ELNS1_3repE0EEENS1_36merge_oddeven_config_static_selectorELNS0_4arch9wavefront6targetE1EEEvSJ_.num_named_barrier, 0
	.set _ZN7rocprim17ROCPRIM_400000_NS6detail17trampoline_kernelINS0_14default_configENS1_38merge_sort_block_merge_config_selectorIyyEEZZNS1_27merge_sort_block_merge_implIS3_N6thrust23THRUST_200600_302600_NS6detail15normal_iteratorINS8_10device_ptrIyEEEESD_jNS1_19radix_merge_compareILb0ELb1EyNS0_19identity_decomposerEEEEE10hipError_tT0_T1_T2_jT3_P12ihipStream_tbPNSt15iterator_traitsISI_E10value_typeEPNSO_ISJ_E10value_typeEPSK_NS1_7vsmem_tEENKUlT_SI_SJ_SK_E_clISD_PySD_S10_EESH_SX_SI_SJ_SK_EUlSX_E1_NS1_11comp_targetILNS1_3genE4ELNS1_11target_archE910ELNS1_3gpuE8ELNS1_3repE0EEENS1_36merge_oddeven_config_static_selectorELNS0_4arch9wavefront6targetE1EEEvSJ_.private_seg_size, 0
	.set _ZN7rocprim17ROCPRIM_400000_NS6detail17trampoline_kernelINS0_14default_configENS1_38merge_sort_block_merge_config_selectorIyyEEZZNS1_27merge_sort_block_merge_implIS3_N6thrust23THRUST_200600_302600_NS6detail15normal_iteratorINS8_10device_ptrIyEEEESD_jNS1_19radix_merge_compareILb0ELb1EyNS0_19identity_decomposerEEEEE10hipError_tT0_T1_T2_jT3_P12ihipStream_tbPNSt15iterator_traitsISI_E10value_typeEPNSO_ISJ_E10value_typeEPSK_NS1_7vsmem_tEENKUlT_SI_SJ_SK_E_clISD_PySD_S10_EESH_SX_SI_SJ_SK_EUlSX_E1_NS1_11comp_targetILNS1_3genE4ELNS1_11target_archE910ELNS1_3gpuE8ELNS1_3repE0EEENS1_36merge_oddeven_config_static_selectorELNS0_4arch9wavefront6targetE1EEEvSJ_.uses_vcc, 0
	.set _ZN7rocprim17ROCPRIM_400000_NS6detail17trampoline_kernelINS0_14default_configENS1_38merge_sort_block_merge_config_selectorIyyEEZZNS1_27merge_sort_block_merge_implIS3_N6thrust23THRUST_200600_302600_NS6detail15normal_iteratorINS8_10device_ptrIyEEEESD_jNS1_19radix_merge_compareILb0ELb1EyNS0_19identity_decomposerEEEEE10hipError_tT0_T1_T2_jT3_P12ihipStream_tbPNSt15iterator_traitsISI_E10value_typeEPNSO_ISJ_E10value_typeEPSK_NS1_7vsmem_tEENKUlT_SI_SJ_SK_E_clISD_PySD_S10_EESH_SX_SI_SJ_SK_EUlSX_E1_NS1_11comp_targetILNS1_3genE4ELNS1_11target_archE910ELNS1_3gpuE8ELNS1_3repE0EEENS1_36merge_oddeven_config_static_selectorELNS0_4arch9wavefront6targetE1EEEvSJ_.uses_flat_scratch, 0
	.set _ZN7rocprim17ROCPRIM_400000_NS6detail17trampoline_kernelINS0_14default_configENS1_38merge_sort_block_merge_config_selectorIyyEEZZNS1_27merge_sort_block_merge_implIS3_N6thrust23THRUST_200600_302600_NS6detail15normal_iteratorINS8_10device_ptrIyEEEESD_jNS1_19radix_merge_compareILb0ELb1EyNS0_19identity_decomposerEEEEE10hipError_tT0_T1_T2_jT3_P12ihipStream_tbPNSt15iterator_traitsISI_E10value_typeEPNSO_ISJ_E10value_typeEPSK_NS1_7vsmem_tEENKUlT_SI_SJ_SK_E_clISD_PySD_S10_EESH_SX_SI_SJ_SK_EUlSX_E1_NS1_11comp_targetILNS1_3genE4ELNS1_11target_archE910ELNS1_3gpuE8ELNS1_3repE0EEENS1_36merge_oddeven_config_static_selectorELNS0_4arch9wavefront6targetE1EEEvSJ_.has_dyn_sized_stack, 0
	.set _ZN7rocprim17ROCPRIM_400000_NS6detail17trampoline_kernelINS0_14default_configENS1_38merge_sort_block_merge_config_selectorIyyEEZZNS1_27merge_sort_block_merge_implIS3_N6thrust23THRUST_200600_302600_NS6detail15normal_iteratorINS8_10device_ptrIyEEEESD_jNS1_19radix_merge_compareILb0ELb1EyNS0_19identity_decomposerEEEEE10hipError_tT0_T1_T2_jT3_P12ihipStream_tbPNSt15iterator_traitsISI_E10value_typeEPNSO_ISJ_E10value_typeEPSK_NS1_7vsmem_tEENKUlT_SI_SJ_SK_E_clISD_PySD_S10_EESH_SX_SI_SJ_SK_EUlSX_E1_NS1_11comp_targetILNS1_3genE4ELNS1_11target_archE910ELNS1_3gpuE8ELNS1_3repE0EEENS1_36merge_oddeven_config_static_selectorELNS0_4arch9wavefront6targetE1EEEvSJ_.has_recursion, 0
	.set _ZN7rocprim17ROCPRIM_400000_NS6detail17trampoline_kernelINS0_14default_configENS1_38merge_sort_block_merge_config_selectorIyyEEZZNS1_27merge_sort_block_merge_implIS3_N6thrust23THRUST_200600_302600_NS6detail15normal_iteratorINS8_10device_ptrIyEEEESD_jNS1_19radix_merge_compareILb0ELb1EyNS0_19identity_decomposerEEEEE10hipError_tT0_T1_T2_jT3_P12ihipStream_tbPNSt15iterator_traitsISI_E10value_typeEPNSO_ISJ_E10value_typeEPSK_NS1_7vsmem_tEENKUlT_SI_SJ_SK_E_clISD_PySD_S10_EESH_SX_SI_SJ_SK_EUlSX_E1_NS1_11comp_targetILNS1_3genE4ELNS1_11target_archE910ELNS1_3gpuE8ELNS1_3repE0EEENS1_36merge_oddeven_config_static_selectorELNS0_4arch9wavefront6targetE1EEEvSJ_.has_indirect_call, 0
	.section	.AMDGPU.csdata,"",@progbits
; Kernel info:
; codeLenInByte = 0
; TotalNumSgprs: 6
; NumVgprs: 0
; NumAgprs: 0
; TotalNumVgprs: 0
; ScratchSize: 0
; MemoryBound: 0
; FloatMode: 240
; IeeeMode: 1
; LDSByteSize: 0 bytes/workgroup (compile time only)
; SGPRBlocks: 0
; VGPRBlocks: 0
; NumSGPRsForWavesPerEU: 6
; NumVGPRsForWavesPerEU: 1
; AccumOffset: 4
; Occupancy: 8
; WaveLimiterHint : 0
; COMPUTE_PGM_RSRC2:SCRATCH_EN: 0
; COMPUTE_PGM_RSRC2:USER_SGPR: 2
; COMPUTE_PGM_RSRC2:TRAP_HANDLER: 0
; COMPUTE_PGM_RSRC2:TGID_X_EN: 1
; COMPUTE_PGM_RSRC2:TGID_Y_EN: 0
; COMPUTE_PGM_RSRC2:TGID_Z_EN: 0
; COMPUTE_PGM_RSRC2:TIDIG_COMP_CNT: 0
; COMPUTE_PGM_RSRC3_GFX90A:ACCUM_OFFSET: 0
; COMPUTE_PGM_RSRC3_GFX90A:TG_SPLIT: 0
	.section	.text._ZN7rocprim17ROCPRIM_400000_NS6detail17trampoline_kernelINS0_14default_configENS1_38merge_sort_block_merge_config_selectorIyyEEZZNS1_27merge_sort_block_merge_implIS3_N6thrust23THRUST_200600_302600_NS6detail15normal_iteratorINS8_10device_ptrIyEEEESD_jNS1_19radix_merge_compareILb0ELb1EyNS0_19identity_decomposerEEEEE10hipError_tT0_T1_T2_jT3_P12ihipStream_tbPNSt15iterator_traitsISI_E10value_typeEPNSO_ISJ_E10value_typeEPSK_NS1_7vsmem_tEENKUlT_SI_SJ_SK_E_clISD_PySD_S10_EESH_SX_SI_SJ_SK_EUlSX_E1_NS1_11comp_targetILNS1_3genE3ELNS1_11target_archE908ELNS1_3gpuE7ELNS1_3repE0EEENS1_36merge_oddeven_config_static_selectorELNS0_4arch9wavefront6targetE1EEEvSJ_,"axG",@progbits,_ZN7rocprim17ROCPRIM_400000_NS6detail17trampoline_kernelINS0_14default_configENS1_38merge_sort_block_merge_config_selectorIyyEEZZNS1_27merge_sort_block_merge_implIS3_N6thrust23THRUST_200600_302600_NS6detail15normal_iteratorINS8_10device_ptrIyEEEESD_jNS1_19radix_merge_compareILb0ELb1EyNS0_19identity_decomposerEEEEE10hipError_tT0_T1_T2_jT3_P12ihipStream_tbPNSt15iterator_traitsISI_E10value_typeEPNSO_ISJ_E10value_typeEPSK_NS1_7vsmem_tEENKUlT_SI_SJ_SK_E_clISD_PySD_S10_EESH_SX_SI_SJ_SK_EUlSX_E1_NS1_11comp_targetILNS1_3genE3ELNS1_11target_archE908ELNS1_3gpuE7ELNS1_3repE0EEENS1_36merge_oddeven_config_static_selectorELNS0_4arch9wavefront6targetE1EEEvSJ_,comdat
	.protected	_ZN7rocprim17ROCPRIM_400000_NS6detail17trampoline_kernelINS0_14default_configENS1_38merge_sort_block_merge_config_selectorIyyEEZZNS1_27merge_sort_block_merge_implIS3_N6thrust23THRUST_200600_302600_NS6detail15normal_iteratorINS8_10device_ptrIyEEEESD_jNS1_19radix_merge_compareILb0ELb1EyNS0_19identity_decomposerEEEEE10hipError_tT0_T1_T2_jT3_P12ihipStream_tbPNSt15iterator_traitsISI_E10value_typeEPNSO_ISJ_E10value_typeEPSK_NS1_7vsmem_tEENKUlT_SI_SJ_SK_E_clISD_PySD_S10_EESH_SX_SI_SJ_SK_EUlSX_E1_NS1_11comp_targetILNS1_3genE3ELNS1_11target_archE908ELNS1_3gpuE7ELNS1_3repE0EEENS1_36merge_oddeven_config_static_selectorELNS0_4arch9wavefront6targetE1EEEvSJ_ ; -- Begin function _ZN7rocprim17ROCPRIM_400000_NS6detail17trampoline_kernelINS0_14default_configENS1_38merge_sort_block_merge_config_selectorIyyEEZZNS1_27merge_sort_block_merge_implIS3_N6thrust23THRUST_200600_302600_NS6detail15normal_iteratorINS8_10device_ptrIyEEEESD_jNS1_19radix_merge_compareILb0ELb1EyNS0_19identity_decomposerEEEEE10hipError_tT0_T1_T2_jT3_P12ihipStream_tbPNSt15iterator_traitsISI_E10value_typeEPNSO_ISJ_E10value_typeEPSK_NS1_7vsmem_tEENKUlT_SI_SJ_SK_E_clISD_PySD_S10_EESH_SX_SI_SJ_SK_EUlSX_E1_NS1_11comp_targetILNS1_3genE3ELNS1_11target_archE908ELNS1_3gpuE7ELNS1_3repE0EEENS1_36merge_oddeven_config_static_selectorELNS0_4arch9wavefront6targetE1EEEvSJ_
	.globl	_ZN7rocprim17ROCPRIM_400000_NS6detail17trampoline_kernelINS0_14default_configENS1_38merge_sort_block_merge_config_selectorIyyEEZZNS1_27merge_sort_block_merge_implIS3_N6thrust23THRUST_200600_302600_NS6detail15normal_iteratorINS8_10device_ptrIyEEEESD_jNS1_19radix_merge_compareILb0ELb1EyNS0_19identity_decomposerEEEEE10hipError_tT0_T1_T2_jT3_P12ihipStream_tbPNSt15iterator_traitsISI_E10value_typeEPNSO_ISJ_E10value_typeEPSK_NS1_7vsmem_tEENKUlT_SI_SJ_SK_E_clISD_PySD_S10_EESH_SX_SI_SJ_SK_EUlSX_E1_NS1_11comp_targetILNS1_3genE3ELNS1_11target_archE908ELNS1_3gpuE7ELNS1_3repE0EEENS1_36merge_oddeven_config_static_selectorELNS0_4arch9wavefront6targetE1EEEvSJ_
	.p2align	8
	.type	_ZN7rocprim17ROCPRIM_400000_NS6detail17trampoline_kernelINS0_14default_configENS1_38merge_sort_block_merge_config_selectorIyyEEZZNS1_27merge_sort_block_merge_implIS3_N6thrust23THRUST_200600_302600_NS6detail15normal_iteratorINS8_10device_ptrIyEEEESD_jNS1_19radix_merge_compareILb0ELb1EyNS0_19identity_decomposerEEEEE10hipError_tT0_T1_T2_jT3_P12ihipStream_tbPNSt15iterator_traitsISI_E10value_typeEPNSO_ISJ_E10value_typeEPSK_NS1_7vsmem_tEENKUlT_SI_SJ_SK_E_clISD_PySD_S10_EESH_SX_SI_SJ_SK_EUlSX_E1_NS1_11comp_targetILNS1_3genE3ELNS1_11target_archE908ELNS1_3gpuE7ELNS1_3repE0EEENS1_36merge_oddeven_config_static_selectorELNS0_4arch9wavefront6targetE1EEEvSJ_,@function
_ZN7rocprim17ROCPRIM_400000_NS6detail17trampoline_kernelINS0_14default_configENS1_38merge_sort_block_merge_config_selectorIyyEEZZNS1_27merge_sort_block_merge_implIS3_N6thrust23THRUST_200600_302600_NS6detail15normal_iteratorINS8_10device_ptrIyEEEESD_jNS1_19radix_merge_compareILb0ELb1EyNS0_19identity_decomposerEEEEE10hipError_tT0_T1_T2_jT3_P12ihipStream_tbPNSt15iterator_traitsISI_E10value_typeEPNSO_ISJ_E10value_typeEPSK_NS1_7vsmem_tEENKUlT_SI_SJ_SK_E_clISD_PySD_S10_EESH_SX_SI_SJ_SK_EUlSX_E1_NS1_11comp_targetILNS1_3genE3ELNS1_11target_archE908ELNS1_3gpuE7ELNS1_3repE0EEENS1_36merge_oddeven_config_static_selectorELNS0_4arch9wavefront6targetE1EEEvSJ_: ; @_ZN7rocprim17ROCPRIM_400000_NS6detail17trampoline_kernelINS0_14default_configENS1_38merge_sort_block_merge_config_selectorIyyEEZZNS1_27merge_sort_block_merge_implIS3_N6thrust23THRUST_200600_302600_NS6detail15normal_iteratorINS8_10device_ptrIyEEEESD_jNS1_19radix_merge_compareILb0ELb1EyNS0_19identity_decomposerEEEEE10hipError_tT0_T1_T2_jT3_P12ihipStream_tbPNSt15iterator_traitsISI_E10value_typeEPNSO_ISJ_E10value_typeEPSK_NS1_7vsmem_tEENKUlT_SI_SJ_SK_E_clISD_PySD_S10_EESH_SX_SI_SJ_SK_EUlSX_E1_NS1_11comp_targetILNS1_3genE3ELNS1_11target_archE908ELNS1_3gpuE7ELNS1_3repE0EEENS1_36merge_oddeven_config_static_selectorELNS0_4arch9wavefront6targetE1EEEvSJ_
; %bb.0:
	.section	.rodata,"a",@progbits
	.p2align	6, 0x0
	.amdhsa_kernel _ZN7rocprim17ROCPRIM_400000_NS6detail17trampoline_kernelINS0_14default_configENS1_38merge_sort_block_merge_config_selectorIyyEEZZNS1_27merge_sort_block_merge_implIS3_N6thrust23THRUST_200600_302600_NS6detail15normal_iteratorINS8_10device_ptrIyEEEESD_jNS1_19radix_merge_compareILb0ELb1EyNS0_19identity_decomposerEEEEE10hipError_tT0_T1_T2_jT3_P12ihipStream_tbPNSt15iterator_traitsISI_E10value_typeEPNSO_ISJ_E10value_typeEPSK_NS1_7vsmem_tEENKUlT_SI_SJ_SK_E_clISD_PySD_S10_EESH_SX_SI_SJ_SK_EUlSX_E1_NS1_11comp_targetILNS1_3genE3ELNS1_11target_archE908ELNS1_3gpuE7ELNS1_3repE0EEENS1_36merge_oddeven_config_static_selectorELNS0_4arch9wavefront6targetE1EEEvSJ_
		.amdhsa_group_segment_fixed_size 0
		.amdhsa_private_segment_fixed_size 0
		.amdhsa_kernarg_size 48
		.amdhsa_user_sgpr_count 2
		.amdhsa_user_sgpr_dispatch_ptr 0
		.amdhsa_user_sgpr_queue_ptr 0
		.amdhsa_user_sgpr_kernarg_segment_ptr 1
		.amdhsa_user_sgpr_dispatch_id 0
		.amdhsa_user_sgpr_kernarg_preload_length 0
		.amdhsa_user_sgpr_kernarg_preload_offset 0
		.amdhsa_user_sgpr_private_segment_size 0
		.amdhsa_uses_dynamic_stack 0
		.amdhsa_enable_private_segment 0
		.amdhsa_system_sgpr_workgroup_id_x 1
		.amdhsa_system_sgpr_workgroup_id_y 0
		.amdhsa_system_sgpr_workgroup_id_z 0
		.amdhsa_system_sgpr_workgroup_info 0
		.amdhsa_system_vgpr_workitem_id 0
		.amdhsa_next_free_vgpr 1
		.amdhsa_next_free_sgpr 0
		.amdhsa_accum_offset 4
		.amdhsa_reserve_vcc 0
		.amdhsa_float_round_mode_32 0
		.amdhsa_float_round_mode_16_64 0
		.amdhsa_float_denorm_mode_32 3
		.amdhsa_float_denorm_mode_16_64 3
		.amdhsa_dx10_clamp 1
		.amdhsa_ieee_mode 1
		.amdhsa_fp16_overflow 0
		.amdhsa_tg_split 0
		.amdhsa_exception_fp_ieee_invalid_op 0
		.amdhsa_exception_fp_denorm_src 0
		.amdhsa_exception_fp_ieee_div_zero 0
		.amdhsa_exception_fp_ieee_overflow 0
		.amdhsa_exception_fp_ieee_underflow 0
		.amdhsa_exception_fp_ieee_inexact 0
		.amdhsa_exception_int_div_zero 0
	.end_amdhsa_kernel
	.section	.text._ZN7rocprim17ROCPRIM_400000_NS6detail17trampoline_kernelINS0_14default_configENS1_38merge_sort_block_merge_config_selectorIyyEEZZNS1_27merge_sort_block_merge_implIS3_N6thrust23THRUST_200600_302600_NS6detail15normal_iteratorINS8_10device_ptrIyEEEESD_jNS1_19radix_merge_compareILb0ELb1EyNS0_19identity_decomposerEEEEE10hipError_tT0_T1_T2_jT3_P12ihipStream_tbPNSt15iterator_traitsISI_E10value_typeEPNSO_ISJ_E10value_typeEPSK_NS1_7vsmem_tEENKUlT_SI_SJ_SK_E_clISD_PySD_S10_EESH_SX_SI_SJ_SK_EUlSX_E1_NS1_11comp_targetILNS1_3genE3ELNS1_11target_archE908ELNS1_3gpuE7ELNS1_3repE0EEENS1_36merge_oddeven_config_static_selectorELNS0_4arch9wavefront6targetE1EEEvSJ_,"axG",@progbits,_ZN7rocprim17ROCPRIM_400000_NS6detail17trampoline_kernelINS0_14default_configENS1_38merge_sort_block_merge_config_selectorIyyEEZZNS1_27merge_sort_block_merge_implIS3_N6thrust23THRUST_200600_302600_NS6detail15normal_iteratorINS8_10device_ptrIyEEEESD_jNS1_19radix_merge_compareILb0ELb1EyNS0_19identity_decomposerEEEEE10hipError_tT0_T1_T2_jT3_P12ihipStream_tbPNSt15iterator_traitsISI_E10value_typeEPNSO_ISJ_E10value_typeEPSK_NS1_7vsmem_tEENKUlT_SI_SJ_SK_E_clISD_PySD_S10_EESH_SX_SI_SJ_SK_EUlSX_E1_NS1_11comp_targetILNS1_3genE3ELNS1_11target_archE908ELNS1_3gpuE7ELNS1_3repE0EEENS1_36merge_oddeven_config_static_selectorELNS0_4arch9wavefront6targetE1EEEvSJ_,comdat
.Lfunc_end497:
	.size	_ZN7rocprim17ROCPRIM_400000_NS6detail17trampoline_kernelINS0_14default_configENS1_38merge_sort_block_merge_config_selectorIyyEEZZNS1_27merge_sort_block_merge_implIS3_N6thrust23THRUST_200600_302600_NS6detail15normal_iteratorINS8_10device_ptrIyEEEESD_jNS1_19radix_merge_compareILb0ELb1EyNS0_19identity_decomposerEEEEE10hipError_tT0_T1_T2_jT3_P12ihipStream_tbPNSt15iterator_traitsISI_E10value_typeEPNSO_ISJ_E10value_typeEPSK_NS1_7vsmem_tEENKUlT_SI_SJ_SK_E_clISD_PySD_S10_EESH_SX_SI_SJ_SK_EUlSX_E1_NS1_11comp_targetILNS1_3genE3ELNS1_11target_archE908ELNS1_3gpuE7ELNS1_3repE0EEENS1_36merge_oddeven_config_static_selectorELNS0_4arch9wavefront6targetE1EEEvSJ_, .Lfunc_end497-_ZN7rocprim17ROCPRIM_400000_NS6detail17trampoline_kernelINS0_14default_configENS1_38merge_sort_block_merge_config_selectorIyyEEZZNS1_27merge_sort_block_merge_implIS3_N6thrust23THRUST_200600_302600_NS6detail15normal_iteratorINS8_10device_ptrIyEEEESD_jNS1_19radix_merge_compareILb0ELb1EyNS0_19identity_decomposerEEEEE10hipError_tT0_T1_T2_jT3_P12ihipStream_tbPNSt15iterator_traitsISI_E10value_typeEPNSO_ISJ_E10value_typeEPSK_NS1_7vsmem_tEENKUlT_SI_SJ_SK_E_clISD_PySD_S10_EESH_SX_SI_SJ_SK_EUlSX_E1_NS1_11comp_targetILNS1_3genE3ELNS1_11target_archE908ELNS1_3gpuE7ELNS1_3repE0EEENS1_36merge_oddeven_config_static_selectorELNS0_4arch9wavefront6targetE1EEEvSJ_
                                        ; -- End function
	.set _ZN7rocprim17ROCPRIM_400000_NS6detail17trampoline_kernelINS0_14default_configENS1_38merge_sort_block_merge_config_selectorIyyEEZZNS1_27merge_sort_block_merge_implIS3_N6thrust23THRUST_200600_302600_NS6detail15normal_iteratorINS8_10device_ptrIyEEEESD_jNS1_19radix_merge_compareILb0ELb1EyNS0_19identity_decomposerEEEEE10hipError_tT0_T1_T2_jT3_P12ihipStream_tbPNSt15iterator_traitsISI_E10value_typeEPNSO_ISJ_E10value_typeEPSK_NS1_7vsmem_tEENKUlT_SI_SJ_SK_E_clISD_PySD_S10_EESH_SX_SI_SJ_SK_EUlSX_E1_NS1_11comp_targetILNS1_3genE3ELNS1_11target_archE908ELNS1_3gpuE7ELNS1_3repE0EEENS1_36merge_oddeven_config_static_selectorELNS0_4arch9wavefront6targetE1EEEvSJ_.num_vgpr, 0
	.set _ZN7rocprim17ROCPRIM_400000_NS6detail17trampoline_kernelINS0_14default_configENS1_38merge_sort_block_merge_config_selectorIyyEEZZNS1_27merge_sort_block_merge_implIS3_N6thrust23THRUST_200600_302600_NS6detail15normal_iteratorINS8_10device_ptrIyEEEESD_jNS1_19radix_merge_compareILb0ELb1EyNS0_19identity_decomposerEEEEE10hipError_tT0_T1_T2_jT3_P12ihipStream_tbPNSt15iterator_traitsISI_E10value_typeEPNSO_ISJ_E10value_typeEPSK_NS1_7vsmem_tEENKUlT_SI_SJ_SK_E_clISD_PySD_S10_EESH_SX_SI_SJ_SK_EUlSX_E1_NS1_11comp_targetILNS1_3genE3ELNS1_11target_archE908ELNS1_3gpuE7ELNS1_3repE0EEENS1_36merge_oddeven_config_static_selectorELNS0_4arch9wavefront6targetE1EEEvSJ_.num_agpr, 0
	.set _ZN7rocprim17ROCPRIM_400000_NS6detail17trampoline_kernelINS0_14default_configENS1_38merge_sort_block_merge_config_selectorIyyEEZZNS1_27merge_sort_block_merge_implIS3_N6thrust23THRUST_200600_302600_NS6detail15normal_iteratorINS8_10device_ptrIyEEEESD_jNS1_19radix_merge_compareILb0ELb1EyNS0_19identity_decomposerEEEEE10hipError_tT0_T1_T2_jT3_P12ihipStream_tbPNSt15iterator_traitsISI_E10value_typeEPNSO_ISJ_E10value_typeEPSK_NS1_7vsmem_tEENKUlT_SI_SJ_SK_E_clISD_PySD_S10_EESH_SX_SI_SJ_SK_EUlSX_E1_NS1_11comp_targetILNS1_3genE3ELNS1_11target_archE908ELNS1_3gpuE7ELNS1_3repE0EEENS1_36merge_oddeven_config_static_selectorELNS0_4arch9wavefront6targetE1EEEvSJ_.numbered_sgpr, 0
	.set _ZN7rocprim17ROCPRIM_400000_NS6detail17trampoline_kernelINS0_14default_configENS1_38merge_sort_block_merge_config_selectorIyyEEZZNS1_27merge_sort_block_merge_implIS3_N6thrust23THRUST_200600_302600_NS6detail15normal_iteratorINS8_10device_ptrIyEEEESD_jNS1_19radix_merge_compareILb0ELb1EyNS0_19identity_decomposerEEEEE10hipError_tT0_T1_T2_jT3_P12ihipStream_tbPNSt15iterator_traitsISI_E10value_typeEPNSO_ISJ_E10value_typeEPSK_NS1_7vsmem_tEENKUlT_SI_SJ_SK_E_clISD_PySD_S10_EESH_SX_SI_SJ_SK_EUlSX_E1_NS1_11comp_targetILNS1_3genE3ELNS1_11target_archE908ELNS1_3gpuE7ELNS1_3repE0EEENS1_36merge_oddeven_config_static_selectorELNS0_4arch9wavefront6targetE1EEEvSJ_.num_named_barrier, 0
	.set _ZN7rocprim17ROCPRIM_400000_NS6detail17trampoline_kernelINS0_14default_configENS1_38merge_sort_block_merge_config_selectorIyyEEZZNS1_27merge_sort_block_merge_implIS3_N6thrust23THRUST_200600_302600_NS6detail15normal_iteratorINS8_10device_ptrIyEEEESD_jNS1_19radix_merge_compareILb0ELb1EyNS0_19identity_decomposerEEEEE10hipError_tT0_T1_T2_jT3_P12ihipStream_tbPNSt15iterator_traitsISI_E10value_typeEPNSO_ISJ_E10value_typeEPSK_NS1_7vsmem_tEENKUlT_SI_SJ_SK_E_clISD_PySD_S10_EESH_SX_SI_SJ_SK_EUlSX_E1_NS1_11comp_targetILNS1_3genE3ELNS1_11target_archE908ELNS1_3gpuE7ELNS1_3repE0EEENS1_36merge_oddeven_config_static_selectorELNS0_4arch9wavefront6targetE1EEEvSJ_.private_seg_size, 0
	.set _ZN7rocprim17ROCPRIM_400000_NS6detail17trampoline_kernelINS0_14default_configENS1_38merge_sort_block_merge_config_selectorIyyEEZZNS1_27merge_sort_block_merge_implIS3_N6thrust23THRUST_200600_302600_NS6detail15normal_iteratorINS8_10device_ptrIyEEEESD_jNS1_19radix_merge_compareILb0ELb1EyNS0_19identity_decomposerEEEEE10hipError_tT0_T1_T2_jT3_P12ihipStream_tbPNSt15iterator_traitsISI_E10value_typeEPNSO_ISJ_E10value_typeEPSK_NS1_7vsmem_tEENKUlT_SI_SJ_SK_E_clISD_PySD_S10_EESH_SX_SI_SJ_SK_EUlSX_E1_NS1_11comp_targetILNS1_3genE3ELNS1_11target_archE908ELNS1_3gpuE7ELNS1_3repE0EEENS1_36merge_oddeven_config_static_selectorELNS0_4arch9wavefront6targetE1EEEvSJ_.uses_vcc, 0
	.set _ZN7rocprim17ROCPRIM_400000_NS6detail17trampoline_kernelINS0_14default_configENS1_38merge_sort_block_merge_config_selectorIyyEEZZNS1_27merge_sort_block_merge_implIS3_N6thrust23THRUST_200600_302600_NS6detail15normal_iteratorINS8_10device_ptrIyEEEESD_jNS1_19radix_merge_compareILb0ELb1EyNS0_19identity_decomposerEEEEE10hipError_tT0_T1_T2_jT3_P12ihipStream_tbPNSt15iterator_traitsISI_E10value_typeEPNSO_ISJ_E10value_typeEPSK_NS1_7vsmem_tEENKUlT_SI_SJ_SK_E_clISD_PySD_S10_EESH_SX_SI_SJ_SK_EUlSX_E1_NS1_11comp_targetILNS1_3genE3ELNS1_11target_archE908ELNS1_3gpuE7ELNS1_3repE0EEENS1_36merge_oddeven_config_static_selectorELNS0_4arch9wavefront6targetE1EEEvSJ_.uses_flat_scratch, 0
	.set _ZN7rocprim17ROCPRIM_400000_NS6detail17trampoline_kernelINS0_14default_configENS1_38merge_sort_block_merge_config_selectorIyyEEZZNS1_27merge_sort_block_merge_implIS3_N6thrust23THRUST_200600_302600_NS6detail15normal_iteratorINS8_10device_ptrIyEEEESD_jNS1_19radix_merge_compareILb0ELb1EyNS0_19identity_decomposerEEEEE10hipError_tT0_T1_T2_jT3_P12ihipStream_tbPNSt15iterator_traitsISI_E10value_typeEPNSO_ISJ_E10value_typeEPSK_NS1_7vsmem_tEENKUlT_SI_SJ_SK_E_clISD_PySD_S10_EESH_SX_SI_SJ_SK_EUlSX_E1_NS1_11comp_targetILNS1_3genE3ELNS1_11target_archE908ELNS1_3gpuE7ELNS1_3repE0EEENS1_36merge_oddeven_config_static_selectorELNS0_4arch9wavefront6targetE1EEEvSJ_.has_dyn_sized_stack, 0
	.set _ZN7rocprim17ROCPRIM_400000_NS6detail17trampoline_kernelINS0_14default_configENS1_38merge_sort_block_merge_config_selectorIyyEEZZNS1_27merge_sort_block_merge_implIS3_N6thrust23THRUST_200600_302600_NS6detail15normal_iteratorINS8_10device_ptrIyEEEESD_jNS1_19radix_merge_compareILb0ELb1EyNS0_19identity_decomposerEEEEE10hipError_tT0_T1_T2_jT3_P12ihipStream_tbPNSt15iterator_traitsISI_E10value_typeEPNSO_ISJ_E10value_typeEPSK_NS1_7vsmem_tEENKUlT_SI_SJ_SK_E_clISD_PySD_S10_EESH_SX_SI_SJ_SK_EUlSX_E1_NS1_11comp_targetILNS1_3genE3ELNS1_11target_archE908ELNS1_3gpuE7ELNS1_3repE0EEENS1_36merge_oddeven_config_static_selectorELNS0_4arch9wavefront6targetE1EEEvSJ_.has_recursion, 0
	.set _ZN7rocprim17ROCPRIM_400000_NS6detail17trampoline_kernelINS0_14default_configENS1_38merge_sort_block_merge_config_selectorIyyEEZZNS1_27merge_sort_block_merge_implIS3_N6thrust23THRUST_200600_302600_NS6detail15normal_iteratorINS8_10device_ptrIyEEEESD_jNS1_19radix_merge_compareILb0ELb1EyNS0_19identity_decomposerEEEEE10hipError_tT0_T1_T2_jT3_P12ihipStream_tbPNSt15iterator_traitsISI_E10value_typeEPNSO_ISJ_E10value_typeEPSK_NS1_7vsmem_tEENKUlT_SI_SJ_SK_E_clISD_PySD_S10_EESH_SX_SI_SJ_SK_EUlSX_E1_NS1_11comp_targetILNS1_3genE3ELNS1_11target_archE908ELNS1_3gpuE7ELNS1_3repE0EEENS1_36merge_oddeven_config_static_selectorELNS0_4arch9wavefront6targetE1EEEvSJ_.has_indirect_call, 0
	.section	.AMDGPU.csdata,"",@progbits
; Kernel info:
; codeLenInByte = 0
; TotalNumSgprs: 6
; NumVgprs: 0
; NumAgprs: 0
; TotalNumVgprs: 0
; ScratchSize: 0
; MemoryBound: 0
; FloatMode: 240
; IeeeMode: 1
; LDSByteSize: 0 bytes/workgroup (compile time only)
; SGPRBlocks: 0
; VGPRBlocks: 0
; NumSGPRsForWavesPerEU: 6
; NumVGPRsForWavesPerEU: 1
; AccumOffset: 4
; Occupancy: 8
; WaveLimiterHint : 0
; COMPUTE_PGM_RSRC2:SCRATCH_EN: 0
; COMPUTE_PGM_RSRC2:USER_SGPR: 2
; COMPUTE_PGM_RSRC2:TRAP_HANDLER: 0
; COMPUTE_PGM_RSRC2:TGID_X_EN: 1
; COMPUTE_PGM_RSRC2:TGID_Y_EN: 0
; COMPUTE_PGM_RSRC2:TGID_Z_EN: 0
; COMPUTE_PGM_RSRC2:TIDIG_COMP_CNT: 0
; COMPUTE_PGM_RSRC3_GFX90A:ACCUM_OFFSET: 0
; COMPUTE_PGM_RSRC3_GFX90A:TG_SPLIT: 0
	.section	.text._ZN7rocprim17ROCPRIM_400000_NS6detail17trampoline_kernelINS0_14default_configENS1_38merge_sort_block_merge_config_selectorIyyEEZZNS1_27merge_sort_block_merge_implIS3_N6thrust23THRUST_200600_302600_NS6detail15normal_iteratorINS8_10device_ptrIyEEEESD_jNS1_19radix_merge_compareILb0ELb1EyNS0_19identity_decomposerEEEEE10hipError_tT0_T1_T2_jT3_P12ihipStream_tbPNSt15iterator_traitsISI_E10value_typeEPNSO_ISJ_E10value_typeEPSK_NS1_7vsmem_tEENKUlT_SI_SJ_SK_E_clISD_PySD_S10_EESH_SX_SI_SJ_SK_EUlSX_E1_NS1_11comp_targetILNS1_3genE2ELNS1_11target_archE906ELNS1_3gpuE6ELNS1_3repE0EEENS1_36merge_oddeven_config_static_selectorELNS0_4arch9wavefront6targetE1EEEvSJ_,"axG",@progbits,_ZN7rocprim17ROCPRIM_400000_NS6detail17trampoline_kernelINS0_14default_configENS1_38merge_sort_block_merge_config_selectorIyyEEZZNS1_27merge_sort_block_merge_implIS3_N6thrust23THRUST_200600_302600_NS6detail15normal_iteratorINS8_10device_ptrIyEEEESD_jNS1_19radix_merge_compareILb0ELb1EyNS0_19identity_decomposerEEEEE10hipError_tT0_T1_T2_jT3_P12ihipStream_tbPNSt15iterator_traitsISI_E10value_typeEPNSO_ISJ_E10value_typeEPSK_NS1_7vsmem_tEENKUlT_SI_SJ_SK_E_clISD_PySD_S10_EESH_SX_SI_SJ_SK_EUlSX_E1_NS1_11comp_targetILNS1_3genE2ELNS1_11target_archE906ELNS1_3gpuE6ELNS1_3repE0EEENS1_36merge_oddeven_config_static_selectorELNS0_4arch9wavefront6targetE1EEEvSJ_,comdat
	.protected	_ZN7rocprim17ROCPRIM_400000_NS6detail17trampoline_kernelINS0_14default_configENS1_38merge_sort_block_merge_config_selectorIyyEEZZNS1_27merge_sort_block_merge_implIS3_N6thrust23THRUST_200600_302600_NS6detail15normal_iteratorINS8_10device_ptrIyEEEESD_jNS1_19radix_merge_compareILb0ELb1EyNS0_19identity_decomposerEEEEE10hipError_tT0_T1_T2_jT3_P12ihipStream_tbPNSt15iterator_traitsISI_E10value_typeEPNSO_ISJ_E10value_typeEPSK_NS1_7vsmem_tEENKUlT_SI_SJ_SK_E_clISD_PySD_S10_EESH_SX_SI_SJ_SK_EUlSX_E1_NS1_11comp_targetILNS1_3genE2ELNS1_11target_archE906ELNS1_3gpuE6ELNS1_3repE0EEENS1_36merge_oddeven_config_static_selectorELNS0_4arch9wavefront6targetE1EEEvSJ_ ; -- Begin function _ZN7rocprim17ROCPRIM_400000_NS6detail17trampoline_kernelINS0_14default_configENS1_38merge_sort_block_merge_config_selectorIyyEEZZNS1_27merge_sort_block_merge_implIS3_N6thrust23THRUST_200600_302600_NS6detail15normal_iteratorINS8_10device_ptrIyEEEESD_jNS1_19radix_merge_compareILb0ELb1EyNS0_19identity_decomposerEEEEE10hipError_tT0_T1_T2_jT3_P12ihipStream_tbPNSt15iterator_traitsISI_E10value_typeEPNSO_ISJ_E10value_typeEPSK_NS1_7vsmem_tEENKUlT_SI_SJ_SK_E_clISD_PySD_S10_EESH_SX_SI_SJ_SK_EUlSX_E1_NS1_11comp_targetILNS1_3genE2ELNS1_11target_archE906ELNS1_3gpuE6ELNS1_3repE0EEENS1_36merge_oddeven_config_static_selectorELNS0_4arch9wavefront6targetE1EEEvSJ_
	.globl	_ZN7rocprim17ROCPRIM_400000_NS6detail17trampoline_kernelINS0_14default_configENS1_38merge_sort_block_merge_config_selectorIyyEEZZNS1_27merge_sort_block_merge_implIS3_N6thrust23THRUST_200600_302600_NS6detail15normal_iteratorINS8_10device_ptrIyEEEESD_jNS1_19radix_merge_compareILb0ELb1EyNS0_19identity_decomposerEEEEE10hipError_tT0_T1_T2_jT3_P12ihipStream_tbPNSt15iterator_traitsISI_E10value_typeEPNSO_ISJ_E10value_typeEPSK_NS1_7vsmem_tEENKUlT_SI_SJ_SK_E_clISD_PySD_S10_EESH_SX_SI_SJ_SK_EUlSX_E1_NS1_11comp_targetILNS1_3genE2ELNS1_11target_archE906ELNS1_3gpuE6ELNS1_3repE0EEENS1_36merge_oddeven_config_static_selectorELNS0_4arch9wavefront6targetE1EEEvSJ_
	.p2align	8
	.type	_ZN7rocprim17ROCPRIM_400000_NS6detail17trampoline_kernelINS0_14default_configENS1_38merge_sort_block_merge_config_selectorIyyEEZZNS1_27merge_sort_block_merge_implIS3_N6thrust23THRUST_200600_302600_NS6detail15normal_iteratorINS8_10device_ptrIyEEEESD_jNS1_19radix_merge_compareILb0ELb1EyNS0_19identity_decomposerEEEEE10hipError_tT0_T1_T2_jT3_P12ihipStream_tbPNSt15iterator_traitsISI_E10value_typeEPNSO_ISJ_E10value_typeEPSK_NS1_7vsmem_tEENKUlT_SI_SJ_SK_E_clISD_PySD_S10_EESH_SX_SI_SJ_SK_EUlSX_E1_NS1_11comp_targetILNS1_3genE2ELNS1_11target_archE906ELNS1_3gpuE6ELNS1_3repE0EEENS1_36merge_oddeven_config_static_selectorELNS0_4arch9wavefront6targetE1EEEvSJ_,@function
_ZN7rocprim17ROCPRIM_400000_NS6detail17trampoline_kernelINS0_14default_configENS1_38merge_sort_block_merge_config_selectorIyyEEZZNS1_27merge_sort_block_merge_implIS3_N6thrust23THRUST_200600_302600_NS6detail15normal_iteratorINS8_10device_ptrIyEEEESD_jNS1_19radix_merge_compareILb0ELb1EyNS0_19identity_decomposerEEEEE10hipError_tT0_T1_T2_jT3_P12ihipStream_tbPNSt15iterator_traitsISI_E10value_typeEPNSO_ISJ_E10value_typeEPSK_NS1_7vsmem_tEENKUlT_SI_SJ_SK_E_clISD_PySD_S10_EESH_SX_SI_SJ_SK_EUlSX_E1_NS1_11comp_targetILNS1_3genE2ELNS1_11target_archE906ELNS1_3gpuE6ELNS1_3repE0EEENS1_36merge_oddeven_config_static_selectorELNS0_4arch9wavefront6targetE1EEEvSJ_: ; @_ZN7rocprim17ROCPRIM_400000_NS6detail17trampoline_kernelINS0_14default_configENS1_38merge_sort_block_merge_config_selectorIyyEEZZNS1_27merge_sort_block_merge_implIS3_N6thrust23THRUST_200600_302600_NS6detail15normal_iteratorINS8_10device_ptrIyEEEESD_jNS1_19radix_merge_compareILb0ELb1EyNS0_19identity_decomposerEEEEE10hipError_tT0_T1_T2_jT3_P12ihipStream_tbPNSt15iterator_traitsISI_E10value_typeEPNSO_ISJ_E10value_typeEPSK_NS1_7vsmem_tEENKUlT_SI_SJ_SK_E_clISD_PySD_S10_EESH_SX_SI_SJ_SK_EUlSX_E1_NS1_11comp_targetILNS1_3genE2ELNS1_11target_archE906ELNS1_3gpuE6ELNS1_3repE0EEENS1_36merge_oddeven_config_static_selectorELNS0_4arch9wavefront6targetE1EEEvSJ_
; %bb.0:
	.section	.rodata,"a",@progbits
	.p2align	6, 0x0
	.amdhsa_kernel _ZN7rocprim17ROCPRIM_400000_NS6detail17trampoline_kernelINS0_14default_configENS1_38merge_sort_block_merge_config_selectorIyyEEZZNS1_27merge_sort_block_merge_implIS3_N6thrust23THRUST_200600_302600_NS6detail15normal_iteratorINS8_10device_ptrIyEEEESD_jNS1_19radix_merge_compareILb0ELb1EyNS0_19identity_decomposerEEEEE10hipError_tT0_T1_T2_jT3_P12ihipStream_tbPNSt15iterator_traitsISI_E10value_typeEPNSO_ISJ_E10value_typeEPSK_NS1_7vsmem_tEENKUlT_SI_SJ_SK_E_clISD_PySD_S10_EESH_SX_SI_SJ_SK_EUlSX_E1_NS1_11comp_targetILNS1_3genE2ELNS1_11target_archE906ELNS1_3gpuE6ELNS1_3repE0EEENS1_36merge_oddeven_config_static_selectorELNS0_4arch9wavefront6targetE1EEEvSJ_
		.amdhsa_group_segment_fixed_size 0
		.amdhsa_private_segment_fixed_size 0
		.amdhsa_kernarg_size 48
		.amdhsa_user_sgpr_count 2
		.amdhsa_user_sgpr_dispatch_ptr 0
		.amdhsa_user_sgpr_queue_ptr 0
		.amdhsa_user_sgpr_kernarg_segment_ptr 1
		.amdhsa_user_sgpr_dispatch_id 0
		.amdhsa_user_sgpr_kernarg_preload_length 0
		.amdhsa_user_sgpr_kernarg_preload_offset 0
		.amdhsa_user_sgpr_private_segment_size 0
		.amdhsa_uses_dynamic_stack 0
		.amdhsa_enable_private_segment 0
		.amdhsa_system_sgpr_workgroup_id_x 1
		.amdhsa_system_sgpr_workgroup_id_y 0
		.amdhsa_system_sgpr_workgroup_id_z 0
		.amdhsa_system_sgpr_workgroup_info 0
		.amdhsa_system_vgpr_workitem_id 0
		.amdhsa_next_free_vgpr 1
		.amdhsa_next_free_sgpr 0
		.amdhsa_accum_offset 4
		.amdhsa_reserve_vcc 0
		.amdhsa_float_round_mode_32 0
		.amdhsa_float_round_mode_16_64 0
		.amdhsa_float_denorm_mode_32 3
		.amdhsa_float_denorm_mode_16_64 3
		.amdhsa_dx10_clamp 1
		.amdhsa_ieee_mode 1
		.amdhsa_fp16_overflow 0
		.amdhsa_tg_split 0
		.amdhsa_exception_fp_ieee_invalid_op 0
		.amdhsa_exception_fp_denorm_src 0
		.amdhsa_exception_fp_ieee_div_zero 0
		.amdhsa_exception_fp_ieee_overflow 0
		.amdhsa_exception_fp_ieee_underflow 0
		.amdhsa_exception_fp_ieee_inexact 0
		.amdhsa_exception_int_div_zero 0
	.end_amdhsa_kernel
	.section	.text._ZN7rocprim17ROCPRIM_400000_NS6detail17trampoline_kernelINS0_14default_configENS1_38merge_sort_block_merge_config_selectorIyyEEZZNS1_27merge_sort_block_merge_implIS3_N6thrust23THRUST_200600_302600_NS6detail15normal_iteratorINS8_10device_ptrIyEEEESD_jNS1_19radix_merge_compareILb0ELb1EyNS0_19identity_decomposerEEEEE10hipError_tT0_T1_T2_jT3_P12ihipStream_tbPNSt15iterator_traitsISI_E10value_typeEPNSO_ISJ_E10value_typeEPSK_NS1_7vsmem_tEENKUlT_SI_SJ_SK_E_clISD_PySD_S10_EESH_SX_SI_SJ_SK_EUlSX_E1_NS1_11comp_targetILNS1_3genE2ELNS1_11target_archE906ELNS1_3gpuE6ELNS1_3repE0EEENS1_36merge_oddeven_config_static_selectorELNS0_4arch9wavefront6targetE1EEEvSJ_,"axG",@progbits,_ZN7rocprim17ROCPRIM_400000_NS6detail17trampoline_kernelINS0_14default_configENS1_38merge_sort_block_merge_config_selectorIyyEEZZNS1_27merge_sort_block_merge_implIS3_N6thrust23THRUST_200600_302600_NS6detail15normal_iteratorINS8_10device_ptrIyEEEESD_jNS1_19radix_merge_compareILb0ELb1EyNS0_19identity_decomposerEEEEE10hipError_tT0_T1_T2_jT3_P12ihipStream_tbPNSt15iterator_traitsISI_E10value_typeEPNSO_ISJ_E10value_typeEPSK_NS1_7vsmem_tEENKUlT_SI_SJ_SK_E_clISD_PySD_S10_EESH_SX_SI_SJ_SK_EUlSX_E1_NS1_11comp_targetILNS1_3genE2ELNS1_11target_archE906ELNS1_3gpuE6ELNS1_3repE0EEENS1_36merge_oddeven_config_static_selectorELNS0_4arch9wavefront6targetE1EEEvSJ_,comdat
.Lfunc_end498:
	.size	_ZN7rocprim17ROCPRIM_400000_NS6detail17trampoline_kernelINS0_14default_configENS1_38merge_sort_block_merge_config_selectorIyyEEZZNS1_27merge_sort_block_merge_implIS3_N6thrust23THRUST_200600_302600_NS6detail15normal_iteratorINS8_10device_ptrIyEEEESD_jNS1_19radix_merge_compareILb0ELb1EyNS0_19identity_decomposerEEEEE10hipError_tT0_T1_T2_jT3_P12ihipStream_tbPNSt15iterator_traitsISI_E10value_typeEPNSO_ISJ_E10value_typeEPSK_NS1_7vsmem_tEENKUlT_SI_SJ_SK_E_clISD_PySD_S10_EESH_SX_SI_SJ_SK_EUlSX_E1_NS1_11comp_targetILNS1_3genE2ELNS1_11target_archE906ELNS1_3gpuE6ELNS1_3repE0EEENS1_36merge_oddeven_config_static_selectorELNS0_4arch9wavefront6targetE1EEEvSJ_, .Lfunc_end498-_ZN7rocprim17ROCPRIM_400000_NS6detail17trampoline_kernelINS0_14default_configENS1_38merge_sort_block_merge_config_selectorIyyEEZZNS1_27merge_sort_block_merge_implIS3_N6thrust23THRUST_200600_302600_NS6detail15normal_iteratorINS8_10device_ptrIyEEEESD_jNS1_19radix_merge_compareILb0ELb1EyNS0_19identity_decomposerEEEEE10hipError_tT0_T1_T2_jT3_P12ihipStream_tbPNSt15iterator_traitsISI_E10value_typeEPNSO_ISJ_E10value_typeEPSK_NS1_7vsmem_tEENKUlT_SI_SJ_SK_E_clISD_PySD_S10_EESH_SX_SI_SJ_SK_EUlSX_E1_NS1_11comp_targetILNS1_3genE2ELNS1_11target_archE906ELNS1_3gpuE6ELNS1_3repE0EEENS1_36merge_oddeven_config_static_selectorELNS0_4arch9wavefront6targetE1EEEvSJ_
                                        ; -- End function
	.set _ZN7rocprim17ROCPRIM_400000_NS6detail17trampoline_kernelINS0_14default_configENS1_38merge_sort_block_merge_config_selectorIyyEEZZNS1_27merge_sort_block_merge_implIS3_N6thrust23THRUST_200600_302600_NS6detail15normal_iteratorINS8_10device_ptrIyEEEESD_jNS1_19radix_merge_compareILb0ELb1EyNS0_19identity_decomposerEEEEE10hipError_tT0_T1_T2_jT3_P12ihipStream_tbPNSt15iterator_traitsISI_E10value_typeEPNSO_ISJ_E10value_typeEPSK_NS1_7vsmem_tEENKUlT_SI_SJ_SK_E_clISD_PySD_S10_EESH_SX_SI_SJ_SK_EUlSX_E1_NS1_11comp_targetILNS1_3genE2ELNS1_11target_archE906ELNS1_3gpuE6ELNS1_3repE0EEENS1_36merge_oddeven_config_static_selectorELNS0_4arch9wavefront6targetE1EEEvSJ_.num_vgpr, 0
	.set _ZN7rocprim17ROCPRIM_400000_NS6detail17trampoline_kernelINS0_14default_configENS1_38merge_sort_block_merge_config_selectorIyyEEZZNS1_27merge_sort_block_merge_implIS3_N6thrust23THRUST_200600_302600_NS6detail15normal_iteratorINS8_10device_ptrIyEEEESD_jNS1_19radix_merge_compareILb0ELb1EyNS0_19identity_decomposerEEEEE10hipError_tT0_T1_T2_jT3_P12ihipStream_tbPNSt15iterator_traitsISI_E10value_typeEPNSO_ISJ_E10value_typeEPSK_NS1_7vsmem_tEENKUlT_SI_SJ_SK_E_clISD_PySD_S10_EESH_SX_SI_SJ_SK_EUlSX_E1_NS1_11comp_targetILNS1_3genE2ELNS1_11target_archE906ELNS1_3gpuE6ELNS1_3repE0EEENS1_36merge_oddeven_config_static_selectorELNS0_4arch9wavefront6targetE1EEEvSJ_.num_agpr, 0
	.set _ZN7rocprim17ROCPRIM_400000_NS6detail17trampoline_kernelINS0_14default_configENS1_38merge_sort_block_merge_config_selectorIyyEEZZNS1_27merge_sort_block_merge_implIS3_N6thrust23THRUST_200600_302600_NS6detail15normal_iteratorINS8_10device_ptrIyEEEESD_jNS1_19radix_merge_compareILb0ELb1EyNS0_19identity_decomposerEEEEE10hipError_tT0_T1_T2_jT3_P12ihipStream_tbPNSt15iterator_traitsISI_E10value_typeEPNSO_ISJ_E10value_typeEPSK_NS1_7vsmem_tEENKUlT_SI_SJ_SK_E_clISD_PySD_S10_EESH_SX_SI_SJ_SK_EUlSX_E1_NS1_11comp_targetILNS1_3genE2ELNS1_11target_archE906ELNS1_3gpuE6ELNS1_3repE0EEENS1_36merge_oddeven_config_static_selectorELNS0_4arch9wavefront6targetE1EEEvSJ_.numbered_sgpr, 0
	.set _ZN7rocprim17ROCPRIM_400000_NS6detail17trampoline_kernelINS0_14default_configENS1_38merge_sort_block_merge_config_selectorIyyEEZZNS1_27merge_sort_block_merge_implIS3_N6thrust23THRUST_200600_302600_NS6detail15normal_iteratorINS8_10device_ptrIyEEEESD_jNS1_19radix_merge_compareILb0ELb1EyNS0_19identity_decomposerEEEEE10hipError_tT0_T1_T2_jT3_P12ihipStream_tbPNSt15iterator_traitsISI_E10value_typeEPNSO_ISJ_E10value_typeEPSK_NS1_7vsmem_tEENKUlT_SI_SJ_SK_E_clISD_PySD_S10_EESH_SX_SI_SJ_SK_EUlSX_E1_NS1_11comp_targetILNS1_3genE2ELNS1_11target_archE906ELNS1_3gpuE6ELNS1_3repE0EEENS1_36merge_oddeven_config_static_selectorELNS0_4arch9wavefront6targetE1EEEvSJ_.num_named_barrier, 0
	.set _ZN7rocprim17ROCPRIM_400000_NS6detail17trampoline_kernelINS0_14default_configENS1_38merge_sort_block_merge_config_selectorIyyEEZZNS1_27merge_sort_block_merge_implIS3_N6thrust23THRUST_200600_302600_NS6detail15normal_iteratorINS8_10device_ptrIyEEEESD_jNS1_19radix_merge_compareILb0ELb1EyNS0_19identity_decomposerEEEEE10hipError_tT0_T1_T2_jT3_P12ihipStream_tbPNSt15iterator_traitsISI_E10value_typeEPNSO_ISJ_E10value_typeEPSK_NS1_7vsmem_tEENKUlT_SI_SJ_SK_E_clISD_PySD_S10_EESH_SX_SI_SJ_SK_EUlSX_E1_NS1_11comp_targetILNS1_3genE2ELNS1_11target_archE906ELNS1_3gpuE6ELNS1_3repE0EEENS1_36merge_oddeven_config_static_selectorELNS0_4arch9wavefront6targetE1EEEvSJ_.private_seg_size, 0
	.set _ZN7rocprim17ROCPRIM_400000_NS6detail17trampoline_kernelINS0_14default_configENS1_38merge_sort_block_merge_config_selectorIyyEEZZNS1_27merge_sort_block_merge_implIS3_N6thrust23THRUST_200600_302600_NS6detail15normal_iteratorINS8_10device_ptrIyEEEESD_jNS1_19radix_merge_compareILb0ELb1EyNS0_19identity_decomposerEEEEE10hipError_tT0_T1_T2_jT3_P12ihipStream_tbPNSt15iterator_traitsISI_E10value_typeEPNSO_ISJ_E10value_typeEPSK_NS1_7vsmem_tEENKUlT_SI_SJ_SK_E_clISD_PySD_S10_EESH_SX_SI_SJ_SK_EUlSX_E1_NS1_11comp_targetILNS1_3genE2ELNS1_11target_archE906ELNS1_3gpuE6ELNS1_3repE0EEENS1_36merge_oddeven_config_static_selectorELNS0_4arch9wavefront6targetE1EEEvSJ_.uses_vcc, 0
	.set _ZN7rocprim17ROCPRIM_400000_NS6detail17trampoline_kernelINS0_14default_configENS1_38merge_sort_block_merge_config_selectorIyyEEZZNS1_27merge_sort_block_merge_implIS3_N6thrust23THRUST_200600_302600_NS6detail15normal_iteratorINS8_10device_ptrIyEEEESD_jNS1_19radix_merge_compareILb0ELb1EyNS0_19identity_decomposerEEEEE10hipError_tT0_T1_T2_jT3_P12ihipStream_tbPNSt15iterator_traitsISI_E10value_typeEPNSO_ISJ_E10value_typeEPSK_NS1_7vsmem_tEENKUlT_SI_SJ_SK_E_clISD_PySD_S10_EESH_SX_SI_SJ_SK_EUlSX_E1_NS1_11comp_targetILNS1_3genE2ELNS1_11target_archE906ELNS1_3gpuE6ELNS1_3repE0EEENS1_36merge_oddeven_config_static_selectorELNS0_4arch9wavefront6targetE1EEEvSJ_.uses_flat_scratch, 0
	.set _ZN7rocprim17ROCPRIM_400000_NS6detail17trampoline_kernelINS0_14default_configENS1_38merge_sort_block_merge_config_selectorIyyEEZZNS1_27merge_sort_block_merge_implIS3_N6thrust23THRUST_200600_302600_NS6detail15normal_iteratorINS8_10device_ptrIyEEEESD_jNS1_19radix_merge_compareILb0ELb1EyNS0_19identity_decomposerEEEEE10hipError_tT0_T1_T2_jT3_P12ihipStream_tbPNSt15iterator_traitsISI_E10value_typeEPNSO_ISJ_E10value_typeEPSK_NS1_7vsmem_tEENKUlT_SI_SJ_SK_E_clISD_PySD_S10_EESH_SX_SI_SJ_SK_EUlSX_E1_NS1_11comp_targetILNS1_3genE2ELNS1_11target_archE906ELNS1_3gpuE6ELNS1_3repE0EEENS1_36merge_oddeven_config_static_selectorELNS0_4arch9wavefront6targetE1EEEvSJ_.has_dyn_sized_stack, 0
	.set _ZN7rocprim17ROCPRIM_400000_NS6detail17trampoline_kernelINS0_14default_configENS1_38merge_sort_block_merge_config_selectorIyyEEZZNS1_27merge_sort_block_merge_implIS3_N6thrust23THRUST_200600_302600_NS6detail15normal_iteratorINS8_10device_ptrIyEEEESD_jNS1_19radix_merge_compareILb0ELb1EyNS0_19identity_decomposerEEEEE10hipError_tT0_T1_T2_jT3_P12ihipStream_tbPNSt15iterator_traitsISI_E10value_typeEPNSO_ISJ_E10value_typeEPSK_NS1_7vsmem_tEENKUlT_SI_SJ_SK_E_clISD_PySD_S10_EESH_SX_SI_SJ_SK_EUlSX_E1_NS1_11comp_targetILNS1_3genE2ELNS1_11target_archE906ELNS1_3gpuE6ELNS1_3repE0EEENS1_36merge_oddeven_config_static_selectorELNS0_4arch9wavefront6targetE1EEEvSJ_.has_recursion, 0
	.set _ZN7rocprim17ROCPRIM_400000_NS6detail17trampoline_kernelINS0_14default_configENS1_38merge_sort_block_merge_config_selectorIyyEEZZNS1_27merge_sort_block_merge_implIS3_N6thrust23THRUST_200600_302600_NS6detail15normal_iteratorINS8_10device_ptrIyEEEESD_jNS1_19radix_merge_compareILb0ELb1EyNS0_19identity_decomposerEEEEE10hipError_tT0_T1_T2_jT3_P12ihipStream_tbPNSt15iterator_traitsISI_E10value_typeEPNSO_ISJ_E10value_typeEPSK_NS1_7vsmem_tEENKUlT_SI_SJ_SK_E_clISD_PySD_S10_EESH_SX_SI_SJ_SK_EUlSX_E1_NS1_11comp_targetILNS1_3genE2ELNS1_11target_archE906ELNS1_3gpuE6ELNS1_3repE0EEENS1_36merge_oddeven_config_static_selectorELNS0_4arch9wavefront6targetE1EEEvSJ_.has_indirect_call, 0
	.section	.AMDGPU.csdata,"",@progbits
; Kernel info:
; codeLenInByte = 0
; TotalNumSgprs: 6
; NumVgprs: 0
; NumAgprs: 0
; TotalNumVgprs: 0
; ScratchSize: 0
; MemoryBound: 0
; FloatMode: 240
; IeeeMode: 1
; LDSByteSize: 0 bytes/workgroup (compile time only)
; SGPRBlocks: 0
; VGPRBlocks: 0
; NumSGPRsForWavesPerEU: 6
; NumVGPRsForWavesPerEU: 1
; AccumOffset: 4
; Occupancy: 8
; WaveLimiterHint : 0
; COMPUTE_PGM_RSRC2:SCRATCH_EN: 0
; COMPUTE_PGM_RSRC2:USER_SGPR: 2
; COMPUTE_PGM_RSRC2:TRAP_HANDLER: 0
; COMPUTE_PGM_RSRC2:TGID_X_EN: 1
; COMPUTE_PGM_RSRC2:TGID_Y_EN: 0
; COMPUTE_PGM_RSRC2:TGID_Z_EN: 0
; COMPUTE_PGM_RSRC2:TIDIG_COMP_CNT: 0
; COMPUTE_PGM_RSRC3_GFX90A:ACCUM_OFFSET: 0
; COMPUTE_PGM_RSRC3_GFX90A:TG_SPLIT: 0
	.section	.text._ZN7rocprim17ROCPRIM_400000_NS6detail17trampoline_kernelINS0_14default_configENS1_38merge_sort_block_merge_config_selectorIyyEEZZNS1_27merge_sort_block_merge_implIS3_N6thrust23THRUST_200600_302600_NS6detail15normal_iteratorINS8_10device_ptrIyEEEESD_jNS1_19radix_merge_compareILb0ELb1EyNS0_19identity_decomposerEEEEE10hipError_tT0_T1_T2_jT3_P12ihipStream_tbPNSt15iterator_traitsISI_E10value_typeEPNSO_ISJ_E10value_typeEPSK_NS1_7vsmem_tEENKUlT_SI_SJ_SK_E_clISD_PySD_S10_EESH_SX_SI_SJ_SK_EUlSX_E1_NS1_11comp_targetILNS1_3genE9ELNS1_11target_archE1100ELNS1_3gpuE3ELNS1_3repE0EEENS1_36merge_oddeven_config_static_selectorELNS0_4arch9wavefront6targetE1EEEvSJ_,"axG",@progbits,_ZN7rocprim17ROCPRIM_400000_NS6detail17trampoline_kernelINS0_14default_configENS1_38merge_sort_block_merge_config_selectorIyyEEZZNS1_27merge_sort_block_merge_implIS3_N6thrust23THRUST_200600_302600_NS6detail15normal_iteratorINS8_10device_ptrIyEEEESD_jNS1_19radix_merge_compareILb0ELb1EyNS0_19identity_decomposerEEEEE10hipError_tT0_T1_T2_jT3_P12ihipStream_tbPNSt15iterator_traitsISI_E10value_typeEPNSO_ISJ_E10value_typeEPSK_NS1_7vsmem_tEENKUlT_SI_SJ_SK_E_clISD_PySD_S10_EESH_SX_SI_SJ_SK_EUlSX_E1_NS1_11comp_targetILNS1_3genE9ELNS1_11target_archE1100ELNS1_3gpuE3ELNS1_3repE0EEENS1_36merge_oddeven_config_static_selectorELNS0_4arch9wavefront6targetE1EEEvSJ_,comdat
	.protected	_ZN7rocprim17ROCPRIM_400000_NS6detail17trampoline_kernelINS0_14default_configENS1_38merge_sort_block_merge_config_selectorIyyEEZZNS1_27merge_sort_block_merge_implIS3_N6thrust23THRUST_200600_302600_NS6detail15normal_iteratorINS8_10device_ptrIyEEEESD_jNS1_19radix_merge_compareILb0ELb1EyNS0_19identity_decomposerEEEEE10hipError_tT0_T1_T2_jT3_P12ihipStream_tbPNSt15iterator_traitsISI_E10value_typeEPNSO_ISJ_E10value_typeEPSK_NS1_7vsmem_tEENKUlT_SI_SJ_SK_E_clISD_PySD_S10_EESH_SX_SI_SJ_SK_EUlSX_E1_NS1_11comp_targetILNS1_3genE9ELNS1_11target_archE1100ELNS1_3gpuE3ELNS1_3repE0EEENS1_36merge_oddeven_config_static_selectorELNS0_4arch9wavefront6targetE1EEEvSJ_ ; -- Begin function _ZN7rocprim17ROCPRIM_400000_NS6detail17trampoline_kernelINS0_14default_configENS1_38merge_sort_block_merge_config_selectorIyyEEZZNS1_27merge_sort_block_merge_implIS3_N6thrust23THRUST_200600_302600_NS6detail15normal_iteratorINS8_10device_ptrIyEEEESD_jNS1_19radix_merge_compareILb0ELb1EyNS0_19identity_decomposerEEEEE10hipError_tT0_T1_T2_jT3_P12ihipStream_tbPNSt15iterator_traitsISI_E10value_typeEPNSO_ISJ_E10value_typeEPSK_NS1_7vsmem_tEENKUlT_SI_SJ_SK_E_clISD_PySD_S10_EESH_SX_SI_SJ_SK_EUlSX_E1_NS1_11comp_targetILNS1_3genE9ELNS1_11target_archE1100ELNS1_3gpuE3ELNS1_3repE0EEENS1_36merge_oddeven_config_static_selectorELNS0_4arch9wavefront6targetE1EEEvSJ_
	.globl	_ZN7rocprim17ROCPRIM_400000_NS6detail17trampoline_kernelINS0_14default_configENS1_38merge_sort_block_merge_config_selectorIyyEEZZNS1_27merge_sort_block_merge_implIS3_N6thrust23THRUST_200600_302600_NS6detail15normal_iteratorINS8_10device_ptrIyEEEESD_jNS1_19radix_merge_compareILb0ELb1EyNS0_19identity_decomposerEEEEE10hipError_tT0_T1_T2_jT3_P12ihipStream_tbPNSt15iterator_traitsISI_E10value_typeEPNSO_ISJ_E10value_typeEPSK_NS1_7vsmem_tEENKUlT_SI_SJ_SK_E_clISD_PySD_S10_EESH_SX_SI_SJ_SK_EUlSX_E1_NS1_11comp_targetILNS1_3genE9ELNS1_11target_archE1100ELNS1_3gpuE3ELNS1_3repE0EEENS1_36merge_oddeven_config_static_selectorELNS0_4arch9wavefront6targetE1EEEvSJ_
	.p2align	8
	.type	_ZN7rocprim17ROCPRIM_400000_NS6detail17trampoline_kernelINS0_14default_configENS1_38merge_sort_block_merge_config_selectorIyyEEZZNS1_27merge_sort_block_merge_implIS3_N6thrust23THRUST_200600_302600_NS6detail15normal_iteratorINS8_10device_ptrIyEEEESD_jNS1_19radix_merge_compareILb0ELb1EyNS0_19identity_decomposerEEEEE10hipError_tT0_T1_T2_jT3_P12ihipStream_tbPNSt15iterator_traitsISI_E10value_typeEPNSO_ISJ_E10value_typeEPSK_NS1_7vsmem_tEENKUlT_SI_SJ_SK_E_clISD_PySD_S10_EESH_SX_SI_SJ_SK_EUlSX_E1_NS1_11comp_targetILNS1_3genE9ELNS1_11target_archE1100ELNS1_3gpuE3ELNS1_3repE0EEENS1_36merge_oddeven_config_static_selectorELNS0_4arch9wavefront6targetE1EEEvSJ_,@function
_ZN7rocprim17ROCPRIM_400000_NS6detail17trampoline_kernelINS0_14default_configENS1_38merge_sort_block_merge_config_selectorIyyEEZZNS1_27merge_sort_block_merge_implIS3_N6thrust23THRUST_200600_302600_NS6detail15normal_iteratorINS8_10device_ptrIyEEEESD_jNS1_19radix_merge_compareILb0ELb1EyNS0_19identity_decomposerEEEEE10hipError_tT0_T1_T2_jT3_P12ihipStream_tbPNSt15iterator_traitsISI_E10value_typeEPNSO_ISJ_E10value_typeEPSK_NS1_7vsmem_tEENKUlT_SI_SJ_SK_E_clISD_PySD_S10_EESH_SX_SI_SJ_SK_EUlSX_E1_NS1_11comp_targetILNS1_3genE9ELNS1_11target_archE1100ELNS1_3gpuE3ELNS1_3repE0EEENS1_36merge_oddeven_config_static_selectorELNS0_4arch9wavefront6targetE1EEEvSJ_: ; @_ZN7rocprim17ROCPRIM_400000_NS6detail17trampoline_kernelINS0_14default_configENS1_38merge_sort_block_merge_config_selectorIyyEEZZNS1_27merge_sort_block_merge_implIS3_N6thrust23THRUST_200600_302600_NS6detail15normal_iteratorINS8_10device_ptrIyEEEESD_jNS1_19radix_merge_compareILb0ELb1EyNS0_19identity_decomposerEEEEE10hipError_tT0_T1_T2_jT3_P12ihipStream_tbPNSt15iterator_traitsISI_E10value_typeEPNSO_ISJ_E10value_typeEPSK_NS1_7vsmem_tEENKUlT_SI_SJ_SK_E_clISD_PySD_S10_EESH_SX_SI_SJ_SK_EUlSX_E1_NS1_11comp_targetILNS1_3genE9ELNS1_11target_archE1100ELNS1_3gpuE3ELNS1_3repE0EEENS1_36merge_oddeven_config_static_selectorELNS0_4arch9wavefront6targetE1EEEvSJ_
; %bb.0:
	.section	.rodata,"a",@progbits
	.p2align	6, 0x0
	.amdhsa_kernel _ZN7rocprim17ROCPRIM_400000_NS6detail17trampoline_kernelINS0_14default_configENS1_38merge_sort_block_merge_config_selectorIyyEEZZNS1_27merge_sort_block_merge_implIS3_N6thrust23THRUST_200600_302600_NS6detail15normal_iteratorINS8_10device_ptrIyEEEESD_jNS1_19radix_merge_compareILb0ELb1EyNS0_19identity_decomposerEEEEE10hipError_tT0_T1_T2_jT3_P12ihipStream_tbPNSt15iterator_traitsISI_E10value_typeEPNSO_ISJ_E10value_typeEPSK_NS1_7vsmem_tEENKUlT_SI_SJ_SK_E_clISD_PySD_S10_EESH_SX_SI_SJ_SK_EUlSX_E1_NS1_11comp_targetILNS1_3genE9ELNS1_11target_archE1100ELNS1_3gpuE3ELNS1_3repE0EEENS1_36merge_oddeven_config_static_selectorELNS0_4arch9wavefront6targetE1EEEvSJ_
		.amdhsa_group_segment_fixed_size 0
		.amdhsa_private_segment_fixed_size 0
		.amdhsa_kernarg_size 48
		.amdhsa_user_sgpr_count 2
		.amdhsa_user_sgpr_dispatch_ptr 0
		.amdhsa_user_sgpr_queue_ptr 0
		.amdhsa_user_sgpr_kernarg_segment_ptr 1
		.amdhsa_user_sgpr_dispatch_id 0
		.amdhsa_user_sgpr_kernarg_preload_length 0
		.amdhsa_user_sgpr_kernarg_preload_offset 0
		.amdhsa_user_sgpr_private_segment_size 0
		.amdhsa_uses_dynamic_stack 0
		.amdhsa_enable_private_segment 0
		.amdhsa_system_sgpr_workgroup_id_x 1
		.amdhsa_system_sgpr_workgroup_id_y 0
		.amdhsa_system_sgpr_workgroup_id_z 0
		.amdhsa_system_sgpr_workgroup_info 0
		.amdhsa_system_vgpr_workitem_id 0
		.amdhsa_next_free_vgpr 1
		.amdhsa_next_free_sgpr 0
		.amdhsa_accum_offset 4
		.amdhsa_reserve_vcc 0
		.amdhsa_float_round_mode_32 0
		.amdhsa_float_round_mode_16_64 0
		.amdhsa_float_denorm_mode_32 3
		.amdhsa_float_denorm_mode_16_64 3
		.amdhsa_dx10_clamp 1
		.amdhsa_ieee_mode 1
		.amdhsa_fp16_overflow 0
		.amdhsa_tg_split 0
		.amdhsa_exception_fp_ieee_invalid_op 0
		.amdhsa_exception_fp_denorm_src 0
		.amdhsa_exception_fp_ieee_div_zero 0
		.amdhsa_exception_fp_ieee_overflow 0
		.amdhsa_exception_fp_ieee_underflow 0
		.amdhsa_exception_fp_ieee_inexact 0
		.amdhsa_exception_int_div_zero 0
	.end_amdhsa_kernel
	.section	.text._ZN7rocprim17ROCPRIM_400000_NS6detail17trampoline_kernelINS0_14default_configENS1_38merge_sort_block_merge_config_selectorIyyEEZZNS1_27merge_sort_block_merge_implIS3_N6thrust23THRUST_200600_302600_NS6detail15normal_iteratorINS8_10device_ptrIyEEEESD_jNS1_19radix_merge_compareILb0ELb1EyNS0_19identity_decomposerEEEEE10hipError_tT0_T1_T2_jT3_P12ihipStream_tbPNSt15iterator_traitsISI_E10value_typeEPNSO_ISJ_E10value_typeEPSK_NS1_7vsmem_tEENKUlT_SI_SJ_SK_E_clISD_PySD_S10_EESH_SX_SI_SJ_SK_EUlSX_E1_NS1_11comp_targetILNS1_3genE9ELNS1_11target_archE1100ELNS1_3gpuE3ELNS1_3repE0EEENS1_36merge_oddeven_config_static_selectorELNS0_4arch9wavefront6targetE1EEEvSJ_,"axG",@progbits,_ZN7rocprim17ROCPRIM_400000_NS6detail17trampoline_kernelINS0_14default_configENS1_38merge_sort_block_merge_config_selectorIyyEEZZNS1_27merge_sort_block_merge_implIS3_N6thrust23THRUST_200600_302600_NS6detail15normal_iteratorINS8_10device_ptrIyEEEESD_jNS1_19radix_merge_compareILb0ELb1EyNS0_19identity_decomposerEEEEE10hipError_tT0_T1_T2_jT3_P12ihipStream_tbPNSt15iterator_traitsISI_E10value_typeEPNSO_ISJ_E10value_typeEPSK_NS1_7vsmem_tEENKUlT_SI_SJ_SK_E_clISD_PySD_S10_EESH_SX_SI_SJ_SK_EUlSX_E1_NS1_11comp_targetILNS1_3genE9ELNS1_11target_archE1100ELNS1_3gpuE3ELNS1_3repE0EEENS1_36merge_oddeven_config_static_selectorELNS0_4arch9wavefront6targetE1EEEvSJ_,comdat
.Lfunc_end499:
	.size	_ZN7rocprim17ROCPRIM_400000_NS6detail17trampoline_kernelINS0_14default_configENS1_38merge_sort_block_merge_config_selectorIyyEEZZNS1_27merge_sort_block_merge_implIS3_N6thrust23THRUST_200600_302600_NS6detail15normal_iteratorINS8_10device_ptrIyEEEESD_jNS1_19radix_merge_compareILb0ELb1EyNS0_19identity_decomposerEEEEE10hipError_tT0_T1_T2_jT3_P12ihipStream_tbPNSt15iterator_traitsISI_E10value_typeEPNSO_ISJ_E10value_typeEPSK_NS1_7vsmem_tEENKUlT_SI_SJ_SK_E_clISD_PySD_S10_EESH_SX_SI_SJ_SK_EUlSX_E1_NS1_11comp_targetILNS1_3genE9ELNS1_11target_archE1100ELNS1_3gpuE3ELNS1_3repE0EEENS1_36merge_oddeven_config_static_selectorELNS0_4arch9wavefront6targetE1EEEvSJ_, .Lfunc_end499-_ZN7rocprim17ROCPRIM_400000_NS6detail17trampoline_kernelINS0_14default_configENS1_38merge_sort_block_merge_config_selectorIyyEEZZNS1_27merge_sort_block_merge_implIS3_N6thrust23THRUST_200600_302600_NS6detail15normal_iteratorINS8_10device_ptrIyEEEESD_jNS1_19radix_merge_compareILb0ELb1EyNS0_19identity_decomposerEEEEE10hipError_tT0_T1_T2_jT3_P12ihipStream_tbPNSt15iterator_traitsISI_E10value_typeEPNSO_ISJ_E10value_typeEPSK_NS1_7vsmem_tEENKUlT_SI_SJ_SK_E_clISD_PySD_S10_EESH_SX_SI_SJ_SK_EUlSX_E1_NS1_11comp_targetILNS1_3genE9ELNS1_11target_archE1100ELNS1_3gpuE3ELNS1_3repE0EEENS1_36merge_oddeven_config_static_selectorELNS0_4arch9wavefront6targetE1EEEvSJ_
                                        ; -- End function
	.set _ZN7rocprim17ROCPRIM_400000_NS6detail17trampoline_kernelINS0_14default_configENS1_38merge_sort_block_merge_config_selectorIyyEEZZNS1_27merge_sort_block_merge_implIS3_N6thrust23THRUST_200600_302600_NS6detail15normal_iteratorINS8_10device_ptrIyEEEESD_jNS1_19radix_merge_compareILb0ELb1EyNS0_19identity_decomposerEEEEE10hipError_tT0_T1_T2_jT3_P12ihipStream_tbPNSt15iterator_traitsISI_E10value_typeEPNSO_ISJ_E10value_typeEPSK_NS1_7vsmem_tEENKUlT_SI_SJ_SK_E_clISD_PySD_S10_EESH_SX_SI_SJ_SK_EUlSX_E1_NS1_11comp_targetILNS1_3genE9ELNS1_11target_archE1100ELNS1_3gpuE3ELNS1_3repE0EEENS1_36merge_oddeven_config_static_selectorELNS0_4arch9wavefront6targetE1EEEvSJ_.num_vgpr, 0
	.set _ZN7rocprim17ROCPRIM_400000_NS6detail17trampoline_kernelINS0_14default_configENS1_38merge_sort_block_merge_config_selectorIyyEEZZNS1_27merge_sort_block_merge_implIS3_N6thrust23THRUST_200600_302600_NS6detail15normal_iteratorINS8_10device_ptrIyEEEESD_jNS1_19radix_merge_compareILb0ELb1EyNS0_19identity_decomposerEEEEE10hipError_tT0_T1_T2_jT3_P12ihipStream_tbPNSt15iterator_traitsISI_E10value_typeEPNSO_ISJ_E10value_typeEPSK_NS1_7vsmem_tEENKUlT_SI_SJ_SK_E_clISD_PySD_S10_EESH_SX_SI_SJ_SK_EUlSX_E1_NS1_11comp_targetILNS1_3genE9ELNS1_11target_archE1100ELNS1_3gpuE3ELNS1_3repE0EEENS1_36merge_oddeven_config_static_selectorELNS0_4arch9wavefront6targetE1EEEvSJ_.num_agpr, 0
	.set _ZN7rocprim17ROCPRIM_400000_NS6detail17trampoline_kernelINS0_14default_configENS1_38merge_sort_block_merge_config_selectorIyyEEZZNS1_27merge_sort_block_merge_implIS3_N6thrust23THRUST_200600_302600_NS6detail15normal_iteratorINS8_10device_ptrIyEEEESD_jNS1_19radix_merge_compareILb0ELb1EyNS0_19identity_decomposerEEEEE10hipError_tT0_T1_T2_jT3_P12ihipStream_tbPNSt15iterator_traitsISI_E10value_typeEPNSO_ISJ_E10value_typeEPSK_NS1_7vsmem_tEENKUlT_SI_SJ_SK_E_clISD_PySD_S10_EESH_SX_SI_SJ_SK_EUlSX_E1_NS1_11comp_targetILNS1_3genE9ELNS1_11target_archE1100ELNS1_3gpuE3ELNS1_3repE0EEENS1_36merge_oddeven_config_static_selectorELNS0_4arch9wavefront6targetE1EEEvSJ_.numbered_sgpr, 0
	.set _ZN7rocprim17ROCPRIM_400000_NS6detail17trampoline_kernelINS0_14default_configENS1_38merge_sort_block_merge_config_selectorIyyEEZZNS1_27merge_sort_block_merge_implIS3_N6thrust23THRUST_200600_302600_NS6detail15normal_iteratorINS8_10device_ptrIyEEEESD_jNS1_19radix_merge_compareILb0ELb1EyNS0_19identity_decomposerEEEEE10hipError_tT0_T1_T2_jT3_P12ihipStream_tbPNSt15iterator_traitsISI_E10value_typeEPNSO_ISJ_E10value_typeEPSK_NS1_7vsmem_tEENKUlT_SI_SJ_SK_E_clISD_PySD_S10_EESH_SX_SI_SJ_SK_EUlSX_E1_NS1_11comp_targetILNS1_3genE9ELNS1_11target_archE1100ELNS1_3gpuE3ELNS1_3repE0EEENS1_36merge_oddeven_config_static_selectorELNS0_4arch9wavefront6targetE1EEEvSJ_.num_named_barrier, 0
	.set _ZN7rocprim17ROCPRIM_400000_NS6detail17trampoline_kernelINS0_14default_configENS1_38merge_sort_block_merge_config_selectorIyyEEZZNS1_27merge_sort_block_merge_implIS3_N6thrust23THRUST_200600_302600_NS6detail15normal_iteratorINS8_10device_ptrIyEEEESD_jNS1_19radix_merge_compareILb0ELb1EyNS0_19identity_decomposerEEEEE10hipError_tT0_T1_T2_jT3_P12ihipStream_tbPNSt15iterator_traitsISI_E10value_typeEPNSO_ISJ_E10value_typeEPSK_NS1_7vsmem_tEENKUlT_SI_SJ_SK_E_clISD_PySD_S10_EESH_SX_SI_SJ_SK_EUlSX_E1_NS1_11comp_targetILNS1_3genE9ELNS1_11target_archE1100ELNS1_3gpuE3ELNS1_3repE0EEENS1_36merge_oddeven_config_static_selectorELNS0_4arch9wavefront6targetE1EEEvSJ_.private_seg_size, 0
	.set _ZN7rocprim17ROCPRIM_400000_NS6detail17trampoline_kernelINS0_14default_configENS1_38merge_sort_block_merge_config_selectorIyyEEZZNS1_27merge_sort_block_merge_implIS3_N6thrust23THRUST_200600_302600_NS6detail15normal_iteratorINS8_10device_ptrIyEEEESD_jNS1_19radix_merge_compareILb0ELb1EyNS0_19identity_decomposerEEEEE10hipError_tT0_T1_T2_jT3_P12ihipStream_tbPNSt15iterator_traitsISI_E10value_typeEPNSO_ISJ_E10value_typeEPSK_NS1_7vsmem_tEENKUlT_SI_SJ_SK_E_clISD_PySD_S10_EESH_SX_SI_SJ_SK_EUlSX_E1_NS1_11comp_targetILNS1_3genE9ELNS1_11target_archE1100ELNS1_3gpuE3ELNS1_3repE0EEENS1_36merge_oddeven_config_static_selectorELNS0_4arch9wavefront6targetE1EEEvSJ_.uses_vcc, 0
	.set _ZN7rocprim17ROCPRIM_400000_NS6detail17trampoline_kernelINS0_14default_configENS1_38merge_sort_block_merge_config_selectorIyyEEZZNS1_27merge_sort_block_merge_implIS3_N6thrust23THRUST_200600_302600_NS6detail15normal_iteratorINS8_10device_ptrIyEEEESD_jNS1_19radix_merge_compareILb0ELb1EyNS0_19identity_decomposerEEEEE10hipError_tT0_T1_T2_jT3_P12ihipStream_tbPNSt15iterator_traitsISI_E10value_typeEPNSO_ISJ_E10value_typeEPSK_NS1_7vsmem_tEENKUlT_SI_SJ_SK_E_clISD_PySD_S10_EESH_SX_SI_SJ_SK_EUlSX_E1_NS1_11comp_targetILNS1_3genE9ELNS1_11target_archE1100ELNS1_3gpuE3ELNS1_3repE0EEENS1_36merge_oddeven_config_static_selectorELNS0_4arch9wavefront6targetE1EEEvSJ_.uses_flat_scratch, 0
	.set _ZN7rocprim17ROCPRIM_400000_NS6detail17trampoline_kernelINS0_14default_configENS1_38merge_sort_block_merge_config_selectorIyyEEZZNS1_27merge_sort_block_merge_implIS3_N6thrust23THRUST_200600_302600_NS6detail15normal_iteratorINS8_10device_ptrIyEEEESD_jNS1_19radix_merge_compareILb0ELb1EyNS0_19identity_decomposerEEEEE10hipError_tT0_T1_T2_jT3_P12ihipStream_tbPNSt15iterator_traitsISI_E10value_typeEPNSO_ISJ_E10value_typeEPSK_NS1_7vsmem_tEENKUlT_SI_SJ_SK_E_clISD_PySD_S10_EESH_SX_SI_SJ_SK_EUlSX_E1_NS1_11comp_targetILNS1_3genE9ELNS1_11target_archE1100ELNS1_3gpuE3ELNS1_3repE0EEENS1_36merge_oddeven_config_static_selectorELNS0_4arch9wavefront6targetE1EEEvSJ_.has_dyn_sized_stack, 0
	.set _ZN7rocprim17ROCPRIM_400000_NS6detail17trampoline_kernelINS0_14default_configENS1_38merge_sort_block_merge_config_selectorIyyEEZZNS1_27merge_sort_block_merge_implIS3_N6thrust23THRUST_200600_302600_NS6detail15normal_iteratorINS8_10device_ptrIyEEEESD_jNS1_19radix_merge_compareILb0ELb1EyNS0_19identity_decomposerEEEEE10hipError_tT0_T1_T2_jT3_P12ihipStream_tbPNSt15iterator_traitsISI_E10value_typeEPNSO_ISJ_E10value_typeEPSK_NS1_7vsmem_tEENKUlT_SI_SJ_SK_E_clISD_PySD_S10_EESH_SX_SI_SJ_SK_EUlSX_E1_NS1_11comp_targetILNS1_3genE9ELNS1_11target_archE1100ELNS1_3gpuE3ELNS1_3repE0EEENS1_36merge_oddeven_config_static_selectorELNS0_4arch9wavefront6targetE1EEEvSJ_.has_recursion, 0
	.set _ZN7rocprim17ROCPRIM_400000_NS6detail17trampoline_kernelINS0_14default_configENS1_38merge_sort_block_merge_config_selectorIyyEEZZNS1_27merge_sort_block_merge_implIS3_N6thrust23THRUST_200600_302600_NS6detail15normal_iteratorINS8_10device_ptrIyEEEESD_jNS1_19radix_merge_compareILb0ELb1EyNS0_19identity_decomposerEEEEE10hipError_tT0_T1_T2_jT3_P12ihipStream_tbPNSt15iterator_traitsISI_E10value_typeEPNSO_ISJ_E10value_typeEPSK_NS1_7vsmem_tEENKUlT_SI_SJ_SK_E_clISD_PySD_S10_EESH_SX_SI_SJ_SK_EUlSX_E1_NS1_11comp_targetILNS1_3genE9ELNS1_11target_archE1100ELNS1_3gpuE3ELNS1_3repE0EEENS1_36merge_oddeven_config_static_selectorELNS0_4arch9wavefront6targetE1EEEvSJ_.has_indirect_call, 0
	.section	.AMDGPU.csdata,"",@progbits
; Kernel info:
; codeLenInByte = 0
; TotalNumSgprs: 6
; NumVgprs: 0
; NumAgprs: 0
; TotalNumVgprs: 0
; ScratchSize: 0
; MemoryBound: 0
; FloatMode: 240
; IeeeMode: 1
; LDSByteSize: 0 bytes/workgroup (compile time only)
; SGPRBlocks: 0
; VGPRBlocks: 0
; NumSGPRsForWavesPerEU: 6
; NumVGPRsForWavesPerEU: 1
; AccumOffset: 4
; Occupancy: 8
; WaveLimiterHint : 0
; COMPUTE_PGM_RSRC2:SCRATCH_EN: 0
; COMPUTE_PGM_RSRC2:USER_SGPR: 2
; COMPUTE_PGM_RSRC2:TRAP_HANDLER: 0
; COMPUTE_PGM_RSRC2:TGID_X_EN: 1
; COMPUTE_PGM_RSRC2:TGID_Y_EN: 0
; COMPUTE_PGM_RSRC2:TGID_Z_EN: 0
; COMPUTE_PGM_RSRC2:TIDIG_COMP_CNT: 0
; COMPUTE_PGM_RSRC3_GFX90A:ACCUM_OFFSET: 0
; COMPUTE_PGM_RSRC3_GFX90A:TG_SPLIT: 0
	.section	.text._ZN7rocprim17ROCPRIM_400000_NS6detail17trampoline_kernelINS0_14default_configENS1_38merge_sort_block_merge_config_selectorIyyEEZZNS1_27merge_sort_block_merge_implIS3_N6thrust23THRUST_200600_302600_NS6detail15normal_iteratorINS8_10device_ptrIyEEEESD_jNS1_19radix_merge_compareILb0ELb1EyNS0_19identity_decomposerEEEEE10hipError_tT0_T1_T2_jT3_P12ihipStream_tbPNSt15iterator_traitsISI_E10value_typeEPNSO_ISJ_E10value_typeEPSK_NS1_7vsmem_tEENKUlT_SI_SJ_SK_E_clISD_PySD_S10_EESH_SX_SI_SJ_SK_EUlSX_E1_NS1_11comp_targetILNS1_3genE8ELNS1_11target_archE1030ELNS1_3gpuE2ELNS1_3repE0EEENS1_36merge_oddeven_config_static_selectorELNS0_4arch9wavefront6targetE1EEEvSJ_,"axG",@progbits,_ZN7rocprim17ROCPRIM_400000_NS6detail17trampoline_kernelINS0_14default_configENS1_38merge_sort_block_merge_config_selectorIyyEEZZNS1_27merge_sort_block_merge_implIS3_N6thrust23THRUST_200600_302600_NS6detail15normal_iteratorINS8_10device_ptrIyEEEESD_jNS1_19radix_merge_compareILb0ELb1EyNS0_19identity_decomposerEEEEE10hipError_tT0_T1_T2_jT3_P12ihipStream_tbPNSt15iterator_traitsISI_E10value_typeEPNSO_ISJ_E10value_typeEPSK_NS1_7vsmem_tEENKUlT_SI_SJ_SK_E_clISD_PySD_S10_EESH_SX_SI_SJ_SK_EUlSX_E1_NS1_11comp_targetILNS1_3genE8ELNS1_11target_archE1030ELNS1_3gpuE2ELNS1_3repE0EEENS1_36merge_oddeven_config_static_selectorELNS0_4arch9wavefront6targetE1EEEvSJ_,comdat
	.protected	_ZN7rocprim17ROCPRIM_400000_NS6detail17trampoline_kernelINS0_14default_configENS1_38merge_sort_block_merge_config_selectorIyyEEZZNS1_27merge_sort_block_merge_implIS3_N6thrust23THRUST_200600_302600_NS6detail15normal_iteratorINS8_10device_ptrIyEEEESD_jNS1_19radix_merge_compareILb0ELb1EyNS0_19identity_decomposerEEEEE10hipError_tT0_T1_T2_jT3_P12ihipStream_tbPNSt15iterator_traitsISI_E10value_typeEPNSO_ISJ_E10value_typeEPSK_NS1_7vsmem_tEENKUlT_SI_SJ_SK_E_clISD_PySD_S10_EESH_SX_SI_SJ_SK_EUlSX_E1_NS1_11comp_targetILNS1_3genE8ELNS1_11target_archE1030ELNS1_3gpuE2ELNS1_3repE0EEENS1_36merge_oddeven_config_static_selectorELNS0_4arch9wavefront6targetE1EEEvSJ_ ; -- Begin function _ZN7rocprim17ROCPRIM_400000_NS6detail17trampoline_kernelINS0_14default_configENS1_38merge_sort_block_merge_config_selectorIyyEEZZNS1_27merge_sort_block_merge_implIS3_N6thrust23THRUST_200600_302600_NS6detail15normal_iteratorINS8_10device_ptrIyEEEESD_jNS1_19radix_merge_compareILb0ELb1EyNS0_19identity_decomposerEEEEE10hipError_tT0_T1_T2_jT3_P12ihipStream_tbPNSt15iterator_traitsISI_E10value_typeEPNSO_ISJ_E10value_typeEPSK_NS1_7vsmem_tEENKUlT_SI_SJ_SK_E_clISD_PySD_S10_EESH_SX_SI_SJ_SK_EUlSX_E1_NS1_11comp_targetILNS1_3genE8ELNS1_11target_archE1030ELNS1_3gpuE2ELNS1_3repE0EEENS1_36merge_oddeven_config_static_selectorELNS0_4arch9wavefront6targetE1EEEvSJ_
	.globl	_ZN7rocprim17ROCPRIM_400000_NS6detail17trampoline_kernelINS0_14default_configENS1_38merge_sort_block_merge_config_selectorIyyEEZZNS1_27merge_sort_block_merge_implIS3_N6thrust23THRUST_200600_302600_NS6detail15normal_iteratorINS8_10device_ptrIyEEEESD_jNS1_19radix_merge_compareILb0ELb1EyNS0_19identity_decomposerEEEEE10hipError_tT0_T1_T2_jT3_P12ihipStream_tbPNSt15iterator_traitsISI_E10value_typeEPNSO_ISJ_E10value_typeEPSK_NS1_7vsmem_tEENKUlT_SI_SJ_SK_E_clISD_PySD_S10_EESH_SX_SI_SJ_SK_EUlSX_E1_NS1_11comp_targetILNS1_3genE8ELNS1_11target_archE1030ELNS1_3gpuE2ELNS1_3repE0EEENS1_36merge_oddeven_config_static_selectorELNS0_4arch9wavefront6targetE1EEEvSJ_
	.p2align	8
	.type	_ZN7rocprim17ROCPRIM_400000_NS6detail17trampoline_kernelINS0_14default_configENS1_38merge_sort_block_merge_config_selectorIyyEEZZNS1_27merge_sort_block_merge_implIS3_N6thrust23THRUST_200600_302600_NS6detail15normal_iteratorINS8_10device_ptrIyEEEESD_jNS1_19radix_merge_compareILb0ELb1EyNS0_19identity_decomposerEEEEE10hipError_tT0_T1_T2_jT3_P12ihipStream_tbPNSt15iterator_traitsISI_E10value_typeEPNSO_ISJ_E10value_typeEPSK_NS1_7vsmem_tEENKUlT_SI_SJ_SK_E_clISD_PySD_S10_EESH_SX_SI_SJ_SK_EUlSX_E1_NS1_11comp_targetILNS1_3genE8ELNS1_11target_archE1030ELNS1_3gpuE2ELNS1_3repE0EEENS1_36merge_oddeven_config_static_selectorELNS0_4arch9wavefront6targetE1EEEvSJ_,@function
_ZN7rocprim17ROCPRIM_400000_NS6detail17trampoline_kernelINS0_14default_configENS1_38merge_sort_block_merge_config_selectorIyyEEZZNS1_27merge_sort_block_merge_implIS3_N6thrust23THRUST_200600_302600_NS6detail15normal_iteratorINS8_10device_ptrIyEEEESD_jNS1_19radix_merge_compareILb0ELb1EyNS0_19identity_decomposerEEEEE10hipError_tT0_T1_T2_jT3_P12ihipStream_tbPNSt15iterator_traitsISI_E10value_typeEPNSO_ISJ_E10value_typeEPSK_NS1_7vsmem_tEENKUlT_SI_SJ_SK_E_clISD_PySD_S10_EESH_SX_SI_SJ_SK_EUlSX_E1_NS1_11comp_targetILNS1_3genE8ELNS1_11target_archE1030ELNS1_3gpuE2ELNS1_3repE0EEENS1_36merge_oddeven_config_static_selectorELNS0_4arch9wavefront6targetE1EEEvSJ_: ; @_ZN7rocprim17ROCPRIM_400000_NS6detail17trampoline_kernelINS0_14default_configENS1_38merge_sort_block_merge_config_selectorIyyEEZZNS1_27merge_sort_block_merge_implIS3_N6thrust23THRUST_200600_302600_NS6detail15normal_iteratorINS8_10device_ptrIyEEEESD_jNS1_19radix_merge_compareILb0ELb1EyNS0_19identity_decomposerEEEEE10hipError_tT0_T1_T2_jT3_P12ihipStream_tbPNSt15iterator_traitsISI_E10value_typeEPNSO_ISJ_E10value_typeEPSK_NS1_7vsmem_tEENKUlT_SI_SJ_SK_E_clISD_PySD_S10_EESH_SX_SI_SJ_SK_EUlSX_E1_NS1_11comp_targetILNS1_3genE8ELNS1_11target_archE1030ELNS1_3gpuE2ELNS1_3repE0EEENS1_36merge_oddeven_config_static_selectorELNS0_4arch9wavefront6targetE1EEEvSJ_
; %bb.0:
	.section	.rodata,"a",@progbits
	.p2align	6, 0x0
	.amdhsa_kernel _ZN7rocprim17ROCPRIM_400000_NS6detail17trampoline_kernelINS0_14default_configENS1_38merge_sort_block_merge_config_selectorIyyEEZZNS1_27merge_sort_block_merge_implIS3_N6thrust23THRUST_200600_302600_NS6detail15normal_iteratorINS8_10device_ptrIyEEEESD_jNS1_19radix_merge_compareILb0ELb1EyNS0_19identity_decomposerEEEEE10hipError_tT0_T1_T2_jT3_P12ihipStream_tbPNSt15iterator_traitsISI_E10value_typeEPNSO_ISJ_E10value_typeEPSK_NS1_7vsmem_tEENKUlT_SI_SJ_SK_E_clISD_PySD_S10_EESH_SX_SI_SJ_SK_EUlSX_E1_NS1_11comp_targetILNS1_3genE8ELNS1_11target_archE1030ELNS1_3gpuE2ELNS1_3repE0EEENS1_36merge_oddeven_config_static_selectorELNS0_4arch9wavefront6targetE1EEEvSJ_
		.amdhsa_group_segment_fixed_size 0
		.amdhsa_private_segment_fixed_size 0
		.amdhsa_kernarg_size 48
		.amdhsa_user_sgpr_count 2
		.amdhsa_user_sgpr_dispatch_ptr 0
		.amdhsa_user_sgpr_queue_ptr 0
		.amdhsa_user_sgpr_kernarg_segment_ptr 1
		.amdhsa_user_sgpr_dispatch_id 0
		.amdhsa_user_sgpr_kernarg_preload_length 0
		.amdhsa_user_sgpr_kernarg_preload_offset 0
		.amdhsa_user_sgpr_private_segment_size 0
		.amdhsa_uses_dynamic_stack 0
		.amdhsa_enable_private_segment 0
		.amdhsa_system_sgpr_workgroup_id_x 1
		.amdhsa_system_sgpr_workgroup_id_y 0
		.amdhsa_system_sgpr_workgroup_id_z 0
		.amdhsa_system_sgpr_workgroup_info 0
		.amdhsa_system_vgpr_workitem_id 0
		.amdhsa_next_free_vgpr 1
		.amdhsa_next_free_sgpr 0
		.amdhsa_accum_offset 4
		.amdhsa_reserve_vcc 0
		.amdhsa_float_round_mode_32 0
		.amdhsa_float_round_mode_16_64 0
		.amdhsa_float_denorm_mode_32 3
		.amdhsa_float_denorm_mode_16_64 3
		.amdhsa_dx10_clamp 1
		.amdhsa_ieee_mode 1
		.amdhsa_fp16_overflow 0
		.amdhsa_tg_split 0
		.amdhsa_exception_fp_ieee_invalid_op 0
		.amdhsa_exception_fp_denorm_src 0
		.amdhsa_exception_fp_ieee_div_zero 0
		.amdhsa_exception_fp_ieee_overflow 0
		.amdhsa_exception_fp_ieee_underflow 0
		.amdhsa_exception_fp_ieee_inexact 0
		.amdhsa_exception_int_div_zero 0
	.end_amdhsa_kernel
	.section	.text._ZN7rocprim17ROCPRIM_400000_NS6detail17trampoline_kernelINS0_14default_configENS1_38merge_sort_block_merge_config_selectorIyyEEZZNS1_27merge_sort_block_merge_implIS3_N6thrust23THRUST_200600_302600_NS6detail15normal_iteratorINS8_10device_ptrIyEEEESD_jNS1_19radix_merge_compareILb0ELb1EyNS0_19identity_decomposerEEEEE10hipError_tT0_T1_T2_jT3_P12ihipStream_tbPNSt15iterator_traitsISI_E10value_typeEPNSO_ISJ_E10value_typeEPSK_NS1_7vsmem_tEENKUlT_SI_SJ_SK_E_clISD_PySD_S10_EESH_SX_SI_SJ_SK_EUlSX_E1_NS1_11comp_targetILNS1_3genE8ELNS1_11target_archE1030ELNS1_3gpuE2ELNS1_3repE0EEENS1_36merge_oddeven_config_static_selectorELNS0_4arch9wavefront6targetE1EEEvSJ_,"axG",@progbits,_ZN7rocprim17ROCPRIM_400000_NS6detail17trampoline_kernelINS0_14default_configENS1_38merge_sort_block_merge_config_selectorIyyEEZZNS1_27merge_sort_block_merge_implIS3_N6thrust23THRUST_200600_302600_NS6detail15normal_iteratorINS8_10device_ptrIyEEEESD_jNS1_19radix_merge_compareILb0ELb1EyNS0_19identity_decomposerEEEEE10hipError_tT0_T1_T2_jT3_P12ihipStream_tbPNSt15iterator_traitsISI_E10value_typeEPNSO_ISJ_E10value_typeEPSK_NS1_7vsmem_tEENKUlT_SI_SJ_SK_E_clISD_PySD_S10_EESH_SX_SI_SJ_SK_EUlSX_E1_NS1_11comp_targetILNS1_3genE8ELNS1_11target_archE1030ELNS1_3gpuE2ELNS1_3repE0EEENS1_36merge_oddeven_config_static_selectorELNS0_4arch9wavefront6targetE1EEEvSJ_,comdat
.Lfunc_end500:
	.size	_ZN7rocprim17ROCPRIM_400000_NS6detail17trampoline_kernelINS0_14default_configENS1_38merge_sort_block_merge_config_selectorIyyEEZZNS1_27merge_sort_block_merge_implIS3_N6thrust23THRUST_200600_302600_NS6detail15normal_iteratorINS8_10device_ptrIyEEEESD_jNS1_19radix_merge_compareILb0ELb1EyNS0_19identity_decomposerEEEEE10hipError_tT0_T1_T2_jT3_P12ihipStream_tbPNSt15iterator_traitsISI_E10value_typeEPNSO_ISJ_E10value_typeEPSK_NS1_7vsmem_tEENKUlT_SI_SJ_SK_E_clISD_PySD_S10_EESH_SX_SI_SJ_SK_EUlSX_E1_NS1_11comp_targetILNS1_3genE8ELNS1_11target_archE1030ELNS1_3gpuE2ELNS1_3repE0EEENS1_36merge_oddeven_config_static_selectorELNS0_4arch9wavefront6targetE1EEEvSJ_, .Lfunc_end500-_ZN7rocprim17ROCPRIM_400000_NS6detail17trampoline_kernelINS0_14default_configENS1_38merge_sort_block_merge_config_selectorIyyEEZZNS1_27merge_sort_block_merge_implIS3_N6thrust23THRUST_200600_302600_NS6detail15normal_iteratorINS8_10device_ptrIyEEEESD_jNS1_19radix_merge_compareILb0ELb1EyNS0_19identity_decomposerEEEEE10hipError_tT0_T1_T2_jT3_P12ihipStream_tbPNSt15iterator_traitsISI_E10value_typeEPNSO_ISJ_E10value_typeEPSK_NS1_7vsmem_tEENKUlT_SI_SJ_SK_E_clISD_PySD_S10_EESH_SX_SI_SJ_SK_EUlSX_E1_NS1_11comp_targetILNS1_3genE8ELNS1_11target_archE1030ELNS1_3gpuE2ELNS1_3repE0EEENS1_36merge_oddeven_config_static_selectorELNS0_4arch9wavefront6targetE1EEEvSJ_
                                        ; -- End function
	.set _ZN7rocprim17ROCPRIM_400000_NS6detail17trampoline_kernelINS0_14default_configENS1_38merge_sort_block_merge_config_selectorIyyEEZZNS1_27merge_sort_block_merge_implIS3_N6thrust23THRUST_200600_302600_NS6detail15normal_iteratorINS8_10device_ptrIyEEEESD_jNS1_19radix_merge_compareILb0ELb1EyNS0_19identity_decomposerEEEEE10hipError_tT0_T1_T2_jT3_P12ihipStream_tbPNSt15iterator_traitsISI_E10value_typeEPNSO_ISJ_E10value_typeEPSK_NS1_7vsmem_tEENKUlT_SI_SJ_SK_E_clISD_PySD_S10_EESH_SX_SI_SJ_SK_EUlSX_E1_NS1_11comp_targetILNS1_3genE8ELNS1_11target_archE1030ELNS1_3gpuE2ELNS1_3repE0EEENS1_36merge_oddeven_config_static_selectorELNS0_4arch9wavefront6targetE1EEEvSJ_.num_vgpr, 0
	.set _ZN7rocprim17ROCPRIM_400000_NS6detail17trampoline_kernelINS0_14default_configENS1_38merge_sort_block_merge_config_selectorIyyEEZZNS1_27merge_sort_block_merge_implIS3_N6thrust23THRUST_200600_302600_NS6detail15normal_iteratorINS8_10device_ptrIyEEEESD_jNS1_19radix_merge_compareILb0ELb1EyNS0_19identity_decomposerEEEEE10hipError_tT0_T1_T2_jT3_P12ihipStream_tbPNSt15iterator_traitsISI_E10value_typeEPNSO_ISJ_E10value_typeEPSK_NS1_7vsmem_tEENKUlT_SI_SJ_SK_E_clISD_PySD_S10_EESH_SX_SI_SJ_SK_EUlSX_E1_NS1_11comp_targetILNS1_3genE8ELNS1_11target_archE1030ELNS1_3gpuE2ELNS1_3repE0EEENS1_36merge_oddeven_config_static_selectorELNS0_4arch9wavefront6targetE1EEEvSJ_.num_agpr, 0
	.set _ZN7rocprim17ROCPRIM_400000_NS6detail17trampoline_kernelINS0_14default_configENS1_38merge_sort_block_merge_config_selectorIyyEEZZNS1_27merge_sort_block_merge_implIS3_N6thrust23THRUST_200600_302600_NS6detail15normal_iteratorINS8_10device_ptrIyEEEESD_jNS1_19radix_merge_compareILb0ELb1EyNS0_19identity_decomposerEEEEE10hipError_tT0_T1_T2_jT3_P12ihipStream_tbPNSt15iterator_traitsISI_E10value_typeEPNSO_ISJ_E10value_typeEPSK_NS1_7vsmem_tEENKUlT_SI_SJ_SK_E_clISD_PySD_S10_EESH_SX_SI_SJ_SK_EUlSX_E1_NS1_11comp_targetILNS1_3genE8ELNS1_11target_archE1030ELNS1_3gpuE2ELNS1_3repE0EEENS1_36merge_oddeven_config_static_selectorELNS0_4arch9wavefront6targetE1EEEvSJ_.numbered_sgpr, 0
	.set _ZN7rocprim17ROCPRIM_400000_NS6detail17trampoline_kernelINS0_14default_configENS1_38merge_sort_block_merge_config_selectorIyyEEZZNS1_27merge_sort_block_merge_implIS3_N6thrust23THRUST_200600_302600_NS6detail15normal_iteratorINS8_10device_ptrIyEEEESD_jNS1_19radix_merge_compareILb0ELb1EyNS0_19identity_decomposerEEEEE10hipError_tT0_T1_T2_jT3_P12ihipStream_tbPNSt15iterator_traitsISI_E10value_typeEPNSO_ISJ_E10value_typeEPSK_NS1_7vsmem_tEENKUlT_SI_SJ_SK_E_clISD_PySD_S10_EESH_SX_SI_SJ_SK_EUlSX_E1_NS1_11comp_targetILNS1_3genE8ELNS1_11target_archE1030ELNS1_3gpuE2ELNS1_3repE0EEENS1_36merge_oddeven_config_static_selectorELNS0_4arch9wavefront6targetE1EEEvSJ_.num_named_barrier, 0
	.set _ZN7rocprim17ROCPRIM_400000_NS6detail17trampoline_kernelINS0_14default_configENS1_38merge_sort_block_merge_config_selectorIyyEEZZNS1_27merge_sort_block_merge_implIS3_N6thrust23THRUST_200600_302600_NS6detail15normal_iteratorINS8_10device_ptrIyEEEESD_jNS1_19radix_merge_compareILb0ELb1EyNS0_19identity_decomposerEEEEE10hipError_tT0_T1_T2_jT3_P12ihipStream_tbPNSt15iterator_traitsISI_E10value_typeEPNSO_ISJ_E10value_typeEPSK_NS1_7vsmem_tEENKUlT_SI_SJ_SK_E_clISD_PySD_S10_EESH_SX_SI_SJ_SK_EUlSX_E1_NS1_11comp_targetILNS1_3genE8ELNS1_11target_archE1030ELNS1_3gpuE2ELNS1_3repE0EEENS1_36merge_oddeven_config_static_selectorELNS0_4arch9wavefront6targetE1EEEvSJ_.private_seg_size, 0
	.set _ZN7rocprim17ROCPRIM_400000_NS6detail17trampoline_kernelINS0_14default_configENS1_38merge_sort_block_merge_config_selectorIyyEEZZNS1_27merge_sort_block_merge_implIS3_N6thrust23THRUST_200600_302600_NS6detail15normal_iteratorINS8_10device_ptrIyEEEESD_jNS1_19radix_merge_compareILb0ELb1EyNS0_19identity_decomposerEEEEE10hipError_tT0_T1_T2_jT3_P12ihipStream_tbPNSt15iterator_traitsISI_E10value_typeEPNSO_ISJ_E10value_typeEPSK_NS1_7vsmem_tEENKUlT_SI_SJ_SK_E_clISD_PySD_S10_EESH_SX_SI_SJ_SK_EUlSX_E1_NS1_11comp_targetILNS1_3genE8ELNS1_11target_archE1030ELNS1_3gpuE2ELNS1_3repE0EEENS1_36merge_oddeven_config_static_selectorELNS0_4arch9wavefront6targetE1EEEvSJ_.uses_vcc, 0
	.set _ZN7rocprim17ROCPRIM_400000_NS6detail17trampoline_kernelINS0_14default_configENS1_38merge_sort_block_merge_config_selectorIyyEEZZNS1_27merge_sort_block_merge_implIS3_N6thrust23THRUST_200600_302600_NS6detail15normal_iteratorINS8_10device_ptrIyEEEESD_jNS1_19radix_merge_compareILb0ELb1EyNS0_19identity_decomposerEEEEE10hipError_tT0_T1_T2_jT3_P12ihipStream_tbPNSt15iterator_traitsISI_E10value_typeEPNSO_ISJ_E10value_typeEPSK_NS1_7vsmem_tEENKUlT_SI_SJ_SK_E_clISD_PySD_S10_EESH_SX_SI_SJ_SK_EUlSX_E1_NS1_11comp_targetILNS1_3genE8ELNS1_11target_archE1030ELNS1_3gpuE2ELNS1_3repE0EEENS1_36merge_oddeven_config_static_selectorELNS0_4arch9wavefront6targetE1EEEvSJ_.uses_flat_scratch, 0
	.set _ZN7rocprim17ROCPRIM_400000_NS6detail17trampoline_kernelINS0_14default_configENS1_38merge_sort_block_merge_config_selectorIyyEEZZNS1_27merge_sort_block_merge_implIS3_N6thrust23THRUST_200600_302600_NS6detail15normal_iteratorINS8_10device_ptrIyEEEESD_jNS1_19radix_merge_compareILb0ELb1EyNS0_19identity_decomposerEEEEE10hipError_tT0_T1_T2_jT3_P12ihipStream_tbPNSt15iterator_traitsISI_E10value_typeEPNSO_ISJ_E10value_typeEPSK_NS1_7vsmem_tEENKUlT_SI_SJ_SK_E_clISD_PySD_S10_EESH_SX_SI_SJ_SK_EUlSX_E1_NS1_11comp_targetILNS1_3genE8ELNS1_11target_archE1030ELNS1_3gpuE2ELNS1_3repE0EEENS1_36merge_oddeven_config_static_selectorELNS0_4arch9wavefront6targetE1EEEvSJ_.has_dyn_sized_stack, 0
	.set _ZN7rocprim17ROCPRIM_400000_NS6detail17trampoline_kernelINS0_14default_configENS1_38merge_sort_block_merge_config_selectorIyyEEZZNS1_27merge_sort_block_merge_implIS3_N6thrust23THRUST_200600_302600_NS6detail15normal_iteratorINS8_10device_ptrIyEEEESD_jNS1_19radix_merge_compareILb0ELb1EyNS0_19identity_decomposerEEEEE10hipError_tT0_T1_T2_jT3_P12ihipStream_tbPNSt15iterator_traitsISI_E10value_typeEPNSO_ISJ_E10value_typeEPSK_NS1_7vsmem_tEENKUlT_SI_SJ_SK_E_clISD_PySD_S10_EESH_SX_SI_SJ_SK_EUlSX_E1_NS1_11comp_targetILNS1_3genE8ELNS1_11target_archE1030ELNS1_3gpuE2ELNS1_3repE0EEENS1_36merge_oddeven_config_static_selectorELNS0_4arch9wavefront6targetE1EEEvSJ_.has_recursion, 0
	.set _ZN7rocprim17ROCPRIM_400000_NS6detail17trampoline_kernelINS0_14default_configENS1_38merge_sort_block_merge_config_selectorIyyEEZZNS1_27merge_sort_block_merge_implIS3_N6thrust23THRUST_200600_302600_NS6detail15normal_iteratorINS8_10device_ptrIyEEEESD_jNS1_19radix_merge_compareILb0ELb1EyNS0_19identity_decomposerEEEEE10hipError_tT0_T1_T2_jT3_P12ihipStream_tbPNSt15iterator_traitsISI_E10value_typeEPNSO_ISJ_E10value_typeEPSK_NS1_7vsmem_tEENKUlT_SI_SJ_SK_E_clISD_PySD_S10_EESH_SX_SI_SJ_SK_EUlSX_E1_NS1_11comp_targetILNS1_3genE8ELNS1_11target_archE1030ELNS1_3gpuE2ELNS1_3repE0EEENS1_36merge_oddeven_config_static_selectorELNS0_4arch9wavefront6targetE1EEEvSJ_.has_indirect_call, 0
	.section	.AMDGPU.csdata,"",@progbits
; Kernel info:
; codeLenInByte = 0
; TotalNumSgprs: 6
; NumVgprs: 0
; NumAgprs: 0
; TotalNumVgprs: 0
; ScratchSize: 0
; MemoryBound: 0
; FloatMode: 240
; IeeeMode: 1
; LDSByteSize: 0 bytes/workgroup (compile time only)
; SGPRBlocks: 0
; VGPRBlocks: 0
; NumSGPRsForWavesPerEU: 6
; NumVGPRsForWavesPerEU: 1
; AccumOffset: 4
; Occupancy: 8
; WaveLimiterHint : 0
; COMPUTE_PGM_RSRC2:SCRATCH_EN: 0
; COMPUTE_PGM_RSRC2:USER_SGPR: 2
; COMPUTE_PGM_RSRC2:TRAP_HANDLER: 0
; COMPUTE_PGM_RSRC2:TGID_X_EN: 1
; COMPUTE_PGM_RSRC2:TGID_Y_EN: 0
; COMPUTE_PGM_RSRC2:TGID_Z_EN: 0
; COMPUTE_PGM_RSRC2:TIDIG_COMP_CNT: 0
; COMPUTE_PGM_RSRC3_GFX90A:ACCUM_OFFSET: 0
; COMPUTE_PGM_RSRC3_GFX90A:TG_SPLIT: 0
	.section	.text._ZN7rocprim17ROCPRIM_400000_NS6detail17trampoline_kernelINS0_14default_configENS1_35radix_sort_onesweep_config_selectorIyyEEZNS1_34radix_sort_onesweep_global_offsetsIS3_Lb0EN6thrust23THRUST_200600_302600_NS6detail15normal_iteratorINS8_10device_ptrIyEEEESD_jNS0_19identity_decomposerEEE10hipError_tT1_T2_PT3_SI_jT4_jjP12ihipStream_tbEUlT_E_NS1_11comp_targetILNS1_3genE0ELNS1_11target_archE4294967295ELNS1_3gpuE0ELNS1_3repE0EEENS1_52radix_sort_onesweep_histogram_config_static_selectorELNS0_4arch9wavefront6targetE1EEEvSG_,"axG",@progbits,_ZN7rocprim17ROCPRIM_400000_NS6detail17trampoline_kernelINS0_14default_configENS1_35radix_sort_onesweep_config_selectorIyyEEZNS1_34radix_sort_onesweep_global_offsetsIS3_Lb0EN6thrust23THRUST_200600_302600_NS6detail15normal_iteratorINS8_10device_ptrIyEEEESD_jNS0_19identity_decomposerEEE10hipError_tT1_T2_PT3_SI_jT4_jjP12ihipStream_tbEUlT_E_NS1_11comp_targetILNS1_3genE0ELNS1_11target_archE4294967295ELNS1_3gpuE0ELNS1_3repE0EEENS1_52radix_sort_onesweep_histogram_config_static_selectorELNS0_4arch9wavefront6targetE1EEEvSG_,comdat
	.protected	_ZN7rocprim17ROCPRIM_400000_NS6detail17trampoline_kernelINS0_14default_configENS1_35radix_sort_onesweep_config_selectorIyyEEZNS1_34radix_sort_onesweep_global_offsetsIS3_Lb0EN6thrust23THRUST_200600_302600_NS6detail15normal_iteratorINS8_10device_ptrIyEEEESD_jNS0_19identity_decomposerEEE10hipError_tT1_T2_PT3_SI_jT4_jjP12ihipStream_tbEUlT_E_NS1_11comp_targetILNS1_3genE0ELNS1_11target_archE4294967295ELNS1_3gpuE0ELNS1_3repE0EEENS1_52radix_sort_onesweep_histogram_config_static_selectorELNS0_4arch9wavefront6targetE1EEEvSG_ ; -- Begin function _ZN7rocprim17ROCPRIM_400000_NS6detail17trampoline_kernelINS0_14default_configENS1_35radix_sort_onesweep_config_selectorIyyEEZNS1_34radix_sort_onesweep_global_offsetsIS3_Lb0EN6thrust23THRUST_200600_302600_NS6detail15normal_iteratorINS8_10device_ptrIyEEEESD_jNS0_19identity_decomposerEEE10hipError_tT1_T2_PT3_SI_jT4_jjP12ihipStream_tbEUlT_E_NS1_11comp_targetILNS1_3genE0ELNS1_11target_archE4294967295ELNS1_3gpuE0ELNS1_3repE0EEENS1_52radix_sort_onesweep_histogram_config_static_selectorELNS0_4arch9wavefront6targetE1EEEvSG_
	.globl	_ZN7rocprim17ROCPRIM_400000_NS6detail17trampoline_kernelINS0_14default_configENS1_35radix_sort_onesweep_config_selectorIyyEEZNS1_34radix_sort_onesweep_global_offsetsIS3_Lb0EN6thrust23THRUST_200600_302600_NS6detail15normal_iteratorINS8_10device_ptrIyEEEESD_jNS0_19identity_decomposerEEE10hipError_tT1_T2_PT3_SI_jT4_jjP12ihipStream_tbEUlT_E_NS1_11comp_targetILNS1_3genE0ELNS1_11target_archE4294967295ELNS1_3gpuE0ELNS1_3repE0EEENS1_52radix_sort_onesweep_histogram_config_static_selectorELNS0_4arch9wavefront6targetE1EEEvSG_
	.p2align	8
	.type	_ZN7rocprim17ROCPRIM_400000_NS6detail17trampoline_kernelINS0_14default_configENS1_35radix_sort_onesweep_config_selectorIyyEEZNS1_34radix_sort_onesweep_global_offsetsIS3_Lb0EN6thrust23THRUST_200600_302600_NS6detail15normal_iteratorINS8_10device_ptrIyEEEESD_jNS0_19identity_decomposerEEE10hipError_tT1_T2_PT3_SI_jT4_jjP12ihipStream_tbEUlT_E_NS1_11comp_targetILNS1_3genE0ELNS1_11target_archE4294967295ELNS1_3gpuE0ELNS1_3repE0EEENS1_52radix_sort_onesweep_histogram_config_static_selectorELNS0_4arch9wavefront6targetE1EEEvSG_,@function
_ZN7rocprim17ROCPRIM_400000_NS6detail17trampoline_kernelINS0_14default_configENS1_35radix_sort_onesweep_config_selectorIyyEEZNS1_34radix_sort_onesweep_global_offsetsIS3_Lb0EN6thrust23THRUST_200600_302600_NS6detail15normal_iteratorINS8_10device_ptrIyEEEESD_jNS0_19identity_decomposerEEE10hipError_tT1_T2_PT3_SI_jT4_jjP12ihipStream_tbEUlT_E_NS1_11comp_targetILNS1_3genE0ELNS1_11target_archE4294967295ELNS1_3gpuE0ELNS1_3repE0EEENS1_52radix_sort_onesweep_histogram_config_static_selectorELNS0_4arch9wavefront6targetE1EEEvSG_: ; @_ZN7rocprim17ROCPRIM_400000_NS6detail17trampoline_kernelINS0_14default_configENS1_35radix_sort_onesweep_config_selectorIyyEEZNS1_34radix_sort_onesweep_global_offsetsIS3_Lb0EN6thrust23THRUST_200600_302600_NS6detail15normal_iteratorINS8_10device_ptrIyEEEESD_jNS0_19identity_decomposerEEE10hipError_tT1_T2_PT3_SI_jT4_jjP12ihipStream_tbEUlT_E_NS1_11comp_targetILNS1_3genE0ELNS1_11target_archE4294967295ELNS1_3gpuE0ELNS1_3repE0EEENS1_52radix_sort_onesweep_histogram_config_static_selectorELNS0_4arch9wavefront6targetE1EEEvSG_
; %bb.0:
	.section	.rodata,"a",@progbits
	.p2align	6, 0x0
	.amdhsa_kernel _ZN7rocprim17ROCPRIM_400000_NS6detail17trampoline_kernelINS0_14default_configENS1_35radix_sort_onesweep_config_selectorIyyEEZNS1_34radix_sort_onesweep_global_offsetsIS3_Lb0EN6thrust23THRUST_200600_302600_NS6detail15normal_iteratorINS8_10device_ptrIyEEEESD_jNS0_19identity_decomposerEEE10hipError_tT1_T2_PT3_SI_jT4_jjP12ihipStream_tbEUlT_E_NS1_11comp_targetILNS1_3genE0ELNS1_11target_archE4294967295ELNS1_3gpuE0ELNS1_3repE0EEENS1_52radix_sort_onesweep_histogram_config_static_selectorELNS0_4arch9wavefront6targetE1EEEvSG_
		.amdhsa_group_segment_fixed_size 0
		.amdhsa_private_segment_fixed_size 0
		.amdhsa_kernarg_size 40
		.amdhsa_user_sgpr_count 2
		.amdhsa_user_sgpr_dispatch_ptr 0
		.amdhsa_user_sgpr_queue_ptr 0
		.amdhsa_user_sgpr_kernarg_segment_ptr 1
		.amdhsa_user_sgpr_dispatch_id 0
		.amdhsa_user_sgpr_kernarg_preload_length 0
		.amdhsa_user_sgpr_kernarg_preload_offset 0
		.amdhsa_user_sgpr_private_segment_size 0
		.amdhsa_uses_dynamic_stack 0
		.amdhsa_enable_private_segment 0
		.amdhsa_system_sgpr_workgroup_id_x 1
		.amdhsa_system_sgpr_workgroup_id_y 0
		.amdhsa_system_sgpr_workgroup_id_z 0
		.amdhsa_system_sgpr_workgroup_info 0
		.amdhsa_system_vgpr_workitem_id 0
		.amdhsa_next_free_vgpr 1
		.amdhsa_next_free_sgpr 0
		.amdhsa_accum_offset 4
		.amdhsa_reserve_vcc 0
		.amdhsa_float_round_mode_32 0
		.amdhsa_float_round_mode_16_64 0
		.amdhsa_float_denorm_mode_32 3
		.amdhsa_float_denorm_mode_16_64 3
		.amdhsa_dx10_clamp 1
		.amdhsa_ieee_mode 1
		.amdhsa_fp16_overflow 0
		.amdhsa_tg_split 0
		.amdhsa_exception_fp_ieee_invalid_op 0
		.amdhsa_exception_fp_denorm_src 0
		.amdhsa_exception_fp_ieee_div_zero 0
		.amdhsa_exception_fp_ieee_overflow 0
		.amdhsa_exception_fp_ieee_underflow 0
		.amdhsa_exception_fp_ieee_inexact 0
		.amdhsa_exception_int_div_zero 0
	.end_amdhsa_kernel
	.section	.text._ZN7rocprim17ROCPRIM_400000_NS6detail17trampoline_kernelINS0_14default_configENS1_35radix_sort_onesweep_config_selectorIyyEEZNS1_34radix_sort_onesweep_global_offsetsIS3_Lb0EN6thrust23THRUST_200600_302600_NS6detail15normal_iteratorINS8_10device_ptrIyEEEESD_jNS0_19identity_decomposerEEE10hipError_tT1_T2_PT3_SI_jT4_jjP12ihipStream_tbEUlT_E_NS1_11comp_targetILNS1_3genE0ELNS1_11target_archE4294967295ELNS1_3gpuE0ELNS1_3repE0EEENS1_52radix_sort_onesweep_histogram_config_static_selectorELNS0_4arch9wavefront6targetE1EEEvSG_,"axG",@progbits,_ZN7rocprim17ROCPRIM_400000_NS6detail17trampoline_kernelINS0_14default_configENS1_35radix_sort_onesweep_config_selectorIyyEEZNS1_34radix_sort_onesweep_global_offsetsIS3_Lb0EN6thrust23THRUST_200600_302600_NS6detail15normal_iteratorINS8_10device_ptrIyEEEESD_jNS0_19identity_decomposerEEE10hipError_tT1_T2_PT3_SI_jT4_jjP12ihipStream_tbEUlT_E_NS1_11comp_targetILNS1_3genE0ELNS1_11target_archE4294967295ELNS1_3gpuE0ELNS1_3repE0EEENS1_52radix_sort_onesweep_histogram_config_static_selectorELNS0_4arch9wavefront6targetE1EEEvSG_,comdat
.Lfunc_end501:
	.size	_ZN7rocprim17ROCPRIM_400000_NS6detail17trampoline_kernelINS0_14default_configENS1_35radix_sort_onesweep_config_selectorIyyEEZNS1_34radix_sort_onesweep_global_offsetsIS3_Lb0EN6thrust23THRUST_200600_302600_NS6detail15normal_iteratorINS8_10device_ptrIyEEEESD_jNS0_19identity_decomposerEEE10hipError_tT1_T2_PT3_SI_jT4_jjP12ihipStream_tbEUlT_E_NS1_11comp_targetILNS1_3genE0ELNS1_11target_archE4294967295ELNS1_3gpuE0ELNS1_3repE0EEENS1_52radix_sort_onesweep_histogram_config_static_selectorELNS0_4arch9wavefront6targetE1EEEvSG_, .Lfunc_end501-_ZN7rocprim17ROCPRIM_400000_NS6detail17trampoline_kernelINS0_14default_configENS1_35radix_sort_onesweep_config_selectorIyyEEZNS1_34radix_sort_onesweep_global_offsetsIS3_Lb0EN6thrust23THRUST_200600_302600_NS6detail15normal_iteratorINS8_10device_ptrIyEEEESD_jNS0_19identity_decomposerEEE10hipError_tT1_T2_PT3_SI_jT4_jjP12ihipStream_tbEUlT_E_NS1_11comp_targetILNS1_3genE0ELNS1_11target_archE4294967295ELNS1_3gpuE0ELNS1_3repE0EEENS1_52radix_sort_onesweep_histogram_config_static_selectorELNS0_4arch9wavefront6targetE1EEEvSG_
                                        ; -- End function
	.set _ZN7rocprim17ROCPRIM_400000_NS6detail17trampoline_kernelINS0_14default_configENS1_35radix_sort_onesweep_config_selectorIyyEEZNS1_34radix_sort_onesweep_global_offsetsIS3_Lb0EN6thrust23THRUST_200600_302600_NS6detail15normal_iteratorINS8_10device_ptrIyEEEESD_jNS0_19identity_decomposerEEE10hipError_tT1_T2_PT3_SI_jT4_jjP12ihipStream_tbEUlT_E_NS1_11comp_targetILNS1_3genE0ELNS1_11target_archE4294967295ELNS1_3gpuE0ELNS1_3repE0EEENS1_52radix_sort_onesweep_histogram_config_static_selectorELNS0_4arch9wavefront6targetE1EEEvSG_.num_vgpr, 0
	.set _ZN7rocprim17ROCPRIM_400000_NS6detail17trampoline_kernelINS0_14default_configENS1_35radix_sort_onesweep_config_selectorIyyEEZNS1_34radix_sort_onesweep_global_offsetsIS3_Lb0EN6thrust23THRUST_200600_302600_NS6detail15normal_iteratorINS8_10device_ptrIyEEEESD_jNS0_19identity_decomposerEEE10hipError_tT1_T2_PT3_SI_jT4_jjP12ihipStream_tbEUlT_E_NS1_11comp_targetILNS1_3genE0ELNS1_11target_archE4294967295ELNS1_3gpuE0ELNS1_3repE0EEENS1_52radix_sort_onesweep_histogram_config_static_selectorELNS0_4arch9wavefront6targetE1EEEvSG_.num_agpr, 0
	.set _ZN7rocprim17ROCPRIM_400000_NS6detail17trampoline_kernelINS0_14default_configENS1_35radix_sort_onesweep_config_selectorIyyEEZNS1_34radix_sort_onesweep_global_offsetsIS3_Lb0EN6thrust23THRUST_200600_302600_NS6detail15normal_iteratorINS8_10device_ptrIyEEEESD_jNS0_19identity_decomposerEEE10hipError_tT1_T2_PT3_SI_jT4_jjP12ihipStream_tbEUlT_E_NS1_11comp_targetILNS1_3genE0ELNS1_11target_archE4294967295ELNS1_3gpuE0ELNS1_3repE0EEENS1_52radix_sort_onesweep_histogram_config_static_selectorELNS0_4arch9wavefront6targetE1EEEvSG_.numbered_sgpr, 0
	.set _ZN7rocprim17ROCPRIM_400000_NS6detail17trampoline_kernelINS0_14default_configENS1_35radix_sort_onesweep_config_selectorIyyEEZNS1_34radix_sort_onesweep_global_offsetsIS3_Lb0EN6thrust23THRUST_200600_302600_NS6detail15normal_iteratorINS8_10device_ptrIyEEEESD_jNS0_19identity_decomposerEEE10hipError_tT1_T2_PT3_SI_jT4_jjP12ihipStream_tbEUlT_E_NS1_11comp_targetILNS1_3genE0ELNS1_11target_archE4294967295ELNS1_3gpuE0ELNS1_3repE0EEENS1_52radix_sort_onesweep_histogram_config_static_selectorELNS0_4arch9wavefront6targetE1EEEvSG_.num_named_barrier, 0
	.set _ZN7rocprim17ROCPRIM_400000_NS6detail17trampoline_kernelINS0_14default_configENS1_35radix_sort_onesweep_config_selectorIyyEEZNS1_34radix_sort_onesweep_global_offsetsIS3_Lb0EN6thrust23THRUST_200600_302600_NS6detail15normal_iteratorINS8_10device_ptrIyEEEESD_jNS0_19identity_decomposerEEE10hipError_tT1_T2_PT3_SI_jT4_jjP12ihipStream_tbEUlT_E_NS1_11comp_targetILNS1_3genE0ELNS1_11target_archE4294967295ELNS1_3gpuE0ELNS1_3repE0EEENS1_52radix_sort_onesweep_histogram_config_static_selectorELNS0_4arch9wavefront6targetE1EEEvSG_.private_seg_size, 0
	.set _ZN7rocprim17ROCPRIM_400000_NS6detail17trampoline_kernelINS0_14default_configENS1_35radix_sort_onesweep_config_selectorIyyEEZNS1_34radix_sort_onesweep_global_offsetsIS3_Lb0EN6thrust23THRUST_200600_302600_NS6detail15normal_iteratorINS8_10device_ptrIyEEEESD_jNS0_19identity_decomposerEEE10hipError_tT1_T2_PT3_SI_jT4_jjP12ihipStream_tbEUlT_E_NS1_11comp_targetILNS1_3genE0ELNS1_11target_archE4294967295ELNS1_3gpuE0ELNS1_3repE0EEENS1_52radix_sort_onesweep_histogram_config_static_selectorELNS0_4arch9wavefront6targetE1EEEvSG_.uses_vcc, 0
	.set _ZN7rocprim17ROCPRIM_400000_NS6detail17trampoline_kernelINS0_14default_configENS1_35radix_sort_onesweep_config_selectorIyyEEZNS1_34radix_sort_onesweep_global_offsetsIS3_Lb0EN6thrust23THRUST_200600_302600_NS6detail15normal_iteratorINS8_10device_ptrIyEEEESD_jNS0_19identity_decomposerEEE10hipError_tT1_T2_PT3_SI_jT4_jjP12ihipStream_tbEUlT_E_NS1_11comp_targetILNS1_3genE0ELNS1_11target_archE4294967295ELNS1_3gpuE0ELNS1_3repE0EEENS1_52radix_sort_onesweep_histogram_config_static_selectorELNS0_4arch9wavefront6targetE1EEEvSG_.uses_flat_scratch, 0
	.set _ZN7rocprim17ROCPRIM_400000_NS6detail17trampoline_kernelINS0_14default_configENS1_35radix_sort_onesweep_config_selectorIyyEEZNS1_34radix_sort_onesweep_global_offsetsIS3_Lb0EN6thrust23THRUST_200600_302600_NS6detail15normal_iteratorINS8_10device_ptrIyEEEESD_jNS0_19identity_decomposerEEE10hipError_tT1_T2_PT3_SI_jT4_jjP12ihipStream_tbEUlT_E_NS1_11comp_targetILNS1_3genE0ELNS1_11target_archE4294967295ELNS1_3gpuE0ELNS1_3repE0EEENS1_52radix_sort_onesweep_histogram_config_static_selectorELNS0_4arch9wavefront6targetE1EEEvSG_.has_dyn_sized_stack, 0
	.set _ZN7rocprim17ROCPRIM_400000_NS6detail17trampoline_kernelINS0_14default_configENS1_35radix_sort_onesweep_config_selectorIyyEEZNS1_34radix_sort_onesweep_global_offsetsIS3_Lb0EN6thrust23THRUST_200600_302600_NS6detail15normal_iteratorINS8_10device_ptrIyEEEESD_jNS0_19identity_decomposerEEE10hipError_tT1_T2_PT3_SI_jT4_jjP12ihipStream_tbEUlT_E_NS1_11comp_targetILNS1_3genE0ELNS1_11target_archE4294967295ELNS1_3gpuE0ELNS1_3repE0EEENS1_52radix_sort_onesweep_histogram_config_static_selectorELNS0_4arch9wavefront6targetE1EEEvSG_.has_recursion, 0
	.set _ZN7rocprim17ROCPRIM_400000_NS6detail17trampoline_kernelINS0_14default_configENS1_35radix_sort_onesweep_config_selectorIyyEEZNS1_34radix_sort_onesweep_global_offsetsIS3_Lb0EN6thrust23THRUST_200600_302600_NS6detail15normal_iteratorINS8_10device_ptrIyEEEESD_jNS0_19identity_decomposerEEE10hipError_tT1_T2_PT3_SI_jT4_jjP12ihipStream_tbEUlT_E_NS1_11comp_targetILNS1_3genE0ELNS1_11target_archE4294967295ELNS1_3gpuE0ELNS1_3repE0EEENS1_52radix_sort_onesweep_histogram_config_static_selectorELNS0_4arch9wavefront6targetE1EEEvSG_.has_indirect_call, 0
	.section	.AMDGPU.csdata,"",@progbits
; Kernel info:
; codeLenInByte = 0
; TotalNumSgprs: 6
; NumVgprs: 0
; NumAgprs: 0
; TotalNumVgprs: 0
; ScratchSize: 0
; MemoryBound: 0
; FloatMode: 240
; IeeeMode: 1
; LDSByteSize: 0 bytes/workgroup (compile time only)
; SGPRBlocks: 0
; VGPRBlocks: 0
; NumSGPRsForWavesPerEU: 6
; NumVGPRsForWavesPerEU: 1
; AccumOffset: 4
; Occupancy: 8
; WaveLimiterHint : 0
; COMPUTE_PGM_RSRC2:SCRATCH_EN: 0
; COMPUTE_PGM_RSRC2:USER_SGPR: 2
; COMPUTE_PGM_RSRC2:TRAP_HANDLER: 0
; COMPUTE_PGM_RSRC2:TGID_X_EN: 1
; COMPUTE_PGM_RSRC2:TGID_Y_EN: 0
; COMPUTE_PGM_RSRC2:TGID_Z_EN: 0
; COMPUTE_PGM_RSRC2:TIDIG_COMP_CNT: 0
; COMPUTE_PGM_RSRC3_GFX90A:ACCUM_OFFSET: 0
; COMPUTE_PGM_RSRC3_GFX90A:TG_SPLIT: 0
	.section	.text._ZN7rocprim17ROCPRIM_400000_NS6detail17trampoline_kernelINS0_14default_configENS1_35radix_sort_onesweep_config_selectorIyyEEZNS1_34radix_sort_onesweep_global_offsetsIS3_Lb0EN6thrust23THRUST_200600_302600_NS6detail15normal_iteratorINS8_10device_ptrIyEEEESD_jNS0_19identity_decomposerEEE10hipError_tT1_T2_PT3_SI_jT4_jjP12ihipStream_tbEUlT_E_NS1_11comp_targetILNS1_3genE6ELNS1_11target_archE950ELNS1_3gpuE13ELNS1_3repE0EEENS1_52radix_sort_onesweep_histogram_config_static_selectorELNS0_4arch9wavefront6targetE1EEEvSG_,"axG",@progbits,_ZN7rocprim17ROCPRIM_400000_NS6detail17trampoline_kernelINS0_14default_configENS1_35radix_sort_onesweep_config_selectorIyyEEZNS1_34radix_sort_onesweep_global_offsetsIS3_Lb0EN6thrust23THRUST_200600_302600_NS6detail15normal_iteratorINS8_10device_ptrIyEEEESD_jNS0_19identity_decomposerEEE10hipError_tT1_T2_PT3_SI_jT4_jjP12ihipStream_tbEUlT_E_NS1_11comp_targetILNS1_3genE6ELNS1_11target_archE950ELNS1_3gpuE13ELNS1_3repE0EEENS1_52radix_sort_onesweep_histogram_config_static_selectorELNS0_4arch9wavefront6targetE1EEEvSG_,comdat
	.protected	_ZN7rocprim17ROCPRIM_400000_NS6detail17trampoline_kernelINS0_14default_configENS1_35radix_sort_onesweep_config_selectorIyyEEZNS1_34radix_sort_onesweep_global_offsetsIS3_Lb0EN6thrust23THRUST_200600_302600_NS6detail15normal_iteratorINS8_10device_ptrIyEEEESD_jNS0_19identity_decomposerEEE10hipError_tT1_T2_PT3_SI_jT4_jjP12ihipStream_tbEUlT_E_NS1_11comp_targetILNS1_3genE6ELNS1_11target_archE950ELNS1_3gpuE13ELNS1_3repE0EEENS1_52radix_sort_onesweep_histogram_config_static_selectorELNS0_4arch9wavefront6targetE1EEEvSG_ ; -- Begin function _ZN7rocprim17ROCPRIM_400000_NS6detail17trampoline_kernelINS0_14default_configENS1_35radix_sort_onesweep_config_selectorIyyEEZNS1_34radix_sort_onesweep_global_offsetsIS3_Lb0EN6thrust23THRUST_200600_302600_NS6detail15normal_iteratorINS8_10device_ptrIyEEEESD_jNS0_19identity_decomposerEEE10hipError_tT1_T2_PT3_SI_jT4_jjP12ihipStream_tbEUlT_E_NS1_11comp_targetILNS1_3genE6ELNS1_11target_archE950ELNS1_3gpuE13ELNS1_3repE0EEENS1_52radix_sort_onesweep_histogram_config_static_selectorELNS0_4arch9wavefront6targetE1EEEvSG_
	.globl	_ZN7rocprim17ROCPRIM_400000_NS6detail17trampoline_kernelINS0_14default_configENS1_35radix_sort_onesweep_config_selectorIyyEEZNS1_34radix_sort_onesweep_global_offsetsIS3_Lb0EN6thrust23THRUST_200600_302600_NS6detail15normal_iteratorINS8_10device_ptrIyEEEESD_jNS0_19identity_decomposerEEE10hipError_tT1_T2_PT3_SI_jT4_jjP12ihipStream_tbEUlT_E_NS1_11comp_targetILNS1_3genE6ELNS1_11target_archE950ELNS1_3gpuE13ELNS1_3repE0EEENS1_52radix_sort_onesweep_histogram_config_static_selectorELNS0_4arch9wavefront6targetE1EEEvSG_
	.p2align	8
	.type	_ZN7rocprim17ROCPRIM_400000_NS6detail17trampoline_kernelINS0_14default_configENS1_35radix_sort_onesweep_config_selectorIyyEEZNS1_34radix_sort_onesweep_global_offsetsIS3_Lb0EN6thrust23THRUST_200600_302600_NS6detail15normal_iteratorINS8_10device_ptrIyEEEESD_jNS0_19identity_decomposerEEE10hipError_tT1_T2_PT3_SI_jT4_jjP12ihipStream_tbEUlT_E_NS1_11comp_targetILNS1_3genE6ELNS1_11target_archE950ELNS1_3gpuE13ELNS1_3repE0EEENS1_52radix_sort_onesweep_histogram_config_static_selectorELNS0_4arch9wavefront6targetE1EEEvSG_,@function
_ZN7rocprim17ROCPRIM_400000_NS6detail17trampoline_kernelINS0_14default_configENS1_35radix_sort_onesweep_config_selectorIyyEEZNS1_34radix_sort_onesweep_global_offsetsIS3_Lb0EN6thrust23THRUST_200600_302600_NS6detail15normal_iteratorINS8_10device_ptrIyEEEESD_jNS0_19identity_decomposerEEE10hipError_tT1_T2_PT3_SI_jT4_jjP12ihipStream_tbEUlT_E_NS1_11comp_targetILNS1_3genE6ELNS1_11target_archE950ELNS1_3gpuE13ELNS1_3repE0EEENS1_52radix_sort_onesweep_histogram_config_static_selectorELNS0_4arch9wavefront6targetE1EEEvSG_: ; @_ZN7rocprim17ROCPRIM_400000_NS6detail17trampoline_kernelINS0_14default_configENS1_35radix_sort_onesweep_config_selectorIyyEEZNS1_34radix_sort_onesweep_global_offsetsIS3_Lb0EN6thrust23THRUST_200600_302600_NS6detail15normal_iteratorINS8_10device_ptrIyEEEESD_jNS0_19identity_decomposerEEE10hipError_tT1_T2_PT3_SI_jT4_jjP12ihipStream_tbEUlT_E_NS1_11comp_targetILNS1_3genE6ELNS1_11target_archE950ELNS1_3gpuE13ELNS1_3repE0EEENS1_52radix_sort_onesweep_histogram_config_static_selectorELNS0_4arch9wavefront6targetE1EEEvSG_
; %bb.0:
	s_load_dword s11, s[0:1], 0x14
	s_load_dwordx4 s[4:7], s[0:1], 0x0
	s_load_dwordx2 s[8:9], s[0:1], 0x1c
	s_lshl_b32 s10, s2, 13
	s_waitcnt lgkmcnt(0)
	s_cmp_ge_u32 s2, s11
	s_mov_b64 s[2:3], -1
	s_cbranch_scc0 .LBB502_319
; %bb.1:
	s_load_dword s2, s[0:1], 0x10
	s_lshl_b32 s3, s11, 13
	s_mov_b32 s11, 0
	s_lshl_b64 s[0:1], s[10:11], 3
                                        ; implicit-def: $vgpr16_vgpr17
	s_waitcnt lgkmcnt(0)
	s_sub_i32 s11, s2, s3
	s_add_u32 s0, s4, s0
	s_addc_u32 s1, s5, s1
	v_cmp_gt_u32_e32 vcc, s11, v0
	s_and_saveexec_b64 s[2:3], vcc
	s_cbranch_execz .LBB502_3
; %bb.2:
	v_lshlrev_b32_e32 v1, 3, v0
	global_load_dwordx2 v[16:17], v1, s[0:1]
.LBB502_3:
	s_or_b64 exec, exec, s[2:3]
	v_or_b32_e32 v25, 0x400, v0
	v_cmp_gt_u32_e32 vcc, s11, v25
                                        ; implicit-def: $vgpr14_vgpr15
	s_and_saveexec_b64 s[2:3], vcc
	s_cbranch_execz .LBB502_5
; %bb.4:
	v_lshlrev_b32_e32 v1, 3, v25
	global_load_dwordx2 v[14:15], v1, s[0:1]
.LBB502_5:
	s_or_b64 exec, exec, s[2:3]
	v_or_b32_e32 v24, 0x800, v0
	v_cmp_gt_u32_e32 vcc, s11, v24
                                        ; implicit-def: $vgpr12_vgpr13
	s_and_saveexec_b64 s[2:3], vcc
	s_cbranch_execz .LBB502_7
; %bb.6:
	v_lshlrev_b32_e32 v1, 3, v24
	global_load_dwordx2 v[12:13], v1, s[0:1]
.LBB502_7:
	s_or_b64 exec, exec, s[2:3]
	v_or_b32_e32 v23, 0xc00, v0
	v_cmp_gt_u32_e32 vcc, s11, v23
                                        ; implicit-def: $vgpr10_vgpr11
	s_and_saveexec_b64 s[2:3], vcc
	s_cbranch_execz .LBB502_9
; %bb.8:
	v_lshlrev_b32_e32 v1, 3, v23
	global_load_dwordx2 v[10:11], v1, s[0:1]
.LBB502_9:
	s_or_b64 exec, exec, s[2:3]
	v_or_b32_e32 v22, 0x1000, v0
	v_cmp_gt_u32_e32 vcc, s11, v22
                                        ; implicit-def: $vgpr8_vgpr9
	s_and_saveexec_b64 s[2:3], vcc
	s_cbranch_execz .LBB502_11
; %bb.10:
	v_lshlrev_b32_e32 v1, 3, v22
	global_load_dwordx2 v[8:9], v1, s[0:1]
.LBB502_11:
	s_or_b64 exec, exec, s[2:3]
	v_or_b32_e32 v21, 0x1400, v0
	v_cmp_gt_u32_e32 vcc, s11, v21
                                        ; implicit-def: $vgpr6_vgpr7
	s_and_saveexec_b64 s[2:3], vcc
	s_cbranch_execz .LBB502_13
; %bb.12:
	v_lshlrev_b32_e32 v1, 3, v21
	global_load_dwordx2 v[6:7], v1, s[0:1]
.LBB502_13:
	s_or_b64 exec, exec, s[2:3]
	v_or_b32_e32 v20, 0x1800, v0
	v_cmp_gt_u32_e32 vcc, s11, v20
                                        ; implicit-def: $vgpr4_vgpr5
	s_and_saveexec_b64 s[2:3], vcc
	s_cbranch_execz .LBB502_15
; %bb.14:
	v_lshlrev_b32_e32 v1, 3, v20
	global_load_dwordx2 v[4:5], v1, s[0:1]
.LBB502_15:
	s_or_b64 exec, exec, s[2:3]
	v_or_b32_e32 v19, 0x1c00, v0
	v_cmp_gt_u32_e32 vcc, s11, v19
                                        ; implicit-def: $vgpr2_vgpr3
	s_and_saveexec_b64 s[2:3], vcc
	s_cbranch_execz .LBB502_17
; %bb.16:
	v_lshlrev_b32_e32 v1, 3, v19
	global_load_dwordx2 v[2:3], v1, s[0:1]
.LBB502_17:
	s_or_b64 exec, exec, s[2:3]
	s_cmp_le_u32 s9, s8
	s_cselect_b64 s[2:3], -1, 0
	s_and_b64 s[0:1], s[2:3], exec
	v_lshlrev_b32_e32 v1, 2, v0
	v_mov_b32_e32 v26, 0
	v_cmp_le_u32_e32 vcc, s11, v0
	s_cselect_b32 s18, 8, 10
	v_and_b32_e32 v18, 3, v0
	ds_write2st64_b32 v1, v26, v26 offset1:16
	ds_write2st64_b32 v1, v26, v26 offset0:32 offset1:48
	ds_write2st64_b32 v1, v26, v26 offset0:64 offset1:80
	;; [unrolled: 1-line block ×3, first 2 shown]
	s_nor_b64 s[12:13], s[2:3], vcc
	v_mov_b32_e32 v26, s18
	s_waitcnt lgkmcnt(0)
	s_barrier
	s_and_saveexec_b64 s[0:1], s[12:13]
	s_cbranch_execz .LBB502_19
; %bb.18:
	s_sub_i32 s12, s9, s8
	s_min_u32 s12, s12, 8
	s_waitcnt vmcnt(0)
	v_lshrrev_b64 v[26:27], s8, v[16:17]
	v_bfe_u32 v26, v26, 0, s12
	v_lshlrev_b32_e32 v27, 2, v18
	v_lshl_or_b32 v26, v26, 4, v27
	v_mov_b32_e32 v27, 1
	ds_add_u32 v26, v27
	v_mov_b32_e32 v26, 0
.LBB502_19:
	s_or_b64 exec, exec, s[0:1]
	v_cmp_gt_i32_e64 s[0:1], 10, v26
	s_mov_b64 s[14:15], -1
	s_and_saveexec_b64 s[12:13], s[0:1]
; %bb.20:
	v_cmp_eq_u32_e64 s[0:1], 0, v26
	s_orn2_b64 s[14:15], s[0:1], exec
; %bb.21:
	s_or_b64 exec, exec, s[12:13]
	s_and_saveexec_b64 s[12:13], s[14:15]
	s_cbranch_execz .LBB502_54
; %bb.22:
	s_add_i32 s14, s8, 8
	s_cmp_le_u32 s9, s14
	s_cselect_b64 s[0:1], -1, 0
	s_and_b64 s[16:17], s[0:1], exec
	s_cselect_b32 s15, 8, 10
	s_nor_b64 s[16:17], s[0:1], vcc
	v_mov_b32_e32 v26, s15
	s_and_saveexec_b64 s[0:1], s[16:17]
	s_cbranch_execz .LBB502_24
; %bb.23:
	s_sub_i32 s15, s9, s14
	s_min_u32 s15, s15, 8
	s_waitcnt vmcnt(0)
	v_lshrrev_b64 v[26:27], s14, v[16:17]
	v_bfe_u32 v26, v26, 0, s15
	v_lshlrev_b32_e32 v27, 2, v18
	v_lshl_or_b32 v26, v26, 4, v27
	v_mov_b32_e32 v27, 1
	ds_add_u32 v26, v27 offset:4096
	v_mov_b32_e32 v26, 0
.LBB502_24:
	s_or_b64 exec, exec, s[0:1]
	v_cmp_gt_i32_e64 s[0:1], 10, v26
	s_mov_b64 s[14:15], -1
	s_and_saveexec_b64 s[16:17], s[0:1]
; %bb.25:
	v_cmp_eq_u32_e64 s[0:1], 0, v26
	s_orn2_b64 s[14:15], s[0:1], exec
; %bb.26:
	s_or_b64 exec, exec, s[16:17]
	s_and_b64 exec, exec, s[14:15]
	s_cbranch_execz .LBB502_54
; %bb.27:
	s_add_i32 s14, s8, 16
	s_cmp_le_u32 s9, s14
	s_cselect_b64 s[0:1], -1, 0
	s_and_b64 s[16:17], s[0:1], exec
	s_cselect_b32 s15, 8, 10
	s_nor_b64 s[16:17], s[0:1], vcc
	v_mov_b32_e32 v26, s15
	s_and_saveexec_b64 s[0:1], s[16:17]
	s_cbranch_execz .LBB502_29
; %bb.28:
	s_sub_i32 s15, s9, s14
	s_min_u32 s15, s15, 8
	s_waitcnt vmcnt(0)
	v_lshrrev_b64 v[26:27], s14, v[16:17]
	v_bfe_u32 v26, v26, 0, s15
	v_lshlrev_b32_e32 v27, 2, v18
	v_lshl_or_b32 v26, v26, 4, v27
	v_mov_b32_e32 v27, 1
	ds_add_u32 v26, v27 offset:8192
	v_mov_b32_e32 v26, 0
.LBB502_29:
	s_or_b64 exec, exec, s[0:1]
	v_cmp_gt_i32_e64 s[0:1], 10, v26
	s_mov_b64 s[14:15], -1
	s_and_saveexec_b64 s[16:17], s[0:1]
; %bb.30:
	v_cmp_eq_u32_e64 s[0:1], 0, v26
	s_orn2_b64 s[14:15], s[0:1], exec
; %bb.31:
	s_or_b64 exec, exec, s[16:17]
	s_and_b64 exec, exec, s[14:15]
	;; [unrolled: 33-line block ×6, first 2 shown]
	s_cbranch_execz .LBB502_54
; %bb.52:
	s_add_i32 s0, s8, 56
	s_cmp_gt_u32 s9, s0
	s_cselect_b64 s[14:15], -1, 0
	s_xor_b64 s[16:17], vcc, -1
	s_and_b64 s[14:15], s[14:15], s[16:17]
	s_and_b64 exec, exec, s[14:15]
	s_cbranch_execz .LBB502_54
; %bb.53:
	s_sub_i32 s1, s9, s0
	s_min_u32 s1, s1, 8
	s_waitcnt vmcnt(0)
	v_lshrrev_b64 v[16:17], s0, v[16:17]
	v_bfe_u32 v16, v16, 0, s1
	v_lshlrev_b32_e32 v17, 2, v18
	v_lshl_or_b32 v16, v16, 4, v17
	v_mov_b32_e32 v17, 1
	ds_add_u32 v16, v17 offset:28672
.LBB502_54:
	s_or_b64 exec, exec, s[12:13]
	v_cmp_le_u32_e32 vcc, s11, v25
	s_nor_b64 s[12:13], s[2:3], vcc
	s_waitcnt vmcnt(0)
	v_mov_b32_e32 v16, s18
	s_and_saveexec_b64 s[0:1], s[12:13]
	s_cbranch_execz .LBB502_56
; %bb.55:
	s_sub_i32 s12, s9, s8
	s_min_u32 s12, s12, 8
	v_lshrrev_b64 v[16:17], s8, v[14:15]
	v_bfe_u32 v16, v16, 0, s12
	v_lshlrev_b32_e32 v17, 2, v18
	v_lshl_or_b32 v16, v16, 4, v17
	v_mov_b32_e32 v17, 1
	ds_add_u32 v16, v17
	v_mov_b32_e32 v16, 0
.LBB502_56:
	s_or_b64 exec, exec, s[0:1]
	v_cmp_gt_i32_e64 s[0:1], 10, v16
	s_mov_b64 s[14:15], -1
	s_and_saveexec_b64 s[12:13], s[0:1]
; %bb.57:
	v_cmp_eq_u32_e64 s[0:1], 0, v16
	s_orn2_b64 s[14:15], s[0:1], exec
; %bb.58:
	s_or_b64 exec, exec, s[12:13]
	s_and_saveexec_b64 s[12:13], s[14:15]
	s_cbranch_execz .LBB502_91
; %bb.59:
	s_add_i32 s14, s8, 8
	s_cmp_le_u32 s9, s14
	s_cselect_b64 s[0:1], -1, 0
	s_and_b64 s[16:17], s[0:1], exec
	s_cselect_b32 s15, 8, 10
	s_nor_b64 s[16:17], s[0:1], vcc
	v_mov_b32_e32 v16, s15
	s_and_saveexec_b64 s[0:1], s[16:17]
	s_cbranch_execz .LBB502_61
; %bb.60:
	s_sub_i32 s15, s9, s14
	s_min_u32 s15, s15, 8
	v_lshrrev_b64 v[16:17], s14, v[14:15]
	v_bfe_u32 v16, v16, 0, s15
	v_lshlrev_b32_e32 v17, 2, v18
	v_lshl_or_b32 v16, v16, 4, v17
	v_mov_b32_e32 v17, 1
	ds_add_u32 v16, v17 offset:4096
	v_mov_b32_e32 v16, 0
.LBB502_61:
	s_or_b64 exec, exec, s[0:1]
	v_cmp_gt_i32_e64 s[0:1], 10, v16
	s_mov_b64 s[14:15], -1
	s_and_saveexec_b64 s[16:17], s[0:1]
; %bb.62:
	v_cmp_eq_u32_e64 s[0:1], 0, v16
	s_orn2_b64 s[14:15], s[0:1], exec
; %bb.63:
	s_or_b64 exec, exec, s[16:17]
	s_and_b64 exec, exec, s[14:15]
	s_cbranch_execz .LBB502_91
; %bb.64:
	s_add_i32 s14, s8, 16
	s_cmp_le_u32 s9, s14
	s_cselect_b64 s[0:1], -1, 0
	s_and_b64 s[16:17], s[0:1], exec
	s_cselect_b32 s15, 8, 10
	s_nor_b64 s[16:17], s[0:1], vcc
	v_mov_b32_e32 v16, s15
	s_and_saveexec_b64 s[0:1], s[16:17]
	s_cbranch_execz .LBB502_66
; %bb.65:
	s_sub_i32 s15, s9, s14
	s_min_u32 s15, s15, 8
	v_lshrrev_b64 v[16:17], s14, v[14:15]
	v_bfe_u32 v16, v16, 0, s15
	v_lshlrev_b32_e32 v17, 2, v18
	v_lshl_or_b32 v16, v16, 4, v17
	v_mov_b32_e32 v17, 1
	ds_add_u32 v16, v17 offset:8192
	v_mov_b32_e32 v16, 0
.LBB502_66:
	s_or_b64 exec, exec, s[0:1]
	v_cmp_gt_i32_e64 s[0:1], 10, v16
	s_mov_b64 s[14:15], -1
	s_and_saveexec_b64 s[16:17], s[0:1]
; %bb.67:
	v_cmp_eq_u32_e64 s[0:1], 0, v16
	s_orn2_b64 s[14:15], s[0:1], exec
; %bb.68:
	s_or_b64 exec, exec, s[16:17]
	s_and_b64 exec, exec, s[14:15]
	;; [unrolled: 32-line block ×6, first 2 shown]
	s_cbranch_execz .LBB502_91
; %bb.89:
	s_add_i32 s0, s8, 56
	s_cmp_gt_u32 s9, s0
	s_cselect_b64 s[14:15], -1, 0
	s_xor_b64 s[16:17], vcc, -1
	s_and_b64 s[14:15], s[14:15], s[16:17]
	s_and_b64 exec, exec, s[14:15]
	s_cbranch_execz .LBB502_91
; %bb.90:
	s_sub_i32 s1, s9, s0
	s_min_u32 s1, s1, 8
	v_lshrrev_b64 v[14:15], s0, v[14:15]
	v_bfe_u32 v14, v14, 0, s1
	v_lshlrev_b32_e32 v15, 2, v18
	v_lshl_or_b32 v14, v14, 4, v15
	v_mov_b32_e32 v15, 1
	ds_add_u32 v14, v15 offset:28672
.LBB502_91:
	s_or_b64 exec, exec, s[12:13]
	v_cmp_le_u32_e32 vcc, s11, v24
	s_nor_b64 s[12:13], s[2:3], vcc
	v_mov_b32_e32 v14, s18
	s_and_saveexec_b64 s[0:1], s[12:13]
	s_cbranch_execz .LBB502_93
; %bb.92:
	s_sub_i32 s12, s9, s8
	s_min_u32 s12, s12, 8
	v_lshrrev_b64 v[14:15], s8, v[12:13]
	v_bfe_u32 v14, v14, 0, s12
	v_lshlrev_b32_e32 v15, 2, v18
	v_lshl_or_b32 v14, v14, 4, v15
	v_mov_b32_e32 v15, 1
	ds_add_u32 v14, v15
	v_mov_b32_e32 v14, 0
.LBB502_93:
	s_or_b64 exec, exec, s[0:1]
	v_cmp_gt_i32_e64 s[0:1], 10, v14
	s_mov_b64 s[14:15], -1
	s_and_saveexec_b64 s[12:13], s[0:1]
; %bb.94:
	v_cmp_eq_u32_e64 s[0:1], 0, v14
	s_orn2_b64 s[14:15], s[0:1], exec
; %bb.95:
	s_or_b64 exec, exec, s[12:13]
	s_and_saveexec_b64 s[12:13], s[14:15]
	s_cbranch_execz .LBB502_128
; %bb.96:
	s_add_i32 s14, s8, 8
	s_cmp_le_u32 s9, s14
	s_cselect_b64 s[0:1], -1, 0
	s_and_b64 s[16:17], s[0:1], exec
	s_cselect_b32 s15, 8, 10
	s_nor_b64 s[16:17], s[0:1], vcc
	v_mov_b32_e32 v14, s15
	s_and_saveexec_b64 s[0:1], s[16:17]
	s_cbranch_execz .LBB502_98
; %bb.97:
	s_sub_i32 s15, s9, s14
	s_min_u32 s15, s15, 8
	v_lshrrev_b64 v[14:15], s14, v[12:13]
	v_bfe_u32 v14, v14, 0, s15
	v_lshlrev_b32_e32 v15, 2, v18
	v_lshl_or_b32 v14, v14, 4, v15
	v_mov_b32_e32 v15, 1
	ds_add_u32 v14, v15 offset:4096
	v_mov_b32_e32 v14, 0
.LBB502_98:
	s_or_b64 exec, exec, s[0:1]
	v_cmp_gt_i32_e64 s[0:1], 10, v14
	s_mov_b64 s[14:15], -1
	s_and_saveexec_b64 s[16:17], s[0:1]
; %bb.99:
	v_cmp_eq_u32_e64 s[0:1], 0, v14
	s_orn2_b64 s[14:15], s[0:1], exec
; %bb.100:
	s_or_b64 exec, exec, s[16:17]
	s_and_b64 exec, exec, s[14:15]
	s_cbranch_execz .LBB502_128
; %bb.101:
	s_add_i32 s14, s8, 16
	s_cmp_le_u32 s9, s14
	s_cselect_b64 s[0:1], -1, 0
	s_and_b64 s[16:17], s[0:1], exec
	s_cselect_b32 s15, 8, 10
	s_nor_b64 s[16:17], s[0:1], vcc
	v_mov_b32_e32 v14, s15
	s_and_saveexec_b64 s[0:1], s[16:17]
	s_cbranch_execz .LBB502_103
; %bb.102:
	s_sub_i32 s15, s9, s14
	s_min_u32 s15, s15, 8
	v_lshrrev_b64 v[14:15], s14, v[12:13]
	v_bfe_u32 v14, v14, 0, s15
	v_lshlrev_b32_e32 v15, 2, v18
	v_lshl_or_b32 v14, v14, 4, v15
	v_mov_b32_e32 v15, 1
	ds_add_u32 v14, v15 offset:8192
	v_mov_b32_e32 v14, 0
.LBB502_103:
	s_or_b64 exec, exec, s[0:1]
	v_cmp_gt_i32_e64 s[0:1], 10, v14
	s_mov_b64 s[14:15], -1
	s_and_saveexec_b64 s[16:17], s[0:1]
; %bb.104:
	v_cmp_eq_u32_e64 s[0:1], 0, v14
	s_orn2_b64 s[14:15], s[0:1], exec
; %bb.105:
	s_or_b64 exec, exec, s[16:17]
	s_and_b64 exec, exec, s[14:15]
	;; [unrolled: 32-line block ×6, first 2 shown]
	s_cbranch_execz .LBB502_128
; %bb.126:
	s_add_i32 s0, s8, 56
	s_cmp_gt_u32 s9, s0
	s_cselect_b64 s[14:15], -1, 0
	s_xor_b64 s[16:17], vcc, -1
	s_and_b64 s[14:15], s[14:15], s[16:17]
	s_and_b64 exec, exec, s[14:15]
	s_cbranch_execz .LBB502_128
; %bb.127:
	s_sub_i32 s1, s9, s0
	s_min_u32 s1, s1, 8
	v_lshrrev_b64 v[12:13], s0, v[12:13]
	v_bfe_u32 v12, v12, 0, s1
	v_lshlrev_b32_e32 v13, 2, v18
	v_lshl_or_b32 v12, v12, 4, v13
	v_mov_b32_e32 v13, 1
	ds_add_u32 v12, v13 offset:28672
.LBB502_128:
	s_or_b64 exec, exec, s[12:13]
	v_cmp_le_u32_e32 vcc, s11, v23
	s_nor_b64 s[12:13], s[2:3], vcc
	v_mov_b32_e32 v12, s18
	s_and_saveexec_b64 s[0:1], s[12:13]
	s_cbranch_execz .LBB502_130
; %bb.129:
	s_sub_i32 s12, s9, s8
	s_min_u32 s12, s12, 8
	v_lshrrev_b64 v[12:13], s8, v[10:11]
	v_bfe_u32 v12, v12, 0, s12
	v_lshlrev_b32_e32 v13, 2, v18
	v_lshl_or_b32 v12, v12, 4, v13
	v_mov_b32_e32 v13, 1
	ds_add_u32 v12, v13
	v_mov_b32_e32 v12, 0
.LBB502_130:
	s_or_b64 exec, exec, s[0:1]
	v_cmp_gt_i32_e64 s[0:1], 10, v12
	s_mov_b64 s[14:15], -1
	s_and_saveexec_b64 s[12:13], s[0:1]
; %bb.131:
	v_cmp_eq_u32_e64 s[0:1], 0, v12
	s_orn2_b64 s[14:15], s[0:1], exec
; %bb.132:
	s_or_b64 exec, exec, s[12:13]
	s_and_saveexec_b64 s[12:13], s[14:15]
	s_cbranch_execz .LBB502_165
; %bb.133:
	s_add_i32 s14, s8, 8
	s_cmp_le_u32 s9, s14
	s_cselect_b64 s[0:1], -1, 0
	s_and_b64 s[16:17], s[0:1], exec
	s_cselect_b32 s15, 8, 10
	s_nor_b64 s[16:17], s[0:1], vcc
	v_mov_b32_e32 v12, s15
	s_and_saveexec_b64 s[0:1], s[16:17]
	s_cbranch_execz .LBB502_135
; %bb.134:
	s_sub_i32 s15, s9, s14
	s_min_u32 s15, s15, 8
	v_lshrrev_b64 v[12:13], s14, v[10:11]
	v_bfe_u32 v12, v12, 0, s15
	v_lshlrev_b32_e32 v13, 2, v18
	v_lshl_or_b32 v12, v12, 4, v13
	v_mov_b32_e32 v13, 1
	ds_add_u32 v12, v13 offset:4096
	v_mov_b32_e32 v12, 0
.LBB502_135:
	s_or_b64 exec, exec, s[0:1]
	v_cmp_gt_i32_e64 s[0:1], 10, v12
	s_mov_b64 s[14:15], -1
	s_and_saveexec_b64 s[16:17], s[0:1]
; %bb.136:
	v_cmp_eq_u32_e64 s[0:1], 0, v12
	s_orn2_b64 s[14:15], s[0:1], exec
; %bb.137:
	s_or_b64 exec, exec, s[16:17]
	s_and_b64 exec, exec, s[14:15]
	s_cbranch_execz .LBB502_165
; %bb.138:
	s_add_i32 s14, s8, 16
	s_cmp_le_u32 s9, s14
	s_cselect_b64 s[0:1], -1, 0
	s_and_b64 s[16:17], s[0:1], exec
	s_cselect_b32 s15, 8, 10
	s_nor_b64 s[16:17], s[0:1], vcc
	v_mov_b32_e32 v12, s15
	s_and_saveexec_b64 s[0:1], s[16:17]
	s_cbranch_execz .LBB502_140
; %bb.139:
	s_sub_i32 s15, s9, s14
	s_min_u32 s15, s15, 8
	v_lshrrev_b64 v[12:13], s14, v[10:11]
	v_bfe_u32 v12, v12, 0, s15
	v_lshlrev_b32_e32 v13, 2, v18
	v_lshl_or_b32 v12, v12, 4, v13
	v_mov_b32_e32 v13, 1
	ds_add_u32 v12, v13 offset:8192
	v_mov_b32_e32 v12, 0
.LBB502_140:
	s_or_b64 exec, exec, s[0:1]
	v_cmp_gt_i32_e64 s[0:1], 10, v12
	s_mov_b64 s[14:15], -1
	s_and_saveexec_b64 s[16:17], s[0:1]
; %bb.141:
	v_cmp_eq_u32_e64 s[0:1], 0, v12
	s_orn2_b64 s[14:15], s[0:1], exec
; %bb.142:
	s_or_b64 exec, exec, s[16:17]
	s_and_b64 exec, exec, s[14:15]
	;; [unrolled: 32-line block ×6, first 2 shown]
	s_cbranch_execz .LBB502_165
; %bb.163:
	s_add_i32 s0, s8, 56
	s_cmp_gt_u32 s9, s0
	s_cselect_b64 s[14:15], -1, 0
	s_xor_b64 s[16:17], vcc, -1
	s_and_b64 s[14:15], s[14:15], s[16:17]
	s_and_b64 exec, exec, s[14:15]
	s_cbranch_execz .LBB502_165
; %bb.164:
	s_sub_i32 s1, s9, s0
	s_min_u32 s1, s1, 8
	v_lshrrev_b64 v[10:11], s0, v[10:11]
	v_bfe_u32 v10, v10, 0, s1
	v_lshlrev_b32_e32 v11, 2, v18
	v_lshl_or_b32 v10, v10, 4, v11
	v_mov_b32_e32 v11, 1
	ds_add_u32 v10, v11 offset:28672
.LBB502_165:
	s_or_b64 exec, exec, s[12:13]
	v_cmp_le_u32_e32 vcc, s11, v22
	s_nor_b64 s[12:13], s[2:3], vcc
	v_mov_b32_e32 v10, s18
	s_and_saveexec_b64 s[0:1], s[12:13]
	s_cbranch_execz .LBB502_167
; %bb.166:
	s_sub_i32 s12, s9, s8
	s_min_u32 s12, s12, 8
	v_lshrrev_b64 v[10:11], s8, v[8:9]
	v_bfe_u32 v10, v10, 0, s12
	v_lshlrev_b32_e32 v11, 2, v18
	v_lshl_or_b32 v10, v10, 4, v11
	v_mov_b32_e32 v11, 1
	ds_add_u32 v10, v11
	v_mov_b32_e32 v10, 0
.LBB502_167:
	s_or_b64 exec, exec, s[0:1]
	v_cmp_gt_i32_e64 s[0:1], 10, v10
	s_mov_b64 s[14:15], -1
	s_and_saveexec_b64 s[12:13], s[0:1]
; %bb.168:
	v_cmp_eq_u32_e64 s[0:1], 0, v10
	s_orn2_b64 s[14:15], s[0:1], exec
; %bb.169:
	s_or_b64 exec, exec, s[12:13]
	s_and_saveexec_b64 s[12:13], s[14:15]
	s_cbranch_execz .LBB502_202
; %bb.170:
	s_add_i32 s14, s8, 8
	s_cmp_le_u32 s9, s14
	s_cselect_b64 s[0:1], -1, 0
	s_and_b64 s[16:17], s[0:1], exec
	s_cselect_b32 s15, 8, 10
	s_nor_b64 s[16:17], s[0:1], vcc
	v_mov_b32_e32 v10, s15
	s_and_saveexec_b64 s[0:1], s[16:17]
	s_cbranch_execz .LBB502_172
; %bb.171:
	s_sub_i32 s15, s9, s14
	s_min_u32 s15, s15, 8
	v_lshrrev_b64 v[10:11], s14, v[8:9]
	v_bfe_u32 v10, v10, 0, s15
	v_lshlrev_b32_e32 v11, 2, v18
	v_lshl_or_b32 v10, v10, 4, v11
	v_mov_b32_e32 v11, 1
	ds_add_u32 v10, v11 offset:4096
	v_mov_b32_e32 v10, 0
.LBB502_172:
	s_or_b64 exec, exec, s[0:1]
	v_cmp_gt_i32_e64 s[0:1], 10, v10
	s_mov_b64 s[14:15], -1
	s_and_saveexec_b64 s[16:17], s[0:1]
; %bb.173:
	v_cmp_eq_u32_e64 s[0:1], 0, v10
	s_orn2_b64 s[14:15], s[0:1], exec
; %bb.174:
	s_or_b64 exec, exec, s[16:17]
	s_and_b64 exec, exec, s[14:15]
	s_cbranch_execz .LBB502_202
; %bb.175:
	s_add_i32 s14, s8, 16
	s_cmp_le_u32 s9, s14
	s_cselect_b64 s[0:1], -1, 0
	s_and_b64 s[16:17], s[0:1], exec
	s_cselect_b32 s15, 8, 10
	s_nor_b64 s[16:17], s[0:1], vcc
	v_mov_b32_e32 v10, s15
	s_and_saveexec_b64 s[0:1], s[16:17]
	s_cbranch_execz .LBB502_177
; %bb.176:
	s_sub_i32 s15, s9, s14
	s_min_u32 s15, s15, 8
	v_lshrrev_b64 v[10:11], s14, v[8:9]
	v_bfe_u32 v10, v10, 0, s15
	v_lshlrev_b32_e32 v11, 2, v18
	v_lshl_or_b32 v10, v10, 4, v11
	v_mov_b32_e32 v11, 1
	ds_add_u32 v10, v11 offset:8192
	v_mov_b32_e32 v10, 0
.LBB502_177:
	s_or_b64 exec, exec, s[0:1]
	v_cmp_gt_i32_e64 s[0:1], 10, v10
	s_mov_b64 s[14:15], -1
	s_and_saveexec_b64 s[16:17], s[0:1]
; %bb.178:
	v_cmp_eq_u32_e64 s[0:1], 0, v10
	s_orn2_b64 s[14:15], s[0:1], exec
; %bb.179:
	s_or_b64 exec, exec, s[16:17]
	s_and_b64 exec, exec, s[14:15]
	;; [unrolled: 32-line block ×6, first 2 shown]
	s_cbranch_execz .LBB502_202
; %bb.200:
	s_add_i32 s0, s8, 56
	s_cmp_gt_u32 s9, s0
	s_cselect_b64 s[14:15], -1, 0
	s_xor_b64 s[16:17], vcc, -1
	s_and_b64 s[14:15], s[14:15], s[16:17]
	s_and_b64 exec, exec, s[14:15]
	s_cbranch_execz .LBB502_202
; %bb.201:
	s_sub_i32 s1, s9, s0
	s_min_u32 s1, s1, 8
	v_lshrrev_b64 v[8:9], s0, v[8:9]
	v_bfe_u32 v8, v8, 0, s1
	v_lshlrev_b32_e32 v9, 2, v18
	v_lshl_or_b32 v8, v8, 4, v9
	v_mov_b32_e32 v9, 1
	ds_add_u32 v8, v9 offset:28672
.LBB502_202:
	s_or_b64 exec, exec, s[12:13]
	v_cmp_le_u32_e32 vcc, s11, v21
	s_nor_b64 s[12:13], s[2:3], vcc
	v_mov_b32_e32 v8, s18
	s_and_saveexec_b64 s[0:1], s[12:13]
	s_cbranch_execz .LBB502_204
; %bb.203:
	s_sub_i32 s12, s9, s8
	s_min_u32 s12, s12, 8
	v_lshrrev_b64 v[8:9], s8, v[6:7]
	v_bfe_u32 v8, v8, 0, s12
	v_lshlrev_b32_e32 v9, 2, v18
	v_lshl_or_b32 v8, v8, 4, v9
	v_mov_b32_e32 v9, 1
	ds_add_u32 v8, v9
	v_mov_b32_e32 v8, 0
.LBB502_204:
	s_or_b64 exec, exec, s[0:1]
	v_cmp_gt_i32_e64 s[0:1], 10, v8
	s_mov_b64 s[14:15], -1
	s_and_saveexec_b64 s[12:13], s[0:1]
; %bb.205:
	v_cmp_eq_u32_e64 s[0:1], 0, v8
	s_orn2_b64 s[14:15], s[0:1], exec
; %bb.206:
	s_or_b64 exec, exec, s[12:13]
	s_and_saveexec_b64 s[12:13], s[14:15]
	s_cbranch_execz .LBB502_239
; %bb.207:
	s_add_i32 s14, s8, 8
	s_cmp_le_u32 s9, s14
	s_cselect_b64 s[0:1], -1, 0
	s_and_b64 s[16:17], s[0:1], exec
	s_cselect_b32 s15, 8, 10
	s_nor_b64 s[16:17], s[0:1], vcc
	v_mov_b32_e32 v8, s15
	s_and_saveexec_b64 s[0:1], s[16:17]
	s_cbranch_execz .LBB502_209
; %bb.208:
	s_sub_i32 s15, s9, s14
	s_min_u32 s15, s15, 8
	v_lshrrev_b64 v[8:9], s14, v[6:7]
	v_bfe_u32 v8, v8, 0, s15
	v_lshlrev_b32_e32 v9, 2, v18
	v_lshl_or_b32 v8, v8, 4, v9
	v_mov_b32_e32 v9, 1
	ds_add_u32 v8, v9 offset:4096
	v_mov_b32_e32 v8, 0
.LBB502_209:
	s_or_b64 exec, exec, s[0:1]
	v_cmp_gt_i32_e64 s[0:1], 10, v8
	s_mov_b64 s[14:15], -1
	s_and_saveexec_b64 s[16:17], s[0:1]
; %bb.210:
	v_cmp_eq_u32_e64 s[0:1], 0, v8
	s_orn2_b64 s[14:15], s[0:1], exec
; %bb.211:
	s_or_b64 exec, exec, s[16:17]
	s_and_b64 exec, exec, s[14:15]
	s_cbranch_execz .LBB502_239
; %bb.212:
	s_add_i32 s14, s8, 16
	s_cmp_le_u32 s9, s14
	s_cselect_b64 s[0:1], -1, 0
	s_and_b64 s[16:17], s[0:1], exec
	s_cselect_b32 s15, 8, 10
	s_nor_b64 s[16:17], s[0:1], vcc
	v_mov_b32_e32 v8, s15
	s_and_saveexec_b64 s[0:1], s[16:17]
	s_cbranch_execz .LBB502_214
; %bb.213:
	s_sub_i32 s15, s9, s14
	s_min_u32 s15, s15, 8
	v_lshrrev_b64 v[8:9], s14, v[6:7]
	v_bfe_u32 v8, v8, 0, s15
	v_lshlrev_b32_e32 v9, 2, v18
	v_lshl_or_b32 v8, v8, 4, v9
	v_mov_b32_e32 v9, 1
	ds_add_u32 v8, v9 offset:8192
	v_mov_b32_e32 v8, 0
.LBB502_214:
	s_or_b64 exec, exec, s[0:1]
	v_cmp_gt_i32_e64 s[0:1], 10, v8
	s_mov_b64 s[14:15], -1
	s_and_saveexec_b64 s[16:17], s[0:1]
; %bb.215:
	v_cmp_eq_u32_e64 s[0:1], 0, v8
	s_orn2_b64 s[14:15], s[0:1], exec
; %bb.216:
	s_or_b64 exec, exec, s[16:17]
	s_and_b64 exec, exec, s[14:15]
	;; [unrolled: 32-line block ×6, first 2 shown]
	s_cbranch_execz .LBB502_239
; %bb.237:
	s_add_i32 s0, s8, 56
	s_cmp_gt_u32 s9, s0
	s_cselect_b64 s[14:15], -1, 0
	s_xor_b64 s[16:17], vcc, -1
	s_and_b64 s[14:15], s[14:15], s[16:17]
	s_and_b64 exec, exec, s[14:15]
	s_cbranch_execz .LBB502_239
; %bb.238:
	s_sub_i32 s1, s9, s0
	s_min_u32 s1, s1, 8
	v_lshrrev_b64 v[6:7], s0, v[6:7]
	v_bfe_u32 v6, v6, 0, s1
	v_lshlrev_b32_e32 v7, 2, v18
	v_lshl_or_b32 v6, v6, 4, v7
	v_mov_b32_e32 v7, 1
	ds_add_u32 v6, v7 offset:28672
.LBB502_239:
	s_or_b64 exec, exec, s[12:13]
	v_cmp_le_u32_e32 vcc, s11, v20
	s_nor_b64 s[12:13], s[2:3], vcc
	v_mov_b32_e32 v6, s18
	s_and_saveexec_b64 s[0:1], s[12:13]
	s_cbranch_execz .LBB502_241
; %bb.240:
	s_sub_i32 s12, s9, s8
	s_min_u32 s12, s12, 8
	v_lshrrev_b64 v[6:7], s8, v[4:5]
	v_bfe_u32 v6, v6, 0, s12
	v_lshlrev_b32_e32 v7, 2, v18
	v_lshl_or_b32 v6, v6, 4, v7
	v_mov_b32_e32 v7, 1
	ds_add_u32 v6, v7
	v_mov_b32_e32 v6, 0
.LBB502_241:
	s_or_b64 exec, exec, s[0:1]
	v_cmp_gt_i32_e64 s[0:1], 10, v6
	s_mov_b64 s[14:15], -1
	s_and_saveexec_b64 s[12:13], s[0:1]
; %bb.242:
	v_cmp_eq_u32_e64 s[0:1], 0, v6
	s_orn2_b64 s[14:15], s[0:1], exec
; %bb.243:
	s_or_b64 exec, exec, s[12:13]
	s_and_saveexec_b64 s[12:13], s[14:15]
	s_cbranch_execz .LBB502_276
; %bb.244:
	s_add_i32 s14, s8, 8
	s_cmp_le_u32 s9, s14
	s_cselect_b64 s[0:1], -1, 0
	s_and_b64 s[16:17], s[0:1], exec
	s_cselect_b32 s15, 8, 10
	s_nor_b64 s[16:17], s[0:1], vcc
	v_mov_b32_e32 v6, s15
	s_and_saveexec_b64 s[0:1], s[16:17]
	s_cbranch_execz .LBB502_246
; %bb.245:
	s_sub_i32 s15, s9, s14
	s_min_u32 s15, s15, 8
	v_lshrrev_b64 v[6:7], s14, v[4:5]
	v_bfe_u32 v6, v6, 0, s15
	v_lshlrev_b32_e32 v7, 2, v18
	v_lshl_or_b32 v6, v6, 4, v7
	v_mov_b32_e32 v7, 1
	ds_add_u32 v6, v7 offset:4096
	v_mov_b32_e32 v6, 0
.LBB502_246:
	s_or_b64 exec, exec, s[0:1]
	v_cmp_gt_i32_e64 s[0:1], 10, v6
	s_mov_b64 s[14:15], -1
	s_and_saveexec_b64 s[16:17], s[0:1]
; %bb.247:
	v_cmp_eq_u32_e64 s[0:1], 0, v6
	s_orn2_b64 s[14:15], s[0:1], exec
; %bb.248:
	s_or_b64 exec, exec, s[16:17]
	s_and_b64 exec, exec, s[14:15]
	s_cbranch_execz .LBB502_276
; %bb.249:
	s_add_i32 s14, s8, 16
	s_cmp_le_u32 s9, s14
	s_cselect_b64 s[0:1], -1, 0
	s_and_b64 s[16:17], s[0:1], exec
	s_cselect_b32 s15, 8, 10
	s_nor_b64 s[16:17], s[0:1], vcc
	v_mov_b32_e32 v6, s15
	s_and_saveexec_b64 s[0:1], s[16:17]
	s_cbranch_execz .LBB502_251
; %bb.250:
	s_sub_i32 s15, s9, s14
	s_min_u32 s15, s15, 8
	v_lshrrev_b64 v[6:7], s14, v[4:5]
	v_bfe_u32 v6, v6, 0, s15
	v_lshlrev_b32_e32 v7, 2, v18
	v_lshl_or_b32 v6, v6, 4, v7
	v_mov_b32_e32 v7, 1
	ds_add_u32 v6, v7 offset:8192
	v_mov_b32_e32 v6, 0
.LBB502_251:
	s_or_b64 exec, exec, s[0:1]
	v_cmp_gt_i32_e64 s[0:1], 10, v6
	s_mov_b64 s[14:15], -1
	s_and_saveexec_b64 s[16:17], s[0:1]
; %bb.252:
	v_cmp_eq_u32_e64 s[0:1], 0, v6
	s_orn2_b64 s[14:15], s[0:1], exec
; %bb.253:
	s_or_b64 exec, exec, s[16:17]
	s_and_b64 exec, exec, s[14:15]
	;; [unrolled: 32-line block ×6, first 2 shown]
	s_cbranch_execz .LBB502_276
; %bb.274:
	s_add_i32 s0, s8, 56
	s_cmp_gt_u32 s9, s0
	s_cselect_b64 s[14:15], -1, 0
	s_xor_b64 s[16:17], vcc, -1
	s_and_b64 s[14:15], s[14:15], s[16:17]
	s_and_b64 exec, exec, s[14:15]
	s_cbranch_execz .LBB502_276
; %bb.275:
	s_sub_i32 s1, s9, s0
	s_min_u32 s1, s1, 8
	v_lshrrev_b64 v[4:5], s0, v[4:5]
	v_bfe_u32 v4, v4, 0, s1
	v_lshlrev_b32_e32 v5, 2, v18
	v_lshl_or_b32 v4, v4, 4, v5
	v_mov_b32_e32 v5, 1
	ds_add_u32 v4, v5 offset:28672
.LBB502_276:
	s_or_b64 exec, exec, s[12:13]
	v_cmp_le_u32_e32 vcc, s11, v19
	s_nor_b64 s[2:3], s[2:3], vcc
	v_mov_b32_e32 v4, s18
	s_and_saveexec_b64 s[0:1], s[2:3]
	s_cbranch_execz .LBB502_278
; %bb.277:
	s_sub_i32 s2, s9, s8
	s_min_u32 s2, s2, 8
	v_lshrrev_b64 v[4:5], s8, v[2:3]
	v_bfe_u32 v4, v4, 0, s2
	v_lshlrev_b32_e32 v5, 2, v18
	v_lshl_or_b32 v4, v4, 4, v5
	v_mov_b32_e32 v5, 1
	ds_add_u32 v4, v5
	v_mov_b32_e32 v4, 0
.LBB502_278:
	s_or_b64 exec, exec, s[0:1]
	v_cmp_gt_i32_e64 s[0:1], 10, v4
	s_mov_b64 s[12:13], -1
	s_and_saveexec_b64 s[2:3], s[0:1]
; %bb.279:
	v_cmp_eq_u32_e64 s[0:1], 0, v4
	s_orn2_b64 s[12:13], s[0:1], exec
; %bb.280:
	s_or_b64 exec, exec, s[2:3]
	s_and_saveexec_b64 s[2:3], s[12:13]
	s_cbranch_execz .LBB502_313
; %bb.281:
	s_add_i32 s11, s8, 8
	s_cmp_le_u32 s9, s11
	s_cselect_b64 s[0:1], -1, 0
	s_and_b64 s[12:13], s[0:1], exec
	s_cselect_b32 s14, 8, 10
	s_nor_b64 s[12:13], s[0:1], vcc
	v_mov_b32_e32 v4, s14
	s_and_saveexec_b64 s[0:1], s[12:13]
	s_cbranch_execz .LBB502_283
; %bb.282:
	s_sub_i32 s12, s9, s11
	s_min_u32 s12, s12, 8
	v_lshrrev_b64 v[4:5], s11, v[2:3]
	v_bfe_u32 v4, v4, 0, s12
	v_lshlrev_b32_e32 v5, 2, v18
	v_lshl_or_b32 v4, v4, 4, v5
	v_mov_b32_e32 v5, 1
	ds_add_u32 v4, v5 offset:4096
	v_mov_b32_e32 v4, 0
.LBB502_283:
	s_or_b64 exec, exec, s[0:1]
	v_cmp_gt_i32_e64 s[0:1], 10, v4
	s_mov_b64 s[12:13], -1
	s_and_saveexec_b64 s[14:15], s[0:1]
; %bb.284:
	v_cmp_eq_u32_e64 s[0:1], 0, v4
	s_orn2_b64 s[12:13], s[0:1], exec
; %bb.285:
	s_or_b64 exec, exec, s[14:15]
	s_and_b64 exec, exec, s[12:13]
	s_cbranch_execz .LBB502_313
; %bb.286:
	s_add_i32 s11, s8, 16
	s_cmp_le_u32 s9, s11
	s_cselect_b64 s[0:1], -1, 0
	s_and_b64 s[12:13], s[0:1], exec
	s_cselect_b32 s14, 8, 10
	s_nor_b64 s[12:13], s[0:1], vcc
	v_mov_b32_e32 v4, s14
	s_and_saveexec_b64 s[0:1], s[12:13]
	s_cbranch_execz .LBB502_288
; %bb.287:
	s_sub_i32 s12, s9, s11
	s_min_u32 s12, s12, 8
	v_lshrrev_b64 v[4:5], s11, v[2:3]
	v_bfe_u32 v4, v4, 0, s12
	v_lshlrev_b32_e32 v5, 2, v18
	v_lshl_or_b32 v4, v4, 4, v5
	v_mov_b32_e32 v5, 1
	ds_add_u32 v4, v5 offset:8192
	v_mov_b32_e32 v4, 0
.LBB502_288:
	s_or_b64 exec, exec, s[0:1]
	v_cmp_gt_i32_e64 s[0:1], 10, v4
	s_mov_b64 s[12:13], -1
	s_and_saveexec_b64 s[14:15], s[0:1]
; %bb.289:
	v_cmp_eq_u32_e64 s[0:1], 0, v4
	s_orn2_b64 s[12:13], s[0:1], exec
; %bb.290:
	s_or_b64 exec, exec, s[14:15]
	s_and_b64 exec, exec, s[12:13]
	;; [unrolled: 32-line block ×6, first 2 shown]
	s_cbranch_execz .LBB502_313
; %bb.311:
	s_add_i32 s0, s8, 56
	s_cmp_gt_u32 s9, s0
	s_cselect_b64 s[12:13], -1, 0
	s_xor_b64 s[14:15], vcc, -1
	s_and_b64 s[12:13], s[12:13], s[14:15]
	s_and_b64 exec, exec, s[12:13]
	s_cbranch_execz .LBB502_313
; %bb.312:
	s_sub_i32 s1, s9, s0
	s_min_u32 s1, s1, 8
	v_lshrrev_b64 v[2:3], s0, v[2:3]
	v_bfe_u32 v2, v2, 0, s1
	v_lshlrev_b32_e32 v3, 2, v18
	v_lshl_or_b32 v2, v2, 4, v3
	v_mov_b32_e32 v3, 1
	ds_add_u32 v2, v3 offset:28672
.LBB502_313:
	s_or_b64 exec, exec, s[2:3]
	s_cmp_gt_u32 s9, s8
	s_waitcnt lgkmcnt(0)
	s_barrier
	s_cbranch_scc0 .LBB502_318
; %bb.314:
	s_movk_i32 s0, 0x100
	v_cmp_gt_u32_e32 vcc, s0, v0
	v_mad_u32_u24 v1, v0, 12, v1
	v_mov_b32_e32 v3, 0
	v_mov_b32_e32 v2, v0
	s_mov_b32 s2, s8
	s_branch .LBB502_316
.LBB502_315:                            ;   in Loop: Header=BB502_316 Depth=1
	s_or_b64 exec, exec, s[0:1]
	s_add_i32 s2, s2, 8
	v_add_u32_e32 v2, 0x100, v2
	s_cmp_lt_u32 s2, s9
	v_add_u32_e32 v1, 0x1000, v1
	s_cbranch_scc0 .LBB502_318
.LBB502_316:                            ; =>This Inner Loop Header: Depth=1
	s_and_saveexec_b64 s[0:1], vcc
	s_cbranch_execz .LBB502_315
; %bb.317:                              ;   in Loop: Header=BB502_316 Depth=1
	ds_read2_b32 v[4:5], v1 offset1:1
	ds_read2_b32 v[6:7], v1 offset0:2 offset1:3
	s_waitcnt lgkmcnt(1)
	v_add_u32_e32 v4, v5, v4
	s_waitcnt lgkmcnt(0)
	v_add3_u32 v6, v4, v6, v7
	v_lshl_add_u64 v[4:5], v[2:3], 2, s[6:7]
	global_atomic_add v[4:5], v6, off
	s_branch .LBB502_315
.LBB502_318:
	s_mov_b64 s[2:3], 0
.LBB502_319:
	s_and_b64 vcc, exec, s[2:3]
	s_cbranch_vccz .LBB502_411
; %bb.320:
	s_cmp_eq_u32 s8, 0
	s_cselect_b64 s[0:1], -1, 0
	s_cmp_eq_u32 s9, 64
	s_mov_b32 s11, 0
	s_cselect_b64 s[2:3], -1, 0
	s_and_b64 s[2:3], s[0:1], s[2:3]
	s_lshl_b64 s[0:1], s[10:11], 3
	s_add_u32 s0, s4, s0
	s_addc_u32 s1, s5, s1
	v_mov_b32_e32 v3, 0
	v_lshlrev_b32_e32 v2, 3, v0
	v_lshl_add_u64 v[4:5], s[0:1], 0, v[2:3]
	s_movk_i32 s4, 0x2000
	v_add_co_u32_e32 v6, vcc, s4, v4
	s_movk_i32 s4, 0x4000
	s_nop 0
	v_addc_co_u32_e32 v7, vcc, 0, v5, vcc
	v_add_co_u32_e32 v8, vcc, s4, v4
	s_movk_i32 s4, 0x6000
	s_nop 0
	v_addc_co_u32_e32 v9, vcc, 0, v5, vcc
	v_add_co_u32_e32 v18, vcc, s4, v4
	s_mov_b32 s4, 0x8000
	s_nop 0
	v_addc_co_u32_e32 v19, vcc, 0, v5, vcc
	v_add_co_u32_e32 v20, vcc, s4, v4
	s_mov_b32 s4, 0xa000
	s_nop 0
	v_addc_co_u32_e32 v21, vcc, 0, v5, vcc
	global_load_dwordx2 v[16:17], v[6:7], off
	global_load_dwordx2 v[14:15], v[8:9], off
	;; [unrolled: 1-line block ×4, first 2 shown]
	v_add_co_u32_e32 v20, vcc, s4, v4
	s_nop 1
	v_addc_co_u32_e32 v21, vcc, 0, v5, vcc
	v_add_co_u32_e32 v22, vcc, 0xc000, v4
	s_nop 1
	v_addc_co_u32_e32 v23, vcc, 0, v5, vcc
	;; [unrolled: 3-line block ×3, first 2 shown]
	global_load_dwordx2 v[18:19], v2, s[0:1]
	global_load_dwordx2 v[8:9], v[20:21], off
	global_load_dwordx2 v[6:7], v[22:23], off
	;; [unrolled: 1-line block ×3, first 2 shown]
	s_mov_b64 s[0:1], -1
	s_and_b64 vcc, exec, s[2:3]
	v_lshlrev_b32_e32 v2, 2, v0
	s_cbranch_vccnz .LBB502_408
; %bb.321:
	s_cmp_gt_u32 s9, s8
	s_cselect_b64 s[0:1], -1, 0
	s_and_b64 vcc, exec, s[0:1]
	ds_write2st64_b32 v2, v3, v3 offset1:16
	ds_write2st64_b32 v2, v3, v3 offset0:32 offset1:48
	ds_write2st64_b32 v2, v3, v3 offset0:64 offset1:80
	;; [unrolled: 1-line block ×3, first 2 shown]
	s_waitcnt lgkmcnt(0)
	s_barrier
	s_cbranch_vccz .LBB502_402
; %bb.322:
	s_sub_i32 s2, s9, s8
	s_min_u32 s2, s2, 8
	v_and_b32_e32 v1, 3, v0
	s_lshl_b32 s2, -1, s2
	s_waitcnt vmcnt(3)
	v_lshrrev_b64 v[20:21], s8, v[18:19]
	v_bitop3_b32 v20, v20, s2, v20 bitop3:0x30
	v_lshlrev_b32_e32 v3, 2, v1
	v_lshl_or_b32 v20, v20, 4, v3
	v_mov_b32_e32 v21, 1
	s_not_b32 s12, s2
	ds_add_u32 v20, v21
	s_add_i32 s13, s8, 8
	s_cmp_le_u32 s9, s13
	s_cselect_b64 s[2:3], -1, 0
	s_and_b64 vcc, exec, s[2:3]
	v_lshrrev_b64 v[20:21], s8, v[16:17]
	s_cbranch_vccz .LBB502_324
; %bb.323:
	v_and_b32_e32 v21, s12, v20
	v_lshlrev_b32_e32 v21, 4, v21
	s_mov_b64 s[4:5], -1
	s_cbranch_execz .LBB502_325
	s_branch .LBB502_340
.LBB502_324:
	s_mov_b64 s[4:5], 0
                                        ; implicit-def: $vgpr21
.LBB502_325:
	s_sub_i32 s10, s9, s13
	s_min_u32 s10, s10, 8
	s_lshl_b32 s10, -1, s10
	v_lshrrev_b64 v[22:23], s13, v[18:19]
	v_bitop3_b32 v21, v22, s10, v22 bitop3:0x30
	v_lshl_or_b32 v22, v21, 4, v3
	v_mov_b32_e32 v21, 1
	ds_add_u32 v22, v21 offset:4096
	s_not_b32 s15, s10
	s_add_i32 s14, s8, 16
	s_cmp_gt_u32 s9, s14
	s_cselect_b64 s[10:11], -1, 0
	s_cmp_le_u32 s9, s14
	s_cbranch_scc1 .LBB502_332
; %bb.326:
	s_sub_i32 s16, s9, s14
	s_min_u32 s16, s16, 8
	v_lshrrev_b64 v[22:23], s14, v[18:19]
	v_bfe_u32 v22, v22, 0, s16
	v_lshl_or_b32 v22, v22, 4, v3
	ds_add_u32 v22, v21 offset:8192
	s_add_i32 s16, s8, 24
	s_cmp_le_u32 s9, s16
	s_cbranch_scc1 .LBB502_332
; %bb.327:
	s_sub_i32 s17, s9, s16
	s_min_u32 s17, s17, 8
	v_lshrrev_b64 v[22:23], s16, v[18:19]
	v_bfe_u32 v22, v22, 0, s17
	v_lshl_or_b32 v23, v22, 4, v3
	v_mov_b32_e32 v22, 1
	ds_add_u32 v23, v22 offset:12288
	s_add_i32 s16, s8, 32
	s_cmp_le_u32 s9, s16
	s_cbranch_scc1 .LBB502_332
; %bb.328:
	s_sub_i32 s17, s9, s16
	s_min_u32 s17, s17, 8
	v_lshrrev_b64 v[24:25], s16, v[18:19]
	v_bfe_u32 v23, v24, 0, s17
	v_lshl_or_b32 v23, v23, 4, v3
	ds_add_u32 v23, v22 offset:16384
	s_add_i32 s16, s8, 40
	s_cmp_le_u32 s9, s16
	s_cbranch_scc1 .LBB502_332
; %bb.329:
	s_sub_i32 s17, s9, s16
	s_min_u32 s17, s17, 8
	v_lshrrev_b64 v[22:23], s16, v[18:19]
	v_bfe_u32 v22, v22, 0, s17
	v_lshl_or_b32 v23, v22, 4, v3
	v_mov_b32_e32 v22, 1
	ds_add_u32 v23, v22 offset:20480
	s_add_i32 s16, s8, 48
	s_cmp_le_u32 s9, s16
	s_cbranch_scc1 .LBB502_332
; %bb.330:
	s_sub_i32 s17, s9, s16
	s_min_u32 s17, s17, 8
	v_lshrrev_b64 v[24:25], s16, v[18:19]
	v_bfe_u32 v23, v24, 0, s17
	v_lshl_or_b32 v23, v23, 4, v3
	ds_add_u32 v23, v22 offset:24576
	s_add_i32 s16, s8, 56
	s_cmp_le_u32 s9, s16
	s_cbranch_scc1 .LBB502_332
; %bb.331:
	s_sub_i32 s17, s9, s16
	s_min_u32 s17, s17, 8
	v_lshrrev_b64 v[22:23], s16, v[18:19]
	v_bfe_u32 v22, v22, 0, s17
	v_lshl_or_b32 v22, v22, 4, v3
	v_mov_b32_e32 v23, 1
	ds_add_u32 v22, v23 offset:28672
.LBB502_332:
	v_and_b32_e32 v20, s12, v20
	v_lshl_or_b32 v20, v20, 4, v3
	v_lshrrev_b64 v[22:23], s13, v[16:17]
	ds_add_u32 v20, v21
	v_and_b32_e32 v20, s15, v22
	v_lshl_or_b32 v20, v20, 4, v3
	ds_add_u32 v20, v21 offset:4096
	s_andn2_b64 vcc, exec, s[10:11]
	s_cbranch_vccnz .LBB502_339
; %bb.333:
	s_sub_i32 s10, s9, s14
	s_min_u32 s10, s10, 8
	v_lshrrev_b64 v[20:21], s14, v[16:17]
	v_bfe_u32 v20, v20, 0, s10
	v_lshl_or_b32 v21, v20, 4, v3
	v_mov_b32_e32 v20, 1
	ds_add_u32 v21, v20 offset:8192
	s_add_i32 s10, s8, 24
	s_cmp_gt_u32 s9, s10
	s_cbranch_scc0 .LBB502_339
; %bb.334:
	s_sub_i32 s11, s9, s10
	s_min_u32 s11, s11, 8
	v_lshrrev_b64 v[22:23], s10, v[16:17]
	v_bfe_u32 v21, v22, 0, s11
	v_lshl_or_b32 v21, v21, 4, v3
	ds_add_u32 v21, v20 offset:12288
	s_add_i32 s10, s8, 32
	s_cmp_gt_u32 s9, s10
	s_cbranch_scc0 .LBB502_339
; %bb.335:
	s_sub_i32 s11, s9, s10
	s_min_u32 s11, s11, 8
	v_lshrrev_b64 v[20:21], s10, v[16:17]
	v_bfe_u32 v20, v20, 0, s11
	v_lshl_or_b32 v21, v20, 4, v3
	v_mov_b32_e32 v20, 1
	ds_add_u32 v21, v20 offset:16384
	s_add_i32 s10, s8, 40
	s_cmp_gt_u32 s9, s10
	s_cbranch_scc0 .LBB502_339
; %bb.336:
	s_sub_i32 s11, s9, s10
	s_min_u32 s11, s11, 8
	v_lshrrev_b64 v[22:23], s10, v[16:17]
	v_bfe_u32 v21, v22, 0, s11
	v_lshl_or_b32 v21, v21, 4, v3
	ds_add_u32 v21, v20 offset:20480
	s_add_i32 s10, s8, 48
	s_cmp_gt_u32 s9, s10
	s_cbranch_scc0 .LBB502_339
; %bb.337:
	s_sub_i32 s11, s9, s10
	s_min_u32 s11, s11, 8
	v_lshrrev_b64 v[20:21], s10, v[16:17]
	v_bfe_u32 v20, v20, 0, s11
	v_lshl_or_b32 v20, v20, 4, v3
	v_mov_b32_e32 v21, 1
	ds_add_u32 v20, v21 offset:24576
	s_add_i32 s10, s8, 56
	s_cmp_gt_u32 s9, s10
                                        ; implicit-def: $vgpr21
	s_cbranch_scc0 .LBB502_340
; %bb.338:
	s_sub_i32 s4, s9, s10
	s_min_u32 s4, s4, 8
	v_lshrrev_b64 v[20:21], s10, v[16:17]
	v_bfe_u32 v20, v20, 0, s4
	v_mov_b32_e32 v21, 0x7000
	v_lshl_add_u32 v21, v20, 4, v21
	s_mov_b64 s[4:5], -1
	s_branch .LBB502_340
.LBB502_339:
                                        ; implicit-def: $vgpr21
.LBB502_340:
	s_and_b64 vcc, exec, s[4:5]
	s_cbranch_vccz .LBB502_342
; %bb.341:
	v_lshl_add_u32 v20, v1, 2, v21
	v_mov_b32_e32 v21, 1
	ds_add_u32 v20, v21
.LBB502_342:
	v_lshrrev_b64 v[20:21], s8, v[14:15]
	v_and_b32_e32 v20, s12, v20
	v_lshl_or_b32 v20, v20, 4, v3
	v_mov_b32_e32 v21, 1
	ds_add_u32 v20, v21
	s_and_b64 vcc, exec, s[2:3]
	v_lshrrev_b64 v[20:21], s8, v[12:13]
	s_cbranch_vccz .LBB502_344
; %bb.343:
	v_and_b32_e32 v21, s12, v20
	v_lshlrev_b32_e32 v21, 4, v21
	s_mov_b64 s[4:5], -1
	s_cbranch_execz .LBB502_345
	s_branch .LBB502_360
.LBB502_344:
	s_mov_b64 s[4:5], 0
                                        ; implicit-def: $vgpr21
.LBB502_345:
	s_sub_i32 s10, s9, s13
	s_min_u32 s10, s10, 8
	s_lshl_b32 s10, -1, s10
	v_lshrrev_b64 v[22:23], s13, v[14:15]
	v_bitop3_b32 v21, v22, s10, v22 bitop3:0x30
	v_lshl_or_b32 v22, v21, 4, v3
	v_mov_b32_e32 v21, 1
	ds_add_u32 v22, v21 offset:4096
	s_not_b32 s15, s10
	s_add_i32 s14, s8, 16
	s_cmp_gt_u32 s9, s14
	s_cselect_b64 s[10:11], -1, 0
	s_cmp_le_u32 s9, s14
	s_cbranch_scc1 .LBB502_352
; %bb.346:
	s_sub_i32 s16, s9, s14
	s_min_u32 s16, s16, 8
	v_lshrrev_b64 v[22:23], s14, v[14:15]
	v_bfe_u32 v22, v22, 0, s16
	v_lshl_or_b32 v22, v22, 4, v3
	ds_add_u32 v22, v21 offset:8192
	s_add_i32 s16, s8, 24
	s_cmp_le_u32 s9, s16
	s_cbranch_scc1 .LBB502_352
; %bb.347:
	s_sub_i32 s17, s9, s16
	s_min_u32 s17, s17, 8
	v_lshrrev_b64 v[22:23], s16, v[14:15]
	v_bfe_u32 v22, v22, 0, s17
	v_lshl_or_b32 v23, v22, 4, v3
	v_mov_b32_e32 v22, 1
	ds_add_u32 v23, v22 offset:12288
	s_add_i32 s16, s8, 32
	s_cmp_le_u32 s9, s16
	s_cbranch_scc1 .LBB502_352
; %bb.348:
	s_sub_i32 s17, s9, s16
	s_min_u32 s17, s17, 8
	v_lshrrev_b64 v[24:25], s16, v[14:15]
	v_bfe_u32 v23, v24, 0, s17
	v_lshl_or_b32 v23, v23, 4, v3
	ds_add_u32 v23, v22 offset:16384
	s_add_i32 s16, s8, 40
	s_cmp_le_u32 s9, s16
	s_cbranch_scc1 .LBB502_352
; %bb.349:
	s_sub_i32 s17, s9, s16
	s_min_u32 s17, s17, 8
	v_lshrrev_b64 v[22:23], s16, v[14:15]
	v_bfe_u32 v22, v22, 0, s17
	v_lshl_or_b32 v23, v22, 4, v3
	v_mov_b32_e32 v22, 1
	ds_add_u32 v23, v22 offset:20480
	s_add_i32 s16, s8, 48
	s_cmp_le_u32 s9, s16
	s_cbranch_scc1 .LBB502_352
; %bb.350:
	s_sub_i32 s17, s9, s16
	s_min_u32 s17, s17, 8
	v_lshrrev_b64 v[24:25], s16, v[14:15]
	v_bfe_u32 v23, v24, 0, s17
	v_lshl_or_b32 v23, v23, 4, v3
	ds_add_u32 v23, v22 offset:24576
	s_add_i32 s16, s8, 56
	s_cmp_le_u32 s9, s16
	s_cbranch_scc1 .LBB502_352
; %bb.351:
	s_sub_i32 s17, s9, s16
	s_min_u32 s17, s17, 8
	v_lshrrev_b64 v[22:23], s16, v[14:15]
	v_bfe_u32 v22, v22, 0, s17
	v_lshl_or_b32 v22, v22, 4, v3
	v_mov_b32_e32 v23, 1
	ds_add_u32 v22, v23 offset:28672
.LBB502_352:
	v_and_b32_e32 v20, s12, v20
	v_lshl_or_b32 v20, v20, 4, v3
	v_lshrrev_b64 v[22:23], s13, v[12:13]
	ds_add_u32 v20, v21
	v_and_b32_e32 v20, s15, v22
	v_lshl_or_b32 v20, v20, 4, v3
	ds_add_u32 v20, v21 offset:4096
	s_andn2_b64 vcc, exec, s[10:11]
	s_cbranch_vccnz .LBB502_359
; %bb.353:
	s_sub_i32 s10, s9, s14
	s_min_u32 s10, s10, 8
	v_lshrrev_b64 v[20:21], s14, v[12:13]
	v_bfe_u32 v20, v20, 0, s10
	v_lshl_or_b32 v21, v20, 4, v3
	v_mov_b32_e32 v20, 1
	ds_add_u32 v21, v20 offset:8192
	s_add_i32 s10, s8, 24
	s_cmp_gt_u32 s9, s10
	s_cbranch_scc0 .LBB502_359
; %bb.354:
	s_sub_i32 s11, s9, s10
	s_min_u32 s11, s11, 8
	v_lshrrev_b64 v[22:23], s10, v[12:13]
	v_bfe_u32 v21, v22, 0, s11
	v_lshl_or_b32 v21, v21, 4, v3
	ds_add_u32 v21, v20 offset:12288
	s_add_i32 s10, s8, 32
	s_cmp_gt_u32 s9, s10
	s_cbranch_scc0 .LBB502_359
; %bb.355:
	s_sub_i32 s11, s9, s10
	s_min_u32 s11, s11, 8
	v_lshrrev_b64 v[20:21], s10, v[12:13]
	v_bfe_u32 v20, v20, 0, s11
	v_lshl_or_b32 v21, v20, 4, v3
	v_mov_b32_e32 v20, 1
	ds_add_u32 v21, v20 offset:16384
	s_add_i32 s10, s8, 40
	s_cmp_gt_u32 s9, s10
	s_cbranch_scc0 .LBB502_359
; %bb.356:
	s_sub_i32 s11, s9, s10
	s_min_u32 s11, s11, 8
	v_lshrrev_b64 v[22:23], s10, v[12:13]
	v_bfe_u32 v21, v22, 0, s11
	v_lshl_or_b32 v21, v21, 4, v3
	ds_add_u32 v21, v20 offset:20480
	s_add_i32 s10, s8, 48
	s_cmp_gt_u32 s9, s10
	s_cbranch_scc0 .LBB502_359
; %bb.357:
	s_sub_i32 s11, s9, s10
	s_min_u32 s11, s11, 8
	v_lshrrev_b64 v[20:21], s10, v[12:13]
	v_bfe_u32 v20, v20, 0, s11
	v_lshl_or_b32 v20, v20, 4, v3
	v_mov_b32_e32 v21, 1
	ds_add_u32 v20, v21 offset:24576
	s_add_i32 s10, s8, 56
	s_cmp_gt_u32 s9, s10
                                        ; implicit-def: $vgpr21
	s_cbranch_scc0 .LBB502_360
; %bb.358:
	s_sub_i32 s4, s9, s10
	s_min_u32 s4, s4, 8
	v_lshrrev_b64 v[20:21], s10, v[12:13]
	v_bfe_u32 v20, v20, 0, s4
	v_mov_b32_e32 v21, 0x7000
	v_lshl_add_u32 v21, v20, 4, v21
	s_mov_b64 s[4:5], -1
	s_branch .LBB502_360
.LBB502_359:
                                        ; implicit-def: $vgpr21
.LBB502_360:
	s_and_b64 vcc, exec, s[4:5]
	s_cbranch_vccz .LBB502_362
; %bb.361:
	v_lshl_add_u32 v20, v1, 2, v21
	v_mov_b32_e32 v21, 1
	ds_add_u32 v20, v21
.LBB502_362:
	v_lshrrev_b64 v[20:21], s8, v[10:11]
	v_and_b32_e32 v20, s12, v20
	v_lshl_or_b32 v20, v20, 4, v3
	v_mov_b32_e32 v21, 1
	ds_add_u32 v20, v21
	s_and_b64 vcc, exec, s[2:3]
	s_waitcnt vmcnt(2)
	v_lshrrev_b64 v[20:21], s8, v[8:9]
	s_cbranch_vccz .LBB502_364
; %bb.363:
	v_and_b32_e32 v21, s12, v20
	v_lshlrev_b32_e32 v21, 4, v21
	s_mov_b64 s[4:5], -1
	s_cbranch_execz .LBB502_365
	s_branch .LBB502_380
.LBB502_364:
	s_mov_b64 s[4:5], 0
                                        ; implicit-def: $vgpr21
.LBB502_365:
	s_sub_i32 s10, s9, s13
	s_min_u32 s10, s10, 8
	s_lshl_b32 s10, -1, s10
	v_lshrrev_b64 v[22:23], s13, v[10:11]
	v_bitop3_b32 v21, v22, s10, v22 bitop3:0x30
	v_lshl_or_b32 v22, v21, 4, v3
	v_mov_b32_e32 v21, 1
	ds_add_u32 v22, v21 offset:4096
	s_not_b32 s15, s10
	s_add_i32 s14, s8, 16
	s_cmp_gt_u32 s9, s14
	s_cselect_b64 s[10:11], -1, 0
	s_cmp_le_u32 s9, s14
	s_cbranch_scc1 .LBB502_372
; %bb.366:
	s_sub_i32 s16, s9, s14
	s_min_u32 s16, s16, 8
	v_lshrrev_b64 v[22:23], s14, v[10:11]
	v_bfe_u32 v22, v22, 0, s16
	v_lshl_or_b32 v22, v22, 4, v3
	ds_add_u32 v22, v21 offset:8192
	s_add_i32 s16, s8, 24
	s_cmp_le_u32 s9, s16
	s_cbranch_scc1 .LBB502_372
; %bb.367:
	s_sub_i32 s17, s9, s16
	s_min_u32 s17, s17, 8
	v_lshrrev_b64 v[22:23], s16, v[10:11]
	v_bfe_u32 v22, v22, 0, s17
	v_lshl_or_b32 v23, v22, 4, v3
	v_mov_b32_e32 v22, 1
	ds_add_u32 v23, v22 offset:12288
	s_add_i32 s16, s8, 32
	s_cmp_le_u32 s9, s16
	s_cbranch_scc1 .LBB502_372
; %bb.368:
	s_sub_i32 s17, s9, s16
	s_min_u32 s17, s17, 8
	v_lshrrev_b64 v[24:25], s16, v[10:11]
	v_bfe_u32 v23, v24, 0, s17
	v_lshl_or_b32 v23, v23, 4, v3
	ds_add_u32 v23, v22 offset:16384
	s_add_i32 s16, s8, 40
	s_cmp_le_u32 s9, s16
	s_cbranch_scc1 .LBB502_372
; %bb.369:
	s_sub_i32 s17, s9, s16
	s_min_u32 s17, s17, 8
	v_lshrrev_b64 v[22:23], s16, v[10:11]
	v_bfe_u32 v22, v22, 0, s17
	v_lshl_or_b32 v23, v22, 4, v3
	v_mov_b32_e32 v22, 1
	ds_add_u32 v23, v22 offset:20480
	s_add_i32 s16, s8, 48
	s_cmp_le_u32 s9, s16
	s_cbranch_scc1 .LBB502_372
; %bb.370:
	s_sub_i32 s17, s9, s16
	s_min_u32 s17, s17, 8
	v_lshrrev_b64 v[24:25], s16, v[10:11]
	v_bfe_u32 v23, v24, 0, s17
	v_lshl_or_b32 v23, v23, 4, v3
	ds_add_u32 v23, v22 offset:24576
	s_add_i32 s16, s8, 56
	s_cmp_le_u32 s9, s16
	s_cbranch_scc1 .LBB502_372
; %bb.371:
	s_sub_i32 s17, s9, s16
	s_min_u32 s17, s17, 8
	v_lshrrev_b64 v[22:23], s16, v[10:11]
	v_bfe_u32 v22, v22, 0, s17
	v_lshl_or_b32 v22, v22, 4, v3
	v_mov_b32_e32 v23, 1
	ds_add_u32 v22, v23 offset:28672
.LBB502_372:
	v_and_b32_e32 v20, s12, v20
	v_lshl_or_b32 v20, v20, 4, v3
	v_lshrrev_b64 v[22:23], s13, v[8:9]
	ds_add_u32 v20, v21
	v_and_b32_e32 v20, s15, v22
	v_lshl_or_b32 v20, v20, 4, v3
	ds_add_u32 v20, v21 offset:4096
	s_andn2_b64 vcc, exec, s[10:11]
	s_cbranch_vccnz .LBB502_379
; %bb.373:
	s_sub_i32 s10, s9, s14
	s_min_u32 s10, s10, 8
	v_lshrrev_b64 v[20:21], s14, v[8:9]
	v_bfe_u32 v20, v20, 0, s10
	v_lshl_or_b32 v21, v20, 4, v3
	v_mov_b32_e32 v20, 1
	ds_add_u32 v21, v20 offset:8192
	s_add_i32 s10, s8, 24
	s_cmp_gt_u32 s9, s10
	s_cbranch_scc0 .LBB502_379
; %bb.374:
	s_sub_i32 s11, s9, s10
	s_min_u32 s11, s11, 8
	v_lshrrev_b64 v[22:23], s10, v[8:9]
	v_bfe_u32 v21, v22, 0, s11
	v_lshl_or_b32 v21, v21, 4, v3
	ds_add_u32 v21, v20 offset:12288
	s_add_i32 s10, s8, 32
	s_cmp_gt_u32 s9, s10
	s_cbranch_scc0 .LBB502_379
; %bb.375:
	s_sub_i32 s11, s9, s10
	s_min_u32 s11, s11, 8
	v_lshrrev_b64 v[20:21], s10, v[8:9]
	v_bfe_u32 v20, v20, 0, s11
	v_lshl_or_b32 v21, v20, 4, v3
	v_mov_b32_e32 v20, 1
	ds_add_u32 v21, v20 offset:16384
	s_add_i32 s10, s8, 40
	s_cmp_gt_u32 s9, s10
	s_cbranch_scc0 .LBB502_379
; %bb.376:
	s_sub_i32 s11, s9, s10
	s_min_u32 s11, s11, 8
	v_lshrrev_b64 v[22:23], s10, v[8:9]
	v_bfe_u32 v21, v22, 0, s11
	v_lshl_or_b32 v21, v21, 4, v3
	ds_add_u32 v21, v20 offset:20480
	s_add_i32 s10, s8, 48
	s_cmp_gt_u32 s9, s10
	s_cbranch_scc0 .LBB502_379
; %bb.377:
	s_sub_i32 s11, s9, s10
	s_min_u32 s11, s11, 8
	v_lshrrev_b64 v[20:21], s10, v[8:9]
	v_bfe_u32 v20, v20, 0, s11
	v_lshl_or_b32 v20, v20, 4, v3
	v_mov_b32_e32 v21, 1
	ds_add_u32 v20, v21 offset:24576
	s_add_i32 s10, s8, 56
	s_cmp_gt_u32 s9, s10
                                        ; implicit-def: $vgpr21
	s_cbranch_scc0 .LBB502_380
; %bb.378:
	s_sub_i32 s4, s9, s10
	s_min_u32 s4, s4, 8
	v_lshrrev_b64 v[20:21], s10, v[8:9]
	v_bfe_u32 v20, v20, 0, s4
	v_mov_b32_e32 v21, 0x7000
	v_lshl_add_u32 v21, v20, 4, v21
	s_mov_b64 s[4:5], -1
	s_branch .LBB502_380
.LBB502_379:
                                        ; implicit-def: $vgpr21
.LBB502_380:
	s_and_b64 vcc, exec, s[4:5]
	s_cbranch_vccz .LBB502_382
; %bb.381:
	v_lshl_add_u32 v20, v1, 2, v21
	v_mov_b32_e32 v21, 1
	ds_add_u32 v20, v21
.LBB502_382:
	s_waitcnt vmcnt(1)
	v_lshrrev_b64 v[20:21], s8, v[6:7]
	v_and_b32_e32 v20, s12, v20
	v_lshl_or_b32 v20, v20, 4, v3
	v_mov_b32_e32 v21, 1
	ds_add_u32 v20, v21
	s_and_b64 vcc, exec, s[2:3]
	s_waitcnt vmcnt(0)
	v_lshrrev_b64 v[20:21], s8, v[4:5]
	s_cbranch_vccz .LBB502_384
; %bb.383:
	v_and_b32_e32 v21, s12, v20
	v_lshlrev_b32_e32 v21, 4, v21
	s_mov_b64 s[2:3], -1
	s_cbranch_execz .LBB502_385
	s_branch .LBB502_400
.LBB502_384:
	s_mov_b64 s[2:3], 0
                                        ; implicit-def: $vgpr21
.LBB502_385:
	s_sub_i32 s4, s9, s13
	s_min_u32 s4, s4, 8
	s_lshl_b32 s4, -1, s4
	v_lshrrev_b64 v[22:23], s13, v[6:7]
	v_bitop3_b32 v21, v22, s4, v22 bitop3:0x30
	v_lshl_or_b32 v22, v21, 4, v3
	v_mov_b32_e32 v21, 1
	ds_add_u32 v22, v21 offset:4096
	s_not_b32 s11, s4
	s_add_i32 s10, s8, 16
	s_cmp_gt_u32 s9, s10
	s_cselect_b64 s[4:5], -1, 0
	s_cmp_le_u32 s9, s10
	s_cbranch_scc1 .LBB502_392
; %bb.386:
	s_sub_i32 s14, s9, s10
	s_min_u32 s14, s14, 8
	v_lshrrev_b64 v[22:23], s10, v[6:7]
	v_bfe_u32 v22, v22, 0, s14
	v_lshl_or_b32 v22, v22, 4, v3
	ds_add_u32 v22, v21 offset:8192
	s_add_i32 s14, s8, 24
	s_cmp_le_u32 s9, s14
	s_cbranch_scc1 .LBB502_392
; %bb.387:
	s_sub_i32 s15, s9, s14
	s_min_u32 s15, s15, 8
	v_lshrrev_b64 v[22:23], s14, v[6:7]
	v_bfe_u32 v22, v22, 0, s15
	v_lshl_or_b32 v23, v22, 4, v3
	v_mov_b32_e32 v22, 1
	ds_add_u32 v23, v22 offset:12288
	s_add_i32 s14, s8, 32
	s_cmp_le_u32 s9, s14
	s_cbranch_scc1 .LBB502_392
; %bb.388:
	s_sub_i32 s15, s9, s14
	s_min_u32 s15, s15, 8
	v_lshrrev_b64 v[24:25], s14, v[6:7]
	v_bfe_u32 v23, v24, 0, s15
	v_lshl_or_b32 v23, v23, 4, v3
	ds_add_u32 v23, v22 offset:16384
	s_add_i32 s14, s8, 40
	s_cmp_le_u32 s9, s14
	s_cbranch_scc1 .LBB502_392
; %bb.389:
	s_sub_i32 s15, s9, s14
	s_min_u32 s15, s15, 8
	v_lshrrev_b64 v[22:23], s14, v[6:7]
	v_bfe_u32 v22, v22, 0, s15
	v_lshl_or_b32 v23, v22, 4, v3
	v_mov_b32_e32 v22, 1
	ds_add_u32 v23, v22 offset:20480
	s_add_i32 s14, s8, 48
	s_cmp_le_u32 s9, s14
	s_cbranch_scc1 .LBB502_392
; %bb.390:
	s_sub_i32 s15, s9, s14
	s_min_u32 s15, s15, 8
	v_lshrrev_b64 v[24:25], s14, v[6:7]
	v_bfe_u32 v23, v24, 0, s15
	v_lshl_or_b32 v23, v23, 4, v3
	ds_add_u32 v23, v22 offset:24576
	s_add_i32 s14, s8, 56
	s_cmp_le_u32 s9, s14
	s_cbranch_scc1 .LBB502_392
; %bb.391:
	s_sub_i32 s15, s9, s14
	s_min_u32 s15, s15, 8
	v_lshrrev_b64 v[22:23], s14, v[6:7]
	v_bfe_u32 v22, v22, 0, s15
	v_lshl_or_b32 v22, v22, 4, v3
	v_mov_b32_e32 v23, 1
	ds_add_u32 v22, v23 offset:28672
.LBB502_392:
	v_and_b32_e32 v20, s12, v20
	v_lshl_or_b32 v20, v20, 4, v3
	v_lshrrev_b64 v[22:23], s13, v[4:5]
	ds_add_u32 v20, v21
	v_and_b32_e32 v20, s11, v22
	v_lshl_or_b32 v20, v20, 4, v3
	ds_add_u32 v20, v21 offset:4096
	s_andn2_b64 vcc, exec, s[4:5]
	s_cbranch_vccnz .LBB502_399
; %bb.393:
	s_sub_i32 s4, s9, s10
	s_min_u32 s4, s4, 8
	v_lshrrev_b64 v[20:21], s10, v[4:5]
	v_bfe_u32 v20, v20, 0, s4
	v_lshl_or_b32 v21, v20, 4, v3
	v_mov_b32_e32 v20, 1
	ds_add_u32 v21, v20 offset:8192
	s_add_i32 s4, s8, 24
	s_cmp_gt_u32 s9, s4
	s_cbranch_scc0 .LBB502_399
; %bb.394:
	s_sub_i32 s5, s9, s4
	s_min_u32 s5, s5, 8
	v_lshrrev_b64 v[22:23], s4, v[4:5]
	v_bfe_u32 v21, v22, 0, s5
	v_lshl_or_b32 v21, v21, 4, v3
	ds_add_u32 v21, v20 offset:12288
	s_add_i32 s4, s8, 32
	s_cmp_gt_u32 s9, s4
	s_cbranch_scc0 .LBB502_399
; %bb.395:
	s_sub_i32 s5, s9, s4
	s_min_u32 s5, s5, 8
	v_lshrrev_b64 v[20:21], s4, v[4:5]
	v_bfe_u32 v20, v20, 0, s5
	v_lshl_or_b32 v21, v20, 4, v3
	v_mov_b32_e32 v20, 1
	ds_add_u32 v21, v20 offset:16384
	s_add_i32 s4, s8, 40
	s_cmp_gt_u32 s9, s4
	s_cbranch_scc0 .LBB502_399
; %bb.396:
	s_sub_i32 s5, s9, s4
	s_min_u32 s5, s5, 8
	v_lshrrev_b64 v[22:23], s4, v[4:5]
	v_bfe_u32 v21, v22, 0, s5
	v_lshl_or_b32 v21, v21, 4, v3
	ds_add_u32 v21, v20 offset:20480
	s_add_i32 s4, s8, 48
	s_cmp_gt_u32 s9, s4
	s_cbranch_scc0 .LBB502_399
; %bb.397:
	s_sub_i32 s5, s9, s4
	s_min_u32 s5, s5, 8
	v_lshrrev_b64 v[20:21], s4, v[4:5]
	v_bfe_u32 v20, v20, 0, s5
	v_lshl_or_b32 v3, v20, 4, v3
	v_mov_b32_e32 v20, 1
	ds_add_u32 v3, v20 offset:24576
	s_add_i32 s4, s8, 56
	s_cmp_gt_u32 s9, s4
                                        ; implicit-def: $vgpr21
	s_cbranch_scc0 .LBB502_400
; %bb.398:
	s_sub_i32 s2, s9, s4
	s_min_u32 s2, s2, 8
	v_lshrrev_b64 v[20:21], s4, v[4:5]
	v_bfe_u32 v3, v20, 0, s2
	v_mov_b32_e32 v20, 0x7000
	v_lshl_add_u32 v21, v3, 4, v20
	s_mov_b64 s[2:3], -1
	s_branch .LBB502_400
.LBB502_399:
                                        ; implicit-def: $vgpr21
.LBB502_400:
	s_and_b64 vcc, exec, s[2:3]
	s_cbranch_vccz .LBB502_402
; %bb.401:
	v_lshl_add_u32 v1, v1, 2, v21
	v_mov_b32_e32 v3, 1
	ds_add_u32 v1, v3
.LBB502_402:
	s_and_b64 vcc, exec, s[0:1]
	s_waitcnt lgkmcnt(0)
	s_barrier
	s_cbranch_vccz .LBB502_407
; %bb.403:
	s_movk_i32 s0, 0x100
	v_cmp_gt_u32_e32 vcc, s0, v0
	v_lshlrev_b32_e32 v1, 4, v0
	v_mov_b32_e32 v21, 0
	v_mov_b32_e32 v20, v0
	s_branch .LBB502_405
.LBB502_404:                            ;   in Loop: Header=BB502_405 Depth=1
	s_or_b64 exec, exec, s[0:1]
	s_add_i32 s8, s8, 8
	v_add_u32_e32 v20, 0x100, v20
	s_cmp_ge_u32 s8, s9
	v_add_u32_e32 v1, 0x1000, v1
	s_cbranch_scc1 .LBB502_407
.LBB502_405:                            ; =>This Inner Loop Header: Depth=1
	s_and_saveexec_b64 s[0:1], vcc
	s_cbranch_execz .LBB502_404
; %bb.406:                              ;   in Loop: Header=BB502_405 Depth=1
	ds_read2_b32 v[22:23], v1 offset1:1
	ds_read2_b32 v[24:25], v1 offset0:2 offset1:3
	s_waitcnt lgkmcnt(1)
	v_add_u32_e32 v3, v23, v22
	s_waitcnt lgkmcnt(0)
	v_add3_u32 v3, v3, v24, v25
	v_lshl_add_u64 v[22:23], v[20:21], 2, s[6:7]
	global_atomic_add v[22:23], v3, off
	s_branch .LBB502_404
.LBB502_407:
	s_mov_b64 s[0:1], 0
.LBB502_408:
	s_and_b64 vcc, exec, s[0:1]
	s_cbranch_vccz .LBB502_411
; %bb.409:
	v_and_b32_e32 v1, 3, v0
	s_waitcnt vmcnt(3)
	v_lshlrev_b32_e32 v20, 4, v18
	v_lshlrev_b32_e32 v1, 2, v1
	s_movk_i32 s0, 0xff0
	v_mov_b32_e32 v3, 0
	v_and_or_b32 v20, v20, s0, v1
	v_mov_b32_e32 v21, 1
	ds_write2st64_b32 v2, v3, v3 offset1:16
	ds_write2st64_b32 v2, v3, v3 offset0:32 offset1:48
	ds_write2st64_b32 v2, v3, v3 offset0:64 offset1:80
	;; [unrolled: 1-line block ×3, first 2 shown]
	s_waitcnt lgkmcnt(0)
	s_barrier
	ds_add_u32 v20, v21
	v_bfe_u32 v20, v18, 8, 8
	v_lshl_or_b32 v20, v20, 4, v1
	ds_add_u32 v20, v21 offset:4096
	v_bfe_u32 v20, v18, 16, 8
	v_lshl_or_b32 v20, v20, 4, v1
	ds_add_u32 v20, v21 offset:8192
	v_lshrrev_b32_e32 v20, 24, v18
	v_alignbit_b32 v18, v19, v18, 30
	v_lshl_or_b32 v20, v20, 4, v1
	v_and_b32_e32 v18, 0x3fc, v18
	ds_add_u32 v20, v21 offset:12288
	v_lshl_or_b32 v18, v18, 2, v1
	ds_add_u32 v18, v21 offset:16384
	v_bfe_u32 v18, v19, 8, 8
	v_lshl_or_b32 v18, v18, 4, v1
	ds_add_u32 v18, v21 offset:20480
	v_bfe_u32 v18, v19, 16, 8
	v_lshl_or_b32 v18, v18, 4, v1
	ds_add_u32 v18, v21 offset:24576
	v_lshrrev_b32_e32 v18, 24, v19
	v_lshl_or_b32 v18, v18, 4, v1
	ds_add_u32 v18, v21 offset:28672
	v_lshlrev_b32_e32 v18, 4, v16
	v_and_or_b32 v18, v18, s0, v1
	ds_add_u32 v18, v21
	v_bfe_u32 v18, v16, 8, 8
	v_lshl_or_b32 v18, v18, 4, v1
	ds_add_u32 v18, v21 offset:4096
	v_bfe_u32 v18, v16, 16, 8
	v_lshl_or_b32 v18, v18, 4, v1
	ds_add_u32 v18, v21 offset:8192
	v_lshrrev_b32_e32 v18, 24, v16
	v_alignbit_b32 v16, v17, v16, 30
	v_lshl_or_b32 v18, v18, 4, v1
	v_and_b32_e32 v16, 0x3fc, v16
	ds_add_u32 v18, v21 offset:12288
	v_lshl_or_b32 v16, v16, 2, v1
	ds_add_u32 v16, v21 offset:16384
	v_bfe_u32 v16, v17, 8, 8
	v_lshl_or_b32 v16, v16, 4, v1
	ds_add_u32 v16, v21 offset:20480
	v_bfe_u32 v16, v17, 16, 8
	v_lshl_or_b32 v16, v16, 4, v1
	ds_add_u32 v16, v21 offset:24576
	v_lshrrev_b32_e32 v16, 24, v17
	v_lshl_or_b32 v16, v16, 4, v1
	ds_add_u32 v16, v21 offset:28672
	v_lshlrev_b32_e32 v16, 4, v14
	v_and_or_b32 v16, v16, s0, v1
	;; [unrolled: 25-line block ×4, first 2 shown]
	ds_add_u32 v12, v21
	v_bfe_u32 v12, v10, 8, 8
	v_lshl_or_b32 v12, v12, 4, v1
	ds_add_u32 v12, v21 offset:4096
	v_bfe_u32 v12, v10, 16, 8
	v_lshl_or_b32 v12, v12, 4, v1
	ds_add_u32 v12, v21 offset:8192
	v_lshrrev_b32_e32 v12, 24, v10
	v_alignbit_b32 v10, v11, v10, 30
	v_lshl_or_b32 v12, v12, 4, v1
	v_and_b32_e32 v10, 0x3fc, v10
	ds_add_u32 v12, v21 offset:12288
	v_lshl_or_b32 v10, v10, 2, v1
	ds_add_u32 v10, v21 offset:16384
	v_bfe_u32 v10, v11, 8, 8
	v_lshl_or_b32 v10, v10, 4, v1
	ds_add_u32 v10, v21 offset:20480
	v_bfe_u32 v10, v11, 16, 8
	v_lshl_or_b32 v10, v10, 4, v1
	ds_add_u32 v10, v21 offset:24576
	v_lshrrev_b32_e32 v10, 24, v11
	v_lshl_or_b32 v10, v10, 4, v1
	ds_add_u32 v10, v21 offset:28672
	s_waitcnt vmcnt(2)
	v_lshlrev_b32_e32 v10, 4, v8
	v_and_or_b32 v10, v10, s0, v1
	ds_add_u32 v10, v21
	v_bfe_u32 v10, v8, 8, 8
	v_lshl_or_b32 v10, v10, 4, v1
	ds_add_u32 v10, v21 offset:4096
	v_bfe_u32 v10, v8, 16, 8
	v_lshl_or_b32 v10, v10, 4, v1
	ds_add_u32 v10, v21 offset:8192
	v_lshrrev_b32_e32 v10, 24, v8
	v_alignbit_b32 v8, v9, v8, 30
	v_lshl_or_b32 v10, v10, 4, v1
	v_and_b32_e32 v8, 0x3fc, v8
	ds_add_u32 v10, v21 offset:12288
	v_lshl_or_b32 v8, v8, 2, v1
	ds_add_u32 v8, v21 offset:16384
	v_bfe_u32 v8, v9, 8, 8
	v_lshl_or_b32 v8, v8, 4, v1
	ds_add_u32 v8, v21 offset:20480
	v_bfe_u32 v8, v9, 16, 8
	v_lshl_or_b32 v8, v8, 4, v1
	ds_add_u32 v8, v21 offset:24576
	v_lshrrev_b32_e32 v8, 24, v9
	v_lshl_or_b32 v8, v8, 4, v1
	ds_add_u32 v8, v21 offset:28672
	s_waitcnt vmcnt(1)
	v_lshlrev_b32_e32 v8, 4, v6
	v_and_or_b32 v8, v8, s0, v1
	;; [unrolled: 26-line block ×3, first 2 shown]
	ds_add_u32 v6, v21
	v_bfe_u32 v6, v4, 8, 8
	v_lshl_or_b32 v6, v6, 4, v1
	ds_add_u32 v6, v21 offset:4096
	v_bfe_u32 v6, v4, 16, 8
	v_lshl_or_b32 v6, v6, 4, v1
	ds_add_u32 v6, v21 offset:8192
	v_lshrrev_b32_e32 v6, 24, v4
	v_alignbit_b32 v4, v5, v4, 30
	v_lshl_or_b32 v6, v6, 4, v1
	v_and_b32_e32 v4, 0x3fc, v4
	ds_add_u32 v6, v21 offset:12288
	v_lshl_or_b32 v4, v4, 2, v1
	ds_add_u32 v4, v21 offset:16384
	v_bfe_u32 v4, v5, 8, 8
	v_lshl_or_b32 v4, v4, 4, v1
	ds_add_u32 v4, v21 offset:20480
	v_bfe_u32 v4, v5, 16, 8
	v_lshl_or_b32 v4, v4, 4, v1
	ds_add_u32 v4, v21 offset:24576
	v_lshrrev_b32_e32 v4, 24, v5
	v_lshl_or_b32 v1, v4, 4, v1
	ds_add_u32 v1, v21 offset:28672
	s_movk_i32 s0, 0x100
	v_cmp_gt_u32_e32 vcc, s0, v0
	s_waitcnt lgkmcnt(0)
	s_barrier
	s_and_saveexec_b64 s[0:1], vcc
	s_cbranch_execz .LBB502_411
; %bb.410:
	v_lshlrev_b32_e32 v8, 4, v0
	ds_read2_b32 v[0:1], v8 offset1:1
	ds_read2_b32 v[4:5], v8 offset0:2 offset1:3
	v_add_u32_e32 v6, 0x1000, v8
	v_add_u32_e32 v7, 0x1008, v8
	;; [unrolled: 1-line block ×3, first 2 shown]
	s_waitcnt lgkmcnt(1)
	v_add_u32_e32 v0, v1, v0
	s_waitcnt lgkmcnt(0)
	v_add3_u32 v0, v0, v4, v5
	global_atomic_add v2, v0, s[6:7]
	ds_read2_b32 v[0:1], v6 offset1:1
	ds_read2_b32 v[4:5], v7 offset1:1
	v_add_u32_e32 v6, 0x2000, v8
	v_add_u32_e32 v7, 0x2008, v8
	s_movk_i32 s0, 0x1000
	s_waitcnt lgkmcnt(1)
	v_add_u32_e32 v0, v1, v0
	s_waitcnt lgkmcnt(0)
	v_add3_u32 v0, v0, v4, v5
	global_atomic_add v2, v0, s[6:7] offset:1024
	ds_read2_b32 v[0:1], v6 offset1:1
	ds_read2_b32 v[4:5], v7 offset1:1
	v_lshl_add_u64 v[6:7], s[6:7], 0, v[2:3]
	v_add_u32_e32 v3, 0x3000, v8
	s_waitcnt lgkmcnt(1)
	v_add_u32_e32 v0, v1, v0
	s_waitcnt lgkmcnt(0)
	v_add3_u32 v0, v0, v4, v5
	global_atomic_add v2, v0, s[6:7] offset:2048
	ds_read2_b32 v[0:1], v3 offset1:1
	ds_read2_b32 v[4:5], v9 offset1:1
	v_or_b32_e32 v3, 0x4000, v8
	v_or_b32_e32 v9, 0x4008, v8
	s_waitcnt lgkmcnt(1)
	v_add_u32_e32 v0, v1, v0
	s_waitcnt lgkmcnt(0)
	v_add3_u32 v0, v0, v4, v5
	global_atomic_add v2, v0, s[6:7] offset:3072
	ds_read2_b32 v[0:1], v3 offset1:1
	ds_read2_b32 v[2:3], v9 offset1:1
	v_add_co_u32_e32 v4, vcc, s0, v6
	v_add_u32_e32 v6, 0x5000, v8
	s_waitcnt lgkmcnt(1)
	v_add_u32_e32 v0, v1, v0
	v_addc_co_u32_e32 v5, vcc, 0, v7, vcc
	s_waitcnt lgkmcnt(0)
	v_add3_u32 v0, v0, v2, v3
	global_atomic_add v[4:5], v0, off
	v_add_u32_e32 v2, 0x5008, v8
	ds_read2_b32 v[0:1], v6 offset1:1
	ds_read2_b32 v[2:3], v2 offset1:1
	v_add_u32_e32 v6, 0x6000, v8
	v_add_u32_e32 v7, 0x6008, v8
	s_waitcnt lgkmcnt(1)
	v_add_u32_e32 v0, v1, v0
	s_waitcnt lgkmcnt(0)
	v_add3_u32 v0, v0, v2, v3
	global_atomic_add v[4:5], v0, off offset:1024
	ds_read2_b32 v[0:1], v6 offset1:1
	ds_read2_b32 v[2:3], v7 offset1:1
	v_add_u32_e32 v6, 0x7000, v8
	s_waitcnt lgkmcnt(1)
	v_add_u32_e32 v0, v1, v0
	s_waitcnt lgkmcnt(0)
	v_add3_u32 v0, v0, v2, v3
	global_atomic_add v[4:5], v0, off offset:2048
	v_add_u32_e32 v2, 0x7008, v8
	ds_read2_b32 v[0:1], v6 offset1:1
	ds_read2_b32 v[2:3], v2 offset1:1
	s_waitcnt lgkmcnt(1)
	v_add_u32_e32 v0, v1, v0
	s_waitcnt lgkmcnt(0)
	v_add3_u32 v0, v0, v2, v3
	global_atomic_add v[4:5], v0, off offset:3072
.LBB502_411:
	s_endpgm
	.section	.rodata,"a",@progbits
	.p2align	6, 0x0
	.amdhsa_kernel _ZN7rocprim17ROCPRIM_400000_NS6detail17trampoline_kernelINS0_14default_configENS1_35radix_sort_onesweep_config_selectorIyyEEZNS1_34radix_sort_onesweep_global_offsetsIS3_Lb0EN6thrust23THRUST_200600_302600_NS6detail15normal_iteratorINS8_10device_ptrIyEEEESD_jNS0_19identity_decomposerEEE10hipError_tT1_T2_PT3_SI_jT4_jjP12ihipStream_tbEUlT_E_NS1_11comp_targetILNS1_3genE6ELNS1_11target_archE950ELNS1_3gpuE13ELNS1_3repE0EEENS1_52radix_sort_onesweep_histogram_config_static_selectorELNS0_4arch9wavefront6targetE1EEEvSG_
		.amdhsa_group_segment_fixed_size 32768
		.amdhsa_private_segment_fixed_size 0
		.amdhsa_kernarg_size 40
		.amdhsa_user_sgpr_count 2
		.amdhsa_user_sgpr_dispatch_ptr 0
		.amdhsa_user_sgpr_queue_ptr 0
		.amdhsa_user_sgpr_kernarg_segment_ptr 1
		.amdhsa_user_sgpr_dispatch_id 0
		.amdhsa_user_sgpr_kernarg_preload_length 0
		.amdhsa_user_sgpr_kernarg_preload_offset 0
		.amdhsa_user_sgpr_private_segment_size 0
		.amdhsa_uses_dynamic_stack 0
		.amdhsa_enable_private_segment 0
		.amdhsa_system_sgpr_workgroup_id_x 1
		.amdhsa_system_sgpr_workgroup_id_y 0
		.amdhsa_system_sgpr_workgroup_id_z 0
		.amdhsa_system_sgpr_workgroup_info 0
		.amdhsa_system_vgpr_workitem_id 0
		.amdhsa_next_free_vgpr 28
		.amdhsa_next_free_sgpr 19
		.amdhsa_accum_offset 28
		.amdhsa_reserve_vcc 1
		.amdhsa_float_round_mode_32 0
		.amdhsa_float_round_mode_16_64 0
		.amdhsa_float_denorm_mode_32 3
		.amdhsa_float_denorm_mode_16_64 3
		.amdhsa_dx10_clamp 1
		.amdhsa_ieee_mode 1
		.amdhsa_fp16_overflow 0
		.amdhsa_tg_split 0
		.amdhsa_exception_fp_ieee_invalid_op 0
		.amdhsa_exception_fp_denorm_src 0
		.amdhsa_exception_fp_ieee_div_zero 0
		.amdhsa_exception_fp_ieee_overflow 0
		.amdhsa_exception_fp_ieee_underflow 0
		.amdhsa_exception_fp_ieee_inexact 0
		.amdhsa_exception_int_div_zero 0
	.end_amdhsa_kernel
	.section	.text._ZN7rocprim17ROCPRIM_400000_NS6detail17trampoline_kernelINS0_14default_configENS1_35radix_sort_onesweep_config_selectorIyyEEZNS1_34radix_sort_onesweep_global_offsetsIS3_Lb0EN6thrust23THRUST_200600_302600_NS6detail15normal_iteratorINS8_10device_ptrIyEEEESD_jNS0_19identity_decomposerEEE10hipError_tT1_T2_PT3_SI_jT4_jjP12ihipStream_tbEUlT_E_NS1_11comp_targetILNS1_3genE6ELNS1_11target_archE950ELNS1_3gpuE13ELNS1_3repE0EEENS1_52radix_sort_onesweep_histogram_config_static_selectorELNS0_4arch9wavefront6targetE1EEEvSG_,"axG",@progbits,_ZN7rocprim17ROCPRIM_400000_NS6detail17trampoline_kernelINS0_14default_configENS1_35radix_sort_onesweep_config_selectorIyyEEZNS1_34radix_sort_onesweep_global_offsetsIS3_Lb0EN6thrust23THRUST_200600_302600_NS6detail15normal_iteratorINS8_10device_ptrIyEEEESD_jNS0_19identity_decomposerEEE10hipError_tT1_T2_PT3_SI_jT4_jjP12ihipStream_tbEUlT_E_NS1_11comp_targetILNS1_3genE6ELNS1_11target_archE950ELNS1_3gpuE13ELNS1_3repE0EEENS1_52radix_sort_onesweep_histogram_config_static_selectorELNS0_4arch9wavefront6targetE1EEEvSG_,comdat
.Lfunc_end502:
	.size	_ZN7rocprim17ROCPRIM_400000_NS6detail17trampoline_kernelINS0_14default_configENS1_35radix_sort_onesweep_config_selectorIyyEEZNS1_34radix_sort_onesweep_global_offsetsIS3_Lb0EN6thrust23THRUST_200600_302600_NS6detail15normal_iteratorINS8_10device_ptrIyEEEESD_jNS0_19identity_decomposerEEE10hipError_tT1_T2_PT3_SI_jT4_jjP12ihipStream_tbEUlT_E_NS1_11comp_targetILNS1_3genE6ELNS1_11target_archE950ELNS1_3gpuE13ELNS1_3repE0EEENS1_52radix_sort_onesweep_histogram_config_static_selectorELNS0_4arch9wavefront6targetE1EEEvSG_, .Lfunc_end502-_ZN7rocprim17ROCPRIM_400000_NS6detail17trampoline_kernelINS0_14default_configENS1_35radix_sort_onesweep_config_selectorIyyEEZNS1_34radix_sort_onesweep_global_offsetsIS3_Lb0EN6thrust23THRUST_200600_302600_NS6detail15normal_iteratorINS8_10device_ptrIyEEEESD_jNS0_19identity_decomposerEEE10hipError_tT1_T2_PT3_SI_jT4_jjP12ihipStream_tbEUlT_E_NS1_11comp_targetILNS1_3genE6ELNS1_11target_archE950ELNS1_3gpuE13ELNS1_3repE0EEENS1_52radix_sort_onesweep_histogram_config_static_selectorELNS0_4arch9wavefront6targetE1EEEvSG_
                                        ; -- End function
	.set _ZN7rocprim17ROCPRIM_400000_NS6detail17trampoline_kernelINS0_14default_configENS1_35radix_sort_onesweep_config_selectorIyyEEZNS1_34radix_sort_onesweep_global_offsetsIS3_Lb0EN6thrust23THRUST_200600_302600_NS6detail15normal_iteratorINS8_10device_ptrIyEEEESD_jNS0_19identity_decomposerEEE10hipError_tT1_T2_PT3_SI_jT4_jjP12ihipStream_tbEUlT_E_NS1_11comp_targetILNS1_3genE6ELNS1_11target_archE950ELNS1_3gpuE13ELNS1_3repE0EEENS1_52radix_sort_onesweep_histogram_config_static_selectorELNS0_4arch9wavefront6targetE1EEEvSG_.num_vgpr, 28
	.set _ZN7rocprim17ROCPRIM_400000_NS6detail17trampoline_kernelINS0_14default_configENS1_35radix_sort_onesweep_config_selectorIyyEEZNS1_34radix_sort_onesweep_global_offsetsIS3_Lb0EN6thrust23THRUST_200600_302600_NS6detail15normal_iteratorINS8_10device_ptrIyEEEESD_jNS0_19identity_decomposerEEE10hipError_tT1_T2_PT3_SI_jT4_jjP12ihipStream_tbEUlT_E_NS1_11comp_targetILNS1_3genE6ELNS1_11target_archE950ELNS1_3gpuE13ELNS1_3repE0EEENS1_52radix_sort_onesweep_histogram_config_static_selectorELNS0_4arch9wavefront6targetE1EEEvSG_.num_agpr, 0
	.set _ZN7rocprim17ROCPRIM_400000_NS6detail17trampoline_kernelINS0_14default_configENS1_35radix_sort_onesweep_config_selectorIyyEEZNS1_34radix_sort_onesweep_global_offsetsIS3_Lb0EN6thrust23THRUST_200600_302600_NS6detail15normal_iteratorINS8_10device_ptrIyEEEESD_jNS0_19identity_decomposerEEE10hipError_tT1_T2_PT3_SI_jT4_jjP12ihipStream_tbEUlT_E_NS1_11comp_targetILNS1_3genE6ELNS1_11target_archE950ELNS1_3gpuE13ELNS1_3repE0EEENS1_52radix_sort_onesweep_histogram_config_static_selectorELNS0_4arch9wavefront6targetE1EEEvSG_.numbered_sgpr, 19
	.set _ZN7rocprim17ROCPRIM_400000_NS6detail17trampoline_kernelINS0_14default_configENS1_35radix_sort_onesweep_config_selectorIyyEEZNS1_34radix_sort_onesweep_global_offsetsIS3_Lb0EN6thrust23THRUST_200600_302600_NS6detail15normal_iteratorINS8_10device_ptrIyEEEESD_jNS0_19identity_decomposerEEE10hipError_tT1_T2_PT3_SI_jT4_jjP12ihipStream_tbEUlT_E_NS1_11comp_targetILNS1_3genE6ELNS1_11target_archE950ELNS1_3gpuE13ELNS1_3repE0EEENS1_52radix_sort_onesweep_histogram_config_static_selectorELNS0_4arch9wavefront6targetE1EEEvSG_.num_named_barrier, 0
	.set _ZN7rocprim17ROCPRIM_400000_NS6detail17trampoline_kernelINS0_14default_configENS1_35radix_sort_onesweep_config_selectorIyyEEZNS1_34radix_sort_onesweep_global_offsetsIS3_Lb0EN6thrust23THRUST_200600_302600_NS6detail15normal_iteratorINS8_10device_ptrIyEEEESD_jNS0_19identity_decomposerEEE10hipError_tT1_T2_PT3_SI_jT4_jjP12ihipStream_tbEUlT_E_NS1_11comp_targetILNS1_3genE6ELNS1_11target_archE950ELNS1_3gpuE13ELNS1_3repE0EEENS1_52radix_sort_onesweep_histogram_config_static_selectorELNS0_4arch9wavefront6targetE1EEEvSG_.private_seg_size, 0
	.set _ZN7rocprim17ROCPRIM_400000_NS6detail17trampoline_kernelINS0_14default_configENS1_35radix_sort_onesweep_config_selectorIyyEEZNS1_34radix_sort_onesweep_global_offsetsIS3_Lb0EN6thrust23THRUST_200600_302600_NS6detail15normal_iteratorINS8_10device_ptrIyEEEESD_jNS0_19identity_decomposerEEE10hipError_tT1_T2_PT3_SI_jT4_jjP12ihipStream_tbEUlT_E_NS1_11comp_targetILNS1_3genE6ELNS1_11target_archE950ELNS1_3gpuE13ELNS1_3repE0EEENS1_52radix_sort_onesweep_histogram_config_static_selectorELNS0_4arch9wavefront6targetE1EEEvSG_.uses_vcc, 1
	.set _ZN7rocprim17ROCPRIM_400000_NS6detail17trampoline_kernelINS0_14default_configENS1_35radix_sort_onesweep_config_selectorIyyEEZNS1_34radix_sort_onesweep_global_offsetsIS3_Lb0EN6thrust23THRUST_200600_302600_NS6detail15normal_iteratorINS8_10device_ptrIyEEEESD_jNS0_19identity_decomposerEEE10hipError_tT1_T2_PT3_SI_jT4_jjP12ihipStream_tbEUlT_E_NS1_11comp_targetILNS1_3genE6ELNS1_11target_archE950ELNS1_3gpuE13ELNS1_3repE0EEENS1_52radix_sort_onesweep_histogram_config_static_selectorELNS0_4arch9wavefront6targetE1EEEvSG_.uses_flat_scratch, 0
	.set _ZN7rocprim17ROCPRIM_400000_NS6detail17trampoline_kernelINS0_14default_configENS1_35radix_sort_onesweep_config_selectorIyyEEZNS1_34radix_sort_onesweep_global_offsetsIS3_Lb0EN6thrust23THRUST_200600_302600_NS6detail15normal_iteratorINS8_10device_ptrIyEEEESD_jNS0_19identity_decomposerEEE10hipError_tT1_T2_PT3_SI_jT4_jjP12ihipStream_tbEUlT_E_NS1_11comp_targetILNS1_3genE6ELNS1_11target_archE950ELNS1_3gpuE13ELNS1_3repE0EEENS1_52radix_sort_onesweep_histogram_config_static_selectorELNS0_4arch9wavefront6targetE1EEEvSG_.has_dyn_sized_stack, 0
	.set _ZN7rocprim17ROCPRIM_400000_NS6detail17trampoline_kernelINS0_14default_configENS1_35radix_sort_onesweep_config_selectorIyyEEZNS1_34radix_sort_onesweep_global_offsetsIS3_Lb0EN6thrust23THRUST_200600_302600_NS6detail15normal_iteratorINS8_10device_ptrIyEEEESD_jNS0_19identity_decomposerEEE10hipError_tT1_T2_PT3_SI_jT4_jjP12ihipStream_tbEUlT_E_NS1_11comp_targetILNS1_3genE6ELNS1_11target_archE950ELNS1_3gpuE13ELNS1_3repE0EEENS1_52radix_sort_onesweep_histogram_config_static_selectorELNS0_4arch9wavefront6targetE1EEEvSG_.has_recursion, 0
	.set _ZN7rocprim17ROCPRIM_400000_NS6detail17trampoline_kernelINS0_14default_configENS1_35radix_sort_onesweep_config_selectorIyyEEZNS1_34radix_sort_onesweep_global_offsetsIS3_Lb0EN6thrust23THRUST_200600_302600_NS6detail15normal_iteratorINS8_10device_ptrIyEEEESD_jNS0_19identity_decomposerEEE10hipError_tT1_T2_PT3_SI_jT4_jjP12ihipStream_tbEUlT_E_NS1_11comp_targetILNS1_3genE6ELNS1_11target_archE950ELNS1_3gpuE13ELNS1_3repE0EEENS1_52radix_sort_onesweep_histogram_config_static_selectorELNS0_4arch9wavefront6targetE1EEEvSG_.has_indirect_call, 0
	.section	.AMDGPU.csdata,"",@progbits
; Kernel info:
; codeLenInByte = 14572
; TotalNumSgprs: 25
; NumVgprs: 28
; NumAgprs: 0
; TotalNumVgprs: 28
; ScratchSize: 0
; MemoryBound: 0
; FloatMode: 240
; IeeeMode: 1
; LDSByteSize: 32768 bytes/workgroup (compile time only)
; SGPRBlocks: 3
; VGPRBlocks: 3
; NumSGPRsForWavesPerEU: 25
; NumVGPRsForWavesPerEU: 28
; AccumOffset: 28
; Occupancy: 8
; WaveLimiterHint : 1
; COMPUTE_PGM_RSRC2:SCRATCH_EN: 0
; COMPUTE_PGM_RSRC2:USER_SGPR: 2
; COMPUTE_PGM_RSRC2:TRAP_HANDLER: 0
; COMPUTE_PGM_RSRC2:TGID_X_EN: 1
; COMPUTE_PGM_RSRC2:TGID_Y_EN: 0
; COMPUTE_PGM_RSRC2:TGID_Z_EN: 0
; COMPUTE_PGM_RSRC2:TIDIG_COMP_CNT: 0
; COMPUTE_PGM_RSRC3_GFX90A:ACCUM_OFFSET: 6
; COMPUTE_PGM_RSRC3_GFX90A:TG_SPLIT: 0
	.section	.text._ZN7rocprim17ROCPRIM_400000_NS6detail17trampoline_kernelINS0_14default_configENS1_35radix_sort_onesweep_config_selectorIyyEEZNS1_34radix_sort_onesweep_global_offsetsIS3_Lb0EN6thrust23THRUST_200600_302600_NS6detail15normal_iteratorINS8_10device_ptrIyEEEESD_jNS0_19identity_decomposerEEE10hipError_tT1_T2_PT3_SI_jT4_jjP12ihipStream_tbEUlT_E_NS1_11comp_targetILNS1_3genE5ELNS1_11target_archE942ELNS1_3gpuE9ELNS1_3repE0EEENS1_52radix_sort_onesweep_histogram_config_static_selectorELNS0_4arch9wavefront6targetE1EEEvSG_,"axG",@progbits,_ZN7rocprim17ROCPRIM_400000_NS6detail17trampoline_kernelINS0_14default_configENS1_35radix_sort_onesweep_config_selectorIyyEEZNS1_34radix_sort_onesweep_global_offsetsIS3_Lb0EN6thrust23THRUST_200600_302600_NS6detail15normal_iteratorINS8_10device_ptrIyEEEESD_jNS0_19identity_decomposerEEE10hipError_tT1_T2_PT3_SI_jT4_jjP12ihipStream_tbEUlT_E_NS1_11comp_targetILNS1_3genE5ELNS1_11target_archE942ELNS1_3gpuE9ELNS1_3repE0EEENS1_52radix_sort_onesweep_histogram_config_static_selectorELNS0_4arch9wavefront6targetE1EEEvSG_,comdat
	.protected	_ZN7rocprim17ROCPRIM_400000_NS6detail17trampoline_kernelINS0_14default_configENS1_35radix_sort_onesweep_config_selectorIyyEEZNS1_34radix_sort_onesweep_global_offsetsIS3_Lb0EN6thrust23THRUST_200600_302600_NS6detail15normal_iteratorINS8_10device_ptrIyEEEESD_jNS0_19identity_decomposerEEE10hipError_tT1_T2_PT3_SI_jT4_jjP12ihipStream_tbEUlT_E_NS1_11comp_targetILNS1_3genE5ELNS1_11target_archE942ELNS1_3gpuE9ELNS1_3repE0EEENS1_52radix_sort_onesweep_histogram_config_static_selectorELNS0_4arch9wavefront6targetE1EEEvSG_ ; -- Begin function _ZN7rocprim17ROCPRIM_400000_NS6detail17trampoline_kernelINS0_14default_configENS1_35radix_sort_onesweep_config_selectorIyyEEZNS1_34radix_sort_onesweep_global_offsetsIS3_Lb0EN6thrust23THRUST_200600_302600_NS6detail15normal_iteratorINS8_10device_ptrIyEEEESD_jNS0_19identity_decomposerEEE10hipError_tT1_T2_PT3_SI_jT4_jjP12ihipStream_tbEUlT_E_NS1_11comp_targetILNS1_3genE5ELNS1_11target_archE942ELNS1_3gpuE9ELNS1_3repE0EEENS1_52radix_sort_onesweep_histogram_config_static_selectorELNS0_4arch9wavefront6targetE1EEEvSG_
	.globl	_ZN7rocprim17ROCPRIM_400000_NS6detail17trampoline_kernelINS0_14default_configENS1_35radix_sort_onesweep_config_selectorIyyEEZNS1_34radix_sort_onesweep_global_offsetsIS3_Lb0EN6thrust23THRUST_200600_302600_NS6detail15normal_iteratorINS8_10device_ptrIyEEEESD_jNS0_19identity_decomposerEEE10hipError_tT1_T2_PT3_SI_jT4_jjP12ihipStream_tbEUlT_E_NS1_11comp_targetILNS1_3genE5ELNS1_11target_archE942ELNS1_3gpuE9ELNS1_3repE0EEENS1_52radix_sort_onesweep_histogram_config_static_selectorELNS0_4arch9wavefront6targetE1EEEvSG_
	.p2align	8
	.type	_ZN7rocprim17ROCPRIM_400000_NS6detail17trampoline_kernelINS0_14default_configENS1_35radix_sort_onesweep_config_selectorIyyEEZNS1_34radix_sort_onesweep_global_offsetsIS3_Lb0EN6thrust23THRUST_200600_302600_NS6detail15normal_iteratorINS8_10device_ptrIyEEEESD_jNS0_19identity_decomposerEEE10hipError_tT1_T2_PT3_SI_jT4_jjP12ihipStream_tbEUlT_E_NS1_11comp_targetILNS1_3genE5ELNS1_11target_archE942ELNS1_3gpuE9ELNS1_3repE0EEENS1_52radix_sort_onesweep_histogram_config_static_selectorELNS0_4arch9wavefront6targetE1EEEvSG_,@function
_ZN7rocprim17ROCPRIM_400000_NS6detail17trampoline_kernelINS0_14default_configENS1_35radix_sort_onesweep_config_selectorIyyEEZNS1_34radix_sort_onesweep_global_offsetsIS3_Lb0EN6thrust23THRUST_200600_302600_NS6detail15normal_iteratorINS8_10device_ptrIyEEEESD_jNS0_19identity_decomposerEEE10hipError_tT1_T2_PT3_SI_jT4_jjP12ihipStream_tbEUlT_E_NS1_11comp_targetILNS1_3genE5ELNS1_11target_archE942ELNS1_3gpuE9ELNS1_3repE0EEENS1_52radix_sort_onesweep_histogram_config_static_selectorELNS0_4arch9wavefront6targetE1EEEvSG_: ; @_ZN7rocprim17ROCPRIM_400000_NS6detail17trampoline_kernelINS0_14default_configENS1_35radix_sort_onesweep_config_selectorIyyEEZNS1_34radix_sort_onesweep_global_offsetsIS3_Lb0EN6thrust23THRUST_200600_302600_NS6detail15normal_iteratorINS8_10device_ptrIyEEEESD_jNS0_19identity_decomposerEEE10hipError_tT1_T2_PT3_SI_jT4_jjP12ihipStream_tbEUlT_E_NS1_11comp_targetILNS1_3genE5ELNS1_11target_archE942ELNS1_3gpuE9ELNS1_3repE0EEENS1_52radix_sort_onesweep_histogram_config_static_selectorELNS0_4arch9wavefront6targetE1EEEvSG_
; %bb.0:
	.section	.rodata,"a",@progbits
	.p2align	6, 0x0
	.amdhsa_kernel _ZN7rocprim17ROCPRIM_400000_NS6detail17trampoline_kernelINS0_14default_configENS1_35radix_sort_onesweep_config_selectorIyyEEZNS1_34radix_sort_onesweep_global_offsetsIS3_Lb0EN6thrust23THRUST_200600_302600_NS6detail15normal_iteratorINS8_10device_ptrIyEEEESD_jNS0_19identity_decomposerEEE10hipError_tT1_T2_PT3_SI_jT4_jjP12ihipStream_tbEUlT_E_NS1_11comp_targetILNS1_3genE5ELNS1_11target_archE942ELNS1_3gpuE9ELNS1_3repE0EEENS1_52radix_sort_onesweep_histogram_config_static_selectorELNS0_4arch9wavefront6targetE1EEEvSG_
		.amdhsa_group_segment_fixed_size 0
		.amdhsa_private_segment_fixed_size 0
		.amdhsa_kernarg_size 40
		.amdhsa_user_sgpr_count 2
		.amdhsa_user_sgpr_dispatch_ptr 0
		.amdhsa_user_sgpr_queue_ptr 0
		.amdhsa_user_sgpr_kernarg_segment_ptr 1
		.amdhsa_user_sgpr_dispatch_id 0
		.amdhsa_user_sgpr_kernarg_preload_length 0
		.amdhsa_user_sgpr_kernarg_preload_offset 0
		.amdhsa_user_sgpr_private_segment_size 0
		.amdhsa_uses_dynamic_stack 0
		.amdhsa_enable_private_segment 0
		.amdhsa_system_sgpr_workgroup_id_x 1
		.amdhsa_system_sgpr_workgroup_id_y 0
		.amdhsa_system_sgpr_workgroup_id_z 0
		.amdhsa_system_sgpr_workgroup_info 0
		.amdhsa_system_vgpr_workitem_id 0
		.amdhsa_next_free_vgpr 1
		.amdhsa_next_free_sgpr 0
		.amdhsa_accum_offset 4
		.amdhsa_reserve_vcc 0
		.amdhsa_float_round_mode_32 0
		.amdhsa_float_round_mode_16_64 0
		.amdhsa_float_denorm_mode_32 3
		.amdhsa_float_denorm_mode_16_64 3
		.amdhsa_dx10_clamp 1
		.amdhsa_ieee_mode 1
		.amdhsa_fp16_overflow 0
		.amdhsa_tg_split 0
		.amdhsa_exception_fp_ieee_invalid_op 0
		.amdhsa_exception_fp_denorm_src 0
		.amdhsa_exception_fp_ieee_div_zero 0
		.amdhsa_exception_fp_ieee_overflow 0
		.amdhsa_exception_fp_ieee_underflow 0
		.amdhsa_exception_fp_ieee_inexact 0
		.amdhsa_exception_int_div_zero 0
	.end_amdhsa_kernel
	.section	.text._ZN7rocprim17ROCPRIM_400000_NS6detail17trampoline_kernelINS0_14default_configENS1_35radix_sort_onesweep_config_selectorIyyEEZNS1_34radix_sort_onesweep_global_offsetsIS3_Lb0EN6thrust23THRUST_200600_302600_NS6detail15normal_iteratorINS8_10device_ptrIyEEEESD_jNS0_19identity_decomposerEEE10hipError_tT1_T2_PT3_SI_jT4_jjP12ihipStream_tbEUlT_E_NS1_11comp_targetILNS1_3genE5ELNS1_11target_archE942ELNS1_3gpuE9ELNS1_3repE0EEENS1_52radix_sort_onesweep_histogram_config_static_selectorELNS0_4arch9wavefront6targetE1EEEvSG_,"axG",@progbits,_ZN7rocprim17ROCPRIM_400000_NS6detail17trampoline_kernelINS0_14default_configENS1_35radix_sort_onesweep_config_selectorIyyEEZNS1_34radix_sort_onesweep_global_offsetsIS3_Lb0EN6thrust23THRUST_200600_302600_NS6detail15normal_iteratorINS8_10device_ptrIyEEEESD_jNS0_19identity_decomposerEEE10hipError_tT1_T2_PT3_SI_jT4_jjP12ihipStream_tbEUlT_E_NS1_11comp_targetILNS1_3genE5ELNS1_11target_archE942ELNS1_3gpuE9ELNS1_3repE0EEENS1_52radix_sort_onesweep_histogram_config_static_selectorELNS0_4arch9wavefront6targetE1EEEvSG_,comdat
.Lfunc_end503:
	.size	_ZN7rocprim17ROCPRIM_400000_NS6detail17trampoline_kernelINS0_14default_configENS1_35radix_sort_onesweep_config_selectorIyyEEZNS1_34radix_sort_onesweep_global_offsetsIS3_Lb0EN6thrust23THRUST_200600_302600_NS6detail15normal_iteratorINS8_10device_ptrIyEEEESD_jNS0_19identity_decomposerEEE10hipError_tT1_T2_PT3_SI_jT4_jjP12ihipStream_tbEUlT_E_NS1_11comp_targetILNS1_3genE5ELNS1_11target_archE942ELNS1_3gpuE9ELNS1_3repE0EEENS1_52radix_sort_onesweep_histogram_config_static_selectorELNS0_4arch9wavefront6targetE1EEEvSG_, .Lfunc_end503-_ZN7rocprim17ROCPRIM_400000_NS6detail17trampoline_kernelINS0_14default_configENS1_35radix_sort_onesweep_config_selectorIyyEEZNS1_34radix_sort_onesweep_global_offsetsIS3_Lb0EN6thrust23THRUST_200600_302600_NS6detail15normal_iteratorINS8_10device_ptrIyEEEESD_jNS0_19identity_decomposerEEE10hipError_tT1_T2_PT3_SI_jT4_jjP12ihipStream_tbEUlT_E_NS1_11comp_targetILNS1_3genE5ELNS1_11target_archE942ELNS1_3gpuE9ELNS1_3repE0EEENS1_52radix_sort_onesweep_histogram_config_static_selectorELNS0_4arch9wavefront6targetE1EEEvSG_
                                        ; -- End function
	.set _ZN7rocprim17ROCPRIM_400000_NS6detail17trampoline_kernelINS0_14default_configENS1_35radix_sort_onesweep_config_selectorIyyEEZNS1_34radix_sort_onesweep_global_offsetsIS3_Lb0EN6thrust23THRUST_200600_302600_NS6detail15normal_iteratorINS8_10device_ptrIyEEEESD_jNS0_19identity_decomposerEEE10hipError_tT1_T2_PT3_SI_jT4_jjP12ihipStream_tbEUlT_E_NS1_11comp_targetILNS1_3genE5ELNS1_11target_archE942ELNS1_3gpuE9ELNS1_3repE0EEENS1_52radix_sort_onesweep_histogram_config_static_selectorELNS0_4arch9wavefront6targetE1EEEvSG_.num_vgpr, 0
	.set _ZN7rocprim17ROCPRIM_400000_NS6detail17trampoline_kernelINS0_14default_configENS1_35radix_sort_onesweep_config_selectorIyyEEZNS1_34radix_sort_onesweep_global_offsetsIS3_Lb0EN6thrust23THRUST_200600_302600_NS6detail15normal_iteratorINS8_10device_ptrIyEEEESD_jNS0_19identity_decomposerEEE10hipError_tT1_T2_PT3_SI_jT4_jjP12ihipStream_tbEUlT_E_NS1_11comp_targetILNS1_3genE5ELNS1_11target_archE942ELNS1_3gpuE9ELNS1_3repE0EEENS1_52radix_sort_onesweep_histogram_config_static_selectorELNS0_4arch9wavefront6targetE1EEEvSG_.num_agpr, 0
	.set _ZN7rocprim17ROCPRIM_400000_NS6detail17trampoline_kernelINS0_14default_configENS1_35radix_sort_onesweep_config_selectorIyyEEZNS1_34radix_sort_onesweep_global_offsetsIS3_Lb0EN6thrust23THRUST_200600_302600_NS6detail15normal_iteratorINS8_10device_ptrIyEEEESD_jNS0_19identity_decomposerEEE10hipError_tT1_T2_PT3_SI_jT4_jjP12ihipStream_tbEUlT_E_NS1_11comp_targetILNS1_3genE5ELNS1_11target_archE942ELNS1_3gpuE9ELNS1_3repE0EEENS1_52radix_sort_onesweep_histogram_config_static_selectorELNS0_4arch9wavefront6targetE1EEEvSG_.numbered_sgpr, 0
	.set _ZN7rocprim17ROCPRIM_400000_NS6detail17trampoline_kernelINS0_14default_configENS1_35radix_sort_onesweep_config_selectorIyyEEZNS1_34radix_sort_onesweep_global_offsetsIS3_Lb0EN6thrust23THRUST_200600_302600_NS6detail15normal_iteratorINS8_10device_ptrIyEEEESD_jNS0_19identity_decomposerEEE10hipError_tT1_T2_PT3_SI_jT4_jjP12ihipStream_tbEUlT_E_NS1_11comp_targetILNS1_3genE5ELNS1_11target_archE942ELNS1_3gpuE9ELNS1_3repE0EEENS1_52radix_sort_onesweep_histogram_config_static_selectorELNS0_4arch9wavefront6targetE1EEEvSG_.num_named_barrier, 0
	.set _ZN7rocprim17ROCPRIM_400000_NS6detail17trampoline_kernelINS0_14default_configENS1_35radix_sort_onesweep_config_selectorIyyEEZNS1_34radix_sort_onesweep_global_offsetsIS3_Lb0EN6thrust23THRUST_200600_302600_NS6detail15normal_iteratorINS8_10device_ptrIyEEEESD_jNS0_19identity_decomposerEEE10hipError_tT1_T2_PT3_SI_jT4_jjP12ihipStream_tbEUlT_E_NS1_11comp_targetILNS1_3genE5ELNS1_11target_archE942ELNS1_3gpuE9ELNS1_3repE0EEENS1_52radix_sort_onesweep_histogram_config_static_selectorELNS0_4arch9wavefront6targetE1EEEvSG_.private_seg_size, 0
	.set _ZN7rocprim17ROCPRIM_400000_NS6detail17trampoline_kernelINS0_14default_configENS1_35radix_sort_onesweep_config_selectorIyyEEZNS1_34radix_sort_onesweep_global_offsetsIS3_Lb0EN6thrust23THRUST_200600_302600_NS6detail15normal_iteratorINS8_10device_ptrIyEEEESD_jNS0_19identity_decomposerEEE10hipError_tT1_T2_PT3_SI_jT4_jjP12ihipStream_tbEUlT_E_NS1_11comp_targetILNS1_3genE5ELNS1_11target_archE942ELNS1_3gpuE9ELNS1_3repE0EEENS1_52radix_sort_onesweep_histogram_config_static_selectorELNS0_4arch9wavefront6targetE1EEEvSG_.uses_vcc, 0
	.set _ZN7rocprim17ROCPRIM_400000_NS6detail17trampoline_kernelINS0_14default_configENS1_35radix_sort_onesweep_config_selectorIyyEEZNS1_34radix_sort_onesweep_global_offsetsIS3_Lb0EN6thrust23THRUST_200600_302600_NS6detail15normal_iteratorINS8_10device_ptrIyEEEESD_jNS0_19identity_decomposerEEE10hipError_tT1_T2_PT3_SI_jT4_jjP12ihipStream_tbEUlT_E_NS1_11comp_targetILNS1_3genE5ELNS1_11target_archE942ELNS1_3gpuE9ELNS1_3repE0EEENS1_52radix_sort_onesweep_histogram_config_static_selectorELNS0_4arch9wavefront6targetE1EEEvSG_.uses_flat_scratch, 0
	.set _ZN7rocprim17ROCPRIM_400000_NS6detail17trampoline_kernelINS0_14default_configENS1_35radix_sort_onesweep_config_selectorIyyEEZNS1_34radix_sort_onesweep_global_offsetsIS3_Lb0EN6thrust23THRUST_200600_302600_NS6detail15normal_iteratorINS8_10device_ptrIyEEEESD_jNS0_19identity_decomposerEEE10hipError_tT1_T2_PT3_SI_jT4_jjP12ihipStream_tbEUlT_E_NS1_11comp_targetILNS1_3genE5ELNS1_11target_archE942ELNS1_3gpuE9ELNS1_3repE0EEENS1_52radix_sort_onesweep_histogram_config_static_selectorELNS0_4arch9wavefront6targetE1EEEvSG_.has_dyn_sized_stack, 0
	.set _ZN7rocprim17ROCPRIM_400000_NS6detail17trampoline_kernelINS0_14default_configENS1_35radix_sort_onesweep_config_selectorIyyEEZNS1_34radix_sort_onesweep_global_offsetsIS3_Lb0EN6thrust23THRUST_200600_302600_NS6detail15normal_iteratorINS8_10device_ptrIyEEEESD_jNS0_19identity_decomposerEEE10hipError_tT1_T2_PT3_SI_jT4_jjP12ihipStream_tbEUlT_E_NS1_11comp_targetILNS1_3genE5ELNS1_11target_archE942ELNS1_3gpuE9ELNS1_3repE0EEENS1_52radix_sort_onesweep_histogram_config_static_selectorELNS0_4arch9wavefront6targetE1EEEvSG_.has_recursion, 0
	.set _ZN7rocprim17ROCPRIM_400000_NS6detail17trampoline_kernelINS0_14default_configENS1_35radix_sort_onesweep_config_selectorIyyEEZNS1_34radix_sort_onesweep_global_offsetsIS3_Lb0EN6thrust23THRUST_200600_302600_NS6detail15normal_iteratorINS8_10device_ptrIyEEEESD_jNS0_19identity_decomposerEEE10hipError_tT1_T2_PT3_SI_jT4_jjP12ihipStream_tbEUlT_E_NS1_11comp_targetILNS1_3genE5ELNS1_11target_archE942ELNS1_3gpuE9ELNS1_3repE0EEENS1_52radix_sort_onesweep_histogram_config_static_selectorELNS0_4arch9wavefront6targetE1EEEvSG_.has_indirect_call, 0
	.section	.AMDGPU.csdata,"",@progbits
; Kernel info:
; codeLenInByte = 0
; TotalNumSgprs: 6
; NumVgprs: 0
; NumAgprs: 0
; TotalNumVgprs: 0
; ScratchSize: 0
; MemoryBound: 0
; FloatMode: 240
; IeeeMode: 1
; LDSByteSize: 0 bytes/workgroup (compile time only)
; SGPRBlocks: 0
; VGPRBlocks: 0
; NumSGPRsForWavesPerEU: 6
; NumVGPRsForWavesPerEU: 1
; AccumOffset: 4
; Occupancy: 8
; WaveLimiterHint : 0
; COMPUTE_PGM_RSRC2:SCRATCH_EN: 0
; COMPUTE_PGM_RSRC2:USER_SGPR: 2
; COMPUTE_PGM_RSRC2:TRAP_HANDLER: 0
; COMPUTE_PGM_RSRC2:TGID_X_EN: 1
; COMPUTE_PGM_RSRC2:TGID_Y_EN: 0
; COMPUTE_PGM_RSRC2:TGID_Z_EN: 0
; COMPUTE_PGM_RSRC2:TIDIG_COMP_CNT: 0
; COMPUTE_PGM_RSRC3_GFX90A:ACCUM_OFFSET: 0
; COMPUTE_PGM_RSRC3_GFX90A:TG_SPLIT: 0
	.section	.text._ZN7rocprim17ROCPRIM_400000_NS6detail17trampoline_kernelINS0_14default_configENS1_35radix_sort_onesweep_config_selectorIyyEEZNS1_34radix_sort_onesweep_global_offsetsIS3_Lb0EN6thrust23THRUST_200600_302600_NS6detail15normal_iteratorINS8_10device_ptrIyEEEESD_jNS0_19identity_decomposerEEE10hipError_tT1_T2_PT3_SI_jT4_jjP12ihipStream_tbEUlT_E_NS1_11comp_targetILNS1_3genE2ELNS1_11target_archE906ELNS1_3gpuE6ELNS1_3repE0EEENS1_52radix_sort_onesweep_histogram_config_static_selectorELNS0_4arch9wavefront6targetE1EEEvSG_,"axG",@progbits,_ZN7rocprim17ROCPRIM_400000_NS6detail17trampoline_kernelINS0_14default_configENS1_35radix_sort_onesweep_config_selectorIyyEEZNS1_34radix_sort_onesweep_global_offsetsIS3_Lb0EN6thrust23THRUST_200600_302600_NS6detail15normal_iteratorINS8_10device_ptrIyEEEESD_jNS0_19identity_decomposerEEE10hipError_tT1_T2_PT3_SI_jT4_jjP12ihipStream_tbEUlT_E_NS1_11comp_targetILNS1_3genE2ELNS1_11target_archE906ELNS1_3gpuE6ELNS1_3repE0EEENS1_52radix_sort_onesweep_histogram_config_static_selectorELNS0_4arch9wavefront6targetE1EEEvSG_,comdat
	.protected	_ZN7rocprim17ROCPRIM_400000_NS6detail17trampoline_kernelINS0_14default_configENS1_35radix_sort_onesweep_config_selectorIyyEEZNS1_34radix_sort_onesweep_global_offsetsIS3_Lb0EN6thrust23THRUST_200600_302600_NS6detail15normal_iteratorINS8_10device_ptrIyEEEESD_jNS0_19identity_decomposerEEE10hipError_tT1_T2_PT3_SI_jT4_jjP12ihipStream_tbEUlT_E_NS1_11comp_targetILNS1_3genE2ELNS1_11target_archE906ELNS1_3gpuE6ELNS1_3repE0EEENS1_52radix_sort_onesweep_histogram_config_static_selectorELNS0_4arch9wavefront6targetE1EEEvSG_ ; -- Begin function _ZN7rocprim17ROCPRIM_400000_NS6detail17trampoline_kernelINS0_14default_configENS1_35radix_sort_onesweep_config_selectorIyyEEZNS1_34radix_sort_onesweep_global_offsetsIS3_Lb0EN6thrust23THRUST_200600_302600_NS6detail15normal_iteratorINS8_10device_ptrIyEEEESD_jNS0_19identity_decomposerEEE10hipError_tT1_T2_PT3_SI_jT4_jjP12ihipStream_tbEUlT_E_NS1_11comp_targetILNS1_3genE2ELNS1_11target_archE906ELNS1_3gpuE6ELNS1_3repE0EEENS1_52radix_sort_onesweep_histogram_config_static_selectorELNS0_4arch9wavefront6targetE1EEEvSG_
	.globl	_ZN7rocprim17ROCPRIM_400000_NS6detail17trampoline_kernelINS0_14default_configENS1_35radix_sort_onesweep_config_selectorIyyEEZNS1_34radix_sort_onesweep_global_offsetsIS3_Lb0EN6thrust23THRUST_200600_302600_NS6detail15normal_iteratorINS8_10device_ptrIyEEEESD_jNS0_19identity_decomposerEEE10hipError_tT1_T2_PT3_SI_jT4_jjP12ihipStream_tbEUlT_E_NS1_11comp_targetILNS1_3genE2ELNS1_11target_archE906ELNS1_3gpuE6ELNS1_3repE0EEENS1_52radix_sort_onesweep_histogram_config_static_selectorELNS0_4arch9wavefront6targetE1EEEvSG_
	.p2align	8
	.type	_ZN7rocprim17ROCPRIM_400000_NS6detail17trampoline_kernelINS0_14default_configENS1_35radix_sort_onesweep_config_selectorIyyEEZNS1_34radix_sort_onesweep_global_offsetsIS3_Lb0EN6thrust23THRUST_200600_302600_NS6detail15normal_iteratorINS8_10device_ptrIyEEEESD_jNS0_19identity_decomposerEEE10hipError_tT1_T2_PT3_SI_jT4_jjP12ihipStream_tbEUlT_E_NS1_11comp_targetILNS1_3genE2ELNS1_11target_archE906ELNS1_3gpuE6ELNS1_3repE0EEENS1_52radix_sort_onesweep_histogram_config_static_selectorELNS0_4arch9wavefront6targetE1EEEvSG_,@function
_ZN7rocprim17ROCPRIM_400000_NS6detail17trampoline_kernelINS0_14default_configENS1_35radix_sort_onesweep_config_selectorIyyEEZNS1_34radix_sort_onesweep_global_offsetsIS3_Lb0EN6thrust23THRUST_200600_302600_NS6detail15normal_iteratorINS8_10device_ptrIyEEEESD_jNS0_19identity_decomposerEEE10hipError_tT1_T2_PT3_SI_jT4_jjP12ihipStream_tbEUlT_E_NS1_11comp_targetILNS1_3genE2ELNS1_11target_archE906ELNS1_3gpuE6ELNS1_3repE0EEENS1_52radix_sort_onesweep_histogram_config_static_selectorELNS0_4arch9wavefront6targetE1EEEvSG_: ; @_ZN7rocprim17ROCPRIM_400000_NS6detail17trampoline_kernelINS0_14default_configENS1_35radix_sort_onesweep_config_selectorIyyEEZNS1_34radix_sort_onesweep_global_offsetsIS3_Lb0EN6thrust23THRUST_200600_302600_NS6detail15normal_iteratorINS8_10device_ptrIyEEEESD_jNS0_19identity_decomposerEEE10hipError_tT1_T2_PT3_SI_jT4_jjP12ihipStream_tbEUlT_E_NS1_11comp_targetILNS1_3genE2ELNS1_11target_archE906ELNS1_3gpuE6ELNS1_3repE0EEENS1_52radix_sort_onesweep_histogram_config_static_selectorELNS0_4arch9wavefront6targetE1EEEvSG_
; %bb.0:
	.section	.rodata,"a",@progbits
	.p2align	6, 0x0
	.amdhsa_kernel _ZN7rocprim17ROCPRIM_400000_NS6detail17trampoline_kernelINS0_14default_configENS1_35radix_sort_onesweep_config_selectorIyyEEZNS1_34radix_sort_onesweep_global_offsetsIS3_Lb0EN6thrust23THRUST_200600_302600_NS6detail15normal_iteratorINS8_10device_ptrIyEEEESD_jNS0_19identity_decomposerEEE10hipError_tT1_T2_PT3_SI_jT4_jjP12ihipStream_tbEUlT_E_NS1_11comp_targetILNS1_3genE2ELNS1_11target_archE906ELNS1_3gpuE6ELNS1_3repE0EEENS1_52radix_sort_onesweep_histogram_config_static_selectorELNS0_4arch9wavefront6targetE1EEEvSG_
		.amdhsa_group_segment_fixed_size 0
		.amdhsa_private_segment_fixed_size 0
		.amdhsa_kernarg_size 40
		.amdhsa_user_sgpr_count 2
		.amdhsa_user_sgpr_dispatch_ptr 0
		.amdhsa_user_sgpr_queue_ptr 0
		.amdhsa_user_sgpr_kernarg_segment_ptr 1
		.amdhsa_user_sgpr_dispatch_id 0
		.amdhsa_user_sgpr_kernarg_preload_length 0
		.amdhsa_user_sgpr_kernarg_preload_offset 0
		.amdhsa_user_sgpr_private_segment_size 0
		.amdhsa_uses_dynamic_stack 0
		.amdhsa_enable_private_segment 0
		.amdhsa_system_sgpr_workgroup_id_x 1
		.amdhsa_system_sgpr_workgroup_id_y 0
		.amdhsa_system_sgpr_workgroup_id_z 0
		.amdhsa_system_sgpr_workgroup_info 0
		.amdhsa_system_vgpr_workitem_id 0
		.amdhsa_next_free_vgpr 1
		.amdhsa_next_free_sgpr 0
		.amdhsa_accum_offset 4
		.amdhsa_reserve_vcc 0
		.amdhsa_float_round_mode_32 0
		.amdhsa_float_round_mode_16_64 0
		.amdhsa_float_denorm_mode_32 3
		.amdhsa_float_denorm_mode_16_64 3
		.amdhsa_dx10_clamp 1
		.amdhsa_ieee_mode 1
		.amdhsa_fp16_overflow 0
		.amdhsa_tg_split 0
		.amdhsa_exception_fp_ieee_invalid_op 0
		.amdhsa_exception_fp_denorm_src 0
		.amdhsa_exception_fp_ieee_div_zero 0
		.amdhsa_exception_fp_ieee_overflow 0
		.amdhsa_exception_fp_ieee_underflow 0
		.amdhsa_exception_fp_ieee_inexact 0
		.amdhsa_exception_int_div_zero 0
	.end_amdhsa_kernel
	.section	.text._ZN7rocprim17ROCPRIM_400000_NS6detail17trampoline_kernelINS0_14default_configENS1_35radix_sort_onesweep_config_selectorIyyEEZNS1_34radix_sort_onesweep_global_offsetsIS3_Lb0EN6thrust23THRUST_200600_302600_NS6detail15normal_iteratorINS8_10device_ptrIyEEEESD_jNS0_19identity_decomposerEEE10hipError_tT1_T2_PT3_SI_jT4_jjP12ihipStream_tbEUlT_E_NS1_11comp_targetILNS1_3genE2ELNS1_11target_archE906ELNS1_3gpuE6ELNS1_3repE0EEENS1_52radix_sort_onesweep_histogram_config_static_selectorELNS0_4arch9wavefront6targetE1EEEvSG_,"axG",@progbits,_ZN7rocprim17ROCPRIM_400000_NS6detail17trampoline_kernelINS0_14default_configENS1_35radix_sort_onesweep_config_selectorIyyEEZNS1_34radix_sort_onesweep_global_offsetsIS3_Lb0EN6thrust23THRUST_200600_302600_NS6detail15normal_iteratorINS8_10device_ptrIyEEEESD_jNS0_19identity_decomposerEEE10hipError_tT1_T2_PT3_SI_jT4_jjP12ihipStream_tbEUlT_E_NS1_11comp_targetILNS1_3genE2ELNS1_11target_archE906ELNS1_3gpuE6ELNS1_3repE0EEENS1_52radix_sort_onesweep_histogram_config_static_selectorELNS0_4arch9wavefront6targetE1EEEvSG_,comdat
.Lfunc_end504:
	.size	_ZN7rocprim17ROCPRIM_400000_NS6detail17trampoline_kernelINS0_14default_configENS1_35radix_sort_onesweep_config_selectorIyyEEZNS1_34radix_sort_onesweep_global_offsetsIS3_Lb0EN6thrust23THRUST_200600_302600_NS6detail15normal_iteratorINS8_10device_ptrIyEEEESD_jNS0_19identity_decomposerEEE10hipError_tT1_T2_PT3_SI_jT4_jjP12ihipStream_tbEUlT_E_NS1_11comp_targetILNS1_3genE2ELNS1_11target_archE906ELNS1_3gpuE6ELNS1_3repE0EEENS1_52radix_sort_onesweep_histogram_config_static_selectorELNS0_4arch9wavefront6targetE1EEEvSG_, .Lfunc_end504-_ZN7rocprim17ROCPRIM_400000_NS6detail17trampoline_kernelINS0_14default_configENS1_35radix_sort_onesweep_config_selectorIyyEEZNS1_34radix_sort_onesweep_global_offsetsIS3_Lb0EN6thrust23THRUST_200600_302600_NS6detail15normal_iteratorINS8_10device_ptrIyEEEESD_jNS0_19identity_decomposerEEE10hipError_tT1_T2_PT3_SI_jT4_jjP12ihipStream_tbEUlT_E_NS1_11comp_targetILNS1_3genE2ELNS1_11target_archE906ELNS1_3gpuE6ELNS1_3repE0EEENS1_52radix_sort_onesweep_histogram_config_static_selectorELNS0_4arch9wavefront6targetE1EEEvSG_
                                        ; -- End function
	.set _ZN7rocprim17ROCPRIM_400000_NS6detail17trampoline_kernelINS0_14default_configENS1_35radix_sort_onesweep_config_selectorIyyEEZNS1_34radix_sort_onesweep_global_offsetsIS3_Lb0EN6thrust23THRUST_200600_302600_NS6detail15normal_iteratorINS8_10device_ptrIyEEEESD_jNS0_19identity_decomposerEEE10hipError_tT1_T2_PT3_SI_jT4_jjP12ihipStream_tbEUlT_E_NS1_11comp_targetILNS1_3genE2ELNS1_11target_archE906ELNS1_3gpuE6ELNS1_3repE0EEENS1_52radix_sort_onesweep_histogram_config_static_selectorELNS0_4arch9wavefront6targetE1EEEvSG_.num_vgpr, 0
	.set _ZN7rocprim17ROCPRIM_400000_NS6detail17trampoline_kernelINS0_14default_configENS1_35radix_sort_onesweep_config_selectorIyyEEZNS1_34radix_sort_onesweep_global_offsetsIS3_Lb0EN6thrust23THRUST_200600_302600_NS6detail15normal_iteratorINS8_10device_ptrIyEEEESD_jNS0_19identity_decomposerEEE10hipError_tT1_T2_PT3_SI_jT4_jjP12ihipStream_tbEUlT_E_NS1_11comp_targetILNS1_3genE2ELNS1_11target_archE906ELNS1_3gpuE6ELNS1_3repE0EEENS1_52radix_sort_onesweep_histogram_config_static_selectorELNS0_4arch9wavefront6targetE1EEEvSG_.num_agpr, 0
	.set _ZN7rocprim17ROCPRIM_400000_NS6detail17trampoline_kernelINS0_14default_configENS1_35radix_sort_onesweep_config_selectorIyyEEZNS1_34radix_sort_onesweep_global_offsetsIS3_Lb0EN6thrust23THRUST_200600_302600_NS6detail15normal_iteratorINS8_10device_ptrIyEEEESD_jNS0_19identity_decomposerEEE10hipError_tT1_T2_PT3_SI_jT4_jjP12ihipStream_tbEUlT_E_NS1_11comp_targetILNS1_3genE2ELNS1_11target_archE906ELNS1_3gpuE6ELNS1_3repE0EEENS1_52radix_sort_onesweep_histogram_config_static_selectorELNS0_4arch9wavefront6targetE1EEEvSG_.numbered_sgpr, 0
	.set _ZN7rocprim17ROCPRIM_400000_NS6detail17trampoline_kernelINS0_14default_configENS1_35radix_sort_onesweep_config_selectorIyyEEZNS1_34radix_sort_onesweep_global_offsetsIS3_Lb0EN6thrust23THRUST_200600_302600_NS6detail15normal_iteratorINS8_10device_ptrIyEEEESD_jNS0_19identity_decomposerEEE10hipError_tT1_T2_PT3_SI_jT4_jjP12ihipStream_tbEUlT_E_NS1_11comp_targetILNS1_3genE2ELNS1_11target_archE906ELNS1_3gpuE6ELNS1_3repE0EEENS1_52radix_sort_onesweep_histogram_config_static_selectorELNS0_4arch9wavefront6targetE1EEEvSG_.num_named_barrier, 0
	.set _ZN7rocprim17ROCPRIM_400000_NS6detail17trampoline_kernelINS0_14default_configENS1_35radix_sort_onesweep_config_selectorIyyEEZNS1_34radix_sort_onesweep_global_offsetsIS3_Lb0EN6thrust23THRUST_200600_302600_NS6detail15normal_iteratorINS8_10device_ptrIyEEEESD_jNS0_19identity_decomposerEEE10hipError_tT1_T2_PT3_SI_jT4_jjP12ihipStream_tbEUlT_E_NS1_11comp_targetILNS1_3genE2ELNS1_11target_archE906ELNS1_3gpuE6ELNS1_3repE0EEENS1_52radix_sort_onesweep_histogram_config_static_selectorELNS0_4arch9wavefront6targetE1EEEvSG_.private_seg_size, 0
	.set _ZN7rocprim17ROCPRIM_400000_NS6detail17trampoline_kernelINS0_14default_configENS1_35radix_sort_onesweep_config_selectorIyyEEZNS1_34radix_sort_onesweep_global_offsetsIS3_Lb0EN6thrust23THRUST_200600_302600_NS6detail15normal_iteratorINS8_10device_ptrIyEEEESD_jNS0_19identity_decomposerEEE10hipError_tT1_T2_PT3_SI_jT4_jjP12ihipStream_tbEUlT_E_NS1_11comp_targetILNS1_3genE2ELNS1_11target_archE906ELNS1_3gpuE6ELNS1_3repE0EEENS1_52radix_sort_onesweep_histogram_config_static_selectorELNS0_4arch9wavefront6targetE1EEEvSG_.uses_vcc, 0
	.set _ZN7rocprim17ROCPRIM_400000_NS6detail17trampoline_kernelINS0_14default_configENS1_35radix_sort_onesweep_config_selectorIyyEEZNS1_34radix_sort_onesweep_global_offsetsIS3_Lb0EN6thrust23THRUST_200600_302600_NS6detail15normal_iteratorINS8_10device_ptrIyEEEESD_jNS0_19identity_decomposerEEE10hipError_tT1_T2_PT3_SI_jT4_jjP12ihipStream_tbEUlT_E_NS1_11comp_targetILNS1_3genE2ELNS1_11target_archE906ELNS1_3gpuE6ELNS1_3repE0EEENS1_52radix_sort_onesweep_histogram_config_static_selectorELNS0_4arch9wavefront6targetE1EEEvSG_.uses_flat_scratch, 0
	.set _ZN7rocprim17ROCPRIM_400000_NS6detail17trampoline_kernelINS0_14default_configENS1_35radix_sort_onesweep_config_selectorIyyEEZNS1_34radix_sort_onesweep_global_offsetsIS3_Lb0EN6thrust23THRUST_200600_302600_NS6detail15normal_iteratorINS8_10device_ptrIyEEEESD_jNS0_19identity_decomposerEEE10hipError_tT1_T2_PT3_SI_jT4_jjP12ihipStream_tbEUlT_E_NS1_11comp_targetILNS1_3genE2ELNS1_11target_archE906ELNS1_3gpuE6ELNS1_3repE0EEENS1_52radix_sort_onesweep_histogram_config_static_selectorELNS0_4arch9wavefront6targetE1EEEvSG_.has_dyn_sized_stack, 0
	.set _ZN7rocprim17ROCPRIM_400000_NS6detail17trampoline_kernelINS0_14default_configENS1_35radix_sort_onesweep_config_selectorIyyEEZNS1_34radix_sort_onesweep_global_offsetsIS3_Lb0EN6thrust23THRUST_200600_302600_NS6detail15normal_iteratorINS8_10device_ptrIyEEEESD_jNS0_19identity_decomposerEEE10hipError_tT1_T2_PT3_SI_jT4_jjP12ihipStream_tbEUlT_E_NS1_11comp_targetILNS1_3genE2ELNS1_11target_archE906ELNS1_3gpuE6ELNS1_3repE0EEENS1_52radix_sort_onesweep_histogram_config_static_selectorELNS0_4arch9wavefront6targetE1EEEvSG_.has_recursion, 0
	.set _ZN7rocprim17ROCPRIM_400000_NS6detail17trampoline_kernelINS0_14default_configENS1_35radix_sort_onesweep_config_selectorIyyEEZNS1_34radix_sort_onesweep_global_offsetsIS3_Lb0EN6thrust23THRUST_200600_302600_NS6detail15normal_iteratorINS8_10device_ptrIyEEEESD_jNS0_19identity_decomposerEEE10hipError_tT1_T2_PT3_SI_jT4_jjP12ihipStream_tbEUlT_E_NS1_11comp_targetILNS1_3genE2ELNS1_11target_archE906ELNS1_3gpuE6ELNS1_3repE0EEENS1_52radix_sort_onesweep_histogram_config_static_selectorELNS0_4arch9wavefront6targetE1EEEvSG_.has_indirect_call, 0
	.section	.AMDGPU.csdata,"",@progbits
; Kernel info:
; codeLenInByte = 0
; TotalNumSgprs: 6
; NumVgprs: 0
; NumAgprs: 0
; TotalNumVgprs: 0
; ScratchSize: 0
; MemoryBound: 0
; FloatMode: 240
; IeeeMode: 1
; LDSByteSize: 0 bytes/workgroup (compile time only)
; SGPRBlocks: 0
; VGPRBlocks: 0
; NumSGPRsForWavesPerEU: 6
; NumVGPRsForWavesPerEU: 1
; AccumOffset: 4
; Occupancy: 8
; WaveLimiterHint : 0
; COMPUTE_PGM_RSRC2:SCRATCH_EN: 0
; COMPUTE_PGM_RSRC2:USER_SGPR: 2
; COMPUTE_PGM_RSRC2:TRAP_HANDLER: 0
; COMPUTE_PGM_RSRC2:TGID_X_EN: 1
; COMPUTE_PGM_RSRC2:TGID_Y_EN: 0
; COMPUTE_PGM_RSRC2:TGID_Z_EN: 0
; COMPUTE_PGM_RSRC2:TIDIG_COMP_CNT: 0
; COMPUTE_PGM_RSRC3_GFX90A:ACCUM_OFFSET: 0
; COMPUTE_PGM_RSRC3_GFX90A:TG_SPLIT: 0
	.section	.text._ZN7rocprim17ROCPRIM_400000_NS6detail17trampoline_kernelINS0_14default_configENS1_35radix_sort_onesweep_config_selectorIyyEEZNS1_34radix_sort_onesweep_global_offsetsIS3_Lb0EN6thrust23THRUST_200600_302600_NS6detail15normal_iteratorINS8_10device_ptrIyEEEESD_jNS0_19identity_decomposerEEE10hipError_tT1_T2_PT3_SI_jT4_jjP12ihipStream_tbEUlT_E_NS1_11comp_targetILNS1_3genE4ELNS1_11target_archE910ELNS1_3gpuE8ELNS1_3repE0EEENS1_52radix_sort_onesweep_histogram_config_static_selectorELNS0_4arch9wavefront6targetE1EEEvSG_,"axG",@progbits,_ZN7rocprim17ROCPRIM_400000_NS6detail17trampoline_kernelINS0_14default_configENS1_35radix_sort_onesweep_config_selectorIyyEEZNS1_34radix_sort_onesweep_global_offsetsIS3_Lb0EN6thrust23THRUST_200600_302600_NS6detail15normal_iteratorINS8_10device_ptrIyEEEESD_jNS0_19identity_decomposerEEE10hipError_tT1_T2_PT3_SI_jT4_jjP12ihipStream_tbEUlT_E_NS1_11comp_targetILNS1_3genE4ELNS1_11target_archE910ELNS1_3gpuE8ELNS1_3repE0EEENS1_52radix_sort_onesweep_histogram_config_static_selectorELNS0_4arch9wavefront6targetE1EEEvSG_,comdat
	.protected	_ZN7rocprim17ROCPRIM_400000_NS6detail17trampoline_kernelINS0_14default_configENS1_35radix_sort_onesweep_config_selectorIyyEEZNS1_34radix_sort_onesweep_global_offsetsIS3_Lb0EN6thrust23THRUST_200600_302600_NS6detail15normal_iteratorINS8_10device_ptrIyEEEESD_jNS0_19identity_decomposerEEE10hipError_tT1_T2_PT3_SI_jT4_jjP12ihipStream_tbEUlT_E_NS1_11comp_targetILNS1_3genE4ELNS1_11target_archE910ELNS1_3gpuE8ELNS1_3repE0EEENS1_52radix_sort_onesweep_histogram_config_static_selectorELNS0_4arch9wavefront6targetE1EEEvSG_ ; -- Begin function _ZN7rocprim17ROCPRIM_400000_NS6detail17trampoline_kernelINS0_14default_configENS1_35radix_sort_onesweep_config_selectorIyyEEZNS1_34radix_sort_onesweep_global_offsetsIS3_Lb0EN6thrust23THRUST_200600_302600_NS6detail15normal_iteratorINS8_10device_ptrIyEEEESD_jNS0_19identity_decomposerEEE10hipError_tT1_T2_PT3_SI_jT4_jjP12ihipStream_tbEUlT_E_NS1_11comp_targetILNS1_3genE4ELNS1_11target_archE910ELNS1_3gpuE8ELNS1_3repE0EEENS1_52radix_sort_onesweep_histogram_config_static_selectorELNS0_4arch9wavefront6targetE1EEEvSG_
	.globl	_ZN7rocprim17ROCPRIM_400000_NS6detail17trampoline_kernelINS0_14default_configENS1_35radix_sort_onesweep_config_selectorIyyEEZNS1_34radix_sort_onesweep_global_offsetsIS3_Lb0EN6thrust23THRUST_200600_302600_NS6detail15normal_iteratorINS8_10device_ptrIyEEEESD_jNS0_19identity_decomposerEEE10hipError_tT1_T2_PT3_SI_jT4_jjP12ihipStream_tbEUlT_E_NS1_11comp_targetILNS1_3genE4ELNS1_11target_archE910ELNS1_3gpuE8ELNS1_3repE0EEENS1_52radix_sort_onesweep_histogram_config_static_selectorELNS0_4arch9wavefront6targetE1EEEvSG_
	.p2align	8
	.type	_ZN7rocprim17ROCPRIM_400000_NS6detail17trampoline_kernelINS0_14default_configENS1_35radix_sort_onesweep_config_selectorIyyEEZNS1_34radix_sort_onesweep_global_offsetsIS3_Lb0EN6thrust23THRUST_200600_302600_NS6detail15normal_iteratorINS8_10device_ptrIyEEEESD_jNS0_19identity_decomposerEEE10hipError_tT1_T2_PT3_SI_jT4_jjP12ihipStream_tbEUlT_E_NS1_11comp_targetILNS1_3genE4ELNS1_11target_archE910ELNS1_3gpuE8ELNS1_3repE0EEENS1_52radix_sort_onesweep_histogram_config_static_selectorELNS0_4arch9wavefront6targetE1EEEvSG_,@function
_ZN7rocprim17ROCPRIM_400000_NS6detail17trampoline_kernelINS0_14default_configENS1_35radix_sort_onesweep_config_selectorIyyEEZNS1_34radix_sort_onesweep_global_offsetsIS3_Lb0EN6thrust23THRUST_200600_302600_NS6detail15normal_iteratorINS8_10device_ptrIyEEEESD_jNS0_19identity_decomposerEEE10hipError_tT1_T2_PT3_SI_jT4_jjP12ihipStream_tbEUlT_E_NS1_11comp_targetILNS1_3genE4ELNS1_11target_archE910ELNS1_3gpuE8ELNS1_3repE0EEENS1_52radix_sort_onesweep_histogram_config_static_selectorELNS0_4arch9wavefront6targetE1EEEvSG_: ; @_ZN7rocprim17ROCPRIM_400000_NS6detail17trampoline_kernelINS0_14default_configENS1_35radix_sort_onesweep_config_selectorIyyEEZNS1_34radix_sort_onesweep_global_offsetsIS3_Lb0EN6thrust23THRUST_200600_302600_NS6detail15normal_iteratorINS8_10device_ptrIyEEEESD_jNS0_19identity_decomposerEEE10hipError_tT1_T2_PT3_SI_jT4_jjP12ihipStream_tbEUlT_E_NS1_11comp_targetILNS1_3genE4ELNS1_11target_archE910ELNS1_3gpuE8ELNS1_3repE0EEENS1_52radix_sort_onesweep_histogram_config_static_selectorELNS0_4arch9wavefront6targetE1EEEvSG_
; %bb.0:
	.section	.rodata,"a",@progbits
	.p2align	6, 0x0
	.amdhsa_kernel _ZN7rocprim17ROCPRIM_400000_NS6detail17trampoline_kernelINS0_14default_configENS1_35radix_sort_onesweep_config_selectorIyyEEZNS1_34radix_sort_onesweep_global_offsetsIS3_Lb0EN6thrust23THRUST_200600_302600_NS6detail15normal_iteratorINS8_10device_ptrIyEEEESD_jNS0_19identity_decomposerEEE10hipError_tT1_T2_PT3_SI_jT4_jjP12ihipStream_tbEUlT_E_NS1_11comp_targetILNS1_3genE4ELNS1_11target_archE910ELNS1_3gpuE8ELNS1_3repE0EEENS1_52radix_sort_onesweep_histogram_config_static_selectorELNS0_4arch9wavefront6targetE1EEEvSG_
		.amdhsa_group_segment_fixed_size 0
		.amdhsa_private_segment_fixed_size 0
		.amdhsa_kernarg_size 40
		.amdhsa_user_sgpr_count 2
		.amdhsa_user_sgpr_dispatch_ptr 0
		.amdhsa_user_sgpr_queue_ptr 0
		.amdhsa_user_sgpr_kernarg_segment_ptr 1
		.amdhsa_user_sgpr_dispatch_id 0
		.amdhsa_user_sgpr_kernarg_preload_length 0
		.amdhsa_user_sgpr_kernarg_preload_offset 0
		.amdhsa_user_sgpr_private_segment_size 0
		.amdhsa_uses_dynamic_stack 0
		.amdhsa_enable_private_segment 0
		.amdhsa_system_sgpr_workgroup_id_x 1
		.amdhsa_system_sgpr_workgroup_id_y 0
		.amdhsa_system_sgpr_workgroup_id_z 0
		.amdhsa_system_sgpr_workgroup_info 0
		.amdhsa_system_vgpr_workitem_id 0
		.amdhsa_next_free_vgpr 1
		.amdhsa_next_free_sgpr 0
		.amdhsa_accum_offset 4
		.amdhsa_reserve_vcc 0
		.amdhsa_float_round_mode_32 0
		.amdhsa_float_round_mode_16_64 0
		.amdhsa_float_denorm_mode_32 3
		.amdhsa_float_denorm_mode_16_64 3
		.amdhsa_dx10_clamp 1
		.amdhsa_ieee_mode 1
		.amdhsa_fp16_overflow 0
		.amdhsa_tg_split 0
		.amdhsa_exception_fp_ieee_invalid_op 0
		.amdhsa_exception_fp_denorm_src 0
		.amdhsa_exception_fp_ieee_div_zero 0
		.amdhsa_exception_fp_ieee_overflow 0
		.amdhsa_exception_fp_ieee_underflow 0
		.amdhsa_exception_fp_ieee_inexact 0
		.amdhsa_exception_int_div_zero 0
	.end_amdhsa_kernel
	.section	.text._ZN7rocprim17ROCPRIM_400000_NS6detail17trampoline_kernelINS0_14default_configENS1_35radix_sort_onesweep_config_selectorIyyEEZNS1_34radix_sort_onesweep_global_offsetsIS3_Lb0EN6thrust23THRUST_200600_302600_NS6detail15normal_iteratorINS8_10device_ptrIyEEEESD_jNS0_19identity_decomposerEEE10hipError_tT1_T2_PT3_SI_jT4_jjP12ihipStream_tbEUlT_E_NS1_11comp_targetILNS1_3genE4ELNS1_11target_archE910ELNS1_3gpuE8ELNS1_3repE0EEENS1_52radix_sort_onesweep_histogram_config_static_selectorELNS0_4arch9wavefront6targetE1EEEvSG_,"axG",@progbits,_ZN7rocprim17ROCPRIM_400000_NS6detail17trampoline_kernelINS0_14default_configENS1_35radix_sort_onesweep_config_selectorIyyEEZNS1_34radix_sort_onesweep_global_offsetsIS3_Lb0EN6thrust23THRUST_200600_302600_NS6detail15normal_iteratorINS8_10device_ptrIyEEEESD_jNS0_19identity_decomposerEEE10hipError_tT1_T2_PT3_SI_jT4_jjP12ihipStream_tbEUlT_E_NS1_11comp_targetILNS1_3genE4ELNS1_11target_archE910ELNS1_3gpuE8ELNS1_3repE0EEENS1_52radix_sort_onesweep_histogram_config_static_selectorELNS0_4arch9wavefront6targetE1EEEvSG_,comdat
.Lfunc_end505:
	.size	_ZN7rocprim17ROCPRIM_400000_NS6detail17trampoline_kernelINS0_14default_configENS1_35radix_sort_onesweep_config_selectorIyyEEZNS1_34radix_sort_onesweep_global_offsetsIS3_Lb0EN6thrust23THRUST_200600_302600_NS6detail15normal_iteratorINS8_10device_ptrIyEEEESD_jNS0_19identity_decomposerEEE10hipError_tT1_T2_PT3_SI_jT4_jjP12ihipStream_tbEUlT_E_NS1_11comp_targetILNS1_3genE4ELNS1_11target_archE910ELNS1_3gpuE8ELNS1_3repE0EEENS1_52radix_sort_onesweep_histogram_config_static_selectorELNS0_4arch9wavefront6targetE1EEEvSG_, .Lfunc_end505-_ZN7rocprim17ROCPRIM_400000_NS6detail17trampoline_kernelINS0_14default_configENS1_35radix_sort_onesweep_config_selectorIyyEEZNS1_34radix_sort_onesweep_global_offsetsIS3_Lb0EN6thrust23THRUST_200600_302600_NS6detail15normal_iteratorINS8_10device_ptrIyEEEESD_jNS0_19identity_decomposerEEE10hipError_tT1_T2_PT3_SI_jT4_jjP12ihipStream_tbEUlT_E_NS1_11comp_targetILNS1_3genE4ELNS1_11target_archE910ELNS1_3gpuE8ELNS1_3repE0EEENS1_52radix_sort_onesweep_histogram_config_static_selectorELNS0_4arch9wavefront6targetE1EEEvSG_
                                        ; -- End function
	.set _ZN7rocprim17ROCPRIM_400000_NS6detail17trampoline_kernelINS0_14default_configENS1_35radix_sort_onesweep_config_selectorIyyEEZNS1_34radix_sort_onesweep_global_offsetsIS3_Lb0EN6thrust23THRUST_200600_302600_NS6detail15normal_iteratorINS8_10device_ptrIyEEEESD_jNS0_19identity_decomposerEEE10hipError_tT1_T2_PT3_SI_jT4_jjP12ihipStream_tbEUlT_E_NS1_11comp_targetILNS1_3genE4ELNS1_11target_archE910ELNS1_3gpuE8ELNS1_3repE0EEENS1_52radix_sort_onesweep_histogram_config_static_selectorELNS0_4arch9wavefront6targetE1EEEvSG_.num_vgpr, 0
	.set _ZN7rocprim17ROCPRIM_400000_NS6detail17trampoline_kernelINS0_14default_configENS1_35radix_sort_onesweep_config_selectorIyyEEZNS1_34radix_sort_onesweep_global_offsetsIS3_Lb0EN6thrust23THRUST_200600_302600_NS6detail15normal_iteratorINS8_10device_ptrIyEEEESD_jNS0_19identity_decomposerEEE10hipError_tT1_T2_PT3_SI_jT4_jjP12ihipStream_tbEUlT_E_NS1_11comp_targetILNS1_3genE4ELNS1_11target_archE910ELNS1_3gpuE8ELNS1_3repE0EEENS1_52radix_sort_onesweep_histogram_config_static_selectorELNS0_4arch9wavefront6targetE1EEEvSG_.num_agpr, 0
	.set _ZN7rocprim17ROCPRIM_400000_NS6detail17trampoline_kernelINS0_14default_configENS1_35radix_sort_onesweep_config_selectorIyyEEZNS1_34radix_sort_onesweep_global_offsetsIS3_Lb0EN6thrust23THRUST_200600_302600_NS6detail15normal_iteratorINS8_10device_ptrIyEEEESD_jNS0_19identity_decomposerEEE10hipError_tT1_T2_PT3_SI_jT4_jjP12ihipStream_tbEUlT_E_NS1_11comp_targetILNS1_3genE4ELNS1_11target_archE910ELNS1_3gpuE8ELNS1_3repE0EEENS1_52radix_sort_onesweep_histogram_config_static_selectorELNS0_4arch9wavefront6targetE1EEEvSG_.numbered_sgpr, 0
	.set _ZN7rocprim17ROCPRIM_400000_NS6detail17trampoline_kernelINS0_14default_configENS1_35radix_sort_onesweep_config_selectorIyyEEZNS1_34radix_sort_onesweep_global_offsetsIS3_Lb0EN6thrust23THRUST_200600_302600_NS6detail15normal_iteratorINS8_10device_ptrIyEEEESD_jNS0_19identity_decomposerEEE10hipError_tT1_T2_PT3_SI_jT4_jjP12ihipStream_tbEUlT_E_NS1_11comp_targetILNS1_3genE4ELNS1_11target_archE910ELNS1_3gpuE8ELNS1_3repE0EEENS1_52radix_sort_onesweep_histogram_config_static_selectorELNS0_4arch9wavefront6targetE1EEEvSG_.num_named_barrier, 0
	.set _ZN7rocprim17ROCPRIM_400000_NS6detail17trampoline_kernelINS0_14default_configENS1_35radix_sort_onesweep_config_selectorIyyEEZNS1_34radix_sort_onesweep_global_offsetsIS3_Lb0EN6thrust23THRUST_200600_302600_NS6detail15normal_iteratorINS8_10device_ptrIyEEEESD_jNS0_19identity_decomposerEEE10hipError_tT1_T2_PT3_SI_jT4_jjP12ihipStream_tbEUlT_E_NS1_11comp_targetILNS1_3genE4ELNS1_11target_archE910ELNS1_3gpuE8ELNS1_3repE0EEENS1_52radix_sort_onesweep_histogram_config_static_selectorELNS0_4arch9wavefront6targetE1EEEvSG_.private_seg_size, 0
	.set _ZN7rocprim17ROCPRIM_400000_NS6detail17trampoline_kernelINS0_14default_configENS1_35radix_sort_onesweep_config_selectorIyyEEZNS1_34radix_sort_onesweep_global_offsetsIS3_Lb0EN6thrust23THRUST_200600_302600_NS6detail15normal_iteratorINS8_10device_ptrIyEEEESD_jNS0_19identity_decomposerEEE10hipError_tT1_T2_PT3_SI_jT4_jjP12ihipStream_tbEUlT_E_NS1_11comp_targetILNS1_3genE4ELNS1_11target_archE910ELNS1_3gpuE8ELNS1_3repE0EEENS1_52radix_sort_onesweep_histogram_config_static_selectorELNS0_4arch9wavefront6targetE1EEEvSG_.uses_vcc, 0
	.set _ZN7rocprim17ROCPRIM_400000_NS6detail17trampoline_kernelINS0_14default_configENS1_35radix_sort_onesweep_config_selectorIyyEEZNS1_34radix_sort_onesweep_global_offsetsIS3_Lb0EN6thrust23THRUST_200600_302600_NS6detail15normal_iteratorINS8_10device_ptrIyEEEESD_jNS0_19identity_decomposerEEE10hipError_tT1_T2_PT3_SI_jT4_jjP12ihipStream_tbEUlT_E_NS1_11comp_targetILNS1_3genE4ELNS1_11target_archE910ELNS1_3gpuE8ELNS1_3repE0EEENS1_52radix_sort_onesweep_histogram_config_static_selectorELNS0_4arch9wavefront6targetE1EEEvSG_.uses_flat_scratch, 0
	.set _ZN7rocprim17ROCPRIM_400000_NS6detail17trampoline_kernelINS0_14default_configENS1_35radix_sort_onesweep_config_selectorIyyEEZNS1_34radix_sort_onesweep_global_offsetsIS3_Lb0EN6thrust23THRUST_200600_302600_NS6detail15normal_iteratorINS8_10device_ptrIyEEEESD_jNS0_19identity_decomposerEEE10hipError_tT1_T2_PT3_SI_jT4_jjP12ihipStream_tbEUlT_E_NS1_11comp_targetILNS1_3genE4ELNS1_11target_archE910ELNS1_3gpuE8ELNS1_3repE0EEENS1_52radix_sort_onesweep_histogram_config_static_selectorELNS0_4arch9wavefront6targetE1EEEvSG_.has_dyn_sized_stack, 0
	.set _ZN7rocprim17ROCPRIM_400000_NS6detail17trampoline_kernelINS0_14default_configENS1_35radix_sort_onesweep_config_selectorIyyEEZNS1_34radix_sort_onesweep_global_offsetsIS3_Lb0EN6thrust23THRUST_200600_302600_NS6detail15normal_iteratorINS8_10device_ptrIyEEEESD_jNS0_19identity_decomposerEEE10hipError_tT1_T2_PT3_SI_jT4_jjP12ihipStream_tbEUlT_E_NS1_11comp_targetILNS1_3genE4ELNS1_11target_archE910ELNS1_3gpuE8ELNS1_3repE0EEENS1_52radix_sort_onesweep_histogram_config_static_selectorELNS0_4arch9wavefront6targetE1EEEvSG_.has_recursion, 0
	.set _ZN7rocprim17ROCPRIM_400000_NS6detail17trampoline_kernelINS0_14default_configENS1_35radix_sort_onesweep_config_selectorIyyEEZNS1_34radix_sort_onesweep_global_offsetsIS3_Lb0EN6thrust23THRUST_200600_302600_NS6detail15normal_iteratorINS8_10device_ptrIyEEEESD_jNS0_19identity_decomposerEEE10hipError_tT1_T2_PT3_SI_jT4_jjP12ihipStream_tbEUlT_E_NS1_11comp_targetILNS1_3genE4ELNS1_11target_archE910ELNS1_3gpuE8ELNS1_3repE0EEENS1_52radix_sort_onesweep_histogram_config_static_selectorELNS0_4arch9wavefront6targetE1EEEvSG_.has_indirect_call, 0
	.section	.AMDGPU.csdata,"",@progbits
; Kernel info:
; codeLenInByte = 0
; TotalNumSgprs: 6
; NumVgprs: 0
; NumAgprs: 0
; TotalNumVgprs: 0
; ScratchSize: 0
; MemoryBound: 0
; FloatMode: 240
; IeeeMode: 1
; LDSByteSize: 0 bytes/workgroup (compile time only)
; SGPRBlocks: 0
; VGPRBlocks: 0
; NumSGPRsForWavesPerEU: 6
; NumVGPRsForWavesPerEU: 1
; AccumOffset: 4
; Occupancy: 8
; WaveLimiterHint : 0
; COMPUTE_PGM_RSRC2:SCRATCH_EN: 0
; COMPUTE_PGM_RSRC2:USER_SGPR: 2
; COMPUTE_PGM_RSRC2:TRAP_HANDLER: 0
; COMPUTE_PGM_RSRC2:TGID_X_EN: 1
; COMPUTE_PGM_RSRC2:TGID_Y_EN: 0
; COMPUTE_PGM_RSRC2:TGID_Z_EN: 0
; COMPUTE_PGM_RSRC2:TIDIG_COMP_CNT: 0
; COMPUTE_PGM_RSRC3_GFX90A:ACCUM_OFFSET: 0
; COMPUTE_PGM_RSRC3_GFX90A:TG_SPLIT: 0
	.section	.text._ZN7rocprim17ROCPRIM_400000_NS6detail17trampoline_kernelINS0_14default_configENS1_35radix_sort_onesweep_config_selectorIyyEEZNS1_34radix_sort_onesweep_global_offsetsIS3_Lb0EN6thrust23THRUST_200600_302600_NS6detail15normal_iteratorINS8_10device_ptrIyEEEESD_jNS0_19identity_decomposerEEE10hipError_tT1_T2_PT3_SI_jT4_jjP12ihipStream_tbEUlT_E_NS1_11comp_targetILNS1_3genE3ELNS1_11target_archE908ELNS1_3gpuE7ELNS1_3repE0EEENS1_52radix_sort_onesweep_histogram_config_static_selectorELNS0_4arch9wavefront6targetE1EEEvSG_,"axG",@progbits,_ZN7rocprim17ROCPRIM_400000_NS6detail17trampoline_kernelINS0_14default_configENS1_35radix_sort_onesweep_config_selectorIyyEEZNS1_34radix_sort_onesweep_global_offsetsIS3_Lb0EN6thrust23THRUST_200600_302600_NS6detail15normal_iteratorINS8_10device_ptrIyEEEESD_jNS0_19identity_decomposerEEE10hipError_tT1_T2_PT3_SI_jT4_jjP12ihipStream_tbEUlT_E_NS1_11comp_targetILNS1_3genE3ELNS1_11target_archE908ELNS1_3gpuE7ELNS1_3repE0EEENS1_52radix_sort_onesweep_histogram_config_static_selectorELNS0_4arch9wavefront6targetE1EEEvSG_,comdat
	.protected	_ZN7rocprim17ROCPRIM_400000_NS6detail17trampoline_kernelINS0_14default_configENS1_35radix_sort_onesweep_config_selectorIyyEEZNS1_34radix_sort_onesweep_global_offsetsIS3_Lb0EN6thrust23THRUST_200600_302600_NS6detail15normal_iteratorINS8_10device_ptrIyEEEESD_jNS0_19identity_decomposerEEE10hipError_tT1_T2_PT3_SI_jT4_jjP12ihipStream_tbEUlT_E_NS1_11comp_targetILNS1_3genE3ELNS1_11target_archE908ELNS1_3gpuE7ELNS1_3repE0EEENS1_52radix_sort_onesweep_histogram_config_static_selectorELNS0_4arch9wavefront6targetE1EEEvSG_ ; -- Begin function _ZN7rocprim17ROCPRIM_400000_NS6detail17trampoline_kernelINS0_14default_configENS1_35radix_sort_onesweep_config_selectorIyyEEZNS1_34radix_sort_onesweep_global_offsetsIS3_Lb0EN6thrust23THRUST_200600_302600_NS6detail15normal_iteratorINS8_10device_ptrIyEEEESD_jNS0_19identity_decomposerEEE10hipError_tT1_T2_PT3_SI_jT4_jjP12ihipStream_tbEUlT_E_NS1_11comp_targetILNS1_3genE3ELNS1_11target_archE908ELNS1_3gpuE7ELNS1_3repE0EEENS1_52radix_sort_onesweep_histogram_config_static_selectorELNS0_4arch9wavefront6targetE1EEEvSG_
	.globl	_ZN7rocprim17ROCPRIM_400000_NS6detail17trampoline_kernelINS0_14default_configENS1_35radix_sort_onesweep_config_selectorIyyEEZNS1_34radix_sort_onesweep_global_offsetsIS3_Lb0EN6thrust23THRUST_200600_302600_NS6detail15normal_iteratorINS8_10device_ptrIyEEEESD_jNS0_19identity_decomposerEEE10hipError_tT1_T2_PT3_SI_jT4_jjP12ihipStream_tbEUlT_E_NS1_11comp_targetILNS1_3genE3ELNS1_11target_archE908ELNS1_3gpuE7ELNS1_3repE0EEENS1_52radix_sort_onesweep_histogram_config_static_selectorELNS0_4arch9wavefront6targetE1EEEvSG_
	.p2align	8
	.type	_ZN7rocprim17ROCPRIM_400000_NS6detail17trampoline_kernelINS0_14default_configENS1_35radix_sort_onesweep_config_selectorIyyEEZNS1_34radix_sort_onesweep_global_offsetsIS3_Lb0EN6thrust23THRUST_200600_302600_NS6detail15normal_iteratorINS8_10device_ptrIyEEEESD_jNS0_19identity_decomposerEEE10hipError_tT1_T2_PT3_SI_jT4_jjP12ihipStream_tbEUlT_E_NS1_11comp_targetILNS1_3genE3ELNS1_11target_archE908ELNS1_3gpuE7ELNS1_3repE0EEENS1_52radix_sort_onesweep_histogram_config_static_selectorELNS0_4arch9wavefront6targetE1EEEvSG_,@function
_ZN7rocprim17ROCPRIM_400000_NS6detail17trampoline_kernelINS0_14default_configENS1_35radix_sort_onesweep_config_selectorIyyEEZNS1_34radix_sort_onesweep_global_offsetsIS3_Lb0EN6thrust23THRUST_200600_302600_NS6detail15normal_iteratorINS8_10device_ptrIyEEEESD_jNS0_19identity_decomposerEEE10hipError_tT1_T2_PT3_SI_jT4_jjP12ihipStream_tbEUlT_E_NS1_11comp_targetILNS1_3genE3ELNS1_11target_archE908ELNS1_3gpuE7ELNS1_3repE0EEENS1_52radix_sort_onesweep_histogram_config_static_selectorELNS0_4arch9wavefront6targetE1EEEvSG_: ; @_ZN7rocprim17ROCPRIM_400000_NS6detail17trampoline_kernelINS0_14default_configENS1_35radix_sort_onesweep_config_selectorIyyEEZNS1_34radix_sort_onesweep_global_offsetsIS3_Lb0EN6thrust23THRUST_200600_302600_NS6detail15normal_iteratorINS8_10device_ptrIyEEEESD_jNS0_19identity_decomposerEEE10hipError_tT1_T2_PT3_SI_jT4_jjP12ihipStream_tbEUlT_E_NS1_11comp_targetILNS1_3genE3ELNS1_11target_archE908ELNS1_3gpuE7ELNS1_3repE0EEENS1_52radix_sort_onesweep_histogram_config_static_selectorELNS0_4arch9wavefront6targetE1EEEvSG_
; %bb.0:
	.section	.rodata,"a",@progbits
	.p2align	6, 0x0
	.amdhsa_kernel _ZN7rocprim17ROCPRIM_400000_NS6detail17trampoline_kernelINS0_14default_configENS1_35radix_sort_onesweep_config_selectorIyyEEZNS1_34radix_sort_onesweep_global_offsetsIS3_Lb0EN6thrust23THRUST_200600_302600_NS6detail15normal_iteratorINS8_10device_ptrIyEEEESD_jNS0_19identity_decomposerEEE10hipError_tT1_T2_PT3_SI_jT4_jjP12ihipStream_tbEUlT_E_NS1_11comp_targetILNS1_3genE3ELNS1_11target_archE908ELNS1_3gpuE7ELNS1_3repE0EEENS1_52radix_sort_onesweep_histogram_config_static_selectorELNS0_4arch9wavefront6targetE1EEEvSG_
		.amdhsa_group_segment_fixed_size 0
		.amdhsa_private_segment_fixed_size 0
		.amdhsa_kernarg_size 40
		.amdhsa_user_sgpr_count 2
		.amdhsa_user_sgpr_dispatch_ptr 0
		.amdhsa_user_sgpr_queue_ptr 0
		.amdhsa_user_sgpr_kernarg_segment_ptr 1
		.amdhsa_user_sgpr_dispatch_id 0
		.amdhsa_user_sgpr_kernarg_preload_length 0
		.amdhsa_user_sgpr_kernarg_preload_offset 0
		.amdhsa_user_sgpr_private_segment_size 0
		.amdhsa_uses_dynamic_stack 0
		.amdhsa_enable_private_segment 0
		.amdhsa_system_sgpr_workgroup_id_x 1
		.amdhsa_system_sgpr_workgroup_id_y 0
		.amdhsa_system_sgpr_workgroup_id_z 0
		.amdhsa_system_sgpr_workgroup_info 0
		.amdhsa_system_vgpr_workitem_id 0
		.amdhsa_next_free_vgpr 1
		.amdhsa_next_free_sgpr 0
		.amdhsa_accum_offset 4
		.amdhsa_reserve_vcc 0
		.amdhsa_float_round_mode_32 0
		.amdhsa_float_round_mode_16_64 0
		.amdhsa_float_denorm_mode_32 3
		.amdhsa_float_denorm_mode_16_64 3
		.amdhsa_dx10_clamp 1
		.amdhsa_ieee_mode 1
		.amdhsa_fp16_overflow 0
		.amdhsa_tg_split 0
		.amdhsa_exception_fp_ieee_invalid_op 0
		.amdhsa_exception_fp_denorm_src 0
		.amdhsa_exception_fp_ieee_div_zero 0
		.amdhsa_exception_fp_ieee_overflow 0
		.amdhsa_exception_fp_ieee_underflow 0
		.amdhsa_exception_fp_ieee_inexact 0
		.amdhsa_exception_int_div_zero 0
	.end_amdhsa_kernel
	.section	.text._ZN7rocprim17ROCPRIM_400000_NS6detail17trampoline_kernelINS0_14default_configENS1_35radix_sort_onesweep_config_selectorIyyEEZNS1_34radix_sort_onesweep_global_offsetsIS3_Lb0EN6thrust23THRUST_200600_302600_NS6detail15normal_iteratorINS8_10device_ptrIyEEEESD_jNS0_19identity_decomposerEEE10hipError_tT1_T2_PT3_SI_jT4_jjP12ihipStream_tbEUlT_E_NS1_11comp_targetILNS1_3genE3ELNS1_11target_archE908ELNS1_3gpuE7ELNS1_3repE0EEENS1_52radix_sort_onesweep_histogram_config_static_selectorELNS0_4arch9wavefront6targetE1EEEvSG_,"axG",@progbits,_ZN7rocprim17ROCPRIM_400000_NS6detail17trampoline_kernelINS0_14default_configENS1_35radix_sort_onesweep_config_selectorIyyEEZNS1_34radix_sort_onesweep_global_offsetsIS3_Lb0EN6thrust23THRUST_200600_302600_NS6detail15normal_iteratorINS8_10device_ptrIyEEEESD_jNS0_19identity_decomposerEEE10hipError_tT1_T2_PT3_SI_jT4_jjP12ihipStream_tbEUlT_E_NS1_11comp_targetILNS1_3genE3ELNS1_11target_archE908ELNS1_3gpuE7ELNS1_3repE0EEENS1_52radix_sort_onesweep_histogram_config_static_selectorELNS0_4arch9wavefront6targetE1EEEvSG_,comdat
.Lfunc_end506:
	.size	_ZN7rocprim17ROCPRIM_400000_NS6detail17trampoline_kernelINS0_14default_configENS1_35radix_sort_onesweep_config_selectorIyyEEZNS1_34radix_sort_onesweep_global_offsetsIS3_Lb0EN6thrust23THRUST_200600_302600_NS6detail15normal_iteratorINS8_10device_ptrIyEEEESD_jNS0_19identity_decomposerEEE10hipError_tT1_T2_PT3_SI_jT4_jjP12ihipStream_tbEUlT_E_NS1_11comp_targetILNS1_3genE3ELNS1_11target_archE908ELNS1_3gpuE7ELNS1_3repE0EEENS1_52radix_sort_onesweep_histogram_config_static_selectorELNS0_4arch9wavefront6targetE1EEEvSG_, .Lfunc_end506-_ZN7rocprim17ROCPRIM_400000_NS6detail17trampoline_kernelINS0_14default_configENS1_35radix_sort_onesweep_config_selectorIyyEEZNS1_34radix_sort_onesweep_global_offsetsIS3_Lb0EN6thrust23THRUST_200600_302600_NS6detail15normal_iteratorINS8_10device_ptrIyEEEESD_jNS0_19identity_decomposerEEE10hipError_tT1_T2_PT3_SI_jT4_jjP12ihipStream_tbEUlT_E_NS1_11comp_targetILNS1_3genE3ELNS1_11target_archE908ELNS1_3gpuE7ELNS1_3repE0EEENS1_52radix_sort_onesweep_histogram_config_static_selectorELNS0_4arch9wavefront6targetE1EEEvSG_
                                        ; -- End function
	.set _ZN7rocprim17ROCPRIM_400000_NS6detail17trampoline_kernelINS0_14default_configENS1_35radix_sort_onesweep_config_selectorIyyEEZNS1_34radix_sort_onesweep_global_offsetsIS3_Lb0EN6thrust23THRUST_200600_302600_NS6detail15normal_iteratorINS8_10device_ptrIyEEEESD_jNS0_19identity_decomposerEEE10hipError_tT1_T2_PT3_SI_jT4_jjP12ihipStream_tbEUlT_E_NS1_11comp_targetILNS1_3genE3ELNS1_11target_archE908ELNS1_3gpuE7ELNS1_3repE0EEENS1_52radix_sort_onesweep_histogram_config_static_selectorELNS0_4arch9wavefront6targetE1EEEvSG_.num_vgpr, 0
	.set _ZN7rocprim17ROCPRIM_400000_NS6detail17trampoline_kernelINS0_14default_configENS1_35radix_sort_onesweep_config_selectorIyyEEZNS1_34radix_sort_onesweep_global_offsetsIS3_Lb0EN6thrust23THRUST_200600_302600_NS6detail15normal_iteratorINS8_10device_ptrIyEEEESD_jNS0_19identity_decomposerEEE10hipError_tT1_T2_PT3_SI_jT4_jjP12ihipStream_tbEUlT_E_NS1_11comp_targetILNS1_3genE3ELNS1_11target_archE908ELNS1_3gpuE7ELNS1_3repE0EEENS1_52radix_sort_onesweep_histogram_config_static_selectorELNS0_4arch9wavefront6targetE1EEEvSG_.num_agpr, 0
	.set _ZN7rocprim17ROCPRIM_400000_NS6detail17trampoline_kernelINS0_14default_configENS1_35radix_sort_onesweep_config_selectorIyyEEZNS1_34radix_sort_onesweep_global_offsetsIS3_Lb0EN6thrust23THRUST_200600_302600_NS6detail15normal_iteratorINS8_10device_ptrIyEEEESD_jNS0_19identity_decomposerEEE10hipError_tT1_T2_PT3_SI_jT4_jjP12ihipStream_tbEUlT_E_NS1_11comp_targetILNS1_3genE3ELNS1_11target_archE908ELNS1_3gpuE7ELNS1_3repE0EEENS1_52radix_sort_onesweep_histogram_config_static_selectorELNS0_4arch9wavefront6targetE1EEEvSG_.numbered_sgpr, 0
	.set _ZN7rocprim17ROCPRIM_400000_NS6detail17trampoline_kernelINS0_14default_configENS1_35radix_sort_onesweep_config_selectorIyyEEZNS1_34radix_sort_onesweep_global_offsetsIS3_Lb0EN6thrust23THRUST_200600_302600_NS6detail15normal_iteratorINS8_10device_ptrIyEEEESD_jNS0_19identity_decomposerEEE10hipError_tT1_T2_PT3_SI_jT4_jjP12ihipStream_tbEUlT_E_NS1_11comp_targetILNS1_3genE3ELNS1_11target_archE908ELNS1_3gpuE7ELNS1_3repE0EEENS1_52radix_sort_onesweep_histogram_config_static_selectorELNS0_4arch9wavefront6targetE1EEEvSG_.num_named_barrier, 0
	.set _ZN7rocprim17ROCPRIM_400000_NS6detail17trampoline_kernelINS0_14default_configENS1_35radix_sort_onesweep_config_selectorIyyEEZNS1_34radix_sort_onesweep_global_offsetsIS3_Lb0EN6thrust23THRUST_200600_302600_NS6detail15normal_iteratorINS8_10device_ptrIyEEEESD_jNS0_19identity_decomposerEEE10hipError_tT1_T2_PT3_SI_jT4_jjP12ihipStream_tbEUlT_E_NS1_11comp_targetILNS1_3genE3ELNS1_11target_archE908ELNS1_3gpuE7ELNS1_3repE0EEENS1_52radix_sort_onesweep_histogram_config_static_selectorELNS0_4arch9wavefront6targetE1EEEvSG_.private_seg_size, 0
	.set _ZN7rocprim17ROCPRIM_400000_NS6detail17trampoline_kernelINS0_14default_configENS1_35radix_sort_onesweep_config_selectorIyyEEZNS1_34radix_sort_onesweep_global_offsetsIS3_Lb0EN6thrust23THRUST_200600_302600_NS6detail15normal_iteratorINS8_10device_ptrIyEEEESD_jNS0_19identity_decomposerEEE10hipError_tT1_T2_PT3_SI_jT4_jjP12ihipStream_tbEUlT_E_NS1_11comp_targetILNS1_3genE3ELNS1_11target_archE908ELNS1_3gpuE7ELNS1_3repE0EEENS1_52radix_sort_onesweep_histogram_config_static_selectorELNS0_4arch9wavefront6targetE1EEEvSG_.uses_vcc, 0
	.set _ZN7rocprim17ROCPRIM_400000_NS6detail17trampoline_kernelINS0_14default_configENS1_35radix_sort_onesweep_config_selectorIyyEEZNS1_34radix_sort_onesweep_global_offsetsIS3_Lb0EN6thrust23THRUST_200600_302600_NS6detail15normal_iteratorINS8_10device_ptrIyEEEESD_jNS0_19identity_decomposerEEE10hipError_tT1_T2_PT3_SI_jT4_jjP12ihipStream_tbEUlT_E_NS1_11comp_targetILNS1_3genE3ELNS1_11target_archE908ELNS1_3gpuE7ELNS1_3repE0EEENS1_52radix_sort_onesweep_histogram_config_static_selectorELNS0_4arch9wavefront6targetE1EEEvSG_.uses_flat_scratch, 0
	.set _ZN7rocprim17ROCPRIM_400000_NS6detail17trampoline_kernelINS0_14default_configENS1_35radix_sort_onesweep_config_selectorIyyEEZNS1_34radix_sort_onesweep_global_offsetsIS3_Lb0EN6thrust23THRUST_200600_302600_NS6detail15normal_iteratorINS8_10device_ptrIyEEEESD_jNS0_19identity_decomposerEEE10hipError_tT1_T2_PT3_SI_jT4_jjP12ihipStream_tbEUlT_E_NS1_11comp_targetILNS1_3genE3ELNS1_11target_archE908ELNS1_3gpuE7ELNS1_3repE0EEENS1_52radix_sort_onesweep_histogram_config_static_selectorELNS0_4arch9wavefront6targetE1EEEvSG_.has_dyn_sized_stack, 0
	.set _ZN7rocprim17ROCPRIM_400000_NS6detail17trampoline_kernelINS0_14default_configENS1_35radix_sort_onesweep_config_selectorIyyEEZNS1_34radix_sort_onesweep_global_offsetsIS3_Lb0EN6thrust23THRUST_200600_302600_NS6detail15normal_iteratorINS8_10device_ptrIyEEEESD_jNS0_19identity_decomposerEEE10hipError_tT1_T2_PT3_SI_jT4_jjP12ihipStream_tbEUlT_E_NS1_11comp_targetILNS1_3genE3ELNS1_11target_archE908ELNS1_3gpuE7ELNS1_3repE0EEENS1_52radix_sort_onesweep_histogram_config_static_selectorELNS0_4arch9wavefront6targetE1EEEvSG_.has_recursion, 0
	.set _ZN7rocprim17ROCPRIM_400000_NS6detail17trampoline_kernelINS0_14default_configENS1_35radix_sort_onesweep_config_selectorIyyEEZNS1_34radix_sort_onesweep_global_offsetsIS3_Lb0EN6thrust23THRUST_200600_302600_NS6detail15normal_iteratorINS8_10device_ptrIyEEEESD_jNS0_19identity_decomposerEEE10hipError_tT1_T2_PT3_SI_jT4_jjP12ihipStream_tbEUlT_E_NS1_11comp_targetILNS1_3genE3ELNS1_11target_archE908ELNS1_3gpuE7ELNS1_3repE0EEENS1_52radix_sort_onesweep_histogram_config_static_selectorELNS0_4arch9wavefront6targetE1EEEvSG_.has_indirect_call, 0
	.section	.AMDGPU.csdata,"",@progbits
; Kernel info:
; codeLenInByte = 0
; TotalNumSgprs: 6
; NumVgprs: 0
; NumAgprs: 0
; TotalNumVgprs: 0
; ScratchSize: 0
; MemoryBound: 0
; FloatMode: 240
; IeeeMode: 1
; LDSByteSize: 0 bytes/workgroup (compile time only)
; SGPRBlocks: 0
; VGPRBlocks: 0
; NumSGPRsForWavesPerEU: 6
; NumVGPRsForWavesPerEU: 1
; AccumOffset: 4
; Occupancy: 8
; WaveLimiterHint : 0
; COMPUTE_PGM_RSRC2:SCRATCH_EN: 0
; COMPUTE_PGM_RSRC2:USER_SGPR: 2
; COMPUTE_PGM_RSRC2:TRAP_HANDLER: 0
; COMPUTE_PGM_RSRC2:TGID_X_EN: 1
; COMPUTE_PGM_RSRC2:TGID_Y_EN: 0
; COMPUTE_PGM_RSRC2:TGID_Z_EN: 0
; COMPUTE_PGM_RSRC2:TIDIG_COMP_CNT: 0
; COMPUTE_PGM_RSRC3_GFX90A:ACCUM_OFFSET: 0
; COMPUTE_PGM_RSRC3_GFX90A:TG_SPLIT: 0
	.section	.text._ZN7rocprim17ROCPRIM_400000_NS6detail17trampoline_kernelINS0_14default_configENS1_35radix_sort_onesweep_config_selectorIyyEEZNS1_34radix_sort_onesweep_global_offsetsIS3_Lb0EN6thrust23THRUST_200600_302600_NS6detail15normal_iteratorINS8_10device_ptrIyEEEESD_jNS0_19identity_decomposerEEE10hipError_tT1_T2_PT3_SI_jT4_jjP12ihipStream_tbEUlT_E_NS1_11comp_targetILNS1_3genE10ELNS1_11target_archE1201ELNS1_3gpuE5ELNS1_3repE0EEENS1_52radix_sort_onesweep_histogram_config_static_selectorELNS0_4arch9wavefront6targetE1EEEvSG_,"axG",@progbits,_ZN7rocprim17ROCPRIM_400000_NS6detail17trampoline_kernelINS0_14default_configENS1_35radix_sort_onesweep_config_selectorIyyEEZNS1_34radix_sort_onesweep_global_offsetsIS3_Lb0EN6thrust23THRUST_200600_302600_NS6detail15normal_iteratorINS8_10device_ptrIyEEEESD_jNS0_19identity_decomposerEEE10hipError_tT1_T2_PT3_SI_jT4_jjP12ihipStream_tbEUlT_E_NS1_11comp_targetILNS1_3genE10ELNS1_11target_archE1201ELNS1_3gpuE5ELNS1_3repE0EEENS1_52radix_sort_onesweep_histogram_config_static_selectorELNS0_4arch9wavefront6targetE1EEEvSG_,comdat
	.protected	_ZN7rocprim17ROCPRIM_400000_NS6detail17trampoline_kernelINS0_14default_configENS1_35radix_sort_onesweep_config_selectorIyyEEZNS1_34radix_sort_onesweep_global_offsetsIS3_Lb0EN6thrust23THRUST_200600_302600_NS6detail15normal_iteratorINS8_10device_ptrIyEEEESD_jNS0_19identity_decomposerEEE10hipError_tT1_T2_PT3_SI_jT4_jjP12ihipStream_tbEUlT_E_NS1_11comp_targetILNS1_3genE10ELNS1_11target_archE1201ELNS1_3gpuE5ELNS1_3repE0EEENS1_52radix_sort_onesweep_histogram_config_static_selectorELNS0_4arch9wavefront6targetE1EEEvSG_ ; -- Begin function _ZN7rocprim17ROCPRIM_400000_NS6detail17trampoline_kernelINS0_14default_configENS1_35radix_sort_onesweep_config_selectorIyyEEZNS1_34radix_sort_onesweep_global_offsetsIS3_Lb0EN6thrust23THRUST_200600_302600_NS6detail15normal_iteratorINS8_10device_ptrIyEEEESD_jNS0_19identity_decomposerEEE10hipError_tT1_T2_PT3_SI_jT4_jjP12ihipStream_tbEUlT_E_NS1_11comp_targetILNS1_3genE10ELNS1_11target_archE1201ELNS1_3gpuE5ELNS1_3repE0EEENS1_52radix_sort_onesweep_histogram_config_static_selectorELNS0_4arch9wavefront6targetE1EEEvSG_
	.globl	_ZN7rocprim17ROCPRIM_400000_NS6detail17trampoline_kernelINS0_14default_configENS1_35radix_sort_onesweep_config_selectorIyyEEZNS1_34radix_sort_onesweep_global_offsetsIS3_Lb0EN6thrust23THRUST_200600_302600_NS6detail15normal_iteratorINS8_10device_ptrIyEEEESD_jNS0_19identity_decomposerEEE10hipError_tT1_T2_PT3_SI_jT4_jjP12ihipStream_tbEUlT_E_NS1_11comp_targetILNS1_3genE10ELNS1_11target_archE1201ELNS1_3gpuE5ELNS1_3repE0EEENS1_52radix_sort_onesweep_histogram_config_static_selectorELNS0_4arch9wavefront6targetE1EEEvSG_
	.p2align	8
	.type	_ZN7rocprim17ROCPRIM_400000_NS6detail17trampoline_kernelINS0_14default_configENS1_35radix_sort_onesweep_config_selectorIyyEEZNS1_34radix_sort_onesweep_global_offsetsIS3_Lb0EN6thrust23THRUST_200600_302600_NS6detail15normal_iteratorINS8_10device_ptrIyEEEESD_jNS0_19identity_decomposerEEE10hipError_tT1_T2_PT3_SI_jT4_jjP12ihipStream_tbEUlT_E_NS1_11comp_targetILNS1_3genE10ELNS1_11target_archE1201ELNS1_3gpuE5ELNS1_3repE0EEENS1_52radix_sort_onesweep_histogram_config_static_selectorELNS0_4arch9wavefront6targetE1EEEvSG_,@function
_ZN7rocprim17ROCPRIM_400000_NS6detail17trampoline_kernelINS0_14default_configENS1_35radix_sort_onesweep_config_selectorIyyEEZNS1_34radix_sort_onesweep_global_offsetsIS3_Lb0EN6thrust23THRUST_200600_302600_NS6detail15normal_iteratorINS8_10device_ptrIyEEEESD_jNS0_19identity_decomposerEEE10hipError_tT1_T2_PT3_SI_jT4_jjP12ihipStream_tbEUlT_E_NS1_11comp_targetILNS1_3genE10ELNS1_11target_archE1201ELNS1_3gpuE5ELNS1_3repE0EEENS1_52radix_sort_onesweep_histogram_config_static_selectorELNS0_4arch9wavefront6targetE1EEEvSG_: ; @_ZN7rocprim17ROCPRIM_400000_NS6detail17trampoline_kernelINS0_14default_configENS1_35radix_sort_onesweep_config_selectorIyyEEZNS1_34radix_sort_onesweep_global_offsetsIS3_Lb0EN6thrust23THRUST_200600_302600_NS6detail15normal_iteratorINS8_10device_ptrIyEEEESD_jNS0_19identity_decomposerEEE10hipError_tT1_T2_PT3_SI_jT4_jjP12ihipStream_tbEUlT_E_NS1_11comp_targetILNS1_3genE10ELNS1_11target_archE1201ELNS1_3gpuE5ELNS1_3repE0EEENS1_52radix_sort_onesweep_histogram_config_static_selectorELNS0_4arch9wavefront6targetE1EEEvSG_
; %bb.0:
	.section	.rodata,"a",@progbits
	.p2align	6, 0x0
	.amdhsa_kernel _ZN7rocprim17ROCPRIM_400000_NS6detail17trampoline_kernelINS0_14default_configENS1_35radix_sort_onesweep_config_selectorIyyEEZNS1_34radix_sort_onesweep_global_offsetsIS3_Lb0EN6thrust23THRUST_200600_302600_NS6detail15normal_iteratorINS8_10device_ptrIyEEEESD_jNS0_19identity_decomposerEEE10hipError_tT1_T2_PT3_SI_jT4_jjP12ihipStream_tbEUlT_E_NS1_11comp_targetILNS1_3genE10ELNS1_11target_archE1201ELNS1_3gpuE5ELNS1_3repE0EEENS1_52radix_sort_onesweep_histogram_config_static_selectorELNS0_4arch9wavefront6targetE1EEEvSG_
		.amdhsa_group_segment_fixed_size 0
		.amdhsa_private_segment_fixed_size 0
		.amdhsa_kernarg_size 40
		.amdhsa_user_sgpr_count 2
		.amdhsa_user_sgpr_dispatch_ptr 0
		.amdhsa_user_sgpr_queue_ptr 0
		.amdhsa_user_sgpr_kernarg_segment_ptr 1
		.amdhsa_user_sgpr_dispatch_id 0
		.amdhsa_user_sgpr_kernarg_preload_length 0
		.amdhsa_user_sgpr_kernarg_preload_offset 0
		.amdhsa_user_sgpr_private_segment_size 0
		.amdhsa_uses_dynamic_stack 0
		.amdhsa_enable_private_segment 0
		.amdhsa_system_sgpr_workgroup_id_x 1
		.amdhsa_system_sgpr_workgroup_id_y 0
		.amdhsa_system_sgpr_workgroup_id_z 0
		.amdhsa_system_sgpr_workgroup_info 0
		.amdhsa_system_vgpr_workitem_id 0
		.amdhsa_next_free_vgpr 1
		.amdhsa_next_free_sgpr 0
		.amdhsa_accum_offset 4
		.amdhsa_reserve_vcc 0
		.amdhsa_float_round_mode_32 0
		.amdhsa_float_round_mode_16_64 0
		.amdhsa_float_denorm_mode_32 3
		.amdhsa_float_denorm_mode_16_64 3
		.amdhsa_dx10_clamp 1
		.amdhsa_ieee_mode 1
		.amdhsa_fp16_overflow 0
		.amdhsa_tg_split 0
		.amdhsa_exception_fp_ieee_invalid_op 0
		.amdhsa_exception_fp_denorm_src 0
		.amdhsa_exception_fp_ieee_div_zero 0
		.amdhsa_exception_fp_ieee_overflow 0
		.amdhsa_exception_fp_ieee_underflow 0
		.amdhsa_exception_fp_ieee_inexact 0
		.amdhsa_exception_int_div_zero 0
	.end_amdhsa_kernel
	.section	.text._ZN7rocprim17ROCPRIM_400000_NS6detail17trampoline_kernelINS0_14default_configENS1_35radix_sort_onesweep_config_selectorIyyEEZNS1_34radix_sort_onesweep_global_offsetsIS3_Lb0EN6thrust23THRUST_200600_302600_NS6detail15normal_iteratorINS8_10device_ptrIyEEEESD_jNS0_19identity_decomposerEEE10hipError_tT1_T2_PT3_SI_jT4_jjP12ihipStream_tbEUlT_E_NS1_11comp_targetILNS1_3genE10ELNS1_11target_archE1201ELNS1_3gpuE5ELNS1_3repE0EEENS1_52radix_sort_onesweep_histogram_config_static_selectorELNS0_4arch9wavefront6targetE1EEEvSG_,"axG",@progbits,_ZN7rocprim17ROCPRIM_400000_NS6detail17trampoline_kernelINS0_14default_configENS1_35radix_sort_onesweep_config_selectorIyyEEZNS1_34radix_sort_onesweep_global_offsetsIS3_Lb0EN6thrust23THRUST_200600_302600_NS6detail15normal_iteratorINS8_10device_ptrIyEEEESD_jNS0_19identity_decomposerEEE10hipError_tT1_T2_PT3_SI_jT4_jjP12ihipStream_tbEUlT_E_NS1_11comp_targetILNS1_3genE10ELNS1_11target_archE1201ELNS1_3gpuE5ELNS1_3repE0EEENS1_52radix_sort_onesweep_histogram_config_static_selectorELNS0_4arch9wavefront6targetE1EEEvSG_,comdat
.Lfunc_end507:
	.size	_ZN7rocprim17ROCPRIM_400000_NS6detail17trampoline_kernelINS0_14default_configENS1_35radix_sort_onesweep_config_selectorIyyEEZNS1_34radix_sort_onesweep_global_offsetsIS3_Lb0EN6thrust23THRUST_200600_302600_NS6detail15normal_iteratorINS8_10device_ptrIyEEEESD_jNS0_19identity_decomposerEEE10hipError_tT1_T2_PT3_SI_jT4_jjP12ihipStream_tbEUlT_E_NS1_11comp_targetILNS1_3genE10ELNS1_11target_archE1201ELNS1_3gpuE5ELNS1_3repE0EEENS1_52radix_sort_onesweep_histogram_config_static_selectorELNS0_4arch9wavefront6targetE1EEEvSG_, .Lfunc_end507-_ZN7rocprim17ROCPRIM_400000_NS6detail17trampoline_kernelINS0_14default_configENS1_35radix_sort_onesweep_config_selectorIyyEEZNS1_34radix_sort_onesweep_global_offsetsIS3_Lb0EN6thrust23THRUST_200600_302600_NS6detail15normal_iteratorINS8_10device_ptrIyEEEESD_jNS0_19identity_decomposerEEE10hipError_tT1_T2_PT3_SI_jT4_jjP12ihipStream_tbEUlT_E_NS1_11comp_targetILNS1_3genE10ELNS1_11target_archE1201ELNS1_3gpuE5ELNS1_3repE0EEENS1_52radix_sort_onesweep_histogram_config_static_selectorELNS0_4arch9wavefront6targetE1EEEvSG_
                                        ; -- End function
	.set _ZN7rocprim17ROCPRIM_400000_NS6detail17trampoline_kernelINS0_14default_configENS1_35radix_sort_onesweep_config_selectorIyyEEZNS1_34radix_sort_onesweep_global_offsetsIS3_Lb0EN6thrust23THRUST_200600_302600_NS6detail15normal_iteratorINS8_10device_ptrIyEEEESD_jNS0_19identity_decomposerEEE10hipError_tT1_T2_PT3_SI_jT4_jjP12ihipStream_tbEUlT_E_NS1_11comp_targetILNS1_3genE10ELNS1_11target_archE1201ELNS1_3gpuE5ELNS1_3repE0EEENS1_52radix_sort_onesweep_histogram_config_static_selectorELNS0_4arch9wavefront6targetE1EEEvSG_.num_vgpr, 0
	.set _ZN7rocprim17ROCPRIM_400000_NS6detail17trampoline_kernelINS0_14default_configENS1_35radix_sort_onesweep_config_selectorIyyEEZNS1_34radix_sort_onesweep_global_offsetsIS3_Lb0EN6thrust23THRUST_200600_302600_NS6detail15normal_iteratorINS8_10device_ptrIyEEEESD_jNS0_19identity_decomposerEEE10hipError_tT1_T2_PT3_SI_jT4_jjP12ihipStream_tbEUlT_E_NS1_11comp_targetILNS1_3genE10ELNS1_11target_archE1201ELNS1_3gpuE5ELNS1_3repE0EEENS1_52radix_sort_onesweep_histogram_config_static_selectorELNS0_4arch9wavefront6targetE1EEEvSG_.num_agpr, 0
	.set _ZN7rocprim17ROCPRIM_400000_NS6detail17trampoline_kernelINS0_14default_configENS1_35radix_sort_onesweep_config_selectorIyyEEZNS1_34radix_sort_onesweep_global_offsetsIS3_Lb0EN6thrust23THRUST_200600_302600_NS6detail15normal_iteratorINS8_10device_ptrIyEEEESD_jNS0_19identity_decomposerEEE10hipError_tT1_T2_PT3_SI_jT4_jjP12ihipStream_tbEUlT_E_NS1_11comp_targetILNS1_3genE10ELNS1_11target_archE1201ELNS1_3gpuE5ELNS1_3repE0EEENS1_52radix_sort_onesweep_histogram_config_static_selectorELNS0_4arch9wavefront6targetE1EEEvSG_.numbered_sgpr, 0
	.set _ZN7rocprim17ROCPRIM_400000_NS6detail17trampoline_kernelINS0_14default_configENS1_35radix_sort_onesweep_config_selectorIyyEEZNS1_34radix_sort_onesweep_global_offsetsIS3_Lb0EN6thrust23THRUST_200600_302600_NS6detail15normal_iteratorINS8_10device_ptrIyEEEESD_jNS0_19identity_decomposerEEE10hipError_tT1_T2_PT3_SI_jT4_jjP12ihipStream_tbEUlT_E_NS1_11comp_targetILNS1_3genE10ELNS1_11target_archE1201ELNS1_3gpuE5ELNS1_3repE0EEENS1_52radix_sort_onesweep_histogram_config_static_selectorELNS0_4arch9wavefront6targetE1EEEvSG_.num_named_barrier, 0
	.set _ZN7rocprim17ROCPRIM_400000_NS6detail17trampoline_kernelINS0_14default_configENS1_35radix_sort_onesweep_config_selectorIyyEEZNS1_34radix_sort_onesweep_global_offsetsIS3_Lb0EN6thrust23THRUST_200600_302600_NS6detail15normal_iteratorINS8_10device_ptrIyEEEESD_jNS0_19identity_decomposerEEE10hipError_tT1_T2_PT3_SI_jT4_jjP12ihipStream_tbEUlT_E_NS1_11comp_targetILNS1_3genE10ELNS1_11target_archE1201ELNS1_3gpuE5ELNS1_3repE0EEENS1_52radix_sort_onesweep_histogram_config_static_selectorELNS0_4arch9wavefront6targetE1EEEvSG_.private_seg_size, 0
	.set _ZN7rocprim17ROCPRIM_400000_NS6detail17trampoline_kernelINS0_14default_configENS1_35radix_sort_onesweep_config_selectorIyyEEZNS1_34radix_sort_onesweep_global_offsetsIS3_Lb0EN6thrust23THRUST_200600_302600_NS6detail15normal_iteratorINS8_10device_ptrIyEEEESD_jNS0_19identity_decomposerEEE10hipError_tT1_T2_PT3_SI_jT4_jjP12ihipStream_tbEUlT_E_NS1_11comp_targetILNS1_3genE10ELNS1_11target_archE1201ELNS1_3gpuE5ELNS1_3repE0EEENS1_52radix_sort_onesweep_histogram_config_static_selectorELNS0_4arch9wavefront6targetE1EEEvSG_.uses_vcc, 0
	.set _ZN7rocprim17ROCPRIM_400000_NS6detail17trampoline_kernelINS0_14default_configENS1_35radix_sort_onesweep_config_selectorIyyEEZNS1_34radix_sort_onesweep_global_offsetsIS3_Lb0EN6thrust23THRUST_200600_302600_NS6detail15normal_iteratorINS8_10device_ptrIyEEEESD_jNS0_19identity_decomposerEEE10hipError_tT1_T2_PT3_SI_jT4_jjP12ihipStream_tbEUlT_E_NS1_11comp_targetILNS1_3genE10ELNS1_11target_archE1201ELNS1_3gpuE5ELNS1_3repE0EEENS1_52radix_sort_onesweep_histogram_config_static_selectorELNS0_4arch9wavefront6targetE1EEEvSG_.uses_flat_scratch, 0
	.set _ZN7rocprim17ROCPRIM_400000_NS6detail17trampoline_kernelINS0_14default_configENS1_35radix_sort_onesweep_config_selectorIyyEEZNS1_34radix_sort_onesweep_global_offsetsIS3_Lb0EN6thrust23THRUST_200600_302600_NS6detail15normal_iteratorINS8_10device_ptrIyEEEESD_jNS0_19identity_decomposerEEE10hipError_tT1_T2_PT3_SI_jT4_jjP12ihipStream_tbEUlT_E_NS1_11comp_targetILNS1_3genE10ELNS1_11target_archE1201ELNS1_3gpuE5ELNS1_3repE0EEENS1_52radix_sort_onesweep_histogram_config_static_selectorELNS0_4arch9wavefront6targetE1EEEvSG_.has_dyn_sized_stack, 0
	.set _ZN7rocprim17ROCPRIM_400000_NS6detail17trampoline_kernelINS0_14default_configENS1_35radix_sort_onesweep_config_selectorIyyEEZNS1_34radix_sort_onesweep_global_offsetsIS3_Lb0EN6thrust23THRUST_200600_302600_NS6detail15normal_iteratorINS8_10device_ptrIyEEEESD_jNS0_19identity_decomposerEEE10hipError_tT1_T2_PT3_SI_jT4_jjP12ihipStream_tbEUlT_E_NS1_11comp_targetILNS1_3genE10ELNS1_11target_archE1201ELNS1_3gpuE5ELNS1_3repE0EEENS1_52radix_sort_onesweep_histogram_config_static_selectorELNS0_4arch9wavefront6targetE1EEEvSG_.has_recursion, 0
	.set _ZN7rocprim17ROCPRIM_400000_NS6detail17trampoline_kernelINS0_14default_configENS1_35radix_sort_onesweep_config_selectorIyyEEZNS1_34radix_sort_onesweep_global_offsetsIS3_Lb0EN6thrust23THRUST_200600_302600_NS6detail15normal_iteratorINS8_10device_ptrIyEEEESD_jNS0_19identity_decomposerEEE10hipError_tT1_T2_PT3_SI_jT4_jjP12ihipStream_tbEUlT_E_NS1_11comp_targetILNS1_3genE10ELNS1_11target_archE1201ELNS1_3gpuE5ELNS1_3repE0EEENS1_52radix_sort_onesweep_histogram_config_static_selectorELNS0_4arch9wavefront6targetE1EEEvSG_.has_indirect_call, 0
	.section	.AMDGPU.csdata,"",@progbits
; Kernel info:
; codeLenInByte = 0
; TotalNumSgprs: 6
; NumVgprs: 0
; NumAgprs: 0
; TotalNumVgprs: 0
; ScratchSize: 0
; MemoryBound: 0
; FloatMode: 240
; IeeeMode: 1
; LDSByteSize: 0 bytes/workgroup (compile time only)
; SGPRBlocks: 0
; VGPRBlocks: 0
; NumSGPRsForWavesPerEU: 6
; NumVGPRsForWavesPerEU: 1
; AccumOffset: 4
; Occupancy: 8
; WaveLimiterHint : 0
; COMPUTE_PGM_RSRC2:SCRATCH_EN: 0
; COMPUTE_PGM_RSRC2:USER_SGPR: 2
; COMPUTE_PGM_RSRC2:TRAP_HANDLER: 0
; COMPUTE_PGM_RSRC2:TGID_X_EN: 1
; COMPUTE_PGM_RSRC2:TGID_Y_EN: 0
; COMPUTE_PGM_RSRC2:TGID_Z_EN: 0
; COMPUTE_PGM_RSRC2:TIDIG_COMP_CNT: 0
; COMPUTE_PGM_RSRC3_GFX90A:ACCUM_OFFSET: 0
; COMPUTE_PGM_RSRC3_GFX90A:TG_SPLIT: 0
	.section	.text._ZN7rocprim17ROCPRIM_400000_NS6detail17trampoline_kernelINS0_14default_configENS1_35radix_sort_onesweep_config_selectorIyyEEZNS1_34radix_sort_onesweep_global_offsetsIS3_Lb0EN6thrust23THRUST_200600_302600_NS6detail15normal_iteratorINS8_10device_ptrIyEEEESD_jNS0_19identity_decomposerEEE10hipError_tT1_T2_PT3_SI_jT4_jjP12ihipStream_tbEUlT_E_NS1_11comp_targetILNS1_3genE9ELNS1_11target_archE1100ELNS1_3gpuE3ELNS1_3repE0EEENS1_52radix_sort_onesweep_histogram_config_static_selectorELNS0_4arch9wavefront6targetE1EEEvSG_,"axG",@progbits,_ZN7rocprim17ROCPRIM_400000_NS6detail17trampoline_kernelINS0_14default_configENS1_35radix_sort_onesweep_config_selectorIyyEEZNS1_34radix_sort_onesweep_global_offsetsIS3_Lb0EN6thrust23THRUST_200600_302600_NS6detail15normal_iteratorINS8_10device_ptrIyEEEESD_jNS0_19identity_decomposerEEE10hipError_tT1_T2_PT3_SI_jT4_jjP12ihipStream_tbEUlT_E_NS1_11comp_targetILNS1_3genE9ELNS1_11target_archE1100ELNS1_3gpuE3ELNS1_3repE0EEENS1_52radix_sort_onesweep_histogram_config_static_selectorELNS0_4arch9wavefront6targetE1EEEvSG_,comdat
	.protected	_ZN7rocprim17ROCPRIM_400000_NS6detail17trampoline_kernelINS0_14default_configENS1_35radix_sort_onesweep_config_selectorIyyEEZNS1_34radix_sort_onesweep_global_offsetsIS3_Lb0EN6thrust23THRUST_200600_302600_NS6detail15normal_iteratorINS8_10device_ptrIyEEEESD_jNS0_19identity_decomposerEEE10hipError_tT1_T2_PT3_SI_jT4_jjP12ihipStream_tbEUlT_E_NS1_11comp_targetILNS1_3genE9ELNS1_11target_archE1100ELNS1_3gpuE3ELNS1_3repE0EEENS1_52radix_sort_onesweep_histogram_config_static_selectorELNS0_4arch9wavefront6targetE1EEEvSG_ ; -- Begin function _ZN7rocprim17ROCPRIM_400000_NS6detail17trampoline_kernelINS0_14default_configENS1_35radix_sort_onesweep_config_selectorIyyEEZNS1_34radix_sort_onesweep_global_offsetsIS3_Lb0EN6thrust23THRUST_200600_302600_NS6detail15normal_iteratorINS8_10device_ptrIyEEEESD_jNS0_19identity_decomposerEEE10hipError_tT1_T2_PT3_SI_jT4_jjP12ihipStream_tbEUlT_E_NS1_11comp_targetILNS1_3genE9ELNS1_11target_archE1100ELNS1_3gpuE3ELNS1_3repE0EEENS1_52radix_sort_onesweep_histogram_config_static_selectorELNS0_4arch9wavefront6targetE1EEEvSG_
	.globl	_ZN7rocprim17ROCPRIM_400000_NS6detail17trampoline_kernelINS0_14default_configENS1_35radix_sort_onesweep_config_selectorIyyEEZNS1_34radix_sort_onesweep_global_offsetsIS3_Lb0EN6thrust23THRUST_200600_302600_NS6detail15normal_iteratorINS8_10device_ptrIyEEEESD_jNS0_19identity_decomposerEEE10hipError_tT1_T2_PT3_SI_jT4_jjP12ihipStream_tbEUlT_E_NS1_11comp_targetILNS1_3genE9ELNS1_11target_archE1100ELNS1_3gpuE3ELNS1_3repE0EEENS1_52radix_sort_onesweep_histogram_config_static_selectorELNS0_4arch9wavefront6targetE1EEEvSG_
	.p2align	8
	.type	_ZN7rocprim17ROCPRIM_400000_NS6detail17trampoline_kernelINS0_14default_configENS1_35radix_sort_onesweep_config_selectorIyyEEZNS1_34radix_sort_onesweep_global_offsetsIS3_Lb0EN6thrust23THRUST_200600_302600_NS6detail15normal_iteratorINS8_10device_ptrIyEEEESD_jNS0_19identity_decomposerEEE10hipError_tT1_T2_PT3_SI_jT4_jjP12ihipStream_tbEUlT_E_NS1_11comp_targetILNS1_3genE9ELNS1_11target_archE1100ELNS1_3gpuE3ELNS1_3repE0EEENS1_52radix_sort_onesweep_histogram_config_static_selectorELNS0_4arch9wavefront6targetE1EEEvSG_,@function
_ZN7rocprim17ROCPRIM_400000_NS6detail17trampoline_kernelINS0_14default_configENS1_35radix_sort_onesweep_config_selectorIyyEEZNS1_34radix_sort_onesweep_global_offsetsIS3_Lb0EN6thrust23THRUST_200600_302600_NS6detail15normal_iteratorINS8_10device_ptrIyEEEESD_jNS0_19identity_decomposerEEE10hipError_tT1_T2_PT3_SI_jT4_jjP12ihipStream_tbEUlT_E_NS1_11comp_targetILNS1_3genE9ELNS1_11target_archE1100ELNS1_3gpuE3ELNS1_3repE0EEENS1_52radix_sort_onesweep_histogram_config_static_selectorELNS0_4arch9wavefront6targetE1EEEvSG_: ; @_ZN7rocprim17ROCPRIM_400000_NS6detail17trampoline_kernelINS0_14default_configENS1_35radix_sort_onesweep_config_selectorIyyEEZNS1_34radix_sort_onesweep_global_offsetsIS3_Lb0EN6thrust23THRUST_200600_302600_NS6detail15normal_iteratorINS8_10device_ptrIyEEEESD_jNS0_19identity_decomposerEEE10hipError_tT1_T2_PT3_SI_jT4_jjP12ihipStream_tbEUlT_E_NS1_11comp_targetILNS1_3genE9ELNS1_11target_archE1100ELNS1_3gpuE3ELNS1_3repE0EEENS1_52radix_sort_onesweep_histogram_config_static_selectorELNS0_4arch9wavefront6targetE1EEEvSG_
; %bb.0:
	.section	.rodata,"a",@progbits
	.p2align	6, 0x0
	.amdhsa_kernel _ZN7rocprim17ROCPRIM_400000_NS6detail17trampoline_kernelINS0_14default_configENS1_35radix_sort_onesweep_config_selectorIyyEEZNS1_34radix_sort_onesweep_global_offsetsIS3_Lb0EN6thrust23THRUST_200600_302600_NS6detail15normal_iteratorINS8_10device_ptrIyEEEESD_jNS0_19identity_decomposerEEE10hipError_tT1_T2_PT3_SI_jT4_jjP12ihipStream_tbEUlT_E_NS1_11comp_targetILNS1_3genE9ELNS1_11target_archE1100ELNS1_3gpuE3ELNS1_3repE0EEENS1_52radix_sort_onesweep_histogram_config_static_selectorELNS0_4arch9wavefront6targetE1EEEvSG_
		.amdhsa_group_segment_fixed_size 0
		.amdhsa_private_segment_fixed_size 0
		.amdhsa_kernarg_size 40
		.amdhsa_user_sgpr_count 2
		.amdhsa_user_sgpr_dispatch_ptr 0
		.amdhsa_user_sgpr_queue_ptr 0
		.amdhsa_user_sgpr_kernarg_segment_ptr 1
		.amdhsa_user_sgpr_dispatch_id 0
		.amdhsa_user_sgpr_kernarg_preload_length 0
		.amdhsa_user_sgpr_kernarg_preload_offset 0
		.amdhsa_user_sgpr_private_segment_size 0
		.amdhsa_uses_dynamic_stack 0
		.amdhsa_enable_private_segment 0
		.amdhsa_system_sgpr_workgroup_id_x 1
		.amdhsa_system_sgpr_workgroup_id_y 0
		.amdhsa_system_sgpr_workgroup_id_z 0
		.amdhsa_system_sgpr_workgroup_info 0
		.amdhsa_system_vgpr_workitem_id 0
		.amdhsa_next_free_vgpr 1
		.amdhsa_next_free_sgpr 0
		.amdhsa_accum_offset 4
		.amdhsa_reserve_vcc 0
		.amdhsa_float_round_mode_32 0
		.amdhsa_float_round_mode_16_64 0
		.amdhsa_float_denorm_mode_32 3
		.amdhsa_float_denorm_mode_16_64 3
		.amdhsa_dx10_clamp 1
		.amdhsa_ieee_mode 1
		.amdhsa_fp16_overflow 0
		.amdhsa_tg_split 0
		.amdhsa_exception_fp_ieee_invalid_op 0
		.amdhsa_exception_fp_denorm_src 0
		.amdhsa_exception_fp_ieee_div_zero 0
		.amdhsa_exception_fp_ieee_overflow 0
		.amdhsa_exception_fp_ieee_underflow 0
		.amdhsa_exception_fp_ieee_inexact 0
		.amdhsa_exception_int_div_zero 0
	.end_amdhsa_kernel
	.section	.text._ZN7rocprim17ROCPRIM_400000_NS6detail17trampoline_kernelINS0_14default_configENS1_35radix_sort_onesweep_config_selectorIyyEEZNS1_34radix_sort_onesweep_global_offsetsIS3_Lb0EN6thrust23THRUST_200600_302600_NS6detail15normal_iteratorINS8_10device_ptrIyEEEESD_jNS0_19identity_decomposerEEE10hipError_tT1_T2_PT3_SI_jT4_jjP12ihipStream_tbEUlT_E_NS1_11comp_targetILNS1_3genE9ELNS1_11target_archE1100ELNS1_3gpuE3ELNS1_3repE0EEENS1_52radix_sort_onesweep_histogram_config_static_selectorELNS0_4arch9wavefront6targetE1EEEvSG_,"axG",@progbits,_ZN7rocprim17ROCPRIM_400000_NS6detail17trampoline_kernelINS0_14default_configENS1_35radix_sort_onesweep_config_selectorIyyEEZNS1_34radix_sort_onesweep_global_offsetsIS3_Lb0EN6thrust23THRUST_200600_302600_NS6detail15normal_iteratorINS8_10device_ptrIyEEEESD_jNS0_19identity_decomposerEEE10hipError_tT1_T2_PT3_SI_jT4_jjP12ihipStream_tbEUlT_E_NS1_11comp_targetILNS1_3genE9ELNS1_11target_archE1100ELNS1_3gpuE3ELNS1_3repE0EEENS1_52radix_sort_onesweep_histogram_config_static_selectorELNS0_4arch9wavefront6targetE1EEEvSG_,comdat
.Lfunc_end508:
	.size	_ZN7rocprim17ROCPRIM_400000_NS6detail17trampoline_kernelINS0_14default_configENS1_35radix_sort_onesweep_config_selectorIyyEEZNS1_34radix_sort_onesweep_global_offsetsIS3_Lb0EN6thrust23THRUST_200600_302600_NS6detail15normal_iteratorINS8_10device_ptrIyEEEESD_jNS0_19identity_decomposerEEE10hipError_tT1_T2_PT3_SI_jT4_jjP12ihipStream_tbEUlT_E_NS1_11comp_targetILNS1_3genE9ELNS1_11target_archE1100ELNS1_3gpuE3ELNS1_3repE0EEENS1_52radix_sort_onesweep_histogram_config_static_selectorELNS0_4arch9wavefront6targetE1EEEvSG_, .Lfunc_end508-_ZN7rocprim17ROCPRIM_400000_NS6detail17trampoline_kernelINS0_14default_configENS1_35radix_sort_onesweep_config_selectorIyyEEZNS1_34radix_sort_onesweep_global_offsetsIS3_Lb0EN6thrust23THRUST_200600_302600_NS6detail15normal_iteratorINS8_10device_ptrIyEEEESD_jNS0_19identity_decomposerEEE10hipError_tT1_T2_PT3_SI_jT4_jjP12ihipStream_tbEUlT_E_NS1_11comp_targetILNS1_3genE9ELNS1_11target_archE1100ELNS1_3gpuE3ELNS1_3repE0EEENS1_52radix_sort_onesweep_histogram_config_static_selectorELNS0_4arch9wavefront6targetE1EEEvSG_
                                        ; -- End function
	.set _ZN7rocprim17ROCPRIM_400000_NS6detail17trampoline_kernelINS0_14default_configENS1_35radix_sort_onesweep_config_selectorIyyEEZNS1_34radix_sort_onesweep_global_offsetsIS3_Lb0EN6thrust23THRUST_200600_302600_NS6detail15normal_iteratorINS8_10device_ptrIyEEEESD_jNS0_19identity_decomposerEEE10hipError_tT1_T2_PT3_SI_jT4_jjP12ihipStream_tbEUlT_E_NS1_11comp_targetILNS1_3genE9ELNS1_11target_archE1100ELNS1_3gpuE3ELNS1_3repE0EEENS1_52radix_sort_onesweep_histogram_config_static_selectorELNS0_4arch9wavefront6targetE1EEEvSG_.num_vgpr, 0
	.set _ZN7rocprim17ROCPRIM_400000_NS6detail17trampoline_kernelINS0_14default_configENS1_35radix_sort_onesweep_config_selectorIyyEEZNS1_34radix_sort_onesweep_global_offsetsIS3_Lb0EN6thrust23THRUST_200600_302600_NS6detail15normal_iteratorINS8_10device_ptrIyEEEESD_jNS0_19identity_decomposerEEE10hipError_tT1_T2_PT3_SI_jT4_jjP12ihipStream_tbEUlT_E_NS1_11comp_targetILNS1_3genE9ELNS1_11target_archE1100ELNS1_3gpuE3ELNS1_3repE0EEENS1_52radix_sort_onesweep_histogram_config_static_selectorELNS0_4arch9wavefront6targetE1EEEvSG_.num_agpr, 0
	.set _ZN7rocprim17ROCPRIM_400000_NS6detail17trampoline_kernelINS0_14default_configENS1_35radix_sort_onesweep_config_selectorIyyEEZNS1_34radix_sort_onesweep_global_offsetsIS3_Lb0EN6thrust23THRUST_200600_302600_NS6detail15normal_iteratorINS8_10device_ptrIyEEEESD_jNS0_19identity_decomposerEEE10hipError_tT1_T2_PT3_SI_jT4_jjP12ihipStream_tbEUlT_E_NS1_11comp_targetILNS1_3genE9ELNS1_11target_archE1100ELNS1_3gpuE3ELNS1_3repE0EEENS1_52radix_sort_onesweep_histogram_config_static_selectorELNS0_4arch9wavefront6targetE1EEEvSG_.numbered_sgpr, 0
	.set _ZN7rocprim17ROCPRIM_400000_NS6detail17trampoline_kernelINS0_14default_configENS1_35radix_sort_onesweep_config_selectorIyyEEZNS1_34radix_sort_onesweep_global_offsetsIS3_Lb0EN6thrust23THRUST_200600_302600_NS6detail15normal_iteratorINS8_10device_ptrIyEEEESD_jNS0_19identity_decomposerEEE10hipError_tT1_T2_PT3_SI_jT4_jjP12ihipStream_tbEUlT_E_NS1_11comp_targetILNS1_3genE9ELNS1_11target_archE1100ELNS1_3gpuE3ELNS1_3repE0EEENS1_52radix_sort_onesweep_histogram_config_static_selectorELNS0_4arch9wavefront6targetE1EEEvSG_.num_named_barrier, 0
	.set _ZN7rocprim17ROCPRIM_400000_NS6detail17trampoline_kernelINS0_14default_configENS1_35radix_sort_onesweep_config_selectorIyyEEZNS1_34radix_sort_onesweep_global_offsetsIS3_Lb0EN6thrust23THRUST_200600_302600_NS6detail15normal_iteratorINS8_10device_ptrIyEEEESD_jNS0_19identity_decomposerEEE10hipError_tT1_T2_PT3_SI_jT4_jjP12ihipStream_tbEUlT_E_NS1_11comp_targetILNS1_3genE9ELNS1_11target_archE1100ELNS1_3gpuE3ELNS1_3repE0EEENS1_52radix_sort_onesweep_histogram_config_static_selectorELNS0_4arch9wavefront6targetE1EEEvSG_.private_seg_size, 0
	.set _ZN7rocprim17ROCPRIM_400000_NS6detail17trampoline_kernelINS0_14default_configENS1_35radix_sort_onesweep_config_selectorIyyEEZNS1_34radix_sort_onesweep_global_offsetsIS3_Lb0EN6thrust23THRUST_200600_302600_NS6detail15normal_iteratorINS8_10device_ptrIyEEEESD_jNS0_19identity_decomposerEEE10hipError_tT1_T2_PT3_SI_jT4_jjP12ihipStream_tbEUlT_E_NS1_11comp_targetILNS1_3genE9ELNS1_11target_archE1100ELNS1_3gpuE3ELNS1_3repE0EEENS1_52radix_sort_onesweep_histogram_config_static_selectorELNS0_4arch9wavefront6targetE1EEEvSG_.uses_vcc, 0
	.set _ZN7rocprim17ROCPRIM_400000_NS6detail17trampoline_kernelINS0_14default_configENS1_35radix_sort_onesweep_config_selectorIyyEEZNS1_34radix_sort_onesweep_global_offsetsIS3_Lb0EN6thrust23THRUST_200600_302600_NS6detail15normal_iteratorINS8_10device_ptrIyEEEESD_jNS0_19identity_decomposerEEE10hipError_tT1_T2_PT3_SI_jT4_jjP12ihipStream_tbEUlT_E_NS1_11comp_targetILNS1_3genE9ELNS1_11target_archE1100ELNS1_3gpuE3ELNS1_3repE0EEENS1_52radix_sort_onesweep_histogram_config_static_selectorELNS0_4arch9wavefront6targetE1EEEvSG_.uses_flat_scratch, 0
	.set _ZN7rocprim17ROCPRIM_400000_NS6detail17trampoline_kernelINS0_14default_configENS1_35radix_sort_onesweep_config_selectorIyyEEZNS1_34radix_sort_onesweep_global_offsetsIS3_Lb0EN6thrust23THRUST_200600_302600_NS6detail15normal_iteratorINS8_10device_ptrIyEEEESD_jNS0_19identity_decomposerEEE10hipError_tT1_T2_PT3_SI_jT4_jjP12ihipStream_tbEUlT_E_NS1_11comp_targetILNS1_3genE9ELNS1_11target_archE1100ELNS1_3gpuE3ELNS1_3repE0EEENS1_52radix_sort_onesweep_histogram_config_static_selectorELNS0_4arch9wavefront6targetE1EEEvSG_.has_dyn_sized_stack, 0
	.set _ZN7rocprim17ROCPRIM_400000_NS6detail17trampoline_kernelINS0_14default_configENS1_35radix_sort_onesweep_config_selectorIyyEEZNS1_34radix_sort_onesweep_global_offsetsIS3_Lb0EN6thrust23THRUST_200600_302600_NS6detail15normal_iteratorINS8_10device_ptrIyEEEESD_jNS0_19identity_decomposerEEE10hipError_tT1_T2_PT3_SI_jT4_jjP12ihipStream_tbEUlT_E_NS1_11comp_targetILNS1_3genE9ELNS1_11target_archE1100ELNS1_3gpuE3ELNS1_3repE0EEENS1_52radix_sort_onesweep_histogram_config_static_selectorELNS0_4arch9wavefront6targetE1EEEvSG_.has_recursion, 0
	.set _ZN7rocprim17ROCPRIM_400000_NS6detail17trampoline_kernelINS0_14default_configENS1_35radix_sort_onesweep_config_selectorIyyEEZNS1_34radix_sort_onesweep_global_offsetsIS3_Lb0EN6thrust23THRUST_200600_302600_NS6detail15normal_iteratorINS8_10device_ptrIyEEEESD_jNS0_19identity_decomposerEEE10hipError_tT1_T2_PT3_SI_jT4_jjP12ihipStream_tbEUlT_E_NS1_11comp_targetILNS1_3genE9ELNS1_11target_archE1100ELNS1_3gpuE3ELNS1_3repE0EEENS1_52radix_sort_onesweep_histogram_config_static_selectorELNS0_4arch9wavefront6targetE1EEEvSG_.has_indirect_call, 0
	.section	.AMDGPU.csdata,"",@progbits
; Kernel info:
; codeLenInByte = 0
; TotalNumSgprs: 6
; NumVgprs: 0
; NumAgprs: 0
; TotalNumVgprs: 0
; ScratchSize: 0
; MemoryBound: 0
; FloatMode: 240
; IeeeMode: 1
; LDSByteSize: 0 bytes/workgroup (compile time only)
; SGPRBlocks: 0
; VGPRBlocks: 0
; NumSGPRsForWavesPerEU: 6
; NumVGPRsForWavesPerEU: 1
; AccumOffset: 4
; Occupancy: 8
; WaveLimiterHint : 0
; COMPUTE_PGM_RSRC2:SCRATCH_EN: 0
; COMPUTE_PGM_RSRC2:USER_SGPR: 2
; COMPUTE_PGM_RSRC2:TRAP_HANDLER: 0
; COMPUTE_PGM_RSRC2:TGID_X_EN: 1
; COMPUTE_PGM_RSRC2:TGID_Y_EN: 0
; COMPUTE_PGM_RSRC2:TGID_Z_EN: 0
; COMPUTE_PGM_RSRC2:TIDIG_COMP_CNT: 0
; COMPUTE_PGM_RSRC3_GFX90A:ACCUM_OFFSET: 0
; COMPUTE_PGM_RSRC3_GFX90A:TG_SPLIT: 0
	.section	.text._ZN7rocprim17ROCPRIM_400000_NS6detail17trampoline_kernelINS0_14default_configENS1_35radix_sort_onesweep_config_selectorIyyEEZNS1_34radix_sort_onesweep_global_offsetsIS3_Lb0EN6thrust23THRUST_200600_302600_NS6detail15normal_iteratorINS8_10device_ptrIyEEEESD_jNS0_19identity_decomposerEEE10hipError_tT1_T2_PT3_SI_jT4_jjP12ihipStream_tbEUlT_E_NS1_11comp_targetILNS1_3genE8ELNS1_11target_archE1030ELNS1_3gpuE2ELNS1_3repE0EEENS1_52radix_sort_onesweep_histogram_config_static_selectorELNS0_4arch9wavefront6targetE1EEEvSG_,"axG",@progbits,_ZN7rocprim17ROCPRIM_400000_NS6detail17trampoline_kernelINS0_14default_configENS1_35radix_sort_onesweep_config_selectorIyyEEZNS1_34radix_sort_onesweep_global_offsetsIS3_Lb0EN6thrust23THRUST_200600_302600_NS6detail15normal_iteratorINS8_10device_ptrIyEEEESD_jNS0_19identity_decomposerEEE10hipError_tT1_T2_PT3_SI_jT4_jjP12ihipStream_tbEUlT_E_NS1_11comp_targetILNS1_3genE8ELNS1_11target_archE1030ELNS1_3gpuE2ELNS1_3repE0EEENS1_52radix_sort_onesweep_histogram_config_static_selectorELNS0_4arch9wavefront6targetE1EEEvSG_,comdat
	.protected	_ZN7rocprim17ROCPRIM_400000_NS6detail17trampoline_kernelINS0_14default_configENS1_35radix_sort_onesweep_config_selectorIyyEEZNS1_34radix_sort_onesweep_global_offsetsIS3_Lb0EN6thrust23THRUST_200600_302600_NS6detail15normal_iteratorINS8_10device_ptrIyEEEESD_jNS0_19identity_decomposerEEE10hipError_tT1_T2_PT3_SI_jT4_jjP12ihipStream_tbEUlT_E_NS1_11comp_targetILNS1_3genE8ELNS1_11target_archE1030ELNS1_3gpuE2ELNS1_3repE0EEENS1_52radix_sort_onesweep_histogram_config_static_selectorELNS0_4arch9wavefront6targetE1EEEvSG_ ; -- Begin function _ZN7rocprim17ROCPRIM_400000_NS6detail17trampoline_kernelINS0_14default_configENS1_35radix_sort_onesweep_config_selectorIyyEEZNS1_34radix_sort_onesweep_global_offsetsIS3_Lb0EN6thrust23THRUST_200600_302600_NS6detail15normal_iteratorINS8_10device_ptrIyEEEESD_jNS0_19identity_decomposerEEE10hipError_tT1_T2_PT3_SI_jT4_jjP12ihipStream_tbEUlT_E_NS1_11comp_targetILNS1_3genE8ELNS1_11target_archE1030ELNS1_3gpuE2ELNS1_3repE0EEENS1_52radix_sort_onesweep_histogram_config_static_selectorELNS0_4arch9wavefront6targetE1EEEvSG_
	.globl	_ZN7rocprim17ROCPRIM_400000_NS6detail17trampoline_kernelINS0_14default_configENS1_35radix_sort_onesweep_config_selectorIyyEEZNS1_34radix_sort_onesweep_global_offsetsIS3_Lb0EN6thrust23THRUST_200600_302600_NS6detail15normal_iteratorINS8_10device_ptrIyEEEESD_jNS0_19identity_decomposerEEE10hipError_tT1_T2_PT3_SI_jT4_jjP12ihipStream_tbEUlT_E_NS1_11comp_targetILNS1_3genE8ELNS1_11target_archE1030ELNS1_3gpuE2ELNS1_3repE0EEENS1_52radix_sort_onesweep_histogram_config_static_selectorELNS0_4arch9wavefront6targetE1EEEvSG_
	.p2align	8
	.type	_ZN7rocprim17ROCPRIM_400000_NS6detail17trampoline_kernelINS0_14default_configENS1_35radix_sort_onesweep_config_selectorIyyEEZNS1_34radix_sort_onesweep_global_offsetsIS3_Lb0EN6thrust23THRUST_200600_302600_NS6detail15normal_iteratorINS8_10device_ptrIyEEEESD_jNS0_19identity_decomposerEEE10hipError_tT1_T2_PT3_SI_jT4_jjP12ihipStream_tbEUlT_E_NS1_11comp_targetILNS1_3genE8ELNS1_11target_archE1030ELNS1_3gpuE2ELNS1_3repE0EEENS1_52radix_sort_onesweep_histogram_config_static_selectorELNS0_4arch9wavefront6targetE1EEEvSG_,@function
_ZN7rocprim17ROCPRIM_400000_NS6detail17trampoline_kernelINS0_14default_configENS1_35radix_sort_onesweep_config_selectorIyyEEZNS1_34radix_sort_onesweep_global_offsetsIS3_Lb0EN6thrust23THRUST_200600_302600_NS6detail15normal_iteratorINS8_10device_ptrIyEEEESD_jNS0_19identity_decomposerEEE10hipError_tT1_T2_PT3_SI_jT4_jjP12ihipStream_tbEUlT_E_NS1_11comp_targetILNS1_3genE8ELNS1_11target_archE1030ELNS1_3gpuE2ELNS1_3repE0EEENS1_52radix_sort_onesweep_histogram_config_static_selectorELNS0_4arch9wavefront6targetE1EEEvSG_: ; @_ZN7rocprim17ROCPRIM_400000_NS6detail17trampoline_kernelINS0_14default_configENS1_35radix_sort_onesweep_config_selectorIyyEEZNS1_34radix_sort_onesweep_global_offsetsIS3_Lb0EN6thrust23THRUST_200600_302600_NS6detail15normal_iteratorINS8_10device_ptrIyEEEESD_jNS0_19identity_decomposerEEE10hipError_tT1_T2_PT3_SI_jT4_jjP12ihipStream_tbEUlT_E_NS1_11comp_targetILNS1_3genE8ELNS1_11target_archE1030ELNS1_3gpuE2ELNS1_3repE0EEENS1_52radix_sort_onesweep_histogram_config_static_selectorELNS0_4arch9wavefront6targetE1EEEvSG_
; %bb.0:
	.section	.rodata,"a",@progbits
	.p2align	6, 0x0
	.amdhsa_kernel _ZN7rocprim17ROCPRIM_400000_NS6detail17trampoline_kernelINS0_14default_configENS1_35radix_sort_onesweep_config_selectorIyyEEZNS1_34radix_sort_onesweep_global_offsetsIS3_Lb0EN6thrust23THRUST_200600_302600_NS6detail15normal_iteratorINS8_10device_ptrIyEEEESD_jNS0_19identity_decomposerEEE10hipError_tT1_T2_PT3_SI_jT4_jjP12ihipStream_tbEUlT_E_NS1_11comp_targetILNS1_3genE8ELNS1_11target_archE1030ELNS1_3gpuE2ELNS1_3repE0EEENS1_52radix_sort_onesweep_histogram_config_static_selectorELNS0_4arch9wavefront6targetE1EEEvSG_
		.amdhsa_group_segment_fixed_size 0
		.amdhsa_private_segment_fixed_size 0
		.amdhsa_kernarg_size 40
		.amdhsa_user_sgpr_count 2
		.amdhsa_user_sgpr_dispatch_ptr 0
		.amdhsa_user_sgpr_queue_ptr 0
		.amdhsa_user_sgpr_kernarg_segment_ptr 1
		.amdhsa_user_sgpr_dispatch_id 0
		.amdhsa_user_sgpr_kernarg_preload_length 0
		.amdhsa_user_sgpr_kernarg_preload_offset 0
		.amdhsa_user_sgpr_private_segment_size 0
		.amdhsa_uses_dynamic_stack 0
		.amdhsa_enable_private_segment 0
		.amdhsa_system_sgpr_workgroup_id_x 1
		.amdhsa_system_sgpr_workgroup_id_y 0
		.amdhsa_system_sgpr_workgroup_id_z 0
		.amdhsa_system_sgpr_workgroup_info 0
		.amdhsa_system_vgpr_workitem_id 0
		.amdhsa_next_free_vgpr 1
		.amdhsa_next_free_sgpr 0
		.amdhsa_accum_offset 4
		.amdhsa_reserve_vcc 0
		.amdhsa_float_round_mode_32 0
		.amdhsa_float_round_mode_16_64 0
		.amdhsa_float_denorm_mode_32 3
		.amdhsa_float_denorm_mode_16_64 3
		.amdhsa_dx10_clamp 1
		.amdhsa_ieee_mode 1
		.amdhsa_fp16_overflow 0
		.amdhsa_tg_split 0
		.amdhsa_exception_fp_ieee_invalid_op 0
		.amdhsa_exception_fp_denorm_src 0
		.amdhsa_exception_fp_ieee_div_zero 0
		.amdhsa_exception_fp_ieee_overflow 0
		.amdhsa_exception_fp_ieee_underflow 0
		.amdhsa_exception_fp_ieee_inexact 0
		.amdhsa_exception_int_div_zero 0
	.end_amdhsa_kernel
	.section	.text._ZN7rocprim17ROCPRIM_400000_NS6detail17trampoline_kernelINS0_14default_configENS1_35radix_sort_onesweep_config_selectorIyyEEZNS1_34radix_sort_onesweep_global_offsetsIS3_Lb0EN6thrust23THRUST_200600_302600_NS6detail15normal_iteratorINS8_10device_ptrIyEEEESD_jNS0_19identity_decomposerEEE10hipError_tT1_T2_PT3_SI_jT4_jjP12ihipStream_tbEUlT_E_NS1_11comp_targetILNS1_3genE8ELNS1_11target_archE1030ELNS1_3gpuE2ELNS1_3repE0EEENS1_52radix_sort_onesweep_histogram_config_static_selectorELNS0_4arch9wavefront6targetE1EEEvSG_,"axG",@progbits,_ZN7rocprim17ROCPRIM_400000_NS6detail17trampoline_kernelINS0_14default_configENS1_35radix_sort_onesweep_config_selectorIyyEEZNS1_34radix_sort_onesweep_global_offsetsIS3_Lb0EN6thrust23THRUST_200600_302600_NS6detail15normal_iteratorINS8_10device_ptrIyEEEESD_jNS0_19identity_decomposerEEE10hipError_tT1_T2_PT3_SI_jT4_jjP12ihipStream_tbEUlT_E_NS1_11comp_targetILNS1_3genE8ELNS1_11target_archE1030ELNS1_3gpuE2ELNS1_3repE0EEENS1_52radix_sort_onesweep_histogram_config_static_selectorELNS0_4arch9wavefront6targetE1EEEvSG_,comdat
.Lfunc_end509:
	.size	_ZN7rocprim17ROCPRIM_400000_NS6detail17trampoline_kernelINS0_14default_configENS1_35radix_sort_onesweep_config_selectorIyyEEZNS1_34radix_sort_onesweep_global_offsetsIS3_Lb0EN6thrust23THRUST_200600_302600_NS6detail15normal_iteratorINS8_10device_ptrIyEEEESD_jNS0_19identity_decomposerEEE10hipError_tT1_T2_PT3_SI_jT4_jjP12ihipStream_tbEUlT_E_NS1_11comp_targetILNS1_3genE8ELNS1_11target_archE1030ELNS1_3gpuE2ELNS1_3repE0EEENS1_52radix_sort_onesweep_histogram_config_static_selectorELNS0_4arch9wavefront6targetE1EEEvSG_, .Lfunc_end509-_ZN7rocprim17ROCPRIM_400000_NS6detail17trampoline_kernelINS0_14default_configENS1_35radix_sort_onesweep_config_selectorIyyEEZNS1_34radix_sort_onesweep_global_offsetsIS3_Lb0EN6thrust23THRUST_200600_302600_NS6detail15normal_iteratorINS8_10device_ptrIyEEEESD_jNS0_19identity_decomposerEEE10hipError_tT1_T2_PT3_SI_jT4_jjP12ihipStream_tbEUlT_E_NS1_11comp_targetILNS1_3genE8ELNS1_11target_archE1030ELNS1_3gpuE2ELNS1_3repE0EEENS1_52radix_sort_onesweep_histogram_config_static_selectorELNS0_4arch9wavefront6targetE1EEEvSG_
                                        ; -- End function
	.set _ZN7rocprim17ROCPRIM_400000_NS6detail17trampoline_kernelINS0_14default_configENS1_35radix_sort_onesweep_config_selectorIyyEEZNS1_34radix_sort_onesweep_global_offsetsIS3_Lb0EN6thrust23THRUST_200600_302600_NS6detail15normal_iteratorINS8_10device_ptrIyEEEESD_jNS0_19identity_decomposerEEE10hipError_tT1_T2_PT3_SI_jT4_jjP12ihipStream_tbEUlT_E_NS1_11comp_targetILNS1_3genE8ELNS1_11target_archE1030ELNS1_3gpuE2ELNS1_3repE0EEENS1_52radix_sort_onesweep_histogram_config_static_selectorELNS0_4arch9wavefront6targetE1EEEvSG_.num_vgpr, 0
	.set _ZN7rocprim17ROCPRIM_400000_NS6detail17trampoline_kernelINS0_14default_configENS1_35radix_sort_onesweep_config_selectorIyyEEZNS1_34radix_sort_onesweep_global_offsetsIS3_Lb0EN6thrust23THRUST_200600_302600_NS6detail15normal_iteratorINS8_10device_ptrIyEEEESD_jNS0_19identity_decomposerEEE10hipError_tT1_T2_PT3_SI_jT4_jjP12ihipStream_tbEUlT_E_NS1_11comp_targetILNS1_3genE8ELNS1_11target_archE1030ELNS1_3gpuE2ELNS1_3repE0EEENS1_52radix_sort_onesweep_histogram_config_static_selectorELNS0_4arch9wavefront6targetE1EEEvSG_.num_agpr, 0
	.set _ZN7rocprim17ROCPRIM_400000_NS6detail17trampoline_kernelINS0_14default_configENS1_35radix_sort_onesweep_config_selectorIyyEEZNS1_34radix_sort_onesweep_global_offsetsIS3_Lb0EN6thrust23THRUST_200600_302600_NS6detail15normal_iteratorINS8_10device_ptrIyEEEESD_jNS0_19identity_decomposerEEE10hipError_tT1_T2_PT3_SI_jT4_jjP12ihipStream_tbEUlT_E_NS1_11comp_targetILNS1_3genE8ELNS1_11target_archE1030ELNS1_3gpuE2ELNS1_3repE0EEENS1_52radix_sort_onesweep_histogram_config_static_selectorELNS0_4arch9wavefront6targetE1EEEvSG_.numbered_sgpr, 0
	.set _ZN7rocprim17ROCPRIM_400000_NS6detail17trampoline_kernelINS0_14default_configENS1_35radix_sort_onesweep_config_selectorIyyEEZNS1_34radix_sort_onesweep_global_offsetsIS3_Lb0EN6thrust23THRUST_200600_302600_NS6detail15normal_iteratorINS8_10device_ptrIyEEEESD_jNS0_19identity_decomposerEEE10hipError_tT1_T2_PT3_SI_jT4_jjP12ihipStream_tbEUlT_E_NS1_11comp_targetILNS1_3genE8ELNS1_11target_archE1030ELNS1_3gpuE2ELNS1_3repE0EEENS1_52radix_sort_onesweep_histogram_config_static_selectorELNS0_4arch9wavefront6targetE1EEEvSG_.num_named_barrier, 0
	.set _ZN7rocprim17ROCPRIM_400000_NS6detail17trampoline_kernelINS0_14default_configENS1_35radix_sort_onesweep_config_selectorIyyEEZNS1_34radix_sort_onesweep_global_offsetsIS3_Lb0EN6thrust23THRUST_200600_302600_NS6detail15normal_iteratorINS8_10device_ptrIyEEEESD_jNS0_19identity_decomposerEEE10hipError_tT1_T2_PT3_SI_jT4_jjP12ihipStream_tbEUlT_E_NS1_11comp_targetILNS1_3genE8ELNS1_11target_archE1030ELNS1_3gpuE2ELNS1_3repE0EEENS1_52radix_sort_onesweep_histogram_config_static_selectorELNS0_4arch9wavefront6targetE1EEEvSG_.private_seg_size, 0
	.set _ZN7rocprim17ROCPRIM_400000_NS6detail17trampoline_kernelINS0_14default_configENS1_35radix_sort_onesweep_config_selectorIyyEEZNS1_34radix_sort_onesweep_global_offsetsIS3_Lb0EN6thrust23THRUST_200600_302600_NS6detail15normal_iteratorINS8_10device_ptrIyEEEESD_jNS0_19identity_decomposerEEE10hipError_tT1_T2_PT3_SI_jT4_jjP12ihipStream_tbEUlT_E_NS1_11comp_targetILNS1_3genE8ELNS1_11target_archE1030ELNS1_3gpuE2ELNS1_3repE0EEENS1_52radix_sort_onesweep_histogram_config_static_selectorELNS0_4arch9wavefront6targetE1EEEvSG_.uses_vcc, 0
	.set _ZN7rocprim17ROCPRIM_400000_NS6detail17trampoline_kernelINS0_14default_configENS1_35radix_sort_onesweep_config_selectorIyyEEZNS1_34radix_sort_onesweep_global_offsetsIS3_Lb0EN6thrust23THRUST_200600_302600_NS6detail15normal_iteratorINS8_10device_ptrIyEEEESD_jNS0_19identity_decomposerEEE10hipError_tT1_T2_PT3_SI_jT4_jjP12ihipStream_tbEUlT_E_NS1_11comp_targetILNS1_3genE8ELNS1_11target_archE1030ELNS1_3gpuE2ELNS1_3repE0EEENS1_52radix_sort_onesweep_histogram_config_static_selectorELNS0_4arch9wavefront6targetE1EEEvSG_.uses_flat_scratch, 0
	.set _ZN7rocprim17ROCPRIM_400000_NS6detail17trampoline_kernelINS0_14default_configENS1_35radix_sort_onesweep_config_selectorIyyEEZNS1_34radix_sort_onesweep_global_offsetsIS3_Lb0EN6thrust23THRUST_200600_302600_NS6detail15normal_iteratorINS8_10device_ptrIyEEEESD_jNS0_19identity_decomposerEEE10hipError_tT1_T2_PT3_SI_jT4_jjP12ihipStream_tbEUlT_E_NS1_11comp_targetILNS1_3genE8ELNS1_11target_archE1030ELNS1_3gpuE2ELNS1_3repE0EEENS1_52radix_sort_onesweep_histogram_config_static_selectorELNS0_4arch9wavefront6targetE1EEEvSG_.has_dyn_sized_stack, 0
	.set _ZN7rocprim17ROCPRIM_400000_NS6detail17trampoline_kernelINS0_14default_configENS1_35radix_sort_onesweep_config_selectorIyyEEZNS1_34radix_sort_onesweep_global_offsetsIS3_Lb0EN6thrust23THRUST_200600_302600_NS6detail15normal_iteratorINS8_10device_ptrIyEEEESD_jNS0_19identity_decomposerEEE10hipError_tT1_T2_PT3_SI_jT4_jjP12ihipStream_tbEUlT_E_NS1_11comp_targetILNS1_3genE8ELNS1_11target_archE1030ELNS1_3gpuE2ELNS1_3repE0EEENS1_52radix_sort_onesweep_histogram_config_static_selectorELNS0_4arch9wavefront6targetE1EEEvSG_.has_recursion, 0
	.set _ZN7rocprim17ROCPRIM_400000_NS6detail17trampoline_kernelINS0_14default_configENS1_35radix_sort_onesweep_config_selectorIyyEEZNS1_34radix_sort_onesweep_global_offsetsIS3_Lb0EN6thrust23THRUST_200600_302600_NS6detail15normal_iteratorINS8_10device_ptrIyEEEESD_jNS0_19identity_decomposerEEE10hipError_tT1_T2_PT3_SI_jT4_jjP12ihipStream_tbEUlT_E_NS1_11comp_targetILNS1_3genE8ELNS1_11target_archE1030ELNS1_3gpuE2ELNS1_3repE0EEENS1_52radix_sort_onesweep_histogram_config_static_selectorELNS0_4arch9wavefront6targetE1EEEvSG_.has_indirect_call, 0
	.section	.AMDGPU.csdata,"",@progbits
; Kernel info:
; codeLenInByte = 0
; TotalNumSgprs: 6
; NumVgprs: 0
; NumAgprs: 0
; TotalNumVgprs: 0
; ScratchSize: 0
; MemoryBound: 0
; FloatMode: 240
; IeeeMode: 1
; LDSByteSize: 0 bytes/workgroup (compile time only)
; SGPRBlocks: 0
; VGPRBlocks: 0
; NumSGPRsForWavesPerEU: 6
; NumVGPRsForWavesPerEU: 1
; AccumOffset: 4
; Occupancy: 8
; WaveLimiterHint : 0
; COMPUTE_PGM_RSRC2:SCRATCH_EN: 0
; COMPUTE_PGM_RSRC2:USER_SGPR: 2
; COMPUTE_PGM_RSRC2:TRAP_HANDLER: 0
; COMPUTE_PGM_RSRC2:TGID_X_EN: 1
; COMPUTE_PGM_RSRC2:TGID_Y_EN: 0
; COMPUTE_PGM_RSRC2:TGID_Z_EN: 0
; COMPUTE_PGM_RSRC2:TIDIG_COMP_CNT: 0
; COMPUTE_PGM_RSRC3_GFX90A:ACCUM_OFFSET: 0
; COMPUTE_PGM_RSRC3_GFX90A:TG_SPLIT: 0
	.section	.text._ZN7rocprim17ROCPRIM_400000_NS6detail17trampoline_kernelINS0_14default_configENS1_35radix_sort_onesweep_config_selectorIyyEEZNS1_34radix_sort_onesweep_global_offsetsIS3_Lb0EN6thrust23THRUST_200600_302600_NS6detail15normal_iteratorINS8_10device_ptrIyEEEESD_jNS0_19identity_decomposerEEE10hipError_tT1_T2_PT3_SI_jT4_jjP12ihipStream_tbEUlT_E0_NS1_11comp_targetILNS1_3genE0ELNS1_11target_archE4294967295ELNS1_3gpuE0ELNS1_3repE0EEENS1_52radix_sort_onesweep_histogram_config_static_selectorELNS0_4arch9wavefront6targetE1EEEvSG_,"axG",@progbits,_ZN7rocprim17ROCPRIM_400000_NS6detail17trampoline_kernelINS0_14default_configENS1_35radix_sort_onesweep_config_selectorIyyEEZNS1_34radix_sort_onesweep_global_offsetsIS3_Lb0EN6thrust23THRUST_200600_302600_NS6detail15normal_iteratorINS8_10device_ptrIyEEEESD_jNS0_19identity_decomposerEEE10hipError_tT1_T2_PT3_SI_jT4_jjP12ihipStream_tbEUlT_E0_NS1_11comp_targetILNS1_3genE0ELNS1_11target_archE4294967295ELNS1_3gpuE0ELNS1_3repE0EEENS1_52radix_sort_onesweep_histogram_config_static_selectorELNS0_4arch9wavefront6targetE1EEEvSG_,comdat
	.protected	_ZN7rocprim17ROCPRIM_400000_NS6detail17trampoline_kernelINS0_14default_configENS1_35radix_sort_onesweep_config_selectorIyyEEZNS1_34radix_sort_onesweep_global_offsetsIS3_Lb0EN6thrust23THRUST_200600_302600_NS6detail15normal_iteratorINS8_10device_ptrIyEEEESD_jNS0_19identity_decomposerEEE10hipError_tT1_T2_PT3_SI_jT4_jjP12ihipStream_tbEUlT_E0_NS1_11comp_targetILNS1_3genE0ELNS1_11target_archE4294967295ELNS1_3gpuE0ELNS1_3repE0EEENS1_52radix_sort_onesweep_histogram_config_static_selectorELNS0_4arch9wavefront6targetE1EEEvSG_ ; -- Begin function _ZN7rocprim17ROCPRIM_400000_NS6detail17trampoline_kernelINS0_14default_configENS1_35radix_sort_onesweep_config_selectorIyyEEZNS1_34radix_sort_onesweep_global_offsetsIS3_Lb0EN6thrust23THRUST_200600_302600_NS6detail15normal_iteratorINS8_10device_ptrIyEEEESD_jNS0_19identity_decomposerEEE10hipError_tT1_T2_PT3_SI_jT4_jjP12ihipStream_tbEUlT_E0_NS1_11comp_targetILNS1_3genE0ELNS1_11target_archE4294967295ELNS1_3gpuE0ELNS1_3repE0EEENS1_52radix_sort_onesweep_histogram_config_static_selectorELNS0_4arch9wavefront6targetE1EEEvSG_
	.globl	_ZN7rocprim17ROCPRIM_400000_NS6detail17trampoline_kernelINS0_14default_configENS1_35radix_sort_onesweep_config_selectorIyyEEZNS1_34radix_sort_onesweep_global_offsetsIS3_Lb0EN6thrust23THRUST_200600_302600_NS6detail15normal_iteratorINS8_10device_ptrIyEEEESD_jNS0_19identity_decomposerEEE10hipError_tT1_T2_PT3_SI_jT4_jjP12ihipStream_tbEUlT_E0_NS1_11comp_targetILNS1_3genE0ELNS1_11target_archE4294967295ELNS1_3gpuE0ELNS1_3repE0EEENS1_52radix_sort_onesweep_histogram_config_static_selectorELNS0_4arch9wavefront6targetE1EEEvSG_
	.p2align	8
	.type	_ZN7rocprim17ROCPRIM_400000_NS6detail17trampoline_kernelINS0_14default_configENS1_35radix_sort_onesweep_config_selectorIyyEEZNS1_34radix_sort_onesweep_global_offsetsIS3_Lb0EN6thrust23THRUST_200600_302600_NS6detail15normal_iteratorINS8_10device_ptrIyEEEESD_jNS0_19identity_decomposerEEE10hipError_tT1_T2_PT3_SI_jT4_jjP12ihipStream_tbEUlT_E0_NS1_11comp_targetILNS1_3genE0ELNS1_11target_archE4294967295ELNS1_3gpuE0ELNS1_3repE0EEENS1_52radix_sort_onesweep_histogram_config_static_selectorELNS0_4arch9wavefront6targetE1EEEvSG_,@function
_ZN7rocprim17ROCPRIM_400000_NS6detail17trampoline_kernelINS0_14default_configENS1_35radix_sort_onesweep_config_selectorIyyEEZNS1_34radix_sort_onesweep_global_offsetsIS3_Lb0EN6thrust23THRUST_200600_302600_NS6detail15normal_iteratorINS8_10device_ptrIyEEEESD_jNS0_19identity_decomposerEEE10hipError_tT1_T2_PT3_SI_jT4_jjP12ihipStream_tbEUlT_E0_NS1_11comp_targetILNS1_3genE0ELNS1_11target_archE4294967295ELNS1_3gpuE0ELNS1_3repE0EEENS1_52radix_sort_onesweep_histogram_config_static_selectorELNS0_4arch9wavefront6targetE1EEEvSG_: ; @_ZN7rocprim17ROCPRIM_400000_NS6detail17trampoline_kernelINS0_14default_configENS1_35radix_sort_onesweep_config_selectorIyyEEZNS1_34radix_sort_onesweep_global_offsetsIS3_Lb0EN6thrust23THRUST_200600_302600_NS6detail15normal_iteratorINS8_10device_ptrIyEEEESD_jNS0_19identity_decomposerEEE10hipError_tT1_T2_PT3_SI_jT4_jjP12ihipStream_tbEUlT_E0_NS1_11comp_targetILNS1_3genE0ELNS1_11target_archE4294967295ELNS1_3gpuE0ELNS1_3repE0EEENS1_52radix_sort_onesweep_histogram_config_static_selectorELNS0_4arch9wavefront6targetE1EEEvSG_
; %bb.0:
	.section	.rodata,"a",@progbits
	.p2align	6, 0x0
	.amdhsa_kernel _ZN7rocprim17ROCPRIM_400000_NS6detail17trampoline_kernelINS0_14default_configENS1_35radix_sort_onesweep_config_selectorIyyEEZNS1_34radix_sort_onesweep_global_offsetsIS3_Lb0EN6thrust23THRUST_200600_302600_NS6detail15normal_iteratorINS8_10device_ptrIyEEEESD_jNS0_19identity_decomposerEEE10hipError_tT1_T2_PT3_SI_jT4_jjP12ihipStream_tbEUlT_E0_NS1_11comp_targetILNS1_3genE0ELNS1_11target_archE4294967295ELNS1_3gpuE0ELNS1_3repE0EEENS1_52radix_sort_onesweep_histogram_config_static_selectorELNS0_4arch9wavefront6targetE1EEEvSG_
		.amdhsa_group_segment_fixed_size 0
		.amdhsa_private_segment_fixed_size 0
		.amdhsa_kernarg_size 8
		.amdhsa_user_sgpr_count 2
		.amdhsa_user_sgpr_dispatch_ptr 0
		.amdhsa_user_sgpr_queue_ptr 0
		.amdhsa_user_sgpr_kernarg_segment_ptr 1
		.amdhsa_user_sgpr_dispatch_id 0
		.amdhsa_user_sgpr_kernarg_preload_length 0
		.amdhsa_user_sgpr_kernarg_preload_offset 0
		.amdhsa_user_sgpr_private_segment_size 0
		.amdhsa_uses_dynamic_stack 0
		.amdhsa_enable_private_segment 0
		.amdhsa_system_sgpr_workgroup_id_x 1
		.amdhsa_system_sgpr_workgroup_id_y 0
		.amdhsa_system_sgpr_workgroup_id_z 0
		.amdhsa_system_sgpr_workgroup_info 0
		.amdhsa_system_vgpr_workitem_id 0
		.amdhsa_next_free_vgpr 1
		.amdhsa_next_free_sgpr 0
		.amdhsa_accum_offset 4
		.amdhsa_reserve_vcc 0
		.amdhsa_float_round_mode_32 0
		.amdhsa_float_round_mode_16_64 0
		.amdhsa_float_denorm_mode_32 3
		.amdhsa_float_denorm_mode_16_64 3
		.amdhsa_dx10_clamp 1
		.amdhsa_ieee_mode 1
		.amdhsa_fp16_overflow 0
		.amdhsa_tg_split 0
		.amdhsa_exception_fp_ieee_invalid_op 0
		.amdhsa_exception_fp_denorm_src 0
		.amdhsa_exception_fp_ieee_div_zero 0
		.amdhsa_exception_fp_ieee_overflow 0
		.amdhsa_exception_fp_ieee_underflow 0
		.amdhsa_exception_fp_ieee_inexact 0
		.amdhsa_exception_int_div_zero 0
	.end_amdhsa_kernel
	.section	.text._ZN7rocprim17ROCPRIM_400000_NS6detail17trampoline_kernelINS0_14default_configENS1_35radix_sort_onesweep_config_selectorIyyEEZNS1_34radix_sort_onesweep_global_offsetsIS3_Lb0EN6thrust23THRUST_200600_302600_NS6detail15normal_iteratorINS8_10device_ptrIyEEEESD_jNS0_19identity_decomposerEEE10hipError_tT1_T2_PT3_SI_jT4_jjP12ihipStream_tbEUlT_E0_NS1_11comp_targetILNS1_3genE0ELNS1_11target_archE4294967295ELNS1_3gpuE0ELNS1_3repE0EEENS1_52radix_sort_onesweep_histogram_config_static_selectorELNS0_4arch9wavefront6targetE1EEEvSG_,"axG",@progbits,_ZN7rocprim17ROCPRIM_400000_NS6detail17trampoline_kernelINS0_14default_configENS1_35radix_sort_onesweep_config_selectorIyyEEZNS1_34radix_sort_onesweep_global_offsetsIS3_Lb0EN6thrust23THRUST_200600_302600_NS6detail15normal_iteratorINS8_10device_ptrIyEEEESD_jNS0_19identity_decomposerEEE10hipError_tT1_T2_PT3_SI_jT4_jjP12ihipStream_tbEUlT_E0_NS1_11comp_targetILNS1_3genE0ELNS1_11target_archE4294967295ELNS1_3gpuE0ELNS1_3repE0EEENS1_52radix_sort_onesweep_histogram_config_static_selectorELNS0_4arch9wavefront6targetE1EEEvSG_,comdat
.Lfunc_end510:
	.size	_ZN7rocprim17ROCPRIM_400000_NS6detail17trampoline_kernelINS0_14default_configENS1_35radix_sort_onesweep_config_selectorIyyEEZNS1_34radix_sort_onesweep_global_offsetsIS3_Lb0EN6thrust23THRUST_200600_302600_NS6detail15normal_iteratorINS8_10device_ptrIyEEEESD_jNS0_19identity_decomposerEEE10hipError_tT1_T2_PT3_SI_jT4_jjP12ihipStream_tbEUlT_E0_NS1_11comp_targetILNS1_3genE0ELNS1_11target_archE4294967295ELNS1_3gpuE0ELNS1_3repE0EEENS1_52radix_sort_onesweep_histogram_config_static_selectorELNS0_4arch9wavefront6targetE1EEEvSG_, .Lfunc_end510-_ZN7rocprim17ROCPRIM_400000_NS6detail17trampoline_kernelINS0_14default_configENS1_35radix_sort_onesweep_config_selectorIyyEEZNS1_34radix_sort_onesweep_global_offsetsIS3_Lb0EN6thrust23THRUST_200600_302600_NS6detail15normal_iteratorINS8_10device_ptrIyEEEESD_jNS0_19identity_decomposerEEE10hipError_tT1_T2_PT3_SI_jT4_jjP12ihipStream_tbEUlT_E0_NS1_11comp_targetILNS1_3genE0ELNS1_11target_archE4294967295ELNS1_3gpuE0ELNS1_3repE0EEENS1_52radix_sort_onesweep_histogram_config_static_selectorELNS0_4arch9wavefront6targetE1EEEvSG_
                                        ; -- End function
	.set _ZN7rocprim17ROCPRIM_400000_NS6detail17trampoline_kernelINS0_14default_configENS1_35radix_sort_onesweep_config_selectorIyyEEZNS1_34radix_sort_onesweep_global_offsetsIS3_Lb0EN6thrust23THRUST_200600_302600_NS6detail15normal_iteratorINS8_10device_ptrIyEEEESD_jNS0_19identity_decomposerEEE10hipError_tT1_T2_PT3_SI_jT4_jjP12ihipStream_tbEUlT_E0_NS1_11comp_targetILNS1_3genE0ELNS1_11target_archE4294967295ELNS1_3gpuE0ELNS1_3repE0EEENS1_52radix_sort_onesweep_histogram_config_static_selectorELNS0_4arch9wavefront6targetE1EEEvSG_.num_vgpr, 0
	.set _ZN7rocprim17ROCPRIM_400000_NS6detail17trampoline_kernelINS0_14default_configENS1_35radix_sort_onesweep_config_selectorIyyEEZNS1_34radix_sort_onesweep_global_offsetsIS3_Lb0EN6thrust23THRUST_200600_302600_NS6detail15normal_iteratorINS8_10device_ptrIyEEEESD_jNS0_19identity_decomposerEEE10hipError_tT1_T2_PT3_SI_jT4_jjP12ihipStream_tbEUlT_E0_NS1_11comp_targetILNS1_3genE0ELNS1_11target_archE4294967295ELNS1_3gpuE0ELNS1_3repE0EEENS1_52radix_sort_onesweep_histogram_config_static_selectorELNS0_4arch9wavefront6targetE1EEEvSG_.num_agpr, 0
	.set _ZN7rocprim17ROCPRIM_400000_NS6detail17trampoline_kernelINS0_14default_configENS1_35radix_sort_onesweep_config_selectorIyyEEZNS1_34radix_sort_onesweep_global_offsetsIS3_Lb0EN6thrust23THRUST_200600_302600_NS6detail15normal_iteratorINS8_10device_ptrIyEEEESD_jNS0_19identity_decomposerEEE10hipError_tT1_T2_PT3_SI_jT4_jjP12ihipStream_tbEUlT_E0_NS1_11comp_targetILNS1_3genE0ELNS1_11target_archE4294967295ELNS1_3gpuE0ELNS1_3repE0EEENS1_52radix_sort_onesweep_histogram_config_static_selectorELNS0_4arch9wavefront6targetE1EEEvSG_.numbered_sgpr, 0
	.set _ZN7rocprim17ROCPRIM_400000_NS6detail17trampoline_kernelINS0_14default_configENS1_35radix_sort_onesweep_config_selectorIyyEEZNS1_34radix_sort_onesweep_global_offsetsIS3_Lb0EN6thrust23THRUST_200600_302600_NS6detail15normal_iteratorINS8_10device_ptrIyEEEESD_jNS0_19identity_decomposerEEE10hipError_tT1_T2_PT3_SI_jT4_jjP12ihipStream_tbEUlT_E0_NS1_11comp_targetILNS1_3genE0ELNS1_11target_archE4294967295ELNS1_3gpuE0ELNS1_3repE0EEENS1_52radix_sort_onesweep_histogram_config_static_selectorELNS0_4arch9wavefront6targetE1EEEvSG_.num_named_barrier, 0
	.set _ZN7rocprim17ROCPRIM_400000_NS6detail17trampoline_kernelINS0_14default_configENS1_35radix_sort_onesweep_config_selectorIyyEEZNS1_34radix_sort_onesweep_global_offsetsIS3_Lb0EN6thrust23THRUST_200600_302600_NS6detail15normal_iteratorINS8_10device_ptrIyEEEESD_jNS0_19identity_decomposerEEE10hipError_tT1_T2_PT3_SI_jT4_jjP12ihipStream_tbEUlT_E0_NS1_11comp_targetILNS1_3genE0ELNS1_11target_archE4294967295ELNS1_3gpuE0ELNS1_3repE0EEENS1_52radix_sort_onesweep_histogram_config_static_selectorELNS0_4arch9wavefront6targetE1EEEvSG_.private_seg_size, 0
	.set _ZN7rocprim17ROCPRIM_400000_NS6detail17trampoline_kernelINS0_14default_configENS1_35radix_sort_onesweep_config_selectorIyyEEZNS1_34radix_sort_onesweep_global_offsetsIS3_Lb0EN6thrust23THRUST_200600_302600_NS6detail15normal_iteratorINS8_10device_ptrIyEEEESD_jNS0_19identity_decomposerEEE10hipError_tT1_T2_PT3_SI_jT4_jjP12ihipStream_tbEUlT_E0_NS1_11comp_targetILNS1_3genE0ELNS1_11target_archE4294967295ELNS1_3gpuE0ELNS1_3repE0EEENS1_52radix_sort_onesweep_histogram_config_static_selectorELNS0_4arch9wavefront6targetE1EEEvSG_.uses_vcc, 0
	.set _ZN7rocprim17ROCPRIM_400000_NS6detail17trampoline_kernelINS0_14default_configENS1_35radix_sort_onesweep_config_selectorIyyEEZNS1_34radix_sort_onesweep_global_offsetsIS3_Lb0EN6thrust23THRUST_200600_302600_NS6detail15normal_iteratorINS8_10device_ptrIyEEEESD_jNS0_19identity_decomposerEEE10hipError_tT1_T2_PT3_SI_jT4_jjP12ihipStream_tbEUlT_E0_NS1_11comp_targetILNS1_3genE0ELNS1_11target_archE4294967295ELNS1_3gpuE0ELNS1_3repE0EEENS1_52radix_sort_onesweep_histogram_config_static_selectorELNS0_4arch9wavefront6targetE1EEEvSG_.uses_flat_scratch, 0
	.set _ZN7rocprim17ROCPRIM_400000_NS6detail17trampoline_kernelINS0_14default_configENS1_35radix_sort_onesweep_config_selectorIyyEEZNS1_34radix_sort_onesweep_global_offsetsIS3_Lb0EN6thrust23THRUST_200600_302600_NS6detail15normal_iteratorINS8_10device_ptrIyEEEESD_jNS0_19identity_decomposerEEE10hipError_tT1_T2_PT3_SI_jT4_jjP12ihipStream_tbEUlT_E0_NS1_11comp_targetILNS1_3genE0ELNS1_11target_archE4294967295ELNS1_3gpuE0ELNS1_3repE0EEENS1_52radix_sort_onesweep_histogram_config_static_selectorELNS0_4arch9wavefront6targetE1EEEvSG_.has_dyn_sized_stack, 0
	.set _ZN7rocprim17ROCPRIM_400000_NS6detail17trampoline_kernelINS0_14default_configENS1_35radix_sort_onesweep_config_selectorIyyEEZNS1_34radix_sort_onesweep_global_offsetsIS3_Lb0EN6thrust23THRUST_200600_302600_NS6detail15normal_iteratorINS8_10device_ptrIyEEEESD_jNS0_19identity_decomposerEEE10hipError_tT1_T2_PT3_SI_jT4_jjP12ihipStream_tbEUlT_E0_NS1_11comp_targetILNS1_3genE0ELNS1_11target_archE4294967295ELNS1_3gpuE0ELNS1_3repE0EEENS1_52radix_sort_onesweep_histogram_config_static_selectorELNS0_4arch9wavefront6targetE1EEEvSG_.has_recursion, 0
	.set _ZN7rocprim17ROCPRIM_400000_NS6detail17trampoline_kernelINS0_14default_configENS1_35radix_sort_onesweep_config_selectorIyyEEZNS1_34radix_sort_onesweep_global_offsetsIS3_Lb0EN6thrust23THRUST_200600_302600_NS6detail15normal_iteratorINS8_10device_ptrIyEEEESD_jNS0_19identity_decomposerEEE10hipError_tT1_T2_PT3_SI_jT4_jjP12ihipStream_tbEUlT_E0_NS1_11comp_targetILNS1_3genE0ELNS1_11target_archE4294967295ELNS1_3gpuE0ELNS1_3repE0EEENS1_52radix_sort_onesweep_histogram_config_static_selectorELNS0_4arch9wavefront6targetE1EEEvSG_.has_indirect_call, 0
	.section	.AMDGPU.csdata,"",@progbits
; Kernel info:
; codeLenInByte = 0
; TotalNumSgprs: 6
; NumVgprs: 0
; NumAgprs: 0
; TotalNumVgprs: 0
; ScratchSize: 0
; MemoryBound: 0
; FloatMode: 240
; IeeeMode: 1
; LDSByteSize: 0 bytes/workgroup (compile time only)
; SGPRBlocks: 0
; VGPRBlocks: 0
; NumSGPRsForWavesPerEU: 6
; NumVGPRsForWavesPerEU: 1
; AccumOffset: 4
; Occupancy: 8
; WaveLimiterHint : 0
; COMPUTE_PGM_RSRC2:SCRATCH_EN: 0
; COMPUTE_PGM_RSRC2:USER_SGPR: 2
; COMPUTE_PGM_RSRC2:TRAP_HANDLER: 0
; COMPUTE_PGM_RSRC2:TGID_X_EN: 1
; COMPUTE_PGM_RSRC2:TGID_Y_EN: 0
; COMPUTE_PGM_RSRC2:TGID_Z_EN: 0
; COMPUTE_PGM_RSRC2:TIDIG_COMP_CNT: 0
; COMPUTE_PGM_RSRC3_GFX90A:ACCUM_OFFSET: 0
; COMPUTE_PGM_RSRC3_GFX90A:TG_SPLIT: 0
	.section	.text._ZN7rocprim17ROCPRIM_400000_NS6detail17trampoline_kernelINS0_14default_configENS1_35radix_sort_onesweep_config_selectorIyyEEZNS1_34radix_sort_onesweep_global_offsetsIS3_Lb0EN6thrust23THRUST_200600_302600_NS6detail15normal_iteratorINS8_10device_ptrIyEEEESD_jNS0_19identity_decomposerEEE10hipError_tT1_T2_PT3_SI_jT4_jjP12ihipStream_tbEUlT_E0_NS1_11comp_targetILNS1_3genE6ELNS1_11target_archE950ELNS1_3gpuE13ELNS1_3repE0EEENS1_52radix_sort_onesweep_histogram_config_static_selectorELNS0_4arch9wavefront6targetE1EEEvSG_,"axG",@progbits,_ZN7rocprim17ROCPRIM_400000_NS6detail17trampoline_kernelINS0_14default_configENS1_35radix_sort_onesweep_config_selectorIyyEEZNS1_34radix_sort_onesweep_global_offsetsIS3_Lb0EN6thrust23THRUST_200600_302600_NS6detail15normal_iteratorINS8_10device_ptrIyEEEESD_jNS0_19identity_decomposerEEE10hipError_tT1_T2_PT3_SI_jT4_jjP12ihipStream_tbEUlT_E0_NS1_11comp_targetILNS1_3genE6ELNS1_11target_archE950ELNS1_3gpuE13ELNS1_3repE0EEENS1_52radix_sort_onesweep_histogram_config_static_selectorELNS0_4arch9wavefront6targetE1EEEvSG_,comdat
	.protected	_ZN7rocprim17ROCPRIM_400000_NS6detail17trampoline_kernelINS0_14default_configENS1_35radix_sort_onesweep_config_selectorIyyEEZNS1_34radix_sort_onesweep_global_offsetsIS3_Lb0EN6thrust23THRUST_200600_302600_NS6detail15normal_iteratorINS8_10device_ptrIyEEEESD_jNS0_19identity_decomposerEEE10hipError_tT1_T2_PT3_SI_jT4_jjP12ihipStream_tbEUlT_E0_NS1_11comp_targetILNS1_3genE6ELNS1_11target_archE950ELNS1_3gpuE13ELNS1_3repE0EEENS1_52radix_sort_onesweep_histogram_config_static_selectorELNS0_4arch9wavefront6targetE1EEEvSG_ ; -- Begin function _ZN7rocprim17ROCPRIM_400000_NS6detail17trampoline_kernelINS0_14default_configENS1_35radix_sort_onesweep_config_selectorIyyEEZNS1_34radix_sort_onesweep_global_offsetsIS3_Lb0EN6thrust23THRUST_200600_302600_NS6detail15normal_iteratorINS8_10device_ptrIyEEEESD_jNS0_19identity_decomposerEEE10hipError_tT1_T2_PT3_SI_jT4_jjP12ihipStream_tbEUlT_E0_NS1_11comp_targetILNS1_3genE6ELNS1_11target_archE950ELNS1_3gpuE13ELNS1_3repE0EEENS1_52radix_sort_onesweep_histogram_config_static_selectorELNS0_4arch9wavefront6targetE1EEEvSG_
	.globl	_ZN7rocprim17ROCPRIM_400000_NS6detail17trampoline_kernelINS0_14default_configENS1_35radix_sort_onesweep_config_selectorIyyEEZNS1_34radix_sort_onesweep_global_offsetsIS3_Lb0EN6thrust23THRUST_200600_302600_NS6detail15normal_iteratorINS8_10device_ptrIyEEEESD_jNS0_19identity_decomposerEEE10hipError_tT1_T2_PT3_SI_jT4_jjP12ihipStream_tbEUlT_E0_NS1_11comp_targetILNS1_3genE6ELNS1_11target_archE950ELNS1_3gpuE13ELNS1_3repE0EEENS1_52radix_sort_onesweep_histogram_config_static_selectorELNS0_4arch9wavefront6targetE1EEEvSG_
	.p2align	8
	.type	_ZN7rocprim17ROCPRIM_400000_NS6detail17trampoline_kernelINS0_14default_configENS1_35radix_sort_onesweep_config_selectorIyyEEZNS1_34radix_sort_onesweep_global_offsetsIS3_Lb0EN6thrust23THRUST_200600_302600_NS6detail15normal_iteratorINS8_10device_ptrIyEEEESD_jNS0_19identity_decomposerEEE10hipError_tT1_T2_PT3_SI_jT4_jjP12ihipStream_tbEUlT_E0_NS1_11comp_targetILNS1_3genE6ELNS1_11target_archE950ELNS1_3gpuE13ELNS1_3repE0EEENS1_52radix_sort_onesweep_histogram_config_static_selectorELNS0_4arch9wavefront6targetE1EEEvSG_,@function
_ZN7rocprim17ROCPRIM_400000_NS6detail17trampoline_kernelINS0_14default_configENS1_35radix_sort_onesweep_config_selectorIyyEEZNS1_34radix_sort_onesweep_global_offsetsIS3_Lb0EN6thrust23THRUST_200600_302600_NS6detail15normal_iteratorINS8_10device_ptrIyEEEESD_jNS0_19identity_decomposerEEE10hipError_tT1_T2_PT3_SI_jT4_jjP12ihipStream_tbEUlT_E0_NS1_11comp_targetILNS1_3genE6ELNS1_11target_archE950ELNS1_3gpuE13ELNS1_3repE0EEENS1_52radix_sort_onesweep_histogram_config_static_selectorELNS0_4arch9wavefront6targetE1EEEvSG_: ; @_ZN7rocprim17ROCPRIM_400000_NS6detail17trampoline_kernelINS0_14default_configENS1_35radix_sort_onesweep_config_selectorIyyEEZNS1_34radix_sort_onesweep_global_offsetsIS3_Lb0EN6thrust23THRUST_200600_302600_NS6detail15normal_iteratorINS8_10device_ptrIyEEEESD_jNS0_19identity_decomposerEEE10hipError_tT1_T2_PT3_SI_jT4_jjP12ihipStream_tbEUlT_E0_NS1_11comp_targetILNS1_3genE6ELNS1_11target_archE950ELNS1_3gpuE13ELNS1_3repE0EEENS1_52radix_sort_onesweep_histogram_config_static_selectorELNS0_4arch9wavefront6targetE1EEEvSG_
; %bb.0:
	s_load_dwordx2 s[0:1], s[0:1], 0x0
	s_lshl_b32 s2, s2, 8
	s_mov_b32 s3, 0
	s_lshl_b64 s[2:3], s[2:3], 2
	v_lshlrev_b32_e32 v1, 2, v0
	s_waitcnt lgkmcnt(0)
	s_add_u32 s10, s0, s2
	s_movk_i32 s0, 0x100
	s_addc_u32 s11, s1, s3
	v_cmp_gt_u32_e32 vcc, s0, v0
                                        ; implicit-def: $vgpr3
	s_and_saveexec_b64 s[0:1], vcc
	s_cbranch_execz .LBB511_2
; %bb.1:
	global_load_dword v3, v1, s[10:11]
.LBB511_2:
	s_or_b64 exec, exec, s[0:1]
	v_mbcnt_lo_u32_b32 v2, -1, 0
	v_mbcnt_hi_u32_b32 v2, -1, v2
	v_and_b32_e32 v4, 15, v2
	s_waitcnt vmcnt(0)
	v_mov_b32_dpp v5, v3 row_shr:1 row_mask:0xf bank_mask:0xf
	v_cmp_eq_u32_e64 s[0:1], 0, v4
	v_cmp_lt_u32_e64 s[2:3], 1, v4
	v_cmp_lt_u32_e64 s[4:5], 3, v4
	v_cndmask_b32_e64 v5, v5, 0, s[0:1]
	v_add_u32_e32 v3, v5, v3
	v_cmp_lt_u32_e64 s[6:7], 7, v4
	v_cmp_lt_u32_e64 s[8:9], 31, v2
	v_mov_b32_dpp v5, v3 row_shr:2 row_mask:0xf bank_mask:0xf
	v_cndmask_b32_e64 v5, 0, v5, s[2:3]
	v_add_u32_e32 v3, v3, v5
	s_nop 1
	v_mov_b32_dpp v5, v3 row_shr:4 row_mask:0xf bank_mask:0xf
	v_cndmask_b32_e64 v5, 0, v5, s[4:5]
	v_add_u32_e32 v3, v3, v5
	s_nop 1
	v_mov_b32_dpp v5, v3 row_shr:8 row_mask:0xf bank_mask:0xf
	v_cndmask_b32_e64 v4, 0, v5, s[6:7]
	v_add_u32_e32 v3, v3, v4
	v_bfe_i32 v5, v2, 4, 1
	s_nop 0
	v_mov_b32_dpp v4, v3 row_bcast:15 row_mask:0xf bank_mask:0xf
	v_and_b32_e32 v4, v5, v4
	v_add_u32_e32 v3, v3, v4
	v_and_b32_e32 v5, 63, v0
	s_nop 0
	v_mov_b32_dpp v4, v3 row_bcast:31 row_mask:0xf bank_mask:0xf
	v_cndmask_b32_e64 v4, 0, v4, s[8:9]
	v_add_u32_e32 v3, v3, v4
	v_lshrrev_b32_e32 v4, 6, v0
	v_cmp_eq_u32_e64 s[8:9], 63, v5
	s_and_saveexec_b64 s[12:13], s[8:9]
; %bb.3:
	v_lshlrev_b32_e32 v5, 2, v4
	ds_write_b32 v5, v3
; %bb.4:
	s_or_b64 exec, exec, s[12:13]
	v_cmp_gt_u32_e64 s[8:9], 16, v0
	s_waitcnt lgkmcnt(0)
	s_barrier
	s_and_saveexec_b64 s[12:13], s[8:9]
	s_cbranch_execz .LBB511_6
; %bb.5:
	ds_read_b32 v5, v1
	s_waitcnt lgkmcnt(0)
	s_nop 0
	v_mov_b32_dpp v6, v5 row_shr:1 row_mask:0xf bank_mask:0xf
	v_cndmask_b32_e64 v6, v6, 0, s[0:1]
	v_add_u32_e32 v5, v6, v5
	s_nop 1
	v_mov_b32_dpp v6, v5 row_shr:2 row_mask:0xf bank_mask:0xf
	v_cndmask_b32_e64 v6, 0, v6, s[2:3]
	v_add_u32_e32 v5, v5, v6
	;; [unrolled: 4-line block ×4, first 2 shown]
	ds_write_b32 v1, v5
.LBB511_6:
	s_or_b64 exec, exec, s[12:13]
	v_cmp_lt_u32_e64 s[0:1], 63, v0
	v_mov_b32_e32 v0, 0
	s_waitcnt lgkmcnt(0)
	s_barrier
	s_and_saveexec_b64 s[2:3], s[0:1]
; %bb.7:
	v_lshl_add_u32 v0, v4, 2, -4
	ds_read_b32 v0, v0
; %bb.8:
	s_or_b64 exec, exec, s[2:3]
	v_add_u32_e32 v4, -1, v2
	v_and_b32_e32 v5, 64, v2
	v_cmp_lt_i32_e64 s[0:1], v4, v5
	s_waitcnt lgkmcnt(0)
	v_add_u32_e32 v3, v0, v3
	v_cndmask_b32_e64 v4, v4, v2, s[0:1]
	v_lshlrev_b32_e32 v4, 2, v4
	ds_bpermute_b32 v3, v4, v3
	s_and_saveexec_b64 s[0:1], vcc
	s_cbranch_execz .LBB511_10
; %bb.9:
	v_cmp_eq_u32_e32 vcc, 0, v2
	s_waitcnt lgkmcnt(0)
	s_nop 0
	v_cndmask_b32_e32 v0, v3, v0, vcc
	global_store_dword v1, v0, s[10:11]
.LBB511_10:
	s_endpgm
	.section	.rodata,"a",@progbits
	.p2align	6, 0x0
	.amdhsa_kernel _ZN7rocprim17ROCPRIM_400000_NS6detail17trampoline_kernelINS0_14default_configENS1_35radix_sort_onesweep_config_selectorIyyEEZNS1_34radix_sort_onesweep_global_offsetsIS3_Lb0EN6thrust23THRUST_200600_302600_NS6detail15normal_iteratorINS8_10device_ptrIyEEEESD_jNS0_19identity_decomposerEEE10hipError_tT1_T2_PT3_SI_jT4_jjP12ihipStream_tbEUlT_E0_NS1_11comp_targetILNS1_3genE6ELNS1_11target_archE950ELNS1_3gpuE13ELNS1_3repE0EEENS1_52radix_sort_onesweep_histogram_config_static_selectorELNS0_4arch9wavefront6targetE1EEEvSG_
		.amdhsa_group_segment_fixed_size 64
		.amdhsa_private_segment_fixed_size 0
		.amdhsa_kernarg_size 8
		.amdhsa_user_sgpr_count 2
		.amdhsa_user_sgpr_dispatch_ptr 0
		.amdhsa_user_sgpr_queue_ptr 0
		.amdhsa_user_sgpr_kernarg_segment_ptr 1
		.amdhsa_user_sgpr_dispatch_id 0
		.amdhsa_user_sgpr_kernarg_preload_length 0
		.amdhsa_user_sgpr_kernarg_preload_offset 0
		.amdhsa_user_sgpr_private_segment_size 0
		.amdhsa_uses_dynamic_stack 0
		.amdhsa_enable_private_segment 0
		.amdhsa_system_sgpr_workgroup_id_x 1
		.amdhsa_system_sgpr_workgroup_id_y 0
		.amdhsa_system_sgpr_workgroup_id_z 0
		.amdhsa_system_sgpr_workgroup_info 0
		.amdhsa_system_vgpr_workitem_id 0
		.amdhsa_next_free_vgpr 7
		.amdhsa_next_free_sgpr 14
		.amdhsa_accum_offset 8
		.amdhsa_reserve_vcc 1
		.amdhsa_float_round_mode_32 0
		.amdhsa_float_round_mode_16_64 0
		.amdhsa_float_denorm_mode_32 3
		.amdhsa_float_denorm_mode_16_64 3
		.amdhsa_dx10_clamp 1
		.amdhsa_ieee_mode 1
		.amdhsa_fp16_overflow 0
		.amdhsa_tg_split 0
		.amdhsa_exception_fp_ieee_invalid_op 0
		.amdhsa_exception_fp_denorm_src 0
		.amdhsa_exception_fp_ieee_div_zero 0
		.amdhsa_exception_fp_ieee_overflow 0
		.amdhsa_exception_fp_ieee_underflow 0
		.amdhsa_exception_fp_ieee_inexact 0
		.amdhsa_exception_int_div_zero 0
	.end_amdhsa_kernel
	.section	.text._ZN7rocprim17ROCPRIM_400000_NS6detail17trampoline_kernelINS0_14default_configENS1_35radix_sort_onesweep_config_selectorIyyEEZNS1_34radix_sort_onesweep_global_offsetsIS3_Lb0EN6thrust23THRUST_200600_302600_NS6detail15normal_iteratorINS8_10device_ptrIyEEEESD_jNS0_19identity_decomposerEEE10hipError_tT1_T2_PT3_SI_jT4_jjP12ihipStream_tbEUlT_E0_NS1_11comp_targetILNS1_3genE6ELNS1_11target_archE950ELNS1_3gpuE13ELNS1_3repE0EEENS1_52radix_sort_onesweep_histogram_config_static_selectorELNS0_4arch9wavefront6targetE1EEEvSG_,"axG",@progbits,_ZN7rocprim17ROCPRIM_400000_NS6detail17trampoline_kernelINS0_14default_configENS1_35radix_sort_onesweep_config_selectorIyyEEZNS1_34radix_sort_onesweep_global_offsetsIS3_Lb0EN6thrust23THRUST_200600_302600_NS6detail15normal_iteratorINS8_10device_ptrIyEEEESD_jNS0_19identity_decomposerEEE10hipError_tT1_T2_PT3_SI_jT4_jjP12ihipStream_tbEUlT_E0_NS1_11comp_targetILNS1_3genE6ELNS1_11target_archE950ELNS1_3gpuE13ELNS1_3repE0EEENS1_52radix_sort_onesweep_histogram_config_static_selectorELNS0_4arch9wavefront6targetE1EEEvSG_,comdat
.Lfunc_end511:
	.size	_ZN7rocprim17ROCPRIM_400000_NS6detail17trampoline_kernelINS0_14default_configENS1_35radix_sort_onesweep_config_selectorIyyEEZNS1_34radix_sort_onesweep_global_offsetsIS3_Lb0EN6thrust23THRUST_200600_302600_NS6detail15normal_iteratorINS8_10device_ptrIyEEEESD_jNS0_19identity_decomposerEEE10hipError_tT1_T2_PT3_SI_jT4_jjP12ihipStream_tbEUlT_E0_NS1_11comp_targetILNS1_3genE6ELNS1_11target_archE950ELNS1_3gpuE13ELNS1_3repE0EEENS1_52radix_sort_onesweep_histogram_config_static_selectorELNS0_4arch9wavefront6targetE1EEEvSG_, .Lfunc_end511-_ZN7rocprim17ROCPRIM_400000_NS6detail17trampoline_kernelINS0_14default_configENS1_35radix_sort_onesweep_config_selectorIyyEEZNS1_34radix_sort_onesweep_global_offsetsIS3_Lb0EN6thrust23THRUST_200600_302600_NS6detail15normal_iteratorINS8_10device_ptrIyEEEESD_jNS0_19identity_decomposerEEE10hipError_tT1_T2_PT3_SI_jT4_jjP12ihipStream_tbEUlT_E0_NS1_11comp_targetILNS1_3genE6ELNS1_11target_archE950ELNS1_3gpuE13ELNS1_3repE0EEENS1_52radix_sort_onesweep_histogram_config_static_selectorELNS0_4arch9wavefront6targetE1EEEvSG_
                                        ; -- End function
	.set _ZN7rocprim17ROCPRIM_400000_NS6detail17trampoline_kernelINS0_14default_configENS1_35radix_sort_onesweep_config_selectorIyyEEZNS1_34radix_sort_onesweep_global_offsetsIS3_Lb0EN6thrust23THRUST_200600_302600_NS6detail15normal_iteratorINS8_10device_ptrIyEEEESD_jNS0_19identity_decomposerEEE10hipError_tT1_T2_PT3_SI_jT4_jjP12ihipStream_tbEUlT_E0_NS1_11comp_targetILNS1_3genE6ELNS1_11target_archE950ELNS1_3gpuE13ELNS1_3repE0EEENS1_52radix_sort_onesweep_histogram_config_static_selectorELNS0_4arch9wavefront6targetE1EEEvSG_.num_vgpr, 7
	.set _ZN7rocprim17ROCPRIM_400000_NS6detail17trampoline_kernelINS0_14default_configENS1_35radix_sort_onesweep_config_selectorIyyEEZNS1_34radix_sort_onesweep_global_offsetsIS3_Lb0EN6thrust23THRUST_200600_302600_NS6detail15normal_iteratorINS8_10device_ptrIyEEEESD_jNS0_19identity_decomposerEEE10hipError_tT1_T2_PT3_SI_jT4_jjP12ihipStream_tbEUlT_E0_NS1_11comp_targetILNS1_3genE6ELNS1_11target_archE950ELNS1_3gpuE13ELNS1_3repE0EEENS1_52radix_sort_onesweep_histogram_config_static_selectorELNS0_4arch9wavefront6targetE1EEEvSG_.num_agpr, 0
	.set _ZN7rocprim17ROCPRIM_400000_NS6detail17trampoline_kernelINS0_14default_configENS1_35radix_sort_onesweep_config_selectorIyyEEZNS1_34radix_sort_onesweep_global_offsetsIS3_Lb0EN6thrust23THRUST_200600_302600_NS6detail15normal_iteratorINS8_10device_ptrIyEEEESD_jNS0_19identity_decomposerEEE10hipError_tT1_T2_PT3_SI_jT4_jjP12ihipStream_tbEUlT_E0_NS1_11comp_targetILNS1_3genE6ELNS1_11target_archE950ELNS1_3gpuE13ELNS1_3repE0EEENS1_52radix_sort_onesweep_histogram_config_static_selectorELNS0_4arch9wavefront6targetE1EEEvSG_.numbered_sgpr, 14
	.set _ZN7rocprim17ROCPRIM_400000_NS6detail17trampoline_kernelINS0_14default_configENS1_35radix_sort_onesweep_config_selectorIyyEEZNS1_34radix_sort_onesweep_global_offsetsIS3_Lb0EN6thrust23THRUST_200600_302600_NS6detail15normal_iteratorINS8_10device_ptrIyEEEESD_jNS0_19identity_decomposerEEE10hipError_tT1_T2_PT3_SI_jT4_jjP12ihipStream_tbEUlT_E0_NS1_11comp_targetILNS1_3genE6ELNS1_11target_archE950ELNS1_3gpuE13ELNS1_3repE0EEENS1_52radix_sort_onesweep_histogram_config_static_selectorELNS0_4arch9wavefront6targetE1EEEvSG_.num_named_barrier, 0
	.set _ZN7rocprim17ROCPRIM_400000_NS6detail17trampoline_kernelINS0_14default_configENS1_35radix_sort_onesweep_config_selectorIyyEEZNS1_34radix_sort_onesweep_global_offsetsIS3_Lb0EN6thrust23THRUST_200600_302600_NS6detail15normal_iteratorINS8_10device_ptrIyEEEESD_jNS0_19identity_decomposerEEE10hipError_tT1_T2_PT3_SI_jT4_jjP12ihipStream_tbEUlT_E0_NS1_11comp_targetILNS1_3genE6ELNS1_11target_archE950ELNS1_3gpuE13ELNS1_3repE0EEENS1_52radix_sort_onesweep_histogram_config_static_selectorELNS0_4arch9wavefront6targetE1EEEvSG_.private_seg_size, 0
	.set _ZN7rocprim17ROCPRIM_400000_NS6detail17trampoline_kernelINS0_14default_configENS1_35radix_sort_onesweep_config_selectorIyyEEZNS1_34radix_sort_onesweep_global_offsetsIS3_Lb0EN6thrust23THRUST_200600_302600_NS6detail15normal_iteratorINS8_10device_ptrIyEEEESD_jNS0_19identity_decomposerEEE10hipError_tT1_T2_PT3_SI_jT4_jjP12ihipStream_tbEUlT_E0_NS1_11comp_targetILNS1_3genE6ELNS1_11target_archE950ELNS1_3gpuE13ELNS1_3repE0EEENS1_52radix_sort_onesweep_histogram_config_static_selectorELNS0_4arch9wavefront6targetE1EEEvSG_.uses_vcc, 1
	.set _ZN7rocprim17ROCPRIM_400000_NS6detail17trampoline_kernelINS0_14default_configENS1_35radix_sort_onesweep_config_selectorIyyEEZNS1_34radix_sort_onesweep_global_offsetsIS3_Lb0EN6thrust23THRUST_200600_302600_NS6detail15normal_iteratorINS8_10device_ptrIyEEEESD_jNS0_19identity_decomposerEEE10hipError_tT1_T2_PT3_SI_jT4_jjP12ihipStream_tbEUlT_E0_NS1_11comp_targetILNS1_3genE6ELNS1_11target_archE950ELNS1_3gpuE13ELNS1_3repE0EEENS1_52radix_sort_onesweep_histogram_config_static_selectorELNS0_4arch9wavefront6targetE1EEEvSG_.uses_flat_scratch, 0
	.set _ZN7rocprim17ROCPRIM_400000_NS6detail17trampoline_kernelINS0_14default_configENS1_35radix_sort_onesweep_config_selectorIyyEEZNS1_34radix_sort_onesweep_global_offsetsIS3_Lb0EN6thrust23THRUST_200600_302600_NS6detail15normal_iteratorINS8_10device_ptrIyEEEESD_jNS0_19identity_decomposerEEE10hipError_tT1_T2_PT3_SI_jT4_jjP12ihipStream_tbEUlT_E0_NS1_11comp_targetILNS1_3genE6ELNS1_11target_archE950ELNS1_3gpuE13ELNS1_3repE0EEENS1_52radix_sort_onesweep_histogram_config_static_selectorELNS0_4arch9wavefront6targetE1EEEvSG_.has_dyn_sized_stack, 0
	.set _ZN7rocprim17ROCPRIM_400000_NS6detail17trampoline_kernelINS0_14default_configENS1_35radix_sort_onesweep_config_selectorIyyEEZNS1_34radix_sort_onesweep_global_offsetsIS3_Lb0EN6thrust23THRUST_200600_302600_NS6detail15normal_iteratorINS8_10device_ptrIyEEEESD_jNS0_19identity_decomposerEEE10hipError_tT1_T2_PT3_SI_jT4_jjP12ihipStream_tbEUlT_E0_NS1_11comp_targetILNS1_3genE6ELNS1_11target_archE950ELNS1_3gpuE13ELNS1_3repE0EEENS1_52radix_sort_onesweep_histogram_config_static_selectorELNS0_4arch9wavefront6targetE1EEEvSG_.has_recursion, 0
	.set _ZN7rocprim17ROCPRIM_400000_NS6detail17trampoline_kernelINS0_14default_configENS1_35radix_sort_onesweep_config_selectorIyyEEZNS1_34radix_sort_onesweep_global_offsetsIS3_Lb0EN6thrust23THRUST_200600_302600_NS6detail15normal_iteratorINS8_10device_ptrIyEEEESD_jNS0_19identity_decomposerEEE10hipError_tT1_T2_PT3_SI_jT4_jjP12ihipStream_tbEUlT_E0_NS1_11comp_targetILNS1_3genE6ELNS1_11target_archE950ELNS1_3gpuE13ELNS1_3repE0EEENS1_52radix_sort_onesweep_histogram_config_static_selectorELNS0_4arch9wavefront6targetE1EEEvSG_.has_indirect_call, 0
	.section	.AMDGPU.csdata,"",@progbits
; Kernel info:
; codeLenInByte = 572
; TotalNumSgprs: 20
; NumVgprs: 7
; NumAgprs: 0
; TotalNumVgprs: 7
; ScratchSize: 0
; MemoryBound: 0
; FloatMode: 240
; IeeeMode: 1
; LDSByteSize: 64 bytes/workgroup (compile time only)
; SGPRBlocks: 2
; VGPRBlocks: 0
; NumSGPRsForWavesPerEU: 20
; NumVGPRsForWavesPerEU: 7
; AccumOffset: 8
; Occupancy: 8
; WaveLimiterHint : 0
; COMPUTE_PGM_RSRC2:SCRATCH_EN: 0
; COMPUTE_PGM_RSRC2:USER_SGPR: 2
; COMPUTE_PGM_RSRC2:TRAP_HANDLER: 0
; COMPUTE_PGM_RSRC2:TGID_X_EN: 1
; COMPUTE_PGM_RSRC2:TGID_Y_EN: 0
; COMPUTE_PGM_RSRC2:TGID_Z_EN: 0
; COMPUTE_PGM_RSRC2:TIDIG_COMP_CNT: 0
; COMPUTE_PGM_RSRC3_GFX90A:ACCUM_OFFSET: 1
; COMPUTE_PGM_RSRC3_GFX90A:TG_SPLIT: 0
	.section	.text._ZN7rocprim17ROCPRIM_400000_NS6detail17trampoline_kernelINS0_14default_configENS1_35radix_sort_onesweep_config_selectorIyyEEZNS1_34radix_sort_onesweep_global_offsetsIS3_Lb0EN6thrust23THRUST_200600_302600_NS6detail15normal_iteratorINS8_10device_ptrIyEEEESD_jNS0_19identity_decomposerEEE10hipError_tT1_T2_PT3_SI_jT4_jjP12ihipStream_tbEUlT_E0_NS1_11comp_targetILNS1_3genE5ELNS1_11target_archE942ELNS1_3gpuE9ELNS1_3repE0EEENS1_52radix_sort_onesweep_histogram_config_static_selectorELNS0_4arch9wavefront6targetE1EEEvSG_,"axG",@progbits,_ZN7rocprim17ROCPRIM_400000_NS6detail17trampoline_kernelINS0_14default_configENS1_35radix_sort_onesweep_config_selectorIyyEEZNS1_34radix_sort_onesweep_global_offsetsIS3_Lb0EN6thrust23THRUST_200600_302600_NS6detail15normal_iteratorINS8_10device_ptrIyEEEESD_jNS0_19identity_decomposerEEE10hipError_tT1_T2_PT3_SI_jT4_jjP12ihipStream_tbEUlT_E0_NS1_11comp_targetILNS1_3genE5ELNS1_11target_archE942ELNS1_3gpuE9ELNS1_3repE0EEENS1_52radix_sort_onesweep_histogram_config_static_selectorELNS0_4arch9wavefront6targetE1EEEvSG_,comdat
	.protected	_ZN7rocprim17ROCPRIM_400000_NS6detail17trampoline_kernelINS0_14default_configENS1_35radix_sort_onesweep_config_selectorIyyEEZNS1_34radix_sort_onesweep_global_offsetsIS3_Lb0EN6thrust23THRUST_200600_302600_NS6detail15normal_iteratorINS8_10device_ptrIyEEEESD_jNS0_19identity_decomposerEEE10hipError_tT1_T2_PT3_SI_jT4_jjP12ihipStream_tbEUlT_E0_NS1_11comp_targetILNS1_3genE5ELNS1_11target_archE942ELNS1_3gpuE9ELNS1_3repE0EEENS1_52radix_sort_onesweep_histogram_config_static_selectorELNS0_4arch9wavefront6targetE1EEEvSG_ ; -- Begin function _ZN7rocprim17ROCPRIM_400000_NS6detail17trampoline_kernelINS0_14default_configENS1_35radix_sort_onesweep_config_selectorIyyEEZNS1_34radix_sort_onesweep_global_offsetsIS3_Lb0EN6thrust23THRUST_200600_302600_NS6detail15normal_iteratorINS8_10device_ptrIyEEEESD_jNS0_19identity_decomposerEEE10hipError_tT1_T2_PT3_SI_jT4_jjP12ihipStream_tbEUlT_E0_NS1_11comp_targetILNS1_3genE5ELNS1_11target_archE942ELNS1_3gpuE9ELNS1_3repE0EEENS1_52radix_sort_onesweep_histogram_config_static_selectorELNS0_4arch9wavefront6targetE1EEEvSG_
	.globl	_ZN7rocprim17ROCPRIM_400000_NS6detail17trampoline_kernelINS0_14default_configENS1_35radix_sort_onesweep_config_selectorIyyEEZNS1_34radix_sort_onesweep_global_offsetsIS3_Lb0EN6thrust23THRUST_200600_302600_NS6detail15normal_iteratorINS8_10device_ptrIyEEEESD_jNS0_19identity_decomposerEEE10hipError_tT1_T2_PT3_SI_jT4_jjP12ihipStream_tbEUlT_E0_NS1_11comp_targetILNS1_3genE5ELNS1_11target_archE942ELNS1_3gpuE9ELNS1_3repE0EEENS1_52radix_sort_onesweep_histogram_config_static_selectorELNS0_4arch9wavefront6targetE1EEEvSG_
	.p2align	8
	.type	_ZN7rocprim17ROCPRIM_400000_NS6detail17trampoline_kernelINS0_14default_configENS1_35radix_sort_onesweep_config_selectorIyyEEZNS1_34radix_sort_onesweep_global_offsetsIS3_Lb0EN6thrust23THRUST_200600_302600_NS6detail15normal_iteratorINS8_10device_ptrIyEEEESD_jNS0_19identity_decomposerEEE10hipError_tT1_T2_PT3_SI_jT4_jjP12ihipStream_tbEUlT_E0_NS1_11comp_targetILNS1_3genE5ELNS1_11target_archE942ELNS1_3gpuE9ELNS1_3repE0EEENS1_52radix_sort_onesweep_histogram_config_static_selectorELNS0_4arch9wavefront6targetE1EEEvSG_,@function
_ZN7rocprim17ROCPRIM_400000_NS6detail17trampoline_kernelINS0_14default_configENS1_35radix_sort_onesweep_config_selectorIyyEEZNS1_34radix_sort_onesweep_global_offsetsIS3_Lb0EN6thrust23THRUST_200600_302600_NS6detail15normal_iteratorINS8_10device_ptrIyEEEESD_jNS0_19identity_decomposerEEE10hipError_tT1_T2_PT3_SI_jT4_jjP12ihipStream_tbEUlT_E0_NS1_11comp_targetILNS1_3genE5ELNS1_11target_archE942ELNS1_3gpuE9ELNS1_3repE0EEENS1_52radix_sort_onesweep_histogram_config_static_selectorELNS0_4arch9wavefront6targetE1EEEvSG_: ; @_ZN7rocprim17ROCPRIM_400000_NS6detail17trampoline_kernelINS0_14default_configENS1_35radix_sort_onesweep_config_selectorIyyEEZNS1_34radix_sort_onesweep_global_offsetsIS3_Lb0EN6thrust23THRUST_200600_302600_NS6detail15normal_iteratorINS8_10device_ptrIyEEEESD_jNS0_19identity_decomposerEEE10hipError_tT1_T2_PT3_SI_jT4_jjP12ihipStream_tbEUlT_E0_NS1_11comp_targetILNS1_3genE5ELNS1_11target_archE942ELNS1_3gpuE9ELNS1_3repE0EEENS1_52radix_sort_onesweep_histogram_config_static_selectorELNS0_4arch9wavefront6targetE1EEEvSG_
; %bb.0:
	.section	.rodata,"a",@progbits
	.p2align	6, 0x0
	.amdhsa_kernel _ZN7rocprim17ROCPRIM_400000_NS6detail17trampoline_kernelINS0_14default_configENS1_35radix_sort_onesweep_config_selectorIyyEEZNS1_34radix_sort_onesweep_global_offsetsIS3_Lb0EN6thrust23THRUST_200600_302600_NS6detail15normal_iteratorINS8_10device_ptrIyEEEESD_jNS0_19identity_decomposerEEE10hipError_tT1_T2_PT3_SI_jT4_jjP12ihipStream_tbEUlT_E0_NS1_11comp_targetILNS1_3genE5ELNS1_11target_archE942ELNS1_3gpuE9ELNS1_3repE0EEENS1_52radix_sort_onesweep_histogram_config_static_selectorELNS0_4arch9wavefront6targetE1EEEvSG_
		.amdhsa_group_segment_fixed_size 0
		.amdhsa_private_segment_fixed_size 0
		.amdhsa_kernarg_size 8
		.amdhsa_user_sgpr_count 2
		.amdhsa_user_sgpr_dispatch_ptr 0
		.amdhsa_user_sgpr_queue_ptr 0
		.amdhsa_user_sgpr_kernarg_segment_ptr 1
		.amdhsa_user_sgpr_dispatch_id 0
		.amdhsa_user_sgpr_kernarg_preload_length 0
		.amdhsa_user_sgpr_kernarg_preload_offset 0
		.amdhsa_user_sgpr_private_segment_size 0
		.amdhsa_uses_dynamic_stack 0
		.amdhsa_enable_private_segment 0
		.amdhsa_system_sgpr_workgroup_id_x 1
		.amdhsa_system_sgpr_workgroup_id_y 0
		.amdhsa_system_sgpr_workgroup_id_z 0
		.amdhsa_system_sgpr_workgroup_info 0
		.amdhsa_system_vgpr_workitem_id 0
		.amdhsa_next_free_vgpr 1
		.amdhsa_next_free_sgpr 0
		.amdhsa_accum_offset 4
		.amdhsa_reserve_vcc 0
		.amdhsa_float_round_mode_32 0
		.amdhsa_float_round_mode_16_64 0
		.amdhsa_float_denorm_mode_32 3
		.amdhsa_float_denorm_mode_16_64 3
		.amdhsa_dx10_clamp 1
		.amdhsa_ieee_mode 1
		.amdhsa_fp16_overflow 0
		.amdhsa_tg_split 0
		.amdhsa_exception_fp_ieee_invalid_op 0
		.amdhsa_exception_fp_denorm_src 0
		.amdhsa_exception_fp_ieee_div_zero 0
		.amdhsa_exception_fp_ieee_overflow 0
		.amdhsa_exception_fp_ieee_underflow 0
		.amdhsa_exception_fp_ieee_inexact 0
		.amdhsa_exception_int_div_zero 0
	.end_amdhsa_kernel
	.section	.text._ZN7rocprim17ROCPRIM_400000_NS6detail17trampoline_kernelINS0_14default_configENS1_35radix_sort_onesweep_config_selectorIyyEEZNS1_34radix_sort_onesweep_global_offsetsIS3_Lb0EN6thrust23THRUST_200600_302600_NS6detail15normal_iteratorINS8_10device_ptrIyEEEESD_jNS0_19identity_decomposerEEE10hipError_tT1_T2_PT3_SI_jT4_jjP12ihipStream_tbEUlT_E0_NS1_11comp_targetILNS1_3genE5ELNS1_11target_archE942ELNS1_3gpuE9ELNS1_3repE0EEENS1_52radix_sort_onesweep_histogram_config_static_selectorELNS0_4arch9wavefront6targetE1EEEvSG_,"axG",@progbits,_ZN7rocprim17ROCPRIM_400000_NS6detail17trampoline_kernelINS0_14default_configENS1_35radix_sort_onesweep_config_selectorIyyEEZNS1_34radix_sort_onesweep_global_offsetsIS3_Lb0EN6thrust23THRUST_200600_302600_NS6detail15normal_iteratorINS8_10device_ptrIyEEEESD_jNS0_19identity_decomposerEEE10hipError_tT1_T2_PT3_SI_jT4_jjP12ihipStream_tbEUlT_E0_NS1_11comp_targetILNS1_3genE5ELNS1_11target_archE942ELNS1_3gpuE9ELNS1_3repE0EEENS1_52radix_sort_onesweep_histogram_config_static_selectorELNS0_4arch9wavefront6targetE1EEEvSG_,comdat
.Lfunc_end512:
	.size	_ZN7rocprim17ROCPRIM_400000_NS6detail17trampoline_kernelINS0_14default_configENS1_35radix_sort_onesweep_config_selectorIyyEEZNS1_34radix_sort_onesweep_global_offsetsIS3_Lb0EN6thrust23THRUST_200600_302600_NS6detail15normal_iteratorINS8_10device_ptrIyEEEESD_jNS0_19identity_decomposerEEE10hipError_tT1_T2_PT3_SI_jT4_jjP12ihipStream_tbEUlT_E0_NS1_11comp_targetILNS1_3genE5ELNS1_11target_archE942ELNS1_3gpuE9ELNS1_3repE0EEENS1_52radix_sort_onesweep_histogram_config_static_selectorELNS0_4arch9wavefront6targetE1EEEvSG_, .Lfunc_end512-_ZN7rocprim17ROCPRIM_400000_NS6detail17trampoline_kernelINS0_14default_configENS1_35radix_sort_onesweep_config_selectorIyyEEZNS1_34radix_sort_onesweep_global_offsetsIS3_Lb0EN6thrust23THRUST_200600_302600_NS6detail15normal_iteratorINS8_10device_ptrIyEEEESD_jNS0_19identity_decomposerEEE10hipError_tT1_T2_PT3_SI_jT4_jjP12ihipStream_tbEUlT_E0_NS1_11comp_targetILNS1_3genE5ELNS1_11target_archE942ELNS1_3gpuE9ELNS1_3repE0EEENS1_52radix_sort_onesweep_histogram_config_static_selectorELNS0_4arch9wavefront6targetE1EEEvSG_
                                        ; -- End function
	.set _ZN7rocprim17ROCPRIM_400000_NS6detail17trampoline_kernelINS0_14default_configENS1_35radix_sort_onesweep_config_selectorIyyEEZNS1_34radix_sort_onesweep_global_offsetsIS3_Lb0EN6thrust23THRUST_200600_302600_NS6detail15normal_iteratorINS8_10device_ptrIyEEEESD_jNS0_19identity_decomposerEEE10hipError_tT1_T2_PT3_SI_jT4_jjP12ihipStream_tbEUlT_E0_NS1_11comp_targetILNS1_3genE5ELNS1_11target_archE942ELNS1_3gpuE9ELNS1_3repE0EEENS1_52radix_sort_onesweep_histogram_config_static_selectorELNS0_4arch9wavefront6targetE1EEEvSG_.num_vgpr, 0
	.set _ZN7rocprim17ROCPRIM_400000_NS6detail17trampoline_kernelINS0_14default_configENS1_35radix_sort_onesweep_config_selectorIyyEEZNS1_34radix_sort_onesweep_global_offsetsIS3_Lb0EN6thrust23THRUST_200600_302600_NS6detail15normal_iteratorINS8_10device_ptrIyEEEESD_jNS0_19identity_decomposerEEE10hipError_tT1_T2_PT3_SI_jT4_jjP12ihipStream_tbEUlT_E0_NS1_11comp_targetILNS1_3genE5ELNS1_11target_archE942ELNS1_3gpuE9ELNS1_3repE0EEENS1_52radix_sort_onesweep_histogram_config_static_selectorELNS0_4arch9wavefront6targetE1EEEvSG_.num_agpr, 0
	.set _ZN7rocprim17ROCPRIM_400000_NS6detail17trampoline_kernelINS0_14default_configENS1_35radix_sort_onesweep_config_selectorIyyEEZNS1_34radix_sort_onesweep_global_offsetsIS3_Lb0EN6thrust23THRUST_200600_302600_NS6detail15normal_iteratorINS8_10device_ptrIyEEEESD_jNS0_19identity_decomposerEEE10hipError_tT1_T2_PT3_SI_jT4_jjP12ihipStream_tbEUlT_E0_NS1_11comp_targetILNS1_3genE5ELNS1_11target_archE942ELNS1_3gpuE9ELNS1_3repE0EEENS1_52radix_sort_onesweep_histogram_config_static_selectorELNS0_4arch9wavefront6targetE1EEEvSG_.numbered_sgpr, 0
	.set _ZN7rocprim17ROCPRIM_400000_NS6detail17trampoline_kernelINS0_14default_configENS1_35radix_sort_onesweep_config_selectorIyyEEZNS1_34radix_sort_onesweep_global_offsetsIS3_Lb0EN6thrust23THRUST_200600_302600_NS6detail15normal_iteratorINS8_10device_ptrIyEEEESD_jNS0_19identity_decomposerEEE10hipError_tT1_T2_PT3_SI_jT4_jjP12ihipStream_tbEUlT_E0_NS1_11comp_targetILNS1_3genE5ELNS1_11target_archE942ELNS1_3gpuE9ELNS1_3repE0EEENS1_52radix_sort_onesweep_histogram_config_static_selectorELNS0_4arch9wavefront6targetE1EEEvSG_.num_named_barrier, 0
	.set _ZN7rocprim17ROCPRIM_400000_NS6detail17trampoline_kernelINS0_14default_configENS1_35radix_sort_onesweep_config_selectorIyyEEZNS1_34radix_sort_onesweep_global_offsetsIS3_Lb0EN6thrust23THRUST_200600_302600_NS6detail15normal_iteratorINS8_10device_ptrIyEEEESD_jNS0_19identity_decomposerEEE10hipError_tT1_T2_PT3_SI_jT4_jjP12ihipStream_tbEUlT_E0_NS1_11comp_targetILNS1_3genE5ELNS1_11target_archE942ELNS1_3gpuE9ELNS1_3repE0EEENS1_52radix_sort_onesweep_histogram_config_static_selectorELNS0_4arch9wavefront6targetE1EEEvSG_.private_seg_size, 0
	.set _ZN7rocprim17ROCPRIM_400000_NS6detail17trampoline_kernelINS0_14default_configENS1_35radix_sort_onesweep_config_selectorIyyEEZNS1_34radix_sort_onesweep_global_offsetsIS3_Lb0EN6thrust23THRUST_200600_302600_NS6detail15normal_iteratorINS8_10device_ptrIyEEEESD_jNS0_19identity_decomposerEEE10hipError_tT1_T2_PT3_SI_jT4_jjP12ihipStream_tbEUlT_E0_NS1_11comp_targetILNS1_3genE5ELNS1_11target_archE942ELNS1_3gpuE9ELNS1_3repE0EEENS1_52radix_sort_onesweep_histogram_config_static_selectorELNS0_4arch9wavefront6targetE1EEEvSG_.uses_vcc, 0
	.set _ZN7rocprim17ROCPRIM_400000_NS6detail17trampoline_kernelINS0_14default_configENS1_35radix_sort_onesweep_config_selectorIyyEEZNS1_34radix_sort_onesweep_global_offsetsIS3_Lb0EN6thrust23THRUST_200600_302600_NS6detail15normal_iteratorINS8_10device_ptrIyEEEESD_jNS0_19identity_decomposerEEE10hipError_tT1_T2_PT3_SI_jT4_jjP12ihipStream_tbEUlT_E0_NS1_11comp_targetILNS1_3genE5ELNS1_11target_archE942ELNS1_3gpuE9ELNS1_3repE0EEENS1_52radix_sort_onesweep_histogram_config_static_selectorELNS0_4arch9wavefront6targetE1EEEvSG_.uses_flat_scratch, 0
	.set _ZN7rocprim17ROCPRIM_400000_NS6detail17trampoline_kernelINS0_14default_configENS1_35radix_sort_onesweep_config_selectorIyyEEZNS1_34radix_sort_onesweep_global_offsetsIS3_Lb0EN6thrust23THRUST_200600_302600_NS6detail15normal_iteratorINS8_10device_ptrIyEEEESD_jNS0_19identity_decomposerEEE10hipError_tT1_T2_PT3_SI_jT4_jjP12ihipStream_tbEUlT_E0_NS1_11comp_targetILNS1_3genE5ELNS1_11target_archE942ELNS1_3gpuE9ELNS1_3repE0EEENS1_52radix_sort_onesweep_histogram_config_static_selectorELNS0_4arch9wavefront6targetE1EEEvSG_.has_dyn_sized_stack, 0
	.set _ZN7rocprim17ROCPRIM_400000_NS6detail17trampoline_kernelINS0_14default_configENS1_35radix_sort_onesweep_config_selectorIyyEEZNS1_34radix_sort_onesweep_global_offsetsIS3_Lb0EN6thrust23THRUST_200600_302600_NS6detail15normal_iteratorINS8_10device_ptrIyEEEESD_jNS0_19identity_decomposerEEE10hipError_tT1_T2_PT3_SI_jT4_jjP12ihipStream_tbEUlT_E0_NS1_11comp_targetILNS1_3genE5ELNS1_11target_archE942ELNS1_3gpuE9ELNS1_3repE0EEENS1_52radix_sort_onesweep_histogram_config_static_selectorELNS0_4arch9wavefront6targetE1EEEvSG_.has_recursion, 0
	.set _ZN7rocprim17ROCPRIM_400000_NS6detail17trampoline_kernelINS0_14default_configENS1_35radix_sort_onesweep_config_selectorIyyEEZNS1_34radix_sort_onesweep_global_offsetsIS3_Lb0EN6thrust23THRUST_200600_302600_NS6detail15normal_iteratorINS8_10device_ptrIyEEEESD_jNS0_19identity_decomposerEEE10hipError_tT1_T2_PT3_SI_jT4_jjP12ihipStream_tbEUlT_E0_NS1_11comp_targetILNS1_3genE5ELNS1_11target_archE942ELNS1_3gpuE9ELNS1_3repE0EEENS1_52radix_sort_onesweep_histogram_config_static_selectorELNS0_4arch9wavefront6targetE1EEEvSG_.has_indirect_call, 0
	.section	.AMDGPU.csdata,"",@progbits
; Kernel info:
; codeLenInByte = 0
; TotalNumSgprs: 6
; NumVgprs: 0
; NumAgprs: 0
; TotalNumVgprs: 0
; ScratchSize: 0
; MemoryBound: 0
; FloatMode: 240
; IeeeMode: 1
; LDSByteSize: 0 bytes/workgroup (compile time only)
; SGPRBlocks: 0
; VGPRBlocks: 0
; NumSGPRsForWavesPerEU: 6
; NumVGPRsForWavesPerEU: 1
; AccumOffset: 4
; Occupancy: 8
; WaveLimiterHint : 0
; COMPUTE_PGM_RSRC2:SCRATCH_EN: 0
; COMPUTE_PGM_RSRC2:USER_SGPR: 2
; COMPUTE_PGM_RSRC2:TRAP_HANDLER: 0
; COMPUTE_PGM_RSRC2:TGID_X_EN: 1
; COMPUTE_PGM_RSRC2:TGID_Y_EN: 0
; COMPUTE_PGM_RSRC2:TGID_Z_EN: 0
; COMPUTE_PGM_RSRC2:TIDIG_COMP_CNT: 0
; COMPUTE_PGM_RSRC3_GFX90A:ACCUM_OFFSET: 0
; COMPUTE_PGM_RSRC3_GFX90A:TG_SPLIT: 0
	.section	.text._ZN7rocprim17ROCPRIM_400000_NS6detail17trampoline_kernelINS0_14default_configENS1_35radix_sort_onesweep_config_selectorIyyEEZNS1_34radix_sort_onesweep_global_offsetsIS3_Lb0EN6thrust23THRUST_200600_302600_NS6detail15normal_iteratorINS8_10device_ptrIyEEEESD_jNS0_19identity_decomposerEEE10hipError_tT1_T2_PT3_SI_jT4_jjP12ihipStream_tbEUlT_E0_NS1_11comp_targetILNS1_3genE2ELNS1_11target_archE906ELNS1_3gpuE6ELNS1_3repE0EEENS1_52radix_sort_onesweep_histogram_config_static_selectorELNS0_4arch9wavefront6targetE1EEEvSG_,"axG",@progbits,_ZN7rocprim17ROCPRIM_400000_NS6detail17trampoline_kernelINS0_14default_configENS1_35radix_sort_onesweep_config_selectorIyyEEZNS1_34radix_sort_onesweep_global_offsetsIS3_Lb0EN6thrust23THRUST_200600_302600_NS6detail15normal_iteratorINS8_10device_ptrIyEEEESD_jNS0_19identity_decomposerEEE10hipError_tT1_T2_PT3_SI_jT4_jjP12ihipStream_tbEUlT_E0_NS1_11comp_targetILNS1_3genE2ELNS1_11target_archE906ELNS1_3gpuE6ELNS1_3repE0EEENS1_52radix_sort_onesweep_histogram_config_static_selectorELNS0_4arch9wavefront6targetE1EEEvSG_,comdat
	.protected	_ZN7rocprim17ROCPRIM_400000_NS6detail17trampoline_kernelINS0_14default_configENS1_35radix_sort_onesweep_config_selectorIyyEEZNS1_34radix_sort_onesweep_global_offsetsIS3_Lb0EN6thrust23THRUST_200600_302600_NS6detail15normal_iteratorINS8_10device_ptrIyEEEESD_jNS0_19identity_decomposerEEE10hipError_tT1_T2_PT3_SI_jT4_jjP12ihipStream_tbEUlT_E0_NS1_11comp_targetILNS1_3genE2ELNS1_11target_archE906ELNS1_3gpuE6ELNS1_3repE0EEENS1_52radix_sort_onesweep_histogram_config_static_selectorELNS0_4arch9wavefront6targetE1EEEvSG_ ; -- Begin function _ZN7rocprim17ROCPRIM_400000_NS6detail17trampoline_kernelINS0_14default_configENS1_35radix_sort_onesweep_config_selectorIyyEEZNS1_34radix_sort_onesweep_global_offsetsIS3_Lb0EN6thrust23THRUST_200600_302600_NS6detail15normal_iteratorINS8_10device_ptrIyEEEESD_jNS0_19identity_decomposerEEE10hipError_tT1_T2_PT3_SI_jT4_jjP12ihipStream_tbEUlT_E0_NS1_11comp_targetILNS1_3genE2ELNS1_11target_archE906ELNS1_3gpuE6ELNS1_3repE0EEENS1_52radix_sort_onesweep_histogram_config_static_selectorELNS0_4arch9wavefront6targetE1EEEvSG_
	.globl	_ZN7rocprim17ROCPRIM_400000_NS6detail17trampoline_kernelINS0_14default_configENS1_35radix_sort_onesweep_config_selectorIyyEEZNS1_34radix_sort_onesweep_global_offsetsIS3_Lb0EN6thrust23THRUST_200600_302600_NS6detail15normal_iteratorINS8_10device_ptrIyEEEESD_jNS0_19identity_decomposerEEE10hipError_tT1_T2_PT3_SI_jT4_jjP12ihipStream_tbEUlT_E0_NS1_11comp_targetILNS1_3genE2ELNS1_11target_archE906ELNS1_3gpuE6ELNS1_3repE0EEENS1_52radix_sort_onesweep_histogram_config_static_selectorELNS0_4arch9wavefront6targetE1EEEvSG_
	.p2align	8
	.type	_ZN7rocprim17ROCPRIM_400000_NS6detail17trampoline_kernelINS0_14default_configENS1_35radix_sort_onesweep_config_selectorIyyEEZNS1_34radix_sort_onesweep_global_offsetsIS3_Lb0EN6thrust23THRUST_200600_302600_NS6detail15normal_iteratorINS8_10device_ptrIyEEEESD_jNS0_19identity_decomposerEEE10hipError_tT1_T2_PT3_SI_jT4_jjP12ihipStream_tbEUlT_E0_NS1_11comp_targetILNS1_3genE2ELNS1_11target_archE906ELNS1_3gpuE6ELNS1_3repE0EEENS1_52radix_sort_onesweep_histogram_config_static_selectorELNS0_4arch9wavefront6targetE1EEEvSG_,@function
_ZN7rocprim17ROCPRIM_400000_NS6detail17trampoline_kernelINS0_14default_configENS1_35radix_sort_onesweep_config_selectorIyyEEZNS1_34radix_sort_onesweep_global_offsetsIS3_Lb0EN6thrust23THRUST_200600_302600_NS6detail15normal_iteratorINS8_10device_ptrIyEEEESD_jNS0_19identity_decomposerEEE10hipError_tT1_T2_PT3_SI_jT4_jjP12ihipStream_tbEUlT_E0_NS1_11comp_targetILNS1_3genE2ELNS1_11target_archE906ELNS1_3gpuE6ELNS1_3repE0EEENS1_52radix_sort_onesweep_histogram_config_static_selectorELNS0_4arch9wavefront6targetE1EEEvSG_: ; @_ZN7rocprim17ROCPRIM_400000_NS6detail17trampoline_kernelINS0_14default_configENS1_35radix_sort_onesweep_config_selectorIyyEEZNS1_34radix_sort_onesweep_global_offsetsIS3_Lb0EN6thrust23THRUST_200600_302600_NS6detail15normal_iteratorINS8_10device_ptrIyEEEESD_jNS0_19identity_decomposerEEE10hipError_tT1_T2_PT3_SI_jT4_jjP12ihipStream_tbEUlT_E0_NS1_11comp_targetILNS1_3genE2ELNS1_11target_archE906ELNS1_3gpuE6ELNS1_3repE0EEENS1_52radix_sort_onesweep_histogram_config_static_selectorELNS0_4arch9wavefront6targetE1EEEvSG_
; %bb.0:
	.section	.rodata,"a",@progbits
	.p2align	6, 0x0
	.amdhsa_kernel _ZN7rocprim17ROCPRIM_400000_NS6detail17trampoline_kernelINS0_14default_configENS1_35radix_sort_onesweep_config_selectorIyyEEZNS1_34radix_sort_onesweep_global_offsetsIS3_Lb0EN6thrust23THRUST_200600_302600_NS6detail15normal_iteratorINS8_10device_ptrIyEEEESD_jNS0_19identity_decomposerEEE10hipError_tT1_T2_PT3_SI_jT4_jjP12ihipStream_tbEUlT_E0_NS1_11comp_targetILNS1_3genE2ELNS1_11target_archE906ELNS1_3gpuE6ELNS1_3repE0EEENS1_52radix_sort_onesweep_histogram_config_static_selectorELNS0_4arch9wavefront6targetE1EEEvSG_
		.amdhsa_group_segment_fixed_size 0
		.amdhsa_private_segment_fixed_size 0
		.amdhsa_kernarg_size 8
		.amdhsa_user_sgpr_count 2
		.amdhsa_user_sgpr_dispatch_ptr 0
		.amdhsa_user_sgpr_queue_ptr 0
		.amdhsa_user_sgpr_kernarg_segment_ptr 1
		.amdhsa_user_sgpr_dispatch_id 0
		.amdhsa_user_sgpr_kernarg_preload_length 0
		.amdhsa_user_sgpr_kernarg_preload_offset 0
		.amdhsa_user_sgpr_private_segment_size 0
		.amdhsa_uses_dynamic_stack 0
		.amdhsa_enable_private_segment 0
		.amdhsa_system_sgpr_workgroup_id_x 1
		.amdhsa_system_sgpr_workgroup_id_y 0
		.amdhsa_system_sgpr_workgroup_id_z 0
		.amdhsa_system_sgpr_workgroup_info 0
		.amdhsa_system_vgpr_workitem_id 0
		.amdhsa_next_free_vgpr 1
		.amdhsa_next_free_sgpr 0
		.amdhsa_accum_offset 4
		.amdhsa_reserve_vcc 0
		.amdhsa_float_round_mode_32 0
		.amdhsa_float_round_mode_16_64 0
		.amdhsa_float_denorm_mode_32 3
		.amdhsa_float_denorm_mode_16_64 3
		.amdhsa_dx10_clamp 1
		.amdhsa_ieee_mode 1
		.amdhsa_fp16_overflow 0
		.amdhsa_tg_split 0
		.amdhsa_exception_fp_ieee_invalid_op 0
		.amdhsa_exception_fp_denorm_src 0
		.amdhsa_exception_fp_ieee_div_zero 0
		.amdhsa_exception_fp_ieee_overflow 0
		.amdhsa_exception_fp_ieee_underflow 0
		.amdhsa_exception_fp_ieee_inexact 0
		.amdhsa_exception_int_div_zero 0
	.end_amdhsa_kernel
	.section	.text._ZN7rocprim17ROCPRIM_400000_NS6detail17trampoline_kernelINS0_14default_configENS1_35radix_sort_onesweep_config_selectorIyyEEZNS1_34radix_sort_onesweep_global_offsetsIS3_Lb0EN6thrust23THRUST_200600_302600_NS6detail15normal_iteratorINS8_10device_ptrIyEEEESD_jNS0_19identity_decomposerEEE10hipError_tT1_T2_PT3_SI_jT4_jjP12ihipStream_tbEUlT_E0_NS1_11comp_targetILNS1_3genE2ELNS1_11target_archE906ELNS1_3gpuE6ELNS1_3repE0EEENS1_52radix_sort_onesweep_histogram_config_static_selectorELNS0_4arch9wavefront6targetE1EEEvSG_,"axG",@progbits,_ZN7rocprim17ROCPRIM_400000_NS6detail17trampoline_kernelINS0_14default_configENS1_35radix_sort_onesweep_config_selectorIyyEEZNS1_34radix_sort_onesweep_global_offsetsIS3_Lb0EN6thrust23THRUST_200600_302600_NS6detail15normal_iteratorINS8_10device_ptrIyEEEESD_jNS0_19identity_decomposerEEE10hipError_tT1_T2_PT3_SI_jT4_jjP12ihipStream_tbEUlT_E0_NS1_11comp_targetILNS1_3genE2ELNS1_11target_archE906ELNS1_3gpuE6ELNS1_3repE0EEENS1_52radix_sort_onesweep_histogram_config_static_selectorELNS0_4arch9wavefront6targetE1EEEvSG_,comdat
.Lfunc_end513:
	.size	_ZN7rocprim17ROCPRIM_400000_NS6detail17trampoline_kernelINS0_14default_configENS1_35radix_sort_onesweep_config_selectorIyyEEZNS1_34radix_sort_onesweep_global_offsetsIS3_Lb0EN6thrust23THRUST_200600_302600_NS6detail15normal_iteratorINS8_10device_ptrIyEEEESD_jNS0_19identity_decomposerEEE10hipError_tT1_T2_PT3_SI_jT4_jjP12ihipStream_tbEUlT_E0_NS1_11comp_targetILNS1_3genE2ELNS1_11target_archE906ELNS1_3gpuE6ELNS1_3repE0EEENS1_52radix_sort_onesweep_histogram_config_static_selectorELNS0_4arch9wavefront6targetE1EEEvSG_, .Lfunc_end513-_ZN7rocprim17ROCPRIM_400000_NS6detail17trampoline_kernelINS0_14default_configENS1_35radix_sort_onesweep_config_selectorIyyEEZNS1_34radix_sort_onesweep_global_offsetsIS3_Lb0EN6thrust23THRUST_200600_302600_NS6detail15normal_iteratorINS8_10device_ptrIyEEEESD_jNS0_19identity_decomposerEEE10hipError_tT1_T2_PT3_SI_jT4_jjP12ihipStream_tbEUlT_E0_NS1_11comp_targetILNS1_3genE2ELNS1_11target_archE906ELNS1_3gpuE6ELNS1_3repE0EEENS1_52radix_sort_onesweep_histogram_config_static_selectorELNS0_4arch9wavefront6targetE1EEEvSG_
                                        ; -- End function
	.set _ZN7rocprim17ROCPRIM_400000_NS6detail17trampoline_kernelINS0_14default_configENS1_35radix_sort_onesweep_config_selectorIyyEEZNS1_34radix_sort_onesweep_global_offsetsIS3_Lb0EN6thrust23THRUST_200600_302600_NS6detail15normal_iteratorINS8_10device_ptrIyEEEESD_jNS0_19identity_decomposerEEE10hipError_tT1_T2_PT3_SI_jT4_jjP12ihipStream_tbEUlT_E0_NS1_11comp_targetILNS1_3genE2ELNS1_11target_archE906ELNS1_3gpuE6ELNS1_3repE0EEENS1_52radix_sort_onesweep_histogram_config_static_selectorELNS0_4arch9wavefront6targetE1EEEvSG_.num_vgpr, 0
	.set _ZN7rocprim17ROCPRIM_400000_NS6detail17trampoline_kernelINS0_14default_configENS1_35radix_sort_onesweep_config_selectorIyyEEZNS1_34radix_sort_onesweep_global_offsetsIS3_Lb0EN6thrust23THRUST_200600_302600_NS6detail15normal_iteratorINS8_10device_ptrIyEEEESD_jNS0_19identity_decomposerEEE10hipError_tT1_T2_PT3_SI_jT4_jjP12ihipStream_tbEUlT_E0_NS1_11comp_targetILNS1_3genE2ELNS1_11target_archE906ELNS1_3gpuE6ELNS1_3repE0EEENS1_52radix_sort_onesweep_histogram_config_static_selectorELNS0_4arch9wavefront6targetE1EEEvSG_.num_agpr, 0
	.set _ZN7rocprim17ROCPRIM_400000_NS6detail17trampoline_kernelINS0_14default_configENS1_35radix_sort_onesweep_config_selectorIyyEEZNS1_34radix_sort_onesweep_global_offsetsIS3_Lb0EN6thrust23THRUST_200600_302600_NS6detail15normal_iteratorINS8_10device_ptrIyEEEESD_jNS0_19identity_decomposerEEE10hipError_tT1_T2_PT3_SI_jT4_jjP12ihipStream_tbEUlT_E0_NS1_11comp_targetILNS1_3genE2ELNS1_11target_archE906ELNS1_3gpuE6ELNS1_3repE0EEENS1_52radix_sort_onesweep_histogram_config_static_selectorELNS0_4arch9wavefront6targetE1EEEvSG_.numbered_sgpr, 0
	.set _ZN7rocprim17ROCPRIM_400000_NS6detail17trampoline_kernelINS0_14default_configENS1_35radix_sort_onesweep_config_selectorIyyEEZNS1_34radix_sort_onesweep_global_offsetsIS3_Lb0EN6thrust23THRUST_200600_302600_NS6detail15normal_iteratorINS8_10device_ptrIyEEEESD_jNS0_19identity_decomposerEEE10hipError_tT1_T2_PT3_SI_jT4_jjP12ihipStream_tbEUlT_E0_NS1_11comp_targetILNS1_3genE2ELNS1_11target_archE906ELNS1_3gpuE6ELNS1_3repE0EEENS1_52radix_sort_onesweep_histogram_config_static_selectorELNS0_4arch9wavefront6targetE1EEEvSG_.num_named_barrier, 0
	.set _ZN7rocprim17ROCPRIM_400000_NS6detail17trampoline_kernelINS0_14default_configENS1_35radix_sort_onesweep_config_selectorIyyEEZNS1_34radix_sort_onesweep_global_offsetsIS3_Lb0EN6thrust23THRUST_200600_302600_NS6detail15normal_iteratorINS8_10device_ptrIyEEEESD_jNS0_19identity_decomposerEEE10hipError_tT1_T2_PT3_SI_jT4_jjP12ihipStream_tbEUlT_E0_NS1_11comp_targetILNS1_3genE2ELNS1_11target_archE906ELNS1_3gpuE6ELNS1_3repE0EEENS1_52radix_sort_onesweep_histogram_config_static_selectorELNS0_4arch9wavefront6targetE1EEEvSG_.private_seg_size, 0
	.set _ZN7rocprim17ROCPRIM_400000_NS6detail17trampoline_kernelINS0_14default_configENS1_35radix_sort_onesweep_config_selectorIyyEEZNS1_34radix_sort_onesweep_global_offsetsIS3_Lb0EN6thrust23THRUST_200600_302600_NS6detail15normal_iteratorINS8_10device_ptrIyEEEESD_jNS0_19identity_decomposerEEE10hipError_tT1_T2_PT3_SI_jT4_jjP12ihipStream_tbEUlT_E0_NS1_11comp_targetILNS1_3genE2ELNS1_11target_archE906ELNS1_3gpuE6ELNS1_3repE0EEENS1_52radix_sort_onesweep_histogram_config_static_selectorELNS0_4arch9wavefront6targetE1EEEvSG_.uses_vcc, 0
	.set _ZN7rocprim17ROCPRIM_400000_NS6detail17trampoline_kernelINS0_14default_configENS1_35radix_sort_onesweep_config_selectorIyyEEZNS1_34radix_sort_onesweep_global_offsetsIS3_Lb0EN6thrust23THRUST_200600_302600_NS6detail15normal_iteratorINS8_10device_ptrIyEEEESD_jNS0_19identity_decomposerEEE10hipError_tT1_T2_PT3_SI_jT4_jjP12ihipStream_tbEUlT_E0_NS1_11comp_targetILNS1_3genE2ELNS1_11target_archE906ELNS1_3gpuE6ELNS1_3repE0EEENS1_52radix_sort_onesweep_histogram_config_static_selectorELNS0_4arch9wavefront6targetE1EEEvSG_.uses_flat_scratch, 0
	.set _ZN7rocprim17ROCPRIM_400000_NS6detail17trampoline_kernelINS0_14default_configENS1_35radix_sort_onesweep_config_selectorIyyEEZNS1_34radix_sort_onesweep_global_offsetsIS3_Lb0EN6thrust23THRUST_200600_302600_NS6detail15normal_iteratorINS8_10device_ptrIyEEEESD_jNS0_19identity_decomposerEEE10hipError_tT1_T2_PT3_SI_jT4_jjP12ihipStream_tbEUlT_E0_NS1_11comp_targetILNS1_3genE2ELNS1_11target_archE906ELNS1_3gpuE6ELNS1_3repE0EEENS1_52radix_sort_onesweep_histogram_config_static_selectorELNS0_4arch9wavefront6targetE1EEEvSG_.has_dyn_sized_stack, 0
	.set _ZN7rocprim17ROCPRIM_400000_NS6detail17trampoline_kernelINS0_14default_configENS1_35radix_sort_onesweep_config_selectorIyyEEZNS1_34radix_sort_onesweep_global_offsetsIS3_Lb0EN6thrust23THRUST_200600_302600_NS6detail15normal_iteratorINS8_10device_ptrIyEEEESD_jNS0_19identity_decomposerEEE10hipError_tT1_T2_PT3_SI_jT4_jjP12ihipStream_tbEUlT_E0_NS1_11comp_targetILNS1_3genE2ELNS1_11target_archE906ELNS1_3gpuE6ELNS1_3repE0EEENS1_52radix_sort_onesweep_histogram_config_static_selectorELNS0_4arch9wavefront6targetE1EEEvSG_.has_recursion, 0
	.set _ZN7rocprim17ROCPRIM_400000_NS6detail17trampoline_kernelINS0_14default_configENS1_35radix_sort_onesweep_config_selectorIyyEEZNS1_34radix_sort_onesweep_global_offsetsIS3_Lb0EN6thrust23THRUST_200600_302600_NS6detail15normal_iteratorINS8_10device_ptrIyEEEESD_jNS0_19identity_decomposerEEE10hipError_tT1_T2_PT3_SI_jT4_jjP12ihipStream_tbEUlT_E0_NS1_11comp_targetILNS1_3genE2ELNS1_11target_archE906ELNS1_3gpuE6ELNS1_3repE0EEENS1_52radix_sort_onesweep_histogram_config_static_selectorELNS0_4arch9wavefront6targetE1EEEvSG_.has_indirect_call, 0
	.section	.AMDGPU.csdata,"",@progbits
; Kernel info:
; codeLenInByte = 0
; TotalNumSgprs: 6
; NumVgprs: 0
; NumAgprs: 0
; TotalNumVgprs: 0
; ScratchSize: 0
; MemoryBound: 0
; FloatMode: 240
; IeeeMode: 1
; LDSByteSize: 0 bytes/workgroup (compile time only)
; SGPRBlocks: 0
; VGPRBlocks: 0
; NumSGPRsForWavesPerEU: 6
; NumVGPRsForWavesPerEU: 1
; AccumOffset: 4
; Occupancy: 8
; WaveLimiterHint : 0
; COMPUTE_PGM_RSRC2:SCRATCH_EN: 0
; COMPUTE_PGM_RSRC2:USER_SGPR: 2
; COMPUTE_PGM_RSRC2:TRAP_HANDLER: 0
; COMPUTE_PGM_RSRC2:TGID_X_EN: 1
; COMPUTE_PGM_RSRC2:TGID_Y_EN: 0
; COMPUTE_PGM_RSRC2:TGID_Z_EN: 0
; COMPUTE_PGM_RSRC2:TIDIG_COMP_CNT: 0
; COMPUTE_PGM_RSRC3_GFX90A:ACCUM_OFFSET: 0
; COMPUTE_PGM_RSRC3_GFX90A:TG_SPLIT: 0
	.section	.text._ZN7rocprim17ROCPRIM_400000_NS6detail17trampoline_kernelINS0_14default_configENS1_35radix_sort_onesweep_config_selectorIyyEEZNS1_34radix_sort_onesweep_global_offsetsIS3_Lb0EN6thrust23THRUST_200600_302600_NS6detail15normal_iteratorINS8_10device_ptrIyEEEESD_jNS0_19identity_decomposerEEE10hipError_tT1_T2_PT3_SI_jT4_jjP12ihipStream_tbEUlT_E0_NS1_11comp_targetILNS1_3genE4ELNS1_11target_archE910ELNS1_3gpuE8ELNS1_3repE0EEENS1_52radix_sort_onesweep_histogram_config_static_selectorELNS0_4arch9wavefront6targetE1EEEvSG_,"axG",@progbits,_ZN7rocprim17ROCPRIM_400000_NS6detail17trampoline_kernelINS0_14default_configENS1_35radix_sort_onesweep_config_selectorIyyEEZNS1_34radix_sort_onesweep_global_offsetsIS3_Lb0EN6thrust23THRUST_200600_302600_NS6detail15normal_iteratorINS8_10device_ptrIyEEEESD_jNS0_19identity_decomposerEEE10hipError_tT1_T2_PT3_SI_jT4_jjP12ihipStream_tbEUlT_E0_NS1_11comp_targetILNS1_3genE4ELNS1_11target_archE910ELNS1_3gpuE8ELNS1_3repE0EEENS1_52radix_sort_onesweep_histogram_config_static_selectorELNS0_4arch9wavefront6targetE1EEEvSG_,comdat
	.protected	_ZN7rocprim17ROCPRIM_400000_NS6detail17trampoline_kernelINS0_14default_configENS1_35radix_sort_onesweep_config_selectorIyyEEZNS1_34radix_sort_onesweep_global_offsetsIS3_Lb0EN6thrust23THRUST_200600_302600_NS6detail15normal_iteratorINS8_10device_ptrIyEEEESD_jNS0_19identity_decomposerEEE10hipError_tT1_T2_PT3_SI_jT4_jjP12ihipStream_tbEUlT_E0_NS1_11comp_targetILNS1_3genE4ELNS1_11target_archE910ELNS1_3gpuE8ELNS1_3repE0EEENS1_52radix_sort_onesweep_histogram_config_static_selectorELNS0_4arch9wavefront6targetE1EEEvSG_ ; -- Begin function _ZN7rocprim17ROCPRIM_400000_NS6detail17trampoline_kernelINS0_14default_configENS1_35radix_sort_onesweep_config_selectorIyyEEZNS1_34radix_sort_onesweep_global_offsetsIS3_Lb0EN6thrust23THRUST_200600_302600_NS6detail15normal_iteratorINS8_10device_ptrIyEEEESD_jNS0_19identity_decomposerEEE10hipError_tT1_T2_PT3_SI_jT4_jjP12ihipStream_tbEUlT_E0_NS1_11comp_targetILNS1_3genE4ELNS1_11target_archE910ELNS1_3gpuE8ELNS1_3repE0EEENS1_52radix_sort_onesweep_histogram_config_static_selectorELNS0_4arch9wavefront6targetE1EEEvSG_
	.globl	_ZN7rocprim17ROCPRIM_400000_NS6detail17trampoline_kernelINS0_14default_configENS1_35radix_sort_onesweep_config_selectorIyyEEZNS1_34radix_sort_onesweep_global_offsetsIS3_Lb0EN6thrust23THRUST_200600_302600_NS6detail15normal_iteratorINS8_10device_ptrIyEEEESD_jNS0_19identity_decomposerEEE10hipError_tT1_T2_PT3_SI_jT4_jjP12ihipStream_tbEUlT_E0_NS1_11comp_targetILNS1_3genE4ELNS1_11target_archE910ELNS1_3gpuE8ELNS1_3repE0EEENS1_52radix_sort_onesweep_histogram_config_static_selectorELNS0_4arch9wavefront6targetE1EEEvSG_
	.p2align	8
	.type	_ZN7rocprim17ROCPRIM_400000_NS6detail17trampoline_kernelINS0_14default_configENS1_35radix_sort_onesweep_config_selectorIyyEEZNS1_34radix_sort_onesweep_global_offsetsIS3_Lb0EN6thrust23THRUST_200600_302600_NS6detail15normal_iteratorINS8_10device_ptrIyEEEESD_jNS0_19identity_decomposerEEE10hipError_tT1_T2_PT3_SI_jT4_jjP12ihipStream_tbEUlT_E0_NS1_11comp_targetILNS1_3genE4ELNS1_11target_archE910ELNS1_3gpuE8ELNS1_3repE0EEENS1_52radix_sort_onesweep_histogram_config_static_selectorELNS0_4arch9wavefront6targetE1EEEvSG_,@function
_ZN7rocprim17ROCPRIM_400000_NS6detail17trampoline_kernelINS0_14default_configENS1_35radix_sort_onesweep_config_selectorIyyEEZNS1_34radix_sort_onesweep_global_offsetsIS3_Lb0EN6thrust23THRUST_200600_302600_NS6detail15normal_iteratorINS8_10device_ptrIyEEEESD_jNS0_19identity_decomposerEEE10hipError_tT1_T2_PT3_SI_jT4_jjP12ihipStream_tbEUlT_E0_NS1_11comp_targetILNS1_3genE4ELNS1_11target_archE910ELNS1_3gpuE8ELNS1_3repE0EEENS1_52radix_sort_onesweep_histogram_config_static_selectorELNS0_4arch9wavefront6targetE1EEEvSG_: ; @_ZN7rocprim17ROCPRIM_400000_NS6detail17trampoline_kernelINS0_14default_configENS1_35radix_sort_onesweep_config_selectorIyyEEZNS1_34radix_sort_onesweep_global_offsetsIS3_Lb0EN6thrust23THRUST_200600_302600_NS6detail15normal_iteratorINS8_10device_ptrIyEEEESD_jNS0_19identity_decomposerEEE10hipError_tT1_T2_PT3_SI_jT4_jjP12ihipStream_tbEUlT_E0_NS1_11comp_targetILNS1_3genE4ELNS1_11target_archE910ELNS1_3gpuE8ELNS1_3repE0EEENS1_52radix_sort_onesweep_histogram_config_static_selectorELNS0_4arch9wavefront6targetE1EEEvSG_
; %bb.0:
	.section	.rodata,"a",@progbits
	.p2align	6, 0x0
	.amdhsa_kernel _ZN7rocprim17ROCPRIM_400000_NS6detail17trampoline_kernelINS0_14default_configENS1_35radix_sort_onesweep_config_selectorIyyEEZNS1_34radix_sort_onesweep_global_offsetsIS3_Lb0EN6thrust23THRUST_200600_302600_NS6detail15normal_iteratorINS8_10device_ptrIyEEEESD_jNS0_19identity_decomposerEEE10hipError_tT1_T2_PT3_SI_jT4_jjP12ihipStream_tbEUlT_E0_NS1_11comp_targetILNS1_3genE4ELNS1_11target_archE910ELNS1_3gpuE8ELNS1_3repE0EEENS1_52radix_sort_onesweep_histogram_config_static_selectorELNS0_4arch9wavefront6targetE1EEEvSG_
		.amdhsa_group_segment_fixed_size 0
		.amdhsa_private_segment_fixed_size 0
		.amdhsa_kernarg_size 8
		.amdhsa_user_sgpr_count 2
		.amdhsa_user_sgpr_dispatch_ptr 0
		.amdhsa_user_sgpr_queue_ptr 0
		.amdhsa_user_sgpr_kernarg_segment_ptr 1
		.amdhsa_user_sgpr_dispatch_id 0
		.amdhsa_user_sgpr_kernarg_preload_length 0
		.amdhsa_user_sgpr_kernarg_preload_offset 0
		.amdhsa_user_sgpr_private_segment_size 0
		.amdhsa_uses_dynamic_stack 0
		.amdhsa_enable_private_segment 0
		.amdhsa_system_sgpr_workgroup_id_x 1
		.amdhsa_system_sgpr_workgroup_id_y 0
		.amdhsa_system_sgpr_workgroup_id_z 0
		.amdhsa_system_sgpr_workgroup_info 0
		.amdhsa_system_vgpr_workitem_id 0
		.amdhsa_next_free_vgpr 1
		.amdhsa_next_free_sgpr 0
		.amdhsa_accum_offset 4
		.amdhsa_reserve_vcc 0
		.amdhsa_float_round_mode_32 0
		.amdhsa_float_round_mode_16_64 0
		.amdhsa_float_denorm_mode_32 3
		.amdhsa_float_denorm_mode_16_64 3
		.amdhsa_dx10_clamp 1
		.amdhsa_ieee_mode 1
		.amdhsa_fp16_overflow 0
		.amdhsa_tg_split 0
		.amdhsa_exception_fp_ieee_invalid_op 0
		.amdhsa_exception_fp_denorm_src 0
		.amdhsa_exception_fp_ieee_div_zero 0
		.amdhsa_exception_fp_ieee_overflow 0
		.amdhsa_exception_fp_ieee_underflow 0
		.amdhsa_exception_fp_ieee_inexact 0
		.amdhsa_exception_int_div_zero 0
	.end_amdhsa_kernel
	.section	.text._ZN7rocprim17ROCPRIM_400000_NS6detail17trampoline_kernelINS0_14default_configENS1_35radix_sort_onesweep_config_selectorIyyEEZNS1_34radix_sort_onesweep_global_offsetsIS3_Lb0EN6thrust23THRUST_200600_302600_NS6detail15normal_iteratorINS8_10device_ptrIyEEEESD_jNS0_19identity_decomposerEEE10hipError_tT1_T2_PT3_SI_jT4_jjP12ihipStream_tbEUlT_E0_NS1_11comp_targetILNS1_3genE4ELNS1_11target_archE910ELNS1_3gpuE8ELNS1_3repE0EEENS1_52radix_sort_onesweep_histogram_config_static_selectorELNS0_4arch9wavefront6targetE1EEEvSG_,"axG",@progbits,_ZN7rocprim17ROCPRIM_400000_NS6detail17trampoline_kernelINS0_14default_configENS1_35radix_sort_onesweep_config_selectorIyyEEZNS1_34radix_sort_onesweep_global_offsetsIS3_Lb0EN6thrust23THRUST_200600_302600_NS6detail15normal_iteratorINS8_10device_ptrIyEEEESD_jNS0_19identity_decomposerEEE10hipError_tT1_T2_PT3_SI_jT4_jjP12ihipStream_tbEUlT_E0_NS1_11comp_targetILNS1_3genE4ELNS1_11target_archE910ELNS1_3gpuE8ELNS1_3repE0EEENS1_52radix_sort_onesweep_histogram_config_static_selectorELNS0_4arch9wavefront6targetE1EEEvSG_,comdat
.Lfunc_end514:
	.size	_ZN7rocprim17ROCPRIM_400000_NS6detail17trampoline_kernelINS0_14default_configENS1_35radix_sort_onesweep_config_selectorIyyEEZNS1_34radix_sort_onesweep_global_offsetsIS3_Lb0EN6thrust23THRUST_200600_302600_NS6detail15normal_iteratorINS8_10device_ptrIyEEEESD_jNS0_19identity_decomposerEEE10hipError_tT1_T2_PT3_SI_jT4_jjP12ihipStream_tbEUlT_E0_NS1_11comp_targetILNS1_3genE4ELNS1_11target_archE910ELNS1_3gpuE8ELNS1_3repE0EEENS1_52radix_sort_onesweep_histogram_config_static_selectorELNS0_4arch9wavefront6targetE1EEEvSG_, .Lfunc_end514-_ZN7rocprim17ROCPRIM_400000_NS6detail17trampoline_kernelINS0_14default_configENS1_35radix_sort_onesweep_config_selectorIyyEEZNS1_34radix_sort_onesweep_global_offsetsIS3_Lb0EN6thrust23THRUST_200600_302600_NS6detail15normal_iteratorINS8_10device_ptrIyEEEESD_jNS0_19identity_decomposerEEE10hipError_tT1_T2_PT3_SI_jT4_jjP12ihipStream_tbEUlT_E0_NS1_11comp_targetILNS1_3genE4ELNS1_11target_archE910ELNS1_3gpuE8ELNS1_3repE0EEENS1_52radix_sort_onesweep_histogram_config_static_selectorELNS0_4arch9wavefront6targetE1EEEvSG_
                                        ; -- End function
	.set _ZN7rocprim17ROCPRIM_400000_NS6detail17trampoline_kernelINS0_14default_configENS1_35radix_sort_onesweep_config_selectorIyyEEZNS1_34radix_sort_onesweep_global_offsetsIS3_Lb0EN6thrust23THRUST_200600_302600_NS6detail15normal_iteratorINS8_10device_ptrIyEEEESD_jNS0_19identity_decomposerEEE10hipError_tT1_T2_PT3_SI_jT4_jjP12ihipStream_tbEUlT_E0_NS1_11comp_targetILNS1_3genE4ELNS1_11target_archE910ELNS1_3gpuE8ELNS1_3repE0EEENS1_52radix_sort_onesweep_histogram_config_static_selectorELNS0_4arch9wavefront6targetE1EEEvSG_.num_vgpr, 0
	.set _ZN7rocprim17ROCPRIM_400000_NS6detail17trampoline_kernelINS0_14default_configENS1_35radix_sort_onesweep_config_selectorIyyEEZNS1_34radix_sort_onesweep_global_offsetsIS3_Lb0EN6thrust23THRUST_200600_302600_NS6detail15normal_iteratorINS8_10device_ptrIyEEEESD_jNS0_19identity_decomposerEEE10hipError_tT1_T2_PT3_SI_jT4_jjP12ihipStream_tbEUlT_E0_NS1_11comp_targetILNS1_3genE4ELNS1_11target_archE910ELNS1_3gpuE8ELNS1_3repE0EEENS1_52radix_sort_onesweep_histogram_config_static_selectorELNS0_4arch9wavefront6targetE1EEEvSG_.num_agpr, 0
	.set _ZN7rocprim17ROCPRIM_400000_NS6detail17trampoline_kernelINS0_14default_configENS1_35radix_sort_onesweep_config_selectorIyyEEZNS1_34radix_sort_onesweep_global_offsetsIS3_Lb0EN6thrust23THRUST_200600_302600_NS6detail15normal_iteratorINS8_10device_ptrIyEEEESD_jNS0_19identity_decomposerEEE10hipError_tT1_T2_PT3_SI_jT4_jjP12ihipStream_tbEUlT_E0_NS1_11comp_targetILNS1_3genE4ELNS1_11target_archE910ELNS1_3gpuE8ELNS1_3repE0EEENS1_52radix_sort_onesweep_histogram_config_static_selectorELNS0_4arch9wavefront6targetE1EEEvSG_.numbered_sgpr, 0
	.set _ZN7rocprim17ROCPRIM_400000_NS6detail17trampoline_kernelINS0_14default_configENS1_35radix_sort_onesweep_config_selectorIyyEEZNS1_34radix_sort_onesweep_global_offsetsIS3_Lb0EN6thrust23THRUST_200600_302600_NS6detail15normal_iteratorINS8_10device_ptrIyEEEESD_jNS0_19identity_decomposerEEE10hipError_tT1_T2_PT3_SI_jT4_jjP12ihipStream_tbEUlT_E0_NS1_11comp_targetILNS1_3genE4ELNS1_11target_archE910ELNS1_3gpuE8ELNS1_3repE0EEENS1_52radix_sort_onesweep_histogram_config_static_selectorELNS0_4arch9wavefront6targetE1EEEvSG_.num_named_barrier, 0
	.set _ZN7rocprim17ROCPRIM_400000_NS6detail17trampoline_kernelINS0_14default_configENS1_35radix_sort_onesweep_config_selectorIyyEEZNS1_34radix_sort_onesweep_global_offsetsIS3_Lb0EN6thrust23THRUST_200600_302600_NS6detail15normal_iteratorINS8_10device_ptrIyEEEESD_jNS0_19identity_decomposerEEE10hipError_tT1_T2_PT3_SI_jT4_jjP12ihipStream_tbEUlT_E0_NS1_11comp_targetILNS1_3genE4ELNS1_11target_archE910ELNS1_3gpuE8ELNS1_3repE0EEENS1_52radix_sort_onesweep_histogram_config_static_selectorELNS0_4arch9wavefront6targetE1EEEvSG_.private_seg_size, 0
	.set _ZN7rocprim17ROCPRIM_400000_NS6detail17trampoline_kernelINS0_14default_configENS1_35radix_sort_onesweep_config_selectorIyyEEZNS1_34radix_sort_onesweep_global_offsetsIS3_Lb0EN6thrust23THRUST_200600_302600_NS6detail15normal_iteratorINS8_10device_ptrIyEEEESD_jNS0_19identity_decomposerEEE10hipError_tT1_T2_PT3_SI_jT4_jjP12ihipStream_tbEUlT_E0_NS1_11comp_targetILNS1_3genE4ELNS1_11target_archE910ELNS1_3gpuE8ELNS1_3repE0EEENS1_52radix_sort_onesweep_histogram_config_static_selectorELNS0_4arch9wavefront6targetE1EEEvSG_.uses_vcc, 0
	.set _ZN7rocprim17ROCPRIM_400000_NS6detail17trampoline_kernelINS0_14default_configENS1_35radix_sort_onesweep_config_selectorIyyEEZNS1_34radix_sort_onesweep_global_offsetsIS3_Lb0EN6thrust23THRUST_200600_302600_NS6detail15normal_iteratorINS8_10device_ptrIyEEEESD_jNS0_19identity_decomposerEEE10hipError_tT1_T2_PT3_SI_jT4_jjP12ihipStream_tbEUlT_E0_NS1_11comp_targetILNS1_3genE4ELNS1_11target_archE910ELNS1_3gpuE8ELNS1_3repE0EEENS1_52radix_sort_onesweep_histogram_config_static_selectorELNS0_4arch9wavefront6targetE1EEEvSG_.uses_flat_scratch, 0
	.set _ZN7rocprim17ROCPRIM_400000_NS6detail17trampoline_kernelINS0_14default_configENS1_35radix_sort_onesweep_config_selectorIyyEEZNS1_34radix_sort_onesweep_global_offsetsIS3_Lb0EN6thrust23THRUST_200600_302600_NS6detail15normal_iteratorINS8_10device_ptrIyEEEESD_jNS0_19identity_decomposerEEE10hipError_tT1_T2_PT3_SI_jT4_jjP12ihipStream_tbEUlT_E0_NS1_11comp_targetILNS1_3genE4ELNS1_11target_archE910ELNS1_3gpuE8ELNS1_3repE0EEENS1_52radix_sort_onesweep_histogram_config_static_selectorELNS0_4arch9wavefront6targetE1EEEvSG_.has_dyn_sized_stack, 0
	.set _ZN7rocprim17ROCPRIM_400000_NS6detail17trampoline_kernelINS0_14default_configENS1_35radix_sort_onesweep_config_selectorIyyEEZNS1_34radix_sort_onesweep_global_offsetsIS3_Lb0EN6thrust23THRUST_200600_302600_NS6detail15normal_iteratorINS8_10device_ptrIyEEEESD_jNS0_19identity_decomposerEEE10hipError_tT1_T2_PT3_SI_jT4_jjP12ihipStream_tbEUlT_E0_NS1_11comp_targetILNS1_3genE4ELNS1_11target_archE910ELNS1_3gpuE8ELNS1_3repE0EEENS1_52radix_sort_onesweep_histogram_config_static_selectorELNS0_4arch9wavefront6targetE1EEEvSG_.has_recursion, 0
	.set _ZN7rocprim17ROCPRIM_400000_NS6detail17trampoline_kernelINS0_14default_configENS1_35radix_sort_onesweep_config_selectorIyyEEZNS1_34radix_sort_onesweep_global_offsetsIS3_Lb0EN6thrust23THRUST_200600_302600_NS6detail15normal_iteratorINS8_10device_ptrIyEEEESD_jNS0_19identity_decomposerEEE10hipError_tT1_T2_PT3_SI_jT4_jjP12ihipStream_tbEUlT_E0_NS1_11comp_targetILNS1_3genE4ELNS1_11target_archE910ELNS1_3gpuE8ELNS1_3repE0EEENS1_52radix_sort_onesweep_histogram_config_static_selectorELNS0_4arch9wavefront6targetE1EEEvSG_.has_indirect_call, 0
	.section	.AMDGPU.csdata,"",@progbits
; Kernel info:
; codeLenInByte = 0
; TotalNumSgprs: 6
; NumVgprs: 0
; NumAgprs: 0
; TotalNumVgprs: 0
; ScratchSize: 0
; MemoryBound: 0
; FloatMode: 240
; IeeeMode: 1
; LDSByteSize: 0 bytes/workgroup (compile time only)
; SGPRBlocks: 0
; VGPRBlocks: 0
; NumSGPRsForWavesPerEU: 6
; NumVGPRsForWavesPerEU: 1
; AccumOffset: 4
; Occupancy: 8
; WaveLimiterHint : 0
; COMPUTE_PGM_RSRC2:SCRATCH_EN: 0
; COMPUTE_PGM_RSRC2:USER_SGPR: 2
; COMPUTE_PGM_RSRC2:TRAP_HANDLER: 0
; COMPUTE_PGM_RSRC2:TGID_X_EN: 1
; COMPUTE_PGM_RSRC2:TGID_Y_EN: 0
; COMPUTE_PGM_RSRC2:TGID_Z_EN: 0
; COMPUTE_PGM_RSRC2:TIDIG_COMP_CNT: 0
; COMPUTE_PGM_RSRC3_GFX90A:ACCUM_OFFSET: 0
; COMPUTE_PGM_RSRC3_GFX90A:TG_SPLIT: 0
	.section	.text._ZN7rocprim17ROCPRIM_400000_NS6detail17trampoline_kernelINS0_14default_configENS1_35radix_sort_onesweep_config_selectorIyyEEZNS1_34radix_sort_onesweep_global_offsetsIS3_Lb0EN6thrust23THRUST_200600_302600_NS6detail15normal_iteratorINS8_10device_ptrIyEEEESD_jNS0_19identity_decomposerEEE10hipError_tT1_T2_PT3_SI_jT4_jjP12ihipStream_tbEUlT_E0_NS1_11comp_targetILNS1_3genE3ELNS1_11target_archE908ELNS1_3gpuE7ELNS1_3repE0EEENS1_52radix_sort_onesweep_histogram_config_static_selectorELNS0_4arch9wavefront6targetE1EEEvSG_,"axG",@progbits,_ZN7rocprim17ROCPRIM_400000_NS6detail17trampoline_kernelINS0_14default_configENS1_35radix_sort_onesweep_config_selectorIyyEEZNS1_34radix_sort_onesweep_global_offsetsIS3_Lb0EN6thrust23THRUST_200600_302600_NS6detail15normal_iteratorINS8_10device_ptrIyEEEESD_jNS0_19identity_decomposerEEE10hipError_tT1_T2_PT3_SI_jT4_jjP12ihipStream_tbEUlT_E0_NS1_11comp_targetILNS1_3genE3ELNS1_11target_archE908ELNS1_3gpuE7ELNS1_3repE0EEENS1_52radix_sort_onesweep_histogram_config_static_selectorELNS0_4arch9wavefront6targetE1EEEvSG_,comdat
	.protected	_ZN7rocprim17ROCPRIM_400000_NS6detail17trampoline_kernelINS0_14default_configENS1_35radix_sort_onesweep_config_selectorIyyEEZNS1_34radix_sort_onesweep_global_offsetsIS3_Lb0EN6thrust23THRUST_200600_302600_NS6detail15normal_iteratorINS8_10device_ptrIyEEEESD_jNS0_19identity_decomposerEEE10hipError_tT1_T2_PT3_SI_jT4_jjP12ihipStream_tbEUlT_E0_NS1_11comp_targetILNS1_3genE3ELNS1_11target_archE908ELNS1_3gpuE7ELNS1_3repE0EEENS1_52radix_sort_onesweep_histogram_config_static_selectorELNS0_4arch9wavefront6targetE1EEEvSG_ ; -- Begin function _ZN7rocprim17ROCPRIM_400000_NS6detail17trampoline_kernelINS0_14default_configENS1_35radix_sort_onesweep_config_selectorIyyEEZNS1_34radix_sort_onesweep_global_offsetsIS3_Lb0EN6thrust23THRUST_200600_302600_NS6detail15normal_iteratorINS8_10device_ptrIyEEEESD_jNS0_19identity_decomposerEEE10hipError_tT1_T2_PT3_SI_jT4_jjP12ihipStream_tbEUlT_E0_NS1_11comp_targetILNS1_3genE3ELNS1_11target_archE908ELNS1_3gpuE7ELNS1_3repE0EEENS1_52radix_sort_onesweep_histogram_config_static_selectorELNS0_4arch9wavefront6targetE1EEEvSG_
	.globl	_ZN7rocprim17ROCPRIM_400000_NS6detail17trampoline_kernelINS0_14default_configENS1_35radix_sort_onesweep_config_selectorIyyEEZNS1_34radix_sort_onesweep_global_offsetsIS3_Lb0EN6thrust23THRUST_200600_302600_NS6detail15normal_iteratorINS8_10device_ptrIyEEEESD_jNS0_19identity_decomposerEEE10hipError_tT1_T2_PT3_SI_jT4_jjP12ihipStream_tbEUlT_E0_NS1_11comp_targetILNS1_3genE3ELNS1_11target_archE908ELNS1_3gpuE7ELNS1_3repE0EEENS1_52radix_sort_onesweep_histogram_config_static_selectorELNS0_4arch9wavefront6targetE1EEEvSG_
	.p2align	8
	.type	_ZN7rocprim17ROCPRIM_400000_NS6detail17trampoline_kernelINS0_14default_configENS1_35radix_sort_onesweep_config_selectorIyyEEZNS1_34radix_sort_onesweep_global_offsetsIS3_Lb0EN6thrust23THRUST_200600_302600_NS6detail15normal_iteratorINS8_10device_ptrIyEEEESD_jNS0_19identity_decomposerEEE10hipError_tT1_T2_PT3_SI_jT4_jjP12ihipStream_tbEUlT_E0_NS1_11comp_targetILNS1_3genE3ELNS1_11target_archE908ELNS1_3gpuE7ELNS1_3repE0EEENS1_52radix_sort_onesweep_histogram_config_static_selectorELNS0_4arch9wavefront6targetE1EEEvSG_,@function
_ZN7rocprim17ROCPRIM_400000_NS6detail17trampoline_kernelINS0_14default_configENS1_35radix_sort_onesweep_config_selectorIyyEEZNS1_34radix_sort_onesweep_global_offsetsIS3_Lb0EN6thrust23THRUST_200600_302600_NS6detail15normal_iteratorINS8_10device_ptrIyEEEESD_jNS0_19identity_decomposerEEE10hipError_tT1_T2_PT3_SI_jT4_jjP12ihipStream_tbEUlT_E0_NS1_11comp_targetILNS1_3genE3ELNS1_11target_archE908ELNS1_3gpuE7ELNS1_3repE0EEENS1_52radix_sort_onesweep_histogram_config_static_selectorELNS0_4arch9wavefront6targetE1EEEvSG_: ; @_ZN7rocprim17ROCPRIM_400000_NS6detail17trampoline_kernelINS0_14default_configENS1_35radix_sort_onesweep_config_selectorIyyEEZNS1_34radix_sort_onesweep_global_offsetsIS3_Lb0EN6thrust23THRUST_200600_302600_NS6detail15normal_iteratorINS8_10device_ptrIyEEEESD_jNS0_19identity_decomposerEEE10hipError_tT1_T2_PT3_SI_jT4_jjP12ihipStream_tbEUlT_E0_NS1_11comp_targetILNS1_3genE3ELNS1_11target_archE908ELNS1_3gpuE7ELNS1_3repE0EEENS1_52radix_sort_onesweep_histogram_config_static_selectorELNS0_4arch9wavefront6targetE1EEEvSG_
; %bb.0:
	.section	.rodata,"a",@progbits
	.p2align	6, 0x0
	.amdhsa_kernel _ZN7rocprim17ROCPRIM_400000_NS6detail17trampoline_kernelINS0_14default_configENS1_35radix_sort_onesweep_config_selectorIyyEEZNS1_34radix_sort_onesweep_global_offsetsIS3_Lb0EN6thrust23THRUST_200600_302600_NS6detail15normal_iteratorINS8_10device_ptrIyEEEESD_jNS0_19identity_decomposerEEE10hipError_tT1_T2_PT3_SI_jT4_jjP12ihipStream_tbEUlT_E0_NS1_11comp_targetILNS1_3genE3ELNS1_11target_archE908ELNS1_3gpuE7ELNS1_3repE0EEENS1_52radix_sort_onesweep_histogram_config_static_selectorELNS0_4arch9wavefront6targetE1EEEvSG_
		.amdhsa_group_segment_fixed_size 0
		.amdhsa_private_segment_fixed_size 0
		.amdhsa_kernarg_size 8
		.amdhsa_user_sgpr_count 2
		.amdhsa_user_sgpr_dispatch_ptr 0
		.amdhsa_user_sgpr_queue_ptr 0
		.amdhsa_user_sgpr_kernarg_segment_ptr 1
		.amdhsa_user_sgpr_dispatch_id 0
		.amdhsa_user_sgpr_kernarg_preload_length 0
		.amdhsa_user_sgpr_kernarg_preload_offset 0
		.amdhsa_user_sgpr_private_segment_size 0
		.amdhsa_uses_dynamic_stack 0
		.amdhsa_enable_private_segment 0
		.amdhsa_system_sgpr_workgroup_id_x 1
		.amdhsa_system_sgpr_workgroup_id_y 0
		.amdhsa_system_sgpr_workgroup_id_z 0
		.amdhsa_system_sgpr_workgroup_info 0
		.amdhsa_system_vgpr_workitem_id 0
		.amdhsa_next_free_vgpr 1
		.amdhsa_next_free_sgpr 0
		.amdhsa_accum_offset 4
		.amdhsa_reserve_vcc 0
		.amdhsa_float_round_mode_32 0
		.amdhsa_float_round_mode_16_64 0
		.amdhsa_float_denorm_mode_32 3
		.amdhsa_float_denorm_mode_16_64 3
		.amdhsa_dx10_clamp 1
		.amdhsa_ieee_mode 1
		.amdhsa_fp16_overflow 0
		.amdhsa_tg_split 0
		.amdhsa_exception_fp_ieee_invalid_op 0
		.amdhsa_exception_fp_denorm_src 0
		.amdhsa_exception_fp_ieee_div_zero 0
		.amdhsa_exception_fp_ieee_overflow 0
		.amdhsa_exception_fp_ieee_underflow 0
		.amdhsa_exception_fp_ieee_inexact 0
		.amdhsa_exception_int_div_zero 0
	.end_amdhsa_kernel
	.section	.text._ZN7rocprim17ROCPRIM_400000_NS6detail17trampoline_kernelINS0_14default_configENS1_35radix_sort_onesweep_config_selectorIyyEEZNS1_34radix_sort_onesweep_global_offsetsIS3_Lb0EN6thrust23THRUST_200600_302600_NS6detail15normal_iteratorINS8_10device_ptrIyEEEESD_jNS0_19identity_decomposerEEE10hipError_tT1_T2_PT3_SI_jT4_jjP12ihipStream_tbEUlT_E0_NS1_11comp_targetILNS1_3genE3ELNS1_11target_archE908ELNS1_3gpuE7ELNS1_3repE0EEENS1_52radix_sort_onesweep_histogram_config_static_selectorELNS0_4arch9wavefront6targetE1EEEvSG_,"axG",@progbits,_ZN7rocprim17ROCPRIM_400000_NS6detail17trampoline_kernelINS0_14default_configENS1_35radix_sort_onesweep_config_selectorIyyEEZNS1_34radix_sort_onesweep_global_offsetsIS3_Lb0EN6thrust23THRUST_200600_302600_NS6detail15normal_iteratorINS8_10device_ptrIyEEEESD_jNS0_19identity_decomposerEEE10hipError_tT1_T2_PT3_SI_jT4_jjP12ihipStream_tbEUlT_E0_NS1_11comp_targetILNS1_3genE3ELNS1_11target_archE908ELNS1_3gpuE7ELNS1_3repE0EEENS1_52radix_sort_onesweep_histogram_config_static_selectorELNS0_4arch9wavefront6targetE1EEEvSG_,comdat
.Lfunc_end515:
	.size	_ZN7rocprim17ROCPRIM_400000_NS6detail17trampoline_kernelINS0_14default_configENS1_35radix_sort_onesweep_config_selectorIyyEEZNS1_34radix_sort_onesweep_global_offsetsIS3_Lb0EN6thrust23THRUST_200600_302600_NS6detail15normal_iteratorINS8_10device_ptrIyEEEESD_jNS0_19identity_decomposerEEE10hipError_tT1_T2_PT3_SI_jT4_jjP12ihipStream_tbEUlT_E0_NS1_11comp_targetILNS1_3genE3ELNS1_11target_archE908ELNS1_3gpuE7ELNS1_3repE0EEENS1_52radix_sort_onesweep_histogram_config_static_selectorELNS0_4arch9wavefront6targetE1EEEvSG_, .Lfunc_end515-_ZN7rocprim17ROCPRIM_400000_NS6detail17trampoline_kernelINS0_14default_configENS1_35radix_sort_onesweep_config_selectorIyyEEZNS1_34radix_sort_onesweep_global_offsetsIS3_Lb0EN6thrust23THRUST_200600_302600_NS6detail15normal_iteratorINS8_10device_ptrIyEEEESD_jNS0_19identity_decomposerEEE10hipError_tT1_T2_PT3_SI_jT4_jjP12ihipStream_tbEUlT_E0_NS1_11comp_targetILNS1_3genE3ELNS1_11target_archE908ELNS1_3gpuE7ELNS1_3repE0EEENS1_52radix_sort_onesweep_histogram_config_static_selectorELNS0_4arch9wavefront6targetE1EEEvSG_
                                        ; -- End function
	.set _ZN7rocprim17ROCPRIM_400000_NS6detail17trampoline_kernelINS0_14default_configENS1_35radix_sort_onesweep_config_selectorIyyEEZNS1_34radix_sort_onesweep_global_offsetsIS3_Lb0EN6thrust23THRUST_200600_302600_NS6detail15normal_iteratorINS8_10device_ptrIyEEEESD_jNS0_19identity_decomposerEEE10hipError_tT1_T2_PT3_SI_jT4_jjP12ihipStream_tbEUlT_E0_NS1_11comp_targetILNS1_3genE3ELNS1_11target_archE908ELNS1_3gpuE7ELNS1_3repE0EEENS1_52radix_sort_onesweep_histogram_config_static_selectorELNS0_4arch9wavefront6targetE1EEEvSG_.num_vgpr, 0
	.set _ZN7rocprim17ROCPRIM_400000_NS6detail17trampoline_kernelINS0_14default_configENS1_35radix_sort_onesweep_config_selectorIyyEEZNS1_34radix_sort_onesweep_global_offsetsIS3_Lb0EN6thrust23THRUST_200600_302600_NS6detail15normal_iteratorINS8_10device_ptrIyEEEESD_jNS0_19identity_decomposerEEE10hipError_tT1_T2_PT3_SI_jT4_jjP12ihipStream_tbEUlT_E0_NS1_11comp_targetILNS1_3genE3ELNS1_11target_archE908ELNS1_3gpuE7ELNS1_3repE0EEENS1_52radix_sort_onesweep_histogram_config_static_selectorELNS0_4arch9wavefront6targetE1EEEvSG_.num_agpr, 0
	.set _ZN7rocprim17ROCPRIM_400000_NS6detail17trampoline_kernelINS0_14default_configENS1_35radix_sort_onesweep_config_selectorIyyEEZNS1_34radix_sort_onesweep_global_offsetsIS3_Lb0EN6thrust23THRUST_200600_302600_NS6detail15normal_iteratorINS8_10device_ptrIyEEEESD_jNS0_19identity_decomposerEEE10hipError_tT1_T2_PT3_SI_jT4_jjP12ihipStream_tbEUlT_E0_NS1_11comp_targetILNS1_3genE3ELNS1_11target_archE908ELNS1_3gpuE7ELNS1_3repE0EEENS1_52radix_sort_onesweep_histogram_config_static_selectorELNS0_4arch9wavefront6targetE1EEEvSG_.numbered_sgpr, 0
	.set _ZN7rocprim17ROCPRIM_400000_NS6detail17trampoline_kernelINS0_14default_configENS1_35radix_sort_onesweep_config_selectorIyyEEZNS1_34radix_sort_onesweep_global_offsetsIS3_Lb0EN6thrust23THRUST_200600_302600_NS6detail15normal_iteratorINS8_10device_ptrIyEEEESD_jNS0_19identity_decomposerEEE10hipError_tT1_T2_PT3_SI_jT4_jjP12ihipStream_tbEUlT_E0_NS1_11comp_targetILNS1_3genE3ELNS1_11target_archE908ELNS1_3gpuE7ELNS1_3repE0EEENS1_52radix_sort_onesweep_histogram_config_static_selectorELNS0_4arch9wavefront6targetE1EEEvSG_.num_named_barrier, 0
	.set _ZN7rocprim17ROCPRIM_400000_NS6detail17trampoline_kernelINS0_14default_configENS1_35radix_sort_onesweep_config_selectorIyyEEZNS1_34radix_sort_onesweep_global_offsetsIS3_Lb0EN6thrust23THRUST_200600_302600_NS6detail15normal_iteratorINS8_10device_ptrIyEEEESD_jNS0_19identity_decomposerEEE10hipError_tT1_T2_PT3_SI_jT4_jjP12ihipStream_tbEUlT_E0_NS1_11comp_targetILNS1_3genE3ELNS1_11target_archE908ELNS1_3gpuE7ELNS1_3repE0EEENS1_52radix_sort_onesweep_histogram_config_static_selectorELNS0_4arch9wavefront6targetE1EEEvSG_.private_seg_size, 0
	.set _ZN7rocprim17ROCPRIM_400000_NS6detail17trampoline_kernelINS0_14default_configENS1_35radix_sort_onesweep_config_selectorIyyEEZNS1_34radix_sort_onesweep_global_offsetsIS3_Lb0EN6thrust23THRUST_200600_302600_NS6detail15normal_iteratorINS8_10device_ptrIyEEEESD_jNS0_19identity_decomposerEEE10hipError_tT1_T2_PT3_SI_jT4_jjP12ihipStream_tbEUlT_E0_NS1_11comp_targetILNS1_3genE3ELNS1_11target_archE908ELNS1_3gpuE7ELNS1_3repE0EEENS1_52radix_sort_onesweep_histogram_config_static_selectorELNS0_4arch9wavefront6targetE1EEEvSG_.uses_vcc, 0
	.set _ZN7rocprim17ROCPRIM_400000_NS6detail17trampoline_kernelINS0_14default_configENS1_35radix_sort_onesweep_config_selectorIyyEEZNS1_34radix_sort_onesweep_global_offsetsIS3_Lb0EN6thrust23THRUST_200600_302600_NS6detail15normal_iteratorINS8_10device_ptrIyEEEESD_jNS0_19identity_decomposerEEE10hipError_tT1_T2_PT3_SI_jT4_jjP12ihipStream_tbEUlT_E0_NS1_11comp_targetILNS1_3genE3ELNS1_11target_archE908ELNS1_3gpuE7ELNS1_3repE0EEENS1_52radix_sort_onesweep_histogram_config_static_selectorELNS0_4arch9wavefront6targetE1EEEvSG_.uses_flat_scratch, 0
	.set _ZN7rocprim17ROCPRIM_400000_NS6detail17trampoline_kernelINS0_14default_configENS1_35radix_sort_onesweep_config_selectorIyyEEZNS1_34radix_sort_onesweep_global_offsetsIS3_Lb0EN6thrust23THRUST_200600_302600_NS6detail15normal_iteratorINS8_10device_ptrIyEEEESD_jNS0_19identity_decomposerEEE10hipError_tT1_T2_PT3_SI_jT4_jjP12ihipStream_tbEUlT_E0_NS1_11comp_targetILNS1_3genE3ELNS1_11target_archE908ELNS1_3gpuE7ELNS1_3repE0EEENS1_52radix_sort_onesweep_histogram_config_static_selectorELNS0_4arch9wavefront6targetE1EEEvSG_.has_dyn_sized_stack, 0
	.set _ZN7rocprim17ROCPRIM_400000_NS6detail17trampoline_kernelINS0_14default_configENS1_35radix_sort_onesweep_config_selectorIyyEEZNS1_34radix_sort_onesweep_global_offsetsIS3_Lb0EN6thrust23THRUST_200600_302600_NS6detail15normal_iteratorINS8_10device_ptrIyEEEESD_jNS0_19identity_decomposerEEE10hipError_tT1_T2_PT3_SI_jT4_jjP12ihipStream_tbEUlT_E0_NS1_11comp_targetILNS1_3genE3ELNS1_11target_archE908ELNS1_3gpuE7ELNS1_3repE0EEENS1_52radix_sort_onesweep_histogram_config_static_selectorELNS0_4arch9wavefront6targetE1EEEvSG_.has_recursion, 0
	.set _ZN7rocprim17ROCPRIM_400000_NS6detail17trampoline_kernelINS0_14default_configENS1_35radix_sort_onesweep_config_selectorIyyEEZNS1_34radix_sort_onesweep_global_offsetsIS3_Lb0EN6thrust23THRUST_200600_302600_NS6detail15normal_iteratorINS8_10device_ptrIyEEEESD_jNS0_19identity_decomposerEEE10hipError_tT1_T2_PT3_SI_jT4_jjP12ihipStream_tbEUlT_E0_NS1_11comp_targetILNS1_3genE3ELNS1_11target_archE908ELNS1_3gpuE7ELNS1_3repE0EEENS1_52radix_sort_onesweep_histogram_config_static_selectorELNS0_4arch9wavefront6targetE1EEEvSG_.has_indirect_call, 0
	.section	.AMDGPU.csdata,"",@progbits
; Kernel info:
; codeLenInByte = 0
; TotalNumSgprs: 6
; NumVgprs: 0
; NumAgprs: 0
; TotalNumVgprs: 0
; ScratchSize: 0
; MemoryBound: 0
; FloatMode: 240
; IeeeMode: 1
; LDSByteSize: 0 bytes/workgroup (compile time only)
; SGPRBlocks: 0
; VGPRBlocks: 0
; NumSGPRsForWavesPerEU: 6
; NumVGPRsForWavesPerEU: 1
; AccumOffset: 4
; Occupancy: 8
; WaveLimiterHint : 0
; COMPUTE_PGM_RSRC2:SCRATCH_EN: 0
; COMPUTE_PGM_RSRC2:USER_SGPR: 2
; COMPUTE_PGM_RSRC2:TRAP_HANDLER: 0
; COMPUTE_PGM_RSRC2:TGID_X_EN: 1
; COMPUTE_PGM_RSRC2:TGID_Y_EN: 0
; COMPUTE_PGM_RSRC2:TGID_Z_EN: 0
; COMPUTE_PGM_RSRC2:TIDIG_COMP_CNT: 0
; COMPUTE_PGM_RSRC3_GFX90A:ACCUM_OFFSET: 0
; COMPUTE_PGM_RSRC3_GFX90A:TG_SPLIT: 0
	.section	.text._ZN7rocprim17ROCPRIM_400000_NS6detail17trampoline_kernelINS0_14default_configENS1_35radix_sort_onesweep_config_selectorIyyEEZNS1_34radix_sort_onesweep_global_offsetsIS3_Lb0EN6thrust23THRUST_200600_302600_NS6detail15normal_iteratorINS8_10device_ptrIyEEEESD_jNS0_19identity_decomposerEEE10hipError_tT1_T2_PT3_SI_jT4_jjP12ihipStream_tbEUlT_E0_NS1_11comp_targetILNS1_3genE10ELNS1_11target_archE1201ELNS1_3gpuE5ELNS1_3repE0EEENS1_52radix_sort_onesweep_histogram_config_static_selectorELNS0_4arch9wavefront6targetE1EEEvSG_,"axG",@progbits,_ZN7rocprim17ROCPRIM_400000_NS6detail17trampoline_kernelINS0_14default_configENS1_35radix_sort_onesweep_config_selectorIyyEEZNS1_34radix_sort_onesweep_global_offsetsIS3_Lb0EN6thrust23THRUST_200600_302600_NS6detail15normal_iteratorINS8_10device_ptrIyEEEESD_jNS0_19identity_decomposerEEE10hipError_tT1_T2_PT3_SI_jT4_jjP12ihipStream_tbEUlT_E0_NS1_11comp_targetILNS1_3genE10ELNS1_11target_archE1201ELNS1_3gpuE5ELNS1_3repE0EEENS1_52radix_sort_onesweep_histogram_config_static_selectorELNS0_4arch9wavefront6targetE1EEEvSG_,comdat
	.protected	_ZN7rocprim17ROCPRIM_400000_NS6detail17trampoline_kernelINS0_14default_configENS1_35radix_sort_onesweep_config_selectorIyyEEZNS1_34radix_sort_onesweep_global_offsetsIS3_Lb0EN6thrust23THRUST_200600_302600_NS6detail15normal_iteratorINS8_10device_ptrIyEEEESD_jNS0_19identity_decomposerEEE10hipError_tT1_T2_PT3_SI_jT4_jjP12ihipStream_tbEUlT_E0_NS1_11comp_targetILNS1_3genE10ELNS1_11target_archE1201ELNS1_3gpuE5ELNS1_3repE0EEENS1_52radix_sort_onesweep_histogram_config_static_selectorELNS0_4arch9wavefront6targetE1EEEvSG_ ; -- Begin function _ZN7rocprim17ROCPRIM_400000_NS6detail17trampoline_kernelINS0_14default_configENS1_35radix_sort_onesweep_config_selectorIyyEEZNS1_34radix_sort_onesweep_global_offsetsIS3_Lb0EN6thrust23THRUST_200600_302600_NS6detail15normal_iteratorINS8_10device_ptrIyEEEESD_jNS0_19identity_decomposerEEE10hipError_tT1_T2_PT3_SI_jT4_jjP12ihipStream_tbEUlT_E0_NS1_11comp_targetILNS1_3genE10ELNS1_11target_archE1201ELNS1_3gpuE5ELNS1_3repE0EEENS1_52radix_sort_onesweep_histogram_config_static_selectorELNS0_4arch9wavefront6targetE1EEEvSG_
	.globl	_ZN7rocprim17ROCPRIM_400000_NS6detail17trampoline_kernelINS0_14default_configENS1_35radix_sort_onesweep_config_selectorIyyEEZNS1_34radix_sort_onesweep_global_offsetsIS3_Lb0EN6thrust23THRUST_200600_302600_NS6detail15normal_iteratorINS8_10device_ptrIyEEEESD_jNS0_19identity_decomposerEEE10hipError_tT1_T2_PT3_SI_jT4_jjP12ihipStream_tbEUlT_E0_NS1_11comp_targetILNS1_3genE10ELNS1_11target_archE1201ELNS1_3gpuE5ELNS1_3repE0EEENS1_52radix_sort_onesweep_histogram_config_static_selectorELNS0_4arch9wavefront6targetE1EEEvSG_
	.p2align	8
	.type	_ZN7rocprim17ROCPRIM_400000_NS6detail17trampoline_kernelINS0_14default_configENS1_35radix_sort_onesweep_config_selectorIyyEEZNS1_34radix_sort_onesweep_global_offsetsIS3_Lb0EN6thrust23THRUST_200600_302600_NS6detail15normal_iteratorINS8_10device_ptrIyEEEESD_jNS0_19identity_decomposerEEE10hipError_tT1_T2_PT3_SI_jT4_jjP12ihipStream_tbEUlT_E0_NS1_11comp_targetILNS1_3genE10ELNS1_11target_archE1201ELNS1_3gpuE5ELNS1_3repE0EEENS1_52radix_sort_onesweep_histogram_config_static_selectorELNS0_4arch9wavefront6targetE1EEEvSG_,@function
_ZN7rocprim17ROCPRIM_400000_NS6detail17trampoline_kernelINS0_14default_configENS1_35radix_sort_onesweep_config_selectorIyyEEZNS1_34radix_sort_onesweep_global_offsetsIS3_Lb0EN6thrust23THRUST_200600_302600_NS6detail15normal_iteratorINS8_10device_ptrIyEEEESD_jNS0_19identity_decomposerEEE10hipError_tT1_T2_PT3_SI_jT4_jjP12ihipStream_tbEUlT_E0_NS1_11comp_targetILNS1_3genE10ELNS1_11target_archE1201ELNS1_3gpuE5ELNS1_3repE0EEENS1_52radix_sort_onesweep_histogram_config_static_selectorELNS0_4arch9wavefront6targetE1EEEvSG_: ; @_ZN7rocprim17ROCPRIM_400000_NS6detail17trampoline_kernelINS0_14default_configENS1_35radix_sort_onesweep_config_selectorIyyEEZNS1_34radix_sort_onesweep_global_offsetsIS3_Lb0EN6thrust23THRUST_200600_302600_NS6detail15normal_iteratorINS8_10device_ptrIyEEEESD_jNS0_19identity_decomposerEEE10hipError_tT1_T2_PT3_SI_jT4_jjP12ihipStream_tbEUlT_E0_NS1_11comp_targetILNS1_3genE10ELNS1_11target_archE1201ELNS1_3gpuE5ELNS1_3repE0EEENS1_52radix_sort_onesweep_histogram_config_static_selectorELNS0_4arch9wavefront6targetE1EEEvSG_
; %bb.0:
	.section	.rodata,"a",@progbits
	.p2align	6, 0x0
	.amdhsa_kernel _ZN7rocprim17ROCPRIM_400000_NS6detail17trampoline_kernelINS0_14default_configENS1_35radix_sort_onesweep_config_selectorIyyEEZNS1_34radix_sort_onesweep_global_offsetsIS3_Lb0EN6thrust23THRUST_200600_302600_NS6detail15normal_iteratorINS8_10device_ptrIyEEEESD_jNS0_19identity_decomposerEEE10hipError_tT1_T2_PT3_SI_jT4_jjP12ihipStream_tbEUlT_E0_NS1_11comp_targetILNS1_3genE10ELNS1_11target_archE1201ELNS1_3gpuE5ELNS1_3repE0EEENS1_52radix_sort_onesweep_histogram_config_static_selectorELNS0_4arch9wavefront6targetE1EEEvSG_
		.amdhsa_group_segment_fixed_size 0
		.amdhsa_private_segment_fixed_size 0
		.amdhsa_kernarg_size 8
		.amdhsa_user_sgpr_count 2
		.amdhsa_user_sgpr_dispatch_ptr 0
		.amdhsa_user_sgpr_queue_ptr 0
		.amdhsa_user_sgpr_kernarg_segment_ptr 1
		.amdhsa_user_sgpr_dispatch_id 0
		.amdhsa_user_sgpr_kernarg_preload_length 0
		.amdhsa_user_sgpr_kernarg_preload_offset 0
		.amdhsa_user_sgpr_private_segment_size 0
		.amdhsa_uses_dynamic_stack 0
		.amdhsa_enable_private_segment 0
		.amdhsa_system_sgpr_workgroup_id_x 1
		.amdhsa_system_sgpr_workgroup_id_y 0
		.amdhsa_system_sgpr_workgroup_id_z 0
		.amdhsa_system_sgpr_workgroup_info 0
		.amdhsa_system_vgpr_workitem_id 0
		.amdhsa_next_free_vgpr 1
		.amdhsa_next_free_sgpr 0
		.amdhsa_accum_offset 4
		.amdhsa_reserve_vcc 0
		.amdhsa_float_round_mode_32 0
		.amdhsa_float_round_mode_16_64 0
		.amdhsa_float_denorm_mode_32 3
		.amdhsa_float_denorm_mode_16_64 3
		.amdhsa_dx10_clamp 1
		.amdhsa_ieee_mode 1
		.amdhsa_fp16_overflow 0
		.amdhsa_tg_split 0
		.amdhsa_exception_fp_ieee_invalid_op 0
		.amdhsa_exception_fp_denorm_src 0
		.amdhsa_exception_fp_ieee_div_zero 0
		.amdhsa_exception_fp_ieee_overflow 0
		.amdhsa_exception_fp_ieee_underflow 0
		.amdhsa_exception_fp_ieee_inexact 0
		.amdhsa_exception_int_div_zero 0
	.end_amdhsa_kernel
	.section	.text._ZN7rocprim17ROCPRIM_400000_NS6detail17trampoline_kernelINS0_14default_configENS1_35radix_sort_onesweep_config_selectorIyyEEZNS1_34radix_sort_onesweep_global_offsetsIS3_Lb0EN6thrust23THRUST_200600_302600_NS6detail15normal_iteratorINS8_10device_ptrIyEEEESD_jNS0_19identity_decomposerEEE10hipError_tT1_T2_PT3_SI_jT4_jjP12ihipStream_tbEUlT_E0_NS1_11comp_targetILNS1_3genE10ELNS1_11target_archE1201ELNS1_3gpuE5ELNS1_3repE0EEENS1_52radix_sort_onesweep_histogram_config_static_selectorELNS0_4arch9wavefront6targetE1EEEvSG_,"axG",@progbits,_ZN7rocprim17ROCPRIM_400000_NS6detail17trampoline_kernelINS0_14default_configENS1_35radix_sort_onesweep_config_selectorIyyEEZNS1_34radix_sort_onesweep_global_offsetsIS3_Lb0EN6thrust23THRUST_200600_302600_NS6detail15normal_iteratorINS8_10device_ptrIyEEEESD_jNS0_19identity_decomposerEEE10hipError_tT1_T2_PT3_SI_jT4_jjP12ihipStream_tbEUlT_E0_NS1_11comp_targetILNS1_3genE10ELNS1_11target_archE1201ELNS1_3gpuE5ELNS1_3repE0EEENS1_52radix_sort_onesweep_histogram_config_static_selectorELNS0_4arch9wavefront6targetE1EEEvSG_,comdat
.Lfunc_end516:
	.size	_ZN7rocprim17ROCPRIM_400000_NS6detail17trampoline_kernelINS0_14default_configENS1_35radix_sort_onesweep_config_selectorIyyEEZNS1_34radix_sort_onesweep_global_offsetsIS3_Lb0EN6thrust23THRUST_200600_302600_NS6detail15normal_iteratorINS8_10device_ptrIyEEEESD_jNS0_19identity_decomposerEEE10hipError_tT1_T2_PT3_SI_jT4_jjP12ihipStream_tbEUlT_E0_NS1_11comp_targetILNS1_3genE10ELNS1_11target_archE1201ELNS1_3gpuE5ELNS1_3repE0EEENS1_52radix_sort_onesweep_histogram_config_static_selectorELNS0_4arch9wavefront6targetE1EEEvSG_, .Lfunc_end516-_ZN7rocprim17ROCPRIM_400000_NS6detail17trampoline_kernelINS0_14default_configENS1_35radix_sort_onesweep_config_selectorIyyEEZNS1_34radix_sort_onesweep_global_offsetsIS3_Lb0EN6thrust23THRUST_200600_302600_NS6detail15normal_iteratorINS8_10device_ptrIyEEEESD_jNS0_19identity_decomposerEEE10hipError_tT1_T2_PT3_SI_jT4_jjP12ihipStream_tbEUlT_E0_NS1_11comp_targetILNS1_3genE10ELNS1_11target_archE1201ELNS1_3gpuE5ELNS1_3repE0EEENS1_52radix_sort_onesweep_histogram_config_static_selectorELNS0_4arch9wavefront6targetE1EEEvSG_
                                        ; -- End function
	.set _ZN7rocprim17ROCPRIM_400000_NS6detail17trampoline_kernelINS0_14default_configENS1_35radix_sort_onesweep_config_selectorIyyEEZNS1_34radix_sort_onesweep_global_offsetsIS3_Lb0EN6thrust23THRUST_200600_302600_NS6detail15normal_iteratorINS8_10device_ptrIyEEEESD_jNS0_19identity_decomposerEEE10hipError_tT1_T2_PT3_SI_jT4_jjP12ihipStream_tbEUlT_E0_NS1_11comp_targetILNS1_3genE10ELNS1_11target_archE1201ELNS1_3gpuE5ELNS1_3repE0EEENS1_52radix_sort_onesweep_histogram_config_static_selectorELNS0_4arch9wavefront6targetE1EEEvSG_.num_vgpr, 0
	.set _ZN7rocprim17ROCPRIM_400000_NS6detail17trampoline_kernelINS0_14default_configENS1_35radix_sort_onesweep_config_selectorIyyEEZNS1_34radix_sort_onesweep_global_offsetsIS3_Lb0EN6thrust23THRUST_200600_302600_NS6detail15normal_iteratorINS8_10device_ptrIyEEEESD_jNS0_19identity_decomposerEEE10hipError_tT1_T2_PT3_SI_jT4_jjP12ihipStream_tbEUlT_E0_NS1_11comp_targetILNS1_3genE10ELNS1_11target_archE1201ELNS1_3gpuE5ELNS1_3repE0EEENS1_52radix_sort_onesweep_histogram_config_static_selectorELNS0_4arch9wavefront6targetE1EEEvSG_.num_agpr, 0
	.set _ZN7rocprim17ROCPRIM_400000_NS6detail17trampoline_kernelINS0_14default_configENS1_35radix_sort_onesweep_config_selectorIyyEEZNS1_34radix_sort_onesweep_global_offsetsIS3_Lb0EN6thrust23THRUST_200600_302600_NS6detail15normal_iteratorINS8_10device_ptrIyEEEESD_jNS0_19identity_decomposerEEE10hipError_tT1_T2_PT3_SI_jT4_jjP12ihipStream_tbEUlT_E0_NS1_11comp_targetILNS1_3genE10ELNS1_11target_archE1201ELNS1_3gpuE5ELNS1_3repE0EEENS1_52radix_sort_onesweep_histogram_config_static_selectorELNS0_4arch9wavefront6targetE1EEEvSG_.numbered_sgpr, 0
	.set _ZN7rocprim17ROCPRIM_400000_NS6detail17trampoline_kernelINS0_14default_configENS1_35radix_sort_onesweep_config_selectorIyyEEZNS1_34radix_sort_onesweep_global_offsetsIS3_Lb0EN6thrust23THRUST_200600_302600_NS6detail15normal_iteratorINS8_10device_ptrIyEEEESD_jNS0_19identity_decomposerEEE10hipError_tT1_T2_PT3_SI_jT4_jjP12ihipStream_tbEUlT_E0_NS1_11comp_targetILNS1_3genE10ELNS1_11target_archE1201ELNS1_3gpuE5ELNS1_3repE0EEENS1_52radix_sort_onesweep_histogram_config_static_selectorELNS0_4arch9wavefront6targetE1EEEvSG_.num_named_barrier, 0
	.set _ZN7rocprim17ROCPRIM_400000_NS6detail17trampoline_kernelINS0_14default_configENS1_35radix_sort_onesweep_config_selectorIyyEEZNS1_34radix_sort_onesweep_global_offsetsIS3_Lb0EN6thrust23THRUST_200600_302600_NS6detail15normal_iteratorINS8_10device_ptrIyEEEESD_jNS0_19identity_decomposerEEE10hipError_tT1_T2_PT3_SI_jT4_jjP12ihipStream_tbEUlT_E0_NS1_11comp_targetILNS1_3genE10ELNS1_11target_archE1201ELNS1_3gpuE5ELNS1_3repE0EEENS1_52radix_sort_onesweep_histogram_config_static_selectorELNS0_4arch9wavefront6targetE1EEEvSG_.private_seg_size, 0
	.set _ZN7rocprim17ROCPRIM_400000_NS6detail17trampoline_kernelINS0_14default_configENS1_35radix_sort_onesweep_config_selectorIyyEEZNS1_34radix_sort_onesweep_global_offsetsIS3_Lb0EN6thrust23THRUST_200600_302600_NS6detail15normal_iteratorINS8_10device_ptrIyEEEESD_jNS0_19identity_decomposerEEE10hipError_tT1_T2_PT3_SI_jT4_jjP12ihipStream_tbEUlT_E0_NS1_11comp_targetILNS1_3genE10ELNS1_11target_archE1201ELNS1_3gpuE5ELNS1_3repE0EEENS1_52radix_sort_onesweep_histogram_config_static_selectorELNS0_4arch9wavefront6targetE1EEEvSG_.uses_vcc, 0
	.set _ZN7rocprim17ROCPRIM_400000_NS6detail17trampoline_kernelINS0_14default_configENS1_35radix_sort_onesweep_config_selectorIyyEEZNS1_34radix_sort_onesweep_global_offsetsIS3_Lb0EN6thrust23THRUST_200600_302600_NS6detail15normal_iteratorINS8_10device_ptrIyEEEESD_jNS0_19identity_decomposerEEE10hipError_tT1_T2_PT3_SI_jT4_jjP12ihipStream_tbEUlT_E0_NS1_11comp_targetILNS1_3genE10ELNS1_11target_archE1201ELNS1_3gpuE5ELNS1_3repE0EEENS1_52radix_sort_onesweep_histogram_config_static_selectorELNS0_4arch9wavefront6targetE1EEEvSG_.uses_flat_scratch, 0
	.set _ZN7rocprim17ROCPRIM_400000_NS6detail17trampoline_kernelINS0_14default_configENS1_35radix_sort_onesweep_config_selectorIyyEEZNS1_34radix_sort_onesweep_global_offsetsIS3_Lb0EN6thrust23THRUST_200600_302600_NS6detail15normal_iteratorINS8_10device_ptrIyEEEESD_jNS0_19identity_decomposerEEE10hipError_tT1_T2_PT3_SI_jT4_jjP12ihipStream_tbEUlT_E0_NS1_11comp_targetILNS1_3genE10ELNS1_11target_archE1201ELNS1_3gpuE5ELNS1_3repE0EEENS1_52radix_sort_onesweep_histogram_config_static_selectorELNS0_4arch9wavefront6targetE1EEEvSG_.has_dyn_sized_stack, 0
	.set _ZN7rocprim17ROCPRIM_400000_NS6detail17trampoline_kernelINS0_14default_configENS1_35radix_sort_onesweep_config_selectorIyyEEZNS1_34radix_sort_onesweep_global_offsetsIS3_Lb0EN6thrust23THRUST_200600_302600_NS6detail15normal_iteratorINS8_10device_ptrIyEEEESD_jNS0_19identity_decomposerEEE10hipError_tT1_T2_PT3_SI_jT4_jjP12ihipStream_tbEUlT_E0_NS1_11comp_targetILNS1_3genE10ELNS1_11target_archE1201ELNS1_3gpuE5ELNS1_3repE0EEENS1_52radix_sort_onesweep_histogram_config_static_selectorELNS0_4arch9wavefront6targetE1EEEvSG_.has_recursion, 0
	.set _ZN7rocprim17ROCPRIM_400000_NS6detail17trampoline_kernelINS0_14default_configENS1_35radix_sort_onesweep_config_selectorIyyEEZNS1_34radix_sort_onesweep_global_offsetsIS3_Lb0EN6thrust23THRUST_200600_302600_NS6detail15normal_iteratorINS8_10device_ptrIyEEEESD_jNS0_19identity_decomposerEEE10hipError_tT1_T2_PT3_SI_jT4_jjP12ihipStream_tbEUlT_E0_NS1_11comp_targetILNS1_3genE10ELNS1_11target_archE1201ELNS1_3gpuE5ELNS1_3repE0EEENS1_52radix_sort_onesweep_histogram_config_static_selectorELNS0_4arch9wavefront6targetE1EEEvSG_.has_indirect_call, 0
	.section	.AMDGPU.csdata,"",@progbits
; Kernel info:
; codeLenInByte = 0
; TotalNumSgprs: 6
; NumVgprs: 0
; NumAgprs: 0
; TotalNumVgprs: 0
; ScratchSize: 0
; MemoryBound: 0
; FloatMode: 240
; IeeeMode: 1
; LDSByteSize: 0 bytes/workgroup (compile time only)
; SGPRBlocks: 0
; VGPRBlocks: 0
; NumSGPRsForWavesPerEU: 6
; NumVGPRsForWavesPerEU: 1
; AccumOffset: 4
; Occupancy: 8
; WaveLimiterHint : 0
; COMPUTE_PGM_RSRC2:SCRATCH_EN: 0
; COMPUTE_PGM_RSRC2:USER_SGPR: 2
; COMPUTE_PGM_RSRC2:TRAP_HANDLER: 0
; COMPUTE_PGM_RSRC2:TGID_X_EN: 1
; COMPUTE_PGM_RSRC2:TGID_Y_EN: 0
; COMPUTE_PGM_RSRC2:TGID_Z_EN: 0
; COMPUTE_PGM_RSRC2:TIDIG_COMP_CNT: 0
; COMPUTE_PGM_RSRC3_GFX90A:ACCUM_OFFSET: 0
; COMPUTE_PGM_RSRC3_GFX90A:TG_SPLIT: 0
	.section	.text._ZN7rocprim17ROCPRIM_400000_NS6detail17trampoline_kernelINS0_14default_configENS1_35radix_sort_onesweep_config_selectorIyyEEZNS1_34radix_sort_onesweep_global_offsetsIS3_Lb0EN6thrust23THRUST_200600_302600_NS6detail15normal_iteratorINS8_10device_ptrIyEEEESD_jNS0_19identity_decomposerEEE10hipError_tT1_T2_PT3_SI_jT4_jjP12ihipStream_tbEUlT_E0_NS1_11comp_targetILNS1_3genE9ELNS1_11target_archE1100ELNS1_3gpuE3ELNS1_3repE0EEENS1_52radix_sort_onesweep_histogram_config_static_selectorELNS0_4arch9wavefront6targetE1EEEvSG_,"axG",@progbits,_ZN7rocprim17ROCPRIM_400000_NS6detail17trampoline_kernelINS0_14default_configENS1_35radix_sort_onesweep_config_selectorIyyEEZNS1_34radix_sort_onesweep_global_offsetsIS3_Lb0EN6thrust23THRUST_200600_302600_NS6detail15normal_iteratorINS8_10device_ptrIyEEEESD_jNS0_19identity_decomposerEEE10hipError_tT1_T2_PT3_SI_jT4_jjP12ihipStream_tbEUlT_E0_NS1_11comp_targetILNS1_3genE9ELNS1_11target_archE1100ELNS1_3gpuE3ELNS1_3repE0EEENS1_52radix_sort_onesweep_histogram_config_static_selectorELNS0_4arch9wavefront6targetE1EEEvSG_,comdat
	.protected	_ZN7rocprim17ROCPRIM_400000_NS6detail17trampoline_kernelINS0_14default_configENS1_35radix_sort_onesweep_config_selectorIyyEEZNS1_34radix_sort_onesweep_global_offsetsIS3_Lb0EN6thrust23THRUST_200600_302600_NS6detail15normal_iteratorINS8_10device_ptrIyEEEESD_jNS0_19identity_decomposerEEE10hipError_tT1_T2_PT3_SI_jT4_jjP12ihipStream_tbEUlT_E0_NS1_11comp_targetILNS1_3genE9ELNS1_11target_archE1100ELNS1_3gpuE3ELNS1_3repE0EEENS1_52radix_sort_onesweep_histogram_config_static_selectorELNS0_4arch9wavefront6targetE1EEEvSG_ ; -- Begin function _ZN7rocprim17ROCPRIM_400000_NS6detail17trampoline_kernelINS0_14default_configENS1_35radix_sort_onesweep_config_selectorIyyEEZNS1_34radix_sort_onesweep_global_offsetsIS3_Lb0EN6thrust23THRUST_200600_302600_NS6detail15normal_iteratorINS8_10device_ptrIyEEEESD_jNS0_19identity_decomposerEEE10hipError_tT1_T2_PT3_SI_jT4_jjP12ihipStream_tbEUlT_E0_NS1_11comp_targetILNS1_3genE9ELNS1_11target_archE1100ELNS1_3gpuE3ELNS1_3repE0EEENS1_52radix_sort_onesweep_histogram_config_static_selectorELNS0_4arch9wavefront6targetE1EEEvSG_
	.globl	_ZN7rocprim17ROCPRIM_400000_NS6detail17trampoline_kernelINS0_14default_configENS1_35radix_sort_onesweep_config_selectorIyyEEZNS1_34radix_sort_onesweep_global_offsetsIS3_Lb0EN6thrust23THRUST_200600_302600_NS6detail15normal_iteratorINS8_10device_ptrIyEEEESD_jNS0_19identity_decomposerEEE10hipError_tT1_T2_PT3_SI_jT4_jjP12ihipStream_tbEUlT_E0_NS1_11comp_targetILNS1_3genE9ELNS1_11target_archE1100ELNS1_3gpuE3ELNS1_3repE0EEENS1_52radix_sort_onesweep_histogram_config_static_selectorELNS0_4arch9wavefront6targetE1EEEvSG_
	.p2align	8
	.type	_ZN7rocprim17ROCPRIM_400000_NS6detail17trampoline_kernelINS0_14default_configENS1_35radix_sort_onesweep_config_selectorIyyEEZNS1_34radix_sort_onesweep_global_offsetsIS3_Lb0EN6thrust23THRUST_200600_302600_NS6detail15normal_iteratorINS8_10device_ptrIyEEEESD_jNS0_19identity_decomposerEEE10hipError_tT1_T2_PT3_SI_jT4_jjP12ihipStream_tbEUlT_E0_NS1_11comp_targetILNS1_3genE9ELNS1_11target_archE1100ELNS1_3gpuE3ELNS1_3repE0EEENS1_52radix_sort_onesweep_histogram_config_static_selectorELNS0_4arch9wavefront6targetE1EEEvSG_,@function
_ZN7rocprim17ROCPRIM_400000_NS6detail17trampoline_kernelINS0_14default_configENS1_35radix_sort_onesweep_config_selectorIyyEEZNS1_34radix_sort_onesweep_global_offsetsIS3_Lb0EN6thrust23THRUST_200600_302600_NS6detail15normal_iteratorINS8_10device_ptrIyEEEESD_jNS0_19identity_decomposerEEE10hipError_tT1_T2_PT3_SI_jT4_jjP12ihipStream_tbEUlT_E0_NS1_11comp_targetILNS1_3genE9ELNS1_11target_archE1100ELNS1_3gpuE3ELNS1_3repE0EEENS1_52radix_sort_onesweep_histogram_config_static_selectorELNS0_4arch9wavefront6targetE1EEEvSG_: ; @_ZN7rocprim17ROCPRIM_400000_NS6detail17trampoline_kernelINS0_14default_configENS1_35radix_sort_onesweep_config_selectorIyyEEZNS1_34radix_sort_onesweep_global_offsetsIS3_Lb0EN6thrust23THRUST_200600_302600_NS6detail15normal_iteratorINS8_10device_ptrIyEEEESD_jNS0_19identity_decomposerEEE10hipError_tT1_T2_PT3_SI_jT4_jjP12ihipStream_tbEUlT_E0_NS1_11comp_targetILNS1_3genE9ELNS1_11target_archE1100ELNS1_3gpuE3ELNS1_3repE0EEENS1_52radix_sort_onesweep_histogram_config_static_selectorELNS0_4arch9wavefront6targetE1EEEvSG_
; %bb.0:
	.section	.rodata,"a",@progbits
	.p2align	6, 0x0
	.amdhsa_kernel _ZN7rocprim17ROCPRIM_400000_NS6detail17trampoline_kernelINS0_14default_configENS1_35radix_sort_onesweep_config_selectorIyyEEZNS1_34radix_sort_onesweep_global_offsetsIS3_Lb0EN6thrust23THRUST_200600_302600_NS6detail15normal_iteratorINS8_10device_ptrIyEEEESD_jNS0_19identity_decomposerEEE10hipError_tT1_T2_PT3_SI_jT4_jjP12ihipStream_tbEUlT_E0_NS1_11comp_targetILNS1_3genE9ELNS1_11target_archE1100ELNS1_3gpuE3ELNS1_3repE0EEENS1_52radix_sort_onesweep_histogram_config_static_selectorELNS0_4arch9wavefront6targetE1EEEvSG_
		.amdhsa_group_segment_fixed_size 0
		.amdhsa_private_segment_fixed_size 0
		.amdhsa_kernarg_size 8
		.amdhsa_user_sgpr_count 2
		.amdhsa_user_sgpr_dispatch_ptr 0
		.amdhsa_user_sgpr_queue_ptr 0
		.amdhsa_user_sgpr_kernarg_segment_ptr 1
		.amdhsa_user_sgpr_dispatch_id 0
		.amdhsa_user_sgpr_kernarg_preload_length 0
		.amdhsa_user_sgpr_kernarg_preload_offset 0
		.amdhsa_user_sgpr_private_segment_size 0
		.amdhsa_uses_dynamic_stack 0
		.amdhsa_enable_private_segment 0
		.amdhsa_system_sgpr_workgroup_id_x 1
		.amdhsa_system_sgpr_workgroup_id_y 0
		.amdhsa_system_sgpr_workgroup_id_z 0
		.amdhsa_system_sgpr_workgroup_info 0
		.amdhsa_system_vgpr_workitem_id 0
		.amdhsa_next_free_vgpr 1
		.amdhsa_next_free_sgpr 0
		.amdhsa_accum_offset 4
		.amdhsa_reserve_vcc 0
		.amdhsa_float_round_mode_32 0
		.amdhsa_float_round_mode_16_64 0
		.amdhsa_float_denorm_mode_32 3
		.amdhsa_float_denorm_mode_16_64 3
		.amdhsa_dx10_clamp 1
		.amdhsa_ieee_mode 1
		.amdhsa_fp16_overflow 0
		.amdhsa_tg_split 0
		.amdhsa_exception_fp_ieee_invalid_op 0
		.amdhsa_exception_fp_denorm_src 0
		.amdhsa_exception_fp_ieee_div_zero 0
		.amdhsa_exception_fp_ieee_overflow 0
		.amdhsa_exception_fp_ieee_underflow 0
		.amdhsa_exception_fp_ieee_inexact 0
		.amdhsa_exception_int_div_zero 0
	.end_amdhsa_kernel
	.section	.text._ZN7rocprim17ROCPRIM_400000_NS6detail17trampoline_kernelINS0_14default_configENS1_35radix_sort_onesweep_config_selectorIyyEEZNS1_34radix_sort_onesweep_global_offsetsIS3_Lb0EN6thrust23THRUST_200600_302600_NS6detail15normal_iteratorINS8_10device_ptrIyEEEESD_jNS0_19identity_decomposerEEE10hipError_tT1_T2_PT3_SI_jT4_jjP12ihipStream_tbEUlT_E0_NS1_11comp_targetILNS1_3genE9ELNS1_11target_archE1100ELNS1_3gpuE3ELNS1_3repE0EEENS1_52radix_sort_onesweep_histogram_config_static_selectorELNS0_4arch9wavefront6targetE1EEEvSG_,"axG",@progbits,_ZN7rocprim17ROCPRIM_400000_NS6detail17trampoline_kernelINS0_14default_configENS1_35radix_sort_onesweep_config_selectorIyyEEZNS1_34radix_sort_onesweep_global_offsetsIS3_Lb0EN6thrust23THRUST_200600_302600_NS6detail15normal_iteratorINS8_10device_ptrIyEEEESD_jNS0_19identity_decomposerEEE10hipError_tT1_T2_PT3_SI_jT4_jjP12ihipStream_tbEUlT_E0_NS1_11comp_targetILNS1_3genE9ELNS1_11target_archE1100ELNS1_3gpuE3ELNS1_3repE0EEENS1_52radix_sort_onesweep_histogram_config_static_selectorELNS0_4arch9wavefront6targetE1EEEvSG_,comdat
.Lfunc_end517:
	.size	_ZN7rocprim17ROCPRIM_400000_NS6detail17trampoline_kernelINS0_14default_configENS1_35radix_sort_onesweep_config_selectorIyyEEZNS1_34radix_sort_onesweep_global_offsetsIS3_Lb0EN6thrust23THRUST_200600_302600_NS6detail15normal_iteratorINS8_10device_ptrIyEEEESD_jNS0_19identity_decomposerEEE10hipError_tT1_T2_PT3_SI_jT4_jjP12ihipStream_tbEUlT_E0_NS1_11comp_targetILNS1_3genE9ELNS1_11target_archE1100ELNS1_3gpuE3ELNS1_3repE0EEENS1_52radix_sort_onesweep_histogram_config_static_selectorELNS0_4arch9wavefront6targetE1EEEvSG_, .Lfunc_end517-_ZN7rocprim17ROCPRIM_400000_NS6detail17trampoline_kernelINS0_14default_configENS1_35radix_sort_onesweep_config_selectorIyyEEZNS1_34radix_sort_onesweep_global_offsetsIS3_Lb0EN6thrust23THRUST_200600_302600_NS6detail15normal_iteratorINS8_10device_ptrIyEEEESD_jNS0_19identity_decomposerEEE10hipError_tT1_T2_PT3_SI_jT4_jjP12ihipStream_tbEUlT_E0_NS1_11comp_targetILNS1_3genE9ELNS1_11target_archE1100ELNS1_3gpuE3ELNS1_3repE0EEENS1_52radix_sort_onesweep_histogram_config_static_selectorELNS0_4arch9wavefront6targetE1EEEvSG_
                                        ; -- End function
	.set _ZN7rocprim17ROCPRIM_400000_NS6detail17trampoline_kernelINS0_14default_configENS1_35radix_sort_onesweep_config_selectorIyyEEZNS1_34radix_sort_onesweep_global_offsetsIS3_Lb0EN6thrust23THRUST_200600_302600_NS6detail15normal_iteratorINS8_10device_ptrIyEEEESD_jNS0_19identity_decomposerEEE10hipError_tT1_T2_PT3_SI_jT4_jjP12ihipStream_tbEUlT_E0_NS1_11comp_targetILNS1_3genE9ELNS1_11target_archE1100ELNS1_3gpuE3ELNS1_3repE0EEENS1_52radix_sort_onesweep_histogram_config_static_selectorELNS0_4arch9wavefront6targetE1EEEvSG_.num_vgpr, 0
	.set _ZN7rocprim17ROCPRIM_400000_NS6detail17trampoline_kernelINS0_14default_configENS1_35radix_sort_onesweep_config_selectorIyyEEZNS1_34radix_sort_onesweep_global_offsetsIS3_Lb0EN6thrust23THRUST_200600_302600_NS6detail15normal_iteratorINS8_10device_ptrIyEEEESD_jNS0_19identity_decomposerEEE10hipError_tT1_T2_PT3_SI_jT4_jjP12ihipStream_tbEUlT_E0_NS1_11comp_targetILNS1_3genE9ELNS1_11target_archE1100ELNS1_3gpuE3ELNS1_3repE0EEENS1_52radix_sort_onesweep_histogram_config_static_selectorELNS0_4arch9wavefront6targetE1EEEvSG_.num_agpr, 0
	.set _ZN7rocprim17ROCPRIM_400000_NS6detail17trampoline_kernelINS0_14default_configENS1_35radix_sort_onesweep_config_selectorIyyEEZNS1_34radix_sort_onesweep_global_offsetsIS3_Lb0EN6thrust23THRUST_200600_302600_NS6detail15normal_iteratorINS8_10device_ptrIyEEEESD_jNS0_19identity_decomposerEEE10hipError_tT1_T2_PT3_SI_jT4_jjP12ihipStream_tbEUlT_E0_NS1_11comp_targetILNS1_3genE9ELNS1_11target_archE1100ELNS1_3gpuE3ELNS1_3repE0EEENS1_52radix_sort_onesweep_histogram_config_static_selectorELNS0_4arch9wavefront6targetE1EEEvSG_.numbered_sgpr, 0
	.set _ZN7rocprim17ROCPRIM_400000_NS6detail17trampoline_kernelINS0_14default_configENS1_35radix_sort_onesweep_config_selectorIyyEEZNS1_34radix_sort_onesweep_global_offsetsIS3_Lb0EN6thrust23THRUST_200600_302600_NS6detail15normal_iteratorINS8_10device_ptrIyEEEESD_jNS0_19identity_decomposerEEE10hipError_tT1_T2_PT3_SI_jT4_jjP12ihipStream_tbEUlT_E0_NS1_11comp_targetILNS1_3genE9ELNS1_11target_archE1100ELNS1_3gpuE3ELNS1_3repE0EEENS1_52radix_sort_onesweep_histogram_config_static_selectorELNS0_4arch9wavefront6targetE1EEEvSG_.num_named_barrier, 0
	.set _ZN7rocprim17ROCPRIM_400000_NS6detail17trampoline_kernelINS0_14default_configENS1_35radix_sort_onesweep_config_selectorIyyEEZNS1_34radix_sort_onesweep_global_offsetsIS3_Lb0EN6thrust23THRUST_200600_302600_NS6detail15normal_iteratorINS8_10device_ptrIyEEEESD_jNS0_19identity_decomposerEEE10hipError_tT1_T2_PT3_SI_jT4_jjP12ihipStream_tbEUlT_E0_NS1_11comp_targetILNS1_3genE9ELNS1_11target_archE1100ELNS1_3gpuE3ELNS1_3repE0EEENS1_52radix_sort_onesweep_histogram_config_static_selectorELNS0_4arch9wavefront6targetE1EEEvSG_.private_seg_size, 0
	.set _ZN7rocprim17ROCPRIM_400000_NS6detail17trampoline_kernelINS0_14default_configENS1_35radix_sort_onesweep_config_selectorIyyEEZNS1_34radix_sort_onesweep_global_offsetsIS3_Lb0EN6thrust23THRUST_200600_302600_NS6detail15normal_iteratorINS8_10device_ptrIyEEEESD_jNS0_19identity_decomposerEEE10hipError_tT1_T2_PT3_SI_jT4_jjP12ihipStream_tbEUlT_E0_NS1_11comp_targetILNS1_3genE9ELNS1_11target_archE1100ELNS1_3gpuE3ELNS1_3repE0EEENS1_52radix_sort_onesweep_histogram_config_static_selectorELNS0_4arch9wavefront6targetE1EEEvSG_.uses_vcc, 0
	.set _ZN7rocprim17ROCPRIM_400000_NS6detail17trampoline_kernelINS0_14default_configENS1_35radix_sort_onesweep_config_selectorIyyEEZNS1_34radix_sort_onesweep_global_offsetsIS3_Lb0EN6thrust23THRUST_200600_302600_NS6detail15normal_iteratorINS8_10device_ptrIyEEEESD_jNS0_19identity_decomposerEEE10hipError_tT1_T2_PT3_SI_jT4_jjP12ihipStream_tbEUlT_E0_NS1_11comp_targetILNS1_3genE9ELNS1_11target_archE1100ELNS1_3gpuE3ELNS1_3repE0EEENS1_52radix_sort_onesweep_histogram_config_static_selectorELNS0_4arch9wavefront6targetE1EEEvSG_.uses_flat_scratch, 0
	.set _ZN7rocprim17ROCPRIM_400000_NS6detail17trampoline_kernelINS0_14default_configENS1_35radix_sort_onesweep_config_selectorIyyEEZNS1_34radix_sort_onesweep_global_offsetsIS3_Lb0EN6thrust23THRUST_200600_302600_NS6detail15normal_iteratorINS8_10device_ptrIyEEEESD_jNS0_19identity_decomposerEEE10hipError_tT1_T2_PT3_SI_jT4_jjP12ihipStream_tbEUlT_E0_NS1_11comp_targetILNS1_3genE9ELNS1_11target_archE1100ELNS1_3gpuE3ELNS1_3repE0EEENS1_52radix_sort_onesweep_histogram_config_static_selectorELNS0_4arch9wavefront6targetE1EEEvSG_.has_dyn_sized_stack, 0
	.set _ZN7rocprim17ROCPRIM_400000_NS6detail17trampoline_kernelINS0_14default_configENS1_35radix_sort_onesweep_config_selectorIyyEEZNS1_34radix_sort_onesweep_global_offsetsIS3_Lb0EN6thrust23THRUST_200600_302600_NS6detail15normal_iteratorINS8_10device_ptrIyEEEESD_jNS0_19identity_decomposerEEE10hipError_tT1_T2_PT3_SI_jT4_jjP12ihipStream_tbEUlT_E0_NS1_11comp_targetILNS1_3genE9ELNS1_11target_archE1100ELNS1_3gpuE3ELNS1_3repE0EEENS1_52radix_sort_onesweep_histogram_config_static_selectorELNS0_4arch9wavefront6targetE1EEEvSG_.has_recursion, 0
	.set _ZN7rocprim17ROCPRIM_400000_NS6detail17trampoline_kernelINS0_14default_configENS1_35radix_sort_onesweep_config_selectorIyyEEZNS1_34radix_sort_onesweep_global_offsetsIS3_Lb0EN6thrust23THRUST_200600_302600_NS6detail15normal_iteratorINS8_10device_ptrIyEEEESD_jNS0_19identity_decomposerEEE10hipError_tT1_T2_PT3_SI_jT4_jjP12ihipStream_tbEUlT_E0_NS1_11comp_targetILNS1_3genE9ELNS1_11target_archE1100ELNS1_3gpuE3ELNS1_3repE0EEENS1_52radix_sort_onesweep_histogram_config_static_selectorELNS0_4arch9wavefront6targetE1EEEvSG_.has_indirect_call, 0
	.section	.AMDGPU.csdata,"",@progbits
; Kernel info:
; codeLenInByte = 0
; TotalNumSgprs: 6
; NumVgprs: 0
; NumAgprs: 0
; TotalNumVgprs: 0
; ScratchSize: 0
; MemoryBound: 0
; FloatMode: 240
; IeeeMode: 1
; LDSByteSize: 0 bytes/workgroup (compile time only)
; SGPRBlocks: 0
; VGPRBlocks: 0
; NumSGPRsForWavesPerEU: 6
; NumVGPRsForWavesPerEU: 1
; AccumOffset: 4
; Occupancy: 8
; WaveLimiterHint : 0
; COMPUTE_PGM_RSRC2:SCRATCH_EN: 0
; COMPUTE_PGM_RSRC2:USER_SGPR: 2
; COMPUTE_PGM_RSRC2:TRAP_HANDLER: 0
; COMPUTE_PGM_RSRC2:TGID_X_EN: 1
; COMPUTE_PGM_RSRC2:TGID_Y_EN: 0
; COMPUTE_PGM_RSRC2:TGID_Z_EN: 0
; COMPUTE_PGM_RSRC2:TIDIG_COMP_CNT: 0
; COMPUTE_PGM_RSRC3_GFX90A:ACCUM_OFFSET: 0
; COMPUTE_PGM_RSRC3_GFX90A:TG_SPLIT: 0
	.section	.text._ZN7rocprim17ROCPRIM_400000_NS6detail17trampoline_kernelINS0_14default_configENS1_35radix_sort_onesweep_config_selectorIyyEEZNS1_34radix_sort_onesweep_global_offsetsIS3_Lb0EN6thrust23THRUST_200600_302600_NS6detail15normal_iteratorINS8_10device_ptrIyEEEESD_jNS0_19identity_decomposerEEE10hipError_tT1_T2_PT3_SI_jT4_jjP12ihipStream_tbEUlT_E0_NS1_11comp_targetILNS1_3genE8ELNS1_11target_archE1030ELNS1_3gpuE2ELNS1_3repE0EEENS1_52radix_sort_onesweep_histogram_config_static_selectorELNS0_4arch9wavefront6targetE1EEEvSG_,"axG",@progbits,_ZN7rocprim17ROCPRIM_400000_NS6detail17trampoline_kernelINS0_14default_configENS1_35radix_sort_onesweep_config_selectorIyyEEZNS1_34radix_sort_onesweep_global_offsetsIS3_Lb0EN6thrust23THRUST_200600_302600_NS6detail15normal_iteratorINS8_10device_ptrIyEEEESD_jNS0_19identity_decomposerEEE10hipError_tT1_T2_PT3_SI_jT4_jjP12ihipStream_tbEUlT_E0_NS1_11comp_targetILNS1_3genE8ELNS1_11target_archE1030ELNS1_3gpuE2ELNS1_3repE0EEENS1_52radix_sort_onesweep_histogram_config_static_selectorELNS0_4arch9wavefront6targetE1EEEvSG_,comdat
	.protected	_ZN7rocprim17ROCPRIM_400000_NS6detail17trampoline_kernelINS0_14default_configENS1_35radix_sort_onesweep_config_selectorIyyEEZNS1_34radix_sort_onesweep_global_offsetsIS3_Lb0EN6thrust23THRUST_200600_302600_NS6detail15normal_iteratorINS8_10device_ptrIyEEEESD_jNS0_19identity_decomposerEEE10hipError_tT1_T2_PT3_SI_jT4_jjP12ihipStream_tbEUlT_E0_NS1_11comp_targetILNS1_3genE8ELNS1_11target_archE1030ELNS1_3gpuE2ELNS1_3repE0EEENS1_52radix_sort_onesweep_histogram_config_static_selectorELNS0_4arch9wavefront6targetE1EEEvSG_ ; -- Begin function _ZN7rocprim17ROCPRIM_400000_NS6detail17trampoline_kernelINS0_14default_configENS1_35radix_sort_onesweep_config_selectorIyyEEZNS1_34radix_sort_onesweep_global_offsetsIS3_Lb0EN6thrust23THRUST_200600_302600_NS6detail15normal_iteratorINS8_10device_ptrIyEEEESD_jNS0_19identity_decomposerEEE10hipError_tT1_T2_PT3_SI_jT4_jjP12ihipStream_tbEUlT_E0_NS1_11comp_targetILNS1_3genE8ELNS1_11target_archE1030ELNS1_3gpuE2ELNS1_3repE0EEENS1_52radix_sort_onesweep_histogram_config_static_selectorELNS0_4arch9wavefront6targetE1EEEvSG_
	.globl	_ZN7rocprim17ROCPRIM_400000_NS6detail17trampoline_kernelINS0_14default_configENS1_35radix_sort_onesweep_config_selectorIyyEEZNS1_34radix_sort_onesweep_global_offsetsIS3_Lb0EN6thrust23THRUST_200600_302600_NS6detail15normal_iteratorINS8_10device_ptrIyEEEESD_jNS0_19identity_decomposerEEE10hipError_tT1_T2_PT3_SI_jT4_jjP12ihipStream_tbEUlT_E0_NS1_11comp_targetILNS1_3genE8ELNS1_11target_archE1030ELNS1_3gpuE2ELNS1_3repE0EEENS1_52radix_sort_onesweep_histogram_config_static_selectorELNS0_4arch9wavefront6targetE1EEEvSG_
	.p2align	8
	.type	_ZN7rocprim17ROCPRIM_400000_NS6detail17trampoline_kernelINS0_14default_configENS1_35radix_sort_onesweep_config_selectorIyyEEZNS1_34radix_sort_onesweep_global_offsetsIS3_Lb0EN6thrust23THRUST_200600_302600_NS6detail15normal_iteratorINS8_10device_ptrIyEEEESD_jNS0_19identity_decomposerEEE10hipError_tT1_T2_PT3_SI_jT4_jjP12ihipStream_tbEUlT_E0_NS1_11comp_targetILNS1_3genE8ELNS1_11target_archE1030ELNS1_3gpuE2ELNS1_3repE0EEENS1_52radix_sort_onesweep_histogram_config_static_selectorELNS0_4arch9wavefront6targetE1EEEvSG_,@function
_ZN7rocprim17ROCPRIM_400000_NS6detail17trampoline_kernelINS0_14default_configENS1_35radix_sort_onesweep_config_selectorIyyEEZNS1_34radix_sort_onesweep_global_offsetsIS3_Lb0EN6thrust23THRUST_200600_302600_NS6detail15normal_iteratorINS8_10device_ptrIyEEEESD_jNS0_19identity_decomposerEEE10hipError_tT1_T2_PT3_SI_jT4_jjP12ihipStream_tbEUlT_E0_NS1_11comp_targetILNS1_3genE8ELNS1_11target_archE1030ELNS1_3gpuE2ELNS1_3repE0EEENS1_52radix_sort_onesweep_histogram_config_static_selectorELNS0_4arch9wavefront6targetE1EEEvSG_: ; @_ZN7rocprim17ROCPRIM_400000_NS6detail17trampoline_kernelINS0_14default_configENS1_35radix_sort_onesweep_config_selectorIyyEEZNS1_34radix_sort_onesweep_global_offsetsIS3_Lb0EN6thrust23THRUST_200600_302600_NS6detail15normal_iteratorINS8_10device_ptrIyEEEESD_jNS0_19identity_decomposerEEE10hipError_tT1_T2_PT3_SI_jT4_jjP12ihipStream_tbEUlT_E0_NS1_11comp_targetILNS1_3genE8ELNS1_11target_archE1030ELNS1_3gpuE2ELNS1_3repE0EEENS1_52radix_sort_onesweep_histogram_config_static_selectorELNS0_4arch9wavefront6targetE1EEEvSG_
; %bb.0:
	.section	.rodata,"a",@progbits
	.p2align	6, 0x0
	.amdhsa_kernel _ZN7rocprim17ROCPRIM_400000_NS6detail17trampoline_kernelINS0_14default_configENS1_35radix_sort_onesweep_config_selectorIyyEEZNS1_34radix_sort_onesweep_global_offsetsIS3_Lb0EN6thrust23THRUST_200600_302600_NS6detail15normal_iteratorINS8_10device_ptrIyEEEESD_jNS0_19identity_decomposerEEE10hipError_tT1_T2_PT3_SI_jT4_jjP12ihipStream_tbEUlT_E0_NS1_11comp_targetILNS1_3genE8ELNS1_11target_archE1030ELNS1_3gpuE2ELNS1_3repE0EEENS1_52radix_sort_onesweep_histogram_config_static_selectorELNS0_4arch9wavefront6targetE1EEEvSG_
		.amdhsa_group_segment_fixed_size 0
		.amdhsa_private_segment_fixed_size 0
		.amdhsa_kernarg_size 8
		.amdhsa_user_sgpr_count 2
		.amdhsa_user_sgpr_dispatch_ptr 0
		.amdhsa_user_sgpr_queue_ptr 0
		.amdhsa_user_sgpr_kernarg_segment_ptr 1
		.amdhsa_user_sgpr_dispatch_id 0
		.amdhsa_user_sgpr_kernarg_preload_length 0
		.amdhsa_user_sgpr_kernarg_preload_offset 0
		.amdhsa_user_sgpr_private_segment_size 0
		.amdhsa_uses_dynamic_stack 0
		.amdhsa_enable_private_segment 0
		.amdhsa_system_sgpr_workgroup_id_x 1
		.amdhsa_system_sgpr_workgroup_id_y 0
		.amdhsa_system_sgpr_workgroup_id_z 0
		.amdhsa_system_sgpr_workgroup_info 0
		.amdhsa_system_vgpr_workitem_id 0
		.amdhsa_next_free_vgpr 1
		.amdhsa_next_free_sgpr 0
		.amdhsa_accum_offset 4
		.amdhsa_reserve_vcc 0
		.amdhsa_float_round_mode_32 0
		.amdhsa_float_round_mode_16_64 0
		.amdhsa_float_denorm_mode_32 3
		.amdhsa_float_denorm_mode_16_64 3
		.amdhsa_dx10_clamp 1
		.amdhsa_ieee_mode 1
		.amdhsa_fp16_overflow 0
		.amdhsa_tg_split 0
		.amdhsa_exception_fp_ieee_invalid_op 0
		.amdhsa_exception_fp_denorm_src 0
		.amdhsa_exception_fp_ieee_div_zero 0
		.amdhsa_exception_fp_ieee_overflow 0
		.amdhsa_exception_fp_ieee_underflow 0
		.amdhsa_exception_fp_ieee_inexact 0
		.amdhsa_exception_int_div_zero 0
	.end_amdhsa_kernel
	.section	.text._ZN7rocprim17ROCPRIM_400000_NS6detail17trampoline_kernelINS0_14default_configENS1_35radix_sort_onesweep_config_selectorIyyEEZNS1_34radix_sort_onesweep_global_offsetsIS3_Lb0EN6thrust23THRUST_200600_302600_NS6detail15normal_iteratorINS8_10device_ptrIyEEEESD_jNS0_19identity_decomposerEEE10hipError_tT1_T2_PT3_SI_jT4_jjP12ihipStream_tbEUlT_E0_NS1_11comp_targetILNS1_3genE8ELNS1_11target_archE1030ELNS1_3gpuE2ELNS1_3repE0EEENS1_52radix_sort_onesweep_histogram_config_static_selectorELNS0_4arch9wavefront6targetE1EEEvSG_,"axG",@progbits,_ZN7rocprim17ROCPRIM_400000_NS6detail17trampoline_kernelINS0_14default_configENS1_35radix_sort_onesweep_config_selectorIyyEEZNS1_34radix_sort_onesweep_global_offsetsIS3_Lb0EN6thrust23THRUST_200600_302600_NS6detail15normal_iteratorINS8_10device_ptrIyEEEESD_jNS0_19identity_decomposerEEE10hipError_tT1_T2_PT3_SI_jT4_jjP12ihipStream_tbEUlT_E0_NS1_11comp_targetILNS1_3genE8ELNS1_11target_archE1030ELNS1_3gpuE2ELNS1_3repE0EEENS1_52radix_sort_onesweep_histogram_config_static_selectorELNS0_4arch9wavefront6targetE1EEEvSG_,comdat
.Lfunc_end518:
	.size	_ZN7rocprim17ROCPRIM_400000_NS6detail17trampoline_kernelINS0_14default_configENS1_35radix_sort_onesweep_config_selectorIyyEEZNS1_34radix_sort_onesweep_global_offsetsIS3_Lb0EN6thrust23THRUST_200600_302600_NS6detail15normal_iteratorINS8_10device_ptrIyEEEESD_jNS0_19identity_decomposerEEE10hipError_tT1_T2_PT3_SI_jT4_jjP12ihipStream_tbEUlT_E0_NS1_11comp_targetILNS1_3genE8ELNS1_11target_archE1030ELNS1_3gpuE2ELNS1_3repE0EEENS1_52radix_sort_onesweep_histogram_config_static_selectorELNS0_4arch9wavefront6targetE1EEEvSG_, .Lfunc_end518-_ZN7rocprim17ROCPRIM_400000_NS6detail17trampoline_kernelINS0_14default_configENS1_35radix_sort_onesweep_config_selectorIyyEEZNS1_34radix_sort_onesweep_global_offsetsIS3_Lb0EN6thrust23THRUST_200600_302600_NS6detail15normal_iteratorINS8_10device_ptrIyEEEESD_jNS0_19identity_decomposerEEE10hipError_tT1_T2_PT3_SI_jT4_jjP12ihipStream_tbEUlT_E0_NS1_11comp_targetILNS1_3genE8ELNS1_11target_archE1030ELNS1_3gpuE2ELNS1_3repE0EEENS1_52radix_sort_onesweep_histogram_config_static_selectorELNS0_4arch9wavefront6targetE1EEEvSG_
                                        ; -- End function
	.set _ZN7rocprim17ROCPRIM_400000_NS6detail17trampoline_kernelINS0_14default_configENS1_35radix_sort_onesweep_config_selectorIyyEEZNS1_34radix_sort_onesweep_global_offsetsIS3_Lb0EN6thrust23THRUST_200600_302600_NS6detail15normal_iteratorINS8_10device_ptrIyEEEESD_jNS0_19identity_decomposerEEE10hipError_tT1_T2_PT3_SI_jT4_jjP12ihipStream_tbEUlT_E0_NS1_11comp_targetILNS1_3genE8ELNS1_11target_archE1030ELNS1_3gpuE2ELNS1_3repE0EEENS1_52radix_sort_onesweep_histogram_config_static_selectorELNS0_4arch9wavefront6targetE1EEEvSG_.num_vgpr, 0
	.set _ZN7rocprim17ROCPRIM_400000_NS6detail17trampoline_kernelINS0_14default_configENS1_35radix_sort_onesweep_config_selectorIyyEEZNS1_34radix_sort_onesweep_global_offsetsIS3_Lb0EN6thrust23THRUST_200600_302600_NS6detail15normal_iteratorINS8_10device_ptrIyEEEESD_jNS0_19identity_decomposerEEE10hipError_tT1_T2_PT3_SI_jT4_jjP12ihipStream_tbEUlT_E0_NS1_11comp_targetILNS1_3genE8ELNS1_11target_archE1030ELNS1_3gpuE2ELNS1_3repE0EEENS1_52radix_sort_onesweep_histogram_config_static_selectorELNS0_4arch9wavefront6targetE1EEEvSG_.num_agpr, 0
	.set _ZN7rocprim17ROCPRIM_400000_NS6detail17trampoline_kernelINS0_14default_configENS1_35radix_sort_onesweep_config_selectorIyyEEZNS1_34radix_sort_onesweep_global_offsetsIS3_Lb0EN6thrust23THRUST_200600_302600_NS6detail15normal_iteratorINS8_10device_ptrIyEEEESD_jNS0_19identity_decomposerEEE10hipError_tT1_T2_PT3_SI_jT4_jjP12ihipStream_tbEUlT_E0_NS1_11comp_targetILNS1_3genE8ELNS1_11target_archE1030ELNS1_3gpuE2ELNS1_3repE0EEENS1_52radix_sort_onesweep_histogram_config_static_selectorELNS0_4arch9wavefront6targetE1EEEvSG_.numbered_sgpr, 0
	.set _ZN7rocprim17ROCPRIM_400000_NS6detail17trampoline_kernelINS0_14default_configENS1_35radix_sort_onesweep_config_selectorIyyEEZNS1_34radix_sort_onesweep_global_offsetsIS3_Lb0EN6thrust23THRUST_200600_302600_NS6detail15normal_iteratorINS8_10device_ptrIyEEEESD_jNS0_19identity_decomposerEEE10hipError_tT1_T2_PT3_SI_jT4_jjP12ihipStream_tbEUlT_E0_NS1_11comp_targetILNS1_3genE8ELNS1_11target_archE1030ELNS1_3gpuE2ELNS1_3repE0EEENS1_52radix_sort_onesweep_histogram_config_static_selectorELNS0_4arch9wavefront6targetE1EEEvSG_.num_named_barrier, 0
	.set _ZN7rocprim17ROCPRIM_400000_NS6detail17trampoline_kernelINS0_14default_configENS1_35radix_sort_onesweep_config_selectorIyyEEZNS1_34radix_sort_onesweep_global_offsetsIS3_Lb0EN6thrust23THRUST_200600_302600_NS6detail15normal_iteratorINS8_10device_ptrIyEEEESD_jNS0_19identity_decomposerEEE10hipError_tT1_T2_PT3_SI_jT4_jjP12ihipStream_tbEUlT_E0_NS1_11comp_targetILNS1_3genE8ELNS1_11target_archE1030ELNS1_3gpuE2ELNS1_3repE0EEENS1_52radix_sort_onesweep_histogram_config_static_selectorELNS0_4arch9wavefront6targetE1EEEvSG_.private_seg_size, 0
	.set _ZN7rocprim17ROCPRIM_400000_NS6detail17trampoline_kernelINS0_14default_configENS1_35radix_sort_onesweep_config_selectorIyyEEZNS1_34radix_sort_onesweep_global_offsetsIS3_Lb0EN6thrust23THRUST_200600_302600_NS6detail15normal_iteratorINS8_10device_ptrIyEEEESD_jNS0_19identity_decomposerEEE10hipError_tT1_T2_PT3_SI_jT4_jjP12ihipStream_tbEUlT_E0_NS1_11comp_targetILNS1_3genE8ELNS1_11target_archE1030ELNS1_3gpuE2ELNS1_3repE0EEENS1_52radix_sort_onesweep_histogram_config_static_selectorELNS0_4arch9wavefront6targetE1EEEvSG_.uses_vcc, 0
	.set _ZN7rocprim17ROCPRIM_400000_NS6detail17trampoline_kernelINS0_14default_configENS1_35radix_sort_onesweep_config_selectorIyyEEZNS1_34radix_sort_onesweep_global_offsetsIS3_Lb0EN6thrust23THRUST_200600_302600_NS6detail15normal_iteratorINS8_10device_ptrIyEEEESD_jNS0_19identity_decomposerEEE10hipError_tT1_T2_PT3_SI_jT4_jjP12ihipStream_tbEUlT_E0_NS1_11comp_targetILNS1_3genE8ELNS1_11target_archE1030ELNS1_3gpuE2ELNS1_3repE0EEENS1_52radix_sort_onesweep_histogram_config_static_selectorELNS0_4arch9wavefront6targetE1EEEvSG_.uses_flat_scratch, 0
	.set _ZN7rocprim17ROCPRIM_400000_NS6detail17trampoline_kernelINS0_14default_configENS1_35radix_sort_onesweep_config_selectorIyyEEZNS1_34radix_sort_onesweep_global_offsetsIS3_Lb0EN6thrust23THRUST_200600_302600_NS6detail15normal_iteratorINS8_10device_ptrIyEEEESD_jNS0_19identity_decomposerEEE10hipError_tT1_T2_PT3_SI_jT4_jjP12ihipStream_tbEUlT_E0_NS1_11comp_targetILNS1_3genE8ELNS1_11target_archE1030ELNS1_3gpuE2ELNS1_3repE0EEENS1_52radix_sort_onesweep_histogram_config_static_selectorELNS0_4arch9wavefront6targetE1EEEvSG_.has_dyn_sized_stack, 0
	.set _ZN7rocprim17ROCPRIM_400000_NS6detail17trampoline_kernelINS0_14default_configENS1_35radix_sort_onesweep_config_selectorIyyEEZNS1_34radix_sort_onesweep_global_offsetsIS3_Lb0EN6thrust23THRUST_200600_302600_NS6detail15normal_iteratorINS8_10device_ptrIyEEEESD_jNS0_19identity_decomposerEEE10hipError_tT1_T2_PT3_SI_jT4_jjP12ihipStream_tbEUlT_E0_NS1_11comp_targetILNS1_3genE8ELNS1_11target_archE1030ELNS1_3gpuE2ELNS1_3repE0EEENS1_52radix_sort_onesweep_histogram_config_static_selectorELNS0_4arch9wavefront6targetE1EEEvSG_.has_recursion, 0
	.set _ZN7rocprim17ROCPRIM_400000_NS6detail17trampoline_kernelINS0_14default_configENS1_35radix_sort_onesweep_config_selectorIyyEEZNS1_34radix_sort_onesweep_global_offsetsIS3_Lb0EN6thrust23THRUST_200600_302600_NS6detail15normal_iteratorINS8_10device_ptrIyEEEESD_jNS0_19identity_decomposerEEE10hipError_tT1_T2_PT3_SI_jT4_jjP12ihipStream_tbEUlT_E0_NS1_11comp_targetILNS1_3genE8ELNS1_11target_archE1030ELNS1_3gpuE2ELNS1_3repE0EEENS1_52radix_sort_onesweep_histogram_config_static_selectorELNS0_4arch9wavefront6targetE1EEEvSG_.has_indirect_call, 0
	.section	.AMDGPU.csdata,"",@progbits
; Kernel info:
; codeLenInByte = 0
; TotalNumSgprs: 6
; NumVgprs: 0
; NumAgprs: 0
; TotalNumVgprs: 0
; ScratchSize: 0
; MemoryBound: 0
; FloatMode: 240
; IeeeMode: 1
; LDSByteSize: 0 bytes/workgroup (compile time only)
; SGPRBlocks: 0
; VGPRBlocks: 0
; NumSGPRsForWavesPerEU: 6
; NumVGPRsForWavesPerEU: 1
; AccumOffset: 4
; Occupancy: 8
; WaveLimiterHint : 0
; COMPUTE_PGM_RSRC2:SCRATCH_EN: 0
; COMPUTE_PGM_RSRC2:USER_SGPR: 2
; COMPUTE_PGM_RSRC2:TRAP_HANDLER: 0
; COMPUTE_PGM_RSRC2:TGID_X_EN: 1
; COMPUTE_PGM_RSRC2:TGID_Y_EN: 0
; COMPUTE_PGM_RSRC2:TGID_Z_EN: 0
; COMPUTE_PGM_RSRC2:TIDIG_COMP_CNT: 0
; COMPUTE_PGM_RSRC3_GFX90A:ACCUM_OFFSET: 0
; COMPUTE_PGM_RSRC3_GFX90A:TG_SPLIT: 0
	.section	.text._ZN7rocprim17ROCPRIM_400000_NS6detail17trampoline_kernelINS0_14default_configENS1_25transform_config_selectorIyLb0EEEZNS1_14transform_implILb0ES3_S5_N6thrust23THRUST_200600_302600_NS6detail15normal_iteratorINS8_10device_ptrIyEEEEPyNS0_8identityIyEEEE10hipError_tT2_T3_mT4_P12ihipStream_tbEUlT_E_NS1_11comp_targetILNS1_3genE0ELNS1_11target_archE4294967295ELNS1_3gpuE0ELNS1_3repE0EEENS1_30default_config_static_selectorELNS0_4arch9wavefront6targetE1EEEvT1_,"axG",@progbits,_ZN7rocprim17ROCPRIM_400000_NS6detail17trampoline_kernelINS0_14default_configENS1_25transform_config_selectorIyLb0EEEZNS1_14transform_implILb0ES3_S5_N6thrust23THRUST_200600_302600_NS6detail15normal_iteratorINS8_10device_ptrIyEEEEPyNS0_8identityIyEEEE10hipError_tT2_T3_mT4_P12ihipStream_tbEUlT_E_NS1_11comp_targetILNS1_3genE0ELNS1_11target_archE4294967295ELNS1_3gpuE0ELNS1_3repE0EEENS1_30default_config_static_selectorELNS0_4arch9wavefront6targetE1EEEvT1_,comdat
	.protected	_ZN7rocprim17ROCPRIM_400000_NS6detail17trampoline_kernelINS0_14default_configENS1_25transform_config_selectorIyLb0EEEZNS1_14transform_implILb0ES3_S5_N6thrust23THRUST_200600_302600_NS6detail15normal_iteratorINS8_10device_ptrIyEEEEPyNS0_8identityIyEEEE10hipError_tT2_T3_mT4_P12ihipStream_tbEUlT_E_NS1_11comp_targetILNS1_3genE0ELNS1_11target_archE4294967295ELNS1_3gpuE0ELNS1_3repE0EEENS1_30default_config_static_selectorELNS0_4arch9wavefront6targetE1EEEvT1_ ; -- Begin function _ZN7rocprim17ROCPRIM_400000_NS6detail17trampoline_kernelINS0_14default_configENS1_25transform_config_selectorIyLb0EEEZNS1_14transform_implILb0ES3_S5_N6thrust23THRUST_200600_302600_NS6detail15normal_iteratorINS8_10device_ptrIyEEEEPyNS0_8identityIyEEEE10hipError_tT2_T3_mT4_P12ihipStream_tbEUlT_E_NS1_11comp_targetILNS1_3genE0ELNS1_11target_archE4294967295ELNS1_3gpuE0ELNS1_3repE0EEENS1_30default_config_static_selectorELNS0_4arch9wavefront6targetE1EEEvT1_
	.globl	_ZN7rocprim17ROCPRIM_400000_NS6detail17trampoline_kernelINS0_14default_configENS1_25transform_config_selectorIyLb0EEEZNS1_14transform_implILb0ES3_S5_N6thrust23THRUST_200600_302600_NS6detail15normal_iteratorINS8_10device_ptrIyEEEEPyNS0_8identityIyEEEE10hipError_tT2_T3_mT4_P12ihipStream_tbEUlT_E_NS1_11comp_targetILNS1_3genE0ELNS1_11target_archE4294967295ELNS1_3gpuE0ELNS1_3repE0EEENS1_30default_config_static_selectorELNS0_4arch9wavefront6targetE1EEEvT1_
	.p2align	8
	.type	_ZN7rocprim17ROCPRIM_400000_NS6detail17trampoline_kernelINS0_14default_configENS1_25transform_config_selectorIyLb0EEEZNS1_14transform_implILb0ES3_S5_N6thrust23THRUST_200600_302600_NS6detail15normal_iteratorINS8_10device_ptrIyEEEEPyNS0_8identityIyEEEE10hipError_tT2_T3_mT4_P12ihipStream_tbEUlT_E_NS1_11comp_targetILNS1_3genE0ELNS1_11target_archE4294967295ELNS1_3gpuE0ELNS1_3repE0EEENS1_30default_config_static_selectorELNS0_4arch9wavefront6targetE1EEEvT1_,@function
_ZN7rocprim17ROCPRIM_400000_NS6detail17trampoline_kernelINS0_14default_configENS1_25transform_config_selectorIyLb0EEEZNS1_14transform_implILb0ES3_S5_N6thrust23THRUST_200600_302600_NS6detail15normal_iteratorINS8_10device_ptrIyEEEEPyNS0_8identityIyEEEE10hipError_tT2_T3_mT4_P12ihipStream_tbEUlT_E_NS1_11comp_targetILNS1_3genE0ELNS1_11target_archE4294967295ELNS1_3gpuE0ELNS1_3repE0EEENS1_30default_config_static_selectorELNS0_4arch9wavefront6targetE1EEEvT1_: ; @_ZN7rocprim17ROCPRIM_400000_NS6detail17trampoline_kernelINS0_14default_configENS1_25transform_config_selectorIyLb0EEEZNS1_14transform_implILb0ES3_S5_N6thrust23THRUST_200600_302600_NS6detail15normal_iteratorINS8_10device_ptrIyEEEEPyNS0_8identityIyEEEE10hipError_tT2_T3_mT4_P12ihipStream_tbEUlT_E_NS1_11comp_targetILNS1_3genE0ELNS1_11target_archE4294967295ELNS1_3gpuE0ELNS1_3repE0EEENS1_30default_config_static_selectorELNS0_4arch9wavefront6targetE1EEEvT1_
; %bb.0:
	s_load_dword s3, s[0:1], 0x28
	s_load_dword s5, s[0:1], 0x10
	s_lshl_b32 s4, s2, 7
	s_waitcnt lgkmcnt(0)
	s_add_i32 s3, s3, -1
	s_cmp_lg_u32 s2, s3
	s_cselect_b64 s[2:3], -1, 0
	s_sub_i32 s5, s5, s4
	v_cmp_gt_u32_e32 vcc, s5, v0
	s_or_b64 s[2:3], vcc, s[2:3]
	s_and_saveexec_b64 s[6:7], s[2:3]
	s_cbranch_execz .LBB519_2
; %bb.1:
	s_load_dwordx4 s[8:11], s[0:1], 0x0
	s_load_dwordx2 s[2:3], s[0:1], 0x18
	s_mov_b32 s5, 0
	v_lshlrev_b32_e32 v0, 3, v0
	v_mov_b32_e32 v1, 0
	s_waitcnt lgkmcnt(0)
	s_lshl_b64 s[0:1], s[10:11], 3
	s_add_u32 s6, s8, s0
	s_addc_u32 s7, s9, s1
	s_lshl_b64 s[4:5], s[4:5], 3
	s_add_u32 s6, s6, s4
	s_addc_u32 s7, s7, s5
	v_lshl_add_u64 v[2:3], s[6:7], 0, v[0:1]
	flat_load_dwordx2 v[2:3], v[2:3]
	s_add_u32 s0, s2, s0
	s_addc_u32 s1, s3, s1
	s_add_u32 s0, s0, s4
	s_addc_u32 s1, s1, s5
	s_waitcnt vmcnt(0) lgkmcnt(0)
	global_store_dwordx2 v0, v[2:3], s[0:1]
.LBB519_2:
	s_endpgm
	.section	.rodata,"a",@progbits
	.p2align	6, 0x0
	.amdhsa_kernel _ZN7rocprim17ROCPRIM_400000_NS6detail17trampoline_kernelINS0_14default_configENS1_25transform_config_selectorIyLb0EEEZNS1_14transform_implILb0ES3_S5_N6thrust23THRUST_200600_302600_NS6detail15normal_iteratorINS8_10device_ptrIyEEEEPyNS0_8identityIyEEEE10hipError_tT2_T3_mT4_P12ihipStream_tbEUlT_E_NS1_11comp_targetILNS1_3genE0ELNS1_11target_archE4294967295ELNS1_3gpuE0ELNS1_3repE0EEENS1_30default_config_static_selectorELNS0_4arch9wavefront6targetE1EEEvT1_
		.amdhsa_group_segment_fixed_size 0
		.amdhsa_private_segment_fixed_size 0
		.amdhsa_kernarg_size 296
		.amdhsa_user_sgpr_count 2
		.amdhsa_user_sgpr_dispatch_ptr 0
		.amdhsa_user_sgpr_queue_ptr 0
		.amdhsa_user_sgpr_kernarg_segment_ptr 1
		.amdhsa_user_sgpr_dispatch_id 0
		.amdhsa_user_sgpr_kernarg_preload_length 0
		.amdhsa_user_sgpr_kernarg_preload_offset 0
		.amdhsa_user_sgpr_private_segment_size 0
		.amdhsa_uses_dynamic_stack 0
		.amdhsa_enable_private_segment 0
		.amdhsa_system_sgpr_workgroup_id_x 1
		.amdhsa_system_sgpr_workgroup_id_y 0
		.amdhsa_system_sgpr_workgroup_id_z 0
		.amdhsa_system_sgpr_workgroup_info 0
		.amdhsa_system_vgpr_workitem_id 0
		.amdhsa_next_free_vgpr 4
		.amdhsa_next_free_sgpr 12
		.amdhsa_accum_offset 4
		.amdhsa_reserve_vcc 1
		.amdhsa_float_round_mode_32 0
		.amdhsa_float_round_mode_16_64 0
		.amdhsa_float_denorm_mode_32 3
		.amdhsa_float_denorm_mode_16_64 3
		.amdhsa_dx10_clamp 1
		.amdhsa_ieee_mode 1
		.amdhsa_fp16_overflow 0
		.amdhsa_tg_split 0
		.amdhsa_exception_fp_ieee_invalid_op 0
		.amdhsa_exception_fp_denorm_src 0
		.amdhsa_exception_fp_ieee_div_zero 0
		.amdhsa_exception_fp_ieee_overflow 0
		.amdhsa_exception_fp_ieee_underflow 0
		.amdhsa_exception_fp_ieee_inexact 0
		.amdhsa_exception_int_div_zero 0
	.end_amdhsa_kernel
	.section	.text._ZN7rocprim17ROCPRIM_400000_NS6detail17trampoline_kernelINS0_14default_configENS1_25transform_config_selectorIyLb0EEEZNS1_14transform_implILb0ES3_S5_N6thrust23THRUST_200600_302600_NS6detail15normal_iteratorINS8_10device_ptrIyEEEEPyNS0_8identityIyEEEE10hipError_tT2_T3_mT4_P12ihipStream_tbEUlT_E_NS1_11comp_targetILNS1_3genE0ELNS1_11target_archE4294967295ELNS1_3gpuE0ELNS1_3repE0EEENS1_30default_config_static_selectorELNS0_4arch9wavefront6targetE1EEEvT1_,"axG",@progbits,_ZN7rocprim17ROCPRIM_400000_NS6detail17trampoline_kernelINS0_14default_configENS1_25transform_config_selectorIyLb0EEEZNS1_14transform_implILb0ES3_S5_N6thrust23THRUST_200600_302600_NS6detail15normal_iteratorINS8_10device_ptrIyEEEEPyNS0_8identityIyEEEE10hipError_tT2_T3_mT4_P12ihipStream_tbEUlT_E_NS1_11comp_targetILNS1_3genE0ELNS1_11target_archE4294967295ELNS1_3gpuE0ELNS1_3repE0EEENS1_30default_config_static_selectorELNS0_4arch9wavefront6targetE1EEEvT1_,comdat
.Lfunc_end519:
	.size	_ZN7rocprim17ROCPRIM_400000_NS6detail17trampoline_kernelINS0_14default_configENS1_25transform_config_selectorIyLb0EEEZNS1_14transform_implILb0ES3_S5_N6thrust23THRUST_200600_302600_NS6detail15normal_iteratorINS8_10device_ptrIyEEEEPyNS0_8identityIyEEEE10hipError_tT2_T3_mT4_P12ihipStream_tbEUlT_E_NS1_11comp_targetILNS1_3genE0ELNS1_11target_archE4294967295ELNS1_3gpuE0ELNS1_3repE0EEENS1_30default_config_static_selectorELNS0_4arch9wavefront6targetE1EEEvT1_, .Lfunc_end519-_ZN7rocprim17ROCPRIM_400000_NS6detail17trampoline_kernelINS0_14default_configENS1_25transform_config_selectorIyLb0EEEZNS1_14transform_implILb0ES3_S5_N6thrust23THRUST_200600_302600_NS6detail15normal_iteratorINS8_10device_ptrIyEEEEPyNS0_8identityIyEEEE10hipError_tT2_T3_mT4_P12ihipStream_tbEUlT_E_NS1_11comp_targetILNS1_3genE0ELNS1_11target_archE4294967295ELNS1_3gpuE0ELNS1_3repE0EEENS1_30default_config_static_selectorELNS0_4arch9wavefront6targetE1EEEvT1_
                                        ; -- End function
	.set _ZN7rocprim17ROCPRIM_400000_NS6detail17trampoline_kernelINS0_14default_configENS1_25transform_config_selectorIyLb0EEEZNS1_14transform_implILb0ES3_S5_N6thrust23THRUST_200600_302600_NS6detail15normal_iteratorINS8_10device_ptrIyEEEEPyNS0_8identityIyEEEE10hipError_tT2_T3_mT4_P12ihipStream_tbEUlT_E_NS1_11comp_targetILNS1_3genE0ELNS1_11target_archE4294967295ELNS1_3gpuE0ELNS1_3repE0EEENS1_30default_config_static_selectorELNS0_4arch9wavefront6targetE1EEEvT1_.num_vgpr, 4
	.set _ZN7rocprim17ROCPRIM_400000_NS6detail17trampoline_kernelINS0_14default_configENS1_25transform_config_selectorIyLb0EEEZNS1_14transform_implILb0ES3_S5_N6thrust23THRUST_200600_302600_NS6detail15normal_iteratorINS8_10device_ptrIyEEEEPyNS0_8identityIyEEEE10hipError_tT2_T3_mT4_P12ihipStream_tbEUlT_E_NS1_11comp_targetILNS1_3genE0ELNS1_11target_archE4294967295ELNS1_3gpuE0ELNS1_3repE0EEENS1_30default_config_static_selectorELNS0_4arch9wavefront6targetE1EEEvT1_.num_agpr, 0
	.set _ZN7rocprim17ROCPRIM_400000_NS6detail17trampoline_kernelINS0_14default_configENS1_25transform_config_selectorIyLb0EEEZNS1_14transform_implILb0ES3_S5_N6thrust23THRUST_200600_302600_NS6detail15normal_iteratorINS8_10device_ptrIyEEEEPyNS0_8identityIyEEEE10hipError_tT2_T3_mT4_P12ihipStream_tbEUlT_E_NS1_11comp_targetILNS1_3genE0ELNS1_11target_archE4294967295ELNS1_3gpuE0ELNS1_3repE0EEENS1_30default_config_static_selectorELNS0_4arch9wavefront6targetE1EEEvT1_.numbered_sgpr, 12
	.set _ZN7rocprim17ROCPRIM_400000_NS6detail17trampoline_kernelINS0_14default_configENS1_25transform_config_selectorIyLb0EEEZNS1_14transform_implILb0ES3_S5_N6thrust23THRUST_200600_302600_NS6detail15normal_iteratorINS8_10device_ptrIyEEEEPyNS0_8identityIyEEEE10hipError_tT2_T3_mT4_P12ihipStream_tbEUlT_E_NS1_11comp_targetILNS1_3genE0ELNS1_11target_archE4294967295ELNS1_3gpuE0ELNS1_3repE0EEENS1_30default_config_static_selectorELNS0_4arch9wavefront6targetE1EEEvT1_.num_named_barrier, 0
	.set _ZN7rocprim17ROCPRIM_400000_NS6detail17trampoline_kernelINS0_14default_configENS1_25transform_config_selectorIyLb0EEEZNS1_14transform_implILb0ES3_S5_N6thrust23THRUST_200600_302600_NS6detail15normal_iteratorINS8_10device_ptrIyEEEEPyNS0_8identityIyEEEE10hipError_tT2_T3_mT4_P12ihipStream_tbEUlT_E_NS1_11comp_targetILNS1_3genE0ELNS1_11target_archE4294967295ELNS1_3gpuE0ELNS1_3repE0EEENS1_30default_config_static_selectorELNS0_4arch9wavefront6targetE1EEEvT1_.private_seg_size, 0
	.set _ZN7rocprim17ROCPRIM_400000_NS6detail17trampoline_kernelINS0_14default_configENS1_25transform_config_selectorIyLb0EEEZNS1_14transform_implILb0ES3_S5_N6thrust23THRUST_200600_302600_NS6detail15normal_iteratorINS8_10device_ptrIyEEEEPyNS0_8identityIyEEEE10hipError_tT2_T3_mT4_P12ihipStream_tbEUlT_E_NS1_11comp_targetILNS1_3genE0ELNS1_11target_archE4294967295ELNS1_3gpuE0ELNS1_3repE0EEENS1_30default_config_static_selectorELNS0_4arch9wavefront6targetE1EEEvT1_.uses_vcc, 1
	.set _ZN7rocprim17ROCPRIM_400000_NS6detail17trampoline_kernelINS0_14default_configENS1_25transform_config_selectorIyLb0EEEZNS1_14transform_implILb0ES3_S5_N6thrust23THRUST_200600_302600_NS6detail15normal_iteratorINS8_10device_ptrIyEEEEPyNS0_8identityIyEEEE10hipError_tT2_T3_mT4_P12ihipStream_tbEUlT_E_NS1_11comp_targetILNS1_3genE0ELNS1_11target_archE4294967295ELNS1_3gpuE0ELNS1_3repE0EEENS1_30default_config_static_selectorELNS0_4arch9wavefront6targetE1EEEvT1_.uses_flat_scratch, 0
	.set _ZN7rocprim17ROCPRIM_400000_NS6detail17trampoline_kernelINS0_14default_configENS1_25transform_config_selectorIyLb0EEEZNS1_14transform_implILb0ES3_S5_N6thrust23THRUST_200600_302600_NS6detail15normal_iteratorINS8_10device_ptrIyEEEEPyNS0_8identityIyEEEE10hipError_tT2_T3_mT4_P12ihipStream_tbEUlT_E_NS1_11comp_targetILNS1_3genE0ELNS1_11target_archE4294967295ELNS1_3gpuE0ELNS1_3repE0EEENS1_30default_config_static_selectorELNS0_4arch9wavefront6targetE1EEEvT1_.has_dyn_sized_stack, 0
	.set _ZN7rocprim17ROCPRIM_400000_NS6detail17trampoline_kernelINS0_14default_configENS1_25transform_config_selectorIyLb0EEEZNS1_14transform_implILb0ES3_S5_N6thrust23THRUST_200600_302600_NS6detail15normal_iteratorINS8_10device_ptrIyEEEEPyNS0_8identityIyEEEE10hipError_tT2_T3_mT4_P12ihipStream_tbEUlT_E_NS1_11comp_targetILNS1_3genE0ELNS1_11target_archE4294967295ELNS1_3gpuE0ELNS1_3repE0EEENS1_30default_config_static_selectorELNS0_4arch9wavefront6targetE1EEEvT1_.has_recursion, 0
	.set _ZN7rocprim17ROCPRIM_400000_NS6detail17trampoline_kernelINS0_14default_configENS1_25transform_config_selectorIyLb0EEEZNS1_14transform_implILb0ES3_S5_N6thrust23THRUST_200600_302600_NS6detail15normal_iteratorINS8_10device_ptrIyEEEEPyNS0_8identityIyEEEE10hipError_tT2_T3_mT4_P12ihipStream_tbEUlT_E_NS1_11comp_targetILNS1_3genE0ELNS1_11target_archE4294967295ELNS1_3gpuE0ELNS1_3repE0EEENS1_30default_config_static_selectorELNS0_4arch9wavefront6targetE1EEEvT1_.has_indirect_call, 0
	.section	.AMDGPU.csdata,"",@progbits
; Kernel info:
; codeLenInByte = 160
; TotalNumSgprs: 18
; NumVgprs: 4
; NumAgprs: 0
; TotalNumVgprs: 4
; ScratchSize: 0
; MemoryBound: 0
; FloatMode: 240
; IeeeMode: 1
; LDSByteSize: 0 bytes/workgroup (compile time only)
; SGPRBlocks: 2
; VGPRBlocks: 0
; NumSGPRsForWavesPerEU: 18
; NumVGPRsForWavesPerEU: 4
; AccumOffset: 4
; Occupancy: 8
; WaveLimiterHint : 0
; COMPUTE_PGM_RSRC2:SCRATCH_EN: 0
; COMPUTE_PGM_RSRC2:USER_SGPR: 2
; COMPUTE_PGM_RSRC2:TRAP_HANDLER: 0
; COMPUTE_PGM_RSRC2:TGID_X_EN: 1
; COMPUTE_PGM_RSRC2:TGID_Y_EN: 0
; COMPUTE_PGM_RSRC2:TGID_Z_EN: 0
; COMPUTE_PGM_RSRC2:TIDIG_COMP_CNT: 0
; COMPUTE_PGM_RSRC3_GFX90A:ACCUM_OFFSET: 0
; COMPUTE_PGM_RSRC3_GFX90A:TG_SPLIT: 0
	.section	.text._ZN7rocprim17ROCPRIM_400000_NS6detail17trampoline_kernelINS0_14default_configENS1_25transform_config_selectorIyLb0EEEZNS1_14transform_implILb0ES3_S5_N6thrust23THRUST_200600_302600_NS6detail15normal_iteratorINS8_10device_ptrIyEEEEPyNS0_8identityIyEEEE10hipError_tT2_T3_mT4_P12ihipStream_tbEUlT_E_NS1_11comp_targetILNS1_3genE5ELNS1_11target_archE942ELNS1_3gpuE9ELNS1_3repE0EEENS1_30default_config_static_selectorELNS0_4arch9wavefront6targetE1EEEvT1_,"axG",@progbits,_ZN7rocprim17ROCPRIM_400000_NS6detail17trampoline_kernelINS0_14default_configENS1_25transform_config_selectorIyLb0EEEZNS1_14transform_implILb0ES3_S5_N6thrust23THRUST_200600_302600_NS6detail15normal_iteratorINS8_10device_ptrIyEEEEPyNS0_8identityIyEEEE10hipError_tT2_T3_mT4_P12ihipStream_tbEUlT_E_NS1_11comp_targetILNS1_3genE5ELNS1_11target_archE942ELNS1_3gpuE9ELNS1_3repE0EEENS1_30default_config_static_selectorELNS0_4arch9wavefront6targetE1EEEvT1_,comdat
	.protected	_ZN7rocprim17ROCPRIM_400000_NS6detail17trampoline_kernelINS0_14default_configENS1_25transform_config_selectorIyLb0EEEZNS1_14transform_implILb0ES3_S5_N6thrust23THRUST_200600_302600_NS6detail15normal_iteratorINS8_10device_ptrIyEEEEPyNS0_8identityIyEEEE10hipError_tT2_T3_mT4_P12ihipStream_tbEUlT_E_NS1_11comp_targetILNS1_3genE5ELNS1_11target_archE942ELNS1_3gpuE9ELNS1_3repE0EEENS1_30default_config_static_selectorELNS0_4arch9wavefront6targetE1EEEvT1_ ; -- Begin function _ZN7rocprim17ROCPRIM_400000_NS6detail17trampoline_kernelINS0_14default_configENS1_25transform_config_selectorIyLb0EEEZNS1_14transform_implILb0ES3_S5_N6thrust23THRUST_200600_302600_NS6detail15normal_iteratorINS8_10device_ptrIyEEEEPyNS0_8identityIyEEEE10hipError_tT2_T3_mT4_P12ihipStream_tbEUlT_E_NS1_11comp_targetILNS1_3genE5ELNS1_11target_archE942ELNS1_3gpuE9ELNS1_3repE0EEENS1_30default_config_static_selectorELNS0_4arch9wavefront6targetE1EEEvT1_
	.globl	_ZN7rocprim17ROCPRIM_400000_NS6detail17trampoline_kernelINS0_14default_configENS1_25transform_config_selectorIyLb0EEEZNS1_14transform_implILb0ES3_S5_N6thrust23THRUST_200600_302600_NS6detail15normal_iteratorINS8_10device_ptrIyEEEEPyNS0_8identityIyEEEE10hipError_tT2_T3_mT4_P12ihipStream_tbEUlT_E_NS1_11comp_targetILNS1_3genE5ELNS1_11target_archE942ELNS1_3gpuE9ELNS1_3repE0EEENS1_30default_config_static_selectorELNS0_4arch9wavefront6targetE1EEEvT1_
	.p2align	8
	.type	_ZN7rocprim17ROCPRIM_400000_NS6detail17trampoline_kernelINS0_14default_configENS1_25transform_config_selectorIyLb0EEEZNS1_14transform_implILb0ES3_S5_N6thrust23THRUST_200600_302600_NS6detail15normal_iteratorINS8_10device_ptrIyEEEEPyNS0_8identityIyEEEE10hipError_tT2_T3_mT4_P12ihipStream_tbEUlT_E_NS1_11comp_targetILNS1_3genE5ELNS1_11target_archE942ELNS1_3gpuE9ELNS1_3repE0EEENS1_30default_config_static_selectorELNS0_4arch9wavefront6targetE1EEEvT1_,@function
_ZN7rocprim17ROCPRIM_400000_NS6detail17trampoline_kernelINS0_14default_configENS1_25transform_config_selectorIyLb0EEEZNS1_14transform_implILb0ES3_S5_N6thrust23THRUST_200600_302600_NS6detail15normal_iteratorINS8_10device_ptrIyEEEEPyNS0_8identityIyEEEE10hipError_tT2_T3_mT4_P12ihipStream_tbEUlT_E_NS1_11comp_targetILNS1_3genE5ELNS1_11target_archE942ELNS1_3gpuE9ELNS1_3repE0EEENS1_30default_config_static_selectorELNS0_4arch9wavefront6targetE1EEEvT1_: ; @_ZN7rocprim17ROCPRIM_400000_NS6detail17trampoline_kernelINS0_14default_configENS1_25transform_config_selectorIyLb0EEEZNS1_14transform_implILb0ES3_S5_N6thrust23THRUST_200600_302600_NS6detail15normal_iteratorINS8_10device_ptrIyEEEEPyNS0_8identityIyEEEE10hipError_tT2_T3_mT4_P12ihipStream_tbEUlT_E_NS1_11comp_targetILNS1_3genE5ELNS1_11target_archE942ELNS1_3gpuE9ELNS1_3repE0EEENS1_30default_config_static_selectorELNS0_4arch9wavefront6targetE1EEEvT1_
; %bb.0:
	.section	.rodata,"a",@progbits
	.p2align	6, 0x0
	.amdhsa_kernel _ZN7rocprim17ROCPRIM_400000_NS6detail17trampoline_kernelINS0_14default_configENS1_25transform_config_selectorIyLb0EEEZNS1_14transform_implILb0ES3_S5_N6thrust23THRUST_200600_302600_NS6detail15normal_iteratorINS8_10device_ptrIyEEEEPyNS0_8identityIyEEEE10hipError_tT2_T3_mT4_P12ihipStream_tbEUlT_E_NS1_11comp_targetILNS1_3genE5ELNS1_11target_archE942ELNS1_3gpuE9ELNS1_3repE0EEENS1_30default_config_static_selectorELNS0_4arch9wavefront6targetE1EEEvT1_
		.amdhsa_group_segment_fixed_size 0
		.amdhsa_private_segment_fixed_size 0
		.amdhsa_kernarg_size 40
		.amdhsa_user_sgpr_count 2
		.amdhsa_user_sgpr_dispatch_ptr 0
		.amdhsa_user_sgpr_queue_ptr 0
		.amdhsa_user_sgpr_kernarg_segment_ptr 1
		.amdhsa_user_sgpr_dispatch_id 0
		.amdhsa_user_sgpr_kernarg_preload_length 0
		.amdhsa_user_sgpr_kernarg_preload_offset 0
		.amdhsa_user_sgpr_private_segment_size 0
		.amdhsa_uses_dynamic_stack 0
		.amdhsa_enable_private_segment 0
		.amdhsa_system_sgpr_workgroup_id_x 1
		.amdhsa_system_sgpr_workgroup_id_y 0
		.amdhsa_system_sgpr_workgroup_id_z 0
		.amdhsa_system_sgpr_workgroup_info 0
		.amdhsa_system_vgpr_workitem_id 0
		.amdhsa_next_free_vgpr 1
		.amdhsa_next_free_sgpr 0
		.amdhsa_accum_offset 4
		.amdhsa_reserve_vcc 0
		.amdhsa_float_round_mode_32 0
		.amdhsa_float_round_mode_16_64 0
		.amdhsa_float_denorm_mode_32 3
		.amdhsa_float_denorm_mode_16_64 3
		.amdhsa_dx10_clamp 1
		.amdhsa_ieee_mode 1
		.amdhsa_fp16_overflow 0
		.amdhsa_tg_split 0
		.amdhsa_exception_fp_ieee_invalid_op 0
		.amdhsa_exception_fp_denorm_src 0
		.amdhsa_exception_fp_ieee_div_zero 0
		.amdhsa_exception_fp_ieee_overflow 0
		.amdhsa_exception_fp_ieee_underflow 0
		.amdhsa_exception_fp_ieee_inexact 0
		.amdhsa_exception_int_div_zero 0
	.end_amdhsa_kernel
	.section	.text._ZN7rocprim17ROCPRIM_400000_NS6detail17trampoline_kernelINS0_14default_configENS1_25transform_config_selectorIyLb0EEEZNS1_14transform_implILb0ES3_S5_N6thrust23THRUST_200600_302600_NS6detail15normal_iteratorINS8_10device_ptrIyEEEEPyNS0_8identityIyEEEE10hipError_tT2_T3_mT4_P12ihipStream_tbEUlT_E_NS1_11comp_targetILNS1_3genE5ELNS1_11target_archE942ELNS1_3gpuE9ELNS1_3repE0EEENS1_30default_config_static_selectorELNS0_4arch9wavefront6targetE1EEEvT1_,"axG",@progbits,_ZN7rocprim17ROCPRIM_400000_NS6detail17trampoline_kernelINS0_14default_configENS1_25transform_config_selectorIyLb0EEEZNS1_14transform_implILb0ES3_S5_N6thrust23THRUST_200600_302600_NS6detail15normal_iteratorINS8_10device_ptrIyEEEEPyNS0_8identityIyEEEE10hipError_tT2_T3_mT4_P12ihipStream_tbEUlT_E_NS1_11comp_targetILNS1_3genE5ELNS1_11target_archE942ELNS1_3gpuE9ELNS1_3repE0EEENS1_30default_config_static_selectorELNS0_4arch9wavefront6targetE1EEEvT1_,comdat
.Lfunc_end520:
	.size	_ZN7rocprim17ROCPRIM_400000_NS6detail17trampoline_kernelINS0_14default_configENS1_25transform_config_selectorIyLb0EEEZNS1_14transform_implILb0ES3_S5_N6thrust23THRUST_200600_302600_NS6detail15normal_iteratorINS8_10device_ptrIyEEEEPyNS0_8identityIyEEEE10hipError_tT2_T3_mT4_P12ihipStream_tbEUlT_E_NS1_11comp_targetILNS1_3genE5ELNS1_11target_archE942ELNS1_3gpuE9ELNS1_3repE0EEENS1_30default_config_static_selectorELNS0_4arch9wavefront6targetE1EEEvT1_, .Lfunc_end520-_ZN7rocprim17ROCPRIM_400000_NS6detail17trampoline_kernelINS0_14default_configENS1_25transform_config_selectorIyLb0EEEZNS1_14transform_implILb0ES3_S5_N6thrust23THRUST_200600_302600_NS6detail15normal_iteratorINS8_10device_ptrIyEEEEPyNS0_8identityIyEEEE10hipError_tT2_T3_mT4_P12ihipStream_tbEUlT_E_NS1_11comp_targetILNS1_3genE5ELNS1_11target_archE942ELNS1_3gpuE9ELNS1_3repE0EEENS1_30default_config_static_selectorELNS0_4arch9wavefront6targetE1EEEvT1_
                                        ; -- End function
	.set _ZN7rocprim17ROCPRIM_400000_NS6detail17trampoline_kernelINS0_14default_configENS1_25transform_config_selectorIyLb0EEEZNS1_14transform_implILb0ES3_S5_N6thrust23THRUST_200600_302600_NS6detail15normal_iteratorINS8_10device_ptrIyEEEEPyNS0_8identityIyEEEE10hipError_tT2_T3_mT4_P12ihipStream_tbEUlT_E_NS1_11comp_targetILNS1_3genE5ELNS1_11target_archE942ELNS1_3gpuE9ELNS1_3repE0EEENS1_30default_config_static_selectorELNS0_4arch9wavefront6targetE1EEEvT1_.num_vgpr, 0
	.set _ZN7rocprim17ROCPRIM_400000_NS6detail17trampoline_kernelINS0_14default_configENS1_25transform_config_selectorIyLb0EEEZNS1_14transform_implILb0ES3_S5_N6thrust23THRUST_200600_302600_NS6detail15normal_iteratorINS8_10device_ptrIyEEEEPyNS0_8identityIyEEEE10hipError_tT2_T3_mT4_P12ihipStream_tbEUlT_E_NS1_11comp_targetILNS1_3genE5ELNS1_11target_archE942ELNS1_3gpuE9ELNS1_3repE0EEENS1_30default_config_static_selectorELNS0_4arch9wavefront6targetE1EEEvT1_.num_agpr, 0
	.set _ZN7rocprim17ROCPRIM_400000_NS6detail17trampoline_kernelINS0_14default_configENS1_25transform_config_selectorIyLb0EEEZNS1_14transform_implILb0ES3_S5_N6thrust23THRUST_200600_302600_NS6detail15normal_iteratorINS8_10device_ptrIyEEEEPyNS0_8identityIyEEEE10hipError_tT2_T3_mT4_P12ihipStream_tbEUlT_E_NS1_11comp_targetILNS1_3genE5ELNS1_11target_archE942ELNS1_3gpuE9ELNS1_3repE0EEENS1_30default_config_static_selectorELNS0_4arch9wavefront6targetE1EEEvT1_.numbered_sgpr, 0
	.set _ZN7rocprim17ROCPRIM_400000_NS6detail17trampoline_kernelINS0_14default_configENS1_25transform_config_selectorIyLb0EEEZNS1_14transform_implILb0ES3_S5_N6thrust23THRUST_200600_302600_NS6detail15normal_iteratorINS8_10device_ptrIyEEEEPyNS0_8identityIyEEEE10hipError_tT2_T3_mT4_P12ihipStream_tbEUlT_E_NS1_11comp_targetILNS1_3genE5ELNS1_11target_archE942ELNS1_3gpuE9ELNS1_3repE0EEENS1_30default_config_static_selectorELNS0_4arch9wavefront6targetE1EEEvT1_.num_named_barrier, 0
	.set _ZN7rocprim17ROCPRIM_400000_NS6detail17trampoline_kernelINS0_14default_configENS1_25transform_config_selectorIyLb0EEEZNS1_14transform_implILb0ES3_S5_N6thrust23THRUST_200600_302600_NS6detail15normal_iteratorINS8_10device_ptrIyEEEEPyNS0_8identityIyEEEE10hipError_tT2_T3_mT4_P12ihipStream_tbEUlT_E_NS1_11comp_targetILNS1_3genE5ELNS1_11target_archE942ELNS1_3gpuE9ELNS1_3repE0EEENS1_30default_config_static_selectorELNS0_4arch9wavefront6targetE1EEEvT1_.private_seg_size, 0
	.set _ZN7rocprim17ROCPRIM_400000_NS6detail17trampoline_kernelINS0_14default_configENS1_25transform_config_selectorIyLb0EEEZNS1_14transform_implILb0ES3_S5_N6thrust23THRUST_200600_302600_NS6detail15normal_iteratorINS8_10device_ptrIyEEEEPyNS0_8identityIyEEEE10hipError_tT2_T3_mT4_P12ihipStream_tbEUlT_E_NS1_11comp_targetILNS1_3genE5ELNS1_11target_archE942ELNS1_3gpuE9ELNS1_3repE0EEENS1_30default_config_static_selectorELNS0_4arch9wavefront6targetE1EEEvT1_.uses_vcc, 0
	.set _ZN7rocprim17ROCPRIM_400000_NS6detail17trampoline_kernelINS0_14default_configENS1_25transform_config_selectorIyLb0EEEZNS1_14transform_implILb0ES3_S5_N6thrust23THRUST_200600_302600_NS6detail15normal_iteratorINS8_10device_ptrIyEEEEPyNS0_8identityIyEEEE10hipError_tT2_T3_mT4_P12ihipStream_tbEUlT_E_NS1_11comp_targetILNS1_3genE5ELNS1_11target_archE942ELNS1_3gpuE9ELNS1_3repE0EEENS1_30default_config_static_selectorELNS0_4arch9wavefront6targetE1EEEvT1_.uses_flat_scratch, 0
	.set _ZN7rocprim17ROCPRIM_400000_NS6detail17trampoline_kernelINS0_14default_configENS1_25transform_config_selectorIyLb0EEEZNS1_14transform_implILb0ES3_S5_N6thrust23THRUST_200600_302600_NS6detail15normal_iteratorINS8_10device_ptrIyEEEEPyNS0_8identityIyEEEE10hipError_tT2_T3_mT4_P12ihipStream_tbEUlT_E_NS1_11comp_targetILNS1_3genE5ELNS1_11target_archE942ELNS1_3gpuE9ELNS1_3repE0EEENS1_30default_config_static_selectorELNS0_4arch9wavefront6targetE1EEEvT1_.has_dyn_sized_stack, 0
	.set _ZN7rocprim17ROCPRIM_400000_NS6detail17trampoline_kernelINS0_14default_configENS1_25transform_config_selectorIyLb0EEEZNS1_14transform_implILb0ES3_S5_N6thrust23THRUST_200600_302600_NS6detail15normal_iteratorINS8_10device_ptrIyEEEEPyNS0_8identityIyEEEE10hipError_tT2_T3_mT4_P12ihipStream_tbEUlT_E_NS1_11comp_targetILNS1_3genE5ELNS1_11target_archE942ELNS1_3gpuE9ELNS1_3repE0EEENS1_30default_config_static_selectorELNS0_4arch9wavefront6targetE1EEEvT1_.has_recursion, 0
	.set _ZN7rocprim17ROCPRIM_400000_NS6detail17trampoline_kernelINS0_14default_configENS1_25transform_config_selectorIyLb0EEEZNS1_14transform_implILb0ES3_S5_N6thrust23THRUST_200600_302600_NS6detail15normal_iteratorINS8_10device_ptrIyEEEEPyNS0_8identityIyEEEE10hipError_tT2_T3_mT4_P12ihipStream_tbEUlT_E_NS1_11comp_targetILNS1_3genE5ELNS1_11target_archE942ELNS1_3gpuE9ELNS1_3repE0EEENS1_30default_config_static_selectorELNS0_4arch9wavefront6targetE1EEEvT1_.has_indirect_call, 0
	.section	.AMDGPU.csdata,"",@progbits
; Kernel info:
; codeLenInByte = 0
; TotalNumSgprs: 6
; NumVgprs: 0
; NumAgprs: 0
; TotalNumVgprs: 0
; ScratchSize: 0
; MemoryBound: 0
; FloatMode: 240
; IeeeMode: 1
; LDSByteSize: 0 bytes/workgroup (compile time only)
; SGPRBlocks: 0
; VGPRBlocks: 0
; NumSGPRsForWavesPerEU: 6
; NumVGPRsForWavesPerEU: 1
; AccumOffset: 4
; Occupancy: 8
; WaveLimiterHint : 0
; COMPUTE_PGM_RSRC2:SCRATCH_EN: 0
; COMPUTE_PGM_RSRC2:USER_SGPR: 2
; COMPUTE_PGM_RSRC2:TRAP_HANDLER: 0
; COMPUTE_PGM_RSRC2:TGID_X_EN: 1
; COMPUTE_PGM_RSRC2:TGID_Y_EN: 0
; COMPUTE_PGM_RSRC2:TGID_Z_EN: 0
; COMPUTE_PGM_RSRC2:TIDIG_COMP_CNT: 0
; COMPUTE_PGM_RSRC3_GFX90A:ACCUM_OFFSET: 0
; COMPUTE_PGM_RSRC3_GFX90A:TG_SPLIT: 0
	.section	.text._ZN7rocprim17ROCPRIM_400000_NS6detail17trampoline_kernelINS0_14default_configENS1_25transform_config_selectorIyLb0EEEZNS1_14transform_implILb0ES3_S5_N6thrust23THRUST_200600_302600_NS6detail15normal_iteratorINS8_10device_ptrIyEEEEPyNS0_8identityIyEEEE10hipError_tT2_T3_mT4_P12ihipStream_tbEUlT_E_NS1_11comp_targetILNS1_3genE4ELNS1_11target_archE910ELNS1_3gpuE8ELNS1_3repE0EEENS1_30default_config_static_selectorELNS0_4arch9wavefront6targetE1EEEvT1_,"axG",@progbits,_ZN7rocprim17ROCPRIM_400000_NS6detail17trampoline_kernelINS0_14default_configENS1_25transform_config_selectorIyLb0EEEZNS1_14transform_implILb0ES3_S5_N6thrust23THRUST_200600_302600_NS6detail15normal_iteratorINS8_10device_ptrIyEEEEPyNS0_8identityIyEEEE10hipError_tT2_T3_mT4_P12ihipStream_tbEUlT_E_NS1_11comp_targetILNS1_3genE4ELNS1_11target_archE910ELNS1_3gpuE8ELNS1_3repE0EEENS1_30default_config_static_selectorELNS0_4arch9wavefront6targetE1EEEvT1_,comdat
	.protected	_ZN7rocprim17ROCPRIM_400000_NS6detail17trampoline_kernelINS0_14default_configENS1_25transform_config_selectorIyLb0EEEZNS1_14transform_implILb0ES3_S5_N6thrust23THRUST_200600_302600_NS6detail15normal_iteratorINS8_10device_ptrIyEEEEPyNS0_8identityIyEEEE10hipError_tT2_T3_mT4_P12ihipStream_tbEUlT_E_NS1_11comp_targetILNS1_3genE4ELNS1_11target_archE910ELNS1_3gpuE8ELNS1_3repE0EEENS1_30default_config_static_selectorELNS0_4arch9wavefront6targetE1EEEvT1_ ; -- Begin function _ZN7rocprim17ROCPRIM_400000_NS6detail17trampoline_kernelINS0_14default_configENS1_25transform_config_selectorIyLb0EEEZNS1_14transform_implILb0ES3_S5_N6thrust23THRUST_200600_302600_NS6detail15normal_iteratorINS8_10device_ptrIyEEEEPyNS0_8identityIyEEEE10hipError_tT2_T3_mT4_P12ihipStream_tbEUlT_E_NS1_11comp_targetILNS1_3genE4ELNS1_11target_archE910ELNS1_3gpuE8ELNS1_3repE0EEENS1_30default_config_static_selectorELNS0_4arch9wavefront6targetE1EEEvT1_
	.globl	_ZN7rocprim17ROCPRIM_400000_NS6detail17trampoline_kernelINS0_14default_configENS1_25transform_config_selectorIyLb0EEEZNS1_14transform_implILb0ES3_S5_N6thrust23THRUST_200600_302600_NS6detail15normal_iteratorINS8_10device_ptrIyEEEEPyNS0_8identityIyEEEE10hipError_tT2_T3_mT4_P12ihipStream_tbEUlT_E_NS1_11comp_targetILNS1_3genE4ELNS1_11target_archE910ELNS1_3gpuE8ELNS1_3repE0EEENS1_30default_config_static_selectorELNS0_4arch9wavefront6targetE1EEEvT1_
	.p2align	8
	.type	_ZN7rocprim17ROCPRIM_400000_NS6detail17trampoline_kernelINS0_14default_configENS1_25transform_config_selectorIyLb0EEEZNS1_14transform_implILb0ES3_S5_N6thrust23THRUST_200600_302600_NS6detail15normal_iteratorINS8_10device_ptrIyEEEEPyNS0_8identityIyEEEE10hipError_tT2_T3_mT4_P12ihipStream_tbEUlT_E_NS1_11comp_targetILNS1_3genE4ELNS1_11target_archE910ELNS1_3gpuE8ELNS1_3repE0EEENS1_30default_config_static_selectorELNS0_4arch9wavefront6targetE1EEEvT1_,@function
_ZN7rocprim17ROCPRIM_400000_NS6detail17trampoline_kernelINS0_14default_configENS1_25transform_config_selectorIyLb0EEEZNS1_14transform_implILb0ES3_S5_N6thrust23THRUST_200600_302600_NS6detail15normal_iteratorINS8_10device_ptrIyEEEEPyNS0_8identityIyEEEE10hipError_tT2_T3_mT4_P12ihipStream_tbEUlT_E_NS1_11comp_targetILNS1_3genE4ELNS1_11target_archE910ELNS1_3gpuE8ELNS1_3repE0EEENS1_30default_config_static_selectorELNS0_4arch9wavefront6targetE1EEEvT1_: ; @_ZN7rocprim17ROCPRIM_400000_NS6detail17trampoline_kernelINS0_14default_configENS1_25transform_config_selectorIyLb0EEEZNS1_14transform_implILb0ES3_S5_N6thrust23THRUST_200600_302600_NS6detail15normal_iteratorINS8_10device_ptrIyEEEEPyNS0_8identityIyEEEE10hipError_tT2_T3_mT4_P12ihipStream_tbEUlT_E_NS1_11comp_targetILNS1_3genE4ELNS1_11target_archE910ELNS1_3gpuE8ELNS1_3repE0EEENS1_30default_config_static_selectorELNS0_4arch9wavefront6targetE1EEEvT1_
; %bb.0:
	.section	.rodata,"a",@progbits
	.p2align	6, 0x0
	.amdhsa_kernel _ZN7rocprim17ROCPRIM_400000_NS6detail17trampoline_kernelINS0_14default_configENS1_25transform_config_selectorIyLb0EEEZNS1_14transform_implILb0ES3_S5_N6thrust23THRUST_200600_302600_NS6detail15normal_iteratorINS8_10device_ptrIyEEEEPyNS0_8identityIyEEEE10hipError_tT2_T3_mT4_P12ihipStream_tbEUlT_E_NS1_11comp_targetILNS1_3genE4ELNS1_11target_archE910ELNS1_3gpuE8ELNS1_3repE0EEENS1_30default_config_static_selectorELNS0_4arch9wavefront6targetE1EEEvT1_
		.amdhsa_group_segment_fixed_size 0
		.amdhsa_private_segment_fixed_size 0
		.amdhsa_kernarg_size 40
		.amdhsa_user_sgpr_count 2
		.amdhsa_user_sgpr_dispatch_ptr 0
		.amdhsa_user_sgpr_queue_ptr 0
		.amdhsa_user_sgpr_kernarg_segment_ptr 1
		.amdhsa_user_sgpr_dispatch_id 0
		.amdhsa_user_sgpr_kernarg_preload_length 0
		.amdhsa_user_sgpr_kernarg_preload_offset 0
		.amdhsa_user_sgpr_private_segment_size 0
		.amdhsa_uses_dynamic_stack 0
		.amdhsa_enable_private_segment 0
		.amdhsa_system_sgpr_workgroup_id_x 1
		.amdhsa_system_sgpr_workgroup_id_y 0
		.amdhsa_system_sgpr_workgroup_id_z 0
		.amdhsa_system_sgpr_workgroup_info 0
		.amdhsa_system_vgpr_workitem_id 0
		.amdhsa_next_free_vgpr 1
		.amdhsa_next_free_sgpr 0
		.amdhsa_accum_offset 4
		.amdhsa_reserve_vcc 0
		.amdhsa_float_round_mode_32 0
		.amdhsa_float_round_mode_16_64 0
		.amdhsa_float_denorm_mode_32 3
		.amdhsa_float_denorm_mode_16_64 3
		.amdhsa_dx10_clamp 1
		.amdhsa_ieee_mode 1
		.amdhsa_fp16_overflow 0
		.amdhsa_tg_split 0
		.amdhsa_exception_fp_ieee_invalid_op 0
		.amdhsa_exception_fp_denorm_src 0
		.amdhsa_exception_fp_ieee_div_zero 0
		.amdhsa_exception_fp_ieee_overflow 0
		.amdhsa_exception_fp_ieee_underflow 0
		.amdhsa_exception_fp_ieee_inexact 0
		.amdhsa_exception_int_div_zero 0
	.end_amdhsa_kernel
	.section	.text._ZN7rocprim17ROCPRIM_400000_NS6detail17trampoline_kernelINS0_14default_configENS1_25transform_config_selectorIyLb0EEEZNS1_14transform_implILb0ES3_S5_N6thrust23THRUST_200600_302600_NS6detail15normal_iteratorINS8_10device_ptrIyEEEEPyNS0_8identityIyEEEE10hipError_tT2_T3_mT4_P12ihipStream_tbEUlT_E_NS1_11comp_targetILNS1_3genE4ELNS1_11target_archE910ELNS1_3gpuE8ELNS1_3repE0EEENS1_30default_config_static_selectorELNS0_4arch9wavefront6targetE1EEEvT1_,"axG",@progbits,_ZN7rocprim17ROCPRIM_400000_NS6detail17trampoline_kernelINS0_14default_configENS1_25transform_config_selectorIyLb0EEEZNS1_14transform_implILb0ES3_S5_N6thrust23THRUST_200600_302600_NS6detail15normal_iteratorINS8_10device_ptrIyEEEEPyNS0_8identityIyEEEE10hipError_tT2_T3_mT4_P12ihipStream_tbEUlT_E_NS1_11comp_targetILNS1_3genE4ELNS1_11target_archE910ELNS1_3gpuE8ELNS1_3repE0EEENS1_30default_config_static_selectorELNS0_4arch9wavefront6targetE1EEEvT1_,comdat
.Lfunc_end521:
	.size	_ZN7rocprim17ROCPRIM_400000_NS6detail17trampoline_kernelINS0_14default_configENS1_25transform_config_selectorIyLb0EEEZNS1_14transform_implILb0ES3_S5_N6thrust23THRUST_200600_302600_NS6detail15normal_iteratorINS8_10device_ptrIyEEEEPyNS0_8identityIyEEEE10hipError_tT2_T3_mT4_P12ihipStream_tbEUlT_E_NS1_11comp_targetILNS1_3genE4ELNS1_11target_archE910ELNS1_3gpuE8ELNS1_3repE0EEENS1_30default_config_static_selectorELNS0_4arch9wavefront6targetE1EEEvT1_, .Lfunc_end521-_ZN7rocprim17ROCPRIM_400000_NS6detail17trampoline_kernelINS0_14default_configENS1_25transform_config_selectorIyLb0EEEZNS1_14transform_implILb0ES3_S5_N6thrust23THRUST_200600_302600_NS6detail15normal_iteratorINS8_10device_ptrIyEEEEPyNS0_8identityIyEEEE10hipError_tT2_T3_mT4_P12ihipStream_tbEUlT_E_NS1_11comp_targetILNS1_3genE4ELNS1_11target_archE910ELNS1_3gpuE8ELNS1_3repE0EEENS1_30default_config_static_selectorELNS0_4arch9wavefront6targetE1EEEvT1_
                                        ; -- End function
	.set _ZN7rocprim17ROCPRIM_400000_NS6detail17trampoline_kernelINS0_14default_configENS1_25transform_config_selectorIyLb0EEEZNS1_14transform_implILb0ES3_S5_N6thrust23THRUST_200600_302600_NS6detail15normal_iteratorINS8_10device_ptrIyEEEEPyNS0_8identityIyEEEE10hipError_tT2_T3_mT4_P12ihipStream_tbEUlT_E_NS1_11comp_targetILNS1_3genE4ELNS1_11target_archE910ELNS1_3gpuE8ELNS1_3repE0EEENS1_30default_config_static_selectorELNS0_4arch9wavefront6targetE1EEEvT1_.num_vgpr, 0
	.set _ZN7rocprim17ROCPRIM_400000_NS6detail17trampoline_kernelINS0_14default_configENS1_25transform_config_selectorIyLb0EEEZNS1_14transform_implILb0ES3_S5_N6thrust23THRUST_200600_302600_NS6detail15normal_iteratorINS8_10device_ptrIyEEEEPyNS0_8identityIyEEEE10hipError_tT2_T3_mT4_P12ihipStream_tbEUlT_E_NS1_11comp_targetILNS1_3genE4ELNS1_11target_archE910ELNS1_3gpuE8ELNS1_3repE0EEENS1_30default_config_static_selectorELNS0_4arch9wavefront6targetE1EEEvT1_.num_agpr, 0
	.set _ZN7rocprim17ROCPRIM_400000_NS6detail17trampoline_kernelINS0_14default_configENS1_25transform_config_selectorIyLb0EEEZNS1_14transform_implILb0ES3_S5_N6thrust23THRUST_200600_302600_NS6detail15normal_iteratorINS8_10device_ptrIyEEEEPyNS0_8identityIyEEEE10hipError_tT2_T3_mT4_P12ihipStream_tbEUlT_E_NS1_11comp_targetILNS1_3genE4ELNS1_11target_archE910ELNS1_3gpuE8ELNS1_3repE0EEENS1_30default_config_static_selectorELNS0_4arch9wavefront6targetE1EEEvT1_.numbered_sgpr, 0
	.set _ZN7rocprim17ROCPRIM_400000_NS6detail17trampoline_kernelINS0_14default_configENS1_25transform_config_selectorIyLb0EEEZNS1_14transform_implILb0ES3_S5_N6thrust23THRUST_200600_302600_NS6detail15normal_iteratorINS8_10device_ptrIyEEEEPyNS0_8identityIyEEEE10hipError_tT2_T3_mT4_P12ihipStream_tbEUlT_E_NS1_11comp_targetILNS1_3genE4ELNS1_11target_archE910ELNS1_3gpuE8ELNS1_3repE0EEENS1_30default_config_static_selectorELNS0_4arch9wavefront6targetE1EEEvT1_.num_named_barrier, 0
	.set _ZN7rocprim17ROCPRIM_400000_NS6detail17trampoline_kernelINS0_14default_configENS1_25transform_config_selectorIyLb0EEEZNS1_14transform_implILb0ES3_S5_N6thrust23THRUST_200600_302600_NS6detail15normal_iteratorINS8_10device_ptrIyEEEEPyNS0_8identityIyEEEE10hipError_tT2_T3_mT4_P12ihipStream_tbEUlT_E_NS1_11comp_targetILNS1_3genE4ELNS1_11target_archE910ELNS1_3gpuE8ELNS1_3repE0EEENS1_30default_config_static_selectorELNS0_4arch9wavefront6targetE1EEEvT1_.private_seg_size, 0
	.set _ZN7rocprim17ROCPRIM_400000_NS6detail17trampoline_kernelINS0_14default_configENS1_25transform_config_selectorIyLb0EEEZNS1_14transform_implILb0ES3_S5_N6thrust23THRUST_200600_302600_NS6detail15normal_iteratorINS8_10device_ptrIyEEEEPyNS0_8identityIyEEEE10hipError_tT2_T3_mT4_P12ihipStream_tbEUlT_E_NS1_11comp_targetILNS1_3genE4ELNS1_11target_archE910ELNS1_3gpuE8ELNS1_3repE0EEENS1_30default_config_static_selectorELNS0_4arch9wavefront6targetE1EEEvT1_.uses_vcc, 0
	.set _ZN7rocprim17ROCPRIM_400000_NS6detail17trampoline_kernelINS0_14default_configENS1_25transform_config_selectorIyLb0EEEZNS1_14transform_implILb0ES3_S5_N6thrust23THRUST_200600_302600_NS6detail15normal_iteratorINS8_10device_ptrIyEEEEPyNS0_8identityIyEEEE10hipError_tT2_T3_mT4_P12ihipStream_tbEUlT_E_NS1_11comp_targetILNS1_3genE4ELNS1_11target_archE910ELNS1_3gpuE8ELNS1_3repE0EEENS1_30default_config_static_selectorELNS0_4arch9wavefront6targetE1EEEvT1_.uses_flat_scratch, 0
	.set _ZN7rocprim17ROCPRIM_400000_NS6detail17trampoline_kernelINS0_14default_configENS1_25transform_config_selectorIyLb0EEEZNS1_14transform_implILb0ES3_S5_N6thrust23THRUST_200600_302600_NS6detail15normal_iteratorINS8_10device_ptrIyEEEEPyNS0_8identityIyEEEE10hipError_tT2_T3_mT4_P12ihipStream_tbEUlT_E_NS1_11comp_targetILNS1_3genE4ELNS1_11target_archE910ELNS1_3gpuE8ELNS1_3repE0EEENS1_30default_config_static_selectorELNS0_4arch9wavefront6targetE1EEEvT1_.has_dyn_sized_stack, 0
	.set _ZN7rocprim17ROCPRIM_400000_NS6detail17trampoline_kernelINS0_14default_configENS1_25transform_config_selectorIyLb0EEEZNS1_14transform_implILb0ES3_S5_N6thrust23THRUST_200600_302600_NS6detail15normal_iteratorINS8_10device_ptrIyEEEEPyNS0_8identityIyEEEE10hipError_tT2_T3_mT4_P12ihipStream_tbEUlT_E_NS1_11comp_targetILNS1_3genE4ELNS1_11target_archE910ELNS1_3gpuE8ELNS1_3repE0EEENS1_30default_config_static_selectorELNS0_4arch9wavefront6targetE1EEEvT1_.has_recursion, 0
	.set _ZN7rocprim17ROCPRIM_400000_NS6detail17trampoline_kernelINS0_14default_configENS1_25transform_config_selectorIyLb0EEEZNS1_14transform_implILb0ES3_S5_N6thrust23THRUST_200600_302600_NS6detail15normal_iteratorINS8_10device_ptrIyEEEEPyNS0_8identityIyEEEE10hipError_tT2_T3_mT4_P12ihipStream_tbEUlT_E_NS1_11comp_targetILNS1_3genE4ELNS1_11target_archE910ELNS1_3gpuE8ELNS1_3repE0EEENS1_30default_config_static_selectorELNS0_4arch9wavefront6targetE1EEEvT1_.has_indirect_call, 0
	.section	.AMDGPU.csdata,"",@progbits
; Kernel info:
; codeLenInByte = 0
; TotalNumSgprs: 6
; NumVgprs: 0
; NumAgprs: 0
; TotalNumVgprs: 0
; ScratchSize: 0
; MemoryBound: 0
; FloatMode: 240
; IeeeMode: 1
; LDSByteSize: 0 bytes/workgroup (compile time only)
; SGPRBlocks: 0
; VGPRBlocks: 0
; NumSGPRsForWavesPerEU: 6
; NumVGPRsForWavesPerEU: 1
; AccumOffset: 4
; Occupancy: 8
; WaveLimiterHint : 0
; COMPUTE_PGM_RSRC2:SCRATCH_EN: 0
; COMPUTE_PGM_RSRC2:USER_SGPR: 2
; COMPUTE_PGM_RSRC2:TRAP_HANDLER: 0
; COMPUTE_PGM_RSRC2:TGID_X_EN: 1
; COMPUTE_PGM_RSRC2:TGID_Y_EN: 0
; COMPUTE_PGM_RSRC2:TGID_Z_EN: 0
; COMPUTE_PGM_RSRC2:TIDIG_COMP_CNT: 0
; COMPUTE_PGM_RSRC3_GFX90A:ACCUM_OFFSET: 0
; COMPUTE_PGM_RSRC3_GFX90A:TG_SPLIT: 0
	.section	.text._ZN7rocprim17ROCPRIM_400000_NS6detail17trampoline_kernelINS0_14default_configENS1_25transform_config_selectorIyLb0EEEZNS1_14transform_implILb0ES3_S5_N6thrust23THRUST_200600_302600_NS6detail15normal_iteratorINS8_10device_ptrIyEEEEPyNS0_8identityIyEEEE10hipError_tT2_T3_mT4_P12ihipStream_tbEUlT_E_NS1_11comp_targetILNS1_3genE3ELNS1_11target_archE908ELNS1_3gpuE7ELNS1_3repE0EEENS1_30default_config_static_selectorELNS0_4arch9wavefront6targetE1EEEvT1_,"axG",@progbits,_ZN7rocprim17ROCPRIM_400000_NS6detail17trampoline_kernelINS0_14default_configENS1_25transform_config_selectorIyLb0EEEZNS1_14transform_implILb0ES3_S5_N6thrust23THRUST_200600_302600_NS6detail15normal_iteratorINS8_10device_ptrIyEEEEPyNS0_8identityIyEEEE10hipError_tT2_T3_mT4_P12ihipStream_tbEUlT_E_NS1_11comp_targetILNS1_3genE3ELNS1_11target_archE908ELNS1_3gpuE7ELNS1_3repE0EEENS1_30default_config_static_selectorELNS0_4arch9wavefront6targetE1EEEvT1_,comdat
	.protected	_ZN7rocprim17ROCPRIM_400000_NS6detail17trampoline_kernelINS0_14default_configENS1_25transform_config_selectorIyLb0EEEZNS1_14transform_implILb0ES3_S5_N6thrust23THRUST_200600_302600_NS6detail15normal_iteratorINS8_10device_ptrIyEEEEPyNS0_8identityIyEEEE10hipError_tT2_T3_mT4_P12ihipStream_tbEUlT_E_NS1_11comp_targetILNS1_3genE3ELNS1_11target_archE908ELNS1_3gpuE7ELNS1_3repE0EEENS1_30default_config_static_selectorELNS0_4arch9wavefront6targetE1EEEvT1_ ; -- Begin function _ZN7rocprim17ROCPRIM_400000_NS6detail17trampoline_kernelINS0_14default_configENS1_25transform_config_selectorIyLb0EEEZNS1_14transform_implILb0ES3_S5_N6thrust23THRUST_200600_302600_NS6detail15normal_iteratorINS8_10device_ptrIyEEEEPyNS0_8identityIyEEEE10hipError_tT2_T3_mT4_P12ihipStream_tbEUlT_E_NS1_11comp_targetILNS1_3genE3ELNS1_11target_archE908ELNS1_3gpuE7ELNS1_3repE0EEENS1_30default_config_static_selectorELNS0_4arch9wavefront6targetE1EEEvT1_
	.globl	_ZN7rocprim17ROCPRIM_400000_NS6detail17trampoline_kernelINS0_14default_configENS1_25transform_config_selectorIyLb0EEEZNS1_14transform_implILb0ES3_S5_N6thrust23THRUST_200600_302600_NS6detail15normal_iteratorINS8_10device_ptrIyEEEEPyNS0_8identityIyEEEE10hipError_tT2_T3_mT4_P12ihipStream_tbEUlT_E_NS1_11comp_targetILNS1_3genE3ELNS1_11target_archE908ELNS1_3gpuE7ELNS1_3repE0EEENS1_30default_config_static_selectorELNS0_4arch9wavefront6targetE1EEEvT1_
	.p2align	8
	.type	_ZN7rocprim17ROCPRIM_400000_NS6detail17trampoline_kernelINS0_14default_configENS1_25transform_config_selectorIyLb0EEEZNS1_14transform_implILb0ES3_S5_N6thrust23THRUST_200600_302600_NS6detail15normal_iteratorINS8_10device_ptrIyEEEEPyNS0_8identityIyEEEE10hipError_tT2_T3_mT4_P12ihipStream_tbEUlT_E_NS1_11comp_targetILNS1_3genE3ELNS1_11target_archE908ELNS1_3gpuE7ELNS1_3repE0EEENS1_30default_config_static_selectorELNS0_4arch9wavefront6targetE1EEEvT1_,@function
_ZN7rocprim17ROCPRIM_400000_NS6detail17trampoline_kernelINS0_14default_configENS1_25transform_config_selectorIyLb0EEEZNS1_14transform_implILb0ES3_S5_N6thrust23THRUST_200600_302600_NS6detail15normal_iteratorINS8_10device_ptrIyEEEEPyNS0_8identityIyEEEE10hipError_tT2_T3_mT4_P12ihipStream_tbEUlT_E_NS1_11comp_targetILNS1_3genE3ELNS1_11target_archE908ELNS1_3gpuE7ELNS1_3repE0EEENS1_30default_config_static_selectorELNS0_4arch9wavefront6targetE1EEEvT1_: ; @_ZN7rocprim17ROCPRIM_400000_NS6detail17trampoline_kernelINS0_14default_configENS1_25transform_config_selectorIyLb0EEEZNS1_14transform_implILb0ES3_S5_N6thrust23THRUST_200600_302600_NS6detail15normal_iteratorINS8_10device_ptrIyEEEEPyNS0_8identityIyEEEE10hipError_tT2_T3_mT4_P12ihipStream_tbEUlT_E_NS1_11comp_targetILNS1_3genE3ELNS1_11target_archE908ELNS1_3gpuE7ELNS1_3repE0EEENS1_30default_config_static_selectorELNS0_4arch9wavefront6targetE1EEEvT1_
; %bb.0:
	.section	.rodata,"a",@progbits
	.p2align	6, 0x0
	.amdhsa_kernel _ZN7rocprim17ROCPRIM_400000_NS6detail17trampoline_kernelINS0_14default_configENS1_25transform_config_selectorIyLb0EEEZNS1_14transform_implILb0ES3_S5_N6thrust23THRUST_200600_302600_NS6detail15normal_iteratorINS8_10device_ptrIyEEEEPyNS0_8identityIyEEEE10hipError_tT2_T3_mT4_P12ihipStream_tbEUlT_E_NS1_11comp_targetILNS1_3genE3ELNS1_11target_archE908ELNS1_3gpuE7ELNS1_3repE0EEENS1_30default_config_static_selectorELNS0_4arch9wavefront6targetE1EEEvT1_
		.amdhsa_group_segment_fixed_size 0
		.amdhsa_private_segment_fixed_size 0
		.amdhsa_kernarg_size 40
		.amdhsa_user_sgpr_count 2
		.amdhsa_user_sgpr_dispatch_ptr 0
		.amdhsa_user_sgpr_queue_ptr 0
		.amdhsa_user_sgpr_kernarg_segment_ptr 1
		.amdhsa_user_sgpr_dispatch_id 0
		.amdhsa_user_sgpr_kernarg_preload_length 0
		.amdhsa_user_sgpr_kernarg_preload_offset 0
		.amdhsa_user_sgpr_private_segment_size 0
		.amdhsa_uses_dynamic_stack 0
		.amdhsa_enable_private_segment 0
		.amdhsa_system_sgpr_workgroup_id_x 1
		.amdhsa_system_sgpr_workgroup_id_y 0
		.amdhsa_system_sgpr_workgroup_id_z 0
		.amdhsa_system_sgpr_workgroup_info 0
		.amdhsa_system_vgpr_workitem_id 0
		.amdhsa_next_free_vgpr 1
		.amdhsa_next_free_sgpr 0
		.amdhsa_accum_offset 4
		.amdhsa_reserve_vcc 0
		.amdhsa_float_round_mode_32 0
		.amdhsa_float_round_mode_16_64 0
		.amdhsa_float_denorm_mode_32 3
		.amdhsa_float_denorm_mode_16_64 3
		.amdhsa_dx10_clamp 1
		.amdhsa_ieee_mode 1
		.amdhsa_fp16_overflow 0
		.amdhsa_tg_split 0
		.amdhsa_exception_fp_ieee_invalid_op 0
		.amdhsa_exception_fp_denorm_src 0
		.amdhsa_exception_fp_ieee_div_zero 0
		.amdhsa_exception_fp_ieee_overflow 0
		.amdhsa_exception_fp_ieee_underflow 0
		.amdhsa_exception_fp_ieee_inexact 0
		.amdhsa_exception_int_div_zero 0
	.end_amdhsa_kernel
	.section	.text._ZN7rocprim17ROCPRIM_400000_NS6detail17trampoline_kernelINS0_14default_configENS1_25transform_config_selectorIyLb0EEEZNS1_14transform_implILb0ES3_S5_N6thrust23THRUST_200600_302600_NS6detail15normal_iteratorINS8_10device_ptrIyEEEEPyNS0_8identityIyEEEE10hipError_tT2_T3_mT4_P12ihipStream_tbEUlT_E_NS1_11comp_targetILNS1_3genE3ELNS1_11target_archE908ELNS1_3gpuE7ELNS1_3repE0EEENS1_30default_config_static_selectorELNS0_4arch9wavefront6targetE1EEEvT1_,"axG",@progbits,_ZN7rocprim17ROCPRIM_400000_NS6detail17trampoline_kernelINS0_14default_configENS1_25transform_config_selectorIyLb0EEEZNS1_14transform_implILb0ES3_S5_N6thrust23THRUST_200600_302600_NS6detail15normal_iteratorINS8_10device_ptrIyEEEEPyNS0_8identityIyEEEE10hipError_tT2_T3_mT4_P12ihipStream_tbEUlT_E_NS1_11comp_targetILNS1_3genE3ELNS1_11target_archE908ELNS1_3gpuE7ELNS1_3repE0EEENS1_30default_config_static_selectorELNS0_4arch9wavefront6targetE1EEEvT1_,comdat
.Lfunc_end522:
	.size	_ZN7rocprim17ROCPRIM_400000_NS6detail17trampoline_kernelINS0_14default_configENS1_25transform_config_selectorIyLb0EEEZNS1_14transform_implILb0ES3_S5_N6thrust23THRUST_200600_302600_NS6detail15normal_iteratorINS8_10device_ptrIyEEEEPyNS0_8identityIyEEEE10hipError_tT2_T3_mT4_P12ihipStream_tbEUlT_E_NS1_11comp_targetILNS1_3genE3ELNS1_11target_archE908ELNS1_3gpuE7ELNS1_3repE0EEENS1_30default_config_static_selectorELNS0_4arch9wavefront6targetE1EEEvT1_, .Lfunc_end522-_ZN7rocprim17ROCPRIM_400000_NS6detail17trampoline_kernelINS0_14default_configENS1_25transform_config_selectorIyLb0EEEZNS1_14transform_implILb0ES3_S5_N6thrust23THRUST_200600_302600_NS6detail15normal_iteratorINS8_10device_ptrIyEEEEPyNS0_8identityIyEEEE10hipError_tT2_T3_mT4_P12ihipStream_tbEUlT_E_NS1_11comp_targetILNS1_3genE3ELNS1_11target_archE908ELNS1_3gpuE7ELNS1_3repE0EEENS1_30default_config_static_selectorELNS0_4arch9wavefront6targetE1EEEvT1_
                                        ; -- End function
	.set _ZN7rocprim17ROCPRIM_400000_NS6detail17trampoline_kernelINS0_14default_configENS1_25transform_config_selectorIyLb0EEEZNS1_14transform_implILb0ES3_S5_N6thrust23THRUST_200600_302600_NS6detail15normal_iteratorINS8_10device_ptrIyEEEEPyNS0_8identityIyEEEE10hipError_tT2_T3_mT4_P12ihipStream_tbEUlT_E_NS1_11comp_targetILNS1_3genE3ELNS1_11target_archE908ELNS1_3gpuE7ELNS1_3repE0EEENS1_30default_config_static_selectorELNS0_4arch9wavefront6targetE1EEEvT1_.num_vgpr, 0
	.set _ZN7rocprim17ROCPRIM_400000_NS6detail17trampoline_kernelINS0_14default_configENS1_25transform_config_selectorIyLb0EEEZNS1_14transform_implILb0ES3_S5_N6thrust23THRUST_200600_302600_NS6detail15normal_iteratorINS8_10device_ptrIyEEEEPyNS0_8identityIyEEEE10hipError_tT2_T3_mT4_P12ihipStream_tbEUlT_E_NS1_11comp_targetILNS1_3genE3ELNS1_11target_archE908ELNS1_3gpuE7ELNS1_3repE0EEENS1_30default_config_static_selectorELNS0_4arch9wavefront6targetE1EEEvT1_.num_agpr, 0
	.set _ZN7rocprim17ROCPRIM_400000_NS6detail17trampoline_kernelINS0_14default_configENS1_25transform_config_selectorIyLb0EEEZNS1_14transform_implILb0ES3_S5_N6thrust23THRUST_200600_302600_NS6detail15normal_iteratorINS8_10device_ptrIyEEEEPyNS0_8identityIyEEEE10hipError_tT2_T3_mT4_P12ihipStream_tbEUlT_E_NS1_11comp_targetILNS1_3genE3ELNS1_11target_archE908ELNS1_3gpuE7ELNS1_3repE0EEENS1_30default_config_static_selectorELNS0_4arch9wavefront6targetE1EEEvT1_.numbered_sgpr, 0
	.set _ZN7rocprim17ROCPRIM_400000_NS6detail17trampoline_kernelINS0_14default_configENS1_25transform_config_selectorIyLb0EEEZNS1_14transform_implILb0ES3_S5_N6thrust23THRUST_200600_302600_NS6detail15normal_iteratorINS8_10device_ptrIyEEEEPyNS0_8identityIyEEEE10hipError_tT2_T3_mT4_P12ihipStream_tbEUlT_E_NS1_11comp_targetILNS1_3genE3ELNS1_11target_archE908ELNS1_3gpuE7ELNS1_3repE0EEENS1_30default_config_static_selectorELNS0_4arch9wavefront6targetE1EEEvT1_.num_named_barrier, 0
	.set _ZN7rocprim17ROCPRIM_400000_NS6detail17trampoline_kernelINS0_14default_configENS1_25transform_config_selectorIyLb0EEEZNS1_14transform_implILb0ES3_S5_N6thrust23THRUST_200600_302600_NS6detail15normal_iteratorINS8_10device_ptrIyEEEEPyNS0_8identityIyEEEE10hipError_tT2_T3_mT4_P12ihipStream_tbEUlT_E_NS1_11comp_targetILNS1_3genE3ELNS1_11target_archE908ELNS1_3gpuE7ELNS1_3repE0EEENS1_30default_config_static_selectorELNS0_4arch9wavefront6targetE1EEEvT1_.private_seg_size, 0
	.set _ZN7rocprim17ROCPRIM_400000_NS6detail17trampoline_kernelINS0_14default_configENS1_25transform_config_selectorIyLb0EEEZNS1_14transform_implILb0ES3_S5_N6thrust23THRUST_200600_302600_NS6detail15normal_iteratorINS8_10device_ptrIyEEEEPyNS0_8identityIyEEEE10hipError_tT2_T3_mT4_P12ihipStream_tbEUlT_E_NS1_11comp_targetILNS1_3genE3ELNS1_11target_archE908ELNS1_3gpuE7ELNS1_3repE0EEENS1_30default_config_static_selectorELNS0_4arch9wavefront6targetE1EEEvT1_.uses_vcc, 0
	.set _ZN7rocprim17ROCPRIM_400000_NS6detail17trampoline_kernelINS0_14default_configENS1_25transform_config_selectorIyLb0EEEZNS1_14transform_implILb0ES3_S5_N6thrust23THRUST_200600_302600_NS6detail15normal_iteratorINS8_10device_ptrIyEEEEPyNS0_8identityIyEEEE10hipError_tT2_T3_mT4_P12ihipStream_tbEUlT_E_NS1_11comp_targetILNS1_3genE3ELNS1_11target_archE908ELNS1_3gpuE7ELNS1_3repE0EEENS1_30default_config_static_selectorELNS0_4arch9wavefront6targetE1EEEvT1_.uses_flat_scratch, 0
	.set _ZN7rocprim17ROCPRIM_400000_NS6detail17trampoline_kernelINS0_14default_configENS1_25transform_config_selectorIyLb0EEEZNS1_14transform_implILb0ES3_S5_N6thrust23THRUST_200600_302600_NS6detail15normal_iteratorINS8_10device_ptrIyEEEEPyNS0_8identityIyEEEE10hipError_tT2_T3_mT4_P12ihipStream_tbEUlT_E_NS1_11comp_targetILNS1_3genE3ELNS1_11target_archE908ELNS1_3gpuE7ELNS1_3repE0EEENS1_30default_config_static_selectorELNS0_4arch9wavefront6targetE1EEEvT1_.has_dyn_sized_stack, 0
	.set _ZN7rocprim17ROCPRIM_400000_NS6detail17trampoline_kernelINS0_14default_configENS1_25transform_config_selectorIyLb0EEEZNS1_14transform_implILb0ES3_S5_N6thrust23THRUST_200600_302600_NS6detail15normal_iteratorINS8_10device_ptrIyEEEEPyNS0_8identityIyEEEE10hipError_tT2_T3_mT4_P12ihipStream_tbEUlT_E_NS1_11comp_targetILNS1_3genE3ELNS1_11target_archE908ELNS1_3gpuE7ELNS1_3repE0EEENS1_30default_config_static_selectorELNS0_4arch9wavefront6targetE1EEEvT1_.has_recursion, 0
	.set _ZN7rocprim17ROCPRIM_400000_NS6detail17trampoline_kernelINS0_14default_configENS1_25transform_config_selectorIyLb0EEEZNS1_14transform_implILb0ES3_S5_N6thrust23THRUST_200600_302600_NS6detail15normal_iteratorINS8_10device_ptrIyEEEEPyNS0_8identityIyEEEE10hipError_tT2_T3_mT4_P12ihipStream_tbEUlT_E_NS1_11comp_targetILNS1_3genE3ELNS1_11target_archE908ELNS1_3gpuE7ELNS1_3repE0EEENS1_30default_config_static_selectorELNS0_4arch9wavefront6targetE1EEEvT1_.has_indirect_call, 0
	.section	.AMDGPU.csdata,"",@progbits
; Kernel info:
; codeLenInByte = 0
; TotalNumSgprs: 6
; NumVgprs: 0
; NumAgprs: 0
; TotalNumVgprs: 0
; ScratchSize: 0
; MemoryBound: 0
; FloatMode: 240
; IeeeMode: 1
; LDSByteSize: 0 bytes/workgroup (compile time only)
; SGPRBlocks: 0
; VGPRBlocks: 0
; NumSGPRsForWavesPerEU: 6
; NumVGPRsForWavesPerEU: 1
; AccumOffset: 4
; Occupancy: 8
; WaveLimiterHint : 0
; COMPUTE_PGM_RSRC2:SCRATCH_EN: 0
; COMPUTE_PGM_RSRC2:USER_SGPR: 2
; COMPUTE_PGM_RSRC2:TRAP_HANDLER: 0
; COMPUTE_PGM_RSRC2:TGID_X_EN: 1
; COMPUTE_PGM_RSRC2:TGID_Y_EN: 0
; COMPUTE_PGM_RSRC2:TGID_Z_EN: 0
; COMPUTE_PGM_RSRC2:TIDIG_COMP_CNT: 0
; COMPUTE_PGM_RSRC3_GFX90A:ACCUM_OFFSET: 0
; COMPUTE_PGM_RSRC3_GFX90A:TG_SPLIT: 0
	.section	.text._ZN7rocprim17ROCPRIM_400000_NS6detail17trampoline_kernelINS0_14default_configENS1_25transform_config_selectorIyLb0EEEZNS1_14transform_implILb0ES3_S5_N6thrust23THRUST_200600_302600_NS6detail15normal_iteratorINS8_10device_ptrIyEEEEPyNS0_8identityIyEEEE10hipError_tT2_T3_mT4_P12ihipStream_tbEUlT_E_NS1_11comp_targetILNS1_3genE2ELNS1_11target_archE906ELNS1_3gpuE6ELNS1_3repE0EEENS1_30default_config_static_selectorELNS0_4arch9wavefront6targetE1EEEvT1_,"axG",@progbits,_ZN7rocprim17ROCPRIM_400000_NS6detail17trampoline_kernelINS0_14default_configENS1_25transform_config_selectorIyLb0EEEZNS1_14transform_implILb0ES3_S5_N6thrust23THRUST_200600_302600_NS6detail15normal_iteratorINS8_10device_ptrIyEEEEPyNS0_8identityIyEEEE10hipError_tT2_T3_mT4_P12ihipStream_tbEUlT_E_NS1_11comp_targetILNS1_3genE2ELNS1_11target_archE906ELNS1_3gpuE6ELNS1_3repE0EEENS1_30default_config_static_selectorELNS0_4arch9wavefront6targetE1EEEvT1_,comdat
	.protected	_ZN7rocprim17ROCPRIM_400000_NS6detail17trampoline_kernelINS0_14default_configENS1_25transform_config_selectorIyLb0EEEZNS1_14transform_implILb0ES3_S5_N6thrust23THRUST_200600_302600_NS6detail15normal_iteratorINS8_10device_ptrIyEEEEPyNS0_8identityIyEEEE10hipError_tT2_T3_mT4_P12ihipStream_tbEUlT_E_NS1_11comp_targetILNS1_3genE2ELNS1_11target_archE906ELNS1_3gpuE6ELNS1_3repE0EEENS1_30default_config_static_selectorELNS0_4arch9wavefront6targetE1EEEvT1_ ; -- Begin function _ZN7rocprim17ROCPRIM_400000_NS6detail17trampoline_kernelINS0_14default_configENS1_25transform_config_selectorIyLb0EEEZNS1_14transform_implILb0ES3_S5_N6thrust23THRUST_200600_302600_NS6detail15normal_iteratorINS8_10device_ptrIyEEEEPyNS0_8identityIyEEEE10hipError_tT2_T3_mT4_P12ihipStream_tbEUlT_E_NS1_11comp_targetILNS1_3genE2ELNS1_11target_archE906ELNS1_3gpuE6ELNS1_3repE0EEENS1_30default_config_static_selectorELNS0_4arch9wavefront6targetE1EEEvT1_
	.globl	_ZN7rocprim17ROCPRIM_400000_NS6detail17trampoline_kernelINS0_14default_configENS1_25transform_config_selectorIyLb0EEEZNS1_14transform_implILb0ES3_S5_N6thrust23THRUST_200600_302600_NS6detail15normal_iteratorINS8_10device_ptrIyEEEEPyNS0_8identityIyEEEE10hipError_tT2_T3_mT4_P12ihipStream_tbEUlT_E_NS1_11comp_targetILNS1_3genE2ELNS1_11target_archE906ELNS1_3gpuE6ELNS1_3repE0EEENS1_30default_config_static_selectorELNS0_4arch9wavefront6targetE1EEEvT1_
	.p2align	8
	.type	_ZN7rocprim17ROCPRIM_400000_NS6detail17trampoline_kernelINS0_14default_configENS1_25transform_config_selectorIyLb0EEEZNS1_14transform_implILb0ES3_S5_N6thrust23THRUST_200600_302600_NS6detail15normal_iteratorINS8_10device_ptrIyEEEEPyNS0_8identityIyEEEE10hipError_tT2_T3_mT4_P12ihipStream_tbEUlT_E_NS1_11comp_targetILNS1_3genE2ELNS1_11target_archE906ELNS1_3gpuE6ELNS1_3repE0EEENS1_30default_config_static_selectorELNS0_4arch9wavefront6targetE1EEEvT1_,@function
_ZN7rocprim17ROCPRIM_400000_NS6detail17trampoline_kernelINS0_14default_configENS1_25transform_config_selectorIyLb0EEEZNS1_14transform_implILb0ES3_S5_N6thrust23THRUST_200600_302600_NS6detail15normal_iteratorINS8_10device_ptrIyEEEEPyNS0_8identityIyEEEE10hipError_tT2_T3_mT4_P12ihipStream_tbEUlT_E_NS1_11comp_targetILNS1_3genE2ELNS1_11target_archE906ELNS1_3gpuE6ELNS1_3repE0EEENS1_30default_config_static_selectorELNS0_4arch9wavefront6targetE1EEEvT1_: ; @_ZN7rocprim17ROCPRIM_400000_NS6detail17trampoline_kernelINS0_14default_configENS1_25transform_config_selectorIyLb0EEEZNS1_14transform_implILb0ES3_S5_N6thrust23THRUST_200600_302600_NS6detail15normal_iteratorINS8_10device_ptrIyEEEEPyNS0_8identityIyEEEE10hipError_tT2_T3_mT4_P12ihipStream_tbEUlT_E_NS1_11comp_targetILNS1_3genE2ELNS1_11target_archE906ELNS1_3gpuE6ELNS1_3repE0EEENS1_30default_config_static_selectorELNS0_4arch9wavefront6targetE1EEEvT1_
; %bb.0:
	.section	.rodata,"a",@progbits
	.p2align	6, 0x0
	.amdhsa_kernel _ZN7rocprim17ROCPRIM_400000_NS6detail17trampoline_kernelINS0_14default_configENS1_25transform_config_selectorIyLb0EEEZNS1_14transform_implILb0ES3_S5_N6thrust23THRUST_200600_302600_NS6detail15normal_iteratorINS8_10device_ptrIyEEEEPyNS0_8identityIyEEEE10hipError_tT2_T3_mT4_P12ihipStream_tbEUlT_E_NS1_11comp_targetILNS1_3genE2ELNS1_11target_archE906ELNS1_3gpuE6ELNS1_3repE0EEENS1_30default_config_static_selectorELNS0_4arch9wavefront6targetE1EEEvT1_
		.amdhsa_group_segment_fixed_size 0
		.amdhsa_private_segment_fixed_size 0
		.amdhsa_kernarg_size 40
		.amdhsa_user_sgpr_count 2
		.amdhsa_user_sgpr_dispatch_ptr 0
		.amdhsa_user_sgpr_queue_ptr 0
		.amdhsa_user_sgpr_kernarg_segment_ptr 1
		.amdhsa_user_sgpr_dispatch_id 0
		.amdhsa_user_sgpr_kernarg_preload_length 0
		.amdhsa_user_sgpr_kernarg_preload_offset 0
		.amdhsa_user_sgpr_private_segment_size 0
		.amdhsa_uses_dynamic_stack 0
		.amdhsa_enable_private_segment 0
		.amdhsa_system_sgpr_workgroup_id_x 1
		.amdhsa_system_sgpr_workgroup_id_y 0
		.amdhsa_system_sgpr_workgroup_id_z 0
		.amdhsa_system_sgpr_workgroup_info 0
		.amdhsa_system_vgpr_workitem_id 0
		.amdhsa_next_free_vgpr 1
		.amdhsa_next_free_sgpr 0
		.amdhsa_accum_offset 4
		.amdhsa_reserve_vcc 0
		.amdhsa_float_round_mode_32 0
		.amdhsa_float_round_mode_16_64 0
		.amdhsa_float_denorm_mode_32 3
		.amdhsa_float_denorm_mode_16_64 3
		.amdhsa_dx10_clamp 1
		.amdhsa_ieee_mode 1
		.amdhsa_fp16_overflow 0
		.amdhsa_tg_split 0
		.amdhsa_exception_fp_ieee_invalid_op 0
		.amdhsa_exception_fp_denorm_src 0
		.amdhsa_exception_fp_ieee_div_zero 0
		.amdhsa_exception_fp_ieee_overflow 0
		.amdhsa_exception_fp_ieee_underflow 0
		.amdhsa_exception_fp_ieee_inexact 0
		.amdhsa_exception_int_div_zero 0
	.end_amdhsa_kernel
	.section	.text._ZN7rocprim17ROCPRIM_400000_NS6detail17trampoline_kernelINS0_14default_configENS1_25transform_config_selectorIyLb0EEEZNS1_14transform_implILb0ES3_S5_N6thrust23THRUST_200600_302600_NS6detail15normal_iteratorINS8_10device_ptrIyEEEEPyNS0_8identityIyEEEE10hipError_tT2_T3_mT4_P12ihipStream_tbEUlT_E_NS1_11comp_targetILNS1_3genE2ELNS1_11target_archE906ELNS1_3gpuE6ELNS1_3repE0EEENS1_30default_config_static_selectorELNS0_4arch9wavefront6targetE1EEEvT1_,"axG",@progbits,_ZN7rocprim17ROCPRIM_400000_NS6detail17trampoline_kernelINS0_14default_configENS1_25transform_config_selectorIyLb0EEEZNS1_14transform_implILb0ES3_S5_N6thrust23THRUST_200600_302600_NS6detail15normal_iteratorINS8_10device_ptrIyEEEEPyNS0_8identityIyEEEE10hipError_tT2_T3_mT4_P12ihipStream_tbEUlT_E_NS1_11comp_targetILNS1_3genE2ELNS1_11target_archE906ELNS1_3gpuE6ELNS1_3repE0EEENS1_30default_config_static_selectorELNS0_4arch9wavefront6targetE1EEEvT1_,comdat
.Lfunc_end523:
	.size	_ZN7rocprim17ROCPRIM_400000_NS6detail17trampoline_kernelINS0_14default_configENS1_25transform_config_selectorIyLb0EEEZNS1_14transform_implILb0ES3_S5_N6thrust23THRUST_200600_302600_NS6detail15normal_iteratorINS8_10device_ptrIyEEEEPyNS0_8identityIyEEEE10hipError_tT2_T3_mT4_P12ihipStream_tbEUlT_E_NS1_11comp_targetILNS1_3genE2ELNS1_11target_archE906ELNS1_3gpuE6ELNS1_3repE0EEENS1_30default_config_static_selectorELNS0_4arch9wavefront6targetE1EEEvT1_, .Lfunc_end523-_ZN7rocprim17ROCPRIM_400000_NS6detail17trampoline_kernelINS0_14default_configENS1_25transform_config_selectorIyLb0EEEZNS1_14transform_implILb0ES3_S5_N6thrust23THRUST_200600_302600_NS6detail15normal_iteratorINS8_10device_ptrIyEEEEPyNS0_8identityIyEEEE10hipError_tT2_T3_mT4_P12ihipStream_tbEUlT_E_NS1_11comp_targetILNS1_3genE2ELNS1_11target_archE906ELNS1_3gpuE6ELNS1_3repE0EEENS1_30default_config_static_selectorELNS0_4arch9wavefront6targetE1EEEvT1_
                                        ; -- End function
	.set _ZN7rocprim17ROCPRIM_400000_NS6detail17trampoline_kernelINS0_14default_configENS1_25transform_config_selectorIyLb0EEEZNS1_14transform_implILb0ES3_S5_N6thrust23THRUST_200600_302600_NS6detail15normal_iteratorINS8_10device_ptrIyEEEEPyNS0_8identityIyEEEE10hipError_tT2_T3_mT4_P12ihipStream_tbEUlT_E_NS1_11comp_targetILNS1_3genE2ELNS1_11target_archE906ELNS1_3gpuE6ELNS1_3repE0EEENS1_30default_config_static_selectorELNS0_4arch9wavefront6targetE1EEEvT1_.num_vgpr, 0
	.set _ZN7rocprim17ROCPRIM_400000_NS6detail17trampoline_kernelINS0_14default_configENS1_25transform_config_selectorIyLb0EEEZNS1_14transform_implILb0ES3_S5_N6thrust23THRUST_200600_302600_NS6detail15normal_iteratorINS8_10device_ptrIyEEEEPyNS0_8identityIyEEEE10hipError_tT2_T3_mT4_P12ihipStream_tbEUlT_E_NS1_11comp_targetILNS1_3genE2ELNS1_11target_archE906ELNS1_3gpuE6ELNS1_3repE0EEENS1_30default_config_static_selectorELNS0_4arch9wavefront6targetE1EEEvT1_.num_agpr, 0
	.set _ZN7rocprim17ROCPRIM_400000_NS6detail17trampoline_kernelINS0_14default_configENS1_25transform_config_selectorIyLb0EEEZNS1_14transform_implILb0ES3_S5_N6thrust23THRUST_200600_302600_NS6detail15normal_iteratorINS8_10device_ptrIyEEEEPyNS0_8identityIyEEEE10hipError_tT2_T3_mT4_P12ihipStream_tbEUlT_E_NS1_11comp_targetILNS1_3genE2ELNS1_11target_archE906ELNS1_3gpuE6ELNS1_3repE0EEENS1_30default_config_static_selectorELNS0_4arch9wavefront6targetE1EEEvT1_.numbered_sgpr, 0
	.set _ZN7rocprim17ROCPRIM_400000_NS6detail17trampoline_kernelINS0_14default_configENS1_25transform_config_selectorIyLb0EEEZNS1_14transform_implILb0ES3_S5_N6thrust23THRUST_200600_302600_NS6detail15normal_iteratorINS8_10device_ptrIyEEEEPyNS0_8identityIyEEEE10hipError_tT2_T3_mT4_P12ihipStream_tbEUlT_E_NS1_11comp_targetILNS1_3genE2ELNS1_11target_archE906ELNS1_3gpuE6ELNS1_3repE0EEENS1_30default_config_static_selectorELNS0_4arch9wavefront6targetE1EEEvT1_.num_named_barrier, 0
	.set _ZN7rocprim17ROCPRIM_400000_NS6detail17trampoline_kernelINS0_14default_configENS1_25transform_config_selectorIyLb0EEEZNS1_14transform_implILb0ES3_S5_N6thrust23THRUST_200600_302600_NS6detail15normal_iteratorINS8_10device_ptrIyEEEEPyNS0_8identityIyEEEE10hipError_tT2_T3_mT4_P12ihipStream_tbEUlT_E_NS1_11comp_targetILNS1_3genE2ELNS1_11target_archE906ELNS1_3gpuE6ELNS1_3repE0EEENS1_30default_config_static_selectorELNS0_4arch9wavefront6targetE1EEEvT1_.private_seg_size, 0
	.set _ZN7rocprim17ROCPRIM_400000_NS6detail17trampoline_kernelINS0_14default_configENS1_25transform_config_selectorIyLb0EEEZNS1_14transform_implILb0ES3_S5_N6thrust23THRUST_200600_302600_NS6detail15normal_iteratorINS8_10device_ptrIyEEEEPyNS0_8identityIyEEEE10hipError_tT2_T3_mT4_P12ihipStream_tbEUlT_E_NS1_11comp_targetILNS1_3genE2ELNS1_11target_archE906ELNS1_3gpuE6ELNS1_3repE0EEENS1_30default_config_static_selectorELNS0_4arch9wavefront6targetE1EEEvT1_.uses_vcc, 0
	.set _ZN7rocprim17ROCPRIM_400000_NS6detail17trampoline_kernelINS0_14default_configENS1_25transform_config_selectorIyLb0EEEZNS1_14transform_implILb0ES3_S5_N6thrust23THRUST_200600_302600_NS6detail15normal_iteratorINS8_10device_ptrIyEEEEPyNS0_8identityIyEEEE10hipError_tT2_T3_mT4_P12ihipStream_tbEUlT_E_NS1_11comp_targetILNS1_3genE2ELNS1_11target_archE906ELNS1_3gpuE6ELNS1_3repE0EEENS1_30default_config_static_selectorELNS0_4arch9wavefront6targetE1EEEvT1_.uses_flat_scratch, 0
	.set _ZN7rocprim17ROCPRIM_400000_NS6detail17trampoline_kernelINS0_14default_configENS1_25transform_config_selectorIyLb0EEEZNS1_14transform_implILb0ES3_S5_N6thrust23THRUST_200600_302600_NS6detail15normal_iteratorINS8_10device_ptrIyEEEEPyNS0_8identityIyEEEE10hipError_tT2_T3_mT4_P12ihipStream_tbEUlT_E_NS1_11comp_targetILNS1_3genE2ELNS1_11target_archE906ELNS1_3gpuE6ELNS1_3repE0EEENS1_30default_config_static_selectorELNS0_4arch9wavefront6targetE1EEEvT1_.has_dyn_sized_stack, 0
	.set _ZN7rocprim17ROCPRIM_400000_NS6detail17trampoline_kernelINS0_14default_configENS1_25transform_config_selectorIyLb0EEEZNS1_14transform_implILb0ES3_S5_N6thrust23THRUST_200600_302600_NS6detail15normal_iteratorINS8_10device_ptrIyEEEEPyNS0_8identityIyEEEE10hipError_tT2_T3_mT4_P12ihipStream_tbEUlT_E_NS1_11comp_targetILNS1_3genE2ELNS1_11target_archE906ELNS1_3gpuE6ELNS1_3repE0EEENS1_30default_config_static_selectorELNS0_4arch9wavefront6targetE1EEEvT1_.has_recursion, 0
	.set _ZN7rocprim17ROCPRIM_400000_NS6detail17trampoline_kernelINS0_14default_configENS1_25transform_config_selectorIyLb0EEEZNS1_14transform_implILb0ES3_S5_N6thrust23THRUST_200600_302600_NS6detail15normal_iteratorINS8_10device_ptrIyEEEEPyNS0_8identityIyEEEE10hipError_tT2_T3_mT4_P12ihipStream_tbEUlT_E_NS1_11comp_targetILNS1_3genE2ELNS1_11target_archE906ELNS1_3gpuE6ELNS1_3repE0EEENS1_30default_config_static_selectorELNS0_4arch9wavefront6targetE1EEEvT1_.has_indirect_call, 0
	.section	.AMDGPU.csdata,"",@progbits
; Kernel info:
; codeLenInByte = 0
; TotalNumSgprs: 6
; NumVgprs: 0
; NumAgprs: 0
; TotalNumVgprs: 0
; ScratchSize: 0
; MemoryBound: 0
; FloatMode: 240
; IeeeMode: 1
; LDSByteSize: 0 bytes/workgroup (compile time only)
; SGPRBlocks: 0
; VGPRBlocks: 0
; NumSGPRsForWavesPerEU: 6
; NumVGPRsForWavesPerEU: 1
; AccumOffset: 4
; Occupancy: 8
; WaveLimiterHint : 0
; COMPUTE_PGM_RSRC2:SCRATCH_EN: 0
; COMPUTE_PGM_RSRC2:USER_SGPR: 2
; COMPUTE_PGM_RSRC2:TRAP_HANDLER: 0
; COMPUTE_PGM_RSRC2:TGID_X_EN: 1
; COMPUTE_PGM_RSRC2:TGID_Y_EN: 0
; COMPUTE_PGM_RSRC2:TGID_Z_EN: 0
; COMPUTE_PGM_RSRC2:TIDIG_COMP_CNT: 0
; COMPUTE_PGM_RSRC3_GFX90A:ACCUM_OFFSET: 0
; COMPUTE_PGM_RSRC3_GFX90A:TG_SPLIT: 0
	.section	.text._ZN7rocprim17ROCPRIM_400000_NS6detail17trampoline_kernelINS0_14default_configENS1_25transform_config_selectorIyLb0EEEZNS1_14transform_implILb0ES3_S5_N6thrust23THRUST_200600_302600_NS6detail15normal_iteratorINS8_10device_ptrIyEEEEPyNS0_8identityIyEEEE10hipError_tT2_T3_mT4_P12ihipStream_tbEUlT_E_NS1_11comp_targetILNS1_3genE10ELNS1_11target_archE1201ELNS1_3gpuE5ELNS1_3repE0EEENS1_30default_config_static_selectorELNS0_4arch9wavefront6targetE1EEEvT1_,"axG",@progbits,_ZN7rocprim17ROCPRIM_400000_NS6detail17trampoline_kernelINS0_14default_configENS1_25transform_config_selectorIyLb0EEEZNS1_14transform_implILb0ES3_S5_N6thrust23THRUST_200600_302600_NS6detail15normal_iteratorINS8_10device_ptrIyEEEEPyNS0_8identityIyEEEE10hipError_tT2_T3_mT4_P12ihipStream_tbEUlT_E_NS1_11comp_targetILNS1_3genE10ELNS1_11target_archE1201ELNS1_3gpuE5ELNS1_3repE0EEENS1_30default_config_static_selectorELNS0_4arch9wavefront6targetE1EEEvT1_,comdat
	.protected	_ZN7rocprim17ROCPRIM_400000_NS6detail17trampoline_kernelINS0_14default_configENS1_25transform_config_selectorIyLb0EEEZNS1_14transform_implILb0ES3_S5_N6thrust23THRUST_200600_302600_NS6detail15normal_iteratorINS8_10device_ptrIyEEEEPyNS0_8identityIyEEEE10hipError_tT2_T3_mT4_P12ihipStream_tbEUlT_E_NS1_11comp_targetILNS1_3genE10ELNS1_11target_archE1201ELNS1_3gpuE5ELNS1_3repE0EEENS1_30default_config_static_selectorELNS0_4arch9wavefront6targetE1EEEvT1_ ; -- Begin function _ZN7rocprim17ROCPRIM_400000_NS6detail17trampoline_kernelINS0_14default_configENS1_25transform_config_selectorIyLb0EEEZNS1_14transform_implILb0ES3_S5_N6thrust23THRUST_200600_302600_NS6detail15normal_iteratorINS8_10device_ptrIyEEEEPyNS0_8identityIyEEEE10hipError_tT2_T3_mT4_P12ihipStream_tbEUlT_E_NS1_11comp_targetILNS1_3genE10ELNS1_11target_archE1201ELNS1_3gpuE5ELNS1_3repE0EEENS1_30default_config_static_selectorELNS0_4arch9wavefront6targetE1EEEvT1_
	.globl	_ZN7rocprim17ROCPRIM_400000_NS6detail17trampoline_kernelINS0_14default_configENS1_25transform_config_selectorIyLb0EEEZNS1_14transform_implILb0ES3_S5_N6thrust23THRUST_200600_302600_NS6detail15normal_iteratorINS8_10device_ptrIyEEEEPyNS0_8identityIyEEEE10hipError_tT2_T3_mT4_P12ihipStream_tbEUlT_E_NS1_11comp_targetILNS1_3genE10ELNS1_11target_archE1201ELNS1_3gpuE5ELNS1_3repE0EEENS1_30default_config_static_selectorELNS0_4arch9wavefront6targetE1EEEvT1_
	.p2align	8
	.type	_ZN7rocprim17ROCPRIM_400000_NS6detail17trampoline_kernelINS0_14default_configENS1_25transform_config_selectorIyLb0EEEZNS1_14transform_implILb0ES3_S5_N6thrust23THRUST_200600_302600_NS6detail15normal_iteratorINS8_10device_ptrIyEEEEPyNS0_8identityIyEEEE10hipError_tT2_T3_mT4_P12ihipStream_tbEUlT_E_NS1_11comp_targetILNS1_3genE10ELNS1_11target_archE1201ELNS1_3gpuE5ELNS1_3repE0EEENS1_30default_config_static_selectorELNS0_4arch9wavefront6targetE1EEEvT1_,@function
_ZN7rocprim17ROCPRIM_400000_NS6detail17trampoline_kernelINS0_14default_configENS1_25transform_config_selectorIyLb0EEEZNS1_14transform_implILb0ES3_S5_N6thrust23THRUST_200600_302600_NS6detail15normal_iteratorINS8_10device_ptrIyEEEEPyNS0_8identityIyEEEE10hipError_tT2_T3_mT4_P12ihipStream_tbEUlT_E_NS1_11comp_targetILNS1_3genE10ELNS1_11target_archE1201ELNS1_3gpuE5ELNS1_3repE0EEENS1_30default_config_static_selectorELNS0_4arch9wavefront6targetE1EEEvT1_: ; @_ZN7rocprim17ROCPRIM_400000_NS6detail17trampoline_kernelINS0_14default_configENS1_25transform_config_selectorIyLb0EEEZNS1_14transform_implILb0ES3_S5_N6thrust23THRUST_200600_302600_NS6detail15normal_iteratorINS8_10device_ptrIyEEEEPyNS0_8identityIyEEEE10hipError_tT2_T3_mT4_P12ihipStream_tbEUlT_E_NS1_11comp_targetILNS1_3genE10ELNS1_11target_archE1201ELNS1_3gpuE5ELNS1_3repE0EEENS1_30default_config_static_selectorELNS0_4arch9wavefront6targetE1EEEvT1_
; %bb.0:
	.section	.rodata,"a",@progbits
	.p2align	6, 0x0
	.amdhsa_kernel _ZN7rocprim17ROCPRIM_400000_NS6detail17trampoline_kernelINS0_14default_configENS1_25transform_config_selectorIyLb0EEEZNS1_14transform_implILb0ES3_S5_N6thrust23THRUST_200600_302600_NS6detail15normal_iteratorINS8_10device_ptrIyEEEEPyNS0_8identityIyEEEE10hipError_tT2_T3_mT4_P12ihipStream_tbEUlT_E_NS1_11comp_targetILNS1_3genE10ELNS1_11target_archE1201ELNS1_3gpuE5ELNS1_3repE0EEENS1_30default_config_static_selectorELNS0_4arch9wavefront6targetE1EEEvT1_
		.amdhsa_group_segment_fixed_size 0
		.amdhsa_private_segment_fixed_size 0
		.amdhsa_kernarg_size 40
		.amdhsa_user_sgpr_count 2
		.amdhsa_user_sgpr_dispatch_ptr 0
		.amdhsa_user_sgpr_queue_ptr 0
		.amdhsa_user_sgpr_kernarg_segment_ptr 1
		.amdhsa_user_sgpr_dispatch_id 0
		.amdhsa_user_sgpr_kernarg_preload_length 0
		.amdhsa_user_sgpr_kernarg_preload_offset 0
		.amdhsa_user_sgpr_private_segment_size 0
		.amdhsa_uses_dynamic_stack 0
		.amdhsa_enable_private_segment 0
		.amdhsa_system_sgpr_workgroup_id_x 1
		.amdhsa_system_sgpr_workgroup_id_y 0
		.amdhsa_system_sgpr_workgroup_id_z 0
		.amdhsa_system_sgpr_workgroup_info 0
		.amdhsa_system_vgpr_workitem_id 0
		.amdhsa_next_free_vgpr 1
		.amdhsa_next_free_sgpr 0
		.amdhsa_accum_offset 4
		.amdhsa_reserve_vcc 0
		.amdhsa_float_round_mode_32 0
		.amdhsa_float_round_mode_16_64 0
		.amdhsa_float_denorm_mode_32 3
		.amdhsa_float_denorm_mode_16_64 3
		.amdhsa_dx10_clamp 1
		.amdhsa_ieee_mode 1
		.amdhsa_fp16_overflow 0
		.amdhsa_tg_split 0
		.amdhsa_exception_fp_ieee_invalid_op 0
		.amdhsa_exception_fp_denorm_src 0
		.amdhsa_exception_fp_ieee_div_zero 0
		.amdhsa_exception_fp_ieee_overflow 0
		.amdhsa_exception_fp_ieee_underflow 0
		.amdhsa_exception_fp_ieee_inexact 0
		.amdhsa_exception_int_div_zero 0
	.end_amdhsa_kernel
	.section	.text._ZN7rocprim17ROCPRIM_400000_NS6detail17trampoline_kernelINS0_14default_configENS1_25transform_config_selectorIyLb0EEEZNS1_14transform_implILb0ES3_S5_N6thrust23THRUST_200600_302600_NS6detail15normal_iteratorINS8_10device_ptrIyEEEEPyNS0_8identityIyEEEE10hipError_tT2_T3_mT4_P12ihipStream_tbEUlT_E_NS1_11comp_targetILNS1_3genE10ELNS1_11target_archE1201ELNS1_3gpuE5ELNS1_3repE0EEENS1_30default_config_static_selectorELNS0_4arch9wavefront6targetE1EEEvT1_,"axG",@progbits,_ZN7rocprim17ROCPRIM_400000_NS6detail17trampoline_kernelINS0_14default_configENS1_25transform_config_selectorIyLb0EEEZNS1_14transform_implILb0ES3_S5_N6thrust23THRUST_200600_302600_NS6detail15normal_iteratorINS8_10device_ptrIyEEEEPyNS0_8identityIyEEEE10hipError_tT2_T3_mT4_P12ihipStream_tbEUlT_E_NS1_11comp_targetILNS1_3genE10ELNS1_11target_archE1201ELNS1_3gpuE5ELNS1_3repE0EEENS1_30default_config_static_selectorELNS0_4arch9wavefront6targetE1EEEvT1_,comdat
.Lfunc_end524:
	.size	_ZN7rocprim17ROCPRIM_400000_NS6detail17trampoline_kernelINS0_14default_configENS1_25transform_config_selectorIyLb0EEEZNS1_14transform_implILb0ES3_S5_N6thrust23THRUST_200600_302600_NS6detail15normal_iteratorINS8_10device_ptrIyEEEEPyNS0_8identityIyEEEE10hipError_tT2_T3_mT4_P12ihipStream_tbEUlT_E_NS1_11comp_targetILNS1_3genE10ELNS1_11target_archE1201ELNS1_3gpuE5ELNS1_3repE0EEENS1_30default_config_static_selectorELNS0_4arch9wavefront6targetE1EEEvT1_, .Lfunc_end524-_ZN7rocprim17ROCPRIM_400000_NS6detail17trampoline_kernelINS0_14default_configENS1_25transform_config_selectorIyLb0EEEZNS1_14transform_implILb0ES3_S5_N6thrust23THRUST_200600_302600_NS6detail15normal_iteratorINS8_10device_ptrIyEEEEPyNS0_8identityIyEEEE10hipError_tT2_T3_mT4_P12ihipStream_tbEUlT_E_NS1_11comp_targetILNS1_3genE10ELNS1_11target_archE1201ELNS1_3gpuE5ELNS1_3repE0EEENS1_30default_config_static_selectorELNS0_4arch9wavefront6targetE1EEEvT1_
                                        ; -- End function
	.set _ZN7rocprim17ROCPRIM_400000_NS6detail17trampoline_kernelINS0_14default_configENS1_25transform_config_selectorIyLb0EEEZNS1_14transform_implILb0ES3_S5_N6thrust23THRUST_200600_302600_NS6detail15normal_iteratorINS8_10device_ptrIyEEEEPyNS0_8identityIyEEEE10hipError_tT2_T3_mT4_P12ihipStream_tbEUlT_E_NS1_11comp_targetILNS1_3genE10ELNS1_11target_archE1201ELNS1_3gpuE5ELNS1_3repE0EEENS1_30default_config_static_selectorELNS0_4arch9wavefront6targetE1EEEvT1_.num_vgpr, 0
	.set _ZN7rocprim17ROCPRIM_400000_NS6detail17trampoline_kernelINS0_14default_configENS1_25transform_config_selectorIyLb0EEEZNS1_14transform_implILb0ES3_S5_N6thrust23THRUST_200600_302600_NS6detail15normal_iteratorINS8_10device_ptrIyEEEEPyNS0_8identityIyEEEE10hipError_tT2_T3_mT4_P12ihipStream_tbEUlT_E_NS1_11comp_targetILNS1_3genE10ELNS1_11target_archE1201ELNS1_3gpuE5ELNS1_3repE0EEENS1_30default_config_static_selectorELNS0_4arch9wavefront6targetE1EEEvT1_.num_agpr, 0
	.set _ZN7rocprim17ROCPRIM_400000_NS6detail17trampoline_kernelINS0_14default_configENS1_25transform_config_selectorIyLb0EEEZNS1_14transform_implILb0ES3_S5_N6thrust23THRUST_200600_302600_NS6detail15normal_iteratorINS8_10device_ptrIyEEEEPyNS0_8identityIyEEEE10hipError_tT2_T3_mT4_P12ihipStream_tbEUlT_E_NS1_11comp_targetILNS1_3genE10ELNS1_11target_archE1201ELNS1_3gpuE5ELNS1_3repE0EEENS1_30default_config_static_selectorELNS0_4arch9wavefront6targetE1EEEvT1_.numbered_sgpr, 0
	.set _ZN7rocprim17ROCPRIM_400000_NS6detail17trampoline_kernelINS0_14default_configENS1_25transform_config_selectorIyLb0EEEZNS1_14transform_implILb0ES3_S5_N6thrust23THRUST_200600_302600_NS6detail15normal_iteratorINS8_10device_ptrIyEEEEPyNS0_8identityIyEEEE10hipError_tT2_T3_mT4_P12ihipStream_tbEUlT_E_NS1_11comp_targetILNS1_3genE10ELNS1_11target_archE1201ELNS1_3gpuE5ELNS1_3repE0EEENS1_30default_config_static_selectorELNS0_4arch9wavefront6targetE1EEEvT1_.num_named_barrier, 0
	.set _ZN7rocprim17ROCPRIM_400000_NS6detail17trampoline_kernelINS0_14default_configENS1_25transform_config_selectorIyLb0EEEZNS1_14transform_implILb0ES3_S5_N6thrust23THRUST_200600_302600_NS6detail15normal_iteratorINS8_10device_ptrIyEEEEPyNS0_8identityIyEEEE10hipError_tT2_T3_mT4_P12ihipStream_tbEUlT_E_NS1_11comp_targetILNS1_3genE10ELNS1_11target_archE1201ELNS1_3gpuE5ELNS1_3repE0EEENS1_30default_config_static_selectorELNS0_4arch9wavefront6targetE1EEEvT1_.private_seg_size, 0
	.set _ZN7rocprim17ROCPRIM_400000_NS6detail17trampoline_kernelINS0_14default_configENS1_25transform_config_selectorIyLb0EEEZNS1_14transform_implILb0ES3_S5_N6thrust23THRUST_200600_302600_NS6detail15normal_iteratorINS8_10device_ptrIyEEEEPyNS0_8identityIyEEEE10hipError_tT2_T3_mT4_P12ihipStream_tbEUlT_E_NS1_11comp_targetILNS1_3genE10ELNS1_11target_archE1201ELNS1_3gpuE5ELNS1_3repE0EEENS1_30default_config_static_selectorELNS0_4arch9wavefront6targetE1EEEvT1_.uses_vcc, 0
	.set _ZN7rocprim17ROCPRIM_400000_NS6detail17trampoline_kernelINS0_14default_configENS1_25transform_config_selectorIyLb0EEEZNS1_14transform_implILb0ES3_S5_N6thrust23THRUST_200600_302600_NS6detail15normal_iteratorINS8_10device_ptrIyEEEEPyNS0_8identityIyEEEE10hipError_tT2_T3_mT4_P12ihipStream_tbEUlT_E_NS1_11comp_targetILNS1_3genE10ELNS1_11target_archE1201ELNS1_3gpuE5ELNS1_3repE0EEENS1_30default_config_static_selectorELNS0_4arch9wavefront6targetE1EEEvT1_.uses_flat_scratch, 0
	.set _ZN7rocprim17ROCPRIM_400000_NS6detail17trampoline_kernelINS0_14default_configENS1_25transform_config_selectorIyLb0EEEZNS1_14transform_implILb0ES3_S5_N6thrust23THRUST_200600_302600_NS6detail15normal_iteratorINS8_10device_ptrIyEEEEPyNS0_8identityIyEEEE10hipError_tT2_T3_mT4_P12ihipStream_tbEUlT_E_NS1_11comp_targetILNS1_3genE10ELNS1_11target_archE1201ELNS1_3gpuE5ELNS1_3repE0EEENS1_30default_config_static_selectorELNS0_4arch9wavefront6targetE1EEEvT1_.has_dyn_sized_stack, 0
	.set _ZN7rocprim17ROCPRIM_400000_NS6detail17trampoline_kernelINS0_14default_configENS1_25transform_config_selectorIyLb0EEEZNS1_14transform_implILb0ES3_S5_N6thrust23THRUST_200600_302600_NS6detail15normal_iteratorINS8_10device_ptrIyEEEEPyNS0_8identityIyEEEE10hipError_tT2_T3_mT4_P12ihipStream_tbEUlT_E_NS1_11comp_targetILNS1_3genE10ELNS1_11target_archE1201ELNS1_3gpuE5ELNS1_3repE0EEENS1_30default_config_static_selectorELNS0_4arch9wavefront6targetE1EEEvT1_.has_recursion, 0
	.set _ZN7rocprim17ROCPRIM_400000_NS6detail17trampoline_kernelINS0_14default_configENS1_25transform_config_selectorIyLb0EEEZNS1_14transform_implILb0ES3_S5_N6thrust23THRUST_200600_302600_NS6detail15normal_iteratorINS8_10device_ptrIyEEEEPyNS0_8identityIyEEEE10hipError_tT2_T3_mT4_P12ihipStream_tbEUlT_E_NS1_11comp_targetILNS1_3genE10ELNS1_11target_archE1201ELNS1_3gpuE5ELNS1_3repE0EEENS1_30default_config_static_selectorELNS0_4arch9wavefront6targetE1EEEvT1_.has_indirect_call, 0
	.section	.AMDGPU.csdata,"",@progbits
; Kernel info:
; codeLenInByte = 0
; TotalNumSgprs: 6
; NumVgprs: 0
; NumAgprs: 0
; TotalNumVgprs: 0
; ScratchSize: 0
; MemoryBound: 0
; FloatMode: 240
; IeeeMode: 1
; LDSByteSize: 0 bytes/workgroup (compile time only)
; SGPRBlocks: 0
; VGPRBlocks: 0
; NumSGPRsForWavesPerEU: 6
; NumVGPRsForWavesPerEU: 1
; AccumOffset: 4
; Occupancy: 8
; WaveLimiterHint : 0
; COMPUTE_PGM_RSRC2:SCRATCH_EN: 0
; COMPUTE_PGM_RSRC2:USER_SGPR: 2
; COMPUTE_PGM_RSRC2:TRAP_HANDLER: 0
; COMPUTE_PGM_RSRC2:TGID_X_EN: 1
; COMPUTE_PGM_RSRC2:TGID_Y_EN: 0
; COMPUTE_PGM_RSRC2:TGID_Z_EN: 0
; COMPUTE_PGM_RSRC2:TIDIG_COMP_CNT: 0
; COMPUTE_PGM_RSRC3_GFX90A:ACCUM_OFFSET: 0
; COMPUTE_PGM_RSRC3_GFX90A:TG_SPLIT: 0
	.section	.text._ZN7rocprim17ROCPRIM_400000_NS6detail17trampoline_kernelINS0_14default_configENS1_25transform_config_selectorIyLb0EEEZNS1_14transform_implILb0ES3_S5_N6thrust23THRUST_200600_302600_NS6detail15normal_iteratorINS8_10device_ptrIyEEEEPyNS0_8identityIyEEEE10hipError_tT2_T3_mT4_P12ihipStream_tbEUlT_E_NS1_11comp_targetILNS1_3genE10ELNS1_11target_archE1200ELNS1_3gpuE4ELNS1_3repE0EEENS1_30default_config_static_selectorELNS0_4arch9wavefront6targetE1EEEvT1_,"axG",@progbits,_ZN7rocprim17ROCPRIM_400000_NS6detail17trampoline_kernelINS0_14default_configENS1_25transform_config_selectorIyLb0EEEZNS1_14transform_implILb0ES3_S5_N6thrust23THRUST_200600_302600_NS6detail15normal_iteratorINS8_10device_ptrIyEEEEPyNS0_8identityIyEEEE10hipError_tT2_T3_mT4_P12ihipStream_tbEUlT_E_NS1_11comp_targetILNS1_3genE10ELNS1_11target_archE1200ELNS1_3gpuE4ELNS1_3repE0EEENS1_30default_config_static_selectorELNS0_4arch9wavefront6targetE1EEEvT1_,comdat
	.protected	_ZN7rocprim17ROCPRIM_400000_NS6detail17trampoline_kernelINS0_14default_configENS1_25transform_config_selectorIyLb0EEEZNS1_14transform_implILb0ES3_S5_N6thrust23THRUST_200600_302600_NS6detail15normal_iteratorINS8_10device_ptrIyEEEEPyNS0_8identityIyEEEE10hipError_tT2_T3_mT4_P12ihipStream_tbEUlT_E_NS1_11comp_targetILNS1_3genE10ELNS1_11target_archE1200ELNS1_3gpuE4ELNS1_3repE0EEENS1_30default_config_static_selectorELNS0_4arch9wavefront6targetE1EEEvT1_ ; -- Begin function _ZN7rocprim17ROCPRIM_400000_NS6detail17trampoline_kernelINS0_14default_configENS1_25transform_config_selectorIyLb0EEEZNS1_14transform_implILb0ES3_S5_N6thrust23THRUST_200600_302600_NS6detail15normal_iteratorINS8_10device_ptrIyEEEEPyNS0_8identityIyEEEE10hipError_tT2_T3_mT4_P12ihipStream_tbEUlT_E_NS1_11comp_targetILNS1_3genE10ELNS1_11target_archE1200ELNS1_3gpuE4ELNS1_3repE0EEENS1_30default_config_static_selectorELNS0_4arch9wavefront6targetE1EEEvT1_
	.globl	_ZN7rocprim17ROCPRIM_400000_NS6detail17trampoline_kernelINS0_14default_configENS1_25transform_config_selectorIyLb0EEEZNS1_14transform_implILb0ES3_S5_N6thrust23THRUST_200600_302600_NS6detail15normal_iteratorINS8_10device_ptrIyEEEEPyNS0_8identityIyEEEE10hipError_tT2_T3_mT4_P12ihipStream_tbEUlT_E_NS1_11comp_targetILNS1_3genE10ELNS1_11target_archE1200ELNS1_3gpuE4ELNS1_3repE0EEENS1_30default_config_static_selectorELNS0_4arch9wavefront6targetE1EEEvT1_
	.p2align	8
	.type	_ZN7rocprim17ROCPRIM_400000_NS6detail17trampoline_kernelINS0_14default_configENS1_25transform_config_selectorIyLb0EEEZNS1_14transform_implILb0ES3_S5_N6thrust23THRUST_200600_302600_NS6detail15normal_iteratorINS8_10device_ptrIyEEEEPyNS0_8identityIyEEEE10hipError_tT2_T3_mT4_P12ihipStream_tbEUlT_E_NS1_11comp_targetILNS1_3genE10ELNS1_11target_archE1200ELNS1_3gpuE4ELNS1_3repE0EEENS1_30default_config_static_selectorELNS0_4arch9wavefront6targetE1EEEvT1_,@function
_ZN7rocprim17ROCPRIM_400000_NS6detail17trampoline_kernelINS0_14default_configENS1_25transform_config_selectorIyLb0EEEZNS1_14transform_implILb0ES3_S5_N6thrust23THRUST_200600_302600_NS6detail15normal_iteratorINS8_10device_ptrIyEEEEPyNS0_8identityIyEEEE10hipError_tT2_T3_mT4_P12ihipStream_tbEUlT_E_NS1_11comp_targetILNS1_3genE10ELNS1_11target_archE1200ELNS1_3gpuE4ELNS1_3repE0EEENS1_30default_config_static_selectorELNS0_4arch9wavefront6targetE1EEEvT1_: ; @_ZN7rocprim17ROCPRIM_400000_NS6detail17trampoline_kernelINS0_14default_configENS1_25transform_config_selectorIyLb0EEEZNS1_14transform_implILb0ES3_S5_N6thrust23THRUST_200600_302600_NS6detail15normal_iteratorINS8_10device_ptrIyEEEEPyNS0_8identityIyEEEE10hipError_tT2_T3_mT4_P12ihipStream_tbEUlT_E_NS1_11comp_targetILNS1_3genE10ELNS1_11target_archE1200ELNS1_3gpuE4ELNS1_3repE0EEENS1_30default_config_static_selectorELNS0_4arch9wavefront6targetE1EEEvT1_
; %bb.0:
	.section	.rodata,"a",@progbits
	.p2align	6, 0x0
	.amdhsa_kernel _ZN7rocprim17ROCPRIM_400000_NS6detail17trampoline_kernelINS0_14default_configENS1_25transform_config_selectorIyLb0EEEZNS1_14transform_implILb0ES3_S5_N6thrust23THRUST_200600_302600_NS6detail15normal_iteratorINS8_10device_ptrIyEEEEPyNS0_8identityIyEEEE10hipError_tT2_T3_mT4_P12ihipStream_tbEUlT_E_NS1_11comp_targetILNS1_3genE10ELNS1_11target_archE1200ELNS1_3gpuE4ELNS1_3repE0EEENS1_30default_config_static_selectorELNS0_4arch9wavefront6targetE1EEEvT1_
		.amdhsa_group_segment_fixed_size 0
		.amdhsa_private_segment_fixed_size 0
		.amdhsa_kernarg_size 40
		.amdhsa_user_sgpr_count 2
		.amdhsa_user_sgpr_dispatch_ptr 0
		.amdhsa_user_sgpr_queue_ptr 0
		.amdhsa_user_sgpr_kernarg_segment_ptr 1
		.amdhsa_user_sgpr_dispatch_id 0
		.amdhsa_user_sgpr_kernarg_preload_length 0
		.amdhsa_user_sgpr_kernarg_preload_offset 0
		.amdhsa_user_sgpr_private_segment_size 0
		.amdhsa_uses_dynamic_stack 0
		.amdhsa_enable_private_segment 0
		.amdhsa_system_sgpr_workgroup_id_x 1
		.amdhsa_system_sgpr_workgroup_id_y 0
		.amdhsa_system_sgpr_workgroup_id_z 0
		.amdhsa_system_sgpr_workgroup_info 0
		.amdhsa_system_vgpr_workitem_id 0
		.amdhsa_next_free_vgpr 1
		.amdhsa_next_free_sgpr 0
		.amdhsa_accum_offset 4
		.amdhsa_reserve_vcc 0
		.amdhsa_float_round_mode_32 0
		.amdhsa_float_round_mode_16_64 0
		.amdhsa_float_denorm_mode_32 3
		.amdhsa_float_denorm_mode_16_64 3
		.amdhsa_dx10_clamp 1
		.amdhsa_ieee_mode 1
		.amdhsa_fp16_overflow 0
		.amdhsa_tg_split 0
		.amdhsa_exception_fp_ieee_invalid_op 0
		.amdhsa_exception_fp_denorm_src 0
		.amdhsa_exception_fp_ieee_div_zero 0
		.amdhsa_exception_fp_ieee_overflow 0
		.amdhsa_exception_fp_ieee_underflow 0
		.amdhsa_exception_fp_ieee_inexact 0
		.amdhsa_exception_int_div_zero 0
	.end_amdhsa_kernel
	.section	.text._ZN7rocprim17ROCPRIM_400000_NS6detail17trampoline_kernelINS0_14default_configENS1_25transform_config_selectorIyLb0EEEZNS1_14transform_implILb0ES3_S5_N6thrust23THRUST_200600_302600_NS6detail15normal_iteratorINS8_10device_ptrIyEEEEPyNS0_8identityIyEEEE10hipError_tT2_T3_mT4_P12ihipStream_tbEUlT_E_NS1_11comp_targetILNS1_3genE10ELNS1_11target_archE1200ELNS1_3gpuE4ELNS1_3repE0EEENS1_30default_config_static_selectorELNS0_4arch9wavefront6targetE1EEEvT1_,"axG",@progbits,_ZN7rocprim17ROCPRIM_400000_NS6detail17trampoline_kernelINS0_14default_configENS1_25transform_config_selectorIyLb0EEEZNS1_14transform_implILb0ES3_S5_N6thrust23THRUST_200600_302600_NS6detail15normal_iteratorINS8_10device_ptrIyEEEEPyNS0_8identityIyEEEE10hipError_tT2_T3_mT4_P12ihipStream_tbEUlT_E_NS1_11comp_targetILNS1_3genE10ELNS1_11target_archE1200ELNS1_3gpuE4ELNS1_3repE0EEENS1_30default_config_static_selectorELNS0_4arch9wavefront6targetE1EEEvT1_,comdat
.Lfunc_end525:
	.size	_ZN7rocprim17ROCPRIM_400000_NS6detail17trampoline_kernelINS0_14default_configENS1_25transform_config_selectorIyLb0EEEZNS1_14transform_implILb0ES3_S5_N6thrust23THRUST_200600_302600_NS6detail15normal_iteratorINS8_10device_ptrIyEEEEPyNS0_8identityIyEEEE10hipError_tT2_T3_mT4_P12ihipStream_tbEUlT_E_NS1_11comp_targetILNS1_3genE10ELNS1_11target_archE1200ELNS1_3gpuE4ELNS1_3repE0EEENS1_30default_config_static_selectorELNS0_4arch9wavefront6targetE1EEEvT1_, .Lfunc_end525-_ZN7rocprim17ROCPRIM_400000_NS6detail17trampoline_kernelINS0_14default_configENS1_25transform_config_selectorIyLb0EEEZNS1_14transform_implILb0ES3_S5_N6thrust23THRUST_200600_302600_NS6detail15normal_iteratorINS8_10device_ptrIyEEEEPyNS0_8identityIyEEEE10hipError_tT2_T3_mT4_P12ihipStream_tbEUlT_E_NS1_11comp_targetILNS1_3genE10ELNS1_11target_archE1200ELNS1_3gpuE4ELNS1_3repE0EEENS1_30default_config_static_selectorELNS0_4arch9wavefront6targetE1EEEvT1_
                                        ; -- End function
	.set _ZN7rocprim17ROCPRIM_400000_NS6detail17trampoline_kernelINS0_14default_configENS1_25transform_config_selectorIyLb0EEEZNS1_14transform_implILb0ES3_S5_N6thrust23THRUST_200600_302600_NS6detail15normal_iteratorINS8_10device_ptrIyEEEEPyNS0_8identityIyEEEE10hipError_tT2_T3_mT4_P12ihipStream_tbEUlT_E_NS1_11comp_targetILNS1_3genE10ELNS1_11target_archE1200ELNS1_3gpuE4ELNS1_3repE0EEENS1_30default_config_static_selectorELNS0_4arch9wavefront6targetE1EEEvT1_.num_vgpr, 0
	.set _ZN7rocprim17ROCPRIM_400000_NS6detail17trampoline_kernelINS0_14default_configENS1_25transform_config_selectorIyLb0EEEZNS1_14transform_implILb0ES3_S5_N6thrust23THRUST_200600_302600_NS6detail15normal_iteratorINS8_10device_ptrIyEEEEPyNS0_8identityIyEEEE10hipError_tT2_T3_mT4_P12ihipStream_tbEUlT_E_NS1_11comp_targetILNS1_3genE10ELNS1_11target_archE1200ELNS1_3gpuE4ELNS1_3repE0EEENS1_30default_config_static_selectorELNS0_4arch9wavefront6targetE1EEEvT1_.num_agpr, 0
	.set _ZN7rocprim17ROCPRIM_400000_NS6detail17trampoline_kernelINS0_14default_configENS1_25transform_config_selectorIyLb0EEEZNS1_14transform_implILb0ES3_S5_N6thrust23THRUST_200600_302600_NS6detail15normal_iteratorINS8_10device_ptrIyEEEEPyNS0_8identityIyEEEE10hipError_tT2_T3_mT4_P12ihipStream_tbEUlT_E_NS1_11comp_targetILNS1_3genE10ELNS1_11target_archE1200ELNS1_3gpuE4ELNS1_3repE0EEENS1_30default_config_static_selectorELNS0_4arch9wavefront6targetE1EEEvT1_.numbered_sgpr, 0
	.set _ZN7rocprim17ROCPRIM_400000_NS6detail17trampoline_kernelINS0_14default_configENS1_25transform_config_selectorIyLb0EEEZNS1_14transform_implILb0ES3_S5_N6thrust23THRUST_200600_302600_NS6detail15normal_iteratorINS8_10device_ptrIyEEEEPyNS0_8identityIyEEEE10hipError_tT2_T3_mT4_P12ihipStream_tbEUlT_E_NS1_11comp_targetILNS1_3genE10ELNS1_11target_archE1200ELNS1_3gpuE4ELNS1_3repE0EEENS1_30default_config_static_selectorELNS0_4arch9wavefront6targetE1EEEvT1_.num_named_barrier, 0
	.set _ZN7rocprim17ROCPRIM_400000_NS6detail17trampoline_kernelINS0_14default_configENS1_25transform_config_selectorIyLb0EEEZNS1_14transform_implILb0ES3_S5_N6thrust23THRUST_200600_302600_NS6detail15normal_iteratorINS8_10device_ptrIyEEEEPyNS0_8identityIyEEEE10hipError_tT2_T3_mT4_P12ihipStream_tbEUlT_E_NS1_11comp_targetILNS1_3genE10ELNS1_11target_archE1200ELNS1_3gpuE4ELNS1_3repE0EEENS1_30default_config_static_selectorELNS0_4arch9wavefront6targetE1EEEvT1_.private_seg_size, 0
	.set _ZN7rocprim17ROCPRIM_400000_NS6detail17trampoline_kernelINS0_14default_configENS1_25transform_config_selectorIyLb0EEEZNS1_14transform_implILb0ES3_S5_N6thrust23THRUST_200600_302600_NS6detail15normal_iteratorINS8_10device_ptrIyEEEEPyNS0_8identityIyEEEE10hipError_tT2_T3_mT4_P12ihipStream_tbEUlT_E_NS1_11comp_targetILNS1_3genE10ELNS1_11target_archE1200ELNS1_3gpuE4ELNS1_3repE0EEENS1_30default_config_static_selectorELNS0_4arch9wavefront6targetE1EEEvT1_.uses_vcc, 0
	.set _ZN7rocprim17ROCPRIM_400000_NS6detail17trampoline_kernelINS0_14default_configENS1_25transform_config_selectorIyLb0EEEZNS1_14transform_implILb0ES3_S5_N6thrust23THRUST_200600_302600_NS6detail15normal_iteratorINS8_10device_ptrIyEEEEPyNS0_8identityIyEEEE10hipError_tT2_T3_mT4_P12ihipStream_tbEUlT_E_NS1_11comp_targetILNS1_3genE10ELNS1_11target_archE1200ELNS1_3gpuE4ELNS1_3repE0EEENS1_30default_config_static_selectorELNS0_4arch9wavefront6targetE1EEEvT1_.uses_flat_scratch, 0
	.set _ZN7rocprim17ROCPRIM_400000_NS6detail17trampoline_kernelINS0_14default_configENS1_25transform_config_selectorIyLb0EEEZNS1_14transform_implILb0ES3_S5_N6thrust23THRUST_200600_302600_NS6detail15normal_iteratorINS8_10device_ptrIyEEEEPyNS0_8identityIyEEEE10hipError_tT2_T3_mT4_P12ihipStream_tbEUlT_E_NS1_11comp_targetILNS1_3genE10ELNS1_11target_archE1200ELNS1_3gpuE4ELNS1_3repE0EEENS1_30default_config_static_selectorELNS0_4arch9wavefront6targetE1EEEvT1_.has_dyn_sized_stack, 0
	.set _ZN7rocprim17ROCPRIM_400000_NS6detail17trampoline_kernelINS0_14default_configENS1_25transform_config_selectorIyLb0EEEZNS1_14transform_implILb0ES3_S5_N6thrust23THRUST_200600_302600_NS6detail15normal_iteratorINS8_10device_ptrIyEEEEPyNS0_8identityIyEEEE10hipError_tT2_T3_mT4_P12ihipStream_tbEUlT_E_NS1_11comp_targetILNS1_3genE10ELNS1_11target_archE1200ELNS1_3gpuE4ELNS1_3repE0EEENS1_30default_config_static_selectorELNS0_4arch9wavefront6targetE1EEEvT1_.has_recursion, 0
	.set _ZN7rocprim17ROCPRIM_400000_NS6detail17trampoline_kernelINS0_14default_configENS1_25transform_config_selectorIyLb0EEEZNS1_14transform_implILb0ES3_S5_N6thrust23THRUST_200600_302600_NS6detail15normal_iteratorINS8_10device_ptrIyEEEEPyNS0_8identityIyEEEE10hipError_tT2_T3_mT4_P12ihipStream_tbEUlT_E_NS1_11comp_targetILNS1_3genE10ELNS1_11target_archE1200ELNS1_3gpuE4ELNS1_3repE0EEENS1_30default_config_static_selectorELNS0_4arch9wavefront6targetE1EEEvT1_.has_indirect_call, 0
	.section	.AMDGPU.csdata,"",@progbits
; Kernel info:
; codeLenInByte = 0
; TotalNumSgprs: 6
; NumVgprs: 0
; NumAgprs: 0
; TotalNumVgprs: 0
; ScratchSize: 0
; MemoryBound: 0
; FloatMode: 240
; IeeeMode: 1
; LDSByteSize: 0 bytes/workgroup (compile time only)
; SGPRBlocks: 0
; VGPRBlocks: 0
; NumSGPRsForWavesPerEU: 6
; NumVGPRsForWavesPerEU: 1
; AccumOffset: 4
; Occupancy: 8
; WaveLimiterHint : 0
; COMPUTE_PGM_RSRC2:SCRATCH_EN: 0
; COMPUTE_PGM_RSRC2:USER_SGPR: 2
; COMPUTE_PGM_RSRC2:TRAP_HANDLER: 0
; COMPUTE_PGM_RSRC2:TGID_X_EN: 1
; COMPUTE_PGM_RSRC2:TGID_Y_EN: 0
; COMPUTE_PGM_RSRC2:TGID_Z_EN: 0
; COMPUTE_PGM_RSRC2:TIDIG_COMP_CNT: 0
; COMPUTE_PGM_RSRC3_GFX90A:ACCUM_OFFSET: 0
; COMPUTE_PGM_RSRC3_GFX90A:TG_SPLIT: 0
	.section	.text._ZN7rocprim17ROCPRIM_400000_NS6detail17trampoline_kernelINS0_14default_configENS1_25transform_config_selectorIyLb0EEEZNS1_14transform_implILb0ES3_S5_N6thrust23THRUST_200600_302600_NS6detail15normal_iteratorINS8_10device_ptrIyEEEEPyNS0_8identityIyEEEE10hipError_tT2_T3_mT4_P12ihipStream_tbEUlT_E_NS1_11comp_targetILNS1_3genE9ELNS1_11target_archE1100ELNS1_3gpuE3ELNS1_3repE0EEENS1_30default_config_static_selectorELNS0_4arch9wavefront6targetE1EEEvT1_,"axG",@progbits,_ZN7rocprim17ROCPRIM_400000_NS6detail17trampoline_kernelINS0_14default_configENS1_25transform_config_selectorIyLb0EEEZNS1_14transform_implILb0ES3_S5_N6thrust23THRUST_200600_302600_NS6detail15normal_iteratorINS8_10device_ptrIyEEEEPyNS0_8identityIyEEEE10hipError_tT2_T3_mT4_P12ihipStream_tbEUlT_E_NS1_11comp_targetILNS1_3genE9ELNS1_11target_archE1100ELNS1_3gpuE3ELNS1_3repE0EEENS1_30default_config_static_selectorELNS0_4arch9wavefront6targetE1EEEvT1_,comdat
	.protected	_ZN7rocprim17ROCPRIM_400000_NS6detail17trampoline_kernelINS0_14default_configENS1_25transform_config_selectorIyLb0EEEZNS1_14transform_implILb0ES3_S5_N6thrust23THRUST_200600_302600_NS6detail15normal_iteratorINS8_10device_ptrIyEEEEPyNS0_8identityIyEEEE10hipError_tT2_T3_mT4_P12ihipStream_tbEUlT_E_NS1_11comp_targetILNS1_3genE9ELNS1_11target_archE1100ELNS1_3gpuE3ELNS1_3repE0EEENS1_30default_config_static_selectorELNS0_4arch9wavefront6targetE1EEEvT1_ ; -- Begin function _ZN7rocprim17ROCPRIM_400000_NS6detail17trampoline_kernelINS0_14default_configENS1_25transform_config_selectorIyLb0EEEZNS1_14transform_implILb0ES3_S5_N6thrust23THRUST_200600_302600_NS6detail15normal_iteratorINS8_10device_ptrIyEEEEPyNS0_8identityIyEEEE10hipError_tT2_T3_mT4_P12ihipStream_tbEUlT_E_NS1_11comp_targetILNS1_3genE9ELNS1_11target_archE1100ELNS1_3gpuE3ELNS1_3repE0EEENS1_30default_config_static_selectorELNS0_4arch9wavefront6targetE1EEEvT1_
	.globl	_ZN7rocprim17ROCPRIM_400000_NS6detail17trampoline_kernelINS0_14default_configENS1_25transform_config_selectorIyLb0EEEZNS1_14transform_implILb0ES3_S5_N6thrust23THRUST_200600_302600_NS6detail15normal_iteratorINS8_10device_ptrIyEEEEPyNS0_8identityIyEEEE10hipError_tT2_T3_mT4_P12ihipStream_tbEUlT_E_NS1_11comp_targetILNS1_3genE9ELNS1_11target_archE1100ELNS1_3gpuE3ELNS1_3repE0EEENS1_30default_config_static_selectorELNS0_4arch9wavefront6targetE1EEEvT1_
	.p2align	8
	.type	_ZN7rocprim17ROCPRIM_400000_NS6detail17trampoline_kernelINS0_14default_configENS1_25transform_config_selectorIyLb0EEEZNS1_14transform_implILb0ES3_S5_N6thrust23THRUST_200600_302600_NS6detail15normal_iteratorINS8_10device_ptrIyEEEEPyNS0_8identityIyEEEE10hipError_tT2_T3_mT4_P12ihipStream_tbEUlT_E_NS1_11comp_targetILNS1_3genE9ELNS1_11target_archE1100ELNS1_3gpuE3ELNS1_3repE0EEENS1_30default_config_static_selectorELNS0_4arch9wavefront6targetE1EEEvT1_,@function
_ZN7rocprim17ROCPRIM_400000_NS6detail17trampoline_kernelINS0_14default_configENS1_25transform_config_selectorIyLb0EEEZNS1_14transform_implILb0ES3_S5_N6thrust23THRUST_200600_302600_NS6detail15normal_iteratorINS8_10device_ptrIyEEEEPyNS0_8identityIyEEEE10hipError_tT2_T3_mT4_P12ihipStream_tbEUlT_E_NS1_11comp_targetILNS1_3genE9ELNS1_11target_archE1100ELNS1_3gpuE3ELNS1_3repE0EEENS1_30default_config_static_selectorELNS0_4arch9wavefront6targetE1EEEvT1_: ; @_ZN7rocprim17ROCPRIM_400000_NS6detail17trampoline_kernelINS0_14default_configENS1_25transform_config_selectorIyLb0EEEZNS1_14transform_implILb0ES3_S5_N6thrust23THRUST_200600_302600_NS6detail15normal_iteratorINS8_10device_ptrIyEEEEPyNS0_8identityIyEEEE10hipError_tT2_T3_mT4_P12ihipStream_tbEUlT_E_NS1_11comp_targetILNS1_3genE9ELNS1_11target_archE1100ELNS1_3gpuE3ELNS1_3repE0EEENS1_30default_config_static_selectorELNS0_4arch9wavefront6targetE1EEEvT1_
; %bb.0:
	.section	.rodata,"a",@progbits
	.p2align	6, 0x0
	.amdhsa_kernel _ZN7rocprim17ROCPRIM_400000_NS6detail17trampoline_kernelINS0_14default_configENS1_25transform_config_selectorIyLb0EEEZNS1_14transform_implILb0ES3_S5_N6thrust23THRUST_200600_302600_NS6detail15normal_iteratorINS8_10device_ptrIyEEEEPyNS0_8identityIyEEEE10hipError_tT2_T3_mT4_P12ihipStream_tbEUlT_E_NS1_11comp_targetILNS1_3genE9ELNS1_11target_archE1100ELNS1_3gpuE3ELNS1_3repE0EEENS1_30default_config_static_selectorELNS0_4arch9wavefront6targetE1EEEvT1_
		.amdhsa_group_segment_fixed_size 0
		.amdhsa_private_segment_fixed_size 0
		.amdhsa_kernarg_size 40
		.amdhsa_user_sgpr_count 2
		.amdhsa_user_sgpr_dispatch_ptr 0
		.amdhsa_user_sgpr_queue_ptr 0
		.amdhsa_user_sgpr_kernarg_segment_ptr 1
		.amdhsa_user_sgpr_dispatch_id 0
		.amdhsa_user_sgpr_kernarg_preload_length 0
		.amdhsa_user_sgpr_kernarg_preload_offset 0
		.amdhsa_user_sgpr_private_segment_size 0
		.amdhsa_uses_dynamic_stack 0
		.amdhsa_enable_private_segment 0
		.amdhsa_system_sgpr_workgroup_id_x 1
		.amdhsa_system_sgpr_workgroup_id_y 0
		.amdhsa_system_sgpr_workgroup_id_z 0
		.amdhsa_system_sgpr_workgroup_info 0
		.amdhsa_system_vgpr_workitem_id 0
		.amdhsa_next_free_vgpr 1
		.amdhsa_next_free_sgpr 0
		.amdhsa_accum_offset 4
		.amdhsa_reserve_vcc 0
		.amdhsa_float_round_mode_32 0
		.amdhsa_float_round_mode_16_64 0
		.amdhsa_float_denorm_mode_32 3
		.amdhsa_float_denorm_mode_16_64 3
		.amdhsa_dx10_clamp 1
		.amdhsa_ieee_mode 1
		.amdhsa_fp16_overflow 0
		.amdhsa_tg_split 0
		.amdhsa_exception_fp_ieee_invalid_op 0
		.amdhsa_exception_fp_denorm_src 0
		.amdhsa_exception_fp_ieee_div_zero 0
		.amdhsa_exception_fp_ieee_overflow 0
		.amdhsa_exception_fp_ieee_underflow 0
		.amdhsa_exception_fp_ieee_inexact 0
		.amdhsa_exception_int_div_zero 0
	.end_amdhsa_kernel
	.section	.text._ZN7rocprim17ROCPRIM_400000_NS6detail17trampoline_kernelINS0_14default_configENS1_25transform_config_selectorIyLb0EEEZNS1_14transform_implILb0ES3_S5_N6thrust23THRUST_200600_302600_NS6detail15normal_iteratorINS8_10device_ptrIyEEEEPyNS0_8identityIyEEEE10hipError_tT2_T3_mT4_P12ihipStream_tbEUlT_E_NS1_11comp_targetILNS1_3genE9ELNS1_11target_archE1100ELNS1_3gpuE3ELNS1_3repE0EEENS1_30default_config_static_selectorELNS0_4arch9wavefront6targetE1EEEvT1_,"axG",@progbits,_ZN7rocprim17ROCPRIM_400000_NS6detail17trampoline_kernelINS0_14default_configENS1_25transform_config_selectorIyLb0EEEZNS1_14transform_implILb0ES3_S5_N6thrust23THRUST_200600_302600_NS6detail15normal_iteratorINS8_10device_ptrIyEEEEPyNS0_8identityIyEEEE10hipError_tT2_T3_mT4_P12ihipStream_tbEUlT_E_NS1_11comp_targetILNS1_3genE9ELNS1_11target_archE1100ELNS1_3gpuE3ELNS1_3repE0EEENS1_30default_config_static_selectorELNS0_4arch9wavefront6targetE1EEEvT1_,comdat
.Lfunc_end526:
	.size	_ZN7rocprim17ROCPRIM_400000_NS6detail17trampoline_kernelINS0_14default_configENS1_25transform_config_selectorIyLb0EEEZNS1_14transform_implILb0ES3_S5_N6thrust23THRUST_200600_302600_NS6detail15normal_iteratorINS8_10device_ptrIyEEEEPyNS0_8identityIyEEEE10hipError_tT2_T3_mT4_P12ihipStream_tbEUlT_E_NS1_11comp_targetILNS1_3genE9ELNS1_11target_archE1100ELNS1_3gpuE3ELNS1_3repE0EEENS1_30default_config_static_selectorELNS0_4arch9wavefront6targetE1EEEvT1_, .Lfunc_end526-_ZN7rocprim17ROCPRIM_400000_NS6detail17trampoline_kernelINS0_14default_configENS1_25transform_config_selectorIyLb0EEEZNS1_14transform_implILb0ES3_S5_N6thrust23THRUST_200600_302600_NS6detail15normal_iteratorINS8_10device_ptrIyEEEEPyNS0_8identityIyEEEE10hipError_tT2_T3_mT4_P12ihipStream_tbEUlT_E_NS1_11comp_targetILNS1_3genE9ELNS1_11target_archE1100ELNS1_3gpuE3ELNS1_3repE0EEENS1_30default_config_static_selectorELNS0_4arch9wavefront6targetE1EEEvT1_
                                        ; -- End function
	.set _ZN7rocprim17ROCPRIM_400000_NS6detail17trampoline_kernelINS0_14default_configENS1_25transform_config_selectorIyLb0EEEZNS1_14transform_implILb0ES3_S5_N6thrust23THRUST_200600_302600_NS6detail15normal_iteratorINS8_10device_ptrIyEEEEPyNS0_8identityIyEEEE10hipError_tT2_T3_mT4_P12ihipStream_tbEUlT_E_NS1_11comp_targetILNS1_3genE9ELNS1_11target_archE1100ELNS1_3gpuE3ELNS1_3repE0EEENS1_30default_config_static_selectorELNS0_4arch9wavefront6targetE1EEEvT1_.num_vgpr, 0
	.set _ZN7rocprim17ROCPRIM_400000_NS6detail17trampoline_kernelINS0_14default_configENS1_25transform_config_selectorIyLb0EEEZNS1_14transform_implILb0ES3_S5_N6thrust23THRUST_200600_302600_NS6detail15normal_iteratorINS8_10device_ptrIyEEEEPyNS0_8identityIyEEEE10hipError_tT2_T3_mT4_P12ihipStream_tbEUlT_E_NS1_11comp_targetILNS1_3genE9ELNS1_11target_archE1100ELNS1_3gpuE3ELNS1_3repE0EEENS1_30default_config_static_selectorELNS0_4arch9wavefront6targetE1EEEvT1_.num_agpr, 0
	.set _ZN7rocprim17ROCPRIM_400000_NS6detail17trampoline_kernelINS0_14default_configENS1_25transform_config_selectorIyLb0EEEZNS1_14transform_implILb0ES3_S5_N6thrust23THRUST_200600_302600_NS6detail15normal_iteratorINS8_10device_ptrIyEEEEPyNS0_8identityIyEEEE10hipError_tT2_T3_mT4_P12ihipStream_tbEUlT_E_NS1_11comp_targetILNS1_3genE9ELNS1_11target_archE1100ELNS1_3gpuE3ELNS1_3repE0EEENS1_30default_config_static_selectorELNS0_4arch9wavefront6targetE1EEEvT1_.numbered_sgpr, 0
	.set _ZN7rocprim17ROCPRIM_400000_NS6detail17trampoline_kernelINS0_14default_configENS1_25transform_config_selectorIyLb0EEEZNS1_14transform_implILb0ES3_S5_N6thrust23THRUST_200600_302600_NS6detail15normal_iteratorINS8_10device_ptrIyEEEEPyNS0_8identityIyEEEE10hipError_tT2_T3_mT4_P12ihipStream_tbEUlT_E_NS1_11comp_targetILNS1_3genE9ELNS1_11target_archE1100ELNS1_3gpuE3ELNS1_3repE0EEENS1_30default_config_static_selectorELNS0_4arch9wavefront6targetE1EEEvT1_.num_named_barrier, 0
	.set _ZN7rocprim17ROCPRIM_400000_NS6detail17trampoline_kernelINS0_14default_configENS1_25transform_config_selectorIyLb0EEEZNS1_14transform_implILb0ES3_S5_N6thrust23THRUST_200600_302600_NS6detail15normal_iteratorINS8_10device_ptrIyEEEEPyNS0_8identityIyEEEE10hipError_tT2_T3_mT4_P12ihipStream_tbEUlT_E_NS1_11comp_targetILNS1_3genE9ELNS1_11target_archE1100ELNS1_3gpuE3ELNS1_3repE0EEENS1_30default_config_static_selectorELNS0_4arch9wavefront6targetE1EEEvT1_.private_seg_size, 0
	.set _ZN7rocprim17ROCPRIM_400000_NS6detail17trampoline_kernelINS0_14default_configENS1_25transform_config_selectorIyLb0EEEZNS1_14transform_implILb0ES3_S5_N6thrust23THRUST_200600_302600_NS6detail15normal_iteratorINS8_10device_ptrIyEEEEPyNS0_8identityIyEEEE10hipError_tT2_T3_mT4_P12ihipStream_tbEUlT_E_NS1_11comp_targetILNS1_3genE9ELNS1_11target_archE1100ELNS1_3gpuE3ELNS1_3repE0EEENS1_30default_config_static_selectorELNS0_4arch9wavefront6targetE1EEEvT1_.uses_vcc, 0
	.set _ZN7rocprim17ROCPRIM_400000_NS6detail17trampoline_kernelINS0_14default_configENS1_25transform_config_selectorIyLb0EEEZNS1_14transform_implILb0ES3_S5_N6thrust23THRUST_200600_302600_NS6detail15normal_iteratorINS8_10device_ptrIyEEEEPyNS0_8identityIyEEEE10hipError_tT2_T3_mT4_P12ihipStream_tbEUlT_E_NS1_11comp_targetILNS1_3genE9ELNS1_11target_archE1100ELNS1_3gpuE3ELNS1_3repE0EEENS1_30default_config_static_selectorELNS0_4arch9wavefront6targetE1EEEvT1_.uses_flat_scratch, 0
	.set _ZN7rocprim17ROCPRIM_400000_NS6detail17trampoline_kernelINS0_14default_configENS1_25transform_config_selectorIyLb0EEEZNS1_14transform_implILb0ES3_S5_N6thrust23THRUST_200600_302600_NS6detail15normal_iteratorINS8_10device_ptrIyEEEEPyNS0_8identityIyEEEE10hipError_tT2_T3_mT4_P12ihipStream_tbEUlT_E_NS1_11comp_targetILNS1_3genE9ELNS1_11target_archE1100ELNS1_3gpuE3ELNS1_3repE0EEENS1_30default_config_static_selectorELNS0_4arch9wavefront6targetE1EEEvT1_.has_dyn_sized_stack, 0
	.set _ZN7rocprim17ROCPRIM_400000_NS6detail17trampoline_kernelINS0_14default_configENS1_25transform_config_selectorIyLb0EEEZNS1_14transform_implILb0ES3_S5_N6thrust23THRUST_200600_302600_NS6detail15normal_iteratorINS8_10device_ptrIyEEEEPyNS0_8identityIyEEEE10hipError_tT2_T3_mT4_P12ihipStream_tbEUlT_E_NS1_11comp_targetILNS1_3genE9ELNS1_11target_archE1100ELNS1_3gpuE3ELNS1_3repE0EEENS1_30default_config_static_selectorELNS0_4arch9wavefront6targetE1EEEvT1_.has_recursion, 0
	.set _ZN7rocprim17ROCPRIM_400000_NS6detail17trampoline_kernelINS0_14default_configENS1_25transform_config_selectorIyLb0EEEZNS1_14transform_implILb0ES3_S5_N6thrust23THRUST_200600_302600_NS6detail15normal_iteratorINS8_10device_ptrIyEEEEPyNS0_8identityIyEEEE10hipError_tT2_T3_mT4_P12ihipStream_tbEUlT_E_NS1_11comp_targetILNS1_3genE9ELNS1_11target_archE1100ELNS1_3gpuE3ELNS1_3repE0EEENS1_30default_config_static_selectorELNS0_4arch9wavefront6targetE1EEEvT1_.has_indirect_call, 0
	.section	.AMDGPU.csdata,"",@progbits
; Kernel info:
; codeLenInByte = 0
; TotalNumSgprs: 6
; NumVgprs: 0
; NumAgprs: 0
; TotalNumVgprs: 0
; ScratchSize: 0
; MemoryBound: 0
; FloatMode: 240
; IeeeMode: 1
; LDSByteSize: 0 bytes/workgroup (compile time only)
; SGPRBlocks: 0
; VGPRBlocks: 0
; NumSGPRsForWavesPerEU: 6
; NumVGPRsForWavesPerEU: 1
; AccumOffset: 4
; Occupancy: 8
; WaveLimiterHint : 0
; COMPUTE_PGM_RSRC2:SCRATCH_EN: 0
; COMPUTE_PGM_RSRC2:USER_SGPR: 2
; COMPUTE_PGM_RSRC2:TRAP_HANDLER: 0
; COMPUTE_PGM_RSRC2:TGID_X_EN: 1
; COMPUTE_PGM_RSRC2:TGID_Y_EN: 0
; COMPUTE_PGM_RSRC2:TGID_Z_EN: 0
; COMPUTE_PGM_RSRC2:TIDIG_COMP_CNT: 0
; COMPUTE_PGM_RSRC3_GFX90A:ACCUM_OFFSET: 0
; COMPUTE_PGM_RSRC3_GFX90A:TG_SPLIT: 0
	.section	.text._ZN7rocprim17ROCPRIM_400000_NS6detail17trampoline_kernelINS0_14default_configENS1_25transform_config_selectorIyLb0EEEZNS1_14transform_implILb0ES3_S5_N6thrust23THRUST_200600_302600_NS6detail15normal_iteratorINS8_10device_ptrIyEEEEPyNS0_8identityIyEEEE10hipError_tT2_T3_mT4_P12ihipStream_tbEUlT_E_NS1_11comp_targetILNS1_3genE8ELNS1_11target_archE1030ELNS1_3gpuE2ELNS1_3repE0EEENS1_30default_config_static_selectorELNS0_4arch9wavefront6targetE1EEEvT1_,"axG",@progbits,_ZN7rocprim17ROCPRIM_400000_NS6detail17trampoline_kernelINS0_14default_configENS1_25transform_config_selectorIyLb0EEEZNS1_14transform_implILb0ES3_S5_N6thrust23THRUST_200600_302600_NS6detail15normal_iteratorINS8_10device_ptrIyEEEEPyNS0_8identityIyEEEE10hipError_tT2_T3_mT4_P12ihipStream_tbEUlT_E_NS1_11comp_targetILNS1_3genE8ELNS1_11target_archE1030ELNS1_3gpuE2ELNS1_3repE0EEENS1_30default_config_static_selectorELNS0_4arch9wavefront6targetE1EEEvT1_,comdat
	.protected	_ZN7rocprim17ROCPRIM_400000_NS6detail17trampoline_kernelINS0_14default_configENS1_25transform_config_selectorIyLb0EEEZNS1_14transform_implILb0ES3_S5_N6thrust23THRUST_200600_302600_NS6detail15normal_iteratorINS8_10device_ptrIyEEEEPyNS0_8identityIyEEEE10hipError_tT2_T3_mT4_P12ihipStream_tbEUlT_E_NS1_11comp_targetILNS1_3genE8ELNS1_11target_archE1030ELNS1_3gpuE2ELNS1_3repE0EEENS1_30default_config_static_selectorELNS0_4arch9wavefront6targetE1EEEvT1_ ; -- Begin function _ZN7rocprim17ROCPRIM_400000_NS6detail17trampoline_kernelINS0_14default_configENS1_25transform_config_selectorIyLb0EEEZNS1_14transform_implILb0ES3_S5_N6thrust23THRUST_200600_302600_NS6detail15normal_iteratorINS8_10device_ptrIyEEEEPyNS0_8identityIyEEEE10hipError_tT2_T3_mT4_P12ihipStream_tbEUlT_E_NS1_11comp_targetILNS1_3genE8ELNS1_11target_archE1030ELNS1_3gpuE2ELNS1_3repE0EEENS1_30default_config_static_selectorELNS0_4arch9wavefront6targetE1EEEvT1_
	.globl	_ZN7rocprim17ROCPRIM_400000_NS6detail17trampoline_kernelINS0_14default_configENS1_25transform_config_selectorIyLb0EEEZNS1_14transform_implILb0ES3_S5_N6thrust23THRUST_200600_302600_NS6detail15normal_iteratorINS8_10device_ptrIyEEEEPyNS0_8identityIyEEEE10hipError_tT2_T3_mT4_P12ihipStream_tbEUlT_E_NS1_11comp_targetILNS1_3genE8ELNS1_11target_archE1030ELNS1_3gpuE2ELNS1_3repE0EEENS1_30default_config_static_selectorELNS0_4arch9wavefront6targetE1EEEvT1_
	.p2align	8
	.type	_ZN7rocprim17ROCPRIM_400000_NS6detail17trampoline_kernelINS0_14default_configENS1_25transform_config_selectorIyLb0EEEZNS1_14transform_implILb0ES3_S5_N6thrust23THRUST_200600_302600_NS6detail15normal_iteratorINS8_10device_ptrIyEEEEPyNS0_8identityIyEEEE10hipError_tT2_T3_mT4_P12ihipStream_tbEUlT_E_NS1_11comp_targetILNS1_3genE8ELNS1_11target_archE1030ELNS1_3gpuE2ELNS1_3repE0EEENS1_30default_config_static_selectorELNS0_4arch9wavefront6targetE1EEEvT1_,@function
_ZN7rocprim17ROCPRIM_400000_NS6detail17trampoline_kernelINS0_14default_configENS1_25transform_config_selectorIyLb0EEEZNS1_14transform_implILb0ES3_S5_N6thrust23THRUST_200600_302600_NS6detail15normal_iteratorINS8_10device_ptrIyEEEEPyNS0_8identityIyEEEE10hipError_tT2_T3_mT4_P12ihipStream_tbEUlT_E_NS1_11comp_targetILNS1_3genE8ELNS1_11target_archE1030ELNS1_3gpuE2ELNS1_3repE0EEENS1_30default_config_static_selectorELNS0_4arch9wavefront6targetE1EEEvT1_: ; @_ZN7rocprim17ROCPRIM_400000_NS6detail17trampoline_kernelINS0_14default_configENS1_25transform_config_selectorIyLb0EEEZNS1_14transform_implILb0ES3_S5_N6thrust23THRUST_200600_302600_NS6detail15normal_iteratorINS8_10device_ptrIyEEEEPyNS0_8identityIyEEEE10hipError_tT2_T3_mT4_P12ihipStream_tbEUlT_E_NS1_11comp_targetILNS1_3genE8ELNS1_11target_archE1030ELNS1_3gpuE2ELNS1_3repE0EEENS1_30default_config_static_selectorELNS0_4arch9wavefront6targetE1EEEvT1_
; %bb.0:
	.section	.rodata,"a",@progbits
	.p2align	6, 0x0
	.amdhsa_kernel _ZN7rocprim17ROCPRIM_400000_NS6detail17trampoline_kernelINS0_14default_configENS1_25transform_config_selectorIyLb0EEEZNS1_14transform_implILb0ES3_S5_N6thrust23THRUST_200600_302600_NS6detail15normal_iteratorINS8_10device_ptrIyEEEEPyNS0_8identityIyEEEE10hipError_tT2_T3_mT4_P12ihipStream_tbEUlT_E_NS1_11comp_targetILNS1_3genE8ELNS1_11target_archE1030ELNS1_3gpuE2ELNS1_3repE0EEENS1_30default_config_static_selectorELNS0_4arch9wavefront6targetE1EEEvT1_
		.amdhsa_group_segment_fixed_size 0
		.amdhsa_private_segment_fixed_size 0
		.amdhsa_kernarg_size 40
		.amdhsa_user_sgpr_count 2
		.amdhsa_user_sgpr_dispatch_ptr 0
		.amdhsa_user_sgpr_queue_ptr 0
		.amdhsa_user_sgpr_kernarg_segment_ptr 1
		.amdhsa_user_sgpr_dispatch_id 0
		.amdhsa_user_sgpr_kernarg_preload_length 0
		.amdhsa_user_sgpr_kernarg_preload_offset 0
		.amdhsa_user_sgpr_private_segment_size 0
		.amdhsa_uses_dynamic_stack 0
		.amdhsa_enable_private_segment 0
		.amdhsa_system_sgpr_workgroup_id_x 1
		.amdhsa_system_sgpr_workgroup_id_y 0
		.amdhsa_system_sgpr_workgroup_id_z 0
		.amdhsa_system_sgpr_workgroup_info 0
		.amdhsa_system_vgpr_workitem_id 0
		.amdhsa_next_free_vgpr 1
		.amdhsa_next_free_sgpr 0
		.amdhsa_accum_offset 4
		.amdhsa_reserve_vcc 0
		.amdhsa_float_round_mode_32 0
		.amdhsa_float_round_mode_16_64 0
		.amdhsa_float_denorm_mode_32 3
		.amdhsa_float_denorm_mode_16_64 3
		.amdhsa_dx10_clamp 1
		.amdhsa_ieee_mode 1
		.amdhsa_fp16_overflow 0
		.amdhsa_tg_split 0
		.amdhsa_exception_fp_ieee_invalid_op 0
		.amdhsa_exception_fp_denorm_src 0
		.amdhsa_exception_fp_ieee_div_zero 0
		.amdhsa_exception_fp_ieee_overflow 0
		.amdhsa_exception_fp_ieee_underflow 0
		.amdhsa_exception_fp_ieee_inexact 0
		.amdhsa_exception_int_div_zero 0
	.end_amdhsa_kernel
	.section	.text._ZN7rocprim17ROCPRIM_400000_NS6detail17trampoline_kernelINS0_14default_configENS1_25transform_config_selectorIyLb0EEEZNS1_14transform_implILb0ES3_S5_N6thrust23THRUST_200600_302600_NS6detail15normal_iteratorINS8_10device_ptrIyEEEEPyNS0_8identityIyEEEE10hipError_tT2_T3_mT4_P12ihipStream_tbEUlT_E_NS1_11comp_targetILNS1_3genE8ELNS1_11target_archE1030ELNS1_3gpuE2ELNS1_3repE0EEENS1_30default_config_static_selectorELNS0_4arch9wavefront6targetE1EEEvT1_,"axG",@progbits,_ZN7rocprim17ROCPRIM_400000_NS6detail17trampoline_kernelINS0_14default_configENS1_25transform_config_selectorIyLb0EEEZNS1_14transform_implILb0ES3_S5_N6thrust23THRUST_200600_302600_NS6detail15normal_iteratorINS8_10device_ptrIyEEEEPyNS0_8identityIyEEEE10hipError_tT2_T3_mT4_P12ihipStream_tbEUlT_E_NS1_11comp_targetILNS1_3genE8ELNS1_11target_archE1030ELNS1_3gpuE2ELNS1_3repE0EEENS1_30default_config_static_selectorELNS0_4arch9wavefront6targetE1EEEvT1_,comdat
.Lfunc_end527:
	.size	_ZN7rocprim17ROCPRIM_400000_NS6detail17trampoline_kernelINS0_14default_configENS1_25transform_config_selectorIyLb0EEEZNS1_14transform_implILb0ES3_S5_N6thrust23THRUST_200600_302600_NS6detail15normal_iteratorINS8_10device_ptrIyEEEEPyNS0_8identityIyEEEE10hipError_tT2_T3_mT4_P12ihipStream_tbEUlT_E_NS1_11comp_targetILNS1_3genE8ELNS1_11target_archE1030ELNS1_3gpuE2ELNS1_3repE0EEENS1_30default_config_static_selectorELNS0_4arch9wavefront6targetE1EEEvT1_, .Lfunc_end527-_ZN7rocprim17ROCPRIM_400000_NS6detail17trampoline_kernelINS0_14default_configENS1_25transform_config_selectorIyLb0EEEZNS1_14transform_implILb0ES3_S5_N6thrust23THRUST_200600_302600_NS6detail15normal_iteratorINS8_10device_ptrIyEEEEPyNS0_8identityIyEEEE10hipError_tT2_T3_mT4_P12ihipStream_tbEUlT_E_NS1_11comp_targetILNS1_3genE8ELNS1_11target_archE1030ELNS1_3gpuE2ELNS1_3repE0EEENS1_30default_config_static_selectorELNS0_4arch9wavefront6targetE1EEEvT1_
                                        ; -- End function
	.set _ZN7rocprim17ROCPRIM_400000_NS6detail17trampoline_kernelINS0_14default_configENS1_25transform_config_selectorIyLb0EEEZNS1_14transform_implILb0ES3_S5_N6thrust23THRUST_200600_302600_NS6detail15normal_iteratorINS8_10device_ptrIyEEEEPyNS0_8identityIyEEEE10hipError_tT2_T3_mT4_P12ihipStream_tbEUlT_E_NS1_11comp_targetILNS1_3genE8ELNS1_11target_archE1030ELNS1_3gpuE2ELNS1_3repE0EEENS1_30default_config_static_selectorELNS0_4arch9wavefront6targetE1EEEvT1_.num_vgpr, 0
	.set _ZN7rocprim17ROCPRIM_400000_NS6detail17trampoline_kernelINS0_14default_configENS1_25transform_config_selectorIyLb0EEEZNS1_14transform_implILb0ES3_S5_N6thrust23THRUST_200600_302600_NS6detail15normal_iteratorINS8_10device_ptrIyEEEEPyNS0_8identityIyEEEE10hipError_tT2_T3_mT4_P12ihipStream_tbEUlT_E_NS1_11comp_targetILNS1_3genE8ELNS1_11target_archE1030ELNS1_3gpuE2ELNS1_3repE0EEENS1_30default_config_static_selectorELNS0_4arch9wavefront6targetE1EEEvT1_.num_agpr, 0
	.set _ZN7rocprim17ROCPRIM_400000_NS6detail17trampoline_kernelINS0_14default_configENS1_25transform_config_selectorIyLb0EEEZNS1_14transform_implILb0ES3_S5_N6thrust23THRUST_200600_302600_NS6detail15normal_iteratorINS8_10device_ptrIyEEEEPyNS0_8identityIyEEEE10hipError_tT2_T3_mT4_P12ihipStream_tbEUlT_E_NS1_11comp_targetILNS1_3genE8ELNS1_11target_archE1030ELNS1_3gpuE2ELNS1_3repE0EEENS1_30default_config_static_selectorELNS0_4arch9wavefront6targetE1EEEvT1_.numbered_sgpr, 0
	.set _ZN7rocprim17ROCPRIM_400000_NS6detail17trampoline_kernelINS0_14default_configENS1_25transform_config_selectorIyLb0EEEZNS1_14transform_implILb0ES3_S5_N6thrust23THRUST_200600_302600_NS6detail15normal_iteratorINS8_10device_ptrIyEEEEPyNS0_8identityIyEEEE10hipError_tT2_T3_mT4_P12ihipStream_tbEUlT_E_NS1_11comp_targetILNS1_3genE8ELNS1_11target_archE1030ELNS1_3gpuE2ELNS1_3repE0EEENS1_30default_config_static_selectorELNS0_4arch9wavefront6targetE1EEEvT1_.num_named_barrier, 0
	.set _ZN7rocprim17ROCPRIM_400000_NS6detail17trampoline_kernelINS0_14default_configENS1_25transform_config_selectorIyLb0EEEZNS1_14transform_implILb0ES3_S5_N6thrust23THRUST_200600_302600_NS6detail15normal_iteratorINS8_10device_ptrIyEEEEPyNS0_8identityIyEEEE10hipError_tT2_T3_mT4_P12ihipStream_tbEUlT_E_NS1_11comp_targetILNS1_3genE8ELNS1_11target_archE1030ELNS1_3gpuE2ELNS1_3repE0EEENS1_30default_config_static_selectorELNS0_4arch9wavefront6targetE1EEEvT1_.private_seg_size, 0
	.set _ZN7rocprim17ROCPRIM_400000_NS6detail17trampoline_kernelINS0_14default_configENS1_25transform_config_selectorIyLb0EEEZNS1_14transform_implILb0ES3_S5_N6thrust23THRUST_200600_302600_NS6detail15normal_iteratorINS8_10device_ptrIyEEEEPyNS0_8identityIyEEEE10hipError_tT2_T3_mT4_P12ihipStream_tbEUlT_E_NS1_11comp_targetILNS1_3genE8ELNS1_11target_archE1030ELNS1_3gpuE2ELNS1_3repE0EEENS1_30default_config_static_selectorELNS0_4arch9wavefront6targetE1EEEvT1_.uses_vcc, 0
	.set _ZN7rocprim17ROCPRIM_400000_NS6detail17trampoline_kernelINS0_14default_configENS1_25transform_config_selectorIyLb0EEEZNS1_14transform_implILb0ES3_S5_N6thrust23THRUST_200600_302600_NS6detail15normal_iteratorINS8_10device_ptrIyEEEEPyNS0_8identityIyEEEE10hipError_tT2_T3_mT4_P12ihipStream_tbEUlT_E_NS1_11comp_targetILNS1_3genE8ELNS1_11target_archE1030ELNS1_3gpuE2ELNS1_3repE0EEENS1_30default_config_static_selectorELNS0_4arch9wavefront6targetE1EEEvT1_.uses_flat_scratch, 0
	.set _ZN7rocprim17ROCPRIM_400000_NS6detail17trampoline_kernelINS0_14default_configENS1_25transform_config_selectorIyLb0EEEZNS1_14transform_implILb0ES3_S5_N6thrust23THRUST_200600_302600_NS6detail15normal_iteratorINS8_10device_ptrIyEEEEPyNS0_8identityIyEEEE10hipError_tT2_T3_mT4_P12ihipStream_tbEUlT_E_NS1_11comp_targetILNS1_3genE8ELNS1_11target_archE1030ELNS1_3gpuE2ELNS1_3repE0EEENS1_30default_config_static_selectorELNS0_4arch9wavefront6targetE1EEEvT1_.has_dyn_sized_stack, 0
	.set _ZN7rocprim17ROCPRIM_400000_NS6detail17trampoline_kernelINS0_14default_configENS1_25transform_config_selectorIyLb0EEEZNS1_14transform_implILb0ES3_S5_N6thrust23THRUST_200600_302600_NS6detail15normal_iteratorINS8_10device_ptrIyEEEEPyNS0_8identityIyEEEE10hipError_tT2_T3_mT4_P12ihipStream_tbEUlT_E_NS1_11comp_targetILNS1_3genE8ELNS1_11target_archE1030ELNS1_3gpuE2ELNS1_3repE0EEENS1_30default_config_static_selectorELNS0_4arch9wavefront6targetE1EEEvT1_.has_recursion, 0
	.set _ZN7rocprim17ROCPRIM_400000_NS6detail17trampoline_kernelINS0_14default_configENS1_25transform_config_selectorIyLb0EEEZNS1_14transform_implILb0ES3_S5_N6thrust23THRUST_200600_302600_NS6detail15normal_iteratorINS8_10device_ptrIyEEEEPyNS0_8identityIyEEEE10hipError_tT2_T3_mT4_P12ihipStream_tbEUlT_E_NS1_11comp_targetILNS1_3genE8ELNS1_11target_archE1030ELNS1_3gpuE2ELNS1_3repE0EEENS1_30default_config_static_selectorELNS0_4arch9wavefront6targetE1EEEvT1_.has_indirect_call, 0
	.section	.AMDGPU.csdata,"",@progbits
; Kernel info:
; codeLenInByte = 0
; TotalNumSgprs: 6
; NumVgprs: 0
; NumAgprs: 0
; TotalNumVgprs: 0
; ScratchSize: 0
; MemoryBound: 0
; FloatMode: 240
; IeeeMode: 1
; LDSByteSize: 0 bytes/workgroup (compile time only)
; SGPRBlocks: 0
; VGPRBlocks: 0
; NumSGPRsForWavesPerEU: 6
; NumVGPRsForWavesPerEU: 1
; AccumOffset: 4
; Occupancy: 8
; WaveLimiterHint : 0
; COMPUTE_PGM_RSRC2:SCRATCH_EN: 0
; COMPUTE_PGM_RSRC2:USER_SGPR: 2
; COMPUTE_PGM_RSRC2:TRAP_HANDLER: 0
; COMPUTE_PGM_RSRC2:TGID_X_EN: 1
; COMPUTE_PGM_RSRC2:TGID_Y_EN: 0
; COMPUTE_PGM_RSRC2:TGID_Z_EN: 0
; COMPUTE_PGM_RSRC2:TIDIG_COMP_CNT: 0
; COMPUTE_PGM_RSRC3_GFX90A:ACCUM_OFFSET: 0
; COMPUTE_PGM_RSRC3_GFX90A:TG_SPLIT: 0
	.section	.text._ZN7rocprim17ROCPRIM_400000_NS6detail17trampoline_kernelINS0_14default_configENS1_35radix_sort_onesweep_config_selectorIyyEEZZNS1_29radix_sort_onesweep_iterationIS3_Lb0EN6thrust23THRUST_200600_302600_NS6detail15normal_iteratorINS8_10device_ptrIyEEEESD_SD_SD_jNS0_19identity_decomposerENS1_16block_id_wrapperIjLb1EEEEE10hipError_tT1_PNSt15iterator_traitsISI_E10value_typeET2_T3_PNSJ_ISO_E10value_typeET4_T5_PST_SU_PNS1_23onesweep_lookback_stateEbbT6_jjT7_P12ihipStream_tbENKUlT_T0_SI_SN_E_clISD_SD_SD_SD_EEDaS11_S12_SI_SN_EUlS11_E_NS1_11comp_targetILNS1_3genE0ELNS1_11target_archE4294967295ELNS1_3gpuE0ELNS1_3repE0EEENS1_47radix_sort_onesweep_sort_config_static_selectorELNS0_4arch9wavefront6targetE1EEEvSI_,"axG",@progbits,_ZN7rocprim17ROCPRIM_400000_NS6detail17trampoline_kernelINS0_14default_configENS1_35radix_sort_onesweep_config_selectorIyyEEZZNS1_29radix_sort_onesweep_iterationIS3_Lb0EN6thrust23THRUST_200600_302600_NS6detail15normal_iteratorINS8_10device_ptrIyEEEESD_SD_SD_jNS0_19identity_decomposerENS1_16block_id_wrapperIjLb1EEEEE10hipError_tT1_PNSt15iterator_traitsISI_E10value_typeET2_T3_PNSJ_ISO_E10value_typeET4_T5_PST_SU_PNS1_23onesweep_lookback_stateEbbT6_jjT7_P12ihipStream_tbENKUlT_T0_SI_SN_E_clISD_SD_SD_SD_EEDaS11_S12_SI_SN_EUlS11_E_NS1_11comp_targetILNS1_3genE0ELNS1_11target_archE4294967295ELNS1_3gpuE0ELNS1_3repE0EEENS1_47radix_sort_onesweep_sort_config_static_selectorELNS0_4arch9wavefront6targetE1EEEvSI_,comdat
	.protected	_ZN7rocprim17ROCPRIM_400000_NS6detail17trampoline_kernelINS0_14default_configENS1_35radix_sort_onesweep_config_selectorIyyEEZZNS1_29radix_sort_onesweep_iterationIS3_Lb0EN6thrust23THRUST_200600_302600_NS6detail15normal_iteratorINS8_10device_ptrIyEEEESD_SD_SD_jNS0_19identity_decomposerENS1_16block_id_wrapperIjLb1EEEEE10hipError_tT1_PNSt15iterator_traitsISI_E10value_typeET2_T3_PNSJ_ISO_E10value_typeET4_T5_PST_SU_PNS1_23onesweep_lookback_stateEbbT6_jjT7_P12ihipStream_tbENKUlT_T0_SI_SN_E_clISD_SD_SD_SD_EEDaS11_S12_SI_SN_EUlS11_E_NS1_11comp_targetILNS1_3genE0ELNS1_11target_archE4294967295ELNS1_3gpuE0ELNS1_3repE0EEENS1_47radix_sort_onesweep_sort_config_static_selectorELNS0_4arch9wavefront6targetE1EEEvSI_ ; -- Begin function _ZN7rocprim17ROCPRIM_400000_NS6detail17trampoline_kernelINS0_14default_configENS1_35radix_sort_onesweep_config_selectorIyyEEZZNS1_29radix_sort_onesweep_iterationIS3_Lb0EN6thrust23THRUST_200600_302600_NS6detail15normal_iteratorINS8_10device_ptrIyEEEESD_SD_SD_jNS0_19identity_decomposerENS1_16block_id_wrapperIjLb1EEEEE10hipError_tT1_PNSt15iterator_traitsISI_E10value_typeET2_T3_PNSJ_ISO_E10value_typeET4_T5_PST_SU_PNS1_23onesweep_lookback_stateEbbT6_jjT7_P12ihipStream_tbENKUlT_T0_SI_SN_E_clISD_SD_SD_SD_EEDaS11_S12_SI_SN_EUlS11_E_NS1_11comp_targetILNS1_3genE0ELNS1_11target_archE4294967295ELNS1_3gpuE0ELNS1_3repE0EEENS1_47radix_sort_onesweep_sort_config_static_selectorELNS0_4arch9wavefront6targetE1EEEvSI_
	.globl	_ZN7rocprim17ROCPRIM_400000_NS6detail17trampoline_kernelINS0_14default_configENS1_35radix_sort_onesweep_config_selectorIyyEEZZNS1_29radix_sort_onesweep_iterationIS3_Lb0EN6thrust23THRUST_200600_302600_NS6detail15normal_iteratorINS8_10device_ptrIyEEEESD_SD_SD_jNS0_19identity_decomposerENS1_16block_id_wrapperIjLb1EEEEE10hipError_tT1_PNSt15iterator_traitsISI_E10value_typeET2_T3_PNSJ_ISO_E10value_typeET4_T5_PST_SU_PNS1_23onesweep_lookback_stateEbbT6_jjT7_P12ihipStream_tbENKUlT_T0_SI_SN_E_clISD_SD_SD_SD_EEDaS11_S12_SI_SN_EUlS11_E_NS1_11comp_targetILNS1_3genE0ELNS1_11target_archE4294967295ELNS1_3gpuE0ELNS1_3repE0EEENS1_47radix_sort_onesweep_sort_config_static_selectorELNS0_4arch9wavefront6targetE1EEEvSI_
	.p2align	8
	.type	_ZN7rocprim17ROCPRIM_400000_NS6detail17trampoline_kernelINS0_14default_configENS1_35radix_sort_onesweep_config_selectorIyyEEZZNS1_29radix_sort_onesweep_iterationIS3_Lb0EN6thrust23THRUST_200600_302600_NS6detail15normal_iteratorINS8_10device_ptrIyEEEESD_SD_SD_jNS0_19identity_decomposerENS1_16block_id_wrapperIjLb1EEEEE10hipError_tT1_PNSt15iterator_traitsISI_E10value_typeET2_T3_PNSJ_ISO_E10value_typeET4_T5_PST_SU_PNS1_23onesweep_lookback_stateEbbT6_jjT7_P12ihipStream_tbENKUlT_T0_SI_SN_E_clISD_SD_SD_SD_EEDaS11_S12_SI_SN_EUlS11_E_NS1_11comp_targetILNS1_3genE0ELNS1_11target_archE4294967295ELNS1_3gpuE0ELNS1_3repE0EEENS1_47radix_sort_onesweep_sort_config_static_selectorELNS0_4arch9wavefront6targetE1EEEvSI_,@function
_ZN7rocprim17ROCPRIM_400000_NS6detail17trampoline_kernelINS0_14default_configENS1_35radix_sort_onesweep_config_selectorIyyEEZZNS1_29radix_sort_onesweep_iterationIS3_Lb0EN6thrust23THRUST_200600_302600_NS6detail15normal_iteratorINS8_10device_ptrIyEEEESD_SD_SD_jNS0_19identity_decomposerENS1_16block_id_wrapperIjLb1EEEEE10hipError_tT1_PNSt15iterator_traitsISI_E10value_typeET2_T3_PNSJ_ISO_E10value_typeET4_T5_PST_SU_PNS1_23onesweep_lookback_stateEbbT6_jjT7_P12ihipStream_tbENKUlT_T0_SI_SN_E_clISD_SD_SD_SD_EEDaS11_S12_SI_SN_EUlS11_E_NS1_11comp_targetILNS1_3genE0ELNS1_11target_archE4294967295ELNS1_3gpuE0ELNS1_3repE0EEENS1_47radix_sort_onesweep_sort_config_static_selectorELNS0_4arch9wavefront6targetE1EEEvSI_: ; @_ZN7rocprim17ROCPRIM_400000_NS6detail17trampoline_kernelINS0_14default_configENS1_35radix_sort_onesweep_config_selectorIyyEEZZNS1_29radix_sort_onesweep_iterationIS3_Lb0EN6thrust23THRUST_200600_302600_NS6detail15normal_iteratorINS8_10device_ptrIyEEEESD_SD_SD_jNS0_19identity_decomposerENS1_16block_id_wrapperIjLb1EEEEE10hipError_tT1_PNSt15iterator_traitsISI_E10value_typeET2_T3_PNSJ_ISO_E10value_typeET4_T5_PST_SU_PNS1_23onesweep_lookback_stateEbbT6_jjT7_P12ihipStream_tbENKUlT_T0_SI_SN_E_clISD_SD_SD_SD_EEDaS11_S12_SI_SN_EUlS11_E_NS1_11comp_targetILNS1_3genE0ELNS1_11target_archE4294967295ELNS1_3gpuE0ELNS1_3repE0EEENS1_47radix_sort_onesweep_sort_config_static_selectorELNS0_4arch9wavefront6targetE1EEEvSI_
; %bb.0:
	.section	.rodata,"a",@progbits
	.p2align	6, 0x0
	.amdhsa_kernel _ZN7rocprim17ROCPRIM_400000_NS6detail17trampoline_kernelINS0_14default_configENS1_35radix_sort_onesweep_config_selectorIyyEEZZNS1_29radix_sort_onesweep_iterationIS3_Lb0EN6thrust23THRUST_200600_302600_NS6detail15normal_iteratorINS8_10device_ptrIyEEEESD_SD_SD_jNS0_19identity_decomposerENS1_16block_id_wrapperIjLb1EEEEE10hipError_tT1_PNSt15iterator_traitsISI_E10value_typeET2_T3_PNSJ_ISO_E10value_typeET4_T5_PST_SU_PNS1_23onesweep_lookback_stateEbbT6_jjT7_P12ihipStream_tbENKUlT_T0_SI_SN_E_clISD_SD_SD_SD_EEDaS11_S12_SI_SN_EUlS11_E_NS1_11comp_targetILNS1_3genE0ELNS1_11target_archE4294967295ELNS1_3gpuE0ELNS1_3repE0EEENS1_47radix_sort_onesweep_sort_config_static_selectorELNS0_4arch9wavefront6targetE1EEEvSI_
		.amdhsa_group_segment_fixed_size 0
		.amdhsa_private_segment_fixed_size 0
		.amdhsa_kernarg_size 88
		.amdhsa_user_sgpr_count 2
		.amdhsa_user_sgpr_dispatch_ptr 0
		.amdhsa_user_sgpr_queue_ptr 0
		.amdhsa_user_sgpr_kernarg_segment_ptr 1
		.amdhsa_user_sgpr_dispatch_id 0
		.amdhsa_user_sgpr_kernarg_preload_length 0
		.amdhsa_user_sgpr_kernarg_preload_offset 0
		.amdhsa_user_sgpr_private_segment_size 0
		.amdhsa_uses_dynamic_stack 0
		.amdhsa_enable_private_segment 0
		.amdhsa_system_sgpr_workgroup_id_x 1
		.amdhsa_system_sgpr_workgroup_id_y 0
		.amdhsa_system_sgpr_workgroup_id_z 0
		.amdhsa_system_sgpr_workgroup_info 0
		.amdhsa_system_vgpr_workitem_id 0
		.amdhsa_next_free_vgpr 1
		.amdhsa_next_free_sgpr 0
		.amdhsa_accum_offset 4
		.amdhsa_reserve_vcc 0
		.amdhsa_float_round_mode_32 0
		.amdhsa_float_round_mode_16_64 0
		.amdhsa_float_denorm_mode_32 3
		.amdhsa_float_denorm_mode_16_64 3
		.amdhsa_dx10_clamp 1
		.amdhsa_ieee_mode 1
		.amdhsa_fp16_overflow 0
		.amdhsa_tg_split 0
		.amdhsa_exception_fp_ieee_invalid_op 0
		.amdhsa_exception_fp_denorm_src 0
		.amdhsa_exception_fp_ieee_div_zero 0
		.amdhsa_exception_fp_ieee_overflow 0
		.amdhsa_exception_fp_ieee_underflow 0
		.amdhsa_exception_fp_ieee_inexact 0
		.amdhsa_exception_int_div_zero 0
	.end_amdhsa_kernel
	.section	.text._ZN7rocprim17ROCPRIM_400000_NS6detail17trampoline_kernelINS0_14default_configENS1_35radix_sort_onesweep_config_selectorIyyEEZZNS1_29radix_sort_onesweep_iterationIS3_Lb0EN6thrust23THRUST_200600_302600_NS6detail15normal_iteratorINS8_10device_ptrIyEEEESD_SD_SD_jNS0_19identity_decomposerENS1_16block_id_wrapperIjLb1EEEEE10hipError_tT1_PNSt15iterator_traitsISI_E10value_typeET2_T3_PNSJ_ISO_E10value_typeET4_T5_PST_SU_PNS1_23onesweep_lookback_stateEbbT6_jjT7_P12ihipStream_tbENKUlT_T0_SI_SN_E_clISD_SD_SD_SD_EEDaS11_S12_SI_SN_EUlS11_E_NS1_11comp_targetILNS1_3genE0ELNS1_11target_archE4294967295ELNS1_3gpuE0ELNS1_3repE0EEENS1_47radix_sort_onesweep_sort_config_static_selectorELNS0_4arch9wavefront6targetE1EEEvSI_,"axG",@progbits,_ZN7rocprim17ROCPRIM_400000_NS6detail17trampoline_kernelINS0_14default_configENS1_35radix_sort_onesweep_config_selectorIyyEEZZNS1_29radix_sort_onesweep_iterationIS3_Lb0EN6thrust23THRUST_200600_302600_NS6detail15normal_iteratorINS8_10device_ptrIyEEEESD_SD_SD_jNS0_19identity_decomposerENS1_16block_id_wrapperIjLb1EEEEE10hipError_tT1_PNSt15iterator_traitsISI_E10value_typeET2_T3_PNSJ_ISO_E10value_typeET4_T5_PST_SU_PNS1_23onesweep_lookback_stateEbbT6_jjT7_P12ihipStream_tbENKUlT_T0_SI_SN_E_clISD_SD_SD_SD_EEDaS11_S12_SI_SN_EUlS11_E_NS1_11comp_targetILNS1_3genE0ELNS1_11target_archE4294967295ELNS1_3gpuE0ELNS1_3repE0EEENS1_47radix_sort_onesweep_sort_config_static_selectorELNS0_4arch9wavefront6targetE1EEEvSI_,comdat
.Lfunc_end528:
	.size	_ZN7rocprim17ROCPRIM_400000_NS6detail17trampoline_kernelINS0_14default_configENS1_35radix_sort_onesweep_config_selectorIyyEEZZNS1_29radix_sort_onesweep_iterationIS3_Lb0EN6thrust23THRUST_200600_302600_NS6detail15normal_iteratorINS8_10device_ptrIyEEEESD_SD_SD_jNS0_19identity_decomposerENS1_16block_id_wrapperIjLb1EEEEE10hipError_tT1_PNSt15iterator_traitsISI_E10value_typeET2_T3_PNSJ_ISO_E10value_typeET4_T5_PST_SU_PNS1_23onesweep_lookback_stateEbbT6_jjT7_P12ihipStream_tbENKUlT_T0_SI_SN_E_clISD_SD_SD_SD_EEDaS11_S12_SI_SN_EUlS11_E_NS1_11comp_targetILNS1_3genE0ELNS1_11target_archE4294967295ELNS1_3gpuE0ELNS1_3repE0EEENS1_47radix_sort_onesweep_sort_config_static_selectorELNS0_4arch9wavefront6targetE1EEEvSI_, .Lfunc_end528-_ZN7rocprim17ROCPRIM_400000_NS6detail17trampoline_kernelINS0_14default_configENS1_35radix_sort_onesweep_config_selectorIyyEEZZNS1_29radix_sort_onesweep_iterationIS3_Lb0EN6thrust23THRUST_200600_302600_NS6detail15normal_iteratorINS8_10device_ptrIyEEEESD_SD_SD_jNS0_19identity_decomposerENS1_16block_id_wrapperIjLb1EEEEE10hipError_tT1_PNSt15iterator_traitsISI_E10value_typeET2_T3_PNSJ_ISO_E10value_typeET4_T5_PST_SU_PNS1_23onesweep_lookback_stateEbbT6_jjT7_P12ihipStream_tbENKUlT_T0_SI_SN_E_clISD_SD_SD_SD_EEDaS11_S12_SI_SN_EUlS11_E_NS1_11comp_targetILNS1_3genE0ELNS1_11target_archE4294967295ELNS1_3gpuE0ELNS1_3repE0EEENS1_47radix_sort_onesweep_sort_config_static_selectorELNS0_4arch9wavefront6targetE1EEEvSI_
                                        ; -- End function
	.set _ZN7rocprim17ROCPRIM_400000_NS6detail17trampoline_kernelINS0_14default_configENS1_35radix_sort_onesweep_config_selectorIyyEEZZNS1_29radix_sort_onesweep_iterationIS3_Lb0EN6thrust23THRUST_200600_302600_NS6detail15normal_iteratorINS8_10device_ptrIyEEEESD_SD_SD_jNS0_19identity_decomposerENS1_16block_id_wrapperIjLb1EEEEE10hipError_tT1_PNSt15iterator_traitsISI_E10value_typeET2_T3_PNSJ_ISO_E10value_typeET4_T5_PST_SU_PNS1_23onesweep_lookback_stateEbbT6_jjT7_P12ihipStream_tbENKUlT_T0_SI_SN_E_clISD_SD_SD_SD_EEDaS11_S12_SI_SN_EUlS11_E_NS1_11comp_targetILNS1_3genE0ELNS1_11target_archE4294967295ELNS1_3gpuE0ELNS1_3repE0EEENS1_47radix_sort_onesweep_sort_config_static_selectorELNS0_4arch9wavefront6targetE1EEEvSI_.num_vgpr, 0
	.set _ZN7rocprim17ROCPRIM_400000_NS6detail17trampoline_kernelINS0_14default_configENS1_35radix_sort_onesweep_config_selectorIyyEEZZNS1_29radix_sort_onesweep_iterationIS3_Lb0EN6thrust23THRUST_200600_302600_NS6detail15normal_iteratorINS8_10device_ptrIyEEEESD_SD_SD_jNS0_19identity_decomposerENS1_16block_id_wrapperIjLb1EEEEE10hipError_tT1_PNSt15iterator_traitsISI_E10value_typeET2_T3_PNSJ_ISO_E10value_typeET4_T5_PST_SU_PNS1_23onesweep_lookback_stateEbbT6_jjT7_P12ihipStream_tbENKUlT_T0_SI_SN_E_clISD_SD_SD_SD_EEDaS11_S12_SI_SN_EUlS11_E_NS1_11comp_targetILNS1_3genE0ELNS1_11target_archE4294967295ELNS1_3gpuE0ELNS1_3repE0EEENS1_47radix_sort_onesweep_sort_config_static_selectorELNS0_4arch9wavefront6targetE1EEEvSI_.num_agpr, 0
	.set _ZN7rocprim17ROCPRIM_400000_NS6detail17trampoline_kernelINS0_14default_configENS1_35radix_sort_onesweep_config_selectorIyyEEZZNS1_29radix_sort_onesweep_iterationIS3_Lb0EN6thrust23THRUST_200600_302600_NS6detail15normal_iteratorINS8_10device_ptrIyEEEESD_SD_SD_jNS0_19identity_decomposerENS1_16block_id_wrapperIjLb1EEEEE10hipError_tT1_PNSt15iterator_traitsISI_E10value_typeET2_T3_PNSJ_ISO_E10value_typeET4_T5_PST_SU_PNS1_23onesweep_lookback_stateEbbT6_jjT7_P12ihipStream_tbENKUlT_T0_SI_SN_E_clISD_SD_SD_SD_EEDaS11_S12_SI_SN_EUlS11_E_NS1_11comp_targetILNS1_3genE0ELNS1_11target_archE4294967295ELNS1_3gpuE0ELNS1_3repE0EEENS1_47radix_sort_onesweep_sort_config_static_selectorELNS0_4arch9wavefront6targetE1EEEvSI_.numbered_sgpr, 0
	.set _ZN7rocprim17ROCPRIM_400000_NS6detail17trampoline_kernelINS0_14default_configENS1_35radix_sort_onesweep_config_selectorIyyEEZZNS1_29radix_sort_onesweep_iterationIS3_Lb0EN6thrust23THRUST_200600_302600_NS6detail15normal_iteratorINS8_10device_ptrIyEEEESD_SD_SD_jNS0_19identity_decomposerENS1_16block_id_wrapperIjLb1EEEEE10hipError_tT1_PNSt15iterator_traitsISI_E10value_typeET2_T3_PNSJ_ISO_E10value_typeET4_T5_PST_SU_PNS1_23onesweep_lookback_stateEbbT6_jjT7_P12ihipStream_tbENKUlT_T0_SI_SN_E_clISD_SD_SD_SD_EEDaS11_S12_SI_SN_EUlS11_E_NS1_11comp_targetILNS1_3genE0ELNS1_11target_archE4294967295ELNS1_3gpuE0ELNS1_3repE0EEENS1_47radix_sort_onesweep_sort_config_static_selectorELNS0_4arch9wavefront6targetE1EEEvSI_.num_named_barrier, 0
	.set _ZN7rocprim17ROCPRIM_400000_NS6detail17trampoline_kernelINS0_14default_configENS1_35radix_sort_onesweep_config_selectorIyyEEZZNS1_29radix_sort_onesweep_iterationIS3_Lb0EN6thrust23THRUST_200600_302600_NS6detail15normal_iteratorINS8_10device_ptrIyEEEESD_SD_SD_jNS0_19identity_decomposerENS1_16block_id_wrapperIjLb1EEEEE10hipError_tT1_PNSt15iterator_traitsISI_E10value_typeET2_T3_PNSJ_ISO_E10value_typeET4_T5_PST_SU_PNS1_23onesweep_lookback_stateEbbT6_jjT7_P12ihipStream_tbENKUlT_T0_SI_SN_E_clISD_SD_SD_SD_EEDaS11_S12_SI_SN_EUlS11_E_NS1_11comp_targetILNS1_3genE0ELNS1_11target_archE4294967295ELNS1_3gpuE0ELNS1_3repE0EEENS1_47radix_sort_onesweep_sort_config_static_selectorELNS0_4arch9wavefront6targetE1EEEvSI_.private_seg_size, 0
	.set _ZN7rocprim17ROCPRIM_400000_NS6detail17trampoline_kernelINS0_14default_configENS1_35radix_sort_onesweep_config_selectorIyyEEZZNS1_29radix_sort_onesweep_iterationIS3_Lb0EN6thrust23THRUST_200600_302600_NS6detail15normal_iteratorINS8_10device_ptrIyEEEESD_SD_SD_jNS0_19identity_decomposerENS1_16block_id_wrapperIjLb1EEEEE10hipError_tT1_PNSt15iterator_traitsISI_E10value_typeET2_T3_PNSJ_ISO_E10value_typeET4_T5_PST_SU_PNS1_23onesweep_lookback_stateEbbT6_jjT7_P12ihipStream_tbENKUlT_T0_SI_SN_E_clISD_SD_SD_SD_EEDaS11_S12_SI_SN_EUlS11_E_NS1_11comp_targetILNS1_3genE0ELNS1_11target_archE4294967295ELNS1_3gpuE0ELNS1_3repE0EEENS1_47radix_sort_onesweep_sort_config_static_selectorELNS0_4arch9wavefront6targetE1EEEvSI_.uses_vcc, 0
	.set _ZN7rocprim17ROCPRIM_400000_NS6detail17trampoline_kernelINS0_14default_configENS1_35radix_sort_onesweep_config_selectorIyyEEZZNS1_29radix_sort_onesweep_iterationIS3_Lb0EN6thrust23THRUST_200600_302600_NS6detail15normal_iteratorINS8_10device_ptrIyEEEESD_SD_SD_jNS0_19identity_decomposerENS1_16block_id_wrapperIjLb1EEEEE10hipError_tT1_PNSt15iterator_traitsISI_E10value_typeET2_T3_PNSJ_ISO_E10value_typeET4_T5_PST_SU_PNS1_23onesweep_lookback_stateEbbT6_jjT7_P12ihipStream_tbENKUlT_T0_SI_SN_E_clISD_SD_SD_SD_EEDaS11_S12_SI_SN_EUlS11_E_NS1_11comp_targetILNS1_3genE0ELNS1_11target_archE4294967295ELNS1_3gpuE0ELNS1_3repE0EEENS1_47radix_sort_onesweep_sort_config_static_selectorELNS0_4arch9wavefront6targetE1EEEvSI_.uses_flat_scratch, 0
	.set _ZN7rocprim17ROCPRIM_400000_NS6detail17trampoline_kernelINS0_14default_configENS1_35radix_sort_onesweep_config_selectorIyyEEZZNS1_29radix_sort_onesweep_iterationIS3_Lb0EN6thrust23THRUST_200600_302600_NS6detail15normal_iteratorINS8_10device_ptrIyEEEESD_SD_SD_jNS0_19identity_decomposerENS1_16block_id_wrapperIjLb1EEEEE10hipError_tT1_PNSt15iterator_traitsISI_E10value_typeET2_T3_PNSJ_ISO_E10value_typeET4_T5_PST_SU_PNS1_23onesweep_lookback_stateEbbT6_jjT7_P12ihipStream_tbENKUlT_T0_SI_SN_E_clISD_SD_SD_SD_EEDaS11_S12_SI_SN_EUlS11_E_NS1_11comp_targetILNS1_3genE0ELNS1_11target_archE4294967295ELNS1_3gpuE0ELNS1_3repE0EEENS1_47radix_sort_onesweep_sort_config_static_selectorELNS0_4arch9wavefront6targetE1EEEvSI_.has_dyn_sized_stack, 0
	.set _ZN7rocprim17ROCPRIM_400000_NS6detail17trampoline_kernelINS0_14default_configENS1_35radix_sort_onesweep_config_selectorIyyEEZZNS1_29radix_sort_onesweep_iterationIS3_Lb0EN6thrust23THRUST_200600_302600_NS6detail15normal_iteratorINS8_10device_ptrIyEEEESD_SD_SD_jNS0_19identity_decomposerENS1_16block_id_wrapperIjLb1EEEEE10hipError_tT1_PNSt15iterator_traitsISI_E10value_typeET2_T3_PNSJ_ISO_E10value_typeET4_T5_PST_SU_PNS1_23onesweep_lookback_stateEbbT6_jjT7_P12ihipStream_tbENKUlT_T0_SI_SN_E_clISD_SD_SD_SD_EEDaS11_S12_SI_SN_EUlS11_E_NS1_11comp_targetILNS1_3genE0ELNS1_11target_archE4294967295ELNS1_3gpuE0ELNS1_3repE0EEENS1_47radix_sort_onesweep_sort_config_static_selectorELNS0_4arch9wavefront6targetE1EEEvSI_.has_recursion, 0
	.set _ZN7rocprim17ROCPRIM_400000_NS6detail17trampoline_kernelINS0_14default_configENS1_35radix_sort_onesweep_config_selectorIyyEEZZNS1_29radix_sort_onesweep_iterationIS3_Lb0EN6thrust23THRUST_200600_302600_NS6detail15normal_iteratorINS8_10device_ptrIyEEEESD_SD_SD_jNS0_19identity_decomposerENS1_16block_id_wrapperIjLb1EEEEE10hipError_tT1_PNSt15iterator_traitsISI_E10value_typeET2_T3_PNSJ_ISO_E10value_typeET4_T5_PST_SU_PNS1_23onesweep_lookback_stateEbbT6_jjT7_P12ihipStream_tbENKUlT_T0_SI_SN_E_clISD_SD_SD_SD_EEDaS11_S12_SI_SN_EUlS11_E_NS1_11comp_targetILNS1_3genE0ELNS1_11target_archE4294967295ELNS1_3gpuE0ELNS1_3repE0EEENS1_47radix_sort_onesweep_sort_config_static_selectorELNS0_4arch9wavefront6targetE1EEEvSI_.has_indirect_call, 0
	.section	.AMDGPU.csdata,"",@progbits
; Kernel info:
; codeLenInByte = 0
; TotalNumSgprs: 6
; NumVgprs: 0
; NumAgprs: 0
; TotalNumVgprs: 0
; ScratchSize: 0
; MemoryBound: 0
; FloatMode: 240
; IeeeMode: 1
; LDSByteSize: 0 bytes/workgroup (compile time only)
; SGPRBlocks: 0
; VGPRBlocks: 0
; NumSGPRsForWavesPerEU: 6
; NumVGPRsForWavesPerEU: 1
; AccumOffset: 4
; Occupancy: 8
; WaveLimiterHint : 0
; COMPUTE_PGM_RSRC2:SCRATCH_EN: 0
; COMPUTE_PGM_RSRC2:USER_SGPR: 2
; COMPUTE_PGM_RSRC2:TRAP_HANDLER: 0
; COMPUTE_PGM_RSRC2:TGID_X_EN: 1
; COMPUTE_PGM_RSRC2:TGID_Y_EN: 0
; COMPUTE_PGM_RSRC2:TGID_Z_EN: 0
; COMPUTE_PGM_RSRC2:TIDIG_COMP_CNT: 0
; COMPUTE_PGM_RSRC3_GFX90A:ACCUM_OFFSET: 0
; COMPUTE_PGM_RSRC3_GFX90A:TG_SPLIT: 0
	.section	.text._ZN7rocprim17ROCPRIM_400000_NS6detail17trampoline_kernelINS0_14default_configENS1_35radix_sort_onesweep_config_selectorIyyEEZZNS1_29radix_sort_onesweep_iterationIS3_Lb0EN6thrust23THRUST_200600_302600_NS6detail15normal_iteratorINS8_10device_ptrIyEEEESD_SD_SD_jNS0_19identity_decomposerENS1_16block_id_wrapperIjLb1EEEEE10hipError_tT1_PNSt15iterator_traitsISI_E10value_typeET2_T3_PNSJ_ISO_E10value_typeET4_T5_PST_SU_PNS1_23onesweep_lookback_stateEbbT6_jjT7_P12ihipStream_tbENKUlT_T0_SI_SN_E_clISD_SD_SD_SD_EEDaS11_S12_SI_SN_EUlS11_E_NS1_11comp_targetILNS1_3genE6ELNS1_11target_archE950ELNS1_3gpuE13ELNS1_3repE0EEENS1_47radix_sort_onesweep_sort_config_static_selectorELNS0_4arch9wavefront6targetE1EEEvSI_,"axG",@progbits,_ZN7rocprim17ROCPRIM_400000_NS6detail17trampoline_kernelINS0_14default_configENS1_35radix_sort_onesweep_config_selectorIyyEEZZNS1_29radix_sort_onesweep_iterationIS3_Lb0EN6thrust23THRUST_200600_302600_NS6detail15normal_iteratorINS8_10device_ptrIyEEEESD_SD_SD_jNS0_19identity_decomposerENS1_16block_id_wrapperIjLb1EEEEE10hipError_tT1_PNSt15iterator_traitsISI_E10value_typeET2_T3_PNSJ_ISO_E10value_typeET4_T5_PST_SU_PNS1_23onesweep_lookback_stateEbbT6_jjT7_P12ihipStream_tbENKUlT_T0_SI_SN_E_clISD_SD_SD_SD_EEDaS11_S12_SI_SN_EUlS11_E_NS1_11comp_targetILNS1_3genE6ELNS1_11target_archE950ELNS1_3gpuE13ELNS1_3repE0EEENS1_47radix_sort_onesweep_sort_config_static_selectorELNS0_4arch9wavefront6targetE1EEEvSI_,comdat
	.protected	_ZN7rocprim17ROCPRIM_400000_NS6detail17trampoline_kernelINS0_14default_configENS1_35radix_sort_onesweep_config_selectorIyyEEZZNS1_29radix_sort_onesweep_iterationIS3_Lb0EN6thrust23THRUST_200600_302600_NS6detail15normal_iteratorINS8_10device_ptrIyEEEESD_SD_SD_jNS0_19identity_decomposerENS1_16block_id_wrapperIjLb1EEEEE10hipError_tT1_PNSt15iterator_traitsISI_E10value_typeET2_T3_PNSJ_ISO_E10value_typeET4_T5_PST_SU_PNS1_23onesweep_lookback_stateEbbT6_jjT7_P12ihipStream_tbENKUlT_T0_SI_SN_E_clISD_SD_SD_SD_EEDaS11_S12_SI_SN_EUlS11_E_NS1_11comp_targetILNS1_3genE6ELNS1_11target_archE950ELNS1_3gpuE13ELNS1_3repE0EEENS1_47radix_sort_onesweep_sort_config_static_selectorELNS0_4arch9wavefront6targetE1EEEvSI_ ; -- Begin function _ZN7rocprim17ROCPRIM_400000_NS6detail17trampoline_kernelINS0_14default_configENS1_35radix_sort_onesweep_config_selectorIyyEEZZNS1_29radix_sort_onesweep_iterationIS3_Lb0EN6thrust23THRUST_200600_302600_NS6detail15normal_iteratorINS8_10device_ptrIyEEEESD_SD_SD_jNS0_19identity_decomposerENS1_16block_id_wrapperIjLb1EEEEE10hipError_tT1_PNSt15iterator_traitsISI_E10value_typeET2_T3_PNSJ_ISO_E10value_typeET4_T5_PST_SU_PNS1_23onesweep_lookback_stateEbbT6_jjT7_P12ihipStream_tbENKUlT_T0_SI_SN_E_clISD_SD_SD_SD_EEDaS11_S12_SI_SN_EUlS11_E_NS1_11comp_targetILNS1_3genE6ELNS1_11target_archE950ELNS1_3gpuE13ELNS1_3repE0EEENS1_47radix_sort_onesweep_sort_config_static_selectorELNS0_4arch9wavefront6targetE1EEEvSI_
	.globl	_ZN7rocprim17ROCPRIM_400000_NS6detail17trampoline_kernelINS0_14default_configENS1_35radix_sort_onesweep_config_selectorIyyEEZZNS1_29radix_sort_onesweep_iterationIS3_Lb0EN6thrust23THRUST_200600_302600_NS6detail15normal_iteratorINS8_10device_ptrIyEEEESD_SD_SD_jNS0_19identity_decomposerENS1_16block_id_wrapperIjLb1EEEEE10hipError_tT1_PNSt15iterator_traitsISI_E10value_typeET2_T3_PNSJ_ISO_E10value_typeET4_T5_PST_SU_PNS1_23onesweep_lookback_stateEbbT6_jjT7_P12ihipStream_tbENKUlT_T0_SI_SN_E_clISD_SD_SD_SD_EEDaS11_S12_SI_SN_EUlS11_E_NS1_11comp_targetILNS1_3genE6ELNS1_11target_archE950ELNS1_3gpuE13ELNS1_3repE0EEENS1_47radix_sort_onesweep_sort_config_static_selectorELNS0_4arch9wavefront6targetE1EEEvSI_
	.p2align	8
	.type	_ZN7rocprim17ROCPRIM_400000_NS6detail17trampoline_kernelINS0_14default_configENS1_35radix_sort_onesweep_config_selectorIyyEEZZNS1_29radix_sort_onesweep_iterationIS3_Lb0EN6thrust23THRUST_200600_302600_NS6detail15normal_iteratorINS8_10device_ptrIyEEEESD_SD_SD_jNS0_19identity_decomposerENS1_16block_id_wrapperIjLb1EEEEE10hipError_tT1_PNSt15iterator_traitsISI_E10value_typeET2_T3_PNSJ_ISO_E10value_typeET4_T5_PST_SU_PNS1_23onesweep_lookback_stateEbbT6_jjT7_P12ihipStream_tbENKUlT_T0_SI_SN_E_clISD_SD_SD_SD_EEDaS11_S12_SI_SN_EUlS11_E_NS1_11comp_targetILNS1_3genE6ELNS1_11target_archE950ELNS1_3gpuE13ELNS1_3repE0EEENS1_47radix_sort_onesweep_sort_config_static_selectorELNS0_4arch9wavefront6targetE1EEEvSI_,@function
_ZN7rocprim17ROCPRIM_400000_NS6detail17trampoline_kernelINS0_14default_configENS1_35radix_sort_onesweep_config_selectorIyyEEZZNS1_29radix_sort_onesweep_iterationIS3_Lb0EN6thrust23THRUST_200600_302600_NS6detail15normal_iteratorINS8_10device_ptrIyEEEESD_SD_SD_jNS0_19identity_decomposerENS1_16block_id_wrapperIjLb1EEEEE10hipError_tT1_PNSt15iterator_traitsISI_E10value_typeET2_T3_PNSJ_ISO_E10value_typeET4_T5_PST_SU_PNS1_23onesweep_lookback_stateEbbT6_jjT7_P12ihipStream_tbENKUlT_T0_SI_SN_E_clISD_SD_SD_SD_EEDaS11_S12_SI_SN_EUlS11_E_NS1_11comp_targetILNS1_3genE6ELNS1_11target_archE950ELNS1_3gpuE13ELNS1_3repE0EEENS1_47radix_sort_onesweep_sort_config_static_selectorELNS0_4arch9wavefront6targetE1EEEvSI_: ; @_ZN7rocprim17ROCPRIM_400000_NS6detail17trampoline_kernelINS0_14default_configENS1_35radix_sort_onesweep_config_selectorIyyEEZZNS1_29radix_sort_onesweep_iterationIS3_Lb0EN6thrust23THRUST_200600_302600_NS6detail15normal_iteratorINS8_10device_ptrIyEEEESD_SD_SD_jNS0_19identity_decomposerENS1_16block_id_wrapperIjLb1EEEEE10hipError_tT1_PNSt15iterator_traitsISI_E10value_typeET2_T3_PNSJ_ISO_E10value_typeET4_T5_PST_SU_PNS1_23onesweep_lookback_stateEbbT6_jjT7_P12ihipStream_tbENKUlT_T0_SI_SN_E_clISD_SD_SD_SD_EEDaS11_S12_SI_SN_EUlS11_E_NS1_11comp_targetILNS1_3genE6ELNS1_11target_archE950ELNS1_3gpuE13ELNS1_3repE0EEENS1_47radix_sort_onesweep_sort_config_static_selectorELNS0_4arch9wavefront6targetE1EEEvSI_
; %bb.0:
	s_load_dwordx4 s[48:51], s[2:3], 0x28
	s_load_dwordx2 s[56:57], s[2:3], 0x38
	s_load_dwordx4 s[52:55], s[2:3], 0x44
	v_and_b32_e32 v2, 0x3ff, v0
	v_cmp_eq_u32_e64 s[18:19], 0, v2
	s_and_saveexec_b64 s[6:7], s[18:19]
	s_cbranch_execz .LBB529_4
; %bb.1:
	s_mov_b64 s[10:11], exec
	v_mbcnt_lo_u32_b32 v1, s10, 0
	v_mbcnt_hi_u32_b32 v1, s11, v1
	v_cmp_eq_u32_e32 vcc, 0, v1
                                        ; implicit-def: $vgpr3
	s_and_saveexec_b64 s[8:9], vcc
	s_cbranch_execz .LBB529_3
; %bb.2:
	s_load_dwordx2 s[12:13], s[2:3], 0x50
	s_bcnt1_i32_b64 s5, s[10:11]
	v_mov_b32_e32 v3, 0
	v_mov_b32_e32 v4, s5
	s_waitcnt lgkmcnt(0)
	global_atomic_add v3, v3, v4, s[12:13] sc0
.LBB529_3:
	s_or_b64 exec, exec, s[8:9]
	s_waitcnt vmcnt(0)
	v_readfirstlane_b32 s5, v3
	v_mov_b32_e32 v3, 0
	s_nop 0
	v_add_u32_e32 v1, s5, v1
	ds_write_b32 v3, v1 offset:20544
.LBB529_4:
	s_or_b64 exec, exec, s[6:7]
	v_mov_b32_e32 v1, 0
	s_load_dwordx8 s[40:47], s[2:3], 0x0
	s_load_dword s5, s[2:3], 0x20
	s_waitcnt lgkmcnt(0)
	s_barrier
	ds_read_b32 v4, v1 offset:20544
	v_bfe_u32 v3, v0, 10, 10
	v_bfe_u32 v28, v0, 20, 10
	s_mov_b64 s[6:7], -1
	v_mbcnt_lo_u32_b32 v30, -1, 0
	s_waitcnt lgkmcnt(0)
	v_cmp_le_u32_e32 vcc, s54, v4
	v_readfirstlane_b32 s33, v4
	v_lshlrev_b32_e32 v29, 3, v2
	s_barrier
	s_cbranch_vccz .LBB529_120
; %bb.5:
	s_lshl_b32 s6, s54, 13
	s_sub_i32 s5, s5, s6
	s_lshl_b32 s6, s33, 13
	s_mov_b32 s7, 0
	s_lshl_b64 s[54:55], s[6:7], 3
	v_mbcnt_hi_u32_b32 v26, -1, v30
	s_add_u32 s6, s40, s54
	v_and_b32_e32 v8, 63, v26
	s_addc_u32 s7, s41, s55
	v_and_b32_e32 v9, 0x1e00, v29
	v_lshlrev_b32_e32 v0, 3, v8
	v_lshl_add_u64 v[6:7], s[6:7], 0, v[0:1]
	v_lshlrev_b32_e32 v4, 3, v9
	v_mov_b32_e32 v5, v1
	v_or_b32_e32 v1, v8, v9
	v_lshl_add_u64 v[22:23], v[6:7], 0, v[4:5]
	v_cmp_gt_u32_e32 vcc, s5, v1
	v_mov_b64_e32 v[6:7], -1
	v_mov_b64_e32 v[8:9], -1
	s_and_saveexec_b64 s[6:7], vcc
	s_cbranch_execz .LBB529_7
; %bb.6:
	global_load_dwordx2 v[8:9], v[22:23], off
.LBB529_7:
	s_or_b64 exec, exec, s[6:7]
	v_or_b32_e32 v5, 64, v1
	v_cmp_gt_u32_e64 s[28:29], s5, v5
	s_and_saveexec_b64 s[6:7], s[28:29]
	s_cbranch_execz .LBB529_9
; %bb.8:
	global_load_dwordx2 v[6:7], v[22:23], off offset:512
.LBB529_9:
	s_or_b64 exec, exec, s[6:7]
	v_or_b32_e32 v5, 0x80, v1
	v_cmp_gt_u32_e64 s[6:7], s5, v5
	v_mov_b64_e32 v[10:11], -1
	v_mov_b64_e32 v[12:13], -1
	s_and_saveexec_b64 s[8:9], s[6:7]
	s_cbranch_execz .LBB529_11
; %bb.10:
	global_load_dwordx2 v[12:13], v[22:23], off offset:1024
.LBB529_11:
	s_or_b64 exec, exec, s[8:9]
	v_or_b32_e32 v5, 0xc0, v1
	v_cmp_gt_u32_e64 s[8:9], s5, v5
	s_and_saveexec_b64 s[10:11], s[8:9]
	s_cbranch_execz .LBB529_13
; %bb.12:
	global_load_dwordx2 v[10:11], v[22:23], off offset:1536
.LBB529_13:
	s_or_b64 exec, exec, s[10:11]
	v_or_b32_e32 v5, 0x100, v1
	v_cmp_gt_u32_e64 s[10:11], s5, v5
	v_mov_b64_e32 v[14:15], -1
	v_mov_b64_e32 v[16:17], -1
	s_and_saveexec_b64 s[12:13], s[10:11]
	s_cbranch_execz .LBB529_15
; %bb.14:
	global_load_dwordx2 v[16:17], v[22:23], off offset:2048
.LBB529_15:
	;; [unrolled: 18-line block ×3, first 2 shown]
	s_or_b64 exec, exec, s[16:17]
	v_or_b32_e32 v1, 0x1c0, v1
	v_cmp_gt_u32_e64 s[16:17], s5, v1
	s_and_saveexec_b64 s[20:21], s[16:17]
	s_cbranch_execz .LBB529_21
; %bb.20:
	global_load_dwordx2 v[18:19], v[22:23], off offset:3584
.LBB529_21:
	s_or_b64 exec, exec, s[20:21]
	s_load_dword s20, s[2:3], 0x64
	s_load_dword s58, s[2:3], 0x58
	s_add_u32 s21, s2, 0x58
	s_addc_u32 s22, s3, 0
	v_mov_b32_e32 v23, 0
	s_waitcnt lgkmcnt(0)
	s_lshr_b32 s23, s20, 16
	s_cmp_lt_u32 s4, s58
	s_cselect_b32 s20, 12, 18
	s_add_u32 s20, s21, s20
	s_addc_u32 s21, s22, 0
	global_load_ushort v1, v23, s[20:21]
	s_waitcnt vmcnt(1)
	v_lshrrev_b64 v[24:25], s52, v[8:9]
	s_lshl_b32 s20, -1, s53
	v_bitop3_b32 v24, v24, s20, v24 bitop3:0x30
	s_movk_i32 s60, 0x44
	v_and_b32_e32 v22, 1, v24
	v_lshlrev_b32_e32 v33, 30, v24
	v_mov_b32_e32 v32, v23
	s_not_b32 s59, s20
	v_mul_lo_u32 v46, v24, s60
	v_lshlrev_b32_e32 v35, 29, v24
	v_lshlrev_b32_e32 v37, 28, v24
	;; [unrolled: 1-line block ×6, first 2 shown]
	v_lshl_add_u64 v[24:25], v[22:23], 0, -1
	v_cmp_ne_u32_e64 s[20:21], 0, v22
	v_not_b32_e32 v22, v33
	v_mov_b32_e32 v34, v23
	v_mov_b32_e32 v36, v23
	v_mad_u32_u24 v27, v28, s23, v3
	v_cmp_gt_i64_e64 s[22:23], 0, v[32:33]
	v_not_b32_e32 v31, v35
	v_xor_b32_e32 v25, s21, v25
	v_ashrrev_i32_e32 v22, 31, v22
	v_cmp_gt_i64_e64 s[24:25], 0, v[34:35]
	v_cmp_gt_i64_e64 s[26:27], 0, v[36:37]
	v_not_b32_e32 v32, v37
	v_xor_b32_e32 v24, s20, v24
	v_ashrrev_i32_e32 v31, 31, v31
	v_and_b32_e32 v25, exec_hi, v25
	v_xor_b32_e32 v36, s23, v22
	v_mov_b32_e32 v38, v23
	v_not_b32_e32 v33, v39
	v_ashrrev_i32_e32 v32, 31, v32
	v_and_b32_e32 v24, exec_lo, v24
	v_xor_b32_e32 v22, s22, v22
	v_xor_b32_e32 v37, s25, v31
	v_and_b32_e32 v25, v25, v36
	v_mov_b32_e32 v40, v23
	v_cmp_gt_i64_e64 s[30:31], 0, v[38:39]
	v_not_b32_e32 v34, v41
	v_ashrrev_i32_e32 v33, 31, v33
	v_xor_b32_e32 v38, s27, v32
	v_and_b32_e32 v22, v24, v22
	v_and_b32_e32 v24, v25, v37
	v_mov_b32_e32 v42, v23
	v_cmp_gt_i64_e64 s[34:35], 0, v[40:41]
	v_not_b32_e32 v35, v43
	v_ashrrev_i32_e32 v34, 31, v34
	v_xor_b32_e32 v39, s31, v33
	v_and_b32_e32 v24, v24, v38
	v_cmp_gt_i64_e64 s[36:37], 0, v[42:43]
	v_ashrrev_i32_e32 v35, 31, v35
	v_xor_b32_e32 v40, s35, v34
	v_and_b32_e32 v24, v24, v39
	v_xor_b32_e32 v31, s24, v31
	v_xor_b32_e32 v41, s37, v35
	v_and_b32_e32 v24, v24, v40
	v_xor_b32_e32 v32, s26, v32
	v_and_b32_e32 v22, v22, v31
	v_and_b32_e32 v31, v24, v41
	v_xor_b32_e32 v33, s30, v33
	v_and_b32_e32 v22, v22, v32
	v_mov_b32_e32 v44, v23
	v_xor_b32_e32 v34, s34, v34
	v_and_b32_e32 v22, v22, v33
	v_cmp_gt_i64_e64 s[38:39], 0, v[44:45]
	v_xor_b32_e32 v35, s36, v35
	v_and_b32_e32 v22, v22, v34
	v_and_b32_e32 v22, v22, v35
	v_mul_u32_u24_e32 v5, 20, v2
	ds_write2_b32 v5, v23, v23 offset0:16 offset1:17
	ds_write2_b32 v5, v23, v23 offset0:18 offset1:19
	ds_write_b32 v5, v23 offset:80
	s_waitcnt lgkmcnt(0)
	s_barrier
	s_waitcnt vmcnt(0)
	; wave barrier
	v_mad_u64_u32 v[24:25], s[20:21], v27, v1, v[2:3]
	v_lshrrev_b32_e32 v1, 4, v24
	v_and_b32_e32 v40, 0xffffffc, v1
	v_not_b32_e32 v1, v45
	v_ashrrev_i32_e32 v1, 31, v1
	v_xor_b32_e32 v24, s39, v1
	v_xor_b32_e32 v1, s38, v1
	v_and_b32_e32 v25, v31, v24
	v_and_b32_e32 v24, v22, v1
	v_mbcnt_lo_u32_b32 v1, v24, 0
	v_mbcnt_hi_u32_b32 v31, v25, v1
	v_cmp_eq_u32_e64 s[20:21], 0, v31
	v_cmp_ne_u64_e64 s[22:23], 0, v[24:25]
	s_and_b64 s[22:23], s[22:23], s[20:21]
	v_add_u32_e32 v27, v40, v46
	s_and_saveexec_b64 s[20:21], s[22:23]
; %bb.22:
	v_bcnt_u32_b32 v1, v24, 0
	v_bcnt_u32_b32 v1, v25, v1
	ds_write_b32 v27, v1 offset:64
; %bb.23:
	s_or_b64 exec, exec, s[20:21]
	v_lshrrev_b64 v[24:25], s52, v[6:7]
	v_and_b32_e32 v32, s59, v24
	v_and_b32_e32 v22, 1, v32
	v_lshl_add_u64 v[24:25], v[22:23], 0, -1
	v_cmp_ne_u32_e64 s[20:21], 0, v22
	v_mul_lo_u32 v1, v32, s60
	v_add_u32_e32 v34, v40, v1
	v_xor_b32_e32 v24, s20, v24
	v_xor_b32_e32 v22, s21, v25
	v_and_b32_e32 v33, exec_lo, v24
	v_lshlrev_b32_e32 v25, 30, v32
	v_mov_b32_e32 v24, v23
	v_cmp_gt_i64_e64 s[20:21], 0, v[24:25]
	v_not_b32_e32 v24, v25
	v_ashrrev_i32_e32 v24, 31, v24
	v_and_b32_e32 v22, exec_hi, v22
	v_xor_b32_e32 v25, s21, v24
	v_xor_b32_e32 v24, s20, v24
	v_and_b32_e32 v22, v22, v25
	v_and_b32_e32 v33, v33, v24
	v_lshlrev_b32_e32 v25, 29, v32
	v_mov_b32_e32 v24, v23
	v_cmp_gt_i64_e64 s[20:21], 0, v[24:25]
	v_not_b32_e32 v24, v25
	v_ashrrev_i32_e32 v24, 31, v24
	v_xor_b32_e32 v25, s21, v24
	v_xor_b32_e32 v24, s20, v24
	v_and_b32_e32 v22, v22, v25
	v_and_b32_e32 v33, v33, v24
	v_lshlrev_b32_e32 v25, 28, v32
	v_mov_b32_e32 v24, v23
	v_cmp_gt_i64_e64 s[20:21], 0, v[24:25]
	v_not_b32_e32 v24, v25
	v_ashrrev_i32_e32 v24, 31, v24
	;; [unrolled: 9-line block ×5, first 2 shown]
	v_xor_b32_e32 v25, s21, v24
	v_xor_b32_e32 v24, s20, v24
	v_and_b32_e32 v22, v22, v25
	v_lshlrev_b32_e32 v25, 24, v32
	v_and_b32_e32 v33, v33, v24
	v_mov_b32_e32 v24, v23
	v_not_b32_e32 v23, v25
	v_cmp_gt_i64_e64 s[20:21], 0, v[24:25]
	v_ashrrev_i32_e32 v23, 31, v23
	s_nop 0
	v_xor_b32_e32 v24, s21, v23
	v_xor_b32_e32 v25, s20, v23
	; wave barrier
	ds_read_b32 v1, v34 offset:64
	v_and_b32_e32 v23, v22, v24
	v_and_b32_e32 v22, v33, v25
	v_mbcnt_lo_u32_b32 v24, v22, 0
	v_mbcnt_hi_u32_b32 v32, v23, v24
	v_cmp_eq_u32_e64 s[20:21], 0, v32
	v_cmp_ne_u64_e64 s[22:23], 0, v[22:23]
	s_and_b64 s[22:23], s[22:23], s[20:21]
	; wave barrier
	s_and_saveexec_b64 s[20:21], s[22:23]
	s_cbranch_execz .LBB529_25
; %bb.24:
	v_bcnt_u32_b32 v22, v22, 0
	v_bcnt_u32_b32 v22, v23, v22
	s_waitcnt lgkmcnt(0)
	v_add_u32_e32 v22, v1, v22
	ds_write_b32 v34, v22 offset:64
.LBB529_25:
	s_or_b64 exec, exec, s[20:21]
	v_lshrrev_b64 v[22:23], s52, v[12:13]
	v_and_b32_e32 v35, s59, v22
	s_movk_i32 s24, 0x44
	v_mul_lo_u32 v22, v35, s24
	v_add_u32_e32 v37, v40, v22
	v_and_b32_e32 v22, 1, v35
	v_mov_b32_e32 v23, 0
	v_lshl_add_u64 v[24:25], v[22:23], 0, -1
	v_cmp_ne_u32_e64 s[20:21], 0, v22
	; wave barrier
	s_nop 1
	v_xor_b32_e32 v24, s20, v24
	v_xor_b32_e32 v22, s21, v25
	v_and_b32_e32 v36, exec_lo, v24
	v_lshlrev_b32_e32 v25, 30, v35
	v_mov_b32_e32 v24, v23
	v_cmp_gt_i64_e64 s[20:21], 0, v[24:25]
	v_not_b32_e32 v24, v25
	v_ashrrev_i32_e32 v24, 31, v24
	v_and_b32_e32 v22, exec_hi, v22
	v_xor_b32_e32 v25, s21, v24
	v_xor_b32_e32 v24, s20, v24
	v_and_b32_e32 v22, v22, v25
	v_and_b32_e32 v36, v36, v24
	v_lshlrev_b32_e32 v25, 29, v35
	v_mov_b32_e32 v24, v23
	v_cmp_gt_i64_e64 s[20:21], 0, v[24:25]
	v_not_b32_e32 v24, v25
	v_ashrrev_i32_e32 v24, 31, v24
	v_xor_b32_e32 v25, s21, v24
	v_xor_b32_e32 v24, s20, v24
	v_and_b32_e32 v22, v22, v25
	v_and_b32_e32 v36, v36, v24
	v_lshlrev_b32_e32 v25, 28, v35
	v_mov_b32_e32 v24, v23
	v_cmp_gt_i64_e64 s[20:21], 0, v[24:25]
	v_not_b32_e32 v24, v25
	v_ashrrev_i32_e32 v24, 31, v24
	;; [unrolled: 9-line block ×6, first 2 shown]
	v_xor_b32_e32 v25, s21, v24
	v_xor_b32_e32 v24, s20, v24
	ds_read_b32 v33, v37 offset:64
	v_and_b32_e32 v24, v36, v24
	v_and_b32_e32 v25, v22, v25
	v_mbcnt_lo_u32_b32 v22, v24, 0
	v_mbcnt_hi_u32_b32 v35, v25, v22
	v_cmp_eq_u32_e64 s[20:21], 0, v35
	v_cmp_ne_u64_e64 s[22:23], 0, v[24:25]
	s_and_b64 s[22:23], s[22:23], s[20:21]
	; wave barrier
	s_and_saveexec_b64 s[20:21], s[22:23]
	s_cbranch_execz .LBB529_27
; %bb.26:
	v_bcnt_u32_b32 v22, v24, 0
	v_bcnt_u32_b32 v22, v25, v22
	s_waitcnt lgkmcnt(0)
	v_add_u32_e32 v22, v33, v22
	ds_write_b32 v37, v22 offset:64
.LBB529_27:
	s_or_b64 exec, exec, s[20:21]
	v_lshrrev_b64 v[24:25], s52, v[10:11]
	v_and_b32_e32 v38, s59, v24
	v_mul_lo_u32 v22, v38, s24
	v_add_u32_e32 v41, v40, v22
	v_and_b32_e32 v22, 1, v38
	v_lshl_add_u64 v[24:25], v[22:23], 0, -1
	v_cmp_ne_u32_e64 s[20:21], 0, v22
	; wave barrier
	s_nop 1
	v_xor_b32_e32 v24, s20, v24
	v_xor_b32_e32 v22, s21, v25
	v_and_b32_e32 v39, exec_lo, v24
	v_lshlrev_b32_e32 v25, 30, v38
	v_mov_b32_e32 v24, v23
	v_cmp_gt_i64_e64 s[20:21], 0, v[24:25]
	v_not_b32_e32 v24, v25
	v_ashrrev_i32_e32 v24, 31, v24
	v_and_b32_e32 v22, exec_hi, v22
	v_xor_b32_e32 v25, s21, v24
	v_xor_b32_e32 v24, s20, v24
	v_and_b32_e32 v22, v22, v25
	v_and_b32_e32 v39, v39, v24
	v_lshlrev_b32_e32 v25, 29, v38
	v_mov_b32_e32 v24, v23
	v_cmp_gt_i64_e64 s[20:21], 0, v[24:25]
	v_not_b32_e32 v24, v25
	v_ashrrev_i32_e32 v24, 31, v24
	v_xor_b32_e32 v25, s21, v24
	v_xor_b32_e32 v24, s20, v24
	v_and_b32_e32 v22, v22, v25
	v_and_b32_e32 v39, v39, v24
	v_lshlrev_b32_e32 v25, 28, v38
	v_mov_b32_e32 v24, v23
	v_cmp_gt_i64_e64 s[20:21], 0, v[24:25]
	v_not_b32_e32 v24, v25
	v_ashrrev_i32_e32 v24, 31, v24
	;; [unrolled: 9-line block ×5, first 2 shown]
	v_xor_b32_e32 v25, s21, v24
	v_xor_b32_e32 v24, s20, v24
	v_and_b32_e32 v22, v22, v25
	v_lshlrev_b32_e32 v25, 24, v38
	v_and_b32_e32 v39, v39, v24
	v_mov_b32_e32 v24, v23
	v_not_b32_e32 v23, v25
	v_cmp_gt_i64_e64 s[20:21], 0, v[24:25]
	v_ashrrev_i32_e32 v23, 31, v23
	ds_read_b32 v36, v41 offset:64
	v_xor_b32_e32 v24, s21, v23
	v_xor_b32_e32 v25, s20, v23
	v_and_b32_e32 v23, v22, v24
	v_and_b32_e32 v22, v39, v25
	v_mbcnt_lo_u32_b32 v24, v22, 0
	v_mbcnt_hi_u32_b32 v38, v23, v24
	v_cmp_eq_u32_e64 s[20:21], 0, v38
	v_cmp_ne_u64_e64 s[22:23], 0, v[22:23]
	s_and_b64 s[22:23], s[22:23], s[20:21]
	; wave barrier
	s_and_saveexec_b64 s[20:21], s[22:23]
	s_cbranch_execz .LBB529_29
; %bb.28:
	v_bcnt_u32_b32 v22, v22, 0
	v_bcnt_u32_b32 v22, v23, v22
	s_waitcnt lgkmcnt(0)
	v_add_u32_e32 v22, v36, v22
	ds_write_b32 v41, v22 offset:64
.LBB529_29:
	s_or_b64 exec, exec, s[20:21]
	v_lshrrev_b64 v[22:23], s52, v[16:17]
	v_and_b32_e32 v42, s59, v22
	v_mul_lo_u32 v22, v42, s24
	v_add_u32_e32 v44, v40, v22
	v_and_b32_e32 v22, 1, v42
	v_mov_b32_e32 v23, 0
	v_lshl_add_u64 v[24:25], v[22:23], 0, -1
	v_cmp_ne_u32_e64 s[20:21], 0, v22
	; wave barrier
	s_nop 1
	v_xor_b32_e32 v24, s20, v24
	v_xor_b32_e32 v22, s21, v25
	v_and_b32_e32 v43, exec_lo, v24
	v_lshlrev_b32_e32 v25, 30, v42
	v_mov_b32_e32 v24, v23
	v_cmp_gt_i64_e64 s[20:21], 0, v[24:25]
	v_not_b32_e32 v24, v25
	v_ashrrev_i32_e32 v24, 31, v24
	v_and_b32_e32 v22, exec_hi, v22
	v_xor_b32_e32 v25, s21, v24
	v_xor_b32_e32 v24, s20, v24
	v_and_b32_e32 v22, v22, v25
	v_and_b32_e32 v43, v43, v24
	v_lshlrev_b32_e32 v25, 29, v42
	v_mov_b32_e32 v24, v23
	v_cmp_gt_i64_e64 s[20:21], 0, v[24:25]
	v_not_b32_e32 v24, v25
	v_ashrrev_i32_e32 v24, 31, v24
	v_xor_b32_e32 v25, s21, v24
	v_xor_b32_e32 v24, s20, v24
	v_and_b32_e32 v22, v22, v25
	v_and_b32_e32 v43, v43, v24
	v_lshlrev_b32_e32 v25, 28, v42
	v_mov_b32_e32 v24, v23
	v_cmp_gt_i64_e64 s[20:21], 0, v[24:25]
	v_not_b32_e32 v24, v25
	v_ashrrev_i32_e32 v24, 31, v24
	;; [unrolled: 9-line block ×6, first 2 shown]
	v_xor_b32_e32 v25, s21, v24
	v_xor_b32_e32 v24, s20, v24
	ds_read_b32 v39, v44 offset:64
	v_and_b32_e32 v24, v43, v24
	v_and_b32_e32 v25, v22, v25
	v_mbcnt_lo_u32_b32 v22, v24, 0
	v_mbcnt_hi_u32_b32 v42, v25, v22
	v_cmp_eq_u32_e64 s[20:21], 0, v42
	v_cmp_ne_u64_e64 s[22:23], 0, v[24:25]
	s_and_b64 s[22:23], s[22:23], s[20:21]
	; wave barrier
	s_and_saveexec_b64 s[20:21], s[22:23]
	s_cbranch_execz .LBB529_31
; %bb.30:
	v_bcnt_u32_b32 v22, v24, 0
	v_bcnt_u32_b32 v22, v25, v22
	s_waitcnt lgkmcnt(0)
	v_add_u32_e32 v22, v39, v22
	ds_write_b32 v44, v22 offset:64
.LBB529_31:
	s_or_b64 exec, exec, s[20:21]
	v_lshrrev_b64 v[24:25], s52, v[14:15]
	v_and_b32_e32 v45, s59, v24
	v_mul_lo_u32 v22, v45, s24
	v_add_u32_e32 v47, v40, v22
	v_and_b32_e32 v22, 1, v45
	v_lshl_add_u64 v[24:25], v[22:23], 0, -1
	v_cmp_ne_u32_e64 s[20:21], 0, v22
	; wave barrier
	s_nop 1
	v_xor_b32_e32 v24, s20, v24
	v_xor_b32_e32 v22, s21, v25
	v_and_b32_e32 v46, exec_lo, v24
	v_lshlrev_b32_e32 v25, 30, v45
	v_mov_b32_e32 v24, v23
	v_cmp_gt_i64_e64 s[20:21], 0, v[24:25]
	v_not_b32_e32 v24, v25
	v_ashrrev_i32_e32 v24, 31, v24
	v_and_b32_e32 v22, exec_hi, v22
	v_xor_b32_e32 v25, s21, v24
	v_xor_b32_e32 v24, s20, v24
	v_and_b32_e32 v22, v22, v25
	v_and_b32_e32 v46, v46, v24
	v_lshlrev_b32_e32 v25, 29, v45
	v_mov_b32_e32 v24, v23
	v_cmp_gt_i64_e64 s[20:21], 0, v[24:25]
	v_not_b32_e32 v24, v25
	v_ashrrev_i32_e32 v24, 31, v24
	v_xor_b32_e32 v25, s21, v24
	v_xor_b32_e32 v24, s20, v24
	v_and_b32_e32 v22, v22, v25
	v_and_b32_e32 v46, v46, v24
	v_lshlrev_b32_e32 v25, 28, v45
	v_mov_b32_e32 v24, v23
	v_cmp_gt_i64_e64 s[20:21], 0, v[24:25]
	v_not_b32_e32 v24, v25
	v_ashrrev_i32_e32 v24, 31, v24
	;; [unrolled: 9-line block ×5, first 2 shown]
	v_xor_b32_e32 v25, s21, v24
	v_xor_b32_e32 v24, s20, v24
	v_and_b32_e32 v22, v22, v25
	v_lshlrev_b32_e32 v25, 24, v45
	v_and_b32_e32 v46, v46, v24
	v_mov_b32_e32 v24, v23
	v_not_b32_e32 v23, v25
	v_cmp_gt_i64_e64 s[20:21], 0, v[24:25]
	v_ashrrev_i32_e32 v23, 31, v23
	ds_read_b32 v43, v47 offset:64
	v_xor_b32_e32 v24, s21, v23
	v_xor_b32_e32 v25, s20, v23
	v_and_b32_e32 v23, v22, v24
	v_and_b32_e32 v22, v46, v25
	v_mbcnt_lo_u32_b32 v24, v22, 0
	v_mbcnt_hi_u32_b32 v45, v23, v24
	v_cmp_eq_u32_e64 s[20:21], 0, v45
	v_cmp_ne_u64_e64 s[22:23], 0, v[22:23]
	s_and_b64 s[22:23], s[22:23], s[20:21]
	; wave barrier
	s_and_saveexec_b64 s[20:21], s[22:23]
	s_cbranch_execz .LBB529_33
; %bb.32:
	v_bcnt_u32_b32 v22, v22, 0
	v_bcnt_u32_b32 v22, v23, v22
	s_waitcnt lgkmcnt(0)
	v_add_u32_e32 v22, v43, v22
	ds_write_b32 v47, v22 offset:64
.LBB529_33:
	s_or_b64 exec, exec, s[20:21]
	v_lshrrev_b64 v[22:23], s52, v[20:21]
	v_and_b32_e32 v48, s59, v22
	v_mul_lo_u32 v22, v48, s24
	v_add_u32_e32 v50, v40, v22
	v_and_b32_e32 v22, 1, v48
	v_mov_b32_e32 v23, 0
	v_lshl_add_u64 v[24:25], v[22:23], 0, -1
	v_cmp_ne_u32_e64 s[20:21], 0, v22
	; wave barrier
	s_nop 1
	v_xor_b32_e32 v24, s20, v24
	v_xor_b32_e32 v22, s21, v25
	v_and_b32_e32 v49, exec_lo, v24
	v_lshlrev_b32_e32 v25, 30, v48
	v_mov_b32_e32 v24, v23
	v_cmp_gt_i64_e64 s[20:21], 0, v[24:25]
	v_not_b32_e32 v24, v25
	v_ashrrev_i32_e32 v24, 31, v24
	v_and_b32_e32 v22, exec_hi, v22
	v_xor_b32_e32 v25, s21, v24
	v_xor_b32_e32 v24, s20, v24
	v_and_b32_e32 v22, v22, v25
	v_and_b32_e32 v49, v49, v24
	v_lshlrev_b32_e32 v25, 29, v48
	v_mov_b32_e32 v24, v23
	v_cmp_gt_i64_e64 s[20:21], 0, v[24:25]
	v_not_b32_e32 v24, v25
	v_ashrrev_i32_e32 v24, 31, v24
	v_xor_b32_e32 v25, s21, v24
	v_xor_b32_e32 v24, s20, v24
	v_and_b32_e32 v22, v22, v25
	v_and_b32_e32 v49, v49, v24
	v_lshlrev_b32_e32 v25, 28, v48
	v_mov_b32_e32 v24, v23
	v_cmp_gt_i64_e64 s[20:21], 0, v[24:25]
	v_not_b32_e32 v24, v25
	v_ashrrev_i32_e32 v24, 31, v24
	;; [unrolled: 9-line block ×6, first 2 shown]
	v_xor_b32_e32 v25, s21, v24
	v_xor_b32_e32 v24, s20, v24
	ds_read_b32 v46, v50 offset:64
	v_and_b32_e32 v24, v49, v24
	v_and_b32_e32 v25, v22, v25
	v_mbcnt_lo_u32_b32 v22, v24, 0
	v_mbcnt_hi_u32_b32 v48, v25, v22
	v_cmp_eq_u32_e64 s[20:21], 0, v48
	v_cmp_ne_u64_e64 s[22:23], 0, v[24:25]
	s_and_b64 s[22:23], s[22:23], s[20:21]
	; wave barrier
	s_and_saveexec_b64 s[20:21], s[22:23]
	s_cbranch_execz .LBB529_35
; %bb.34:
	v_bcnt_u32_b32 v22, v24, 0
	v_bcnt_u32_b32 v22, v25, v22
	s_waitcnt lgkmcnt(0)
	v_add_u32_e32 v22, v46, v22
	ds_write_b32 v50, v22 offset:64
.LBB529_35:
	s_or_b64 exec, exec, s[20:21]
	v_lshrrev_b64 v[24:25], s52, v[18:19]
	v_and_b32_e32 v51, s59, v24
	v_mul_lo_u32 v22, v51, s24
	v_add_u32_e32 v40, v40, v22
	v_and_b32_e32 v22, 1, v51
	v_lshl_add_u64 v[24:25], v[22:23], 0, -1
	v_cmp_ne_u32_e64 s[20:21], 0, v22
	; wave barrier
	s_nop 1
	v_xor_b32_e32 v24, s20, v24
	v_xor_b32_e32 v22, s21, v25
	v_and_b32_e32 v52, exec_lo, v24
	v_lshlrev_b32_e32 v25, 30, v51
	v_mov_b32_e32 v24, v23
	v_cmp_gt_i64_e64 s[20:21], 0, v[24:25]
	v_not_b32_e32 v24, v25
	v_ashrrev_i32_e32 v24, 31, v24
	v_and_b32_e32 v22, exec_hi, v22
	v_xor_b32_e32 v25, s21, v24
	v_xor_b32_e32 v24, s20, v24
	v_and_b32_e32 v22, v22, v25
	v_and_b32_e32 v52, v52, v24
	v_lshlrev_b32_e32 v25, 29, v51
	v_mov_b32_e32 v24, v23
	v_cmp_gt_i64_e64 s[20:21], 0, v[24:25]
	v_not_b32_e32 v24, v25
	v_ashrrev_i32_e32 v24, 31, v24
	v_xor_b32_e32 v25, s21, v24
	v_xor_b32_e32 v24, s20, v24
	v_and_b32_e32 v22, v22, v25
	v_and_b32_e32 v52, v52, v24
	v_lshlrev_b32_e32 v25, 28, v51
	v_mov_b32_e32 v24, v23
	v_cmp_gt_i64_e64 s[20:21], 0, v[24:25]
	v_not_b32_e32 v24, v25
	v_ashrrev_i32_e32 v24, 31, v24
	v_xor_b32_e32 v25, s21, v24
	v_xor_b32_e32 v24, s20, v24
	v_and_b32_e32 v22, v22, v25
	v_and_b32_e32 v52, v52, v24
	v_lshlrev_b32_e32 v25, 27, v51
	v_mov_b32_e32 v24, v23
	v_cmp_gt_i64_e64 s[20:21], 0, v[24:25]
	v_not_b32_e32 v24, v25
	v_ashrrev_i32_e32 v24, 31, v24
	v_xor_b32_e32 v25, s21, v24
	v_xor_b32_e32 v24, s20, v24
	v_and_b32_e32 v22, v22, v25
	v_and_b32_e32 v52, v52, v24
	v_lshlrev_b32_e32 v25, 26, v51
	v_mov_b32_e32 v24, v23
	v_cmp_gt_i64_e64 s[20:21], 0, v[24:25]
	v_not_b32_e32 v24, v25
	v_ashrrev_i32_e32 v24, 31, v24
	v_xor_b32_e32 v25, s21, v24
	v_xor_b32_e32 v24, s20, v24
	v_and_b32_e32 v22, v22, v25
	v_and_b32_e32 v52, v52, v24
	v_lshlrev_b32_e32 v25, 25, v51
	v_mov_b32_e32 v24, v23
	v_cmp_gt_i64_e64 s[20:21], 0, v[24:25]
	v_not_b32_e32 v24, v25
	v_ashrrev_i32_e32 v24, 31, v24
	v_xor_b32_e32 v25, s21, v24
	v_xor_b32_e32 v24, s20, v24
	v_and_b32_e32 v22, v22, v25
	v_lshlrev_b32_e32 v25, 24, v51
	v_and_b32_e32 v52, v52, v24
	v_mov_b32_e32 v24, v23
	v_not_b32_e32 v23, v25
	v_cmp_gt_i64_e64 s[20:21], 0, v[24:25]
	v_ashrrev_i32_e32 v23, 31, v23
	ds_read_b32 v49, v40 offset:64
	v_xor_b32_e32 v24, s21, v23
	v_xor_b32_e32 v25, s20, v23
	v_and_b32_e32 v23, v22, v24
	v_and_b32_e32 v22, v52, v25
	v_mbcnt_lo_u32_b32 v24, v22, 0
	v_mbcnt_hi_u32_b32 v51, v23, v24
	v_cmp_eq_u32_e64 s[20:21], 0, v51
	v_cmp_ne_u64_e64 s[22:23], 0, v[22:23]
	s_and_b64 s[22:23], s[22:23], s[20:21]
	; wave barrier
	s_and_saveexec_b64 s[20:21], s[22:23]
	s_cbranch_execz .LBB529_37
; %bb.36:
	v_bcnt_u32_b32 v22, v22, 0
	v_bcnt_u32_b32 v22, v23, v22
	s_waitcnt lgkmcnt(0)
	v_add_u32_e32 v22, v49, v22
	ds_write_b32 v40, v22 offset:64
.LBB529_37:
	s_or_b64 exec, exec, s[20:21]
	; wave barrier
	s_waitcnt lgkmcnt(0)
	s_barrier
	ds_read2_b32 v[24:25], v5 offset0:16 offset1:17
	ds_read2_b32 v[22:23], v5 offset0:18 offset1:19
	ds_read_b32 v52, v5 offset:80
	v_cmp_lt_u32_e64 s[30:31], 31, v26
	s_waitcnt lgkmcnt(1)
	v_add3_u32 v53, v25, v24, v22
	s_waitcnt lgkmcnt(0)
	v_add3_u32 v52, v53, v23, v52
	v_and_b32_e32 v53, 15, v26
	v_cmp_eq_u32_e64 s[20:21], 0, v53
	v_mov_b32_dpp v54, v52 row_shr:1 row_mask:0xf bank_mask:0xf
	v_cmp_lt_u32_e64 s[22:23], 1, v53
	v_cndmask_b32_e64 v54, v54, 0, s[20:21]
	v_add_u32_e32 v52, v54, v52
	v_cmp_lt_u32_e64 s[24:25], 3, v53
	v_cmp_lt_u32_e64 s[26:27], 7, v53
	v_mov_b32_dpp v54, v52 row_shr:2 row_mask:0xf bank_mask:0xf
	v_cndmask_b32_e64 v54, 0, v54, s[22:23]
	v_add_u32_e32 v52, v52, v54
	s_nop 1
	v_mov_b32_dpp v54, v52 row_shr:4 row_mask:0xf bank_mask:0xf
	v_cndmask_b32_e64 v54, 0, v54, s[24:25]
	v_add_u32_e32 v52, v52, v54
	s_nop 1
	v_mov_b32_dpp v54, v52 row_shr:8 row_mask:0xf bank_mask:0xf
	v_cndmask_b32_e64 v53, 0, v54, s[26:27]
	v_add_u32_e32 v52, v52, v53
	v_bfe_i32 v54, v26, 4, 1
	s_nop 0
	v_mov_b32_dpp v53, v52 row_bcast:15 row_mask:0xf bank_mask:0xf
	v_and_b32_e32 v53, v54, v53
	v_add_u32_e32 v52, v52, v53
	v_and_b32_e32 v54, 63, v2
	s_nop 0
	v_mov_b32_dpp v53, v52 row_bcast:31 row_mask:0xf bank_mask:0xf
	v_cndmask_b32_e64 v53, 0, v53, s[30:31]
	v_add_u32_e32 v52, v52, v53
	v_lshrrev_b32_e32 v53, 6, v2
	v_cmp_eq_u32_e64 s[30:31], 63, v54
	s_and_saveexec_b64 s[34:35], s[30:31]
; %bb.38:
	v_lshlrev_b32_e32 v54, 2, v53
	ds_write_b32 v54, v52
; %bb.39:
	s_or_b64 exec, exec, s[34:35]
	v_cmp_gt_u32_e64 s[30:31], 16, v2
	s_waitcnt lgkmcnt(0)
	s_barrier
	s_and_saveexec_b64 s[34:35], s[30:31]
	s_cbranch_execz .LBB529_41
; %bb.40:
	v_lshlrev_b32_e32 v54, 2, v2
	ds_read_b32 v55, v54
	s_waitcnt lgkmcnt(0)
	s_nop 0
	v_mov_b32_dpp v56, v55 row_shr:1 row_mask:0xf bank_mask:0xf
	v_cndmask_b32_e64 v56, v56, 0, s[20:21]
	v_add_u32_e32 v55, v56, v55
	s_nop 1
	v_mov_b32_dpp v56, v55 row_shr:2 row_mask:0xf bank_mask:0xf
	v_cndmask_b32_e64 v56, 0, v56, s[22:23]
	v_add_u32_e32 v55, v55, v56
	;; [unrolled: 4-line block ×4, first 2 shown]
	ds_write_b32 v54, v55
.LBB529_41:
	s_or_b64 exec, exec, s[34:35]
	v_cmp_lt_u32_e64 s[20:21], 63, v2
	v_mov_b32_e32 v54, 0
	s_waitcnt lgkmcnt(0)
	s_barrier
	s_and_saveexec_b64 s[22:23], s[20:21]
; %bb.42:
	v_lshl_add_u32 v53, v53, 2, -4
	ds_read_b32 v54, v53
; %bb.43:
	s_or_b64 exec, exec, s[22:23]
	v_subrev_co_u32_e64 v53, s[20:21], 1, v26
	v_and_b32_e32 v55, 64, v26
	v_cmp_lt_i32_e64 s[22:23], v53, v55
	s_waitcnt lgkmcnt(0)
	v_add_u32_e32 v52, v54, v52
	s_movk_i32 s24, 0x100
	v_cndmask_b32_e64 v26, v53, v26, s[22:23]
	v_lshlrev_b32_e32 v26, 2, v26
	ds_bpermute_b32 v26, v26, v52
	v_cmp_gt_u32_e64 s[22:23], s24, v2
	s_waitcnt lgkmcnt(0)
	v_cndmask_b32_e64 v26, v26, v54, s[20:21]
	v_cndmask_b32_e64 v26, v26, 0, s[18:19]
	v_add_u32_e32 v24, v26, v24
	v_add_u32_e32 v25, v24, v25
	v_add_u32_e32 v22, v25, v22
	v_add_u32_e32 v23, v22, v23
	ds_write2_b32 v5, v26, v24 offset0:16 offset1:17
	ds_write2_b32 v5, v25, v22 offset0:18 offset1:19
	ds_write_b32 v5, v23 offset:80
	s_waitcnt lgkmcnt(0)
	s_barrier
	ds_read_b32 v55, v27 offset:64
	ds_read_b32 v5, v34 offset:64
	;; [unrolled: 1-line block ×8, first 2 shown]
	s_movk_i32 s20, 0xff
	v_cmp_lt_u32_e64 s[20:21], s20, v2
                                        ; implicit-def: $vgpr34
                                        ; implicit-def: $vgpr37
	s_and_saveexec_b64 s[26:27], s[22:23]
	s_cbranch_execz .LBB529_47
; %bb.44:
	v_mul_u32_u24_e32 v22, 0x44, v2
	ds_read_b32 v34, v22 offset:64
	v_add_u32_e32 v23, 1, v2
	v_cmp_ne_u32_e64 s[24:25], s24, v23
	v_mov_b32_e32 v22, 0x2000
	s_and_saveexec_b64 s[30:31], s[24:25]
; %bb.45:
	v_mul_u32_u24_e32 v22, 0x44, v23
	ds_read_b32 v22, v22 offset:64
; %bb.46:
	s_or_b64 exec, exec, s[30:31]
	s_waitcnt lgkmcnt(0)
	v_sub_u32_e32 v37, v22, v34
.LBB529_47:
	s_or_b64 exec, exec, s[26:27]
	v_mov_b32_e32 v23, 0
	v_lshlrev_b32_e32 v40, 2, v2
	s_waitcnt lgkmcnt(0)
	s_barrier
	s_and_saveexec_b64 s[24:25], s[22:23]
	s_cbranch_execz .LBB529_57
; %bb.48:
	v_lshl_add_u32 v22, s33, 8, v2
	v_lshl_add_u64 v[24:25], v[22:23], 2, s[56:57]
	v_or_b32_e32 v22, 2.0, v37
	s_mov_b64 s[26:27], 0
	s_brev_b32 s36, -4
	s_mov_b32 s37, s33
	v_mov_b32_e32 v50, 0
	global_store_dword v[24:25], v22, off sc1
                                        ; implicit-def: $sgpr22_sgpr23
	s_branch .LBB529_51
.LBB529_49:                             ;   in Loop: Header=BB529_51 Depth=1
	s_or_b64 exec, exec, s[34:35]
.LBB529_50:                             ;   in Loop: Header=BB529_51 Depth=1
	s_or_b64 exec, exec, s[30:31]
	v_and_b32_e32 v26, 0x3fffffff, v22
	v_add_u32_e32 v50, v26, v50
	v_cmp_gt_i32_e64 s[22:23], -2.0, v22
	s_and_b64 s[30:31], exec, s[22:23]
	s_or_b64 s[26:27], s[30:31], s[26:27]
	s_andn2_b64 exec, exec, s[26:27]
	s_cbranch_execz .LBB529_56
.LBB529_51:                             ; =>This Loop Header: Depth=1
                                        ;     Child Loop BB529_54 Depth 2
	s_or_b64 s[22:23], s[22:23], exec
	s_cmp_eq_u32 s37, 0
	s_cbranch_scc1 .LBB529_55
; %bb.52:                               ;   in Loop: Header=BB529_51 Depth=1
	s_add_i32 s37, s37, -1
	v_lshl_or_b32 v22, s37, 8, v2
	v_lshl_add_u64 v[26:27], v[22:23], 2, s[56:57]
	global_load_dword v22, v[26:27], off sc1
	s_waitcnt vmcnt(0)
	v_cmp_gt_u32_e64 s[22:23], 2.0, v22
	s_and_saveexec_b64 s[30:31], s[22:23]
	s_cbranch_execz .LBB529_50
; %bb.53:                               ;   in Loop: Header=BB529_51 Depth=1
	s_mov_b64 s[34:35], 0
.LBB529_54:                             ;   Parent Loop BB529_51 Depth=1
                                        ; =>  This Inner Loop Header: Depth=2
	global_load_dword v22, v[26:27], off sc1
	s_waitcnt vmcnt(0)
	v_cmp_lt_u32_e64 s[22:23], s36, v22
	s_or_b64 s[34:35], s[22:23], s[34:35]
	s_andn2_b64 exec, exec, s[34:35]
	s_cbranch_execnz .LBB529_54
	s_branch .LBB529_49
.LBB529_55:                             ;   in Loop: Header=BB529_51 Depth=1
                                        ; implicit-def: $sgpr37
	s_and_b64 s[30:31], exec, s[22:23]
	s_or_b64 s[26:27], s[30:31], s[26:27]
	s_andn2_b64 exec, exec, s[26:27]
	s_cbranch_execnz .LBB529_51
.LBB529_56:
	s_or_b64 exec, exec, s[26:27]
	v_add_u32_e32 v22, v50, v37
	v_or_b32_e32 v22, 0x80000000, v22
	global_store_dword v[24:25], v22, off sc1
	global_load_dword v22, v40, s[48:49]
	v_sub_u32_e32 v23, v50, v34
	s_waitcnt vmcnt(0)
	v_add_u32_e32 v22, v23, v22
	ds_write_b32 v40, v22
.LBB529_57:
	s_or_b64 exec, exec, s[24:25]
	s_load_dwordx2 s[22:23], s[0:1], 0x4
	v_add_u32_e32 v24, v55, v31
	v_add3_u32 v22, v32, v1, v5
	v_add3_u32 v23, v35, v33, v52
	;; [unrolled: 1-line block ×3, first 2 shown]
	s_waitcnt lgkmcnt(0)
	s_lshr_b32 s0, s22, 16
	s_mul_i32 s0, s0, s23
	v_mul_lo_u32 v25, s0, v2
	v_mul_u32_u24_e32 v27, s23, v3
	v_add3_u32 v25, v25, v27, v28
	v_mov_b32_e32 v27, 0x5050
	v_add3_u32 v55, v42, v39, v54
	v_add3_u32 v56, v45, v43, v47
	;; [unrolled: 1-line block ×4, first 2 shown]
	v_lshl_add_u32 v25, v25, 5, v27
	v_mov_b32_e32 v57, 0x400
	s_movk_i32 s24, 0x400
	v_lshl_add_u32 v26, v26, 3, v57
	v_add3_u32 v27, v51, v44, v49
	v_lshl_add_u32 v31, v31, 3, v57
	v_add3_u32 v41, v48, v41, v46
	;; [unrolled: 2-line block ×7, first 2 shown]
	v_lshl_add_u32 v46, v24, 3, v57
	s_mov_b32 s25, 0
	s_movk_i32 s26, 0x800
	v_add_u32_e32 v47, v40, v40
	v_mov_b32_e32 v23, 0
	v_mov_b32_e32 v1, v2
	v_mov_b32_e32 v5, v25
	s_mov_b32 s27, 0
	s_branch .LBB529_59
.LBB529_58:                             ;   in Loop: Header=BB529_59 Depth=1
	s_or_b64 exec, exec, s[22:23]
	s_addk_i32 s27, 0xc000
	s_addk_i32 s25, 0xf800
	v_add_u32_e32 v5, 8, v5
	s_cmp_eq_u32 s27, 0xffff0000
	v_add_u32_e32 v1, 0x800, v1
	s_waitcnt lgkmcnt(0)
	s_barrier
	s_cbranch_scc1 .LBB529_79
.LBB529_59:                             ; =>This Inner Loop Header: Depth=1
	v_add_u32_e32 v22, s25, v24
	v_cmp_gt_u32_e64 s[0:1], s26, v22
	s_and_saveexec_b64 s[22:23], s[0:1]
; %bb.60:                               ;   in Loop: Header=BB529_59 Depth=1
	v_add_u32_e32 v22, s27, v46
	ds_write_b64 v22, v[8:9]
; %bb.61:                               ;   in Loop: Header=BB529_59 Depth=1
	s_or_b64 exec, exec, s[22:23]
	v_add_u32_e32 v22, s25, v32
	v_cmp_gt_u32_e64 s[0:1], s26, v22
	s_and_saveexec_b64 s[22:23], s[0:1]
; %bb.62:                               ;   in Loop: Header=BB529_59 Depth=1
	v_add_u32_e32 v22, s27, v35
	ds_write_b64 v22, v[6:7]
; %bb.63:                               ;   in Loop: Header=BB529_59 Depth=1
	s_or_b64 exec, exec, s[22:23]
	;; [unrolled: 8-line block ×8, first 2 shown]
	v_cmp_gt_u32_e64 s[0:1], s5, v1
	s_waitcnt lgkmcnt(0)
	s_barrier
	s_and_saveexec_b64 s[22:23], s[0:1]
	s_cbranch_execz .LBB529_77
; %bb.76:                               ;   in Loop: Header=BB529_59 Depth=1
	ds_read_b64 v[48:49], v47 offset:1024
	s_waitcnt lgkmcnt(0)
	v_lshrrev_b64 v[50:51], s52, v[48:49]
	v_and_b32_e32 v52, s59, v50
	v_lshlrev_b32_e32 v22, 2, v52
	ds_read_b32 v22, v22
	ds_write_b32 v5, v52
	s_waitcnt lgkmcnt(1)
	v_add_u32_e32 v22, v1, v22
	v_lshl_add_u64 v[50:51], v[22:23], 3, s[42:43]
	global_store_dwordx2 v[50:51], v[48:49], off
.LBB529_77:                             ;   in Loop: Header=BB529_59 Depth=1
	s_or_b64 exec, exec, s[22:23]
	v_add_u32_e32 v22, 0x400, v1
	v_cmp_gt_u32_e64 s[0:1], s5, v22
	s_and_saveexec_b64 s[22:23], s[0:1]
	s_cbranch_execz .LBB529_58
; %bb.78:                               ;   in Loop: Header=BB529_59 Depth=1
	ds_read_b64 v[48:49], v47 offset:9216
	s_waitcnt lgkmcnt(0)
	v_lshrrev_b64 v[50:51], s52, v[48:49]
	v_and_b32_e32 v52, s59, v50
	v_lshlrev_b32_e32 v22, 2, v52
	ds_read_b32 v22, v22
	ds_write_b32 v5, v52 offset:4
	s_waitcnt lgkmcnt(1)
	v_add3_u32 v22, v1, v22, s24
	v_lshl_add_u64 v[50:51], v[22:23], 3, s[42:43]
	global_store_dwordx2 v[50:51], v[48:49], off
	s_branch .LBB529_58
.LBB529_79:
	s_add_u32 s0, s44, s54
	s_addc_u32 s1, s45, s55
	v_mov_b32_e32 v1, 0
	v_lshl_add_u64 v[6:7], s[0:1], 0, v[0:1]
	v_mov_b32_e32 v5, v1
	v_lshl_add_u64 v[18:19], v[6:7], 0, v[4:5]
                                        ; implicit-def: $vgpr0_vgpr1
	s_and_saveexec_b64 s[0:1], vcc
	s_cbranch_execz .LBB529_87
; %bb.80:
	global_load_dwordx2 v[0:1], v[18:19], off
	s_or_b64 exec, exec, s[0:1]
                                        ; implicit-def: $vgpr4_vgpr5
	s_and_saveexec_b64 s[0:1], s[28:29]
	s_cbranch_execnz .LBB529_88
.LBB529_81:
	s_or_b64 exec, exec, s[0:1]
                                        ; implicit-def: $vgpr6_vgpr7
	s_and_saveexec_b64 s[0:1], s[6:7]
	s_cbranch_execz .LBB529_89
.LBB529_82:
	global_load_dwordx2 v[6:7], v[18:19], off offset:1024
	s_or_b64 exec, exec, s[0:1]
                                        ; implicit-def: $vgpr8_vgpr9
	s_and_saveexec_b64 s[0:1], s[8:9]
	s_cbranch_execnz .LBB529_90
.LBB529_83:
	s_or_b64 exec, exec, s[0:1]
                                        ; implicit-def: $vgpr10_vgpr11
	s_and_saveexec_b64 s[0:1], s[10:11]
	s_cbranch_execz .LBB529_91
.LBB529_84:
	global_load_dwordx2 v[10:11], v[18:19], off offset:2048
	s_or_b64 exec, exec, s[0:1]
                                        ; implicit-def: $vgpr12_vgpr13
	s_and_saveexec_b64 s[0:1], s[12:13]
	s_cbranch_execnz .LBB529_92
.LBB529_85:
	s_or_b64 exec, exec, s[0:1]
                                        ; implicit-def: $vgpr14_vgpr15
	s_and_saveexec_b64 s[0:1], s[14:15]
	s_cbranch_execz .LBB529_93
.LBB529_86:
	global_load_dwordx2 v[14:15], v[18:19], off offset:3072
	s_or_b64 exec, exec, s[0:1]
                                        ; implicit-def: $vgpr16_vgpr17
	s_and_saveexec_b64 s[0:1], s[16:17]
	s_cbranch_execnz .LBB529_94
	s_branch .LBB529_95
.LBB529_87:
	s_or_b64 exec, exec, s[0:1]
                                        ; implicit-def: $vgpr4_vgpr5
	s_and_saveexec_b64 s[0:1], s[28:29]
	s_cbranch_execz .LBB529_81
.LBB529_88:
	global_load_dwordx2 v[4:5], v[18:19], off offset:512
	s_or_b64 exec, exec, s[0:1]
                                        ; implicit-def: $vgpr6_vgpr7
	s_and_saveexec_b64 s[0:1], s[6:7]
	s_cbranch_execnz .LBB529_82
.LBB529_89:
	s_or_b64 exec, exec, s[0:1]
                                        ; implicit-def: $vgpr8_vgpr9
	s_and_saveexec_b64 s[0:1], s[8:9]
	s_cbranch_execz .LBB529_83
.LBB529_90:
	global_load_dwordx2 v[8:9], v[18:19], off offset:1536
	s_or_b64 exec, exec, s[0:1]
                                        ; implicit-def: $vgpr10_vgpr11
	s_and_saveexec_b64 s[0:1], s[10:11]
	s_cbranch_execnz .LBB529_84
.LBB529_91:
	s_or_b64 exec, exec, s[0:1]
                                        ; implicit-def: $vgpr12_vgpr13
	s_and_saveexec_b64 s[0:1], s[12:13]
	s_cbranch_execz .LBB529_85
.LBB529_92:
	global_load_dwordx2 v[12:13], v[18:19], off offset:2560
	s_or_b64 exec, exec, s[0:1]
                                        ; implicit-def: $vgpr14_vgpr15
	s_and_saveexec_b64 s[0:1], s[14:15]
	s_cbranch_execnz .LBB529_86
.LBB529_93:
	s_or_b64 exec, exec, s[0:1]
                                        ; implicit-def: $vgpr16_vgpr17
	s_and_saveexec_b64 s[0:1], s[16:17]
	s_cbranch_execz .LBB529_95
.LBB529_94:
	global_load_dwordx2 v[16:17], v[18:19], off offset:3584
.LBB529_95:
	s_or_b64 exec, exec, s[0:1]
	s_mov_b32 s6, 0
	s_movk_i32 s7, 0x800
	v_mov_b32_e32 v19, 0
	s_movk_i32 s8, 0x400
	s_mov_b32 s9, 0
	v_mov_b32_e32 v20, v2
	s_waitcnt vmcnt(0)
	s_branch .LBB529_97
.LBB529_96:                             ;   in Loop: Header=BB529_97 Depth=1
	s_or_b64 exec, exec, s[0:1]
	s_addk_i32 s9, 0xc000
	s_addk_i32 s6, 0xf800
	v_add_u32_e32 v20, 0x800, v20
	s_cmp_eq_u32 s9, 0xffff0000
	v_add_u32_e32 v25, 8, v25
	s_barrier
	s_cbranch_scc1 .LBB529_117
.LBB529_97:                             ; =>This Inner Loop Header: Depth=1
	v_add_u32_e32 v18, s6, v24
	v_cmp_gt_u32_e32 vcc, s7, v18
	s_and_saveexec_b64 s[0:1], vcc
; %bb.98:                               ;   in Loop: Header=BB529_97 Depth=1
	v_add_u32_e32 v18, s9, v46
	ds_write_b64 v18, v[0:1]
; %bb.99:                               ;   in Loop: Header=BB529_97 Depth=1
	s_or_b64 exec, exec, s[0:1]
	v_add_u32_e32 v18, s6, v32
	v_cmp_gt_u32_e32 vcc, s7, v18
	s_and_saveexec_b64 s[0:1], vcc
; %bb.100:                              ;   in Loop: Header=BB529_97 Depth=1
	v_add_u32_e32 v18, s9, v35
	ds_write_b64 v18, v[4:5]
; %bb.101:                              ;   in Loop: Header=BB529_97 Depth=1
	s_or_b64 exec, exec, s[0:1]
	v_add_u32_e32 v18, s6, v33
	v_cmp_gt_u32_e32 vcc, s7, v18
	s_and_saveexec_b64 s[0:1], vcc
; %bb.102:                              ;   in Loop: Header=BB529_97 Depth=1
	v_add_u32_e32 v18, s9, v38
	ds_write_b64 v18, v[6:7]
; %bb.103:                              ;   in Loop: Header=BB529_97 Depth=1
	;; [unrolled: 8-line block ×7, first 2 shown]
	s_or_b64 exec, exec, s[0:1]
	v_cmp_gt_u32_e32 vcc, s5, v20
	s_waitcnt lgkmcnt(0)
	s_barrier
	s_and_saveexec_b64 s[0:1], vcc
	s_cbranch_execz .LBB529_115
; %bb.114:                              ;   in Loop: Header=BB529_97 Depth=1
	ds_read_b32 v18, v25
	s_waitcnt lgkmcnt(0)
	v_lshlrev_b32_e32 v18, 2, v18
	ds_read_b32 v18, v18
	ds_read_b64 v[22:23], v47 offset:1024
	s_waitcnt lgkmcnt(1)
	v_add_u32_e32 v18, v20, v18
	v_lshl_add_u64 v[48:49], v[18:19], 3, s[46:47]
	s_waitcnt lgkmcnt(0)
	global_store_dwordx2 v[48:49], v[22:23], off
.LBB529_115:                            ;   in Loop: Header=BB529_97 Depth=1
	s_or_b64 exec, exec, s[0:1]
	v_add_u32_e32 v18, 0x400, v20
	v_cmp_gt_u32_e32 vcc, s5, v18
	s_and_saveexec_b64 s[0:1], vcc
	s_cbranch_execz .LBB529_96
; %bb.116:                              ;   in Loop: Header=BB529_97 Depth=1
	ds_read_b32 v18, v25 offset:4
	s_waitcnt lgkmcnt(0)
	v_lshlrev_b32_e32 v18, 2, v18
	ds_read_b32 v18, v18
	ds_read_b64 v[22:23], v47 offset:9216
	s_waitcnt lgkmcnt(1)
	v_add3_u32 v18, v20, v18, s8
	v_lshl_add_u64 v[48:49], v[18:19], 3, s[46:47]
	s_waitcnt lgkmcnt(0)
	global_store_dwordx2 v[48:49], v[22:23], off
	s_branch .LBB529_96
.LBB529_117:
	s_add_i32 s58, s58, -1
	s_cmp_eq_u32 s33, s58
	s_cselect_b64 s[0:1], -1, 0
	s_xor_b64 s[6:7], s[20:21], -1
	s_and_b64 s[6:7], s[6:7], s[0:1]
	s_and_saveexec_b64 s[0:1], s[6:7]
	s_cbranch_execz .LBB529_119
; %bb.118:
	ds_read_b32 v0, v40
	s_waitcnt lgkmcnt(0)
	v_add3_u32 v0, v34, v37, v0
	global_store_dword v40, v0, s[50:51]
.LBB529_119:
	s_or_b64 exec, exec, s[0:1]
	s_mov_b64 s[6:7], 0
.LBB529_120:
	s_and_b64 vcc, exec, s[6:7]
	s_cbranch_vccz .LBB529_195
; %bb.121:
	s_lshl_b32 s0, s33, 13
	s_mov_b32 s1, 0
	s_lshl_b64 s[8:9], s[0:1], 3
	v_mbcnt_hi_u32_b32 v26, -1, v30
	s_add_u32 s0, s40, s8
	v_and_b32_e32 v0, 63, v26
	v_mov_b32_e32 v23, 0
	s_addc_u32 s1, s41, s9
	v_and_b32_e32 v4, 0x1e00, v29
	v_lshlrev_b32_e32 v0, 3, v0
	v_mov_b32_e32 v1, v23
	v_lshl_add_u64 v[6:7], s[0:1], 0, v[0:1]
	v_lshlrev_b32_e32 v4, 3, v4
	v_mov_b32_e32 v5, v23
	v_lshl_add_u64 v[24:25], v[6:7], 0, v[4:5]
	global_load_dwordx2 v[6:7], v[24:25], off
	s_load_dword s0, s[2:3], 0x64
	s_load_dword s12, s[2:3], 0x58
	s_add_u32 s1, s2, 0x58
	s_addc_u32 s2, s3, 0
	v_mul_u32_u24_e32 v5, 20, v2
	s_waitcnt lgkmcnt(0)
	s_lshr_b32 s3, s0, 16
	s_cmp_lt_u32 s4, s12
	s_cselect_b32 s0, 12, 18
	s_add_u32 s0, s1, s0
	s_addc_u32 s1, s2, 0
	global_load_ushort v1, v23, s[0:1]
	ds_write2_b32 v5, v23, v23 offset0:16 offset1:17
	ds_write2_b32 v5, v23, v23 offset0:18 offset1:19
	ds_write_b32 v5, v23 offset:80
	global_load_dwordx2 v[8:9], v[24:25], off offset:512
	global_load_dwordx2 v[10:11], v[24:25], off offset:1024
	;; [unrolled: 1-line block ×7, first 2 shown]
	s_lshl_b32 s0, -1, s53
	v_mov_b32_e32 v30, v23
	v_mad_u32_u24 v3, v28, s3, v3
	v_mov_b32_e32 v32, v23
	s_not_b32 s13, s0
	v_mov_b32_e32 v34, v23
	v_mov_b32_e32 v36, v23
	;; [unrolled: 1-line block ×3, first 2 shown]
	s_movk_i32 s10, 0x44
	s_waitcnt lgkmcnt(0)
	s_barrier
	s_waitcnt vmcnt(8)
	; wave barrier
	v_lshrrev_b64 v[24:25], s52, v[6:7]
	v_bitop3_b32 v27, v24, s0, v24 bitop3:0x30
	v_and_b32_e32 v22, 1, v27
	v_lshlrev_b32_e32 v31, 30, v27
	v_lshlrev_b32_e32 v33, 29, v27
	v_lshl_add_u64 v[24:25], v[22:23], 0, -1
	v_cmp_ne_u32_e32 vcc, 0, v22
	v_not_b32_e32 v22, v31
	v_lshlrev_b32_e32 v35, 28, v27
	v_cmp_gt_i64_e64 s[0:1], 0, v[30:31]
	v_not_b32_e32 v30, v33
	s_waitcnt vmcnt(7)
	v_mad_u64_u32 v[28:29], s[14:15], v3, v1, v[2:3]
	v_xor_b32_e32 v1, vcc_hi, v25
	v_xor_b32_e32 v3, vcc_lo, v24
	v_ashrrev_i32_e32 v22, 31, v22
	v_lshlrev_b32_e32 v37, 27, v27
	v_cmp_gt_i64_e64 s[2:3], 0, v[32:33]
	v_not_b32_e32 v31, v35
	v_ashrrev_i32_e32 v24, 31, v30
	v_and_b32_e32 v1, exec_hi, v1
	v_and_b32_e32 v3, exec_lo, v3
	v_xor_b32_e32 v30, s1, v22
	v_xor_b32_e32 v22, s0, v22
	v_lshlrev_b32_e32 v39, 26, v27
	v_cmp_gt_i64_e64 s[4:5], 0, v[34:35]
	v_not_b32_e32 v32, v37
	v_ashrrev_i32_e32 v25, 31, v31
	v_xor_b32_e32 v31, s3, v24
	v_xor_b32_e32 v24, s2, v24
	v_and_b32_e32 v1, v1, v30
	v_and_b32_e32 v3, v3, v22
	v_cmp_gt_i64_e64 s[6:7], 0, v[36:37]
	v_ashrrev_i32_e32 v29, 31, v32
	v_xor_b32_e32 v32, s5, v25
	v_xor_b32_e32 v25, s4, v25
	v_and_b32_e32 v1, v1, v31
	v_and_b32_e32 v3, v3, v24
	v_not_b32_e32 v22, v39
	v_xor_b32_e32 v33, s7, v29
	v_xor_b32_e32 v29, s6, v29
	v_and_b32_e32 v1, v1, v32
	v_and_b32_e32 v3, v3, v25
	v_cmp_gt_i64_e32 vcc, 0, v[38:39]
	v_ashrrev_i32_e32 v22, 31, v22
	v_and_b32_e32 v1, v1, v33
	v_and_b32_e32 v3, v3, v29
	v_xor_b32_e32 v24, vcc_hi, v22
	v_xor_b32_e32 v22, vcc_lo, v22
	v_lshlrev_b32_e32 v25, 25, v27
	v_and_b32_e32 v1, v1, v24
	v_and_b32_e32 v3, v3, v22
	v_mov_b32_e32 v24, v23
	v_not_b32_e32 v22, v25
	v_cmp_gt_i64_e32 vcc, 0, v[24:25]
	v_ashrrev_i32_e32 v22, 31, v22
	v_lshlrev_b32_e32 v25, 24, v27
	v_xor_b32_e32 v24, vcc_hi, v22
	v_xor_b32_e32 v22, vcc_lo, v22
	v_and_b32_e32 v1, v1, v24
	v_and_b32_e32 v3, v3, v22
	v_mov_b32_e32 v24, v23
	v_not_b32_e32 v22, v25
	v_cmp_gt_i64_e32 vcc, 0, v[24:25]
	v_ashrrev_i32_e32 v22, 31, v22
	v_lshrrev_b32_e32 v28, 4, v28
	v_xor_b32_e32 v24, vcc_hi, v22
	v_xor_b32_e32 v22, vcc_lo, v22
	v_and_b32_e32 v25, v1, v24
	v_and_b32_e32 v24, v3, v22
	v_mbcnt_lo_u32_b32 v1, v24, 0
	v_mbcnt_hi_u32_b32 v3, v25, v1
	v_mul_lo_u32 v40, v27, s10
	v_and_b32_e32 v35, 0xffffffc, v28
	v_cmp_eq_u32_e32 vcc, 0, v3
	v_cmp_ne_u64_e64 s[0:1], 0, v[24:25]
	s_and_b64 s[2:3], s[0:1], vcc
	v_add_u32_e32 v27, v35, v40
	s_and_saveexec_b64 s[0:1], s[2:3]
; %bb.122:
	v_bcnt_u32_b32 v1, v24, 0
	v_bcnt_u32_b32 v1, v25, v1
	ds_write_b32 v27, v1 offset:64
; %bb.123:
	s_or_b64 exec, exec, s[0:1]
	s_waitcnt vmcnt(6)
	v_lshrrev_b64 v[24:25], s52, v[8:9]
	v_and_b32_e32 v28, s13, v24
	v_and_b32_e32 v22, 1, v28
	v_lshl_add_u64 v[24:25], v[22:23], 0, -1
	v_cmp_ne_u32_e32 vcc, 0, v22
	v_mul_lo_u32 v1, v28, s10
	v_add_u32_e32 v30, v35, v1
	v_xor_b32_e32 v24, vcc_lo, v24
	v_xor_b32_e32 v22, vcc_hi, v25
	v_and_b32_e32 v29, exec_lo, v24
	v_lshlrev_b32_e32 v25, 30, v28
	v_mov_b32_e32 v24, v23
	v_cmp_gt_i64_e32 vcc, 0, v[24:25]
	v_not_b32_e32 v24, v25
	v_ashrrev_i32_e32 v24, 31, v24
	v_and_b32_e32 v22, exec_hi, v22
	v_xor_b32_e32 v25, vcc_hi, v24
	v_xor_b32_e32 v24, vcc_lo, v24
	v_and_b32_e32 v22, v22, v25
	v_and_b32_e32 v29, v29, v24
	v_lshlrev_b32_e32 v25, 29, v28
	v_mov_b32_e32 v24, v23
	v_cmp_gt_i64_e32 vcc, 0, v[24:25]
	v_not_b32_e32 v24, v25
	v_ashrrev_i32_e32 v24, 31, v24
	v_xor_b32_e32 v25, vcc_hi, v24
	v_xor_b32_e32 v24, vcc_lo, v24
	v_and_b32_e32 v22, v22, v25
	v_and_b32_e32 v29, v29, v24
	v_lshlrev_b32_e32 v25, 28, v28
	v_mov_b32_e32 v24, v23
	v_cmp_gt_i64_e32 vcc, 0, v[24:25]
	v_not_b32_e32 v24, v25
	v_ashrrev_i32_e32 v24, 31, v24
	;; [unrolled: 9-line block ×5, first 2 shown]
	v_xor_b32_e32 v25, vcc_hi, v24
	v_xor_b32_e32 v24, vcc_lo, v24
	v_and_b32_e32 v22, v22, v25
	v_lshlrev_b32_e32 v25, 24, v28
	v_and_b32_e32 v29, v29, v24
	v_mov_b32_e32 v24, v23
	v_not_b32_e32 v23, v25
	v_cmp_gt_i64_e32 vcc, 0, v[24:25]
	v_ashrrev_i32_e32 v23, 31, v23
	s_nop 0
	v_xor_b32_e32 v24, vcc_hi, v23
	v_xor_b32_e32 v25, vcc_lo, v23
	; wave barrier
	ds_read_b32 v1, v30 offset:64
	v_and_b32_e32 v23, v22, v24
	v_and_b32_e32 v22, v29, v25
	v_mbcnt_lo_u32_b32 v24, v22, 0
	v_mbcnt_hi_u32_b32 v28, v23, v24
	v_cmp_eq_u32_e32 vcc, 0, v28
	v_cmp_ne_u64_e64 s[0:1], 0, v[22:23]
	s_and_b64 s[2:3], s[0:1], vcc
	; wave barrier
	s_and_saveexec_b64 s[0:1], s[2:3]
	s_cbranch_execz .LBB529_125
; %bb.124:
	v_bcnt_u32_b32 v22, v22, 0
	v_bcnt_u32_b32 v22, v23, v22
	s_waitcnt lgkmcnt(0)
	v_add_u32_e32 v22, v1, v22
	ds_write_b32 v30, v22 offset:64
.LBB529_125:
	s_or_b64 exec, exec, s[0:1]
	s_waitcnt vmcnt(5)
	v_lshrrev_b64 v[22:23], s52, v[10:11]
	v_and_b32_e32 v31, s13, v22
	s_movk_i32 s2, 0x44
	v_mul_lo_u32 v22, v31, s2
	v_add_u32_e32 v33, v35, v22
	v_and_b32_e32 v22, 1, v31
	v_mov_b32_e32 v23, 0
	v_lshl_add_u64 v[24:25], v[22:23], 0, -1
	v_cmp_ne_u32_e32 vcc, 0, v22
	; wave barrier
	s_nop 1
	v_xor_b32_e32 v24, vcc_lo, v24
	v_xor_b32_e32 v22, vcc_hi, v25
	v_and_b32_e32 v32, exec_lo, v24
	v_lshlrev_b32_e32 v25, 30, v31
	v_mov_b32_e32 v24, v23
	v_cmp_gt_i64_e32 vcc, 0, v[24:25]
	v_not_b32_e32 v24, v25
	v_ashrrev_i32_e32 v24, 31, v24
	v_and_b32_e32 v22, exec_hi, v22
	v_xor_b32_e32 v25, vcc_hi, v24
	v_xor_b32_e32 v24, vcc_lo, v24
	v_and_b32_e32 v22, v22, v25
	v_and_b32_e32 v32, v32, v24
	v_lshlrev_b32_e32 v25, 29, v31
	v_mov_b32_e32 v24, v23
	v_cmp_gt_i64_e32 vcc, 0, v[24:25]
	v_not_b32_e32 v24, v25
	v_ashrrev_i32_e32 v24, 31, v24
	v_xor_b32_e32 v25, vcc_hi, v24
	v_xor_b32_e32 v24, vcc_lo, v24
	v_and_b32_e32 v22, v22, v25
	v_and_b32_e32 v32, v32, v24
	v_lshlrev_b32_e32 v25, 28, v31
	v_mov_b32_e32 v24, v23
	v_cmp_gt_i64_e32 vcc, 0, v[24:25]
	v_not_b32_e32 v24, v25
	v_ashrrev_i32_e32 v24, 31, v24
	v_xor_b32_e32 v25, vcc_hi, v24
	v_xor_b32_e32 v24, vcc_lo, v24
	v_and_b32_e32 v22, v22, v25
	v_and_b32_e32 v32, v32, v24
	v_lshlrev_b32_e32 v25, 27, v31
	v_mov_b32_e32 v24, v23
	v_cmp_gt_i64_e32 vcc, 0, v[24:25]
	v_not_b32_e32 v24, v25
	v_ashrrev_i32_e32 v24, 31, v24
	v_xor_b32_e32 v25, vcc_hi, v24
	v_xor_b32_e32 v24, vcc_lo, v24
	v_and_b32_e32 v22, v22, v25
	v_and_b32_e32 v32, v32, v24
	v_lshlrev_b32_e32 v25, 26, v31
	v_mov_b32_e32 v24, v23
	v_cmp_gt_i64_e32 vcc, 0, v[24:25]
	v_not_b32_e32 v24, v25
	v_ashrrev_i32_e32 v24, 31, v24
	v_xor_b32_e32 v25, vcc_hi, v24
	v_xor_b32_e32 v24, vcc_lo, v24
	v_and_b32_e32 v22, v22, v25
	v_and_b32_e32 v32, v32, v24
	v_lshlrev_b32_e32 v25, 25, v31
	v_mov_b32_e32 v24, v23
	v_cmp_gt_i64_e32 vcc, 0, v[24:25]
	v_not_b32_e32 v24, v25
	v_ashrrev_i32_e32 v24, 31, v24
	v_xor_b32_e32 v25, vcc_hi, v24
	v_xor_b32_e32 v24, vcc_lo, v24
	v_and_b32_e32 v22, v22, v25
	v_and_b32_e32 v32, v32, v24
	v_lshlrev_b32_e32 v25, 24, v31
	v_mov_b32_e32 v24, v23
	v_cmp_gt_i64_e32 vcc, 0, v[24:25]
	v_not_b32_e32 v24, v25
	v_ashrrev_i32_e32 v24, 31, v24
	v_xor_b32_e32 v25, vcc_hi, v24
	v_xor_b32_e32 v24, vcc_lo, v24
	ds_read_b32 v29, v33 offset:64
	v_and_b32_e32 v24, v32, v24
	v_and_b32_e32 v25, v22, v25
	v_mbcnt_lo_u32_b32 v22, v24, 0
	v_mbcnt_hi_u32_b32 v31, v25, v22
	v_cmp_eq_u32_e32 vcc, 0, v31
	v_cmp_ne_u64_e64 s[0:1], 0, v[24:25]
	s_and_b64 s[4:5], s[0:1], vcc
	; wave barrier
	s_and_saveexec_b64 s[0:1], s[4:5]
	s_cbranch_execz .LBB529_127
; %bb.126:
	v_bcnt_u32_b32 v22, v24, 0
	v_bcnt_u32_b32 v22, v25, v22
	s_waitcnt lgkmcnt(0)
	v_add_u32_e32 v22, v29, v22
	ds_write_b32 v33, v22 offset:64
.LBB529_127:
	s_or_b64 exec, exec, s[0:1]
	s_waitcnt vmcnt(4)
	v_lshrrev_b64 v[24:25], s52, v[12:13]
	v_and_b32_e32 v34, s13, v24
	v_mul_lo_u32 v22, v34, s2
	v_add_u32_e32 v37, v35, v22
	v_and_b32_e32 v22, 1, v34
	v_lshl_add_u64 v[24:25], v[22:23], 0, -1
	v_cmp_ne_u32_e32 vcc, 0, v22
	; wave barrier
	s_nop 1
	v_xor_b32_e32 v24, vcc_lo, v24
	v_xor_b32_e32 v22, vcc_hi, v25
	v_and_b32_e32 v36, exec_lo, v24
	v_lshlrev_b32_e32 v25, 30, v34
	v_mov_b32_e32 v24, v23
	v_cmp_gt_i64_e32 vcc, 0, v[24:25]
	v_not_b32_e32 v24, v25
	v_ashrrev_i32_e32 v24, 31, v24
	v_and_b32_e32 v22, exec_hi, v22
	v_xor_b32_e32 v25, vcc_hi, v24
	v_xor_b32_e32 v24, vcc_lo, v24
	v_and_b32_e32 v22, v22, v25
	v_and_b32_e32 v36, v36, v24
	v_lshlrev_b32_e32 v25, 29, v34
	v_mov_b32_e32 v24, v23
	v_cmp_gt_i64_e32 vcc, 0, v[24:25]
	v_not_b32_e32 v24, v25
	v_ashrrev_i32_e32 v24, 31, v24
	v_xor_b32_e32 v25, vcc_hi, v24
	v_xor_b32_e32 v24, vcc_lo, v24
	v_and_b32_e32 v22, v22, v25
	v_and_b32_e32 v36, v36, v24
	v_lshlrev_b32_e32 v25, 28, v34
	v_mov_b32_e32 v24, v23
	v_cmp_gt_i64_e32 vcc, 0, v[24:25]
	v_not_b32_e32 v24, v25
	v_ashrrev_i32_e32 v24, 31, v24
	;; [unrolled: 9-line block ×5, first 2 shown]
	v_xor_b32_e32 v25, vcc_hi, v24
	v_xor_b32_e32 v24, vcc_lo, v24
	v_and_b32_e32 v22, v22, v25
	v_lshlrev_b32_e32 v25, 24, v34
	v_and_b32_e32 v36, v36, v24
	v_mov_b32_e32 v24, v23
	v_not_b32_e32 v23, v25
	v_cmp_gt_i64_e32 vcc, 0, v[24:25]
	v_ashrrev_i32_e32 v23, 31, v23
	ds_read_b32 v32, v37 offset:64
	v_xor_b32_e32 v24, vcc_hi, v23
	v_xor_b32_e32 v25, vcc_lo, v23
	v_and_b32_e32 v23, v22, v24
	v_and_b32_e32 v22, v36, v25
	v_mbcnt_lo_u32_b32 v24, v22, 0
	v_mbcnt_hi_u32_b32 v34, v23, v24
	v_cmp_eq_u32_e32 vcc, 0, v34
	v_cmp_ne_u64_e64 s[0:1], 0, v[22:23]
	s_and_b64 s[2:3], s[0:1], vcc
	; wave barrier
	s_and_saveexec_b64 s[0:1], s[2:3]
	s_cbranch_execz .LBB529_129
; %bb.128:
	v_bcnt_u32_b32 v22, v22, 0
	v_bcnt_u32_b32 v22, v23, v22
	s_waitcnt lgkmcnt(0)
	v_add_u32_e32 v22, v32, v22
	ds_write_b32 v37, v22 offset:64
.LBB529_129:
	s_or_b64 exec, exec, s[0:1]
	s_waitcnt vmcnt(3)
	v_lshrrev_b64 v[22:23], s52, v[14:15]
	v_and_b32_e32 v38, s13, v22
	s_movk_i32 s2, 0x44
	v_mul_lo_u32 v22, v38, s2
	v_add_u32_e32 v40, v35, v22
	v_and_b32_e32 v22, 1, v38
	v_mov_b32_e32 v23, 0
	v_lshl_add_u64 v[24:25], v[22:23], 0, -1
	v_cmp_ne_u32_e32 vcc, 0, v22
	; wave barrier
	s_nop 1
	v_xor_b32_e32 v24, vcc_lo, v24
	v_xor_b32_e32 v22, vcc_hi, v25
	v_and_b32_e32 v39, exec_lo, v24
	v_lshlrev_b32_e32 v25, 30, v38
	v_mov_b32_e32 v24, v23
	v_cmp_gt_i64_e32 vcc, 0, v[24:25]
	v_not_b32_e32 v24, v25
	v_ashrrev_i32_e32 v24, 31, v24
	v_and_b32_e32 v22, exec_hi, v22
	v_xor_b32_e32 v25, vcc_hi, v24
	v_xor_b32_e32 v24, vcc_lo, v24
	v_and_b32_e32 v22, v22, v25
	v_and_b32_e32 v39, v39, v24
	v_lshlrev_b32_e32 v25, 29, v38
	v_mov_b32_e32 v24, v23
	v_cmp_gt_i64_e32 vcc, 0, v[24:25]
	v_not_b32_e32 v24, v25
	v_ashrrev_i32_e32 v24, 31, v24
	v_xor_b32_e32 v25, vcc_hi, v24
	v_xor_b32_e32 v24, vcc_lo, v24
	v_and_b32_e32 v22, v22, v25
	v_and_b32_e32 v39, v39, v24
	v_lshlrev_b32_e32 v25, 28, v38
	v_mov_b32_e32 v24, v23
	v_cmp_gt_i64_e32 vcc, 0, v[24:25]
	v_not_b32_e32 v24, v25
	v_ashrrev_i32_e32 v24, 31, v24
	;; [unrolled: 9-line block ×6, first 2 shown]
	v_xor_b32_e32 v25, vcc_hi, v24
	v_xor_b32_e32 v24, vcc_lo, v24
	ds_read_b32 v36, v40 offset:64
	v_and_b32_e32 v24, v39, v24
	v_and_b32_e32 v25, v22, v25
	v_mbcnt_lo_u32_b32 v22, v24, 0
	v_mbcnt_hi_u32_b32 v38, v25, v22
	v_cmp_eq_u32_e32 vcc, 0, v38
	v_cmp_ne_u64_e64 s[0:1], 0, v[24:25]
	s_and_b64 s[4:5], s[0:1], vcc
	; wave barrier
	s_and_saveexec_b64 s[0:1], s[4:5]
	s_cbranch_execz .LBB529_131
; %bb.130:
	v_bcnt_u32_b32 v22, v24, 0
	v_bcnt_u32_b32 v22, v25, v22
	s_waitcnt lgkmcnt(0)
	v_add_u32_e32 v22, v36, v22
	ds_write_b32 v40, v22 offset:64
.LBB529_131:
	s_or_b64 exec, exec, s[0:1]
	s_waitcnt vmcnt(2)
	v_lshrrev_b64 v[24:25], s52, v[16:17]
	v_and_b32_e32 v41, s13, v24
	v_mul_lo_u32 v22, v41, s2
	v_add_u32_e32 v43, v35, v22
	v_and_b32_e32 v22, 1, v41
	v_lshl_add_u64 v[24:25], v[22:23], 0, -1
	v_cmp_ne_u32_e32 vcc, 0, v22
	; wave barrier
	s_nop 1
	v_xor_b32_e32 v24, vcc_lo, v24
	v_xor_b32_e32 v22, vcc_hi, v25
	v_and_b32_e32 v42, exec_lo, v24
	v_lshlrev_b32_e32 v25, 30, v41
	v_mov_b32_e32 v24, v23
	v_cmp_gt_i64_e32 vcc, 0, v[24:25]
	v_not_b32_e32 v24, v25
	v_ashrrev_i32_e32 v24, 31, v24
	v_and_b32_e32 v22, exec_hi, v22
	v_xor_b32_e32 v25, vcc_hi, v24
	v_xor_b32_e32 v24, vcc_lo, v24
	v_and_b32_e32 v22, v22, v25
	v_and_b32_e32 v42, v42, v24
	v_lshlrev_b32_e32 v25, 29, v41
	v_mov_b32_e32 v24, v23
	v_cmp_gt_i64_e32 vcc, 0, v[24:25]
	v_not_b32_e32 v24, v25
	v_ashrrev_i32_e32 v24, 31, v24
	v_xor_b32_e32 v25, vcc_hi, v24
	v_xor_b32_e32 v24, vcc_lo, v24
	v_and_b32_e32 v22, v22, v25
	v_and_b32_e32 v42, v42, v24
	v_lshlrev_b32_e32 v25, 28, v41
	v_mov_b32_e32 v24, v23
	v_cmp_gt_i64_e32 vcc, 0, v[24:25]
	v_not_b32_e32 v24, v25
	v_ashrrev_i32_e32 v24, 31, v24
	;; [unrolled: 9-line block ×5, first 2 shown]
	v_xor_b32_e32 v25, vcc_hi, v24
	v_xor_b32_e32 v24, vcc_lo, v24
	v_and_b32_e32 v22, v22, v25
	v_lshlrev_b32_e32 v25, 24, v41
	v_and_b32_e32 v42, v42, v24
	v_mov_b32_e32 v24, v23
	v_not_b32_e32 v23, v25
	v_cmp_gt_i64_e32 vcc, 0, v[24:25]
	v_ashrrev_i32_e32 v23, 31, v23
	ds_read_b32 v39, v43 offset:64
	v_xor_b32_e32 v24, vcc_hi, v23
	v_xor_b32_e32 v25, vcc_lo, v23
	v_and_b32_e32 v23, v22, v24
	v_and_b32_e32 v22, v42, v25
	v_mbcnt_lo_u32_b32 v24, v22, 0
	v_mbcnt_hi_u32_b32 v41, v23, v24
	v_cmp_eq_u32_e32 vcc, 0, v41
	v_cmp_ne_u64_e64 s[0:1], 0, v[22:23]
	s_and_b64 s[2:3], s[0:1], vcc
	; wave barrier
	s_and_saveexec_b64 s[0:1], s[2:3]
	s_cbranch_execz .LBB529_133
; %bb.132:
	v_bcnt_u32_b32 v22, v22, 0
	v_bcnt_u32_b32 v22, v23, v22
	s_waitcnt lgkmcnt(0)
	v_add_u32_e32 v22, v39, v22
	ds_write_b32 v43, v22 offset:64
.LBB529_133:
	s_or_b64 exec, exec, s[0:1]
	s_waitcnt vmcnt(1)
	v_lshrrev_b64 v[22:23], s52, v[18:19]
	v_and_b32_e32 v44, s13, v22
	s_movk_i32 s2, 0x44
	v_mul_lo_u32 v22, v44, s2
	v_add_u32_e32 v46, v35, v22
	v_and_b32_e32 v22, 1, v44
	v_mov_b32_e32 v23, 0
	v_lshl_add_u64 v[24:25], v[22:23], 0, -1
	v_cmp_ne_u32_e32 vcc, 0, v22
	; wave barrier
	s_nop 1
	v_xor_b32_e32 v24, vcc_lo, v24
	v_xor_b32_e32 v22, vcc_hi, v25
	v_and_b32_e32 v45, exec_lo, v24
	v_lshlrev_b32_e32 v25, 30, v44
	v_mov_b32_e32 v24, v23
	v_cmp_gt_i64_e32 vcc, 0, v[24:25]
	v_not_b32_e32 v24, v25
	v_ashrrev_i32_e32 v24, 31, v24
	v_and_b32_e32 v22, exec_hi, v22
	v_xor_b32_e32 v25, vcc_hi, v24
	v_xor_b32_e32 v24, vcc_lo, v24
	v_and_b32_e32 v22, v22, v25
	v_and_b32_e32 v45, v45, v24
	v_lshlrev_b32_e32 v25, 29, v44
	v_mov_b32_e32 v24, v23
	v_cmp_gt_i64_e32 vcc, 0, v[24:25]
	v_not_b32_e32 v24, v25
	v_ashrrev_i32_e32 v24, 31, v24
	v_xor_b32_e32 v25, vcc_hi, v24
	v_xor_b32_e32 v24, vcc_lo, v24
	v_and_b32_e32 v22, v22, v25
	v_and_b32_e32 v45, v45, v24
	v_lshlrev_b32_e32 v25, 28, v44
	v_mov_b32_e32 v24, v23
	v_cmp_gt_i64_e32 vcc, 0, v[24:25]
	v_not_b32_e32 v24, v25
	v_ashrrev_i32_e32 v24, 31, v24
	;; [unrolled: 9-line block ×6, first 2 shown]
	v_xor_b32_e32 v25, vcc_hi, v24
	v_xor_b32_e32 v24, vcc_lo, v24
	ds_read_b32 v42, v46 offset:64
	v_and_b32_e32 v24, v45, v24
	v_and_b32_e32 v25, v22, v25
	v_mbcnt_lo_u32_b32 v22, v24, 0
	v_mbcnt_hi_u32_b32 v44, v25, v22
	v_cmp_eq_u32_e32 vcc, 0, v44
	v_cmp_ne_u64_e64 s[0:1], 0, v[24:25]
	s_and_b64 s[4:5], s[0:1], vcc
	; wave barrier
	s_and_saveexec_b64 s[0:1], s[4:5]
	s_cbranch_execz .LBB529_135
; %bb.134:
	v_bcnt_u32_b32 v22, v24, 0
	v_bcnt_u32_b32 v22, v25, v22
	s_waitcnt lgkmcnt(0)
	v_add_u32_e32 v22, v42, v22
	ds_write_b32 v46, v22 offset:64
.LBB529_135:
	s_or_b64 exec, exec, s[0:1]
	s_waitcnt vmcnt(0)
	v_lshrrev_b64 v[24:25], s52, v[20:21]
	v_and_b32_e32 v47, s13, v24
	v_mul_lo_u32 v22, v47, s2
	v_add_u32_e32 v48, v35, v22
	v_and_b32_e32 v22, 1, v47
	v_lshl_add_u64 v[24:25], v[22:23], 0, -1
	v_cmp_ne_u32_e32 vcc, 0, v22
	; wave barrier
	s_nop 1
	v_xor_b32_e32 v24, vcc_lo, v24
	v_xor_b32_e32 v22, vcc_hi, v25
	v_and_b32_e32 v35, exec_lo, v24
	v_lshlrev_b32_e32 v25, 30, v47
	v_mov_b32_e32 v24, v23
	v_cmp_gt_i64_e32 vcc, 0, v[24:25]
	v_not_b32_e32 v24, v25
	v_ashrrev_i32_e32 v24, 31, v24
	v_and_b32_e32 v22, exec_hi, v22
	v_xor_b32_e32 v25, vcc_hi, v24
	v_xor_b32_e32 v24, vcc_lo, v24
	v_and_b32_e32 v22, v22, v25
	v_and_b32_e32 v35, v35, v24
	v_lshlrev_b32_e32 v25, 29, v47
	v_mov_b32_e32 v24, v23
	v_cmp_gt_i64_e32 vcc, 0, v[24:25]
	v_not_b32_e32 v24, v25
	v_ashrrev_i32_e32 v24, 31, v24
	v_xor_b32_e32 v25, vcc_hi, v24
	v_xor_b32_e32 v24, vcc_lo, v24
	v_and_b32_e32 v22, v22, v25
	v_and_b32_e32 v35, v35, v24
	v_lshlrev_b32_e32 v25, 28, v47
	v_mov_b32_e32 v24, v23
	v_cmp_gt_i64_e32 vcc, 0, v[24:25]
	v_not_b32_e32 v24, v25
	v_ashrrev_i32_e32 v24, 31, v24
	;; [unrolled: 9-line block ×5, first 2 shown]
	v_xor_b32_e32 v25, vcc_hi, v24
	v_xor_b32_e32 v24, vcc_lo, v24
	v_and_b32_e32 v22, v22, v25
	v_lshlrev_b32_e32 v25, 24, v47
	v_and_b32_e32 v35, v35, v24
	v_mov_b32_e32 v24, v23
	v_not_b32_e32 v23, v25
	v_cmp_gt_i64_e32 vcc, 0, v[24:25]
	v_ashrrev_i32_e32 v23, 31, v23
	ds_read_b32 v45, v48 offset:64
	v_xor_b32_e32 v24, vcc_hi, v23
	v_xor_b32_e32 v25, vcc_lo, v23
	v_and_b32_e32 v23, v22, v24
	v_and_b32_e32 v22, v35, v25
	v_mbcnt_lo_u32_b32 v24, v22, 0
	v_mbcnt_hi_u32_b32 v47, v23, v24
	v_cmp_eq_u32_e32 vcc, 0, v47
	v_cmp_ne_u64_e64 s[0:1], 0, v[22:23]
	s_and_b64 s[2:3], s[0:1], vcc
	; wave barrier
	s_and_saveexec_b64 s[0:1], s[2:3]
	s_cbranch_execz .LBB529_137
; %bb.136:
	v_bcnt_u32_b32 v22, v22, 0
	v_bcnt_u32_b32 v22, v23, v22
	s_waitcnt lgkmcnt(0)
	v_add_u32_e32 v22, v45, v22
	ds_write_b32 v48, v22 offset:64
.LBB529_137:
	s_or_b64 exec, exec, s[0:1]
	; wave barrier
	s_waitcnt lgkmcnt(0)
	s_barrier
	ds_read2_b32 v[24:25], v5 offset0:16 offset1:17
	ds_read2_b32 v[22:23], v5 offset0:18 offset1:19
	ds_read_b32 v35, v5 offset:80
	v_cmp_lt_u32_e64 s[6:7], 31, v26
	s_waitcnt lgkmcnt(1)
	v_add3_u32 v49, v25, v24, v22
	s_waitcnt lgkmcnt(0)
	v_add3_u32 v35, v49, v23, v35
	v_and_b32_e32 v49, 15, v26
	v_cmp_eq_u32_e32 vcc, 0, v49
	v_mov_b32_dpp v50, v35 row_shr:1 row_mask:0xf bank_mask:0xf
	v_cmp_lt_u32_e64 s[0:1], 1, v49
	v_cndmask_b32_e64 v50, v50, 0, vcc
	v_add_u32_e32 v35, v50, v35
	v_cmp_lt_u32_e64 s[2:3], 3, v49
	v_cmp_lt_u32_e64 s[4:5], 7, v49
	v_mov_b32_dpp v50, v35 row_shr:2 row_mask:0xf bank_mask:0xf
	v_cndmask_b32_e64 v50, 0, v50, s[0:1]
	v_add_u32_e32 v35, v35, v50
	s_nop 1
	v_mov_b32_dpp v50, v35 row_shr:4 row_mask:0xf bank_mask:0xf
	v_cndmask_b32_e64 v50, 0, v50, s[2:3]
	v_add_u32_e32 v35, v35, v50
	s_nop 1
	v_mov_b32_dpp v50, v35 row_shr:8 row_mask:0xf bank_mask:0xf
	v_cndmask_b32_e64 v49, 0, v50, s[4:5]
	v_add_u32_e32 v35, v35, v49
	v_bfe_i32 v50, v26, 4, 1
	s_nop 0
	v_mov_b32_dpp v49, v35 row_bcast:15 row_mask:0xf bank_mask:0xf
	v_and_b32_e32 v49, v50, v49
	v_add_u32_e32 v35, v35, v49
	v_lshrrev_b32_e32 v50, 6, v2
	s_nop 0
	v_mov_b32_dpp v49, v35 row_bcast:31 row_mask:0xf bank_mask:0xf
	v_cndmask_b32_e64 v49, 0, v49, s[6:7]
	v_add_u32_e32 v49, v35, v49
	v_and_b32_e32 v35, 63, v2
	v_cmp_eq_u32_e64 s[6:7], 63, v35
	s_and_saveexec_b64 s[10:11], s[6:7]
; %bb.138:
	v_lshlrev_b32_e32 v35, 2, v50
	ds_write_b32 v35, v49
; %bb.139:
	s_or_b64 exec, exec, s[10:11]
	v_cmp_gt_u32_e64 s[6:7], 16, v2
	v_lshlrev_b32_e32 v35, 2, v2
	s_waitcnt lgkmcnt(0)
	s_barrier
	s_and_saveexec_b64 s[10:11], s[6:7]
	s_cbranch_execz .LBB529_141
; %bb.140:
	ds_read_b32 v51, v35
	s_waitcnt lgkmcnt(0)
	s_nop 0
	v_mov_b32_dpp v52, v51 row_shr:1 row_mask:0xf bank_mask:0xf
	v_cndmask_b32_e64 v52, v52, 0, vcc
	v_add_u32_e32 v51, v52, v51
	s_nop 1
	v_mov_b32_dpp v52, v51 row_shr:2 row_mask:0xf bank_mask:0xf
	v_cndmask_b32_e64 v52, 0, v52, s[0:1]
	v_add_u32_e32 v51, v51, v52
	s_nop 1
	v_mov_b32_dpp v52, v51 row_shr:4 row_mask:0xf bank_mask:0xf
	v_cndmask_b32_e64 v52, 0, v52, s[2:3]
	;; [unrolled: 4-line block ×3, first 2 shown]
	v_add_u32_e32 v51, v51, v52
	ds_write_b32 v35, v51
.LBB529_141:
	s_or_b64 exec, exec, s[10:11]
	v_cmp_lt_u32_e32 vcc, 63, v2
	v_mov_b32_e32 v51, 0
	s_waitcnt lgkmcnt(0)
	s_barrier
	s_and_saveexec_b64 s[0:1], vcc
; %bb.142:
	v_lshl_add_u32 v50, v50, 2, -4
	ds_read_b32 v51, v50
; %bb.143:
	s_or_b64 exec, exec, s[0:1]
	v_subrev_co_u32_e32 v50, vcc, 1, v26
	v_and_b32_e32 v52, 64, v26
	v_cmp_lt_i32_e64 s[0:1], v50, v52
	s_waitcnt lgkmcnt(0)
	v_add_u32_e32 v49, v51, v49
	s_movk_i32 s2, 0x100
	v_cndmask_b32_e64 v26, v50, v26, s[0:1]
	v_lshlrev_b32_e32 v26, 2, v26
	ds_bpermute_b32 v26, v26, v49
	s_movk_i32 s0, 0xff
	s_waitcnt lgkmcnt(0)
	v_cndmask_b32_e32 v26, v26, v51, vcc
	v_cndmask_b32_e64 v26, v26, 0, s[18:19]
	v_add_u32_e32 v24, v26, v24
	v_add_u32_e32 v25, v24, v25
	;; [unrolled: 1-line block ×4, first 2 shown]
	ds_write2_b32 v5, v26, v24 offset0:16 offset1:17
	ds_write2_b32 v5, v25, v22 offset0:18 offset1:19
	ds_write_b32 v5, v23 offset:80
	s_waitcnt lgkmcnt(0)
	s_barrier
	ds_read_b32 v52, v27 offset:64
	ds_read_b32 v5, v30 offset:64
	;; [unrolled: 1-line block ×8, first 2 shown]
	v_cmp_lt_u32_e32 vcc, s0, v2
	v_cmp_gt_u32_e64 s[0:1], s2, v2
                                        ; implicit-def: $vgpr30
                                        ; implicit-def: $vgpr33
	s_and_saveexec_b64 s[4:5], s[0:1]
	s_cbranch_execz .LBB529_147
; %bb.144:
	v_mul_u32_u24_e32 v22, 0x44, v2
	ds_read_b32 v30, v22 offset:64
	v_add_u32_e32 v23, 1, v2
	v_cmp_ne_u32_e64 s[2:3], s2, v23
	v_mov_b32_e32 v22, 0x2000
	s_and_saveexec_b64 s[6:7], s[2:3]
; %bb.145:
	v_mul_u32_u24_e32 v22, 0x44, v23
	ds_read_b32 v22, v22 offset:64
; %bb.146:
	s_or_b64 exec, exec, s[6:7]
	s_waitcnt lgkmcnt(0)
	v_sub_u32_e32 v33, v22, v30
.LBB529_147:
	s_or_b64 exec, exec, s[4:5]
	v_mov_b32_e32 v23, 0
	s_waitcnt lgkmcnt(0)
	s_barrier
	s_and_saveexec_b64 s[2:3], s[0:1]
	s_cbranch_execz .LBB529_157
; %bb.148:
	v_lshl_add_u32 v22, s33, 8, v2
	v_lshl_add_u64 v[24:25], v[22:23], 2, s[56:57]
	v_or_b32_e32 v22, 2.0, v33
	s_mov_b64 s[4:5], 0
	s_brev_b32 s14, -4
	s_mov_b32 s15, s33
	v_mov_b32_e32 v46, 0
	global_store_dword v[24:25], v22, off sc1
                                        ; implicit-def: $sgpr0_sgpr1
	s_branch .LBB529_151
.LBB529_149:                            ;   in Loop: Header=BB529_151 Depth=1
	s_or_b64 exec, exec, s[10:11]
.LBB529_150:                            ;   in Loop: Header=BB529_151 Depth=1
	s_or_b64 exec, exec, s[6:7]
	v_and_b32_e32 v26, 0x3fffffff, v22
	v_add_u32_e32 v46, v26, v46
	v_cmp_gt_i32_e64 s[0:1], -2.0, v22
	s_and_b64 s[6:7], exec, s[0:1]
	s_or_b64 s[4:5], s[6:7], s[4:5]
	s_andn2_b64 exec, exec, s[4:5]
	s_cbranch_execz .LBB529_156
.LBB529_151:                            ; =>This Loop Header: Depth=1
                                        ;     Child Loop BB529_154 Depth 2
	s_or_b64 s[0:1], s[0:1], exec
	s_cmp_eq_u32 s15, 0
	s_cbranch_scc1 .LBB529_155
; %bb.152:                              ;   in Loop: Header=BB529_151 Depth=1
	s_add_i32 s15, s15, -1
	v_lshl_or_b32 v22, s15, 8, v2
	v_lshl_add_u64 v[26:27], v[22:23], 2, s[56:57]
	global_load_dword v22, v[26:27], off sc1
	s_waitcnt vmcnt(0)
	v_cmp_gt_u32_e64 s[0:1], 2.0, v22
	s_and_saveexec_b64 s[6:7], s[0:1]
	s_cbranch_execz .LBB529_150
; %bb.153:                              ;   in Loop: Header=BB529_151 Depth=1
	s_mov_b64 s[10:11], 0
.LBB529_154:                            ;   Parent Loop BB529_151 Depth=1
                                        ; =>  This Inner Loop Header: Depth=2
	global_load_dword v22, v[26:27], off sc1
	s_waitcnt vmcnt(0)
	v_cmp_lt_u32_e64 s[0:1], s14, v22
	s_or_b64 s[10:11], s[0:1], s[10:11]
	s_andn2_b64 exec, exec, s[10:11]
	s_cbranch_execnz .LBB529_154
	s_branch .LBB529_149
.LBB529_155:                            ;   in Loop: Header=BB529_151 Depth=1
                                        ; implicit-def: $sgpr15
	s_and_b64 s[6:7], exec, s[0:1]
	s_or_b64 s[4:5], s[6:7], s[4:5]
	s_andn2_b64 exec, exec, s[4:5]
	s_cbranch_execnz .LBB529_151
.LBB529_156:
	s_or_b64 exec, exec, s[4:5]
	v_add_u32_e32 v22, v46, v33
	v_or_b32_e32 v22, 0x80000000, v22
	global_store_dword v[24:25], v22, off sc1
	global_load_dword v22, v35, s[48:49]
	v_sub_u32_e32 v23, v46, v30
	s_waitcnt vmcnt(0)
	v_add_u32_e32 v22, v23, v22
	ds_write_b32 v35, v22
.LBB529_157:
	s_or_b64 exec, exec, s[2:3]
	v_add_u32_e32 v3, v52, v3
	v_add3_u32 v22, v28, v1, v5
	v_add3_u32 v23, v31, v29, v49
	;; [unrolled: 1-line block ×7, first 2 shown]
	v_mov_b32_e32 v53, 0x400
	s_mov_b32 s4, s52
	s_mov_b32 s5, s13
	s_movk_i32 s6, 0x400
	v_lshl_add_u32 v24, v24, 3, v53
	v_add3_u32 v25, v47, v43, v45
	v_lshl_add_u32 v26, v26, 3, v53
	v_add3_u32 v27, v44, v37, v42
	;; [unrolled: 2-line block ×7, first 2 shown]
	v_lshl_add_u32 v41, v3, 3, v53
	s_mov_b32 s7, 0
	s_mov_b32 s10, 0
	s_movk_i32 s11, 0x800
	v_add_u32_e32 v42, v35, v35
	v_mov_b32_e32 v23, 0
	v_mov_b32_e32 v1, v2
	s_mov_b32 s14, 0
	s_branch .LBB529_159
.LBB529_158:                            ;   in Loop: Header=BB529_159 Depth=1
	s_or_b64 exec, exec, s[2:3]
	s_waitcnt lgkmcnt(0)
	s_barrier
	ds_read2st64_b64 v[44:47], v42 offset0:2 offset1:18
	s_addk_i32 s14, 0xc000
	s_addk_i32 s10, 0xf800
	s_waitcnt lgkmcnt(0)
	v_lshrrev_b64 v[48:49], s52, v[44:45]
	v_lshrrev_b64 v[50:51], s4, v[46:47]
	v_and_b32_e32 v48, s13, v48
	v_and_b32_e32 v49, s5, v50
	v_lshlrev_b32_e32 v5, 2, v48
	ds_read_b32 v5, v5
	v_lshlrev_b32_e32 v22, 2, v49
	ds_read_b32 v43, v22
	s_waitcnt lgkmcnt(1)
	v_add_u32_e32 v22, v1, v5
	v_lshl_add_u64 v[50:51], v[22:23], 3, s[42:43]
	s_waitcnt lgkmcnt(0)
	v_add3_u32 v22, v1, v43, s6
	global_store_dwordx2 v[50:51], v[44:45], off
	v_lshl_add_u64 v[44:45], v[22:23], 3, s[42:43]
	global_store_dwordx2 v[44:45], v[46:47], off
	scratch_store_dwordx2 off, v[48:49], s7
	s_add_i32 s7, s7, 8
	s_cmp_eq_u32 s14, 0xffff0000
	v_add_u32_e32 v1, 0x800, v1
	s_barrier
	s_cbranch_scc1 .LBB529_175
.LBB529_159:                            ; =>This Inner Loop Header: Depth=1
	v_add_u32_e32 v5, s10, v3
	v_cmp_gt_u32_e64 s[0:1], s11, v5
	s_and_saveexec_b64 s[2:3], s[0:1]
; %bb.160:                              ;   in Loop: Header=BB529_159 Depth=1
	v_add_u32_e32 v5, s14, v41
	ds_write_b64 v5, v[6:7]
; %bb.161:                              ;   in Loop: Header=BB529_159 Depth=1
	s_or_b64 exec, exec, s[2:3]
	v_add_u32_e32 v5, s10, v28
	v_cmp_gt_u32_e64 s[0:1], s11, v5
	s_and_saveexec_b64 s[2:3], s[0:1]
; %bb.162:                              ;   in Loop: Header=BB529_159 Depth=1
	v_add_u32_e32 v5, s14, v31
	ds_write_b64 v5, v[8:9]
; %bb.163:                              ;   in Loop: Header=BB529_159 Depth=1
	s_or_b64 exec, exec, s[2:3]
	;; [unrolled: 8-line block ×7, first 2 shown]
	v_add_u32_e32 v5, s10, v25
	v_cmp_gt_u32_e64 s[0:1], s11, v5
	s_and_saveexec_b64 s[2:3], s[0:1]
	s_cbranch_execz .LBB529_158
; %bb.174:                              ;   in Loop: Header=BB529_159 Depth=1
	v_add_u32_e32 v5, s14, v24
	ds_write_b64 v5, v[20:21]
	s_branch .LBB529_158
.LBB529_175:
	s_add_u32 s0, s44, s8
	s_addc_u32 s1, s45, s9
	v_mov_b32_e32 v1, 0
	v_lshl_add_u64 v[6:7], s[0:1], 0, v[0:1]
	v_mov_b32_e32 v5, v1
	v_lshl_add_u64 v[20:21], v[6:7], 0, v[4:5]
	global_load_dwordx2 v[4:5], v[20:21], off
	global_load_dwordx2 v[6:7], v[20:21], off offset:512
	global_load_dwordx2 v[8:9], v[20:21], off offset:1024
	;; [unrolled: 1-line block ×7, first 2 shown]
	s_mov_b32 s4, 0
	s_mov_b32 s5, 0
	s_movk_i32 s6, 0x800
	s_movk_i32 s7, 0x400
	s_mov_b32 s8, 0
	s_branch .LBB529_177
.LBB529_176:                            ;   in Loop: Header=BB529_177 Depth=1
	s_or_b64 exec, exec, s[2:3]
	s_waitcnt lgkmcnt(0)
	s_barrier
	scratch_load_dwordx2 v[44:45], off, s4
	ds_read2st64_b64 v[20:23], v42 offset0:2 offset1:18
	s_addk_i32 s8, 0xc000
	s_addk_i32 s5, 0xf800
	s_add_i32 s4, s4, 8
	s_cmp_eq_u32 s8, 0xffff0000
	s_waitcnt vmcnt(0)
	v_lshlrev_b32_e32 v0, 2, v44
	ds_read_b32 v0, v0
	v_lshlrev_b32_e32 v43, 2, v45
	ds_read_b32 v43, v43
	s_waitcnt lgkmcnt(1)
	v_add_u32_e32 v0, v2, v0
	v_lshl_add_u64 v[44:45], v[0:1], 3, s[46:47]
	s_waitcnt lgkmcnt(0)
	v_add3_u32 v0, v2, v43, s7
	global_store_dwordx2 v[44:45], v[20:21], off
	v_lshl_add_u64 v[20:21], v[0:1], 3, s[46:47]
	v_add_u32_e32 v2, 0x800, v2
	global_store_dwordx2 v[20:21], v[22:23], off
	s_barrier
	s_cbranch_scc1 .LBB529_193
.LBB529_177:                            ; =>This Inner Loop Header: Depth=1
	v_add_u32_e32 v0, s5, v3
	v_cmp_gt_u32_e64 s[0:1], s6, v0
	s_and_saveexec_b64 s[2:3], s[0:1]
	s_cbranch_execz .LBB529_179
; %bb.178:                              ;   in Loop: Header=BB529_177 Depth=1
	v_add_u32_e32 v0, s8, v41
	s_waitcnt vmcnt(7)
	ds_write_b64 v0, v[4:5]
.LBB529_179:                            ;   in Loop: Header=BB529_177 Depth=1
	s_or_b64 exec, exec, s[2:3]
	v_add_u32_e32 v0, s5, v28
	v_cmp_gt_u32_e64 s[0:1], s6, v0
	s_and_saveexec_b64 s[2:3], s[0:1]
	s_cbranch_execz .LBB529_181
; %bb.180:                              ;   in Loop: Header=BB529_177 Depth=1
	v_add_u32_e32 v0, s8, v31
	s_waitcnt vmcnt(6)
	ds_write_b64 v0, v[6:7]
.LBB529_181:                            ;   in Loop: Header=BB529_177 Depth=1
	s_or_b64 exec, exec, s[2:3]
	;; [unrolled: 10-line block ×7, first 2 shown]
	v_add_u32_e32 v0, s5, v25
	v_cmp_gt_u32_e64 s[0:1], s6, v0
	s_and_saveexec_b64 s[2:3], s[0:1]
	s_cbranch_execz .LBB529_176
; %bb.192:                              ;   in Loop: Header=BB529_177 Depth=1
	v_add_u32_e32 v0, s8, v24
	s_waitcnt vmcnt(0)
	ds_write_b64 v0, v[18:19]
	s_branch .LBB529_176
.LBB529_193:
	s_add_i32 s12, s12, -1
	s_cmp_eq_u32 s33, s12
	s_cselect_b64 s[0:1], -1, 0
	s_xor_b64 s[2:3], vcc, -1
	s_and_b64 s[0:1], s[2:3], s[0:1]
	s_and_saveexec_b64 s[2:3], s[0:1]
	s_cbranch_execz .LBB529_195
; %bb.194:
	ds_read_b32 v0, v35
	s_waitcnt lgkmcnt(0)
	v_add3_u32 v0, v30, v33, v0
	global_store_dword v35, v0, s[50:51]
.LBB529_195:
	s_endpgm
	.section	.rodata,"a",@progbits
	.p2align	6, 0x0
	.amdhsa_kernel _ZN7rocprim17ROCPRIM_400000_NS6detail17trampoline_kernelINS0_14default_configENS1_35radix_sort_onesweep_config_selectorIyyEEZZNS1_29radix_sort_onesweep_iterationIS3_Lb0EN6thrust23THRUST_200600_302600_NS6detail15normal_iteratorINS8_10device_ptrIyEEEESD_SD_SD_jNS0_19identity_decomposerENS1_16block_id_wrapperIjLb1EEEEE10hipError_tT1_PNSt15iterator_traitsISI_E10value_typeET2_T3_PNSJ_ISO_E10value_typeET4_T5_PST_SU_PNS1_23onesweep_lookback_stateEbbT6_jjT7_P12ihipStream_tbENKUlT_T0_SI_SN_E_clISD_SD_SD_SD_EEDaS11_S12_SI_SN_EUlS11_E_NS1_11comp_targetILNS1_3genE6ELNS1_11target_archE950ELNS1_3gpuE13ELNS1_3repE0EEENS1_47radix_sort_onesweep_sort_config_static_selectorELNS0_4arch9wavefront6targetE1EEEvSI_
		.amdhsa_group_segment_fixed_size 53328
		.amdhsa_private_segment_fixed_size 48
		.amdhsa_kernarg_size 344
		.amdhsa_user_sgpr_count 4
		.amdhsa_user_sgpr_dispatch_ptr 1
		.amdhsa_user_sgpr_queue_ptr 0
		.amdhsa_user_sgpr_kernarg_segment_ptr 1
		.amdhsa_user_sgpr_dispatch_id 0
		.amdhsa_user_sgpr_kernarg_preload_length 0
		.amdhsa_user_sgpr_kernarg_preload_offset 0
		.amdhsa_user_sgpr_private_segment_size 0
		.amdhsa_uses_dynamic_stack 0
		.amdhsa_enable_private_segment 1
		.amdhsa_system_sgpr_workgroup_id_x 1
		.amdhsa_system_sgpr_workgroup_id_y 0
		.amdhsa_system_sgpr_workgroup_id_z 0
		.amdhsa_system_sgpr_workgroup_info 0
		.amdhsa_system_vgpr_workitem_id 2
		.amdhsa_next_free_vgpr 58
		.amdhsa_next_free_sgpr 61
		.amdhsa_accum_offset 60
		.amdhsa_reserve_vcc 1
		.amdhsa_float_round_mode_32 0
		.amdhsa_float_round_mode_16_64 0
		.amdhsa_float_denorm_mode_32 3
		.amdhsa_float_denorm_mode_16_64 3
		.amdhsa_dx10_clamp 1
		.amdhsa_ieee_mode 1
		.amdhsa_fp16_overflow 0
		.amdhsa_tg_split 0
		.amdhsa_exception_fp_ieee_invalid_op 0
		.amdhsa_exception_fp_denorm_src 0
		.amdhsa_exception_fp_ieee_div_zero 0
		.amdhsa_exception_fp_ieee_overflow 0
		.amdhsa_exception_fp_ieee_underflow 0
		.amdhsa_exception_fp_ieee_inexact 0
		.amdhsa_exception_int_div_zero 0
	.end_amdhsa_kernel
	.section	.text._ZN7rocprim17ROCPRIM_400000_NS6detail17trampoline_kernelINS0_14default_configENS1_35radix_sort_onesweep_config_selectorIyyEEZZNS1_29radix_sort_onesweep_iterationIS3_Lb0EN6thrust23THRUST_200600_302600_NS6detail15normal_iteratorINS8_10device_ptrIyEEEESD_SD_SD_jNS0_19identity_decomposerENS1_16block_id_wrapperIjLb1EEEEE10hipError_tT1_PNSt15iterator_traitsISI_E10value_typeET2_T3_PNSJ_ISO_E10value_typeET4_T5_PST_SU_PNS1_23onesweep_lookback_stateEbbT6_jjT7_P12ihipStream_tbENKUlT_T0_SI_SN_E_clISD_SD_SD_SD_EEDaS11_S12_SI_SN_EUlS11_E_NS1_11comp_targetILNS1_3genE6ELNS1_11target_archE950ELNS1_3gpuE13ELNS1_3repE0EEENS1_47radix_sort_onesweep_sort_config_static_selectorELNS0_4arch9wavefront6targetE1EEEvSI_,"axG",@progbits,_ZN7rocprim17ROCPRIM_400000_NS6detail17trampoline_kernelINS0_14default_configENS1_35radix_sort_onesweep_config_selectorIyyEEZZNS1_29radix_sort_onesweep_iterationIS3_Lb0EN6thrust23THRUST_200600_302600_NS6detail15normal_iteratorINS8_10device_ptrIyEEEESD_SD_SD_jNS0_19identity_decomposerENS1_16block_id_wrapperIjLb1EEEEE10hipError_tT1_PNSt15iterator_traitsISI_E10value_typeET2_T3_PNSJ_ISO_E10value_typeET4_T5_PST_SU_PNS1_23onesweep_lookback_stateEbbT6_jjT7_P12ihipStream_tbENKUlT_T0_SI_SN_E_clISD_SD_SD_SD_EEDaS11_S12_SI_SN_EUlS11_E_NS1_11comp_targetILNS1_3genE6ELNS1_11target_archE950ELNS1_3gpuE13ELNS1_3repE0EEENS1_47radix_sort_onesweep_sort_config_static_selectorELNS0_4arch9wavefront6targetE1EEEvSI_,comdat
.Lfunc_end529:
	.size	_ZN7rocprim17ROCPRIM_400000_NS6detail17trampoline_kernelINS0_14default_configENS1_35radix_sort_onesweep_config_selectorIyyEEZZNS1_29radix_sort_onesweep_iterationIS3_Lb0EN6thrust23THRUST_200600_302600_NS6detail15normal_iteratorINS8_10device_ptrIyEEEESD_SD_SD_jNS0_19identity_decomposerENS1_16block_id_wrapperIjLb1EEEEE10hipError_tT1_PNSt15iterator_traitsISI_E10value_typeET2_T3_PNSJ_ISO_E10value_typeET4_T5_PST_SU_PNS1_23onesweep_lookback_stateEbbT6_jjT7_P12ihipStream_tbENKUlT_T0_SI_SN_E_clISD_SD_SD_SD_EEDaS11_S12_SI_SN_EUlS11_E_NS1_11comp_targetILNS1_3genE6ELNS1_11target_archE950ELNS1_3gpuE13ELNS1_3repE0EEENS1_47radix_sort_onesweep_sort_config_static_selectorELNS0_4arch9wavefront6targetE1EEEvSI_, .Lfunc_end529-_ZN7rocprim17ROCPRIM_400000_NS6detail17trampoline_kernelINS0_14default_configENS1_35radix_sort_onesweep_config_selectorIyyEEZZNS1_29radix_sort_onesweep_iterationIS3_Lb0EN6thrust23THRUST_200600_302600_NS6detail15normal_iteratorINS8_10device_ptrIyEEEESD_SD_SD_jNS0_19identity_decomposerENS1_16block_id_wrapperIjLb1EEEEE10hipError_tT1_PNSt15iterator_traitsISI_E10value_typeET2_T3_PNSJ_ISO_E10value_typeET4_T5_PST_SU_PNS1_23onesweep_lookback_stateEbbT6_jjT7_P12ihipStream_tbENKUlT_T0_SI_SN_E_clISD_SD_SD_SD_EEDaS11_S12_SI_SN_EUlS11_E_NS1_11comp_targetILNS1_3genE6ELNS1_11target_archE950ELNS1_3gpuE13ELNS1_3repE0EEENS1_47radix_sort_onesweep_sort_config_static_selectorELNS0_4arch9wavefront6targetE1EEEvSI_
                                        ; -- End function
	.set _ZN7rocprim17ROCPRIM_400000_NS6detail17trampoline_kernelINS0_14default_configENS1_35radix_sort_onesweep_config_selectorIyyEEZZNS1_29radix_sort_onesweep_iterationIS3_Lb0EN6thrust23THRUST_200600_302600_NS6detail15normal_iteratorINS8_10device_ptrIyEEEESD_SD_SD_jNS0_19identity_decomposerENS1_16block_id_wrapperIjLb1EEEEE10hipError_tT1_PNSt15iterator_traitsISI_E10value_typeET2_T3_PNSJ_ISO_E10value_typeET4_T5_PST_SU_PNS1_23onesweep_lookback_stateEbbT6_jjT7_P12ihipStream_tbENKUlT_T0_SI_SN_E_clISD_SD_SD_SD_EEDaS11_S12_SI_SN_EUlS11_E_NS1_11comp_targetILNS1_3genE6ELNS1_11target_archE950ELNS1_3gpuE13ELNS1_3repE0EEENS1_47radix_sort_onesweep_sort_config_static_selectorELNS0_4arch9wavefront6targetE1EEEvSI_.num_vgpr, 58
	.set _ZN7rocprim17ROCPRIM_400000_NS6detail17trampoline_kernelINS0_14default_configENS1_35radix_sort_onesweep_config_selectorIyyEEZZNS1_29radix_sort_onesweep_iterationIS3_Lb0EN6thrust23THRUST_200600_302600_NS6detail15normal_iteratorINS8_10device_ptrIyEEEESD_SD_SD_jNS0_19identity_decomposerENS1_16block_id_wrapperIjLb1EEEEE10hipError_tT1_PNSt15iterator_traitsISI_E10value_typeET2_T3_PNSJ_ISO_E10value_typeET4_T5_PST_SU_PNS1_23onesweep_lookback_stateEbbT6_jjT7_P12ihipStream_tbENKUlT_T0_SI_SN_E_clISD_SD_SD_SD_EEDaS11_S12_SI_SN_EUlS11_E_NS1_11comp_targetILNS1_3genE6ELNS1_11target_archE950ELNS1_3gpuE13ELNS1_3repE0EEENS1_47radix_sort_onesweep_sort_config_static_selectorELNS0_4arch9wavefront6targetE1EEEvSI_.num_agpr, 0
	.set _ZN7rocprim17ROCPRIM_400000_NS6detail17trampoline_kernelINS0_14default_configENS1_35radix_sort_onesweep_config_selectorIyyEEZZNS1_29radix_sort_onesweep_iterationIS3_Lb0EN6thrust23THRUST_200600_302600_NS6detail15normal_iteratorINS8_10device_ptrIyEEEESD_SD_SD_jNS0_19identity_decomposerENS1_16block_id_wrapperIjLb1EEEEE10hipError_tT1_PNSt15iterator_traitsISI_E10value_typeET2_T3_PNSJ_ISO_E10value_typeET4_T5_PST_SU_PNS1_23onesweep_lookback_stateEbbT6_jjT7_P12ihipStream_tbENKUlT_T0_SI_SN_E_clISD_SD_SD_SD_EEDaS11_S12_SI_SN_EUlS11_E_NS1_11comp_targetILNS1_3genE6ELNS1_11target_archE950ELNS1_3gpuE13ELNS1_3repE0EEENS1_47radix_sort_onesweep_sort_config_static_selectorELNS0_4arch9wavefront6targetE1EEEvSI_.numbered_sgpr, 61
	.set _ZN7rocprim17ROCPRIM_400000_NS6detail17trampoline_kernelINS0_14default_configENS1_35radix_sort_onesweep_config_selectorIyyEEZZNS1_29radix_sort_onesweep_iterationIS3_Lb0EN6thrust23THRUST_200600_302600_NS6detail15normal_iteratorINS8_10device_ptrIyEEEESD_SD_SD_jNS0_19identity_decomposerENS1_16block_id_wrapperIjLb1EEEEE10hipError_tT1_PNSt15iterator_traitsISI_E10value_typeET2_T3_PNSJ_ISO_E10value_typeET4_T5_PST_SU_PNS1_23onesweep_lookback_stateEbbT6_jjT7_P12ihipStream_tbENKUlT_T0_SI_SN_E_clISD_SD_SD_SD_EEDaS11_S12_SI_SN_EUlS11_E_NS1_11comp_targetILNS1_3genE6ELNS1_11target_archE950ELNS1_3gpuE13ELNS1_3repE0EEENS1_47radix_sort_onesweep_sort_config_static_selectorELNS0_4arch9wavefront6targetE1EEEvSI_.num_named_barrier, 0
	.set _ZN7rocprim17ROCPRIM_400000_NS6detail17trampoline_kernelINS0_14default_configENS1_35radix_sort_onesweep_config_selectorIyyEEZZNS1_29radix_sort_onesweep_iterationIS3_Lb0EN6thrust23THRUST_200600_302600_NS6detail15normal_iteratorINS8_10device_ptrIyEEEESD_SD_SD_jNS0_19identity_decomposerENS1_16block_id_wrapperIjLb1EEEEE10hipError_tT1_PNSt15iterator_traitsISI_E10value_typeET2_T3_PNSJ_ISO_E10value_typeET4_T5_PST_SU_PNS1_23onesweep_lookback_stateEbbT6_jjT7_P12ihipStream_tbENKUlT_T0_SI_SN_E_clISD_SD_SD_SD_EEDaS11_S12_SI_SN_EUlS11_E_NS1_11comp_targetILNS1_3genE6ELNS1_11target_archE950ELNS1_3gpuE13ELNS1_3repE0EEENS1_47radix_sort_onesweep_sort_config_static_selectorELNS0_4arch9wavefront6targetE1EEEvSI_.private_seg_size, 48
	.set _ZN7rocprim17ROCPRIM_400000_NS6detail17trampoline_kernelINS0_14default_configENS1_35radix_sort_onesweep_config_selectorIyyEEZZNS1_29radix_sort_onesweep_iterationIS3_Lb0EN6thrust23THRUST_200600_302600_NS6detail15normal_iteratorINS8_10device_ptrIyEEEESD_SD_SD_jNS0_19identity_decomposerENS1_16block_id_wrapperIjLb1EEEEE10hipError_tT1_PNSt15iterator_traitsISI_E10value_typeET2_T3_PNSJ_ISO_E10value_typeET4_T5_PST_SU_PNS1_23onesweep_lookback_stateEbbT6_jjT7_P12ihipStream_tbENKUlT_T0_SI_SN_E_clISD_SD_SD_SD_EEDaS11_S12_SI_SN_EUlS11_E_NS1_11comp_targetILNS1_3genE6ELNS1_11target_archE950ELNS1_3gpuE13ELNS1_3repE0EEENS1_47radix_sort_onesweep_sort_config_static_selectorELNS0_4arch9wavefront6targetE1EEEvSI_.uses_vcc, 1
	.set _ZN7rocprim17ROCPRIM_400000_NS6detail17trampoline_kernelINS0_14default_configENS1_35radix_sort_onesweep_config_selectorIyyEEZZNS1_29radix_sort_onesweep_iterationIS3_Lb0EN6thrust23THRUST_200600_302600_NS6detail15normal_iteratorINS8_10device_ptrIyEEEESD_SD_SD_jNS0_19identity_decomposerENS1_16block_id_wrapperIjLb1EEEEE10hipError_tT1_PNSt15iterator_traitsISI_E10value_typeET2_T3_PNSJ_ISO_E10value_typeET4_T5_PST_SU_PNS1_23onesweep_lookback_stateEbbT6_jjT7_P12ihipStream_tbENKUlT_T0_SI_SN_E_clISD_SD_SD_SD_EEDaS11_S12_SI_SN_EUlS11_E_NS1_11comp_targetILNS1_3genE6ELNS1_11target_archE950ELNS1_3gpuE13ELNS1_3repE0EEENS1_47radix_sort_onesweep_sort_config_static_selectorELNS0_4arch9wavefront6targetE1EEEvSI_.uses_flat_scratch, 0
	.set _ZN7rocprim17ROCPRIM_400000_NS6detail17trampoline_kernelINS0_14default_configENS1_35radix_sort_onesweep_config_selectorIyyEEZZNS1_29radix_sort_onesweep_iterationIS3_Lb0EN6thrust23THRUST_200600_302600_NS6detail15normal_iteratorINS8_10device_ptrIyEEEESD_SD_SD_jNS0_19identity_decomposerENS1_16block_id_wrapperIjLb1EEEEE10hipError_tT1_PNSt15iterator_traitsISI_E10value_typeET2_T3_PNSJ_ISO_E10value_typeET4_T5_PST_SU_PNS1_23onesweep_lookback_stateEbbT6_jjT7_P12ihipStream_tbENKUlT_T0_SI_SN_E_clISD_SD_SD_SD_EEDaS11_S12_SI_SN_EUlS11_E_NS1_11comp_targetILNS1_3genE6ELNS1_11target_archE950ELNS1_3gpuE13ELNS1_3repE0EEENS1_47radix_sort_onesweep_sort_config_static_selectorELNS0_4arch9wavefront6targetE1EEEvSI_.has_dyn_sized_stack, 0
	.set _ZN7rocprim17ROCPRIM_400000_NS6detail17trampoline_kernelINS0_14default_configENS1_35radix_sort_onesweep_config_selectorIyyEEZZNS1_29radix_sort_onesweep_iterationIS3_Lb0EN6thrust23THRUST_200600_302600_NS6detail15normal_iteratorINS8_10device_ptrIyEEEESD_SD_SD_jNS0_19identity_decomposerENS1_16block_id_wrapperIjLb1EEEEE10hipError_tT1_PNSt15iterator_traitsISI_E10value_typeET2_T3_PNSJ_ISO_E10value_typeET4_T5_PST_SU_PNS1_23onesweep_lookback_stateEbbT6_jjT7_P12ihipStream_tbENKUlT_T0_SI_SN_E_clISD_SD_SD_SD_EEDaS11_S12_SI_SN_EUlS11_E_NS1_11comp_targetILNS1_3genE6ELNS1_11target_archE950ELNS1_3gpuE13ELNS1_3repE0EEENS1_47radix_sort_onesweep_sort_config_static_selectorELNS0_4arch9wavefront6targetE1EEEvSI_.has_recursion, 0
	.set _ZN7rocprim17ROCPRIM_400000_NS6detail17trampoline_kernelINS0_14default_configENS1_35radix_sort_onesweep_config_selectorIyyEEZZNS1_29radix_sort_onesweep_iterationIS3_Lb0EN6thrust23THRUST_200600_302600_NS6detail15normal_iteratorINS8_10device_ptrIyEEEESD_SD_SD_jNS0_19identity_decomposerENS1_16block_id_wrapperIjLb1EEEEE10hipError_tT1_PNSt15iterator_traitsISI_E10value_typeET2_T3_PNSJ_ISO_E10value_typeET4_T5_PST_SU_PNS1_23onesweep_lookback_stateEbbT6_jjT7_P12ihipStream_tbENKUlT_T0_SI_SN_E_clISD_SD_SD_SD_EEDaS11_S12_SI_SN_EUlS11_E_NS1_11comp_targetILNS1_3genE6ELNS1_11target_archE950ELNS1_3gpuE13ELNS1_3repE0EEENS1_47radix_sort_onesweep_sort_config_static_selectorELNS0_4arch9wavefront6targetE1EEEvSI_.has_indirect_call, 0
	.section	.AMDGPU.csdata,"",@progbits
; Kernel info:
; codeLenInByte = 12676
; TotalNumSgprs: 67
; NumVgprs: 58
; NumAgprs: 0
; TotalNumVgprs: 58
; ScratchSize: 48
; MemoryBound: 0
; FloatMode: 240
; IeeeMode: 1
; LDSByteSize: 53328 bytes/workgroup (compile time only)
; SGPRBlocks: 8
; VGPRBlocks: 7
; NumSGPRsForWavesPerEU: 67
; NumVGPRsForWavesPerEU: 58
; AccumOffset: 60
; Occupancy: 8
; WaveLimiterHint : 1
; COMPUTE_PGM_RSRC2:SCRATCH_EN: 1
; COMPUTE_PGM_RSRC2:USER_SGPR: 4
; COMPUTE_PGM_RSRC2:TRAP_HANDLER: 0
; COMPUTE_PGM_RSRC2:TGID_X_EN: 1
; COMPUTE_PGM_RSRC2:TGID_Y_EN: 0
; COMPUTE_PGM_RSRC2:TGID_Z_EN: 0
; COMPUTE_PGM_RSRC2:TIDIG_COMP_CNT: 2
; COMPUTE_PGM_RSRC3_GFX90A:ACCUM_OFFSET: 14
; COMPUTE_PGM_RSRC3_GFX90A:TG_SPLIT: 0
	.section	.text._ZN7rocprim17ROCPRIM_400000_NS6detail17trampoline_kernelINS0_14default_configENS1_35radix_sort_onesweep_config_selectorIyyEEZZNS1_29radix_sort_onesweep_iterationIS3_Lb0EN6thrust23THRUST_200600_302600_NS6detail15normal_iteratorINS8_10device_ptrIyEEEESD_SD_SD_jNS0_19identity_decomposerENS1_16block_id_wrapperIjLb1EEEEE10hipError_tT1_PNSt15iterator_traitsISI_E10value_typeET2_T3_PNSJ_ISO_E10value_typeET4_T5_PST_SU_PNS1_23onesweep_lookback_stateEbbT6_jjT7_P12ihipStream_tbENKUlT_T0_SI_SN_E_clISD_SD_SD_SD_EEDaS11_S12_SI_SN_EUlS11_E_NS1_11comp_targetILNS1_3genE5ELNS1_11target_archE942ELNS1_3gpuE9ELNS1_3repE0EEENS1_47radix_sort_onesweep_sort_config_static_selectorELNS0_4arch9wavefront6targetE1EEEvSI_,"axG",@progbits,_ZN7rocprim17ROCPRIM_400000_NS6detail17trampoline_kernelINS0_14default_configENS1_35radix_sort_onesweep_config_selectorIyyEEZZNS1_29radix_sort_onesweep_iterationIS3_Lb0EN6thrust23THRUST_200600_302600_NS6detail15normal_iteratorINS8_10device_ptrIyEEEESD_SD_SD_jNS0_19identity_decomposerENS1_16block_id_wrapperIjLb1EEEEE10hipError_tT1_PNSt15iterator_traitsISI_E10value_typeET2_T3_PNSJ_ISO_E10value_typeET4_T5_PST_SU_PNS1_23onesweep_lookback_stateEbbT6_jjT7_P12ihipStream_tbENKUlT_T0_SI_SN_E_clISD_SD_SD_SD_EEDaS11_S12_SI_SN_EUlS11_E_NS1_11comp_targetILNS1_3genE5ELNS1_11target_archE942ELNS1_3gpuE9ELNS1_3repE0EEENS1_47radix_sort_onesweep_sort_config_static_selectorELNS0_4arch9wavefront6targetE1EEEvSI_,comdat
	.protected	_ZN7rocprim17ROCPRIM_400000_NS6detail17trampoline_kernelINS0_14default_configENS1_35radix_sort_onesweep_config_selectorIyyEEZZNS1_29radix_sort_onesweep_iterationIS3_Lb0EN6thrust23THRUST_200600_302600_NS6detail15normal_iteratorINS8_10device_ptrIyEEEESD_SD_SD_jNS0_19identity_decomposerENS1_16block_id_wrapperIjLb1EEEEE10hipError_tT1_PNSt15iterator_traitsISI_E10value_typeET2_T3_PNSJ_ISO_E10value_typeET4_T5_PST_SU_PNS1_23onesweep_lookback_stateEbbT6_jjT7_P12ihipStream_tbENKUlT_T0_SI_SN_E_clISD_SD_SD_SD_EEDaS11_S12_SI_SN_EUlS11_E_NS1_11comp_targetILNS1_3genE5ELNS1_11target_archE942ELNS1_3gpuE9ELNS1_3repE0EEENS1_47radix_sort_onesweep_sort_config_static_selectorELNS0_4arch9wavefront6targetE1EEEvSI_ ; -- Begin function _ZN7rocprim17ROCPRIM_400000_NS6detail17trampoline_kernelINS0_14default_configENS1_35radix_sort_onesweep_config_selectorIyyEEZZNS1_29radix_sort_onesweep_iterationIS3_Lb0EN6thrust23THRUST_200600_302600_NS6detail15normal_iteratorINS8_10device_ptrIyEEEESD_SD_SD_jNS0_19identity_decomposerENS1_16block_id_wrapperIjLb1EEEEE10hipError_tT1_PNSt15iterator_traitsISI_E10value_typeET2_T3_PNSJ_ISO_E10value_typeET4_T5_PST_SU_PNS1_23onesweep_lookback_stateEbbT6_jjT7_P12ihipStream_tbENKUlT_T0_SI_SN_E_clISD_SD_SD_SD_EEDaS11_S12_SI_SN_EUlS11_E_NS1_11comp_targetILNS1_3genE5ELNS1_11target_archE942ELNS1_3gpuE9ELNS1_3repE0EEENS1_47radix_sort_onesweep_sort_config_static_selectorELNS0_4arch9wavefront6targetE1EEEvSI_
	.globl	_ZN7rocprim17ROCPRIM_400000_NS6detail17trampoline_kernelINS0_14default_configENS1_35radix_sort_onesweep_config_selectorIyyEEZZNS1_29radix_sort_onesweep_iterationIS3_Lb0EN6thrust23THRUST_200600_302600_NS6detail15normal_iteratorINS8_10device_ptrIyEEEESD_SD_SD_jNS0_19identity_decomposerENS1_16block_id_wrapperIjLb1EEEEE10hipError_tT1_PNSt15iterator_traitsISI_E10value_typeET2_T3_PNSJ_ISO_E10value_typeET4_T5_PST_SU_PNS1_23onesweep_lookback_stateEbbT6_jjT7_P12ihipStream_tbENKUlT_T0_SI_SN_E_clISD_SD_SD_SD_EEDaS11_S12_SI_SN_EUlS11_E_NS1_11comp_targetILNS1_3genE5ELNS1_11target_archE942ELNS1_3gpuE9ELNS1_3repE0EEENS1_47radix_sort_onesweep_sort_config_static_selectorELNS0_4arch9wavefront6targetE1EEEvSI_
	.p2align	8
	.type	_ZN7rocprim17ROCPRIM_400000_NS6detail17trampoline_kernelINS0_14default_configENS1_35radix_sort_onesweep_config_selectorIyyEEZZNS1_29radix_sort_onesweep_iterationIS3_Lb0EN6thrust23THRUST_200600_302600_NS6detail15normal_iteratorINS8_10device_ptrIyEEEESD_SD_SD_jNS0_19identity_decomposerENS1_16block_id_wrapperIjLb1EEEEE10hipError_tT1_PNSt15iterator_traitsISI_E10value_typeET2_T3_PNSJ_ISO_E10value_typeET4_T5_PST_SU_PNS1_23onesweep_lookback_stateEbbT6_jjT7_P12ihipStream_tbENKUlT_T0_SI_SN_E_clISD_SD_SD_SD_EEDaS11_S12_SI_SN_EUlS11_E_NS1_11comp_targetILNS1_3genE5ELNS1_11target_archE942ELNS1_3gpuE9ELNS1_3repE0EEENS1_47radix_sort_onesweep_sort_config_static_selectorELNS0_4arch9wavefront6targetE1EEEvSI_,@function
_ZN7rocprim17ROCPRIM_400000_NS6detail17trampoline_kernelINS0_14default_configENS1_35radix_sort_onesweep_config_selectorIyyEEZZNS1_29radix_sort_onesweep_iterationIS3_Lb0EN6thrust23THRUST_200600_302600_NS6detail15normal_iteratorINS8_10device_ptrIyEEEESD_SD_SD_jNS0_19identity_decomposerENS1_16block_id_wrapperIjLb1EEEEE10hipError_tT1_PNSt15iterator_traitsISI_E10value_typeET2_T3_PNSJ_ISO_E10value_typeET4_T5_PST_SU_PNS1_23onesweep_lookback_stateEbbT6_jjT7_P12ihipStream_tbENKUlT_T0_SI_SN_E_clISD_SD_SD_SD_EEDaS11_S12_SI_SN_EUlS11_E_NS1_11comp_targetILNS1_3genE5ELNS1_11target_archE942ELNS1_3gpuE9ELNS1_3repE0EEENS1_47radix_sort_onesweep_sort_config_static_selectorELNS0_4arch9wavefront6targetE1EEEvSI_: ; @_ZN7rocprim17ROCPRIM_400000_NS6detail17trampoline_kernelINS0_14default_configENS1_35radix_sort_onesweep_config_selectorIyyEEZZNS1_29radix_sort_onesweep_iterationIS3_Lb0EN6thrust23THRUST_200600_302600_NS6detail15normal_iteratorINS8_10device_ptrIyEEEESD_SD_SD_jNS0_19identity_decomposerENS1_16block_id_wrapperIjLb1EEEEE10hipError_tT1_PNSt15iterator_traitsISI_E10value_typeET2_T3_PNSJ_ISO_E10value_typeET4_T5_PST_SU_PNS1_23onesweep_lookback_stateEbbT6_jjT7_P12ihipStream_tbENKUlT_T0_SI_SN_E_clISD_SD_SD_SD_EEDaS11_S12_SI_SN_EUlS11_E_NS1_11comp_targetILNS1_3genE5ELNS1_11target_archE942ELNS1_3gpuE9ELNS1_3repE0EEENS1_47radix_sort_onesweep_sort_config_static_selectorELNS0_4arch9wavefront6targetE1EEEvSI_
; %bb.0:
	.section	.rodata,"a",@progbits
	.p2align	6, 0x0
	.amdhsa_kernel _ZN7rocprim17ROCPRIM_400000_NS6detail17trampoline_kernelINS0_14default_configENS1_35radix_sort_onesweep_config_selectorIyyEEZZNS1_29radix_sort_onesweep_iterationIS3_Lb0EN6thrust23THRUST_200600_302600_NS6detail15normal_iteratorINS8_10device_ptrIyEEEESD_SD_SD_jNS0_19identity_decomposerENS1_16block_id_wrapperIjLb1EEEEE10hipError_tT1_PNSt15iterator_traitsISI_E10value_typeET2_T3_PNSJ_ISO_E10value_typeET4_T5_PST_SU_PNS1_23onesweep_lookback_stateEbbT6_jjT7_P12ihipStream_tbENKUlT_T0_SI_SN_E_clISD_SD_SD_SD_EEDaS11_S12_SI_SN_EUlS11_E_NS1_11comp_targetILNS1_3genE5ELNS1_11target_archE942ELNS1_3gpuE9ELNS1_3repE0EEENS1_47radix_sort_onesweep_sort_config_static_selectorELNS0_4arch9wavefront6targetE1EEEvSI_
		.amdhsa_group_segment_fixed_size 0
		.amdhsa_private_segment_fixed_size 0
		.amdhsa_kernarg_size 88
		.amdhsa_user_sgpr_count 2
		.amdhsa_user_sgpr_dispatch_ptr 0
		.amdhsa_user_sgpr_queue_ptr 0
		.amdhsa_user_sgpr_kernarg_segment_ptr 1
		.amdhsa_user_sgpr_dispatch_id 0
		.amdhsa_user_sgpr_kernarg_preload_length 0
		.amdhsa_user_sgpr_kernarg_preload_offset 0
		.amdhsa_user_sgpr_private_segment_size 0
		.amdhsa_uses_dynamic_stack 0
		.amdhsa_enable_private_segment 0
		.amdhsa_system_sgpr_workgroup_id_x 1
		.amdhsa_system_sgpr_workgroup_id_y 0
		.amdhsa_system_sgpr_workgroup_id_z 0
		.amdhsa_system_sgpr_workgroup_info 0
		.amdhsa_system_vgpr_workitem_id 0
		.amdhsa_next_free_vgpr 1
		.amdhsa_next_free_sgpr 0
		.amdhsa_accum_offset 4
		.amdhsa_reserve_vcc 0
		.amdhsa_float_round_mode_32 0
		.amdhsa_float_round_mode_16_64 0
		.amdhsa_float_denorm_mode_32 3
		.amdhsa_float_denorm_mode_16_64 3
		.amdhsa_dx10_clamp 1
		.amdhsa_ieee_mode 1
		.amdhsa_fp16_overflow 0
		.amdhsa_tg_split 0
		.amdhsa_exception_fp_ieee_invalid_op 0
		.amdhsa_exception_fp_denorm_src 0
		.amdhsa_exception_fp_ieee_div_zero 0
		.amdhsa_exception_fp_ieee_overflow 0
		.amdhsa_exception_fp_ieee_underflow 0
		.amdhsa_exception_fp_ieee_inexact 0
		.amdhsa_exception_int_div_zero 0
	.end_amdhsa_kernel
	.section	.text._ZN7rocprim17ROCPRIM_400000_NS6detail17trampoline_kernelINS0_14default_configENS1_35radix_sort_onesweep_config_selectorIyyEEZZNS1_29radix_sort_onesweep_iterationIS3_Lb0EN6thrust23THRUST_200600_302600_NS6detail15normal_iteratorINS8_10device_ptrIyEEEESD_SD_SD_jNS0_19identity_decomposerENS1_16block_id_wrapperIjLb1EEEEE10hipError_tT1_PNSt15iterator_traitsISI_E10value_typeET2_T3_PNSJ_ISO_E10value_typeET4_T5_PST_SU_PNS1_23onesweep_lookback_stateEbbT6_jjT7_P12ihipStream_tbENKUlT_T0_SI_SN_E_clISD_SD_SD_SD_EEDaS11_S12_SI_SN_EUlS11_E_NS1_11comp_targetILNS1_3genE5ELNS1_11target_archE942ELNS1_3gpuE9ELNS1_3repE0EEENS1_47radix_sort_onesweep_sort_config_static_selectorELNS0_4arch9wavefront6targetE1EEEvSI_,"axG",@progbits,_ZN7rocprim17ROCPRIM_400000_NS6detail17trampoline_kernelINS0_14default_configENS1_35radix_sort_onesweep_config_selectorIyyEEZZNS1_29radix_sort_onesweep_iterationIS3_Lb0EN6thrust23THRUST_200600_302600_NS6detail15normal_iteratorINS8_10device_ptrIyEEEESD_SD_SD_jNS0_19identity_decomposerENS1_16block_id_wrapperIjLb1EEEEE10hipError_tT1_PNSt15iterator_traitsISI_E10value_typeET2_T3_PNSJ_ISO_E10value_typeET4_T5_PST_SU_PNS1_23onesweep_lookback_stateEbbT6_jjT7_P12ihipStream_tbENKUlT_T0_SI_SN_E_clISD_SD_SD_SD_EEDaS11_S12_SI_SN_EUlS11_E_NS1_11comp_targetILNS1_3genE5ELNS1_11target_archE942ELNS1_3gpuE9ELNS1_3repE0EEENS1_47radix_sort_onesweep_sort_config_static_selectorELNS0_4arch9wavefront6targetE1EEEvSI_,comdat
.Lfunc_end530:
	.size	_ZN7rocprim17ROCPRIM_400000_NS6detail17trampoline_kernelINS0_14default_configENS1_35radix_sort_onesweep_config_selectorIyyEEZZNS1_29radix_sort_onesweep_iterationIS3_Lb0EN6thrust23THRUST_200600_302600_NS6detail15normal_iteratorINS8_10device_ptrIyEEEESD_SD_SD_jNS0_19identity_decomposerENS1_16block_id_wrapperIjLb1EEEEE10hipError_tT1_PNSt15iterator_traitsISI_E10value_typeET2_T3_PNSJ_ISO_E10value_typeET4_T5_PST_SU_PNS1_23onesweep_lookback_stateEbbT6_jjT7_P12ihipStream_tbENKUlT_T0_SI_SN_E_clISD_SD_SD_SD_EEDaS11_S12_SI_SN_EUlS11_E_NS1_11comp_targetILNS1_3genE5ELNS1_11target_archE942ELNS1_3gpuE9ELNS1_3repE0EEENS1_47radix_sort_onesweep_sort_config_static_selectorELNS0_4arch9wavefront6targetE1EEEvSI_, .Lfunc_end530-_ZN7rocprim17ROCPRIM_400000_NS6detail17trampoline_kernelINS0_14default_configENS1_35radix_sort_onesweep_config_selectorIyyEEZZNS1_29radix_sort_onesweep_iterationIS3_Lb0EN6thrust23THRUST_200600_302600_NS6detail15normal_iteratorINS8_10device_ptrIyEEEESD_SD_SD_jNS0_19identity_decomposerENS1_16block_id_wrapperIjLb1EEEEE10hipError_tT1_PNSt15iterator_traitsISI_E10value_typeET2_T3_PNSJ_ISO_E10value_typeET4_T5_PST_SU_PNS1_23onesweep_lookback_stateEbbT6_jjT7_P12ihipStream_tbENKUlT_T0_SI_SN_E_clISD_SD_SD_SD_EEDaS11_S12_SI_SN_EUlS11_E_NS1_11comp_targetILNS1_3genE5ELNS1_11target_archE942ELNS1_3gpuE9ELNS1_3repE0EEENS1_47radix_sort_onesweep_sort_config_static_selectorELNS0_4arch9wavefront6targetE1EEEvSI_
                                        ; -- End function
	.set _ZN7rocprim17ROCPRIM_400000_NS6detail17trampoline_kernelINS0_14default_configENS1_35radix_sort_onesweep_config_selectorIyyEEZZNS1_29radix_sort_onesweep_iterationIS3_Lb0EN6thrust23THRUST_200600_302600_NS6detail15normal_iteratorINS8_10device_ptrIyEEEESD_SD_SD_jNS0_19identity_decomposerENS1_16block_id_wrapperIjLb1EEEEE10hipError_tT1_PNSt15iterator_traitsISI_E10value_typeET2_T3_PNSJ_ISO_E10value_typeET4_T5_PST_SU_PNS1_23onesweep_lookback_stateEbbT6_jjT7_P12ihipStream_tbENKUlT_T0_SI_SN_E_clISD_SD_SD_SD_EEDaS11_S12_SI_SN_EUlS11_E_NS1_11comp_targetILNS1_3genE5ELNS1_11target_archE942ELNS1_3gpuE9ELNS1_3repE0EEENS1_47radix_sort_onesweep_sort_config_static_selectorELNS0_4arch9wavefront6targetE1EEEvSI_.num_vgpr, 0
	.set _ZN7rocprim17ROCPRIM_400000_NS6detail17trampoline_kernelINS0_14default_configENS1_35radix_sort_onesweep_config_selectorIyyEEZZNS1_29radix_sort_onesweep_iterationIS3_Lb0EN6thrust23THRUST_200600_302600_NS6detail15normal_iteratorINS8_10device_ptrIyEEEESD_SD_SD_jNS0_19identity_decomposerENS1_16block_id_wrapperIjLb1EEEEE10hipError_tT1_PNSt15iterator_traitsISI_E10value_typeET2_T3_PNSJ_ISO_E10value_typeET4_T5_PST_SU_PNS1_23onesweep_lookback_stateEbbT6_jjT7_P12ihipStream_tbENKUlT_T0_SI_SN_E_clISD_SD_SD_SD_EEDaS11_S12_SI_SN_EUlS11_E_NS1_11comp_targetILNS1_3genE5ELNS1_11target_archE942ELNS1_3gpuE9ELNS1_3repE0EEENS1_47radix_sort_onesweep_sort_config_static_selectorELNS0_4arch9wavefront6targetE1EEEvSI_.num_agpr, 0
	.set _ZN7rocprim17ROCPRIM_400000_NS6detail17trampoline_kernelINS0_14default_configENS1_35radix_sort_onesweep_config_selectorIyyEEZZNS1_29radix_sort_onesweep_iterationIS3_Lb0EN6thrust23THRUST_200600_302600_NS6detail15normal_iteratorINS8_10device_ptrIyEEEESD_SD_SD_jNS0_19identity_decomposerENS1_16block_id_wrapperIjLb1EEEEE10hipError_tT1_PNSt15iterator_traitsISI_E10value_typeET2_T3_PNSJ_ISO_E10value_typeET4_T5_PST_SU_PNS1_23onesweep_lookback_stateEbbT6_jjT7_P12ihipStream_tbENKUlT_T0_SI_SN_E_clISD_SD_SD_SD_EEDaS11_S12_SI_SN_EUlS11_E_NS1_11comp_targetILNS1_3genE5ELNS1_11target_archE942ELNS1_3gpuE9ELNS1_3repE0EEENS1_47radix_sort_onesweep_sort_config_static_selectorELNS0_4arch9wavefront6targetE1EEEvSI_.numbered_sgpr, 0
	.set _ZN7rocprim17ROCPRIM_400000_NS6detail17trampoline_kernelINS0_14default_configENS1_35radix_sort_onesweep_config_selectorIyyEEZZNS1_29radix_sort_onesweep_iterationIS3_Lb0EN6thrust23THRUST_200600_302600_NS6detail15normal_iteratorINS8_10device_ptrIyEEEESD_SD_SD_jNS0_19identity_decomposerENS1_16block_id_wrapperIjLb1EEEEE10hipError_tT1_PNSt15iterator_traitsISI_E10value_typeET2_T3_PNSJ_ISO_E10value_typeET4_T5_PST_SU_PNS1_23onesweep_lookback_stateEbbT6_jjT7_P12ihipStream_tbENKUlT_T0_SI_SN_E_clISD_SD_SD_SD_EEDaS11_S12_SI_SN_EUlS11_E_NS1_11comp_targetILNS1_3genE5ELNS1_11target_archE942ELNS1_3gpuE9ELNS1_3repE0EEENS1_47radix_sort_onesweep_sort_config_static_selectorELNS0_4arch9wavefront6targetE1EEEvSI_.num_named_barrier, 0
	.set _ZN7rocprim17ROCPRIM_400000_NS6detail17trampoline_kernelINS0_14default_configENS1_35radix_sort_onesweep_config_selectorIyyEEZZNS1_29radix_sort_onesweep_iterationIS3_Lb0EN6thrust23THRUST_200600_302600_NS6detail15normal_iteratorINS8_10device_ptrIyEEEESD_SD_SD_jNS0_19identity_decomposerENS1_16block_id_wrapperIjLb1EEEEE10hipError_tT1_PNSt15iterator_traitsISI_E10value_typeET2_T3_PNSJ_ISO_E10value_typeET4_T5_PST_SU_PNS1_23onesweep_lookback_stateEbbT6_jjT7_P12ihipStream_tbENKUlT_T0_SI_SN_E_clISD_SD_SD_SD_EEDaS11_S12_SI_SN_EUlS11_E_NS1_11comp_targetILNS1_3genE5ELNS1_11target_archE942ELNS1_3gpuE9ELNS1_3repE0EEENS1_47radix_sort_onesweep_sort_config_static_selectorELNS0_4arch9wavefront6targetE1EEEvSI_.private_seg_size, 0
	.set _ZN7rocprim17ROCPRIM_400000_NS6detail17trampoline_kernelINS0_14default_configENS1_35radix_sort_onesweep_config_selectorIyyEEZZNS1_29radix_sort_onesweep_iterationIS3_Lb0EN6thrust23THRUST_200600_302600_NS6detail15normal_iteratorINS8_10device_ptrIyEEEESD_SD_SD_jNS0_19identity_decomposerENS1_16block_id_wrapperIjLb1EEEEE10hipError_tT1_PNSt15iterator_traitsISI_E10value_typeET2_T3_PNSJ_ISO_E10value_typeET4_T5_PST_SU_PNS1_23onesweep_lookback_stateEbbT6_jjT7_P12ihipStream_tbENKUlT_T0_SI_SN_E_clISD_SD_SD_SD_EEDaS11_S12_SI_SN_EUlS11_E_NS1_11comp_targetILNS1_3genE5ELNS1_11target_archE942ELNS1_3gpuE9ELNS1_3repE0EEENS1_47radix_sort_onesweep_sort_config_static_selectorELNS0_4arch9wavefront6targetE1EEEvSI_.uses_vcc, 0
	.set _ZN7rocprim17ROCPRIM_400000_NS6detail17trampoline_kernelINS0_14default_configENS1_35radix_sort_onesweep_config_selectorIyyEEZZNS1_29radix_sort_onesweep_iterationIS3_Lb0EN6thrust23THRUST_200600_302600_NS6detail15normal_iteratorINS8_10device_ptrIyEEEESD_SD_SD_jNS0_19identity_decomposerENS1_16block_id_wrapperIjLb1EEEEE10hipError_tT1_PNSt15iterator_traitsISI_E10value_typeET2_T3_PNSJ_ISO_E10value_typeET4_T5_PST_SU_PNS1_23onesweep_lookback_stateEbbT6_jjT7_P12ihipStream_tbENKUlT_T0_SI_SN_E_clISD_SD_SD_SD_EEDaS11_S12_SI_SN_EUlS11_E_NS1_11comp_targetILNS1_3genE5ELNS1_11target_archE942ELNS1_3gpuE9ELNS1_3repE0EEENS1_47radix_sort_onesweep_sort_config_static_selectorELNS0_4arch9wavefront6targetE1EEEvSI_.uses_flat_scratch, 0
	.set _ZN7rocprim17ROCPRIM_400000_NS6detail17trampoline_kernelINS0_14default_configENS1_35radix_sort_onesweep_config_selectorIyyEEZZNS1_29radix_sort_onesweep_iterationIS3_Lb0EN6thrust23THRUST_200600_302600_NS6detail15normal_iteratorINS8_10device_ptrIyEEEESD_SD_SD_jNS0_19identity_decomposerENS1_16block_id_wrapperIjLb1EEEEE10hipError_tT1_PNSt15iterator_traitsISI_E10value_typeET2_T3_PNSJ_ISO_E10value_typeET4_T5_PST_SU_PNS1_23onesweep_lookback_stateEbbT6_jjT7_P12ihipStream_tbENKUlT_T0_SI_SN_E_clISD_SD_SD_SD_EEDaS11_S12_SI_SN_EUlS11_E_NS1_11comp_targetILNS1_3genE5ELNS1_11target_archE942ELNS1_3gpuE9ELNS1_3repE0EEENS1_47radix_sort_onesweep_sort_config_static_selectorELNS0_4arch9wavefront6targetE1EEEvSI_.has_dyn_sized_stack, 0
	.set _ZN7rocprim17ROCPRIM_400000_NS6detail17trampoline_kernelINS0_14default_configENS1_35radix_sort_onesweep_config_selectorIyyEEZZNS1_29radix_sort_onesweep_iterationIS3_Lb0EN6thrust23THRUST_200600_302600_NS6detail15normal_iteratorINS8_10device_ptrIyEEEESD_SD_SD_jNS0_19identity_decomposerENS1_16block_id_wrapperIjLb1EEEEE10hipError_tT1_PNSt15iterator_traitsISI_E10value_typeET2_T3_PNSJ_ISO_E10value_typeET4_T5_PST_SU_PNS1_23onesweep_lookback_stateEbbT6_jjT7_P12ihipStream_tbENKUlT_T0_SI_SN_E_clISD_SD_SD_SD_EEDaS11_S12_SI_SN_EUlS11_E_NS1_11comp_targetILNS1_3genE5ELNS1_11target_archE942ELNS1_3gpuE9ELNS1_3repE0EEENS1_47radix_sort_onesweep_sort_config_static_selectorELNS0_4arch9wavefront6targetE1EEEvSI_.has_recursion, 0
	.set _ZN7rocprim17ROCPRIM_400000_NS6detail17trampoline_kernelINS0_14default_configENS1_35radix_sort_onesweep_config_selectorIyyEEZZNS1_29radix_sort_onesweep_iterationIS3_Lb0EN6thrust23THRUST_200600_302600_NS6detail15normal_iteratorINS8_10device_ptrIyEEEESD_SD_SD_jNS0_19identity_decomposerENS1_16block_id_wrapperIjLb1EEEEE10hipError_tT1_PNSt15iterator_traitsISI_E10value_typeET2_T3_PNSJ_ISO_E10value_typeET4_T5_PST_SU_PNS1_23onesweep_lookback_stateEbbT6_jjT7_P12ihipStream_tbENKUlT_T0_SI_SN_E_clISD_SD_SD_SD_EEDaS11_S12_SI_SN_EUlS11_E_NS1_11comp_targetILNS1_3genE5ELNS1_11target_archE942ELNS1_3gpuE9ELNS1_3repE0EEENS1_47radix_sort_onesweep_sort_config_static_selectorELNS0_4arch9wavefront6targetE1EEEvSI_.has_indirect_call, 0
	.section	.AMDGPU.csdata,"",@progbits
; Kernel info:
; codeLenInByte = 0
; TotalNumSgprs: 6
; NumVgprs: 0
; NumAgprs: 0
; TotalNumVgprs: 0
; ScratchSize: 0
; MemoryBound: 0
; FloatMode: 240
; IeeeMode: 1
; LDSByteSize: 0 bytes/workgroup (compile time only)
; SGPRBlocks: 0
; VGPRBlocks: 0
; NumSGPRsForWavesPerEU: 6
; NumVGPRsForWavesPerEU: 1
; AccumOffset: 4
; Occupancy: 8
; WaveLimiterHint : 0
; COMPUTE_PGM_RSRC2:SCRATCH_EN: 0
; COMPUTE_PGM_RSRC2:USER_SGPR: 2
; COMPUTE_PGM_RSRC2:TRAP_HANDLER: 0
; COMPUTE_PGM_RSRC2:TGID_X_EN: 1
; COMPUTE_PGM_RSRC2:TGID_Y_EN: 0
; COMPUTE_PGM_RSRC2:TGID_Z_EN: 0
; COMPUTE_PGM_RSRC2:TIDIG_COMP_CNT: 0
; COMPUTE_PGM_RSRC3_GFX90A:ACCUM_OFFSET: 0
; COMPUTE_PGM_RSRC3_GFX90A:TG_SPLIT: 0
	.section	.text._ZN7rocprim17ROCPRIM_400000_NS6detail17trampoline_kernelINS0_14default_configENS1_35radix_sort_onesweep_config_selectorIyyEEZZNS1_29radix_sort_onesweep_iterationIS3_Lb0EN6thrust23THRUST_200600_302600_NS6detail15normal_iteratorINS8_10device_ptrIyEEEESD_SD_SD_jNS0_19identity_decomposerENS1_16block_id_wrapperIjLb1EEEEE10hipError_tT1_PNSt15iterator_traitsISI_E10value_typeET2_T3_PNSJ_ISO_E10value_typeET4_T5_PST_SU_PNS1_23onesweep_lookback_stateEbbT6_jjT7_P12ihipStream_tbENKUlT_T0_SI_SN_E_clISD_SD_SD_SD_EEDaS11_S12_SI_SN_EUlS11_E_NS1_11comp_targetILNS1_3genE2ELNS1_11target_archE906ELNS1_3gpuE6ELNS1_3repE0EEENS1_47radix_sort_onesweep_sort_config_static_selectorELNS0_4arch9wavefront6targetE1EEEvSI_,"axG",@progbits,_ZN7rocprim17ROCPRIM_400000_NS6detail17trampoline_kernelINS0_14default_configENS1_35radix_sort_onesweep_config_selectorIyyEEZZNS1_29radix_sort_onesweep_iterationIS3_Lb0EN6thrust23THRUST_200600_302600_NS6detail15normal_iteratorINS8_10device_ptrIyEEEESD_SD_SD_jNS0_19identity_decomposerENS1_16block_id_wrapperIjLb1EEEEE10hipError_tT1_PNSt15iterator_traitsISI_E10value_typeET2_T3_PNSJ_ISO_E10value_typeET4_T5_PST_SU_PNS1_23onesweep_lookback_stateEbbT6_jjT7_P12ihipStream_tbENKUlT_T0_SI_SN_E_clISD_SD_SD_SD_EEDaS11_S12_SI_SN_EUlS11_E_NS1_11comp_targetILNS1_3genE2ELNS1_11target_archE906ELNS1_3gpuE6ELNS1_3repE0EEENS1_47radix_sort_onesweep_sort_config_static_selectorELNS0_4arch9wavefront6targetE1EEEvSI_,comdat
	.protected	_ZN7rocprim17ROCPRIM_400000_NS6detail17trampoline_kernelINS0_14default_configENS1_35radix_sort_onesweep_config_selectorIyyEEZZNS1_29radix_sort_onesweep_iterationIS3_Lb0EN6thrust23THRUST_200600_302600_NS6detail15normal_iteratorINS8_10device_ptrIyEEEESD_SD_SD_jNS0_19identity_decomposerENS1_16block_id_wrapperIjLb1EEEEE10hipError_tT1_PNSt15iterator_traitsISI_E10value_typeET2_T3_PNSJ_ISO_E10value_typeET4_T5_PST_SU_PNS1_23onesweep_lookback_stateEbbT6_jjT7_P12ihipStream_tbENKUlT_T0_SI_SN_E_clISD_SD_SD_SD_EEDaS11_S12_SI_SN_EUlS11_E_NS1_11comp_targetILNS1_3genE2ELNS1_11target_archE906ELNS1_3gpuE6ELNS1_3repE0EEENS1_47radix_sort_onesweep_sort_config_static_selectorELNS0_4arch9wavefront6targetE1EEEvSI_ ; -- Begin function _ZN7rocprim17ROCPRIM_400000_NS6detail17trampoline_kernelINS0_14default_configENS1_35radix_sort_onesweep_config_selectorIyyEEZZNS1_29radix_sort_onesweep_iterationIS3_Lb0EN6thrust23THRUST_200600_302600_NS6detail15normal_iteratorINS8_10device_ptrIyEEEESD_SD_SD_jNS0_19identity_decomposerENS1_16block_id_wrapperIjLb1EEEEE10hipError_tT1_PNSt15iterator_traitsISI_E10value_typeET2_T3_PNSJ_ISO_E10value_typeET4_T5_PST_SU_PNS1_23onesweep_lookback_stateEbbT6_jjT7_P12ihipStream_tbENKUlT_T0_SI_SN_E_clISD_SD_SD_SD_EEDaS11_S12_SI_SN_EUlS11_E_NS1_11comp_targetILNS1_3genE2ELNS1_11target_archE906ELNS1_3gpuE6ELNS1_3repE0EEENS1_47radix_sort_onesweep_sort_config_static_selectorELNS0_4arch9wavefront6targetE1EEEvSI_
	.globl	_ZN7rocprim17ROCPRIM_400000_NS6detail17trampoline_kernelINS0_14default_configENS1_35radix_sort_onesweep_config_selectorIyyEEZZNS1_29radix_sort_onesweep_iterationIS3_Lb0EN6thrust23THRUST_200600_302600_NS6detail15normal_iteratorINS8_10device_ptrIyEEEESD_SD_SD_jNS0_19identity_decomposerENS1_16block_id_wrapperIjLb1EEEEE10hipError_tT1_PNSt15iterator_traitsISI_E10value_typeET2_T3_PNSJ_ISO_E10value_typeET4_T5_PST_SU_PNS1_23onesweep_lookback_stateEbbT6_jjT7_P12ihipStream_tbENKUlT_T0_SI_SN_E_clISD_SD_SD_SD_EEDaS11_S12_SI_SN_EUlS11_E_NS1_11comp_targetILNS1_3genE2ELNS1_11target_archE906ELNS1_3gpuE6ELNS1_3repE0EEENS1_47radix_sort_onesweep_sort_config_static_selectorELNS0_4arch9wavefront6targetE1EEEvSI_
	.p2align	8
	.type	_ZN7rocprim17ROCPRIM_400000_NS6detail17trampoline_kernelINS0_14default_configENS1_35radix_sort_onesweep_config_selectorIyyEEZZNS1_29radix_sort_onesweep_iterationIS3_Lb0EN6thrust23THRUST_200600_302600_NS6detail15normal_iteratorINS8_10device_ptrIyEEEESD_SD_SD_jNS0_19identity_decomposerENS1_16block_id_wrapperIjLb1EEEEE10hipError_tT1_PNSt15iterator_traitsISI_E10value_typeET2_T3_PNSJ_ISO_E10value_typeET4_T5_PST_SU_PNS1_23onesweep_lookback_stateEbbT6_jjT7_P12ihipStream_tbENKUlT_T0_SI_SN_E_clISD_SD_SD_SD_EEDaS11_S12_SI_SN_EUlS11_E_NS1_11comp_targetILNS1_3genE2ELNS1_11target_archE906ELNS1_3gpuE6ELNS1_3repE0EEENS1_47radix_sort_onesweep_sort_config_static_selectorELNS0_4arch9wavefront6targetE1EEEvSI_,@function
_ZN7rocprim17ROCPRIM_400000_NS6detail17trampoline_kernelINS0_14default_configENS1_35radix_sort_onesweep_config_selectorIyyEEZZNS1_29radix_sort_onesweep_iterationIS3_Lb0EN6thrust23THRUST_200600_302600_NS6detail15normal_iteratorINS8_10device_ptrIyEEEESD_SD_SD_jNS0_19identity_decomposerENS1_16block_id_wrapperIjLb1EEEEE10hipError_tT1_PNSt15iterator_traitsISI_E10value_typeET2_T3_PNSJ_ISO_E10value_typeET4_T5_PST_SU_PNS1_23onesweep_lookback_stateEbbT6_jjT7_P12ihipStream_tbENKUlT_T0_SI_SN_E_clISD_SD_SD_SD_EEDaS11_S12_SI_SN_EUlS11_E_NS1_11comp_targetILNS1_3genE2ELNS1_11target_archE906ELNS1_3gpuE6ELNS1_3repE0EEENS1_47radix_sort_onesweep_sort_config_static_selectorELNS0_4arch9wavefront6targetE1EEEvSI_: ; @_ZN7rocprim17ROCPRIM_400000_NS6detail17trampoline_kernelINS0_14default_configENS1_35radix_sort_onesweep_config_selectorIyyEEZZNS1_29radix_sort_onesweep_iterationIS3_Lb0EN6thrust23THRUST_200600_302600_NS6detail15normal_iteratorINS8_10device_ptrIyEEEESD_SD_SD_jNS0_19identity_decomposerENS1_16block_id_wrapperIjLb1EEEEE10hipError_tT1_PNSt15iterator_traitsISI_E10value_typeET2_T3_PNSJ_ISO_E10value_typeET4_T5_PST_SU_PNS1_23onesweep_lookback_stateEbbT6_jjT7_P12ihipStream_tbENKUlT_T0_SI_SN_E_clISD_SD_SD_SD_EEDaS11_S12_SI_SN_EUlS11_E_NS1_11comp_targetILNS1_3genE2ELNS1_11target_archE906ELNS1_3gpuE6ELNS1_3repE0EEENS1_47radix_sort_onesweep_sort_config_static_selectorELNS0_4arch9wavefront6targetE1EEEvSI_
; %bb.0:
	.section	.rodata,"a",@progbits
	.p2align	6, 0x0
	.amdhsa_kernel _ZN7rocprim17ROCPRIM_400000_NS6detail17trampoline_kernelINS0_14default_configENS1_35radix_sort_onesweep_config_selectorIyyEEZZNS1_29radix_sort_onesweep_iterationIS3_Lb0EN6thrust23THRUST_200600_302600_NS6detail15normal_iteratorINS8_10device_ptrIyEEEESD_SD_SD_jNS0_19identity_decomposerENS1_16block_id_wrapperIjLb1EEEEE10hipError_tT1_PNSt15iterator_traitsISI_E10value_typeET2_T3_PNSJ_ISO_E10value_typeET4_T5_PST_SU_PNS1_23onesweep_lookback_stateEbbT6_jjT7_P12ihipStream_tbENKUlT_T0_SI_SN_E_clISD_SD_SD_SD_EEDaS11_S12_SI_SN_EUlS11_E_NS1_11comp_targetILNS1_3genE2ELNS1_11target_archE906ELNS1_3gpuE6ELNS1_3repE0EEENS1_47radix_sort_onesweep_sort_config_static_selectorELNS0_4arch9wavefront6targetE1EEEvSI_
		.amdhsa_group_segment_fixed_size 0
		.amdhsa_private_segment_fixed_size 0
		.amdhsa_kernarg_size 88
		.amdhsa_user_sgpr_count 2
		.amdhsa_user_sgpr_dispatch_ptr 0
		.amdhsa_user_sgpr_queue_ptr 0
		.amdhsa_user_sgpr_kernarg_segment_ptr 1
		.amdhsa_user_sgpr_dispatch_id 0
		.amdhsa_user_sgpr_kernarg_preload_length 0
		.amdhsa_user_sgpr_kernarg_preload_offset 0
		.amdhsa_user_sgpr_private_segment_size 0
		.amdhsa_uses_dynamic_stack 0
		.amdhsa_enable_private_segment 0
		.amdhsa_system_sgpr_workgroup_id_x 1
		.amdhsa_system_sgpr_workgroup_id_y 0
		.amdhsa_system_sgpr_workgroup_id_z 0
		.amdhsa_system_sgpr_workgroup_info 0
		.amdhsa_system_vgpr_workitem_id 0
		.amdhsa_next_free_vgpr 1
		.amdhsa_next_free_sgpr 0
		.amdhsa_accum_offset 4
		.amdhsa_reserve_vcc 0
		.amdhsa_float_round_mode_32 0
		.amdhsa_float_round_mode_16_64 0
		.amdhsa_float_denorm_mode_32 3
		.amdhsa_float_denorm_mode_16_64 3
		.amdhsa_dx10_clamp 1
		.amdhsa_ieee_mode 1
		.amdhsa_fp16_overflow 0
		.amdhsa_tg_split 0
		.amdhsa_exception_fp_ieee_invalid_op 0
		.amdhsa_exception_fp_denorm_src 0
		.amdhsa_exception_fp_ieee_div_zero 0
		.amdhsa_exception_fp_ieee_overflow 0
		.amdhsa_exception_fp_ieee_underflow 0
		.amdhsa_exception_fp_ieee_inexact 0
		.amdhsa_exception_int_div_zero 0
	.end_amdhsa_kernel
	.section	.text._ZN7rocprim17ROCPRIM_400000_NS6detail17trampoline_kernelINS0_14default_configENS1_35radix_sort_onesweep_config_selectorIyyEEZZNS1_29radix_sort_onesweep_iterationIS3_Lb0EN6thrust23THRUST_200600_302600_NS6detail15normal_iteratorINS8_10device_ptrIyEEEESD_SD_SD_jNS0_19identity_decomposerENS1_16block_id_wrapperIjLb1EEEEE10hipError_tT1_PNSt15iterator_traitsISI_E10value_typeET2_T3_PNSJ_ISO_E10value_typeET4_T5_PST_SU_PNS1_23onesweep_lookback_stateEbbT6_jjT7_P12ihipStream_tbENKUlT_T0_SI_SN_E_clISD_SD_SD_SD_EEDaS11_S12_SI_SN_EUlS11_E_NS1_11comp_targetILNS1_3genE2ELNS1_11target_archE906ELNS1_3gpuE6ELNS1_3repE0EEENS1_47radix_sort_onesweep_sort_config_static_selectorELNS0_4arch9wavefront6targetE1EEEvSI_,"axG",@progbits,_ZN7rocprim17ROCPRIM_400000_NS6detail17trampoline_kernelINS0_14default_configENS1_35radix_sort_onesweep_config_selectorIyyEEZZNS1_29radix_sort_onesweep_iterationIS3_Lb0EN6thrust23THRUST_200600_302600_NS6detail15normal_iteratorINS8_10device_ptrIyEEEESD_SD_SD_jNS0_19identity_decomposerENS1_16block_id_wrapperIjLb1EEEEE10hipError_tT1_PNSt15iterator_traitsISI_E10value_typeET2_T3_PNSJ_ISO_E10value_typeET4_T5_PST_SU_PNS1_23onesweep_lookback_stateEbbT6_jjT7_P12ihipStream_tbENKUlT_T0_SI_SN_E_clISD_SD_SD_SD_EEDaS11_S12_SI_SN_EUlS11_E_NS1_11comp_targetILNS1_3genE2ELNS1_11target_archE906ELNS1_3gpuE6ELNS1_3repE0EEENS1_47radix_sort_onesweep_sort_config_static_selectorELNS0_4arch9wavefront6targetE1EEEvSI_,comdat
.Lfunc_end531:
	.size	_ZN7rocprim17ROCPRIM_400000_NS6detail17trampoline_kernelINS0_14default_configENS1_35radix_sort_onesweep_config_selectorIyyEEZZNS1_29radix_sort_onesweep_iterationIS3_Lb0EN6thrust23THRUST_200600_302600_NS6detail15normal_iteratorINS8_10device_ptrIyEEEESD_SD_SD_jNS0_19identity_decomposerENS1_16block_id_wrapperIjLb1EEEEE10hipError_tT1_PNSt15iterator_traitsISI_E10value_typeET2_T3_PNSJ_ISO_E10value_typeET4_T5_PST_SU_PNS1_23onesweep_lookback_stateEbbT6_jjT7_P12ihipStream_tbENKUlT_T0_SI_SN_E_clISD_SD_SD_SD_EEDaS11_S12_SI_SN_EUlS11_E_NS1_11comp_targetILNS1_3genE2ELNS1_11target_archE906ELNS1_3gpuE6ELNS1_3repE0EEENS1_47radix_sort_onesweep_sort_config_static_selectorELNS0_4arch9wavefront6targetE1EEEvSI_, .Lfunc_end531-_ZN7rocprim17ROCPRIM_400000_NS6detail17trampoline_kernelINS0_14default_configENS1_35radix_sort_onesweep_config_selectorIyyEEZZNS1_29radix_sort_onesweep_iterationIS3_Lb0EN6thrust23THRUST_200600_302600_NS6detail15normal_iteratorINS8_10device_ptrIyEEEESD_SD_SD_jNS0_19identity_decomposerENS1_16block_id_wrapperIjLb1EEEEE10hipError_tT1_PNSt15iterator_traitsISI_E10value_typeET2_T3_PNSJ_ISO_E10value_typeET4_T5_PST_SU_PNS1_23onesweep_lookback_stateEbbT6_jjT7_P12ihipStream_tbENKUlT_T0_SI_SN_E_clISD_SD_SD_SD_EEDaS11_S12_SI_SN_EUlS11_E_NS1_11comp_targetILNS1_3genE2ELNS1_11target_archE906ELNS1_3gpuE6ELNS1_3repE0EEENS1_47radix_sort_onesweep_sort_config_static_selectorELNS0_4arch9wavefront6targetE1EEEvSI_
                                        ; -- End function
	.set _ZN7rocprim17ROCPRIM_400000_NS6detail17trampoline_kernelINS0_14default_configENS1_35radix_sort_onesweep_config_selectorIyyEEZZNS1_29radix_sort_onesweep_iterationIS3_Lb0EN6thrust23THRUST_200600_302600_NS6detail15normal_iteratorINS8_10device_ptrIyEEEESD_SD_SD_jNS0_19identity_decomposerENS1_16block_id_wrapperIjLb1EEEEE10hipError_tT1_PNSt15iterator_traitsISI_E10value_typeET2_T3_PNSJ_ISO_E10value_typeET4_T5_PST_SU_PNS1_23onesweep_lookback_stateEbbT6_jjT7_P12ihipStream_tbENKUlT_T0_SI_SN_E_clISD_SD_SD_SD_EEDaS11_S12_SI_SN_EUlS11_E_NS1_11comp_targetILNS1_3genE2ELNS1_11target_archE906ELNS1_3gpuE6ELNS1_3repE0EEENS1_47radix_sort_onesweep_sort_config_static_selectorELNS0_4arch9wavefront6targetE1EEEvSI_.num_vgpr, 0
	.set _ZN7rocprim17ROCPRIM_400000_NS6detail17trampoline_kernelINS0_14default_configENS1_35radix_sort_onesweep_config_selectorIyyEEZZNS1_29radix_sort_onesweep_iterationIS3_Lb0EN6thrust23THRUST_200600_302600_NS6detail15normal_iteratorINS8_10device_ptrIyEEEESD_SD_SD_jNS0_19identity_decomposerENS1_16block_id_wrapperIjLb1EEEEE10hipError_tT1_PNSt15iterator_traitsISI_E10value_typeET2_T3_PNSJ_ISO_E10value_typeET4_T5_PST_SU_PNS1_23onesweep_lookback_stateEbbT6_jjT7_P12ihipStream_tbENKUlT_T0_SI_SN_E_clISD_SD_SD_SD_EEDaS11_S12_SI_SN_EUlS11_E_NS1_11comp_targetILNS1_3genE2ELNS1_11target_archE906ELNS1_3gpuE6ELNS1_3repE0EEENS1_47radix_sort_onesweep_sort_config_static_selectorELNS0_4arch9wavefront6targetE1EEEvSI_.num_agpr, 0
	.set _ZN7rocprim17ROCPRIM_400000_NS6detail17trampoline_kernelINS0_14default_configENS1_35radix_sort_onesweep_config_selectorIyyEEZZNS1_29radix_sort_onesweep_iterationIS3_Lb0EN6thrust23THRUST_200600_302600_NS6detail15normal_iteratorINS8_10device_ptrIyEEEESD_SD_SD_jNS0_19identity_decomposerENS1_16block_id_wrapperIjLb1EEEEE10hipError_tT1_PNSt15iterator_traitsISI_E10value_typeET2_T3_PNSJ_ISO_E10value_typeET4_T5_PST_SU_PNS1_23onesweep_lookback_stateEbbT6_jjT7_P12ihipStream_tbENKUlT_T0_SI_SN_E_clISD_SD_SD_SD_EEDaS11_S12_SI_SN_EUlS11_E_NS1_11comp_targetILNS1_3genE2ELNS1_11target_archE906ELNS1_3gpuE6ELNS1_3repE0EEENS1_47radix_sort_onesweep_sort_config_static_selectorELNS0_4arch9wavefront6targetE1EEEvSI_.numbered_sgpr, 0
	.set _ZN7rocprim17ROCPRIM_400000_NS6detail17trampoline_kernelINS0_14default_configENS1_35radix_sort_onesweep_config_selectorIyyEEZZNS1_29radix_sort_onesweep_iterationIS3_Lb0EN6thrust23THRUST_200600_302600_NS6detail15normal_iteratorINS8_10device_ptrIyEEEESD_SD_SD_jNS0_19identity_decomposerENS1_16block_id_wrapperIjLb1EEEEE10hipError_tT1_PNSt15iterator_traitsISI_E10value_typeET2_T3_PNSJ_ISO_E10value_typeET4_T5_PST_SU_PNS1_23onesweep_lookback_stateEbbT6_jjT7_P12ihipStream_tbENKUlT_T0_SI_SN_E_clISD_SD_SD_SD_EEDaS11_S12_SI_SN_EUlS11_E_NS1_11comp_targetILNS1_3genE2ELNS1_11target_archE906ELNS1_3gpuE6ELNS1_3repE0EEENS1_47radix_sort_onesweep_sort_config_static_selectorELNS0_4arch9wavefront6targetE1EEEvSI_.num_named_barrier, 0
	.set _ZN7rocprim17ROCPRIM_400000_NS6detail17trampoline_kernelINS0_14default_configENS1_35radix_sort_onesweep_config_selectorIyyEEZZNS1_29radix_sort_onesweep_iterationIS3_Lb0EN6thrust23THRUST_200600_302600_NS6detail15normal_iteratorINS8_10device_ptrIyEEEESD_SD_SD_jNS0_19identity_decomposerENS1_16block_id_wrapperIjLb1EEEEE10hipError_tT1_PNSt15iterator_traitsISI_E10value_typeET2_T3_PNSJ_ISO_E10value_typeET4_T5_PST_SU_PNS1_23onesweep_lookback_stateEbbT6_jjT7_P12ihipStream_tbENKUlT_T0_SI_SN_E_clISD_SD_SD_SD_EEDaS11_S12_SI_SN_EUlS11_E_NS1_11comp_targetILNS1_3genE2ELNS1_11target_archE906ELNS1_3gpuE6ELNS1_3repE0EEENS1_47radix_sort_onesweep_sort_config_static_selectorELNS0_4arch9wavefront6targetE1EEEvSI_.private_seg_size, 0
	.set _ZN7rocprim17ROCPRIM_400000_NS6detail17trampoline_kernelINS0_14default_configENS1_35radix_sort_onesweep_config_selectorIyyEEZZNS1_29radix_sort_onesweep_iterationIS3_Lb0EN6thrust23THRUST_200600_302600_NS6detail15normal_iteratorINS8_10device_ptrIyEEEESD_SD_SD_jNS0_19identity_decomposerENS1_16block_id_wrapperIjLb1EEEEE10hipError_tT1_PNSt15iterator_traitsISI_E10value_typeET2_T3_PNSJ_ISO_E10value_typeET4_T5_PST_SU_PNS1_23onesweep_lookback_stateEbbT6_jjT7_P12ihipStream_tbENKUlT_T0_SI_SN_E_clISD_SD_SD_SD_EEDaS11_S12_SI_SN_EUlS11_E_NS1_11comp_targetILNS1_3genE2ELNS1_11target_archE906ELNS1_3gpuE6ELNS1_3repE0EEENS1_47radix_sort_onesweep_sort_config_static_selectorELNS0_4arch9wavefront6targetE1EEEvSI_.uses_vcc, 0
	.set _ZN7rocprim17ROCPRIM_400000_NS6detail17trampoline_kernelINS0_14default_configENS1_35radix_sort_onesweep_config_selectorIyyEEZZNS1_29radix_sort_onesweep_iterationIS3_Lb0EN6thrust23THRUST_200600_302600_NS6detail15normal_iteratorINS8_10device_ptrIyEEEESD_SD_SD_jNS0_19identity_decomposerENS1_16block_id_wrapperIjLb1EEEEE10hipError_tT1_PNSt15iterator_traitsISI_E10value_typeET2_T3_PNSJ_ISO_E10value_typeET4_T5_PST_SU_PNS1_23onesweep_lookback_stateEbbT6_jjT7_P12ihipStream_tbENKUlT_T0_SI_SN_E_clISD_SD_SD_SD_EEDaS11_S12_SI_SN_EUlS11_E_NS1_11comp_targetILNS1_3genE2ELNS1_11target_archE906ELNS1_3gpuE6ELNS1_3repE0EEENS1_47radix_sort_onesweep_sort_config_static_selectorELNS0_4arch9wavefront6targetE1EEEvSI_.uses_flat_scratch, 0
	.set _ZN7rocprim17ROCPRIM_400000_NS6detail17trampoline_kernelINS0_14default_configENS1_35radix_sort_onesweep_config_selectorIyyEEZZNS1_29radix_sort_onesweep_iterationIS3_Lb0EN6thrust23THRUST_200600_302600_NS6detail15normal_iteratorINS8_10device_ptrIyEEEESD_SD_SD_jNS0_19identity_decomposerENS1_16block_id_wrapperIjLb1EEEEE10hipError_tT1_PNSt15iterator_traitsISI_E10value_typeET2_T3_PNSJ_ISO_E10value_typeET4_T5_PST_SU_PNS1_23onesweep_lookback_stateEbbT6_jjT7_P12ihipStream_tbENKUlT_T0_SI_SN_E_clISD_SD_SD_SD_EEDaS11_S12_SI_SN_EUlS11_E_NS1_11comp_targetILNS1_3genE2ELNS1_11target_archE906ELNS1_3gpuE6ELNS1_3repE0EEENS1_47radix_sort_onesweep_sort_config_static_selectorELNS0_4arch9wavefront6targetE1EEEvSI_.has_dyn_sized_stack, 0
	.set _ZN7rocprim17ROCPRIM_400000_NS6detail17trampoline_kernelINS0_14default_configENS1_35radix_sort_onesweep_config_selectorIyyEEZZNS1_29radix_sort_onesweep_iterationIS3_Lb0EN6thrust23THRUST_200600_302600_NS6detail15normal_iteratorINS8_10device_ptrIyEEEESD_SD_SD_jNS0_19identity_decomposerENS1_16block_id_wrapperIjLb1EEEEE10hipError_tT1_PNSt15iterator_traitsISI_E10value_typeET2_T3_PNSJ_ISO_E10value_typeET4_T5_PST_SU_PNS1_23onesweep_lookback_stateEbbT6_jjT7_P12ihipStream_tbENKUlT_T0_SI_SN_E_clISD_SD_SD_SD_EEDaS11_S12_SI_SN_EUlS11_E_NS1_11comp_targetILNS1_3genE2ELNS1_11target_archE906ELNS1_3gpuE6ELNS1_3repE0EEENS1_47radix_sort_onesweep_sort_config_static_selectorELNS0_4arch9wavefront6targetE1EEEvSI_.has_recursion, 0
	.set _ZN7rocprim17ROCPRIM_400000_NS6detail17trampoline_kernelINS0_14default_configENS1_35radix_sort_onesweep_config_selectorIyyEEZZNS1_29radix_sort_onesweep_iterationIS3_Lb0EN6thrust23THRUST_200600_302600_NS6detail15normal_iteratorINS8_10device_ptrIyEEEESD_SD_SD_jNS0_19identity_decomposerENS1_16block_id_wrapperIjLb1EEEEE10hipError_tT1_PNSt15iterator_traitsISI_E10value_typeET2_T3_PNSJ_ISO_E10value_typeET4_T5_PST_SU_PNS1_23onesweep_lookback_stateEbbT6_jjT7_P12ihipStream_tbENKUlT_T0_SI_SN_E_clISD_SD_SD_SD_EEDaS11_S12_SI_SN_EUlS11_E_NS1_11comp_targetILNS1_3genE2ELNS1_11target_archE906ELNS1_3gpuE6ELNS1_3repE0EEENS1_47radix_sort_onesweep_sort_config_static_selectorELNS0_4arch9wavefront6targetE1EEEvSI_.has_indirect_call, 0
	.section	.AMDGPU.csdata,"",@progbits
; Kernel info:
; codeLenInByte = 0
; TotalNumSgprs: 6
; NumVgprs: 0
; NumAgprs: 0
; TotalNumVgprs: 0
; ScratchSize: 0
; MemoryBound: 0
; FloatMode: 240
; IeeeMode: 1
; LDSByteSize: 0 bytes/workgroup (compile time only)
; SGPRBlocks: 0
; VGPRBlocks: 0
; NumSGPRsForWavesPerEU: 6
; NumVGPRsForWavesPerEU: 1
; AccumOffset: 4
; Occupancy: 8
; WaveLimiterHint : 0
; COMPUTE_PGM_RSRC2:SCRATCH_EN: 0
; COMPUTE_PGM_RSRC2:USER_SGPR: 2
; COMPUTE_PGM_RSRC2:TRAP_HANDLER: 0
; COMPUTE_PGM_RSRC2:TGID_X_EN: 1
; COMPUTE_PGM_RSRC2:TGID_Y_EN: 0
; COMPUTE_PGM_RSRC2:TGID_Z_EN: 0
; COMPUTE_PGM_RSRC2:TIDIG_COMP_CNT: 0
; COMPUTE_PGM_RSRC3_GFX90A:ACCUM_OFFSET: 0
; COMPUTE_PGM_RSRC3_GFX90A:TG_SPLIT: 0
	.section	.text._ZN7rocprim17ROCPRIM_400000_NS6detail17trampoline_kernelINS0_14default_configENS1_35radix_sort_onesweep_config_selectorIyyEEZZNS1_29radix_sort_onesweep_iterationIS3_Lb0EN6thrust23THRUST_200600_302600_NS6detail15normal_iteratorINS8_10device_ptrIyEEEESD_SD_SD_jNS0_19identity_decomposerENS1_16block_id_wrapperIjLb1EEEEE10hipError_tT1_PNSt15iterator_traitsISI_E10value_typeET2_T3_PNSJ_ISO_E10value_typeET4_T5_PST_SU_PNS1_23onesweep_lookback_stateEbbT6_jjT7_P12ihipStream_tbENKUlT_T0_SI_SN_E_clISD_SD_SD_SD_EEDaS11_S12_SI_SN_EUlS11_E_NS1_11comp_targetILNS1_3genE4ELNS1_11target_archE910ELNS1_3gpuE8ELNS1_3repE0EEENS1_47radix_sort_onesweep_sort_config_static_selectorELNS0_4arch9wavefront6targetE1EEEvSI_,"axG",@progbits,_ZN7rocprim17ROCPRIM_400000_NS6detail17trampoline_kernelINS0_14default_configENS1_35radix_sort_onesweep_config_selectorIyyEEZZNS1_29radix_sort_onesweep_iterationIS3_Lb0EN6thrust23THRUST_200600_302600_NS6detail15normal_iteratorINS8_10device_ptrIyEEEESD_SD_SD_jNS0_19identity_decomposerENS1_16block_id_wrapperIjLb1EEEEE10hipError_tT1_PNSt15iterator_traitsISI_E10value_typeET2_T3_PNSJ_ISO_E10value_typeET4_T5_PST_SU_PNS1_23onesweep_lookback_stateEbbT6_jjT7_P12ihipStream_tbENKUlT_T0_SI_SN_E_clISD_SD_SD_SD_EEDaS11_S12_SI_SN_EUlS11_E_NS1_11comp_targetILNS1_3genE4ELNS1_11target_archE910ELNS1_3gpuE8ELNS1_3repE0EEENS1_47radix_sort_onesweep_sort_config_static_selectorELNS0_4arch9wavefront6targetE1EEEvSI_,comdat
	.protected	_ZN7rocprim17ROCPRIM_400000_NS6detail17trampoline_kernelINS0_14default_configENS1_35radix_sort_onesweep_config_selectorIyyEEZZNS1_29radix_sort_onesweep_iterationIS3_Lb0EN6thrust23THRUST_200600_302600_NS6detail15normal_iteratorINS8_10device_ptrIyEEEESD_SD_SD_jNS0_19identity_decomposerENS1_16block_id_wrapperIjLb1EEEEE10hipError_tT1_PNSt15iterator_traitsISI_E10value_typeET2_T3_PNSJ_ISO_E10value_typeET4_T5_PST_SU_PNS1_23onesweep_lookback_stateEbbT6_jjT7_P12ihipStream_tbENKUlT_T0_SI_SN_E_clISD_SD_SD_SD_EEDaS11_S12_SI_SN_EUlS11_E_NS1_11comp_targetILNS1_3genE4ELNS1_11target_archE910ELNS1_3gpuE8ELNS1_3repE0EEENS1_47radix_sort_onesweep_sort_config_static_selectorELNS0_4arch9wavefront6targetE1EEEvSI_ ; -- Begin function _ZN7rocprim17ROCPRIM_400000_NS6detail17trampoline_kernelINS0_14default_configENS1_35radix_sort_onesweep_config_selectorIyyEEZZNS1_29radix_sort_onesweep_iterationIS3_Lb0EN6thrust23THRUST_200600_302600_NS6detail15normal_iteratorINS8_10device_ptrIyEEEESD_SD_SD_jNS0_19identity_decomposerENS1_16block_id_wrapperIjLb1EEEEE10hipError_tT1_PNSt15iterator_traitsISI_E10value_typeET2_T3_PNSJ_ISO_E10value_typeET4_T5_PST_SU_PNS1_23onesweep_lookback_stateEbbT6_jjT7_P12ihipStream_tbENKUlT_T0_SI_SN_E_clISD_SD_SD_SD_EEDaS11_S12_SI_SN_EUlS11_E_NS1_11comp_targetILNS1_3genE4ELNS1_11target_archE910ELNS1_3gpuE8ELNS1_3repE0EEENS1_47radix_sort_onesweep_sort_config_static_selectorELNS0_4arch9wavefront6targetE1EEEvSI_
	.globl	_ZN7rocprim17ROCPRIM_400000_NS6detail17trampoline_kernelINS0_14default_configENS1_35radix_sort_onesweep_config_selectorIyyEEZZNS1_29radix_sort_onesweep_iterationIS3_Lb0EN6thrust23THRUST_200600_302600_NS6detail15normal_iteratorINS8_10device_ptrIyEEEESD_SD_SD_jNS0_19identity_decomposerENS1_16block_id_wrapperIjLb1EEEEE10hipError_tT1_PNSt15iterator_traitsISI_E10value_typeET2_T3_PNSJ_ISO_E10value_typeET4_T5_PST_SU_PNS1_23onesweep_lookback_stateEbbT6_jjT7_P12ihipStream_tbENKUlT_T0_SI_SN_E_clISD_SD_SD_SD_EEDaS11_S12_SI_SN_EUlS11_E_NS1_11comp_targetILNS1_3genE4ELNS1_11target_archE910ELNS1_3gpuE8ELNS1_3repE0EEENS1_47radix_sort_onesweep_sort_config_static_selectorELNS0_4arch9wavefront6targetE1EEEvSI_
	.p2align	8
	.type	_ZN7rocprim17ROCPRIM_400000_NS6detail17trampoline_kernelINS0_14default_configENS1_35radix_sort_onesweep_config_selectorIyyEEZZNS1_29radix_sort_onesweep_iterationIS3_Lb0EN6thrust23THRUST_200600_302600_NS6detail15normal_iteratorINS8_10device_ptrIyEEEESD_SD_SD_jNS0_19identity_decomposerENS1_16block_id_wrapperIjLb1EEEEE10hipError_tT1_PNSt15iterator_traitsISI_E10value_typeET2_T3_PNSJ_ISO_E10value_typeET4_T5_PST_SU_PNS1_23onesweep_lookback_stateEbbT6_jjT7_P12ihipStream_tbENKUlT_T0_SI_SN_E_clISD_SD_SD_SD_EEDaS11_S12_SI_SN_EUlS11_E_NS1_11comp_targetILNS1_3genE4ELNS1_11target_archE910ELNS1_3gpuE8ELNS1_3repE0EEENS1_47radix_sort_onesweep_sort_config_static_selectorELNS0_4arch9wavefront6targetE1EEEvSI_,@function
_ZN7rocprim17ROCPRIM_400000_NS6detail17trampoline_kernelINS0_14default_configENS1_35radix_sort_onesweep_config_selectorIyyEEZZNS1_29radix_sort_onesweep_iterationIS3_Lb0EN6thrust23THRUST_200600_302600_NS6detail15normal_iteratorINS8_10device_ptrIyEEEESD_SD_SD_jNS0_19identity_decomposerENS1_16block_id_wrapperIjLb1EEEEE10hipError_tT1_PNSt15iterator_traitsISI_E10value_typeET2_T3_PNSJ_ISO_E10value_typeET4_T5_PST_SU_PNS1_23onesweep_lookback_stateEbbT6_jjT7_P12ihipStream_tbENKUlT_T0_SI_SN_E_clISD_SD_SD_SD_EEDaS11_S12_SI_SN_EUlS11_E_NS1_11comp_targetILNS1_3genE4ELNS1_11target_archE910ELNS1_3gpuE8ELNS1_3repE0EEENS1_47radix_sort_onesweep_sort_config_static_selectorELNS0_4arch9wavefront6targetE1EEEvSI_: ; @_ZN7rocprim17ROCPRIM_400000_NS6detail17trampoline_kernelINS0_14default_configENS1_35radix_sort_onesweep_config_selectorIyyEEZZNS1_29radix_sort_onesweep_iterationIS3_Lb0EN6thrust23THRUST_200600_302600_NS6detail15normal_iteratorINS8_10device_ptrIyEEEESD_SD_SD_jNS0_19identity_decomposerENS1_16block_id_wrapperIjLb1EEEEE10hipError_tT1_PNSt15iterator_traitsISI_E10value_typeET2_T3_PNSJ_ISO_E10value_typeET4_T5_PST_SU_PNS1_23onesweep_lookback_stateEbbT6_jjT7_P12ihipStream_tbENKUlT_T0_SI_SN_E_clISD_SD_SD_SD_EEDaS11_S12_SI_SN_EUlS11_E_NS1_11comp_targetILNS1_3genE4ELNS1_11target_archE910ELNS1_3gpuE8ELNS1_3repE0EEENS1_47radix_sort_onesweep_sort_config_static_selectorELNS0_4arch9wavefront6targetE1EEEvSI_
; %bb.0:
	.section	.rodata,"a",@progbits
	.p2align	6, 0x0
	.amdhsa_kernel _ZN7rocprim17ROCPRIM_400000_NS6detail17trampoline_kernelINS0_14default_configENS1_35radix_sort_onesweep_config_selectorIyyEEZZNS1_29radix_sort_onesweep_iterationIS3_Lb0EN6thrust23THRUST_200600_302600_NS6detail15normal_iteratorINS8_10device_ptrIyEEEESD_SD_SD_jNS0_19identity_decomposerENS1_16block_id_wrapperIjLb1EEEEE10hipError_tT1_PNSt15iterator_traitsISI_E10value_typeET2_T3_PNSJ_ISO_E10value_typeET4_T5_PST_SU_PNS1_23onesweep_lookback_stateEbbT6_jjT7_P12ihipStream_tbENKUlT_T0_SI_SN_E_clISD_SD_SD_SD_EEDaS11_S12_SI_SN_EUlS11_E_NS1_11comp_targetILNS1_3genE4ELNS1_11target_archE910ELNS1_3gpuE8ELNS1_3repE0EEENS1_47radix_sort_onesweep_sort_config_static_selectorELNS0_4arch9wavefront6targetE1EEEvSI_
		.amdhsa_group_segment_fixed_size 0
		.amdhsa_private_segment_fixed_size 0
		.amdhsa_kernarg_size 88
		.amdhsa_user_sgpr_count 2
		.amdhsa_user_sgpr_dispatch_ptr 0
		.amdhsa_user_sgpr_queue_ptr 0
		.amdhsa_user_sgpr_kernarg_segment_ptr 1
		.amdhsa_user_sgpr_dispatch_id 0
		.amdhsa_user_sgpr_kernarg_preload_length 0
		.amdhsa_user_sgpr_kernarg_preload_offset 0
		.amdhsa_user_sgpr_private_segment_size 0
		.amdhsa_uses_dynamic_stack 0
		.amdhsa_enable_private_segment 0
		.amdhsa_system_sgpr_workgroup_id_x 1
		.amdhsa_system_sgpr_workgroup_id_y 0
		.amdhsa_system_sgpr_workgroup_id_z 0
		.amdhsa_system_sgpr_workgroup_info 0
		.amdhsa_system_vgpr_workitem_id 0
		.amdhsa_next_free_vgpr 1
		.amdhsa_next_free_sgpr 0
		.amdhsa_accum_offset 4
		.amdhsa_reserve_vcc 0
		.amdhsa_float_round_mode_32 0
		.amdhsa_float_round_mode_16_64 0
		.amdhsa_float_denorm_mode_32 3
		.amdhsa_float_denorm_mode_16_64 3
		.amdhsa_dx10_clamp 1
		.amdhsa_ieee_mode 1
		.amdhsa_fp16_overflow 0
		.amdhsa_tg_split 0
		.amdhsa_exception_fp_ieee_invalid_op 0
		.amdhsa_exception_fp_denorm_src 0
		.amdhsa_exception_fp_ieee_div_zero 0
		.amdhsa_exception_fp_ieee_overflow 0
		.amdhsa_exception_fp_ieee_underflow 0
		.amdhsa_exception_fp_ieee_inexact 0
		.amdhsa_exception_int_div_zero 0
	.end_amdhsa_kernel
	.section	.text._ZN7rocprim17ROCPRIM_400000_NS6detail17trampoline_kernelINS0_14default_configENS1_35radix_sort_onesweep_config_selectorIyyEEZZNS1_29radix_sort_onesweep_iterationIS3_Lb0EN6thrust23THRUST_200600_302600_NS6detail15normal_iteratorINS8_10device_ptrIyEEEESD_SD_SD_jNS0_19identity_decomposerENS1_16block_id_wrapperIjLb1EEEEE10hipError_tT1_PNSt15iterator_traitsISI_E10value_typeET2_T3_PNSJ_ISO_E10value_typeET4_T5_PST_SU_PNS1_23onesweep_lookback_stateEbbT6_jjT7_P12ihipStream_tbENKUlT_T0_SI_SN_E_clISD_SD_SD_SD_EEDaS11_S12_SI_SN_EUlS11_E_NS1_11comp_targetILNS1_3genE4ELNS1_11target_archE910ELNS1_3gpuE8ELNS1_3repE0EEENS1_47radix_sort_onesweep_sort_config_static_selectorELNS0_4arch9wavefront6targetE1EEEvSI_,"axG",@progbits,_ZN7rocprim17ROCPRIM_400000_NS6detail17trampoline_kernelINS0_14default_configENS1_35radix_sort_onesweep_config_selectorIyyEEZZNS1_29radix_sort_onesweep_iterationIS3_Lb0EN6thrust23THRUST_200600_302600_NS6detail15normal_iteratorINS8_10device_ptrIyEEEESD_SD_SD_jNS0_19identity_decomposerENS1_16block_id_wrapperIjLb1EEEEE10hipError_tT1_PNSt15iterator_traitsISI_E10value_typeET2_T3_PNSJ_ISO_E10value_typeET4_T5_PST_SU_PNS1_23onesweep_lookback_stateEbbT6_jjT7_P12ihipStream_tbENKUlT_T0_SI_SN_E_clISD_SD_SD_SD_EEDaS11_S12_SI_SN_EUlS11_E_NS1_11comp_targetILNS1_3genE4ELNS1_11target_archE910ELNS1_3gpuE8ELNS1_3repE0EEENS1_47radix_sort_onesweep_sort_config_static_selectorELNS0_4arch9wavefront6targetE1EEEvSI_,comdat
.Lfunc_end532:
	.size	_ZN7rocprim17ROCPRIM_400000_NS6detail17trampoline_kernelINS0_14default_configENS1_35radix_sort_onesweep_config_selectorIyyEEZZNS1_29radix_sort_onesweep_iterationIS3_Lb0EN6thrust23THRUST_200600_302600_NS6detail15normal_iteratorINS8_10device_ptrIyEEEESD_SD_SD_jNS0_19identity_decomposerENS1_16block_id_wrapperIjLb1EEEEE10hipError_tT1_PNSt15iterator_traitsISI_E10value_typeET2_T3_PNSJ_ISO_E10value_typeET4_T5_PST_SU_PNS1_23onesweep_lookback_stateEbbT6_jjT7_P12ihipStream_tbENKUlT_T0_SI_SN_E_clISD_SD_SD_SD_EEDaS11_S12_SI_SN_EUlS11_E_NS1_11comp_targetILNS1_3genE4ELNS1_11target_archE910ELNS1_3gpuE8ELNS1_3repE0EEENS1_47radix_sort_onesweep_sort_config_static_selectorELNS0_4arch9wavefront6targetE1EEEvSI_, .Lfunc_end532-_ZN7rocprim17ROCPRIM_400000_NS6detail17trampoline_kernelINS0_14default_configENS1_35radix_sort_onesweep_config_selectorIyyEEZZNS1_29radix_sort_onesweep_iterationIS3_Lb0EN6thrust23THRUST_200600_302600_NS6detail15normal_iteratorINS8_10device_ptrIyEEEESD_SD_SD_jNS0_19identity_decomposerENS1_16block_id_wrapperIjLb1EEEEE10hipError_tT1_PNSt15iterator_traitsISI_E10value_typeET2_T3_PNSJ_ISO_E10value_typeET4_T5_PST_SU_PNS1_23onesweep_lookback_stateEbbT6_jjT7_P12ihipStream_tbENKUlT_T0_SI_SN_E_clISD_SD_SD_SD_EEDaS11_S12_SI_SN_EUlS11_E_NS1_11comp_targetILNS1_3genE4ELNS1_11target_archE910ELNS1_3gpuE8ELNS1_3repE0EEENS1_47radix_sort_onesweep_sort_config_static_selectorELNS0_4arch9wavefront6targetE1EEEvSI_
                                        ; -- End function
	.set _ZN7rocprim17ROCPRIM_400000_NS6detail17trampoline_kernelINS0_14default_configENS1_35radix_sort_onesweep_config_selectorIyyEEZZNS1_29radix_sort_onesweep_iterationIS3_Lb0EN6thrust23THRUST_200600_302600_NS6detail15normal_iteratorINS8_10device_ptrIyEEEESD_SD_SD_jNS0_19identity_decomposerENS1_16block_id_wrapperIjLb1EEEEE10hipError_tT1_PNSt15iterator_traitsISI_E10value_typeET2_T3_PNSJ_ISO_E10value_typeET4_T5_PST_SU_PNS1_23onesweep_lookback_stateEbbT6_jjT7_P12ihipStream_tbENKUlT_T0_SI_SN_E_clISD_SD_SD_SD_EEDaS11_S12_SI_SN_EUlS11_E_NS1_11comp_targetILNS1_3genE4ELNS1_11target_archE910ELNS1_3gpuE8ELNS1_3repE0EEENS1_47radix_sort_onesweep_sort_config_static_selectorELNS0_4arch9wavefront6targetE1EEEvSI_.num_vgpr, 0
	.set _ZN7rocprim17ROCPRIM_400000_NS6detail17trampoline_kernelINS0_14default_configENS1_35radix_sort_onesweep_config_selectorIyyEEZZNS1_29radix_sort_onesweep_iterationIS3_Lb0EN6thrust23THRUST_200600_302600_NS6detail15normal_iteratorINS8_10device_ptrIyEEEESD_SD_SD_jNS0_19identity_decomposerENS1_16block_id_wrapperIjLb1EEEEE10hipError_tT1_PNSt15iterator_traitsISI_E10value_typeET2_T3_PNSJ_ISO_E10value_typeET4_T5_PST_SU_PNS1_23onesweep_lookback_stateEbbT6_jjT7_P12ihipStream_tbENKUlT_T0_SI_SN_E_clISD_SD_SD_SD_EEDaS11_S12_SI_SN_EUlS11_E_NS1_11comp_targetILNS1_3genE4ELNS1_11target_archE910ELNS1_3gpuE8ELNS1_3repE0EEENS1_47radix_sort_onesweep_sort_config_static_selectorELNS0_4arch9wavefront6targetE1EEEvSI_.num_agpr, 0
	.set _ZN7rocprim17ROCPRIM_400000_NS6detail17trampoline_kernelINS0_14default_configENS1_35radix_sort_onesweep_config_selectorIyyEEZZNS1_29radix_sort_onesweep_iterationIS3_Lb0EN6thrust23THRUST_200600_302600_NS6detail15normal_iteratorINS8_10device_ptrIyEEEESD_SD_SD_jNS0_19identity_decomposerENS1_16block_id_wrapperIjLb1EEEEE10hipError_tT1_PNSt15iterator_traitsISI_E10value_typeET2_T3_PNSJ_ISO_E10value_typeET4_T5_PST_SU_PNS1_23onesweep_lookback_stateEbbT6_jjT7_P12ihipStream_tbENKUlT_T0_SI_SN_E_clISD_SD_SD_SD_EEDaS11_S12_SI_SN_EUlS11_E_NS1_11comp_targetILNS1_3genE4ELNS1_11target_archE910ELNS1_3gpuE8ELNS1_3repE0EEENS1_47radix_sort_onesweep_sort_config_static_selectorELNS0_4arch9wavefront6targetE1EEEvSI_.numbered_sgpr, 0
	.set _ZN7rocprim17ROCPRIM_400000_NS6detail17trampoline_kernelINS0_14default_configENS1_35radix_sort_onesweep_config_selectorIyyEEZZNS1_29radix_sort_onesweep_iterationIS3_Lb0EN6thrust23THRUST_200600_302600_NS6detail15normal_iteratorINS8_10device_ptrIyEEEESD_SD_SD_jNS0_19identity_decomposerENS1_16block_id_wrapperIjLb1EEEEE10hipError_tT1_PNSt15iterator_traitsISI_E10value_typeET2_T3_PNSJ_ISO_E10value_typeET4_T5_PST_SU_PNS1_23onesweep_lookback_stateEbbT6_jjT7_P12ihipStream_tbENKUlT_T0_SI_SN_E_clISD_SD_SD_SD_EEDaS11_S12_SI_SN_EUlS11_E_NS1_11comp_targetILNS1_3genE4ELNS1_11target_archE910ELNS1_3gpuE8ELNS1_3repE0EEENS1_47radix_sort_onesweep_sort_config_static_selectorELNS0_4arch9wavefront6targetE1EEEvSI_.num_named_barrier, 0
	.set _ZN7rocprim17ROCPRIM_400000_NS6detail17trampoline_kernelINS0_14default_configENS1_35radix_sort_onesweep_config_selectorIyyEEZZNS1_29radix_sort_onesweep_iterationIS3_Lb0EN6thrust23THRUST_200600_302600_NS6detail15normal_iteratorINS8_10device_ptrIyEEEESD_SD_SD_jNS0_19identity_decomposerENS1_16block_id_wrapperIjLb1EEEEE10hipError_tT1_PNSt15iterator_traitsISI_E10value_typeET2_T3_PNSJ_ISO_E10value_typeET4_T5_PST_SU_PNS1_23onesweep_lookback_stateEbbT6_jjT7_P12ihipStream_tbENKUlT_T0_SI_SN_E_clISD_SD_SD_SD_EEDaS11_S12_SI_SN_EUlS11_E_NS1_11comp_targetILNS1_3genE4ELNS1_11target_archE910ELNS1_3gpuE8ELNS1_3repE0EEENS1_47radix_sort_onesweep_sort_config_static_selectorELNS0_4arch9wavefront6targetE1EEEvSI_.private_seg_size, 0
	.set _ZN7rocprim17ROCPRIM_400000_NS6detail17trampoline_kernelINS0_14default_configENS1_35radix_sort_onesweep_config_selectorIyyEEZZNS1_29radix_sort_onesweep_iterationIS3_Lb0EN6thrust23THRUST_200600_302600_NS6detail15normal_iteratorINS8_10device_ptrIyEEEESD_SD_SD_jNS0_19identity_decomposerENS1_16block_id_wrapperIjLb1EEEEE10hipError_tT1_PNSt15iterator_traitsISI_E10value_typeET2_T3_PNSJ_ISO_E10value_typeET4_T5_PST_SU_PNS1_23onesweep_lookback_stateEbbT6_jjT7_P12ihipStream_tbENKUlT_T0_SI_SN_E_clISD_SD_SD_SD_EEDaS11_S12_SI_SN_EUlS11_E_NS1_11comp_targetILNS1_3genE4ELNS1_11target_archE910ELNS1_3gpuE8ELNS1_3repE0EEENS1_47radix_sort_onesweep_sort_config_static_selectorELNS0_4arch9wavefront6targetE1EEEvSI_.uses_vcc, 0
	.set _ZN7rocprim17ROCPRIM_400000_NS6detail17trampoline_kernelINS0_14default_configENS1_35radix_sort_onesweep_config_selectorIyyEEZZNS1_29radix_sort_onesweep_iterationIS3_Lb0EN6thrust23THRUST_200600_302600_NS6detail15normal_iteratorINS8_10device_ptrIyEEEESD_SD_SD_jNS0_19identity_decomposerENS1_16block_id_wrapperIjLb1EEEEE10hipError_tT1_PNSt15iterator_traitsISI_E10value_typeET2_T3_PNSJ_ISO_E10value_typeET4_T5_PST_SU_PNS1_23onesweep_lookback_stateEbbT6_jjT7_P12ihipStream_tbENKUlT_T0_SI_SN_E_clISD_SD_SD_SD_EEDaS11_S12_SI_SN_EUlS11_E_NS1_11comp_targetILNS1_3genE4ELNS1_11target_archE910ELNS1_3gpuE8ELNS1_3repE0EEENS1_47radix_sort_onesweep_sort_config_static_selectorELNS0_4arch9wavefront6targetE1EEEvSI_.uses_flat_scratch, 0
	.set _ZN7rocprim17ROCPRIM_400000_NS6detail17trampoline_kernelINS0_14default_configENS1_35radix_sort_onesweep_config_selectorIyyEEZZNS1_29radix_sort_onesweep_iterationIS3_Lb0EN6thrust23THRUST_200600_302600_NS6detail15normal_iteratorINS8_10device_ptrIyEEEESD_SD_SD_jNS0_19identity_decomposerENS1_16block_id_wrapperIjLb1EEEEE10hipError_tT1_PNSt15iterator_traitsISI_E10value_typeET2_T3_PNSJ_ISO_E10value_typeET4_T5_PST_SU_PNS1_23onesweep_lookback_stateEbbT6_jjT7_P12ihipStream_tbENKUlT_T0_SI_SN_E_clISD_SD_SD_SD_EEDaS11_S12_SI_SN_EUlS11_E_NS1_11comp_targetILNS1_3genE4ELNS1_11target_archE910ELNS1_3gpuE8ELNS1_3repE0EEENS1_47radix_sort_onesweep_sort_config_static_selectorELNS0_4arch9wavefront6targetE1EEEvSI_.has_dyn_sized_stack, 0
	.set _ZN7rocprim17ROCPRIM_400000_NS6detail17trampoline_kernelINS0_14default_configENS1_35radix_sort_onesweep_config_selectorIyyEEZZNS1_29radix_sort_onesweep_iterationIS3_Lb0EN6thrust23THRUST_200600_302600_NS6detail15normal_iteratorINS8_10device_ptrIyEEEESD_SD_SD_jNS0_19identity_decomposerENS1_16block_id_wrapperIjLb1EEEEE10hipError_tT1_PNSt15iterator_traitsISI_E10value_typeET2_T3_PNSJ_ISO_E10value_typeET4_T5_PST_SU_PNS1_23onesweep_lookback_stateEbbT6_jjT7_P12ihipStream_tbENKUlT_T0_SI_SN_E_clISD_SD_SD_SD_EEDaS11_S12_SI_SN_EUlS11_E_NS1_11comp_targetILNS1_3genE4ELNS1_11target_archE910ELNS1_3gpuE8ELNS1_3repE0EEENS1_47radix_sort_onesweep_sort_config_static_selectorELNS0_4arch9wavefront6targetE1EEEvSI_.has_recursion, 0
	.set _ZN7rocprim17ROCPRIM_400000_NS6detail17trampoline_kernelINS0_14default_configENS1_35radix_sort_onesweep_config_selectorIyyEEZZNS1_29radix_sort_onesweep_iterationIS3_Lb0EN6thrust23THRUST_200600_302600_NS6detail15normal_iteratorINS8_10device_ptrIyEEEESD_SD_SD_jNS0_19identity_decomposerENS1_16block_id_wrapperIjLb1EEEEE10hipError_tT1_PNSt15iterator_traitsISI_E10value_typeET2_T3_PNSJ_ISO_E10value_typeET4_T5_PST_SU_PNS1_23onesweep_lookback_stateEbbT6_jjT7_P12ihipStream_tbENKUlT_T0_SI_SN_E_clISD_SD_SD_SD_EEDaS11_S12_SI_SN_EUlS11_E_NS1_11comp_targetILNS1_3genE4ELNS1_11target_archE910ELNS1_3gpuE8ELNS1_3repE0EEENS1_47radix_sort_onesweep_sort_config_static_selectorELNS0_4arch9wavefront6targetE1EEEvSI_.has_indirect_call, 0
	.section	.AMDGPU.csdata,"",@progbits
; Kernel info:
; codeLenInByte = 0
; TotalNumSgprs: 6
; NumVgprs: 0
; NumAgprs: 0
; TotalNumVgprs: 0
; ScratchSize: 0
; MemoryBound: 0
; FloatMode: 240
; IeeeMode: 1
; LDSByteSize: 0 bytes/workgroup (compile time only)
; SGPRBlocks: 0
; VGPRBlocks: 0
; NumSGPRsForWavesPerEU: 6
; NumVGPRsForWavesPerEU: 1
; AccumOffset: 4
; Occupancy: 8
; WaveLimiterHint : 0
; COMPUTE_PGM_RSRC2:SCRATCH_EN: 0
; COMPUTE_PGM_RSRC2:USER_SGPR: 2
; COMPUTE_PGM_RSRC2:TRAP_HANDLER: 0
; COMPUTE_PGM_RSRC2:TGID_X_EN: 1
; COMPUTE_PGM_RSRC2:TGID_Y_EN: 0
; COMPUTE_PGM_RSRC2:TGID_Z_EN: 0
; COMPUTE_PGM_RSRC2:TIDIG_COMP_CNT: 0
; COMPUTE_PGM_RSRC3_GFX90A:ACCUM_OFFSET: 0
; COMPUTE_PGM_RSRC3_GFX90A:TG_SPLIT: 0
	.section	.text._ZN7rocprim17ROCPRIM_400000_NS6detail17trampoline_kernelINS0_14default_configENS1_35radix_sort_onesweep_config_selectorIyyEEZZNS1_29radix_sort_onesweep_iterationIS3_Lb0EN6thrust23THRUST_200600_302600_NS6detail15normal_iteratorINS8_10device_ptrIyEEEESD_SD_SD_jNS0_19identity_decomposerENS1_16block_id_wrapperIjLb1EEEEE10hipError_tT1_PNSt15iterator_traitsISI_E10value_typeET2_T3_PNSJ_ISO_E10value_typeET4_T5_PST_SU_PNS1_23onesweep_lookback_stateEbbT6_jjT7_P12ihipStream_tbENKUlT_T0_SI_SN_E_clISD_SD_SD_SD_EEDaS11_S12_SI_SN_EUlS11_E_NS1_11comp_targetILNS1_3genE3ELNS1_11target_archE908ELNS1_3gpuE7ELNS1_3repE0EEENS1_47radix_sort_onesweep_sort_config_static_selectorELNS0_4arch9wavefront6targetE1EEEvSI_,"axG",@progbits,_ZN7rocprim17ROCPRIM_400000_NS6detail17trampoline_kernelINS0_14default_configENS1_35radix_sort_onesweep_config_selectorIyyEEZZNS1_29radix_sort_onesweep_iterationIS3_Lb0EN6thrust23THRUST_200600_302600_NS6detail15normal_iteratorINS8_10device_ptrIyEEEESD_SD_SD_jNS0_19identity_decomposerENS1_16block_id_wrapperIjLb1EEEEE10hipError_tT1_PNSt15iterator_traitsISI_E10value_typeET2_T3_PNSJ_ISO_E10value_typeET4_T5_PST_SU_PNS1_23onesweep_lookback_stateEbbT6_jjT7_P12ihipStream_tbENKUlT_T0_SI_SN_E_clISD_SD_SD_SD_EEDaS11_S12_SI_SN_EUlS11_E_NS1_11comp_targetILNS1_3genE3ELNS1_11target_archE908ELNS1_3gpuE7ELNS1_3repE0EEENS1_47radix_sort_onesweep_sort_config_static_selectorELNS0_4arch9wavefront6targetE1EEEvSI_,comdat
	.protected	_ZN7rocprim17ROCPRIM_400000_NS6detail17trampoline_kernelINS0_14default_configENS1_35radix_sort_onesweep_config_selectorIyyEEZZNS1_29radix_sort_onesweep_iterationIS3_Lb0EN6thrust23THRUST_200600_302600_NS6detail15normal_iteratorINS8_10device_ptrIyEEEESD_SD_SD_jNS0_19identity_decomposerENS1_16block_id_wrapperIjLb1EEEEE10hipError_tT1_PNSt15iterator_traitsISI_E10value_typeET2_T3_PNSJ_ISO_E10value_typeET4_T5_PST_SU_PNS1_23onesweep_lookback_stateEbbT6_jjT7_P12ihipStream_tbENKUlT_T0_SI_SN_E_clISD_SD_SD_SD_EEDaS11_S12_SI_SN_EUlS11_E_NS1_11comp_targetILNS1_3genE3ELNS1_11target_archE908ELNS1_3gpuE7ELNS1_3repE0EEENS1_47radix_sort_onesweep_sort_config_static_selectorELNS0_4arch9wavefront6targetE1EEEvSI_ ; -- Begin function _ZN7rocprim17ROCPRIM_400000_NS6detail17trampoline_kernelINS0_14default_configENS1_35radix_sort_onesweep_config_selectorIyyEEZZNS1_29radix_sort_onesweep_iterationIS3_Lb0EN6thrust23THRUST_200600_302600_NS6detail15normal_iteratorINS8_10device_ptrIyEEEESD_SD_SD_jNS0_19identity_decomposerENS1_16block_id_wrapperIjLb1EEEEE10hipError_tT1_PNSt15iterator_traitsISI_E10value_typeET2_T3_PNSJ_ISO_E10value_typeET4_T5_PST_SU_PNS1_23onesweep_lookback_stateEbbT6_jjT7_P12ihipStream_tbENKUlT_T0_SI_SN_E_clISD_SD_SD_SD_EEDaS11_S12_SI_SN_EUlS11_E_NS1_11comp_targetILNS1_3genE3ELNS1_11target_archE908ELNS1_3gpuE7ELNS1_3repE0EEENS1_47radix_sort_onesweep_sort_config_static_selectorELNS0_4arch9wavefront6targetE1EEEvSI_
	.globl	_ZN7rocprim17ROCPRIM_400000_NS6detail17trampoline_kernelINS0_14default_configENS1_35radix_sort_onesweep_config_selectorIyyEEZZNS1_29radix_sort_onesweep_iterationIS3_Lb0EN6thrust23THRUST_200600_302600_NS6detail15normal_iteratorINS8_10device_ptrIyEEEESD_SD_SD_jNS0_19identity_decomposerENS1_16block_id_wrapperIjLb1EEEEE10hipError_tT1_PNSt15iterator_traitsISI_E10value_typeET2_T3_PNSJ_ISO_E10value_typeET4_T5_PST_SU_PNS1_23onesweep_lookback_stateEbbT6_jjT7_P12ihipStream_tbENKUlT_T0_SI_SN_E_clISD_SD_SD_SD_EEDaS11_S12_SI_SN_EUlS11_E_NS1_11comp_targetILNS1_3genE3ELNS1_11target_archE908ELNS1_3gpuE7ELNS1_3repE0EEENS1_47radix_sort_onesweep_sort_config_static_selectorELNS0_4arch9wavefront6targetE1EEEvSI_
	.p2align	8
	.type	_ZN7rocprim17ROCPRIM_400000_NS6detail17trampoline_kernelINS0_14default_configENS1_35radix_sort_onesweep_config_selectorIyyEEZZNS1_29radix_sort_onesweep_iterationIS3_Lb0EN6thrust23THRUST_200600_302600_NS6detail15normal_iteratorINS8_10device_ptrIyEEEESD_SD_SD_jNS0_19identity_decomposerENS1_16block_id_wrapperIjLb1EEEEE10hipError_tT1_PNSt15iterator_traitsISI_E10value_typeET2_T3_PNSJ_ISO_E10value_typeET4_T5_PST_SU_PNS1_23onesweep_lookback_stateEbbT6_jjT7_P12ihipStream_tbENKUlT_T0_SI_SN_E_clISD_SD_SD_SD_EEDaS11_S12_SI_SN_EUlS11_E_NS1_11comp_targetILNS1_3genE3ELNS1_11target_archE908ELNS1_3gpuE7ELNS1_3repE0EEENS1_47radix_sort_onesweep_sort_config_static_selectorELNS0_4arch9wavefront6targetE1EEEvSI_,@function
_ZN7rocprim17ROCPRIM_400000_NS6detail17trampoline_kernelINS0_14default_configENS1_35radix_sort_onesweep_config_selectorIyyEEZZNS1_29radix_sort_onesweep_iterationIS3_Lb0EN6thrust23THRUST_200600_302600_NS6detail15normal_iteratorINS8_10device_ptrIyEEEESD_SD_SD_jNS0_19identity_decomposerENS1_16block_id_wrapperIjLb1EEEEE10hipError_tT1_PNSt15iterator_traitsISI_E10value_typeET2_T3_PNSJ_ISO_E10value_typeET4_T5_PST_SU_PNS1_23onesweep_lookback_stateEbbT6_jjT7_P12ihipStream_tbENKUlT_T0_SI_SN_E_clISD_SD_SD_SD_EEDaS11_S12_SI_SN_EUlS11_E_NS1_11comp_targetILNS1_3genE3ELNS1_11target_archE908ELNS1_3gpuE7ELNS1_3repE0EEENS1_47radix_sort_onesweep_sort_config_static_selectorELNS0_4arch9wavefront6targetE1EEEvSI_: ; @_ZN7rocprim17ROCPRIM_400000_NS6detail17trampoline_kernelINS0_14default_configENS1_35radix_sort_onesweep_config_selectorIyyEEZZNS1_29radix_sort_onesweep_iterationIS3_Lb0EN6thrust23THRUST_200600_302600_NS6detail15normal_iteratorINS8_10device_ptrIyEEEESD_SD_SD_jNS0_19identity_decomposerENS1_16block_id_wrapperIjLb1EEEEE10hipError_tT1_PNSt15iterator_traitsISI_E10value_typeET2_T3_PNSJ_ISO_E10value_typeET4_T5_PST_SU_PNS1_23onesweep_lookback_stateEbbT6_jjT7_P12ihipStream_tbENKUlT_T0_SI_SN_E_clISD_SD_SD_SD_EEDaS11_S12_SI_SN_EUlS11_E_NS1_11comp_targetILNS1_3genE3ELNS1_11target_archE908ELNS1_3gpuE7ELNS1_3repE0EEENS1_47radix_sort_onesweep_sort_config_static_selectorELNS0_4arch9wavefront6targetE1EEEvSI_
; %bb.0:
	.section	.rodata,"a",@progbits
	.p2align	6, 0x0
	.amdhsa_kernel _ZN7rocprim17ROCPRIM_400000_NS6detail17trampoline_kernelINS0_14default_configENS1_35radix_sort_onesweep_config_selectorIyyEEZZNS1_29radix_sort_onesweep_iterationIS3_Lb0EN6thrust23THRUST_200600_302600_NS6detail15normal_iteratorINS8_10device_ptrIyEEEESD_SD_SD_jNS0_19identity_decomposerENS1_16block_id_wrapperIjLb1EEEEE10hipError_tT1_PNSt15iterator_traitsISI_E10value_typeET2_T3_PNSJ_ISO_E10value_typeET4_T5_PST_SU_PNS1_23onesweep_lookback_stateEbbT6_jjT7_P12ihipStream_tbENKUlT_T0_SI_SN_E_clISD_SD_SD_SD_EEDaS11_S12_SI_SN_EUlS11_E_NS1_11comp_targetILNS1_3genE3ELNS1_11target_archE908ELNS1_3gpuE7ELNS1_3repE0EEENS1_47radix_sort_onesweep_sort_config_static_selectorELNS0_4arch9wavefront6targetE1EEEvSI_
		.amdhsa_group_segment_fixed_size 0
		.amdhsa_private_segment_fixed_size 0
		.amdhsa_kernarg_size 88
		.amdhsa_user_sgpr_count 2
		.amdhsa_user_sgpr_dispatch_ptr 0
		.amdhsa_user_sgpr_queue_ptr 0
		.amdhsa_user_sgpr_kernarg_segment_ptr 1
		.amdhsa_user_sgpr_dispatch_id 0
		.amdhsa_user_sgpr_kernarg_preload_length 0
		.amdhsa_user_sgpr_kernarg_preload_offset 0
		.amdhsa_user_sgpr_private_segment_size 0
		.amdhsa_uses_dynamic_stack 0
		.amdhsa_enable_private_segment 0
		.amdhsa_system_sgpr_workgroup_id_x 1
		.amdhsa_system_sgpr_workgroup_id_y 0
		.amdhsa_system_sgpr_workgroup_id_z 0
		.amdhsa_system_sgpr_workgroup_info 0
		.amdhsa_system_vgpr_workitem_id 0
		.amdhsa_next_free_vgpr 1
		.amdhsa_next_free_sgpr 0
		.amdhsa_accum_offset 4
		.amdhsa_reserve_vcc 0
		.amdhsa_float_round_mode_32 0
		.amdhsa_float_round_mode_16_64 0
		.amdhsa_float_denorm_mode_32 3
		.amdhsa_float_denorm_mode_16_64 3
		.amdhsa_dx10_clamp 1
		.amdhsa_ieee_mode 1
		.amdhsa_fp16_overflow 0
		.amdhsa_tg_split 0
		.amdhsa_exception_fp_ieee_invalid_op 0
		.amdhsa_exception_fp_denorm_src 0
		.amdhsa_exception_fp_ieee_div_zero 0
		.amdhsa_exception_fp_ieee_overflow 0
		.amdhsa_exception_fp_ieee_underflow 0
		.amdhsa_exception_fp_ieee_inexact 0
		.amdhsa_exception_int_div_zero 0
	.end_amdhsa_kernel
	.section	.text._ZN7rocprim17ROCPRIM_400000_NS6detail17trampoline_kernelINS0_14default_configENS1_35radix_sort_onesweep_config_selectorIyyEEZZNS1_29radix_sort_onesweep_iterationIS3_Lb0EN6thrust23THRUST_200600_302600_NS6detail15normal_iteratorINS8_10device_ptrIyEEEESD_SD_SD_jNS0_19identity_decomposerENS1_16block_id_wrapperIjLb1EEEEE10hipError_tT1_PNSt15iterator_traitsISI_E10value_typeET2_T3_PNSJ_ISO_E10value_typeET4_T5_PST_SU_PNS1_23onesweep_lookback_stateEbbT6_jjT7_P12ihipStream_tbENKUlT_T0_SI_SN_E_clISD_SD_SD_SD_EEDaS11_S12_SI_SN_EUlS11_E_NS1_11comp_targetILNS1_3genE3ELNS1_11target_archE908ELNS1_3gpuE7ELNS1_3repE0EEENS1_47radix_sort_onesweep_sort_config_static_selectorELNS0_4arch9wavefront6targetE1EEEvSI_,"axG",@progbits,_ZN7rocprim17ROCPRIM_400000_NS6detail17trampoline_kernelINS0_14default_configENS1_35radix_sort_onesweep_config_selectorIyyEEZZNS1_29radix_sort_onesweep_iterationIS3_Lb0EN6thrust23THRUST_200600_302600_NS6detail15normal_iteratorINS8_10device_ptrIyEEEESD_SD_SD_jNS0_19identity_decomposerENS1_16block_id_wrapperIjLb1EEEEE10hipError_tT1_PNSt15iterator_traitsISI_E10value_typeET2_T3_PNSJ_ISO_E10value_typeET4_T5_PST_SU_PNS1_23onesweep_lookback_stateEbbT6_jjT7_P12ihipStream_tbENKUlT_T0_SI_SN_E_clISD_SD_SD_SD_EEDaS11_S12_SI_SN_EUlS11_E_NS1_11comp_targetILNS1_3genE3ELNS1_11target_archE908ELNS1_3gpuE7ELNS1_3repE0EEENS1_47radix_sort_onesweep_sort_config_static_selectorELNS0_4arch9wavefront6targetE1EEEvSI_,comdat
.Lfunc_end533:
	.size	_ZN7rocprim17ROCPRIM_400000_NS6detail17trampoline_kernelINS0_14default_configENS1_35radix_sort_onesweep_config_selectorIyyEEZZNS1_29radix_sort_onesweep_iterationIS3_Lb0EN6thrust23THRUST_200600_302600_NS6detail15normal_iteratorINS8_10device_ptrIyEEEESD_SD_SD_jNS0_19identity_decomposerENS1_16block_id_wrapperIjLb1EEEEE10hipError_tT1_PNSt15iterator_traitsISI_E10value_typeET2_T3_PNSJ_ISO_E10value_typeET4_T5_PST_SU_PNS1_23onesweep_lookback_stateEbbT6_jjT7_P12ihipStream_tbENKUlT_T0_SI_SN_E_clISD_SD_SD_SD_EEDaS11_S12_SI_SN_EUlS11_E_NS1_11comp_targetILNS1_3genE3ELNS1_11target_archE908ELNS1_3gpuE7ELNS1_3repE0EEENS1_47radix_sort_onesweep_sort_config_static_selectorELNS0_4arch9wavefront6targetE1EEEvSI_, .Lfunc_end533-_ZN7rocprim17ROCPRIM_400000_NS6detail17trampoline_kernelINS0_14default_configENS1_35radix_sort_onesweep_config_selectorIyyEEZZNS1_29radix_sort_onesweep_iterationIS3_Lb0EN6thrust23THRUST_200600_302600_NS6detail15normal_iteratorINS8_10device_ptrIyEEEESD_SD_SD_jNS0_19identity_decomposerENS1_16block_id_wrapperIjLb1EEEEE10hipError_tT1_PNSt15iterator_traitsISI_E10value_typeET2_T3_PNSJ_ISO_E10value_typeET4_T5_PST_SU_PNS1_23onesweep_lookback_stateEbbT6_jjT7_P12ihipStream_tbENKUlT_T0_SI_SN_E_clISD_SD_SD_SD_EEDaS11_S12_SI_SN_EUlS11_E_NS1_11comp_targetILNS1_3genE3ELNS1_11target_archE908ELNS1_3gpuE7ELNS1_3repE0EEENS1_47radix_sort_onesweep_sort_config_static_selectorELNS0_4arch9wavefront6targetE1EEEvSI_
                                        ; -- End function
	.set _ZN7rocprim17ROCPRIM_400000_NS6detail17trampoline_kernelINS0_14default_configENS1_35radix_sort_onesweep_config_selectorIyyEEZZNS1_29radix_sort_onesweep_iterationIS3_Lb0EN6thrust23THRUST_200600_302600_NS6detail15normal_iteratorINS8_10device_ptrIyEEEESD_SD_SD_jNS0_19identity_decomposerENS1_16block_id_wrapperIjLb1EEEEE10hipError_tT1_PNSt15iterator_traitsISI_E10value_typeET2_T3_PNSJ_ISO_E10value_typeET4_T5_PST_SU_PNS1_23onesweep_lookback_stateEbbT6_jjT7_P12ihipStream_tbENKUlT_T0_SI_SN_E_clISD_SD_SD_SD_EEDaS11_S12_SI_SN_EUlS11_E_NS1_11comp_targetILNS1_3genE3ELNS1_11target_archE908ELNS1_3gpuE7ELNS1_3repE0EEENS1_47radix_sort_onesweep_sort_config_static_selectorELNS0_4arch9wavefront6targetE1EEEvSI_.num_vgpr, 0
	.set _ZN7rocprim17ROCPRIM_400000_NS6detail17trampoline_kernelINS0_14default_configENS1_35radix_sort_onesweep_config_selectorIyyEEZZNS1_29radix_sort_onesweep_iterationIS3_Lb0EN6thrust23THRUST_200600_302600_NS6detail15normal_iteratorINS8_10device_ptrIyEEEESD_SD_SD_jNS0_19identity_decomposerENS1_16block_id_wrapperIjLb1EEEEE10hipError_tT1_PNSt15iterator_traitsISI_E10value_typeET2_T3_PNSJ_ISO_E10value_typeET4_T5_PST_SU_PNS1_23onesweep_lookback_stateEbbT6_jjT7_P12ihipStream_tbENKUlT_T0_SI_SN_E_clISD_SD_SD_SD_EEDaS11_S12_SI_SN_EUlS11_E_NS1_11comp_targetILNS1_3genE3ELNS1_11target_archE908ELNS1_3gpuE7ELNS1_3repE0EEENS1_47radix_sort_onesweep_sort_config_static_selectorELNS0_4arch9wavefront6targetE1EEEvSI_.num_agpr, 0
	.set _ZN7rocprim17ROCPRIM_400000_NS6detail17trampoline_kernelINS0_14default_configENS1_35radix_sort_onesweep_config_selectorIyyEEZZNS1_29radix_sort_onesweep_iterationIS3_Lb0EN6thrust23THRUST_200600_302600_NS6detail15normal_iteratorINS8_10device_ptrIyEEEESD_SD_SD_jNS0_19identity_decomposerENS1_16block_id_wrapperIjLb1EEEEE10hipError_tT1_PNSt15iterator_traitsISI_E10value_typeET2_T3_PNSJ_ISO_E10value_typeET4_T5_PST_SU_PNS1_23onesweep_lookback_stateEbbT6_jjT7_P12ihipStream_tbENKUlT_T0_SI_SN_E_clISD_SD_SD_SD_EEDaS11_S12_SI_SN_EUlS11_E_NS1_11comp_targetILNS1_3genE3ELNS1_11target_archE908ELNS1_3gpuE7ELNS1_3repE0EEENS1_47radix_sort_onesweep_sort_config_static_selectorELNS0_4arch9wavefront6targetE1EEEvSI_.numbered_sgpr, 0
	.set _ZN7rocprim17ROCPRIM_400000_NS6detail17trampoline_kernelINS0_14default_configENS1_35radix_sort_onesweep_config_selectorIyyEEZZNS1_29radix_sort_onesweep_iterationIS3_Lb0EN6thrust23THRUST_200600_302600_NS6detail15normal_iteratorINS8_10device_ptrIyEEEESD_SD_SD_jNS0_19identity_decomposerENS1_16block_id_wrapperIjLb1EEEEE10hipError_tT1_PNSt15iterator_traitsISI_E10value_typeET2_T3_PNSJ_ISO_E10value_typeET4_T5_PST_SU_PNS1_23onesweep_lookback_stateEbbT6_jjT7_P12ihipStream_tbENKUlT_T0_SI_SN_E_clISD_SD_SD_SD_EEDaS11_S12_SI_SN_EUlS11_E_NS1_11comp_targetILNS1_3genE3ELNS1_11target_archE908ELNS1_3gpuE7ELNS1_3repE0EEENS1_47radix_sort_onesweep_sort_config_static_selectorELNS0_4arch9wavefront6targetE1EEEvSI_.num_named_barrier, 0
	.set _ZN7rocprim17ROCPRIM_400000_NS6detail17trampoline_kernelINS0_14default_configENS1_35radix_sort_onesweep_config_selectorIyyEEZZNS1_29radix_sort_onesweep_iterationIS3_Lb0EN6thrust23THRUST_200600_302600_NS6detail15normal_iteratorINS8_10device_ptrIyEEEESD_SD_SD_jNS0_19identity_decomposerENS1_16block_id_wrapperIjLb1EEEEE10hipError_tT1_PNSt15iterator_traitsISI_E10value_typeET2_T3_PNSJ_ISO_E10value_typeET4_T5_PST_SU_PNS1_23onesweep_lookback_stateEbbT6_jjT7_P12ihipStream_tbENKUlT_T0_SI_SN_E_clISD_SD_SD_SD_EEDaS11_S12_SI_SN_EUlS11_E_NS1_11comp_targetILNS1_3genE3ELNS1_11target_archE908ELNS1_3gpuE7ELNS1_3repE0EEENS1_47radix_sort_onesweep_sort_config_static_selectorELNS0_4arch9wavefront6targetE1EEEvSI_.private_seg_size, 0
	.set _ZN7rocprim17ROCPRIM_400000_NS6detail17trampoline_kernelINS0_14default_configENS1_35radix_sort_onesweep_config_selectorIyyEEZZNS1_29radix_sort_onesweep_iterationIS3_Lb0EN6thrust23THRUST_200600_302600_NS6detail15normal_iteratorINS8_10device_ptrIyEEEESD_SD_SD_jNS0_19identity_decomposerENS1_16block_id_wrapperIjLb1EEEEE10hipError_tT1_PNSt15iterator_traitsISI_E10value_typeET2_T3_PNSJ_ISO_E10value_typeET4_T5_PST_SU_PNS1_23onesweep_lookback_stateEbbT6_jjT7_P12ihipStream_tbENKUlT_T0_SI_SN_E_clISD_SD_SD_SD_EEDaS11_S12_SI_SN_EUlS11_E_NS1_11comp_targetILNS1_3genE3ELNS1_11target_archE908ELNS1_3gpuE7ELNS1_3repE0EEENS1_47radix_sort_onesweep_sort_config_static_selectorELNS0_4arch9wavefront6targetE1EEEvSI_.uses_vcc, 0
	.set _ZN7rocprim17ROCPRIM_400000_NS6detail17trampoline_kernelINS0_14default_configENS1_35radix_sort_onesweep_config_selectorIyyEEZZNS1_29radix_sort_onesweep_iterationIS3_Lb0EN6thrust23THRUST_200600_302600_NS6detail15normal_iteratorINS8_10device_ptrIyEEEESD_SD_SD_jNS0_19identity_decomposerENS1_16block_id_wrapperIjLb1EEEEE10hipError_tT1_PNSt15iterator_traitsISI_E10value_typeET2_T3_PNSJ_ISO_E10value_typeET4_T5_PST_SU_PNS1_23onesweep_lookback_stateEbbT6_jjT7_P12ihipStream_tbENKUlT_T0_SI_SN_E_clISD_SD_SD_SD_EEDaS11_S12_SI_SN_EUlS11_E_NS1_11comp_targetILNS1_3genE3ELNS1_11target_archE908ELNS1_3gpuE7ELNS1_3repE0EEENS1_47radix_sort_onesweep_sort_config_static_selectorELNS0_4arch9wavefront6targetE1EEEvSI_.uses_flat_scratch, 0
	.set _ZN7rocprim17ROCPRIM_400000_NS6detail17trampoline_kernelINS0_14default_configENS1_35radix_sort_onesweep_config_selectorIyyEEZZNS1_29radix_sort_onesweep_iterationIS3_Lb0EN6thrust23THRUST_200600_302600_NS6detail15normal_iteratorINS8_10device_ptrIyEEEESD_SD_SD_jNS0_19identity_decomposerENS1_16block_id_wrapperIjLb1EEEEE10hipError_tT1_PNSt15iterator_traitsISI_E10value_typeET2_T3_PNSJ_ISO_E10value_typeET4_T5_PST_SU_PNS1_23onesweep_lookback_stateEbbT6_jjT7_P12ihipStream_tbENKUlT_T0_SI_SN_E_clISD_SD_SD_SD_EEDaS11_S12_SI_SN_EUlS11_E_NS1_11comp_targetILNS1_3genE3ELNS1_11target_archE908ELNS1_3gpuE7ELNS1_3repE0EEENS1_47radix_sort_onesweep_sort_config_static_selectorELNS0_4arch9wavefront6targetE1EEEvSI_.has_dyn_sized_stack, 0
	.set _ZN7rocprim17ROCPRIM_400000_NS6detail17trampoline_kernelINS0_14default_configENS1_35radix_sort_onesweep_config_selectorIyyEEZZNS1_29radix_sort_onesweep_iterationIS3_Lb0EN6thrust23THRUST_200600_302600_NS6detail15normal_iteratorINS8_10device_ptrIyEEEESD_SD_SD_jNS0_19identity_decomposerENS1_16block_id_wrapperIjLb1EEEEE10hipError_tT1_PNSt15iterator_traitsISI_E10value_typeET2_T3_PNSJ_ISO_E10value_typeET4_T5_PST_SU_PNS1_23onesweep_lookback_stateEbbT6_jjT7_P12ihipStream_tbENKUlT_T0_SI_SN_E_clISD_SD_SD_SD_EEDaS11_S12_SI_SN_EUlS11_E_NS1_11comp_targetILNS1_3genE3ELNS1_11target_archE908ELNS1_3gpuE7ELNS1_3repE0EEENS1_47radix_sort_onesweep_sort_config_static_selectorELNS0_4arch9wavefront6targetE1EEEvSI_.has_recursion, 0
	.set _ZN7rocprim17ROCPRIM_400000_NS6detail17trampoline_kernelINS0_14default_configENS1_35radix_sort_onesweep_config_selectorIyyEEZZNS1_29radix_sort_onesweep_iterationIS3_Lb0EN6thrust23THRUST_200600_302600_NS6detail15normal_iteratorINS8_10device_ptrIyEEEESD_SD_SD_jNS0_19identity_decomposerENS1_16block_id_wrapperIjLb1EEEEE10hipError_tT1_PNSt15iterator_traitsISI_E10value_typeET2_T3_PNSJ_ISO_E10value_typeET4_T5_PST_SU_PNS1_23onesweep_lookback_stateEbbT6_jjT7_P12ihipStream_tbENKUlT_T0_SI_SN_E_clISD_SD_SD_SD_EEDaS11_S12_SI_SN_EUlS11_E_NS1_11comp_targetILNS1_3genE3ELNS1_11target_archE908ELNS1_3gpuE7ELNS1_3repE0EEENS1_47radix_sort_onesweep_sort_config_static_selectorELNS0_4arch9wavefront6targetE1EEEvSI_.has_indirect_call, 0
	.section	.AMDGPU.csdata,"",@progbits
; Kernel info:
; codeLenInByte = 0
; TotalNumSgprs: 6
; NumVgprs: 0
; NumAgprs: 0
; TotalNumVgprs: 0
; ScratchSize: 0
; MemoryBound: 0
; FloatMode: 240
; IeeeMode: 1
; LDSByteSize: 0 bytes/workgroup (compile time only)
; SGPRBlocks: 0
; VGPRBlocks: 0
; NumSGPRsForWavesPerEU: 6
; NumVGPRsForWavesPerEU: 1
; AccumOffset: 4
; Occupancy: 8
; WaveLimiterHint : 0
; COMPUTE_PGM_RSRC2:SCRATCH_EN: 0
; COMPUTE_PGM_RSRC2:USER_SGPR: 2
; COMPUTE_PGM_RSRC2:TRAP_HANDLER: 0
; COMPUTE_PGM_RSRC2:TGID_X_EN: 1
; COMPUTE_PGM_RSRC2:TGID_Y_EN: 0
; COMPUTE_PGM_RSRC2:TGID_Z_EN: 0
; COMPUTE_PGM_RSRC2:TIDIG_COMP_CNT: 0
; COMPUTE_PGM_RSRC3_GFX90A:ACCUM_OFFSET: 0
; COMPUTE_PGM_RSRC3_GFX90A:TG_SPLIT: 0
	.section	.text._ZN7rocprim17ROCPRIM_400000_NS6detail17trampoline_kernelINS0_14default_configENS1_35radix_sort_onesweep_config_selectorIyyEEZZNS1_29radix_sort_onesweep_iterationIS3_Lb0EN6thrust23THRUST_200600_302600_NS6detail15normal_iteratorINS8_10device_ptrIyEEEESD_SD_SD_jNS0_19identity_decomposerENS1_16block_id_wrapperIjLb1EEEEE10hipError_tT1_PNSt15iterator_traitsISI_E10value_typeET2_T3_PNSJ_ISO_E10value_typeET4_T5_PST_SU_PNS1_23onesweep_lookback_stateEbbT6_jjT7_P12ihipStream_tbENKUlT_T0_SI_SN_E_clISD_SD_SD_SD_EEDaS11_S12_SI_SN_EUlS11_E_NS1_11comp_targetILNS1_3genE10ELNS1_11target_archE1201ELNS1_3gpuE5ELNS1_3repE0EEENS1_47radix_sort_onesweep_sort_config_static_selectorELNS0_4arch9wavefront6targetE1EEEvSI_,"axG",@progbits,_ZN7rocprim17ROCPRIM_400000_NS6detail17trampoline_kernelINS0_14default_configENS1_35radix_sort_onesweep_config_selectorIyyEEZZNS1_29radix_sort_onesweep_iterationIS3_Lb0EN6thrust23THRUST_200600_302600_NS6detail15normal_iteratorINS8_10device_ptrIyEEEESD_SD_SD_jNS0_19identity_decomposerENS1_16block_id_wrapperIjLb1EEEEE10hipError_tT1_PNSt15iterator_traitsISI_E10value_typeET2_T3_PNSJ_ISO_E10value_typeET4_T5_PST_SU_PNS1_23onesweep_lookback_stateEbbT6_jjT7_P12ihipStream_tbENKUlT_T0_SI_SN_E_clISD_SD_SD_SD_EEDaS11_S12_SI_SN_EUlS11_E_NS1_11comp_targetILNS1_3genE10ELNS1_11target_archE1201ELNS1_3gpuE5ELNS1_3repE0EEENS1_47radix_sort_onesweep_sort_config_static_selectorELNS0_4arch9wavefront6targetE1EEEvSI_,comdat
	.protected	_ZN7rocprim17ROCPRIM_400000_NS6detail17trampoline_kernelINS0_14default_configENS1_35radix_sort_onesweep_config_selectorIyyEEZZNS1_29radix_sort_onesweep_iterationIS3_Lb0EN6thrust23THRUST_200600_302600_NS6detail15normal_iteratorINS8_10device_ptrIyEEEESD_SD_SD_jNS0_19identity_decomposerENS1_16block_id_wrapperIjLb1EEEEE10hipError_tT1_PNSt15iterator_traitsISI_E10value_typeET2_T3_PNSJ_ISO_E10value_typeET4_T5_PST_SU_PNS1_23onesweep_lookback_stateEbbT6_jjT7_P12ihipStream_tbENKUlT_T0_SI_SN_E_clISD_SD_SD_SD_EEDaS11_S12_SI_SN_EUlS11_E_NS1_11comp_targetILNS1_3genE10ELNS1_11target_archE1201ELNS1_3gpuE5ELNS1_3repE0EEENS1_47radix_sort_onesweep_sort_config_static_selectorELNS0_4arch9wavefront6targetE1EEEvSI_ ; -- Begin function _ZN7rocprim17ROCPRIM_400000_NS6detail17trampoline_kernelINS0_14default_configENS1_35radix_sort_onesweep_config_selectorIyyEEZZNS1_29radix_sort_onesweep_iterationIS3_Lb0EN6thrust23THRUST_200600_302600_NS6detail15normal_iteratorINS8_10device_ptrIyEEEESD_SD_SD_jNS0_19identity_decomposerENS1_16block_id_wrapperIjLb1EEEEE10hipError_tT1_PNSt15iterator_traitsISI_E10value_typeET2_T3_PNSJ_ISO_E10value_typeET4_T5_PST_SU_PNS1_23onesweep_lookback_stateEbbT6_jjT7_P12ihipStream_tbENKUlT_T0_SI_SN_E_clISD_SD_SD_SD_EEDaS11_S12_SI_SN_EUlS11_E_NS1_11comp_targetILNS1_3genE10ELNS1_11target_archE1201ELNS1_3gpuE5ELNS1_3repE0EEENS1_47radix_sort_onesweep_sort_config_static_selectorELNS0_4arch9wavefront6targetE1EEEvSI_
	.globl	_ZN7rocprim17ROCPRIM_400000_NS6detail17trampoline_kernelINS0_14default_configENS1_35radix_sort_onesweep_config_selectorIyyEEZZNS1_29radix_sort_onesweep_iterationIS3_Lb0EN6thrust23THRUST_200600_302600_NS6detail15normal_iteratorINS8_10device_ptrIyEEEESD_SD_SD_jNS0_19identity_decomposerENS1_16block_id_wrapperIjLb1EEEEE10hipError_tT1_PNSt15iterator_traitsISI_E10value_typeET2_T3_PNSJ_ISO_E10value_typeET4_T5_PST_SU_PNS1_23onesweep_lookback_stateEbbT6_jjT7_P12ihipStream_tbENKUlT_T0_SI_SN_E_clISD_SD_SD_SD_EEDaS11_S12_SI_SN_EUlS11_E_NS1_11comp_targetILNS1_3genE10ELNS1_11target_archE1201ELNS1_3gpuE5ELNS1_3repE0EEENS1_47radix_sort_onesweep_sort_config_static_selectorELNS0_4arch9wavefront6targetE1EEEvSI_
	.p2align	8
	.type	_ZN7rocprim17ROCPRIM_400000_NS6detail17trampoline_kernelINS0_14default_configENS1_35radix_sort_onesweep_config_selectorIyyEEZZNS1_29radix_sort_onesweep_iterationIS3_Lb0EN6thrust23THRUST_200600_302600_NS6detail15normal_iteratorINS8_10device_ptrIyEEEESD_SD_SD_jNS0_19identity_decomposerENS1_16block_id_wrapperIjLb1EEEEE10hipError_tT1_PNSt15iterator_traitsISI_E10value_typeET2_T3_PNSJ_ISO_E10value_typeET4_T5_PST_SU_PNS1_23onesweep_lookback_stateEbbT6_jjT7_P12ihipStream_tbENKUlT_T0_SI_SN_E_clISD_SD_SD_SD_EEDaS11_S12_SI_SN_EUlS11_E_NS1_11comp_targetILNS1_3genE10ELNS1_11target_archE1201ELNS1_3gpuE5ELNS1_3repE0EEENS1_47radix_sort_onesweep_sort_config_static_selectorELNS0_4arch9wavefront6targetE1EEEvSI_,@function
_ZN7rocprim17ROCPRIM_400000_NS6detail17trampoline_kernelINS0_14default_configENS1_35radix_sort_onesweep_config_selectorIyyEEZZNS1_29radix_sort_onesweep_iterationIS3_Lb0EN6thrust23THRUST_200600_302600_NS6detail15normal_iteratorINS8_10device_ptrIyEEEESD_SD_SD_jNS0_19identity_decomposerENS1_16block_id_wrapperIjLb1EEEEE10hipError_tT1_PNSt15iterator_traitsISI_E10value_typeET2_T3_PNSJ_ISO_E10value_typeET4_T5_PST_SU_PNS1_23onesweep_lookback_stateEbbT6_jjT7_P12ihipStream_tbENKUlT_T0_SI_SN_E_clISD_SD_SD_SD_EEDaS11_S12_SI_SN_EUlS11_E_NS1_11comp_targetILNS1_3genE10ELNS1_11target_archE1201ELNS1_3gpuE5ELNS1_3repE0EEENS1_47radix_sort_onesweep_sort_config_static_selectorELNS0_4arch9wavefront6targetE1EEEvSI_: ; @_ZN7rocprim17ROCPRIM_400000_NS6detail17trampoline_kernelINS0_14default_configENS1_35radix_sort_onesweep_config_selectorIyyEEZZNS1_29radix_sort_onesweep_iterationIS3_Lb0EN6thrust23THRUST_200600_302600_NS6detail15normal_iteratorINS8_10device_ptrIyEEEESD_SD_SD_jNS0_19identity_decomposerENS1_16block_id_wrapperIjLb1EEEEE10hipError_tT1_PNSt15iterator_traitsISI_E10value_typeET2_T3_PNSJ_ISO_E10value_typeET4_T5_PST_SU_PNS1_23onesweep_lookback_stateEbbT6_jjT7_P12ihipStream_tbENKUlT_T0_SI_SN_E_clISD_SD_SD_SD_EEDaS11_S12_SI_SN_EUlS11_E_NS1_11comp_targetILNS1_3genE10ELNS1_11target_archE1201ELNS1_3gpuE5ELNS1_3repE0EEENS1_47radix_sort_onesweep_sort_config_static_selectorELNS0_4arch9wavefront6targetE1EEEvSI_
; %bb.0:
	.section	.rodata,"a",@progbits
	.p2align	6, 0x0
	.amdhsa_kernel _ZN7rocprim17ROCPRIM_400000_NS6detail17trampoline_kernelINS0_14default_configENS1_35radix_sort_onesweep_config_selectorIyyEEZZNS1_29radix_sort_onesweep_iterationIS3_Lb0EN6thrust23THRUST_200600_302600_NS6detail15normal_iteratorINS8_10device_ptrIyEEEESD_SD_SD_jNS0_19identity_decomposerENS1_16block_id_wrapperIjLb1EEEEE10hipError_tT1_PNSt15iterator_traitsISI_E10value_typeET2_T3_PNSJ_ISO_E10value_typeET4_T5_PST_SU_PNS1_23onesweep_lookback_stateEbbT6_jjT7_P12ihipStream_tbENKUlT_T0_SI_SN_E_clISD_SD_SD_SD_EEDaS11_S12_SI_SN_EUlS11_E_NS1_11comp_targetILNS1_3genE10ELNS1_11target_archE1201ELNS1_3gpuE5ELNS1_3repE0EEENS1_47radix_sort_onesweep_sort_config_static_selectorELNS0_4arch9wavefront6targetE1EEEvSI_
		.amdhsa_group_segment_fixed_size 0
		.amdhsa_private_segment_fixed_size 0
		.amdhsa_kernarg_size 88
		.amdhsa_user_sgpr_count 2
		.amdhsa_user_sgpr_dispatch_ptr 0
		.amdhsa_user_sgpr_queue_ptr 0
		.amdhsa_user_sgpr_kernarg_segment_ptr 1
		.amdhsa_user_sgpr_dispatch_id 0
		.amdhsa_user_sgpr_kernarg_preload_length 0
		.amdhsa_user_sgpr_kernarg_preload_offset 0
		.amdhsa_user_sgpr_private_segment_size 0
		.amdhsa_uses_dynamic_stack 0
		.amdhsa_enable_private_segment 0
		.amdhsa_system_sgpr_workgroup_id_x 1
		.amdhsa_system_sgpr_workgroup_id_y 0
		.amdhsa_system_sgpr_workgroup_id_z 0
		.amdhsa_system_sgpr_workgroup_info 0
		.amdhsa_system_vgpr_workitem_id 0
		.amdhsa_next_free_vgpr 1
		.amdhsa_next_free_sgpr 0
		.amdhsa_accum_offset 4
		.amdhsa_reserve_vcc 0
		.amdhsa_float_round_mode_32 0
		.amdhsa_float_round_mode_16_64 0
		.amdhsa_float_denorm_mode_32 3
		.amdhsa_float_denorm_mode_16_64 3
		.amdhsa_dx10_clamp 1
		.amdhsa_ieee_mode 1
		.amdhsa_fp16_overflow 0
		.amdhsa_tg_split 0
		.amdhsa_exception_fp_ieee_invalid_op 0
		.amdhsa_exception_fp_denorm_src 0
		.amdhsa_exception_fp_ieee_div_zero 0
		.amdhsa_exception_fp_ieee_overflow 0
		.amdhsa_exception_fp_ieee_underflow 0
		.amdhsa_exception_fp_ieee_inexact 0
		.amdhsa_exception_int_div_zero 0
	.end_amdhsa_kernel
	.section	.text._ZN7rocprim17ROCPRIM_400000_NS6detail17trampoline_kernelINS0_14default_configENS1_35radix_sort_onesweep_config_selectorIyyEEZZNS1_29radix_sort_onesweep_iterationIS3_Lb0EN6thrust23THRUST_200600_302600_NS6detail15normal_iteratorINS8_10device_ptrIyEEEESD_SD_SD_jNS0_19identity_decomposerENS1_16block_id_wrapperIjLb1EEEEE10hipError_tT1_PNSt15iterator_traitsISI_E10value_typeET2_T3_PNSJ_ISO_E10value_typeET4_T5_PST_SU_PNS1_23onesweep_lookback_stateEbbT6_jjT7_P12ihipStream_tbENKUlT_T0_SI_SN_E_clISD_SD_SD_SD_EEDaS11_S12_SI_SN_EUlS11_E_NS1_11comp_targetILNS1_3genE10ELNS1_11target_archE1201ELNS1_3gpuE5ELNS1_3repE0EEENS1_47radix_sort_onesweep_sort_config_static_selectorELNS0_4arch9wavefront6targetE1EEEvSI_,"axG",@progbits,_ZN7rocprim17ROCPRIM_400000_NS6detail17trampoline_kernelINS0_14default_configENS1_35radix_sort_onesweep_config_selectorIyyEEZZNS1_29radix_sort_onesweep_iterationIS3_Lb0EN6thrust23THRUST_200600_302600_NS6detail15normal_iteratorINS8_10device_ptrIyEEEESD_SD_SD_jNS0_19identity_decomposerENS1_16block_id_wrapperIjLb1EEEEE10hipError_tT1_PNSt15iterator_traitsISI_E10value_typeET2_T3_PNSJ_ISO_E10value_typeET4_T5_PST_SU_PNS1_23onesweep_lookback_stateEbbT6_jjT7_P12ihipStream_tbENKUlT_T0_SI_SN_E_clISD_SD_SD_SD_EEDaS11_S12_SI_SN_EUlS11_E_NS1_11comp_targetILNS1_3genE10ELNS1_11target_archE1201ELNS1_3gpuE5ELNS1_3repE0EEENS1_47radix_sort_onesweep_sort_config_static_selectorELNS0_4arch9wavefront6targetE1EEEvSI_,comdat
.Lfunc_end534:
	.size	_ZN7rocprim17ROCPRIM_400000_NS6detail17trampoline_kernelINS0_14default_configENS1_35radix_sort_onesweep_config_selectorIyyEEZZNS1_29radix_sort_onesweep_iterationIS3_Lb0EN6thrust23THRUST_200600_302600_NS6detail15normal_iteratorINS8_10device_ptrIyEEEESD_SD_SD_jNS0_19identity_decomposerENS1_16block_id_wrapperIjLb1EEEEE10hipError_tT1_PNSt15iterator_traitsISI_E10value_typeET2_T3_PNSJ_ISO_E10value_typeET4_T5_PST_SU_PNS1_23onesweep_lookback_stateEbbT6_jjT7_P12ihipStream_tbENKUlT_T0_SI_SN_E_clISD_SD_SD_SD_EEDaS11_S12_SI_SN_EUlS11_E_NS1_11comp_targetILNS1_3genE10ELNS1_11target_archE1201ELNS1_3gpuE5ELNS1_3repE0EEENS1_47radix_sort_onesweep_sort_config_static_selectorELNS0_4arch9wavefront6targetE1EEEvSI_, .Lfunc_end534-_ZN7rocprim17ROCPRIM_400000_NS6detail17trampoline_kernelINS0_14default_configENS1_35radix_sort_onesweep_config_selectorIyyEEZZNS1_29radix_sort_onesweep_iterationIS3_Lb0EN6thrust23THRUST_200600_302600_NS6detail15normal_iteratorINS8_10device_ptrIyEEEESD_SD_SD_jNS0_19identity_decomposerENS1_16block_id_wrapperIjLb1EEEEE10hipError_tT1_PNSt15iterator_traitsISI_E10value_typeET2_T3_PNSJ_ISO_E10value_typeET4_T5_PST_SU_PNS1_23onesweep_lookback_stateEbbT6_jjT7_P12ihipStream_tbENKUlT_T0_SI_SN_E_clISD_SD_SD_SD_EEDaS11_S12_SI_SN_EUlS11_E_NS1_11comp_targetILNS1_3genE10ELNS1_11target_archE1201ELNS1_3gpuE5ELNS1_3repE0EEENS1_47radix_sort_onesweep_sort_config_static_selectorELNS0_4arch9wavefront6targetE1EEEvSI_
                                        ; -- End function
	.set _ZN7rocprim17ROCPRIM_400000_NS6detail17trampoline_kernelINS0_14default_configENS1_35radix_sort_onesweep_config_selectorIyyEEZZNS1_29radix_sort_onesweep_iterationIS3_Lb0EN6thrust23THRUST_200600_302600_NS6detail15normal_iteratorINS8_10device_ptrIyEEEESD_SD_SD_jNS0_19identity_decomposerENS1_16block_id_wrapperIjLb1EEEEE10hipError_tT1_PNSt15iterator_traitsISI_E10value_typeET2_T3_PNSJ_ISO_E10value_typeET4_T5_PST_SU_PNS1_23onesweep_lookback_stateEbbT6_jjT7_P12ihipStream_tbENKUlT_T0_SI_SN_E_clISD_SD_SD_SD_EEDaS11_S12_SI_SN_EUlS11_E_NS1_11comp_targetILNS1_3genE10ELNS1_11target_archE1201ELNS1_3gpuE5ELNS1_3repE0EEENS1_47radix_sort_onesweep_sort_config_static_selectorELNS0_4arch9wavefront6targetE1EEEvSI_.num_vgpr, 0
	.set _ZN7rocprim17ROCPRIM_400000_NS6detail17trampoline_kernelINS0_14default_configENS1_35radix_sort_onesweep_config_selectorIyyEEZZNS1_29radix_sort_onesweep_iterationIS3_Lb0EN6thrust23THRUST_200600_302600_NS6detail15normal_iteratorINS8_10device_ptrIyEEEESD_SD_SD_jNS0_19identity_decomposerENS1_16block_id_wrapperIjLb1EEEEE10hipError_tT1_PNSt15iterator_traitsISI_E10value_typeET2_T3_PNSJ_ISO_E10value_typeET4_T5_PST_SU_PNS1_23onesweep_lookback_stateEbbT6_jjT7_P12ihipStream_tbENKUlT_T0_SI_SN_E_clISD_SD_SD_SD_EEDaS11_S12_SI_SN_EUlS11_E_NS1_11comp_targetILNS1_3genE10ELNS1_11target_archE1201ELNS1_3gpuE5ELNS1_3repE0EEENS1_47radix_sort_onesweep_sort_config_static_selectorELNS0_4arch9wavefront6targetE1EEEvSI_.num_agpr, 0
	.set _ZN7rocprim17ROCPRIM_400000_NS6detail17trampoline_kernelINS0_14default_configENS1_35radix_sort_onesweep_config_selectorIyyEEZZNS1_29radix_sort_onesweep_iterationIS3_Lb0EN6thrust23THRUST_200600_302600_NS6detail15normal_iteratorINS8_10device_ptrIyEEEESD_SD_SD_jNS0_19identity_decomposerENS1_16block_id_wrapperIjLb1EEEEE10hipError_tT1_PNSt15iterator_traitsISI_E10value_typeET2_T3_PNSJ_ISO_E10value_typeET4_T5_PST_SU_PNS1_23onesweep_lookback_stateEbbT6_jjT7_P12ihipStream_tbENKUlT_T0_SI_SN_E_clISD_SD_SD_SD_EEDaS11_S12_SI_SN_EUlS11_E_NS1_11comp_targetILNS1_3genE10ELNS1_11target_archE1201ELNS1_3gpuE5ELNS1_3repE0EEENS1_47radix_sort_onesweep_sort_config_static_selectorELNS0_4arch9wavefront6targetE1EEEvSI_.numbered_sgpr, 0
	.set _ZN7rocprim17ROCPRIM_400000_NS6detail17trampoline_kernelINS0_14default_configENS1_35radix_sort_onesweep_config_selectorIyyEEZZNS1_29radix_sort_onesweep_iterationIS3_Lb0EN6thrust23THRUST_200600_302600_NS6detail15normal_iteratorINS8_10device_ptrIyEEEESD_SD_SD_jNS0_19identity_decomposerENS1_16block_id_wrapperIjLb1EEEEE10hipError_tT1_PNSt15iterator_traitsISI_E10value_typeET2_T3_PNSJ_ISO_E10value_typeET4_T5_PST_SU_PNS1_23onesweep_lookback_stateEbbT6_jjT7_P12ihipStream_tbENKUlT_T0_SI_SN_E_clISD_SD_SD_SD_EEDaS11_S12_SI_SN_EUlS11_E_NS1_11comp_targetILNS1_3genE10ELNS1_11target_archE1201ELNS1_3gpuE5ELNS1_3repE0EEENS1_47radix_sort_onesweep_sort_config_static_selectorELNS0_4arch9wavefront6targetE1EEEvSI_.num_named_barrier, 0
	.set _ZN7rocprim17ROCPRIM_400000_NS6detail17trampoline_kernelINS0_14default_configENS1_35radix_sort_onesweep_config_selectorIyyEEZZNS1_29radix_sort_onesweep_iterationIS3_Lb0EN6thrust23THRUST_200600_302600_NS6detail15normal_iteratorINS8_10device_ptrIyEEEESD_SD_SD_jNS0_19identity_decomposerENS1_16block_id_wrapperIjLb1EEEEE10hipError_tT1_PNSt15iterator_traitsISI_E10value_typeET2_T3_PNSJ_ISO_E10value_typeET4_T5_PST_SU_PNS1_23onesweep_lookback_stateEbbT6_jjT7_P12ihipStream_tbENKUlT_T0_SI_SN_E_clISD_SD_SD_SD_EEDaS11_S12_SI_SN_EUlS11_E_NS1_11comp_targetILNS1_3genE10ELNS1_11target_archE1201ELNS1_3gpuE5ELNS1_3repE0EEENS1_47radix_sort_onesweep_sort_config_static_selectorELNS0_4arch9wavefront6targetE1EEEvSI_.private_seg_size, 0
	.set _ZN7rocprim17ROCPRIM_400000_NS6detail17trampoline_kernelINS0_14default_configENS1_35radix_sort_onesweep_config_selectorIyyEEZZNS1_29radix_sort_onesweep_iterationIS3_Lb0EN6thrust23THRUST_200600_302600_NS6detail15normal_iteratorINS8_10device_ptrIyEEEESD_SD_SD_jNS0_19identity_decomposerENS1_16block_id_wrapperIjLb1EEEEE10hipError_tT1_PNSt15iterator_traitsISI_E10value_typeET2_T3_PNSJ_ISO_E10value_typeET4_T5_PST_SU_PNS1_23onesweep_lookback_stateEbbT6_jjT7_P12ihipStream_tbENKUlT_T0_SI_SN_E_clISD_SD_SD_SD_EEDaS11_S12_SI_SN_EUlS11_E_NS1_11comp_targetILNS1_3genE10ELNS1_11target_archE1201ELNS1_3gpuE5ELNS1_3repE0EEENS1_47radix_sort_onesweep_sort_config_static_selectorELNS0_4arch9wavefront6targetE1EEEvSI_.uses_vcc, 0
	.set _ZN7rocprim17ROCPRIM_400000_NS6detail17trampoline_kernelINS0_14default_configENS1_35radix_sort_onesweep_config_selectorIyyEEZZNS1_29radix_sort_onesweep_iterationIS3_Lb0EN6thrust23THRUST_200600_302600_NS6detail15normal_iteratorINS8_10device_ptrIyEEEESD_SD_SD_jNS0_19identity_decomposerENS1_16block_id_wrapperIjLb1EEEEE10hipError_tT1_PNSt15iterator_traitsISI_E10value_typeET2_T3_PNSJ_ISO_E10value_typeET4_T5_PST_SU_PNS1_23onesweep_lookback_stateEbbT6_jjT7_P12ihipStream_tbENKUlT_T0_SI_SN_E_clISD_SD_SD_SD_EEDaS11_S12_SI_SN_EUlS11_E_NS1_11comp_targetILNS1_3genE10ELNS1_11target_archE1201ELNS1_3gpuE5ELNS1_3repE0EEENS1_47radix_sort_onesweep_sort_config_static_selectorELNS0_4arch9wavefront6targetE1EEEvSI_.uses_flat_scratch, 0
	.set _ZN7rocprim17ROCPRIM_400000_NS6detail17trampoline_kernelINS0_14default_configENS1_35radix_sort_onesweep_config_selectorIyyEEZZNS1_29radix_sort_onesweep_iterationIS3_Lb0EN6thrust23THRUST_200600_302600_NS6detail15normal_iteratorINS8_10device_ptrIyEEEESD_SD_SD_jNS0_19identity_decomposerENS1_16block_id_wrapperIjLb1EEEEE10hipError_tT1_PNSt15iterator_traitsISI_E10value_typeET2_T3_PNSJ_ISO_E10value_typeET4_T5_PST_SU_PNS1_23onesweep_lookback_stateEbbT6_jjT7_P12ihipStream_tbENKUlT_T0_SI_SN_E_clISD_SD_SD_SD_EEDaS11_S12_SI_SN_EUlS11_E_NS1_11comp_targetILNS1_3genE10ELNS1_11target_archE1201ELNS1_3gpuE5ELNS1_3repE0EEENS1_47radix_sort_onesweep_sort_config_static_selectorELNS0_4arch9wavefront6targetE1EEEvSI_.has_dyn_sized_stack, 0
	.set _ZN7rocprim17ROCPRIM_400000_NS6detail17trampoline_kernelINS0_14default_configENS1_35radix_sort_onesweep_config_selectorIyyEEZZNS1_29radix_sort_onesweep_iterationIS3_Lb0EN6thrust23THRUST_200600_302600_NS6detail15normal_iteratorINS8_10device_ptrIyEEEESD_SD_SD_jNS0_19identity_decomposerENS1_16block_id_wrapperIjLb1EEEEE10hipError_tT1_PNSt15iterator_traitsISI_E10value_typeET2_T3_PNSJ_ISO_E10value_typeET4_T5_PST_SU_PNS1_23onesweep_lookback_stateEbbT6_jjT7_P12ihipStream_tbENKUlT_T0_SI_SN_E_clISD_SD_SD_SD_EEDaS11_S12_SI_SN_EUlS11_E_NS1_11comp_targetILNS1_3genE10ELNS1_11target_archE1201ELNS1_3gpuE5ELNS1_3repE0EEENS1_47radix_sort_onesweep_sort_config_static_selectorELNS0_4arch9wavefront6targetE1EEEvSI_.has_recursion, 0
	.set _ZN7rocprim17ROCPRIM_400000_NS6detail17trampoline_kernelINS0_14default_configENS1_35radix_sort_onesweep_config_selectorIyyEEZZNS1_29radix_sort_onesweep_iterationIS3_Lb0EN6thrust23THRUST_200600_302600_NS6detail15normal_iteratorINS8_10device_ptrIyEEEESD_SD_SD_jNS0_19identity_decomposerENS1_16block_id_wrapperIjLb1EEEEE10hipError_tT1_PNSt15iterator_traitsISI_E10value_typeET2_T3_PNSJ_ISO_E10value_typeET4_T5_PST_SU_PNS1_23onesweep_lookback_stateEbbT6_jjT7_P12ihipStream_tbENKUlT_T0_SI_SN_E_clISD_SD_SD_SD_EEDaS11_S12_SI_SN_EUlS11_E_NS1_11comp_targetILNS1_3genE10ELNS1_11target_archE1201ELNS1_3gpuE5ELNS1_3repE0EEENS1_47radix_sort_onesweep_sort_config_static_selectorELNS0_4arch9wavefront6targetE1EEEvSI_.has_indirect_call, 0
	.section	.AMDGPU.csdata,"",@progbits
; Kernel info:
; codeLenInByte = 0
; TotalNumSgprs: 6
; NumVgprs: 0
; NumAgprs: 0
; TotalNumVgprs: 0
; ScratchSize: 0
; MemoryBound: 0
; FloatMode: 240
; IeeeMode: 1
; LDSByteSize: 0 bytes/workgroup (compile time only)
; SGPRBlocks: 0
; VGPRBlocks: 0
; NumSGPRsForWavesPerEU: 6
; NumVGPRsForWavesPerEU: 1
; AccumOffset: 4
; Occupancy: 8
; WaveLimiterHint : 0
; COMPUTE_PGM_RSRC2:SCRATCH_EN: 0
; COMPUTE_PGM_RSRC2:USER_SGPR: 2
; COMPUTE_PGM_RSRC2:TRAP_HANDLER: 0
; COMPUTE_PGM_RSRC2:TGID_X_EN: 1
; COMPUTE_PGM_RSRC2:TGID_Y_EN: 0
; COMPUTE_PGM_RSRC2:TGID_Z_EN: 0
; COMPUTE_PGM_RSRC2:TIDIG_COMP_CNT: 0
; COMPUTE_PGM_RSRC3_GFX90A:ACCUM_OFFSET: 0
; COMPUTE_PGM_RSRC3_GFX90A:TG_SPLIT: 0
	.section	.text._ZN7rocprim17ROCPRIM_400000_NS6detail17trampoline_kernelINS0_14default_configENS1_35radix_sort_onesweep_config_selectorIyyEEZZNS1_29radix_sort_onesweep_iterationIS3_Lb0EN6thrust23THRUST_200600_302600_NS6detail15normal_iteratorINS8_10device_ptrIyEEEESD_SD_SD_jNS0_19identity_decomposerENS1_16block_id_wrapperIjLb1EEEEE10hipError_tT1_PNSt15iterator_traitsISI_E10value_typeET2_T3_PNSJ_ISO_E10value_typeET4_T5_PST_SU_PNS1_23onesweep_lookback_stateEbbT6_jjT7_P12ihipStream_tbENKUlT_T0_SI_SN_E_clISD_SD_SD_SD_EEDaS11_S12_SI_SN_EUlS11_E_NS1_11comp_targetILNS1_3genE9ELNS1_11target_archE1100ELNS1_3gpuE3ELNS1_3repE0EEENS1_47radix_sort_onesweep_sort_config_static_selectorELNS0_4arch9wavefront6targetE1EEEvSI_,"axG",@progbits,_ZN7rocprim17ROCPRIM_400000_NS6detail17trampoline_kernelINS0_14default_configENS1_35radix_sort_onesweep_config_selectorIyyEEZZNS1_29radix_sort_onesweep_iterationIS3_Lb0EN6thrust23THRUST_200600_302600_NS6detail15normal_iteratorINS8_10device_ptrIyEEEESD_SD_SD_jNS0_19identity_decomposerENS1_16block_id_wrapperIjLb1EEEEE10hipError_tT1_PNSt15iterator_traitsISI_E10value_typeET2_T3_PNSJ_ISO_E10value_typeET4_T5_PST_SU_PNS1_23onesweep_lookback_stateEbbT6_jjT7_P12ihipStream_tbENKUlT_T0_SI_SN_E_clISD_SD_SD_SD_EEDaS11_S12_SI_SN_EUlS11_E_NS1_11comp_targetILNS1_3genE9ELNS1_11target_archE1100ELNS1_3gpuE3ELNS1_3repE0EEENS1_47radix_sort_onesweep_sort_config_static_selectorELNS0_4arch9wavefront6targetE1EEEvSI_,comdat
	.protected	_ZN7rocprim17ROCPRIM_400000_NS6detail17trampoline_kernelINS0_14default_configENS1_35radix_sort_onesweep_config_selectorIyyEEZZNS1_29radix_sort_onesweep_iterationIS3_Lb0EN6thrust23THRUST_200600_302600_NS6detail15normal_iteratorINS8_10device_ptrIyEEEESD_SD_SD_jNS0_19identity_decomposerENS1_16block_id_wrapperIjLb1EEEEE10hipError_tT1_PNSt15iterator_traitsISI_E10value_typeET2_T3_PNSJ_ISO_E10value_typeET4_T5_PST_SU_PNS1_23onesweep_lookback_stateEbbT6_jjT7_P12ihipStream_tbENKUlT_T0_SI_SN_E_clISD_SD_SD_SD_EEDaS11_S12_SI_SN_EUlS11_E_NS1_11comp_targetILNS1_3genE9ELNS1_11target_archE1100ELNS1_3gpuE3ELNS1_3repE0EEENS1_47radix_sort_onesweep_sort_config_static_selectorELNS0_4arch9wavefront6targetE1EEEvSI_ ; -- Begin function _ZN7rocprim17ROCPRIM_400000_NS6detail17trampoline_kernelINS0_14default_configENS1_35radix_sort_onesweep_config_selectorIyyEEZZNS1_29radix_sort_onesweep_iterationIS3_Lb0EN6thrust23THRUST_200600_302600_NS6detail15normal_iteratorINS8_10device_ptrIyEEEESD_SD_SD_jNS0_19identity_decomposerENS1_16block_id_wrapperIjLb1EEEEE10hipError_tT1_PNSt15iterator_traitsISI_E10value_typeET2_T3_PNSJ_ISO_E10value_typeET4_T5_PST_SU_PNS1_23onesweep_lookback_stateEbbT6_jjT7_P12ihipStream_tbENKUlT_T0_SI_SN_E_clISD_SD_SD_SD_EEDaS11_S12_SI_SN_EUlS11_E_NS1_11comp_targetILNS1_3genE9ELNS1_11target_archE1100ELNS1_3gpuE3ELNS1_3repE0EEENS1_47radix_sort_onesweep_sort_config_static_selectorELNS0_4arch9wavefront6targetE1EEEvSI_
	.globl	_ZN7rocprim17ROCPRIM_400000_NS6detail17trampoline_kernelINS0_14default_configENS1_35radix_sort_onesweep_config_selectorIyyEEZZNS1_29radix_sort_onesweep_iterationIS3_Lb0EN6thrust23THRUST_200600_302600_NS6detail15normal_iteratorINS8_10device_ptrIyEEEESD_SD_SD_jNS0_19identity_decomposerENS1_16block_id_wrapperIjLb1EEEEE10hipError_tT1_PNSt15iterator_traitsISI_E10value_typeET2_T3_PNSJ_ISO_E10value_typeET4_T5_PST_SU_PNS1_23onesweep_lookback_stateEbbT6_jjT7_P12ihipStream_tbENKUlT_T0_SI_SN_E_clISD_SD_SD_SD_EEDaS11_S12_SI_SN_EUlS11_E_NS1_11comp_targetILNS1_3genE9ELNS1_11target_archE1100ELNS1_3gpuE3ELNS1_3repE0EEENS1_47radix_sort_onesweep_sort_config_static_selectorELNS0_4arch9wavefront6targetE1EEEvSI_
	.p2align	8
	.type	_ZN7rocprim17ROCPRIM_400000_NS6detail17trampoline_kernelINS0_14default_configENS1_35radix_sort_onesweep_config_selectorIyyEEZZNS1_29radix_sort_onesweep_iterationIS3_Lb0EN6thrust23THRUST_200600_302600_NS6detail15normal_iteratorINS8_10device_ptrIyEEEESD_SD_SD_jNS0_19identity_decomposerENS1_16block_id_wrapperIjLb1EEEEE10hipError_tT1_PNSt15iterator_traitsISI_E10value_typeET2_T3_PNSJ_ISO_E10value_typeET4_T5_PST_SU_PNS1_23onesweep_lookback_stateEbbT6_jjT7_P12ihipStream_tbENKUlT_T0_SI_SN_E_clISD_SD_SD_SD_EEDaS11_S12_SI_SN_EUlS11_E_NS1_11comp_targetILNS1_3genE9ELNS1_11target_archE1100ELNS1_3gpuE3ELNS1_3repE0EEENS1_47radix_sort_onesweep_sort_config_static_selectorELNS0_4arch9wavefront6targetE1EEEvSI_,@function
_ZN7rocprim17ROCPRIM_400000_NS6detail17trampoline_kernelINS0_14default_configENS1_35radix_sort_onesweep_config_selectorIyyEEZZNS1_29radix_sort_onesweep_iterationIS3_Lb0EN6thrust23THRUST_200600_302600_NS6detail15normal_iteratorINS8_10device_ptrIyEEEESD_SD_SD_jNS0_19identity_decomposerENS1_16block_id_wrapperIjLb1EEEEE10hipError_tT1_PNSt15iterator_traitsISI_E10value_typeET2_T3_PNSJ_ISO_E10value_typeET4_T5_PST_SU_PNS1_23onesweep_lookback_stateEbbT6_jjT7_P12ihipStream_tbENKUlT_T0_SI_SN_E_clISD_SD_SD_SD_EEDaS11_S12_SI_SN_EUlS11_E_NS1_11comp_targetILNS1_3genE9ELNS1_11target_archE1100ELNS1_3gpuE3ELNS1_3repE0EEENS1_47radix_sort_onesweep_sort_config_static_selectorELNS0_4arch9wavefront6targetE1EEEvSI_: ; @_ZN7rocprim17ROCPRIM_400000_NS6detail17trampoline_kernelINS0_14default_configENS1_35radix_sort_onesweep_config_selectorIyyEEZZNS1_29radix_sort_onesweep_iterationIS3_Lb0EN6thrust23THRUST_200600_302600_NS6detail15normal_iteratorINS8_10device_ptrIyEEEESD_SD_SD_jNS0_19identity_decomposerENS1_16block_id_wrapperIjLb1EEEEE10hipError_tT1_PNSt15iterator_traitsISI_E10value_typeET2_T3_PNSJ_ISO_E10value_typeET4_T5_PST_SU_PNS1_23onesweep_lookback_stateEbbT6_jjT7_P12ihipStream_tbENKUlT_T0_SI_SN_E_clISD_SD_SD_SD_EEDaS11_S12_SI_SN_EUlS11_E_NS1_11comp_targetILNS1_3genE9ELNS1_11target_archE1100ELNS1_3gpuE3ELNS1_3repE0EEENS1_47radix_sort_onesweep_sort_config_static_selectorELNS0_4arch9wavefront6targetE1EEEvSI_
; %bb.0:
	.section	.rodata,"a",@progbits
	.p2align	6, 0x0
	.amdhsa_kernel _ZN7rocprim17ROCPRIM_400000_NS6detail17trampoline_kernelINS0_14default_configENS1_35radix_sort_onesweep_config_selectorIyyEEZZNS1_29radix_sort_onesweep_iterationIS3_Lb0EN6thrust23THRUST_200600_302600_NS6detail15normal_iteratorINS8_10device_ptrIyEEEESD_SD_SD_jNS0_19identity_decomposerENS1_16block_id_wrapperIjLb1EEEEE10hipError_tT1_PNSt15iterator_traitsISI_E10value_typeET2_T3_PNSJ_ISO_E10value_typeET4_T5_PST_SU_PNS1_23onesweep_lookback_stateEbbT6_jjT7_P12ihipStream_tbENKUlT_T0_SI_SN_E_clISD_SD_SD_SD_EEDaS11_S12_SI_SN_EUlS11_E_NS1_11comp_targetILNS1_3genE9ELNS1_11target_archE1100ELNS1_3gpuE3ELNS1_3repE0EEENS1_47radix_sort_onesweep_sort_config_static_selectorELNS0_4arch9wavefront6targetE1EEEvSI_
		.amdhsa_group_segment_fixed_size 0
		.amdhsa_private_segment_fixed_size 0
		.amdhsa_kernarg_size 88
		.amdhsa_user_sgpr_count 2
		.amdhsa_user_sgpr_dispatch_ptr 0
		.amdhsa_user_sgpr_queue_ptr 0
		.amdhsa_user_sgpr_kernarg_segment_ptr 1
		.amdhsa_user_sgpr_dispatch_id 0
		.amdhsa_user_sgpr_kernarg_preload_length 0
		.amdhsa_user_sgpr_kernarg_preload_offset 0
		.amdhsa_user_sgpr_private_segment_size 0
		.amdhsa_uses_dynamic_stack 0
		.amdhsa_enable_private_segment 0
		.amdhsa_system_sgpr_workgroup_id_x 1
		.amdhsa_system_sgpr_workgroup_id_y 0
		.amdhsa_system_sgpr_workgroup_id_z 0
		.amdhsa_system_sgpr_workgroup_info 0
		.amdhsa_system_vgpr_workitem_id 0
		.amdhsa_next_free_vgpr 1
		.amdhsa_next_free_sgpr 0
		.amdhsa_accum_offset 4
		.amdhsa_reserve_vcc 0
		.amdhsa_float_round_mode_32 0
		.amdhsa_float_round_mode_16_64 0
		.amdhsa_float_denorm_mode_32 3
		.amdhsa_float_denorm_mode_16_64 3
		.amdhsa_dx10_clamp 1
		.amdhsa_ieee_mode 1
		.amdhsa_fp16_overflow 0
		.amdhsa_tg_split 0
		.amdhsa_exception_fp_ieee_invalid_op 0
		.amdhsa_exception_fp_denorm_src 0
		.amdhsa_exception_fp_ieee_div_zero 0
		.amdhsa_exception_fp_ieee_overflow 0
		.amdhsa_exception_fp_ieee_underflow 0
		.amdhsa_exception_fp_ieee_inexact 0
		.amdhsa_exception_int_div_zero 0
	.end_amdhsa_kernel
	.section	.text._ZN7rocprim17ROCPRIM_400000_NS6detail17trampoline_kernelINS0_14default_configENS1_35radix_sort_onesweep_config_selectorIyyEEZZNS1_29radix_sort_onesweep_iterationIS3_Lb0EN6thrust23THRUST_200600_302600_NS6detail15normal_iteratorINS8_10device_ptrIyEEEESD_SD_SD_jNS0_19identity_decomposerENS1_16block_id_wrapperIjLb1EEEEE10hipError_tT1_PNSt15iterator_traitsISI_E10value_typeET2_T3_PNSJ_ISO_E10value_typeET4_T5_PST_SU_PNS1_23onesweep_lookback_stateEbbT6_jjT7_P12ihipStream_tbENKUlT_T0_SI_SN_E_clISD_SD_SD_SD_EEDaS11_S12_SI_SN_EUlS11_E_NS1_11comp_targetILNS1_3genE9ELNS1_11target_archE1100ELNS1_3gpuE3ELNS1_3repE0EEENS1_47radix_sort_onesweep_sort_config_static_selectorELNS0_4arch9wavefront6targetE1EEEvSI_,"axG",@progbits,_ZN7rocprim17ROCPRIM_400000_NS6detail17trampoline_kernelINS0_14default_configENS1_35radix_sort_onesweep_config_selectorIyyEEZZNS1_29radix_sort_onesweep_iterationIS3_Lb0EN6thrust23THRUST_200600_302600_NS6detail15normal_iteratorINS8_10device_ptrIyEEEESD_SD_SD_jNS0_19identity_decomposerENS1_16block_id_wrapperIjLb1EEEEE10hipError_tT1_PNSt15iterator_traitsISI_E10value_typeET2_T3_PNSJ_ISO_E10value_typeET4_T5_PST_SU_PNS1_23onesweep_lookback_stateEbbT6_jjT7_P12ihipStream_tbENKUlT_T0_SI_SN_E_clISD_SD_SD_SD_EEDaS11_S12_SI_SN_EUlS11_E_NS1_11comp_targetILNS1_3genE9ELNS1_11target_archE1100ELNS1_3gpuE3ELNS1_3repE0EEENS1_47radix_sort_onesweep_sort_config_static_selectorELNS0_4arch9wavefront6targetE1EEEvSI_,comdat
.Lfunc_end535:
	.size	_ZN7rocprim17ROCPRIM_400000_NS6detail17trampoline_kernelINS0_14default_configENS1_35radix_sort_onesweep_config_selectorIyyEEZZNS1_29radix_sort_onesweep_iterationIS3_Lb0EN6thrust23THRUST_200600_302600_NS6detail15normal_iteratorINS8_10device_ptrIyEEEESD_SD_SD_jNS0_19identity_decomposerENS1_16block_id_wrapperIjLb1EEEEE10hipError_tT1_PNSt15iterator_traitsISI_E10value_typeET2_T3_PNSJ_ISO_E10value_typeET4_T5_PST_SU_PNS1_23onesweep_lookback_stateEbbT6_jjT7_P12ihipStream_tbENKUlT_T0_SI_SN_E_clISD_SD_SD_SD_EEDaS11_S12_SI_SN_EUlS11_E_NS1_11comp_targetILNS1_3genE9ELNS1_11target_archE1100ELNS1_3gpuE3ELNS1_3repE0EEENS1_47radix_sort_onesweep_sort_config_static_selectorELNS0_4arch9wavefront6targetE1EEEvSI_, .Lfunc_end535-_ZN7rocprim17ROCPRIM_400000_NS6detail17trampoline_kernelINS0_14default_configENS1_35radix_sort_onesweep_config_selectorIyyEEZZNS1_29radix_sort_onesweep_iterationIS3_Lb0EN6thrust23THRUST_200600_302600_NS6detail15normal_iteratorINS8_10device_ptrIyEEEESD_SD_SD_jNS0_19identity_decomposerENS1_16block_id_wrapperIjLb1EEEEE10hipError_tT1_PNSt15iterator_traitsISI_E10value_typeET2_T3_PNSJ_ISO_E10value_typeET4_T5_PST_SU_PNS1_23onesweep_lookback_stateEbbT6_jjT7_P12ihipStream_tbENKUlT_T0_SI_SN_E_clISD_SD_SD_SD_EEDaS11_S12_SI_SN_EUlS11_E_NS1_11comp_targetILNS1_3genE9ELNS1_11target_archE1100ELNS1_3gpuE3ELNS1_3repE0EEENS1_47radix_sort_onesweep_sort_config_static_selectorELNS0_4arch9wavefront6targetE1EEEvSI_
                                        ; -- End function
	.set _ZN7rocprim17ROCPRIM_400000_NS6detail17trampoline_kernelINS0_14default_configENS1_35radix_sort_onesweep_config_selectorIyyEEZZNS1_29radix_sort_onesweep_iterationIS3_Lb0EN6thrust23THRUST_200600_302600_NS6detail15normal_iteratorINS8_10device_ptrIyEEEESD_SD_SD_jNS0_19identity_decomposerENS1_16block_id_wrapperIjLb1EEEEE10hipError_tT1_PNSt15iterator_traitsISI_E10value_typeET2_T3_PNSJ_ISO_E10value_typeET4_T5_PST_SU_PNS1_23onesweep_lookback_stateEbbT6_jjT7_P12ihipStream_tbENKUlT_T0_SI_SN_E_clISD_SD_SD_SD_EEDaS11_S12_SI_SN_EUlS11_E_NS1_11comp_targetILNS1_3genE9ELNS1_11target_archE1100ELNS1_3gpuE3ELNS1_3repE0EEENS1_47radix_sort_onesweep_sort_config_static_selectorELNS0_4arch9wavefront6targetE1EEEvSI_.num_vgpr, 0
	.set _ZN7rocprim17ROCPRIM_400000_NS6detail17trampoline_kernelINS0_14default_configENS1_35radix_sort_onesweep_config_selectorIyyEEZZNS1_29radix_sort_onesweep_iterationIS3_Lb0EN6thrust23THRUST_200600_302600_NS6detail15normal_iteratorINS8_10device_ptrIyEEEESD_SD_SD_jNS0_19identity_decomposerENS1_16block_id_wrapperIjLb1EEEEE10hipError_tT1_PNSt15iterator_traitsISI_E10value_typeET2_T3_PNSJ_ISO_E10value_typeET4_T5_PST_SU_PNS1_23onesweep_lookback_stateEbbT6_jjT7_P12ihipStream_tbENKUlT_T0_SI_SN_E_clISD_SD_SD_SD_EEDaS11_S12_SI_SN_EUlS11_E_NS1_11comp_targetILNS1_3genE9ELNS1_11target_archE1100ELNS1_3gpuE3ELNS1_3repE0EEENS1_47radix_sort_onesweep_sort_config_static_selectorELNS0_4arch9wavefront6targetE1EEEvSI_.num_agpr, 0
	.set _ZN7rocprim17ROCPRIM_400000_NS6detail17trampoline_kernelINS0_14default_configENS1_35radix_sort_onesweep_config_selectorIyyEEZZNS1_29radix_sort_onesweep_iterationIS3_Lb0EN6thrust23THRUST_200600_302600_NS6detail15normal_iteratorINS8_10device_ptrIyEEEESD_SD_SD_jNS0_19identity_decomposerENS1_16block_id_wrapperIjLb1EEEEE10hipError_tT1_PNSt15iterator_traitsISI_E10value_typeET2_T3_PNSJ_ISO_E10value_typeET4_T5_PST_SU_PNS1_23onesweep_lookback_stateEbbT6_jjT7_P12ihipStream_tbENKUlT_T0_SI_SN_E_clISD_SD_SD_SD_EEDaS11_S12_SI_SN_EUlS11_E_NS1_11comp_targetILNS1_3genE9ELNS1_11target_archE1100ELNS1_3gpuE3ELNS1_3repE0EEENS1_47radix_sort_onesweep_sort_config_static_selectorELNS0_4arch9wavefront6targetE1EEEvSI_.numbered_sgpr, 0
	.set _ZN7rocprim17ROCPRIM_400000_NS6detail17trampoline_kernelINS0_14default_configENS1_35radix_sort_onesweep_config_selectorIyyEEZZNS1_29radix_sort_onesweep_iterationIS3_Lb0EN6thrust23THRUST_200600_302600_NS6detail15normal_iteratorINS8_10device_ptrIyEEEESD_SD_SD_jNS0_19identity_decomposerENS1_16block_id_wrapperIjLb1EEEEE10hipError_tT1_PNSt15iterator_traitsISI_E10value_typeET2_T3_PNSJ_ISO_E10value_typeET4_T5_PST_SU_PNS1_23onesweep_lookback_stateEbbT6_jjT7_P12ihipStream_tbENKUlT_T0_SI_SN_E_clISD_SD_SD_SD_EEDaS11_S12_SI_SN_EUlS11_E_NS1_11comp_targetILNS1_3genE9ELNS1_11target_archE1100ELNS1_3gpuE3ELNS1_3repE0EEENS1_47radix_sort_onesweep_sort_config_static_selectorELNS0_4arch9wavefront6targetE1EEEvSI_.num_named_barrier, 0
	.set _ZN7rocprim17ROCPRIM_400000_NS6detail17trampoline_kernelINS0_14default_configENS1_35radix_sort_onesweep_config_selectorIyyEEZZNS1_29radix_sort_onesweep_iterationIS3_Lb0EN6thrust23THRUST_200600_302600_NS6detail15normal_iteratorINS8_10device_ptrIyEEEESD_SD_SD_jNS0_19identity_decomposerENS1_16block_id_wrapperIjLb1EEEEE10hipError_tT1_PNSt15iterator_traitsISI_E10value_typeET2_T3_PNSJ_ISO_E10value_typeET4_T5_PST_SU_PNS1_23onesweep_lookback_stateEbbT6_jjT7_P12ihipStream_tbENKUlT_T0_SI_SN_E_clISD_SD_SD_SD_EEDaS11_S12_SI_SN_EUlS11_E_NS1_11comp_targetILNS1_3genE9ELNS1_11target_archE1100ELNS1_3gpuE3ELNS1_3repE0EEENS1_47radix_sort_onesweep_sort_config_static_selectorELNS0_4arch9wavefront6targetE1EEEvSI_.private_seg_size, 0
	.set _ZN7rocprim17ROCPRIM_400000_NS6detail17trampoline_kernelINS0_14default_configENS1_35radix_sort_onesweep_config_selectorIyyEEZZNS1_29radix_sort_onesweep_iterationIS3_Lb0EN6thrust23THRUST_200600_302600_NS6detail15normal_iteratorINS8_10device_ptrIyEEEESD_SD_SD_jNS0_19identity_decomposerENS1_16block_id_wrapperIjLb1EEEEE10hipError_tT1_PNSt15iterator_traitsISI_E10value_typeET2_T3_PNSJ_ISO_E10value_typeET4_T5_PST_SU_PNS1_23onesweep_lookback_stateEbbT6_jjT7_P12ihipStream_tbENKUlT_T0_SI_SN_E_clISD_SD_SD_SD_EEDaS11_S12_SI_SN_EUlS11_E_NS1_11comp_targetILNS1_3genE9ELNS1_11target_archE1100ELNS1_3gpuE3ELNS1_3repE0EEENS1_47radix_sort_onesweep_sort_config_static_selectorELNS0_4arch9wavefront6targetE1EEEvSI_.uses_vcc, 0
	.set _ZN7rocprim17ROCPRIM_400000_NS6detail17trampoline_kernelINS0_14default_configENS1_35radix_sort_onesweep_config_selectorIyyEEZZNS1_29radix_sort_onesweep_iterationIS3_Lb0EN6thrust23THRUST_200600_302600_NS6detail15normal_iteratorINS8_10device_ptrIyEEEESD_SD_SD_jNS0_19identity_decomposerENS1_16block_id_wrapperIjLb1EEEEE10hipError_tT1_PNSt15iterator_traitsISI_E10value_typeET2_T3_PNSJ_ISO_E10value_typeET4_T5_PST_SU_PNS1_23onesweep_lookback_stateEbbT6_jjT7_P12ihipStream_tbENKUlT_T0_SI_SN_E_clISD_SD_SD_SD_EEDaS11_S12_SI_SN_EUlS11_E_NS1_11comp_targetILNS1_3genE9ELNS1_11target_archE1100ELNS1_3gpuE3ELNS1_3repE0EEENS1_47radix_sort_onesweep_sort_config_static_selectorELNS0_4arch9wavefront6targetE1EEEvSI_.uses_flat_scratch, 0
	.set _ZN7rocprim17ROCPRIM_400000_NS6detail17trampoline_kernelINS0_14default_configENS1_35radix_sort_onesweep_config_selectorIyyEEZZNS1_29radix_sort_onesweep_iterationIS3_Lb0EN6thrust23THRUST_200600_302600_NS6detail15normal_iteratorINS8_10device_ptrIyEEEESD_SD_SD_jNS0_19identity_decomposerENS1_16block_id_wrapperIjLb1EEEEE10hipError_tT1_PNSt15iterator_traitsISI_E10value_typeET2_T3_PNSJ_ISO_E10value_typeET4_T5_PST_SU_PNS1_23onesweep_lookback_stateEbbT6_jjT7_P12ihipStream_tbENKUlT_T0_SI_SN_E_clISD_SD_SD_SD_EEDaS11_S12_SI_SN_EUlS11_E_NS1_11comp_targetILNS1_3genE9ELNS1_11target_archE1100ELNS1_3gpuE3ELNS1_3repE0EEENS1_47radix_sort_onesweep_sort_config_static_selectorELNS0_4arch9wavefront6targetE1EEEvSI_.has_dyn_sized_stack, 0
	.set _ZN7rocprim17ROCPRIM_400000_NS6detail17trampoline_kernelINS0_14default_configENS1_35radix_sort_onesweep_config_selectorIyyEEZZNS1_29radix_sort_onesweep_iterationIS3_Lb0EN6thrust23THRUST_200600_302600_NS6detail15normal_iteratorINS8_10device_ptrIyEEEESD_SD_SD_jNS0_19identity_decomposerENS1_16block_id_wrapperIjLb1EEEEE10hipError_tT1_PNSt15iterator_traitsISI_E10value_typeET2_T3_PNSJ_ISO_E10value_typeET4_T5_PST_SU_PNS1_23onesweep_lookback_stateEbbT6_jjT7_P12ihipStream_tbENKUlT_T0_SI_SN_E_clISD_SD_SD_SD_EEDaS11_S12_SI_SN_EUlS11_E_NS1_11comp_targetILNS1_3genE9ELNS1_11target_archE1100ELNS1_3gpuE3ELNS1_3repE0EEENS1_47radix_sort_onesweep_sort_config_static_selectorELNS0_4arch9wavefront6targetE1EEEvSI_.has_recursion, 0
	.set _ZN7rocprim17ROCPRIM_400000_NS6detail17trampoline_kernelINS0_14default_configENS1_35radix_sort_onesweep_config_selectorIyyEEZZNS1_29radix_sort_onesweep_iterationIS3_Lb0EN6thrust23THRUST_200600_302600_NS6detail15normal_iteratorINS8_10device_ptrIyEEEESD_SD_SD_jNS0_19identity_decomposerENS1_16block_id_wrapperIjLb1EEEEE10hipError_tT1_PNSt15iterator_traitsISI_E10value_typeET2_T3_PNSJ_ISO_E10value_typeET4_T5_PST_SU_PNS1_23onesweep_lookback_stateEbbT6_jjT7_P12ihipStream_tbENKUlT_T0_SI_SN_E_clISD_SD_SD_SD_EEDaS11_S12_SI_SN_EUlS11_E_NS1_11comp_targetILNS1_3genE9ELNS1_11target_archE1100ELNS1_3gpuE3ELNS1_3repE0EEENS1_47radix_sort_onesweep_sort_config_static_selectorELNS0_4arch9wavefront6targetE1EEEvSI_.has_indirect_call, 0
	.section	.AMDGPU.csdata,"",@progbits
; Kernel info:
; codeLenInByte = 0
; TotalNumSgprs: 6
; NumVgprs: 0
; NumAgprs: 0
; TotalNumVgprs: 0
; ScratchSize: 0
; MemoryBound: 0
; FloatMode: 240
; IeeeMode: 1
; LDSByteSize: 0 bytes/workgroup (compile time only)
; SGPRBlocks: 0
; VGPRBlocks: 0
; NumSGPRsForWavesPerEU: 6
; NumVGPRsForWavesPerEU: 1
; AccumOffset: 4
; Occupancy: 8
; WaveLimiterHint : 0
; COMPUTE_PGM_RSRC2:SCRATCH_EN: 0
; COMPUTE_PGM_RSRC2:USER_SGPR: 2
; COMPUTE_PGM_RSRC2:TRAP_HANDLER: 0
; COMPUTE_PGM_RSRC2:TGID_X_EN: 1
; COMPUTE_PGM_RSRC2:TGID_Y_EN: 0
; COMPUTE_PGM_RSRC2:TGID_Z_EN: 0
; COMPUTE_PGM_RSRC2:TIDIG_COMP_CNT: 0
; COMPUTE_PGM_RSRC3_GFX90A:ACCUM_OFFSET: 0
; COMPUTE_PGM_RSRC3_GFX90A:TG_SPLIT: 0
	.section	.text._ZN7rocprim17ROCPRIM_400000_NS6detail17trampoline_kernelINS0_14default_configENS1_35radix_sort_onesweep_config_selectorIyyEEZZNS1_29radix_sort_onesweep_iterationIS3_Lb0EN6thrust23THRUST_200600_302600_NS6detail15normal_iteratorINS8_10device_ptrIyEEEESD_SD_SD_jNS0_19identity_decomposerENS1_16block_id_wrapperIjLb1EEEEE10hipError_tT1_PNSt15iterator_traitsISI_E10value_typeET2_T3_PNSJ_ISO_E10value_typeET4_T5_PST_SU_PNS1_23onesweep_lookback_stateEbbT6_jjT7_P12ihipStream_tbENKUlT_T0_SI_SN_E_clISD_SD_SD_SD_EEDaS11_S12_SI_SN_EUlS11_E_NS1_11comp_targetILNS1_3genE8ELNS1_11target_archE1030ELNS1_3gpuE2ELNS1_3repE0EEENS1_47radix_sort_onesweep_sort_config_static_selectorELNS0_4arch9wavefront6targetE1EEEvSI_,"axG",@progbits,_ZN7rocprim17ROCPRIM_400000_NS6detail17trampoline_kernelINS0_14default_configENS1_35radix_sort_onesweep_config_selectorIyyEEZZNS1_29radix_sort_onesweep_iterationIS3_Lb0EN6thrust23THRUST_200600_302600_NS6detail15normal_iteratorINS8_10device_ptrIyEEEESD_SD_SD_jNS0_19identity_decomposerENS1_16block_id_wrapperIjLb1EEEEE10hipError_tT1_PNSt15iterator_traitsISI_E10value_typeET2_T3_PNSJ_ISO_E10value_typeET4_T5_PST_SU_PNS1_23onesweep_lookback_stateEbbT6_jjT7_P12ihipStream_tbENKUlT_T0_SI_SN_E_clISD_SD_SD_SD_EEDaS11_S12_SI_SN_EUlS11_E_NS1_11comp_targetILNS1_3genE8ELNS1_11target_archE1030ELNS1_3gpuE2ELNS1_3repE0EEENS1_47radix_sort_onesweep_sort_config_static_selectorELNS0_4arch9wavefront6targetE1EEEvSI_,comdat
	.protected	_ZN7rocprim17ROCPRIM_400000_NS6detail17trampoline_kernelINS0_14default_configENS1_35radix_sort_onesweep_config_selectorIyyEEZZNS1_29radix_sort_onesweep_iterationIS3_Lb0EN6thrust23THRUST_200600_302600_NS6detail15normal_iteratorINS8_10device_ptrIyEEEESD_SD_SD_jNS0_19identity_decomposerENS1_16block_id_wrapperIjLb1EEEEE10hipError_tT1_PNSt15iterator_traitsISI_E10value_typeET2_T3_PNSJ_ISO_E10value_typeET4_T5_PST_SU_PNS1_23onesweep_lookback_stateEbbT6_jjT7_P12ihipStream_tbENKUlT_T0_SI_SN_E_clISD_SD_SD_SD_EEDaS11_S12_SI_SN_EUlS11_E_NS1_11comp_targetILNS1_3genE8ELNS1_11target_archE1030ELNS1_3gpuE2ELNS1_3repE0EEENS1_47radix_sort_onesweep_sort_config_static_selectorELNS0_4arch9wavefront6targetE1EEEvSI_ ; -- Begin function _ZN7rocprim17ROCPRIM_400000_NS6detail17trampoline_kernelINS0_14default_configENS1_35radix_sort_onesweep_config_selectorIyyEEZZNS1_29radix_sort_onesweep_iterationIS3_Lb0EN6thrust23THRUST_200600_302600_NS6detail15normal_iteratorINS8_10device_ptrIyEEEESD_SD_SD_jNS0_19identity_decomposerENS1_16block_id_wrapperIjLb1EEEEE10hipError_tT1_PNSt15iterator_traitsISI_E10value_typeET2_T3_PNSJ_ISO_E10value_typeET4_T5_PST_SU_PNS1_23onesweep_lookback_stateEbbT6_jjT7_P12ihipStream_tbENKUlT_T0_SI_SN_E_clISD_SD_SD_SD_EEDaS11_S12_SI_SN_EUlS11_E_NS1_11comp_targetILNS1_3genE8ELNS1_11target_archE1030ELNS1_3gpuE2ELNS1_3repE0EEENS1_47radix_sort_onesweep_sort_config_static_selectorELNS0_4arch9wavefront6targetE1EEEvSI_
	.globl	_ZN7rocprim17ROCPRIM_400000_NS6detail17trampoline_kernelINS0_14default_configENS1_35radix_sort_onesweep_config_selectorIyyEEZZNS1_29radix_sort_onesweep_iterationIS3_Lb0EN6thrust23THRUST_200600_302600_NS6detail15normal_iteratorINS8_10device_ptrIyEEEESD_SD_SD_jNS0_19identity_decomposerENS1_16block_id_wrapperIjLb1EEEEE10hipError_tT1_PNSt15iterator_traitsISI_E10value_typeET2_T3_PNSJ_ISO_E10value_typeET4_T5_PST_SU_PNS1_23onesweep_lookback_stateEbbT6_jjT7_P12ihipStream_tbENKUlT_T0_SI_SN_E_clISD_SD_SD_SD_EEDaS11_S12_SI_SN_EUlS11_E_NS1_11comp_targetILNS1_3genE8ELNS1_11target_archE1030ELNS1_3gpuE2ELNS1_3repE0EEENS1_47radix_sort_onesweep_sort_config_static_selectorELNS0_4arch9wavefront6targetE1EEEvSI_
	.p2align	8
	.type	_ZN7rocprim17ROCPRIM_400000_NS6detail17trampoline_kernelINS0_14default_configENS1_35radix_sort_onesweep_config_selectorIyyEEZZNS1_29radix_sort_onesweep_iterationIS3_Lb0EN6thrust23THRUST_200600_302600_NS6detail15normal_iteratorINS8_10device_ptrIyEEEESD_SD_SD_jNS0_19identity_decomposerENS1_16block_id_wrapperIjLb1EEEEE10hipError_tT1_PNSt15iterator_traitsISI_E10value_typeET2_T3_PNSJ_ISO_E10value_typeET4_T5_PST_SU_PNS1_23onesweep_lookback_stateEbbT6_jjT7_P12ihipStream_tbENKUlT_T0_SI_SN_E_clISD_SD_SD_SD_EEDaS11_S12_SI_SN_EUlS11_E_NS1_11comp_targetILNS1_3genE8ELNS1_11target_archE1030ELNS1_3gpuE2ELNS1_3repE0EEENS1_47radix_sort_onesweep_sort_config_static_selectorELNS0_4arch9wavefront6targetE1EEEvSI_,@function
_ZN7rocprim17ROCPRIM_400000_NS6detail17trampoline_kernelINS0_14default_configENS1_35radix_sort_onesweep_config_selectorIyyEEZZNS1_29radix_sort_onesweep_iterationIS3_Lb0EN6thrust23THRUST_200600_302600_NS6detail15normal_iteratorINS8_10device_ptrIyEEEESD_SD_SD_jNS0_19identity_decomposerENS1_16block_id_wrapperIjLb1EEEEE10hipError_tT1_PNSt15iterator_traitsISI_E10value_typeET2_T3_PNSJ_ISO_E10value_typeET4_T5_PST_SU_PNS1_23onesweep_lookback_stateEbbT6_jjT7_P12ihipStream_tbENKUlT_T0_SI_SN_E_clISD_SD_SD_SD_EEDaS11_S12_SI_SN_EUlS11_E_NS1_11comp_targetILNS1_3genE8ELNS1_11target_archE1030ELNS1_3gpuE2ELNS1_3repE0EEENS1_47radix_sort_onesweep_sort_config_static_selectorELNS0_4arch9wavefront6targetE1EEEvSI_: ; @_ZN7rocprim17ROCPRIM_400000_NS6detail17trampoline_kernelINS0_14default_configENS1_35radix_sort_onesweep_config_selectorIyyEEZZNS1_29radix_sort_onesweep_iterationIS3_Lb0EN6thrust23THRUST_200600_302600_NS6detail15normal_iteratorINS8_10device_ptrIyEEEESD_SD_SD_jNS0_19identity_decomposerENS1_16block_id_wrapperIjLb1EEEEE10hipError_tT1_PNSt15iterator_traitsISI_E10value_typeET2_T3_PNSJ_ISO_E10value_typeET4_T5_PST_SU_PNS1_23onesweep_lookback_stateEbbT6_jjT7_P12ihipStream_tbENKUlT_T0_SI_SN_E_clISD_SD_SD_SD_EEDaS11_S12_SI_SN_EUlS11_E_NS1_11comp_targetILNS1_3genE8ELNS1_11target_archE1030ELNS1_3gpuE2ELNS1_3repE0EEENS1_47radix_sort_onesweep_sort_config_static_selectorELNS0_4arch9wavefront6targetE1EEEvSI_
; %bb.0:
	.section	.rodata,"a",@progbits
	.p2align	6, 0x0
	.amdhsa_kernel _ZN7rocprim17ROCPRIM_400000_NS6detail17trampoline_kernelINS0_14default_configENS1_35radix_sort_onesweep_config_selectorIyyEEZZNS1_29radix_sort_onesweep_iterationIS3_Lb0EN6thrust23THRUST_200600_302600_NS6detail15normal_iteratorINS8_10device_ptrIyEEEESD_SD_SD_jNS0_19identity_decomposerENS1_16block_id_wrapperIjLb1EEEEE10hipError_tT1_PNSt15iterator_traitsISI_E10value_typeET2_T3_PNSJ_ISO_E10value_typeET4_T5_PST_SU_PNS1_23onesweep_lookback_stateEbbT6_jjT7_P12ihipStream_tbENKUlT_T0_SI_SN_E_clISD_SD_SD_SD_EEDaS11_S12_SI_SN_EUlS11_E_NS1_11comp_targetILNS1_3genE8ELNS1_11target_archE1030ELNS1_3gpuE2ELNS1_3repE0EEENS1_47radix_sort_onesweep_sort_config_static_selectorELNS0_4arch9wavefront6targetE1EEEvSI_
		.amdhsa_group_segment_fixed_size 0
		.amdhsa_private_segment_fixed_size 0
		.amdhsa_kernarg_size 88
		.amdhsa_user_sgpr_count 2
		.amdhsa_user_sgpr_dispatch_ptr 0
		.amdhsa_user_sgpr_queue_ptr 0
		.amdhsa_user_sgpr_kernarg_segment_ptr 1
		.amdhsa_user_sgpr_dispatch_id 0
		.amdhsa_user_sgpr_kernarg_preload_length 0
		.amdhsa_user_sgpr_kernarg_preload_offset 0
		.amdhsa_user_sgpr_private_segment_size 0
		.amdhsa_uses_dynamic_stack 0
		.amdhsa_enable_private_segment 0
		.amdhsa_system_sgpr_workgroup_id_x 1
		.amdhsa_system_sgpr_workgroup_id_y 0
		.amdhsa_system_sgpr_workgroup_id_z 0
		.amdhsa_system_sgpr_workgroup_info 0
		.amdhsa_system_vgpr_workitem_id 0
		.amdhsa_next_free_vgpr 1
		.amdhsa_next_free_sgpr 0
		.amdhsa_accum_offset 4
		.amdhsa_reserve_vcc 0
		.amdhsa_float_round_mode_32 0
		.amdhsa_float_round_mode_16_64 0
		.amdhsa_float_denorm_mode_32 3
		.amdhsa_float_denorm_mode_16_64 3
		.amdhsa_dx10_clamp 1
		.amdhsa_ieee_mode 1
		.amdhsa_fp16_overflow 0
		.amdhsa_tg_split 0
		.amdhsa_exception_fp_ieee_invalid_op 0
		.amdhsa_exception_fp_denorm_src 0
		.amdhsa_exception_fp_ieee_div_zero 0
		.amdhsa_exception_fp_ieee_overflow 0
		.amdhsa_exception_fp_ieee_underflow 0
		.amdhsa_exception_fp_ieee_inexact 0
		.amdhsa_exception_int_div_zero 0
	.end_amdhsa_kernel
	.section	.text._ZN7rocprim17ROCPRIM_400000_NS6detail17trampoline_kernelINS0_14default_configENS1_35radix_sort_onesweep_config_selectorIyyEEZZNS1_29radix_sort_onesweep_iterationIS3_Lb0EN6thrust23THRUST_200600_302600_NS6detail15normal_iteratorINS8_10device_ptrIyEEEESD_SD_SD_jNS0_19identity_decomposerENS1_16block_id_wrapperIjLb1EEEEE10hipError_tT1_PNSt15iterator_traitsISI_E10value_typeET2_T3_PNSJ_ISO_E10value_typeET4_T5_PST_SU_PNS1_23onesweep_lookback_stateEbbT6_jjT7_P12ihipStream_tbENKUlT_T0_SI_SN_E_clISD_SD_SD_SD_EEDaS11_S12_SI_SN_EUlS11_E_NS1_11comp_targetILNS1_3genE8ELNS1_11target_archE1030ELNS1_3gpuE2ELNS1_3repE0EEENS1_47radix_sort_onesweep_sort_config_static_selectorELNS0_4arch9wavefront6targetE1EEEvSI_,"axG",@progbits,_ZN7rocprim17ROCPRIM_400000_NS6detail17trampoline_kernelINS0_14default_configENS1_35radix_sort_onesweep_config_selectorIyyEEZZNS1_29radix_sort_onesweep_iterationIS3_Lb0EN6thrust23THRUST_200600_302600_NS6detail15normal_iteratorINS8_10device_ptrIyEEEESD_SD_SD_jNS0_19identity_decomposerENS1_16block_id_wrapperIjLb1EEEEE10hipError_tT1_PNSt15iterator_traitsISI_E10value_typeET2_T3_PNSJ_ISO_E10value_typeET4_T5_PST_SU_PNS1_23onesweep_lookback_stateEbbT6_jjT7_P12ihipStream_tbENKUlT_T0_SI_SN_E_clISD_SD_SD_SD_EEDaS11_S12_SI_SN_EUlS11_E_NS1_11comp_targetILNS1_3genE8ELNS1_11target_archE1030ELNS1_3gpuE2ELNS1_3repE0EEENS1_47radix_sort_onesweep_sort_config_static_selectorELNS0_4arch9wavefront6targetE1EEEvSI_,comdat
.Lfunc_end536:
	.size	_ZN7rocprim17ROCPRIM_400000_NS6detail17trampoline_kernelINS0_14default_configENS1_35radix_sort_onesweep_config_selectorIyyEEZZNS1_29radix_sort_onesweep_iterationIS3_Lb0EN6thrust23THRUST_200600_302600_NS6detail15normal_iteratorINS8_10device_ptrIyEEEESD_SD_SD_jNS0_19identity_decomposerENS1_16block_id_wrapperIjLb1EEEEE10hipError_tT1_PNSt15iterator_traitsISI_E10value_typeET2_T3_PNSJ_ISO_E10value_typeET4_T5_PST_SU_PNS1_23onesweep_lookback_stateEbbT6_jjT7_P12ihipStream_tbENKUlT_T0_SI_SN_E_clISD_SD_SD_SD_EEDaS11_S12_SI_SN_EUlS11_E_NS1_11comp_targetILNS1_3genE8ELNS1_11target_archE1030ELNS1_3gpuE2ELNS1_3repE0EEENS1_47radix_sort_onesweep_sort_config_static_selectorELNS0_4arch9wavefront6targetE1EEEvSI_, .Lfunc_end536-_ZN7rocprim17ROCPRIM_400000_NS6detail17trampoline_kernelINS0_14default_configENS1_35radix_sort_onesweep_config_selectorIyyEEZZNS1_29radix_sort_onesweep_iterationIS3_Lb0EN6thrust23THRUST_200600_302600_NS6detail15normal_iteratorINS8_10device_ptrIyEEEESD_SD_SD_jNS0_19identity_decomposerENS1_16block_id_wrapperIjLb1EEEEE10hipError_tT1_PNSt15iterator_traitsISI_E10value_typeET2_T3_PNSJ_ISO_E10value_typeET4_T5_PST_SU_PNS1_23onesweep_lookback_stateEbbT6_jjT7_P12ihipStream_tbENKUlT_T0_SI_SN_E_clISD_SD_SD_SD_EEDaS11_S12_SI_SN_EUlS11_E_NS1_11comp_targetILNS1_3genE8ELNS1_11target_archE1030ELNS1_3gpuE2ELNS1_3repE0EEENS1_47radix_sort_onesweep_sort_config_static_selectorELNS0_4arch9wavefront6targetE1EEEvSI_
                                        ; -- End function
	.set _ZN7rocprim17ROCPRIM_400000_NS6detail17trampoline_kernelINS0_14default_configENS1_35radix_sort_onesweep_config_selectorIyyEEZZNS1_29radix_sort_onesweep_iterationIS3_Lb0EN6thrust23THRUST_200600_302600_NS6detail15normal_iteratorINS8_10device_ptrIyEEEESD_SD_SD_jNS0_19identity_decomposerENS1_16block_id_wrapperIjLb1EEEEE10hipError_tT1_PNSt15iterator_traitsISI_E10value_typeET2_T3_PNSJ_ISO_E10value_typeET4_T5_PST_SU_PNS1_23onesweep_lookback_stateEbbT6_jjT7_P12ihipStream_tbENKUlT_T0_SI_SN_E_clISD_SD_SD_SD_EEDaS11_S12_SI_SN_EUlS11_E_NS1_11comp_targetILNS1_3genE8ELNS1_11target_archE1030ELNS1_3gpuE2ELNS1_3repE0EEENS1_47radix_sort_onesweep_sort_config_static_selectorELNS0_4arch9wavefront6targetE1EEEvSI_.num_vgpr, 0
	.set _ZN7rocprim17ROCPRIM_400000_NS6detail17trampoline_kernelINS0_14default_configENS1_35radix_sort_onesweep_config_selectorIyyEEZZNS1_29radix_sort_onesweep_iterationIS3_Lb0EN6thrust23THRUST_200600_302600_NS6detail15normal_iteratorINS8_10device_ptrIyEEEESD_SD_SD_jNS0_19identity_decomposerENS1_16block_id_wrapperIjLb1EEEEE10hipError_tT1_PNSt15iterator_traitsISI_E10value_typeET2_T3_PNSJ_ISO_E10value_typeET4_T5_PST_SU_PNS1_23onesweep_lookback_stateEbbT6_jjT7_P12ihipStream_tbENKUlT_T0_SI_SN_E_clISD_SD_SD_SD_EEDaS11_S12_SI_SN_EUlS11_E_NS1_11comp_targetILNS1_3genE8ELNS1_11target_archE1030ELNS1_3gpuE2ELNS1_3repE0EEENS1_47radix_sort_onesweep_sort_config_static_selectorELNS0_4arch9wavefront6targetE1EEEvSI_.num_agpr, 0
	.set _ZN7rocprim17ROCPRIM_400000_NS6detail17trampoline_kernelINS0_14default_configENS1_35radix_sort_onesweep_config_selectorIyyEEZZNS1_29radix_sort_onesweep_iterationIS3_Lb0EN6thrust23THRUST_200600_302600_NS6detail15normal_iteratorINS8_10device_ptrIyEEEESD_SD_SD_jNS0_19identity_decomposerENS1_16block_id_wrapperIjLb1EEEEE10hipError_tT1_PNSt15iterator_traitsISI_E10value_typeET2_T3_PNSJ_ISO_E10value_typeET4_T5_PST_SU_PNS1_23onesweep_lookback_stateEbbT6_jjT7_P12ihipStream_tbENKUlT_T0_SI_SN_E_clISD_SD_SD_SD_EEDaS11_S12_SI_SN_EUlS11_E_NS1_11comp_targetILNS1_3genE8ELNS1_11target_archE1030ELNS1_3gpuE2ELNS1_3repE0EEENS1_47radix_sort_onesweep_sort_config_static_selectorELNS0_4arch9wavefront6targetE1EEEvSI_.numbered_sgpr, 0
	.set _ZN7rocprim17ROCPRIM_400000_NS6detail17trampoline_kernelINS0_14default_configENS1_35radix_sort_onesweep_config_selectorIyyEEZZNS1_29radix_sort_onesweep_iterationIS3_Lb0EN6thrust23THRUST_200600_302600_NS6detail15normal_iteratorINS8_10device_ptrIyEEEESD_SD_SD_jNS0_19identity_decomposerENS1_16block_id_wrapperIjLb1EEEEE10hipError_tT1_PNSt15iterator_traitsISI_E10value_typeET2_T3_PNSJ_ISO_E10value_typeET4_T5_PST_SU_PNS1_23onesweep_lookback_stateEbbT6_jjT7_P12ihipStream_tbENKUlT_T0_SI_SN_E_clISD_SD_SD_SD_EEDaS11_S12_SI_SN_EUlS11_E_NS1_11comp_targetILNS1_3genE8ELNS1_11target_archE1030ELNS1_3gpuE2ELNS1_3repE0EEENS1_47radix_sort_onesweep_sort_config_static_selectorELNS0_4arch9wavefront6targetE1EEEvSI_.num_named_barrier, 0
	.set _ZN7rocprim17ROCPRIM_400000_NS6detail17trampoline_kernelINS0_14default_configENS1_35radix_sort_onesweep_config_selectorIyyEEZZNS1_29radix_sort_onesweep_iterationIS3_Lb0EN6thrust23THRUST_200600_302600_NS6detail15normal_iteratorINS8_10device_ptrIyEEEESD_SD_SD_jNS0_19identity_decomposerENS1_16block_id_wrapperIjLb1EEEEE10hipError_tT1_PNSt15iterator_traitsISI_E10value_typeET2_T3_PNSJ_ISO_E10value_typeET4_T5_PST_SU_PNS1_23onesweep_lookback_stateEbbT6_jjT7_P12ihipStream_tbENKUlT_T0_SI_SN_E_clISD_SD_SD_SD_EEDaS11_S12_SI_SN_EUlS11_E_NS1_11comp_targetILNS1_3genE8ELNS1_11target_archE1030ELNS1_3gpuE2ELNS1_3repE0EEENS1_47radix_sort_onesweep_sort_config_static_selectorELNS0_4arch9wavefront6targetE1EEEvSI_.private_seg_size, 0
	.set _ZN7rocprim17ROCPRIM_400000_NS6detail17trampoline_kernelINS0_14default_configENS1_35radix_sort_onesweep_config_selectorIyyEEZZNS1_29radix_sort_onesweep_iterationIS3_Lb0EN6thrust23THRUST_200600_302600_NS6detail15normal_iteratorINS8_10device_ptrIyEEEESD_SD_SD_jNS0_19identity_decomposerENS1_16block_id_wrapperIjLb1EEEEE10hipError_tT1_PNSt15iterator_traitsISI_E10value_typeET2_T3_PNSJ_ISO_E10value_typeET4_T5_PST_SU_PNS1_23onesweep_lookback_stateEbbT6_jjT7_P12ihipStream_tbENKUlT_T0_SI_SN_E_clISD_SD_SD_SD_EEDaS11_S12_SI_SN_EUlS11_E_NS1_11comp_targetILNS1_3genE8ELNS1_11target_archE1030ELNS1_3gpuE2ELNS1_3repE0EEENS1_47radix_sort_onesweep_sort_config_static_selectorELNS0_4arch9wavefront6targetE1EEEvSI_.uses_vcc, 0
	.set _ZN7rocprim17ROCPRIM_400000_NS6detail17trampoline_kernelINS0_14default_configENS1_35radix_sort_onesweep_config_selectorIyyEEZZNS1_29radix_sort_onesweep_iterationIS3_Lb0EN6thrust23THRUST_200600_302600_NS6detail15normal_iteratorINS8_10device_ptrIyEEEESD_SD_SD_jNS0_19identity_decomposerENS1_16block_id_wrapperIjLb1EEEEE10hipError_tT1_PNSt15iterator_traitsISI_E10value_typeET2_T3_PNSJ_ISO_E10value_typeET4_T5_PST_SU_PNS1_23onesweep_lookback_stateEbbT6_jjT7_P12ihipStream_tbENKUlT_T0_SI_SN_E_clISD_SD_SD_SD_EEDaS11_S12_SI_SN_EUlS11_E_NS1_11comp_targetILNS1_3genE8ELNS1_11target_archE1030ELNS1_3gpuE2ELNS1_3repE0EEENS1_47radix_sort_onesweep_sort_config_static_selectorELNS0_4arch9wavefront6targetE1EEEvSI_.uses_flat_scratch, 0
	.set _ZN7rocprim17ROCPRIM_400000_NS6detail17trampoline_kernelINS0_14default_configENS1_35radix_sort_onesweep_config_selectorIyyEEZZNS1_29radix_sort_onesweep_iterationIS3_Lb0EN6thrust23THRUST_200600_302600_NS6detail15normal_iteratorINS8_10device_ptrIyEEEESD_SD_SD_jNS0_19identity_decomposerENS1_16block_id_wrapperIjLb1EEEEE10hipError_tT1_PNSt15iterator_traitsISI_E10value_typeET2_T3_PNSJ_ISO_E10value_typeET4_T5_PST_SU_PNS1_23onesweep_lookback_stateEbbT6_jjT7_P12ihipStream_tbENKUlT_T0_SI_SN_E_clISD_SD_SD_SD_EEDaS11_S12_SI_SN_EUlS11_E_NS1_11comp_targetILNS1_3genE8ELNS1_11target_archE1030ELNS1_3gpuE2ELNS1_3repE0EEENS1_47radix_sort_onesweep_sort_config_static_selectorELNS0_4arch9wavefront6targetE1EEEvSI_.has_dyn_sized_stack, 0
	.set _ZN7rocprim17ROCPRIM_400000_NS6detail17trampoline_kernelINS0_14default_configENS1_35radix_sort_onesweep_config_selectorIyyEEZZNS1_29radix_sort_onesweep_iterationIS3_Lb0EN6thrust23THRUST_200600_302600_NS6detail15normal_iteratorINS8_10device_ptrIyEEEESD_SD_SD_jNS0_19identity_decomposerENS1_16block_id_wrapperIjLb1EEEEE10hipError_tT1_PNSt15iterator_traitsISI_E10value_typeET2_T3_PNSJ_ISO_E10value_typeET4_T5_PST_SU_PNS1_23onesweep_lookback_stateEbbT6_jjT7_P12ihipStream_tbENKUlT_T0_SI_SN_E_clISD_SD_SD_SD_EEDaS11_S12_SI_SN_EUlS11_E_NS1_11comp_targetILNS1_3genE8ELNS1_11target_archE1030ELNS1_3gpuE2ELNS1_3repE0EEENS1_47radix_sort_onesweep_sort_config_static_selectorELNS0_4arch9wavefront6targetE1EEEvSI_.has_recursion, 0
	.set _ZN7rocprim17ROCPRIM_400000_NS6detail17trampoline_kernelINS0_14default_configENS1_35radix_sort_onesweep_config_selectorIyyEEZZNS1_29radix_sort_onesweep_iterationIS3_Lb0EN6thrust23THRUST_200600_302600_NS6detail15normal_iteratorINS8_10device_ptrIyEEEESD_SD_SD_jNS0_19identity_decomposerENS1_16block_id_wrapperIjLb1EEEEE10hipError_tT1_PNSt15iterator_traitsISI_E10value_typeET2_T3_PNSJ_ISO_E10value_typeET4_T5_PST_SU_PNS1_23onesweep_lookback_stateEbbT6_jjT7_P12ihipStream_tbENKUlT_T0_SI_SN_E_clISD_SD_SD_SD_EEDaS11_S12_SI_SN_EUlS11_E_NS1_11comp_targetILNS1_3genE8ELNS1_11target_archE1030ELNS1_3gpuE2ELNS1_3repE0EEENS1_47radix_sort_onesweep_sort_config_static_selectorELNS0_4arch9wavefront6targetE1EEEvSI_.has_indirect_call, 0
	.section	.AMDGPU.csdata,"",@progbits
; Kernel info:
; codeLenInByte = 0
; TotalNumSgprs: 6
; NumVgprs: 0
; NumAgprs: 0
; TotalNumVgprs: 0
; ScratchSize: 0
; MemoryBound: 0
; FloatMode: 240
; IeeeMode: 1
; LDSByteSize: 0 bytes/workgroup (compile time only)
; SGPRBlocks: 0
; VGPRBlocks: 0
; NumSGPRsForWavesPerEU: 6
; NumVGPRsForWavesPerEU: 1
; AccumOffset: 4
; Occupancy: 8
; WaveLimiterHint : 0
; COMPUTE_PGM_RSRC2:SCRATCH_EN: 0
; COMPUTE_PGM_RSRC2:USER_SGPR: 2
; COMPUTE_PGM_RSRC2:TRAP_HANDLER: 0
; COMPUTE_PGM_RSRC2:TGID_X_EN: 1
; COMPUTE_PGM_RSRC2:TGID_Y_EN: 0
; COMPUTE_PGM_RSRC2:TGID_Z_EN: 0
; COMPUTE_PGM_RSRC2:TIDIG_COMP_CNT: 0
; COMPUTE_PGM_RSRC3_GFX90A:ACCUM_OFFSET: 0
; COMPUTE_PGM_RSRC3_GFX90A:TG_SPLIT: 0
	.section	.text._ZN7rocprim17ROCPRIM_400000_NS6detail17trampoline_kernelINS0_14default_configENS1_35radix_sort_onesweep_config_selectorIyyEEZZNS1_29radix_sort_onesweep_iterationIS3_Lb0EN6thrust23THRUST_200600_302600_NS6detail15normal_iteratorINS8_10device_ptrIyEEEESD_SD_SD_jNS0_19identity_decomposerENS1_16block_id_wrapperIjLb1EEEEE10hipError_tT1_PNSt15iterator_traitsISI_E10value_typeET2_T3_PNSJ_ISO_E10value_typeET4_T5_PST_SU_PNS1_23onesweep_lookback_stateEbbT6_jjT7_P12ihipStream_tbENKUlT_T0_SI_SN_E_clISD_PySD_S15_EEDaS11_S12_SI_SN_EUlS11_E_NS1_11comp_targetILNS1_3genE0ELNS1_11target_archE4294967295ELNS1_3gpuE0ELNS1_3repE0EEENS1_47radix_sort_onesweep_sort_config_static_selectorELNS0_4arch9wavefront6targetE1EEEvSI_,"axG",@progbits,_ZN7rocprim17ROCPRIM_400000_NS6detail17trampoline_kernelINS0_14default_configENS1_35radix_sort_onesweep_config_selectorIyyEEZZNS1_29radix_sort_onesweep_iterationIS3_Lb0EN6thrust23THRUST_200600_302600_NS6detail15normal_iteratorINS8_10device_ptrIyEEEESD_SD_SD_jNS0_19identity_decomposerENS1_16block_id_wrapperIjLb1EEEEE10hipError_tT1_PNSt15iterator_traitsISI_E10value_typeET2_T3_PNSJ_ISO_E10value_typeET4_T5_PST_SU_PNS1_23onesweep_lookback_stateEbbT6_jjT7_P12ihipStream_tbENKUlT_T0_SI_SN_E_clISD_PySD_S15_EEDaS11_S12_SI_SN_EUlS11_E_NS1_11comp_targetILNS1_3genE0ELNS1_11target_archE4294967295ELNS1_3gpuE0ELNS1_3repE0EEENS1_47radix_sort_onesweep_sort_config_static_selectorELNS0_4arch9wavefront6targetE1EEEvSI_,comdat
	.protected	_ZN7rocprim17ROCPRIM_400000_NS6detail17trampoline_kernelINS0_14default_configENS1_35radix_sort_onesweep_config_selectorIyyEEZZNS1_29radix_sort_onesweep_iterationIS3_Lb0EN6thrust23THRUST_200600_302600_NS6detail15normal_iteratorINS8_10device_ptrIyEEEESD_SD_SD_jNS0_19identity_decomposerENS1_16block_id_wrapperIjLb1EEEEE10hipError_tT1_PNSt15iterator_traitsISI_E10value_typeET2_T3_PNSJ_ISO_E10value_typeET4_T5_PST_SU_PNS1_23onesweep_lookback_stateEbbT6_jjT7_P12ihipStream_tbENKUlT_T0_SI_SN_E_clISD_PySD_S15_EEDaS11_S12_SI_SN_EUlS11_E_NS1_11comp_targetILNS1_3genE0ELNS1_11target_archE4294967295ELNS1_3gpuE0ELNS1_3repE0EEENS1_47radix_sort_onesweep_sort_config_static_selectorELNS0_4arch9wavefront6targetE1EEEvSI_ ; -- Begin function _ZN7rocprim17ROCPRIM_400000_NS6detail17trampoline_kernelINS0_14default_configENS1_35radix_sort_onesweep_config_selectorIyyEEZZNS1_29radix_sort_onesweep_iterationIS3_Lb0EN6thrust23THRUST_200600_302600_NS6detail15normal_iteratorINS8_10device_ptrIyEEEESD_SD_SD_jNS0_19identity_decomposerENS1_16block_id_wrapperIjLb1EEEEE10hipError_tT1_PNSt15iterator_traitsISI_E10value_typeET2_T3_PNSJ_ISO_E10value_typeET4_T5_PST_SU_PNS1_23onesweep_lookback_stateEbbT6_jjT7_P12ihipStream_tbENKUlT_T0_SI_SN_E_clISD_PySD_S15_EEDaS11_S12_SI_SN_EUlS11_E_NS1_11comp_targetILNS1_3genE0ELNS1_11target_archE4294967295ELNS1_3gpuE0ELNS1_3repE0EEENS1_47radix_sort_onesweep_sort_config_static_selectorELNS0_4arch9wavefront6targetE1EEEvSI_
	.globl	_ZN7rocprim17ROCPRIM_400000_NS6detail17trampoline_kernelINS0_14default_configENS1_35radix_sort_onesweep_config_selectorIyyEEZZNS1_29radix_sort_onesweep_iterationIS3_Lb0EN6thrust23THRUST_200600_302600_NS6detail15normal_iteratorINS8_10device_ptrIyEEEESD_SD_SD_jNS0_19identity_decomposerENS1_16block_id_wrapperIjLb1EEEEE10hipError_tT1_PNSt15iterator_traitsISI_E10value_typeET2_T3_PNSJ_ISO_E10value_typeET4_T5_PST_SU_PNS1_23onesweep_lookback_stateEbbT6_jjT7_P12ihipStream_tbENKUlT_T0_SI_SN_E_clISD_PySD_S15_EEDaS11_S12_SI_SN_EUlS11_E_NS1_11comp_targetILNS1_3genE0ELNS1_11target_archE4294967295ELNS1_3gpuE0ELNS1_3repE0EEENS1_47radix_sort_onesweep_sort_config_static_selectorELNS0_4arch9wavefront6targetE1EEEvSI_
	.p2align	8
	.type	_ZN7rocprim17ROCPRIM_400000_NS6detail17trampoline_kernelINS0_14default_configENS1_35radix_sort_onesweep_config_selectorIyyEEZZNS1_29radix_sort_onesweep_iterationIS3_Lb0EN6thrust23THRUST_200600_302600_NS6detail15normal_iteratorINS8_10device_ptrIyEEEESD_SD_SD_jNS0_19identity_decomposerENS1_16block_id_wrapperIjLb1EEEEE10hipError_tT1_PNSt15iterator_traitsISI_E10value_typeET2_T3_PNSJ_ISO_E10value_typeET4_T5_PST_SU_PNS1_23onesweep_lookback_stateEbbT6_jjT7_P12ihipStream_tbENKUlT_T0_SI_SN_E_clISD_PySD_S15_EEDaS11_S12_SI_SN_EUlS11_E_NS1_11comp_targetILNS1_3genE0ELNS1_11target_archE4294967295ELNS1_3gpuE0ELNS1_3repE0EEENS1_47radix_sort_onesweep_sort_config_static_selectorELNS0_4arch9wavefront6targetE1EEEvSI_,@function
_ZN7rocprim17ROCPRIM_400000_NS6detail17trampoline_kernelINS0_14default_configENS1_35radix_sort_onesweep_config_selectorIyyEEZZNS1_29radix_sort_onesweep_iterationIS3_Lb0EN6thrust23THRUST_200600_302600_NS6detail15normal_iteratorINS8_10device_ptrIyEEEESD_SD_SD_jNS0_19identity_decomposerENS1_16block_id_wrapperIjLb1EEEEE10hipError_tT1_PNSt15iterator_traitsISI_E10value_typeET2_T3_PNSJ_ISO_E10value_typeET4_T5_PST_SU_PNS1_23onesweep_lookback_stateEbbT6_jjT7_P12ihipStream_tbENKUlT_T0_SI_SN_E_clISD_PySD_S15_EEDaS11_S12_SI_SN_EUlS11_E_NS1_11comp_targetILNS1_3genE0ELNS1_11target_archE4294967295ELNS1_3gpuE0ELNS1_3repE0EEENS1_47radix_sort_onesweep_sort_config_static_selectorELNS0_4arch9wavefront6targetE1EEEvSI_: ; @_ZN7rocprim17ROCPRIM_400000_NS6detail17trampoline_kernelINS0_14default_configENS1_35radix_sort_onesweep_config_selectorIyyEEZZNS1_29radix_sort_onesweep_iterationIS3_Lb0EN6thrust23THRUST_200600_302600_NS6detail15normal_iteratorINS8_10device_ptrIyEEEESD_SD_SD_jNS0_19identity_decomposerENS1_16block_id_wrapperIjLb1EEEEE10hipError_tT1_PNSt15iterator_traitsISI_E10value_typeET2_T3_PNSJ_ISO_E10value_typeET4_T5_PST_SU_PNS1_23onesweep_lookback_stateEbbT6_jjT7_P12ihipStream_tbENKUlT_T0_SI_SN_E_clISD_PySD_S15_EEDaS11_S12_SI_SN_EUlS11_E_NS1_11comp_targetILNS1_3genE0ELNS1_11target_archE4294967295ELNS1_3gpuE0ELNS1_3repE0EEENS1_47radix_sort_onesweep_sort_config_static_selectorELNS0_4arch9wavefront6targetE1EEEvSI_
; %bb.0:
	.section	.rodata,"a",@progbits
	.p2align	6, 0x0
	.amdhsa_kernel _ZN7rocprim17ROCPRIM_400000_NS6detail17trampoline_kernelINS0_14default_configENS1_35radix_sort_onesweep_config_selectorIyyEEZZNS1_29radix_sort_onesweep_iterationIS3_Lb0EN6thrust23THRUST_200600_302600_NS6detail15normal_iteratorINS8_10device_ptrIyEEEESD_SD_SD_jNS0_19identity_decomposerENS1_16block_id_wrapperIjLb1EEEEE10hipError_tT1_PNSt15iterator_traitsISI_E10value_typeET2_T3_PNSJ_ISO_E10value_typeET4_T5_PST_SU_PNS1_23onesweep_lookback_stateEbbT6_jjT7_P12ihipStream_tbENKUlT_T0_SI_SN_E_clISD_PySD_S15_EEDaS11_S12_SI_SN_EUlS11_E_NS1_11comp_targetILNS1_3genE0ELNS1_11target_archE4294967295ELNS1_3gpuE0ELNS1_3repE0EEENS1_47radix_sort_onesweep_sort_config_static_selectorELNS0_4arch9wavefront6targetE1EEEvSI_
		.amdhsa_group_segment_fixed_size 0
		.amdhsa_private_segment_fixed_size 0
		.amdhsa_kernarg_size 88
		.amdhsa_user_sgpr_count 2
		.amdhsa_user_sgpr_dispatch_ptr 0
		.amdhsa_user_sgpr_queue_ptr 0
		.amdhsa_user_sgpr_kernarg_segment_ptr 1
		.amdhsa_user_sgpr_dispatch_id 0
		.amdhsa_user_sgpr_kernarg_preload_length 0
		.amdhsa_user_sgpr_kernarg_preload_offset 0
		.amdhsa_user_sgpr_private_segment_size 0
		.amdhsa_uses_dynamic_stack 0
		.amdhsa_enable_private_segment 0
		.amdhsa_system_sgpr_workgroup_id_x 1
		.amdhsa_system_sgpr_workgroup_id_y 0
		.amdhsa_system_sgpr_workgroup_id_z 0
		.amdhsa_system_sgpr_workgroup_info 0
		.amdhsa_system_vgpr_workitem_id 0
		.amdhsa_next_free_vgpr 1
		.amdhsa_next_free_sgpr 0
		.amdhsa_accum_offset 4
		.amdhsa_reserve_vcc 0
		.amdhsa_float_round_mode_32 0
		.amdhsa_float_round_mode_16_64 0
		.amdhsa_float_denorm_mode_32 3
		.amdhsa_float_denorm_mode_16_64 3
		.amdhsa_dx10_clamp 1
		.amdhsa_ieee_mode 1
		.amdhsa_fp16_overflow 0
		.amdhsa_tg_split 0
		.amdhsa_exception_fp_ieee_invalid_op 0
		.amdhsa_exception_fp_denorm_src 0
		.amdhsa_exception_fp_ieee_div_zero 0
		.amdhsa_exception_fp_ieee_overflow 0
		.amdhsa_exception_fp_ieee_underflow 0
		.amdhsa_exception_fp_ieee_inexact 0
		.amdhsa_exception_int_div_zero 0
	.end_amdhsa_kernel
	.section	.text._ZN7rocprim17ROCPRIM_400000_NS6detail17trampoline_kernelINS0_14default_configENS1_35radix_sort_onesweep_config_selectorIyyEEZZNS1_29radix_sort_onesweep_iterationIS3_Lb0EN6thrust23THRUST_200600_302600_NS6detail15normal_iteratorINS8_10device_ptrIyEEEESD_SD_SD_jNS0_19identity_decomposerENS1_16block_id_wrapperIjLb1EEEEE10hipError_tT1_PNSt15iterator_traitsISI_E10value_typeET2_T3_PNSJ_ISO_E10value_typeET4_T5_PST_SU_PNS1_23onesweep_lookback_stateEbbT6_jjT7_P12ihipStream_tbENKUlT_T0_SI_SN_E_clISD_PySD_S15_EEDaS11_S12_SI_SN_EUlS11_E_NS1_11comp_targetILNS1_3genE0ELNS1_11target_archE4294967295ELNS1_3gpuE0ELNS1_3repE0EEENS1_47radix_sort_onesweep_sort_config_static_selectorELNS0_4arch9wavefront6targetE1EEEvSI_,"axG",@progbits,_ZN7rocprim17ROCPRIM_400000_NS6detail17trampoline_kernelINS0_14default_configENS1_35radix_sort_onesweep_config_selectorIyyEEZZNS1_29radix_sort_onesweep_iterationIS3_Lb0EN6thrust23THRUST_200600_302600_NS6detail15normal_iteratorINS8_10device_ptrIyEEEESD_SD_SD_jNS0_19identity_decomposerENS1_16block_id_wrapperIjLb1EEEEE10hipError_tT1_PNSt15iterator_traitsISI_E10value_typeET2_T3_PNSJ_ISO_E10value_typeET4_T5_PST_SU_PNS1_23onesweep_lookback_stateEbbT6_jjT7_P12ihipStream_tbENKUlT_T0_SI_SN_E_clISD_PySD_S15_EEDaS11_S12_SI_SN_EUlS11_E_NS1_11comp_targetILNS1_3genE0ELNS1_11target_archE4294967295ELNS1_3gpuE0ELNS1_3repE0EEENS1_47radix_sort_onesweep_sort_config_static_selectorELNS0_4arch9wavefront6targetE1EEEvSI_,comdat
.Lfunc_end537:
	.size	_ZN7rocprim17ROCPRIM_400000_NS6detail17trampoline_kernelINS0_14default_configENS1_35radix_sort_onesweep_config_selectorIyyEEZZNS1_29radix_sort_onesweep_iterationIS3_Lb0EN6thrust23THRUST_200600_302600_NS6detail15normal_iteratorINS8_10device_ptrIyEEEESD_SD_SD_jNS0_19identity_decomposerENS1_16block_id_wrapperIjLb1EEEEE10hipError_tT1_PNSt15iterator_traitsISI_E10value_typeET2_T3_PNSJ_ISO_E10value_typeET4_T5_PST_SU_PNS1_23onesweep_lookback_stateEbbT6_jjT7_P12ihipStream_tbENKUlT_T0_SI_SN_E_clISD_PySD_S15_EEDaS11_S12_SI_SN_EUlS11_E_NS1_11comp_targetILNS1_3genE0ELNS1_11target_archE4294967295ELNS1_3gpuE0ELNS1_3repE0EEENS1_47radix_sort_onesweep_sort_config_static_selectorELNS0_4arch9wavefront6targetE1EEEvSI_, .Lfunc_end537-_ZN7rocprim17ROCPRIM_400000_NS6detail17trampoline_kernelINS0_14default_configENS1_35radix_sort_onesweep_config_selectorIyyEEZZNS1_29radix_sort_onesweep_iterationIS3_Lb0EN6thrust23THRUST_200600_302600_NS6detail15normal_iteratorINS8_10device_ptrIyEEEESD_SD_SD_jNS0_19identity_decomposerENS1_16block_id_wrapperIjLb1EEEEE10hipError_tT1_PNSt15iterator_traitsISI_E10value_typeET2_T3_PNSJ_ISO_E10value_typeET4_T5_PST_SU_PNS1_23onesweep_lookback_stateEbbT6_jjT7_P12ihipStream_tbENKUlT_T0_SI_SN_E_clISD_PySD_S15_EEDaS11_S12_SI_SN_EUlS11_E_NS1_11comp_targetILNS1_3genE0ELNS1_11target_archE4294967295ELNS1_3gpuE0ELNS1_3repE0EEENS1_47radix_sort_onesweep_sort_config_static_selectorELNS0_4arch9wavefront6targetE1EEEvSI_
                                        ; -- End function
	.set _ZN7rocprim17ROCPRIM_400000_NS6detail17trampoline_kernelINS0_14default_configENS1_35radix_sort_onesweep_config_selectorIyyEEZZNS1_29radix_sort_onesweep_iterationIS3_Lb0EN6thrust23THRUST_200600_302600_NS6detail15normal_iteratorINS8_10device_ptrIyEEEESD_SD_SD_jNS0_19identity_decomposerENS1_16block_id_wrapperIjLb1EEEEE10hipError_tT1_PNSt15iterator_traitsISI_E10value_typeET2_T3_PNSJ_ISO_E10value_typeET4_T5_PST_SU_PNS1_23onesweep_lookback_stateEbbT6_jjT7_P12ihipStream_tbENKUlT_T0_SI_SN_E_clISD_PySD_S15_EEDaS11_S12_SI_SN_EUlS11_E_NS1_11comp_targetILNS1_3genE0ELNS1_11target_archE4294967295ELNS1_3gpuE0ELNS1_3repE0EEENS1_47radix_sort_onesweep_sort_config_static_selectorELNS0_4arch9wavefront6targetE1EEEvSI_.num_vgpr, 0
	.set _ZN7rocprim17ROCPRIM_400000_NS6detail17trampoline_kernelINS0_14default_configENS1_35radix_sort_onesweep_config_selectorIyyEEZZNS1_29radix_sort_onesweep_iterationIS3_Lb0EN6thrust23THRUST_200600_302600_NS6detail15normal_iteratorINS8_10device_ptrIyEEEESD_SD_SD_jNS0_19identity_decomposerENS1_16block_id_wrapperIjLb1EEEEE10hipError_tT1_PNSt15iterator_traitsISI_E10value_typeET2_T3_PNSJ_ISO_E10value_typeET4_T5_PST_SU_PNS1_23onesweep_lookback_stateEbbT6_jjT7_P12ihipStream_tbENKUlT_T0_SI_SN_E_clISD_PySD_S15_EEDaS11_S12_SI_SN_EUlS11_E_NS1_11comp_targetILNS1_3genE0ELNS1_11target_archE4294967295ELNS1_3gpuE0ELNS1_3repE0EEENS1_47radix_sort_onesweep_sort_config_static_selectorELNS0_4arch9wavefront6targetE1EEEvSI_.num_agpr, 0
	.set _ZN7rocprim17ROCPRIM_400000_NS6detail17trampoline_kernelINS0_14default_configENS1_35radix_sort_onesweep_config_selectorIyyEEZZNS1_29radix_sort_onesweep_iterationIS3_Lb0EN6thrust23THRUST_200600_302600_NS6detail15normal_iteratorINS8_10device_ptrIyEEEESD_SD_SD_jNS0_19identity_decomposerENS1_16block_id_wrapperIjLb1EEEEE10hipError_tT1_PNSt15iterator_traitsISI_E10value_typeET2_T3_PNSJ_ISO_E10value_typeET4_T5_PST_SU_PNS1_23onesweep_lookback_stateEbbT6_jjT7_P12ihipStream_tbENKUlT_T0_SI_SN_E_clISD_PySD_S15_EEDaS11_S12_SI_SN_EUlS11_E_NS1_11comp_targetILNS1_3genE0ELNS1_11target_archE4294967295ELNS1_3gpuE0ELNS1_3repE0EEENS1_47radix_sort_onesweep_sort_config_static_selectorELNS0_4arch9wavefront6targetE1EEEvSI_.numbered_sgpr, 0
	.set _ZN7rocprim17ROCPRIM_400000_NS6detail17trampoline_kernelINS0_14default_configENS1_35radix_sort_onesweep_config_selectorIyyEEZZNS1_29radix_sort_onesweep_iterationIS3_Lb0EN6thrust23THRUST_200600_302600_NS6detail15normal_iteratorINS8_10device_ptrIyEEEESD_SD_SD_jNS0_19identity_decomposerENS1_16block_id_wrapperIjLb1EEEEE10hipError_tT1_PNSt15iterator_traitsISI_E10value_typeET2_T3_PNSJ_ISO_E10value_typeET4_T5_PST_SU_PNS1_23onesweep_lookback_stateEbbT6_jjT7_P12ihipStream_tbENKUlT_T0_SI_SN_E_clISD_PySD_S15_EEDaS11_S12_SI_SN_EUlS11_E_NS1_11comp_targetILNS1_3genE0ELNS1_11target_archE4294967295ELNS1_3gpuE0ELNS1_3repE0EEENS1_47radix_sort_onesweep_sort_config_static_selectorELNS0_4arch9wavefront6targetE1EEEvSI_.num_named_barrier, 0
	.set _ZN7rocprim17ROCPRIM_400000_NS6detail17trampoline_kernelINS0_14default_configENS1_35radix_sort_onesweep_config_selectorIyyEEZZNS1_29radix_sort_onesweep_iterationIS3_Lb0EN6thrust23THRUST_200600_302600_NS6detail15normal_iteratorINS8_10device_ptrIyEEEESD_SD_SD_jNS0_19identity_decomposerENS1_16block_id_wrapperIjLb1EEEEE10hipError_tT1_PNSt15iterator_traitsISI_E10value_typeET2_T3_PNSJ_ISO_E10value_typeET4_T5_PST_SU_PNS1_23onesweep_lookback_stateEbbT6_jjT7_P12ihipStream_tbENKUlT_T0_SI_SN_E_clISD_PySD_S15_EEDaS11_S12_SI_SN_EUlS11_E_NS1_11comp_targetILNS1_3genE0ELNS1_11target_archE4294967295ELNS1_3gpuE0ELNS1_3repE0EEENS1_47radix_sort_onesweep_sort_config_static_selectorELNS0_4arch9wavefront6targetE1EEEvSI_.private_seg_size, 0
	.set _ZN7rocprim17ROCPRIM_400000_NS6detail17trampoline_kernelINS0_14default_configENS1_35radix_sort_onesweep_config_selectorIyyEEZZNS1_29radix_sort_onesweep_iterationIS3_Lb0EN6thrust23THRUST_200600_302600_NS6detail15normal_iteratorINS8_10device_ptrIyEEEESD_SD_SD_jNS0_19identity_decomposerENS1_16block_id_wrapperIjLb1EEEEE10hipError_tT1_PNSt15iterator_traitsISI_E10value_typeET2_T3_PNSJ_ISO_E10value_typeET4_T5_PST_SU_PNS1_23onesweep_lookback_stateEbbT6_jjT7_P12ihipStream_tbENKUlT_T0_SI_SN_E_clISD_PySD_S15_EEDaS11_S12_SI_SN_EUlS11_E_NS1_11comp_targetILNS1_3genE0ELNS1_11target_archE4294967295ELNS1_3gpuE0ELNS1_3repE0EEENS1_47radix_sort_onesweep_sort_config_static_selectorELNS0_4arch9wavefront6targetE1EEEvSI_.uses_vcc, 0
	.set _ZN7rocprim17ROCPRIM_400000_NS6detail17trampoline_kernelINS0_14default_configENS1_35radix_sort_onesweep_config_selectorIyyEEZZNS1_29radix_sort_onesweep_iterationIS3_Lb0EN6thrust23THRUST_200600_302600_NS6detail15normal_iteratorINS8_10device_ptrIyEEEESD_SD_SD_jNS0_19identity_decomposerENS1_16block_id_wrapperIjLb1EEEEE10hipError_tT1_PNSt15iterator_traitsISI_E10value_typeET2_T3_PNSJ_ISO_E10value_typeET4_T5_PST_SU_PNS1_23onesweep_lookback_stateEbbT6_jjT7_P12ihipStream_tbENKUlT_T0_SI_SN_E_clISD_PySD_S15_EEDaS11_S12_SI_SN_EUlS11_E_NS1_11comp_targetILNS1_3genE0ELNS1_11target_archE4294967295ELNS1_3gpuE0ELNS1_3repE0EEENS1_47radix_sort_onesweep_sort_config_static_selectorELNS0_4arch9wavefront6targetE1EEEvSI_.uses_flat_scratch, 0
	.set _ZN7rocprim17ROCPRIM_400000_NS6detail17trampoline_kernelINS0_14default_configENS1_35radix_sort_onesweep_config_selectorIyyEEZZNS1_29radix_sort_onesweep_iterationIS3_Lb0EN6thrust23THRUST_200600_302600_NS6detail15normal_iteratorINS8_10device_ptrIyEEEESD_SD_SD_jNS0_19identity_decomposerENS1_16block_id_wrapperIjLb1EEEEE10hipError_tT1_PNSt15iterator_traitsISI_E10value_typeET2_T3_PNSJ_ISO_E10value_typeET4_T5_PST_SU_PNS1_23onesweep_lookback_stateEbbT6_jjT7_P12ihipStream_tbENKUlT_T0_SI_SN_E_clISD_PySD_S15_EEDaS11_S12_SI_SN_EUlS11_E_NS1_11comp_targetILNS1_3genE0ELNS1_11target_archE4294967295ELNS1_3gpuE0ELNS1_3repE0EEENS1_47radix_sort_onesweep_sort_config_static_selectorELNS0_4arch9wavefront6targetE1EEEvSI_.has_dyn_sized_stack, 0
	.set _ZN7rocprim17ROCPRIM_400000_NS6detail17trampoline_kernelINS0_14default_configENS1_35radix_sort_onesweep_config_selectorIyyEEZZNS1_29radix_sort_onesweep_iterationIS3_Lb0EN6thrust23THRUST_200600_302600_NS6detail15normal_iteratorINS8_10device_ptrIyEEEESD_SD_SD_jNS0_19identity_decomposerENS1_16block_id_wrapperIjLb1EEEEE10hipError_tT1_PNSt15iterator_traitsISI_E10value_typeET2_T3_PNSJ_ISO_E10value_typeET4_T5_PST_SU_PNS1_23onesweep_lookback_stateEbbT6_jjT7_P12ihipStream_tbENKUlT_T0_SI_SN_E_clISD_PySD_S15_EEDaS11_S12_SI_SN_EUlS11_E_NS1_11comp_targetILNS1_3genE0ELNS1_11target_archE4294967295ELNS1_3gpuE0ELNS1_3repE0EEENS1_47radix_sort_onesweep_sort_config_static_selectorELNS0_4arch9wavefront6targetE1EEEvSI_.has_recursion, 0
	.set _ZN7rocprim17ROCPRIM_400000_NS6detail17trampoline_kernelINS0_14default_configENS1_35radix_sort_onesweep_config_selectorIyyEEZZNS1_29radix_sort_onesweep_iterationIS3_Lb0EN6thrust23THRUST_200600_302600_NS6detail15normal_iteratorINS8_10device_ptrIyEEEESD_SD_SD_jNS0_19identity_decomposerENS1_16block_id_wrapperIjLb1EEEEE10hipError_tT1_PNSt15iterator_traitsISI_E10value_typeET2_T3_PNSJ_ISO_E10value_typeET4_T5_PST_SU_PNS1_23onesweep_lookback_stateEbbT6_jjT7_P12ihipStream_tbENKUlT_T0_SI_SN_E_clISD_PySD_S15_EEDaS11_S12_SI_SN_EUlS11_E_NS1_11comp_targetILNS1_3genE0ELNS1_11target_archE4294967295ELNS1_3gpuE0ELNS1_3repE0EEENS1_47radix_sort_onesweep_sort_config_static_selectorELNS0_4arch9wavefront6targetE1EEEvSI_.has_indirect_call, 0
	.section	.AMDGPU.csdata,"",@progbits
; Kernel info:
; codeLenInByte = 0
; TotalNumSgprs: 6
; NumVgprs: 0
; NumAgprs: 0
; TotalNumVgprs: 0
; ScratchSize: 0
; MemoryBound: 0
; FloatMode: 240
; IeeeMode: 1
; LDSByteSize: 0 bytes/workgroup (compile time only)
; SGPRBlocks: 0
; VGPRBlocks: 0
; NumSGPRsForWavesPerEU: 6
; NumVGPRsForWavesPerEU: 1
; AccumOffset: 4
; Occupancy: 8
; WaveLimiterHint : 0
; COMPUTE_PGM_RSRC2:SCRATCH_EN: 0
; COMPUTE_PGM_RSRC2:USER_SGPR: 2
; COMPUTE_PGM_RSRC2:TRAP_HANDLER: 0
; COMPUTE_PGM_RSRC2:TGID_X_EN: 1
; COMPUTE_PGM_RSRC2:TGID_Y_EN: 0
; COMPUTE_PGM_RSRC2:TGID_Z_EN: 0
; COMPUTE_PGM_RSRC2:TIDIG_COMP_CNT: 0
; COMPUTE_PGM_RSRC3_GFX90A:ACCUM_OFFSET: 0
; COMPUTE_PGM_RSRC3_GFX90A:TG_SPLIT: 0
	.section	.text._ZN7rocprim17ROCPRIM_400000_NS6detail17trampoline_kernelINS0_14default_configENS1_35radix_sort_onesweep_config_selectorIyyEEZZNS1_29radix_sort_onesweep_iterationIS3_Lb0EN6thrust23THRUST_200600_302600_NS6detail15normal_iteratorINS8_10device_ptrIyEEEESD_SD_SD_jNS0_19identity_decomposerENS1_16block_id_wrapperIjLb1EEEEE10hipError_tT1_PNSt15iterator_traitsISI_E10value_typeET2_T3_PNSJ_ISO_E10value_typeET4_T5_PST_SU_PNS1_23onesweep_lookback_stateEbbT6_jjT7_P12ihipStream_tbENKUlT_T0_SI_SN_E_clISD_PySD_S15_EEDaS11_S12_SI_SN_EUlS11_E_NS1_11comp_targetILNS1_3genE6ELNS1_11target_archE950ELNS1_3gpuE13ELNS1_3repE0EEENS1_47radix_sort_onesweep_sort_config_static_selectorELNS0_4arch9wavefront6targetE1EEEvSI_,"axG",@progbits,_ZN7rocprim17ROCPRIM_400000_NS6detail17trampoline_kernelINS0_14default_configENS1_35radix_sort_onesweep_config_selectorIyyEEZZNS1_29radix_sort_onesweep_iterationIS3_Lb0EN6thrust23THRUST_200600_302600_NS6detail15normal_iteratorINS8_10device_ptrIyEEEESD_SD_SD_jNS0_19identity_decomposerENS1_16block_id_wrapperIjLb1EEEEE10hipError_tT1_PNSt15iterator_traitsISI_E10value_typeET2_T3_PNSJ_ISO_E10value_typeET4_T5_PST_SU_PNS1_23onesweep_lookback_stateEbbT6_jjT7_P12ihipStream_tbENKUlT_T0_SI_SN_E_clISD_PySD_S15_EEDaS11_S12_SI_SN_EUlS11_E_NS1_11comp_targetILNS1_3genE6ELNS1_11target_archE950ELNS1_3gpuE13ELNS1_3repE0EEENS1_47radix_sort_onesweep_sort_config_static_selectorELNS0_4arch9wavefront6targetE1EEEvSI_,comdat
	.protected	_ZN7rocprim17ROCPRIM_400000_NS6detail17trampoline_kernelINS0_14default_configENS1_35radix_sort_onesweep_config_selectorIyyEEZZNS1_29radix_sort_onesweep_iterationIS3_Lb0EN6thrust23THRUST_200600_302600_NS6detail15normal_iteratorINS8_10device_ptrIyEEEESD_SD_SD_jNS0_19identity_decomposerENS1_16block_id_wrapperIjLb1EEEEE10hipError_tT1_PNSt15iterator_traitsISI_E10value_typeET2_T3_PNSJ_ISO_E10value_typeET4_T5_PST_SU_PNS1_23onesweep_lookback_stateEbbT6_jjT7_P12ihipStream_tbENKUlT_T0_SI_SN_E_clISD_PySD_S15_EEDaS11_S12_SI_SN_EUlS11_E_NS1_11comp_targetILNS1_3genE6ELNS1_11target_archE950ELNS1_3gpuE13ELNS1_3repE0EEENS1_47radix_sort_onesweep_sort_config_static_selectorELNS0_4arch9wavefront6targetE1EEEvSI_ ; -- Begin function _ZN7rocprim17ROCPRIM_400000_NS6detail17trampoline_kernelINS0_14default_configENS1_35radix_sort_onesweep_config_selectorIyyEEZZNS1_29radix_sort_onesweep_iterationIS3_Lb0EN6thrust23THRUST_200600_302600_NS6detail15normal_iteratorINS8_10device_ptrIyEEEESD_SD_SD_jNS0_19identity_decomposerENS1_16block_id_wrapperIjLb1EEEEE10hipError_tT1_PNSt15iterator_traitsISI_E10value_typeET2_T3_PNSJ_ISO_E10value_typeET4_T5_PST_SU_PNS1_23onesweep_lookback_stateEbbT6_jjT7_P12ihipStream_tbENKUlT_T0_SI_SN_E_clISD_PySD_S15_EEDaS11_S12_SI_SN_EUlS11_E_NS1_11comp_targetILNS1_3genE6ELNS1_11target_archE950ELNS1_3gpuE13ELNS1_3repE0EEENS1_47radix_sort_onesweep_sort_config_static_selectorELNS0_4arch9wavefront6targetE1EEEvSI_
	.globl	_ZN7rocprim17ROCPRIM_400000_NS6detail17trampoline_kernelINS0_14default_configENS1_35radix_sort_onesweep_config_selectorIyyEEZZNS1_29radix_sort_onesweep_iterationIS3_Lb0EN6thrust23THRUST_200600_302600_NS6detail15normal_iteratorINS8_10device_ptrIyEEEESD_SD_SD_jNS0_19identity_decomposerENS1_16block_id_wrapperIjLb1EEEEE10hipError_tT1_PNSt15iterator_traitsISI_E10value_typeET2_T3_PNSJ_ISO_E10value_typeET4_T5_PST_SU_PNS1_23onesweep_lookback_stateEbbT6_jjT7_P12ihipStream_tbENKUlT_T0_SI_SN_E_clISD_PySD_S15_EEDaS11_S12_SI_SN_EUlS11_E_NS1_11comp_targetILNS1_3genE6ELNS1_11target_archE950ELNS1_3gpuE13ELNS1_3repE0EEENS1_47radix_sort_onesweep_sort_config_static_selectorELNS0_4arch9wavefront6targetE1EEEvSI_
	.p2align	8
	.type	_ZN7rocprim17ROCPRIM_400000_NS6detail17trampoline_kernelINS0_14default_configENS1_35radix_sort_onesweep_config_selectorIyyEEZZNS1_29radix_sort_onesweep_iterationIS3_Lb0EN6thrust23THRUST_200600_302600_NS6detail15normal_iteratorINS8_10device_ptrIyEEEESD_SD_SD_jNS0_19identity_decomposerENS1_16block_id_wrapperIjLb1EEEEE10hipError_tT1_PNSt15iterator_traitsISI_E10value_typeET2_T3_PNSJ_ISO_E10value_typeET4_T5_PST_SU_PNS1_23onesweep_lookback_stateEbbT6_jjT7_P12ihipStream_tbENKUlT_T0_SI_SN_E_clISD_PySD_S15_EEDaS11_S12_SI_SN_EUlS11_E_NS1_11comp_targetILNS1_3genE6ELNS1_11target_archE950ELNS1_3gpuE13ELNS1_3repE0EEENS1_47radix_sort_onesweep_sort_config_static_selectorELNS0_4arch9wavefront6targetE1EEEvSI_,@function
_ZN7rocprim17ROCPRIM_400000_NS6detail17trampoline_kernelINS0_14default_configENS1_35radix_sort_onesweep_config_selectorIyyEEZZNS1_29radix_sort_onesweep_iterationIS3_Lb0EN6thrust23THRUST_200600_302600_NS6detail15normal_iteratorINS8_10device_ptrIyEEEESD_SD_SD_jNS0_19identity_decomposerENS1_16block_id_wrapperIjLb1EEEEE10hipError_tT1_PNSt15iterator_traitsISI_E10value_typeET2_T3_PNSJ_ISO_E10value_typeET4_T5_PST_SU_PNS1_23onesweep_lookback_stateEbbT6_jjT7_P12ihipStream_tbENKUlT_T0_SI_SN_E_clISD_PySD_S15_EEDaS11_S12_SI_SN_EUlS11_E_NS1_11comp_targetILNS1_3genE6ELNS1_11target_archE950ELNS1_3gpuE13ELNS1_3repE0EEENS1_47radix_sort_onesweep_sort_config_static_selectorELNS0_4arch9wavefront6targetE1EEEvSI_: ; @_ZN7rocprim17ROCPRIM_400000_NS6detail17trampoline_kernelINS0_14default_configENS1_35radix_sort_onesweep_config_selectorIyyEEZZNS1_29radix_sort_onesweep_iterationIS3_Lb0EN6thrust23THRUST_200600_302600_NS6detail15normal_iteratorINS8_10device_ptrIyEEEESD_SD_SD_jNS0_19identity_decomposerENS1_16block_id_wrapperIjLb1EEEEE10hipError_tT1_PNSt15iterator_traitsISI_E10value_typeET2_T3_PNSJ_ISO_E10value_typeET4_T5_PST_SU_PNS1_23onesweep_lookback_stateEbbT6_jjT7_P12ihipStream_tbENKUlT_T0_SI_SN_E_clISD_PySD_S15_EEDaS11_S12_SI_SN_EUlS11_E_NS1_11comp_targetILNS1_3genE6ELNS1_11target_archE950ELNS1_3gpuE13ELNS1_3repE0EEENS1_47radix_sort_onesweep_sort_config_static_selectorELNS0_4arch9wavefront6targetE1EEEvSI_
; %bb.0:
	s_load_dwordx4 s[48:51], s[2:3], 0x28
	s_load_dwordx2 s[56:57], s[2:3], 0x38
	s_load_dwordx4 s[52:55], s[2:3], 0x44
	v_and_b32_e32 v2, 0x3ff, v0
	v_cmp_eq_u32_e64 s[18:19], 0, v2
	s_and_saveexec_b64 s[6:7], s[18:19]
	s_cbranch_execz .LBB538_4
; %bb.1:
	s_mov_b64 s[10:11], exec
	v_mbcnt_lo_u32_b32 v1, s10, 0
	v_mbcnt_hi_u32_b32 v1, s11, v1
	v_cmp_eq_u32_e32 vcc, 0, v1
                                        ; implicit-def: $vgpr3
	s_and_saveexec_b64 s[8:9], vcc
	s_cbranch_execz .LBB538_3
; %bb.2:
	s_load_dwordx2 s[12:13], s[2:3], 0x50
	s_bcnt1_i32_b64 s5, s[10:11]
	v_mov_b32_e32 v3, 0
	v_mov_b32_e32 v4, s5
	s_waitcnt lgkmcnt(0)
	global_atomic_add v3, v3, v4, s[12:13] sc0
.LBB538_3:
	s_or_b64 exec, exec, s[8:9]
	s_waitcnt vmcnt(0)
	v_readfirstlane_b32 s5, v3
	v_mov_b32_e32 v3, 0
	s_nop 0
	v_add_u32_e32 v1, s5, v1
	ds_write_b32 v3, v1 offset:20544
.LBB538_4:
	s_or_b64 exec, exec, s[6:7]
	v_mov_b32_e32 v1, 0
	s_load_dwordx8 s[40:47], s[2:3], 0x0
	s_load_dword s5, s[2:3], 0x20
	s_waitcnt lgkmcnt(0)
	s_barrier
	ds_read_b32 v4, v1 offset:20544
	v_bfe_u32 v3, v0, 10, 10
	v_bfe_u32 v28, v0, 20, 10
	s_mov_b64 s[6:7], -1
	v_mbcnt_lo_u32_b32 v30, -1, 0
	s_waitcnt lgkmcnt(0)
	v_cmp_le_u32_e32 vcc, s54, v4
	v_readfirstlane_b32 s33, v4
	v_lshlrev_b32_e32 v29, 3, v2
	s_barrier
	s_cbranch_vccz .LBB538_120
; %bb.5:
	s_lshl_b32 s6, s54, 13
	s_sub_i32 s5, s5, s6
	s_lshl_b32 s6, s33, 13
	s_mov_b32 s7, 0
	s_lshl_b64 s[54:55], s[6:7], 3
	v_mbcnt_hi_u32_b32 v26, -1, v30
	s_add_u32 s6, s40, s54
	v_and_b32_e32 v8, 63, v26
	s_addc_u32 s7, s41, s55
	v_and_b32_e32 v9, 0x1e00, v29
	v_lshlrev_b32_e32 v0, 3, v8
	v_lshl_add_u64 v[6:7], s[6:7], 0, v[0:1]
	v_lshlrev_b32_e32 v4, 3, v9
	v_mov_b32_e32 v5, v1
	v_or_b32_e32 v1, v8, v9
	v_lshl_add_u64 v[22:23], v[6:7], 0, v[4:5]
	v_cmp_gt_u32_e32 vcc, s5, v1
	v_mov_b64_e32 v[6:7], -1
	v_mov_b64_e32 v[8:9], -1
	s_and_saveexec_b64 s[6:7], vcc
	s_cbranch_execz .LBB538_7
; %bb.6:
	global_load_dwordx2 v[8:9], v[22:23], off
.LBB538_7:
	s_or_b64 exec, exec, s[6:7]
	v_or_b32_e32 v5, 64, v1
	v_cmp_gt_u32_e64 s[28:29], s5, v5
	s_and_saveexec_b64 s[6:7], s[28:29]
	s_cbranch_execz .LBB538_9
; %bb.8:
	global_load_dwordx2 v[6:7], v[22:23], off offset:512
.LBB538_9:
	s_or_b64 exec, exec, s[6:7]
	v_or_b32_e32 v5, 0x80, v1
	v_cmp_gt_u32_e64 s[6:7], s5, v5
	v_mov_b64_e32 v[10:11], -1
	v_mov_b64_e32 v[12:13], -1
	s_and_saveexec_b64 s[8:9], s[6:7]
	s_cbranch_execz .LBB538_11
; %bb.10:
	global_load_dwordx2 v[12:13], v[22:23], off offset:1024
.LBB538_11:
	s_or_b64 exec, exec, s[8:9]
	v_or_b32_e32 v5, 0xc0, v1
	v_cmp_gt_u32_e64 s[8:9], s5, v5
	s_and_saveexec_b64 s[10:11], s[8:9]
	s_cbranch_execz .LBB538_13
; %bb.12:
	global_load_dwordx2 v[10:11], v[22:23], off offset:1536
.LBB538_13:
	s_or_b64 exec, exec, s[10:11]
	v_or_b32_e32 v5, 0x100, v1
	v_cmp_gt_u32_e64 s[10:11], s5, v5
	v_mov_b64_e32 v[14:15], -1
	v_mov_b64_e32 v[16:17], -1
	s_and_saveexec_b64 s[12:13], s[10:11]
	s_cbranch_execz .LBB538_15
; %bb.14:
	global_load_dwordx2 v[16:17], v[22:23], off offset:2048
.LBB538_15:
	;; [unrolled: 18-line block ×3, first 2 shown]
	s_or_b64 exec, exec, s[16:17]
	v_or_b32_e32 v1, 0x1c0, v1
	v_cmp_gt_u32_e64 s[16:17], s5, v1
	s_and_saveexec_b64 s[20:21], s[16:17]
	s_cbranch_execz .LBB538_21
; %bb.20:
	global_load_dwordx2 v[18:19], v[22:23], off offset:3584
.LBB538_21:
	s_or_b64 exec, exec, s[20:21]
	s_load_dword s20, s[2:3], 0x64
	s_load_dword s58, s[2:3], 0x58
	s_add_u32 s21, s2, 0x58
	s_addc_u32 s22, s3, 0
	v_mov_b32_e32 v23, 0
	s_waitcnt lgkmcnt(0)
	s_lshr_b32 s23, s20, 16
	s_cmp_lt_u32 s4, s58
	s_cselect_b32 s20, 12, 18
	s_add_u32 s20, s21, s20
	s_addc_u32 s21, s22, 0
	global_load_ushort v1, v23, s[20:21]
	s_waitcnt vmcnt(1)
	v_lshrrev_b64 v[24:25], s52, v[8:9]
	s_lshl_b32 s20, -1, s53
	v_bitop3_b32 v24, v24, s20, v24 bitop3:0x30
	s_movk_i32 s60, 0x44
	v_and_b32_e32 v22, 1, v24
	v_lshlrev_b32_e32 v33, 30, v24
	v_mov_b32_e32 v32, v23
	s_not_b32 s59, s20
	v_mul_lo_u32 v46, v24, s60
	v_lshlrev_b32_e32 v35, 29, v24
	v_lshlrev_b32_e32 v37, 28, v24
	;; [unrolled: 1-line block ×6, first 2 shown]
	v_lshl_add_u64 v[24:25], v[22:23], 0, -1
	v_cmp_ne_u32_e64 s[20:21], 0, v22
	v_not_b32_e32 v22, v33
	v_mov_b32_e32 v34, v23
	v_mov_b32_e32 v36, v23
	v_mad_u32_u24 v27, v28, s23, v3
	v_cmp_gt_i64_e64 s[22:23], 0, v[32:33]
	v_not_b32_e32 v31, v35
	v_xor_b32_e32 v25, s21, v25
	v_ashrrev_i32_e32 v22, 31, v22
	v_cmp_gt_i64_e64 s[24:25], 0, v[34:35]
	v_cmp_gt_i64_e64 s[26:27], 0, v[36:37]
	v_not_b32_e32 v32, v37
	v_xor_b32_e32 v24, s20, v24
	v_ashrrev_i32_e32 v31, 31, v31
	v_and_b32_e32 v25, exec_hi, v25
	v_xor_b32_e32 v36, s23, v22
	v_mov_b32_e32 v38, v23
	v_not_b32_e32 v33, v39
	v_ashrrev_i32_e32 v32, 31, v32
	v_and_b32_e32 v24, exec_lo, v24
	v_xor_b32_e32 v22, s22, v22
	v_xor_b32_e32 v37, s25, v31
	v_and_b32_e32 v25, v25, v36
	v_mov_b32_e32 v40, v23
	v_cmp_gt_i64_e64 s[30:31], 0, v[38:39]
	v_not_b32_e32 v34, v41
	v_ashrrev_i32_e32 v33, 31, v33
	v_xor_b32_e32 v38, s27, v32
	v_and_b32_e32 v22, v24, v22
	v_and_b32_e32 v24, v25, v37
	v_mov_b32_e32 v42, v23
	v_cmp_gt_i64_e64 s[34:35], 0, v[40:41]
	v_not_b32_e32 v35, v43
	v_ashrrev_i32_e32 v34, 31, v34
	v_xor_b32_e32 v39, s31, v33
	v_and_b32_e32 v24, v24, v38
	v_cmp_gt_i64_e64 s[36:37], 0, v[42:43]
	v_ashrrev_i32_e32 v35, 31, v35
	v_xor_b32_e32 v40, s35, v34
	v_and_b32_e32 v24, v24, v39
	v_xor_b32_e32 v31, s24, v31
	v_xor_b32_e32 v41, s37, v35
	v_and_b32_e32 v24, v24, v40
	v_xor_b32_e32 v32, s26, v32
	v_and_b32_e32 v22, v22, v31
	v_and_b32_e32 v31, v24, v41
	v_xor_b32_e32 v33, s30, v33
	v_and_b32_e32 v22, v22, v32
	v_mov_b32_e32 v44, v23
	v_xor_b32_e32 v34, s34, v34
	v_and_b32_e32 v22, v22, v33
	v_cmp_gt_i64_e64 s[38:39], 0, v[44:45]
	v_xor_b32_e32 v35, s36, v35
	v_and_b32_e32 v22, v22, v34
	v_and_b32_e32 v22, v22, v35
	v_mul_u32_u24_e32 v5, 20, v2
	ds_write2_b32 v5, v23, v23 offset0:16 offset1:17
	ds_write2_b32 v5, v23, v23 offset0:18 offset1:19
	ds_write_b32 v5, v23 offset:80
	s_waitcnt lgkmcnt(0)
	s_barrier
	s_waitcnt vmcnt(0)
	; wave barrier
	v_mad_u64_u32 v[24:25], s[20:21], v27, v1, v[2:3]
	v_lshrrev_b32_e32 v1, 4, v24
	v_and_b32_e32 v40, 0xffffffc, v1
	v_not_b32_e32 v1, v45
	v_ashrrev_i32_e32 v1, 31, v1
	v_xor_b32_e32 v24, s39, v1
	v_xor_b32_e32 v1, s38, v1
	v_and_b32_e32 v25, v31, v24
	v_and_b32_e32 v24, v22, v1
	v_mbcnt_lo_u32_b32 v1, v24, 0
	v_mbcnt_hi_u32_b32 v31, v25, v1
	v_cmp_eq_u32_e64 s[20:21], 0, v31
	v_cmp_ne_u64_e64 s[22:23], 0, v[24:25]
	s_and_b64 s[22:23], s[22:23], s[20:21]
	v_add_u32_e32 v27, v40, v46
	s_and_saveexec_b64 s[20:21], s[22:23]
; %bb.22:
	v_bcnt_u32_b32 v1, v24, 0
	v_bcnt_u32_b32 v1, v25, v1
	ds_write_b32 v27, v1 offset:64
; %bb.23:
	s_or_b64 exec, exec, s[20:21]
	v_lshrrev_b64 v[24:25], s52, v[6:7]
	v_and_b32_e32 v32, s59, v24
	v_and_b32_e32 v22, 1, v32
	v_lshl_add_u64 v[24:25], v[22:23], 0, -1
	v_cmp_ne_u32_e64 s[20:21], 0, v22
	v_mul_lo_u32 v1, v32, s60
	v_add_u32_e32 v34, v40, v1
	v_xor_b32_e32 v24, s20, v24
	v_xor_b32_e32 v22, s21, v25
	v_and_b32_e32 v33, exec_lo, v24
	v_lshlrev_b32_e32 v25, 30, v32
	v_mov_b32_e32 v24, v23
	v_cmp_gt_i64_e64 s[20:21], 0, v[24:25]
	v_not_b32_e32 v24, v25
	v_ashrrev_i32_e32 v24, 31, v24
	v_and_b32_e32 v22, exec_hi, v22
	v_xor_b32_e32 v25, s21, v24
	v_xor_b32_e32 v24, s20, v24
	v_and_b32_e32 v22, v22, v25
	v_and_b32_e32 v33, v33, v24
	v_lshlrev_b32_e32 v25, 29, v32
	v_mov_b32_e32 v24, v23
	v_cmp_gt_i64_e64 s[20:21], 0, v[24:25]
	v_not_b32_e32 v24, v25
	v_ashrrev_i32_e32 v24, 31, v24
	v_xor_b32_e32 v25, s21, v24
	v_xor_b32_e32 v24, s20, v24
	v_and_b32_e32 v22, v22, v25
	v_and_b32_e32 v33, v33, v24
	v_lshlrev_b32_e32 v25, 28, v32
	v_mov_b32_e32 v24, v23
	v_cmp_gt_i64_e64 s[20:21], 0, v[24:25]
	v_not_b32_e32 v24, v25
	v_ashrrev_i32_e32 v24, 31, v24
	;; [unrolled: 9-line block ×5, first 2 shown]
	v_xor_b32_e32 v25, s21, v24
	v_xor_b32_e32 v24, s20, v24
	v_and_b32_e32 v22, v22, v25
	v_lshlrev_b32_e32 v25, 24, v32
	v_and_b32_e32 v33, v33, v24
	v_mov_b32_e32 v24, v23
	v_not_b32_e32 v23, v25
	v_cmp_gt_i64_e64 s[20:21], 0, v[24:25]
	v_ashrrev_i32_e32 v23, 31, v23
	s_nop 0
	v_xor_b32_e32 v24, s21, v23
	v_xor_b32_e32 v25, s20, v23
	; wave barrier
	ds_read_b32 v1, v34 offset:64
	v_and_b32_e32 v23, v22, v24
	v_and_b32_e32 v22, v33, v25
	v_mbcnt_lo_u32_b32 v24, v22, 0
	v_mbcnt_hi_u32_b32 v32, v23, v24
	v_cmp_eq_u32_e64 s[20:21], 0, v32
	v_cmp_ne_u64_e64 s[22:23], 0, v[22:23]
	s_and_b64 s[22:23], s[22:23], s[20:21]
	; wave barrier
	s_and_saveexec_b64 s[20:21], s[22:23]
	s_cbranch_execz .LBB538_25
; %bb.24:
	v_bcnt_u32_b32 v22, v22, 0
	v_bcnt_u32_b32 v22, v23, v22
	s_waitcnt lgkmcnt(0)
	v_add_u32_e32 v22, v1, v22
	ds_write_b32 v34, v22 offset:64
.LBB538_25:
	s_or_b64 exec, exec, s[20:21]
	v_lshrrev_b64 v[22:23], s52, v[12:13]
	v_and_b32_e32 v35, s59, v22
	s_movk_i32 s24, 0x44
	v_mul_lo_u32 v22, v35, s24
	v_add_u32_e32 v37, v40, v22
	v_and_b32_e32 v22, 1, v35
	v_mov_b32_e32 v23, 0
	v_lshl_add_u64 v[24:25], v[22:23], 0, -1
	v_cmp_ne_u32_e64 s[20:21], 0, v22
	; wave barrier
	s_nop 1
	v_xor_b32_e32 v24, s20, v24
	v_xor_b32_e32 v22, s21, v25
	v_and_b32_e32 v36, exec_lo, v24
	v_lshlrev_b32_e32 v25, 30, v35
	v_mov_b32_e32 v24, v23
	v_cmp_gt_i64_e64 s[20:21], 0, v[24:25]
	v_not_b32_e32 v24, v25
	v_ashrrev_i32_e32 v24, 31, v24
	v_and_b32_e32 v22, exec_hi, v22
	v_xor_b32_e32 v25, s21, v24
	v_xor_b32_e32 v24, s20, v24
	v_and_b32_e32 v22, v22, v25
	v_and_b32_e32 v36, v36, v24
	v_lshlrev_b32_e32 v25, 29, v35
	v_mov_b32_e32 v24, v23
	v_cmp_gt_i64_e64 s[20:21], 0, v[24:25]
	v_not_b32_e32 v24, v25
	v_ashrrev_i32_e32 v24, 31, v24
	v_xor_b32_e32 v25, s21, v24
	v_xor_b32_e32 v24, s20, v24
	v_and_b32_e32 v22, v22, v25
	v_and_b32_e32 v36, v36, v24
	v_lshlrev_b32_e32 v25, 28, v35
	v_mov_b32_e32 v24, v23
	v_cmp_gt_i64_e64 s[20:21], 0, v[24:25]
	v_not_b32_e32 v24, v25
	v_ashrrev_i32_e32 v24, 31, v24
	;; [unrolled: 9-line block ×6, first 2 shown]
	v_xor_b32_e32 v25, s21, v24
	v_xor_b32_e32 v24, s20, v24
	ds_read_b32 v33, v37 offset:64
	v_and_b32_e32 v24, v36, v24
	v_and_b32_e32 v25, v22, v25
	v_mbcnt_lo_u32_b32 v22, v24, 0
	v_mbcnt_hi_u32_b32 v35, v25, v22
	v_cmp_eq_u32_e64 s[20:21], 0, v35
	v_cmp_ne_u64_e64 s[22:23], 0, v[24:25]
	s_and_b64 s[22:23], s[22:23], s[20:21]
	; wave barrier
	s_and_saveexec_b64 s[20:21], s[22:23]
	s_cbranch_execz .LBB538_27
; %bb.26:
	v_bcnt_u32_b32 v22, v24, 0
	v_bcnt_u32_b32 v22, v25, v22
	s_waitcnt lgkmcnt(0)
	v_add_u32_e32 v22, v33, v22
	ds_write_b32 v37, v22 offset:64
.LBB538_27:
	s_or_b64 exec, exec, s[20:21]
	v_lshrrev_b64 v[24:25], s52, v[10:11]
	v_and_b32_e32 v38, s59, v24
	v_mul_lo_u32 v22, v38, s24
	v_add_u32_e32 v41, v40, v22
	v_and_b32_e32 v22, 1, v38
	v_lshl_add_u64 v[24:25], v[22:23], 0, -1
	v_cmp_ne_u32_e64 s[20:21], 0, v22
	; wave barrier
	s_nop 1
	v_xor_b32_e32 v24, s20, v24
	v_xor_b32_e32 v22, s21, v25
	v_and_b32_e32 v39, exec_lo, v24
	v_lshlrev_b32_e32 v25, 30, v38
	v_mov_b32_e32 v24, v23
	v_cmp_gt_i64_e64 s[20:21], 0, v[24:25]
	v_not_b32_e32 v24, v25
	v_ashrrev_i32_e32 v24, 31, v24
	v_and_b32_e32 v22, exec_hi, v22
	v_xor_b32_e32 v25, s21, v24
	v_xor_b32_e32 v24, s20, v24
	v_and_b32_e32 v22, v22, v25
	v_and_b32_e32 v39, v39, v24
	v_lshlrev_b32_e32 v25, 29, v38
	v_mov_b32_e32 v24, v23
	v_cmp_gt_i64_e64 s[20:21], 0, v[24:25]
	v_not_b32_e32 v24, v25
	v_ashrrev_i32_e32 v24, 31, v24
	v_xor_b32_e32 v25, s21, v24
	v_xor_b32_e32 v24, s20, v24
	v_and_b32_e32 v22, v22, v25
	v_and_b32_e32 v39, v39, v24
	v_lshlrev_b32_e32 v25, 28, v38
	v_mov_b32_e32 v24, v23
	v_cmp_gt_i64_e64 s[20:21], 0, v[24:25]
	v_not_b32_e32 v24, v25
	v_ashrrev_i32_e32 v24, 31, v24
	;; [unrolled: 9-line block ×5, first 2 shown]
	v_xor_b32_e32 v25, s21, v24
	v_xor_b32_e32 v24, s20, v24
	v_and_b32_e32 v22, v22, v25
	v_lshlrev_b32_e32 v25, 24, v38
	v_and_b32_e32 v39, v39, v24
	v_mov_b32_e32 v24, v23
	v_not_b32_e32 v23, v25
	v_cmp_gt_i64_e64 s[20:21], 0, v[24:25]
	v_ashrrev_i32_e32 v23, 31, v23
	ds_read_b32 v36, v41 offset:64
	v_xor_b32_e32 v24, s21, v23
	v_xor_b32_e32 v25, s20, v23
	v_and_b32_e32 v23, v22, v24
	v_and_b32_e32 v22, v39, v25
	v_mbcnt_lo_u32_b32 v24, v22, 0
	v_mbcnt_hi_u32_b32 v38, v23, v24
	v_cmp_eq_u32_e64 s[20:21], 0, v38
	v_cmp_ne_u64_e64 s[22:23], 0, v[22:23]
	s_and_b64 s[22:23], s[22:23], s[20:21]
	; wave barrier
	s_and_saveexec_b64 s[20:21], s[22:23]
	s_cbranch_execz .LBB538_29
; %bb.28:
	v_bcnt_u32_b32 v22, v22, 0
	v_bcnt_u32_b32 v22, v23, v22
	s_waitcnt lgkmcnt(0)
	v_add_u32_e32 v22, v36, v22
	ds_write_b32 v41, v22 offset:64
.LBB538_29:
	s_or_b64 exec, exec, s[20:21]
	v_lshrrev_b64 v[22:23], s52, v[16:17]
	v_and_b32_e32 v42, s59, v22
	v_mul_lo_u32 v22, v42, s24
	v_add_u32_e32 v44, v40, v22
	v_and_b32_e32 v22, 1, v42
	v_mov_b32_e32 v23, 0
	v_lshl_add_u64 v[24:25], v[22:23], 0, -1
	v_cmp_ne_u32_e64 s[20:21], 0, v22
	; wave barrier
	s_nop 1
	v_xor_b32_e32 v24, s20, v24
	v_xor_b32_e32 v22, s21, v25
	v_and_b32_e32 v43, exec_lo, v24
	v_lshlrev_b32_e32 v25, 30, v42
	v_mov_b32_e32 v24, v23
	v_cmp_gt_i64_e64 s[20:21], 0, v[24:25]
	v_not_b32_e32 v24, v25
	v_ashrrev_i32_e32 v24, 31, v24
	v_and_b32_e32 v22, exec_hi, v22
	v_xor_b32_e32 v25, s21, v24
	v_xor_b32_e32 v24, s20, v24
	v_and_b32_e32 v22, v22, v25
	v_and_b32_e32 v43, v43, v24
	v_lshlrev_b32_e32 v25, 29, v42
	v_mov_b32_e32 v24, v23
	v_cmp_gt_i64_e64 s[20:21], 0, v[24:25]
	v_not_b32_e32 v24, v25
	v_ashrrev_i32_e32 v24, 31, v24
	v_xor_b32_e32 v25, s21, v24
	v_xor_b32_e32 v24, s20, v24
	v_and_b32_e32 v22, v22, v25
	v_and_b32_e32 v43, v43, v24
	v_lshlrev_b32_e32 v25, 28, v42
	v_mov_b32_e32 v24, v23
	v_cmp_gt_i64_e64 s[20:21], 0, v[24:25]
	v_not_b32_e32 v24, v25
	v_ashrrev_i32_e32 v24, 31, v24
	;; [unrolled: 9-line block ×6, first 2 shown]
	v_xor_b32_e32 v25, s21, v24
	v_xor_b32_e32 v24, s20, v24
	ds_read_b32 v39, v44 offset:64
	v_and_b32_e32 v24, v43, v24
	v_and_b32_e32 v25, v22, v25
	v_mbcnt_lo_u32_b32 v22, v24, 0
	v_mbcnt_hi_u32_b32 v42, v25, v22
	v_cmp_eq_u32_e64 s[20:21], 0, v42
	v_cmp_ne_u64_e64 s[22:23], 0, v[24:25]
	s_and_b64 s[22:23], s[22:23], s[20:21]
	; wave barrier
	s_and_saveexec_b64 s[20:21], s[22:23]
	s_cbranch_execz .LBB538_31
; %bb.30:
	v_bcnt_u32_b32 v22, v24, 0
	v_bcnt_u32_b32 v22, v25, v22
	s_waitcnt lgkmcnt(0)
	v_add_u32_e32 v22, v39, v22
	ds_write_b32 v44, v22 offset:64
.LBB538_31:
	s_or_b64 exec, exec, s[20:21]
	v_lshrrev_b64 v[24:25], s52, v[14:15]
	v_and_b32_e32 v45, s59, v24
	v_mul_lo_u32 v22, v45, s24
	v_add_u32_e32 v47, v40, v22
	v_and_b32_e32 v22, 1, v45
	v_lshl_add_u64 v[24:25], v[22:23], 0, -1
	v_cmp_ne_u32_e64 s[20:21], 0, v22
	; wave barrier
	s_nop 1
	v_xor_b32_e32 v24, s20, v24
	v_xor_b32_e32 v22, s21, v25
	v_and_b32_e32 v46, exec_lo, v24
	v_lshlrev_b32_e32 v25, 30, v45
	v_mov_b32_e32 v24, v23
	v_cmp_gt_i64_e64 s[20:21], 0, v[24:25]
	v_not_b32_e32 v24, v25
	v_ashrrev_i32_e32 v24, 31, v24
	v_and_b32_e32 v22, exec_hi, v22
	v_xor_b32_e32 v25, s21, v24
	v_xor_b32_e32 v24, s20, v24
	v_and_b32_e32 v22, v22, v25
	v_and_b32_e32 v46, v46, v24
	v_lshlrev_b32_e32 v25, 29, v45
	v_mov_b32_e32 v24, v23
	v_cmp_gt_i64_e64 s[20:21], 0, v[24:25]
	v_not_b32_e32 v24, v25
	v_ashrrev_i32_e32 v24, 31, v24
	v_xor_b32_e32 v25, s21, v24
	v_xor_b32_e32 v24, s20, v24
	v_and_b32_e32 v22, v22, v25
	v_and_b32_e32 v46, v46, v24
	v_lshlrev_b32_e32 v25, 28, v45
	v_mov_b32_e32 v24, v23
	v_cmp_gt_i64_e64 s[20:21], 0, v[24:25]
	v_not_b32_e32 v24, v25
	v_ashrrev_i32_e32 v24, 31, v24
	;; [unrolled: 9-line block ×5, first 2 shown]
	v_xor_b32_e32 v25, s21, v24
	v_xor_b32_e32 v24, s20, v24
	v_and_b32_e32 v22, v22, v25
	v_lshlrev_b32_e32 v25, 24, v45
	v_and_b32_e32 v46, v46, v24
	v_mov_b32_e32 v24, v23
	v_not_b32_e32 v23, v25
	v_cmp_gt_i64_e64 s[20:21], 0, v[24:25]
	v_ashrrev_i32_e32 v23, 31, v23
	ds_read_b32 v43, v47 offset:64
	v_xor_b32_e32 v24, s21, v23
	v_xor_b32_e32 v25, s20, v23
	v_and_b32_e32 v23, v22, v24
	v_and_b32_e32 v22, v46, v25
	v_mbcnt_lo_u32_b32 v24, v22, 0
	v_mbcnt_hi_u32_b32 v45, v23, v24
	v_cmp_eq_u32_e64 s[20:21], 0, v45
	v_cmp_ne_u64_e64 s[22:23], 0, v[22:23]
	s_and_b64 s[22:23], s[22:23], s[20:21]
	; wave barrier
	s_and_saveexec_b64 s[20:21], s[22:23]
	s_cbranch_execz .LBB538_33
; %bb.32:
	v_bcnt_u32_b32 v22, v22, 0
	v_bcnt_u32_b32 v22, v23, v22
	s_waitcnt lgkmcnt(0)
	v_add_u32_e32 v22, v43, v22
	ds_write_b32 v47, v22 offset:64
.LBB538_33:
	s_or_b64 exec, exec, s[20:21]
	v_lshrrev_b64 v[22:23], s52, v[20:21]
	v_and_b32_e32 v48, s59, v22
	v_mul_lo_u32 v22, v48, s24
	v_add_u32_e32 v50, v40, v22
	v_and_b32_e32 v22, 1, v48
	v_mov_b32_e32 v23, 0
	v_lshl_add_u64 v[24:25], v[22:23], 0, -1
	v_cmp_ne_u32_e64 s[20:21], 0, v22
	; wave barrier
	s_nop 1
	v_xor_b32_e32 v24, s20, v24
	v_xor_b32_e32 v22, s21, v25
	v_and_b32_e32 v49, exec_lo, v24
	v_lshlrev_b32_e32 v25, 30, v48
	v_mov_b32_e32 v24, v23
	v_cmp_gt_i64_e64 s[20:21], 0, v[24:25]
	v_not_b32_e32 v24, v25
	v_ashrrev_i32_e32 v24, 31, v24
	v_and_b32_e32 v22, exec_hi, v22
	v_xor_b32_e32 v25, s21, v24
	v_xor_b32_e32 v24, s20, v24
	v_and_b32_e32 v22, v22, v25
	v_and_b32_e32 v49, v49, v24
	v_lshlrev_b32_e32 v25, 29, v48
	v_mov_b32_e32 v24, v23
	v_cmp_gt_i64_e64 s[20:21], 0, v[24:25]
	v_not_b32_e32 v24, v25
	v_ashrrev_i32_e32 v24, 31, v24
	v_xor_b32_e32 v25, s21, v24
	v_xor_b32_e32 v24, s20, v24
	v_and_b32_e32 v22, v22, v25
	v_and_b32_e32 v49, v49, v24
	v_lshlrev_b32_e32 v25, 28, v48
	v_mov_b32_e32 v24, v23
	v_cmp_gt_i64_e64 s[20:21], 0, v[24:25]
	v_not_b32_e32 v24, v25
	v_ashrrev_i32_e32 v24, 31, v24
	;; [unrolled: 9-line block ×6, first 2 shown]
	v_xor_b32_e32 v25, s21, v24
	v_xor_b32_e32 v24, s20, v24
	ds_read_b32 v46, v50 offset:64
	v_and_b32_e32 v24, v49, v24
	v_and_b32_e32 v25, v22, v25
	v_mbcnt_lo_u32_b32 v22, v24, 0
	v_mbcnt_hi_u32_b32 v48, v25, v22
	v_cmp_eq_u32_e64 s[20:21], 0, v48
	v_cmp_ne_u64_e64 s[22:23], 0, v[24:25]
	s_and_b64 s[22:23], s[22:23], s[20:21]
	; wave barrier
	s_and_saveexec_b64 s[20:21], s[22:23]
	s_cbranch_execz .LBB538_35
; %bb.34:
	v_bcnt_u32_b32 v22, v24, 0
	v_bcnt_u32_b32 v22, v25, v22
	s_waitcnt lgkmcnt(0)
	v_add_u32_e32 v22, v46, v22
	ds_write_b32 v50, v22 offset:64
.LBB538_35:
	s_or_b64 exec, exec, s[20:21]
	v_lshrrev_b64 v[24:25], s52, v[18:19]
	v_and_b32_e32 v51, s59, v24
	v_mul_lo_u32 v22, v51, s24
	v_add_u32_e32 v40, v40, v22
	v_and_b32_e32 v22, 1, v51
	v_lshl_add_u64 v[24:25], v[22:23], 0, -1
	v_cmp_ne_u32_e64 s[20:21], 0, v22
	; wave barrier
	s_nop 1
	v_xor_b32_e32 v24, s20, v24
	v_xor_b32_e32 v22, s21, v25
	v_and_b32_e32 v52, exec_lo, v24
	v_lshlrev_b32_e32 v25, 30, v51
	v_mov_b32_e32 v24, v23
	v_cmp_gt_i64_e64 s[20:21], 0, v[24:25]
	v_not_b32_e32 v24, v25
	v_ashrrev_i32_e32 v24, 31, v24
	v_and_b32_e32 v22, exec_hi, v22
	v_xor_b32_e32 v25, s21, v24
	v_xor_b32_e32 v24, s20, v24
	v_and_b32_e32 v22, v22, v25
	v_and_b32_e32 v52, v52, v24
	v_lshlrev_b32_e32 v25, 29, v51
	v_mov_b32_e32 v24, v23
	v_cmp_gt_i64_e64 s[20:21], 0, v[24:25]
	v_not_b32_e32 v24, v25
	v_ashrrev_i32_e32 v24, 31, v24
	v_xor_b32_e32 v25, s21, v24
	v_xor_b32_e32 v24, s20, v24
	v_and_b32_e32 v22, v22, v25
	v_and_b32_e32 v52, v52, v24
	v_lshlrev_b32_e32 v25, 28, v51
	v_mov_b32_e32 v24, v23
	v_cmp_gt_i64_e64 s[20:21], 0, v[24:25]
	v_not_b32_e32 v24, v25
	v_ashrrev_i32_e32 v24, 31, v24
	;; [unrolled: 9-line block ×5, first 2 shown]
	v_xor_b32_e32 v25, s21, v24
	v_xor_b32_e32 v24, s20, v24
	v_and_b32_e32 v22, v22, v25
	v_lshlrev_b32_e32 v25, 24, v51
	v_and_b32_e32 v52, v52, v24
	v_mov_b32_e32 v24, v23
	v_not_b32_e32 v23, v25
	v_cmp_gt_i64_e64 s[20:21], 0, v[24:25]
	v_ashrrev_i32_e32 v23, 31, v23
	ds_read_b32 v49, v40 offset:64
	v_xor_b32_e32 v24, s21, v23
	v_xor_b32_e32 v25, s20, v23
	v_and_b32_e32 v23, v22, v24
	v_and_b32_e32 v22, v52, v25
	v_mbcnt_lo_u32_b32 v24, v22, 0
	v_mbcnt_hi_u32_b32 v51, v23, v24
	v_cmp_eq_u32_e64 s[20:21], 0, v51
	v_cmp_ne_u64_e64 s[22:23], 0, v[22:23]
	s_and_b64 s[22:23], s[22:23], s[20:21]
	; wave barrier
	s_and_saveexec_b64 s[20:21], s[22:23]
	s_cbranch_execz .LBB538_37
; %bb.36:
	v_bcnt_u32_b32 v22, v22, 0
	v_bcnt_u32_b32 v22, v23, v22
	s_waitcnt lgkmcnt(0)
	v_add_u32_e32 v22, v49, v22
	ds_write_b32 v40, v22 offset:64
.LBB538_37:
	s_or_b64 exec, exec, s[20:21]
	; wave barrier
	s_waitcnt lgkmcnt(0)
	s_barrier
	ds_read2_b32 v[24:25], v5 offset0:16 offset1:17
	ds_read2_b32 v[22:23], v5 offset0:18 offset1:19
	ds_read_b32 v52, v5 offset:80
	v_cmp_lt_u32_e64 s[30:31], 31, v26
	s_waitcnt lgkmcnt(1)
	v_add3_u32 v53, v25, v24, v22
	s_waitcnt lgkmcnt(0)
	v_add3_u32 v52, v53, v23, v52
	v_and_b32_e32 v53, 15, v26
	v_cmp_eq_u32_e64 s[20:21], 0, v53
	v_mov_b32_dpp v54, v52 row_shr:1 row_mask:0xf bank_mask:0xf
	v_cmp_lt_u32_e64 s[22:23], 1, v53
	v_cndmask_b32_e64 v54, v54, 0, s[20:21]
	v_add_u32_e32 v52, v54, v52
	v_cmp_lt_u32_e64 s[24:25], 3, v53
	v_cmp_lt_u32_e64 s[26:27], 7, v53
	v_mov_b32_dpp v54, v52 row_shr:2 row_mask:0xf bank_mask:0xf
	v_cndmask_b32_e64 v54, 0, v54, s[22:23]
	v_add_u32_e32 v52, v52, v54
	s_nop 1
	v_mov_b32_dpp v54, v52 row_shr:4 row_mask:0xf bank_mask:0xf
	v_cndmask_b32_e64 v54, 0, v54, s[24:25]
	v_add_u32_e32 v52, v52, v54
	s_nop 1
	v_mov_b32_dpp v54, v52 row_shr:8 row_mask:0xf bank_mask:0xf
	v_cndmask_b32_e64 v53, 0, v54, s[26:27]
	v_add_u32_e32 v52, v52, v53
	v_bfe_i32 v54, v26, 4, 1
	s_nop 0
	v_mov_b32_dpp v53, v52 row_bcast:15 row_mask:0xf bank_mask:0xf
	v_and_b32_e32 v53, v54, v53
	v_add_u32_e32 v52, v52, v53
	v_and_b32_e32 v54, 63, v2
	s_nop 0
	v_mov_b32_dpp v53, v52 row_bcast:31 row_mask:0xf bank_mask:0xf
	v_cndmask_b32_e64 v53, 0, v53, s[30:31]
	v_add_u32_e32 v52, v52, v53
	v_lshrrev_b32_e32 v53, 6, v2
	v_cmp_eq_u32_e64 s[30:31], 63, v54
	s_and_saveexec_b64 s[34:35], s[30:31]
; %bb.38:
	v_lshlrev_b32_e32 v54, 2, v53
	ds_write_b32 v54, v52
; %bb.39:
	s_or_b64 exec, exec, s[34:35]
	v_cmp_gt_u32_e64 s[30:31], 16, v2
	s_waitcnt lgkmcnt(0)
	s_barrier
	s_and_saveexec_b64 s[34:35], s[30:31]
	s_cbranch_execz .LBB538_41
; %bb.40:
	v_lshlrev_b32_e32 v54, 2, v2
	ds_read_b32 v55, v54
	s_waitcnt lgkmcnt(0)
	s_nop 0
	v_mov_b32_dpp v56, v55 row_shr:1 row_mask:0xf bank_mask:0xf
	v_cndmask_b32_e64 v56, v56, 0, s[20:21]
	v_add_u32_e32 v55, v56, v55
	s_nop 1
	v_mov_b32_dpp v56, v55 row_shr:2 row_mask:0xf bank_mask:0xf
	v_cndmask_b32_e64 v56, 0, v56, s[22:23]
	v_add_u32_e32 v55, v55, v56
	;; [unrolled: 4-line block ×4, first 2 shown]
	ds_write_b32 v54, v55
.LBB538_41:
	s_or_b64 exec, exec, s[34:35]
	v_cmp_lt_u32_e64 s[20:21], 63, v2
	v_mov_b32_e32 v54, 0
	s_waitcnt lgkmcnt(0)
	s_barrier
	s_and_saveexec_b64 s[22:23], s[20:21]
; %bb.42:
	v_lshl_add_u32 v53, v53, 2, -4
	ds_read_b32 v54, v53
; %bb.43:
	s_or_b64 exec, exec, s[22:23]
	v_subrev_co_u32_e64 v53, s[20:21], 1, v26
	v_and_b32_e32 v55, 64, v26
	v_cmp_lt_i32_e64 s[22:23], v53, v55
	s_waitcnt lgkmcnt(0)
	v_add_u32_e32 v52, v54, v52
	s_movk_i32 s24, 0x100
	v_cndmask_b32_e64 v26, v53, v26, s[22:23]
	v_lshlrev_b32_e32 v26, 2, v26
	ds_bpermute_b32 v26, v26, v52
	v_cmp_gt_u32_e64 s[22:23], s24, v2
	s_waitcnt lgkmcnt(0)
	v_cndmask_b32_e64 v26, v26, v54, s[20:21]
	v_cndmask_b32_e64 v26, v26, 0, s[18:19]
	v_add_u32_e32 v24, v26, v24
	v_add_u32_e32 v25, v24, v25
	;; [unrolled: 1-line block ×4, first 2 shown]
	ds_write2_b32 v5, v26, v24 offset0:16 offset1:17
	ds_write2_b32 v5, v25, v22 offset0:18 offset1:19
	ds_write_b32 v5, v23 offset:80
	s_waitcnt lgkmcnt(0)
	s_barrier
	ds_read_b32 v55, v27 offset:64
	ds_read_b32 v5, v34 offset:64
	;; [unrolled: 1-line block ×8, first 2 shown]
	s_movk_i32 s20, 0xff
	v_cmp_lt_u32_e64 s[20:21], s20, v2
                                        ; implicit-def: $vgpr34
                                        ; implicit-def: $vgpr37
	s_and_saveexec_b64 s[26:27], s[22:23]
	s_cbranch_execz .LBB538_47
; %bb.44:
	v_mul_u32_u24_e32 v22, 0x44, v2
	ds_read_b32 v34, v22 offset:64
	v_add_u32_e32 v23, 1, v2
	v_cmp_ne_u32_e64 s[24:25], s24, v23
	v_mov_b32_e32 v22, 0x2000
	s_and_saveexec_b64 s[30:31], s[24:25]
; %bb.45:
	v_mul_u32_u24_e32 v22, 0x44, v23
	ds_read_b32 v22, v22 offset:64
; %bb.46:
	s_or_b64 exec, exec, s[30:31]
	s_waitcnt lgkmcnt(0)
	v_sub_u32_e32 v37, v22, v34
.LBB538_47:
	s_or_b64 exec, exec, s[26:27]
	v_mov_b32_e32 v23, 0
	v_lshlrev_b32_e32 v40, 2, v2
	s_waitcnt lgkmcnt(0)
	s_barrier
	s_and_saveexec_b64 s[24:25], s[22:23]
	s_cbranch_execz .LBB538_57
; %bb.48:
	v_lshl_add_u32 v22, s33, 8, v2
	v_lshl_add_u64 v[24:25], v[22:23], 2, s[56:57]
	v_or_b32_e32 v22, 2.0, v37
	s_mov_b64 s[26:27], 0
	s_brev_b32 s36, -4
	s_mov_b32 s37, s33
	v_mov_b32_e32 v50, 0
	global_store_dword v[24:25], v22, off sc1
                                        ; implicit-def: $sgpr22_sgpr23
	s_branch .LBB538_51
.LBB538_49:                             ;   in Loop: Header=BB538_51 Depth=1
	s_or_b64 exec, exec, s[34:35]
.LBB538_50:                             ;   in Loop: Header=BB538_51 Depth=1
	s_or_b64 exec, exec, s[30:31]
	v_and_b32_e32 v26, 0x3fffffff, v22
	v_add_u32_e32 v50, v26, v50
	v_cmp_gt_i32_e64 s[22:23], -2.0, v22
	s_and_b64 s[30:31], exec, s[22:23]
	s_or_b64 s[26:27], s[30:31], s[26:27]
	s_andn2_b64 exec, exec, s[26:27]
	s_cbranch_execz .LBB538_56
.LBB538_51:                             ; =>This Loop Header: Depth=1
                                        ;     Child Loop BB538_54 Depth 2
	s_or_b64 s[22:23], s[22:23], exec
	s_cmp_eq_u32 s37, 0
	s_cbranch_scc1 .LBB538_55
; %bb.52:                               ;   in Loop: Header=BB538_51 Depth=1
	s_add_i32 s37, s37, -1
	v_lshl_or_b32 v22, s37, 8, v2
	v_lshl_add_u64 v[26:27], v[22:23], 2, s[56:57]
	global_load_dword v22, v[26:27], off sc1
	s_waitcnt vmcnt(0)
	v_cmp_gt_u32_e64 s[22:23], 2.0, v22
	s_and_saveexec_b64 s[30:31], s[22:23]
	s_cbranch_execz .LBB538_50
; %bb.53:                               ;   in Loop: Header=BB538_51 Depth=1
	s_mov_b64 s[34:35], 0
.LBB538_54:                             ;   Parent Loop BB538_51 Depth=1
                                        ; =>  This Inner Loop Header: Depth=2
	global_load_dword v22, v[26:27], off sc1
	s_waitcnt vmcnt(0)
	v_cmp_lt_u32_e64 s[22:23], s36, v22
	s_or_b64 s[34:35], s[22:23], s[34:35]
	s_andn2_b64 exec, exec, s[34:35]
	s_cbranch_execnz .LBB538_54
	s_branch .LBB538_49
.LBB538_55:                             ;   in Loop: Header=BB538_51 Depth=1
                                        ; implicit-def: $sgpr37
	s_and_b64 s[30:31], exec, s[22:23]
	s_or_b64 s[26:27], s[30:31], s[26:27]
	s_andn2_b64 exec, exec, s[26:27]
	s_cbranch_execnz .LBB538_51
.LBB538_56:
	s_or_b64 exec, exec, s[26:27]
	v_add_u32_e32 v22, v50, v37
	v_or_b32_e32 v22, 0x80000000, v22
	global_store_dword v[24:25], v22, off sc1
	global_load_dword v22, v40, s[48:49]
	v_sub_u32_e32 v23, v50, v34
	s_waitcnt vmcnt(0)
	v_add_u32_e32 v22, v23, v22
	ds_write_b32 v40, v22
.LBB538_57:
	s_or_b64 exec, exec, s[24:25]
	s_load_dwordx2 s[22:23], s[0:1], 0x4
	v_add_u32_e32 v24, v55, v31
	v_add3_u32 v22, v32, v1, v5
	v_add3_u32 v23, v35, v33, v52
	;; [unrolled: 1-line block ×3, first 2 shown]
	s_waitcnt lgkmcnt(0)
	s_lshr_b32 s0, s22, 16
	s_mul_i32 s0, s0, s23
	v_mul_lo_u32 v25, s0, v2
	v_mul_u32_u24_e32 v27, s23, v3
	v_add3_u32 v25, v25, v27, v28
	v_mov_b32_e32 v27, 0x5050
	v_add3_u32 v55, v42, v39, v54
	v_add3_u32 v56, v45, v43, v47
	;; [unrolled: 1-line block ×4, first 2 shown]
	v_lshl_add_u32 v25, v25, 5, v27
	v_mov_b32_e32 v57, 0x400
	s_movk_i32 s24, 0x400
	v_lshl_add_u32 v26, v26, 3, v57
	v_add3_u32 v27, v51, v44, v49
	v_lshl_add_u32 v31, v31, 3, v57
	v_add3_u32 v41, v48, v41, v46
	;; [unrolled: 2-line block ×7, first 2 shown]
	v_lshl_add_u32 v46, v24, 3, v57
	s_mov_b32 s25, 0
	s_movk_i32 s26, 0x800
	v_add_u32_e32 v47, v40, v40
	v_mov_b32_e32 v23, 0
	v_mov_b32_e32 v1, v2
	;; [unrolled: 1-line block ×3, first 2 shown]
	s_mov_b32 s27, 0
	s_branch .LBB538_59
.LBB538_58:                             ;   in Loop: Header=BB538_59 Depth=1
	s_or_b64 exec, exec, s[22:23]
	s_addk_i32 s27, 0xc000
	s_addk_i32 s25, 0xf800
	v_add_u32_e32 v5, 8, v5
	s_cmp_eq_u32 s27, 0xffff0000
	v_add_u32_e32 v1, 0x800, v1
	s_waitcnt lgkmcnt(0)
	s_barrier
	s_cbranch_scc1 .LBB538_79
.LBB538_59:                             ; =>This Inner Loop Header: Depth=1
	v_add_u32_e32 v22, s25, v24
	v_cmp_gt_u32_e64 s[0:1], s26, v22
	s_and_saveexec_b64 s[22:23], s[0:1]
; %bb.60:                               ;   in Loop: Header=BB538_59 Depth=1
	v_add_u32_e32 v22, s27, v46
	ds_write_b64 v22, v[8:9]
; %bb.61:                               ;   in Loop: Header=BB538_59 Depth=1
	s_or_b64 exec, exec, s[22:23]
	v_add_u32_e32 v22, s25, v32
	v_cmp_gt_u32_e64 s[0:1], s26, v22
	s_and_saveexec_b64 s[22:23], s[0:1]
; %bb.62:                               ;   in Loop: Header=BB538_59 Depth=1
	v_add_u32_e32 v22, s27, v35
	ds_write_b64 v22, v[6:7]
; %bb.63:                               ;   in Loop: Header=BB538_59 Depth=1
	s_or_b64 exec, exec, s[22:23]
	;; [unrolled: 8-line block ×8, first 2 shown]
	v_cmp_gt_u32_e64 s[0:1], s5, v1
	s_waitcnt lgkmcnt(0)
	s_barrier
	s_and_saveexec_b64 s[22:23], s[0:1]
	s_cbranch_execz .LBB538_77
; %bb.76:                               ;   in Loop: Header=BB538_59 Depth=1
	ds_read_b64 v[48:49], v47 offset:1024
	s_waitcnt lgkmcnt(0)
	v_lshrrev_b64 v[50:51], s52, v[48:49]
	v_and_b32_e32 v52, s59, v50
	v_lshlrev_b32_e32 v22, 2, v52
	ds_read_b32 v22, v22
	ds_write_b32 v5, v52
	s_waitcnt lgkmcnt(1)
	v_add_u32_e32 v22, v1, v22
	v_lshl_add_u64 v[50:51], v[22:23], 3, s[42:43]
	global_store_dwordx2 v[50:51], v[48:49], off
.LBB538_77:                             ;   in Loop: Header=BB538_59 Depth=1
	s_or_b64 exec, exec, s[22:23]
	v_add_u32_e32 v22, 0x400, v1
	v_cmp_gt_u32_e64 s[0:1], s5, v22
	s_and_saveexec_b64 s[22:23], s[0:1]
	s_cbranch_execz .LBB538_58
; %bb.78:                               ;   in Loop: Header=BB538_59 Depth=1
	ds_read_b64 v[48:49], v47 offset:9216
	s_waitcnt lgkmcnt(0)
	v_lshrrev_b64 v[50:51], s52, v[48:49]
	v_and_b32_e32 v52, s59, v50
	v_lshlrev_b32_e32 v22, 2, v52
	ds_read_b32 v22, v22
	ds_write_b32 v5, v52 offset:4
	s_waitcnt lgkmcnt(1)
	v_add3_u32 v22, v1, v22, s24
	v_lshl_add_u64 v[50:51], v[22:23], 3, s[42:43]
	global_store_dwordx2 v[50:51], v[48:49], off
	s_branch .LBB538_58
.LBB538_79:
	s_add_u32 s0, s44, s54
	s_addc_u32 s1, s45, s55
	v_mov_b32_e32 v1, 0
	v_lshl_add_u64 v[6:7], s[0:1], 0, v[0:1]
	v_mov_b32_e32 v5, v1
	v_lshl_add_u64 v[18:19], v[6:7], 0, v[4:5]
                                        ; implicit-def: $vgpr0_vgpr1
	s_and_saveexec_b64 s[0:1], vcc
	s_cbranch_execz .LBB538_87
; %bb.80:
	global_load_dwordx2 v[0:1], v[18:19], off
	s_or_b64 exec, exec, s[0:1]
                                        ; implicit-def: $vgpr4_vgpr5
	s_and_saveexec_b64 s[0:1], s[28:29]
	s_cbranch_execnz .LBB538_88
.LBB538_81:
	s_or_b64 exec, exec, s[0:1]
                                        ; implicit-def: $vgpr6_vgpr7
	s_and_saveexec_b64 s[0:1], s[6:7]
	s_cbranch_execz .LBB538_89
.LBB538_82:
	global_load_dwordx2 v[6:7], v[18:19], off offset:1024
	s_or_b64 exec, exec, s[0:1]
                                        ; implicit-def: $vgpr8_vgpr9
	s_and_saveexec_b64 s[0:1], s[8:9]
	s_cbranch_execnz .LBB538_90
.LBB538_83:
	s_or_b64 exec, exec, s[0:1]
                                        ; implicit-def: $vgpr10_vgpr11
	s_and_saveexec_b64 s[0:1], s[10:11]
	s_cbranch_execz .LBB538_91
.LBB538_84:
	global_load_dwordx2 v[10:11], v[18:19], off offset:2048
	s_or_b64 exec, exec, s[0:1]
                                        ; implicit-def: $vgpr12_vgpr13
	s_and_saveexec_b64 s[0:1], s[12:13]
	s_cbranch_execnz .LBB538_92
.LBB538_85:
	s_or_b64 exec, exec, s[0:1]
                                        ; implicit-def: $vgpr14_vgpr15
	s_and_saveexec_b64 s[0:1], s[14:15]
	s_cbranch_execz .LBB538_93
.LBB538_86:
	global_load_dwordx2 v[14:15], v[18:19], off offset:3072
	s_or_b64 exec, exec, s[0:1]
                                        ; implicit-def: $vgpr16_vgpr17
	s_and_saveexec_b64 s[0:1], s[16:17]
	s_cbranch_execnz .LBB538_94
	s_branch .LBB538_95
.LBB538_87:
	s_or_b64 exec, exec, s[0:1]
                                        ; implicit-def: $vgpr4_vgpr5
	s_and_saveexec_b64 s[0:1], s[28:29]
	s_cbranch_execz .LBB538_81
.LBB538_88:
	global_load_dwordx2 v[4:5], v[18:19], off offset:512
	s_or_b64 exec, exec, s[0:1]
                                        ; implicit-def: $vgpr6_vgpr7
	s_and_saveexec_b64 s[0:1], s[6:7]
	s_cbranch_execnz .LBB538_82
.LBB538_89:
	s_or_b64 exec, exec, s[0:1]
                                        ; implicit-def: $vgpr8_vgpr9
	s_and_saveexec_b64 s[0:1], s[8:9]
	s_cbranch_execz .LBB538_83
.LBB538_90:
	global_load_dwordx2 v[8:9], v[18:19], off offset:1536
	s_or_b64 exec, exec, s[0:1]
                                        ; implicit-def: $vgpr10_vgpr11
	s_and_saveexec_b64 s[0:1], s[10:11]
	s_cbranch_execnz .LBB538_84
.LBB538_91:
	s_or_b64 exec, exec, s[0:1]
                                        ; implicit-def: $vgpr12_vgpr13
	s_and_saveexec_b64 s[0:1], s[12:13]
	s_cbranch_execz .LBB538_85
.LBB538_92:
	global_load_dwordx2 v[12:13], v[18:19], off offset:2560
	s_or_b64 exec, exec, s[0:1]
                                        ; implicit-def: $vgpr14_vgpr15
	s_and_saveexec_b64 s[0:1], s[14:15]
	s_cbranch_execnz .LBB538_86
.LBB538_93:
	s_or_b64 exec, exec, s[0:1]
                                        ; implicit-def: $vgpr16_vgpr17
	s_and_saveexec_b64 s[0:1], s[16:17]
	s_cbranch_execz .LBB538_95
.LBB538_94:
	global_load_dwordx2 v[16:17], v[18:19], off offset:3584
.LBB538_95:
	s_or_b64 exec, exec, s[0:1]
	s_mov_b32 s6, 0
	s_movk_i32 s7, 0x800
	v_mov_b32_e32 v19, 0
	s_movk_i32 s8, 0x400
	s_mov_b32 s9, 0
	v_mov_b32_e32 v20, v2
	s_waitcnt vmcnt(0)
	s_branch .LBB538_97
.LBB538_96:                             ;   in Loop: Header=BB538_97 Depth=1
	s_or_b64 exec, exec, s[0:1]
	s_addk_i32 s9, 0xc000
	s_addk_i32 s6, 0xf800
	v_add_u32_e32 v20, 0x800, v20
	s_cmp_eq_u32 s9, 0xffff0000
	v_add_u32_e32 v25, 8, v25
	s_barrier
	s_cbranch_scc1 .LBB538_117
.LBB538_97:                             ; =>This Inner Loop Header: Depth=1
	v_add_u32_e32 v18, s6, v24
	v_cmp_gt_u32_e32 vcc, s7, v18
	s_and_saveexec_b64 s[0:1], vcc
; %bb.98:                               ;   in Loop: Header=BB538_97 Depth=1
	v_add_u32_e32 v18, s9, v46
	ds_write_b64 v18, v[0:1]
; %bb.99:                               ;   in Loop: Header=BB538_97 Depth=1
	s_or_b64 exec, exec, s[0:1]
	v_add_u32_e32 v18, s6, v32
	v_cmp_gt_u32_e32 vcc, s7, v18
	s_and_saveexec_b64 s[0:1], vcc
; %bb.100:                              ;   in Loop: Header=BB538_97 Depth=1
	v_add_u32_e32 v18, s9, v35
	ds_write_b64 v18, v[4:5]
; %bb.101:                              ;   in Loop: Header=BB538_97 Depth=1
	s_or_b64 exec, exec, s[0:1]
	v_add_u32_e32 v18, s6, v33
	v_cmp_gt_u32_e32 vcc, s7, v18
	s_and_saveexec_b64 s[0:1], vcc
; %bb.102:                              ;   in Loop: Header=BB538_97 Depth=1
	v_add_u32_e32 v18, s9, v38
	ds_write_b64 v18, v[6:7]
; %bb.103:                              ;   in Loop: Header=BB538_97 Depth=1
	;; [unrolled: 8-line block ×7, first 2 shown]
	s_or_b64 exec, exec, s[0:1]
	v_cmp_gt_u32_e32 vcc, s5, v20
	s_waitcnt lgkmcnt(0)
	s_barrier
	s_and_saveexec_b64 s[0:1], vcc
	s_cbranch_execz .LBB538_115
; %bb.114:                              ;   in Loop: Header=BB538_97 Depth=1
	ds_read_b32 v18, v25
	s_waitcnt lgkmcnt(0)
	v_lshlrev_b32_e32 v18, 2, v18
	ds_read_b32 v18, v18
	ds_read_b64 v[22:23], v47 offset:1024
	s_waitcnt lgkmcnt(1)
	v_add_u32_e32 v18, v20, v18
	v_lshl_add_u64 v[48:49], v[18:19], 3, s[46:47]
	s_waitcnt lgkmcnt(0)
	global_store_dwordx2 v[48:49], v[22:23], off
.LBB538_115:                            ;   in Loop: Header=BB538_97 Depth=1
	s_or_b64 exec, exec, s[0:1]
	v_add_u32_e32 v18, 0x400, v20
	v_cmp_gt_u32_e32 vcc, s5, v18
	s_and_saveexec_b64 s[0:1], vcc
	s_cbranch_execz .LBB538_96
; %bb.116:                              ;   in Loop: Header=BB538_97 Depth=1
	ds_read_b32 v18, v25 offset:4
	s_waitcnt lgkmcnt(0)
	v_lshlrev_b32_e32 v18, 2, v18
	ds_read_b32 v18, v18
	ds_read_b64 v[22:23], v47 offset:9216
	s_waitcnt lgkmcnt(1)
	v_add3_u32 v18, v20, v18, s8
	v_lshl_add_u64 v[48:49], v[18:19], 3, s[46:47]
	s_waitcnt lgkmcnt(0)
	global_store_dwordx2 v[48:49], v[22:23], off
	s_branch .LBB538_96
.LBB538_117:
	s_add_i32 s58, s58, -1
	s_cmp_eq_u32 s33, s58
	s_cselect_b64 s[0:1], -1, 0
	s_xor_b64 s[6:7], s[20:21], -1
	s_and_b64 s[6:7], s[6:7], s[0:1]
	s_and_saveexec_b64 s[0:1], s[6:7]
	s_cbranch_execz .LBB538_119
; %bb.118:
	ds_read_b32 v0, v40
	s_waitcnt lgkmcnt(0)
	v_add3_u32 v0, v34, v37, v0
	global_store_dword v40, v0, s[50:51]
.LBB538_119:
	s_or_b64 exec, exec, s[0:1]
	s_mov_b64 s[6:7], 0
.LBB538_120:
	s_and_b64 vcc, exec, s[6:7]
	s_cbranch_vccz .LBB538_195
; %bb.121:
	s_lshl_b32 s0, s33, 13
	s_mov_b32 s1, 0
	s_lshl_b64 s[8:9], s[0:1], 3
	v_mbcnt_hi_u32_b32 v26, -1, v30
	s_add_u32 s0, s40, s8
	v_and_b32_e32 v0, 63, v26
	v_mov_b32_e32 v23, 0
	s_addc_u32 s1, s41, s9
	v_and_b32_e32 v4, 0x1e00, v29
	v_lshlrev_b32_e32 v0, 3, v0
	v_mov_b32_e32 v1, v23
	v_lshl_add_u64 v[6:7], s[0:1], 0, v[0:1]
	v_lshlrev_b32_e32 v4, 3, v4
	v_mov_b32_e32 v5, v23
	v_lshl_add_u64 v[24:25], v[6:7], 0, v[4:5]
	global_load_dwordx2 v[6:7], v[24:25], off
	s_load_dword s0, s[2:3], 0x64
	s_load_dword s12, s[2:3], 0x58
	s_add_u32 s1, s2, 0x58
	s_addc_u32 s2, s3, 0
	v_mul_u32_u24_e32 v5, 20, v2
	s_waitcnt lgkmcnt(0)
	s_lshr_b32 s3, s0, 16
	s_cmp_lt_u32 s4, s12
	s_cselect_b32 s0, 12, 18
	s_add_u32 s0, s1, s0
	s_addc_u32 s1, s2, 0
	global_load_ushort v1, v23, s[0:1]
	ds_write2_b32 v5, v23, v23 offset0:16 offset1:17
	ds_write2_b32 v5, v23, v23 offset0:18 offset1:19
	ds_write_b32 v5, v23 offset:80
	global_load_dwordx2 v[8:9], v[24:25], off offset:512
	global_load_dwordx2 v[10:11], v[24:25], off offset:1024
	;; [unrolled: 1-line block ×7, first 2 shown]
	s_lshl_b32 s0, -1, s53
	v_mov_b32_e32 v30, v23
	v_mad_u32_u24 v3, v28, s3, v3
	v_mov_b32_e32 v32, v23
	s_not_b32 s13, s0
	v_mov_b32_e32 v34, v23
	v_mov_b32_e32 v36, v23
	v_mov_b32_e32 v38, v23
	s_movk_i32 s10, 0x44
	s_waitcnt lgkmcnt(0)
	s_barrier
	s_waitcnt vmcnt(8)
	; wave barrier
	v_lshrrev_b64 v[24:25], s52, v[6:7]
	v_bitop3_b32 v27, v24, s0, v24 bitop3:0x30
	v_and_b32_e32 v22, 1, v27
	v_lshlrev_b32_e32 v31, 30, v27
	v_lshlrev_b32_e32 v33, 29, v27
	v_lshl_add_u64 v[24:25], v[22:23], 0, -1
	v_cmp_ne_u32_e32 vcc, 0, v22
	v_not_b32_e32 v22, v31
	v_lshlrev_b32_e32 v35, 28, v27
	v_cmp_gt_i64_e64 s[0:1], 0, v[30:31]
	v_not_b32_e32 v30, v33
	s_waitcnt vmcnt(7)
	v_mad_u64_u32 v[28:29], s[14:15], v3, v1, v[2:3]
	v_xor_b32_e32 v1, vcc_hi, v25
	v_xor_b32_e32 v3, vcc_lo, v24
	v_ashrrev_i32_e32 v22, 31, v22
	v_lshlrev_b32_e32 v37, 27, v27
	v_cmp_gt_i64_e64 s[2:3], 0, v[32:33]
	v_not_b32_e32 v31, v35
	v_ashrrev_i32_e32 v24, 31, v30
	v_and_b32_e32 v1, exec_hi, v1
	v_and_b32_e32 v3, exec_lo, v3
	v_xor_b32_e32 v30, s1, v22
	v_xor_b32_e32 v22, s0, v22
	v_lshlrev_b32_e32 v39, 26, v27
	v_cmp_gt_i64_e64 s[4:5], 0, v[34:35]
	v_not_b32_e32 v32, v37
	v_ashrrev_i32_e32 v25, 31, v31
	v_xor_b32_e32 v31, s3, v24
	v_xor_b32_e32 v24, s2, v24
	v_and_b32_e32 v1, v1, v30
	v_and_b32_e32 v3, v3, v22
	v_cmp_gt_i64_e64 s[6:7], 0, v[36:37]
	v_ashrrev_i32_e32 v29, 31, v32
	v_xor_b32_e32 v32, s5, v25
	v_xor_b32_e32 v25, s4, v25
	v_and_b32_e32 v1, v1, v31
	v_and_b32_e32 v3, v3, v24
	v_not_b32_e32 v22, v39
	v_xor_b32_e32 v33, s7, v29
	v_xor_b32_e32 v29, s6, v29
	v_and_b32_e32 v1, v1, v32
	v_and_b32_e32 v3, v3, v25
	v_cmp_gt_i64_e32 vcc, 0, v[38:39]
	v_ashrrev_i32_e32 v22, 31, v22
	v_and_b32_e32 v1, v1, v33
	v_and_b32_e32 v3, v3, v29
	v_xor_b32_e32 v24, vcc_hi, v22
	v_xor_b32_e32 v22, vcc_lo, v22
	v_lshlrev_b32_e32 v25, 25, v27
	v_and_b32_e32 v1, v1, v24
	v_and_b32_e32 v3, v3, v22
	v_mov_b32_e32 v24, v23
	v_not_b32_e32 v22, v25
	v_cmp_gt_i64_e32 vcc, 0, v[24:25]
	v_ashrrev_i32_e32 v22, 31, v22
	v_lshlrev_b32_e32 v25, 24, v27
	v_xor_b32_e32 v24, vcc_hi, v22
	v_xor_b32_e32 v22, vcc_lo, v22
	v_and_b32_e32 v1, v1, v24
	v_and_b32_e32 v3, v3, v22
	v_mov_b32_e32 v24, v23
	v_not_b32_e32 v22, v25
	v_cmp_gt_i64_e32 vcc, 0, v[24:25]
	v_ashrrev_i32_e32 v22, 31, v22
	v_lshrrev_b32_e32 v28, 4, v28
	v_xor_b32_e32 v24, vcc_hi, v22
	v_xor_b32_e32 v22, vcc_lo, v22
	v_and_b32_e32 v25, v1, v24
	v_and_b32_e32 v24, v3, v22
	v_mbcnt_lo_u32_b32 v1, v24, 0
	v_mbcnt_hi_u32_b32 v3, v25, v1
	v_mul_lo_u32 v40, v27, s10
	v_and_b32_e32 v35, 0xffffffc, v28
	v_cmp_eq_u32_e32 vcc, 0, v3
	v_cmp_ne_u64_e64 s[0:1], 0, v[24:25]
	s_and_b64 s[2:3], s[0:1], vcc
	v_add_u32_e32 v27, v35, v40
	s_and_saveexec_b64 s[0:1], s[2:3]
; %bb.122:
	v_bcnt_u32_b32 v1, v24, 0
	v_bcnt_u32_b32 v1, v25, v1
	ds_write_b32 v27, v1 offset:64
; %bb.123:
	s_or_b64 exec, exec, s[0:1]
	s_waitcnt vmcnt(6)
	v_lshrrev_b64 v[24:25], s52, v[8:9]
	v_and_b32_e32 v28, s13, v24
	v_and_b32_e32 v22, 1, v28
	v_lshl_add_u64 v[24:25], v[22:23], 0, -1
	v_cmp_ne_u32_e32 vcc, 0, v22
	v_mul_lo_u32 v1, v28, s10
	v_add_u32_e32 v30, v35, v1
	v_xor_b32_e32 v24, vcc_lo, v24
	v_xor_b32_e32 v22, vcc_hi, v25
	v_and_b32_e32 v29, exec_lo, v24
	v_lshlrev_b32_e32 v25, 30, v28
	v_mov_b32_e32 v24, v23
	v_cmp_gt_i64_e32 vcc, 0, v[24:25]
	v_not_b32_e32 v24, v25
	v_ashrrev_i32_e32 v24, 31, v24
	v_and_b32_e32 v22, exec_hi, v22
	v_xor_b32_e32 v25, vcc_hi, v24
	v_xor_b32_e32 v24, vcc_lo, v24
	v_and_b32_e32 v22, v22, v25
	v_and_b32_e32 v29, v29, v24
	v_lshlrev_b32_e32 v25, 29, v28
	v_mov_b32_e32 v24, v23
	v_cmp_gt_i64_e32 vcc, 0, v[24:25]
	v_not_b32_e32 v24, v25
	v_ashrrev_i32_e32 v24, 31, v24
	v_xor_b32_e32 v25, vcc_hi, v24
	v_xor_b32_e32 v24, vcc_lo, v24
	v_and_b32_e32 v22, v22, v25
	v_and_b32_e32 v29, v29, v24
	v_lshlrev_b32_e32 v25, 28, v28
	v_mov_b32_e32 v24, v23
	v_cmp_gt_i64_e32 vcc, 0, v[24:25]
	v_not_b32_e32 v24, v25
	v_ashrrev_i32_e32 v24, 31, v24
	;; [unrolled: 9-line block ×5, first 2 shown]
	v_xor_b32_e32 v25, vcc_hi, v24
	v_xor_b32_e32 v24, vcc_lo, v24
	v_and_b32_e32 v22, v22, v25
	v_lshlrev_b32_e32 v25, 24, v28
	v_and_b32_e32 v29, v29, v24
	v_mov_b32_e32 v24, v23
	v_not_b32_e32 v23, v25
	v_cmp_gt_i64_e32 vcc, 0, v[24:25]
	v_ashrrev_i32_e32 v23, 31, v23
	s_nop 0
	v_xor_b32_e32 v24, vcc_hi, v23
	v_xor_b32_e32 v25, vcc_lo, v23
	; wave barrier
	ds_read_b32 v1, v30 offset:64
	v_and_b32_e32 v23, v22, v24
	v_and_b32_e32 v22, v29, v25
	v_mbcnt_lo_u32_b32 v24, v22, 0
	v_mbcnt_hi_u32_b32 v28, v23, v24
	v_cmp_eq_u32_e32 vcc, 0, v28
	v_cmp_ne_u64_e64 s[0:1], 0, v[22:23]
	s_and_b64 s[2:3], s[0:1], vcc
	; wave barrier
	s_and_saveexec_b64 s[0:1], s[2:3]
	s_cbranch_execz .LBB538_125
; %bb.124:
	v_bcnt_u32_b32 v22, v22, 0
	v_bcnt_u32_b32 v22, v23, v22
	s_waitcnt lgkmcnt(0)
	v_add_u32_e32 v22, v1, v22
	ds_write_b32 v30, v22 offset:64
.LBB538_125:
	s_or_b64 exec, exec, s[0:1]
	s_waitcnt vmcnt(5)
	v_lshrrev_b64 v[22:23], s52, v[10:11]
	v_and_b32_e32 v31, s13, v22
	s_movk_i32 s2, 0x44
	v_mul_lo_u32 v22, v31, s2
	v_add_u32_e32 v33, v35, v22
	v_and_b32_e32 v22, 1, v31
	v_mov_b32_e32 v23, 0
	v_lshl_add_u64 v[24:25], v[22:23], 0, -1
	v_cmp_ne_u32_e32 vcc, 0, v22
	; wave barrier
	s_nop 1
	v_xor_b32_e32 v24, vcc_lo, v24
	v_xor_b32_e32 v22, vcc_hi, v25
	v_and_b32_e32 v32, exec_lo, v24
	v_lshlrev_b32_e32 v25, 30, v31
	v_mov_b32_e32 v24, v23
	v_cmp_gt_i64_e32 vcc, 0, v[24:25]
	v_not_b32_e32 v24, v25
	v_ashrrev_i32_e32 v24, 31, v24
	v_and_b32_e32 v22, exec_hi, v22
	v_xor_b32_e32 v25, vcc_hi, v24
	v_xor_b32_e32 v24, vcc_lo, v24
	v_and_b32_e32 v22, v22, v25
	v_and_b32_e32 v32, v32, v24
	v_lshlrev_b32_e32 v25, 29, v31
	v_mov_b32_e32 v24, v23
	v_cmp_gt_i64_e32 vcc, 0, v[24:25]
	v_not_b32_e32 v24, v25
	v_ashrrev_i32_e32 v24, 31, v24
	v_xor_b32_e32 v25, vcc_hi, v24
	v_xor_b32_e32 v24, vcc_lo, v24
	v_and_b32_e32 v22, v22, v25
	v_and_b32_e32 v32, v32, v24
	v_lshlrev_b32_e32 v25, 28, v31
	v_mov_b32_e32 v24, v23
	v_cmp_gt_i64_e32 vcc, 0, v[24:25]
	v_not_b32_e32 v24, v25
	v_ashrrev_i32_e32 v24, 31, v24
	;; [unrolled: 9-line block ×6, first 2 shown]
	v_xor_b32_e32 v25, vcc_hi, v24
	v_xor_b32_e32 v24, vcc_lo, v24
	ds_read_b32 v29, v33 offset:64
	v_and_b32_e32 v24, v32, v24
	v_and_b32_e32 v25, v22, v25
	v_mbcnt_lo_u32_b32 v22, v24, 0
	v_mbcnt_hi_u32_b32 v31, v25, v22
	v_cmp_eq_u32_e32 vcc, 0, v31
	v_cmp_ne_u64_e64 s[0:1], 0, v[24:25]
	s_and_b64 s[4:5], s[0:1], vcc
	; wave barrier
	s_and_saveexec_b64 s[0:1], s[4:5]
	s_cbranch_execz .LBB538_127
; %bb.126:
	v_bcnt_u32_b32 v22, v24, 0
	v_bcnt_u32_b32 v22, v25, v22
	s_waitcnt lgkmcnt(0)
	v_add_u32_e32 v22, v29, v22
	ds_write_b32 v33, v22 offset:64
.LBB538_127:
	s_or_b64 exec, exec, s[0:1]
	s_waitcnt vmcnt(4)
	v_lshrrev_b64 v[24:25], s52, v[12:13]
	v_and_b32_e32 v34, s13, v24
	v_mul_lo_u32 v22, v34, s2
	v_add_u32_e32 v37, v35, v22
	v_and_b32_e32 v22, 1, v34
	v_lshl_add_u64 v[24:25], v[22:23], 0, -1
	v_cmp_ne_u32_e32 vcc, 0, v22
	; wave barrier
	s_nop 1
	v_xor_b32_e32 v24, vcc_lo, v24
	v_xor_b32_e32 v22, vcc_hi, v25
	v_and_b32_e32 v36, exec_lo, v24
	v_lshlrev_b32_e32 v25, 30, v34
	v_mov_b32_e32 v24, v23
	v_cmp_gt_i64_e32 vcc, 0, v[24:25]
	v_not_b32_e32 v24, v25
	v_ashrrev_i32_e32 v24, 31, v24
	v_and_b32_e32 v22, exec_hi, v22
	v_xor_b32_e32 v25, vcc_hi, v24
	v_xor_b32_e32 v24, vcc_lo, v24
	v_and_b32_e32 v22, v22, v25
	v_and_b32_e32 v36, v36, v24
	v_lshlrev_b32_e32 v25, 29, v34
	v_mov_b32_e32 v24, v23
	v_cmp_gt_i64_e32 vcc, 0, v[24:25]
	v_not_b32_e32 v24, v25
	v_ashrrev_i32_e32 v24, 31, v24
	v_xor_b32_e32 v25, vcc_hi, v24
	v_xor_b32_e32 v24, vcc_lo, v24
	v_and_b32_e32 v22, v22, v25
	v_and_b32_e32 v36, v36, v24
	v_lshlrev_b32_e32 v25, 28, v34
	v_mov_b32_e32 v24, v23
	v_cmp_gt_i64_e32 vcc, 0, v[24:25]
	v_not_b32_e32 v24, v25
	v_ashrrev_i32_e32 v24, 31, v24
	;; [unrolled: 9-line block ×5, first 2 shown]
	v_xor_b32_e32 v25, vcc_hi, v24
	v_xor_b32_e32 v24, vcc_lo, v24
	v_and_b32_e32 v22, v22, v25
	v_lshlrev_b32_e32 v25, 24, v34
	v_and_b32_e32 v36, v36, v24
	v_mov_b32_e32 v24, v23
	v_not_b32_e32 v23, v25
	v_cmp_gt_i64_e32 vcc, 0, v[24:25]
	v_ashrrev_i32_e32 v23, 31, v23
	ds_read_b32 v32, v37 offset:64
	v_xor_b32_e32 v24, vcc_hi, v23
	v_xor_b32_e32 v25, vcc_lo, v23
	v_and_b32_e32 v23, v22, v24
	v_and_b32_e32 v22, v36, v25
	v_mbcnt_lo_u32_b32 v24, v22, 0
	v_mbcnt_hi_u32_b32 v34, v23, v24
	v_cmp_eq_u32_e32 vcc, 0, v34
	v_cmp_ne_u64_e64 s[0:1], 0, v[22:23]
	s_and_b64 s[2:3], s[0:1], vcc
	; wave barrier
	s_and_saveexec_b64 s[0:1], s[2:3]
	s_cbranch_execz .LBB538_129
; %bb.128:
	v_bcnt_u32_b32 v22, v22, 0
	v_bcnt_u32_b32 v22, v23, v22
	s_waitcnt lgkmcnt(0)
	v_add_u32_e32 v22, v32, v22
	ds_write_b32 v37, v22 offset:64
.LBB538_129:
	s_or_b64 exec, exec, s[0:1]
	s_waitcnt vmcnt(3)
	v_lshrrev_b64 v[22:23], s52, v[14:15]
	v_and_b32_e32 v38, s13, v22
	s_movk_i32 s2, 0x44
	v_mul_lo_u32 v22, v38, s2
	v_add_u32_e32 v40, v35, v22
	v_and_b32_e32 v22, 1, v38
	v_mov_b32_e32 v23, 0
	v_lshl_add_u64 v[24:25], v[22:23], 0, -1
	v_cmp_ne_u32_e32 vcc, 0, v22
	; wave barrier
	s_nop 1
	v_xor_b32_e32 v24, vcc_lo, v24
	v_xor_b32_e32 v22, vcc_hi, v25
	v_and_b32_e32 v39, exec_lo, v24
	v_lshlrev_b32_e32 v25, 30, v38
	v_mov_b32_e32 v24, v23
	v_cmp_gt_i64_e32 vcc, 0, v[24:25]
	v_not_b32_e32 v24, v25
	v_ashrrev_i32_e32 v24, 31, v24
	v_and_b32_e32 v22, exec_hi, v22
	v_xor_b32_e32 v25, vcc_hi, v24
	v_xor_b32_e32 v24, vcc_lo, v24
	v_and_b32_e32 v22, v22, v25
	v_and_b32_e32 v39, v39, v24
	v_lshlrev_b32_e32 v25, 29, v38
	v_mov_b32_e32 v24, v23
	v_cmp_gt_i64_e32 vcc, 0, v[24:25]
	v_not_b32_e32 v24, v25
	v_ashrrev_i32_e32 v24, 31, v24
	v_xor_b32_e32 v25, vcc_hi, v24
	v_xor_b32_e32 v24, vcc_lo, v24
	v_and_b32_e32 v22, v22, v25
	v_and_b32_e32 v39, v39, v24
	v_lshlrev_b32_e32 v25, 28, v38
	v_mov_b32_e32 v24, v23
	v_cmp_gt_i64_e32 vcc, 0, v[24:25]
	v_not_b32_e32 v24, v25
	v_ashrrev_i32_e32 v24, 31, v24
	;; [unrolled: 9-line block ×6, first 2 shown]
	v_xor_b32_e32 v25, vcc_hi, v24
	v_xor_b32_e32 v24, vcc_lo, v24
	ds_read_b32 v36, v40 offset:64
	v_and_b32_e32 v24, v39, v24
	v_and_b32_e32 v25, v22, v25
	v_mbcnt_lo_u32_b32 v22, v24, 0
	v_mbcnt_hi_u32_b32 v38, v25, v22
	v_cmp_eq_u32_e32 vcc, 0, v38
	v_cmp_ne_u64_e64 s[0:1], 0, v[24:25]
	s_and_b64 s[4:5], s[0:1], vcc
	; wave barrier
	s_and_saveexec_b64 s[0:1], s[4:5]
	s_cbranch_execz .LBB538_131
; %bb.130:
	v_bcnt_u32_b32 v22, v24, 0
	v_bcnt_u32_b32 v22, v25, v22
	s_waitcnt lgkmcnt(0)
	v_add_u32_e32 v22, v36, v22
	ds_write_b32 v40, v22 offset:64
.LBB538_131:
	s_or_b64 exec, exec, s[0:1]
	s_waitcnt vmcnt(2)
	v_lshrrev_b64 v[24:25], s52, v[16:17]
	v_and_b32_e32 v41, s13, v24
	v_mul_lo_u32 v22, v41, s2
	v_add_u32_e32 v43, v35, v22
	v_and_b32_e32 v22, 1, v41
	v_lshl_add_u64 v[24:25], v[22:23], 0, -1
	v_cmp_ne_u32_e32 vcc, 0, v22
	; wave barrier
	s_nop 1
	v_xor_b32_e32 v24, vcc_lo, v24
	v_xor_b32_e32 v22, vcc_hi, v25
	v_and_b32_e32 v42, exec_lo, v24
	v_lshlrev_b32_e32 v25, 30, v41
	v_mov_b32_e32 v24, v23
	v_cmp_gt_i64_e32 vcc, 0, v[24:25]
	v_not_b32_e32 v24, v25
	v_ashrrev_i32_e32 v24, 31, v24
	v_and_b32_e32 v22, exec_hi, v22
	v_xor_b32_e32 v25, vcc_hi, v24
	v_xor_b32_e32 v24, vcc_lo, v24
	v_and_b32_e32 v22, v22, v25
	v_and_b32_e32 v42, v42, v24
	v_lshlrev_b32_e32 v25, 29, v41
	v_mov_b32_e32 v24, v23
	v_cmp_gt_i64_e32 vcc, 0, v[24:25]
	v_not_b32_e32 v24, v25
	v_ashrrev_i32_e32 v24, 31, v24
	v_xor_b32_e32 v25, vcc_hi, v24
	v_xor_b32_e32 v24, vcc_lo, v24
	v_and_b32_e32 v22, v22, v25
	v_and_b32_e32 v42, v42, v24
	v_lshlrev_b32_e32 v25, 28, v41
	v_mov_b32_e32 v24, v23
	v_cmp_gt_i64_e32 vcc, 0, v[24:25]
	v_not_b32_e32 v24, v25
	v_ashrrev_i32_e32 v24, 31, v24
	;; [unrolled: 9-line block ×5, first 2 shown]
	v_xor_b32_e32 v25, vcc_hi, v24
	v_xor_b32_e32 v24, vcc_lo, v24
	v_and_b32_e32 v22, v22, v25
	v_lshlrev_b32_e32 v25, 24, v41
	v_and_b32_e32 v42, v42, v24
	v_mov_b32_e32 v24, v23
	v_not_b32_e32 v23, v25
	v_cmp_gt_i64_e32 vcc, 0, v[24:25]
	v_ashrrev_i32_e32 v23, 31, v23
	ds_read_b32 v39, v43 offset:64
	v_xor_b32_e32 v24, vcc_hi, v23
	v_xor_b32_e32 v25, vcc_lo, v23
	v_and_b32_e32 v23, v22, v24
	v_and_b32_e32 v22, v42, v25
	v_mbcnt_lo_u32_b32 v24, v22, 0
	v_mbcnt_hi_u32_b32 v41, v23, v24
	v_cmp_eq_u32_e32 vcc, 0, v41
	v_cmp_ne_u64_e64 s[0:1], 0, v[22:23]
	s_and_b64 s[2:3], s[0:1], vcc
	; wave barrier
	s_and_saveexec_b64 s[0:1], s[2:3]
	s_cbranch_execz .LBB538_133
; %bb.132:
	v_bcnt_u32_b32 v22, v22, 0
	v_bcnt_u32_b32 v22, v23, v22
	s_waitcnt lgkmcnt(0)
	v_add_u32_e32 v22, v39, v22
	ds_write_b32 v43, v22 offset:64
.LBB538_133:
	s_or_b64 exec, exec, s[0:1]
	s_waitcnt vmcnt(1)
	v_lshrrev_b64 v[22:23], s52, v[18:19]
	v_and_b32_e32 v44, s13, v22
	s_movk_i32 s2, 0x44
	v_mul_lo_u32 v22, v44, s2
	v_add_u32_e32 v46, v35, v22
	v_and_b32_e32 v22, 1, v44
	v_mov_b32_e32 v23, 0
	v_lshl_add_u64 v[24:25], v[22:23], 0, -1
	v_cmp_ne_u32_e32 vcc, 0, v22
	; wave barrier
	s_nop 1
	v_xor_b32_e32 v24, vcc_lo, v24
	v_xor_b32_e32 v22, vcc_hi, v25
	v_and_b32_e32 v45, exec_lo, v24
	v_lshlrev_b32_e32 v25, 30, v44
	v_mov_b32_e32 v24, v23
	v_cmp_gt_i64_e32 vcc, 0, v[24:25]
	v_not_b32_e32 v24, v25
	v_ashrrev_i32_e32 v24, 31, v24
	v_and_b32_e32 v22, exec_hi, v22
	v_xor_b32_e32 v25, vcc_hi, v24
	v_xor_b32_e32 v24, vcc_lo, v24
	v_and_b32_e32 v22, v22, v25
	v_and_b32_e32 v45, v45, v24
	v_lshlrev_b32_e32 v25, 29, v44
	v_mov_b32_e32 v24, v23
	v_cmp_gt_i64_e32 vcc, 0, v[24:25]
	v_not_b32_e32 v24, v25
	v_ashrrev_i32_e32 v24, 31, v24
	v_xor_b32_e32 v25, vcc_hi, v24
	v_xor_b32_e32 v24, vcc_lo, v24
	v_and_b32_e32 v22, v22, v25
	v_and_b32_e32 v45, v45, v24
	v_lshlrev_b32_e32 v25, 28, v44
	v_mov_b32_e32 v24, v23
	v_cmp_gt_i64_e32 vcc, 0, v[24:25]
	v_not_b32_e32 v24, v25
	v_ashrrev_i32_e32 v24, 31, v24
	;; [unrolled: 9-line block ×6, first 2 shown]
	v_xor_b32_e32 v25, vcc_hi, v24
	v_xor_b32_e32 v24, vcc_lo, v24
	ds_read_b32 v42, v46 offset:64
	v_and_b32_e32 v24, v45, v24
	v_and_b32_e32 v25, v22, v25
	v_mbcnt_lo_u32_b32 v22, v24, 0
	v_mbcnt_hi_u32_b32 v44, v25, v22
	v_cmp_eq_u32_e32 vcc, 0, v44
	v_cmp_ne_u64_e64 s[0:1], 0, v[24:25]
	s_and_b64 s[4:5], s[0:1], vcc
	; wave barrier
	s_and_saveexec_b64 s[0:1], s[4:5]
	s_cbranch_execz .LBB538_135
; %bb.134:
	v_bcnt_u32_b32 v22, v24, 0
	v_bcnt_u32_b32 v22, v25, v22
	s_waitcnt lgkmcnt(0)
	v_add_u32_e32 v22, v42, v22
	ds_write_b32 v46, v22 offset:64
.LBB538_135:
	s_or_b64 exec, exec, s[0:1]
	s_waitcnt vmcnt(0)
	v_lshrrev_b64 v[24:25], s52, v[20:21]
	v_and_b32_e32 v47, s13, v24
	v_mul_lo_u32 v22, v47, s2
	v_add_u32_e32 v48, v35, v22
	v_and_b32_e32 v22, 1, v47
	v_lshl_add_u64 v[24:25], v[22:23], 0, -1
	v_cmp_ne_u32_e32 vcc, 0, v22
	; wave barrier
	s_nop 1
	v_xor_b32_e32 v24, vcc_lo, v24
	v_xor_b32_e32 v22, vcc_hi, v25
	v_and_b32_e32 v35, exec_lo, v24
	v_lshlrev_b32_e32 v25, 30, v47
	v_mov_b32_e32 v24, v23
	v_cmp_gt_i64_e32 vcc, 0, v[24:25]
	v_not_b32_e32 v24, v25
	v_ashrrev_i32_e32 v24, 31, v24
	v_and_b32_e32 v22, exec_hi, v22
	v_xor_b32_e32 v25, vcc_hi, v24
	v_xor_b32_e32 v24, vcc_lo, v24
	v_and_b32_e32 v22, v22, v25
	v_and_b32_e32 v35, v35, v24
	v_lshlrev_b32_e32 v25, 29, v47
	v_mov_b32_e32 v24, v23
	v_cmp_gt_i64_e32 vcc, 0, v[24:25]
	v_not_b32_e32 v24, v25
	v_ashrrev_i32_e32 v24, 31, v24
	v_xor_b32_e32 v25, vcc_hi, v24
	v_xor_b32_e32 v24, vcc_lo, v24
	v_and_b32_e32 v22, v22, v25
	v_and_b32_e32 v35, v35, v24
	v_lshlrev_b32_e32 v25, 28, v47
	v_mov_b32_e32 v24, v23
	v_cmp_gt_i64_e32 vcc, 0, v[24:25]
	v_not_b32_e32 v24, v25
	v_ashrrev_i32_e32 v24, 31, v24
	;; [unrolled: 9-line block ×5, first 2 shown]
	v_xor_b32_e32 v25, vcc_hi, v24
	v_xor_b32_e32 v24, vcc_lo, v24
	v_and_b32_e32 v22, v22, v25
	v_lshlrev_b32_e32 v25, 24, v47
	v_and_b32_e32 v35, v35, v24
	v_mov_b32_e32 v24, v23
	v_not_b32_e32 v23, v25
	v_cmp_gt_i64_e32 vcc, 0, v[24:25]
	v_ashrrev_i32_e32 v23, 31, v23
	ds_read_b32 v45, v48 offset:64
	v_xor_b32_e32 v24, vcc_hi, v23
	v_xor_b32_e32 v25, vcc_lo, v23
	v_and_b32_e32 v23, v22, v24
	v_and_b32_e32 v22, v35, v25
	v_mbcnt_lo_u32_b32 v24, v22, 0
	v_mbcnt_hi_u32_b32 v47, v23, v24
	v_cmp_eq_u32_e32 vcc, 0, v47
	v_cmp_ne_u64_e64 s[0:1], 0, v[22:23]
	s_and_b64 s[2:3], s[0:1], vcc
	; wave barrier
	s_and_saveexec_b64 s[0:1], s[2:3]
	s_cbranch_execz .LBB538_137
; %bb.136:
	v_bcnt_u32_b32 v22, v22, 0
	v_bcnt_u32_b32 v22, v23, v22
	s_waitcnt lgkmcnt(0)
	v_add_u32_e32 v22, v45, v22
	ds_write_b32 v48, v22 offset:64
.LBB538_137:
	s_or_b64 exec, exec, s[0:1]
	; wave barrier
	s_waitcnt lgkmcnt(0)
	s_barrier
	ds_read2_b32 v[24:25], v5 offset0:16 offset1:17
	ds_read2_b32 v[22:23], v5 offset0:18 offset1:19
	ds_read_b32 v35, v5 offset:80
	v_cmp_lt_u32_e64 s[6:7], 31, v26
	s_waitcnt lgkmcnt(1)
	v_add3_u32 v49, v25, v24, v22
	s_waitcnt lgkmcnt(0)
	v_add3_u32 v35, v49, v23, v35
	v_and_b32_e32 v49, 15, v26
	v_cmp_eq_u32_e32 vcc, 0, v49
	v_mov_b32_dpp v50, v35 row_shr:1 row_mask:0xf bank_mask:0xf
	v_cmp_lt_u32_e64 s[0:1], 1, v49
	v_cndmask_b32_e64 v50, v50, 0, vcc
	v_add_u32_e32 v35, v50, v35
	v_cmp_lt_u32_e64 s[2:3], 3, v49
	v_cmp_lt_u32_e64 s[4:5], 7, v49
	v_mov_b32_dpp v50, v35 row_shr:2 row_mask:0xf bank_mask:0xf
	v_cndmask_b32_e64 v50, 0, v50, s[0:1]
	v_add_u32_e32 v35, v35, v50
	s_nop 1
	v_mov_b32_dpp v50, v35 row_shr:4 row_mask:0xf bank_mask:0xf
	v_cndmask_b32_e64 v50, 0, v50, s[2:3]
	v_add_u32_e32 v35, v35, v50
	s_nop 1
	v_mov_b32_dpp v50, v35 row_shr:8 row_mask:0xf bank_mask:0xf
	v_cndmask_b32_e64 v49, 0, v50, s[4:5]
	v_add_u32_e32 v35, v35, v49
	v_bfe_i32 v50, v26, 4, 1
	s_nop 0
	v_mov_b32_dpp v49, v35 row_bcast:15 row_mask:0xf bank_mask:0xf
	v_and_b32_e32 v49, v50, v49
	v_add_u32_e32 v35, v35, v49
	v_lshrrev_b32_e32 v50, 6, v2
	s_nop 0
	v_mov_b32_dpp v49, v35 row_bcast:31 row_mask:0xf bank_mask:0xf
	v_cndmask_b32_e64 v49, 0, v49, s[6:7]
	v_add_u32_e32 v49, v35, v49
	v_and_b32_e32 v35, 63, v2
	v_cmp_eq_u32_e64 s[6:7], 63, v35
	s_and_saveexec_b64 s[10:11], s[6:7]
; %bb.138:
	v_lshlrev_b32_e32 v35, 2, v50
	ds_write_b32 v35, v49
; %bb.139:
	s_or_b64 exec, exec, s[10:11]
	v_cmp_gt_u32_e64 s[6:7], 16, v2
	v_lshlrev_b32_e32 v35, 2, v2
	s_waitcnt lgkmcnt(0)
	s_barrier
	s_and_saveexec_b64 s[10:11], s[6:7]
	s_cbranch_execz .LBB538_141
; %bb.140:
	ds_read_b32 v51, v35
	s_waitcnt lgkmcnt(0)
	s_nop 0
	v_mov_b32_dpp v52, v51 row_shr:1 row_mask:0xf bank_mask:0xf
	v_cndmask_b32_e64 v52, v52, 0, vcc
	v_add_u32_e32 v51, v52, v51
	s_nop 1
	v_mov_b32_dpp v52, v51 row_shr:2 row_mask:0xf bank_mask:0xf
	v_cndmask_b32_e64 v52, 0, v52, s[0:1]
	v_add_u32_e32 v51, v51, v52
	s_nop 1
	v_mov_b32_dpp v52, v51 row_shr:4 row_mask:0xf bank_mask:0xf
	v_cndmask_b32_e64 v52, 0, v52, s[2:3]
	;; [unrolled: 4-line block ×3, first 2 shown]
	v_add_u32_e32 v51, v51, v52
	ds_write_b32 v35, v51
.LBB538_141:
	s_or_b64 exec, exec, s[10:11]
	v_cmp_lt_u32_e32 vcc, 63, v2
	v_mov_b32_e32 v51, 0
	s_waitcnt lgkmcnt(0)
	s_barrier
	s_and_saveexec_b64 s[0:1], vcc
; %bb.142:
	v_lshl_add_u32 v50, v50, 2, -4
	ds_read_b32 v51, v50
; %bb.143:
	s_or_b64 exec, exec, s[0:1]
	v_subrev_co_u32_e32 v50, vcc, 1, v26
	v_and_b32_e32 v52, 64, v26
	v_cmp_lt_i32_e64 s[0:1], v50, v52
	s_waitcnt lgkmcnt(0)
	v_add_u32_e32 v49, v51, v49
	s_movk_i32 s2, 0x100
	v_cndmask_b32_e64 v26, v50, v26, s[0:1]
	v_lshlrev_b32_e32 v26, 2, v26
	ds_bpermute_b32 v26, v26, v49
	s_movk_i32 s0, 0xff
	s_waitcnt lgkmcnt(0)
	v_cndmask_b32_e32 v26, v26, v51, vcc
	v_cndmask_b32_e64 v26, v26, 0, s[18:19]
	v_add_u32_e32 v24, v26, v24
	v_add_u32_e32 v25, v24, v25
	;; [unrolled: 1-line block ×4, first 2 shown]
	ds_write2_b32 v5, v26, v24 offset0:16 offset1:17
	ds_write2_b32 v5, v25, v22 offset0:18 offset1:19
	ds_write_b32 v5, v23 offset:80
	s_waitcnt lgkmcnt(0)
	s_barrier
	ds_read_b32 v52, v27 offset:64
	ds_read_b32 v5, v30 offset:64
	;; [unrolled: 1-line block ×8, first 2 shown]
	v_cmp_lt_u32_e32 vcc, s0, v2
	v_cmp_gt_u32_e64 s[0:1], s2, v2
                                        ; implicit-def: $vgpr30
                                        ; implicit-def: $vgpr33
	s_and_saveexec_b64 s[4:5], s[0:1]
	s_cbranch_execz .LBB538_147
; %bb.144:
	v_mul_u32_u24_e32 v22, 0x44, v2
	ds_read_b32 v30, v22 offset:64
	v_add_u32_e32 v23, 1, v2
	v_cmp_ne_u32_e64 s[2:3], s2, v23
	v_mov_b32_e32 v22, 0x2000
	s_and_saveexec_b64 s[6:7], s[2:3]
; %bb.145:
	v_mul_u32_u24_e32 v22, 0x44, v23
	ds_read_b32 v22, v22 offset:64
; %bb.146:
	s_or_b64 exec, exec, s[6:7]
	s_waitcnt lgkmcnt(0)
	v_sub_u32_e32 v33, v22, v30
.LBB538_147:
	s_or_b64 exec, exec, s[4:5]
	v_mov_b32_e32 v23, 0
	s_waitcnt lgkmcnt(0)
	s_barrier
	s_and_saveexec_b64 s[2:3], s[0:1]
	s_cbranch_execz .LBB538_157
; %bb.148:
	v_lshl_add_u32 v22, s33, 8, v2
	v_lshl_add_u64 v[24:25], v[22:23], 2, s[56:57]
	v_or_b32_e32 v22, 2.0, v33
	s_mov_b64 s[4:5], 0
	s_brev_b32 s14, -4
	s_mov_b32 s15, s33
	v_mov_b32_e32 v46, 0
	global_store_dword v[24:25], v22, off sc1
                                        ; implicit-def: $sgpr0_sgpr1
	s_branch .LBB538_151
.LBB538_149:                            ;   in Loop: Header=BB538_151 Depth=1
	s_or_b64 exec, exec, s[10:11]
.LBB538_150:                            ;   in Loop: Header=BB538_151 Depth=1
	s_or_b64 exec, exec, s[6:7]
	v_and_b32_e32 v26, 0x3fffffff, v22
	v_add_u32_e32 v46, v26, v46
	v_cmp_gt_i32_e64 s[0:1], -2.0, v22
	s_and_b64 s[6:7], exec, s[0:1]
	s_or_b64 s[4:5], s[6:7], s[4:5]
	s_andn2_b64 exec, exec, s[4:5]
	s_cbranch_execz .LBB538_156
.LBB538_151:                            ; =>This Loop Header: Depth=1
                                        ;     Child Loop BB538_154 Depth 2
	s_or_b64 s[0:1], s[0:1], exec
	s_cmp_eq_u32 s15, 0
	s_cbranch_scc1 .LBB538_155
; %bb.152:                              ;   in Loop: Header=BB538_151 Depth=1
	s_add_i32 s15, s15, -1
	v_lshl_or_b32 v22, s15, 8, v2
	v_lshl_add_u64 v[26:27], v[22:23], 2, s[56:57]
	global_load_dword v22, v[26:27], off sc1
	s_waitcnt vmcnt(0)
	v_cmp_gt_u32_e64 s[0:1], 2.0, v22
	s_and_saveexec_b64 s[6:7], s[0:1]
	s_cbranch_execz .LBB538_150
; %bb.153:                              ;   in Loop: Header=BB538_151 Depth=1
	s_mov_b64 s[10:11], 0
.LBB538_154:                            ;   Parent Loop BB538_151 Depth=1
                                        ; =>  This Inner Loop Header: Depth=2
	global_load_dword v22, v[26:27], off sc1
	s_waitcnt vmcnt(0)
	v_cmp_lt_u32_e64 s[0:1], s14, v22
	s_or_b64 s[10:11], s[0:1], s[10:11]
	s_andn2_b64 exec, exec, s[10:11]
	s_cbranch_execnz .LBB538_154
	s_branch .LBB538_149
.LBB538_155:                            ;   in Loop: Header=BB538_151 Depth=1
                                        ; implicit-def: $sgpr15
	s_and_b64 s[6:7], exec, s[0:1]
	s_or_b64 s[4:5], s[6:7], s[4:5]
	s_andn2_b64 exec, exec, s[4:5]
	s_cbranch_execnz .LBB538_151
.LBB538_156:
	s_or_b64 exec, exec, s[4:5]
	v_add_u32_e32 v22, v46, v33
	v_or_b32_e32 v22, 0x80000000, v22
	global_store_dword v[24:25], v22, off sc1
	global_load_dword v22, v35, s[48:49]
	v_sub_u32_e32 v23, v46, v30
	s_waitcnt vmcnt(0)
	v_add_u32_e32 v22, v23, v22
	ds_write_b32 v35, v22
.LBB538_157:
	s_or_b64 exec, exec, s[2:3]
	v_add_u32_e32 v3, v52, v3
	v_add3_u32 v22, v28, v1, v5
	v_add3_u32 v23, v31, v29, v49
	v_add3_u32 v46, v34, v32, v50
	v_add3_u32 v48, v38, v36, v51
	v_add3_u32 v52, v41, v39, v40
	v_add3_u32 v26, v44, v42, v37
	v_add3_u32 v24, v47, v45, v43
	v_mov_b32_e32 v53, 0x400
	s_mov_b32 s4, s52
	s_mov_b32 s5, s13
	s_movk_i32 s6, 0x400
	v_lshl_add_u32 v24, v24, 3, v53
	v_add3_u32 v25, v47, v43, v45
	v_lshl_add_u32 v26, v26, 3, v53
	v_add3_u32 v27, v44, v37, v42
	;; [unrolled: 2-line block ×7, first 2 shown]
	v_lshl_add_u32 v41, v3, 3, v53
	s_mov_b32 s7, 0
	s_mov_b32 s10, 0
	s_movk_i32 s11, 0x800
	v_add_u32_e32 v42, v35, v35
	v_mov_b32_e32 v23, 0
	v_mov_b32_e32 v1, v2
	s_mov_b32 s14, 0
	s_branch .LBB538_159
.LBB538_158:                            ;   in Loop: Header=BB538_159 Depth=1
	s_or_b64 exec, exec, s[2:3]
	s_waitcnt lgkmcnt(0)
	s_barrier
	ds_read2st64_b64 v[44:47], v42 offset0:2 offset1:18
	s_addk_i32 s14, 0xc000
	s_addk_i32 s10, 0xf800
	s_waitcnt lgkmcnt(0)
	v_lshrrev_b64 v[48:49], s52, v[44:45]
	v_lshrrev_b64 v[50:51], s4, v[46:47]
	v_and_b32_e32 v48, s13, v48
	v_and_b32_e32 v49, s5, v50
	v_lshlrev_b32_e32 v5, 2, v48
	ds_read_b32 v5, v5
	v_lshlrev_b32_e32 v22, 2, v49
	ds_read_b32 v43, v22
	s_waitcnt lgkmcnt(1)
	v_add_u32_e32 v22, v1, v5
	v_lshl_add_u64 v[50:51], v[22:23], 3, s[42:43]
	s_waitcnt lgkmcnt(0)
	v_add3_u32 v22, v1, v43, s6
	global_store_dwordx2 v[50:51], v[44:45], off
	v_lshl_add_u64 v[44:45], v[22:23], 3, s[42:43]
	global_store_dwordx2 v[44:45], v[46:47], off
	scratch_store_dwordx2 off, v[48:49], s7
	s_add_i32 s7, s7, 8
	s_cmp_eq_u32 s14, 0xffff0000
	v_add_u32_e32 v1, 0x800, v1
	s_barrier
	s_cbranch_scc1 .LBB538_175
.LBB538_159:                            ; =>This Inner Loop Header: Depth=1
	v_add_u32_e32 v5, s10, v3
	v_cmp_gt_u32_e64 s[0:1], s11, v5
	s_and_saveexec_b64 s[2:3], s[0:1]
; %bb.160:                              ;   in Loop: Header=BB538_159 Depth=1
	v_add_u32_e32 v5, s14, v41
	ds_write_b64 v5, v[6:7]
; %bb.161:                              ;   in Loop: Header=BB538_159 Depth=1
	s_or_b64 exec, exec, s[2:3]
	v_add_u32_e32 v5, s10, v28
	v_cmp_gt_u32_e64 s[0:1], s11, v5
	s_and_saveexec_b64 s[2:3], s[0:1]
; %bb.162:                              ;   in Loop: Header=BB538_159 Depth=1
	v_add_u32_e32 v5, s14, v31
	ds_write_b64 v5, v[8:9]
; %bb.163:                              ;   in Loop: Header=BB538_159 Depth=1
	s_or_b64 exec, exec, s[2:3]
	;; [unrolled: 8-line block ×7, first 2 shown]
	v_add_u32_e32 v5, s10, v25
	v_cmp_gt_u32_e64 s[0:1], s11, v5
	s_and_saveexec_b64 s[2:3], s[0:1]
	s_cbranch_execz .LBB538_158
; %bb.174:                              ;   in Loop: Header=BB538_159 Depth=1
	v_add_u32_e32 v5, s14, v24
	ds_write_b64 v5, v[20:21]
	s_branch .LBB538_158
.LBB538_175:
	s_add_u32 s0, s44, s8
	s_addc_u32 s1, s45, s9
	v_mov_b32_e32 v1, 0
	v_lshl_add_u64 v[6:7], s[0:1], 0, v[0:1]
	v_mov_b32_e32 v5, v1
	v_lshl_add_u64 v[20:21], v[6:7], 0, v[4:5]
	global_load_dwordx2 v[4:5], v[20:21], off
	global_load_dwordx2 v[6:7], v[20:21], off offset:512
	global_load_dwordx2 v[8:9], v[20:21], off offset:1024
	;; [unrolled: 1-line block ×7, first 2 shown]
	s_mov_b32 s4, 0
	s_mov_b32 s5, 0
	s_movk_i32 s6, 0x800
	s_movk_i32 s7, 0x400
	s_mov_b32 s8, 0
	s_branch .LBB538_177
.LBB538_176:                            ;   in Loop: Header=BB538_177 Depth=1
	s_or_b64 exec, exec, s[2:3]
	s_waitcnt lgkmcnt(0)
	s_barrier
	scratch_load_dwordx2 v[44:45], off, s4
	ds_read2st64_b64 v[20:23], v42 offset0:2 offset1:18
	s_addk_i32 s8, 0xc000
	s_addk_i32 s5, 0xf800
	s_add_i32 s4, s4, 8
	s_cmp_eq_u32 s8, 0xffff0000
	s_waitcnt vmcnt(0)
	v_lshlrev_b32_e32 v0, 2, v44
	ds_read_b32 v0, v0
	v_lshlrev_b32_e32 v43, 2, v45
	ds_read_b32 v43, v43
	s_waitcnt lgkmcnt(1)
	v_add_u32_e32 v0, v2, v0
	v_lshl_add_u64 v[44:45], v[0:1], 3, s[46:47]
	s_waitcnt lgkmcnt(0)
	v_add3_u32 v0, v2, v43, s7
	global_store_dwordx2 v[44:45], v[20:21], off
	v_lshl_add_u64 v[20:21], v[0:1], 3, s[46:47]
	v_add_u32_e32 v2, 0x800, v2
	global_store_dwordx2 v[20:21], v[22:23], off
	s_barrier
	s_cbranch_scc1 .LBB538_193
.LBB538_177:                            ; =>This Inner Loop Header: Depth=1
	v_add_u32_e32 v0, s5, v3
	v_cmp_gt_u32_e64 s[0:1], s6, v0
	s_and_saveexec_b64 s[2:3], s[0:1]
	s_cbranch_execz .LBB538_179
; %bb.178:                              ;   in Loop: Header=BB538_177 Depth=1
	v_add_u32_e32 v0, s8, v41
	s_waitcnt vmcnt(7)
	ds_write_b64 v0, v[4:5]
.LBB538_179:                            ;   in Loop: Header=BB538_177 Depth=1
	s_or_b64 exec, exec, s[2:3]
	v_add_u32_e32 v0, s5, v28
	v_cmp_gt_u32_e64 s[0:1], s6, v0
	s_and_saveexec_b64 s[2:3], s[0:1]
	s_cbranch_execz .LBB538_181
; %bb.180:                              ;   in Loop: Header=BB538_177 Depth=1
	v_add_u32_e32 v0, s8, v31
	s_waitcnt vmcnt(6)
	ds_write_b64 v0, v[6:7]
.LBB538_181:                            ;   in Loop: Header=BB538_177 Depth=1
	s_or_b64 exec, exec, s[2:3]
	;; [unrolled: 10-line block ×7, first 2 shown]
	v_add_u32_e32 v0, s5, v25
	v_cmp_gt_u32_e64 s[0:1], s6, v0
	s_and_saveexec_b64 s[2:3], s[0:1]
	s_cbranch_execz .LBB538_176
; %bb.192:                              ;   in Loop: Header=BB538_177 Depth=1
	v_add_u32_e32 v0, s8, v24
	s_waitcnt vmcnt(0)
	ds_write_b64 v0, v[18:19]
	s_branch .LBB538_176
.LBB538_193:
	s_add_i32 s12, s12, -1
	s_cmp_eq_u32 s33, s12
	s_cselect_b64 s[0:1], -1, 0
	s_xor_b64 s[2:3], vcc, -1
	s_and_b64 s[0:1], s[2:3], s[0:1]
	s_and_saveexec_b64 s[2:3], s[0:1]
	s_cbranch_execz .LBB538_195
; %bb.194:
	ds_read_b32 v0, v35
	s_waitcnt lgkmcnt(0)
	v_add3_u32 v0, v30, v33, v0
	global_store_dword v35, v0, s[50:51]
.LBB538_195:
	s_endpgm
	.section	.rodata,"a",@progbits
	.p2align	6, 0x0
	.amdhsa_kernel _ZN7rocprim17ROCPRIM_400000_NS6detail17trampoline_kernelINS0_14default_configENS1_35radix_sort_onesweep_config_selectorIyyEEZZNS1_29radix_sort_onesweep_iterationIS3_Lb0EN6thrust23THRUST_200600_302600_NS6detail15normal_iteratorINS8_10device_ptrIyEEEESD_SD_SD_jNS0_19identity_decomposerENS1_16block_id_wrapperIjLb1EEEEE10hipError_tT1_PNSt15iterator_traitsISI_E10value_typeET2_T3_PNSJ_ISO_E10value_typeET4_T5_PST_SU_PNS1_23onesweep_lookback_stateEbbT6_jjT7_P12ihipStream_tbENKUlT_T0_SI_SN_E_clISD_PySD_S15_EEDaS11_S12_SI_SN_EUlS11_E_NS1_11comp_targetILNS1_3genE6ELNS1_11target_archE950ELNS1_3gpuE13ELNS1_3repE0EEENS1_47radix_sort_onesweep_sort_config_static_selectorELNS0_4arch9wavefront6targetE1EEEvSI_
		.amdhsa_group_segment_fixed_size 53328
		.amdhsa_private_segment_fixed_size 48
		.amdhsa_kernarg_size 344
		.amdhsa_user_sgpr_count 4
		.amdhsa_user_sgpr_dispatch_ptr 1
		.amdhsa_user_sgpr_queue_ptr 0
		.amdhsa_user_sgpr_kernarg_segment_ptr 1
		.amdhsa_user_sgpr_dispatch_id 0
		.amdhsa_user_sgpr_kernarg_preload_length 0
		.amdhsa_user_sgpr_kernarg_preload_offset 0
		.amdhsa_user_sgpr_private_segment_size 0
		.amdhsa_uses_dynamic_stack 0
		.amdhsa_enable_private_segment 1
		.amdhsa_system_sgpr_workgroup_id_x 1
		.amdhsa_system_sgpr_workgroup_id_y 0
		.amdhsa_system_sgpr_workgroup_id_z 0
		.amdhsa_system_sgpr_workgroup_info 0
		.amdhsa_system_vgpr_workitem_id 2
		.amdhsa_next_free_vgpr 58
		.amdhsa_next_free_sgpr 61
		.amdhsa_accum_offset 60
		.amdhsa_reserve_vcc 1
		.amdhsa_float_round_mode_32 0
		.amdhsa_float_round_mode_16_64 0
		.amdhsa_float_denorm_mode_32 3
		.amdhsa_float_denorm_mode_16_64 3
		.amdhsa_dx10_clamp 1
		.amdhsa_ieee_mode 1
		.amdhsa_fp16_overflow 0
		.amdhsa_tg_split 0
		.amdhsa_exception_fp_ieee_invalid_op 0
		.amdhsa_exception_fp_denorm_src 0
		.amdhsa_exception_fp_ieee_div_zero 0
		.amdhsa_exception_fp_ieee_overflow 0
		.amdhsa_exception_fp_ieee_underflow 0
		.amdhsa_exception_fp_ieee_inexact 0
		.amdhsa_exception_int_div_zero 0
	.end_amdhsa_kernel
	.section	.text._ZN7rocprim17ROCPRIM_400000_NS6detail17trampoline_kernelINS0_14default_configENS1_35radix_sort_onesweep_config_selectorIyyEEZZNS1_29radix_sort_onesweep_iterationIS3_Lb0EN6thrust23THRUST_200600_302600_NS6detail15normal_iteratorINS8_10device_ptrIyEEEESD_SD_SD_jNS0_19identity_decomposerENS1_16block_id_wrapperIjLb1EEEEE10hipError_tT1_PNSt15iterator_traitsISI_E10value_typeET2_T3_PNSJ_ISO_E10value_typeET4_T5_PST_SU_PNS1_23onesweep_lookback_stateEbbT6_jjT7_P12ihipStream_tbENKUlT_T0_SI_SN_E_clISD_PySD_S15_EEDaS11_S12_SI_SN_EUlS11_E_NS1_11comp_targetILNS1_3genE6ELNS1_11target_archE950ELNS1_3gpuE13ELNS1_3repE0EEENS1_47radix_sort_onesweep_sort_config_static_selectorELNS0_4arch9wavefront6targetE1EEEvSI_,"axG",@progbits,_ZN7rocprim17ROCPRIM_400000_NS6detail17trampoline_kernelINS0_14default_configENS1_35radix_sort_onesweep_config_selectorIyyEEZZNS1_29radix_sort_onesweep_iterationIS3_Lb0EN6thrust23THRUST_200600_302600_NS6detail15normal_iteratorINS8_10device_ptrIyEEEESD_SD_SD_jNS0_19identity_decomposerENS1_16block_id_wrapperIjLb1EEEEE10hipError_tT1_PNSt15iterator_traitsISI_E10value_typeET2_T3_PNSJ_ISO_E10value_typeET4_T5_PST_SU_PNS1_23onesweep_lookback_stateEbbT6_jjT7_P12ihipStream_tbENKUlT_T0_SI_SN_E_clISD_PySD_S15_EEDaS11_S12_SI_SN_EUlS11_E_NS1_11comp_targetILNS1_3genE6ELNS1_11target_archE950ELNS1_3gpuE13ELNS1_3repE0EEENS1_47radix_sort_onesweep_sort_config_static_selectorELNS0_4arch9wavefront6targetE1EEEvSI_,comdat
.Lfunc_end538:
	.size	_ZN7rocprim17ROCPRIM_400000_NS6detail17trampoline_kernelINS0_14default_configENS1_35radix_sort_onesweep_config_selectorIyyEEZZNS1_29radix_sort_onesweep_iterationIS3_Lb0EN6thrust23THRUST_200600_302600_NS6detail15normal_iteratorINS8_10device_ptrIyEEEESD_SD_SD_jNS0_19identity_decomposerENS1_16block_id_wrapperIjLb1EEEEE10hipError_tT1_PNSt15iterator_traitsISI_E10value_typeET2_T3_PNSJ_ISO_E10value_typeET4_T5_PST_SU_PNS1_23onesweep_lookback_stateEbbT6_jjT7_P12ihipStream_tbENKUlT_T0_SI_SN_E_clISD_PySD_S15_EEDaS11_S12_SI_SN_EUlS11_E_NS1_11comp_targetILNS1_3genE6ELNS1_11target_archE950ELNS1_3gpuE13ELNS1_3repE0EEENS1_47radix_sort_onesweep_sort_config_static_selectorELNS0_4arch9wavefront6targetE1EEEvSI_, .Lfunc_end538-_ZN7rocprim17ROCPRIM_400000_NS6detail17trampoline_kernelINS0_14default_configENS1_35radix_sort_onesweep_config_selectorIyyEEZZNS1_29radix_sort_onesweep_iterationIS3_Lb0EN6thrust23THRUST_200600_302600_NS6detail15normal_iteratorINS8_10device_ptrIyEEEESD_SD_SD_jNS0_19identity_decomposerENS1_16block_id_wrapperIjLb1EEEEE10hipError_tT1_PNSt15iterator_traitsISI_E10value_typeET2_T3_PNSJ_ISO_E10value_typeET4_T5_PST_SU_PNS1_23onesweep_lookback_stateEbbT6_jjT7_P12ihipStream_tbENKUlT_T0_SI_SN_E_clISD_PySD_S15_EEDaS11_S12_SI_SN_EUlS11_E_NS1_11comp_targetILNS1_3genE6ELNS1_11target_archE950ELNS1_3gpuE13ELNS1_3repE0EEENS1_47radix_sort_onesweep_sort_config_static_selectorELNS0_4arch9wavefront6targetE1EEEvSI_
                                        ; -- End function
	.set _ZN7rocprim17ROCPRIM_400000_NS6detail17trampoline_kernelINS0_14default_configENS1_35radix_sort_onesweep_config_selectorIyyEEZZNS1_29radix_sort_onesweep_iterationIS3_Lb0EN6thrust23THRUST_200600_302600_NS6detail15normal_iteratorINS8_10device_ptrIyEEEESD_SD_SD_jNS0_19identity_decomposerENS1_16block_id_wrapperIjLb1EEEEE10hipError_tT1_PNSt15iterator_traitsISI_E10value_typeET2_T3_PNSJ_ISO_E10value_typeET4_T5_PST_SU_PNS1_23onesweep_lookback_stateEbbT6_jjT7_P12ihipStream_tbENKUlT_T0_SI_SN_E_clISD_PySD_S15_EEDaS11_S12_SI_SN_EUlS11_E_NS1_11comp_targetILNS1_3genE6ELNS1_11target_archE950ELNS1_3gpuE13ELNS1_3repE0EEENS1_47radix_sort_onesweep_sort_config_static_selectorELNS0_4arch9wavefront6targetE1EEEvSI_.num_vgpr, 58
	.set _ZN7rocprim17ROCPRIM_400000_NS6detail17trampoline_kernelINS0_14default_configENS1_35radix_sort_onesweep_config_selectorIyyEEZZNS1_29radix_sort_onesweep_iterationIS3_Lb0EN6thrust23THRUST_200600_302600_NS6detail15normal_iteratorINS8_10device_ptrIyEEEESD_SD_SD_jNS0_19identity_decomposerENS1_16block_id_wrapperIjLb1EEEEE10hipError_tT1_PNSt15iterator_traitsISI_E10value_typeET2_T3_PNSJ_ISO_E10value_typeET4_T5_PST_SU_PNS1_23onesweep_lookback_stateEbbT6_jjT7_P12ihipStream_tbENKUlT_T0_SI_SN_E_clISD_PySD_S15_EEDaS11_S12_SI_SN_EUlS11_E_NS1_11comp_targetILNS1_3genE6ELNS1_11target_archE950ELNS1_3gpuE13ELNS1_3repE0EEENS1_47radix_sort_onesweep_sort_config_static_selectorELNS0_4arch9wavefront6targetE1EEEvSI_.num_agpr, 0
	.set _ZN7rocprim17ROCPRIM_400000_NS6detail17trampoline_kernelINS0_14default_configENS1_35radix_sort_onesweep_config_selectorIyyEEZZNS1_29radix_sort_onesweep_iterationIS3_Lb0EN6thrust23THRUST_200600_302600_NS6detail15normal_iteratorINS8_10device_ptrIyEEEESD_SD_SD_jNS0_19identity_decomposerENS1_16block_id_wrapperIjLb1EEEEE10hipError_tT1_PNSt15iterator_traitsISI_E10value_typeET2_T3_PNSJ_ISO_E10value_typeET4_T5_PST_SU_PNS1_23onesweep_lookback_stateEbbT6_jjT7_P12ihipStream_tbENKUlT_T0_SI_SN_E_clISD_PySD_S15_EEDaS11_S12_SI_SN_EUlS11_E_NS1_11comp_targetILNS1_3genE6ELNS1_11target_archE950ELNS1_3gpuE13ELNS1_3repE0EEENS1_47radix_sort_onesweep_sort_config_static_selectorELNS0_4arch9wavefront6targetE1EEEvSI_.numbered_sgpr, 61
	.set _ZN7rocprim17ROCPRIM_400000_NS6detail17trampoline_kernelINS0_14default_configENS1_35radix_sort_onesweep_config_selectorIyyEEZZNS1_29radix_sort_onesweep_iterationIS3_Lb0EN6thrust23THRUST_200600_302600_NS6detail15normal_iteratorINS8_10device_ptrIyEEEESD_SD_SD_jNS0_19identity_decomposerENS1_16block_id_wrapperIjLb1EEEEE10hipError_tT1_PNSt15iterator_traitsISI_E10value_typeET2_T3_PNSJ_ISO_E10value_typeET4_T5_PST_SU_PNS1_23onesweep_lookback_stateEbbT6_jjT7_P12ihipStream_tbENKUlT_T0_SI_SN_E_clISD_PySD_S15_EEDaS11_S12_SI_SN_EUlS11_E_NS1_11comp_targetILNS1_3genE6ELNS1_11target_archE950ELNS1_3gpuE13ELNS1_3repE0EEENS1_47radix_sort_onesweep_sort_config_static_selectorELNS0_4arch9wavefront6targetE1EEEvSI_.num_named_barrier, 0
	.set _ZN7rocprim17ROCPRIM_400000_NS6detail17trampoline_kernelINS0_14default_configENS1_35radix_sort_onesweep_config_selectorIyyEEZZNS1_29radix_sort_onesweep_iterationIS3_Lb0EN6thrust23THRUST_200600_302600_NS6detail15normal_iteratorINS8_10device_ptrIyEEEESD_SD_SD_jNS0_19identity_decomposerENS1_16block_id_wrapperIjLb1EEEEE10hipError_tT1_PNSt15iterator_traitsISI_E10value_typeET2_T3_PNSJ_ISO_E10value_typeET4_T5_PST_SU_PNS1_23onesweep_lookback_stateEbbT6_jjT7_P12ihipStream_tbENKUlT_T0_SI_SN_E_clISD_PySD_S15_EEDaS11_S12_SI_SN_EUlS11_E_NS1_11comp_targetILNS1_3genE6ELNS1_11target_archE950ELNS1_3gpuE13ELNS1_3repE0EEENS1_47radix_sort_onesweep_sort_config_static_selectorELNS0_4arch9wavefront6targetE1EEEvSI_.private_seg_size, 48
	.set _ZN7rocprim17ROCPRIM_400000_NS6detail17trampoline_kernelINS0_14default_configENS1_35radix_sort_onesweep_config_selectorIyyEEZZNS1_29radix_sort_onesweep_iterationIS3_Lb0EN6thrust23THRUST_200600_302600_NS6detail15normal_iteratorINS8_10device_ptrIyEEEESD_SD_SD_jNS0_19identity_decomposerENS1_16block_id_wrapperIjLb1EEEEE10hipError_tT1_PNSt15iterator_traitsISI_E10value_typeET2_T3_PNSJ_ISO_E10value_typeET4_T5_PST_SU_PNS1_23onesweep_lookback_stateEbbT6_jjT7_P12ihipStream_tbENKUlT_T0_SI_SN_E_clISD_PySD_S15_EEDaS11_S12_SI_SN_EUlS11_E_NS1_11comp_targetILNS1_3genE6ELNS1_11target_archE950ELNS1_3gpuE13ELNS1_3repE0EEENS1_47radix_sort_onesweep_sort_config_static_selectorELNS0_4arch9wavefront6targetE1EEEvSI_.uses_vcc, 1
	.set _ZN7rocprim17ROCPRIM_400000_NS6detail17trampoline_kernelINS0_14default_configENS1_35radix_sort_onesweep_config_selectorIyyEEZZNS1_29radix_sort_onesweep_iterationIS3_Lb0EN6thrust23THRUST_200600_302600_NS6detail15normal_iteratorINS8_10device_ptrIyEEEESD_SD_SD_jNS0_19identity_decomposerENS1_16block_id_wrapperIjLb1EEEEE10hipError_tT1_PNSt15iterator_traitsISI_E10value_typeET2_T3_PNSJ_ISO_E10value_typeET4_T5_PST_SU_PNS1_23onesweep_lookback_stateEbbT6_jjT7_P12ihipStream_tbENKUlT_T0_SI_SN_E_clISD_PySD_S15_EEDaS11_S12_SI_SN_EUlS11_E_NS1_11comp_targetILNS1_3genE6ELNS1_11target_archE950ELNS1_3gpuE13ELNS1_3repE0EEENS1_47radix_sort_onesweep_sort_config_static_selectorELNS0_4arch9wavefront6targetE1EEEvSI_.uses_flat_scratch, 0
	.set _ZN7rocprim17ROCPRIM_400000_NS6detail17trampoline_kernelINS0_14default_configENS1_35radix_sort_onesweep_config_selectorIyyEEZZNS1_29radix_sort_onesweep_iterationIS3_Lb0EN6thrust23THRUST_200600_302600_NS6detail15normal_iteratorINS8_10device_ptrIyEEEESD_SD_SD_jNS0_19identity_decomposerENS1_16block_id_wrapperIjLb1EEEEE10hipError_tT1_PNSt15iterator_traitsISI_E10value_typeET2_T3_PNSJ_ISO_E10value_typeET4_T5_PST_SU_PNS1_23onesweep_lookback_stateEbbT6_jjT7_P12ihipStream_tbENKUlT_T0_SI_SN_E_clISD_PySD_S15_EEDaS11_S12_SI_SN_EUlS11_E_NS1_11comp_targetILNS1_3genE6ELNS1_11target_archE950ELNS1_3gpuE13ELNS1_3repE0EEENS1_47radix_sort_onesweep_sort_config_static_selectorELNS0_4arch9wavefront6targetE1EEEvSI_.has_dyn_sized_stack, 0
	.set _ZN7rocprim17ROCPRIM_400000_NS6detail17trampoline_kernelINS0_14default_configENS1_35radix_sort_onesweep_config_selectorIyyEEZZNS1_29radix_sort_onesweep_iterationIS3_Lb0EN6thrust23THRUST_200600_302600_NS6detail15normal_iteratorINS8_10device_ptrIyEEEESD_SD_SD_jNS0_19identity_decomposerENS1_16block_id_wrapperIjLb1EEEEE10hipError_tT1_PNSt15iterator_traitsISI_E10value_typeET2_T3_PNSJ_ISO_E10value_typeET4_T5_PST_SU_PNS1_23onesweep_lookback_stateEbbT6_jjT7_P12ihipStream_tbENKUlT_T0_SI_SN_E_clISD_PySD_S15_EEDaS11_S12_SI_SN_EUlS11_E_NS1_11comp_targetILNS1_3genE6ELNS1_11target_archE950ELNS1_3gpuE13ELNS1_3repE0EEENS1_47radix_sort_onesweep_sort_config_static_selectorELNS0_4arch9wavefront6targetE1EEEvSI_.has_recursion, 0
	.set _ZN7rocprim17ROCPRIM_400000_NS6detail17trampoline_kernelINS0_14default_configENS1_35radix_sort_onesweep_config_selectorIyyEEZZNS1_29radix_sort_onesweep_iterationIS3_Lb0EN6thrust23THRUST_200600_302600_NS6detail15normal_iteratorINS8_10device_ptrIyEEEESD_SD_SD_jNS0_19identity_decomposerENS1_16block_id_wrapperIjLb1EEEEE10hipError_tT1_PNSt15iterator_traitsISI_E10value_typeET2_T3_PNSJ_ISO_E10value_typeET4_T5_PST_SU_PNS1_23onesweep_lookback_stateEbbT6_jjT7_P12ihipStream_tbENKUlT_T0_SI_SN_E_clISD_PySD_S15_EEDaS11_S12_SI_SN_EUlS11_E_NS1_11comp_targetILNS1_3genE6ELNS1_11target_archE950ELNS1_3gpuE13ELNS1_3repE0EEENS1_47radix_sort_onesweep_sort_config_static_selectorELNS0_4arch9wavefront6targetE1EEEvSI_.has_indirect_call, 0
	.section	.AMDGPU.csdata,"",@progbits
; Kernel info:
; codeLenInByte = 12676
; TotalNumSgprs: 67
; NumVgprs: 58
; NumAgprs: 0
; TotalNumVgprs: 58
; ScratchSize: 48
; MemoryBound: 0
; FloatMode: 240
; IeeeMode: 1
; LDSByteSize: 53328 bytes/workgroup (compile time only)
; SGPRBlocks: 8
; VGPRBlocks: 7
; NumSGPRsForWavesPerEU: 67
; NumVGPRsForWavesPerEU: 58
; AccumOffset: 60
; Occupancy: 8
; WaveLimiterHint : 1
; COMPUTE_PGM_RSRC2:SCRATCH_EN: 1
; COMPUTE_PGM_RSRC2:USER_SGPR: 4
; COMPUTE_PGM_RSRC2:TRAP_HANDLER: 0
; COMPUTE_PGM_RSRC2:TGID_X_EN: 1
; COMPUTE_PGM_RSRC2:TGID_Y_EN: 0
; COMPUTE_PGM_RSRC2:TGID_Z_EN: 0
; COMPUTE_PGM_RSRC2:TIDIG_COMP_CNT: 2
; COMPUTE_PGM_RSRC3_GFX90A:ACCUM_OFFSET: 14
; COMPUTE_PGM_RSRC3_GFX90A:TG_SPLIT: 0
	.section	.text._ZN7rocprim17ROCPRIM_400000_NS6detail17trampoline_kernelINS0_14default_configENS1_35radix_sort_onesweep_config_selectorIyyEEZZNS1_29radix_sort_onesweep_iterationIS3_Lb0EN6thrust23THRUST_200600_302600_NS6detail15normal_iteratorINS8_10device_ptrIyEEEESD_SD_SD_jNS0_19identity_decomposerENS1_16block_id_wrapperIjLb1EEEEE10hipError_tT1_PNSt15iterator_traitsISI_E10value_typeET2_T3_PNSJ_ISO_E10value_typeET4_T5_PST_SU_PNS1_23onesweep_lookback_stateEbbT6_jjT7_P12ihipStream_tbENKUlT_T0_SI_SN_E_clISD_PySD_S15_EEDaS11_S12_SI_SN_EUlS11_E_NS1_11comp_targetILNS1_3genE5ELNS1_11target_archE942ELNS1_3gpuE9ELNS1_3repE0EEENS1_47radix_sort_onesweep_sort_config_static_selectorELNS0_4arch9wavefront6targetE1EEEvSI_,"axG",@progbits,_ZN7rocprim17ROCPRIM_400000_NS6detail17trampoline_kernelINS0_14default_configENS1_35radix_sort_onesweep_config_selectorIyyEEZZNS1_29radix_sort_onesweep_iterationIS3_Lb0EN6thrust23THRUST_200600_302600_NS6detail15normal_iteratorINS8_10device_ptrIyEEEESD_SD_SD_jNS0_19identity_decomposerENS1_16block_id_wrapperIjLb1EEEEE10hipError_tT1_PNSt15iterator_traitsISI_E10value_typeET2_T3_PNSJ_ISO_E10value_typeET4_T5_PST_SU_PNS1_23onesweep_lookback_stateEbbT6_jjT7_P12ihipStream_tbENKUlT_T0_SI_SN_E_clISD_PySD_S15_EEDaS11_S12_SI_SN_EUlS11_E_NS1_11comp_targetILNS1_3genE5ELNS1_11target_archE942ELNS1_3gpuE9ELNS1_3repE0EEENS1_47radix_sort_onesweep_sort_config_static_selectorELNS0_4arch9wavefront6targetE1EEEvSI_,comdat
	.protected	_ZN7rocprim17ROCPRIM_400000_NS6detail17trampoline_kernelINS0_14default_configENS1_35radix_sort_onesweep_config_selectorIyyEEZZNS1_29radix_sort_onesweep_iterationIS3_Lb0EN6thrust23THRUST_200600_302600_NS6detail15normal_iteratorINS8_10device_ptrIyEEEESD_SD_SD_jNS0_19identity_decomposerENS1_16block_id_wrapperIjLb1EEEEE10hipError_tT1_PNSt15iterator_traitsISI_E10value_typeET2_T3_PNSJ_ISO_E10value_typeET4_T5_PST_SU_PNS1_23onesweep_lookback_stateEbbT6_jjT7_P12ihipStream_tbENKUlT_T0_SI_SN_E_clISD_PySD_S15_EEDaS11_S12_SI_SN_EUlS11_E_NS1_11comp_targetILNS1_3genE5ELNS1_11target_archE942ELNS1_3gpuE9ELNS1_3repE0EEENS1_47radix_sort_onesweep_sort_config_static_selectorELNS0_4arch9wavefront6targetE1EEEvSI_ ; -- Begin function _ZN7rocprim17ROCPRIM_400000_NS6detail17trampoline_kernelINS0_14default_configENS1_35radix_sort_onesweep_config_selectorIyyEEZZNS1_29radix_sort_onesweep_iterationIS3_Lb0EN6thrust23THRUST_200600_302600_NS6detail15normal_iteratorINS8_10device_ptrIyEEEESD_SD_SD_jNS0_19identity_decomposerENS1_16block_id_wrapperIjLb1EEEEE10hipError_tT1_PNSt15iterator_traitsISI_E10value_typeET2_T3_PNSJ_ISO_E10value_typeET4_T5_PST_SU_PNS1_23onesweep_lookback_stateEbbT6_jjT7_P12ihipStream_tbENKUlT_T0_SI_SN_E_clISD_PySD_S15_EEDaS11_S12_SI_SN_EUlS11_E_NS1_11comp_targetILNS1_3genE5ELNS1_11target_archE942ELNS1_3gpuE9ELNS1_3repE0EEENS1_47radix_sort_onesweep_sort_config_static_selectorELNS0_4arch9wavefront6targetE1EEEvSI_
	.globl	_ZN7rocprim17ROCPRIM_400000_NS6detail17trampoline_kernelINS0_14default_configENS1_35radix_sort_onesweep_config_selectorIyyEEZZNS1_29radix_sort_onesweep_iterationIS3_Lb0EN6thrust23THRUST_200600_302600_NS6detail15normal_iteratorINS8_10device_ptrIyEEEESD_SD_SD_jNS0_19identity_decomposerENS1_16block_id_wrapperIjLb1EEEEE10hipError_tT1_PNSt15iterator_traitsISI_E10value_typeET2_T3_PNSJ_ISO_E10value_typeET4_T5_PST_SU_PNS1_23onesweep_lookback_stateEbbT6_jjT7_P12ihipStream_tbENKUlT_T0_SI_SN_E_clISD_PySD_S15_EEDaS11_S12_SI_SN_EUlS11_E_NS1_11comp_targetILNS1_3genE5ELNS1_11target_archE942ELNS1_3gpuE9ELNS1_3repE0EEENS1_47radix_sort_onesweep_sort_config_static_selectorELNS0_4arch9wavefront6targetE1EEEvSI_
	.p2align	8
	.type	_ZN7rocprim17ROCPRIM_400000_NS6detail17trampoline_kernelINS0_14default_configENS1_35radix_sort_onesweep_config_selectorIyyEEZZNS1_29radix_sort_onesweep_iterationIS3_Lb0EN6thrust23THRUST_200600_302600_NS6detail15normal_iteratorINS8_10device_ptrIyEEEESD_SD_SD_jNS0_19identity_decomposerENS1_16block_id_wrapperIjLb1EEEEE10hipError_tT1_PNSt15iterator_traitsISI_E10value_typeET2_T3_PNSJ_ISO_E10value_typeET4_T5_PST_SU_PNS1_23onesweep_lookback_stateEbbT6_jjT7_P12ihipStream_tbENKUlT_T0_SI_SN_E_clISD_PySD_S15_EEDaS11_S12_SI_SN_EUlS11_E_NS1_11comp_targetILNS1_3genE5ELNS1_11target_archE942ELNS1_3gpuE9ELNS1_3repE0EEENS1_47radix_sort_onesweep_sort_config_static_selectorELNS0_4arch9wavefront6targetE1EEEvSI_,@function
_ZN7rocprim17ROCPRIM_400000_NS6detail17trampoline_kernelINS0_14default_configENS1_35radix_sort_onesweep_config_selectorIyyEEZZNS1_29radix_sort_onesweep_iterationIS3_Lb0EN6thrust23THRUST_200600_302600_NS6detail15normal_iteratorINS8_10device_ptrIyEEEESD_SD_SD_jNS0_19identity_decomposerENS1_16block_id_wrapperIjLb1EEEEE10hipError_tT1_PNSt15iterator_traitsISI_E10value_typeET2_T3_PNSJ_ISO_E10value_typeET4_T5_PST_SU_PNS1_23onesweep_lookback_stateEbbT6_jjT7_P12ihipStream_tbENKUlT_T0_SI_SN_E_clISD_PySD_S15_EEDaS11_S12_SI_SN_EUlS11_E_NS1_11comp_targetILNS1_3genE5ELNS1_11target_archE942ELNS1_3gpuE9ELNS1_3repE0EEENS1_47radix_sort_onesweep_sort_config_static_selectorELNS0_4arch9wavefront6targetE1EEEvSI_: ; @_ZN7rocprim17ROCPRIM_400000_NS6detail17trampoline_kernelINS0_14default_configENS1_35radix_sort_onesweep_config_selectorIyyEEZZNS1_29radix_sort_onesweep_iterationIS3_Lb0EN6thrust23THRUST_200600_302600_NS6detail15normal_iteratorINS8_10device_ptrIyEEEESD_SD_SD_jNS0_19identity_decomposerENS1_16block_id_wrapperIjLb1EEEEE10hipError_tT1_PNSt15iterator_traitsISI_E10value_typeET2_T3_PNSJ_ISO_E10value_typeET4_T5_PST_SU_PNS1_23onesweep_lookback_stateEbbT6_jjT7_P12ihipStream_tbENKUlT_T0_SI_SN_E_clISD_PySD_S15_EEDaS11_S12_SI_SN_EUlS11_E_NS1_11comp_targetILNS1_3genE5ELNS1_11target_archE942ELNS1_3gpuE9ELNS1_3repE0EEENS1_47radix_sort_onesweep_sort_config_static_selectorELNS0_4arch9wavefront6targetE1EEEvSI_
; %bb.0:
	.section	.rodata,"a",@progbits
	.p2align	6, 0x0
	.amdhsa_kernel _ZN7rocprim17ROCPRIM_400000_NS6detail17trampoline_kernelINS0_14default_configENS1_35radix_sort_onesweep_config_selectorIyyEEZZNS1_29radix_sort_onesweep_iterationIS3_Lb0EN6thrust23THRUST_200600_302600_NS6detail15normal_iteratorINS8_10device_ptrIyEEEESD_SD_SD_jNS0_19identity_decomposerENS1_16block_id_wrapperIjLb1EEEEE10hipError_tT1_PNSt15iterator_traitsISI_E10value_typeET2_T3_PNSJ_ISO_E10value_typeET4_T5_PST_SU_PNS1_23onesweep_lookback_stateEbbT6_jjT7_P12ihipStream_tbENKUlT_T0_SI_SN_E_clISD_PySD_S15_EEDaS11_S12_SI_SN_EUlS11_E_NS1_11comp_targetILNS1_3genE5ELNS1_11target_archE942ELNS1_3gpuE9ELNS1_3repE0EEENS1_47radix_sort_onesweep_sort_config_static_selectorELNS0_4arch9wavefront6targetE1EEEvSI_
		.amdhsa_group_segment_fixed_size 0
		.amdhsa_private_segment_fixed_size 0
		.amdhsa_kernarg_size 88
		.amdhsa_user_sgpr_count 2
		.amdhsa_user_sgpr_dispatch_ptr 0
		.amdhsa_user_sgpr_queue_ptr 0
		.amdhsa_user_sgpr_kernarg_segment_ptr 1
		.amdhsa_user_sgpr_dispatch_id 0
		.amdhsa_user_sgpr_kernarg_preload_length 0
		.amdhsa_user_sgpr_kernarg_preload_offset 0
		.amdhsa_user_sgpr_private_segment_size 0
		.amdhsa_uses_dynamic_stack 0
		.amdhsa_enable_private_segment 0
		.amdhsa_system_sgpr_workgroup_id_x 1
		.amdhsa_system_sgpr_workgroup_id_y 0
		.amdhsa_system_sgpr_workgroup_id_z 0
		.amdhsa_system_sgpr_workgroup_info 0
		.amdhsa_system_vgpr_workitem_id 0
		.amdhsa_next_free_vgpr 1
		.amdhsa_next_free_sgpr 0
		.amdhsa_accum_offset 4
		.amdhsa_reserve_vcc 0
		.amdhsa_float_round_mode_32 0
		.amdhsa_float_round_mode_16_64 0
		.amdhsa_float_denorm_mode_32 3
		.amdhsa_float_denorm_mode_16_64 3
		.amdhsa_dx10_clamp 1
		.amdhsa_ieee_mode 1
		.amdhsa_fp16_overflow 0
		.amdhsa_tg_split 0
		.amdhsa_exception_fp_ieee_invalid_op 0
		.amdhsa_exception_fp_denorm_src 0
		.amdhsa_exception_fp_ieee_div_zero 0
		.amdhsa_exception_fp_ieee_overflow 0
		.amdhsa_exception_fp_ieee_underflow 0
		.amdhsa_exception_fp_ieee_inexact 0
		.amdhsa_exception_int_div_zero 0
	.end_amdhsa_kernel
	.section	.text._ZN7rocprim17ROCPRIM_400000_NS6detail17trampoline_kernelINS0_14default_configENS1_35radix_sort_onesweep_config_selectorIyyEEZZNS1_29radix_sort_onesweep_iterationIS3_Lb0EN6thrust23THRUST_200600_302600_NS6detail15normal_iteratorINS8_10device_ptrIyEEEESD_SD_SD_jNS0_19identity_decomposerENS1_16block_id_wrapperIjLb1EEEEE10hipError_tT1_PNSt15iterator_traitsISI_E10value_typeET2_T3_PNSJ_ISO_E10value_typeET4_T5_PST_SU_PNS1_23onesweep_lookback_stateEbbT6_jjT7_P12ihipStream_tbENKUlT_T0_SI_SN_E_clISD_PySD_S15_EEDaS11_S12_SI_SN_EUlS11_E_NS1_11comp_targetILNS1_3genE5ELNS1_11target_archE942ELNS1_3gpuE9ELNS1_3repE0EEENS1_47radix_sort_onesweep_sort_config_static_selectorELNS0_4arch9wavefront6targetE1EEEvSI_,"axG",@progbits,_ZN7rocprim17ROCPRIM_400000_NS6detail17trampoline_kernelINS0_14default_configENS1_35radix_sort_onesweep_config_selectorIyyEEZZNS1_29radix_sort_onesweep_iterationIS3_Lb0EN6thrust23THRUST_200600_302600_NS6detail15normal_iteratorINS8_10device_ptrIyEEEESD_SD_SD_jNS0_19identity_decomposerENS1_16block_id_wrapperIjLb1EEEEE10hipError_tT1_PNSt15iterator_traitsISI_E10value_typeET2_T3_PNSJ_ISO_E10value_typeET4_T5_PST_SU_PNS1_23onesweep_lookback_stateEbbT6_jjT7_P12ihipStream_tbENKUlT_T0_SI_SN_E_clISD_PySD_S15_EEDaS11_S12_SI_SN_EUlS11_E_NS1_11comp_targetILNS1_3genE5ELNS1_11target_archE942ELNS1_3gpuE9ELNS1_3repE0EEENS1_47radix_sort_onesweep_sort_config_static_selectorELNS0_4arch9wavefront6targetE1EEEvSI_,comdat
.Lfunc_end539:
	.size	_ZN7rocprim17ROCPRIM_400000_NS6detail17trampoline_kernelINS0_14default_configENS1_35radix_sort_onesweep_config_selectorIyyEEZZNS1_29radix_sort_onesweep_iterationIS3_Lb0EN6thrust23THRUST_200600_302600_NS6detail15normal_iteratorINS8_10device_ptrIyEEEESD_SD_SD_jNS0_19identity_decomposerENS1_16block_id_wrapperIjLb1EEEEE10hipError_tT1_PNSt15iterator_traitsISI_E10value_typeET2_T3_PNSJ_ISO_E10value_typeET4_T5_PST_SU_PNS1_23onesweep_lookback_stateEbbT6_jjT7_P12ihipStream_tbENKUlT_T0_SI_SN_E_clISD_PySD_S15_EEDaS11_S12_SI_SN_EUlS11_E_NS1_11comp_targetILNS1_3genE5ELNS1_11target_archE942ELNS1_3gpuE9ELNS1_3repE0EEENS1_47radix_sort_onesweep_sort_config_static_selectorELNS0_4arch9wavefront6targetE1EEEvSI_, .Lfunc_end539-_ZN7rocprim17ROCPRIM_400000_NS6detail17trampoline_kernelINS0_14default_configENS1_35radix_sort_onesweep_config_selectorIyyEEZZNS1_29radix_sort_onesweep_iterationIS3_Lb0EN6thrust23THRUST_200600_302600_NS6detail15normal_iteratorINS8_10device_ptrIyEEEESD_SD_SD_jNS0_19identity_decomposerENS1_16block_id_wrapperIjLb1EEEEE10hipError_tT1_PNSt15iterator_traitsISI_E10value_typeET2_T3_PNSJ_ISO_E10value_typeET4_T5_PST_SU_PNS1_23onesweep_lookback_stateEbbT6_jjT7_P12ihipStream_tbENKUlT_T0_SI_SN_E_clISD_PySD_S15_EEDaS11_S12_SI_SN_EUlS11_E_NS1_11comp_targetILNS1_3genE5ELNS1_11target_archE942ELNS1_3gpuE9ELNS1_3repE0EEENS1_47radix_sort_onesweep_sort_config_static_selectorELNS0_4arch9wavefront6targetE1EEEvSI_
                                        ; -- End function
	.set _ZN7rocprim17ROCPRIM_400000_NS6detail17trampoline_kernelINS0_14default_configENS1_35radix_sort_onesweep_config_selectorIyyEEZZNS1_29radix_sort_onesweep_iterationIS3_Lb0EN6thrust23THRUST_200600_302600_NS6detail15normal_iteratorINS8_10device_ptrIyEEEESD_SD_SD_jNS0_19identity_decomposerENS1_16block_id_wrapperIjLb1EEEEE10hipError_tT1_PNSt15iterator_traitsISI_E10value_typeET2_T3_PNSJ_ISO_E10value_typeET4_T5_PST_SU_PNS1_23onesweep_lookback_stateEbbT6_jjT7_P12ihipStream_tbENKUlT_T0_SI_SN_E_clISD_PySD_S15_EEDaS11_S12_SI_SN_EUlS11_E_NS1_11comp_targetILNS1_3genE5ELNS1_11target_archE942ELNS1_3gpuE9ELNS1_3repE0EEENS1_47radix_sort_onesweep_sort_config_static_selectorELNS0_4arch9wavefront6targetE1EEEvSI_.num_vgpr, 0
	.set _ZN7rocprim17ROCPRIM_400000_NS6detail17trampoline_kernelINS0_14default_configENS1_35radix_sort_onesweep_config_selectorIyyEEZZNS1_29radix_sort_onesweep_iterationIS3_Lb0EN6thrust23THRUST_200600_302600_NS6detail15normal_iteratorINS8_10device_ptrIyEEEESD_SD_SD_jNS0_19identity_decomposerENS1_16block_id_wrapperIjLb1EEEEE10hipError_tT1_PNSt15iterator_traitsISI_E10value_typeET2_T3_PNSJ_ISO_E10value_typeET4_T5_PST_SU_PNS1_23onesweep_lookback_stateEbbT6_jjT7_P12ihipStream_tbENKUlT_T0_SI_SN_E_clISD_PySD_S15_EEDaS11_S12_SI_SN_EUlS11_E_NS1_11comp_targetILNS1_3genE5ELNS1_11target_archE942ELNS1_3gpuE9ELNS1_3repE0EEENS1_47radix_sort_onesweep_sort_config_static_selectorELNS0_4arch9wavefront6targetE1EEEvSI_.num_agpr, 0
	.set _ZN7rocprim17ROCPRIM_400000_NS6detail17trampoline_kernelINS0_14default_configENS1_35radix_sort_onesweep_config_selectorIyyEEZZNS1_29radix_sort_onesweep_iterationIS3_Lb0EN6thrust23THRUST_200600_302600_NS6detail15normal_iteratorINS8_10device_ptrIyEEEESD_SD_SD_jNS0_19identity_decomposerENS1_16block_id_wrapperIjLb1EEEEE10hipError_tT1_PNSt15iterator_traitsISI_E10value_typeET2_T3_PNSJ_ISO_E10value_typeET4_T5_PST_SU_PNS1_23onesweep_lookback_stateEbbT6_jjT7_P12ihipStream_tbENKUlT_T0_SI_SN_E_clISD_PySD_S15_EEDaS11_S12_SI_SN_EUlS11_E_NS1_11comp_targetILNS1_3genE5ELNS1_11target_archE942ELNS1_3gpuE9ELNS1_3repE0EEENS1_47radix_sort_onesweep_sort_config_static_selectorELNS0_4arch9wavefront6targetE1EEEvSI_.numbered_sgpr, 0
	.set _ZN7rocprim17ROCPRIM_400000_NS6detail17trampoline_kernelINS0_14default_configENS1_35radix_sort_onesweep_config_selectorIyyEEZZNS1_29radix_sort_onesweep_iterationIS3_Lb0EN6thrust23THRUST_200600_302600_NS6detail15normal_iteratorINS8_10device_ptrIyEEEESD_SD_SD_jNS0_19identity_decomposerENS1_16block_id_wrapperIjLb1EEEEE10hipError_tT1_PNSt15iterator_traitsISI_E10value_typeET2_T3_PNSJ_ISO_E10value_typeET4_T5_PST_SU_PNS1_23onesweep_lookback_stateEbbT6_jjT7_P12ihipStream_tbENKUlT_T0_SI_SN_E_clISD_PySD_S15_EEDaS11_S12_SI_SN_EUlS11_E_NS1_11comp_targetILNS1_3genE5ELNS1_11target_archE942ELNS1_3gpuE9ELNS1_3repE0EEENS1_47radix_sort_onesweep_sort_config_static_selectorELNS0_4arch9wavefront6targetE1EEEvSI_.num_named_barrier, 0
	.set _ZN7rocprim17ROCPRIM_400000_NS6detail17trampoline_kernelINS0_14default_configENS1_35radix_sort_onesweep_config_selectorIyyEEZZNS1_29radix_sort_onesweep_iterationIS3_Lb0EN6thrust23THRUST_200600_302600_NS6detail15normal_iteratorINS8_10device_ptrIyEEEESD_SD_SD_jNS0_19identity_decomposerENS1_16block_id_wrapperIjLb1EEEEE10hipError_tT1_PNSt15iterator_traitsISI_E10value_typeET2_T3_PNSJ_ISO_E10value_typeET4_T5_PST_SU_PNS1_23onesweep_lookback_stateEbbT6_jjT7_P12ihipStream_tbENKUlT_T0_SI_SN_E_clISD_PySD_S15_EEDaS11_S12_SI_SN_EUlS11_E_NS1_11comp_targetILNS1_3genE5ELNS1_11target_archE942ELNS1_3gpuE9ELNS1_3repE0EEENS1_47radix_sort_onesweep_sort_config_static_selectorELNS0_4arch9wavefront6targetE1EEEvSI_.private_seg_size, 0
	.set _ZN7rocprim17ROCPRIM_400000_NS6detail17trampoline_kernelINS0_14default_configENS1_35radix_sort_onesweep_config_selectorIyyEEZZNS1_29radix_sort_onesweep_iterationIS3_Lb0EN6thrust23THRUST_200600_302600_NS6detail15normal_iteratorINS8_10device_ptrIyEEEESD_SD_SD_jNS0_19identity_decomposerENS1_16block_id_wrapperIjLb1EEEEE10hipError_tT1_PNSt15iterator_traitsISI_E10value_typeET2_T3_PNSJ_ISO_E10value_typeET4_T5_PST_SU_PNS1_23onesweep_lookback_stateEbbT6_jjT7_P12ihipStream_tbENKUlT_T0_SI_SN_E_clISD_PySD_S15_EEDaS11_S12_SI_SN_EUlS11_E_NS1_11comp_targetILNS1_3genE5ELNS1_11target_archE942ELNS1_3gpuE9ELNS1_3repE0EEENS1_47radix_sort_onesweep_sort_config_static_selectorELNS0_4arch9wavefront6targetE1EEEvSI_.uses_vcc, 0
	.set _ZN7rocprim17ROCPRIM_400000_NS6detail17trampoline_kernelINS0_14default_configENS1_35radix_sort_onesweep_config_selectorIyyEEZZNS1_29radix_sort_onesweep_iterationIS3_Lb0EN6thrust23THRUST_200600_302600_NS6detail15normal_iteratorINS8_10device_ptrIyEEEESD_SD_SD_jNS0_19identity_decomposerENS1_16block_id_wrapperIjLb1EEEEE10hipError_tT1_PNSt15iterator_traitsISI_E10value_typeET2_T3_PNSJ_ISO_E10value_typeET4_T5_PST_SU_PNS1_23onesweep_lookback_stateEbbT6_jjT7_P12ihipStream_tbENKUlT_T0_SI_SN_E_clISD_PySD_S15_EEDaS11_S12_SI_SN_EUlS11_E_NS1_11comp_targetILNS1_3genE5ELNS1_11target_archE942ELNS1_3gpuE9ELNS1_3repE0EEENS1_47radix_sort_onesweep_sort_config_static_selectorELNS0_4arch9wavefront6targetE1EEEvSI_.uses_flat_scratch, 0
	.set _ZN7rocprim17ROCPRIM_400000_NS6detail17trampoline_kernelINS0_14default_configENS1_35radix_sort_onesweep_config_selectorIyyEEZZNS1_29radix_sort_onesweep_iterationIS3_Lb0EN6thrust23THRUST_200600_302600_NS6detail15normal_iteratorINS8_10device_ptrIyEEEESD_SD_SD_jNS0_19identity_decomposerENS1_16block_id_wrapperIjLb1EEEEE10hipError_tT1_PNSt15iterator_traitsISI_E10value_typeET2_T3_PNSJ_ISO_E10value_typeET4_T5_PST_SU_PNS1_23onesweep_lookback_stateEbbT6_jjT7_P12ihipStream_tbENKUlT_T0_SI_SN_E_clISD_PySD_S15_EEDaS11_S12_SI_SN_EUlS11_E_NS1_11comp_targetILNS1_3genE5ELNS1_11target_archE942ELNS1_3gpuE9ELNS1_3repE0EEENS1_47radix_sort_onesweep_sort_config_static_selectorELNS0_4arch9wavefront6targetE1EEEvSI_.has_dyn_sized_stack, 0
	.set _ZN7rocprim17ROCPRIM_400000_NS6detail17trampoline_kernelINS0_14default_configENS1_35radix_sort_onesweep_config_selectorIyyEEZZNS1_29radix_sort_onesweep_iterationIS3_Lb0EN6thrust23THRUST_200600_302600_NS6detail15normal_iteratorINS8_10device_ptrIyEEEESD_SD_SD_jNS0_19identity_decomposerENS1_16block_id_wrapperIjLb1EEEEE10hipError_tT1_PNSt15iterator_traitsISI_E10value_typeET2_T3_PNSJ_ISO_E10value_typeET4_T5_PST_SU_PNS1_23onesweep_lookback_stateEbbT6_jjT7_P12ihipStream_tbENKUlT_T0_SI_SN_E_clISD_PySD_S15_EEDaS11_S12_SI_SN_EUlS11_E_NS1_11comp_targetILNS1_3genE5ELNS1_11target_archE942ELNS1_3gpuE9ELNS1_3repE0EEENS1_47radix_sort_onesweep_sort_config_static_selectorELNS0_4arch9wavefront6targetE1EEEvSI_.has_recursion, 0
	.set _ZN7rocprim17ROCPRIM_400000_NS6detail17trampoline_kernelINS0_14default_configENS1_35radix_sort_onesweep_config_selectorIyyEEZZNS1_29radix_sort_onesweep_iterationIS3_Lb0EN6thrust23THRUST_200600_302600_NS6detail15normal_iteratorINS8_10device_ptrIyEEEESD_SD_SD_jNS0_19identity_decomposerENS1_16block_id_wrapperIjLb1EEEEE10hipError_tT1_PNSt15iterator_traitsISI_E10value_typeET2_T3_PNSJ_ISO_E10value_typeET4_T5_PST_SU_PNS1_23onesweep_lookback_stateEbbT6_jjT7_P12ihipStream_tbENKUlT_T0_SI_SN_E_clISD_PySD_S15_EEDaS11_S12_SI_SN_EUlS11_E_NS1_11comp_targetILNS1_3genE5ELNS1_11target_archE942ELNS1_3gpuE9ELNS1_3repE0EEENS1_47radix_sort_onesweep_sort_config_static_selectorELNS0_4arch9wavefront6targetE1EEEvSI_.has_indirect_call, 0
	.section	.AMDGPU.csdata,"",@progbits
; Kernel info:
; codeLenInByte = 0
; TotalNumSgprs: 6
; NumVgprs: 0
; NumAgprs: 0
; TotalNumVgprs: 0
; ScratchSize: 0
; MemoryBound: 0
; FloatMode: 240
; IeeeMode: 1
; LDSByteSize: 0 bytes/workgroup (compile time only)
; SGPRBlocks: 0
; VGPRBlocks: 0
; NumSGPRsForWavesPerEU: 6
; NumVGPRsForWavesPerEU: 1
; AccumOffset: 4
; Occupancy: 8
; WaveLimiterHint : 0
; COMPUTE_PGM_RSRC2:SCRATCH_EN: 0
; COMPUTE_PGM_RSRC2:USER_SGPR: 2
; COMPUTE_PGM_RSRC2:TRAP_HANDLER: 0
; COMPUTE_PGM_RSRC2:TGID_X_EN: 1
; COMPUTE_PGM_RSRC2:TGID_Y_EN: 0
; COMPUTE_PGM_RSRC2:TGID_Z_EN: 0
; COMPUTE_PGM_RSRC2:TIDIG_COMP_CNT: 0
; COMPUTE_PGM_RSRC3_GFX90A:ACCUM_OFFSET: 0
; COMPUTE_PGM_RSRC3_GFX90A:TG_SPLIT: 0
	.section	.text._ZN7rocprim17ROCPRIM_400000_NS6detail17trampoline_kernelINS0_14default_configENS1_35radix_sort_onesweep_config_selectorIyyEEZZNS1_29radix_sort_onesweep_iterationIS3_Lb0EN6thrust23THRUST_200600_302600_NS6detail15normal_iteratorINS8_10device_ptrIyEEEESD_SD_SD_jNS0_19identity_decomposerENS1_16block_id_wrapperIjLb1EEEEE10hipError_tT1_PNSt15iterator_traitsISI_E10value_typeET2_T3_PNSJ_ISO_E10value_typeET4_T5_PST_SU_PNS1_23onesweep_lookback_stateEbbT6_jjT7_P12ihipStream_tbENKUlT_T0_SI_SN_E_clISD_PySD_S15_EEDaS11_S12_SI_SN_EUlS11_E_NS1_11comp_targetILNS1_3genE2ELNS1_11target_archE906ELNS1_3gpuE6ELNS1_3repE0EEENS1_47radix_sort_onesweep_sort_config_static_selectorELNS0_4arch9wavefront6targetE1EEEvSI_,"axG",@progbits,_ZN7rocprim17ROCPRIM_400000_NS6detail17trampoline_kernelINS0_14default_configENS1_35radix_sort_onesweep_config_selectorIyyEEZZNS1_29radix_sort_onesweep_iterationIS3_Lb0EN6thrust23THRUST_200600_302600_NS6detail15normal_iteratorINS8_10device_ptrIyEEEESD_SD_SD_jNS0_19identity_decomposerENS1_16block_id_wrapperIjLb1EEEEE10hipError_tT1_PNSt15iterator_traitsISI_E10value_typeET2_T3_PNSJ_ISO_E10value_typeET4_T5_PST_SU_PNS1_23onesweep_lookback_stateEbbT6_jjT7_P12ihipStream_tbENKUlT_T0_SI_SN_E_clISD_PySD_S15_EEDaS11_S12_SI_SN_EUlS11_E_NS1_11comp_targetILNS1_3genE2ELNS1_11target_archE906ELNS1_3gpuE6ELNS1_3repE0EEENS1_47radix_sort_onesweep_sort_config_static_selectorELNS0_4arch9wavefront6targetE1EEEvSI_,comdat
	.protected	_ZN7rocprim17ROCPRIM_400000_NS6detail17trampoline_kernelINS0_14default_configENS1_35radix_sort_onesweep_config_selectorIyyEEZZNS1_29radix_sort_onesweep_iterationIS3_Lb0EN6thrust23THRUST_200600_302600_NS6detail15normal_iteratorINS8_10device_ptrIyEEEESD_SD_SD_jNS0_19identity_decomposerENS1_16block_id_wrapperIjLb1EEEEE10hipError_tT1_PNSt15iterator_traitsISI_E10value_typeET2_T3_PNSJ_ISO_E10value_typeET4_T5_PST_SU_PNS1_23onesweep_lookback_stateEbbT6_jjT7_P12ihipStream_tbENKUlT_T0_SI_SN_E_clISD_PySD_S15_EEDaS11_S12_SI_SN_EUlS11_E_NS1_11comp_targetILNS1_3genE2ELNS1_11target_archE906ELNS1_3gpuE6ELNS1_3repE0EEENS1_47radix_sort_onesweep_sort_config_static_selectorELNS0_4arch9wavefront6targetE1EEEvSI_ ; -- Begin function _ZN7rocprim17ROCPRIM_400000_NS6detail17trampoline_kernelINS0_14default_configENS1_35radix_sort_onesweep_config_selectorIyyEEZZNS1_29radix_sort_onesweep_iterationIS3_Lb0EN6thrust23THRUST_200600_302600_NS6detail15normal_iteratorINS8_10device_ptrIyEEEESD_SD_SD_jNS0_19identity_decomposerENS1_16block_id_wrapperIjLb1EEEEE10hipError_tT1_PNSt15iterator_traitsISI_E10value_typeET2_T3_PNSJ_ISO_E10value_typeET4_T5_PST_SU_PNS1_23onesweep_lookback_stateEbbT6_jjT7_P12ihipStream_tbENKUlT_T0_SI_SN_E_clISD_PySD_S15_EEDaS11_S12_SI_SN_EUlS11_E_NS1_11comp_targetILNS1_3genE2ELNS1_11target_archE906ELNS1_3gpuE6ELNS1_3repE0EEENS1_47radix_sort_onesweep_sort_config_static_selectorELNS0_4arch9wavefront6targetE1EEEvSI_
	.globl	_ZN7rocprim17ROCPRIM_400000_NS6detail17trampoline_kernelINS0_14default_configENS1_35radix_sort_onesweep_config_selectorIyyEEZZNS1_29radix_sort_onesweep_iterationIS3_Lb0EN6thrust23THRUST_200600_302600_NS6detail15normal_iteratorINS8_10device_ptrIyEEEESD_SD_SD_jNS0_19identity_decomposerENS1_16block_id_wrapperIjLb1EEEEE10hipError_tT1_PNSt15iterator_traitsISI_E10value_typeET2_T3_PNSJ_ISO_E10value_typeET4_T5_PST_SU_PNS1_23onesweep_lookback_stateEbbT6_jjT7_P12ihipStream_tbENKUlT_T0_SI_SN_E_clISD_PySD_S15_EEDaS11_S12_SI_SN_EUlS11_E_NS1_11comp_targetILNS1_3genE2ELNS1_11target_archE906ELNS1_3gpuE6ELNS1_3repE0EEENS1_47radix_sort_onesweep_sort_config_static_selectorELNS0_4arch9wavefront6targetE1EEEvSI_
	.p2align	8
	.type	_ZN7rocprim17ROCPRIM_400000_NS6detail17trampoline_kernelINS0_14default_configENS1_35radix_sort_onesweep_config_selectorIyyEEZZNS1_29radix_sort_onesweep_iterationIS3_Lb0EN6thrust23THRUST_200600_302600_NS6detail15normal_iteratorINS8_10device_ptrIyEEEESD_SD_SD_jNS0_19identity_decomposerENS1_16block_id_wrapperIjLb1EEEEE10hipError_tT1_PNSt15iterator_traitsISI_E10value_typeET2_T3_PNSJ_ISO_E10value_typeET4_T5_PST_SU_PNS1_23onesweep_lookback_stateEbbT6_jjT7_P12ihipStream_tbENKUlT_T0_SI_SN_E_clISD_PySD_S15_EEDaS11_S12_SI_SN_EUlS11_E_NS1_11comp_targetILNS1_3genE2ELNS1_11target_archE906ELNS1_3gpuE6ELNS1_3repE0EEENS1_47radix_sort_onesweep_sort_config_static_selectorELNS0_4arch9wavefront6targetE1EEEvSI_,@function
_ZN7rocprim17ROCPRIM_400000_NS6detail17trampoline_kernelINS0_14default_configENS1_35radix_sort_onesweep_config_selectorIyyEEZZNS1_29radix_sort_onesweep_iterationIS3_Lb0EN6thrust23THRUST_200600_302600_NS6detail15normal_iteratorINS8_10device_ptrIyEEEESD_SD_SD_jNS0_19identity_decomposerENS1_16block_id_wrapperIjLb1EEEEE10hipError_tT1_PNSt15iterator_traitsISI_E10value_typeET2_T3_PNSJ_ISO_E10value_typeET4_T5_PST_SU_PNS1_23onesweep_lookback_stateEbbT6_jjT7_P12ihipStream_tbENKUlT_T0_SI_SN_E_clISD_PySD_S15_EEDaS11_S12_SI_SN_EUlS11_E_NS1_11comp_targetILNS1_3genE2ELNS1_11target_archE906ELNS1_3gpuE6ELNS1_3repE0EEENS1_47radix_sort_onesweep_sort_config_static_selectorELNS0_4arch9wavefront6targetE1EEEvSI_: ; @_ZN7rocprim17ROCPRIM_400000_NS6detail17trampoline_kernelINS0_14default_configENS1_35radix_sort_onesweep_config_selectorIyyEEZZNS1_29radix_sort_onesweep_iterationIS3_Lb0EN6thrust23THRUST_200600_302600_NS6detail15normal_iteratorINS8_10device_ptrIyEEEESD_SD_SD_jNS0_19identity_decomposerENS1_16block_id_wrapperIjLb1EEEEE10hipError_tT1_PNSt15iterator_traitsISI_E10value_typeET2_T3_PNSJ_ISO_E10value_typeET4_T5_PST_SU_PNS1_23onesweep_lookback_stateEbbT6_jjT7_P12ihipStream_tbENKUlT_T0_SI_SN_E_clISD_PySD_S15_EEDaS11_S12_SI_SN_EUlS11_E_NS1_11comp_targetILNS1_3genE2ELNS1_11target_archE906ELNS1_3gpuE6ELNS1_3repE0EEENS1_47radix_sort_onesweep_sort_config_static_selectorELNS0_4arch9wavefront6targetE1EEEvSI_
; %bb.0:
	.section	.rodata,"a",@progbits
	.p2align	6, 0x0
	.amdhsa_kernel _ZN7rocprim17ROCPRIM_400000_NS6detail17trampoline_kernelINS0_14default_configENS1_35radix_sort_onesweep_config_selectorIyyEEZZNS1_29radix_sort_onesweep_iterationIS3_Lb0EN6thrust23THRUST_200600_302600_NS6detail15normal_iteratorINS8_10device_ptrIyEEEESD_SD_SD_jNS0_19identity_decomposerENS1_16block_id_wrapperIjLb1EEEEE10hipError_tT1_PNSt15iterator_traitsISI_E10value_typeET2_T3_PNSJ_ISO_E10value_typeET4_T5_PST_SU_PNS1_23onesweep_lookback_stateEbbT6_jjT7_P12ihipStream_tbENKUlT_T0_SI_SN_E_clISD_PySD_S15_EEDaS11_S12_SI_SN_EUlS11_E_NS1_11comp_targetILNS1_3genE2ELNS1_11target_archE906ELNS1_3gpuE6ELNS1_3repE0EEENS1_47radix_sort_onesweep_sort_config_static_selectorELNS0_4arch9wavefront6targetE1EEEvSI_
		.amdhsa_group_segment_fixed_size 0
		.amdhsa_private_segment_fixed_size 0
		.amdhsa_kernarg_size 88
		.amdhsa_user_sgpr_count 2
		.amdhsa_user_sgpr_dispatch_ptr 0
		.amdhsa_user_sgpr_queue_ptr 0
		.amdhsa_user_sgpr_kernarg_segment_ptr 1
		.amdhsa_user_sgpr_dispatch_id 0
		.amdhsa_user_sgpr_kernarg_preload_length 0
		.amdhsa_user_sgpr_kernarg_preload_offset 0
		.amdhsa_user_sgpr_private_segment_size 0
		.amdhsa_uses_dynamic_stack 0
		.amdhsa_enable_private_segment 0
		.amdhsa_system_sgpr_workgroup_id_x 1
		.amdhsa_system_sgpr_workgroup_id_y 0
		.amdhsa_system_sgpr_workgroup_id_z 0
		.amdhsa_system_sgpr_workgroup_info 0
		.amdhsa_system_vgpr_workitem_id 0
		.amdhsa_next_free_vgpr 1
		.amdhsa_next_free_sgpr 0
		.amdhsa_accum_offset 4
		.amdhsa_reserve_vcc 0
		.amdhsa_float_round_mode_32 0
		.amdhsa_float_round_mode_16_64 0
		.amdhsa_float_denorm_mode_32 3
		.amdhsa_float_denorm_mode_16_64 3
		.amdhsa_dx10_clamp 1
		.amdhsa_ieee_mode 1
		.amdhsa_fp16_overflow 0
		.amdhsa_tg_split 0
		.amdhsa_exception_fp_ieee_invalid_op 0
		.amdhsa_exception_fp_denorm_src 0
		.amdhsa_exception_fp_ieee_div_zero 0
		.amdhsa_exception_fp_ieee_overflow 0
		.amdhsa_exception_fp_ieee_underflow 0
		.amdhsa_exception_fp_ieee_inexact 0
		.amdhsa_exception_int_div_zero 0
	.end_amdhsa_kernel
	.section	.text._ZN7rocprim17ROCPRIM_400000_NS6detail17trampoline_kernelINS0_14default_configENS1_35radix_sort_onesweep_config_selectorIyyEEZZNS1_29radix_sort_onesweep_iterationIS3_Lb0EN6thrust23THRUST_200600_302600_NS6detail15normal_iteratorINS8_10device_ptrIyEEEESD_SD_SD_jNS0_19identity_decomposerENS1_16block_id_wrapperIjLb1EEEEE10hipError_tT1_PNSt15iterator_traitsISI_E10value_typeET2_T3_PNSJ_ISO_E10value_typeET4_T5_PST_SU_PNS1_23onesweep_lookback_stateEbbT6_jjT7_P12ihipStream_tbENKUlT_T0_SI_SN_E_clISD_PySD_S15_EEDaS11_S12_SI_SN_EUlS11_E_NS1_11comp_targetILNS1_3genE2ELNS1_11target_archE906ELNS1_3gpuE6ELNS1_3repE0EEENS1_47radix_sort_onesweep_sort_config_static_selectorELNS0_4arch9wavefront6targetE1EEEvSI_,"axG",@progbits,_ZN7rocprim17ROCPRIM_400000_NS6detail17trampoline_kernelINS0_14default_configENS1_35radix_sort_onesweep_config_selectorIyyEEZZNS1_29radix_sort_onesweep_iterationIS3_Lb0EN6thrust23THRUST_200600_302600_NS6detail15normal_iteratorINS8_10device_ptrIyEEEESD_SD_SD_jNS0_19identity_decomposerENS1_16block_id_wrapperIjLb1EEEEE10hipError_tT1_PNSt15iterator_traitsISI_E10value_typeET2_T3_PNSJ_ISO_E10value_typeET4_T5_PST_SU_PNS1_23onesweep_lookback_stateEbbT6_jjT7_P12ihipStream_tbENKUlT_T0_SI_SN_E_clISD_PySD_S15_EEDaS11_S12_SI_SN_EUlS11_E_NS1_11comp_targetILNS1_3genE2ELNS1_11target_archE906ELNS1_3gpuE6ELNS1_3repE0EEENS1_47radix_sort_onesweep_sort_config_static_selectorELNS0_4arch9wavefront6targetE1EEEvSI_,comdat
.Lfunc_end540:
	.size	_ZN7rocprim17ROCPRIM_400000_NS6detail17trampoline_kernelINS0_14default_configENS1_35radix_sort_onesweep_config_selectorIyyEEZZNS1_29radix_sort_onesweep_iterationIS3_Lb0EN6thrust23THRUST_200600_302600_NS6detail15normal_iteratorINS8_10device_ptrIyEEEESD_SD_SD_jNS0_19identity_decomposerENS1_16block_id_wrapperIjLb1EEEEE10hipError_tT1_PNSt15iterator_traitsISI_E10value_typeET2_T3_PNSJ_ISO_E10value_typeET4_T5_PST_SU_PNS1_23onesweep_lookback_stateEbbT6_jjT7_P12ihipStream_tbENKUlT_T0_SI_SN_E_clISD_PySD_S15_EEDaS11_S12_SI_SN_EUlS11_E_NS1_11comp_targetILNS1_3genE2ELNS1_11target_archE906ELNS1_3gpuE6ELNS1_3repE0EEENS1_47radix_sort_onesweep_sort_config_static_selectorELNS0_4arch9wavefront6targetE1EEEvSI_, .Lfunc_end540-_ZN7rocprim17ROCPRIM_400000_NS6detail17trampoline_kernelINS0_14default_configENS1_35radix_sort_onesweep_config_selectorIyyEEZZNS1_29radix_sort_onesweep_iterationIS3_Lb0EN6thrust23THRUST_200600_302600_NS6detail15normal_iteratorINS8_10device_ptrIyEEEESD_SD_SD_jNS0_19identity_decomposerENS1_16block_id_wrapperIjLb1EEEEE10hipError_tT1_PNSt15iterator_traitsISI_E10value_typeET2_T3_PNSJ_ISO_E10value_typeET4_T5_PST_SU_PNS1_23onesweep_lookback_stateEbbT6_jjT7_P12ihipStream_tbENKUlT_T0_SI_SN_E_clISD_PySD_S15_EEDaS11_S12_SI_SN_EUlS11_E_NS1_11comp_targetILNS1_3genE2ELNS1_11target_archE906ELNS1_3gpuE6ELNS1_3repE0EEENS1_47radix_sort_onesweep_sort_config_static_selectorELNS0_4arch9wavefront6targetE1EEEvSI_
                                        ; -- End function
	.set _ZN7rocprim17ROCPRIM_400000_NS6detail17trampoline_kernelINS0_14default_configENS1_35radix_sort_onesweep_config_selectorIyyEEZZNS1_29radix_sort_onesweep_iterationIS3_Lb0EN6thrust23THRUST_200600_302600_NS6detail15normal_iteratorINS8_10device_ptrIyEEEESD_SD_SD_jNS0_19identity_decomposerENS1_16block_id_wrapperIjLb1EEEEE10hipError_tT1_PNSt15iterator_traitsISI_E10value_typeET2_T3_PNSJ_ISO_E10value_typeET4_T5_PST_SU_PNS1_23onesweep_lookback_stateEbbT6_jjT7_P12ihipStream_tbENKUlT_T0_SI_SN_E_clISD_PySD_S15_EEDaS11_S12_SI_SN_EUlS11_E_NS1_11comp_targetILNS1_3genE2ELNS1_11target_archE906ELNS1_3gpuE6ELNS1_3repE0EEENS1_47radix_sort_onesweep_sort_config_static_selectorELNS0_4arch9wavefront6targetE1EEEvSI_.num_vgpr, 0
	.set _ZN7rocprim17ROCPRIM_400000_NS6detail17trampoline_kernelINS0_14default_configENS1_35radix_sort_onesweep_config_selectorIyyEEZZNS1_29radix_sort_onesweep_iterationIS3_Lb0EN6thrust23THRUST_200600_302600_NS6detail15normal_iteratorINS8_10device_ptrIyEEEESD_SD_SD_jNS0_19identity_decomposerENS1_16block_id_wrapperIjLb1EEEEE10hipError_tT1_PNSt15iterator_traitsISI_E10value_typeET2_T3_PNSJ_ISO_E10value_typeET4_T5_PST_SU_PNS1_23onesweep_lookback_stateEbbT6_jjT7_P12ihipStream_tbENKUlT_T0_SI_SN_E_clISD_PySD_S15_EEDaS11_S12_SI_SN_EUlS11_E_NS1_11comp_targetILNS1_3genE2ELNS1_11target_archE906ELNS1_3gpuE6ELNS1_3repE0EEENS1_47radix_sort_onesweep_sort_config_static_selectorELNS0_4arch9wavefront6targetE1EEEvSI_.num_agpr, 0
	.set _ZN7rocprim17ROCPRIM_400000_NS6detail17trampoline_kernelINS0_14default_configENS1_35radix_sort_onesweep_config_selectorIyyEEZZNS1_29radix_sort_onesweep_iterationIS3_Lb0EN6thrust23THRUST_200600_302600_NS6detail15normal_iteratorINS8_10device_ptrIyEEEESD_SD_SD_jNS0_19identity_decomposerENS1_16block_id_wrapperIjLb1EEEEE10hipError_tT1_PNSt15iterator_traitsISI_E10value_typeET2_T3_PNSJ_ISO_E10value_typeET4_T5_PST_SU_PNS1_23onesweep_lookback_stateEbbT6_jjT7_P12ihipStream_tbENKUlT_T0_SI_SN_E_clISD_PySD_S15_EEDaS11_S12_SI_SN_EUlS11_E_NS1_11comp_targetILNS1_3genE2ELNS1_11target_archE906ELNS1_3gpuE6ELNS1_3repE0EEENS1_47radix_sort_onesweep_sort_config_static_selectorELNS0_4arch9wavefront6targetE1EEEvSI_.numbered_sgpr, 0
	.set _ZN7rocprim17ROCPRIM_400000_NS6detail17trampoline_kernelINS0_14default_configENS1_35radix_sort_onesweep_config_selectorIyyEEZZNS1_29radix_sort_onesweep_iterationIS3_Lb0EN6thrust23THRUST_200600_302600_NS6detail15normal_iteratorINS8_10device_ptrIyEEEESD_SD_SD_jNS0_19identity_decomposerENS1_16block_id_wrapperIjLb1EEEEE10hipError_tT1_PNSt15iterator_traitsISI_E10value_typeET2_T3_PNSJ_ISO_E10value_typeET4_T5_PST_SU_PNS1_23onesweep_lookback_stateEbbT6_jjT7_P12ihipStream_tbENKUlT_T0_SI_SN_E_clISD_PySD_S15_EEDaS11_S12_SI_SN_EUlS11_E_NS1_11comp_targetILNS1_3genE2ELNS1_11target_archE906ELNS1_3gpuE6ELNS1_3repE0EEENS1_47radix_sort_onesweep_sort_config_static_selectorELNS0_4arch9wavefront6targetE1EEEvSI_.num_named_barrier, 0
	.set _ZN7rocprim17ROCPRIM_400000_NS6detail17trampoline_kernelINS0_14default_configENS1_35radix_sort_onesweep_config_selectorIyyEEZZNS1_29radix_sort_onesweep_iterationIS3_Lb0EN6thrust23THRUST_200600_302600_NS6detail15normal_iteratorINS8_10device_ptrIyEEEESD_SD_SD_jNS0_19identity_decomposerENS1_16block_id_wrapperIjLb1EEEEE10hipError_tT1_PNSt15iterator_traitsISI_E10value_typeET2_T3_PNSJ_ISO_E10value_typeET4_T5_PST_SU_PNS1_23onesweep_lookback_stateEbbT6_jjT7_P12ihipStream_tbENKUlT_T0_SI_SN_E_clISD_PySD_S15_EEDaS11_S12_SI_SN_EUlS11_E_NS1_11comp_targetILNS1_3genE2ELNS1_11target_archE906ELNS1_3gpuE6ELNS1_3repE0EEENS1_47radix_sort_onesweep_sort_config_static_selectorELNS0_4arch9wavefront6targetE1EEEvSI_.private_seg_size, 0
	.set _ZN7rocprim17ROCPRIM_400000_NS6detail17trampoline_kernelINS0_14default_configENS1_35radix_sort_onesweep_config_selectorIyyEEZZNS1_29radix_sort_onesweep_iterationIS3_Lb0EN6thrust23THRUST_200600_302600_NS6detail15normal_iteratorINS8_10device_ptrIyEEEESD_SD_SD_jNS0_19identity_decomposerENS1_16block_id_wrapperIjLb1EEEEE10hipError_tT1_PNSt15iterator_traitsISI_E10value_typeET2_T3_PNSJ_ISO_E10value_typeET4_T5_PST_SU_PNS1_23onesweep_lookback_stateEbbT6_jjT7_P12ihipStream_tbENKUlT_T0_SI_SN_E_clISD_PySD_S15_EEDaS11_S12_SI_SN_EUlS11_E_NS1_11comp_targetILNS1_3genE2ELNS1_11target_archE906ELNS1_3gpuE6ELNS1_3repE0EEENS1_47radix_sort_onesweep_sort_config_static_selectorELNS0_4arch9wavefront6targetE1EEEvSI_.uses_vcc, 0
	.set _ZN7rocprim17ROCPRIM_400000_NS6detail17trampoline_kernelINS0_14default_configENS1_35radix_sort_onesweep_config_selectorIyyEEZZNS1_29radix_sort_onesweep_iterationIS3_Lb0EN6thrust23THRUST_200600_302600_NS6detail15normal_iteratorINS8_10device_ptrIyEEEESD_SD_SD_jNS0_19identity_decomposerENS1_16block_id_wrapperIjLb1EEEEE10hipError_tT1_PNSt15iterator_traitsISI_E10value_typeET2_T3_PNSJ_ISO_E10value_typeET4_T5_PST_SU_PNS1_23onesweep_lookback_stateEbbT6_jjT7_P12ihipStream_tbENKUlT_T0_SI_SN_E_clISD_PySD_S15_EEDaS11_S12_SI_SN_EUlS11_E_NS1_11comp_targetILNS1_3genE2ELNS1_11target_archE906ELNS1_3gpuE6ELNS1_3repE0EEENS1_47radix_sort_onesweep_sort_config_static_selectorELNS0_4arch9wavefront6targetE1EEEvSI_.uses_flat_scratch, 0
	.set _ZN7rocprim17ROCPRIM_400000_NS6detail17trampoline_kernelINS0_14default_configENS1_35radix_sort_onesweep_config_selectorIyyEEZZNS1_29radix_sort_onesweep_iterationIS3_Lb0EN6thrust23THRUST_200600_302600_NS6detail15normal_iteratorINS8_10device_ptrIyEEEESD_SD_SD_jNS0_19identity_decomposerENS1_16block_id_wrapperIjLb1EEEEE10hipError_tT1_PNSt15iterator_traitsISI_E10value_typeET2_T3_PNSJ_ISO_E10value_typeET4_T5_PST_SU_PNS1_23onesweep_lookback_stateEbbT6_jjT7_P12ihipStream_tbENKUlT_T0_SI_SN_E_clISD_PySD_S15_EEDaS11_S12_SI_SN_EUlS11_E_NS1_11comp_targetILNS1_3genE2ELNS1_11target_archE906ELNS1_3gpuE6ELNS1_3repE0EEENS1_47radix_sort_onesweep_sort_config_static_selectorELNS0_4arch9wavefront6targetE1EEEvSI_.has_dyn_sized_stack, 0
	.set _ZN7rocprim17ROCPRIM_400000_NS6detail17trampoline_kernelINS0_14default_configENS1_35radix_sort_onesweep_config_selectorIyyEEZZNS1_29radix_sort_onesweep_iterationIS3_Lb0EN6thrust23THRUST_200600_302600_NS6detail15normal_iteratorINS8_10device_ptrIyEEEESD_SD_SD_jNS0_19identity_decomposerENS1_16block_id_wrapperIjLb1EEEEE10hipError_tT1_PNSt15iterator_traitsISI_E10value_typeET2_T3_PNSJ_ISO_E10value_typeET4_T5_PST_SU_PNS1_23onesweep_lookback_stateEbbT6_jjT7_P12ihipStream_tbENKUlT_T0_SI_SN_E_clISD_PySD_S15_EEDaS11_S12_SI_SN_EUlS11_E_NS1_11comp_targetILNS1_3genE2ELNS1_11target_archE906ELNS1_3gpuE6ELNS1_3repE0EEENS1_47radix_sort_onesweep_sort_config_static_selectorELNS0_4arch9wavefront6targetE1EEEvSI_.has_recursion, 0
	.set _ZN7rocprim17ROCPRIM_400000_NS6detail17trampoline_kernelINS0_14default_configENS1_35radix_sort_onesweep_config_selectorIyyEEZZNS1_29radix_sort_onesweep_iterationIS3_Lb0EN6thrust23THRUST_200600_302600_NS6detail15normal_iteratorINS8_10device_ptrIyEEEESD_SD_SD_jNS0_19identity_decomposerENS1_16block_id_wrapperIjLb1EEEEE10hipError_tT1_PNSt15iterator_traitsISI_E10value_typeET2_T3_PNSJ_ISO_E10value_typeET4_T5_PST_SU_PNS1_23onesweep_lookback_stateEbbT6_jjT7_P12ihipStream_tbENKUlT_T0_SI_SN_E_clISD_PySD_S15_EEDaS11_S12_SI_SN_EUlS11_E_NS1_11comp_targetILNS1_3genE2ELNS1_11target_archE906ELNS1_3gpuE6ELNS1_3repE0EEENS1_47radix_sort_onesweep_sort_config_static_selectorELNS0_4arch9wavefront6targetE1EEEvSI_.has_indirect_call, 0
	.section	.AMDGPU.csdata,"",@progbits
; Kernel info:
; codeLenInByte = 0
; TotalNumSgprs: 6
; NumVgprs: 0
; NumAgprs: 0
; TotalNumVgprs: 0
; ScratchSize: 0
; MemoryBound: 0
; FloatMode: 240
; IeeeMode: 1
; LDSByteSize: 0 bytes/workgroup (compile time only)
; SGPRBlocks: 0
; VGPRBlocks: 0
; NumSGPRsForWavesPerEU: 6
; NumVGPRsForWavesPerEU: 1
; AccumOffset: 4
; Occupancy: 8
; WaveLimiterHint : 0
; COMPUTE_PGM_RSRC2:SCRATCH_EN: 0
; COMPUTE_PGM_RSRC2:USER_SGPR: 2
; COMPUTE_PGM_RSRC2:TRAP_HANDLER: 0
; COMPUTE_PGM_RSRC2:TGID_X_EN: 1
; COMPUTE_PGM_RSRC2:TGID_Y_EN: 0
; COMPUTE_PGM_RSRC2:TGID_Z_EN: 0
; COMPUTE_PGM_RSRC2:TIDIG_COMP_CNT: 0
; COMPUTE_PGM_RSRC3_GFX90A:ACCUM_OFFSET: 0
; COMPUTE_PGM_RSRC3_GFX90A:TG_SPLIT: 0
	.section	.text._ZN7rocprim17ROCPRIM_400000_NS6detail17trampoline_kernelINS0_14default_configENS1_35radix_sort_onesweep_config_selectorIyyEEZZNS1_29radix_sort_onesweep_iterationIS3_Lb0EN6thrust23THRUST_200600_302600_NS6detail15normal_iteratorINS8_10device_ptrIyEEEESD_SD_SD_jNS0_19identity_decomposerENS1_16block_id_wrapperIjLb1EEEEE10hipError_tT1_PNSt15iterator_traitsISI_E10value_typeET2_T3_PNSJ_ISO_E10value_typeET4_T5_PST_SU_PNS1_23onesweep_lookback_stateEbbT6_jjT7_P12ihipStream_tbENKUlT_T0_SI_SN_E_clISD_PySD_S15_EEDaS11_S12_SI_SN_EUlS11_E_NS1_11comp_targetILNS1_3genE4ELNS1_11target_archE910ELNS1_3gpuE8ELNS1_3repE0EEENS1_47radix_sort_onesweep_sort_config_static_selectorELNS0_4arch9wavefront6targetE1EEEvSI_,"axG",@progbits,_ZN7rocprim17ROCPRIM_400000_NS6detail17trampoline_kernelINS0_14default_configENS1_35radix_sort_onesweep_config_selectorIyyEEZZNS1_29radix_sort_onesweep_iterationIS3_Lb0EN6thrust23THRUST_200600_302600_NS6detail15normal_iteratorINS8_10device_ptrIyEEEESD_SD_SD_jNS0_19identity_decomposerENS1_16block_id_wrapperIjLb1EEEEE10hipError_tT1_PNSt15iterator_traitsISI_E10value_typeET2_T3_PNSJ_ISO_E10value_typeET4_T5_PST_SU_PNS1_23onesweep_lookback_stateEbbT6_jjT7_P12ihipStream_tbENKUlT_T0_SI_SN_E_clISD_PySD_S15_EEDaS11_S12_SI_SN_EUlS11_E_NS1_11comp_targetILNS1_3genE4ELNS1_11target_archE910ELNS1_3gpuE8ELNS1_3repE0EEENS1_47radix_sort_onesweep_sort_config_static_selectorELNS0_4arch9wavefront6targetE1EEEvSI_,comdat
	.protected	_ZN7rocprim17ROCPRIM_400000_NS6detail17trampoline_kernelINS0_14default_configENS1_35radix_sort_onesweep_config_selectorIyyEEZZNS1_29radix_sort_onesweep_iterationIS3_Lb0EN6thrust23THRUST_200600_302600_NS6detail15normal_iteratorINS8_10device_ptrIyEEEESD_SD_SD_jNS0_19identity_decomposerENS1_16block_id_wrapperIjLb1EEEEE10hipError_tT1_PNSt15iterator_traitsISI_E10value_typeET2_T3_PNSJ_ISO_E10value_typeET4_T5_PST_SU_PNS1_23onesweep_lookback_stateEbbT6_jjT7_P12ihipStream_tbENKUlT_T0_SI_SN_E_clISD_PySD_S15_EEDaS11_S12_SI_SN_EUlS11_E_NS1_11comp_targetILNS1_3genE4ELNS1_11target_archE910ELNS1_3gpuE8ELNS1_3repE0EEENS1_47radix_sort_onesweep_sort_config_static_selectorELNS0_4arch9wavefront6targetE1EEEvSI_ ; -- Begin function _ZN7rocprim17ROCPRIM_400000_NS6detail17trampoline_kernelINS0_14default_configENS1_35radix_sort_onesweep_config_selectorIyyEEZZNS1_29radix_sort_onesweep_iterationIS3_Lb0EN6thrust23THRUST_200600_302600_NS6detail15normal_iteratorINS8_10device_ptrIyEEEESD_SD_SD_jNS0_19identity_decomposerENS1_16block_id_wrapperIjLb1EEEEE10hipError_tT1_PNSt15iterator_traitsISI_E10value_typeET2_T3_PNSJ_ISO_E10value_typeET4_T5_PST_SU_PNS1_23onesweep_lookback_stateEbbT6_jjT7_P12ihipStream_tbENKUlT_T0_SI_SN_E_clISD_PySD_S15_EEDaS11_S12_SI_SN_EUlS11_E_NS1_11comp_targetILNS1_3genE4ELNS1_11target_archE910ELNS1_3gpuE8ELNS1_3repE0EEENS1_47radix_sort_onesweep_sort_config_static_selectorELNS0_4arch9wavefront6targetE1EEEvSI_
	.globl	_ZN7rocprim17ROCPRIM_400000_NS6detail17trampoline_kernelINS0_14default_configENS1_35radix_sort_onesweep_config_selectorIyyEEZZNS1_29radix_sort_onesweep_iterationIS3_Lb0EN6thrust23THRUST_200600_302600_NS6detail15normal_iteratorINS8_10device_ptrIyEEEESD_SD_SD_jNS0_19identity_decomposerENS1_16block_id_wrapperIjLb1EEEEE10hipError_tT1_PNSt15iterator_traitsISI_E10value_typeET2_T3_PNSJ_ISO_E10value_typeET4_T5_PST_SU_PNS1_23onesweep_lookback_stateEbbT6_jjT7_P12ihipStream_tbENKUlT_T0_SI_SN_E_clISD_PySD_S15_EEDaS11_S12_SI_SN_EUlS11_E_NS1_11comp_targetILNS1_3genE4ELNS1_11target_archE910ELNS1_3gpuE8ELNS1_3repE0EEENS1_47radix_sort_onesweep_sort_config_static_selectorELNS0_4arch9wavefront6targetE1EEEvSI_
	.p2align	8
	.type	_ZN7rocprim17ROCPRIM_400000_NS6detail17trampoline_kernelINS0_14default_configENS1_35radix_sort_onesweep_config_selectorIyyEEZZNS1_29radix_sort_onesweep_iterationIS3_Lb0EN6thrust23THRUST_200600_302600_NS6detail15normal_iteratorINS8_10device_ptrIyEEEESD_SD_SD_jNS0_19identity_decomposerENS1_16block_id_wrapperIjLb1EEEEE10hipError_tT1_PNSt15iterator_traitsISI_E10value_typeET2_T3_PNSJ_ISO_E10value_typeET4_T5_PST_SU_PNS1_23onesweep_lookback_stateEbbT6_jjT7_P12ihipStream_tbENKUlT_T0_SI_SN_E_clISD_PySD_S15_EEDaS11_S12_SI_SN_EUlS11_E_NS1_11comp_targetILNS1_3genE4ELNS1_11target_archE910ELNS1_3gpuE8ELNS1_3repE0EEENS1_47radix_sort_onesweep_sort_config_static_selectorELNS0_4arch9wavefront6targetE1EEEvSI_,@function
_ZN7rocprim17ROCPRIM_400000_NS6detail17trampoline_kernelINS0_14default_configENS1_35radix_sort_onesweep_config_selectorIyyEEZZNS1_29radix_sort_onesweep_iterationIS3_Lb0EN6thrust23THRUST_200600_302600_NS6detail15normal_iteratorINS8_10device_ptrIyEEEESD_SD_SD_jNS0_19identity_decomposerENS1_16block_id_wrapperIjLb1EEEEE10hipError_tT1_PNSt15iterator_traitsISI_E10value_typeET2_T3_PNSJ_ISO_E10value_typeET4_T5_PST_SU_PNS1_23onesweep_lookback_stateEbbT6_jjT7_P12ihipStream_tbENKUlT_T0_SI_SN_E_clISD_PySD_S15_EEDaS11_S12_SI_SN_EUlS11_E_NS1_11comp_targetILNS1_3genE4ELNS1_11target_archE910ELNS1_3gpuE8ELNS1_3repE0EEENS1_47radix_sort_onesweep_sort_config_static_selectorELNS0_4arch9wavefront6targetE1EEEvSI_: ; @_ZN7rocprim17ROCPRIM_400000_NS6detail17trampoline_kernelINS0_14default_configENS1_35radix_sort_onesweep_config_selectorIyyEEZZNS1_29radix_sort_onesweep_iterationIS3_Lb0EN6thrust23THRUST_200600_302600_NS6detail15normal_iteratorINS8_10device_ptrIyEEEESD_SD_SD_jNS0_19identity_decomposerENS1_16block_id_wrapperIjLb1EEEEE10hipError_tT1_PNSt15iterator_traitsISI_E10value_typeET2_T3_PNSJ_ISO_E10value_typeET4_T5_PST_SU_PNS1_23onesweep_lookback_stateEbbT6_jjT7_P12ihipStream_tbENKUlT_T0_SI_SN_E_clISD_PySD_S15_EEDaS11_S12_SI_SN_EUlS11_E_NS1_11comp_targetILNS1_3genE4ELNS1_11target_archE910ELNS1_3gpuE8ELNS1_3repE0EEENS1_47radix_sort_onesweep_sort_config_static_selectorELNS0_4arch9wavefront6targetE1EEEvSI_
; %bb.0:
	.section	.rodata,"a",@progbits
	.p2align	6, 0x0
	.amdhsa_kernel _ZN7rocprim17ROCPRIM_400000_NS6detail17trampoline_kernelINS0_14default_configENS1_35radix_sort_onesweep_config_selectorIyyEEZZNS1_29radix_sort_onesweep_iterationIS3_Lb0EN6thrust23THRUST_200600_302600_NS6detail15normal_iteratorINS8_10device_ptrIyEEEESD_SD_SD_jNS0_19identity_decomposerENS1_16block_id_wrapperIjLb1EEEEE10hipError_tT1_PNSt15iterator_traitsISI_E10value_typeET2_T3_PNSJ_ISO_E10value_typeET4_T5_PST_SU_PNS1_23onesweep_lookback_stateEbbT6_jjT7_P12ihipStream_tbENKUlT_T0_SI_SN_E_clISD_PySD_S15_EEDaS11_S12_SI_SN_EUlS11_E_NS1_11comp_targetILNS1_3genE4ELNS1_11target_archE910ELNS1_3gpuE8ELNS1_3repE0EEENS1_47radix_sort_onesweep_sort_config_static_selectorELNS0_4arch9wavefront6targetE1EEEvSI_
		.amdhsa_group_segment_fixed_size 0
		.amdhsa_private_segment_fixed_size 0
		.amdhsa_kernarg_size 88
		.amdhsa_user_sgpr_count 2
		.amdhsa_user_sgpr_dispatch_ptr 0
		.amdhsa_user_sgpr_queue_ptr 0
		.amdhsa_user_sgpr_kernarg_segment_ptr 1
		.amdhsa_user_sgpr_dispatch_id 0
		.amdhsa_user_sgpr_kernarg_preload_length 0
		.amdhsa_user_sgpr_kernarg_preload_offset 0
		.amdhsa_user_sgpr_private_segment_size 0
		.amdhsa_uses_dynamic_stack 0
		.amdhsa_enable_private_segment 0
		.amdhsa_system_sgpr_workgroup_id_x 1
		.amdhsa_system_sgpr_workgroup_id_y 0
		.amdhsa_system_sgpr_workgroup_id_z 0
		.amdhsa_system_sgpr_workgroup_info 0
		.amdhsa_system_vgpr_workitem_id 0
		.amdhsa_next_free_vgpr 1
		.amdhsa_next_free_sgpr 0
		.amdhsa_accum_offset 4
		.amdhsa_reserve_vcc 0
		.amdhsa_float_round_mode_32 0
		.amdhsa_float_round_mode_16_64 0
		.amdhsa_float_denorm_mode_32 3
		.amdhsa_float_denorm_mode_16_64 3
		.amdhsa_dx10_clamp 1
		.amdhsa_ieee_mode 1
		.amdhsa_fp16_overflow 0
		.amdhsa_tg_split 0
		.amdhsa_exception_fp_ieee_invalid_op 0
		.amdhsa_exception_fp_denorm_src 0
		.amdhsa_exception_fp_ieee_div_zero 0
		.amdhsa_exception_fp_ieee_overflow 0
		.amdhsa_exception_fp_ieee_underflow 0
		.amdhsa_exception_fp_ieee_inexact 0
		.amdhsa_exception_int_div_zero 0
	.end_amdhsa_kernel
	.section	.text._ZN7rocprim17ROCPRIM_400000_NS6detail17trampoline_kernelINS0_14default_configENS1_35radix_sort_onesweep_config_selectorIyyEEZZNS1_29radix_sort_onesweep_iterationIS3_Lb0EN6thrust23THRUST_200600_302600_NS6detail15normal_iteratorINS8_10device_ptrIyEEEESD_SD_SD_jNS0_19identity_decomposerENS1_16block_id_wrapperIjLb1EEEEE10hipError_tT1_PNSt15iterator_traitsISI_E10value_typeET2_T3_PNSJ_ISO_E10value_typeET4_T5_PST_SU_PNS1_23onesweep_lookback_stateEbbT6_jjT7_P12ihipStream_tbENKUlT_T0_SI_SN_E_clISD_PySD_S15_EEDaS11_S12_SI_SN_EUlS11_E_NS1_11comp_targetILNS1_3genE4ELNS1_11target_archE910ELNS1_3gpuE8ELNS1_3repE0EEENS1_47radix_sort_onesweep_sort_config_static_selectorELNS0_4arch9wavefront6targetE1EEEvSI_,"axG",@progbits,_ZN7rocprim17ROCPRIM_400000_NS6detail17trampoline_kernelINS0_14default_configENS1_35radix_sort_onesweep_config_selectorIyyEEZZNS1_29radix_sort_onesweep_iterationIS3_Lb0EN6thrust23THRUST_200600_302600_NS6detail15normal_iteratorINS8_10device_ptrIyEEEESD_SD_SD_jNS0_19identity_decomposerENS1_16block_id_wrapperIjLb1EEEEE10hipError_tT1_PNSt15iterator_traitsISI_E10value_typeET2_T3_PNSJ_ISO_E10value_typeET4_T5_PST_SU_PNS1_23onesweep_lookback_stateEbbT6_jjT7_P12ihipStream_tbENKUlT_T0_SI_SN_E_clISD_PySD_S15_EEDaS11_S12_SI_SN_EUlS11_E_NS1_11comp_targetILNS1_3genE4ELNS1_11target_archE910ELNS1_3gpuE8ELNS1_3repE0EEENS1_47radix_sort_onesweep_sort_config_static_selectorELNS0_4arch9wavefront6targetE1EEEvSI_,comdat
.Lfunc_end541:
	.size	_ZN7rocprim17ROCPRIM_400000_NS6detail17trampoline_kernelINS0_14default_configENS1_35radix_sort_onesweep_config_selectorIyyEEZZNS1_29radix_sort_onesweep_iterationIS3_Lb0EN6thrust23THRUST_200600_302600_NS6detail15normal_iteratorINS8_10device_ptrIyEEEESD_SD_SD_jNS0_19identity_decomposerENS1_16block_id_wrapperIjLb1EEEEE10hipError_tT1_PNSt15iterator_traitsISI_E10value_typeET2_T3_PNSJ_ISO_E10value_typeET4_T5_PST_SU_PNS1_23onesweep_lookback_stateEbbT6_jjT7_P12ihipStream_tbENKUlT_T0_SI_SN_E_clISD_PySD_S15_EEDaS11_S12_SI_SN_EUlS11_E_NS1_11comp_targetILNS1_3genE4ELNS1_11target_archE910ELNS1_3gpuE8ELNS1_3repE0EEENS1_47radix_sort_onesweep_sort_config_static_selectorELNS0_4arch9wavefront6targetE1EEEvSI_, .Lfunc_end541-_ZN7rocprim17ROCPRIM_400000_NS6detail17trampoline_kernelINS0_14default_configENS1_35radix_sort_onesweep_config_selectorIyyEEZZNS1_29radix_sort_onesweep_iterationIS3_Lb0EN6thrust23THRUST_200600_302600_NS6detail15normal_iteratorINS8_10device_ptrIyEEEESD_SD_SD_jNS0_19identity_decomposerENS1_16block_id_wrapperIjLb1EEEEE10hipError_tT1_PNSt15iterator_traitsISI_E10value_typeET2_T3_PNSJ_ISO_E10value_typeET4_T5_PST_SU_PNS1_23onesweep_lookback_stateEbbT6_jjT7_P12ihipStream_tbENKUlT_T0_SI_SN_E_clISD_PySD_S15_EEDaS11_S12_SI_SN_EUlS11_E_NS1_11comp_targetILNS1_3genE4ELNS1_11target_archE910ELNS1_3gpuE8ELNS1_3repE0EEENS1_47radix_sort_onesweep_sort_config_static_selectorELNS0_4arch9wavefront6targetE1EEEvSI_
                                        ; -- End function
	.set _ZN7rocprim17ROCPRIM_400000_NS6detail17trampoline_kernelINS0_14default_configENS1_35radix_sort_onesweep_config_selectorIyyEEZZNS1_29radix_sort_onesweep_iterationIS3_Lb0EN6thrust23THRUST_200600_302600_NS6detail15normal_iteratorINS8_10device_ptrIyEEEESD_SD_SD_jNS0_19identity_decomposerENS1_16block_id_wrapperIjLb1EEEEE10hipError_tT1_PNSt15iterator_traitsISI_E10value_typeET2_T3_PNSJ_ISO_E10value_typeET4_T5_PST_SU_PNS1_23onesweep_lookback_stateEbbT6_jjT7_P12ihipStream_tbENKUlT_T0_SI_SN_E_clISD_PySD_S15_EEDaS11_S12_SI_SN_EUlS11_E_NS1_11comp_targetILNS1_3genE4ELNS1_11target_archE910ELNS1_3gpuE8ELNS1_3repE0EEENS1_47radix_sort_onesweep_sort_config_static_selectorELNS0_4arch9wavefront6targetE1EEEvSI_.num_vgpr, 0
	.set _ZN7rocprim17ROCPRIM_400000_NS6detail17trampoline_kernelINS0_14default_configENS1_35radix_sort_onesweep_config_selectorIyyEEZZNS1_29radix_sort_onesweep_iterationIS3_Lb0EN6thrust23THRUST_200600_302600_NS6detail15normal_iteratorINS8_10device_ptrIyEEEESD_SD_SD_jNS0_19identity_decomposerENS1_16block_id_wrapperIjLb1EEEEE10hipError_tT1_PNSt15iterator_traitsISI_E10value_typeET2_T3_PNSJ_ISO_E10value_typeET4_T5_PST_SU_PNS1_23onesweep_lookback_stateEbbT6_jjT7_P12ihipStream_tbENKUlT_T0_SI_SN_E_clISD_PySD_S15_EEDaS11_S12_SI_SN_EUlS11_E_NS1_11comp_targetILNS1_3genE4ELNS1_11target_archE910ELNS1_3gpuE8ELNS1_3repE0EEENS1_47radix_sort_onesweep_sort_config_static_selectorELNS0_4arch9wavefront6targetE1EEEvSI_.num_agpr, 0
	.set _ZN7rocprim17ROCPRIM_400000_NS6detail17trampoline_kernelINS0_14default_configENS1_35radix_sort_onesweep_config_selectorIyyEEZZNS1_29radix_sort_onesweep_iterationIS3_Lb0EN6thrust23THRUST_200600_302600_NS6detail15normal_iteratorINS8_10device_ptrIyEEEESD_SD_SD_jNS0_19identity_decomposerENS1_16block_id_wrapperIjLb1EEEEE10hipError_tT1_PNSt15iterator_traitsISI_E10value_typeET2_T3_PNSJ_ISO_E10value_typeET4_T5_PST_SU_PNS1_23onesweep_lookback_stateEbbT6_jjT7_P12ihipStream_tbENKUlT_T0_SI_SN_E_clISD_PySD_S15_EEDaS11_S12_SI_SN_EUlS11_E_NS1_11comp_targetILNS1_3genE4ELNS1_11target_archE910ELNS1_3gpuE8ELNS1_3repE0EEENS1_47radix_sort_onesweep_sort_config_static_selectorELNS0_4arch9wavefront6targetE1EEEvSI_.numbered_sgpr, 0
	.set _ZN7rocprim17ROCPRIM_400000_NS6detail17trampoline_kernelINS0_14default_configENS1_35radix_sort_onesweep_config_selectorIyyEEZZNS1_29radix_sort_onesweep_iterationIS3_Lb0EN6thrust23THRUST_200600_302600_NS6detail15normal_iteratorINS8_10device_ptrIyEEEESD_SD_SD_jNS0_19identity_decomposerENS1_16block_id_wrapperIjLb1EEEEE10hipError_tT1_PNSt15iterator_traitsISI_E10value_typeET2_T3_PNSJ_ISO_E10value_typeET4_T5_PST_SU_PNS1_23onesweep_lookback_stateEbbT6_jjT7_P12ihipStream_tbENKUlT_T0_SI_SN_E_clISD_PySD_S15_EEDaS11_S12_SI_SN_EUlS11_E_NS1_11comp_targetILNS1_3genE4ELNS1_11target_archE910ELNS1_3gpuE8ELNS1_3repE0EEENS1_47radix_sort_onesweep_sort_config_static_selectorELNS0_4arch9wavefront6targetE1EEEvSI_.num_named_barrier, 0
	.set _ZN7rocprim17ROCPRIM_400000_NS6detail17trampoline_kernelINS0_14default_configENS1_35radix_sort_onesweep_config_selectorIyyEEZZNS1_29radix_sort_onesweep_iterationIS3_Lb0EN6thrust23THRUST_200600_302600_NS6detail15normal_iteratorINS8_10device_ptrIyEEEESD_SD_SD_jNS0_19identity_decomposerENS1_16block_id_wrapperIjLb1EEEEE10hipError_tT1_PNSt15iterator_traitsISI_E10value_typeET2_T3_PNSJ_ISO_E10value_typeET4_T5_PST_SU_PNS1_23onesweep_lookback_stateEbbT6_jjT7_P12ihipStream_tbENKUlT_T0_SI_SN_E_clISD_PySD_S15_EEDaS11_S12_SI_SN_EUlS11_E_NS1_11comp_targetILNS1_3genE4ELNS1_11target_archE910ELNS1_3gpuE8ELNS1_3repE0EEENS1_47radix_sort_onesweep_sort_config_static_selectorELNS0_4arch9wavefront6targetE1EEEvSI_.private_seg_size, 0
	.set _ZN7rocprim17ROCPRIM_400000_NS6detail17trampoline_kernelINS0_14default_configENS1_35radix_sort_onesweep_config_selectorIyyEEZZNS1_29radix_sort_onesweep_iterationIS3_Lb0EN6thrust23THRUST_200600_302600_NS6detail15normal_iteratorINS8_10device_ptrIyEEEESD_SD_SD_jNS0_19identity_decomposerENS1_16block_id_wrapperIjLb1EEEEE10hipError_tT1_PNSt15iterator_traitsISI_E10value_typeET2_T3_PNSJ_ISO_E10value_typeET4_T5_PST_SU_PNS1_23onesweep_lookback_stateEbbT6_jjT7_P12ihipStream_tbENKUlT_T0_SI_SN_E_clISD_PySD_S15_EEDaS11_S12_SI_SN_EUlS11_E_NS1_11comp_targetILNS1_3genE4ELNS1_11target_archE910ELNS1_3gpuE8ELNS1_3repE0EEENS1_47radix_sort_onesweep_sort_config_static_selectorELNS0_4arch9wavefront6targetE1EEEvSI_.uses_vcc, 0
	.set _ZN7rocprim17ROCPRIM_400000_NS6detail17trampoline_kernelINS0_14default_configENS1_35radix_sort_onesweep_config_selectorIyyEEZZNS1_29radix_sort_onesweep_iterationIS3_Lb0EN6thrust23THRUST_200600_302600_NS6detail15normal_iteratorINS8_10device_ptrIyEEEESD_SD_SD_jNS0_19identity_decomposerENS1_16block_id_wrapperIjLb1EEEEE10hipError_tT1_PNSt15iterator_traitsISI_E10value_typeET2_T3_PNSJ_ISO_E10value_typeET4_T5_PST_SU_PNS1_23onesweep_lookback_stateEbbT6_jjT7_P12ihipStream_tbENKUlT_T0_SI_SN_E_clISD_PySD_S15_EEDaS11_S12_SI_SN_EUlS11_E_NS1_11comp_targetILNS1_3genE4ELNS1_11target_archE910ELNS1_3gpuE8ELNS1_3repE0EEENS1_47radix_sort_onesweep_sort_config_static_selectorELNS0_4arch9wavefront6targetE1EEEvSI_.uses_flat_scratch, 0
	.set _ZN7rocprim17ROCPRIM_400000_NS6detail17trampoline_kernelINS0_14default_configENS1_35radix_sort_onesweep_config_selectorIyyEEZZNS1_29radix_sort_onesweep_iterationIS3_Lb0EN6thrust23THRUST_200600_302600_NS6detail15normal_iteratorINS8_10device_ptrIyEEEESD_SD_SD_jNS0_19identity_decomposerENS1_16block_id_wrapperIjLb1EEEEE10hipError_tT1_PNSt15iterator_traitsISI_E10value_typeET2_T3_PNSJ_ISO_E10value_typeET4_T5_PST_SU_PNS1_23onesweep_lookback_stateEbbT6_jjT7_P12ihipStream_tbENKUlT_T0_SI_SN_E_clISD_PySD_S15_EEDaS11_S12_SI_SN_EUlS11_E_NS1_11comp_targetILNS1_3genE4ELNS1_11target_archE910ELNS1_3gpuE8ELNS1_3repE0EEENS1_47radix_sort_onesweep_sort_config_static_selectorELNS0_4arch9wavefront6targetE1EEEvSI_.has_dyn_sized_stack, 0
	.set _ZN7rocprim17ROCPRIM_400000_NS6detail17trampoline_kernelINS0_14default_configENS1_35radix_sort_onesweep_config_selectorIyyEEZZNS1_29radix_sort_onesweep_iterationIS3_Lb0EN6thrust23THRUST_200600_302600_NS6detail15normal_iteratorINS8_10device_ptrIyEEEESD_SD_SD_jNS0_19identity_decomposerENS1_16block_id_wrapperIjLb1EEEEE10hipError_tT1_PNSt15iterator_traitsISI_E10value_typeET2_T3_PNSJ_ISO_E10value_typeET4_T5_PST_SU_PNS1_23onesweep_lookback_stateEbbT6_jjT7_P12ihipStream_tbENKUlT_T0_SI_SN_E_clISD_PySD_S15_EEDaS11_S12_SI_SN_EUlS11_E_NS1_11comp_targetILNS1_3genE4ELNS1_11target_archE910ELNS1_3gpuE8ELNS1_3repE0EEENS1_47radix_sort_onesweep_sort_config_static_selectorELNS0_4arch9wavefront6targetE1EEEvSI_.has_recursion, 0
	.set _ZN7rocprim17ROCPRIM_400000_NS6detail17trampoline_kernelINS0_14default_configENS1_35radix_sort_onesweep_config_selectorIyyEEZZNS1_29radix_sort_onesweep_iterationIS3_Lb0EN6thrust23THRUST_200600_302600_NS6detail15normal_iteratorINS8_10device_ptrIyEEEESD_SD_SD_jNS0_19identity_decomposerENS1_16block_id_wrapperIjLb1EEEEE10hipError_tT1_PNSt15iterator_traitsISI_E10value_typeET2_T3_PNSJ_ISO_E10value_typeET4_T5_PST_SU_PNS1_23onesweep_lookback_stateEbbT6_jjT7_P12ihipStream_tbENKUlT_T0_SI_SN_E_clISD_PySD_S15_EEDaS11_S12_SI_SN_EUlS11_E_NS1_11comp_targetILNS1_3genE4ELNS1_11target_archE910ELNS1_3gpuE8ELNS1_3repE0EEENS1_47radix_sort_onesweep_sort_config_static_selectorELNS0_4arch9wavefront6targetE1EEEvSI_.has_indirect_call, 0
	.section	.AMDGPU.csdata,"",@progbits
; Kernel info:
; codeLenInByte = 0
; TotalNumSgprs: 6
; NumVgprs: 0
; NumAgprs: 0
; TotalNumVgprs: 0
; ScratchSize: 0
; MemoryBound: 0
; FloatMode: 240
; IeeeMode: 1
; LDSByteSize: 0 bytes/workgroup (compile time only)
; SGPRBlocks: 0
; VGPRBlocks: 0
; NumSGPRsForWavesPerEU: 6
; NumVGPRsForWavesPerEU: 1
; AccumOffset: 4
; Occupancy: 8
; WaveLimiterHint : 0
; COMPUTE_PGM_RSRC2:SCRATCH_EN: 0
; COMPUTE_PGM_RSRC2:USER_SGPR: 2
; COMPUTE_PGM_RSRC2:TRAP_HANDLER: 0
; COMPUTE_PGM_RSRC2:TGID_X_EN: 1
; COMPUTE_PGM_RSRC2:TGID_Y_EN: 0
; COMPUTE_PGM_RSRC2:TGID_Z_EN: 0
; COMPUTE_PGM_RSRC2:TIDIG_COMP_CNT: 0
; COMPUTE_PGM_RSRC3_GFX90A:ACCUM_OFFSET: 0
; COMPUTE_PGM_RSRC3_GFX90A:TG_SPLIT: 0
	.section	.text._ZN7rocprim17ROCPRIM_400000_NS6detail17trampoline_kernelINS0_14default_configENS1_35radix_sort_onesweep_config_selectorIyyEEZZNS1_29radix_sort_onesweep_iterationIS3_Lb0EN6thrust23THRUST_200600_302600_NS6detail15normal_iteratorINS8_10device_ptrIyEEEESD_SD_SD_jNS0_19identity_decomposerENS1_16block_id_wrapperIjLb1EEEEE10hipError_tT1_PNSt15iterator_traitsISI_E10value_typeET2_T3_PNSJ_ISO_E10value_typeET4_T5_PST_SU_PNS1_23onesweep_lookback_stateEbbT6_jjT7_P12ihipStream_tbENKUlT_T0_SI_SN_E_clISD_PySD_S15_EEDaS11_S12_SI_SN_EUlS11_E_NS1_11comp_targetILNS1_3genE3ELNS1_11target_archE908ELNS1_3gpuE7ELNS1_3repE0EEENS1_47radix_sort_onesweep_sort_config_static_selectorELNS0_4arch9wavefront6targetE1EEEvSI_,"axG",@progbits,_ZN7rocprim17ROCPRIM_400000_NS6detail17trampoline_kernelINS0_14default_configENS1_35radix_sort_onesweep_config_selectorIyyEEZZNS1_29radix_sort_onesweep_iterationIS3_Lb0EN6thrust23THRUST_200600_302600_NS6detail15normal_iteratorINS8_10device_ptrIyEEEESD_SD_SD_jNS0_19identity_decomposerENS1_16block_id_wrapperIjLb1EEEEE10hipError_tT1_PNSt15iterator_traitsISI_E10value_typeET2_T3_PNSJ_ISO_E10value_typeET4_T5_PST_SU_PNS1_23onesweep_lookback_stateEbbT6_jjT7_P12ihipStream_tbENKUlT_T0_SI_SN_E_clISD_PySD_S15_EEDaS11_S12_SI_SN_EUlS11_E_NS1_11comp_targetILNS1_3genE3ELNS1_11target_archE908ELNS1_3gpuE7ELNS1_3repE0EEENS1_47radix_sort_onesweep_sort_config_static_selectorELNS0_4arch9wavefront6targetE1EEEvSI_,comdat
	.protected	_ZN7rocprim17ROCPRIM_400000_NS6detail17trampoline_kernelINS0_14default_configENS1_35radix_sort_onesweep_config_selectorIyyEEZZNS1_29radix_sort_onesweep_iterationIS3_Lb0EN6thrust23THRUST_200600_302600_NS6detail15normal_iteratorINS8_10device_ptrIyEEEESD_SD_SD_jNS0_19identity_decomposerENS1_16block_id_wrapperIjLb1EEEEE10hipError_tT1_PNSt15iterator_traitsISI_E10value_typeET2_T3_PNSJ_ISO_E10value_typeET4_T5_PST_SU_PNS1_23onesweep_lookback_stateEbbT6_jjT7_P12ihipStream_tbENKUlT_T0_SI_SN_E_clISD_PySD_S15_EEDaS11_S12_SI_SN_EUlS11_E_NS1_11comp_targetILNS1_3genE3ELNS1_11target_archE908ELNS1_3gpuE7ELNS1_3repE0EEENS1_47radix_sort_onesweep_sort_config_static_selectorELNS0_4arch9wavefront6targetE1EEEvSI_ ; -- Begin function _ZN7rocprim17ROCPRIM_400000_NS6detail17trampoline_kernelINS0_14default_configENS1_35radix_sort_onesweep_config_selectorIyyEEZZNS1_29radix_sort_onesweep_iterationIS3_Lb0EN6thrust23THRUST_200600_302600_NS6detail15normal_iteratorINS8_10device_ptrIyEEEESD_SD_SD_jNS0_19identity_decomposerENS1_16block_id_wrapperIjLb1EEEEE10hipError_tT1_PNSt15iterator_traitsISI_E10value_typeET2_T3_PNSJ_ISO_E10value_typeET4_T5_PST_SU_PNS1_23onesweep_lookback_stateEbbT6_jjT7_P12ihipStream_tbENKUlT_T0_SI_SN_E_clISD_PySD_S15_EEDaS11_S12_SI_SN_EUlS11_E_NS1_11comp_targetILNS1_3genE3ELNS1_11target_archE908ELNS1_3gpuE7ELNS1_3repE0EEENS1_47radix_sort_onesweep_sort_config_static_selectorELNS0_4arch9wavefront6targetE1EEEvSI_
	.globl	_ZN7rocprim17ROCPRIM_400000_NS6detail17trampoline_kernelINS0_14default_configENS1_35radix_sort_onesweep_config_selectorIyyEEZZNS1_29radix_sort_onesweep_iterationIS3_Lb0EN6thrust23THRUST_200600_302600_NS6detail15normal_iteratorINS8_10device_ptrIyEEEESD_SD_SD_jNS0_19identity_decomposerENS1_16block_id_wrapperIjLb1EEEEE10hipError_tT1_PNSt15iterator_traitsISI_E10value_typeET2_T3_PNSJ_ISO_E10value_typeET4_T5_PST_SU_PNS1_23onesweep_lookback_stateEbbT6_jjT7_P12ihipStream_tbENKUlT_T0_SI_SN_E_clISD_PySD_S15_EEDaS11_S12_SI_SN_EUlS11_E_NS1_11comp_targetILNS1_3genE3ELNS1_11target_archE908ELNS1_3gpuE7ELNS1_3repE0EEENS1_47radix_sort_onesweep_sort_config_static_selectorELNS0_4arch9wavefront6targetE1EEEvSI_
	.p2align	8
	.type	_ZN7rocprim17ROCPRIM_400000_NS6detail17trampoline_kernelINS0_14default_configENS1_35radix_sort_onesweep_config_selectorIyyEEZZNS1_29radix_sort_onesweep_iterationIS3_Lb0EN6thrust23THRUST_200600_302600_NS6detail15normal_iteratorINS8_10device_ptrIyEEEESD_SD_SD_jNS0_19identity_decomposerENS1_16block_id_wrapperIjLb1EEEEE10hipError_tT1_PNSt15iterator_traitsISI_E10value_typeET2_T3_PNSJ_ISO_E10value_typeET4_T5_PST_SU_PNS1_23onesweep_lookback_stateEbbT6_jjT7_P12ihipStream_tbENKUlT_T0_SI_SN_E_clISD_PySD_S15_EEDaS11_S12_SI_SN_EUlS11_E_NS1_11comp_targetILNS1_3genE3ELNS1_11target_archE908ELNS1_3gpuE7ELNS1_3repE0EEENS1_47radix_sort_onesweep_sort_config_static_selectorELNS0_4arch9wavefront6targetE1EEEvSI_,@function
_ZN7rocprim17ROCPRIM_400000_NS6detail17trampoline_kernelINS0_14default_configENS1_35radix_sort_onesweep_config_selectorIyyEEZZNS1_29radix_sort_onesweep_iterationIS3_Lb0EN6thrust23THRUST_200600_302600_NS6detail15normal_iteratorINS8_10device_ptrIyEEEESD_SD_SD_jNS0_19identity_decomposerENS1_16block_id_wrapperIjLb1EEEEE10hipError_tT1_PNSt15iterator_traitsISI_E10value_typeET2_T3_PNSJ_ISO_E10value_typeET4_T5_PST_SU_PNS1_23onesweep_lookback_stateEbbT6_jjT7_P12ihipStream_tbENKUlT_T0_SI_SN_E_clISD_PySD_S15_EEDaS11_S12_SI_SN_EUlS11_E_NS1_11comp_targetILNS1_3genE3ELNS1_11target_archE908ELNS1_3gpuE7ELNS1_3repE0EEENS1_47radix_sort_onesweep_sort_config_static_selectorELNS0_4arch9wavefront6targetE1EEEvSI_: ; @_ZN7rocprim17ROCPRIM_400000_NS6detail17trampoline_kernelINS0_14default_configENS1_35radix_sort_onesweep_config_selectorIyyEEZZNS1_29radix_sort_onesweep_iterationIS3_Lb0EN6thrust23THRUST_200600_302600_NS6detail15normal_iteratorINS8_10device_ptrIyEEEESD_SD_SD_jNS0_19identity_decomposerENS1_16block_id_wrapperIjLb1EEEEE10hipError_tT1_PNSt15iterator_traitsISI_E10value_typeET2_T3_PNSJ_ISO_E10value_typeET4_T5_PST_SU_PNS1_23onesweep_lookback_stateEbbT6_jjT7_P12ihipStream_tbENKUlT_T0_SI_SN_E_clISD_PySD_S15_EEDaS11_S12_SI_SN_EUlS11_E_NS1_11comp_targetILNS1_3genE3ELNS1_11target_archE908ELNS1_3gpuE7ELNS1_3repE0EEENS1_47radix_sort_onesweep_sort_config_static_selectorELNS0_4arch9wavefront6targetE1EEEvSI_
; %bb.0:
	.section	.rodata,"a",@progbits
	.p2align	6, 0x0
	.amdhsa_kernel _ZN7rocprim17ROCPRIM_400000_NS6detail17trampoline_kernelINS0_14default_configENS1_35radix_sort_onesweep_config_selectorIyyEEZZNS1_29radix_sort_onesweep_iterationIS3_Lb0EN6thrust23THRUST_200600_302600_NS6detail15normal_iteratorINS8_10device_ptrIyEEEESD_SD_SD_jNS0_19identity_decomposerENS1_16block_id_wrapperIjLb1EEEEE10hipError_tT1_PNSt15iterator_traitsISI_E10value_typeET2_T3_PNSJ_ISO_E10value_typeET4_T5_PST_SU_PNS1_23onesweep_lookback_stateEbbT6_jjT7_P12ihipStream_tbENKUlT_T0_SI_SN_E_clISD_PySD_S15_EEDaS11_S12_SI_SN_EUlS11_E_NS1_11comp_targetILNS1_3genE3ELNS1_11target_archE908ELNS1_3gpuE7ELNS1_3repE0EEENS1_47radix_sort_onesweep_sort_config_static_selectorELNS0_4arch9wavefront6targetE1EEEvSI_
		.amdhsa_group_segment_fixed_size 0
		.amdhsa_private_segment_fixed_size 0
		.amdhsa_kernarg_size 88
		.amdhsa_user_sgpr_count 2
		.amdhsa_user_sgpr_dispatch_ptr 0
		.amdhsa_user_sgpr_queue_ptr 0
		.amdhsa_user_sgpr_kernarg_segment_ptr 1
		.amdhsa_user_sgpr_dispatch_id 0
		.amdhsa_user_sgpr_kernarg_preload_length 0
		.amdhsa_user_sgpr_kernarg_preload_offset 0
		.amdhsa_user_sgpr_private_segment_size 0
		.amdhsa_uses_dynamic_stack 0
		.amdhsa_enable_private_segment 0
		.amdhsa_system_sgpr_workgroup_id_x 1
		.amdhsa_system_sgpr_workgroup_id_y 0
		.amdhsa_system_sgpr_workgroup_id_z 0
		.amdhsa_system_sgpr_workgroup_info 0
		.amdhsa_system_vgpr_workitem_id 0
		.amdhsa_next_free_vgpr 1
		.amdhsa_next_free_sgpr 0
		.amdhsa_accum_offset 4
		.amdhsa_reserve_vcc 0
		.amdhsa_float_round_mode_32 0
		.amdhsa_float_round_mode_16_64 0
		.amdhsa_float_denorm_mode_32 3
		.amdhsa_float_denorm_mode_16_64 3
		.amdhsa_dx10_clamp 1
		.amdhsa_ieee_mode 1
		.amdhsa_fp16_overflow 0
		.amdhsa_tg_split 0
		.amdhsa_exception_fp_ieee_invalid_op 0
		.amdhsa_exception_fp_denorm_src 0
		.amdhsa_exception_fp_ieee_div_zero 0
		.amdhsa_exception_fp_ieee_overflow 0
		.amdhsa_exception_fp_ieee_underflow 0
		.amdhsa_exception_fp_ieee_inexact 0
		.amdhsa_exception_int_div_zero 0
	.end_amdhsa_kernel
	.section	.text._ZN7rocprim17ROCPRIM_400000_NS6detail17trampoline_kernelINS0_14default_configENS1_35radix_sort_onesweep_config_selectorIyyEEZZNS1_29radix_sort_onesweep_iterationIS3_Lb0EN6thrust23THRUST_200600_302600_NS6detail15normal_iteratorINS8_10device_ptrIyEEEESD_SD_SD_jNS0_19identity_decomposerENS1_16block_id_wrapperIjLb1EEEEE10hipError_tT1_PNSt15iterator_traitsISI_E10value_typeET2_T3_PNSJ_ISO_E10value_typeET4_T5_PST_SU_PNS1_23onesweep_lookback_stateEbbT6_jjT7_P12ihipStream_tbENKUlT_T0_SI_SN_E_clISD_PySD_S15_EEDaS11_S12_SI_SN_EUlS11_E_NS1_11comp_targetILNS1_3genE3ELNS1_11target_archE908ELNS1_3gpuE7ELNS1_3repE0EEENS1_47radix_sort_onesweep_sort_config_static_selectorELNS0_4arch9wavefront6targetE1EEEvSI_,"axG",@progbits,_ZN7rocprim17ROCPRIM_400000_NS6detail17trampoline_kernelINS0_14default_configENS1_35radix_sort_onesweep_config_selectorIyyEEZZNS1_29radix_sort_onesweep_iterationIS3_Lb0EN6thrust23THRUST_200600_302600_NS6detail15normal_iteratorINS8_10device_ptrIyEEEESD_SD_SD_jNS0_19identity_decomposerENS1_16block_id_wrapperIjLb1EEEEE10hipError_tT1_PNSt15iterator_traitsISI_E10value_typeET2_T3_PNSJ_ISO_E10value_typeET4_T5_PST_SU_PNS1_23onesweep_lookback_stateEbbT6_jjT7_P12ihipStream_tbENKUlT_T0_SI_SN_E_clISD_PySD_S15_EEDaS11_S12_SI_SN_EUlS11_E_NS1_11comp_targetILNS1_3genE3ELNS1_11target_archE908ELNS1_3gpuE7ELNS1_3repE0EEENS1_47radix_sort_onesweep_sort_config_static_selectorELNS0_4arch9wavefront6targetE1EEEvSI_,comdat
.Lfunc_end542:
	.size	_ZN7rocprim17ROCPRIM_400000_NS6detail17trampoline_kernelINS0_14default_configENS1_35radix_sort_onesweep_config_selectorIyyEEZZNS1_29radix_sort_onesweep_iterationIS3_Lb0EN6thrust23THRUST_200600_302600_NS6detail15normal_iteratorINS8_10device_ptrIyEEEESD_SD_SD_jNS0_19identity_decomposerENS1_16block_id_wrapperIjLb1EEEEE10hipError_tT1_PNSt15iterator_traitsISI_E10value_typeET2_T3_PNSJ_ISO_E10value_typeET4_T5_PST_SU_PNS1_23onesweep_lookback_stateEbbT6_jjT7_P12ihipStream_tbENKUlT_T0_SI_SN_E_clISD_PySD_S15_EEDaS11_S12_SI_SN_EUlS11_E_NS1_11comp_targetILNS1_3genE3ELNS1_11target_archE908ELNS1_3gpuE7ELNS1_3repE0EEENS1_47radix_sort_onesweep_sort_config_static_selectorELNS0_4arch9wavefront6targetE1EEEvSI_, .Lfunc_end542-_ZN7rocprim17ROCPRIM_400000_NS6detail17trampoline_kernelINS0_14default_configENS1_35radix_sort_onesweep_config_selectorIyyEEZZNS1_29radix_sort_onesweep_iterationIS3_Lb0EN6thrust23THRUST_200600_302600_NS6detail15normal_iteratorINS8_10device_ptrIyEEEESD_SD_SD_jNS0_19identity_decomposerENS1_16block_id_wrapperIjLb1EEEEE10hipError_tT1_PNSt15iterator_traitsISI_E10value_typeET2_T3_PNSJ_ISO_E10value_typeET4_T5_PST_SU_PNS1_23onesweep_lookback_stateEbbT6_jjT7_P12ihipStream_tbENKUlT_T0_SI_SN_E_clISD_PySD_S15_EEDaS11_S12_SI_SN_EUlS11_E_NS1_11comp_targetILNS1_3genE3ELNS1_11target_archE908ELNS1_3gpuE7ELNS1_3repE0EEENS1_47radix_sort_onesweep_sort_config_static_selectorELNS0_4arch9wavefront6targetE1EEEvSI_
                                        ; -- End function
	.set _ZN7rocprim17ROCPRIM_400000_NS6detail17trampoline_kernelINS0_14default_configENS1_35radix_sort_onesweep_config_selectorIyyEEZZNS1_29radix_sort_onesweep_iterationIS3_Lb0EN6thrust23THRUST_200600_302600_NS6detail15normal_iteratorINS8_10device_ptrIyEEEESD_SD_SD_jNS0_19identity_decomposerENS1_16block_id_wrapperIjLb1EEEEE10hipError_tT1_PNSt15iterator_traitsISI_E10value_typeET2_T3_PNSJ_ISO_E10value_typeET4_T5_PST_SU_PNS1_23onesweep_lookback_stateEbbT6_jjT7_P12ihipStream_tbENKUlT_T0_SI_SN_E_clISD_PySD_S15_EEDaS11_S12_SI_SN_EUlS11_E_NS1_11comp_targetILNS1_3genE3ELNS1_11target_archE908ELNS1_3gpuE7ELNS1_3repE0EEENS1_47radix_sort_onesweep_sort_config_static_selectorELNS0_4arch9wavefront6targetE1EEEvSI_.num_vgpr, 0
	.set _ZN7rocprim17ROCPRIM_400000_NS6detail17trampoline_kernelINS0_14default_configENS1_35radix_sort_onesweep_config_selectorIyyEEZZNS1_29radix_sort_onesweep_iterationIS3_Lb0EN6thrust23THRUST_200600_302600_NS6detail15normal_iteratorINS8_10device_ptrIyEEEESD_SD_SD_jNS0_19identity_decomposerENS1_16block_id_wrapperIjLb1EEEEE10hipError_tT1_PNSt15iterator_traitsISI_E10value_typeET2_T3_PNSJ_ISO_E10value_typeET4_T5_PST_SU_PNS1_23onesweep_lookback_stateEbbT6_jjT7_P12ihipStream_tbENKUlT_T0_SI_SN_E_clISD_PySD_S15_EEDaS11_S12_SI_SN_EUlS11_E_NS1_11comp_targetILNS1_3genE3ELNS1_11target_archE908ELNS1_3gpuE7ELNS1_3repE0EEENS1_47radix_sort_onesweep_sort_config_static_selectorELNS0_4arch9wavefront6targetE1EEEvSI_.num_agpr, 0
	.set _ZN7rocprim17ROCPRIM_400000_NS6detail17trampoline_kernelINS0_14default_configENS1_35radix_sort_onesweep_config_selectorIyyEEZZNS1_29radix_sort_onesweep_iterationIS3_Lb0EN6thrust23THRUST_200600_302600_NS6detail15normal_iteratorINS8_10device_ptrIyEEEESD_SD_SD_jNS0_19identity_decomposerENS1_16block_id_wrapperIjLb1EEEEE10hipError_tT1_PNSt15iterator_traitsISI_E10value_typeET2_T3_PNSJ_ISO_E10value_typeET4_T5_PST_SU_PNS1_23onesweep_lookback_stateEbbT6_jjT7_P12ihipStream_tbENKUlT_T0_SI_SN_E_clISD_PySD_S15_EEDaS11_S12_SI_SN_EUlS11_E_NS1_11comp_targetILNS1_3genE3ELNS1_11target_archE908ELNS1_3gpuE7ELNS1_3repE0EEENS1_47radix_sort_onesweep_sort_config_static_selectorELNS0_4arch9wavefront6targetE1EEEvSI_.numbered_sgpr, 0
	.set _ZN7rocprim17ROCPRIM_400000_NS6detail17trampoline_kernelINS0_14default_configENS1_35radix_sort_onesweep_config_selectorIyyEEZZNS1_29radix_sort_onesweep_iterationIS3_Lb0EN6thrust23THRUST_200600_302600_NS6detail15normal_iteratorINS8_10device_ptrIyEEEESD_SD_SD_jNS0_19identity_decomposerENS1_16block_id_wrapperIjLb1EEEEE10hipError_tT1_PNSt15iterator_traitsISI_E10value_typeET2_T3_PNSJ_ISO_E10value_typeET4_T5_PST_SU_PNS1_23onesweep_lookback_stateEbbT6_jjT7_P12ihipStream_tbENKUlT_T0_SI_SN_E_clISD_PySD_S15_EEDaS11_S12_SI_SN_EUlS11_E_NS1_11comp_targetILNS1_3genE3ELNS1_11target_archE908ELNS1_3gpuE7ELNS1_3repE0EEENS1_47radix_sort_onesweep_sort_config_static_selectorELNS0_4arch9wavefront6targetE1EEEvSI_.num_named_barrier, 0
	.set _ZN7rocprim17ROCPRIM_400000_NS6detail17trampoline_kernelINS0_14default_configENS1_35radix_sort_onesweep_config_selectorIyyEEZZNS1_29radix_sort_onesweep_iterationIS3_Lb0EN6thrust23THRUST_200600_302600_NS6detail15normal_iteratorINS8_10device_ptrIyEEEESD_SD_SD_jNS0_19identity_decomposerENS1_16block_id_wrapperIjLb1EEEEE10hipError_tT1_PNSt15iterator_traitsISI_E10value_typeET2_T3_PNSJ_ISO_E10value_typeET4_T5_PST_SU_PNS1_23onesweep_lookback_stateEbbT6_jjT7_P12ihipStream_tbENKUlT_T0_SI_SN_E_clISD_PySD_S15_EEDaS11_S12_SI_SN_EUlS11_E_NS1_11comp_targetILNS1_3genE3ELNS1_11target_archE908ELNS1_3gpuE7ELNS1_3repE0EEENS1_47radix_sort_onesweep_sort_config_static_selectorELNS0_4arch9wavefront6targetE1EEEvSI_.private_seg_size, 0
	.set _ZN7rocprim17ROCPRIM_400000_NS6detail17trampoline_kernelINS0_14default_configENS1_35radix_sort_onesweep_config_selectorIyyEEZZNS1_29radix_sort_onesweep_iterationIS3_Lb0EN6thrust23THRUST_200600_302600_NS6detail15normal_iteratorINS8_10device_ptrIyEEEESD_SD_SD_jNS0_19identity_decomposerENS1_16block_id_wrapperIjLb1EEEEE10hipError_tT1_PNSt15iterator_traitsISI_E10value_typeET2_T3_PNSJ_ISO_E10value_typeET4_T5_PST_SU_PNS1_23onesweep_lookback_stateEbbT6_jjT7_P12ihipStream_tbENKUlT_T0_SI_SN_E_clISD_PySD_S15_EEDaS11_S12_SI_SN_EUlS11_E_NS1_11comp_targetILNS1_3genE3ELNS1_11target_archE908ELNS1_3gpuE7ELNS1_3repE0EEENS1_47radix_sort_onesweep_sort_config_static_selectorELNS0_4arch9wavefront6targetE1EEEvSI_.uses_vcc, 0
	.set _ZN7rocprim17ROCPRIM_400000_NS6detail17trampoline_kernelINS0_14default_configENS1_35radix_sort_onesweep_config_selectorIyyEEZZNS1_29radix_sort_onesweep_iterationIS3_Lb0EN6thrust23THRUST_200600_302600_NS6detail15normal_iteratorINS8_10device_ptrIyEEEESD_SD_SD_jNS0_19identity_decomposerENS1_16block_id_wrapperIjLb1EEEEE10hipError_tT1_PNSt15iterator_traitsISI_E10value_typeET2_T3_PNSJ_ISO_E10value_typeET4_T5_PST_SU_PNS1_23onesweep_lookback_stateEbbT6_jjT7_P12ihipStream_tbENKUlT_T0_SI_SN_E_clISD_PySD_S15_EEDaS11_S12_SI_SN_EUlS11_E_NS1_11comp_targetILNS1_3genE3ELNS1_11target_archE908ELNS1_3gpuE7ELNS1_3repE0EEENS1_47radix_sort_onesweep_sort_config_static_selectorELNS0_4arch9wavefront6targetE1EEEvSI_.uses_flat_scratch, 0
	.set _ZN7rocprim17ROCPRIM_400000_NS6detail17trampoline_kernelINS0_14default_configENS1_35radix_sort_onesweep_config_selectorIyyEEZZNS1_29radix_sort_onesweep_iterationIS3_Lb0EN6thrust23THRUST_200600_302600_NS6detail15normal_iteratorINS8_10device_ptrIyEEEESD_SD_SD_jNS0_19identity_decomposerENS1_16block_id_wrapperIjLb1EEEEE10hipError_tT1_PNSt15iterator_traitsISI_E10value_typeET2_T3_PNSJ_ISO_E10value_typeET4_T5_PST_SU_PNS1_23onesweep_lookback_stateEbbT6_jjT7_P12ihipStream_tbENKUlT_T0_SI_SN_E_clISD_PySD_S15_EEDaS11_S12_SI_SN_EUlS11_E_NS1_11comp_targetILNS1_3genE3ELNS1_11target_archE908ELNS1_3gpuE7ELNS1_3repE0EEENS1_47radix_sort_onesweep_sort_config_static_selectorELNS0_4arch9wavefront6targetE1EEEvSI_.has_dyn_sized_stack, 0
	.set _ZN7rocprim17ROCPRIM_400000_NS6detail17trampoline_kernelINS0_14default_configENS1_35radix_sort_onesweep_config_selectorIyyEEZZNS1_29radix_sort_onesweep_iterationIS3_Lb0EN6thrust23THRUST_200600_302600_NS6detail15normal_iteratorINS8_10device_ptrIyEEEESD_SD_SD_jNS0_19identity_decomposerENS1_16block_id_wrapperIjLb1EEEEE10hipError_tT1_PNSt15iterator_traitsISI_E10value_typeET2_T3_PNSJ_ISO_E10value_typeET4_T5_PST_SU_PNS1_23onesweep_lookback_stateEbbT6_jjT7_P12ihipStream_tbENKUlT_T0_SI_SN_E_clISD_PySD_S15_EEDaS11_S12_SI_SN_EUlS11_E_NS1_11comp_targetILNS1_3genE3ELNS1_11target_archE908ELNS1_3gpuE7ELNS1_3repE0EEENS1_47radix_sort_onesweep_sort_config_static_selectorELNS0_4arch9wavefront6targetE1EEEvSI_.has_recursion, 0
	.set _ZN7rocprim17ROCPRIM_400000_NS6detail17trampoline_kernelINS0_14default_configENS1_35radix_sort_onesweep_config_selectorIyyEEZZNS1_29radix_sort_onesweep_iterationIS3_Lb0EN6thrust23THRUST_200600_302600_NS6detail15normal_iteratorINS8_10device_ptrIyEEEESD_SD_SD_jNS0_19identity_decomposerENS1_16block_id_wrapperIjLb1EEEEE10hipError_tT1_PNSt15iterator_traitsISI_E10value_typeET2_T3_PNSJ_ISO_E10value_typeET4_T5_PST_SU_PNS1_23onesweep_lookback_stateEbbT6_jjT7_P12ihipStream_tbENKUlT_T0_SI_SN_E_clISD_PySD_S15_EEDaS11_S12_SI_SN_EUlS11_E_NS1_11comp_targetILNS1_3genE3ELNS1_11target_archE908ELNS1_3gpuE7ELNS1_3repE0EEENS1_47radix_sort_onesweep_sort_config_static_selectorELNS0_4arch9wavefront6targetE1EEEvSI_.has_indirect_call, 0
	.section	.AMDGPU.csdata,"",@progbits
; Kernel info:
; codeLenInByte = 0
; TotalNumSgprs: 6
; NumVgprs: 0
; NumAgprs: 0
; TotalNumVgprs: 0
; ScratchSize: 0
; MemoryBound: 0
; FloatMode: 240
; IeeeMode: 1
; LDSByteSize: 0 bytes/workgroup (compile time only)
; SGPRBlocks: 0
; VGPRBlocks: 0
; NumSGPRsForWavesPerEU: 6
; NumVGPRsForWavesPerEU: 1
; AccumOffset: 4
; Occupancy: 8
; WaveLimiterHint : 0
; COMPUTE_PGM_RSRC2:SCRATCH_EN: 0
; COMPUTE_PGM_RSRC2:USER_SGPR: 2
; COMPUTE_PGM_RSRC2:TRAP_HANDLER: 0
; COMPUTE_PGM_RSRC2:TGID_X_EN: 1
; COMPUTE_PGM_RSRC2:TGID_Y_EN: 0
; COMPUTE_PGM_RSRC2:TGID_Z_EN: 0
; COMPUTE_PGM_RSRC2:TIDIG_COMP_CNT: 0
; COMPUTE_PGM_RSRC3_GFX90A:ACCUM_OFFSET: 0
; COMPUTE_PGM_RSRC3_GFX90A:TG_SPLIT: 0
	.section	.text._ZN7rocprim17ROCPRIM_400000_NS6detail17trampoline_kernelINS0_14default_configENS1_35radix_sort_onesweep_config_selectorIyyEEZZNS1_29radix_sort_onesweep_iterationIS3_Lb0EN6thrust23THRUST_200600_302600_NS6detail15normal_iteratorINS8_10device_ptrIyEEEESD_SD_SD_jNS0_19identity_decomposerENS1_16block_id_wrapperIjLb1EEEEE10hipError_tT1_PNSt15iterator_traitsISI_E10value_typeET2_T3_PNSJ_ISO_E10value_typeET4_T5_PST_SU_PNS1_23onesweep_lookback_stateEbbT6_jjT7_P12ihipStream_tbENKUlT_T0_SI_SN_E_clISD_PySD_S15_EEDaS11_S12_SI_SN_EUlS11_E_NS1_11comp_targetILNS1_3genE10ELNS1_11target_archE1201ELNS1_3gpuE5ELNS1_3repE0EEENS1_47radix_sort_onesweep_sort_config_static_selectorELNS0_4arch9wavefront6targetE1EEEvSI_,"axG",@progbits,_ZN7rocprim17ROCPRIM_400000_NS6detail17trampoline_kernelINS0_14default_configENS1_35radix_sort_onesweep_config_selectorIyyEEZZNS1_29radix_sort_onesweep_iterationIS3_Lb0EN6thrust23THRUST_200600_302600_NS6detail15normal_iteratorINS8_10device_ptrIyEEEESD_SD_SD_jNS0_19identity_decomposerENS1_16block_id_wrapperIjLb1EEEEE10hipError_tT1_PNSt15iterator_traitsISI_E10value_typeET2_T3_PNSJ_ISO_E10value_typeET4_T5_PST_SU_PNS1_23onesweep_lookback_stateEbbT6_jjT7_P12ihipStream_tbENKUlT_T0_SI_SN_E_clISD_PySD_S15_EEDaS11_S12_SI_SN_EUlS11_E_NS1_11comp_targetILNS1_3genE10ELNS1_11target_archE1201ELNS1_3gpuE5ELNS1_3repE0EEENS1_47radix_sort_onesweep_sort_config_static_selectorELNS0_4arch9wavefront6targetE1EEEvSI_,comdat
	.protected	_ZN7rocprim17ROCPRIM_400000_NS6detail17trampoline_kernelINS0_14default_configENS1_35radix_sort_onesweep_config_selectorIyyEEZZNS1_29radix_sort_onesweep_iterationIS3_Lb0EN6thrust23THRUST_200600_302600_NS6detail15normal_iteratorINS8_10device_ptrIyEEEESD_SD_SD_jNS0_19identity_decomposerENS1_16block_id_wrapperIjLb1EEEEE10hipError_tT1_PNSt15iterator_traitsISI_E10value_typeET2_T3_PNSJ_ISO_E10value_typeET4_T5_PST_SU_PNS1_23onesweep_lookback_stateEbbT6_jjT7_P12ihipStream_tbENKUlT_T0_SI_SN_E_clISD_PySD_S15_EEDaS11_S12_SI_SN_EUlS11_E_NS1_11comp_targetILNS1_3genE10ELNS1_11target_archE1201ELNS1_3gpuE5ELNS1_3repE0EEENS1_47radix_sort_onesweep_sort_config_static_selectorELNS0_4arch9wavefront6targetE1EEEvSI_ ; -- Begin function _ZN7rocprim17ROCPRIM_400000_NS6detail17trampoline_kernelINS0_14default_configENS1_35radix_sort_onesweep_config_selectorIyyEEZZNS1_29radix_sort_onesweep_iterationIS3_Lb0EN6thrust23THRUST_200600_302600_NS6detail15normal_iteratorINS8_10device_ptrIyEEEESD_SD_SD_jNS0_19identity_decomposerENS1_16block_id_wrapperIjLb1EEEEE10hipError_tT1_PNSt15iterator_traitsISI_E10value_typeET2_T3_PNSJ_ISO_E10value_typeET4_T5_PST_SU_PNS1_23onesweep_lookback_stateEbbT6_jjT7_P12ihipStream_tbENKUlT_T0_SI_SN_E_clISD_PySD_S15_EEDaS11_S12_SI_SN_EUlS11_E_NS1_11comp_targetILNS1_3genE10ELNS1_11target_archE1201ELNS1_3gpuE5ELNS1_3repE0EEENS1_47radix_sort_onesweep_sort_config_static_selectorELNS0_4arch9wavefront6targetE1EEEvSI_
	.globl	_ZN7rocprim17ROCPRIM_400000_NS6detail17trampoline_kernelINS0_14default_configENS1_35radix_sort_onesweep_config_selectorIyyEEZZNS1_29radix_sort_onesweep_iterationIS3_Lb0EN6thrust23THRUST_200600_302600_NS6detail15normal_iteratorINS8_10device_ptrIyEEEESD_SD_SD_jNS0_19identity_decomposerENS1_16block_id_wrapperIjLb1EEEEE10hipError_tT1_PNSt15iterator_traitsISI_E10value_typeET2_T3_PNSJ_ISO_E10value_typeET4_T5_PST_SU_PNS1_23onesweep_lookback_stateEbbT6_jjT7_P12ihipStream_tbENKUlT_T0_SI_SN_E_clISD_PySD_S15_EEDaS11_S12_SI_SN_EUlS11_E_NS1_11comp_targetILNS1_3genE10ELNS1_11target_archE1201ELNS1_3gpuE5ELNS1_3repE0EEENS1_47radix_sort_onesweep_sort_config_static_selectorELNS0_4arch9wavefront6targetE1EEEvSI_
	.p2align	8
	.type	_ZN7rocprim17ROCPRIM_400000_NS6detail17trampoline_kernelINS0_14default_configENS1_35radix_sort_onesweep_config_selectorIyyEEZZNS1_29radix_sort_onesweep_iterationIS3_Lb0EN6thrust23THRUST_200600_302600_NS6detail15normal_iteratorINS8_10device_ptrIyEEEESD_SD_SD_jNS0_19identity_decomposerENS1_16block_id_wrapperIjLb1EEEEE10hipError_tT1_PNSt15iterator_traitsISI_E10value_typeET2_T3_PNSJ_ISO_E10value_typeET4_T5_PST_SU_PNS1_23onesweep_lookback_stateEbbT6_jjT7_P12ihipStream_tbENKUlT_T0_SI_SN_E_clISD_PySD_S15_EEDaS11_S12_SI_SN_EUlS11_E_NS1_11comp_targetILNS1_3genE10ELNS1_11target_archE1201ELNS1_3gpuE5ELNS1_3repE0EEENS1_47radix_sort_onesweep_sort_config_static_selectorELNS0_4arch9wavefront6targetE1EEEvSI_,@function
_ZN7rocprim17ROCPRIM_400000_NS6detail17trampoline_kernelINS0_14default_configENS1_35radix_sort_onesweep_config_selectorIyyEEZZNS1_29radix_sort_onesweep_iterationIS3_Lb0EN6thrust23THRUST_200600_302600_NS6detail15normal_iteratorINS8_10device_ptrIyEEEESD_SD_SD_jNS0_19identity_decomposerENS1_16block_id_wrapperIjLb1EEEEE10hipError_tT1_PNSt15iterator_traitsISI_E10value_typeET2_T3_PNSJ_ISO_E10value_typeET4_T5_PST_SU_PNS1_23onesweep_lookback_stateEbbT6_jjT7_P12ihipStream_tbENKUlT_T0_SI_SN_E_clISD_PySD_S15_EEDaS11_S12_SI_SN_EUlS11_E_NS1_11comp_targetILNS1_3genE10ELNS1_11target_archE1201ELNS1_3gpuE5ELNS1_3repE0EEENS1_47radix_sort_onesweep_sort_config_static_selectorELNS0_4arch9wavefront6targetE1EEEvSI_: ; @_ZN7rocprim17ROCPRIM_400000_NS6detail17trampoline_kernelINS0_14default_configENS1_35radix_sort_onesweep_config_selectorIyyEEZZNS1_29radix_sort_onesweep_iterationIS3_Lb0EN6thrust23THRUST_200600_302600_NS6detail15normal_iteratorINS8_10device_ptrIyEEEESD_SD_SD_jNS0_19identity_decomposerENS1_16block_id_wrapperIjLb1EEEEE10hipError_tT1_PNSt15iterator_traitsISI_E10value_typeET2_T3_PNSJ_ISO_E10value_typeET4_T5_PST_SU_PNS1_23onesweep_lookback_stateEbbT6_jjT7_P12ihipStream_tbENKUlT_T0_SI_SN_E_clISD_PySD_S15_EEDaS11_S12_SI_SN_EUlS11_E_NS1_11comp_targetILNS1_3genE10ELNS1_11target_archE1201ELNS1_3gpuE5ELNS1_3repE0EEENS1_47radix_sort_onesweep_sort_config_static_selectorELNS0_4arch9wavefront6targetE1EEEvSI_
; %bb.0:
	.section	.rodata,"a",@progbits
	.p2align	6, 0x0
	.amdhsa_kernel _ZN7rocprim17ROCPRIM_400000_NS6detail17trampoline_kernelINS0_14default_configENS1_35radix_sort_onesweep_config_selectorIyyEEZZNS1_29radix_sort_onesweep_iterationIS3_Lb0EN6thrust23THRUST_200600_302600_NS6detail15normal_iteratorINS8_10device_ptrIyEEEESD_SD_SD_jNS0_19identity_decomposerENS1_16block_id_wrapperIjLb1EEEEE10hipError_tT1_PNSt15iterator_traitsISI_E10value_typeET2_T3_PNSJ_ISO_E10value_typeET4_T5_PST_SU_PNS1_23onesweep_lookback_stateEbbT6_jjT7_P12ihipStream_tbENKUlT_T0_SI_SN_E_clISD_PySD_S15_EEDaS11_S12_SI_SN_EUlS11_E_NS1_11comp_targetILNS1_3genE10ELNS1_11target_archE1201ELNS1_3gpuE5ELNS1_3repE0EEENS1_47radix_sort_onesweep_sort_config_static_selectorELNS0_4arch9wavefront6targetE1EEEvSI_
		.amdhsa_group_segment_fixed_size 0
		.amdhsa_private_segment_fixed_size 0
		.amdhsa_kernarg_size 88
		.amdhsa_user_sgpr_count 2
		.amdhsa_user_sgpr_dispatch_ptr 0
		.amdhsa_user_sgpr_queue_ptr 0
		.amdhsa_user_sgpr_kernarg_segment_ptr 1
		.amdhsa_user_sgpr_dispatch_id 0
		.amdhsa_user_sgpr_kernarg_preload_length 0
		.amdhsa_user_sgpr_kernarg_preload_offset 0
		.amdhsa_user_sgpr_private_segment_size 0
		.amdhsa_uses_dynamic_stack 0
		.amdhsa_enable_private_segment 0
		.amdhsa_system_sgpr_workgroup_id_x 1
		.amdhsa_system_sgpr_workgroup_id_y 0
		.amdhsa_system_sgpr_workgroup_id_z 0
		.amdhsa_system_sgpr_workgroup_info 0
		.amdhsa_system_vgpr_workitem_id 0
		.amdhsa_next_free_vgpr 1
		.amdhsa_next_free_sgpr 0
		.amdhsa_accum_offset 4
		.amdhsa_reserve_vcc 0
		.amdhsa_float_round_mode_32 0
		.amdhsa_float_round_mode_16_64 0
		.amdhsa_float_denorm_mode_32 3
		.amdhsa_float_denorm_mode_16_64 3
		.amdhsa_dx10_clamp 1
		.amdhsa_ieee_mode 1
		.amdhsa_fp16_overflow 0
		.amdhsa_tg_split 0
		.amdhsa_exception_fp_ieee_invalid_op 0
		.amdhsa_exception_fp_denorm_src 0
		.amdhsa_exception_fp_ieee_div_zero 0
		.amdhsa_exception_fp_ieee_overflow 0
		.amdhsa_exception_fp_ieee_underflow 0
		.amdhsa_exception_fp_ieee_inexact 0
		.amdhsa_exception_int_div_zero 0
	.end_amdhsa_kernel
	.section	.text._ZN7rocprim17ROCPRIM_400000_NS6detail17trampoline_kernelINS0_14default_configENS1_35radix_sort_onesweep_config_selectorIyyEEZZNS1_29radix_sort_onesweep_iterationIS3_Lb0EN6thrust23THRUST_200600_302600_NS6detail15normal_iteratorINS8_10device_ptrIyEEEESD_SD_SD_jNS0_19identity_decomposerENS1_16block_id_wrapperIjLb1EEEEE10hipError_tT1_PNSt15iterator_traitsISI_E10value_typeET2_T3_PNSJ_ISO_E10value_typeET4_T5_PST_SU_PNS1_23onesweep_lookback_stateEbbT6_jjT7_P12ihipStream_tbENKUlT_T0_SI_SN_E_clISD_PySD_S15_EEDaS11_S12_SI_SN_EUlS11_E_NS1_11comp_targetILNS1_3genE10ELNS1_11target_archE1201ELNS1_3gpuE5ELNS1_3repE0EEENS1_47radix_sort_onesweep_sort_config_static_selectorELNS0_4arch9wavefront6targetE1EEEvSI_,"axG",@progbits,_ZN7rocprim17ROCPRIM_400000_NS6detail17trampoline_kernelINS0_14default_configENS1_35radix_sort_onesweep_config_selectorIyyEEZZNS1_29radix_sort_onesweep_iterationIS3_Lb0EN6thrust23THRUST_200600_302600_NS6detail15normal_iteratorINS8_10device_ptrIyEEEESD_SD_SD_jNS0_19identity_decomposerENS1_16block_id_wrapperIjLb1EEEEE10hipError_tT1_PNSt15iterator_traitsISI_E10value_typeET2_T3_PNSJ_ISO_E10value_typeET4_T5_PST_SU_PNS1_23onesweep_lookback_stateEbbT6_jjT7_P12ihipStream_tbENKUlT_T0_SI_SN_E_clISD_PySD_S15_EEDaS11_S12_SI_SN_EUlS11_E_NS1_11comp_targetILNS1_3genE10ELNS1_11target_archE1201ELNS1_3gpuE5ELNS1_3repE0EEENS1_47radix_sort_onesweep_sort_config_static_selectorELNS0_4arch9wavefront6targetE1EEEvSI_,comdat
.Lfunc_end543:
	.size	_ZN7rocprim17ROCPRIM_400000_NS6detail17trampoline_kernelINS0_14default_configENS1_35radix_sort_onesweep_config_selectorIyyEEZZNS1_29radix_sort_onesweep_iterationIS3_Lb0EN6thrust23THRUST_200600_302600_NS6detail15normal_iteratorINS8_10device_ptrIyEEEESD_SD_SD_jNS0_19identity_decomposerENS1_16block_id_wrapperIjLb1EEEEE10hipError_tT1_PNSt15iterator_traitsISI_E10value_typeET2_T3_PNSJ_ISO_E10value_typeET4_T5_PST_SU_PNS1_23onesweep_lookback_stateEbbT6_jjT7_P12ihipStream_tbENKUlT_T0_SI_SN_E_clISD_PySD_S15_EEDaS11_S12_SI_SN_EUlS11_E_NS1_11comp_targetILNS1_3genE10ELNS1_11target_archE1201ELNS1_3gpuE5ELNS1_3repE0EEENS1_47radix_sort_onesweep_sort_config_static_selectorELNS0_4arch9wavefront6targetE1EEEvSI_, .Lfunc_end543-_ZN7rocprim17ROCPRIM_400000_NS6detail17trampoline_kernelINS0_14default_configENS1_35radix_sort_onesweep_config_selectorIyyEEZZNS1_29radix_sort_onesweep_iterationIS3_Lb0EN6thrust23THRUST_200600_302600_NS6detail15normal_iteratorINS8_10device_ptrIyEEEESD_SD_SD_jNS0_19identity_decomposerENS1_16block_id_wrapperIjLb1EEEEE10hipError_tT1_PNSt15iterator_traitsISI_E10value_typeET2_T3_PNSJ_ISO_E10value_typeET4_T5_PST_SU_PNS1_23onesweep_lookback_stateEbbT6_jjT7_P12ihipStream_tbENKUlT_T0_SI_SN_E_clISD_PySD_S15_EEDaS11_S12_SI_SN_EUlS11_E_NS1_11comp_targetILNS1_3genE10ELNS1_11target_archE1201ELNS1_3gpuE5ELNS1_3repE0EEENS1_47radix_sort_onesweep_sort_config_static_selectorELNS0_4arch9wavefront6targetE1EEEvSI_
                                        ; -- End function
	.set _ZN7rocprim17ROCPRIM_400000_NS6detail17trampoline_kernelINS0_14default_configENS1_35radix_sort_onesweep_config_selectorIyyEEZZNS1_29radix_sort_onesweep_iterationIS3_Lb0EN6thrust23THRUST_200600_302600_NS6detail15normal_iteratorINS8_10device_ptrIyEEEESD_SD_SD_jNS0_19identity_decomposerENS1_16block_id_wrapperIjLb1EEEEE10hipError_tT1_PNSt15iterator_traitsISI_E10value_typeET2_T3_PNSJ_ISO_E10value_typeET4_T5_PST_SU_PNS1_23onesweep_lookback_stateEbbT6_jjT7_P12ihipStream_tbENKUlT_T0_SI_SN_E_clISD_PySD_S15_EEDaS11_S12_SI_SN_EUlS11_E_NS1_11comp_targetILNS1_3genE10ELNS1_11target_archE1201ELNS1_3gpuE5ELNS1_3repE0EEENS1_47radix_sort_onesweep_sort_config_static_selectorELNS0_4arch9wavefront6targetE1EEEvSI_.num_vgpr, 0
	.set _ZN7rocprim17ROCPRIM_400000_NS6detail17trampoline_kernelINS0_14default_configENS1_35radix_sort_onesweep_config_selectorIyyEEZZNS1_29radix_sort_onesweep_iterationIS3_Lb0EN6thrust23THRUST_200600_302600_NS6detail15normal_iteratorINS8_10device_ptrIyEEEESD_SD_SD_jNS0_19identity_decomposerENS1_16block_id_wrapperIjLb1EEEEE10hipError_tT1_PNSt15iterator_traitsISI_E10value_typeET2_T3_PNSJ_ISO_E10value_typeET4_T5_PST_SU_PNS1_23onesweep_lookback_stateEbbT6_jjT7_P12ihipStream_tbENKUlT_T0_SI_SN_E_clISD_PySD_S15_EEDaS11_S12_SI_SN_EUlS11_E_NS1_11comp_targetILNS1_3genE10ELNS1_11target_archE1201ELNS1_3gpuE5ELNS1_3repE0EEENS1_47radix_sort_onesweep_sort_config_static_selectorELNS0_4arch9wavefront6targetE1EEEvSI_.num_agpr, 0
	.set _ZN7rocprim17ROCPRIM_400000_NS6detail17trampoline_kernelINS0_14default_configENS1_35radix_sort_onesweep_config_selectorIyyEEZZNS1_29radix_sort_onesweep_iterationIS3_Lb0EN6thrust23THRUST_200600_302600_NS6detail15normal_iteratorINS8_10device_ptrIyEEEESD_SD_SD_jNS0_19identity_decomposerENS1_16block_id_wrapperIjLb1EEEEE10hipError_tT1_PNSt15iterator_traitsISI_E10value_typeET2_T3_PNSJ_ISO_E10value_typeET4_T5_PST_SU_PNS1_23onesweep_lookback_stateEbbT6_jjT7_P12ihipStream_tbENKUlT_T0_SI_SN_E_clISD_PySD_S15_EEDaS11_S12_SI_SN_EUlS11_E_NS1_11comp_targetILNS1_3genE10ELNS1_11target_archE1201ELNS1_3gpuE5ELNS1_3repE0EEENS1_47radix_sort_onesweep_sort_config_static_selectorELNS0_4arch9wavefront6targetE1EEEvSI_.numbered_sgpr, 0
	.set _ZN7rocprim17ROCPRIM_400000_NS6detail17trampoline_kernelINS0_14default_configENS1_35radix_sort_onesweep_config_selectorIyyEEZZNS1_29radix_sort_onesweep_iterationIS3_Lb0EN6thrust23THRUST_200600_302600_NS6detail15normal_iteratorINS8_10device_ptrIyEEEESD_SD_SD_jNS0_19identity_decomposerENS1_16block_id_wrapperIjLb1EEEEE10hipError_tT1_PNSt15iterator_traitsISI_E10value_typeET2_T3_PNSJ_ISO_E10value_typeET4_T5_PST_SU_PNS1_23onesweep_lookback_stateEbbT6_jjT7_P12ihipStream_tbENKUlT_T0_SI_SN_E_clISD_PySD_S15_EEDaS11_S12_SI_SN_EUlS11_E_NS1_11comp_targetILNS1_3genE10ELNS1_11target_archE1201ELNS1_3gpuE5ELNS1_3repE0EEENS1_47radix_sort_onesweep_sort_config_static_selectorELNS0_4arch9wavefront6targetE1EEEvSI_.num_named_barrier, 0
	.set _ZN7rocprim17ROCPRIM_400000_NS6detail17trampoline_kernelINS0_14default_configENS1_35radix_sort_onesweep_config_selectorIyyEEZZNS1_29radix_sort_onesweep_iterationIS3_Lb0EN6thrust23THRUST_200600_302600_NS6detail15normal_iteratorINS8_10device_ptrIyEEEESD_SD_SD_jNS0_19identity_decomposerENS1_16block_id_wrapperIjLb1EEEEE10hipError_tT1_PNSt15iterator_traitsISI_E10value_typeET2_T3_PNSJ_ISO_E10value_typeET4_T5_PST_SU_PNS1_23onesweep_lookback_stateEbbT6_jjT7_P12ihipStream_tbENKUlT_T0_SI_SN_E_clISD_PySD_S15_EEDaS11_S12_SI_SN_EUlS11_E_NS1_11comp_targetILNS1_3genE10ELNS1_11target_archE1201ELNS1_3gpuE5ELNS1_3repE0EEENS1_47radix_sort_onesweep_sort_config_static_selectorELNS0_4arch9wavefront6targetE1EEEvSI_.private_seg_size, 0
	.set _ZN7rocprim17ROCPRIM_400000_NS6detail17trampoline_kernelINS0_14default_configENS1_35radix_sort_onesweep_config_selectorIyyEEZZNS1_29radix_sort_onesweep_iterationIS3_Lb0EN6thrust23THRUST_200600_302600_NS6detail15normal_iteratorINS8_10device_ptrIyEEEESD_SD_SD_jNS0_19identity_decomposerENS1_16block_id_wrapperIjLb1EEEEE10hipError_tT1_PNSt15iterator_traitsISI_E10value_typeET2_T3_PNSJ_ISO_E10value_typeET4_T5_PST_SU_PNS1_23onesweep_lookback_stateEbbT6_jjT7_P12ihipStream_tbENKUlT_T0_SI_SN_E_clISD_PySD_S15_EEDaS11_S12_SI_SN_EUlS11_E_NS1_11comp_targetILNS1_3genE10ELNS1_11target_archE1201ELNS1_3gpuE5ELNS1_3repE0EEENS1_47radix_sort_onesweep_sort_config_static_selectorELNS0_4arch9wavefront6targetE1EEEvSI_.uses_vcc, 0
	.set _ZN7rocprim17ROCPRIM_400000_NS6detail17trampoline_kernelINS0_14default_configENS1_35radix_sort_onesweep_config_selectorIyyEEZZNS1_29radix_sort_onesweep_iterationIS3_Lb0EN6thrust23THRUST_200600_302600_NS6detail15normal_iteratorINS8_10device_ptrIyEEEESD_SD_SD_jNS0_19identity_decomposerENS1_16block_id_wrapperIjLb1EEEEE10hipError_tT1_PNSt15iterator_traitsISI_E10value_typeET2_T3_PNSJ_ISO_E10value_typeET4_T5_PST_SU_PNS1_23onesweep_lookback_stateEbbT6_jjT7_P12ihipStream_tbENKUlT_T0_SI_SN_E_clISD_PySD_S15_EEDaS11_S12_SI_SN_EUlS11_E_NS1_11comp_targetILNS1_3genE10ELNS1_11target_archE1201ELNS1_3gpuE5ELNS1_3repE0EEENS1_47radix_sort_onesweep_sort_config_static_selectorELNS0_4arch9wavefront6targetE1EEEvSI_.uses_flat_scratch, 0
	.set _ZN7rocprim17ROCPRIM_400000_NS6detail17trampoline_kernelINS0_14default_configENS1_35radix_sort_onesweep_config_selectorIyyEEZZNS1_29radix_sort_onesweep_iterationIS3_Lb0EN6thrust23THRUST_200600_302600_NS6detail15normal_iteratorINS8_10device_ptrIyEEEESD_SD_SD_jNS0_19identity_decomposerENS1_16block_id_wrapperIjLb1EEEEE10hipError_tT1_PNSt15iterator_traitsISI_E10value_typeET2_T3_PNSJ_ISO_E10value_typeET4_T5_PST_SU_PNS1_23onesweep_lookback_stateEbbT6_jjT7_P12ihipStream_tbENKUlT_T0_SI_SN_E_clISD_PySD_S15_EEDaS11_S12_SI_SN_EUlS11_E_NS1_11comp_targetILNS1_3genE10ELNS1_11target_archE1201ELNS1_3gpuE5ELNS1_3repE0EEENS1_47radix_sort_onesweep_sort_config_static_selectorELNS0_4arch9wavefront6targetE1EEEvSI_.has_dyn_sized_stack, 0
	.set _ZN7rocprim17ROCPRIM_400000_NS6detail17trampoline_kernelINS0_14default_configENS1_35radix_sort_onesweep_config_selectorIyyEEZZNS1_29radix_sort_onesweep_iterationIS3_Lb0EN6thrust23THRUST_200600_302600_NS6detail15normal_iteratorINS8_10device_ptrIyEEEESD_SD_SD_jNS0_19identity_decomposerENS1_16block_id_wrapperIjLb1EEEEE10hipError_tT1_PNSt15iterator_traitsISI_E10value_typeET2_T3_PNSJ_ISO_E10value_typeET4_T5_PST_SU_PNS1_23onesweep_lookback_stateEbbT6_jjT7_P12ihipStream_tbENKUlT_T0_SI_SN_E_clISD_PySD_S15_EEDaS11_S12_SI_SN_EUlS11_E_NS1_11comp_targetILNS1_3genE10ELNS1_11target_archE1201ELNS1_3gpuE5ELNS1_3repE0EEENS1_47radix_sort_onesweep_sort_config_static_selectorELNS0_4arch9wavefront6targetE1EEEvSI_.has_recursion, 0
	.set _ZN7rocprim17ROCPRIM_400000_NS6detail17trampoline_kernelINS0_14default_configENS1_35radix_sort_onesweep_config_selectorIyyEEZZNS1_29radix_sort_onesweep_iterationIS3_Lb0EN6thrust23THRUST_200600_302600_NS6detail15normal_iteratorINS8_10device_ptrIyEEEESD_SD_SD_jNS0_19identity_decomposerENS1_16block_id_wrapperIjLb1EEEEE10hipError_tT1_PNSt15iterator_traitsISI_E10value_typeET2_T3_PNSJ_ISO_E10value_typeET4_T5_PST_SU_PNS1_23onesweep_lookback_stateEbbT6_jjT7_P12ihipStream_tbENKUlT_T0_SI_SN_E_clISD_PySD_S15_EEDaS11_S12_SI_SN_EUlS11_E_NS1_11comp_targetILNS1_3genE10ELNS1_11target_archE1201ELNS1_3gpuE5ELNS1_3repE0EEENS1_47radix_sort_onesweep_sort_config_static_selectorELNS0_4arch9wavefront6targetE1EEEvSI_.has_indirect_call, 0
	.section	.AMDGPU.csdata,"",@progbits
; Kernel info:
; codeLenInByte = 0
; TotalNumSgprs: 6
; NumVgprs: 0
; NumAgprs: 0
; TotalNumVgprs: 0
; ScratchSize: 0
; MemoryBound: 0
; FloatMode: 240
; IeeeMode: 1
; LDSByteSize: 0 bytes/workgroup (compile time only)
; SGPRBlocks: 0
; VGPRBlocks: 0
; NumSGPRsForWavesPerEU: 6
; NumVGPRsForWavesPerEU: 1
; AccumOffset: 4
; Occupancy: 8
; WaveLimiterHint : 0
; COMPUTE_PGM_RSRC2:SCRATCH_EN: 0
; COMPUTE_PGM_RSRC2:USER_SGPR: 2
; COMPUTE_PGM_RSRC2:TRAP_HANDLER: 0
; COMPUTE_PGM_RSRC2:TGID_X_EN: 1
; COMPUTE_PGM_RSRC2:TGID_Y_EN: 0
; COMPUTE_PGM_RSRC2:TGID_Z_EN: 0
; COMPUTE_PGM_RSRC2:TIDIG_COMP_CNT: 0
; COMPUTE_PGM_RSRC3_GFX90A:ACCUM_OFFSET: 0
; COMPUTE_PGM_RSRC3_GFX90A:TG_SPLIT: 0
	.section	.text._ZN7rocprim17ROCPRIM_400000_NS6detail17trampoline_kernelINS0_14default_configENS1_35radix_sort_onesweep_config_selectorIyyEEZZNS1_29radix_sort_onesweep_iterationIS3_Lb0EN6thrust23THRUST_200600_302600_NS6detail15normal_iteratorINS8_10device_ptrIyEEEESD_SD_SD_jNS0_19identity_decomposerENS1_16block_id_wrapperIjLb1EEEEE10hipError_tT1_PNSt15iterator_traitsISI_E10value_typeET2_T3_PNSJ_ISO_E10value_typeET4_T5_PST_SU_PNS1_23onesweep_lookback_stateEbbT6_jjT7_P12ihipStream_tbENKUlT_T0_SI_SN_E_clISD_PySD_S15_EEDaS11_S12_SI_SN_EUlS11_E_NS1_11comp_targetILNS1_3genE9ELNS1_11target_archE1100ELNS1_3gpuE3ELNS1_3repE0EEENS1_47radix_sort_onesweep_sort_config_static_selectorELNS0_4arch9wavefront6targetE1EEEvSI_,"axG",@progbits,_ZN7rocprim17ROCPRIM_400000_NS6detail17trampoline_kernelINS0_14default_configENS1_35radix_sort_onesweep_config_selectorIyyEEZZNS1_29radix_sort_onesweep_iterationIS3_Lb0EN6thrust23THRUST_200600_302600_NS6detail15normal_iteratorINS8_10device_ptrIyEEEESD_SD_SD_jNS0_19identity_decomposerENS1_16block_id_wrapperIjLb1EEEEE10hipError_tT1_PNSt15iterator_traitsISI_E10value_typeET2_T3_PNSJ_ISO_E10value_typeET4_T5_PST_SU_PNS1_23onesweep_lookback_stateEbbT6_jjT7_P12ihipStream_tbENKUlT_T0_SI_SN_E_clISD_PySD_S15_EEDaS11_S12_SI_SN_EUlS11_E_NS1_11comp_targetILNS1_3genE9ELNS1_11target_archE1100ELNS1_3gpuE3ELNS1_3repE0EEENS1_47radix_sort_onesweep_sort_config_static_selectorELNS0_4arch9wavefront6targetE1EEEvSI_,comdat
	.protected	_ZN7rocprim17ROCPRIM_400000_NS6detail17trampoline_kernelINS0_14default_configENS1_35radix_sort_onesweep_config_selectorIyyEEZZNS1_29radix_sort_onesweep_iterationIS3_Lb0EN6thrust23THRUST_200600_302600_NS6detail15normal_iteratorINS8_10device_ptrIyEEEESD_SD_SD_jNS0_19identity_decomposerENS1_16block_id_wrapperIjLb1EEEEE10hipError_tT1_PNSt15iterator_traitsISI_E10value_typeET2_T3_PNSJ_ISO_E10value_typeET4_T5_PST_SU_PNS1_23onesweep_lookback_stateEbbT6_jjT7_P12ihipStream_tbENKUlT_T0_SI_SN_E_clISD_PySD_S15_EEDaS11_S12_SI_SN_EUlS11_E_NS1_11comp_targetILNS1_3genE9ELNS1_11target_archE1100ELNS1_3gpuE3ELNS1_3repE0EEENS1_47radix_sort_onesweep_sort_config_static_selectorELNS0_4arch9wavefront6targetE1EEEvSI_ ; -- Begin function _ZN7rocprim17ROCPRIM_400000_NS6detail17trampoline_kernelINS0_14default_configENS1_35radix_sort_onesweep_config_selectorIyyEEZZNS1_29radix_sort_onesweep_iterationIS3_Lb0EN6thrust23THRUST_200600_302600_NS6detail15normal_iteratorINS8_10device_ptrIyEEEESD_SD_SD_jNS0_19identity_decomposerENS1_16block_id_wrapperIjLb1EEEEE10hipError_tT1_PNSt15iterator_traitsISI_E10value_typeET2_T3_PNSJ_ISO_E10value_typeET4_T5_PST_SU_PNS1_23onesweep_lookback_stateEbbT6_jjT7_P12ihipStream_tbENKUlT_T0_SI_SN_E_clISD_PySD_S15_EEDaS11_S12_SI_SN_EUlS11_E_NS1_11comp_targetILNS1_3genE9ELNS1_11target_archE1100ELNS1_3gpuE3ELNS1_3repE0EEENS1_47radix_sort_onesweep_sort_config_static_selectorELNS0_4arch9wavefront6targetE1EEEvSI_
	.globl	_ZN7rocprim17ROCPRIM_400000_NS6detail17trampoline_kernelINS0_14default_configENS1_35radix_sort_onesweep_config_selectorIyyEEZZNS1_29radix_sort_onesweep_iterationIS3_Lb0EN6thrust23THRUST_200600_302600_NS6detail15normal_iteratorINS8_10device_ptrIyEEEESD_SD_SD_jNS0_19identity_decomposerENS1_16block_id_wrapperIjLb1EEEEE10hipError_tT1_PNSt15iterator_traitsISI_E10value_typeET2_T3_PNSJ_ISO_E10value_typeET4_T5_PST_SU_PNS1_23onesweep_lookback_stateEbbT6_jjT7_P12ihipStream_tbENKUlT_T0_SI_SN_E_clISD_PySD_S15_EEDaS11_S12_SI_SN_EUlS11_E_NS1_11comp_targetILNS1_3genE9ELNS1_11target_archE1100ELNS1_3gpuE3ELNS1_3repE0EEENS1_47radix_sort_onesweep_sort_config_static_selectorELNS0_4arch9wavefront6targetE1EEEvSI_
	.p2align	8
	.type	_ZN7rocprim17ROCPRIM_400000_NS6detail17trampoline_kernelINS0_14default_configENS1_35radix_sort_onesweep_config_selectorIyyEEZZNS1_29radix_sort_onesweep_iterationIS3_Lb0EN6thrust23THRUST_200600_302600_NS6detail15normal_iteratorINS8_10device_ptrIyEEEESD_SD_SD_jNS0_19identity_decomposerENS1_16block_id_wrapperIjLb1EEEEE10hipError_tT1_PNSt15iterator_traitsISI_E10value_typeET2_T3_PNSJ_ISO_E10value_typeET4_T5_PST_SU_PNS1_23onesweep_lookback_stateEbbT6_jjT7_P12ihipStream_tbENKUlT_T0_SI_SN_E_clISD_PySD_S15_EEDaS11_S12_SI_SN_EUlS11_E_NS1_11comp_targetILNS1_3genE9ELNS1_11target_archE1100ELNS1_3gpuE3ELNS1_3repE0EEENS1_47radix_sort_onesweep_sort_config_static_selectorELNS0_4arch9wavefront6targetE1EEEvSI_,@function
_ZN7rocprim17ROCPRIM_400000_NS6detail17trampoline_kernelINS0_14default_configENS1_35radix_sort_onesweep_config_selectorIyyEEZZNS1_29radix_sort_onesweep_iterationIS3_Lb0EN6thrust23THRUST_200600_302600_NS6detail15normal_iteratorINS8_10device_ptrIyEEEESD_SD_SD_jNS0_19identity_decomposerENS1_16block_id_wrapperIjLb1EEEEE10hipError_tT1_PNSt15iterator_traitsISI_E10value_typeET2_T3_PNSJ_ISO_E10value_typeET4_T5_PST_SU_PNS1_23onesweep_lookback_stateEbbT6_jjT7_P12ihipStream_tbENKUlT_T0_SI_SN_E_clISD_PySD_S15_EEDaS11_S12_SI_SN_EUlS11_E_NS1_11comp_targetILNS1_3genE9ELNS1_11target_archE1100ELNS1_3gpuE3ELNS1_3repE0EEENS1_47radix_sort_onesweep_sort_config_static_selectorELNS0_4arch9wavefront6targetE1EEEvSI_: ; @_ZN7rocprim17ROCPRIM_400000_NS6detail17trampoline_kernelINS0_14default_configENS1_35radix_sort_onesweep_config_selectorIyyEEZZNS1_29radix_sort_onesweep_iterationIS3_Lb0EN6thrust23THRUST_200600_302600_NS6detail15normal_iteratorINS8_10device_ptrIyEEEESD_SD_SD_jNS0_19identity_decomposerENS1_16block_id_wrapperIjLb1EEEEE10hipError_tT1_PNSt15iterator_traitsISI_E10value_typeET2_T3_PNSJ_ISO_E10value_typeET4_T5_PST_SU_PNS1_23onesweep_lookback_stateEbbT6_jjT7_P12ihipStream_tbENKUlT_T0_SI_SN_E_clISD_PySD_S15_EEDaS11_S12_SI_SN_EUlS11_E_NS1_11comp_targetILNS1_3genE9ELNS1_11target_archE1100ELNS1_3gpuE3ELNS1_3repE0EEENS1_47radix_sort_onesweep_sort_config_static_selectorELNS0_4arch9wavefront6targetE1EEEvSI_
; %bb.0:
	.section	.rodata,"a",@progbits
	.p2align	6, 0x0
	.amdhsa_kernel _ZN7rocprim17ROCPRIM_400000_NS6detail17trampoline_kernelINS0_14default_configENS1_35radix_sort_onesweep_config_selectorIyyEEZZNS1_29radix_sort_onesweep_iterationIS3_Lb0EN6thrust23THRUST_200600_302600_NS6detail15normal_iteratorINS8_10device_ptrIyEEEESD_SD_SD_jNS0_19identity_decomposerENS1_16block_id_wrapperIjLb1EEEEE10hipError_tT1_PNSt15iterator_traitsISI_E10value_typeET2_T3_PNSJ_ISO_E10value_typeET4_T5_PST_SU_PNS1_23onesweep_lookback_stateEbbT6_jjT7_P12ihipStream_tbENKUlT_T0_SI_SN_E_clISD_PySD_S15_EEDaS11_S12_SI_SN_EUlS11_E_NS1_11comp_targetILNS1_3genE9ELNS1_11target_archE1100ELNS1_3gpuE3ELNS1_3repE0EEENS1_47radix_sort_onesweep_sort_config_static_selectorELNS0_4arch9wavefront6targetE1EEEvSI_
		.amdhsa_group_segment_fixed_size 0
		.amdhsa_private_segment_fixed_size 0
		.amdhsa_kernarg_size 88
		.amdhsa_user_sgpr_count 2
		.amdhsa_user_sgpr_dispatch_ptr 0
		.amdhsa_user_sgpr_queue_ptr 0
		.amdhsa_user_sgpr_kernarg_segment_ptr 1
		.amdhsa_user_sgpr_dispatch_id 0
		.amdhsa_user_sgpr_kernarg_preload_length 0
		.amdhsa_user_sgpr_kernarg_preload_offset 0
		.amdhsa_user_sgpr_private_segment_size 0
		.amdhsa_uses_dynamic_stack 0
		.amdhsa_enable_private_segment 0
		.amdhsa_system_sgpr_workgroup_id_x 1
		.amdhsa_system_sgpr_workgroup_id_y 0
		.amdhsa_system_sgpr_workgroup_id_z 0
		.amdhsa_system_sgpr_workgroup_info 0
		.amdhsa_system_vgpr_workitem_id 0
		.amdhsa_next_free_vgpr 1
		.amdhsa_next_free_sgpr 0
		.amdhsa_accum_offset 4
		.amdhsa_reserve_vcc 0
		.amdhsa_float_round_mode_32 0
		.amdhsa_float_round_mode_16_64 0
		.amdhsa_float_denorm_mode_32 3
		.amdhsa_float_denorm_mode_16_64 3
		.amdhsa_dx10_clamp 1
		.amdhsa_ieee_mode 1
		.amdhsa_fp16_overflow 0
		.amdhsa_tg_split 0
		.amdhsa_exception_fp_ieee_invalid_op 0
		.amdhsa_exception_fp_denorm_src 0
		.amdhsa_exception_fp_ieee_div_zero 0
		.amdhsa_exception_fp_ieee_overflow 0
		.amdhsa_exception_fp_ieee_underflow 0
		.amdhsa_exception_fp_ieee_inexact 0
		.amdhsa_exception_int_div_zero 0
	.end_amdhsa_kernel
	.section	.text._ZN7rocprim17ROCPRIM_400000_NS6detail17trampoline_kernelINS0_14default_configENS1_35radix_sort_onesweep_config_selectorIyyEEZZNS1_29radix_sort_onesweep_iterationIS3_Lb0EN6thrust23THRUST_200600_302600_NS6detail15normal_iteratorINS8_10device_ptrIyEEEESD_SD_SD_jNS0_19identity_decomposerENS1_16block_id_wrapperIjLb1EEEEE10hipError_tT1_PNSt15iterator_traitsISI_E10value_typeET2_T3_PNSJ_ISO_E10value_typeET4_T5_PST_SU_PNS1_23onesweep_lookback_stateEbbT6_jjT7_P12ihipStream_tbENKUlT_T0_SI_SN_E_clISD_PySD_S15_EEDaS11_S12_SI_SN_EUlS11_E_NS1_11comp_targetILNS1_3genE9ELNS1_11target_archE1100ELNS1_3gpuE3ELNS1_3repE0EEENS1_47radix_sort_onesweep_sort_config_static_selectorELNS0_4arch9wavefront6targetE1EEEvSI_,"axG",@progbits,_ZN7rocprim17ROCPRIM_400000_NS6detail17trampoline_kernelINS0_14default_configENS1_35radix_sort_onesweep_config_selectorIyyEEZZNS1_29radix_sort_onesweep_iterationIS3_Lb0EN6thrust23THRUST_200600_302600_NS6detail15normal_iteratorINS8_10device_ptrIyEEEESD_SD_SD_jNS0_19identity_decomposerENS1_16block_id_wrapperIjLb1EEEEE10hipError_tT1_PNSt15iterator_traitsISI_E10value_typeET2_T3_PNSJ_ISO_E10value_typeET4_T5_PST_SU_PNS1_23onesweep_lookback_stateEbbT6_jjT7_P12ihipStream_tbENKUlT_T0_SI_SN_E_clISD_PySD_S15_EEDaS11_S12_SI_SN_EUlS11_E_NS1_11comp_targetILNS1_3genE9ELNS1_11target_archE1100ELNS1_3gpuE3ELNS1_3repE0EEENS1_47radix_sort_onesweep_sort_config_static_selectorELNS0_4arch9wavefront6targetE1EEEvSI_,comdat
.Lfunc_end544:
	.size	_ZN7rocprim17ROCPRIM_400000_NS6detail17trampoline_kernelINS0_14default_configENS1_35radix_sort_onesweep_config_selectorIyyEEZZNS1_29radix_sort_onesweep_iterationIS3_Lb0EN6thrust23THRUST_200600_302600_NS6detail15normal_iteratorINS8_10device_ptrIyEEEESD_SD_SD_jNS0_19identity_decomposerENS1_16block_id_wrapperIjLb1EEEEE10hipError_tT1_PNSt15iterator_traitsISI_E10value_typeET2_T3_PNSJ_ISO_E10value_typeET4_T5_PST_SU_PNS1_23onesweep_lookback_stateEbbT6_jjT7_P12ihipStream_tbENKUlT_T0_SI_SN_E_clISD_PySD_S15_EEDaS11_S12_SI_SN_EUlS11_E_NS1_11comp_targetILNS1_3genE9ELNS1_11target_archE1100ELNS1_3gpuE3ELNS1_3repE0EEENS1_47radix_sort_onesweep_sort_config_static_selectorELNS0_4arch9wavefront6targetE1EEEvSI_, .Lfunc_end544-_ZN7rocprim17ROCPRIM_400000_NS6detail17trampoline_kernelINS0_14default_configENS1_35radix_sort_onesweep_config_selectorIyyEEZZNS1_29radix_sort_onesweep_iterationIS3_Lb0EN6thrust23THRUST_200600_302600_NS6detail15normal_iteratorINS8_10device_ptrIyEEEESD_SD_SD_jNS0_19identity_decomposerENS1_16block_id_wrapperIjLb1EEEEE10hipError_tT1_PNSt15iterator_traitsISI_E10value_typeET2_T3_PNSJ_ISO_E10value_typeET4_T5_PST_SU_PNS1_23onesweep_lookback_stateEbbT6_jjT7_P12ihipStream_tbENKUlT_T0_SI_SN_E_clISD_PySD_S15_EEDaS11_S12_SI_SN_EUlS11_E_NS1_11comp_targetILNS1_3genE9ELNS1_11target_archE1100ELNS1_3gpuE3ELNS1_3repE0EEENS1_47radix_sort_onesweep_sort_config_static_selectorELNS0_4arch9wavefront6targetE1EEEvSI_
                                        ; -- End function
	.set _ZN7rocprim17ROCPRIM_400000_NS6detail17trampoline_kernelINS0_14default_configENS1_35radix_sort_onesweep_config_selectorIyyEEZZNS1_29radix_sort_onesweep_iterationIS3_Lb0EN6thrust23THRUST_200600_302600_NS6detail15normal_iteratorINS8_10device_ptrIyEEEESD_SD_SD_jNS0_19identity_decomposerENS1_16block_id_wrapperIjLb1EEEEE10hipError_tT1_PNSt15iterator_traitsISI_E10value_typeET2_T3_PNSJ_ISO_E10value_typeET4_T5_PST_SU_PNS1_23onesweep_lookback_stateEbbT6_jjT7_P12ihipStream_tbENKUlT_T0_SI_SN_E_clISD_PySD_S15_EEDaS11_S12_SI_SN_EUlS11_E_NS1_11comp_targetILNS1_3genE9ELNS1_11target_archE1100ELNS1_3gpuE3ELNS1_3repE0EEENS1_47radix_sort_onesweep_sort_config_static_selectorELNS0_4arch9wavefront6targetE1EEEvSI_.num_vgpr, 0
	.set _ZN7rocprim17ROCPRIM_400000_NS6detail17trampoline_kernelINS0_14default_configENS1_35radix_sort_onesweep_config_selectorIyyEEZZNS1_29radix_sort_onesweep_iterationIS3_Lb0EN6thrust23THRUST_200600_302600_NS6detail15normal_iteratorINS8_10device_ptrIyEEEESD_SD_SD_jNS0_19identity_decomposerENS1_16block_id_wrapperIjLb1EEEEE10hipError_tT1_PNSt15iterator_traitsISI_E10value_typeET2_T3_PNSJ_ISO_E10value_typeET4_T5_PST_SU_PNS1_23onesweep_lookback_stateEbbT6_jjT7_P12ihipStream_tbENKUlT_T0_SI_SN_E_clISD_PySD_S15_EEDaS11_S12_SI_SN_EUlS11_E_NS1_11comp_targetILNS1_3genE9ELNS1_11target_archE1100ELNS1_3gpuE3ELNS1_3repE0EEENS1_47radix_sort_onesweep_sort_config_static_selectorELNS0_4arch9wavefront6targetE1EEEvSI_.num_agpr, 0
	.set _ZN7rocprim17ROCPRIM_400000_NS6detail17trampoline_kernelINS0_14default_configENS1_35radix_sort_onesweep_config_selectorIyyEEZZNS1_29radix_sort_onesweep_iterationIS3_Lb0EN6thrust23THRUST_200600_302600_NS6detail15normal_iteratorINS8_10device_ptrIyEEEESD_SD_SD_jNS0_19identity_decomposerENS1_16block_id_wrapperIjLb1EEEEE10hipError_tT1_PNSt15iterator_traitsISI_E10value_typeET2_T3_PNSJ_ISO_E10value_typeET4_T5_PST_SU_PNS1_23onesweep_lookback_stateEbbT6_jjT7_P12ihipStream_tbENKUlT_T0_SI_SN_E_clISD_PySD_S15_EEDaS11_S12_SI_SN_EUlS11_E_NS1_11comp_targetILNS1_3genE9ELNS1_11target_archE1100ELNS1_3gpuE3ELNS1_3repE0EEENS1_47radix_sort_onesweep_sort_config_static_selectorELNS0_4arch9wavefront6targetE1EEEvSI_.numbered_sgpr, 0
	.set _ZN7rocprim17ROCPRIM_400000_NS6detail17trampoline_kernelINS0_14default_configENS1_35radix_sort_onesweep_config_selectorIyyEEZZNS1_29radix_sort_onesweep_iterationIS3_Lb0EN6thrust23THRUST_200600_302600_NS6detail15normal_iteratorINS8_10device_ptrIyEEEESD_SD_SD_jNS0_19identity_decomposerENS1_16block_id_wrapperIjLb1EEEEE10hipError_tT1_PNSt15iterator_traitsISI_E10value_typeET2_T3_PNSJ_ISO_E10value_typeET4_T5_PST_SU_PNS1_23onesweep_lookback_stateEbbT6_jjT7_P12ihipStream_tbENKUlT_T0_SI_SN_E_clISD_PySD_S15_EEDaS11_S12_SI_SN_EUlS11_E_NS1_11comp_targetILNS1_3genE9ELNS1_11target_archE1100ELNS1_3gpuE3ELNS1_3repE0EEENS1_47radix_sort_onesweep_sort_config_static_selectorELNS0_4arch9wavefront6targetE1EEEvSI_.num_named_barrier, 0
	.set _ZN7rocprim17ROCPRIM_400000_NS6detail17trampoline_kernelINS0_14default_configENS1_35radix_sort_onesweep_config_selectorIyyEEZZNS1_29radix_sort_onesweep_iterationIS3_Lb0EN6thrust23THRUST_200600_302600_NS6detail15normal_iteratorINS8_10device_ptrIyEEEESD_SD_SD_jNS0_19identity_decomposerENS1_16block_id_wrapperIjLb1EEEEE10hipError_tT1_PNSt15iterator_traitsISI_E10value_typeET2_T3_PNSJ_ISO_E10value_typeET4_T5_PST_SU_PNS1_23onesweep_lookback_stateEbbT6_jjT7_P12ihipStream_tbENKUlT_T0_SI_SN_E_clISD_PySD_S15_EEDaS11_S12_SI_SN_EUlS11_E_NS1_11comp_targetILNS1_3genE9ELNS1_11target_archE1100ELNS1_3gpuE3ELNS1_3repE0EEENS1_47radix_sort_onesweep_sort_config_static_selectorELNS0_4arch9wavefront6targetE1EEEvSI_.private_seg_size, 0
	.set _ZN7rocprim17ROCPRIM_400000_NS6detail17trampoline_kernelINS0_14default_configENS1_35radix_sort_onesweep_config_selectorIyyEEZZNS1_29radix_sort_onesweep_iterationIS3_Lb0EN6thrust23THRUST_200600_302600_NS6detail15normal_iteratorINS8_10device_ptrIyEEEESD_SD_SD_jNS0_19identity_decomposerENS1_16block_id_wrapperIjLb1EEEEE10hipError_tT1_PNSt15iterator_traitsISI_E10value_typeET2_T3_PNSJ_ISO_E10value_typeET4_T5_PST_SU_PNS1_23onesweep_lookback_stateEbbT6_jjT7_P12ihipStream_tbENKUlT_T0_SI_SN_E_clISD_PySD_S15_EEDaS11_S12_SI_SN_EUlS11_E_NS1_11comp_targetILNS1_3genE9ELNS1_11target_archE1100ELNS1_3gpuE3ELNS1_3repE0EEENS1_47radix_sort_onesweep_sort_config_static_selectorELNS0_4arch9wavefront6targetE1EEEvSI_.uses_vcc, 0
	.set _ZN7rocprim17ROCPRIM_400000_NS6detail17trampoline_kernelINS0_14default_configENS1_35radix_sort_onesweep_config_selectorIyyEEZZNS1_29radix_sort_onesweep_iterationIS3_Lb0EN6thrust23THRUST_200600_302600_NS6detail15normal_iteratorINS8_10device_ptrIyEEEESD_SD_SD_jNS0_19identity_decomposerENS1_16block_id_wrapperIjLb1EEEEE10hipError_tT1_PNSt15iterator_traitsISI_E10value_typeET2_T3_PNSJ_ISO_E10value_typeET4_T5_PST_SU_PNS1_23onesweep_lookback_stateEbbT6_jjT7_P12ihipStream_tbENKUlT_T0_SI_SN_E_clISD_PySD_S15_EEDaS11_S12_SI_SN_EUlS11_E_NS1_11comp_targetILNS1_3genE9ELNS1_11target_archE1100ELNS1_3gpuE3ELNS1_3repE0EEENS1_47radix_sort_onesweep_sort_config_static_selectorELNS0_4arch9wavefront6targetE1EEEvSI_.uses_flat_scratch, 0
	.set _ZN7rocprim17ROCPRIM_400000_NS6detail17trampoline_kernelINS0_14default_configENS1_35radix_sort_onesweep_config_selectorIyyEEZZNS1_29radix_sort_onesweep_iterationIS3_Lb0EN6thrust23THRUST_200600_302600_NS6detail15normal_iteratorINS8_10device_ptrIyEEEESD_SD_SD_jNS0_19identity_decomposerENS1_16block_id_wrapperIjLb1EEEEE10hipError_tT1_PNSt15iterator_traitsISI_E10value_typeET2_T3_PNSJ_ISO_E10value_typeET4_T5_PST_SU_PNS1_23onesweep_lookback_stateEbbT6_jjT7_P12ihipStream_tbENKUlT_T0_SI_SN_E_clISD_PySD_S15_EEDaS11_S12_SI_SN_EUlS11_E_NS1_11comp_targetILNS1_3genE9ELNS1_11target_archE1100ELNS1_3gpuE3ELNS1_3repE0EEENS1_47radix_sort_onesweep_sort_config_static_selectorELNS0_4arch9wavefront6targetE1EEEvSI_.has_dyn_sized_stack, 0
	.set _ZN7rocprim17ROCPRIM_400000_NS6detail17trampoline_kernelINS0_14default_configENS1_35radix_sort_onesweep_config_selectorIyyEEZZNS1_29radix_sort_onesweep_iterationIS3_Lb0EN6thrust23THRUST_200600_302600_NS6detail15normal_iteratorINS8_10device_ptrIyEEEESD_SD_SD_jNS0_19identity_decomposerENS1_16block_id_wrapperIjLb1EEEEE10hipError_tT1_PNSt15iterator_traitsISI_E10value_typeET2_T3_PNSJ_ISO_E10value_typeET4_T5_PST_SU_PNS1_23onesweep_lookback_stateEbbT6_jjT7_P12ihipStream_tbENKUlT_T0_SI_SN_E_clISD_PySD_S15_EEDaS11_S12_SI_SN_EUlS11_E_NS1_11comp_targetILNS1_3genE9ELNS1_11target_archE1100ELNS1_3gpuE3ELNS1_3repE0EEENS1_47radix_sort_onesweep_sort_config_static_selectorELNS0_4arch9wavefront6targetE1EEEvSI_.has_recursion, 0
	.set _ZN7rocprim17ROCPRIM_400000_NS6detail17trampoline_kernelINS0_14default_configENS1_35radix_sort_onesweep_config_selectorIyyEEZZNS1_29radix_sort_onesweep_iterationIS3_Lb0EN6thrust23THRUST_200600_302600_NS6detail15normal_iteratorINS8_10device_ptrIyEEEESD_SD_SD_jNS0_19identity_decomposerENS1_16block_id_wrapperIjLb1EEEEE10hipError_tT1_PNSt15iterator_traitsISI_E10value_typeET2_T3_PNSJ_ISO_E10value_typeET4_T5_PST_SU_PNS1_23onesweep_lookback_stateEbbT6_jjT7_P12ihipStream_tbENKUlT_T0_SI_SN_E_clISD_PySD_S15_EEDaS11_S12_SI_SN_EUlS11_E_NS1_11comp_targetILNS1_3genE9ELNS1_11target_archE1100ELNS1_3gpuE3ELNS1_3repE0EEENS1_47radix_sort_onesweep_sort_config_static_selectorELNS0_4arch9wavefront6targetE1EEEvSI_.has_indirect_call, 0
	.section	.AMDGPU.csdata,"",@progbits
; Kernel info:
; codeLenInByte = 0
; TotalNumSgprs: 6
; NumVgprs: 0
; NumAgprs: 0
; TotalNumVgprs: 0
; ScratchSize: 0
; MemoryBound: 0
; FloatMode: 240
; IeeeMode: 1
; LDSByteSize: 0 bytes/workgroup (compile time only)
; SGPRBlocks: 0
; VGPRBlocks: 0
; NumSGPRsForWavesPerEU: 6
; NumVGPRsForWavesPerEU: 1
; AccumOffset: 4
; Occupancy: 8
; WaveLimiterHint : 0
; COMPUTE_PGM_RSRC2:SCRATCH_EN: 0
; COMPUTE_PGM_RSRC2:USER_SGPR: 2
; COMPUTE_PGM_RSRC2:TRAP_HANDLER: 0
; COMPUTE_PGM_RSRC2:TGID_X_EN: 1
; COMPUTE_PGM_RSRC2:TGID_Y_EN: 0
; COMPUTE_PGM_RSRC2:TGID_Z_EN: 0
; COMPUTE_PGM_RSRC2:TIDIG_COMP_CNT: 0
; COMPUTE_PGM_RSRC3_GFX90A:ACCUM_OFFSET: 0
; COMPUTE_PGM_RSRC3_GFX90A:TG_SPLIT: 0
	.section	.text._ZN7rocprim17ROCPRIM_400000_NS6detail17trampoline_kernelINS0_14default_configENS1_35radix_sort_onesweep_config_selectorIyyEEZZNS1_29radix_sort_onesweep_iterationIS3_Lb0EN6thrust23THRUST_200600_302600_NS6detail15normal_iteratorINS8_10device_ptrIyEEEESD_SD_SD_jNS0_19identity_decomposerENS1_16block_id_wrapperIjLb1EEEEE10hipError_tT1_PNSt15iterator_traitsISI_E10value_typeET2_T3_PNSJ_ISO_E10value_typeET4_T5_PST_SU_PNS1_23onesweep_lookback_stateEbbT6_jjT7_P12ihipStream_tbENKUlT_T0_SI_SN_E_clISD_PySD_S15_EEDaS11_S12_SI_SN_EUlS11_E_NS1_11comp_targetILNS1_3genE8ELNS1_11target_archE1030ELNS1_3gpuE2ELNS1_3repE0EEENS1_47radix_sort_onesweep_sort_config_static_selectorELNS0_4arch9wavefront6targetE1EEEvSI_,"axG",@progbits,_ZN7rocprim17ROCPRIM_400000_NS6detail17trampoline_kernelINS0_14default_configENS1_35radix_sort_onesweep_config_selectorIyyEEZZNS1_29radix_sort_onesweep_iterationIS3_Lb0EN6thrust23THRUST_200600_302600_NS6detail15normal_iteratorINS8_10device_ptrIyEEEESD_SD_SD_jNS0_19identity_decomposerENS1_16block_id_wrapperIjLb1EEEEE10hipError_tT1_PNSt15iterator_traitsISI_E10value_typeET2_T3_PNSJ_ISO_E10value_typeET4_T5_PST_SU_PNS1_23onesweep_lookback_stateEbbT6_jjT7_P12ihipStream_tbENKUlT_T0_SI_SN_E_clISD_PySD_S15_EEDaS11_S12_SI_SN_EUlS11_E_NS1_11comp_targetILNS1_3genE8ELNS1_11target_archE1030ELNS1_3gpuE2ELNS1_3repE0EEENS1_47radix_sort_onesweep_sort_config_static_selectorELNS0_4arch9wavefront6targetE1EEEvSI_,comdat
	.protected	_ZN7rocprim17ROCPRIM_400000_NS6detail17trampoline_kernelINS0_14default_configENS1_35radix_sort_onesweep_config_selectorIyyEEZZNS1_29radix_sort_onesweep_iterationIS3_Lb0EN6thrust23THRUST_200600_302600_NS6detail15normal_iteratorINS8_10device_ptrIyEEEESD_SD_SD_jNS0_19identity_decomposerENS1_16block_id_wrapperIjLb1EEEEE10hipError_tT1_PNSt15iterator_traitsISI_E10value_typeET2_T3_PNSJ_ISO_E10value_typeET4_T5_PST_SU_PNS1_23onesweep_lookback_stateEbbT6_jjT7_P12ihipStream_tbENKUlT_T0_SI_SN_E_clISD_PySD_S15_EEDaS11_S12_SI_SN_EUlS11_E_NS1_11comp_targetILNS1_3genE8ELNS1_11target_archE1030ELNS1_3gpuE2ELNS1_3repE0EEENS1_47radix_sort_onesweep_sort_config_static_selectorELNS0_4arch9wavefront6targetE1EEEvSI_ ; -- Begin function _ZN7rocprim17ROCPRIM_400000_NS6detail17trampoline_kernelINS0_14default_configENS1_35radix_sort_onesweep_config_selectorIyyEEZZNS1_29radix_sort_onesweep_iterationIS3_Lb0EN6thrust23THRUST_200600_302600_NS6detail15normal_iteratorINS8_10device_ptrIyEEEESD_SD_SD_jNS0_19identity_decomposerENS1_16block_id_wrapperIjLb1EEEEE10hipError_tT1_PNSt15iterator_traitsISI_E10value_typeET2_T3_PNSJ_ISO_E10value_typeET4_T5_PST_SU_PNS1_23onesweep_lookback_stateEbbT6_jjT7_P12ihipStream_tbENKUlT_T0_SI_SN_E_clISD_PySD_S15_EEDaS11_S12_SI_SN_EUlS11_E_NS1_11comp_targetILNS1_3genE8ELNS1_11target_archE1030ELNS1_3gpuE2ELNS1_3repE0EEENS1_47radix_sort_onesweep_sort_config_static_selectorELNS0_4arch9wavefront6targetE1EEEvSI_
	.globl	_ZN7rocprim17ROCPRIM_400000_NS6detail17trampoline_kernelINS0_14default_configENS1_35radix_sort_onesweep_config_selectorIyyEEZZNS1_29radix_sort_onesweep_iterationIS3_Lb0EN6thrust23THRUST_200600_302600_NS6detail15normal_iteratorINS8_10device_ptrIyEEEESD_SD_SD_jNS0_19identity_decomposerENS1_16block_id_wrapperIjLb1EEEEE10hipError_tT1_PNSt15iterator_traitsISI_E10value_typeET2_T3_PNSJ_ISO_E10value_typeET4_T5_PST_SU_PNS1_23onesweep_lookback_stateEbbT6_jjT7_P12ihipStream_tbENKUlT_T0_SI_SN_E_clISD_PySD_S15_EEDaS11_S12_SI_SN_EUlS11_E_NS1_11comp_targetILNS1_3genE8ELNS1_11target_archE1030ELNS1_3gpuE2ELNS1_3repE0EEENS1_47radix_sort_onesweep_sort_config_static_selectorELNS0_4arch9wavefront6targetE1EEEvSI_
	.p2align	8
	.type	_ZN7rocprim17ROCPRIM_400000_NS6detail17trampoline_kernelINS0_14default_configENS1_35radix_sort_onesweep_config_selectorIyyEEZZNS1_29radix_sort_onesweep_iterationIS3_Lb0EN6thrust23THRUST_200600_302600_NS6detail15normal_iteratorINS8_10device_ptrIyEEEESD_SD_SD_jNS0_19identity_decomposerENS1_16block_id_wrapperIjLb1EEEEE10hipError_tT1_PNSt15iterator_traitsISI_E10value_typeET2_T3_PNSJ_ISO_E10value_typeET4_T5_PST_SU_PNS1_23onesweep_lookback_stateEbbT6_jjT7_P12ihipStream_tbENKUlT_T0_SI_SN_E_clISD_PySD_S15_EEDaS11_S12_SI_SN_EUlS11_E_NS1_11comp_targetILNS1_3genE8ELNS1_11target_archE1030ELNS1_3gpuE2ELNS1_3repE0EEENS1_47radix_sort_onesweep_sort_config_static_selectorELNS0_4arch9wavefront6targetE1EEEvSI_,@function
_ZN7rocprim17ROCPRIM_400000_NS6detail17trampoline_kernelINS0_14default_configENS1_35radix_sort_onesweep_config_selectorIyyEEZZNS1_29radix_sort_onesweep_iterationIS3_Lb0EN6thrust23THRUST_200600_302600_NS6detail15normal_iteratorINS8_10device_ptrIyEEEESD_SD_SD_jNS0_19identity_decomposerENS1_16block_id_wrapperIjLb1EEEEE10hipError_tT1_PNSt15iterator_traitsISI_E10value_typeET2_T3_PNSJ_ISO_E10value_typeET4_T5_PST_SU_PNS1_23onesweep_lookback_stateEbbT6_jjT7_P12ihipStream_tbENKUlT_T0_SI_SN_E_clISD_PySD_S15_EEDaS11_S12_SI_SN_EUlS11_E_NS1_11comp_targetILNS1_3genE8ELNS1_11target_archE1030ELNS1_3gpuE2ELNS1_3repE0EEENS1_47radix_sort_onesweep_sort_config_static_selectorELNS0_4arch9wavefront6targetE1EEEvSI_: ; @_ZN7rocprim17ROCPRIM_400000_NS6detail17trampoline_kernelINS0_14default_configENS1_35radix_sort_onesweep_config_selectorIyyEEZZNS1_29radix_sort_onesweep_iterationIS3_Lb0EN6thrust23THRUST_200600_302600_NS6detail15normal_iteratorINS8_10device_ptrIyEEEESD_SD_SD_jNS0_19identity_decomposerENS1_16block_id_wrapperIjLb1EEEEE10hipError_tT1_PNSt15iterator_traitsISI_E10value_typeET2_T3_PNSJ_ISO_E10value_typeET4_T5_PST_SU_PNS1_23onesweep_lookback_stateEbbT6_jjT7_P12ihipStream_tbENKUlT_T0_SI_SN_E_clISD_PySD_S15_EEDaS11_S12_SI_SN_EUlS11_E_NS1_11comp_targetILNS1_3genE8ELNS1_11target_archE1030ELNS1_3gpuE2ELNS1_3repE0EEENS1_47radix_sort_onesweep_sort_config_static_selectorELNS0_4arch9wavefront6targetE1EEEvSI_
; %bb.0:
	.section	.rodata,"a",@progbits
	.p2align	6, 0x0
	.amdhsa_kernel _ZN7rocprim17ROCPRIM_400000_NS6detail17trampoline_kernelINS0_14default_configENS1_35radix_sort_onesweep_config_selectorIyyEEZZNS1_29radix_sort_onesweep_iterationIS3_Lb0EN6thrust23THRUST_200600_302600_NS6detail15normal_iteratorINS8_10device_ptrIyEEEESD_SD_SD_jNS0_19identity_decomposerENS1_16block_id_wrapperIjLb1EEEEE10hipError_tT1_PNSt15iterator_traitsISI_E10value_typeET2_T3_PNSJ_ISO_E10value_typeET4_T5_PST_SU_PNS1_23onesweep_lookback_stateEbbT6_jjT7_P12ihipStream_tbENKUlT_T0_SI_SN_E_clISD_PySD_S15_EEDaS11_S12_SI_SN_EUlS11_E_NS1_11comp_targetILNS1_3genE8ELNS1_11target_archE1030ELNS1_3gpuE2ELNS1_3repE0EEENS1_47radix_sort_onesweep_sort_config_static_selectorELNS0_4arch9wavefront6targetE1EEEvSI_
		.amdhsa_group_segment_fixed_size 0
		.amdhsa_private_segment_fixed_size 0
		.amdhsa_kernarg_size 88
		.amdhsa_user_sgpr_count 2
		.amdhsa_user_sgpr_dispatch_ptr 0
		.amdhsa_user_sgpr_queue_ptr 0
		.amdhsa_user_sgpr_kernarg_segment_ptr 1
		.amdhsa_user_sgpr_dispatch_id 0
		.amdhsa_user_sgpr_kernarg_preload_length 0
		.amdhsa_user_sgpr_kernarg_preload_offset 0
		.amdhsa_user_sgpr_private_segment_size 0
		.amdhsa_uses_dynamic_stack 0
		.amdhsa_enable_private_segment 0
		.amdhsa_system_sgpr_workgroup_id_x 1
		.amdhsa_system_sgpr_workgroup_id_y 0
		.amdhsa_system_sgpr_workgroup_id_z 0
		.amdhsa_system_sgpr_workgroup_info 0
		.amdhsa_system_vgpr_workitem_id 0
		.amdhsa_next_free_vgpr 1
		.amdhsa_next_free_sgpr 0
		.amdhsa_accum_offset 4
		.amdhsa_reserve_vcc 0
		.amdhsa_float_round_mode_32 0
		.amdhsa_float_round_mode_16_64 0
		.amdhsa_float_denorm_mode_32 3
		.amdhsa_float_denorm_mode_16_64 3
		.amdhsa_dx10_clamp 1
		.amdhsa_ieee_mode 1
		.amdhsa_fp16_overflow 0
		.amdhsa_tg_split 0
		.amdhsa_exception_fp_ieee_invalid_op 0
		.amdhsa_exception_fp_denorm_src 0
		.amdhsa_exception_fp_ieee_div_zero 0
		.amdhsa_exception_fp_ieee_overflow 0
		.amdhsa_exception_fp_ieee_underflow 0
		.amdhsa_exception_fp_ieee_inexact 0
		.amdhsa_exception_int_div_zero 0
	.end_amdhsa_kernel
	.section	.text._ZN7rocprim17ROCPRIM_400000_NS6detail17trampoline_kernelINS0_14default_configENS1_35radix_sort_onesweep_config_selectorIyyEEZZNS1_29radix_sort_onesweep_iterationIS3_Lb0EN6thrust23THRUST_200600_302600_NS6detail15normal_iteratorINS8_10device_ptrIyEEEESD_SD_SD_jNS0_19identity_decomposerENS1_16block_id_wrapperIjLb1EEEEE10hipError_tT1_PNSt15iterator_traitsISI_E10value_typeET2_T3_PNSJ_ISO_E10value_typeET4_T5_PST_SU_PNS1_23onesweep_lookback_stateEbbT6_jjT7_P12ihipStream_tbENKUlT_T0_SI_SN_E_clISD_PySD_S15_EEDaS11_S12_SI_SN_EUlS11_E_NS1_11comp_targetILNS1_3genE8ELNS1_11target_archE1030ELNS1_3gpuE2ELNS1_3repE0EEENS1_47radix_sort_onesweep_sort_config_static_selectorELNS0_4arch9wavefront6targetE1EEEvSI_,"axG",@progbits,_ZN7rocprim17ROCPRIM_400000_NS6detail17trampoline_kernelINS0_14default_configENS1_35radix_sort_onesweep_config_selectorIyyEEZZNS1_29radix_sort_onesweep_iterationIS3_Lb0EN6thrust23THRUST_200600_302600_NS6detail15normal_iteratorINS8_10device_ptrIyEEEESD_SD_SD_jNS0_19identity_decomposerENS1_16block_id_wrapperIjLb1EEEEE10hipError_tT1_PNSt15iterator_traitsISI_E10value_typeET2_T3_PNSJ_ISO_E10value_typeET4_T5_PST_SU_PNS1_23onesweep_lookback_stateEbbT6_jjT7_P12ihipStream_tbENKUlT_T0_SI_SN_E_clISD_PySD_S15_EEDaS11_S12_SI_SN_EUlS11_E_NS1_11comp_targetILNS1_3genE8ELNS1_11target_archE1030ELNS1_3gpuE2ELNS1_3repE0EEENS1_47radix_sort_onesweep_sort_config_static_selectorELNS0_4arch9wavefront6targetE1EEEvSI_,comdat
.Lfunc_end545:
	.size	_ZN7rocprim17ROCPRIM_400000_NS6detail17trampoline_kernelINS0_14default_configENS1_35radix_sort_onesweep_config_selectorIyyEEZZNS1_29radix_sort_onesweep_iterationIS3_Lb0EN6thrust23THRUST_200600_302600_NS6detail15normal_iteratorINS8_10device_ptrIyEEEESD_SD_SD_jNS0_19identity_decomposerENS1_16block_id_wrapperIjLb1EEEEE10hipError_tT1_PNSt15iterator_traitsISI_E10value_typeET2_T3_PNSJ_ISO_E10value_typeET4_T5_PST_SU_PNS1_23onesweep_lookback_stateEbbT6_jjT7_P12ihipStream_tbENKUlT_T0_SI_SN_E_clISD_PySD_S15_EEDaS11_S12_SI_SN_EUlS11_E_NS1_11comp_targetILNS1_3genE8ELNS1_11target_archE1030ELNS1_3gpuE2ELNS1_3repE0EEENS1_47radix_sort_onesweep_sort_config_static_selectorELNS0_4arch9wavefront6targetE1EEEvSI_, .Lfunc_end545-_ZN7rocprim17ROCPRIM_400000_NS6detail17trampoline_kernelINS0_14default_configENS1_35radix_sort_onesweep_config_selectorIyyEEZZNS1_29radix_sort_onesweep_iterationIS3_Lb0EN6thrust23THRUST_200600_302600_NS6detail15normal_iteratorINS8_10device_ptrIyEEEESD_SD_SD_jNS0_19identity_decomposerENS1_16block_id_wrapperIjLb1EEEEE10hipError_tT1_PNSt15iterator_traitsISI_E10value_typeET2_T3_PNSJ_ISO_E10value_typeET4_T5_PST_SU_PNS1_23onesweep_lookback_stateEbbT6_jjT7_P12ihipStream_tbENKUlT_T0_SI_SN_E_clISD_PySD_S15_EEDaS11_S12_SI_SN_EUlS11_E_NS1_11comp_targetILNS1_3genE8ELNS1_11target_archE1030ELNS1_3gpuE2ELNS1_3repE0EEENS1_47radix_sort_onesweep_sort_config_static_selectorELNS0_4arch9wavefront6targetE1EEEvSI_
                                        ; -- End function
	.set _ZN7rocprim17ROCPRIM_400000_NS6detail17trampoline_kernelINS0_14default_configENS1_35radix_sort_onesweep_config_selectorIyyEEZZNS1_29radix_sort_onesweep_iterationIS3_Lb0EN6thrust23THRUST_200600_302600_NS6detail15normal_iteratorINS8_10device_ptrIyEEEESD_SD_SD_jNS0_19identity_decomposerENS1_16block_id_wrapperIjLb1EEEEE10hipError_tT1_PNSt15iterator_traitsISI_E10value_typeET2_T3_PNSJ_ISO_E10value_typeET4_T5_PST_SU_PNS1_23onesweep_lookback_stateEbbT6_jjT7_P12ihipStream_tbENKUlT_T0_SI_SN_E_clISD_PySD_S15_EEDaS11_S12_SI_SN_EUlS11_E_NS1_11comp_targetILNS1_3genE8ELNS1_11target_archE1030ELNS1_3gpuE2ELNS1_3repE0EEENS1_47radix_sort_onesweep_sort_config_static_selectorELNS0_4arch9wavefront6targetE1EEEvSI_.num_vgpr, 0
	.set _ZN7rocprim17ROCPRIM_400000_NS6detail17trampoline_kernelINS0_14default_configENS1_35radix_sort_onesweep_config_selectorIyyEEZZNS1_29radix_sort_onesweep_iterationIS3_Lb0EN6thrust23THRUST_200600_302600_NS6detail15normal_iteratorINS8_10device_ptrIyEEEESD_SD_SD_jNS0_19identity_decomposerENS1_16block_id_wrapperIjLb1EEEEE10hipError_tT1_PNSt15iterator_traitsISI_E10value_typeET2_T3_PNSJ_ISO_E10value_typeET4_T5_PST_SU_PNS1_23onesweep_lookback_stateEbbT6_jjT7_P12ihipStream_tbENKUlT_T0_SI_SN_E_clISD_PySD_S15_EEDaS11_S12_SI_SN_EUlS11_E_NS1_11comp_targetILNS1_3genE8ELNS1_11target_archE1030ELNS1_3gpuE2ELNS1_3repE0EEENS1_47radix_sort_onesweep_sort_config_static_selectorELNS0_4arch9wavefront6targetE1EEEvSI_.num_agpr, 0
	.set _ZN7rocprim17ROCPRIM_400000_NS6detail17trampoline_kernelINS0_14default_configENS1_35radix_sort_onesweep_config_selectorIyyEEZZNS1_29radix_sort_onesweep_iterationIS3_Lb0EN6thrust23THRUST_200600_302600_NS6detail15normal_iteratorINS8_10device_ptrIyEEEESD_SD_SD_jNS0_19identity_decomposerENS1_16block_id_wrapperIjLb1EEEEE10hipError_tT1_PNSt15iterator_traitsISI_E10value_typeET2_T3_PNSJ_ISO_E10value_typeET4_T5_PST_SU_PNS1_23onesweep_lookback_stateEbbT6_jjT7_P12ihipStream_tbENKUlT_T0_SI_SN_E_clISD_PySD_S15_EEDaS11_S12_SI_SN_EUlS11_E_NS1_11comp_targetILNS1_3genE8ELNS1_11target_archE1030ELNS1_3gpuE2ELNS1_3repE0EEENS1_47radix_sort_onesweep_sort_config_static_selectorELNS0_4arch9wavefront6targetE1EEEvSI_.numbered_sgpr, 0
	.set _ZN7rocprim17ROCPRIM_400000_NS6detail17trampoline_kernelINS0_14default_configENS1_35radix_sort_onesweep_config_selectorIyyEEZZNS1_29radix_sort_onesweep_iterationIS3_Lb0EN6thrust23THRUST_200600_302600_NS6detail15normal_iteratorINS8_10device_ptrIyEEEESD_SD_SD_jNS0_19identity_decomposerENS1_16block_id_wrapperIjLb1EEEEE10hipError_tT1_PNSt15iterator_traitsISI_E10value_typeET2_T3_PNSJ_ISO_E10value_typeET4_T5_PST_SU_PNS1_23onesweep_lookback_stateEbbT6_jjT7_P12ihipStream_tbENKUlT_T0_SI_SN_E_clISD_PySD_S15_EEDaS11_S12_SI_SN_EUlS11_E_NS1_11comp_targetILNS1_3genE8ELNS1_11target_archE1030ELNS1_3gpuE2ELNS1_3repE0EEENS1_47radix_sort_onesweep_sort_config_static_selectorELNS0_4arch9wavefront6targetE1EEEvSI_.num_named_barrier, 0
	.set _ZN7rocprim17ROCPRIM_400000_NS6detail17trampoline_kernelINS0_14default_configENS1_35radix_sort_onesweep_config_selectorIyyEEZZNS1_29radix_sort_onesweep_iterationIS3_Lb0EN6thrust23THRUST_200600_302600_NS6detail15normal_iteratorINS8_10device_ptrIyEEEESD_SD_SD_jNS0_19identity_decomposerENS1_16block_id_wrapperIjLb1EEEEE10hipError_tT1_PNSt15iterator_traitsISI_E10value_typeET2_T3_PNSJ_ISO_E10value_typeET4_T5_PST_SU_PNS1_23onesweep_lookback_stateEbbT6_jjT7_P12ihipStream_tbENKUlT_T0_SI_SN_E_clISD_PySD_S15_EEDaS11_S12_SI_SN_EUlS11_E_NS1_11comp_targetILNS1_3genE8ELNS1_11target_archE1030ELNS1_3gpuE2ELNS1_3repE0EEENS1_47radix_sort_onesweep_sort_config_static_selectorELNS0_4arch9wavefront6targetE1EEEvSI_.private_seg_size, 0
	.set _ZN7rocprim17ROCPRIM_400000_NS6detail17trampoline_kernelINS0_14default_configENS1_35radix_sort_onesweep_config_selectorIyyEEZZNS1_29radix_sort_onesweep_iterationIS3_Lb0EN6thrust23THRUST_200600_302600_NS6detail15normal_iteratorINS8_10device_ptrIyEEEESD_SD_SD_jNS0_19identity_decomposerENS1_16block_id_wrapperIjLb1EEEEE10hipError_tT1_PNSt15iterator_traitsISI_E10value_typeET2_T3_PNSJ_ISO_E10value_typeET4_T5_PST_SU_PNS1_23onesweep_lookback_stateEbbT6_jjT7_P12ihipStream_tbENKUlT_T0_SI_SN_E_clISD_PySD_S15_EEDaS11_S12_SI_SN_EUlS11_E_NS1_11comp_targetILNS1_3genE8ELNS1_11target_archE1030ELNS1_3gpuE2ELNS1_3repE0EEENS1_47radix_sort_onesweep_sort_config_static_selectorELNS0_4arch9wavefront6targetE1EEEvSI_.uses_vcc, 0
	.set _ZN7rocprim17ROCPRIM_400000_NS6detail17trampoline_kernelINS0_14default_configENS1_35radix_sort_onesweep_config_selectorIyyEEZZNS1_29radix_sort_onesweep_iterationIS3_Lb0EN6thrust23THRUST_200600_302600_NS6detail15normal_iteratorINS8_10device_ptrIyEEEESD_SD_SD_jNS0_19identity_decomposerENS1_16block_id_wrapperIjLb1EEEEE10hipError_tT1_PNSt15iterator_traitsISI_E10value_typeET2_T3_PNSJ_ISO_E10value_typeET4_T5_PST_SU_PNS1_23onesweep_lookback_stateEbbT6_jjT7_P12ihipStream_tbENKUlT_T0_SI_SN_E_clISD_PySD_S15_EEDaS11_S12_SI_SN_EUlS11_E_NS1_11comp_targetILNS1_3genE8ELNS1_11target_archE1030ELNS1_3gpuE2ELNS1_3repE0EEENS1_47radix_sort_onesweep_sort_config_static_selectorELNS0_4arch9wavefront6targetE1EEEvSI_.uses_flat_scratch, 0
	.set _ZN7rocprim17ROCPRIM_400000_NS6detail17trampoline_kernelINS0_14default_configENS1_35radix_sort_onesweep_config_selectorIyyEEZZNS1_29radix_sort_onesweep_iterationIS3_Lb0EN6thrust23THRUST_200600_302600_NS6detail15normal_iteratorINS8_10device_ptrIyEEEESD_SD_SD_jNS0_19identity_decomposerENS1_16block_id_wrapperIjLb1EEEEE10hipError_tT1_PNSt15iterator_traitsISI_E10value_typeET2_T3_PNSJ_ISO_E10value_typeET4_T5_PST_SU_PNS1_23onesweep_lookback_stateEbbT6_jjT7_P12ihipStream_tbENKUlT_T0_SI_SN_E_clISD_PySD_S15_EEDaS11_S12_SI_SN_EUlS11_E_NS1_11comp_targetILNS1_3genE8ELNS1_11target_archE1030ELNS1_3gpuE2ELNS1_3repE0EEENS1_47radix_sort_onesweep_sort_config_static_selectorELNS0_4arch9wavefront6targetE1EEEvSI_.has_dyn_sized_stack, 0
	.set _ZN7rocprim17ROCPRIM_400000_NS6detail17trampoline_kernelINS0_14default_configENS1_35radix_sort_onesweep_config_selectorIyyEEZZNS1_29radix_sort_onesweep_iterationIS3_Lb0EN6thrust23THRUST_200600_302600_NS6detail15normal_iteratorINS8_10device_ptrIyEEEESD_SD_SD_jNS0_19identity_decomposerENS1_16block_id_wrapperIjLb1EEEEE10hipError_tT1_PNSt15iterator_traitsISI_E10value_typeET2_T3_PNSJ_ISO_E10value_typeET4_T5_PST_SU_PNS1_23onesweep_lookback_stateEbbT6_jjT7_P12ihipStream_tbENKUlT_T0_SI_SN_E_clISD_PySD_S15_EEDaS11_S12_SI_SN_EUlS11_E_NS1_11comp_targetILNS1_3genE8ELNS1_11target_archE1030ELNS1_3gpuE2ELNS1_3repE0EEENS1_47radix_sort_onesweep_sort_config_static_selectorELNS0_4arch9wavefront6targetE1EEEvSI_.has_recursion, 0
	.set _ZN7rocprim17ROCPRIM_400000_NS6detail17trampoline_kernelINS0_14default_configENS1_35radix_sort_onesweep_config_selectorIyyEEZZNS1_29radix_sort_onesweep_iterationIS3_Lb0EN6thrust23THRUST_200600_302600_NS6detail15normal_iteratorINS8_10device_ptrIyEEEESD_SD_SD_jNS0_19identity_decomposerENS1_16block_id_wrapperIjLb1EEEEE10hipError_tT1_PNSt15iterator_traitsISI_E10value_typeET2_T3_PNSJ_ISO_E10value_typeET4_T5_PST_SU_PNS1_23onesweep_lookback_stateEbbT6_jjT7_P12ihipStream_tbENKUlT_T0_SI_SN_E_clISD_PySD_S15_EEDaS11_S12_SI_SN_EUlS11_E_NS1_11comp_targetILNS1_3genE8ELNS1_11target_archE1030ELNS1_3gpuE2ELNS1_3repE0EEENS1_47radix_sort_onesweep_sort_config_static_selectorELNS0_4arch9wavefront6targetE1EEEvSI_.has_indirect_call, 0
	.section	.AMDGPU.csdata,"",@progbits
; Kernel info:
; codeLenInByte = 0
; TotalNumSgprs: 6
; NumVgprs: 0
; NumAgprs: 0
; TotalNumVgprs: 0
; ScratchSize: 0
; MemoryBound: 0
; FloatMode: 240
; IeeeMode: 1
; LDSByteSize: 0 bytes/workgroup (compile time only)
; SGPRBlocks: 0
; VGPRBlocks: 0
; NumSGPRsForWavesPerEU: 6
; NumVGPRsForWavesPerEU: 1
; AccumOffset: 4
; Occupancy: 8
; WaveLimiterHint : 0
; COMPUTE_PGM_RSRC2:SCRATCH_EN: 0
; COMPUTE_PGM_RSRC2:USER_SGPR: 2
; COMPUTE_PGM_RSRC2:TRAP_HANDLER: 0
; COMPUTE_PGM_RSRC2:TGID_X_EN: 1
; COMPUTE_PGM_RSRC2:TGID_Y_EN: 0
; COMPUTE_PGM_RSRC2:TGID_Z_EN: 0
; COMPUTE_PGM_RSRC2:TIDIG_COMP_CNT: 0
; COMPUTE_PGM_RSRC3_GFX90A:ACCUM_OFFSET: 0
; COMPUTE_PGM_RSRC3_GFX90A:TG_SPLIT: 0
	.section	.text._ZN7rocprim17ROCPRIM_400000_NS6detail17trampoline_kernelINS0_14default_configENS1_35radix_sort_onesweep_config_selectorIyyEEZZNS1_29radix_sort_onesweep_iterationIS3_Lb0EN6thrust23THRUST_200600_302600_NS6detail15normal_iteratorINS8_10device_ptrIyEEEESD_SD_SD_jNS0_19identity_decomposerENS1_16block_id_wrapperIjLb1EEEEE10hipError_tT1_PNSt15iterator_traitsISI_E10value_typeET2_T3_PNSJ_ISO_E10value_typeET4_T5_PST_SU_PNS1_23onesweep_lookback_stateEbbT6_jjT7_P12ihipStream_tbENKUlT_T0_SI_SN_E_clIPySD_S15_SD_EEDaS11_S12_SI_SN_EUlS11_E_NS1_11comp_targetILNS1_3genE0ELNS1_11target_archE4294967295ELNS1_3gpuE0ELNS1_3repE0EEENS1_47radix_sort_onesweep_sort_config_static_selectorELNS0_4arch9wavefront6targetE1EEEvSI_,"axG",@progbits,_ZN7rocprim17ROCPRIM_400000_NS6detail17trampoline_kernelINS0_14default_configENS1_35radix_sort_onesweep_config_selectorIyyEEZZNS1_29radix_sort_onesweep_iterationIS3_Lb0EN6thrust23THRUST_200600_302600_NS6detail15normal_iteratorINS8_10device_ptrIyEEEESD_SD_SD_jNS0_19identity_decomposerENS1_16block_id_wrapperIjLb1EEEEE10hipError_tT1_PNSt15iterator_traitsISI_E10value_typeET2_T3_PNSJ_ISO_E10value_typeET4_T5_PST_SU_PNS1_23onesweep_lookback_stateEbbT6_jjT7_P12ihipStream_tbENKUlT_T0_SI_SN_E_clIPySD_S15_SD_EEDaS11_S12_SI_SN_EUlS11_E_NS1_11comp_targetILNS1_3genE0ELNS1_11target_archE4294967295ELNS1_3gpuE0ELNS1_3repE0EEENS1_47radix_sort_onesweep_sort_config_static_selectorELNS0_4arch9wavefront6targetE1EEEvSI_,comdat
	.protected	_ZN7rocprim17ROCPRIM_400000_NS6detail17trampoline_kernelINS0_14default_configENS1_35radix_sort_onesweep_config_selectorIyyEEZZNS1_29radix_sort_onesweep_iterationIS3_Lb0EN6thrust23THRUST_200600_302600_NS6detail15normal_iteratorINS8_10device_ptrIyEEEESD_SD_SD_jNS0_19identity_decomposerENS1_16block_id_wrapperIjLb1EEEEE10hipError_tT1_PNSt15iterator_traitsISI_E10value_typeET2_T3_PNSJ_ISO_E10value_typeET4_T5_PST_SU_PNS1_23onesweep_lookback_stateEbbT6_jjT7_P12ihipStream_tbENKUlT_T0_SI_SN_E_clIPySD_S15_SD_EEDaS11_S12_SI_SN_EUlS11_E_NS1_11comp_targetILNS1_3genE0ELNS1_11target_archE4294967295ELNS1_3gpuE0ELNS1_3repE0EEENS1_47radix_sort_onesweep_sort_config_static_selectorELNS0_4arch9wavefront6targetE1EEEvSI_ ; -- Begin function _ZN7rocprim17ROCPRIM_400000_NS6detail17trampoline_kernelINS0_14default_configENS1_35radix_sort_onesweep_config_selectorIyyEEZZNS1_29radix_sort_onesweep_iterationIS3_Lb0EN6thrust23THRUST_200600_302600_NS6detail15normal_iteratorINS8_10device_ptrIyEEEESD_SD_SD_jNS0_19identity_decomposerENS1_16block_id_wrapperIjLb1EEEEE10hipError_tT1_PNSt15iterator_traitsISI_E10value_typeET2_T3_PNSJ_ISO_E10value_typeET4_T5_PST_SU_PNS1_23onesweep_lookback_stateEbbT6_jjT7_P12ihipStream_tbENKUlT_T0_SI_SN_E_clIPySD_S15_SD_EEDaS11_S12_SI_SN_EUlS11_E_NS1_11comp_targetILNS1_3genE0ELNS1_11target_archE4294967295ELNS1_3gpuE0ELNS1_3repE0EEENS1_47radix_sort_onesweep_sort_config_static_selectorELNS0_4arch9wavefront6targetE1EEEvSI_
	.globl	_ZN7rocprim17ROCPRIM_400000_NS6detail17trampoline_kernelINS0_14default_configENS1_35radix_sort_onesweep_config_selectorIyyEEZZNS1_29radix_sort_onesweep_iterationIS3_Lb0EN6thrust23THRUST_200600_302600_NS6detail15normal_iteratorINS8_10device_ptrIyEEEESD_SD_SD_jNS0_19identity_decomposerENS1_16block_id_wrapperIjLb1EEEEE10hipError_tT1_PNSt15iterator_traitsISI_E10value_typeET2_T3_PNSJ_ISO_E10value_typeET4_T5_PST_SU_PNS1_23onesweep_lookback_stateEbbT6_jjT7_P12ihipStream_tbENKUlT_T0_SI_SN_E_clIPySD_S15_SD_EEDaS11_S12_SI_SN_EUlS11_E_NS1_11comp_targetILNS1_3genE0ELNS1_11target_archE4294967295ELNS1_3gpuE0ELNS1_3repE0EEENS1_47radix_sort_onesweep_sort_config_static_selectorELNS0_4arch9wavefront6targetE1EEEvSI_
	.p2align	8
	.type	_ZN7rocprim17ROCPRIM_400000_NS6detail17trampoline_kernelINS0_14default_configENS1_35radix_sort_onesweep_config_selectorIyyEEZZNS1_29radix_sort_onesweep_iterationIS3_Lb0EN6thrust23THRUST_200600_302600_NS6detail15normal_iteratorINS8_10device_ptrIyEEEESD_SD_SD_jNS0_19identity_decomposerENS1_16block_id_wrapperIjLb1EEEEE10hipError_tT1_PNSt15iterator_traitsISI_E10value_typeET2_T3_PNSJ_ISO_E10value_typeET4_T5_PST_SU_PNS1_23onesweep_lookback_stateEbbT6_jjT7_P12ihipStream_tbENKUlT_T0_SI_SN_E_clIPySD_S15_SD_EEDaS11_S12_SI_SN_EUlS11_E_NS1_11comp_targetILNS1_3genE0ELNS1_11target_archE4294967295ELNS1_3gpuE0ELNS1_3repE0EEENS1_47radix_sort_onesweep_sort_config_static_selectorELNS0_4arch9wavefront6targetE1EEEvSI_,@function
_ZN7rocprim17ROCPRIM_400000_NS6detail17trampoline_kernelINS0_14default_configENS1_35radix_sort_onesweep_config_selectorIyyEEZZNS1_29radix_sort_onesweep_iterationIS3_Lb0EN6thrust23THRUST_200600_302600_NS6detail15normal_iteratorINS8_10device_ptrIyEEEESD_SD_SD_jNS0_19identity_decomposerENS1_16block_id_wrapperIjLb1EEEEE10hipError_tT1_PNSt15iterator_traitsISI_E10value_typeET2_T3_PNSJ_ISO_E10value_typeET4_T5_PST_SU_PNS1_23onesweep_lookback_stateEbbT6_jjT7_P12ihipStream_tbENKUlT_T0_SI_SN_E_clIPySD_S15_SD_EEDaS11_S12_SI_SN_EUlS11_E_NS1_11comp_targetILNS1_3genE0ELNS1_11target_archE4294967295ELNS1_3gpuE0ELNS1_3repE0EEENS1_47radix_sort_onesweep_sort_config_static_selectorELNS0_4arch9wavefront6targetE1EEEvSI_: ; @_ZN7rocprim17ROCPRIM_400000_NS6detail17trampoline_kernelINS0_14default_configENS1_35radix_sort_onesweep_config_selectorIyyEEZZNS1_29radix_sort_onesweep_iterationIS3_Lb0EN6thrust23THRUST_200600_302600_NS6detail15normal_iteratorINS8_10device_ptrIyEEEESD_SD_SD_jNS0_19identity_decomposerENS1_16block_id_wrapperIjLb1EEEEE10hipError_tT1_PNSt15iterator_traitsISI_E10value_typeET2_T3_PNSJ_ISO_E10value_typeET4_T5_PST_SU_PNS1_23onesweep_lookback_stateEbbT6_jjT7_P12ihipStream_tbENKUlT_T0_SI_SN_E_clIPySD_S15_SD_EEDaS11_S12_SI_SN_EUlS11_E_NS1_11comp_targetILNS1_3genE0ELNS1_11target_archE4294967295ELNS1_3gpuE0ELNS1_3repE0EEENS1_47radix_sort_onesweep_sort_config_static_selectorELNS0_4arch9wavefront6targetE1EEEvSI_
; %bb.0:
	.section	.rodata,"a",@progbits
	.p2align	6, 0x0
	.amdhsa_kernel _ZN7rocprim17ROCPRIM_400000_NS6detail17trampoline_kernelINS0_14default_configENS1_35radix_sort_onesweep_config_selectorIyyEEZZNS1_29radix_sort_onesweep_iterationIS3_Lb0EN6thrust23THRUST_200600_302600_NS6detail15normal_iteratorINS8_10device_ptrIyEEEESD_SD_SD_jNS0_19identity_decomposerENS1_16block_id_wrapperIjLb1EEEEE10hipError_tT1_PNSt15iterator_traitsISI_E10value_typeET2_T3_PNSJ_ISO_E10value_typeET4_T5_PST_SU_PNS1_23onesweep_lookback_stateEbbT6_jjT7_P12ihipStream_tbENKUlT_T0_SI_SN_E_clIPySD_S15_SD_EEDaS11_S12_SI_SN_EUlS11_E_NS1_11comp_targetILNS1_3genE0ELNS1_11target_archE4294967295ELNS1_3gpuE0ELNS1_3repE0EEENS1_47radix_sort_onesweep_sort_config_static_selectorELNS0_4arch9wavefront6targetE1EEEvSI_
		.amdhsa_group_segment_fixed_size 0
		.amdhsa_private_segment_fixed_size 0
		.amdhsa_kernarg_size 88
		.amdhsa_user_sgpr_count 2
		.amdhsa_user_sgpr_dispatch_ptr 0
		.amdhsa_user_sgpr_queue_ptr 0
		.amdhsa_user_sgpr_kernarg_segment_ptr 1
		.amdhsa_user_sgpr_dispatch_id 0
		.amdhsa_user_sgpr_kernarg_preload_length 0
		.amdhsa_user_sgpr_kernarg_preload_offset 0
		.amdhsa_user_sgpr_private_segment_size 0
		.amdhsa_uses_dynamic_stack 0
		.amdhsa_enable_private_segment 0
		.amdhsa_system_sgpr_workgroup_id_x 1
		.amdhsa_system_sgpr_workgroup_id_y 0
		.amdhsa_system_sgpr_workgroup_id_z 0
		.amdhsa_system_sgpr_workgroup_info 0
		.amdhsa_system_vgpr_workitem_id 0
		.amdhsa_next_free_vgpr 1
		.amdhsa_next_free_sgpr 0
		.amdhsa_accum_offset 4
		.amdhsa_reserve_vcc 0
		.amdhsa_float_round_mode_32 0
		.amdhsa_float_round_mode_16_64 0
		.amdhsa_float_denorm_mode_32 3
		.amdhsa_float_denorm_mode_16_64 3
		.amdhsa_dx10_clamp 1
		.amdhsa_ieee_mode 1
		.amdhsa_fp16_overflow 0
		.amdhsa_tg_split 0
		.amdhsa_exception_fp_ieee_invalid_op 0
		.amdhsa_exception_fp_denorm_src 0
		.amdhsa_exception_fp_ieee_div_zero 0
		.amdhsa_exception_fp_ieee_overflow 0
		.amdhsa_exception_fp_ieee_underflow 0
		.amdhsa_exception_fp_ieee_inexact 0
		.amdhsa_exception_int_div_zero 0
	.end_amdhsa_kernel
	.section	.text._ZN7rocprim17ROCPRIM_400000_NS6detail17trampoline_kernelINS0_14default_configENS1_35radix_sort_onesweep_config_selectorIyyEEZZNS1_29radix_sort_onesweep_iterationIS3_Lb0EN6thrust23THRUST_200600_302600_NS6detail15normal_iteratorINS8_10device_ptrIyEEEESD_SD_SD_jNS0_19identity_decomposerENS1_16block_id_wrapperIjLb1EEEEE10hipError_tT1_PNSt15iterator_traitsISI_E10value_typeET2_T3_PNSJ_ISO_E10value_typeET4_T5_PST_SU_PNS1_23onesweep_lookback_stateEbbT6_jjT7_P12ihipStream_tbENKUlT_T0_SI_SN_E_clIPySD_S15_SD_EEDaS11_S12_SI_SN_EUlS11_E_NS1_11comp_targetILNS1_3genE0ELNS1_11target_archE4294967295ELNS1_3gpuE0ELNS1_3repE0EEENS1_47radix_sort_onesweep_sort_config_static_selectorELNS0_4arch9wavefront6targetE1EEEvSI_,"axG",@progbits,_ZN7rocprim17ROCPRIM_400000_NS6detail17trampoline_kernelINS0_14default_configENS1_35radix_sort_onesweep_config_selectorIyyEEZZNS1_29radix_sort_onesweep_iterationIS3_Lb0EN6thrust23THRUST_200600_302600_NS6detail15normal_iteratorINS8_10device_ptrIyEEEESD_SD_SD_jNS0_19identity_decomposerENS1_16block_id_wrapperIjLb1EEEEE10hipError_tT1_PNSt15iterator_traitsISI_E10value_typeET2_T3_PNSJ_ISO_E10value_typeET4_T5_PST_SU_PNS1_23onesweep_lookback_stateEbbT6_jjT7_P12ihipStream_tbENKUlT_T0_SI_SN_E_clIPySD_S15_SD_EEDaS11_S12_SI_SN_EUlS11_E_NS1_11comp_targetILNS1_3genE0ELNS1_11target_archE4294967295ELNS1_3gpuE0ELNS1_3repE0EEENS1_47radix_sort_onesweep_sort_config_static_selectorELNS0_4arch9wavefront6targetE1EEEvSI_,comdat
.Lfunc_end546:
	.size	_ZN7rocprim17ROCPRIM_400000_NS6detail17trampoline_kernelINS0_14default_configENS1_35radix_sort_onesweep_config_selectorIyyEEZZNS1_29radix_sort_onesweep_iterationIS3_Lb0EN6thrust23THRUST_200600_302600_NS6detail15normal_iteratorINS8_10device_ptrIyEEEESD_SD_SD_jNS0_19identity_decomposerENS1_16block_id_wrapperIjLb1EEEEE10hipError_tT1_PNSt15iterator_traitsISI_E10value_typeET2_T3_PNSJ_ISO_E10value_typeET4_T5_PST_SU_PNS1_23onesweep_lookback_stateEbbT6_jjT7_P12ihipStream_tbENKUlT_T0_SI_SN_E_clIPySD_S15_SD_EEDaS11_S12_SI_SN_EUlS11_E_NS1_11comp_targetILNS1_3genE0ELNS1_11target_archE4294967295ELNS1_3gpuE0ELNS1_3repE0EEENS1_47radix_sort_onesweep_sort_config_static_selectorELNS0_4arch9wavefront6targetE1EEEvSI_, .Lfunc_end546-_ZN7rocprim17ROCPRIM_400000_NS6detail17trampoline_kernelINS0_14default_configENS1_35radix_sort_onesweep_config_selectorIyyEEZZNS1_29radix_sort_onesweep_iterationIS3_Lb0EN6thrust23THRUST_200600_302600_NS6detail15normal_iteratorINS8_10device_ptrIyEEEESD_SD_SD_jNS0_19identity_decomposerENS1_16block_id_wrapperIjLb1EEEEE10hipError_tT1_PNSt15iterator_traitsISI_E10value_typeET2_T3_PNSJ_ISO_E10value_typeET4_T5_PST_SU_PNS1_23onesweep_lookback_stateEbbT6_jjT7_P12ihipStream_tbENKUlT_T0_SI_SN_E_clIPySD_S15_SD_EEDaS11_S12_SI_SN_EUlS11_E_NS1_11comp_targetILNS1_3genE0ELNS1_11target_archE4294967295ELNS1_3gpuE0ELNS1_3repE0EEENS1_47radix_sort_onesweep_sort_config_static_selectorELNS0_4arch9wavefront6targetE1EEEvSI_
                                        ; -- End function
	.set _ZN7rocprim17ROCPRIM_400000_NS6detail17trampoline_kernelINS0_14default_configENS1_35radix_sort_onesweep_config_selectorIyyEEZZNS1_29radix_sort_onesweep_iterationIS3_Lb0EN6thrust23THRUST_200600_302600_NS6detail15normal_iteratorINS8_10device_ptrIyEEEESD_SD_SD_jNS0_19identity_decomposerENS1_16block_id_wrapperIjLb1EEEEE10hipError_tT1_PNSt15iterator_traitsISI_E10value_typeET2_T3_PNSJ_ISO_E10value_typeET4_T5_PST_SU_PNS1_23onesweep_lookback_stateEbbT6_jjT7_P12ihipStream_tbENKUlT_T0_SI_SN_E_clIPySD_S15_SD_EEDaS11_S12_SI_SN_EUlS11_E_NS1_11comp_targetILNS1_3genE0ELNS1_11target_archE4294967295ELNS1_3gpuE0ELNS1_3repE0EEENS1_47radix_sort_onesweep_sort_config_static_selectorELNS0_4arch9wavefront6targetE1EEEvSI_.num_vgpr, 0
	.set _ZN7rocprim17ROCPRIM_400000_NS6detail17trampoline_kernelINS0_14default_configENS1_35radix_sort_onesweep_config_selectorIyyEEZZNS1_29radix_sort_onesweep_iterationIS3_Lb0EN6thrust23THRUST_200600_302600_NS6detail15normal_iteratorINS8_10device_ptrIyEEEESD_SD_SD_jNS0_19identity_decomposerENS1_16block_id_wrapperIjLb1EEEEE10hipError_tT1_PNSt15iterator_traitsISI_E10value_typeET2_T3_PNSJ_ISO_E10value_typeET4_T5_PST_SU_PNS1_23onesweep_lookback_stateEbbT6_jjT7_P12ihipStream_tbENKUlT_T0_SI_SN_E_clIPySD_S15_SD_EEDaS11_S12_SI_SN_EUlS11_E_NS1_11comp_targetILNS1_3genE0ELNS1_11target_archE4294967295ELNS1_3gpuE0ELNS1_3repE0EEENS1_47radix_sort_onesweep_sort_config_static_selectorELNS0_4arch9wavefront6targetE1EEEvSI_.num_agpr, 0
	.set _ZN7rocprim17ROCPRIM_400000_NS6detail17trampoline_kernelINS0_14default_configENS1_35radix_sort_onesweep_config_selectorIyyEEZZNS1_29radix_sort_onesweep_iterationIS3_Lb0EN6thrust23THRUST_200600_302600_NS6detail15normal_iteratorINS8_10device_ptrIyEEEESD_SD_SD_jNS0_19identity_decomposerENS1_16block_id_wrapperIjLb1EEEEE10hipError_tT1_PNSt15iterator_traitsISI_E10value_typeET2_T3_PNSJ_ISO_E10value_typeET4_T5_PST_SU_PNS1_23onesweep_lookback_stateEbbT6_jjT7_P12ihipStream_tbENKUlT_T0_SI_SN_E_clIPySD_S15_SD_EEDaS11_S12_SI_SN_EUlS11_E_NS1_11comp_targetILNS1_3genE0ELNS1_11target_archE4294967295ELNS1_3gpuE0ELNS1_3repE0EEENS1_47radix_sort_onesweep_sort_config_static_selectorELNS0_4arch9wavefront6targetE1EEEvSI_.numbered_sgpr, 0
	.set _ZN7rocprim17ROCPRIM_400000_NS6detail17trampoline_kernelINS0_14default_configENS1_35radix_sort_onesweep_config_selectorIyyEEZZNS1_29radix_sort_onesweep_iterationIS3_Lb0EN6thrust23THRUST_200600_302600_NS6detail15normal_iteratorINS8_10device_ptrIyEEEESD_SD_SD_jNS0_19identity_decomposerENS1_16block_id_wrapperIjLb1EEEEE10hipError_tT1_PNSt15iterator_traitsISI_E10value_typeET2_T3_PNSJ_ISO_E10value_typeET4_T5_PST_SU_PNS1_23onesweep_lookback_stateEbbT6_jjT7_P12ihipStream_tbENKUlT_T0_SI_SN_E_clIPySD_S15_SD_EEDaS11_S12_SI_SN_EUlS11_E_NS1_11comp_targetILNS1_3genE0ELNS1_11target_archE4294967295ELNS1_3gpuE0ELNS1_3repE0EEENS1_47radix_sort_onesweep_sort_config_static_selectorELNS0_4arch9wavefront6targetE1EEEvSI_.num_named_barrier, 0
	.set _ZN7rocprim17ROCPRIM_400000_NS6detail17trampoline_kernelINS0_14default_configENS1_35radix_sort_onesweep_config_selectorIyyEEZZNS1_29radix_sort_onesweep_iterationIS3_Lb0EN6thrust23THRUST_200600_302600_NS6detail15normal_iteratorINS8_10device_ptrIyEEEESD_SD_SD_jNS0_19identity_decomposerENS1_16block_id_wrapperIjLb1EEEEE10hipError_tT1_PNSt15iterator_traitsISI_E10value_typeET2_T3_PNSJ_ISO_E10value_typeET4_T5_PST_SU_PNS1_23onesweep_lookback_stateEbbT6_jjT7_P12ihipStream_tbENKUlT_T0_SI_SN_E_clIPySD_S15_SD_EEDaS11_S12_SI_SN_EUlS11_E_NS1_11comp_targetILNS1_3genE0ELNS1_11target_archE4294967295ELNS1_3gpuE0ELNS1_3repE0EEENS1_47radix_sort_onesweep_sort_config_static_selectorELNS0_4arch9wavefront6targetE1EEEvSI_.private_seg_size, 0
	.set _ZN7rocprim17ROCPRIM_400000_NS6detail17trampoline_kernelINS0_14default_configENS1_35radix_sort_onesweep_config_selectorIyyEEZZNS1_29radix_sort_onesweep_iterationIS3_Lb0EN6thrust23THRUST_200600_302600_NS6detail15normal_iteratorINS8_10device_ptrIyEEEESD_SD_SD_jNS0_19identity_decomposerENS1_16block_id_wrapperIjLb1EEEEE10hipError_tT1_PNSt15iterator_traitsISI_E10value_typeET2_T3_PNSJ_ISO_E10value_typeET4_T5_PST_SU_PNS1_23onesweep_lookback_stateEbbT6_jjT7_P12ihipStream_tbENKUlT_T0_SI_SN_E_clIPySD_S15_SD_EEDaS11_S12_SI_SN_EUlS11_E_NS1_11comp_targetILNS1_3genE0ELNS1_11target_archE4294967295ELNS1_3gpuE0ELNS1_3repE0EEENS1_47radix_sort_onesweep_sort_config_static_selectorELNS0_4arch9wavefront6targetE1EEEvSI_.uses_vcc, 0
	.set _ZN7rocprim17ROCPRIM_400000_NS6detail17trampoline_kernelINS0_14default_configENS1_35radix_sort_onesweep_config_selectorIyyEEZZNS1_29radix_sort_onesweep_iterationIS3_Lb0EN6thrust23THRUST_200600_302600_NS6detail15normal_iteratorINS8_10device_ptrIyEEEESD_SD_SD_jNS0_19identity_decomposerENS1_16block_id_wrapperIjLb1EEEEE10hipError_tT1_PNSt15iterator_traitsISI_E10value_typeET2_T3_PNSJ_ISO_E10value_typeET4_T5_PST_SU_PNS1_23onesweep_lookback_stateEbbT6_jjT7_P12ihipStream_tbENKUlT_T0_SI_SN_E_clIPySD_S15_SD_EEDaS11_S12_SI_SN_EUlS11_E_NS1_11comp_targetILNS1_3genE0ELNS1_11target_archE4294967295ELNS1_3gpuE0ELNS1_3repE0EEENS1_47radix_sort_onesweep_sort_config_static_selectorELNS0_4arch9wavefront6targetE1EEEvSI_.uses_flat_scratch, 0
	.set _ZN7rocprim17ROCPRIM_400000_NS6detail17trampoline_kernelINS0_14default_configENS1_35radix_sort_onesweep_config_selectorIyyEEZZNS1_29radix_sort_onesweep_iterationIS3_Lb0EN6thrust23THRUST_200600_302600_NS6detail15normal_iteratorINS8_10device_ptrIyEEEESD_SD_SD_jNS0_19identity_decomposerENS1_16block_id_wrapperIjLb1EEEEE10hipError_tT1_PNSt15iterator_traitsISI_E10value_typeET2_T3_PNSJ_ISO_E10value_typeET4_T5_PST_SU_PNS1_23onesweep_lookback_stateEbbT6_jjT7_P12ihipStream_tbENKUlT_T0_SI_SN_E_clIPySD_S15_SD_EEDaS11_S12_SI_SN_EUlS11_E_NS1_11comp_targetILNS1_3genE0ELNS1_11target_archE4294967295ELNS1_3gpuE0ELNS1_3repE0EEENS1_47radix_sort_onesweep_sort_config_static_selectorELNS0_4arch9wavefront6targetE1EEEvSI_.has_dyn_sized_stack, 0
	.set _ZN7rocprim17ROCPRIM_400000_NS6detail17trampoline_kernelINS0_14default_configENS1_35radix_sort_onesweep_config_selectorIyyEEZZNS1_29radix_sort_onesweep_iterationIS3_Lb0EN6thrust23THRUST_200600_302600_NS6detail15normal_iteratorINS8_10device_ptrIyEEEESD_SD_SD_jNS0_19identity_decomposerENS1_16block_id_wrapperIjLb1EEEEE10hipError_tT1_PNSt15iterator_traitsISI_E10value_typeET2_T3_PNSJ_ISO_E10value_typeET4_T5_PST_SU_PNS1_23onesweep_lookback_stateEbbT6_jjT7_P12ihipStream_tbENKUlT_T0_SI_SN_E_clIPySD_S15_SD_EEDaS11_S12_SI_SN_EUlS11_E_NS1_11comp_targetILNS1_3genE0ELNS1_11target_archE4294967295ELNS1_3gpuE0ELNS1_3repE0EEENS1_47radix_sort_onesweep_sort_config_static_selectorELNS0_4arch9wavefront6targetE1EEEvSI_.has_recursion, 0
	.set _ZN7rocprim17ROCPRIM_400000_NS6detail17trampoline_kernelINS0_14default_configENS1_35radix_sort_onesweep_config_selectorIyyEEZZNS1_29radix_sort_onesweep_iterationIS3_Lb0EN6thrust23THRUST_200600_302600_NS6detail15normal_iteratorINS8_10device_ptrIyEEEESD_SD_SD_jNS0_19identity_decomposerENS1_16block_id_wrapperIjLb1EEEEE10hipError_tT1_PNSt15iterator_traitsISI_E10value_typeET2_T3_PNSJ_ISO_E10value_typeET4_T5_PST_SU_PNS1_23onesweep_lookback_stateEbbT6_jjT7_P12ihipStream_tbENKUlT_T0_SI_SN_E_clIPySD_S15_SD_EEDaS11_S12_SI_SN_EUlS11_E_NS1_11comp_targetILNS1_3genE0ELNS1_11target_archE4294967295ELNS1_3gpuE0ELNS1_3repE0EEENS1_47radix_sort_onesweep_sort_config_static_selectorELNS0_4arch9wavefront6targetE1EEEvSI_.has_indirect_call, 0
	.section	.AMDGPU.csdata,"",@progbits
; Kernel info:
; codeLenInByte = 0
; TotalNumSgprs: 6
; NumVgprs: 0
; NumAgprs: 0
; TotalNumVgprs: 0
; ScratchSize: 0
; MemoryBound: 0
; FloatMode: 240
; IeeeMode: 1
; LDSByteSize: 0 bytes/workgroup (compile time only)
; SGPRBlocks: 0
; VGPRBlocks: 0
; NumSGPRsForWavesPerEU: 6
; NumVGPRsForWavesPerEU: 1
; AccumOffset: 4
; Occupancy: 8
; WaveLimiterHint : 0
; COMPUTE_PGM_RSRC2:SCRATCH_EN: 0
; COMPUTE_PGM_RSRC2:USER_SGPR: 2
; COMPUTE_PGM_RSRC2:TRAP_HANDLER: 0
; COMPUTE_PGM_RSRC2:TGID_X_EN: 1
; COMPUTE_PGM_RSRC2:TGID_Y_EN: 0
; COMPUTE_PGM_RSRC2:TGID_Z_EN: 0
; COMPUTE_PGM_RSRC2:TIDIG_COMP_CNT: 0
; COMPUTE_PGM_RSRC3_GFX90A:ACCUM_OFFSET: 0
; COMPUTE_PGM_RSRC3_GFX90A:TG_SPLIT: 0
	.section	.text._ZN7rocprim17ROCPRIM_400000_NS6detail17trampoline_kernelINS0_14default_configENS1_35radix_sort_onesweep_config_selectorIyyEEZZNS1_29radix_sort_onesweep_iterationIS3_Lb0EN6thrust23THRUST_200600_302600_NS6detail15normal_iteratorINS8_10device_ptrIyEEEESD_SD_SD_jNS0_19identity_decomposerENS1_16block_id_wrapperIjLb1EEEEE10hipError_tT1_PNSt15iterator_traitsISI_E10value_typeET2_T3_PNSJ_ISO_E10value_typeET4_T5_PST_SU_PNS1_23onesweep_lookback_stateEbbT6_jjT7_P12ihipStream_tbENKUlT_T0_SI_SN_E_clIPySD_S15_SD_EEDaS11_S12_SI_SN_EUlS11_E_NS1_11comp_targetILNS1_3genE6ELNS1_11target_archE950ELNS1_3gpuE13ELNS1_3repE0EEENS1_47radix_sort_onesweep_sort_config_static_selectorELNS0_4arch9wavefront6targetE1EEEvSI_,"axG",@progbits,_ZN7rocprim17ROCPRIM_400000_NS6detail17trampoline_kernelINS0_14default_configENS1_35radix_sort_onesweep_config_selectorIyyEEZZNS1_29radix_sort_onesweep_iterationIS3_Lb0EN6thrust23THRUST_200600_302600_NS6detail15normal_iteratorINS8_10device_ptrIyEEEESD_SD_SD_jNS0_19identity_decomposerENS1_16block_id_wrapperIjLb1EEEEE10hipError_tT1_PNSt15iterator_traitsISI_E10value_typeET2_T3_PNSJ_ISO_E10value_typeET4_T5_PST_SU_PNS1_23onesweep_lookback_stateEbbT6_jjT7_P12ihipStream_tbENKUlT_T0_SI_SN_E_clIPySD_S15_SD_EEDaS11_S12_SI_SN_EUlS11_E_NS1_11comp_targetILNS1_3genE6ELNS1_11target_archE950ELNS1_3gpuE13ELNS1_3repE0EEENS1_47radix_sort_onesweep_sort_config_static_selectorELNS0_4arch9wavefront6targetE1EEEvSI_,comdat
	.protected	_ZN7rocprim17ROCPRIM_400000_NS6detail17trampoline_kernelINS0_14default_configENS1_35radix_sort_onesweep_config_selectorIyyEEZZNS1_29radix_sort_onesweep_iterationIS3_Lb0EN6thrust23THRUST_200600_302600_NS6detail15normal_iteratorINS8_10device_ptrIyEEEESD_SD_SD_jNS0_19identity_decomposerENS1_16block_id_wrapperIjLb1EEEEE10hipError_tT1_PNSt15iterator_traitsISI_E10value_typeET2_T3_PNSJ_ISO_E10value_typeET4_T5_PST_SU_PNS1_23onesweep_lookback_stateEbbT6_jjT7_P12ihipStream_tbENKUlT_T0_SI_SN_E_clIPySD_S15_SD_EEDaS11_S12_SI_SN_EUlS11_E_NS1_11comp_targetILNS1_3genE6ELNS1_11target_archE950ELNS1_3gpuE13ELNS1_3repE0EEENS1_47radix_sort_onesweep_sort_config_static_selectorELNS0_4arch9wavefront6targetE1EEEvSI_ ; -- Begin function _ZN7rocprim17ROCPRIM_400000_NS6detail17trampoline_kernelINS0_14default_configENS1_35radix_sort_onesweep_config_selectorIyyEEZZNS1_29radix_sort_onesweep_iterationIS3_Lb0EN6thrust23THRUST_200600_302600_NS6detail15normal_iteratorINS8_10device_ptrIyEEEESD_SD_SD_jNS0_19identity_decomposerENS1_16block_id_wrapperIjLb1EEEEE10hipError_tT1_PNSt15iterator_traitsISI_E10value_typeET2_T3_PNSJ_ISO_E10value_typeET4_T5_PST_SU_PNS1_23onesweep_lookback_stateEbbT6_jjT7_P12ihipStream_tbENKUlT_T0_SI_SN_E_clIPySD_S15_SD_EEDaS11_S12_SI_SN_EUlS11_E_NS1_11comp_targetILNS1_3genE6ELNS1_11target_archE950ELNS1_3gpuE13ELNS1_3repE0EEENS1_47radix_sort_onesweep_sort_config_static_selectorELNS0_4arch9wavefront6targetE1EEEvSI_
	.globl	_ZN7rocprim17ROCPRIM_400000_NS6detail17trampoline_kernelINS0_14default_configENS1_35radix_sort_onesweep_config_selectorIyyEEZZNS1_29radix_sort_onesweep_iterationIS3_Lb0EN6thrust23THRUST_200600_302600_NS6detail15normal_iteratorINS8_10device_ptrIyEEEESD_SD_SD_jNS0_19identity_decomposerENS1_16block_id_wrapperIjLb1EEEEE10hipError_tT1_PNSt15iterator_traitsISI_E10value_typeET2_T3_PNSJ_ISO_E10value_typeET4_T5_PST_SU_PNS1_23onesweep_lookback_stateEbbT6_jjT7_P12ihipStream_tbENKUlT_T0_SI_SN_E_clIPySD_S15_SD_EEDaS11_S12_SI_SN_EUlS11_E_NS1_11comp_targetILNS1_3genE6ELNS1_11target_archE950ELNS1_3gpuE13ELNS1_3repE0EEENS1_47radix_sort_onesweep_sort_config_static_selectorELNS0_4arch9wavefront6targetE1EEEvSI_
	.p2align	8
	.type	_ZN7rocprim17ROCPRIM_400000_NS6detail17trampoline_kernelINS0_14default_configENS1_35radix_sort_onesweep_config_selectorIyyEEZZNS1_29radix_sort_onesweep_iterationIS3_Lb0EN6thrust23THRUST_200600_302600_NS6detail15normal_iteratorINS8_10device_ptrIyEEEESD_SD_SD_jNS0_19identity_decomposerENS1_16block_id_wrapperIjLb1EEEEE10hipError_tT1_PNSt15iterator_traitsISI_E10value_typeET2_T3_PNSJ_ISO_E10value_typeET4_T5_PST_SU_PNS1_23onesweep_lookback_stateEbbT6_jjT7_P12ihipStream_tbENKUlT_T0_SI_SN_E_clIPySD_S15_SD_EEDaS11_S12_SI_SN_EUlS11_E_NS1_11comp_targetILNS1_3genE6ELNS1_11target_archE950ELNS1_3gpuE13ELNS1_3repE0EEENS1_47radix_sort_onesweep_sort_config_static_selectorELNS0_4arch9wavefront6targetE1EEEvSI_,@function
_ZN7rocprim17ROCPRIM_400000_NS6detail17trampoline_kernelINS0_14default_configENS1_35radix_sort_onesweep_config_selectorIyyEEZZNS1_29radix_sort_onesweep_iterationIS3_Lb0EN6thrust23THRUST_200600_302600_NS6detail15normal_iteratorINS8_10device_ptrIyEEEESD_SD_SD_jNS0_19identity_decomposerENS1_16block_id_wrapperIjLb1EEEEE10hipError_tT1_PNSt15iterator_traitsISI_E10value_typeET2_T3_PNSJ_ISO_E10value_typeET4_T5_PST_SU_PNS1_23onesweep_lookback_stateEbbT6_jjT7_P12ihipStream_tbENKUlT_T0_SI_SN_E_clIPySD_S15_SD_EEDaS11_S12_SI_SN_EUlS11_E_NS1_11comp_targetILNS1_3genE6ELNS1_11target_archE950ELNS1_3gpuE13ELNS1_3repE0EEENS1_47radix_sort_onesweep_sort_config_static_selectorELNS0_4arch9wavefront6targetE1EEEvSI_: ; @_ZN7rocprim17ROCPRIM_400000_NS6detail17trampoline_kernelINS0_14default_configENS1_35radix_sort_onesweep_config_selectorIyyEEZZNS1_29radix_sort_onesweep_iterationIS3_Lb0EN6thrust23THRUST_200600_302600_NS6detail15normal_iteratorINS8_10device_ptrIyEEEESD_SD_SD_jNS0_19identity_decomposerENS1_16block_id_wrapperIjLb1EEEEE10hipError_tT1_PNSt15iterator_traitsISI_E10value_typeET2_T3_PNSJ_ISO_E10value_typeET4_T5_PST_SU_PNS1_23onesweep_lookback_stateEbbT6_jjT7_P12ihipStream_tbENKUlT_T0_SI_SN_E_clIPySD_S15_SD_EEDaS11_S12_SI_SN_EUlS11_E_NS1_11comp_targetILNS1_3genE6ELNS1_11target_archE950ELNS1_3gpuE13ELNS1_3repE0EEENS1_47radix_sort_onesweep_sort_config_static_selectorELNS0_4arch9wavefront6targetE1EEEvSI_
; %bb.0:
	s_load_dwordx4 s[48:51], s[2:3], 0x28
	s_load_dwordx2 s[56:57], s[2:3], 0x38
	s_load_dwordx4 s[52:55], s[2:3], 0x44
	v_and_b32_e32 v2, 0x3ff, v0
	v_cmp_eq_u32_e64 s[18:19], 0, v2
	s_and_saveexec_b64 s[6:7], s[18:19]
	s_cbranch_execz .LBB547_4
; %bb.1:
	s_mov_b64 s[10:11], exec
	v_mbcnt_lo_u32_b32 v1, s10, 0
	v_mbcnt_hi_u32_b32 v1, s11, v1
	v_cmp_eq_u32_e32 vcc, 0, v1
                                        ; implicit-def: $vgpr3
	s_and_saveexec_b64 s[8:9], vcc
	s_cbranch_execz .LBB547_3
; %bb.2:
	s_load_dwordx2 s[12:13], s[2:3], 0x50
	s_bcnt1_i32_b64 s5, s[10:11]
	v_mov_b32_e32 v3, 0
	v_mov_b32_e32 v4, s5
	s_waitcnt lgkmcnt(0)
	global_atomic_add v3, v3, v4, s[12:13] sc0
.LBB547_3:
	s_or_b64 exec, exec, s[8:9]
	s_waitcnt vmcnt(0)
	v_readfirstlane_b32 s5, v3
	v_mov_b32_e32 v3, 0
	s_nop 0
	v_add_u32_e32 v1, s5, v1
	ds_write_b32 v3, v1 offset:20544
.LBB547_4:
	s_or_b64 exec, exec, s[6:7]
	v_mov_b32_e32 v1, 0
	s_load_dwordx8 s[40:47], s[2:3], 0x0
	s_load_dword s5, s[2:3], 0x20
	s_waitcnt lgkmcnt(0)
	s_barrier
	ds_read_b32 v4, v1 offset:20544
	v_bfe_u32 v3, v0, 10, 10
	v_bfe_u32 v28, v0, 20, 10
	s_mov_b64 s[6:7], -1
	v_mbcnt_lo_u32_b32 v30, -1, 0
	s_waitcnt lgkmcnt(0)
	v_cmp_le_u32_e32 vcc, s54, v4
	v_readfirstlane_b32 s33, v4
	v_lshlrev_b32_e32 v29, 3, v2
	s_barrier
	s_cbranch_vccz .LBB547_120
; %bb.5:
	s_lshl_b32 s6, s54, 13
	s_sub_i32 s5, s5, s6
	s_lshl_b32 s6, s33, 13
	s_mov_b32 s7, 0
	s_lshl_b64 s[54:55], s[6:7], 3
	v_mbcnt_hi_u32_b32 v26, -1, v30
	s_add_u32 s6, s40, s54
	v_and_b32_e32 v8, 63, v26
	s_addc_u32 s7, s41, s55
	v_and_b32_e32 v9, 0x1e00, v29
	v_lshlrev_b32_e32 v0, 3, v8
	v_lshl_add_u64 v[6:7], s[6:7], 0, v[0:1]
	v_lshlrev_b32_e32 v4, 3, v9
	v_mov_b32_e32 v5, v1
	v_or_b32_e32 v1, v8, v9
	v_lshl_add_u64 v[22:23], v[6:7], 0, v[4:5]
	v_cmp_gt_u32_e32 vcc, s5, v1
	v_mov_b64_e32 v[6:7], -1
	v_mov_b64_e32 v[8:9], -1
	s_and_saveexec_b64 s[6:7], vcc
	s_cbranch_execz .LBB547_7
; %bb.6:
	global_load_dwordx2 v[8:9], v[22:23], off
.LBB547_7:
	s_or_b64 exec, exec, s[6:7]
	v_or_b32_e32 v5, 64, v1
	v_cmp_gt_u32_e64 s[28:29], s5, v5
	s_and_saveexec_b64 s[6:7], s[28:29]
	s_cbranch_execz .LBB547_9
; %bb.8:
	global_load_dwordx2 v[6:7], v[22:23], off offset:512
.LBB547_9:
	s_or_b64 exec, exec, s[6:7]
	v_or_b32_e32 v5, 0x80, v1
	v_cmp_gt_u32_e64 s[6:7], s5, v5
	v_mov_b64_e32 v[10:11], -1
	v_mov_b64_e32 v[12:13], -1
	s_and_saveexec_b64 s[8:9], s[6:7]
	s_cbranch_execz .LBB547_11
; %bb.10:
	global_load_dwordx2 v[12:13], v[22:23], off offset:1024
.LBB547_11:
	s_or_b64 exec, exec, s[8:9]
	v_or_b32_e32 v5, 0xc0, v1
	v_cmp_gt_u32_e64 s[8:9], s5, v5
	s_and_saveexec_b64 s[10:11], s[8:9]
	s_cbranch_execz .LBB547_13
; %bb.12:
	global_load_dwordx2 v[10:11], v[22:23], off offset:1536
.LBB547_13:
	s_or_b64 exec, exec, s[10:11]
	v_or_b32_e32 v5, 0x100, v1
	v_cmp_gt_u32_e64 s[10:11], s5, v5
	v_mov_b64_e32 v[14:15], -1
	v_mov_b64_e32 v[16:17], -1
	s_and_saveexec_b64 s[12:13], s[10:11]
	s_cbranch_execz .LBB547_15
; %bb.14:
	global_load_dwordx2 v[16:17], v[22:23], off offset:2048
.LBB547_15:
	;; [unrolled: 18-line block ×3, first 2 shown]
	s_or_b64 exec, exec, s[16:17]
	v_or_b32_e32 v1, 0x1c0, v1
	v_cmp_gt_u32_e64 s[16:17], s5, v1
	s_and_saveexec_b64 s[20:21], s[16:17]
	s_cbranch_execz .LBB547_21
; %bb.20:
	global_load_dwordx2 v[18:19], v[22:23], off offset:3584
.LBB547_21:
	s_or_b64 exec, exec, s[20:21]
	s_load_dword s20, s[2:3], 0x64
	s_load_dword s58, s[2:3], 0x58
	s_add_u32 s21, s2, 0x58
	s_addc_u32 s22, s3, 0
	v_mov_b32_e32 v23, 0
	s_waitcnt lgkmcnt(0)
	s_lshr_b32 s23, s20, 16
	s_cmp_lt_u32 s4, s58
	s_cselect_b32 s20, 12, 18
	s_add_u32 s20, s21, s20
	s_addc_u32 s21, s22, 0
	global_load_ushort v1, v23, s[20:21]
	s_waitcnt vmcnt(1)
	v_lshrrev_b64 v[24:25], s52, v[8:9]
	s_lshl_b32 s20, -1, s53
	v_bitop3_b32 v24, v24, s20, v24 bitop3:0x30
	s_movk_i32 s60, 0x44
	v_and_b32_e32 v22, 1, v24
	v_lshlrev_b32_e32 v33, 30, v24
	v_mov_b32_e32 v32, v23
	s_not_b32 s59, s20
	v_mul_lo_u32 v46, v24, s60
	v_lshlrev_b32_e32 v35, 29, v24
	v_lshlrev_b32_e32 v37, 28, v24
	;; [unrolled: 1-line block ×6, first 2 shown]
	v_lshl_add_u64 v[24:25], v[22:23], 0, -1
	v_cmp_ne_u32_e64 s[20:21], 0, v22
	v_not_b32_e32 v22, v33
	v_mov_b32_e32 v34, v23
	v_mov_b32_e32 v36, v23
	v_mad_u32_u24 v27, v28, s23, v3
	v_cmp_gt_i64_e64 s[22:23], 0, v[32:33]
	v_not_b32_e32 v31, v35
	v_xor_b32_e32 v25, s21, v25
	v_ashrrev_i32_e32 v22, 31, v22
	v_cmp_gt_i64_e64 s[24:25], 0, v[34:35]
	v_cmp_gt_i64_e64 s[26:27], 0, v[36:37]
	v_not_b32_e32 v32, v37
	v_xor_b32_e32 v24, s20, v24
	v_ashrrev_i32_e32 v31, 31, v31
	v_and_b32_e32 v25, exec_hi, v25
	v_xor_b32_e32 v36, s23, v22
	v_mov_b32_e32 v38, v23
	v_not_b32_e32 v33, v39
	v_ashrrev_i32_e32 v32, 31, v32
	v_and_b32_e32 v24, exec_lo, v24
	v_xor_b32_e32 v22, s22, v22
	v_xor_b32_e32 v37, s25, v31
	v_and_b32_e32 v25, v25, v36
	v_mov_b32_e32 v40, v23
	v_cmp_gt_i64_e64 s[30:31], 0, v[38:39]
	v_not_b32_e32 v34, v41
	v_ashrrev_i32_e32 v33, 31, v33
	v_xor_b32_e32 v38, s27, v32
	v_and_b32_e32 v22, v24, v22
	v_and_b32_e32 v24, v25, v37
	v_mov_b32_e32 v42, v23
	v_cmp_gt_i64_e64 s[34:35], 0, v[40:41]
	v_not_b32_e32 v35, v43
	v_ashrrev_i32_e32 v34, 31, v34
	v_xor_b32_e32 v39, s31, v33
	v_and_b32_e32 v24, v24, v38
	v_cmp_gt_i64_e64 s[36:37], 0, v[42:43]
	v_ashrrev_i32_e32 v35, 31, v35
	v_xor_b32_e32 v40, s35, v34
	v_and_b32_e32 v24, v24, v39
	v_xor_b32_e32 v31, s24, v31
	v_xor_b32_e32 v41, s37, v35
	v_and_b32_e32 v24, v24, v40
	v_xor_b32_e32 v32, s26, v32
	v_and_b32_e32 v22, v22, v31
	v_and_b32_e32 v31, v24, v41
	v_xor_b32_e32 v33, s30, v33
	v_and_b32_e32 v22, v22, v32
	v_mov_b32_e32 v44, v23
	v_xor_b32_e32 v34, s34, v34
	v_and_b32_e32 v22, v22, v33
	v_cmp_gt_i64_e64 s[38:39], 0, v[44:45]
	v_xor_b32_e32 v35, s36, v35
	v_and_b32_e32 v22, v22, v34
	v_and_b32_e32 v22, v22, v35
	v_mul_u32_u24_e32 v5, 20, v2
	ds_write2_b32 v5, v23, v23 offset0:16 offset1:17
	ds_write2_b32 v5, v23, v23 offset0:18 offset1:19
	ds_write_b32 v5, v23 offset:80
	s_waitcnt lgkmcnt(0)
	s_barrier
	s_waitcnt vmcnt(0)
	; wave barrier
	v_mad_u64_u32 v[24:25], s[20:21], v27, v1, v[2:3]
	v_lshrrev_b32_e32 v1, 4, v24
	v_and_b32_e32 v40, 0xffffffc, v1
	v_not_b32_e32 v1, v45
	v_ashrrev_i32_e32 v1, 31, v1
	v_xor_b32_e32 v24, s39, v1
	v_xor_b32_e32 v1, s38, v1
	v_and_b32_e32 v25, v31, v24
	v_and_b32_e32 v24, v22, v1
	v_mbcnt_lo_u32_b32 v1, v24, 0
	v_mbcnt_hi_u32_b32 v31, v25, v1
	v_cmp_eq_u32_e64 s[20:21], 0, v31
	v_cmp_ne_u64_e64 s[22:23], 0, v[24:25]
	s_and_b64 s[22:23], s[22:23], s[20:21]
	v_add_u32_e32 v27, v40, v46
	s_and_saveexec_b64 s[20:21], s[22:23]
; %bb.22:
	v_bcnt_u32_b32 v1, v24, 0
	v_bcnt_u32_b32 v1, v25, v1
	ds_write_b32 v27, v1 offset:64
; %bb.23:
	s_or_b64 exec, exec, s[20:21]
	v_lshrrev_b64 v[24:25], s52, v[6:7]
	v_and_b32_e32 v32, s59, v24
	v_and_b32_e32 v22, 1, v32
	v_lshl_add_u64 v[24:25], v[22:23], 0, -1
	v_cmp_ne_u32_e64 s[20:21], 0, v22
	v_mul_lo_u32 v1, v32, s60
	v_add_u32_e32 v34, v40, v1
	v_xor_b32_e32 v24, s20, v24
	v_xor_b32_e32 v22, s21, v25
	v_and_b32_e32 v33, exec_lo, v24
	v_lshlrev_b32_e32 v25, 30, v32
	v_mov_b32_e32 v24, v23
	v_cmp_gt_i64_e64 s[20:21], 0, v[24:25]
	v_not_b32_e32 v24, v25
	v_ashrrev_i32_e32 v24, 31, v24
	v_and_b32_e32 v22, exec_hi, v22
	v_xor_b32_e32 v25, s21, v24
	v_xor_b32_e32 v24, s20, v24
	v_and_b32_e32 v22, v22, v25
	v_and_b32_e32 v33, v33, v24
	v_lshlrev_b32_e32 v25, 29, v32
	v_mov_b32_e32 v24, v23
	v_cmp_gt_i64_e64 s[20:21], 0, v[24:25]
	v_not_b32_e32 v24, v25
	v_ashrrev_i32_e32 v24, 31, v24
	v_xor_b32_e32 v25, s21, v24
	v_xor_b32_e32 v24, s20, v24
	v_and_b32_e32 v22, v22, v25
	v_and_b32_e32 v33, v33, v24
	v_lshlrev_b32_e32 v25, 28, v32
	v_mov_b32_e32 v24, v23
	v_cmp_gt_i64_e64 s[20:21], 0, v[24:25]
	v_not_b32_e32 v24, v25
	v_ashrrev_i32_e32 v24, 31, v24
	;; [unrolled: 9-line block ×5, first 2 shown]
	v_xor_b32_e32 v25, s21, v24
	v_xor_b32_e32 v24, s20, v24
	v_and_b32_e32 v22, v22, v25
	v_lshlrev_b32_e32 v25, 24, v32
	v_and_b32_e32 v33, v33, v24
	v_mov_b32_e32 v24, v23
	v_not_b32_e32 v23, v25
	v_cmp_gt_i64_e64 s[20:21], 0, v[24:25]
	v_ashrrev_i32_e32 v23, 31, v23
	s_nop 0
	v_xor_b32_e32 v24, s21, v23
	v_xor_b32_e32 v25, s20, v23
	; wave barrier
	ds_read_b32 v1, v34 offset:64
	v_and_b32_e32 v23, v22, v24
	v_and_b32_e32 v22, v33, v25
	v_mbcnt_lo_u32_b32 v24, v22, 0
	v_mbcnt_hi_u32_b32 v32, v23, v24
	v_cmp_eq_u32_e64 s[20:21], 0, v32
	v_cmp_ne_u64_e64 s[22:23], 0, v[22:23]
	s_and_b64 s[22:23], s[22:23], s[20:21]
	; wave barrier
	s_and_saveexec_b64 s[20:21], s[22:23]
	s_cbranch_execz .LBB547_25
; %bb.24:
	v_bcnt_u32_b32 v22, v22, 0
	v_bcnt_u32_b32 v22, v23, v22
	s_waitcnt lgkmcnt(0)
	v_add_u32_e32 v22, v1, v22
	ds_write_b32 v34, v22 offset:64
.LBB547_25:
	s_or_b64 exec, exec, s[20:21]
	v_lshrrev_b64 v[22:23], s52, v[12:13]
	v_and_b32_e32 v35, s59, v22
	s_movk_i32 s24, 0x44
	v_mul_lo_u32 v22, v35, s24
	v_add_u32_e32 v37, v40, v22
	v_and_b32_e32 v22, 1, v35
	v_mov_b32_e32 v23, 0
	v_lshl_add_u64 v[24:25], v[22:23], 0, -1
	v_cmp_ne_u32_e64 s[20:21], 0, v22
	; wave barrier
	s_nop 1
	v_xor_b32_e32 v24, s20, v24
	v_xor_b32_e32 v22, s21, v25
	v_and_b32_e32 v36, exec_lo, v24
	v_lshlrev_b32_e32 v25, 30, v35
	v_mov_b32_e32 v24, v23
	v_cmp_gt_i64_e64 s[20:21], 0, v[24:25]
	v_not_b32_e32 v24, v25
	v_ashrrev_i32_e32 v24, 31, v24
	v_and_b32_e32 v22, exec_hi, v22
	v_xor_b32_e32 v25, s21, v24
	v_xor_b32_e32 v24, s20, v24
	v_and_b32_e32 v22, v22, v25
	v_and_b32_e32 v36, v36, v24
	v_lshlrev_b32_e32 v25, 29, v35
	v_mov_b32_e32 v24, v23
	v_cmp_gt_i64_e64 s[20:21], 0, v[24:25]
	v_not_b32_e32 v24, v25
	v_ashrrev_i32_e32 v24, 31, v24
	v_xor_b32_e32 v25, s21, v24
	v_xor_b32_e32 v24, s20, v24
	v_and_b32_e32 v22, v22, v25
	v_and_b32_e32 v36, v36, v24
	v_lshlrev_b32_e32 v25, 28, v35
	v_mov_b32_e32 v24, v23
	v_cmp_gt_i64_e64 s[20:21], 0, v[24:25]
	v_not_b32_e32 v24, v25
	v_ashrrev_i32_e32 v24, 31, v24
	;; [unrolled: 9-line block ×6, first 2 shown]
	v_xor_b32_e32 v25, s21, v24
	v_xor_b32_e32 v24, s20, v24
	ds_read_b32 v33, v37 offset:64
	v_and_b32_e32 v24, v36, v24
	v_and_b32_e32 v25, v22, v25
	v_mbcnt_lo_u32_b32 v22, v24, 0
	v_mbcnt_hi_u32_b32 v35, v25, v22
	v_cmp_eq_u32_e64 s[20:21], 0, v35
	v_cmp_ne_u64_e64 s[22:23], 0, v[24:25]
	s_and_b64 s[22:23], s[22:23], s[20:21]
	; wave barrier
	s_and_saveexec_b64 s[20:21], s[22:23]
	s_cbranch_execz .LBB547_27
; %bb.26:
	v_bcnt_u32_b32 v22, v24, 0
	v_bcnt_u32_b32 v22, v25, v22
	s_waitcnt lgkmcnt(0)
	v_add_u32_e32 v22, v33, v22
	ds_write_b32 v37, v22 offset:64
.LBB547_27:
	s_or_b64 exec, exec, s[20:21]
	v_lshrrev_b64 v[24:25], s52, v[10:11]
	v_and_b32_e32 v38, s59, v24
	v_mul_lo_u32 v22, v38, s24
	v_add_u32_e32 v41, v40, v22
	v_and_b32_e32 v22, 1, v38
	v_lshl_add_u64 v[24:25], v[22:23], 0, -1
	v_cmp_ne_u32_e64 s[20:21], 0, v22
	; wave barrier
	s_nop 1
	v_xor_b32_e32 v24, s20, v24
	v_xor_b32_e32 v22, s21, v25
	v_and_b32_e32 v39, exec_lo, v24
	v_lshlrev_b32_e32 v25, 30, v38
	v_mov_b32_e32 v24, v23
	v_cmp_gt_i64_e64 s[20:21], 0, v[24:25]
	v_not_b32_e32 v24, v25
	v_ashrrev_i32_e32 v24, 31, v24
	v_and_b32_e32 v22, exec_hi, v22
	v_xor_b32_e32 v25, s21, v24
	v_xor_b32_e32 v24, s20, v24
	v_and_b32_e32 v22, v22, v25
	v_and_b32_e32 v39, v39, v24
	v_lshlrev_b32_e32 v25, 29, v38
	v_mov_b32_e32 v24, v23
	v_cmp_gt_i64_e64 s[20:21], 0, v[24:25]
	v_not_b32_e32 v24, v25
	v_ashrrev_i32_e32 v24, 31, v24
	v_xor_b32_e32 v25, s21, v24
	v_xor_b32_e32 v24, s20, v24
	v_and_b32_e32 v22, v22, v25
	v_and_b32_e32 v39, v39, v24
	v_lshlrev_b32_e32 v25, 28, v38
	v_mov_b32_e32 v24, v23
	v_cmp_gt_i64_e64 s[20:21], 0, v[24:25]
	v_not_b32_e32 v24, v25
	v_ashrrev_i32_e32 v24, 31, v24
	;; [unrolled: 9-line block ×5, first 2 shown]
	v_xor_b32_e32 v25, s21, v24
	v_xor_b32_e32 v24, s20, v24
	v_and_b32_e32 v22, v22, v25
	v_lshlrev_b32_e32 v25, 24, v38
	v_and_b32_e32 v39, v39, v24
	v_mov_b32_e32 v24, v23
	v_not_b32_e32 v23, v25
	v_cmp_gt_i64_e64 s[20:21], 0, v[24:25]
	v_ashrrev_i32_e32 v23, 31, v23
	ds_read_b32 v36, v41 offset:64
	v_xor_b32_e32 v24, s21, v23
	v_xor_b32_e32 v25, s20, v23
	v_and_b32_e32 v23, v22, v24
	v_and_b32_e32 v22, v39, v25
	v_mbcnt_lo_u32_b32 v24, v22, 0
	v_mbcnt_hi_u32_b32 v38, v23, v24
	v_cmp_eq_u32_e64 s[20:21], 0, v38
	v_cmp_ne_u64_e64 s[22:23], 0, v[22:23]
	s_and_b64 s[22:23], s[22:23], s[20:21]
	; wave barrier
	s_and_saveexec_b64 s[20:21], s[22:23]
	s_cbranch_execz .LBB547_29
; %bb.28:
	v_bcnt_u32_b32 v22, v22, 0
	v_bcnt_u32_b32 v22, v23, v22
	s_waitcnt lgkmcnt(0)
	v_add_u32_e32 v22, v36, v22
	ds_write_b32 v41, v22 offset:64
.LBB547_29:
	s_or_b64 exec, exec, s[20:21]
	v_lshrrev_b64 v[22:23], s52, v[16:17]
	v_and_b32_e32 v42, s59, v22
	v_mul_lo_u32 v22, v42, s24
	v_add_u32_e32 v44, v40, v22
	v_and_b32_e32 v22, 1, v42
	v_mov_b32_e32 v23, 0
	v_lshl_add_u64 v[24:25], v[22:23], 0, -1
	v_cmp_ne_u32_e64 s[20:21], 0, v22
	; wave barrier
	s_nop 1
	v_xor_b32_e32 v24, s20, v24
	v_xor_b32_e32 v22, s21, v25
	v_and_b32_e32 v43, exec_lo, v24
	v_lshlrev_b32_e32 v25, 30, v42
	v_mov_b32_e32 v24, v23
	v_cmp_gt_i64_e64 s[20:21], 0, v[24:25]
	v_not_b32_e32 v24, v25
	v_ashrrev_i32_e32 v24, 31, v24
	v_and_b32_e32 v22, exec_hi, v22
	v_xor_b32_e32 v25, s21, v24
	v_xor_b32_e32 v24, s20, v24
	v_and_b32_e32 v22, v22, v25
	v_and_b32_e32 v43, v43, v24
	v_lshlrev_b32_e32 v25, 29, v42
	v_mov_b32_e32 v24, v23
	v_cmp_gt_i64_e64 s[20:21], 0, v[24:25]
	v_not_b32_e32 v24, v25
	v_ashrrev_i32_e32 v24, 31, v24
	v_xor_b32_e32 v25, s21, v24
	v_xor_b32_e32 v24, s20, v24
	v_and_b32_e32 v22, v22, v25
	v_and_b32_e32 v43, v43, v24
	v_lshlrev_b32_e32 v25, 28, v42
	v_mov_b32_e32 v24, v23
	v_cmp_gt_i64_e64 s[20:21], 0, v[24:25]
	v_not_b32_e32 v24, v25
	v_ashrrev_i32_e32 v24, 31, v24
	;; [unrolled: 9-line block ×6, first 2 shown]
	v_xor_b32_e32 v25, s21, v24
	v_xor_b32_e32 v24, s20, v24
	ds_read_b32 v39, v44 offset:64
	v_and_b32_e32 v24, v43, v24
	v_and_b32_e32 v25, v22, v25
	v_mbcnt_lo_u32_b32 v22, v24, 0
	v_mbcnt_hi_u32_b32 v42, v25, v22
	v_cmp_eq_u32_e64 s[20:21], 0, v42
	v_cmp_ne_u64_e64 s[22:23], 0, v[24:25]
	s_and_b64 s[22:23], s[22:23], s[20:21]
	; wave barrier
	s_and_saveexec_b64 s[20:21], s[22:23]
	s_cbranch_execz .LBB547_31
; %bb.30:
	v_bcnt_u32_b32 v22, v24, 0
	v_bcnt_u32_b32 v22, v25, v22
	s_waitcnt lgkmcnt(0)
	v_add_u32_e32 v22, v39, v22
	ds_write_b32 v44, v22 offset:64
.LBB547_31:
	s_or_b64 exec, exec, s[20:21]
	v_lshrrev_b64 v[24:25], s52, v[14:15]
	v_and_b32_e32 v45, s59, v24
	v_mul_lo_u32 v22, v45, s24
	v_add_u32_e32 v47, v40, v22
	v_and_b32_e32 v22, 1, v45
	v_lshl_add_u64 v[24:25], v[22:23], 0, -1
	v_cmp_ne_u32_e64 s[20:21], 0, v22
	; wave barrier
	s_nop 1
	v_xor_b32_e32 v24, s20, v24
	v_xor_b32_e32 v22, s21, v25
	v_and_b32_e32 v46, exec_lo, v24
	v_lshlrev_b32_e32 v25, 30, v45
	v_mov_b32_e32 v24, v23
	v_cmp_gt_i64_e64 s[20:21], 0, v[24:25]
	v_not_b32_e32 v24, v25
	v_ashrrev_i32_e32 v24, 31, v24
	v_and_b32_e32 v22, exec_hi, v22
	v_xor_b32_e32 v25, s21, v24
	v_xor_b32_e32 v24, s20, v24
	v_and_b32_e32 v22, v22, v25
	v_and_b32_e32 v46, v46, v24
	v_lshlrev_b32_e32 v25, 29, v45
	v_mov_b32_e32 v24, v23
	v_cmp_gt_i64_e64 s[20:21], 0, v[24:25]
	v_not_b32_e32 v24, v25
	v_ashrrev_i32_e32 v24, 31, v24
	v_xor_b32_e32 v25, s21, v24
	v_xor_b32_e32 v24, s20, v24
	v_and_b32_e32 v22, v22, v25
	v_and_b32_e32 v46, v46, v24
	v_lshlrev_b32_e32 v25, 28, v45
	v_mov_b32_e32 v24, v23
	v_cmp_gt_i64_e64 s[20:21], 0, v[24:25]
	v_not_b32_e32 v24, v25
	v_ashrrev_i32_e32 v24, 31, v24
	;; [unrolled: 9-line block ×5, first 2 shown]
	v_xor_b32_e32 v25, s21, v24
	v_xor_b32_e32 v24, s20, v24
	v_and_b32_e32 v22, v22, v25
	v_lshlrev_b32_e32 v25, 24, v45
	v_and_b32_e32 v46, v46, v24
	v_mov_b32_e32 v24, v23
	v_not_b32_e32 v23, v25
	v_cmp_gt_i64_e64 s[20:21], 0, v[24:25]
	v_ashrrev_i32_e32 v23, 31, v23
	ds_read_b32 v43, v47 offset:64
	v_xor_b32_e32 v24, s21, v23
	v_xor_b32_e32 v25, s20, v23
	v_and_b32_e32 v23, v22, v24
	v_and_b32_e32 v22, v46, v25
	v_mbcnt_lo_u32_b32 v24, v22, 0
	v_mbcnt_hi_u32_b32 v45, v23, v24
	v_cmp_eq_u32_e64 s[20:21], 0, v45
	v_cmp_ne_u64_e64 s[22:23], 0, v[22:23]
	s_and_b64 s[22:23], s[22:23], s[20:21]
	; wave barrier
	s_and_saveexec_b64 s[20:21], s[22:23]
	s_cbranch_execz .LBB547_33
; %bb.32:
	v_bcnt_u32_b32 v22, v22, 0
	v_bcnt_u32_b32 v22, v23, v22
	s_waitcnt lgkmcnt(0)
	v_add_u32_e32 v22, v43, v22
	ds_write_b32 v47, v22 offset:64
.LBB547_33:
	s_or_b64 exec, exec, s[20:21]
	v_lshrrev_b64 v[22:23], s52, v[20:21]
	v_and_b32_e32 v48, s59, v22
	v_mul_lo_u32 v22, v48, s24
	v_add_u32_e32 v50, v40, v22
	v_and_b32_e32 v22, 1, v48
	v_mov_b32_e32 v23, 0
	v_lshl_add_u64 v[24:25], v[22:23], 0, -1
	v_cmp_ne_u32_e64 s[20:21], 0, v22
	; wave barrier
	s_nop 1
	v_xor_b32_e32 v24, s20, v24
	v_xor_b32_e32 v22, s21, v25
	v_and_b32_e32 v49, exec_lo, v24
	v_lshlrev_b32_e32 v25, 30, v48
	v_mov_b32_e32 v24, v23
	v_cmp_gt_i64_e64 s[20:21], 0, v[24:25]
	v_not_b32_e32 v24, v25
	v_ashrrev_i32_e32 v24, 31, v24
	v_and_b32_e32 v22, exec_hi, v22
	v_xor_b32_e32 v25, s21, v24
	v_xor_b32_e32 v24, s20, v24
	v_and_b32_e32 v22, v22, v25
	v_and_b32_e32 v49, v49, v24
	v_lshlrev_b32_e32 v25, 29, v48
	v_mov_b32_e32 v24, v23
	v_cmp_gt_i64_e64 s[20:21], 0, v[24:25]
	v_not_b32_e32 v24, v25
	v_ashrrev_i32_e32 v24, 31, v24
	v_xor_b32_e32 v25, s21, v24
	v_xor_b32_e32 v24, s20, v24
	v_and_b32_e32 v22, v22, v25
	v_and_b32_e32 v49, v49, v24
	v_lshlrev_b32_e32 v25, 28, v48
	v_mov_b32_e32 v24, v23
	v_cmp_gt_i64_e64 s[20:21], 0, v[24:25]
	v_not_b32_e32 v24, v25
	v_ashrrev_i32_e32 v24, 31, v24
	v_xor_b32_e32 v25, s21, v24
	v_xor_b32_e32 v24, s20, v24
	v_and_b32_e32 v22, v22, v25
	v_and_b32_e32 v49, v49, v24
	v_lshlrev_b32_e32 v25, 27, v48
	v_mov_b32_e32 v24, v23
	v_cmp_gt_i64_e64 s[20:21], 0, v[24:25]
	v_not_b32_e32 v24, v25
	v_ashrrev_i32_e32 v24, 31, v24
	v_xor_b32_e32 v25, s21, v24
	v_xor_b32_e32 v24, s20, v24
	v_and_b32_e32 v22, v22, v25
	v_and_b32_e32 v49, v49, v24
	v_lshlrev_b32_e32 v25, 26, v48
	v_mov_b32_e32 v24, v23
	v_cmp_gt_i64_e64 s[20:21], 0, v[24:25]
	v_not_b32_e32 v24, v25
	v_ashrrev_i32_e32 v24, 31, v24
	v_xor_b32_e32 v25, s21, v24
	v_xor_b32_e32 v24, s20, v24
	v_and_b32_e32 v22, v22, v25
	v_and_b32_e32 v49, v49, v24
	v_lshlrev_b32_e32 v25, 25, v48
	v_mov_b32_e32 v24, v23
	v_cmp_gt_i64_e64 s[20:21], 0, v[24:25]
	v_not_b32_e32 v24, v25
	v_ashrrev_i32_e32 v24, 31, v24
	v_xor_b32_e32 v25, s21, v24
	v_xor_b32_e32 v24, s20, v24
	v_and_b32_e32 v22, v22, v25
	v_and_b32_e32 v49, v49, v24
	v_lshlrev_b32_e32 v25, 24, v48
	v_mov_b32_e32 v24, v23
	v_cmp_gt_i64_e64 s[20:21], 0, v[24:25]
	v_not_b32_e32 v24, v25
	v_ashrrev_i32_e32 v24, 31, v24
	v_xor_b32_e32 v25, s21, v24
	v_xor_b32_e32 v24, s20, v24
	ds_read_b32 v46, v50 offset:64
	v_and_b32_e32 v24, v49, v24
	v_and_b32_e32 v25, v22, v25
	v_mbcnt_lo_u32_b32 v22, v24, 0
	v_mbcnt_hi_u32_b32 v48, v25, v22
	v_cmp_eq_u32_e64 s[20:21], 0, v48
	v_cmp_ne_u64_e64 s[22:23], 0, v[24:25]
	s_and_b64 s[22:23], s[22:23], s[20:21]
	; wave barrier
	s_and_saveexec_b64 s[20:21], s[22:23]
	s_cbranch_execz .LBB547_35
; %bb.34:
	v_bcnt_u32_b32 v22, v24, 0
	v_bcnt_u32_b32 v22, v25, v22
	s_waitcnt lgkmcnt(0)
	v_add_u32_e32 v22, v46, v22
	ds_write_b32 v50, v22 offset:64
.LBB547_35:
	s_or_b64 exec, exec, s[20:21]
	v_lshrrev_b64 v[24:25], s52, v[18:19]
	v_and_b32_e32 v51, s59, v24
	v_mul_lo_u32 v22, v51, s24
	v_add_u32_e32 v40, v40, v22
	v_and_b32_e32 v22, 1, v51
	v_lshl_add_u64 v[24:25], v[22:23], 0, -1
	v_cmp_ne_u32_e64 s[20:21], 0, v22
	; wave barrier
	s_nop 1
	v_xor_b32_e32 v24, s20, v24
	v_xor_b32_e32 v22, s21, v25
	v_and_b32_e32 v52, exec_lo, v24
	v_lshlrev_b32_e32 v25, 30, v51
	v_mov_b32_e32 v24, v23
	v_cmp_gt_i64_e64 s[20:21], 0, v[24:25]
	v_not_b32_e32 v24, v25
	v_ashrrev_i32_e32 v24, 31, v24
	v_and_b32_e32 v22, exec_hi, v22
	v_xor_b32_e32 v25, s21, v24
	v_xor_b32_e32 v24, s20, v24
	v_and_b32_e32 v22, v22, v25
	v_and_b32_e32 v52, v52, v24
	v_lshlrev_b32_e32 v25, 29, v51
	v_mov_b32_e32 v24, v23
	v_cmp_gt_i64_e64 s[20:21], 0, v[24:25]
	v_not_b32_e32 v24, v25
	v_ashrrev_i32_e32 v24, 31, v24
	v_xor_b32_e32 v25, s21, v24
	v_xor_b32_e32 v24, s20, v24
	v_and_b32_e32 v22, v22, v25
	v_and_b32_e32 v52, v52, v24
	v_lshlrev_b32_e32 v25, 28, v51
	v_mov_b32_e32 v24, v23
	v_cmp_gt_i64_e64 s[20:21], 0, v[24:25]
	v_not_b32_e32 v24, v25
	v_ashrrev_i32_e32 v24, 31, v24
	;; [unrolled: 9-line block ×5, first 2 shown]
	v_xor_b32_e32 v25, s21, v24
	v_xor_b32_e32 v24, s20, v24
	v_and_b32_e32 v22, v22, v25
	v_lshlrev_b32_e32 v25, 24, v51
	v_and_b32_e32 v52, v52, v24
	v_mov_b32_e32 v24, v23
	v_not_b32_e32 v23, v25
	v_cmp_gt_i64_e64 s[20:21], 0, v[24:25]
	v_ashrrev_i32_e32 v23, 31, v23
	ds_read_b32 v49, v40 offset:64
	v_xor_b32_e32 v24, s21, v23
	v_xor_b32_e32 v25, s20, v23
	v_and_b32_e32 v23, v22, v24
	v_and_b32_e32 v22, v52, v25
	v_mbcnt_lo_u32_b32 v24, v22, 0
	v_mbcnt_hi_u32_b32 v51, v23, v24
	v_cmp_eq_u32_e64 s[20:21], 0, v51
	v_cmp_ne_u64_e64 s[22:23], 0, v[22:23]
	s_and_b64 s[22:23], s[22:23], s[20:21]
	; wave barrier
	s_and_saveexec_b64 s[20:21], s[22:23]
	s_cbranch_execz .LBB547_37
; %bb.36:
	v_bcnt_u32_b32 v22, v22, 0
	v_bcnt_u32_b32 v22, v23, v22
	s_waitcnt lgkmcnt(0)
	v_add_u32_e32 v22, v49, v22
	ds_write_b32 v40, v22 offset:64
.LBB547_37:
	s_or_b64 exec, exec, s[20:21]
	; wave barrier
	s_waitcnt lgkmcnt(0)
	s_barrier
	ds_read2_b32 v[24:25], v5 offset0:16 offset1:17
	ds_read2_b32 v[22:23], v5 offset0:18 offset1:19
	ds_read_b32 v52, v5 offset:80
	v_cmp_lt_u32_e64 s[30:31], 31, v26
	s_waitcnt lgkmcnt(1)
	v_add3_u32 v53, v25, v24, v22
	s_waitcnt lgkmcnt(0)
	v_add3_u32 v52, v53, v23, v52
	v_and_b32_e32 v53, 15, v26
	v_cmp_eq_u32_e64 s[20:21], 0, v53
	v_mov_b32_dpp v54, v52 row_shr:1 row_mask:0xf bank_mask:0xf
	v_cmp_lt_u32_e64 s[22:23], 1, v53
	v_cndmask_b32_e64 v54, v54, 0, s[20:21]
	v_add_u32_e32 v52, v54, v52
	v_cmp_lt_u32_e64 s[24:25], 3, v53
	v_cmp_lt_u32_e64 s[26:27], 7, v53
	v_mov_b32_dpp v54, v52 row_shr:2 row_mask:0xf bank_mask:0xf
	v_cndmask_b32_e64 v54, 0, v54, s[22:23]
	v_add_u32_e32 v52, v52, v54
	s_nop 1
	v_mov_b32_dpp v54, v52 row_shr:4 row_mask:0xf bank_mask:0xf
	v_cndmask_b32_e64 v54, 0, v54, s[24:25]
	v_add_u32_e32 v52, v52, v54
	s_nop 1
	v_mov_b32_dpp v54, v52 row_shr:8 row_mask:0xf bank_mask:0xf
	v_cndmask_b32_e64 v53, 0, v54, s[26:27]
	v_add_u32_e32 v52, v52, v53
	v_bfe_i32 v54, v26, 4, 1
	s_nop 0
	v_mov_b32_dpp v53, v52 row_bcast:15 row_mask:0xf bank_mask:0xf
	v_and_b32_e32 v53, v54, v53
	v_add_u32_e32 v52, v52, v53
	v_and_b32_e32 v54, 63, v2
	s_nop 0
	v_mov_b32_dpp v53, v52 row_bcast:31 row_mask:0xf bank_mask:0xf
	v_cndmask_b32_e64 v53, 0, v53, s[30:31]
	v_add_u32_e32 v52, v52, v53
	v_lshrrev_b32_e32 v53, 6, v2
	v_cmp_eq_u32_e64 s[30:31], 63, v54
	s_and_saveexec_b64 s[34:35], s[30:31]
; %bb.38:
	v_lshlrev_b32_e32 v54, 2, v53
	ds_write_b32 v54, v52
; %bb.39:
	s_or_b64 exec, exec, s[34:35]
	v_cmp_gt_u32_e64 s[30:31], 16, v2
	s_waitcnt lgkmcnt(0)
	s_barrier
	s_and_saveexec_b64 s[34:35], s[30:31]
	s_cbranch_execz .LBB547_41
; %bb.40:
	v_lshlrev_b32_e32 v54, 2, v2
	ds_read_b32 v55, v54
	s_waitcnt lgkmcnt(0)
	s_nop 0
	v_mov_b32_dpp v56, v55 row_shr:1 row_mask:0xf bank_mask:0xf
	v_cndmask_b32_e64 v56, v56, 0, s[20:21]
	v_add_u32_e32 v55, v56, v55
	s_nop 1
	v_mov_b32_dpp v56, v55 row_shr:2 row_mask:0xf bank_mask:0xf
	v_cndmask_b32_e64 v56, 0, v56, s[22:23]
	v_add_u32_e32 v55, v55, v56
	;; [unrolled: 4-line block ×4, first 2 shown]
	ds_write_b32 v54, v55
.LBB547_41:
	s_or_b64 exec, exec, s[34:35]
	v_cmp_lt_u32_e64 s[20:21], 63, v2
	v_mov_b32_e32 v54, 0
	s_waitcnt lgkmcnt(0)
	s_barrier
	s_and_saveexec_b64 s[22:23], s[20:21]
; %bb.42:
	v_lshl_add_u32 v53, v53, 2, -4
	ds_read_b32 v54, v53
; %bb.43:
	s_or_b64 exec, exec, s[22:23]
	v_subrev_co_u32_e64 v53, s[20:21], 1, v26
	v_and_b32_e32 v55, 64, v26
	v_cmp_lt_i32_e64 s[22:23], v53, v55
	s_waitcnt lgkmcnt(0)
	v_add_u32_e32 v52, v54, v52
	s_movk_i32 s24, 0x100
	v_cndmask_b32_e64 v26, v53, v26, s[22:23]
	v_lshlrev_b32_e32 v26, 2, v26
	ds_bpermute_b32 v26, v26, v52
	v_cmp_gt_u32_e64 s[22:23], s24, v2
	s_waitcnt lgkmcnt(0)
	v_cndmask_b32_e64 v26, v26, v54, s[20:21]
	v_cndmask_b32_e64 v26, v26, 0, s[18:19]
	v_add_u32_e32 v24, v26, v24
	v_add_u32_e32 v25, v24, v25
	;; [unrolled: 1-line block ×4, first 2 shown]
	ds_write2_b32 v5, v26, v24 offset0:16 offset1:17
	ds_write2_b32 v5, v25, v22 offset0:18 offset1:19
	ds_write_b32 v5, v23 offset:80
	s_waitcnt lgkmcnt(0)
	s_barrier
	ds_read_b32 v55, v27 offset:64
	ds_read_b32 v5, v34 offset:64
	ds_read_b32 v52, v37 offset:64
	ds_read_b32 v53, v41 offset:64
	ds_read_b32 v54, v44 offset:64
	ds_read_b32 v47, v47 offset:64
	ds_read_b32 v41, v50 offset:64
	ds_read_b32 v44, v40 offset:64
	s_movk_i32 s20, 0xff
	v_cmp_lt_u32_e64 s[20:21], s20, v2
                                        ; implicit-def: $vgpr34
                                        ; implicit-def: $vgpr37
	s_and_saveexec_b64 s[26:27], s[22:23]
	s_cbranch_execz .LBB547_47
; %bb.44:
	v_mul_u32_u24_e32 v22, 0x44, v2
	ds_read_b32 v34, v22 offset:64
	v_add_u32_e32 v23, 1, v2
	v_cmp_ne_u32_e64 s[24:25], s24, v23
	v_mov_b32_e32 v22, 0x2000
	s_and_saveexec_b64 s[30:31], s[24:25]
; %bb.45:
	v_mul_u32_u24_e32 v22, 0x44, v23
	ds_read_b32 v22, v22 offset:64
; %bb.46:
	s_or_b64 exec, exec, s[30:31]
	s_waitcnt lgkmcnt(0)
	v_sub_u32_e32 v37, v22, v34
.LBB547_47:
	s_or_b64 exec, exec, s[26:27]
	v_mov_b32_e32 v23, 0
	v_lshlrev_b32_e32 v40, 2, v2
	s_waitcnt lgkmcnt(0)
	s_barrier
	s_and_saveexec_b64 s[24:25], s[22:23]
	s_cbranch_execz .LBB547_57
; %bb.48:
	v_lshl_add_u32 v22, s33, 8, v2
	v_lshl_add_u64 v[24:25], v[22:23], 2, s[56:57]
	v_or_b32_e32 v22, 2.0, v37
	s_mov_b64 s[26:27], 0
	s_brev_b32 s36, -4
	s_mov_b32 s37, s33
	v_mov_b32_e32 v50, 0
	global_store_dword v[24:25], v22, off sc1
                                        ; implicit-def: $sgpr22_sgpr23
	s_branch .LBB547_51
.LBB547_49:                             ;   in Loop: Header=BB547_51 Depth=1
	s_or_b64 exec, exec, s[34:35]
.LBB547_50:                             ;   in Loop: Header=BB547_51 Depth=1
	s_or_b64 exec, exec, s[30:31]
	v_and_b32_e32 v26, 0x3fffffff, v22
	v_add_u32_e32 v50, v26, v50
	v_cmp_gt_i32_e64 s[22:23], -2.0, v22
	s_and_b64 s[30:31], exec, s[22:23]
	s_or_b64 s[26:27], s[30:31], s[26:27]
	s_andn2_b64 exec, exec, s[26:27]
	s_cbranch_execz .LBB547_56
.LBB547_51:                             ; =>This Loop Header: Depth=1
                                        ;     Child Loop BB547_54 Depth 2
	s_or_b64 s[22:23], s[22:23], exec
	s_cmp_eq_u32 s37, 0
	s_cbranch_scc1 .LBB547_55
; %bb.52:                               ;   in Loop: Header=BB547_51 Depth=1
	s_add_i32 s37, s37, -1
	v_lshl_or_b32 v22, s37, 8, v2
	v_lshl_add_u64 v[26:27], v[22:23], 2, s[56:57]
	global_load_dword v22, v[26:27], off sc1
	s_waitcnt vmcnt(0)
	v_cmp_gt_u32_e64 s[22:23], 2.0, v22
	s_and_saveexec_b64 s[30:31], s[22:23]
	s_cbranch_execz .LBB547_50
; %bb.53:                               ;   in Loop: Header=BB547_51 Depth=1
	s_mov_b64 s[34:35], 0
.LBB547_54:                             ;   Parent Loop BB547_51 Depth=1
                                        ; =>  This Inner Loop Header: Depth=2
	global_load_dword v22, v[26:27], off sc1
	s_waitcnt vmcnt(0)
	v_cmp_lt_u32_e64 s[22:23], s36, v22
	s_or_b64 s[34:35], s[22:23], s[34:35]
	s_andn2_b64 exec, exec, s[34:35]
	s_cbranch_execnz .LBB547_54
	s_branch .LBB547_49
.LBB547_55:                             ;   in Loop: Header=BB547_51 Depth=1
                                        ; implicit-def: $sgpr37
	s_and_b64 s[30:31], exec, s[22:23]
	s_or_b64 s[26:27], s[30:31], s[26:27]
	s_andn2_b64 exec, exec, s[26:27]
	s_cbranch_execnz .LBB547_51
.LBB547_56:
	s_or_b64 exec, exec, s[26:27]
	v_add_u32_e32 v22, v50, v37
	v_or_b32_e32 v22, 0x80000000, v22
	global_store_dword v[24:25], v22, off sc1
	global_load_dword v22, v40, s[48:49]
	v_sub_u32_e32 v23, v50, v34
	s_waitcnt vmcnt(0)
	v_add_u32_e32 v22, v23, v22
	ds_write_b32 v40, v22
.LBB547_57:
	s_or_b64 exec, exec, s[24:25]
	s_load_dwordx2 s[22:23], s[0:1], 0x4
	v_add_u32_e32 v24, v55, v31
	v_add3_u32 v22, v32, v1, v5
	v_add3_u32 v23, v35, v33, v52
	;; [unrolled: 1-line block ×3, first 2 shown]
	s_waitcnt lgkmcnt(0)
	s_lshr_b32 s0, s22, 16
	s_mul_i32 s0, s0, s23
	v_mul_lo_u32 v25, s0, v2
	v_mul_u32_u24_e32 v27, s23, v3
	v_add3_u32 v25, v25, v27, v28
	v_mov_b32_e32 v27, 0x5050
	v_add3_u32 v55, v42, v39, v54
	v_add3_u32 v56, v45, v43, v47
	;; [unrolled: 1-line block ×4, first 2 shown]
	v_lshl_add_u32 v25, v25, 5, v27
	v_mov_b32_e32 v57, 0x400
	s_movk_i32 s24, 0x400
	v_lshl_add_u32 v26, v26, 3, v57
	v_add3_u32 v27, v51, v44, v49
	v_lshl_add_u32 v31, v31, 3, v57
	v_add3_u32 v41, v48, v41, v46
	;; [unrolled: 2-line block ×7, first 2 shown]
	v_lshl_add_u32 v46, v24, 3, v57
	s_mov_b32 s25, 0
	s_movk_i32 s26, 0x800
	v_add_u32_e32 v47, v40, v40
	v_mov_b32_e32 v23, 0
	v_mov_b32_e32 v1, v2
	;; [unrolled: 1-line block ×3, first 2 shown]
	s_mov_b32 s27, 0
	s_branch .LBB547_59
.LBB547_58:                             ;   in Loop: Header=BB547_59 Depth=1
	s_or_b64 exec, exec, s[22:23]
	s_addk_i32 s27, 0xc000
	s_addk_i32 s25, 0xf800
	v_add_u32_e32 v5, 8, v5
	s_cmp_eq_u32 s27, 0xffff0000
	v_add_u32_e32 v1, 0x800, v1
	s_waitcnt lgkmcnt(0)
	s_barrier
	s_cbranch_scc1 .LBB547_79
.LBB547_59:                             ; =>This Inner Loop Header: Depth=1
	v_add_u32_e32 v22, s25, v24
	v_cmp_gt_u32_e64 s[0:1], s26, v22
	s_and_saveexec_b64 s[22:23], s[0:1]
; %bb.60:                               ;   in Loop: Header=BB547_59 Depth=1
	v_add_u32_e32 v22, s27, v46
	ds_write_b64 v22, v[8:9]
; %bb.61:                               ;   in Loop: Header=BB547_59 Depth=1
	s_or_b64 exec, exec, s[22:23]
	v_add_u32_e32 v22, s25, v32
	v_cmp_gt_u32_e64 s[0:1], s26, v22
	s_and_saveexec_b64 s[22:23], s[0:1]
; %bb.62:                               ;   in Loop: Header=BB547_59 Depth=1
	v_add_u32_e32 v22, s27, v35
	ds_write_b64 v22, v[6:7]
; %bb.63:                               ;   in Loop: Header=BB547_59 Depth=1
	s_or_b64 exec, exec, s[22:23]
	;; [unrolled: 8-line block ×8, first 2 shown]
	v_cmp_gt_u32_e64 s[0:1], s5, v1
	s_waitcnt lgkmcnt(0)
	s_barrier
	s_and_saveexec_b64 s[22:23], s[0:1]
	s_cbranch_execz .LBB547_77
; %bb.76:                               ;   in Loop: Header=BB547_59 Depth=1
	ds_read_b64 v[48:49], v47 offset:1024
	s_waitcnt lgkmcnt(0)
	v_lshrrev_b64 v[50:51], s52, v[48:49]
	v_and_b32_e32 v52, s59, v50
	v_lshlrev_b32_e32 v22, 2, v52
	ds_read_b32 v22, v22
	ds_write_b32 v5, v52
	s_waitcnt lgkmcnt(1)
	v_add_u32_e32 v22, v1, v22
	v_lshl_add_u64 v[50:51], v[22:23], 3, s[42:43]
	global_store_dwordx2 v[50:51], v[48:49], off
.LBB547_77:                             ;   in Loop: Header=BB547_59 Depth=1
	s_or_b64 exec, exec, s[22:23]
	v_add_u32_e32 v22, 0x400, v1
	v_cmp_gt_u32_e64 s[0:1], s5, v22
	s_and_saveexec_b64 s[22:23], s[0:1]
	s_cbranch_execz .LBB547_58
; %bb.78:                               ;   in Loop: Header=BB547_59 Depth=1
	ds_read_b64 v[48:49], v47 offset:9216
	s_waitcnt lgkmcnt(0)
	v_lshrrev_b64 v[50:51], s52, v[48:49]
	v_and_b32_e32 v52, s59, v50
	v_lshlrev_b32_e32 v22, 2, v52
	ds_read_b32 v22, v22
	ds_write_b32 v5, v52 offset:4
	s_waitcnt lgkmcnt(1)
	v_add3_u32 v22, v1, v22, s24
	v_lshl_add_u64 v[50:51], v[22:23], 3, s[42:43]
	global_store_dwordx2 v[50:51], v[48:49], off
	s_branch .LBB547_58
.LBB547_79:
	s_add_u32 s0, s44, s54
	s_addc_u32 s1, s45, s55
	v_mov_b32_e32 v1, 0
	v_lshl_add_u64 v[6:7], s[0:1], 0, v[0:1]
	v_mov_b32_e32 v5, v1
	v_lshl_add_u64 v[18:19], v[6:7], 0, v[4:5]
                                        ; implicit-def: $vgpr0_vgpr1
	s_and_saveexec_b64 s[0:1], vcc
	s_cbranch_execz .LBB547_87
; %bb.80:
	global_load_dwordx2 v[0:1], v[18:19], off
	s_or_b64 exec, exec, s[0:1]
                                        ; implicit-def: $vgpr4_vgpr5
	s_and_saveexec_b64 s[0:1], s[28:29]
	s_cbranch_execnz .LBB547_88
.LBB547_81:
	s_or_b64 exec, exec, s[0:1]
                                        ; implicit-def: $vgpr6_vgpr7
	s_and_saveexec_b64 s[0:1], s[6:7]
	s_cbranch_execz .LBB547_89
.LBB547_82:
	global_load_dwordx2 v[6:7], v[18:19], off offset:1024
	s_or_b64 exec, exec, s[0:1]
                                        ; implicit-def: $vgpr8_vgpr9
	s_and_saveexec_b64 s[0:1], s[8:9]
	s_cbranch_execnz .LBB547_90
.LBB547_83:
	s_or_b64 exec, exec, s[0:1]
                                        ; implicit-def: $vgpr10_vgpr11
	s_and_saveexec_b64 s[0:1], s[10:11]
	s_cbranch_execz .LBB547_91
.LBB547_84:
	global_load_dwordx2 v[10:11], v[18:19], off offset:2048
	s_or_b64 exec, exec, s[0:1]
                                        ; implicit-def: $vgpr12_vgpr13
	s_and_saveexec_b64 s[0:1], s[12:13]
	s_cbranch_execnz .LBB547_92
.LBB547_85:
	s_or_b64 exec, exec, s[0:1]
                                        ; implicit-def: $vgpr14_vgpr15
	s_and_saveexec_b64 s[0:1], s[14:15]
	s_cbranch_execz .LBB547_93
.LBB547_86:
	global_load_dwordx2 v[14:15], v[18:19], off offset:3072
	s_or_b64 exec, exec, s[0:1]
                                        ; implicit-def: $vgpr16_vgpr17
	s_and_saveexec_b64 s[0:1], s[16:17]
	s_cbranch_execnz .LBB547_94
	s_branch .LBB547_95
.LBB547_87:
	s_or_b64 exec, exec, s[0:1]
                                        ; implicit-def: $vgpr4_vgpr5
	s_and_saveexec_b64 s[0:1], s[28:29]
	s_cbranch_execz .LBB547_81
.LBB547_88:
	global_load_dwordx2 v[4:5], v[18:19], off offset:512
	s_or_b64 exec, exec, s[0:1]
                                        ; implicit-def: $vgpr6_vgpr7
	s_and_saveexec_b64 s[0:1], s[6:7]
	s_cbranch_execnz .LBB547_82
.LBB547_89:
	s_or_b64 exec, exec, s[0:1]
                                        ; implicit-def: $vgpr8_vgpr9
	s_and_saveexec_b64 s[0:1], s[8:9]
	s_cbranch_execz .LBB547_83
.LBB547_90:
	global_load_dwordx2 v[8:9], v[18:19], off offset:1536
	s_or_b64 exec, exec, s[0:1]
                                        ; implicit-def: $vgpr10_vgpr11
	s_and_saveexec_b64 s[0:1], s[10:11]
	s_cbranch_execnz .LBB547_84
.LBB547_91:
	s_or_b64 exec, exec, s[0:1]
                                        ; implicit-def: $vgpr12_vgpr13
	s_and_saveexec_b64 s[0:1], s[12:13]
	s_cbranch_execz .LBB547_85
.LBB547_92:
	global_load_dwordx2 v[12:13], v[18:19], off offset:2560
	s_or_b64 exec, exec, s[0:1]
                                        ; implicit-def: $vgpr14_vgpr15
	s_and_saveexec_b64 s[0:1], s[14:15]
	s_cbranch_execnz .LBB547_86
.LBB547_93:
	s_or_b64 exec, exec, s[0:1]
                                        ; implicit-def: $vgpr16_vgpr17
	s_and_saveexec_b64 s[0:1], s[16:17]
	s_cbranch_execz .LBB547_95
.LBB547_94:
	global_load_dwordx2 v[16:17], v[18:19], off offset:3584
.LBB547_95:
	s_or_b64 exec, exec, s[0:1]
	s_mov_b32 s6, 0
	s_movk_i32 s7, 0x800
	v_mov_b32_e32 v19, 0
	s_movk_i32 s8, 0x400
	s_mov_b32 s9, 0
	v_mov_b32_e32 v20, v2
	s_waitcnt vmcnt(0)
	s_branch .LBB547_97
.LBB547_96:                             ;   in Loop: Header=BB547_97 Depth=1
	s_or_b64 exec, exec, s[0:1]
	s_addk_i32 s9, 0xc000
	s_addk_i32 s6, 0xf800
	v_add_u32_e32 v20, 0x800, v20
	s_cmp_eq_u32 s9, 0xffff0000
	v_add_u32_e32 v25, 8, v25
	s_barrier
	s_cbranch_scc1 .LBB547_117
.LBB547_97:                             ; =>This Inner Loop Header: Depth=1
	v_add_u32_e32 v18, s6, v24
	v_cmp_gt_u32_e32 vcc, s7, v18
	s_and_saveexec_b64 s[0:1], vcc
; %bb.98:                               ;   in Loop: Header=BB547_97 Depth=1
	v_add_u32_e32 v18, s9, v46
	ds_write_b64 v18, v[0:1]
; %bb.99:                               ;   in Loop: Header=BB547_97 Depth=1
	s_or_b64 exec, exec, s[0:1]
	v_add_u32_e32 v18, s6, v32
	v_cmp_gt_u32_e32 vcc, s7, v18
	s_and_saveexec_b64 s[0:1], vcc
; %bb.100:                              ;   in Loop: Header=BB547_97 Depth=1
	v_add_u32_e32 v18, s9, v35
	ds_write_b64 v18, v[4:5]
; %bb.101:                              ;   in Loop: Header=BB547_97 Depth=1
	s_or_b64 exec, exec, s[0:1]
	v_add_u32_e32 v18, s6, v33
	v_cmp_gt_u32_e32 vcc, s7, v18
	s_and_saveexec_b64 s[0:1], vcc
; %bb.102:                              ;   in Loop: Header=BB547_97 Depth=1
	v_add_u32_e32 v18, s9, v38
	ds_write_b64 v18, v[6:7]
; %bb.103:                              ;   in Loop: Header=BB547_97 Depth=1
	;; [unrolled: 8-line block ×7, first 2 shown]
	s_or_b64 exec, exec, s[0:1]
	v_cmp_gt_u32_e32 vcc, s5, v20
	s_waitcnt lgkmcnt(0)
	s_barrier
	s_and_saveexec_b64 s[0:1], vcc
	s_cbranch_execz .LBB547_115
; %bb.114:                              ;   in Loop: Header=BB547_97 Depth=1
	ds_read_b32 v18, v25
	s_waitcnt lgkmcnt(0)
	v_lshlrev_b32_e32 v18, 2, v18
	ds_read_b32 v18, v18
	ds_read_b64 v[22:23], v47 offset:1024
	s_waitcnt lgkmcnt(1)
	v_add_u32_e32 v18, v20, v18
	v_lshl_add_u64 v[48:49], v[18:19], 3, s[46:47]
	s_waitcnt lgkmcnt(0)
	global_store_dwordx2 v[48:49], v[22:23], off
.LBB547_115:                            ;   in Loop: Header=BB547_97 Depth=1
	s_or_b64 exec, exec, s[0:1]
	v_add_u32_e32 v18, 0x400, v20
	v_cmp_gt_u32_e32 vcc, s5, v18
	s_and_saveexec_b64 s[0:1], vcc
	s_cbranch_execz .LBB547_96
; %bb.116:                              ;   in Loop: Header=BB547_97 Depth=1
	ds_read_b32 v18, v25 offset:4
	s_waitcnt lgkmcnt(0)
	v_lshlrev_b32_e32 v18, 2, v18
	ds_read_b32 v18, v18
	ds_read_b64 v[22:23], v47 offset:9216
	s_waitcnt lgkmcnt(1)
	v_add3_u32 v18, v20, v18, s8
	v_lshl_add_u64 v[48:49], v[18:19], 3, s[46:47]
	s_waitcnt lgkmcnt(0)
	global_store_dwordx2 v[48:49], v[22:23], off
	s_branch .LBB547_96
.LBB547_117:
	s_add_i32 s58, s58, -1
	s_cmp_eq_u32 s33, s58
	s_cselect_b64 s[0:1], -1, 0
	s_xor_b64 s[6:7], s[20:21], -1
	s_and_b64 s[6:7], s[6:7], s[0:1]
	s_and_saveexec_b64 s[0:1], s[6:7]
	s_cbranch_execz .LBB547_119
; %bb.118:
	ds_read_b32 v0, v40
	s_waitcnt lgkmcnt(0)
	v_add3_u32 v0, v34, v37, v0
	global_store_dword v40, v0, s[50:51]
.LBB547_119:
	s_or_b64 exec, exec, s[0:1]
	s_mov_b64 s[6:7], 0
.LBB547_120:
	s_and_b64 vcc, exec, s[6:7]
	s_cbranch_vccz .LBB547_195
; %bb.121:
	s_lshl_b32 s0, s33, 13
	s_mov_b32 s1, 0
	s_lshl_b64 s[8:9], s[0:1], 3
	v_mbcnt_hi_u32_b32 v26, -1, v30
	s_add_u32 s0, s40, s8
	v_and_b32_e32 v0, 63, v26
	v_mov_b32_e32 v23, 0
	s_addc_u32 s1, s41, s9
	v_and_b32_e32 v4, 0x1e00, v29
	v_lshlrev_b32_e32 v0, 3, v0
	v_mov_b32_e32 v1, v23
	v_lshl_add_u64 v[6:7], s[0:1], 0, v[0:1]
	v_lshlrev_b32_e32 v4, 3, v4
	v_mov_b32_e32 v5, v23
	v_lshl_add_u64 v[24:25], v[6:7], 0, v[4:5]
	global_load_dwordx2 v[6:7], v[24:25], off
	s_load_dword s0, s[2:3], 0x64
	s_load_dword s12, s[2:3], 0x58
	s_add_u32 s1, s2, 0x58
	s_addc_u32 s2, s3, 0
	v_mul_u32_u24_e32 v5, 20, v2
	s_waitcnt lgkmcnt(0)
	s_lshr_b32 s3, s0, 16
	s_cmp_lt_u32 s4, s12
	s_cselect_b32 s0, 12, 18
	s_add_u32 s0, s1, s0
	s_addc_u32 s1, s2, 0
	global_load_ushort v1, v23, s[0:1]
	ds_write2_b32 v5, v23, v23 offset0:16 offset1:17
	ds_write2_b32 v5, v23, v23 offset0:18 offset1:19
	ds_write_b32 v5, v23 offset:80
	global_load_dwordx2 v[8:9], v[24:25], off offset:512
	global_load_dwordx2 v[10:11], v[24:25], off offset:1024
	;; [unrolled: 1-line block ×7, first 2 shown]
	s_lshl_b32 s0, -1, s53
	v_mov_b32_e32 v30, v23
	v_mad_u32_u24 v3, v28, s3, v3
	v_mov_b32_e32 v32, v23
	s_not_b32 s13, s0
	v_mov_b32_e32 v34, v23
	v_mov_b32_e32 v36, v23
	;; [unrolled: 1-line block ×3, first 2 shown]
	s_movk_i32 s10, 0x44
	s_waitcnt lgkmcnt(0)
	s_barrier
	s_waitcnt vmcnt(8)
	; wave barrier
	v_lshrrev_b64 v[24:25], s52, v[6:7]
	v_bitop3_b32 v27, v24, s0, v24 bitop3:0x30
	v_and_b32_e32 v22, 1, v27
	v_lshlrev_b32_e32 v31, 30, v27
	v_lshlrev_b32_e32 v33, 29, v27
	v_lshl_add_u64 v[24:25], v[22:23], 0, -1
	v_cmp_ne_u32_e32 vcc, 0, v22
	v_not_b32_e32 v22, v31
	v_lshlrev_b32_e32 v35, 28, v27
	v_cmp_gt_i64_e64 s[0:1], 0, v[30:31]
	v_not_b32_e32 v30, v33
	s_waitcnt vmcnt(7)
	v_mad_u64_u32 v[28:29], s[14:15], v3, v1, v[2:3]
	v_xor_b32_e32 v1, vcc_hi, v25
	v_xor_b32_e32 v3, vcc_lo, v24
	v_ashrrev_i32_e32 v22, 31, v22
	v_lshlrev_b32_e32 v37, 27, v27
	v_cmp_gt_i64_e64 s[2:3], 0, v[32:33]
	v_not_b32_e32 v31, v35
	v_ashrrev_i32_e32 v24, 31, v30
	v_and_b32_e32 v1, exec_hi, v1
	v_and_b32_e32 v3, exec_lo, v3
	v_xor_b32_e32 v30, s1, v22
	v_xor_b32_e32 v22, s0, v22
	v_lshlrev_b32_e32 v39, 26, v27
	v_cmp_gt_i64_e64 s[4:5], 0, v[34:35]
	v_not_b32_e32 v32, v37
	v_ashrrev_i32_e32 v25, 31, v31
	v_xor_b32_e32 v31, s3, v24
	v_xor_b32_e32 v24, s2, v24
	v_and_b32_e32 v1, v1, v30
	v_and_b32_e32 v3, v3, v22
	v_cmp_gt_i64_e64 s[6:7], 0, v[36:37]
	v_ashrrev_i32_e32 v29, 31, v32
	v_xor_b32_e32 v32, s5, v25
	v_xor_b32_e32 v25, s4, v25
	v_and_b32_e32 v1, v1, v31
	v_and_b32_e32 v3, v3, v24
	v_not_b32_e32 v22, v39
	v_xor_b32_e32 v33, s7, v29
	v_xor_b32_e32 v29, s6, v29
	v_and_b32_e32 v1, v1, v32
	v_and_b32_e32 v3, v3, v25
	v_cmp_gt_i64_e32 vcc, 0, v[38:39]
	v_ashrrev_i32_e32 v22, 31, v22
	v_and_b32_e32 v1, v1, v33
	v_and_b32_e32 v3, v3, v29
	v_xor_b32_e32 v24, vcc_hi, v22
	v_xor_b32_e32 v22, vcc_lo, v22
	v_lshlrev_b32_e32 v25, 25, v27
	v_and_b32_e32 v1, v1, v24
	v_and_b32_e32 v3, v3, v22
	v_mov_b32_e32 v24, v23
	v_not_b32_e32 v22, v25
	v_cmp_gt_i64_e32 vcc, 0, v[24:25]
	v_ashrrev_i32_e32 v22, 31, v22
	v_lshlrev_b32_e32 v25, 24, v27
	v_xor_b32_e32 v24, vcc_hi, v22
	v_xor_b32_e32 v22, vcc_lo, v22
	v_and_b32_e32 v1, v1, v24
	v_and_b32_e32 v3, v3, v22
	v_mov_b32_e32 v24, v23
	v_not_b32_e32 v22, v25
	v_cmp_gt_i64_e32 vcc, 0, v[24:25]
	v_ashrrev_i32_e32 v22, 31, v22
	v_lshrrev_b32_e32 v28, 4, v28
	v_xor_b32_e32 v24, vcc_hi, v22
	v_xor_b32_e32 v22, vcc_lo, v22
	v_and_b32_e32 v25, v1, v24
	v_and_b32_e32 v24, v3, v22
	v_mbcnt_lo_u32_b32 v1, v24, 0
	v_mbcnt_hi_u32_b32 v3, v25, v1
	v_mul_lo_u32 v40, v27, s10
	v_and_b32_e32 v35, 0xffffffc, v28
	v_cmp_eq_u32_e32 vcc, 0, v3
	v_cmp_ne_u64_e64 s[0:1], 0, v[24:25]
	s_and_b64 s[2:3], s[0:1], vcc
	v_add_u32_e32 v27, v35, v40
	s_and_saveexec_b64 s[0:1], s[2:3]
; %bb.122:
	v_bcnt_u32_b32 v1, v24, 0
	v_bcnt_u32_b32 v1, v25, v1
	ds_write_b32 v27, v1 offset:64
; %bb.123:
	s_or_b64 exec, exec, s[0:1]
	s_waitcnt vmcnt(6)
	v_lshrrev_b64 v[24:25], s52, v[8:9]
	v_and_b32_e32 v28, s13, v24
	v_and_b32_e32 v22, 1, v28
	v_lshl_add_u64 v[24:25], v[22:23], 0, -1
	v_cmp_ne_u32_e32 vcc, 0, v22
	v_mul_lo_u32 v1, v28, s10
	v_add_u32_e32 v30, v35, v1
	v_xor_b32_e32 v24, vcc_lo, v24
	v_xor_b32_e32 v22, vcc_hi, v25
	v_and_b32_e32 v29, exec_lo, v24
	v_lshlrev_b32_e32 v25, 30, v28
	v_mov_b32_e32 v24, v23
	v_cmp_gt_i64_e32 vcc, 0, v[24:25]
	v_not_b32_e32 v24, v25
	v_ashrrev_i32_e32 v24, 31, v24
	v_and_b32_e32 v22, exec_hi, v22
	v_xor_b32_e32 v25, vcc_hi, v24
	v_xor_b32_e32 v24, vcc_lo, v24
	v_and_b32_e32 v22, v22, v25
	v_and_b32_e32 v29, v29, v24
	v_lshlrev_b32_e32 v25, 29, v28
	v_mov_b32_e32 v24, v23
	v_cmp_gt_i64_e32 vcc, 0, v[24:25]
	v_not_b32_e32 v24, v25
	v_ashrrev_i32_e32 v24, 31, v24
	v_xor_b32_e32 v25, vcc_hi, v24
	v_xor_b32_e32 v24, vcc_lo, v24
	v_and_b32_e32 v22, v22, v25
	v_and_b32_e32 v29, v29, v24
	v_lshlrev_b32_e32 v25, 28, v28
	v_mov_b32_e32 v24, v23
	v_cmp_gt_i64_e32 vcc, 0, v[24:25]
	v_not_b32_e32 v24, v25
	v_ashrrev_i32_e32 v24, 31, v24
	;; [unrolled: 9-line block ×5, first 2 shown]
	v_xor_b32_e32 v25, vcc_hi, v24
	v_xor_b32_e32 v24, vcc_lo, v24
	v_and_b32_e32 v22, v22, v25
	v_lshlrev_b32_e32 v25, 24, v28
	v_and_b32_e32 v29, v29, v24
	v_mov_b32_e32 v24, v23
	v_not_b32_e32 v23, v25
	v_cmp_gt_i64_e32 vcc, 0, v[24:25]
	v_ashrrev_i32_e32 v23, 31, v23
	s_nop 0
	v_xor_b32_e32 v24, vcc_hi, v23
	v_xor_b32_e32 v25, vcc_lo, v23
	; wave barrier
	ds_read_b32 v1, v30 offset:64
	v_and_b32_e32 v23, v22, v24
	v_and_b32_e32 v22, v29, v25
	v_mbcnt_lo_u32_b32 v24, v22, 0
	v_mbcnt_hi_u32_b32 v28, v23, v24
	v_cmp_eq_u32_e32 vcc, 0, v28
	v_cmp_ne_u64_e64 s[0:1], 0, v[22:23]
	s_and_b64 s[2:3], s[0:1], vcc
	; wave barrier
	s_and_saveexec_b64 s[0:1], s[2:3]
	s_cbranch_execz .LBB547_125
; %bb.124:
	v_bcnt_u32_b32 v22, v22, 0
	v_bcnt_u32_b32 v22, v23, v22
	s_waitcnt lgkmcnt(0)
	v_add_u32_e32 v22, v1, v22
	ds_write_b32 v30, v22 offset:64
.LBB547_125:
	s_or_b64 exec, exec, s[0:1]
	s_waitcnt vmcnt(5)
	v_lshrrev_b64 v[22:23], s52, v[10:11]
	v_and_b32_e32 v31, s13, v22
	s_movk_i32 s2, 0x44
	v_mul_lo_u32 v22, v31, s2
	v_add_u32_e32 v33, v35, v22
	v_and_b32_e32 v22, 1, v31
	v_mov_b32_e32 v23, 0
	v_lshl_add_u64 v[24:25], v[22:23], 0, -1
	v_cmp_ne_u32_e32 vcc, 0, v22
	; wave barrier
	s_nop 1
	v_xor_b32_e32 v24, vcc_lo, v24
	v_xor_b32_e32 v22, vcc_hi, v25
	v_and_b32_e32 v32, exec_lo, v24
	v_lshlrev_b32_e32 v25, 30, v31
	v_mov_b32_e32 v24, v23
	v_cmp_gt_i64_e32 vcc, 0, v[24:25]
	v_not_b32_e32 v24, v25
	v_ashrrev_i32_e32 v24, 31, v24
	v_and_b32_e32 v22, exec_hi, v22
	v_xor_b32_e32 v25, vcc_hi, v24
	v_xor_b32_e32 v24, vcc_lo, v24
	v_and_b32_e32 v22, v22, v25
	v_and_b32_e32 v32, v32, v24
	v_lshlrev_b32_e32 v25, 29, v31
	v_mov_b32_e32 v24, v23
	v_cmp_gt_i64_e32 vcc, 0, v[24:25]
	v_not_b32_e32 v24, v25
	v_ashrrev_i32_e32 v24, 31, v24
	v_xor_b32_e32 v25, vcc_hi, v24
	v_xor_b32_e32 v24, vcc_lo, v24
	v_and_b32_e32 v22, v22, v25
	v_and_b32_e32 v32, v32, v24
	v_lshlrev_b32_e32 v25, 28, v31
	v_mov_b32_e32 v24, v23
	v_cmp_gt_i64_e32 vcc, 0, v[24:25]
	v_not_b32_e32 v24, v25
	v_ashrrev_i32_e32 v24, 31, v24
	;; [unrolled: 9-line block ×6, first 2 shown]
	v_xor_b32_e32 v25, vcc_hi, v24
	v_xor_b32_e32 v24, vcc_lo, v24
	ds_read_b32 v29, v33 offset:64
	v_and_b32_e32 v24, v32, v24
	v_and_b32_e32 v25, v22, v25
	v_mbcnt_lo_u32_b32 v22, v24, 0
	v_mbcnt_hi_u32_b32 v31, v25, v22
	v_cmp_eq_u32_e32 vcc, 0, v31
	v_cmp_ne_u64_e64 s[0:1], 0, v[24:25]
	s_and_b64 s[4:5], s[0:1], vcc
	; wave barrier
	s_and_saveexec_b64 s[0:1], s[4:5]
	s_cbranch_execz .LBB547_127
; %bb.126:
	v_bcnt_u32_b32 v22, v24, 0
	v_bcnt_u32_b32 v22, v25, v22
	s_waitcnt lgkmcnt(0)
	v_add_u32_e32 v22, v29, v22
	ds_write_b32 v33, v22 offset:64
.LBB547_127:
	s_or_b64 exec, exec, s[0:1]
	s_waitcnt vmcnt(4)
	v_lshrrev_b64 v[24:25], s52, v[12:13]
	v_and_b32_e32 v34, s13, v24
	v_mul_lo_u32 v22, v34, s2
	v_add_u32_e32 v37, v35, v22
	v_and_b32_e32 v22, 1, v34
	v_lshl_add_u64 v[24:25], v[22:23], 0, -1
	v_cmp_ne_u32_e32 vcc, 0, v22
	; wave barrier
	s_nop 1
	v_xor_b32_e32 v24, vcc_lo, v24
	v_xor_b32_e32 v22, vcc_hi, v25
	v_and_b32_e32 v36, exec_lo, v24
	v_lshlrev_b32_e32 v25, 30, v34
	v_mov_b32_e32 v24, v23
	v_cmp_gt_i64_e32 vcc, 0, v[24:25]
	v_not_b32_e32 v24, v25
	v_ashrrev_i32_e32 v24, 31, v24
	v_and_b32_e32 v22, exec_hi, v22
	v_xor_b32_e32 v25, vcc_hi, v24
	v_xor_b32_e32 v24, vcc_lo, v24
	v_and_b32_e32 v22, v22, v25
	v_and_b32_e32 v36, v36, v24
	v_lshlrev_b32_e32 v25, 29, v34
	v_mov_b32_e32 v24, v23
	v_cmp_gt_i64_e32 vcc, 0, v[24:25]
	v_not_b32_e32 v24, v25
	v_ashrrev_i32_e32 v24, 31, v24
	v_xor_b32_e32 v25, vcc_hi, v24
	v_xor_b32_e32 v24, vcc_lo, v24
	v_and_b32_e32 v22, v22, v25
	v_and_b32_e32 v36, v36, v24
	v_lshlrev_b32_e32 v25, 28, v34
	v_mov_b32_e32 v24, v23
	v_cmp_gt_i64_e32 vcc, 0, v[24:25]
	v_not_b32_e32 v24, v25
	v_ashrrev_i32_e32 v24, 31, v24
	;; [unrolled: 9-line block ×5, first 2 shown]
	v_xor_b32_e32 v25, vcc_hi, v24
	v_xor_b32_e32 v24, vcc_lo, v24
	v_and_b32_e32 v22, v22, v25
	v_lshlrev_b32_e32 v25, 24, v34
	v_and_b32_e32 v36, v36, v24
	v_mov_b32_e32 v24, v23
	v_not_b32_e32 v23, v25
	v_cmp_gt_i64_e32 vcc, 0, v[24:25]
	v_ashrrev_i32_e32 v23, 31, v23
	ds_read_b32 v32, v37 offset:64
	v_xor_b32_e32 v24, vcc_hi, v23
	v_xor_b32_e32 v25, vcc_lo, v23
	v_and_b32_e32 v23, v22, v24
	v_and_b32_e32 v22, v36, v25
	v_mbcnt_lo_u32_b32 v24, v22, 0
	v_mbcnt_hi_u32_b32 v34, v23, v24
	v_cmp_eq_u32_e32 vcc, 0, v34
	v_cmp_ne_u64_e64 s[0:1], 0, v[22:23]
	s_and_b64 s[2:3], s[0:1], vcc
	; wave barrier
	s_and_saveexec_b64 s[0:1], s[2:3]
	s_cbranch_execz .LBB547_129
; %bb.128:
	v_bcnt_u32_b32 v22, v22, 0
	v_bcnt_u32_b32 v22, v23, v22
	s_waitcnt lgkmcnt(0)
	v_add_u32_e32 v22, v32, v22
	ds_write_b32 v37, v22 offset:64
.LBB547_129:
	s_or_b64 exec, exec, s[0:1]
	s_waitcnt vmcnt(3)
	v_lshrrev_b64 v[22:23], s52, v[14:15]
	v_and_b32_e32 v38, s13, v22
	s_movk_i32 s2, 0x44
	v_mul_lo_u32 v22, v38, s2
	v_add_u32_e32 v40, v35, v22
	v_and_b32_e32 v22, 1, v38
	v_mov_b32_e32 v23, 0
	v_lshl_add_u64 v[24:25], v[22:23], 0, -1
	v_cmp_ne_u32_e32 vcc, 0, v22
	; wave barrier
	s_nop 1
	v_xor_b32_e32 v24, vcc_lo, v24
	v_xor_b32_e32 v22, vcc_hi, v25
	v_and_b32_e32 v39, exec_lo, v24
	v_lshlrev_b32_e32 v25, 30, v38
	v_mov_b32_e32 v24, v23
	v_cmp_gt_i64_e32 vcc, 0, v[24:25]
	v_not_b32_e32 v24, v25
	v_ashrrev_i32_e32 v24, 31, v24
	v_and_b32_e32 v22, exec_hi, v22
	v_xor_b32_e32 v25, vcc_hi, v24
	v_xor_b32_e32 v24, vcc_lo, v24
	v_and_b32_e32 v22, v22, v25
	v_and_b32_e32 v39, v39, v24
	v_lshlrev_b32_e32 v25, 29, v38
	v_mov_b32_e32 v24, v23
	v_cmp_gt_i64_e32 vcc, 0, v[24:25]
	v_not_b32_e32 v24, v25
	v_ashrrev_i32_e32 v24, 31, v24
	v_xor_b32_e32 v25, vcc_hi, v24
	v_xor_b32_e32 v24, vcc_lo, v24
	v_and_b32_e32 v22, v22, v25
	v_and_b32_e32 v39, v39, v24
	v_lshlrev_b32_e32 v25, 28, v38
	v_mov_b32_e32 v24, v23
	v_cmp_gt_i64_e32 vcc, 0, v[24:25]
	v_not_b32_e32 v24, v25
	v_ashrrev_i32_e32 v24, 31, v24
	;; [unrolled: 9-line block ×6, first 2 shown]
	v_xor_b32_e32 v25, vcc_hi, v24
	v_xor_b32_e32 v24, vcc_lo, v24
	ds_read_b32 v36, v40 offset:64
	v_and_b32_e32 v24, v39, v24
	v_and_b32_e32 v25, v22, v25
	v_mbcnt_lo_u32_b32 v22, v24, 0
	v_mbcnt_hi_u32_b32 v38, v25, v22
	v_cmp_eq_u32_e32 vcc, 0, v38
	v_cmp_ne_u64_e64 s[0:1], 0, v[24:25]
	s_and_b64 s[4:5], s[0:1], vcc
	; wave barrier
	s_and_saveexec_b64 s[0:1], s[4:5]
	s_cbranch_execz .LBB547_131
; %bb.130:
	v_bcnt_u32_b32 v22, v24, 0
	v_bcnt_u32_b32 v22, v25, v22
	s_waitcnt lgkmcnt(0)
	v_add_u32_e32 v22, v36, v22
	ds_write_b32 v40, v22 offset:64
.LBB547_131:
	s_or_b64 exec, exec, s[0:1]
	s_waitcnt vmcnt(2)
	v_lshrrev_b64 v[24:25], s52, v[16:17]
	v_and_b32_e32 v41, s13, v24
	v_mul_lo_u32 v22, v41, s2
	v_add_u32_e32 v43, v35, v22
	v_and_b32_e32 v22, 1, v41
	v_lshl_add_u64 v[24:25], v[22:23], 0, -1
	v_cmp_ne_u32_e32 vcc, 0, v22
	; wave barrier
	s_nop 1
	v_xor_b32_e32 v24, vcc_lo, v24
	v_xor_b32_e32 v22, vcc_hi, v25
	v_and_b32_e32 v42, exec_lo, v24
	v_lshlrev_b32_e32 v25, 30, v41
	v_mov_b32_e32 v24, v23
	v_cmp_gt_i64_e32 vcc, 0, v[24:25]
	v_not_b32_e32 v24, v25
	v_ashrrev_i32_e32 v24, 31, v24
	v_and_b32_e32 v22, exec_hi, v22
	v_xor_b32_e32 v25, vcc_hi, v24
	v_xor_b32_e32 v24, vcc_lo, v24
	v_and_b32_e32 v22, v22, v25
	v_and_b32_e32 v42, v42, v24
	v_lshlrev_b32_e32 v25, 29, v41
	v_mov_b32_e32 v24, v23
	v_cmp_gt_i64_e32 vcc, 0, v[24:25]
	v_not_b32_e32 v24, v25
	v_ashrrev_i32_e32 v24, 31, v24
	v_xor_b32_e32 v25, vcc_hi, v24
	v_xor_b32_e32 v24, vcc_lo, v24
	v_and_b32_e32 v22, v22, v25
	v_and_b32_e32 v42, v42, v24
	v_lshlrev_b32_e32 v25, 28, v41
	v_mov_b32_e32 v24, v23
	v_cmp_gt_i64_e32 vcc, 0, v[24:25]
	v_not_b32_e32 v24, v25
	v_ashrrev_i32_e32 v24, 31, v24
	v_xor_b32_e32 v25, vcc_hi, v24
	v_xor_b32_e32 v24, vcc_lo, v24
	v_and_b32_e32 v22, v22, v25
	v_and_b32_e32 v42, v42, v24
	v_lshlrev_b32_e32 v25, 27, v41
	v_mov_b32_e32 v24, v23
	v_cmp_gt_i64_e32 vcc, 0, v[24:25]
	v_not_b32_e32 v24, v25
	v_ashrrev_i32_e32 v24, 31, v24
	v_xor_b32_e32 v25, vcc_hi, v24
	v_xor_b32_e32 v24, vcc_lo, v24
	v_and_b32_e32 v22, v22, v25
	v_and_b32_e32 v42, v42, v24
	v_lshlrev_b32_e32 v25, 26, v41
	v_mov_b32_e32 v24, v23
	v_cmp_gt_i64_e32 vcc, 0, v[24:25]
	v_not_b32_e32 v24, v25
	v_ashrrev_i32_e32 v24, 31, v24
	v_xor_b32_e32 v25, vcc_hi, v24
	v_xor_b32_e32 v24, vcc_lo, v24
	v_and_b32_e32 v22, v22, v25
	v_and_b32_e32 v42, v42, v24
	v_lshlrev_b32_e32 v25, 25, v41
	v_mov_b32_e32 v24, v23
	v_cmp_gt_i64_e32 vcc, 0, v[24:25]
	v_not_b32_e32 v24, v25
	v_ashrrev_i32_e32 v24, 31, v24
	v_xor_b32_e32 v25, vcc_hi, v24
	v_xor_b32_e32 v24, vcc_lo, v24
	v_and_b32_e32 v22, v22, v25
	v_lshlrev_b32_e32 v25, 24, v41
	v_and_b32_e32 v42, v42, v24
	v_mov_b32_e32 v24, v23
	v_not_b32_e32 v23, v25
	v_cmp_gt_i64_e32 vcc, 0, v[24:25]
	v_ashrrev_i32_e32 v23, 31, v23
	ds_read_b32 v39, v43 offset:64
	v_xor_b32_e32 v24, vcc_hi, v23
	v_xor_b32_e32 v25, vcc_lo, v23
	v_and_b32_e32 v23, v22, v24
	v_and_b32_e32 v22, v42, v25
	v_mbcnt_lo_u32_b32 v24, v22, 0
	v_mbcnt_hi_u32_b32 v41, v23, v24
	v_cmp_eq_u32_e32 vcc, 0, v41
	v_cmp_ne_u64_e64 s[0:1], 0, v[22:23]
	s_and_b64 s[2:3], s[0:1], vcc
	; wave barrier
	s_and_saveexec_b64 s[0:1], s[2:3]
	s_cbranch_execz .LBB547_133
; %bb.132:
	v_bcnt_u32_b32 v22, v22, 0
	v_bcnt_u32_b32 v22, v23, v22
	s_waitcnt lgkmcnt(0)
	v_add_u32_e32 v22, v39, v22
	ds_write_b32 v43, v22 offset:64
.LBB547_133:
	s_or_b64 exec, exec, s[0:1]
	s_waitcnt vmcnt(1)
	v_lshrrev_b64 v[22:23], s52, v[18:19]
	v_and_b32_e32 v44, s13, v22
	s_movk_i32 s2, 0x44
	v_mul_lo_u32 v22, v44, s2
	v_add_u32_e32 v46, v35, v22
	v_and_b32_e32 v22, 1, v44
	v_mov_b32_e32 v23, 0
	v_lshl_add_u64 v[24:25], v[22:23], 0, -1
	v_cmp_ne_u32_e32 vcc, 0, v22
	; wave barrier
	s_nop 1
	v_xor_b32_e32 v24, vcc_lo, v24
	v_xor_b32_e32 v22, vcc_hi, v25
	v_and_b32_e32 v45, exec_lo, v24
	v_lshlrev_b32_e32 v25, 30, v44
	v_mov_b32_e32 v24, v23
	v_cmp_gt_i64_e32 vcc, 0, v[24:25]
	v_not_b32_e32 v24, v25
	v_ashrrev_i32_e32 v24, 31, v24
	v_and_b32_e32 v22, exec_hi, v22
	v_xor_b32_e32 v25, vcc_hi, v24
	v_xor_b32_e32 v24, vcc_lo, v24
	v_and_b32_e32 v22, v22, v25
	v_and_b32_e32 v45, v45, v24
	v_lshlrev_b32_e32 v25, 29, v44
	v_mov_b32_e32 v24, v23
	v_cmp_gt_i64_e32 vcc, 0, v[24:25]
	v_not_b32_e32 v24, v25
	v_ashrrev_i32_e32 v24, 31, v24
	v_xor_b32_e32 v25, vcc_hi, v24
	v_xor_b32_e32 v24, vcc_lo, v24
	v_and_b32_e32 v22, v22, v25
	v_and_b32_e32 v45, v45, v24
	v_lshlrev_b32_e32 v25, 28, v44
	v_mov_b32_e32 v24, v23
	v_cmp_gt_i64_e32 vcc, 0, v[24:25]
	v_not_b32_e32 v24, v25
	v_ashrrev_i32_e32 v24, 31, v24
	;; [unrolled: 9-line block ×6, first 2 shown]
	v_xor_b32_e32 v25, vcc_hi, v24
	v_xor_b32_e32 v24, vcc_lo, v24
	ds_read_b32 v42, v46 offset:64
	v_and_b32_e32 v24, v45, v24
	v_and_b32_e32 v25, v22, v25
	v_mbcnt_lo_u32_b32 v22, v24, 0
	v_mbcnt_hi_u32_b32 v44, v25, v22
	v_cmp_eq_u32_e32 vcc, 0, v44
	v_cmp_ne_u64_e64 s[0:1], 0, v[24:25]
	s_and_b64 s[4:5], s[0:1], vcc
	; wave barrier
	s_and_saveexec_b64 s[0:1], s[4:5]
	s_cbranch_execz .LBB547_135
; %bb.134:
	v_bcnt_u32_b32 v22, v24, 0
	v_bcnt_u32_b32 v22, v25, v22
	s_waitcnt lgkmcnt(0)
	v_add_u32_e32 v22, v42, v22
	ds_write_b32 v46, v22 offset:64
.LBB547_135:
	s_or_b64 exec, exec, s[0:1]
	s_waitcnt vmcnt(0)
	v_lshrrev_b64 v[24:25], s52, v[20:21]
	v_and_b32_e32 v47, s13, v24
	v_mul_lo_u32 v22, v47, s2
	v_add_u32_e32 v48, v35, v22
	v_and_b32_e32 v22, 1, v47
	v_lshl_add_u64 v[24:25], v[22:23], 0, -1
	v_cmp_ne_u32_e32 vcc, 0, v22
	; wave barrier
	s_nop 1
	v_xor_b32_e32 v24, vcc_lo, v24
	v_xor_b32_e32 v22, vcc_hi, v25
	v_and_b32_e32 v35, exec_lo, v24
	v_lshlrev_b32_e32 v25, 30, v47
	v_mov_b32_e32 v24, v23
	v_cmp_gt_i64_e32 vcc, 0, v[24:25]
	v_not_b32_e32 v24, v25
	v_ashrrev_i32_e32 v24, 31, v24
	v_and_b32_e32 v22, exec_hi, v22
	v_xor_b32_e32 v25, vcc_hi, v24
	v_xor_b32_e32 v24, vcc_lo, v24
	v_and_b32_e32 v22, v22, v25
	v_and_b32_e32 v35, v35, v24
	v_lshlrev_b32_e32 v25, 29, v47
	v_mov_b32_e32 v24, v23
	v_cmp_gt_i64_e32 vcc, 0, v[24:25]
	v_not_b32_e32 v24, v25
	v_ashrrev_i32_e32 v24, 31, v24
	v_xor_b32_e32 v25, vcc_hi, v24
	v_xor_b32_e32 v24, vcc_lo, v24
	v_and_b32_e32 v22, v22, v25
	v_and_b32_e32 v35, v35, v24
	v_lshlrev_b32_e32 v25, 28, v47
	v_mov_b32_e32 v24, v23
	v_cmp_gt_i64_e32 vcc, 0, v[24:25]
	v_not_b32_e32 v24, v25
	v_ashrrev_i32_e32 v24, 31, v24
	;; [unrolled: 9-line block ×5, first 2 shown]
	v_xor_b32_e32 v25, vcc_hi, v24
	v_xor_b32_e32 v24, vcc_lo, v24
	v_and_b32_e32 v22, v22, v25
	v_lshlrev_b32_e32 v25, 24, v47
	v_and_b32_e32 v35, v35, v24
	v_mov_b32_e32 v24, v23
	v_not_b32_e32 v23, v25
	v_cmp_gt_i64_e32 vcc, 0, v[24:25]
	v_ashrrev_i32_e32 v23, 31, v23
	ds_read_b32 v45, v48 offset:64
	v_xor_b32_e32 v24, vcc_hi, v23
	v_xor_b32_e32 v25, vcc_lo, v23
	v_and_b32_e32 v23, v22, v24
	v_and_b32_e32 v22, v35, v25
	v_mbcnt_lo_u32_b32 v24, v22, 0
	v_mbcnt_hi_u32_b32 v47, v23, v24
	v_cmp_eq_u32_e32 vcc, 0, v47
	v_cmp_ne_u64_e64 s[0:1], 0, v[22:23]
	s_and_b64 s[2:3], s[0:1], vcc
	; wave barrier
	s_and_saveexec_b64 s[0:1], s[2:3]
	s_cbranch_execz .LBB547_137
; %bb.136:
	v_bcnt_u32_b32 v22, v22, 0
	v_bcnt_u32_b32 v22, v23, v22
	s_waitcnt lgkmcnt(0)
	v_add_u32_e32 v22, v45, v22
	ds_write_b32 v48, v22 offset:64
.LBB547_137:
	s_or_b64 exec, exec, s[0:1]
	; wave barrier
	s_waitcnt lgkmcnt(0)
	s_barrier
	ds_read2_b32 v[24:25], v5 offset0:16 offset1:17
	ds_read2_b32 v[22:23], v5 offset0:18 offset1:19
	ds_read_b32 v35, v5 offset:80
	v_cmp_lt_u32_e64 s[6:7], 31, v26
	s_waitcnt lgkmcnt(1)
	v_add3_u32 v49, v25, v24, v22
	s_waitcnt lgkmcnt(0)
	v_add3_u32 v35, v49, v23, v35
	v_and_b32_e32 v49, 15, v26
	v_cmp_eq_u32_e32 vcc, 0, v49
	v_mov_b32_dpp v50, v35 row_shr:1 row_mask:0xf bank_mask:0xf
	v_cmp_lt_u32_e64 s[0:1], 1, v49
	v_cndmask_b32_e64 v50, v50, 0, vcc
	v_add_u32_e32 v35, v50, v35
	v_cmp_lt_u32_e64 s[2:3], 3, v49
	v_cmp_lt_u32_e64 s[4:5], 7, v49
	v_mov_b32_dpp v50, v35 row_shr:2 row_mask:0xf bank_mask:0xf
	v_cndmask_b32_e64 v50, 0, v50, s[0:1]
	v_add_u32_e32 v35, v35, v50
	s_nop 1
	v_mov_b32_dpp v50, v35 row_shr:4 row_mask:0xf bank_mask:0xf
	v_cndmask_b32_e64 v50, 0, v50, s[2:3]
	v_add_u32_e32 v35, v35, v50
	s_nop 1
	v_mov_b32_dpp v50, v35 row_shr:8 row_mask:0xf bank_mask:0xf
	v_cndmask_b32_e64 v49, 0, v50, s[4:5]
	v_add_u32_e32 v35, v35, v49
	v_bfe_i32 v50, v26, 4, 1
	s_nop 0
	v_mov_b32_dpp v49, v35 row_bcast:15 row_mask:0xf bank_mask:0xf
	v_and_b32_e32 v49, v50, v49
	v_add_u32_e32 v35, v35, v49
	v_lshrrev_b32_e32 v50, 6, v2
	s_nop 0
	v_mov_b32_dpp v49, v35 row_bcast:31 row_mask:0xf bank_mask:0xf
	v_cndmask_b32_e64 v49, 0, v49, s[6:7]
	v_add_u32_e32 v49, v35, v49
	v_and_b32_e32 v35, 63, v2
	v_cmp_eq_u32_e64 s[6:7], 63, v35
	s_and_saveexec_b64 s[10:11], s[6:7]
; %bb.138:
	v_lshlrev_b32_e32 v35, 2, v50
	ds_write_b32 v35, v49
; %bb.139:
	s_or_b64 exec, exec, s[10:11]
	v_cmp_gt_u32_e64 s[6:7], 16, v2
	v_lshlrev_b32_e32 v35, 2, v2
	s_waitcnt lgkmcnt(0)
	s_barrier
	s_and_saveexec_b64 s[10:11], s[6:7]
	s_cbranch_execz .LBB547_141
; %bb.140:
	ds_read_b32 v51, v35
	s_waitcnt lgkmcnt(0)
	s_nop 0
	v_mov_b32_dpp v52, v51 row_shr:1 row_mask:0xf bank_mask:0xf
	v_cndmask_b32_e64 v52, v52, 0, vcc
	v_add_u32_e32 v51, v52, v51
	s_nop 1
	v_mov_b32_dpp v52, v51 row_shr:2 row_mask:0xf bank_mask:0xf
	v_cndmask_b32_e64 v52, 0, v52, s[0:1]
	v_add_u32_e32 v51, v51, v52
	s_nop 1
	v_mov_b32_dpp v52, v51 row_shr:4 row_mask:0xf bank_mask:0xf
	v_cndmask_b32_e64 v52, 0, v52, s[2:3]
	;; [unrolled: 4-line block ×3, first 2 shown]
	v_add_u32_e32 v51, v51, v52
	ds_write_b32 v35, v51
.LBB547_141:
	s_or_b64 exec, exec, s[10:11]
	v_cmp_lt_u32_e32 vcc, 63, v2
	v_mov_b32_e32 v51, 0
	s_waitcnt lgkmcnt(0)
	s_barrier
	s_and_saveexec_b64 s[0:1], vcc
; %bb.142:
	v_lshl_add_u32 v50, v50, 2, -4
	ds_read_b32 v51, v50
; %bb.143:
	s_or_b64 exec, exec, s[0:1]
	v_subrev_co_u32_e32 v50, vcc, 1, v26
	v_and_b32_e32 v52, 64, v26
	v_cmp_lt_i32_e64 s[0:1], v50, v52
	s_waitcnt lgkmcnt(0)
	v_add_u32_e32 v49, v51, v49
	s_movk_i32 s2, 0x100
	v_cndmask_b32_e64 v26, v50, v26, s[0:1]
	v_lshlrev_b32_e32 v26, 2, v26
	ds_bpermute_b32 v26, v26, v49
	s_movk_i32 s0, 0xff
	s_waitcnt lgkmcnt(0)
	v_cndmask_b32_e32 v26, v26, v51, vcc
	v_cndmask_b32_e64 v26, v26, 0, s[18:19]
	v_add_u32_e32 v24, v26, v24
	v_add_u32_e32 v25, v24, v25
	;; [unrolled: 1-line block ×4, first 2 shown]
	ds_write2_b32 v5, v26, v24 offset0:16 offset1:17
	ds_write2_b32 v5, v25, v22 offset0:18 offset1:19
	ds_write_b32 v5, v23 offset:80
	s_waitcnt lgkmcnt(0)
	s_barrier
	ds_read_b32 v52, v27 offset:64
	ds_read_b32 v5, v30 offset:64
	;; [unrolled: 1-line block ×8, first 2 shown]
	v_cmp_lt_u32_e32 vcc, s0, v2
	v_cmp_gt_u32_e64 s[0:1], s2, v2
                                        ; implicit-def: $vgpr30
                                        ; implicit-def: $vgpr33
	s_and_saveexec_b64 s[4:5], s[0:1]
	s_cbranch_execz .LBB547_147
; %bb.144:
	v_mul_u32_u24_e32 v22, 0x44, v2
	ds_read_b32 v30, v22 offset:64
	v_add_u32_e32 v23, 1, v2
	v_cmp_ne_u32_e64 s[2:3], s2, v23
	v_mov_b32_e32 v22, 0x2000
	s_and_saveexec_b64 s[6:7], s[2:3]
; %bb.145:
	v_mul_u32_u24_e32 v22, 0x44, v23
	ds_read_b32 v22, v22 offset:64
; %bb.146:
	s_or_b64 exec, exec, s[6:7]
	s_waitcnt lgkmcnt(0)
	v_sub_u32_e32 v33, v22, v30
.LBB547_147:
	s_or_b64 exec, exec, s[4:5]
	v_mov_b32_e32 v23, 0
	s_waitcnt lgkmcnt(0)
	s_barrier
	s_and_saveexec_b64 s[2:3], s[0:1]
	s_cbranch_execz .LBB547_157
; %bb.148:
	v_lshl_add_u32 v22, s33, 8, v2
	v_lshl_add_u64 v[24:25], v[22:23], 2, s[56:57]
	v_or_b32_e32 v22, 2.0, v33
	s_mov_b64 s[4:5], 0
	s_brev_b32 s14, -4
	s_mov_b32 s15, s33
	v_mov_b32_e32 v46, 0
	global_store_dword v[24:25], v22, off sc1
                                        ; implicit-def: $sgpr0_sgpr1
	s_branch .LBB547_151
.LBB547_149:                            ;   in Loop: Header=BB547_151 Depth=1
	s_or_b64 exec, exec, s[10:11]
.LBB547_150:                            ;   in Loop: Header=BB547_151 Depth=1
	s_or_b64 exec, exec, s[6:7]
	v_and_b32_e32 v26, 0x3fffffff, v22
	v_add_u32_e32 v46, v26, v46
	v_cmp_gt_i32_e64 s[0:1], -2.0, v22
	s_and_b64 s[6:7], exec, s[0:1]
	s_or_b64 s[4:5], s[6:7], s[4:5]
	s_andn2_b64 exec, exec, s[4:5]
	s_cbranch_execz .LBB547_156
.LBB547_151:                            ; =>This Loop Header: Depth=1
                                        ;     Child Loop BB547_154 Depth 2
	s_or_b64 s[0:1], s[0:1], exec
	s_cmp_eq_u32 s15, 0
	s_cbranch_scc1 .LBB547_155
; %bb.152:                              ;   in Loop: Header=BB547_151 Depth=1
	s_add_i32 s15, s15, -1
	v_lshl_or_b32 v22, s15, 8, v2
	v_lshl_add_u64 v[26:27], v[22:23], 2, s[56:57]
	global_load_dword v22, v[26:27], off sc1
	s_waitcnt vmcnt(0)
	v_cmp_gt_u32_e64 s[0:1], 2.0, v22
	s_and_saveexec_b64 s[6:7], s[0:1]
	s_cbranch_execz .LBB547_150
; %bb.153:                              ;   in Loop: Header=BB547_151 Depth=1
	s_mov_b64 s[10:11], 0
.LBB547_154:                            ;   Parent Loop BB547_151 Depth=1
                                        ; =>  This Inner Loop Header: Depth=2
	global_load_dword v22, v[26:27], off sc1
	s_waitcnt vmcnt(0)
	v_cmp_lt_u32_e64 s[0:1], s14, v22
	s_or_b64 s[10:11], s[0:1], s[10:11]
	s_andn2_b64 exec, exec, s[10:11]
	s_cbranch_execnz .LBB547_154
	s_branch .LBB547_149
.LBB547_155:                            ;   in Loop: Header=BB547_151 Depth=1
                                        ; implicit-def: $sgpr15
	s_and_b64 s[6:7], exec, s[0:1]
	s_or_b64 s[4:5], s[6:7], s[4:5]
	s_andn2_b64 exec, exec, s[4:5]
	s_cbranch_execnz .LBB547_151
.LBB547_156:
	s_or_b64 exec, exec, s[4:5]
	v_add_u32_e32 v22, v46, v33
	v_or_b32_e32 v22, 0x80000000, v22
	global_store_dword v[24:25], v22, off sc1
	global_load_dword v22, v35, s[48:49]
	v_sub_u32_e32 v23, v46, v30
	s_waitcnt vmcnt(0)
	v_add_u32_e32 v22, v23, v22
	ds_write_b32 v35, v22
.LBB547_157:
	s_or_b64 exec, exec, s[2:3]
	v_add_u32_e32 v3, v52, v3
	v_add3_u32 v22, v28, v1, v5
	v_add3_u32 v23, v31, v29, v49
	;; [unrolled: 1-line block ×7, first 2 shown]
	v_mov_b32_e32 v53, 0x400
	s_mov_b32 s4, s52
	s_mov_b32 s5, s13
	s_movk_i32 s6, 0x400
	v_lshl_add_u32 v24, v24, 3, v53
	v_add3_u32 v25, v47, v43, v45
	v_lshl_add_u32 v26, v26, 3, v53
	v_add3_u32 v27, v44, v37, v42
	;; [unrolled: 2-line block ×7, first 2 shown]
	v_lshl_add_u32 v41, v3, 3, v53
	s_mov_b32 s7, 0
	s_mov_b32 s10, 0
	s_movk_i32 s11, 0x800
	v_add_u32_e32 v42, v35, v35
	v_mov_b32_e32 v23, 0
	v_mov_b32_e32 v1, v2
	s_mov_b32 s14, 0
	s_branch .LBB547_159
.LBB547_158:                            ;   in Loop: Header=BB547_159 Depth=1
	s_or_b64 exec, exec, s[2:3]
	s_waitcnt lgkmcnt(0)
	s_barrier
	ds_read2st64_b64 v[44:47], v42 offset0:2 offset1:18
	s_addk_i32 s14, 0xc000
	s_addk_i32 s10, 0xf800
	s_waitcnt lgkmcnt(0)
	v_lshrrev_b64 v[48:49], s52, v[44:45]
	v_lshrrev_b64 v[50:51], s4, v[46:47]
	v_and_b32_e32 v48, s13, v48
	v_and_b32_e32 v49, s5, v50
	v_lshlrev_b32_e32 v5, 2, v48
	ds_read_b32 v5, v5
	v_lshlrev_b32_e32 v22, 2, v49
	ds_read_b32 v43, v22
	s_waitcnt lgkmcnt(1)
	v_add_u32_e32 v22, v1, v5
	v_lshl_add_u64 v[50:51], v[22:23], 3, s[42:43]
	s_waitcnt lgkmcnt(0)
	v_add3_u32 v22, v1, v43, s6
	global_store_dwordx2 v[50:51], v[44:45], off
	v_lshl_add_u64 v[44:45], v[22:23], 3, s[42:43]
	global_store_dwordx2 v[44:45], v[46:47], off
	scratch_store_dwordx2 off, v[48:49], s7
	s_add_i32 s7, s7, 8
	s_cmp_eq_u32 s14, 0xffff0000
	v_add_u32_e32 v1, 0x800, v1
	s_barrier
	s_cbranch_scc1 .LBB547_175
.LBB547_159:                            ; =>This Inner Loop Header: Depth=1
	v_add_u32_e32 v5, s10, v3
	v_cmp_gt_u32_e64 s[0:1], s11, v5
	s_and_saveexec_b64 s[2:3], s[0:1]
; %bb.160:                              ;   in Loop: Header=BB547_159 Depth=1
	v_add_u32_e32 v5, s14, v41
	ds_write_b64 v5, v[6:7]
; %bb.161:                              ;   in Loop: Header=BB547_159 Depth=1
	s_or_b64 exec, exec, s[2:3]
	v_add_u32_e32 v5, s10, v28
	v_cmp_gt_u32_e64 s[0:1], s11, v5
	s_and_saveexec_b64 s[2:3], s[0:1]
; %bb.162:                              ;   in Loop: Header=BB547_159 Depth=1
	v_add_u32_e32 v5, s14, v31
	ds_write_b64 v5, v[8:9]
; %bb.163:                              ;   in Loop: Header=BB547_159 Depth=1
	s_or_b64 exec, exec, s[2:3]
	;; [unrolled: 8-line block ×7, first 2 shown]
	v_add_u32_e32 v5, s10, v25
	v_cmp_gt_u32_e64 s[0:1], s11, v5
	s_and_saveexec_b64 s[2:3], s[0:1]
	s_cbranch_execz .LBB547_158
; %bb.174:                              ;   in Loop: Header=BB547_159 Depth=1
	v_add_u32_e32 v5, s14, v24
	ds_write_b64 v5, v[20:21]
	s_branch .LBB547_158
.LBB547_175:
	s_add_u32 s0, s44, s8
	s_addc_u32 s1, s45, s9
	v_mov_b32_e32 v1, 0
	v_lshl_add_u64 v[6:7], s[0:1], 0, v[0:1]
	v_mov_b32_e32 v5, v1
	v_lshl_add_u64 v[20:21], v[6:7], 0, v[4:5]
	global_load_dwordx2 v[4:5], v[20:21], off
	global_load_dwordx2 v[6:7], v[20:21], off offset:512
	global_load_dwordx2 v[8:9], v[20:21], off offset:1024
	global_load_dwordx2 v[10:11], v[20:21], off offset:1536
	global_load_dwordx2 v[12:13], v[20:21], off offset:2048
	global_load_dwordx2 v[14:15], v[20:21], off offset:2560
	global_load_dwordx2 v[16:17], v[20:21], off offset:3072
	global_load_dwordx2 v[18:19], v[20:21], off offset:3584
	s_mov_b32 s4, 0
	s_mov_b32 s5, 0
	s_movk_i32 s6, 0x800
	s_movk_i32 s7, 0x400
	s_mov_b32 s8, 0
	s_branch .LBB547_177
.LBB547_176:                            ;   in Loop: Header=BB547_177 Depth=1
	s_or_b64 exec, exec, s[2:3]
	s_waitcnt lgkmcnt(0)
	s_barrier
	scratch_load_dwordx2 v[44:45], off, s4
	ds_read2st64_b64 v[20:23], v42 offset0:2 offset1:18
	s_addk_i32 s8, 0xc000
	s_addk_i32 s5, 0xf800
	s_add_i32 s4, s4, 8
	s_cmp_eq_u32 s8, 0xffff0000
	s_waitcnt vmcnt(0)
	v_lshlrev_b32_e32 v0, 2, v44
	ds_read_b32 v0, v0
	v_lshlrev_b32_e32 v43, 2, v45
	ds_read_b32 v43, v43
	s_waitcnt lgkmcnt(1)
	v_add_u32_e32 v0, v2, v0
	v_lshl_add_u64 v[44:45], v[0:1], 3, s[46:47]
	s_waitcnt lgkmcnt(0)
	v_add3_u32 v0, v2, v43, s7
	global_store_dwordx2 v[44:45], v[20:21], off
	v_lshl_add_u64 v[20:21], v[0:1], 3, s[46:47]
	v_add_u32_e32 v2, 0x800, v2
	global_store_dwordx2 v[20:21], v[22:23], off
	s_barrier
	s_cbranch_scc1 .LBB547_193
.LBB547_177:                            ; =>This Inner Loop Header: Depth=1
	v_add_u32_e32 v0, s5, v3
	v_cmp_gt_u32_e64 s[0:1], s6, v0
	s_and_saveexec_b64 s[2:3], s[0:1]
	s_cbranch_execz .LBB547_179
; %bb.178:                              ;   in Loop: Header=BB547_177 Depth=1
	v_add_u32_e32 v0, s8, v41
	s_waitcnt vmcnt(7)
	ds_write_b64 v0, v[4:5]
.LBB547_179:                            ;   in Loop: Header=BB547_177 Depth=1
	s_or_b64 exec, exec, s[2:3]
	v_add_u32_e32 v0, s5, v28
	v_cmp_gt_u32_e64 s[0:1], s6, v0
	s_and_saveexec_b64 s[2:3], s[0:1]
	s_cbranch_execz .LBB547_181
; %bb.180:                              ;   in Loop: Header=BB547_177 Depth=1
	v_add_u32_e32 v0, s8, v31
	s_waitcnt vmcnt(6)
	ds_write_b64 v0, v[6:7]
.LBB547_181:                            ;   in Loop: Header=BB547_177 Depth=1
	s_or_b64 exec, exec, s[2:3]
	;; [unrolled: 10-line block ×7, first 2 shown]
	v_add_u32_e32 v0, s5, v25
	v_cmp_gt_u32_e64 s[0:1], s6, v0
	s_and_saveexec_b64 s[2:3], s[0:1]
	s_cbranch_execz .LBB547_176
; %bb.192:                              ;   in Loop: Header=BB547_177 Depth=1
	v_add_u32_e32 v0, s8, v24
	s_waitcnt vmcnt(0)
	ds_write_b64 v0, v[18:19]
	s_branch .LBB547_176
.LBB547_193:
	s_add_i32 s12, s12, -1
	s_cmp_eq_u32 s33, s12
	s_cselect_b64 s[0:1], -1, 0
	s_xor_b64 s[2:3], vcc, -1
	s_and_b64 s[0:1], s[2:3], s[0:1]
	s_and_saveexec_b64 s[2:3], s[0:1]
	s_cbranch_execz .LBB547_195
; %bb.194:
	ds_read_b32 v0, v35
	s_waitcnt lgkmcnt(0)
	v_add3_u32 v0, v30, v33, v0
	global_store_dword v35, v0, s[50:51]
.LBB547_195:
	s_endpgm
	.section	.rodata,"a",@progbits
	.p2align	6, 0x0
	.amdhsa_kernel _ZN7rocprim17ROCPRIM_400000_NS6detail17trampoline_kernelINS0_14default_configENS1_35radix_sort_onesweep_config_selectorIyyEEZZNS1_29radix_sort_onesweep_iterationIS3_Lb0EN6thrust23THRUST_200600_302600_NS6detail15normal_iteratorINS8_10device_ptrIyEEEESD_SD_SD_jNS0_19identity_decomposerENS1_16block_id_wrapperIjLb1EEEEE10hipError_tT1_PNSt15iterator_traitsISI_E10value_typeET2_T3_PNSJ_ISO_E10value_typeET4_T5_PST_SU_PNS1_23onesweep_lookback_stateEbbT6_jjT7_P12ihipStream_tbENKUlT_T0_SI_SN_E_clIPySD_S15_SD_EEDaS11_S12_SI_SN_EUlS11_E_NS1_11comp_targetILNS1_3genE6ELNS1_11target_archE950ELNS1_3gpuE13ELNS1_3repE0EEENS1_47radix_sort_onesweep_sort_config_static_selectorELNS0_4arch9wavefront6targetE1EEEvSI_
		.amdhsa_group_segment_fixed_size 53328
		.amdhsa_private_segment_fixed_size 48
		.amdhsa_kernarg_size 344
		.amdhsa_user_sgpr_count 4
		.amdhsa_user_sgpr_dispatch_ptr 1
		.amdhsa_user_sgpr_queue_ptr 0
		.amdhsa_user_sgpr_kernarg_segment_ptr 1
		.amdhsa_user_sgpr_dispatch_id 0
		.amdhsa_user_sgpr_kernarg_preload_length 0
		.amdhsa_user_sgpr_kernarg_preload_offset 0
		.amdhsa_user_sgpr_private_segment_size 0
		.amdhsa_uses_dynamic_stack 0
		.amdhsa_enable_private_segment 1
		.amdhsa_system_sgpr_workgroup_id_x 1
		.amdhsa_system_sgpr_workgroup_id_y 0
		.amdhsa_system_sgpr_workgroup_id_z 0
		.amdhsa_system_sgpr_workgroup_info 0
		.amdhsa_system_vgpr_workitem_id 2
		.amdhsa_next_free_vgpr 58
		.amdhsa_next_free_sgpr 61
		.amdhsa_accum_offset 60
		.amdhsa_reserve_vcc 1
		.amdhsa_float_round_mode_32 0
		.amdhsa_float_round_mode_16_64 0
		.amdhsa_float_denorm_mode_32 3
		.amdhsa_float_denorm_mode_16_64 3
		.amdhsa_dx10_clamp 1
		.amdhsa_ieee_mode 1
		.amdhsa_fp16_overflow 0
		.amdhsa_tg_split 0
		.amdhsa_exception_fp_ieee_invalid_op 0
		.amdhsa_exception_fp_denorm_src 0
		.amdhsa_exception_fp_ieee_div_zero 0
		.amdhsa_exception_fp_ieee_overflow 0
		.amdhsa_exception_fp_ieee_underflow 0
		.amdhsa_exception_fp_ieee_inexact 0
		.amdhsa_exception_int_div_zero 0
	.end_amdhsa_kernel
	.section	.text._ZN7rocprim17ROCPRIM_400000_NS6detail17trampoline_kernelINS0_14default_configENS1_35radix_sort_onesweep_config_selectorIyyEEZZNS1_29radix_sort_onesweep_iterationIS3_Lb0EN6thrust23THRUST_200600_302600_NS6detail15normal_iteratorINS8_10device_ptrIyEEEESD_SD_SD_jNS0_19identity_decomposerENS1_16block_id_wrapperIjLb1EEEEE10hipError_tT1_PNSt15iterator_traitsISI_E10value_typeET2_T3_PNSJ_ISO_E10value_typeET4_T5_PST_SU_PNS1_23onesweep_lookback_stateEbbT6_jjT7_P12ihipStream_tbENKUlT_T0_SI_SN_E_clIPySD_S15_SD_EEDaS11_S12_SI_SN_EUlS11_E_NS1_11comp_targetILNS1_3genE6ELNS1_11target_archE950ELNS1_3gpuE13ELNS1_3repE0EEENS1_47radix_sort_onesweep_sort_config_static_selectorELNS0_4arch9wavefront6targetE1EEEvSI_,"axG",@progbits,_ZN7rocprim17ROCPRIM_400000_NS6detail17trampoline_kernelINS0_14default_configENS1_35radix_sort_onesweep_config_selectorIyyEEZZNS1_29radix_sort_onesweep_iterationIS3_Lb0EN6thrust23THRUST_200600_302600_NS6detail15normal_iteratorINS8_10device_ptrIyEEEESD_SD_SD_jNS0_19identity_decomposerENS1_16block_id_wrapperIjLb1EEEEE10hipError_tT1_PNSt15iterator_traitsISI_E10value_typeET2_T3_PNSJ_ISO_E10value_typeET4_T5_PST_SU_PNS1_23onesweep_lookback_stateEbbT6_jjT7_P12ihipStream_tbENKUlT_T0_SI_SN_E_clIPySD_S15_SD_EEDaS11_S12_SI_SN_EUlS11_E_NS1_11comp_targetILNS1_3genE6ELNS1_11target_archE950ELNS1_3gpuE13ELNS1_3repE0EEENS1_47radix_sort_onesweep_sort_config_static_selectorELNS0_4arch9wavefront6targetE1EEEvSI_,comdat
.Lfunc_end547:
	.size	_ZN7rocprim17ROCPRIM_400000_NS6detail17trampoline_kernelINS0_14default_configENS1_35radix_sort_onesweep_config_selectorIyyEEZZNS1_29radix_sort_onesweep_iterationIS3_Lb0EN6thrust23THRUST_200600_302600_NS6detail15normal_iteratorINS8_10device_ptrIyEEEESD_SD_SD_jNS0_19identity_decomposerENS1_16block_id_wrapperIjLb1EEEEE10hipError_tT1_PNSt15iterator_traitsISI_E10value_typeET2_T3_PNSJ_ISO_E10value_typeET4_T5_PST_SU_PNS1_23onesweep_lookback_stateEbbT6_jjT7_P12ihipStream_tbENKUlT_T0_SI_SN_E_clIPySD_S15_SD_EEDaS11_S12_SI_SN_EUlS11_E_NS1_11comp_targetILNS1_3genE6ELNS1_11target_archE950ELNS1_3gpuE13ELNS1_3repE0EEENS1_47radix_sort_onesweep_sort_config_static_selectorELNS0_4arch9wavefront6targetE1EEEvSI_, .Lfunc_end547-_ZN7rocprim17ROCPRIM_400000_NS6detail17trampoline_kernelINS0_14default_configENS1_35radix_sort_onesweep_config_selectorIyyEEZZNS1_29radix_sort_onesweep_iterationIS3_Lb0EN6thrust23THRUST_200600_302600_NS6detail15normal_iteratorINS8_10device_ptrIyEEEESD_SD_SD_jNS0_19identity_decomposerENS1_16block_id_wrapperIjLb1EEEEE10hipError_tT1_PNSt15iterator_traitsISI_E10value_typeET2_T3_PNSJ_ISO_E10value_typeET4_T5_PST_SU_PNS1_23onesweep_lookback_stateEbbT6_jjT7_P12ihipStream_tbENKUlT_T0_SI_SN_E_clIPySD_S15_SD_EEDaS11_S12_SI_SN_EUlS11_E_NS1_11comp_targetILNS1_3genE6ELNS1_11target_archE950ELNS1_3gpuE13ELNS1_3repE0EEENS1_47radix_sort_onesweep_sort_config_static_selectorELNS0_4arch9wavefront6targetE1EEEvSI_
                                        ; -- End function
	.set _ZN7rocprim17ROCPRIM_400000_NS6detail17trampoline_kernelINS0_14default_configENS1_35radix_sort_onesweep_config_selectorIyyEEZZNS1_29radix_sort_onesweep_iterationIS3_Lb0EN6thrust23THRUST_200600_302600_NS6detail15normal_iteratorINS8_10device_ptrIyEEEESD_SD_SD_jNS0_19identity_decomposerENS1_16block_id_wrapperIjLb1EEEEE10hipError_tT1_PNSt15iterator_traitsISI_E10value_typeET2_T3_PNSJ_ISO_E10value_typeET4_T5_PST_SU_PNS1_23onesweep_lookback_stateEbbT6_jjT7_P12ihipStream_tbENKUlT_T0_SI_SN_E_clIPySD_S15_SD_EEDaS11_S12_SI_SN_EUlS11_E_NS1_11comp_targetILNS1_3genE6ELNS1_11target_archE950ELNS1_3gpuE13ELNS1_3repE0EEENS1_47radix_sort_onesweep_sort_config_static_selectorELNS0_4arch9wavefront6targetE1EEEvSI_.num_vgpr, 58
	.set _ZN7rocprim17ROCPRIM_400000_NS6detail17trampoline_kernelINS0_14default_configENS1_35radix_sort_onesweep_config_selectorIyyEEZZNS1_29radix_sort_onesweep_iterationIS3_Lb0EN6thrust23THRUST_200600_302600_NS6detail15normal_iteratorINS8_10device_ptrIyEEEESD_SD_SD_jNS0_19identity_decomposerENS1_16block_id_wrapperIjLb1EEEEE10hipError_tT1_PNSt15iterator_traitsISI_E10value_typeET2_T3_PNSJ_ISO_E10value_typeET4_T5_PST_SU_PNS1_23onesweep_lookback_stateEbbT6_jjT7_P12ihipStream_tbENKUlT_T0_SI_SN_E_clIPySD_S15_SD_EEDaS11_S12_SI_SN_EUlS11_E_NS1_11comp_targetILNS1_3genE6ELNS1_11target_archE950ELNS1_3gpuE13ELNS1_3repE0EEENS1_47radix_sort_onesweep_sort_config_static_selectorELNS0_4arch9wavefront6targetE1EEEvSI_.num_agpr, 0
	.set _ZN7rocprim17ROCPRIM_400000_NS6detail17trampoline_kernelINS0_14default_configENS1_35radix_sort_onesweep_config_selectorIyyEEZZNS1_29radix_sort_onesweep_iterationIS3_Lb0EN6thrust23THRUST_200600_302600_NS6detail15normal_iteratorINS8_10device_ptrIyEEEESD_SD_SD_jNS0_19identity_decomposerENS1_16block_id_wrapperIjLb1EEEEE10hipError_tT1_PNSt15iterator_traitsISI_E10value_typeET2_T3_PNSJ_ISO_E10value_typeET4_T5_PST_SU_PNS1_23onesweep_lookback_stateEbbT6_jjT7_P12ihipStream_tbENKUlT_T0_SI_SN_E_clIPySD_S15_SD_EEDaS11_S12_SI_SN_EUlS11_E_NS1_11comp_targetILNS1_3genE6ELNS1_11target_archE950ELNS1_3gpuE13ELNS1_3repE0EEENS1_47radix_sort_onesweep_sort_config_static_selectorELNS0_4arch9wavefront6targetE1EEEvSI_.numbered_sgpr, 61
	.set _ZN7rocprim17ROCPRIM_400000_NS6detail17trampoline_kernelINS0_14default_configENS1_35radix_sort_onesweep_config_selectorIyyEEZZNS1_29radix_sort_onesweep_iterationIS3_Lb0EN6thrust23THRUST_200600_302600_NS6detail15normal_iteratorINS8_10device_ptrIyEEEESD_SD_SD_jNS0_19identity_decomposerENS1_16block_id_wrapperIjLb1EEEEE10hipError_tT1_PNSt15iterator_traitsISI_E10value_typeET2_T3_PNSJ_ISO_E10value_typeET4_T5_PST_SU_PNS1_23onesweep_lookback_stateEbbT6_jjT7_P12ihipStream_tbENKUlT_T0_SI_SN_E_clIPySD_S15_SD_EEDaS11_S12_SI_SN_EUlS11_E_NS1_11comp_targetILNS1_3genE6ELNS1_11target_archE950ELNS1_3gpuE13ELNS1_3repE0EEENS1_47radix_sort_onesweep_sort_config_static_selectorELNS0_4arch9wavefront6targetE1EEEvSI_.num_named_barrier, 0
	.set _ZN7rocprim17ROCPRIM_400000_NS6detail17trampoline_kernelINS0_14default_configENS1_35radix_sort_onesweep_config_selectorIyyEEZZNS1_29radix_sort_onesweep_iterationIS3_Lb0EN6thrust23THRUST_200600_302600_NS6detail15normal_iteratorINS8_10device_ptrIyEEEESD_SD_SD_jNS0_19identity_decomposerENS1_16block_id_wrapperIjLb1EEEEE10hipError_tT1_PNSt15iterator_traitsISI_E10value_typeET2_T3_PNSJ_ISO_E10value_typeET4_T5_PST_SU_PNS1_23onesweep_lookback_stateEbbT6_jjT7_P12ihipStream_tbENKUlT_T0_SI_SN_E_clIPySD_S15_SD_EEDaS11_S12_SI_SN_EUlS11_E_NS1_11comp_targetILNS1_3genE6ELNS1_11target_archE950ELNS1_3gpuE13ELNS1_3repE0EEENS1_47radix_sort_onesweep_sort_config_static_selectorELNS0_4arch9wavefront6targetE1EEEvSI_.private_seg_size, 48
	.set _ZN7rocprim17ROCPRIM_400000_NS6detail17trampoline_kernelINS0_14default_configENS1_35radix_sort_onesweep_config_selectorIyyEEZZNS1_29radix_sort_onesweep_iterationIS3_Lb0EN6thrust23THRUST_200600_302600_NS6detail15normal_iteratorINS8_10device_ptrIyEEEESD_SD_SD_jNS0_19identity_decomposerENS1_16block_id_wrapperIjLb1EEEEE10hipError_tT1_PNSt15iterator_traitsISI_E10value_typeET2_T3_PNSJ_ISO_E10value_typeET4_T5_PST_SU_PNS1_23onesweep_lookback_stateEbbT6_jjT7_P12ihipStream_tbENKUlT_T0_SI_SN_E_clIPySD_S15_SD_EEDaS11_S12_SI_SN_EUlS11_E_NS1_11comp_targetILNS1_3genE6ELNS1_11target_archE950ELNS1_3gpuE13ELNS1_3repE0EEENS1_47radix_sort_onesweep_sort_config_static_selectorELNS0_4arch9wavefront6targetE1EEEvSI_.uses_vcc, 1
	.set _ZN7rocprim17ROCPRIM_400000_NS6detail17trampoline_kernelINS0_14default_configENS1_35radix_sort_onesweep_config_selectorIyyEEZZNS1_29radix_sort_onesweep_iterationIS3_Lb0EN6thrust23THRUST_200600_302600_NS6detail15normal_iteratorINS8_10device_ptrIyEEEESD_SD_SD_jNS0_19identity_decomposerENS1_16block_id_wrapperIjLb1EEEEE10hipError_tT1_PNSt15iterator_traitsISI_E10value_typeET2_T3_PNSJ_ISO_E10value_typeET4_T5_PST_SU_PNS1_23onesweep_lookback_stateEbbT6_jjT7_P12ihipStream_tbENKUlT_T0_SI_SN_E_clIPySD_S15_SD_EEDaS11_S12_SI_SN_EUlS11_E_NS1_11comp_targetILNS1_3genE6ELNS1_11target_archE950ELNS1_3gpuE13ELNS1_3repE0EEENS1_47radix_sort_onesweep_sort_config_static_selectorELNS0_4arch9wavefront6targetE1EEEvSI_.uses_flat_scratch, 0
	.set _ZN7rocprim17ROCPRIM_400000_NS6detail17trampoline_kernelINS0_14default_configENS1_35radix_sort_onesweep_config_selectorIyyEEZZNS1_29radix_sort_onesweep_iterationIS3_Lb0EN6thrust23THRUST_200600_302600_NS6detail15normal_iteratorINS8_10device_ptrIyEEEESD_SD_SD_jNS0_19identity_decomposerENS1_16block_id_wrapperIjLb1EEEEE10hipError_tT1_PNSt15iterator_traitsISI_E10value_typeET2_T3_PNSJ_ISO_E10value_typeET4_T5_PST_SU_PNS1_23onesweep_lookback_stateEbbT6_jjT7_P12ihipStream_tbENKUlT_T0_SI_SN_E_clIPySD_S15_SD_EEDaS11_S12_SI_SN_EUlS11_E_NS1_11comp_targetILNS1_3genE6ELNS1_11target_archE950ELNS1_3gpuE13ELNS1_3repE0EEENS1_47radix_sort_onesweep_sort_config_static_selectorELNS0_4arch9wavefront6targetE1EEEvSI_.has_dyn_sized_stack, 0
	.set _ZN7rocprim17ROCPRIM_400000_NS6detail17trampoline_kernelINS0_14default_configENS1_35radix_sort_onesweep_config_selectorIyyEEZZNS1_29radix_sort_onesweep_iterationIS3_Lb0EN6thrust23THRUST_200600_302600_NS6detail15normal_iteratorINS8_10device_ptrIyEEEESD_SD_SD_jNS0_19identity_decomposerENS1_16block_id_wrapperIjLb1EEEEE10hipError_tT1_PNSt15iterator_traitsISI_E10value_typeET2_T3_PNSJ_ISO_E10value_typeET4_T5_PST_SU_PNS1_23onesweep_lookback_stateEbbT6_jjT7_P12ihipStream_tbENKUlT_T0_SI_SN_E_clIPySD_S15_SD_EEDaS11_S12_SI_SN_EUlS11_E_NS1_11comp_targetILNS1_3genE6ELNS1_11target_archE950ELNS1_3gpuE13ELNS1_3repE0EEENS1_47radix_sort_onesweep_sort_config_static_selectorELNS0_4arch9wavefront6targetE1EEEvSI_.has_recursion, 0
	.set _ZN7rocprim17ROCPRIM_400000_NS6detail17trampoline_kernelINS0_14default_configENS1_35radix_sort_onesweep_config_selectorIyyEEZZNS1_29radix_sort_onesweep_iterationIS3_Lb0EN6thrust23THRUST_200600_302600_NS6detail15normal_iteratorINS8_10device_ptrIyEEEESD_SD_SD_jNS0_19identity_decomposerENS1_16block_id_wrapperIjLb1EEEEE10hipError_tT1_PNSt15iterator_traitsISI_E10value_typeET2_T3_PNSJ_ISO_E10value_typeET4_T5_PST_SU_PNS1_23onesweep_lookback_stateEbbT6_jjT7_P12ihipStream_tbENKUlT_T0_SI_SN_E_clIPySD_S15_SD_EEDaS11_S12_SI_SN_EUlS11_E_NS1_11comp_targetILNS1_3genE6ELNS1_11target_archE950ELNS1_3gpuE13ELNS1_3repE0EEENS1_47radix_sort_onesweep_sort_config_static_selectorELNS0_4arch9wavefront6targetE1EEEvSI_.has_indirect_call, 0
	.section	.AMDGPU.csdata,"",@progbits
; Kernel info:
; codeLenInByte = 12676
; TotalNumSgprs: 67
; NumVgprs: 58
; NumAgprs: 0
; TotalNumVgprs: 58
; ScratchSize: 48
; MemoryBound: 0
; FloatMode: 240
; IeeeMode: 1
; LDSByteSize: 53328 bytes/workgroup (compile time only)
; SGPRBlocks: 8
; VGPRBlocks: 7
; NumSGPRsForWavesPerEU: 67
; NumVGPRsForWavesPerEU: 58
; AccumOffset: 60
; Occupancy: 8
; WaveLimiterHint : 1
; COMPUTE_PGM_RSRC2:SCRATCH_EN: 1
; COMPUTE_PGM_RSRC2:USER_SGPR: 4
; COMPUTE_PGM_RSRC2:TRAP_HANDLER: 0
; COMPUTE_PGM_RSRC2:TGID_X_EN: 1
; COMPUTE_PGM_RSRC2:TGID_Y_EN: 0
; COMPUTE_PGM_RSRC2:TGID_Z_EN: 0
; COMPUTE_PGM_RSRC2:TIDIG_COMP_CNT: 2
; COMPUTE_PGM_RSRC3_GFX90A:ACCUM_OFFSET: 14
; COMPUTE_PGM_RSRC3_GFX90A:TG_SPLIT: 0
	.section	.text._ZN7rocprim17ROCPRIM_400000_NS6detail17trampoline_kernelINS0_14default_configENS1_35radix_sort_onesweep_config_selectorIyyEEZZNS1_29radix_sort_onesweep_iterationIS3_Lb0EN6thrust23THRUST_200600_302600_NS6detail15normal_iteratorINS8_10device_ptrIyEEEESD_SD_SD_jNS0_19identity_decomposerENS1_16block_id_wrapperIjLb1EEEEE10hipError_tT1_PNSt15iterator_traitsISI_E10value_typeET2_T3_PNSJ_ISO_E10value_typeET4_T5_PST_SU_PNS1_23onesweep_lookback_stateEbbT6_jjT7_P12ihipStream_tbENKUlT_T0_SI_SN_E_clIPySD_S15_SD_EEDaS11_S12_SI_SN_EUlS11_E_NS1_11comp_targetILNS1_3genE5ELNS1_11target_archE942ELNS1_3gpuE9ELNS1_3repE0EEENS1_47radix_sort_onesweep_sort_config_static_selectorELNS0_4arch9wavefront6targetE1EEEvSI_,"axG",@progbits,_ZN7rocprim17ROCPRIM_400000_NS6detail17trampoline_kernelINS0_14default_configENS1_35radix_sort_onesweep_config_selectorIyyEEZZNS1_29radix_sort_onesweep_iterationIS3_Lb0EN6thrust23THRUST_200600_302600_NS6detail15normal_iteratorINS8_10device_ptrIyEEEESD_SD_SD_jNS0_19identity_decomposerENS1_16block_id_wrapperIjLb1EEEEE10hipError_tT1_PNSt15iterator_traitsISI_E10value_typeET2_T3_PNSJ_ISO_E10value_typeET4_T5_PST_SU_PNS1_23onesweep_lookback_stateEbbT6_jjT7_P12ihipStream_tbENKUlT_T0_SI_SN_E_clIPySD_S15_SD_EEDaS11_S12_SI_SN_EUlS11_E_NS1_11comp_targetILNS1_3genE5ELNS1_11target_archE942ELNS1_3gpuE9ELNS1_3repE0EEENS1_47radix_sort_onesweep_sort_config_static_selectorELNS0_4arch9wavefront6targetE1EEEvSI_,comdat
	.protected	_ZN7rocprim17ROCPRIM_400000_NS6detail17trampoline_kernelINS0_14default_configENS1_35radix_sort_onesweep_config_selectorIyyEEZZNS1_29radix_sort_onesweep_iterationIS3_Lb0EN6thrust23THRUST_200600_302600_NS6detail15normal_iteratorINS8_10device_ptrIyEEEESD_SD_SD_jNS0_19identity_decomposerENS1_16block_id_wrapperIjLb1EEEEE10hipError_tT1_PNSt15iterator_traitsISI_E10value_typeET2_T3_PNSJ_ISO_E10value_typeET4_T5_PST_SU_PNS1_23onesweep_lookback_stateEbbT6_jjT7_P12ihipStream_tbENKUlT_T0_SI_SN_E_clIPySD_S15_SD_EEDaS11_S12_SI_SN_EUlS11_E_NS1_11comp_targetILNS1_3genE5ELNS1_11target_archE942ELNS1_3gpuE9ELNS1_3repE0EEENS1_47radix_sort_onesweep_sort_config_static_selectorELNS0_4arch9wavefront6targetE1EEEvSI_ ; -- Begin function _ZN7rocprim17ROCPRIM_400000_NS6detail17trampoline_kernelINS0_14default_configENS1_35radix_sort_onesweep_config_selectorIyyEEZZNS1_29radix_sort_onesweep_iterationIS3_Lb0EN6thrust23THRUST_200600_302600_NS6detail15normal_iteratorINS8_10device_ptrIyEEEESD_SD_SD_jNS0_19identity_decomposerENS1_16block_id_wrapperIjLb1EEEEE10hipError_tT1_PNSt15iterator_traitsISI_E10value_typeET2_T3_PNSJ_ISO_E10value_typeET4_T5_PST_SU_PNS1_23onesweep_lookback_stateEbbT6_jjT7_P12ihipStream_tbENKUlT_T0_SI_SN_E_clIPySD_S15_SD_EEDaS11_S12_SI_SN_EUlS11_E_NS1_11comp_targetILNS1_3genE5ELNS1_11target_archE942ELNS1_3gpuE9ELNS1_3repE0EEENS1_47radix_sort_onesweep_sort_config_static_selectorELNS0_4arch9wavefront6targetE1EEEvSI_
	.globl	_ZN7rocprim17ROCPRIM_400000_NS6detail17trampoline_kernelINS0_14default_configENS1_35radix_sort_onesweep_config_selectorIyyEEZZNS1_29radix_sort_onesweep_iterationIS3_Lb0EN6thrust23THRUST_200600_302600_NS6detail15normal_iteratorINS8_10device_ptrIyEEEESD_SD_SD_jNS0_19identity_decomposerENS1_16block_id_wrapperIjLb1EEEEE10hipError_tT1_PNSt15iterator_traitsISI_E10value_typeET2_T3_PNSJ_ISO_E10value_typeET4_T5_PST_SU_PNS1_23onesweep_lookback_stateEbbT6_jjT7_P12ihipStream_tbENKUlT_T0_SI_SN_E_clIPySD_S15_SD_EEDaS11_S12_SI_SN_EUlS11_E_NS1_11comp_targetILNS1_3genE5ELNS1_11target_archE942ELNS1_3gpuE9ELNS1_3repE0EEENS1_47radix_sort_onesweep_sort_config_static_selectorELNS0_4arch9wavefront6targetE1EEEvSI_
	.p2align	8
	.type	_ZN7rocprim17ROCPRIM_400000_NS6detail17trampoline_kernelINS0_14default_configENS1_35radix_sort_onesweep_config_selectorIyyEEZZNS1_29radix_sort_onesweep_iterationIS3_Lb0EN6thrust23THRUST_200600_302600_NS6detail15normal_iteratorINS8_10device_ptrIyEEEESD_SD_SD_jNS0_19identity_decomposerENS1_16block_id_wrapperIjLb1EEEEE10hipError_tT1_PNSt15iterator_traitsISI_E10value_typeET2_T3_PNSJ_ISO_E10value_typeET4_T5_PST_SU_PNS1_23onesweep_lookback_stateEbbT6_jjT7_P12ihipStream_tbENKUlT_T0_SI_SN_E_clIPySD_S15_SD_EEDaS11_S12_SI_SN_EUlS11_E_NS1_11comp_targetILNS1_3genE5ELNS1_11target_archE942ELNS1_3gpuE9ELNS1_3repE0EEENS1_47radix_sort_onesweep_sort_config_static_selectorELNS0_4arch9wavefront6targetE1EEEvSI_,@function
_ZN7rocprim17ROCPRIM_400000_NS6detail17trampoline_kernelINS0_14default_configENS1_35radix_sort_onesweep_config_selectorIyyEEZZNS1_29radix_sort_onesweep_iterationIS3_Lb0EN6thrust23THRUST_200600_302600_NS6detail15normal_iteratorINS8_10device_ptrIyEEEESD_SD_SD_jNS0_19identity_decomposerENS1_16block_id_wrapperIjLb1EEEEE10hipError_tT1_PNSt15iterator_traitsISI_E10value_typeET2_T3_PNSJ_ISO_E10value_typeET4_T5_PST_SU_PNS1_23onesweep_lookback_stateEbbT6_jjT7_P12ihipStream_tbENKUlT_T0_SI_SN_E_clIPySD_S15_SD_EEDaS11_S12_SI_SN_EUlS11_E_NS1_11comp_targetILNS1_3genE5ELNS1_11target_archE942ELNS1_3gpuE9ELNS1_3repE0EEENS1_47radix_sort_onesweep_sort_config_static_selectorELNS0_4arch9wavefront6targetE1EEEvSI_: ; @_ZN7rocprim17ROCPRIM_400000_NS6detail17trampoline_kernelINS0_14default_configENS1_35radix_sort_onesweep_config_selectorIyyEEZZNS1_29radix_sort_onesweep_iterationIS3_Lb0EN6thrust23THRUST_200600_302600_NS6detail15normal_iteratorINS8_10device_ptrIyEEEESD_SD_SD_jNS0_19identity_decomposerENS1_16block_id_wrapperIjLb1EEEEE10hipError_tT1_PNSt15iterator_traitsISI_E10value_typeET2_T3_PNSJ_ISO_E10value_typeET4_T5_PST_SU_PNS1_23onesweep_lookback_stateEbbT6_jjT7_P12ihipStream_tbENKUlT_T0_SI_SN_E_clIPySD_S15_SD_EEDaS11_S12_SI_SN_EUlS11_E_NS1_11comp_targetILNS1_3genE5ELNS1_11target_archE942ELNS1_3gpuE9ELNS1_3repE0EEENS1_47radix_sort_onesweep_sort_config_static_selectorELNS0_4arch9wavefront6targetE1EEEvSI_
; %bb.0:
	.section	.rodata,"a",@progbits
	.p2align	6, 0x0
	.amdhsa_kernel _ZN7rocprim17ROCPRIM_400000_NS6detail17trampoline_kernelINS0_14default_configENS1_35radix_sort_onesweep_config_selectorIyyEEZZNS1_29radix_sort_onesweep_iterationIS3_Lb0EN6thrust23THRUST_200600_302600_NS6detail15normal_iteratorINS8_10device_ptrIyEEEESD_SD_SD_jNS0_19identity_decomposerENS1_16block_id_wrapperIjLb1EEEEE10hipError_tT1_PNSt15iterator_traitsISI_E10value_typeET2_T3_PNSJ_ISO_E10value_typeET4_T5_PST_SU_PNS1_23onesweep_lookback_stateEbbT6_jjT7_P12ihipStream_tbENKUlT_T0_SI_SN_E_clIPySD_S15_SD_EEDaS11_S12_SI_SN_EUlS11_E_NS1_11comp_targetILNS1_3genE5ELNS1_11target_archE942ELNS1_3gpuE9ELNS1_3repE0EEENS1_47radix_sort_onesweep_sort_config_static_selectorELNS0_4arch9wavefront6targetE1EEEvSI_
		.amdhsa_group_segment_fixed_size 0
		.amdhsa_private_segment_fixed_size 0
		.amdhsa_kernarg_size 88
		.amdhsa_user_sgpr_count 2
		.amdhsa_user_sgpr_dispatch_ptr 0
		.amdhsa_user_sgpr_queue_ptr 0
		.amdhsa_user_sgpr_kernarg_segment_ptr 1
		.amdhsa_user_sgpr_dispatch_id 0
		.amdhsa_user_sgpr_kernarg_preload_length 0
		.amdhsa_user_sgpr_kernarg_preload_offset 0
		.amdhsa_user_sgpr_private_segment_size 0
		.amdhsa_uses_dynamic_stack 0
		.amdhsa_enable_private_segment 0
		.amdhsa_system_sgpr_workgroup_id_x 1
		.amdhsa_system_sgpr_workgroup_id_y 0
		.amdhsa_system_sgpr_workgroup_id_z 0
		.amdhsa_system_sgpr_workgroup_info 0
		.amdhsa_system_vgpr_workitem_id 0
		.amdhsa_next_free_vgpr 1
		.amdhsa_next_free_sgpr 0
		.amdhsa_accum_offset 4
		.amdhsa_reserve_vcc 0
		.amdhsa_float_round_mode_32 0
		.amdhsa_float_round_mode_16_64 0
		.amdhsa_float_denorm_mode_32 3
		.amdhsa_float_denorm_mode_16_64 3
		.amdhsa_dx10_clamp 1
		.amdhsa_ieee_mode 1
		.amdhsa_fp16_overflow 0
		.amdhsa_tg_split 0
		.amdhsa_exception_fp_ieee_invalid_op 0
		.amdhsa_exception_fp_denorm_src 0
		.amdhsa_exception_fp_ieee_div_zero 0
		.amdhsa_exception_fp_ieee_overflow 0
		.amdhsa_exception_fp_ieee_underflow 0
		.amdhsa_exception_fp_ieee_inexact 0
		.amdhsa_exception_int_div_zero 0
	.end_amdhsa_kernel
	.section	.text._ZN7rocprim17ROCPRIM_400000_NS6detail17trampoline_kernelINS0_14default_configENS1_35radix_sort_onesweep_config_selectorIyyEEZZNS1_29radix_sort_onesweep_iterationIS3_Lb0EN6thrust23THRUST_200600_302600_NS6detail15normal_iteratorINS8_10device_ptrIyEEEESD_SD_SD_jNS0_19identity_decomposerENS1_16block_id_wrapperIjLb1EEEEE10hipError_tT1_PNSt15iterator_traitsISI_E10value_typeET2_T3_PNSJ_ISO_E10value_typeET4_T5_PST_SU_PNS1_23onesweep_lookback_stateEbbT6_jjT7_P12ihipStream_tbENKUlT_T0_SI_SN_E_clIPySD_S15_SD_EEDaS11_S12_SI_SN_EUlS11_E_NS1_11comp_targetILNS1_3genE5ELNS1_11target_archE942ELNS1_3gpuE9ELNS1_3repE0EEENS1_47radix_sort_onesweep_sort_config_static_selectorELNS0_4arch9wavefront6targetE1EEEvSI_,"axG",@progbits,_ZN7rocprim17ROCPRIM_400000_NS6detail17trampoline_kernelINS0_14default_configENS1_35radix_sort_onesweep_config_selectorIyyEEZZNS1_29radix_sort_onesweep_iterationIS3_Lb0EN6thrust23THRUST_200600_302600_NS6detail15normal_iteratorINS8_10device_ptrIyEEEESD_SD_SD_jNS0_19identity_decomposerENS1_16block_id_wrapperIjLb1EEEEE10hipError_tT1_PNSt15iterator_traitsISI_E10value_typeET2_T3_PNSJ_ISO_E10value_typeET4_T5_PST_SU_PNS1_23onesweep_lookback_stateEbbT6_jjT7_P12ihipStream_tbENKUlT_T0_SI_SN_E_clIPySD_S15_SD_EEDaS11_S12_SI_SN_EUlS11_E_NS1_11comp_targetILNS1_3genE5ELNS1_11target_archE942ELNS1_3gpuE9ELNS1_3repE0EEENS1_47radix_sort_onesweep_sort_config_static_selectorELNS0_4arch9wavefront6targetE1EEEvSI_,comdat
.Lfunc_end548:
	.size	_ZN7rocprim17ROCPRIM_400000_NS6detail17trampoline_kernelINS0_14default_configENS1_35radix_sort_onesweep_config_selectorIyyEEZZNS1_29radix_sort_onesweep_iterationIS3_Lb0EN6thrust23THRUST_200600_302600_NS6detail15normal_iteratorINS8_10device_ptrIyEEEESD_SD_SD_jNS0_19identity_decomposerENS1_16block_id_wrapperIjLb1EEEEE10hipError_tT1_PNSt15iterator_traitsISI_E10value_typeET2_T3_PNSJ_ISO_E10value_typeET4_T5_PST_SU_PNS1_23onesweep_lookback_stateEbbT6_jjT7_P12ihipStream_tbENKUlT_T0_SI_SN_E_clIPySD_S15_SD_EEDaS11_S12_SI_SN_EUlS11_E_NS1_11comp_targetILNS1_3genE5ELNS1_11target_archE942ELNS1_3gpuE9ELNS1_3repE0EEENS1_47radix_sort_onesweep_sort_config_static_selectorELNS0_4arch9wavefront6targetE1EEEvSI_, .Lfunc_end548-_ZN7rocprim17ROCPRIM_400000_NS6detail17trampoline_kernelINS0_14default_configENS1_35radix_sort_onesweep_config_selectorIyyEEZZNS1_29radix_sort_onesweep_iterationIS3_Lb0EN6thrust23THRUST_200600_302600_NS6detail15normal_iteratorINS8_10device_ptrIyEEEESD_SD_SD_jNS0_19identity_decomposerENS1_16block_id_wrapperIjLb1EEEEE10hipError_tT1_PNSt15iterator_traitsISI_E10value_typeET2_T3_PNSJ_ISO_E10value_typeET4_T5_PST_SU_PNS1_23onesweep_lookback_stateEbbT6_jjT7_P12ihipStream_tbENKUlT_T0_SI_SN_E_clIPySD_S15_SD_EEDaS11_S12_SI_SN_EUlS11_E_NS1_11comp_targetILNS1_3genE5ELNS1_11target_archE942ELNS1_3gpuE9ELNS1_3repE0EEENS1_47radix_sort_onesweep_sort_config_static_selectorELNS0_4arch9wavefront6targetE1EEEvSI_
                                        ; -- End function
	.set _ZN7rocprim17ROCPRIM_400000_NS6detail17trampoline_kernelINS0_14default_configENS1_35radix_sort_onesweep_config_selectorIyyEEZZNS1_29radix_sort_onesweep_iterationIS3_Lb0EN6thrust23THRUST_200600_302600_NS6detail15normal_iteratorINS8_10device_ptrIyEEEESD_SD_SD_jNS0_19identity_decomposerENS1_16block_id_wrapperIjLb1EEEEE10hipError_tT1_PNSt15iterator_traitsISI_E10value_typeET2_T3_PNSJ_ISO_E10value_typeET4_T5_PST_SU_PNS1_23onesweep_lookback_stateEbbT6_jjT7_P12ihipStream_tbENKUlT_T0_SI_SN_E_clIPySD_S15_SD_EEDaS11_S12_SI_SN_EUlS11_E_NS1_11comp_targetILNS1_3genE5ELNS1_11target_archE942ELNS1_3gpuE9ELNS1_3repE0EEENS1_47radix_sort_onesweep_sort_config_static_selectorELNS0_4arch9wavefront6targetE1EEEvSI_.num_vgpr, 0
	.set _ZN7rocprim17ROCPRIM_400000_NS6detail17trampoline_kernelINS0_14default_configENS1_35radix_sort_onesweep_config_selectorIyyEEZZNS1_29radix_sort_onesweep_iterationIS3_Lb0EN6thrust23THRUST_200600_302600_NS6detail15normal_iteratorINS8_10device_ptrIyEEEESD_SD_SD_jNS0_19identity_decomposerENS1_16block_id_wrapperIjLb1EEEEE10hipError_tT1_PNSt15iterator_traitsISI_E10value_typeET2_T3_PNSJ_ISO_E10value_typeET4_T5_PST_SU_PNS1_23onesweep_lookback_stateEbbT6_jjT7_P12ihipStream_tbENKUlT_T0_SI_SN_E_clIPySD_S15_SD_EEDaS11_S12_SI_SN_EUlS11_E_NS1_11comp_targetILNS1_3genE5ELNS1_11target_archE942ELNS1_3gpuE9ELNS1_3repE0EEENS1_47radix_sort_onesweep_sort_config_static_selectorELNS0_4arch9wavefront6targetE1EEEvSI_.num_agpr, 0
	.set _ZN7rocprim17ROCPRIM_400000_NS6detail17trampoline_kernelINS0_14default_configENS1_35radix_sort_onesweep_config_selectorIyyEEZZNS1_29radix_sort_onesweep_iterationIS3_Lb0EN6thrust23THRUST_200600_302600_NS6detail15normal_iteratorINS8_10device_ptrIyEEEESD_SD_SD_jNS0_19identity_decomposerENS1_16block_id_wrapperIjLb1EEEEE10hipError_tT1_PNSt15iterator_traitsISI_E10value_typeET2_T3_PNSJ_ISO_E10value_typeET4_T5_PST_SU_PNS1_23onesweep_lookback_stateEbbT6_jjT7_P12ihipStream_tbENKUlT_T0_SI_SN_E_clIPySD_S15_SD_EEDaS11_S12_SI_SN_EUlS11_E_NS1_11comp_targetILNS1_3genE5ELNS1_11target_archE942ELNS1_3gpuE9ELNS1_3repE0EEENS1_47radix_sort_onesweep_sort_config_static_selectorELNS0_4arch9wavefront6targetE1EEEvSI_.numbered_sgpr, 0
	.set _ZN7rocprim17ROCPRIM_400000_NS6detail17trampoline_kernelINS0_14default_configENS1_35radix_sort_onesweep_config_selectorIyyEEZZNS1_29radix_sort_onesweep_iterationIS3_Lb0EN6thrust23THRUST_200600_302600_NS6detail15normal_iteratorINS8_10device_ptrIyEEEESD_SD_SD_jNS0_19identity_decomposerENS1_16block_id_wrapperIjLb1EEEEE10hipError_tT1_PNSt15iterator_traitsISI_E10value_typeET2_T3_PNSJ_ISO_E10value_typeET4_T5_PST_SU_PNS1_23onesweep_lookback_stateEbbT6_jjT7_P12ihipStream_tbENKUlT_T0_SI_SN_E_clIPySD_S15_SD_EEDaS11_S12_SI_SN_EUlS11_E_NS1_11comp_targetILNS1_3genE5ELNS1_11target_archE942ELNS1_3gpuE9ELNS1_3repE0EEENS1_47radix_sort_onesweep_sort_config_static_selectorELNS0_4arch9wavefront6targetE1EEEvSI_.num_named_barrier, 0
	.set _ZN7rocprim17ROCPRIM_400000_NS6detail17trampoline_kernelINS0_14default_configENS1_35radix_sort_onesweep_config_selectorIyyEEZZNS1_29radix_sort_onesweep_iterationIS3_Lb0EN6thrust23THRUST_200600_302600_NS6detail15normal_iteratorINS8_10device_ptrIyEEEESD_SD_SD_jNS0_19identity_decomposerENS1_16block_id_wrapperIjLb1EEEEE10hipError_tT1_PNSt15iterator_traitsISI_E10value_typeET2_T3_PNSJ_ISO_E10value_typeET4_T5_PST_SU_PNS1_23onesweep_lookback_stateEbbT6_jjT7_P12ihipStream_tbENKUlT_T0_SI_SN_E_clIPySD_S15_SD_EEDaS11_S12_SI_SN_EUlS11_E_NS1_11comp_targetILNS1_3genE5ELNS1_11target_archE942ELNS1_3gpuE9ELNS1_3repE0EEENS1_47radix_sort_onesweep_sort_config_static_selectorELNS0_4arch9wavefront6targetE1EEEvSI_.private_seg_size, 0
	.set _ZN7rocprim17ROCPRIM_400000_NS6detail17trampoline_kernelINS0_14default_configENS1_35radix_sort_onesweep_config_selectorIyyEEZZNS1_29radix_sort_onesweep_iterationIS3_Lb0EN6thrust23THRUST_200600_302600_NS6detail15normal_iteratorINS8_10device_ptrIyEEEESD_SD_SD_jNS0_19identity_decomposerENS1_16block_id_wrapperIjLb1EEEEE10hipError_tT1_PNSt15iterator_traitsISI_E10value_typeET2_T3_PNSJ_ISO_E10value_typeET4_T5_PST_SU_PNS1_23onesweep_lookback_stateEbbT6_jjT7_P12ihipStream_tbENKUlT_T0_SI_SN_E_clIPySD_S15_SD_EEDaS11_S12_SI_SN_EUlS11_E_NS1_11comp_targetILNS1_3genE5ELNS1_11target_archE942ELNS1_3gpuE9ELNS1_3repE0EEENS1_47radix_sort_onesweep_sort_config_static_selectorELNS0_4arch9wavefront6targetE1EEEvSI_.uses_vcc, 0
	.set _ZN7rocprim17ROCPRIM_400000_NS6detail17trampoline_kernelINS0_14default_configENS1_35radix_sort_onesweep_config_selectorIyyEEZZNS1_29radix_sort_onesweep_iterationIS3_Lb0EN6thrust23THRUST_200600_302600_NS6detail15normal_iteratorINS8_10device_ptrIyEEEESD_SD_SD_jNS0_19identity_decomposerENS1_16block_id_wrapperIjLb1EEEEE10hipError_tT1_PNSt15iterator_traitsISI_E10value_typeET2_T3_PNSJ_ISO_E10value_typeET4_T5_PST_SU_PNS1_23onesweep_lookback_stateEbbT6_jjT7_P12ihipStream_tbENKUlT_T0_SI_SN_E_clIPySD_S15_SD_EEDaS11_S12_SI_SN_EUlS11_E_NS1_11comp_targetILNS1_3genE5ELNS1_11target_archE942ELNS1_3gpuE9ELNS1_3repE0EEENS1_47radix_sort_onesweep_sort_config_static_selectorELNS0_4arch9wavefront6targetE1EEEvSI_.uses_flat_scratch, 0
	.set _ZN7rocprim17ROCPRIM_400000_NS6detail17trampoline_kernelINS0_14default_configENS1_35radix_sort_onesweep_config_selectorIyyEEZZNS1_29radix_sort_onesweep_iterationIS3_Lb0EN6thrust23THRUST_200600_302600_NS6detail15normal_iteratorINS8_10device_ptrIyEEEESD_SD_SD_jNS0_19identity_decomposerENS1_16block_id_wrapperIjLb1EEEEE10hipError_tT1_PNSt15iterator_traitsISI_E10value_typeET2_T3_PNSJ_ISO_E10value_typeET4_T5_PST_SU_PNS1_23onesweep_lookback_stateEbbT6_jjT7_P12ihipStream_tbENKUlT_T0_SI_SN_E_clIPySD_S15_SD_EEDaS11_S12_SI_SN_EUlS11_E_NS1_11comp_targetILNS1_3genE5ELNS1_11target_archE942ELNS1_3gpuE9ELNS1_3repE0EEENS1_47radix_sort_onesweep_sort_config_static_selectorELNS0_4arch9wavefront6targetE1EEEvSI_.has_dyn_sized_stack, 0
	.set _ZN7rocprim17ROCPRIM_400000_NS6detail17trampoline_kernelINS0_14default_configENS1_35radix_sort_onesweep_config_selectorIyyEEZZNS1_29radix_sort_onesweep_iterationIS3_Lb0EN6thrust23THRUST_200600_302600_NS6detail15normal_iteratorINS8_10device_ptrIyEEEESD_SD_SD_jNS0_19identity_decomposerENS1_16block_id_wrapperIjLb1EEEEE10hipError_tT1_PNSt15iterator_traitsISI_E10value_typeET2_T3_PNSJ_ISO_E10value_typeET4_T5_PST_SU_PNS1_23onesweep_lookback_stateEbbT6_jjT7_P12ihipStream_tbENKUlT_T0_SI_SN_E_clIPySD_S15_SD_EEDaS11_S12_SI_SN_EUlS11_E_NS1_11comp_targetILNS1_3genE5ELNS1_11target_archE942ELNS1_3gpuE9ELNS1_3repE0EEENS1_47radix_sort_onesweep_sort_config_static_selectorELNS0_4arch9wavefront6targetE1EEEvSI_.has_recursion, 0
	.set _ZN7rocprim17ROCPRIM_400000_NS6detail17trampoline_kernelINS0_14default_configENS1_35radix_sort_onesweep_config_selectorIyyEEZZNS1_29radix_sort_onesweep_iterationIS3_Lb0EN6thrust23THRUST_200600_302600_NS6detail15normal_iteratorINS8_10device_ptrIyEEEESD_SD_SD_jNS0_19identity_decomposerENS1_16block_id_wrapperIjLb1EEEEE10hipError_tT1_PNSt15iterator_traitsISI_E10value_typeET2_T3_PNSJ_ISO_E10value_typeET4_T5_PST_SU_PNS1_23onesweep_lookback_stateEbbT6_jjT7_P12ihipStream_tbENKUlT_T0_SI_SN_E_clIPySD_S15_SD_EEDaS11_S12_SI_SN_EUlS11_E_NS1_11comp_targetILNS1_3genE5ELNS1_11target_archE942ELNS1_3gpuE9ELNS1_3repE0EEENS1_47radix_sort_onesweep_sort_config_static_selectorELNS0_4arch9wavefront6targetE1EEEvSI_.has_indirect_call, 0
	.section	.AMDGPU.csdata,"",@progbits
; Kernel info:
; codeLenInByte = 0
; TotalNumSgprs: 6
; NumVgprs: 0
; NumAgprs: 0
; TotalNumVgprs: 0
; ScratchSize: 0
; MemoryBound: 0
; FloatMode: 240
; IeeeMode: 1
; LDSByteSize: 0 bytes/workgroup (compile time only)
; SGPRBlocks: 0
; VGPRBlocks: 0
; NumSGPRsForWavesPerEU: 6
; NumVGPRsForWavesPerEU: 1
; AccumOffset: 4
; Occupancy: 8
; WaveLimiterHint : 0
; COMPUTE_PGM_RSRC2:SCRATCH_EN: 0
; COMPUTE_PGM_RSRC2:USER_SGPR: 2
; COMPUTE_PGM_RSRC2:TRAP_HANDLER: 0
; COMPUTE_PGM_RSRC2:TGID_X_EN: 1
; COMPUTE_PGM_RSRC2:TGID_Y_EN: 0
; COMPUTE_PGM_RSRC2:TGID_Z_EN: 0
; COMPUTE_PGM_RSRC2:TIDIG_COMP_CNT: 0
; COMPUTE_PGM_RSRC3_GFX90A:ACCUM_OFFSET: 0
; COMPUTE_PGM_RSRC3_GFX90A:TG_SPLIT: 0
	.section	.text._ZN7rocprim17ROCPRIM_400000_NS6detail17trampoline_kernelINS0_14default_configENS1_35radix_sort_onesweep_config_selectorIyyEEZZNS1_29radix_sort_onesweep_iterationIS3_Lb0EN6thrust23THRUST_200600_302600_NS6detail15normal_iteratorINS8_10device_ptrIyEEEESD_SD_SD_jNS0_19identity_decomposerENS1_16block_id_wrapperIjLb1EEEEE10hipError_tT1_PNSt15iterator_traitsISI_E10value_typeET2_T3_PNSJ_ISO_E10value_typeET4_T5_PST_SU_PNS1_23onesweep_lookback_stateEbbT6_jjT7_P12ihipStream_tbENKUlT_T0_SI_SN_E_clIPySD_S15_SD_EEDaS11_S12_SI_SN_EUlS11_E_NS1_11comp_targetILNS1_3genE2ELNS1_11target_archE906ELNS1_3gpuE6ELNS1_3repE0EEENS1_47radix_sort_onesweep_sort_config_static_selectorELNS0_4arch9wavefront6targetE1EEEvSI_,"axG",@progbits,_ZN7rocprim17ROCPRIM_400000_NS6detail17trampoline_kernelINS0_14default_configENS1_35radix_sort_onesweep_config_selectorIyyEEZZNS1_29radix_sort_onesweep_iterationIS3_Lb0EN6thrust23THRUST_200600_302600_NS6detail15normal_iteratorINS8_10device_ptrIyEEEESD_SD_SD_jNS0_19identity_decomposerENS1_16block_id_wrapperIjLb1EEEEE10hipError_tT1_PNSt15iterator_traitsISI_E10value_typeET2_T3_PNSJ_ISO_E10value_typeET4_T5_PST_SU_PNS1_23onesweep_lookback_stateEbbT6_jjT7_P12ihipStream_tbENKUlT_T0_SI_SN_E_clIPySD_S15_SD_EEDaS11_S12_SI_SN_EUlS11_E_NS1_11comp_targetILNS1_3genE2ELNS1_11target_archE906ELNS1_3gpuE6ELNS1_3repE0EEENS1_47radix_sort_onesweep_sort_config_static_selectorELNS0_4arch9wavefront6targetE1EEEvSI_,comdat
	.protected	_ZN7rocprim17ROCPRIM_400000_NS6detail17trampoline_kernelINS0_14default_configENS1_35radix_sort_onesweep_config_selectorIyyEEZZNS1_29radix_sort_onesweep_iterationIS3_Lb0EN6thrust23THRUST_200600_302600_NS6detail15normal_iteratorINS8_10device_ptrIyEEEESD_SD_SD_jNS0_19identity_decomposerENS1_16block_id_wrapperIjLb1EEEEE10hipError_tT1_PNSt15iterator_traitsISI_E10value_typeET2_T3_PNSJ_ISO_E10value_typeET4_T5_PST_SU_PNS1_23onesweep_lookback_stateEbbT6_jjT7_P12ihipStream_tbENKUlT_T0_SI_SN_E_clIPySD_S15_SD_EEDaS11_S12_SI_SN_EUlS11_E_NS1_11comp_targetILNS1_3genE2ELNS1_11target_archE906ELNS1_3gpuE6ELNS1_3repE0EEENS1_47radix_sort_onesweep_sort_config_static_selectorELNS0_4arch9wavefront6targetE1EEEvSI_ ; -- Begin function _ZN7rocprim17ROCPRIM_400000_NS6detail17trampoline_kernelINS0_14default_configENS1_35radix_sort_onesweep_config_selectorIyyEEZZNS1_29radix_sort_onesweep_iterationIS3_Lb0EN6thrust23THRUST_200600_302600_NS6detail15normal_iteratorINS8_10device_ptrIyEEEESD_SD_SD_jNS0_19identity_decomposerENS1_16block_id_wrapperIjLb1EEEEE10hipError_tT1_PNSt15iterator_traitsISI_E10value_typeET2_T3_PNSJ_ISO_E10value_typeET4_T5_PST_SU_PNS1_23onesweep_lookback_stateEbbT6_jjT7_P12ihipStream_tbENKUlT_T0_SI_SN_E_clIPySD_S15_SD_EEDaS11_S12_SI_SN_EUlS11_E_NS1_11comp_targetILNS1_3genE2ELNS1_11target_archE906ELNS1_3gpuE6ELNS1_3repE0EEENS1_47radix_sort_onesweep_sort_config_static_selectorELNS0_4arch9wavefront6targetE1EEEvSI_
	.globl	_ZN7rocprim17ROCPRIM_400000_NS6detail17trampoline_kernelINS0_14default_configENS1_35radix_sort_onesweep_config_selectorIyyEEZZNS1_29radix_sort_onesweep_iterationIS3_Lb0EN6thrust23THRUST_200600_302600_NS6detail15normal_iteratorINS8_10device_ptrIyEEEESD_SD_SD_jNS0_19identity_decomposerENS1_16block_id_wrapperIjLb1EEEEE10hipError_tT1_PNSt15iterator_traitsISI_E10value_typeET2_T3_PNSJ_ISO_E10value_typeET4_T5_PST_SU_PNS1_23onesweep_lookback_stateEbbT6_jjT7_P12ihipStream_tbENKUlT_T0_SI_SN_E_clIPySD_S15_SD_EEDaS11_S12_SI_SN_EUlS11_E_NS1_11comp_targetILNS1_3genE2ELNS1_11target_archE906ELNS1_3gpuE6ELNS1_3repE0EEENS1_47radix_sort_onesweep_sort_config_static_selectorELNS0_4arch9wavefront6targetE1EEEvSI_
	.p2align	8
	.type	_ZN7rocprim17ROCPRIM_400000_NS6detail17trampoline_kernelINS0_14default_configENS1_35radix_sort_onesweep_config_selectorIyyEEZZNS1_29radix_sort_onesweep_iterationIS3_Lb0EN6thrust23THRUST_200600_302600_NS6detail15normal_iteratorINS8_10device_ptrIyEEEESD_SD_SD_jNS0_19identity_decomposerENS1_16block_id_wrapperIjLb1EEEEE10hipError_tT1_PNSt15iterator_traitsISI_E10value_typeET2_T3_PNSJ_ISO_E10value_typeET4_T5_PST_SU_PNS1_23onesweep_lookback_stateEbbT6_jjT7_P12ihipStream_tbENKUlT_T0_SI_SN_E_clIPySD_S15_SD_EEDaS11_S12_SI_SN_EUlS11_E_NS1_11comp_targetILNS1_3genE2ELNS1_11target_archE906ELNS1_3gpuE6ELNS1_3repE0EEENS1_47radix_sort_onesweep_sort_config_static_selectorELNS0_4arch9wavefront6targetE1EEEvSI_,@function
_ZN7rocprim17ROCPRIM_400000_NS6detail17trampoline_kernelINS0_14default_configENS1_35radix_sort_onesweep_config_selectorIyyEEZZNS1_29radix_sort_onesweep_iterationIS3_Lb0EN6thrust23THRUST_200600_302600_NS6detail15normal_iteratorINS8_10device_ptrIyEEEESD_SD_SD_jNS0_19identity_decomposerENS1_16block_id_wrapperIjLb1EEEEE10hipError_tT1_PNSt15iterator_traitsISI_E10value_typeET2_T3_PNSJ_ISO_E10value_typeET4_T5_PST_SU_PNS1_23onesweep_lookback_stateEbbT6_jjT7_P12ihipStream_tbENKUlT_T0_SI_SN_E_clIPySD_S15_SD_EEDaS11_S12_SI_SN_EUlS11_E_NS1_11comp_targetILNS1_3genE2ELNS1_11target_archE906ELNS1_3gpuE6ELNS1_3repE0EEENS1_47radix_sort_onesweep_sort_config_static_selectorELNS0_4arch9wavefront6targetE1EEEvSI_: ; @_ZN7rocprim17ROCPRIM_400000_NS6detail17trampoline_kernelINS0_14default_configENS1_35radix_sort_onesweep_config_selectorIyyEEZZNS1_29radix_sort_onesweep_iterationIS3_Lb0EN6thrust23THRUST_200600_302600_NS6detail15normal_iteratorINS8_10device_ptrIyEEEESD_SD_SD_jNS0_19identity_decomposerENS1_16block_id_wrapperIjLb1EEEEE10hipError_tT1_PNSt15iterator_traitsISI_E10value_typeET2_T3_PNSJ_ISO_E10value_typeET4_T5_PST_SU_PNS1_23onesweep_lookback_stateEbbT6_jjT7_P12ihipStream_tbENKUlT_T0_SI_SN_E_clIPySD_S15_SD_EEDaS11_S12_SI_SN_EUlS11_E_NS1_11comp_targetILNS1_3genE2ELNS1_11target_archE906ELNS1_3gpuE6ELNS1_3repE0EEENS1_47radix_sort_onesweep_sort_config_static_selectorELNS0_4arch9wavefront6targetE1EEEvSI_
; %bb.0:
	.section	.rodata,"a",@progbits
	.p2align	6, 0x0
	.amdhsa_kernel _ZN7rocprim17ROCPRIM_400000_NS6detail17trampoline_kernelINS0_14default_configENS1_35radix_sort_onesweep_config_selectorIyyEEZZNS1_29radix_sort_onesweep_iterationIS3_Lb0EN6thrust23THRUST_200600_302600_NS6detail15normal_iteratorINS8_10device_ptrIyEEEESD_SD_SD_jNS0_19identity_decomposerENS1_16block_id_wrapperIjLb1EEEEE10hipError_tT1_PNSt15iterator_traitsISI_E10value_typeET2_T3_PNSJ_ISO_E10value_typeET4_T5_PST_SU_PNS1_23onesweep_lookback_stateEbbT6_jjT7_P12ihipStream_tbENKUlT_T0_SI_SN_E_clIPySD_S15_SD_EEDaS11_S12_SI_SN_EUlS11_E_NS1_11comp_targetILNS1_3genE2ELNS1_11target_archE906ELNS1_3gpuE6ELNS1_3repE0EEENS1_47radix_sort_onesweep_sort_config_static_selectorELNS0_4arch9wavefront6targetE1EEEvSI_
		.amdhsa_group_segment_fixed_size 0
		.amdhsa_private_segment_fixed_size 0
		.amdhsa_kernarg_size 88
		.amdhsa_user_sgpr_count 2
		.amdhsa_user_sgpr_dispatch_ptr 0
		.amdhsa_user_sgpr_queue_ptr 0
		.amdhsa_user_sgpr_kernarg_segment_ptr 1
		.amdhsa_user_sgpr_dispatch_id 0
		.amdhsa_user_sgpr_kernarg_preload_length 0
		.amdhsa_user_sgpr_kernarg_preload_offset 0
		.amdhsa_user_sgpr_private_segment_size 0
		.amdhsa_uses_dynamic_stack 0
		.amdhsa_enable_private_segment 0
		.amdhsa_system_sgpr_workgroup_id_x 1
		.amdhsa_system_sgpr_workgroup_id_y 0
		.amdhsa_system_sgpr_workgroup_id_z 0
		.amdhsa_system_sgpr_workgroup_info 0
		.amdhsa_system_vgpr_workitem_id 0
		.amdhsa_next_free_vgpr 1
		.amdhsa_next_free_sgpr 0
		.amdhsa_accum_offset 4
		.amdhsa_reserve_vcc 0
		.amdhsa_float_round_mode_32 0
		.amdhsa_float_round_mode_16_64 0
		.amdhsa_float_denorm_mode_32 3
		.amdhsa_float_denorm_mode_16_64 3
		.amdhsa_dx10_clamp 1
		.amdhsa_ieee_mode 1
		.amdhsa_fp16_overflow 0
		.amdhsa_tg_split 0
		.amdhsa_exception_fp_ieee_invalid_op 0
		.amdhsa_exception_fp_denorm_src 0
		.amdhsa_exception_fp_ieee_div_zero 0
		.amdhsa_exception_fp_ieee_overflow 0
		.amdhsa_exception_fp_ieee_underflow 0
		.amdhsa_exception_fp_ieee_inexact 0
		.amdhsa_exception_int_div_zero 0
	.end_amdhsa_kernel
	.section	.text._ZN7rocprim17ROCPRIM_400000_NS6detail17trampoline_kernelINS0_14default_configENS1_35radix_sort_onesweep_config_selectorIyyEEZZNS1_29radix_sort_onesweep_iterationIS3_Lb0EN6thrust23THRUST_200600_302600_NS6detail15normal_iteratorINS8_10device_ptrIyEEEESD_SD_SD_jNS0_19identity_decomposerENS1_16block_id_wrapperIjLb1EEEEE10hipError_tT1_PNSt15iterator_traitsISI_E10value_typeET2_T3_PNSJ_ISO_E10value_typeET4_T5_PST_SU_PNS1_23onesweep_lookback_stateEbbT6_jjT7_P12ihipStream_tbENKUlT_T0_SI_SN_E_clIPySD_S15_SD_EEDaS11_S12_SI_SN_EUlS11_E_NS1_11comp_targetILNS1_3genE2ELNS1_11target_archE906ELNS1_3gpuE6ELNS1_3repE0EEENS1_47radix_sort_onesweep_sort_config_static_selectorELNS0_4arch9wavefront6targetE1EEEvSI_,"axG",@progbits,_ZN7rocprim17ROCPRIM_400000_NS6detail17trampoline_kernelINS0_14default_configENS1_35radix_sort_onesweep_config_selectorIyyEEZZNS1_29radix_sort_onesweep_iterationIS3_Lb0EN6thrust23THRUST_200600_302600_NS6detail15normal_iteratorINS8_10device_ptrIyEEEESD_SD_SD_jNS0_19identity_decomposerENS1_16block_id_wrapperIjLb1EEEEE10hipError_tT1_PNSt15iterator_traitsISI_E10value_typeET2_T3_PNSJ_ISO_E10value_typeET4_T5_PST_SU_PNS1_23onesweep_lookback_stateEbbT6_jjT7_P12ihipStream_tbENKUlT_T0_SI_SN_E_clIPySD_S15_SD_EEDaS11_S12_SI_SN_EUlS11_E_NS1_11comp_targetILNS1_3genE2ELNS1_11target_archE906ELNS1_3gpuE6ELNS1_3repE0EEENS1_47radix_sort_onesweep_sort_config_static_selectorELNS0_4arch9wavefront6targetE1EEEvSI_,comdat
.Lfunc_end549:
	.size	_ZN7rocprim17ROCPRIM_400000_NS6detail17trampoline_kernelINS0_14default_configENS1_35radix_sort_onesweep_config_selectorIyyEEZZNS1_29radix_sort_onesweep_iterationIS3_Lb0EN6thrust23THRUST_200600_302600_NS6detail15normal_iteratorINS8_10device_ptrIyEEEESD_SD_SD_jNS0_19identity_decomposerENS1_16block_id_wrapperIjLb1EEEEE10hipError_tT1_PNSt15iterator_traitsISI_E10value_typeET2_T3_PNSJ_ISO_E10value_typeET4_T5_PST_SU_PNS1_23onesweep_lookback_stateEbbT6_jjT7_P12ihipStream_tbENKUlT_T0_SI_SN_E_clIPySD_S15_SD_EEDaS11_S12_SI_SN_EUlS11_E_NS1_11comp_targetILNS1_3genE2ELNS1_11target_archE906ELNS1_3gpuE6ELNS1_3repE0EEENS1_47radix_sort_onesweep_sort_config_static_selectorELNS0_4arch9wavefront6targetE1EEEvSI_, .Lfunc_end549-_ZN7rocprim17ROCPRIM_400000_NS6detail17trampoline_kernelINS0_14default_configENS1_35radix_sort_onesweep_config_selectorIyyEEZZNS1_29radix_sort_onesweep_iterationIS3_Lb0EN6thrust23THRUST_200600_302600_NS6detail15normal_iteratorINS8_10device_ptrIyEEEESD_SD_SD_jNS0_19identity_decomposerENS1_16block_id_wrapperIjLb1EEEEE10hipError_tT1_PNSt15iterator_traitsISI_E10value_typeET2_T3_PNSJ_ISO_E10value_typeET4_T5_PST_SU_PNS1_23onesweep_lookback_stateEbbT6_jjT7_P12ihipStream_tbENKUlT_T0_SI_SN_E_clIPySD_S15_SD_EEDaS11_S12_SI_SN_EUlS11_E_NS1_11comp_targetILNS1_3genE2ELNS1_11target_archE906ELNS1_3gpuE6ELNS1_3repE0EEENS1_47radix_sort_onesweep_sort_config_static_selectorELNS0_4arch9wavefront6targetE1EEEvSI_
                                        ; -- End function
	.set _ZN7rocprim17ROCPRIM_400000_NS6detail17trampoline_kernelINS0_14default_configENS1_35radix_sort_onesweep_config_selectorIyyEEZZNS1_29radix_sort_onesweep_iterationIS3_Lb0EN6thrust23THRUST_200600_302600_NS6detail15normal_iteratorINS8_10device_ptrIyEEEESD_SD_SD_jNS0_19identity_decomposerENS1_16block_id_wrapperIjLb1EEEEE10hipError_tT1_PNSt15iterator_traitsISI_E10value_typeET2_T3_PNSJ_ISO_E10value_typeET4_T5_PST_SU_PNS1_23onesweep_lookback_stateEbbT6_jjT7_P12ihipStream_tbENKUlT_T0_SI_SN_E_clIPySD_S15_SD_EEDaS11_S12_SI_SN_EUlS11_E_NS1_11comp_targetILNS1_3genE2ELNS1_11target_archE906ELNS1_3gpuE6ELNS1_3repE0EEENS1_47radix_sort_onesweep_sort_config_static_selectorELNS0_4arch9wavefront6targetE1EEEvSI_.num_vgpr, 0
	.set _ZN7rocprim17ROCPRIM_400000_NS6detail17trampoline_kernelINS0_14default_configENS1_35radix_sort_onesweep_config_selectorIyyEEZZNS1_29radix_sort_onesweep_iterationIS3_Lb0EN6thrust23THRUST_200600_302600_NS6detail15normal_iteratorINS8_10device_ptrIyEEEESD_SD_SD_jNS0_19identity_decomposerENS1_16block_id_wrapperIjLb1EEEEE10hipError_tT1_PNSt15iterator_traitsISI_E10value_typeET2_T3_PNSJ_ISO_E10value_typeET4_T5_PST_SU_PNS1_23onesweep_lookback_stateEbbT6_jjT7_P12ihipStream_tbENKUlT_T0_SI_SN_E_clIPySD_S15_SD_EEDaS11_S12_SI_SN_EUlS11_E_NS1_11comp_targetILNS1_3genE2ELNS1_11target_archE906ELNS1_3gpuE6ELNS1_3repE0EEENS1_47radix_sort_onesweep_sort_config_static_selectorELNS0_4arch9wavefront6targetE1EEEvSI_.num_agpr, 0
	.set _ZN7rocprim17ROCPRIM_400000_NS6detail17trampoline_kernelINS0_14default_configENS1_35radix_sort_onesweep_config_selectorIyyEEZZNS1_29radix_sort_onesweep_iterationIS3_Lb0EN6thrust23THRUST_200600_302600_NS6detail15normal_iteratorINS8_10device_ptrIyEEEESD_SD_SD_jNS0_19identity_decomposerENS1_16block_id_wrapperIjLb1EEEEE10hipError_tT1_PNSt15iterator_traitsISI_E10value_typeET2_T3_PNSJ_ISO_E10value_typeET4_T5_PST_SU_PNS1_23onesweep_lookback_stateEbbT6_jjT7_P12ihipStream_tbENKUlT_T0_SI_SN_E_clIPySD_S15_SD_EEDaS11_S12_SI_SN_EUlS11_E_NS1_11comp_targetILNS1_3genE2ELNS1_11target_archE906ELNS1_3gpuE6ELNS1_3repE0EEENS1_47radix_sort_onesweep_sort_config_static_selectorELNS0_4arch9wavefront6targetE1EEEvSI_.numbered_sgpr, 0
	.set _ZN7rocprim17ROCPRIM_400000_NS6detail17trampoline_kernelINS0_14default_configENS1_35radix_sort_onesweep_config_selectorIyyEEZZNS1_29radix_sort_onesweep_iterationIS3_Lb0EN6thrust23THRUST_200600_302600_NS6detail15normal_iteratorINS8_10device_ptrIyEEEESD_SD_SD_jNS0_19identity_decomposerENS1_16block_id_wrapperIjLb1EEEEE10hipError_tT1_PNSt15iterator_traitsISI_E10value_typeET2_T3_PNSJ_ISO_E10value_typeET4_T5_PST_SU_PNS1_23onesweep_lookback_stateEbbT6_jjT7_P12ihipStream_tbENKUlT_T0_SI_SN_E_clIPySD_S15_SD_EEDaS11_S12_SI_SN_EUlS11_E_NS1_11comp_targetILNS1_3genE2ELNS1_11target_archE906ELNS1_3gpuE6ELNS1_3repE0EEENS1_47radix_sort_onesweep_sort_config_static_selectorELNS0_4arch9wavefront6targetE1EEEvSI_.num_named_barrier, 0
	.set _ZN7rocprim17ROCPRIM_400000_NS6detail17trampoline_kernelINS0_14default_configENS1_35radix_sort_onesweep_config_selectorIyyEEZZNS1_29radix_sort_onesweep_iterationIS3_Lb0EN6thrust23THRUST_200600_302600_NS6detail15normal_iteratorINS8_10device_ptrIyEEEESD_SD_SD_jNS0_19identity_decomposerENS1_16block_id_wrapperIjLb1EEEEE10hipError_tT1_PNSt15iterator_traitsISI_E10value_typeET2_T3_PNSJ_ISO_E10value_typeET4_T5_PST_SU_PNS1_23onesweep_lookback_stateEbbT6_jjT7_P12ihipStream_tbENKUlT_T0_SI_SN_E_clIPySD_S15_SD_EEDaS11_S12_SI_SN_EUlS11_E_NS1_11comp_targetILNS1_3genE2ELNS1_11target_archE906ELNS1_3gpuE6ELNS1_3repE0EEENS1_47radix_sort_onesweep_sort_config_static_selectorELNS0_4arch9wavefront6targetE1EEEvSI_.private_seg_size, 0
	.set _ZN7rocprim17ROCPRIM_400000_NS6detail17trampoline_kernelINS0_14default_configENS1_35radix_sort_onesweep_config_selectorIyyEEZZNS1_29radix_sort_onesweep_iterationIS3_Lb0EN6thrust23THRUST_200600_302600_NS6detail15normal_iteratorINS8_10device_ptrIyEEEESD_SD_SD_jNS0_19identity_decomposerENS1_16block_id_wrapperIjLb1EEEEE10hipError_tT1_PNSt15iterator_traitsISI_E10value_typeET2_T3_PNSJ_ISO_E10value_typeET4_T5_PST_SU_PNS1_23onesweep_lookback_stateEbbT6_jjT7_P12ihipStream_tbENKUlT_T0_SI_SN_E_clIPySD_S15_SD_EEDaS11_S12_SI_SN_EUlS11_E_NS1_11comp_targetILNS1_3genE2ELNS1_11target_archE906ELNS1_3gpuE6ELNS1_3repE0EEENS1_47radix_sort_onesweep_sort_config_static_selectorELNS0_4arch9wavefront6targetE1EEEvSI_.uses_vcc, 0
	.set _ZN7rocprim17ROCPRIM_400000_NS6detail17trampoline_kernelINS0_14default_configENS1_35radix_sort_onesweep_config_selectorIyyEEZZNS1_29radix_sort_onesweep_iterationIS3_Lb0EN6thrust23THRUST_200600_302600_NS6detail15normal_iteratorINS8_10device_ptrIyEEEESD_SD_SD_jNS0_19identity_decomposerENS1_16block_id_wrapperIjLb1EEEEE10hipError_tT1_PNSt15iterator_traitsISI_E10value_typeET2_T3_PNSJ_ISO_E10value_typeET4_T5_PST_SU_PNS1_23onesweep_lookback_stateEbbT6_jjT7_P12ihipStream_tbENKUlT_T0_SI_SN_E_clIPySD_S15_SD_EEDaS11_S12_SI_SN_EUlS11_E_NS1_11comp_targetILNS1_3genE2ELNS1_11target_archE906ELNS1_3gpuE6ELNS1_3repE0EEENS1_47radix_sort_onesweep_sort_config_static_selectorELNS0_4arch9wavefront6targetE1EEEvSI_.uses_flat_scratch, 0
	.set _ZN7rocprim17ROCPRIM_400000_NS6detail17trampoline_kernelINS0_14default_configENS1_35radix_sort_onesweep_config_selectorIyyEEZZNS1_29radix_sort_onesweep_iterationIS3_Lb0EN6thrust23THRUST_200600_302600_NS6detail15normal_iteratorINS8_10device_ptrIyEEEESD_SD_SD_jNS0_19identity_decomposerENS1_16block_id_wrapperIjLb1EEEEE10hipError_tT1_PNSt15iterator_traitsISI_E10value_typeET2_T3_PNSJ_ISO_E10value_typeET4_T5_PST_SU_PNS1_23onesweep_lookback_stateEbbT6_jjT7_P12ihipStream_tbENKUlT_T0_SI_SN_E_clIPySD_S15_SD_EEDaS11_S12_SI_SN_EUlS11_E_NS1_11comp_targetILNS1_3genE2ELNS1_11target_archE906ELNS1_3gpuE6ELNS1_3repE0EEENS1_47radix_sort_onesweep_sort_config_static_selectorELNS0_4arch9wavefront6targetE1EEEvSI_.has_dyn_sized_stack, 0
	.set _ZN7rocprim17ROCPRIM_400000_NS6detail17trampoline_kernelINS0_14default_configENS1_35radix_sort_onesweep_config_selectorIyyEEZZNS1_29radix_sort_onesweep_iterationIS3_Lb0EN6thrust23THRUST_200600_302600_NS6detail15normal_iteratorINS8_10device_ptrIyEEEESD_SD_SD_jNS0_19identity_decomposerENS1_16block_id_wrapperIjLb1EEEEE10hipError_tT1_PNSt15iterator_traitsISI_E10value_typeET2_T3_PNSJ_ISO_E10value_typeET4_T5_PST_SU_PNS1_23onesweep_lookback_stateEbbT6_jjT7_P12ihipStream_tbENKUlT_T0_SI_SN_E_clIPySD_S15_SD_EEDaS11_S12_SI_SN_EUlS11_E_NS1_11comp_targetILNS1_3genE2ELNS1_11target_archE906ELNS1_3gpuE6ELNS1_3repE0EEENS1_47radix_sort_onesweep_sort_config_static_selectorELNS0_4arch9wavefront6targetE1EEEvSI_.has_recursion, 0
	.set _ZN7rocprim17ROCPRIM_400000_NS6detail17trampoline_kernelINS0_14default_configENS1_35radix_sort_onesweep_config_selectorIyyEEZZNS1_29radix_sort_onesweep_iterationIS3_Lb0EN6thrust23THRUST_200600_302600_NS6detail15normal_iteratorINS8_10device_ptrIyEEEESD_SD_SD_jNS0_19identity_decomposerENS1_16block_id_wrapperIjLb1EEEEE10hipError_tT1_PNSt15iterator_traitsISI_E10value_typeET2_T3_PNSJ_ISO_E10value_typeET4_T5_PST_SU_PNS1_23onesweep_lookback_stateEbbT6_jjT7_P12ihipStream_tbENKUlT_T0_SI_SN_E_clIPySD_S15_SD_EEDaS11_S12_SI_SN_EUlS11_E_NS1_11comp_targetILNS1_3genE2ELNS1_11target_archE906ELNS1_3gpuE6ELNS1_3repE0EEENS1_47radix_sort_onesweep_sort_config_static_selectorELNS0_4arch9wavefront6targetE1EEEvSI_.has_indirect_call, 0
	.section	.AMDGPU.csdata,"",@progbits
; Kernel info:
; codeLenInByte = 0
; TotalNumSgprs: 6
; NumVgprs: 0
; NumAgprs: 0
; TotalNumVgprs: 0
; ScratchSize: 0
; MemoryBound: 0
; FloatMode: 240
; IeeeMode: 1
; LDSByteSize: 0 bytes/workgroup (compile time only)
; SGPRBlocks: 0
; VGPRBlocks: 0
; NumSGPRsForWavesPerEU: 6
; NumVGPRsForWavesPerEU: 1
; AccumOffset: 4
; Occupancy: 8
; WaveLimiterHint : 0
; COMPUTE_PGM_RSRC2:SCRATCH_EN: 0
; COMPUTE_PGM_RSRC2:USER_SGPR: 2
; COMPUTE_PGM_RSRC2:TRAP_HANDLER: 0
; COMPUTE_PGM_RSRC2:TGID_X_EN: 1
; COMPUTE_PGM_RSRC2:TGID_Y_EN: 0
; COMPUTE_PGM_RSRC2:TGID_Z_EN: 0
; COMPUTE_PGM_RSRC2:TIDIG_COMP_CNT: 0
; COMPUTE_PGM_RSRC3_GFX90A:ACCUM_OFFSET: 0
; COMPUTE_PGM_RSRC3_GFX90A:TG_SPLIT: 0
	.section	.text._ZN7rocprim17ROCPRIM_400000_NS6detail17trampoline_kernelINS0_14default_configENS1_35radix_sort_onesweep_config_selectorIyyEEZZNS1_29radix_sort_onesweep_iterationIS3_Lb0EN6thrust23THRUST_200600_302600_NS6detail15normal_iteratorINS8_10device_ptrIyEEEESD_SD_SD_jNS0_19identity_decomposerENS1_16block_id_wrapperIjLb1EEEEE10hipError_tT1_PNSt15iterator_traitsISI_E10value_typeET2_T3_PNSJ_ISO_E10value_typeET4_T5_PST_SU_PNS1_23onesweep_lookback_stateEbbT6_jjT7_P12ihipStream_tbENKUlT_T0_SI_SN_E_clIPySD_S15_SD_EEDaS11_S12_SI_SN_EUlS11_E_NS1_11comp_targetILNS1_3genE4ELNS1_11target_archE910ELNS1_3gpuE8ELNS1_3repE0EEENS1_47radix_sort_onesweep_sort_config_static_selectorELNS0_4arch9wavefront6targetE1EEEvSI_,"axG",@progbits,_ZN7rocprim17ROCPRIM_400000_NS6detail17trampoline_kernelINS0_14default_configENS1_35radix_sort_onesweep_config_selectorIyyEEZZNS1_29radix_sort_onesweep_iterationIS3_Lb0EN6thrust23THRUST_200600_302600_NS6detail15normal_iteratorINS8_10device_ptrIyEEEESD_SD_SD_jNS0_19identity_decomposerENS1_16block_id_wrapperIjLb1EEEEE10hipError_tT1_PNSt15iterator_traitsISI_E10value_typeET2_T3_PNSJ_ISO_E10value_typeET4_T5_PST_SU_PNS1_23onesweep_lookback_stateEbbT6_jjT7_P12ihipStream_tbENKUlT_T0_SI_SN_E_clIPySD_S15_SD_EEDaS11_S12_SI_SN_EUlS11_E_NS1_11comp_targetILNS1_3genE4ELNS1_11target_archE910ELNS1_3gpuE8ELNS1_3repE0EEENS1_47radix_sort_onesweep_sort_config_static_selectorELNS0_4arch9wavefront6targetE1EEEvSI_,comdat
	.protected	_ZN7rocprim17ROCPRIM_400000_NS6detail17trampoline_kernelINS0_14default_configENS1_35radix_sort_onesweep_config_selectorIyyEEZZNS1_29radix_sort_onesweep_iterationIS3_Lb0EN6thrust23THRUST_200600_302600_NS6detail15normal_iteratorINS8_10device_ptrIyEEEESD_SD_SD_jNS0_19identity_decomposerENS1_16block_id_wrapperIjLb1EEEEE10hipError_tT1_PNSt15iterator_traitsISI_E10value_typeET2_T3_PNSJ_ISO_E10value_typeET4_T5_PST_SU_PNS1_23onesweep_lookback_stateEbbT6_jjT7_P12ihipStream_tbENKUlT_T0_SI_SN_E_clIPySD_S15_SD_EEDaS11_S12_SI_SN_EUlS11_E_NS1_11comp_targetILNS1_3genE4ELNS1_11target_archE910ELNS1_3gpuE8ELNS1_3repE0EEENS1_47radix_sort_onesweep_sort_config_static_selectorELNS0_4arch9wavefront6targetE1EEEvSI_ ; -- Begin function _ZN7rocprim17ROCPRIM_400000_NS6detail17trampoline_kernelINS0_14default_configENS1_35radix_sort_onesweep_config_selectorIyyEEZZNS1_29radix_sort_onesweep_iterationIS3_Lb0EN6thrust23THRUST_200600_302600_NS6detail15normal_iteratorINS8_10device_ptrIyEEEESD_SD_SD_jNS0_19identity_decomposerENS1_16block_id_wrapperIjLb1EEEEE10hipError_tT1_PNSt15iterator_traitsISI_E10value_typeET2_T3_PNSJ_ISO_E10value_typeET4_T5_PST_SU_PNS1_23onesweep_lookback_stateEbbT6_jjT7_P12ihipStream_tbENKUlT_T0_SI_SN_E_clIPySD_S15_SD_EEDaS11_S12_SI_SN_EUlS11_E_NS1_11comp_targetILNS1_3genE4ELNS1_11target_archE910ELNS1_3gpuE8ELNS1_3repE0EEENS1_47radix_sort_onesweep_sort_config_static_selectorELNS0_4arch9wavefront6targetE1EEEvSI_
	.globl	_ZN7rocprim17ROCPRIM_400000_NS6detail17trampoline_kernelINS0_14default_configENS1_35radix_sort_onesweep_config_selectorIyyEEZZNS1_29radix_sort_onesweep_iterationIS3_Lb0EN6thrust23THRUST_200600_302600_NS6detail15normal_iteratorINS8_10device_ptrIyEEEESD_SD_SD_jNS0_19identity_decomposerENS1_16block_id_wrapperIjLb1EEEEE10hipError_tT1_PNSt15iterator_traitsISI_E10value_typeET2_T3_PNSJ_ISO_E10value_typeET4_T5_PST_SU_PNS1_23onesweep_lookback_stateEbbT6_jjT7_P12ihipStream_tbENKUlT_T0_SI_SN_E_clIPySD_S15_SD_EEDaS11_S12_SI_SN_EUlS11_E_NS1_11comp_targetILNS1_3genE4ELNS1_11target_archE910ELNS1_3gpuE8ELNS1_3repE0EEENS1_47radix_sort_onesweep_sort_config_static_selectorELNS0_4arch9wavefront6targetE1EEEvSI_
	.p2align	8
	.type	_ZN7rocprim17ROCPRIM_400000_NS6detail17trampoline_kernelINS0_14default_configENS1_35radix_sort_onesweep_config_selectorIyyEEZZNS1_29radix_sort_onesweep_iterationIS3_Lb0EN6thrust23THRUST_200600_302600_NS6detail15normal_iteratorINS8_10device_ptrIyEEEESD_SD_SD_jNS0_19identity_decomposerENS1_16block_id_wrapperIjLb1EEEEE10hipError_tT1_PNSt15iterator_traitsISI_E10value_typeET2_T3_PNSJ_ISO_E10value_typeET4_T5_PST_SU_PNS1_23onesweep_lookback_stateEbbT6_jjT7_P12ihipStream_tbENKUlT_T0_SI_SN_E_clIPySD_S15_SD_EEDaS11_S12_SI_SN_EUlS11_E_NS1_11comp_targetILNS1_3genE4ELNS1_11target_archE910ELNS1_3gpuE8ELNS1_3repE0EEENS1_47radix_sort_onesweep_sort_config_static_selectorELNS0_4arch9wavefront6targetE1EEEvSI_,@function
_ZN7rocprim17ROCPRIM_400000_NS6detail17trampoline_kernelINS0_14default_configENS1_35radix_sort_onesweep_config_selectorIyyEEZZNS1_29radix_sort_onesweep_iterationIS3_Lb0EN6thrust23THRUST_200600_302600_NS6detail15normal_iteratorINS8_10device_ptrIyEEEESD_SD_SD_jNS0_19identity_decomposerENS1_16block_id_wrapperIjLb1EEEEE10hipError_tT1_PNSt15iterator_traitsISI_E10value_typeET2_T3_PNSJ_ISO_E10value_typeET4_T5_PST_SU_PNS1_23onesweep_lookback_stateEbbT6_jjT7_P12ihipStream_tbENKUlT_T0_SI_SN_E_clIPySD_S15_SD_EEDaS11_S12_SI_SN_EUlS11_E_NS1_11comp_targetILNS1_3genE4ELNS1_11target_archE910ELNS1_3gpuE8ELNS1_3repE0EEENS1_47radix_sort_onesweep_sort_config_static_selectorELNS0_4arch9wavefront6targetE1EEEvSI_: ; @_ZN7rocprim17ROCPRIM_400000_NS6detail17trampoline_kernelINS0_14default_configENS1_35radix_sort_onesweep_config_selectorIyyEEZZNS1_29radix_sort_onesweep_iterationIS3_Lb0EN6thrust23THRUST_200600_302600_NS6detail15normal_iteratorINS8_10device_ptrIyEEEESD_SD_SD_jNS0_19identity_decomposerENS1_16block_id_wrapperIjLb1EEEEE10hipError_tT1_PNSt15iterator_traitsISI_E10value_typeET2_T3_PNSJ_ISO_E10value_typeET4_T5_PST_SU_PNS1_23onesweep_lookback_stateEbbT6_jjT7_P12ihipStream_tbENKUlT_T0_SI_SN_E_clIPySD_S15_SD_EEDaS11_S12_SI_SN_EUlS11_E_NS1_11comp_targetILNS1_3genE4ELNS1_11target_archE910ELNS1_3gpuE8ELNS1_3repE0EEENS1_47radix_sort_onesweep_sort_config_static_selectorELNS0_4arch9wavefront6targetE1EEEvSI_
; %bb.0:
	.section	.rodata,"a",@progbits
	.p2align	6, 0x0
	.amdhsa_kernel _ZN7rocprim17ROCPRIM_400000_NS6detail17trampoline_kernelINS0_14default_configENS1_35radix_sort_onesweep_config_selectorIyyEEZZNS1_29radix_sort_onesweep_iterationIS3_Lb0EN6thrust23THRUST_200600_302600_NS6detail15normal_iteratorINS8_10device_ptrIyEEEESD_SD_SD_jNS0_19identity_decomposerENS1_16block_id_wrapperIjLb1EEEEE10hipError_tT1_PNSt15iterator_traitsISI_E10value_typeET2_T3_PNSJ_ISO_E10value_typeET4_T5_PST_SU_PNS1_23onesweep_lookback_stateEbbT6_jjT7_P12ihipStream_tbENKUlT_T0_SI_SN_E_clIPySD_S15_SD_EEDaS11_S12_SI_SN_EUlS11_E_NS1_11comp_targetILNS1_3genE4ELNS1_11target_archE910ELNS1_3gpuE8ELNS1_3repE0EEENS1_47radix_sort_onesweep_sort_config_static_selectorELNS0_4arch9wavefront6targetE1EEEvSI_
		.amdhsa_group_segment_fixed_size 0
		.amdhsa_private_segment_fixed_size 0
		.amdhsa_kernarg_size 88
		.amdhsa_user_sgpr_count 2
		.amdhsa_user_sgpr_dispatch_ptr 0
		.amdhsa_user_sgpr_queue_ptr 0
		.amdhsa_user_sgpr_kernarg_segment_ptr 1
		.amdhsa_user_sgpr_dispatch_id 0
		.amdhsa_user_sgpr_kernarg_preload_length 0
		.amdhsa_user_sgpr_kernarg_preload_offset 0
		.amdhsa_user_sgpr_private_segment_size 0
		.amdhsa_uses_dynamic_stack 0
		.amdhsa_enable_private_segment 0
		.amdhsa_system_sgpr_workgroup_id_x 1
		.amdhsa_system_sgpr_workgroup_id_y 0
		.amdhsa_system_sgpr_workgroup_id_z 0
		.amdhsa_system_sgpr_workgroup_info 0
		.amdhsa_system_vgpr_workitem_id 0
		.amdhsa_next_free_vgpr 1
		.amdhsa_next_free_sgpr 0
		.amdhsa_accum_offset 4
		.amdhsa_reserve_vcc 0
		.amdhsa_float_round_mode_32 0
		.amdhsa_float_round_mode_16_64 0
		.amdhsa_float_denorm_mode_32 3
		.amdhsa_float_denorm_mode_16_64 3
		.amdhsa_dx10_clamp 1
		.amdhsa_ieee_mode 1
		.amdhsa_fp16_overflow 0
		.amdhsa_tg_split 0
		.amdhsa_exception_fp_ieee_invalid_op 0
		.amdhsa_exception_fp_denorm_src 0
		.amdhsa_exception_fp_ieee_div_zero 0
		.amdhsa_exception_fp_ieee_overflow 0
		.amdhsa_exception_fp_ieee_underflow 0
		.amdhsa_exception_fp_ieee_inexact 0
		.amdhsa_exception_int_div_zero 0
	.end_amdhsa_kernel
	.section	.text._ZN7rocprim17ROCPRIM_400000_NS6detail17trampoline_kernelINS0_14default_configENS1_35radix_sort_onesweep_config_selectorIyyEEZZNS1_29radix_sort_onesweep_iterationIS3_Lb0EN6thrust23THRUST_200600_302600_NS6detail15normal_iteratorINS8_10device_ptrIyEEEESD_SD_SD_jNS0_19identity_decomposerENS1_16block_id_wrapperIjLb1EEEEE10hipError_tT1_PNSt15iterator_traitsISI_E10value_typeET2_T3_PNSJ_ISO_E10value_typeET4_T5_PST_SU_PNS1_23onesweep_lookback_stateEbbT6_jjT7_P12ihipStream_tbENKUlT_T0_SI_SN_E_clIPySD_S15_SD_EEDaS11_S12_SI_SN_EUlS11_E_NS1_11comp_targetILNS1_3genE4ELNS1_11target_archE910ELNS1_3gpuE8ELNS1_3repE0EEENS1_47radix_sort_onesweep_sort_config_static_selectorELNS0_4arch9wavefront6targetE1EEEvSI_,"axG",@progbits,_ZN7rocprim17ROCPRIM_400000_NS6detail17trampoline_kernelINS0_14default_configENS1_35radix_sort_onesweep_config_selectorIyyEEZZNS1_29radix_sort_onesweep_iterationIS3_Lb0EN6thrust23THRUST_200600_302600_NS6detail15normal_iteratorINS8_10device_ptrIyEEEESD_SD_SD_jNS0_19identity_decomposerENS1_16block_id_wrapperIjLb1EEEEE10hipError_tT1_PNSt15iterator_traitsISI_E10value_typeET2_T3_PNSJ_ISO_E10value_typeET4_T5_PST_SU_PNS1_23onesweep_lookback_stateEbbT6_jjT7_P12ihipStream_tbENKUlT_T0_SI_SN_E_clIPySD_S15_SD_EEDaS11_S12_SI_SN_EUlS11_E_NS1_11comp_targetILNS1_3genE4ELNS1_11target_archE910ELNS1_3gpuE8ELNS1_3repE0EEENS1_47radix_sort_onesweep_sort_config_static_selectorELNS0_4arch9wavefront6targetE1EEEvSI_,comdat
.Lfunc_end550:
	.size	_ZN7rocprim17ROCPRIM_400000_NS6detail17trampoline_kernelINS0_14default_configENS1_35radix_sort_onesweep_config_selectorIyyEEZZNS1_29radix_sort_onesweep_iterationIS3_Lb0EN6thrust23THRUST_200600_302600_NS6detail15normal_iteratorINS8_10device_ptrIyEEEESD_SD_SD_jNS0_19identity_decomposerENS1_16block_id_wrapperIjLb1EEEEE10hipError_tT1_PNSt15iterator_traitsISI_E10value_typeET2_T3_PNSJ_ISO_E10value_typeET4_T5_PST_SU_PNS1_23onesweep_lookback_stateEbbT6_jjT7_P12ihipStream_tbENKUlT_T0_SI_SN_E_clIPySD_S15_SD_EEDaS11_S12_SI_SN_EUlS11_E_NS1_11comp_targetILNS1_3genE4ELNS1_11target_archE910ELNS1_3gpuE8ELNS1_3repE0EEENS1_47radix_sort_onesweep_sort_config_static_selectorELNS0_4arch9wavefront6targetE1EEEvSI_, .Lfunc_end550-_ZN7rocprim17ROCPRIM_400000_NS6detail17trampoline_kernelINS0_14default_configENS1_35radix_sort_onesweep_config_selectorIyyEEZZNS1_29radix_sort_onesweep_iterationIS3_Lb0EN6thrust23THRUST_200600_302600_NS6detail15normal_iteratorINS8_10device_ptrIyEEEESD_SD_SD_jNS0_19identity_decomposerENS1_16block_id_wrapperIjLb1EEEEE10hipError_tT1_PNSt15iterator_traitsISI_E10value_typeET2_T3_PNSJ_ISO_E10value_typeET4_T5_PST_SU_PNS1_23onesweep_lookback_stateEbbT6_jjT7_P12ihipStream_tbENKUlT_T0_SI_SN_E_clIPySD_S15_SD_EEDaS11_S12_SI_SN_EUlS11_E_NS1_11comp_targetILNS1_3genE4ELNS1_11target_archE910ELNS1_3gpuE8ELNS1_3repE0EEENS1_47radix_sort_onesweep_sort_config_static_selectorELNS0_4arch9wavefront6targetE1EEEvSI_
                                        ; -- End function
	.set _ZN7rocprim17ROCPRIM_400000_NS6detail17trampoline_kernelINS0_14default_configENS1_35radix_sort_onesweep_config_selectorIyyEEZZNS1_29radix_sort_onesweep_iterationIS3_Lb0EN6thrust23THRUST_200600_302600_NS6detail15normal_iteratorINS8_10device_ptrIyEEEESD_SD_SD_jNS0_19identity_decomposerENS1_16block_id_wrapperIjLb1EEEEE10hipError_tT1_PNSt15iterator_traitsISI_E10value_typeET2_T3_PNSJ_ISO_E10value_typeET4_T5_PST_SU_PNS1_23onesweep_lookback_stateEbbT6_jjT7_P12ihipStream_tbENKUlT_T0_SI_SN_E_clIPySD_S15_SD_EEDaS11_S12_SI_SN_EUlS11_E_NS1_11comp_targetILNS1_3genE4ELNS1_11target_archE910ELNS1_3gpuE8ELNS1_3repE0EEENS1_47radix_sort_onesweep_sort_config_static_selectorELNS0_4arch9wavefront6targetE1EEEvSI_.num_vgpr, 0
	.set _ZN7rocprim17ROCPRIM_400000_NS6detail17trampoline_kernelINS0_14default_configENS1_35radix_sort_onesweep_config_selectorIyyEEZZNS1_29radix_sort_onesweep_iterationIS3_Lb0EN6thrust23THRUST_200600_302600_NS6detail15normal_iteratorINS8_10device_ptrIyEEEESD_SD_SD_jNS0_19identity_decomposerENS1_16block_id_wrapperIjLb1EEEEE10hipError_tT1_PNSt15iterator_traitsISI_E10value_typeET2_T3_PNSJ_ISO_E10value_typeET4_T5_PST_SU_PNS1_23onesweep_lookback_stateEbbT6_jjT7_P12ihipStream_tbENKUlT_T0_SI_SN_E_clIPySD_S15_SD_EEDaS11_S12_SI_SN_EUlS11_E_NS1_11comp_targetILNS1_3genE4ELNS1_11target_archE910ELNS1_3gpuE8ELNS1_3repE0EEENS1_47radix_sort_onesweep_sort_config_static_selectorELNS0_4arch9wavefront6targetE1EEEvSI_.num_agpr, 0
	.set _ZN7rocprim17ROCPRIM_400000_NS6detail17trampoline_kernelINS0_14default_configENS1_35radix_sort_onesweep_config_selectorIyyEEZZNS1_29radix_sort_onesweep_iterationIS3_Lb0EN6thrust23THRUST_200600_302600_NS6detail15normal_iteratorINS8_10device_ptrIyEEEESD_SD_SD_jNS0_19identity_decomposerENS1_16block_id_wrapperIjLb1EEEEE10hipError_tT1_PNSt15iterator_traitsISI_E10value_typeET2_T3_PNSJ_ISO_E10value_typeET4_T5_PST_SU_PNS1_23onesweep_lookback_stateEbbT6_jjT7_P12ihipStream_tbENKUlT_T0_SI_SN_E_clIPySD_S15_SD_EEDaS11_S12_SI_SN_EUlS11_E_NS1_11comp_targetILNS1_3genE4ELNS1_11target_archE910ELNS1_3gpuE8ELNS1_3repE0EEENS1_47radix_sort_onesweep_sort_config_static_selectorELNS0_4arch9wavefront6targetE1EEEvSI_.numbered_sgpr, 0
	.set _ZN7rocprim17ROCPRIM_400000_NS6detail17trampoline_kernelINS0_14default_configENS1_35radix_sort_onesweep_config_selectorIyyEEZZNS1_29radix_sort_onesweep_iterationIS3_Lb0EN6thrust23THRUST_200600_302600_NS6detail15normal_iteratorINS8_10device_ptrIyEEEESD_SD_SD_jNS0_19identity_decomposerENS1_16block_id_wrapperIjLb1EEEEE10hipError_tT1_PNSt15iterator_traitsISI_E10value_typeET2_T3_PNSJ_ISO_E10value_typeET4_T5_PST_SU_PNS1_23onesweep_lookback_stateEbbT6_jjT7_P12ihipStream_tbENKUlT_T0_SI_SN_E_clIPySD_S15_SD_EEDaS11_S12_SI_SN_EUlS11_E_NS1_11comp_targetILNS1_3genE4ELNS1_11target_archE910ELNS1_3gpuE8ELNS1_3repE0EEENS1_47radix_sort_onesweep_sort_config_static_selectorELNS0_4arch9wavefront6targetE1EEEvSI_.num_named_barrier, 0
	.set _ZN7rocprim17ROCPRIM_400000_NS6detail17trampoline_kernelINS0_14default_configENS1_35radix_sort_onesweep_config_selectorIyyEEZZNS1_29radix_sort_onesweep_iterationIS3_Lb0EN6thrust23THRUST_200600_302600_NS6detail15normal_iteratorINS8_10device_ptrIyEEEESD_SD_SD_jNS0_19identity_decomposerENS1_16block_id_wrapperIjLb1EEEEE10hipError_tT1_PNSt15iterator_traitsISI_E10value_typeET2_T3_PNSJ_ISO_E10value_typeET4_T5_PST_SU_PNS1_23onesweep_lookback_stateEbbT6_jjT7_P12ihipStream_tbENKUlT_T0_SI_SN_E_clIPySD_S15_SD_EEDaS11_S12_SI_SN_EUlS11_E_NS1_11comp_targetILNS1_3genE4ELNS1_11target_archE910ELNS1_3gpuE8ELNS1_3repE0EEENS1_47radix_sort_onesweep_sort_config_static_selectorELNS0_4arch9wavefront6targetE1EEEvSI_.private_seg_size, 0
	.set _ZN7rocprim17ROCPRIM_400000_NS6detail17trampoline_kernelINS0_14default_configENS1_35radix_sort_onesweep_config_selectorIyyEEZZNS1_29radix_sort_onesweep_iterationIS3_Lb0EN6thrust23THRUST_200600_302600_NS6detail15normal_iteratorINS8_10device_ptrIyEEEESD_SD_SD_jNS0_19identity_decomposerENS1_16block_id_wrapperIjLb1EEEEE10hipError_tT1_PNSt15iterator_traitsISI_E10value_typeET2_T3_PNSJ_ISO_E10value_typeET4_T5_PST_SU_PNS1_23onesweep_lookback_stateEbbT6_jjT7_P12ihipStream_tbENKUlT_T0_SI_SN_E_clIPySD_S15_SD_EEDaS11_S12_SI_SN_EUlS11_E_NS1_11comp_targetILNS1_3genE4ELNS1_11target_archE910ELNS1_3gpuE8ELNS1_3repE0EEENS1_47radix_sort_onesweep_sort_config_static_selectorELNS0_4arch9wavefront6targetE1EEEvSI_.uses_vcc, 0
	.set _ZN7rocprim17ROCPRIM_400000_NS6detail17trampoline_kernelINS0_14default_configENS1_35radix_sort_onesweep_config_selectorIyyEEZZNS1_29radix_sort_onesweep_iterationIS3_Lb0EN6thrust23THRUST_200600_302600_NS6detail15normal_iteratorINS8_10device_ptrIyEEEESD_SD_SD_jNS0_19identity_decomposerENS1_16block_id_wrapperIjLb1EEEEE10hipError_tT1_PNSt15iterator_traitsISI_E10value_typeET2_T3_PNSJ_ISO_E10value_typeET4_T5_PST_SU_PNS1_23onesweep_lookback_stateEbbT6_jjT7_P12ihipStream_tbENKUlT_T0_SI_SN_E_clIPySD_S15_SD_EEDaS11_S12_SI_SN_EUlS11_E_NS1_11comp_targetILNS1_3genE4ELNS1_11target_archE910ELNS1_3gpuE8ELNS1_3repE0EEENS1_47radix_sort_onesweep_sort_config_static_selectorELNS0_4arch9wavefront6targetE1EEEvSI_.uses_flat_scratch, 0
	.set _ZN7rocprim17ROCPRIM_400000_NS6detail17trampoline_kernelINS0_14default_configENS1_35radix_sort_onesweep_config_selectorIyyEEZZNS1_29radix_sort_onesweep_iterationIS3_Lb0EN6thrust23THRUST_200600_302600_NS6detail15normal_iteratorINS8_10device_ptrIyEEEESD_SD_SD_jNS0_19identity_decomposerENS1_16block_id_wrapperIjLb1EEEEE10hipError_tT1_PNSt15iterator_traitsISI_E10value_typeET2_T3_PNSJ_ISO_E10value_typeET4_T5_PST_SU_PNS1_23onesweep_lookback_stateEbbT6_jjT7_P12ihipStream_tbENKUlT_T0_SI_SN_E_clIPySD_S15_SD_EEDaS11_S12_SI_SN_EUlS11_E_NS1_11comp_targetILNS1_3genE4ELNS1_11target_archE910ELNS1_3gpuE8ELNS1_3repE0EEENS1_47radix_sort_onesweep_sort_config_static_selectorELNS0_4arch9wavefront6targetE1EEEvSI_.has_dyn_sized_stack, 0
	.set _ZN7rocprim17ROCPRIM_400000_NS6detail17trampoline_kernelINS0_14default_configENS1_35radix_sort_onesweep_config_selectorIyyEEZZNS1_29radix_sort_onesweep_iterationIS3_Lb0EN6thrust23THRUST_200600_302600_NS6detail15normal_iteratorINS8_10device_ptrIyEEEESD_SD_SD_jNS0_19identity_decomposerENS1_16block_id_wrapperIjLb1EEEEE10hipError_tT1_PNSt15iterator_traitsISI_E10value_typeET2_T3_PNSJ_ISO_E10value_typeET4_T5_PST_SU_PNS1_23onesweep_lookback_stateEbbT6_jjT7_P12ihipStream_tbENKUlT_T0_SI_SN_E_clIPySD_S15_SD_EEDaS11_S12_SI_SN_EUlS11_E_NS1_11comp_targetILNS1_3genE4ELNS1_11target_archE910ELNS1_3gpuE8ELNS1_3repE0EEENS1_47radix_sort_onesweep_sort_config_static_selectorELNS0_4arch9wavefront6targetE1EEEvSI_.has_recursion, 0
	.set _ZN7rocprim17ROCPRIM_400000_NS6detail17trampoline_kernelINS0_14default_configENS1_35radix_sort_onesweep_config_selectorIyyEEZZNS1_29radix_sort_onesweep_iterationIS3_Lb0EN6thrust23THRUST_200600_302600_NS6detail15normal_iteratorINS8_10device_ptrIyEEEESD_SD_SD_jNS0_19identity_decomposerENS1_16block_id_wrapperIjLb1EEEEE10hipError_tT1_PNSt15iterator_traitsISI_E10value_typeET2_T3_PNSJ_ISO_E10value_typeET4_T5_PST_SU_PNS1_23onesweep_lookback_stateEbbT6_jjT7_P12ihipStream_tbENKUlT_T0_SI_SN_E_clIPySD_S15_SD_EEDaS11_S12_SI_SN_EUlS11_E_NS1_11comp_targetILNS1_3genE4ELNS1_11target_archE910ELNS1_3gpuE8ELNS1_3repE0EEENS1_47radix_sort_onesweep_sort_config_static_selectorELNS0_4arch9wavefront6targetE1EEEvSI_.has_indirect_call, 0
	.section	.AMDGPU.csdata,"",@progbits
; Kernel info:
; codeLenInByte = 0
; TotalNumSgprs: 6
; NumVgprs: 0
; NumAgprs: 0
; TotalNumVgprs: 0
; ScratchSize: 0
; MemoryBound: 0
; FloatMode: 240
; IeeeMode: 1
; LDSByteSize: 0 bytes/workgroup (compile time only)
; SGPRBlocks: 0
; VGPRBlocks: 0
; NumSGPRsForWavesPerEU: 6
; NumVGPRsForWavesPerEU: 1
; AccumOffset: 4
; Occupancy: 8
; WaveLimiterHint : 0
; COMPUTE_PGM_RSRC2:SCRATCH_EN: 0
; COMPUTE_PGM_RSRC2:USER_SGPR: 2
; COMPUTE_PGM_RSRC2:TRAP_HANDLER: 0
; COMPUTE_PGM_RSRC2:TGID_X_EN: 1
; COMPUTE_PGM_RSRC2:TGID_Y_EN: 0
; COMPUTE_PGM_RSRC2:TGID_Z_EN: 0
; COMPUTE_PGM_RSRC2:TIDIG_COMP_CNT: 0
; COMPUTE_PGM_RSRC3_GFX90A:ACCUM_OFFSET: 0
; COMPUTE_PGM_RSRC3_GFX90A:TG_SPLIT: 0
	.section	.text._ZN7rocprim17ROCPRIM_400000_NS6detail17trampoline_kernelINS0_14default_configENS1_35radix_sort_onesweep_config_selectorIyyEEZZNS1_29radix_sort_onesweep_iterationIS3_Lb0EN6thrust23THRUST_200600_302600_NS6detail15normal_iteratorINS8_10device_ptrIyEEEESD_SD_SD_jNS0_19identity_decomposerENS1_16block_id_wrapperIjLb1EEEEE10hipError_tT1_PNSt15iterator_traitsISI_E10value_typeET2_T3_PNSJ_ISO_E10value_typeET4_T5_PST_SU_PNS1_23onesweep_lookback_stateEbbT6_jjT7_P12ihipStream_tbENKUlT_T0_SI_SN_E_clIPySD_S15_SD_EEDaS11_S12_SI_SN_EUlS11_E_NS1_11comp_targetILNS1_3genE3ELNS1_11target_archE908ELNS1_3gpuE7ELNS1_3repE0EEENS1_47radix_sort_onesweep_sort_config_static_selectorELNS0_4arch9wavefront6targetE1EEEvSI_,"axG",@progbits,_ZN7rocprim17ROCPRIM_400000_NS6detail17trampoline_kernelINS0_14default_configENS1_35radix_sort_onesweep_config_selectorIyyEEZZNS1_29radix_sort_onesweep_iterationIS3_Lb0EN6thrust23THRUST_200600_302600_NS6detail15normal_iteratorINS8_10device_ptrIyEEEESD_SD_SD_jNS0_19identity_decomposerENS1_16block_id_wrapperIjLb1EEEEE10hipError_tT1_PNSt15iterator_traitsISI_E10value_typeET2_T3_PNSJ_ISO_E10value_typeET4_T5_PST_SU_PNS1_23onesweep_lookback_stateEbbT6_jjT7_P12ihipStream_tbENKUlT_T0_SI_SN_E_clIPySD_S15_SD_EEDaS11_S12_SI_SN_EUlS11_E_NS1_11comp_targetILNS1_3genE3ELNS1_11target_archE908ELNS1_3gpuE7ELNS1_3repE0EEENS1_47radix_sort_onesweep_sort_config_static_selectorELNS0_4arch9wavefront6targetE1EEEvSI_,comdat
	.protected	_ZN7rocprim17ROCPRIM_400000_NS6detail17trampoline_kernelINS0_14default_configENS1_35radix_sort_onesweep_config_selectorIyyEEZZNS1_29radix_sort_onesweep_iterationIS3_Lb0EN6thrust23THRUST_200600_302600_NS6detail15normal_iteratorINS8_10device_ptrIyEEEESD_SD_SD_jNS0_19identity_decomposerENS1_16block_id_wrapperIjLb1EEEEE10hipError_tT1_PNSt15iterator_traitsISI_E10value_typeET2_T3_PNSJ_ISO_E10value_typeET4_T5_PST_SU_PNS1_23onesweep_lookback_stateEbbT6_jjT7_P12ihipStream_tbENKUlT_T0_SI_SN_E_clIPySD_S15_SD_EEDaS11_S12_SI_SN_EUlS11_E_NS1_11comp_targetILNS1_3genE3ELNS1_11target_archE908ELNS1_3gpuE7ELNS1_3repE0EEENS1_47radix_sort_onesweep_sort_config_static_selectorELNS0_4arch9wavefront6targetE1EEEvSI_ ; -- Begin function _ZN7rocprim17ROCPRIM_400000_NS6detail17trampoline_kernelINS0_14default_configENS1_35radix_sort_onesweep_config_selectorIyyEEZZNS1_29radix_sort_onesweep_iterationIS3_Lb0EN6thrust23THRUST_200600_302600_NS6detail15normal_iteratorINS8_10device_ptrIyEEEESD_SD_SD_jNS0_19identity_decomposerENS1_16block_id_wrapperIjLb1EEEEE10hipError_tT1_PNSt15iterator_traitsISI_E10value_typeET2_T3_PNSJ_ISO_E10value_typeET4_T5_PST_SU_PNS1_23onesweep_lookback_stateEbbT6_jjT7_P12ihipStream_tbENKUlT_T0_SI_SN_E_clIPySD_S15_SD_EEDaS11_S12_SI_SN_EUlS11_E_NS1_11comp_targetILNS1_3genE3ELNS1_11target_archE908ELNS1_3gpuE7ELNS1_3repE0EEENS1_47radix_sort_onesweep_sort_config_static_selectorELNS0_4arch9wavefront6targetE1EEEvSI_
	.globl	_ZN7rocprim17ROCPRIM_400000_NS6detail17trampoline_kernelINS0_14default_configENS1_35radix_sort_onesweep_config_selectorIyyEEZZNS1_29radix_sort_onesweep_iterationIS3_Lb0EN6thrust23THRUST_200600_302600_NS6detail15normal_iteratorINS8_10device_ptrIyEEEESD_SD_SD_jNS0_19identity_decomposerENS1_16block_id_wrapperIjLb1EEEEE10hipError_tT1_PNSt15iterator_traitsISI_E10value_typeET2_T3_PNSJ_ISO_E10value_typeET4_T5_PST_SU_PNS1_23onesweep_lookback_stateEbbT6_jjT7_P12ihipStream_tbENKUlT_T0_SI_SN_E_clIPySD_S15_SD_EEDaS11_S12_SI_SN_EUlS11_E_NS1_11comp_targetILNS1_3genE3ELNS1_11target_archE908ELNS1_3gpuE7ELNS1_3repE0EEENS1_47radix_sort_onesweep_sort_config_static_selectorELNS0_4arch9wavefront6targetE1EEEvSI_
	.p2align	8
	.type	_ZN7rocprim17ROCPRIM_400000_NS6detail17trampoline_kernelINS0_14default_configENS1_35radix_sort_onesweep_config_selectorIyyEEZZNS1_29radix_sort_onesweep_iterationIS3_Lb0EN6thrust23THRUST_200600_302600_NS6detail15normal_iteratorINS8_10device_ptrIyEEEESD_SD_SD_jNS0_19identity_decomposerENS1_16block_id_wrapperIjLb1EEEEE10hipError_tT1_PNSt15iterator_traitsISI_E10value_typeET2_T3_PNSJ_ISO_E10value_typeET4_T5_PST_SU_PNS1_23onesweep_lookback_stateEbbT6_jjT7_P12ihipStream_tbENKUlT_T0_SI_SN_E_clIPySD_S15_SD_EEDaS11_S12_SI_SN_EUlS11_E_NS1_11comp_targetILNS1_3genE3ELNS1_11target_archE908ELNS1_3gpuE7ELNS1_3repE0EEENS1_47radix_sort_onesweep_sort_config_static_selectorELNS0_4arch9wavefront6targetE1EEEvSI_,@function
_ZN7rocprim17ROCPRIM_400000_NS6detail17trampoline_kernelINS0_14default_configENS1_35radix_sort_onesweep_config_selectorIyyEEZZNS1_29radix_sort_onesweep_iterationIS3_Lb0EN6thrust23THRUST_200600_302600_NS6detail15normal_iteratorINS8_10device_ptrIyEEEESD_SD_SD_jNS0_19identity_decomposerENS1_16block_id_wrapperIjLb1EEEEE10hipError_tT1_PNSt15iterator_traitsISI_E10value_typeET2_T3_PNSJ_ISO_E10value_typeET4_T5_PST_SU_PNS1_23onesweep_lookback_stateEbbT6_jjT7_P12ihipStream_tbENKUlT_T0_SI_SN_E_clIPySD_S15_SD_EEDaS11_S12_SI_SN_EUlS11_E_NS1_11comp_targetILNS1_3genE3ELNS1_11target_archE908ELNS1_3gpuE7ELNS1_3repE0EEENS1_47radix_sort_onesweep_sort_config_static_selectorELNS0_4arch9wavefront6targetE1EEEvSI_: ; @_ZN7rocprim17ROCPRIM_400000_NS6detail17trampoline_kernelINS0_14default_configENS1_35radix_sort_onesweep_config_selectorIyyEEZZNS1_29radix_sort_onesweep_iterationIS3_Lb0EN6thrust23THRUST_200600_302600_NS6detail15normal_iteratorINS8_10device_ptrIyEEEESD_SD_SD_jNS0_19identity_decomposerENS1_16block_id_wrapperIjLb1EEEEE10hipError_tT1_PNSt15iterator_traitsISI_E10value_typeET2_T3_PNSJ_ISO_E10value_typeET4_T5_PST_SU_PNS1_23onesweep_lookback_stateEbbT6_jjT7_P12ihipStream_tbENKUlT_T0_SI_SN_E_clIPySD_S15_SD_EEDaS11_S12_SI_SN_EUlS11_E_NS1_11comp_targetILNS1_3genE3ELNS1_11target_archE908ELNS1_3gpuE7ELNS1_3repE0EEENS1_47radix_sort_onesweep_sort_config_static_selectorELNS0_4arch9wavefront6targetE1EEEvSI_
; %bb.0:
	.section	.rodata,"a",@progbits
	.p2align	6, 0x0
	.amdhsa_kernel _ZN7rocprim17ROCPRIM_400000_NS6detail17trampoline_kernelINS0_14default_configENS1_35radix_sort_onesweep_config_selectorIyyEEZZNS1_29radix_sort_onesweep_iterationIS3_Lb0EN6thrust23THRUST_200600_302600_NS6detail15normal_iteratorINS8_10device_ptrIyEEEESD_SD_SD_jNS0_19identity_decomposerENS1_16block_id_wrapperIjLb1EEEEE10hipError_tT1_PNSt15iterator_traitsISI_E10value_typeET2_T3_PNSJ_ISO_E10value_typeET4_T5_PST_SU_PNS1_23onesweep_lookback_stateEbbT6_jjT7_P12ihipStream_tbENKUlT_T0_SI_SN_E_clIPySD_S15_SD_EEDaS11_S12_SI_SN_EUlS11_E_NS1_11comp_targetILNS1_3genE3ELNS1_11target_archE908ELNS1_3gpuE7ELNS1_3repE0EEENS1_47radix_sort_onesweep_sort_config_static_selectorELNS0_4arch9wavefront6targetE1EEEvSI_
		.amdhsa_group_segment_fixed_size 0
		.amdhsa_private_segment_fixed_size 0
		.amdhsa_kernarg_size 88
		.amdhsa_user_sgpr_count 2
		.amdhsa_user_sgpr_dispatch_ptr 0
		.amdhsa_user_sgpr_queue_ptr 0
		.amdhsa_user_sgpr_kernarg_segment_ptr 1
		.amdhsa_user_sgpr_dispatch_id 0
		.amdhsa_user_sgpr_kernarg_preload_length 0
		.amdhsa_user_sgpr_kernarg_preload_offset 0
		.amdhsa_user_sgpr_private_segment_size 0
		.amdhsa_uses_dynamic_stack 0
		.amdhsa_enable_private_segment 0
		.amdhsa_system_sgpr_workgroup_id_x 1
		.amdhsa_system_sgpr_workgroup_id_y 0
		.amdhsa_system_sgpr_workgroup_id_z 0
		.amdhsa_system_sgpr_workgroup_info 0
		.amdhsa_system_vgpr_workitem_id 0
		.amdhsa_next_free_vgpr 1
		.amdhsa_next_free_sgpr 0
		.amdhsa_accum_offset 4
		.amdhsa_reserve_vcc 0
		.amdhsa_float_round_mode_32 0
		.amdhsa_float_round_mode_16_64 0
		.amdhsa_float_denorm_mode_32 3
		.amdhsa_float_denorm_mode_16_64 3
		.amdhsa_dx10_clamp 1
		.amdhsa_ieee_mode 1
		.amdhsa_fp16_overflow 0
		.amdhsa_tg_split 0
		.amdhsa_exception_fp_ieee_invalid_op 0
		.amdhsa_exception_fp_denorm_src 0
		.amdhsa_exception_fp_ieee_div_zero 0
		.amdhsa_exception_fp_ieee_overflow 0
		.amdhsa_exception_fp_ieee_underflow 0
		.amdhsa_exception_fp_ieee_inexact 0
		.amdhsa_exception_int_div_zero 0
	.end_amdhsa_kernel
	.section	.text._ZN7rocprim17ROCPRIM_400000_NS6detail17trampoline_kernelINS0_14default_configENS1_35radix_sort_onesweep_config_selectorIyyEEZZNS1_29radix_sort_onesweep_iterationIS3_Lb0EN6thrust23THRUST_200600_302600_NS6detail15normal_iteratorINS8_10device_ptrIyEEEESD_SD_SD_jNS0_19identity_decomposerENS1_16block_id_wrapperIjLb1EEEEE10hipError_tT1_PNSt15iterator_traitsISI_E10value_typeET2_T3_PNSJ_ISO_E10value_typeET4_T5_PST_SU_PNS1_23onesweep_lookback_stateEbbT6_jjT7_P12ihipStream_tbENKUlT_T0_SI_SN_E_clIPySD_S15_SD_EEDaS11_S12_SI_SN_EUlS11_E_NS1_11comp_targetILNS1_3genE3ELNS1_11target_archE908ELNS1_3gpuE7ELNS1_3repE0EEENS1_47radix_sort_onesweep_sort_config_static_selectorELNS0_4arch9wavefront6targetE1EEEvSI_,"axG",@progbits,_ZN7rocprim17ROCPRIM_400000_NS6detail17trampoline_kernelINS0_14default_configENS1_35radix_sort_onesweep_config_selectorIyyEEZZNS1_29radix_sort_onesweep_iterationIS3_Lb0EN6thrust23THRUST_200600_302600_NS6detail15normal_iteratorINS8_10device_ptrIyEEEESD_SD_SD_jNS0_19identity_decomposerENS1_16block_id_wrapperIjLb1EEEEE10hipError_tT1_PNSt15iterator_traitsISI_E10value_typeET2_T3_PNSJ_ISO_E10value_typeET4_T5_PST_SU_PNS1_23onesweep_lookback_stateEbbT6_jjT7_P12ihipStream_tbENKUlT_T0_SI_SN_E_clIPySD_S15_SD_EEDaS11_S12_SI_SN_EUlS11_E_NS1_11comp_targetILNS1_3genE3ELNS1_11target_archE908ELNS1_3gpuE7ELNS1_3repE0EEENS1_47radix_sort_onesweep_sort_config_static_selectorELNS0_4arch9wavefront6targetE1EEEvSI_,comdat
.Lfunc_end551:
	.size	_ZN7rocprim17ROCPRIM_400000_NS6detail17trampoline_kernelINS0_14default_configENS1_35radix_sort_onesweep_config_selectorIyyEEZZNS1_29radix_sort_onesweep_iterationIS3_Lb0EN6thrust23THRUST_200600_302600_NS6detail15normal_iteratorINS8_10device_ptrIyEEEESD_SD_SD_jNS0_19identity_decomposerENS1_16block_id_wrapperIjLb1EEEEE10hipError_tT1_PNSt15iterator_traitsISI_E10value_typeET2_T3_PNSJ_ISO_E10value_typeET4_T5_PST_SU_PNS1_23onesweep_lookback_stateEbbT6_jjT7_P12ihipStream_tbENKUlT_T0_SI_SN_E_clIPySD_S15_SD_EEDaS11_S12_SI_SN_EUlS11_E_NS1_11comp_targetILNS1_3genE3ELNS1_11target_archE908ELNS1_3gpuE7ELNS1_3repE0EEENS1_47radix_sort_onesweep_sort_config_static_selectorELNS0_4arch9wavefront6targetE1EEEvSI_, .Lfunc_end551-_ZN7rocprim17ROCPRIM_400000_NS6detail17trampoline_kernelINS0_14default_configENS1_35radix_sort_onesweep_config_selectorIyyEEZZNS1_29radix_sort_onesweep_iterationIS3_Lb0EN6thrust23THRUST_200600_302600_NS6detail15normal_iteratorINS8_10device_ptrIyEEEESD_SD_SD_jNS0_19identity_decomposerENS1_16block_id_wrapperIjLb1EEEEE10hipError_tT1_PNSt15iterator_traitsISI_E10value_typeET2_T3_PNSJ_ISO_E10value_typeET4_T5_PST_SU_PNS1_23onesweep_lookback_stateEbbT6_jjT7_P12ihipStream_tbENKUlT_T0_SI_SN_E_clIPySD_S15_SD_EEDaS11_S12_SI_SN_EUlS11_E_NS1_11comp_targetILNS1_3genE3ELNS1_11target_archE908ELNS1_3gpuE7ELNS1_3repE0EEENS1_47radix_sort_onesweep_sort_config_static_selectorELNS0_4arch9wavefront6targetE1EEEvSI_
                                        ; -- End function
	.set _ZN7rocprim17ROCPRIM_400000_NS6detail17trampoline_kernelINS0_14default_configENS1_35radix_sort_onesweep_config_selectorIyyEEZZNS1_29radix_sort_onesweep_iterationIS3_Lb0EN6thrust23THRUST_200600_302600_NS6detail15normal_iteratorINS8_10device_ptrIyEEEESD_SD_SD_jNS0_19identity_decomposerENS1_16block_id_wrapperIjLb1EEEEE10hipError_tT1_PNSt15iterator_traitsISI_E10value_typeET2_T3_PNSJ_ISO_E10value_typeET4_T5_PST_SU_PNS1_23onesweep_lookback_stateEbbT6_jjT7_P12ihipStream_tbENKUlT_T0_SI_SN_E_clIPySD_S15_SD_EEDaS11_S12_SI_SN_EUlS11_E_NS1_11comp_targetILNS1_3genE3ELNS1_11target_archE908ELNS1_3gpuE7ELNS1_3repE0EEENS1_47radix_sort_onesweep_sort_config_static_selectorELNS0_4arch9wavefront6targetE1EEEvSI_.num_vgpr, 0
	.set _ZN7rocprim17ROCPRIM_400000_NS6detail17trampoline_kernelINS0_14default_configENS1_35radix_sort_onesweep_config_selectorIyyEEZZNS1_29radix_sort_onesweep_iterationIS3_Lb0EN6thrust23THRUST_200600_302600_NS6detail15normal_iteratorINS8_10device_ptrIyEEEESD_SD_SD_jNS0_19identity_decomposerENS1_16block_id_wrapperIjLb1EEEEE10hipError_tT1_PNSt15iterator_traitsISI_E10value_typeET2_T3_PNSJ_ISO_E10value_typeET4_T5_PST_SU_PNS1_23onesweep_lookback_stateEbbT6_jjT7_P12ihipStream_tbENKUlT_T0_SI_SN_E_clIPySD_S15_SD_EEDaS11_S12_SI_SN_EUlS11_E_NS1_11comp_targetILNS1_3genE3ELNS1_11target_archE908ELNS1_3gpuE7ELNS1_3repE0EEENS1_47radix_sort_onesweep_sort_config_static_selectorELNS0_4arch9wavefront6targetE1EEEvSI_.num_agpr, 0
	.set _ZN7rocprim17ROCPRIM_400000_NS6detail17trampoline_kernelINS0_14default_configENS1_35radix_sort_onesweep_config_selectorIyyEEZZNS1_29radix_sort_onesweep_iterationIS3_Lb0EN6thrust23THRUST_200600_302600_NS6detail15normal_iteratorINS8_10device_ptrIyEEEESD_SD_SD_jNS0_19identity_decomposerENS1_16block_id_wrapperIjLb1EEEEE10hipError_tT1_PNSt15iterator_traitsISI_E10value_typeET2_T3_PNSJ_ISO_E10value_typeET4_T5_PST_SU_PNS1_23onesweep_lookback_stateEbbT6_jjT7_P12ihipStream_tbENKUlT_T0_SI_SN_E_clIPySD_S15_SD_EEDaS11_S12_SI_SN_EUlS11_E_NS1_11comp_targetILNS1_3genE3ELNS1_11target_archE908ELNS1_3gpuE7ELNS1_3repE0EEENS1_47radix_sort_onesweep_sort_config_static_selectorELNS0_4arch9wavefront6targetE1EEEvSI_.numbered_sgpr, 0
	.set _ZN7rocprim17ROCPRIM_400000_NS6detail17trampoline_kernelINS0_14default_configENS1_35radix_sort_onesweep_config_selectorIyyEEZZNS1_29radix_sort_onesweep_iterationIS3_Lb0EN6thrust23THRUST_200600_302600_NS6detail15normal_iteratorINS8_10device_ptrIyEEEESD_SD_SD_jNS0_19identity_decomposerENS1_16block_id_wrapperIjLb1EEEEE10hipError_tT1_PNSt15iterator_traitsISI_E10value_typeET2_T3_PNSJ_ISO_E10value_typeET4_T5_PST_SU_PNS1_23onesweep_lookback_stateEbbT6_jjT7_P12ihipStream_tbENKUlT_T0_SI_SN_E_clIPySD_S15_SD_EEDaS11_S12_SI_SN_EUlS11_E_NS1_11comp_targetILNS1_3genE3ELNS1_11target_archE908ELNS1_3gpuE7ELNS1_3repE0EEENS1_47radix_sort_onesweep_sort_config_static_selectorELNS0_4arch9wavefront6targetE1EEEvSI_.num_named_barrier, 0
	.set _ZN7rocprim17ROCPRIM_400000_NS6detail17trampoline_kernelINS0_14default_configENS1_35radix_sort_onesweep_config_selectorIyyEEZZNS1_29radix_sort_onesweep_iterationIS3_Lb0EN6thrust23THRUST_200600_302600_NS6detail15normal_iteratorINS8_10device_ptrIyEEEESD_SD_SD_jNS0_19identity_decomposerENS1_16block_id_wrapperIjLb1EEEEE10hipError_tT1_PNSt15iterator_traitsISI_E10value_typeET2_T3_PNSJ_ISO_E10value_typeET4_T5_PST_SU_PNS1_23onesweep_lookback_stateEbbT6_jjT7_P12ihipStream_tbENKUlT_T0_SI_SN_E_clIPySD_S15_SD_EEDaS11_S12_SI_SN_EUlS11_E_NS1_11comp_targetILNS1_3genE3ELNS1_11target_archE908ELNS1_3gpuE7ELNS1_3repE0EEENS1_47radix_sort_onesweep_sort_config_static_selectorELNS0_4arch9wavefront6targetE1EEEvSI_.private_seg_size, 0
	.set _ZN7rocprim17ROCPRIM_400000_NS6detail17trampoline_kernelINS0_14default_configENS1_35radix_sort_onesweep_config_selectorIyyEEZZNS1_29radix_sort_onesweep_iterationIS3_Lb0EN6thrust23THRUST_200600_302600_NS6detail15normal_iteratorINS8_10device_ptrIyEEEESD_SD_SD_jNS0_19identity_decomposerENS1_16block_id_wrapperIjLb1EEEEE10hipError_tT1_PNSt15iterator_traitsISI_E10value_typeET2_T3_PNSJ_ISO_E10value_typeET4_T5_PST_SU_PNS1_23onesweep_lookback_stateEbbT6_jjT7_P12ihipStream_tbENKUlT_T0_SI_SN_E_clIPySD_S15_SD_EEDaS11_S12_SI_SN_EUlS11_E_NS1_11comp_targetILNS1_3genE3ELNS1_11target_archE908ELNS1_3gpuE7ELNS1_3repE0EEENS1_47radix_sort_onesweep_sort_config_static_selectorELNS0_4arch9wavefront6targetE1EEEvSI_.uses_vcc, 0
	.set _ZN7rocprim17ROCPRIM_400000_NS6detail17trampoline_kernelINS0_14default_configENS1_35radix_sort_onesweep_config_selectorIyyEEZZNS1_29radix_sort_onesweep_iterationIS3_Lb0EN6thrust23THRUST_200600_302600_NS6detail15normal_iteratorINS8_10device_ptrIyEEEESD_SD_SD_jNS0_19identity_decomposerENS1_16block_id_wrapperIjLb1EEEEE10hipError_tT1_PNSt15iterator_traitsISI_E10value_typeET2_T3_PNSJ_ISO_E10value_typeET4_T5_PST_SU_PNS1_23onesweep_lookback_stateEbbT6_jjT7_P12ihipStream_tbENKUlT_T0_SI_SN_E_clIPySD_S15_SD_EEDaS11_S12_SI_SN_EUlS11_E_NS1_11comp_targetILNS1_3genE3ELNS1_11target_archE908ELNS1_3gpuE7ELNS1_3repE0EEENS1_47radix_sort_onesweep_sort_config_static_selectorELNS0_4arch9wavefront6targetE1EEEvSI_.uses_flat_scratch, 0
	.set _ZN7rocprim17ROCPRIM_400000_NS6detail17trampoline_kernelINS0_14default_configENS1_35radix_sort_onesweep_config_selectorIyyEEZZNS1_29radix_sort_onesweep_iterationIS3_Lb0EN6thrust23THRUST_200600_302600_NS6detail15normal_iteratorINS8_10device_ptrIyEEEESD_SD_SD_jNS0_19identity_decomposerENS1_16block_id_wrapperIjLb1EEEEE10hipError_tT1_PNSt15iterator_traitsISI_E10value_typeET2_T3_PNSJ_ISO_E10value_typeET4_T5_PST_SU_PNS1_23onesweep_lookback_stateEbbT6_jjT7_P12ihipStream_tbENKUlT_T0_SI_SN_E_clIPySD_S15_SD_EEDaS11_S12_SI_SN_EUlS11_E_NS1_11comp_targetILNS1_3genE3ELNS1_11target_archE908ELNS1_3gpuE7ELNS1_3repE0EEENS1_47radix_sort_onesweep_sort_config_static_selectorELNS0_4arch9wavefront6targetE1EEEvSI_.has_dyn_sized_stack, 0
	.set _ZN7rocprim17ROCPRIM_400000_NS6detail17trampoline_kernelINS0_14default_configENS1_35radix_sort_onesweep_config_selectorIyyEEZZNS1_29radix_sort_onesweep_iterationIS3_Lb0EN6thrust23THRUST_200600_302600_NS6detail15normal_iteratorINS8_10device_ptrIyEEEESD_SD_SD_jNS0_19identity_decomposerENS1_16block_id_wrapperIjLb1EEEEE10hipError_tT1_PNSt15iterator_traitsISI_E10value_typeET2_T3_PNSJ_ISO_E10value_typeET4_T5_PST_SU_PNS1_23onesweep_lookback_stateEbbT6_jjT7_P12ihipStream_tbENKUlT_T0_SI_SN_E_clIPySD_S15_SD_EEDaS11_S12_SI_SN_EUlS11_E_NS1_11comp_targetILNS1_3genE3ELNS1_11target_archE908ELNS1_3gpuE7ELNS1_3repE0EEENS1_47radix_sort_onesweep_sort_config_static_selectorELNS0_4arch9wavefront6targetE1EEEvSI_.has_recursion, 0
	.set _ZN7rocprim17ROCPRIM_400000_NS6detail17trampoline_kernelINS0_14default_configENS1_35radix_sort_onesweep_config_selectorIyyEEZZNS1_29radix_sort_onesweep_iterationIS3_Lb0EN6thrust23THRUST_200600_302600_NS6detail15normal_iteratorINS8_10device_ptrIyEEEESD_SD_SD_jNS0_19identity_decomposerENS1_16block_id_wrapperIjLb1EEEEE10hipError_tT1_PNSt15iterator_traitsISI_E10value_typeET2_T3_PNSJ_ISO_E10value_typeET4_T5_PST_SU_PNS1_23onesweep_lookback_stateEbbT6_jjT7_P12ihipStream_tbENKUlT_T0_SI_SN_E_clIPySD_S15_SD_EEDaS11_S12_SI_SN_EUlS11_E_NS1_11comp_targetILNS1_3genE3ELNS1_11target_archE908ELNS1_3gpuE7ELNS1_3repE0EEENS1_47radix_sort_onesweep_sort_config_static_selectorELNS0_4arch9wavefront6targetE1EEEvSI_.has_indirect_call, 0
	.section	.AMDGPU.csdata,"",@progbits
; Kernel info:
; codeLenInByte = 0
; TotalNumSgprs: 6
; NumVgprs: 0
; NumAgprs: 0
; TotalNumVgprs: 0
; ScratchSize: 0
; MemoryBound: 0
; FloatMode: 240
; IeeeMode: 1
; LDSByteSize: 0 bytes/workgroup (compile time only)
; SGPRBlocks: 0
; VGPRBlocks: 0
; NumSGPRsForWavesPerEU: 6
; NumVGPRsForWavesPerEU: 1
; AccumOffset: 4
; Occupancy: 8
; WaveLimiterHint : 0
; COMPUTE_PGM_RSRC2:SCRATCH_EN: 0
; COMPUTE_PGM_RSRC2:USER_SGPR: 2
; COMPUTE_PGM_RSRC2:TRAP_HANDLER: 0
; COMPUTE_PGM_RSRC2:TGID_X_EN: 1
; COMPUTE_PGM_RSRC2:TGID_Y_EN: 0
; COMPUTE_PGM_RSRC2:TGID_Z_EN: 0
; COMPUTE_PGM_RSRC2:TIDIG_COMP_CNT: 0
; COMPUTE_PGM_RSRC3_GFX90A:ACCUM_OFFSET: 0
; COMPUTE_PGM_RSRC3_GFX90A:TG_SPLIT: 0
	.section	.text._ZN7rocprim17ROCPRIM_400000_NS6detail17trampoline_kernelINS0_14default_configENS1_35radix_sort_onesweep_config_selectorIyyEEZZNS1_29radix_sort_onesweep_iterationIS3_Lb0EN6thrust23THRUST_200600_302600_NS6detail15normal_iteratorINS8_10device_ptrIyEEEESD_SD_SD_jNS0_19identity_decomposerENS1_16block_id_wrapperIjLb1EEEEE10hipError_tT1_PNSt15iterator_traitsISI_E10value_typeET2_T3_PNSJ_ISO_E10value_typeET4_T5_PST_SU_PNS1_23onesweep_lookback_stateEbbT6_jjT7_P12ihipStream_tbENKUlT_T0_SI_SN_E_clIPySD_S15_SD_EEDaS11_S12_SI_SN_EUlS11_E_NS1_11comp_targetILNS1_3genE10ELNS1_11target_archE1201ELNS1_3gpuE5ELNS1_3repE0EEENS1_47radix_sort_onesweep_sort_config_static_selectorELNS0_4arch9wavefront6targetE1EEEvSI_,"axG",@progbits,_ZN7rocprim17ROCPRIM_400000_NS6detail17trampoline_kernelINS0_14default_configENS1_35radix_sort_onesweep_config_selectorIyyEEZZNS1_29radix_sort_onesweep_iterationIS3_Lb0EN6thrust23THRUST_200600_302600_NS6detail15normal_iteratorINS8_10device_ptrIyEEEESD_SD_SD_jNS0_19identity_decomposerENS1_16block_id_wrapperIjLb1EEEEE10hipError_tT1_PNSt15iterator_traitsISI_E10value_typeET2_T3_PNSJ_ISO_E10value_typeET4_T5_PST_SU_PNS1_23onesweep_lookback_stateEbbT6_jjT7_P12ihipStream_tbENKUlT_T0_SI_SN_E_clIPySD_S15_SD_EEDaS11_S12_SI_SN_EUlS11_E_NS1_11comp_targetILNS1_3genE10ELNS1_11target_archE1201ELNS1_3gpuE5ELNS1_3repE0EEENS1_47radix_sort_onesweep_sort_config_static_selectorELNS0_4arch9wavefront6targetE1EEEvSI_,comdat
	.protected	_ZN7rocprim17ROCPRIM_400000_NS6detail17trampoline_kernelINS0_14default_configENS1_35radix_sort_onesweep_config_selectorIyyEEZZNS1_29radix_sort_onesweep_iterationIS3_Lb0EN6thrust23THRUST_200600_302600_NS6detail15normal_iteratorINS8_10device_ptrIyEEEESD_SD_SD_jNS0_19identity_decomposerENS1_16block_id_wrapperIjLb1EEEEE10hipError_tT1_PNSt15iterator_traitsISI_E10value_typeET2_T3_PNSJ_ISO_E10value_typeET4_T5_PST_SU_PNS1_23onesweep_lookback_stateEbbT6_jjT7_P12ihipStream_tbENKUlT_T0_SI_SN_E_clIPySD_S15_SD_EEDaS11_S12_SI_SN_EUlS11_E_NS1_11comp_targetILNS1_3genE10ELNS1_11target_archE1201ELNS1_3gpuE5ELNS1_3repE0EEENS1_47radix_sort_onesweep_sort_config_static_selectorELNS0_4arch9wavefront6targetE1EEEvSI_ ; -- Begin function _ZN7rocprim17ROCPRIM_400000_NS6detail17trampoline_kernelINS0_14default_configENS1_35radix_sort_onesweep_config_selectorIyyEEZZNS1_29radix_sort_onesweep_iterationIS3_Lb0EN6thrust23THRUST_200600_302600_NS6detail15normal_iteratorINS8_10device_ptrIyEEEESD_SD_SD_jNS0_19identity_decomposerENS1_16block_id_wrapperIjLb1EEEEE10hipError_tT1_PNSt15iterator_traitsISI_E10value_typeET2_T3_PNSJ_ISO_E10value_typeET4_T5_PST_SU_PNS1_23onesweep_lookback_stateEbbT6_jjT7_P12ihipStream_tbENKUlT_T0_SI_SN_E_clIPySD_S15_SD_EEDaS11_S12_SI_SN_EUlS11_E_NS1_11comp_targetILNS1_3genE10ELNS1_11target_archE1201ELNS1_3gpuE5ELNS1_3repE0EEENS1_47radix_sort_onesweep_sort_config_static_selectorELNS0_4arch9wavefront6targetE1EEEvSI_
	.globl	_ZN7rocprim17ROCPRIM_400000_NS6detail17trampoline_kernelINS0_14default_configENS1_35radix_sort_onesweep_config_selectorIyyEEZZNS1_29radix_sort_onesweep_iterationIS3_Lb0EN6thrust23THRUST_200600_302600_NS6detail15normal_iteratorINS8_10device_ptrIyEEEESD_SD_SD_jNS0_19identity_decomposerENS1_16block_id_wrapperIjLb1EEEEE10hipError_tT1_PNSt15iterator_traitsISI_E10value_typeET2_T3_PNSJ_ISO_E10value_typeET4_T5_PST_SU_PNS1_23onesweep_lookback_stateEbbT6_jjT7_P12ihipStream_tbENKUlT_T0_SI_SN_E_clIPySD_S15_SD_EEDaS11_S12_SI_SN_EUlS11_E_NS1_11comp_targetILNS1_3genE10ELNS1_11target_archE1201ELNS1_3gpuE5ELNS1_3repE0EEENS1_47radix_sort_onesweep_sort_config_static_selectorELNS0_4arch9wavefront6targetE1EEEvSI_
	.p2align	8
	.type	_ZN7rocprim17ROCPRIM_400000_NS6detail17trampoline_kernelINS0_14default_configENS1_35radix_sort_onesweep_config_selectorIyyEEZZNS1_29radix_sort_onesweep_iterationIS3_Lb0EN6thrust23THRUST_200600_302600_NS6detail15normal_iteratorINS8_10device_ptrIyEEEESD_SD_SD_jNS0_19identity_decomposerENS1_16block_id_wrapperIjLb1EEEEE10hipError_tT1_PNSt15iterator_traitsISI_E10value_typeET2_T3_PNSJ_ISO_E10value_typeET4_T5_PST_SU_PNS1_23onesweep_lookback_stateEbbT6_jjT7_P12ihipStream_tbENKUlT_T0_SI_SN_E_clIPySD_S15_SD_EEDaS11_S12_SI_SN_EUlS11_E_NS1_11comp_targetILNS1_3genE10ELNS1_11target_archE1201ELNS1_3gpuE5ELNS1_3repE0EEENS1_47radix_sort_onesweep_sort_config_static_selectorELNS0_4arch9wavefront6targetE1EEEvSI_,@function
_ZN7rocprim17ROCPRIM_400000_NS6detail17trampoline_kernelINS0_14default_configENS1_35radix_sort_onesweep_config_selectorIyyEEZZNS1_29radix_sort_onesweep_iterationIS3_Lb0EN6thrust23THRUST_200600_302600_NS6detail15normal_iteratorINS8_10device_ptrIyEEEESD_SD_SD_jNS0_19identity_decomposerENS1_16block_id_wrapperIjLb1EEEEE10hipError_tT1_PNSt15iterator_traitsISI_E10value_typeET2_T3_PNSJ_ISO_E10value_typeET4_T5_PST_SU_PNS1_23onesweep_lookback_stateEbbT6_jjT7_P12ihipStream_tbENKUlT_T0_SI_SN_E_clIPySD_S15_SD_EEDaS11_S12_SI_SN_EUlS11_E_NS1_11comp_targetILNS1_3genE10ELNS1_11target_archE1201ELNS1_3gpuE5ELNS1_3repE0EEENS1_47radix_sort_onesweep_sort_config_static_selectorELNS0_4arch9wavefront6targetE1EEEvSI_: ; @_ZN7rocprim17ROCPRIM_400000_NS6detail17trampoline_kernelINS0_14default_configENS1_35radix_sort_onesweep_config_selectorIyyEEZZNS1_29radix_sort_onesweep_iterationIS3_Lb0EN6thrust23THRUST_200600_302600_NS6detail15normal_iteratorINS8_10device_ptrIyEEEESD_SD_SD_jNS0_19identity_decomposerENS1_16block_id_wrapperIjLb1EEEEE10hipError_tT1_PNSt15iterator_traitsISI_E10value_typeET2_T3_PNSJ_ISO_E10value_typeET4_T5_PST_SU_PNS1_23onesweep_lookback_stateEbbT6_jjT7_P12ihipStream_tbENKUlT_T0_SI_SN_E_clIPySD_S15_SD_EEDaS11_S12_SI_SN_EUlS11_E_NS1_11comp_targetILNS1_3genE10ELNS1_11target_archE1201ELNS1_3gpuE5ELNS1_3repE0EEENS1_47radix_sort_onesweep_sort_config_static_selectorELNS0_4arch9wavefront6targetE1EEEvSI_
; %bb.0:
	.section	.rodata,"a",@progbits
	.p2align	6, 0x0
	.amdhsa_kernel _ZN7rocprim17ROCPRIM_400000_NS6detail17trampoline_kernelINS0_14default_configENS1_35radix_sort_onesweep_config_selectorIyyEEZZNS1_29radix_sort_onesweep_iterationIS3_Lb0EN6thrust23THRUST_200600_302600_NS6detail15normal_iteratorINS8_10device_ptrIyEEEESD_SD_SD_jNS0_19identity_decomposerENS1_16block_id_wrapperIjLb1EEEEE10hipError_tT1_PNSt15iterator_traitsISI_E10value_typeET2_T3_PNSJ_ISO_E10value_typeET4_T5_PST_SU_PNS1_23onesweep_lookback_stateEbbT6_jjT7_P12ihipStream_tbENKUlT_T0_SI_SN_E_clIPySD_S15_SD_EEDaS11_S12_SI_SN_EUlS11_E_NS1_11comp_targetILNS1_3genE10ELNS1_11target_archE1201ELNS1_3gpuE5ELNS1_3repE0EEENS1_47radix_sort_onesweep_sort_config_static_selectorELNS0_4arch9wavefront6targetE1EEEvSI_
		.amdhsa_group_segment_fixed_size 0
		.amdhsa_private_segment_fixed_size 0
		.amdhsa_kernarg_size 88
		.amdhsa_user_sgpr_count 2
		.amdhsa_user_sgpr_dispatch_ptr 0
		.amdhsa_user_sgpr_queue_ptr 0
		.amdhsa_user_sgpr_kernarg_segment_ptr 1
		.amdhsa_user_sgpr_dispatch_id 0
		.amdhsa_user_sgpr_kernarg_preload_length 0
		.amdhsa_user_sgpr_kernarg_preload_offset 0
		.amdhsa_user_sgpr_private_segment_size 0
		.amdhsa_uses_dynamic_stack 0
		.amdhsa_enable_private_segment 0
		.amdhsa_system_sgpr_workgroup_id_x 1
		.amdhsa_system_sgpr_workgroup_id_y 0
		.amdhsa_system_sgpr_workgroup_id_z 0
		.amdhsa_system_sgpr_workgroup_info 0
		.amdhsa_system_vgpr_workitem_id 0
		.amdhsa_next_free_vgpr 1
		.amdhsa_next_free_sgpr 0
		.amdhsa_accum_offset 4
		.amdhsa_reserve_vcc 0
		.amdhsa_float_round_mode_32 0
		.amdhsa_float_round_mode_16_64 0
		.amdhsa_float_denorm_mode_32 3
		.amdhsa_float_denorm_mode_16_64 3
		.amdhsa_dx10_clamp 1
		.amdhsa_ieee_mode 1
		.amdhsa_fp16_overflow 0
		.amdhsa_tg_split 0
		.amdhsa_exception_fp_ieee_invalid_op 0
		.amdhsa_exception_fp_denorm_src 0
		.amdhsa_exception_fp_ieee_div_zero 0
		.amdhsa_exception_fp_ieee_overflow 0
		.amdhsa_exception_fp_ieee_underflow 0
		.amdhsa_exception_fp_ieee_inexact 0
		.amdhsa_exception_int_div_zero 0
	.end_amdhsa_kernel
	.section	.text._ZN7rocprim17ROCPRIM_400000_NS6detail17trampoline_kernelINS0_14default_configENS1_35radix_sort_onesweep_config_selectorIyyEEZZNS1_29radix_sort_onesweep_iterationIS3_Lb0EN6thrust23THRUST_200600_302600_NS6detail15normal_iteratorINS8_10device_ptrIyEEEESD_SD_SD_jNS0_19identity_decomposerENS1_16block_id_wrapperIjLb1EEEEE10hipError_tT1_PNSt15iterator_traitsISI_E10value_typeET2_T3_PNSJ_ISO_E10value_typeET4_T5_PST_SU_PNS1_23onesweep_lookback_stateEbbT6_jjT7_P12ihipStream_tbENKUlT_T0_SI_SN_E_clIPySD_S15_SD_EEDaS11_S12_SI_SN_EUlS11_E_NS1_11comp_targetILNS1_3genE10ELNS1_11target_archE1201ELNS1_3gpuE5ELNS1_3repE0EEENS1_47radix_sort_onesweep_sort_config_static_selectorELNS0_4arch9wavefront6targetE1EEEvSI_,"axG",@progbits,_ZN7rocprim17ROCPRIM_400000_NS6detail17trampoline_kernelINS0_14default_configENS1_35radix_sort_onesweep_config_selectorIyyEEZZNS1_29radix_sort_onesweep_iterationIS3_Lb0EN6thrust23THRUST_200600_302600_NS6detail15normal_iteratorINS8_10device_ptrIyEEEESD_SD_SD_jNS0_19identity_decomposerENS1_16block_id_wrapperIjLb1EEEEE10hipError_tT1_PNSt15iterator_traitsISI_E10value_typeET2_T3_PNSJ_ISO_E10value_typeET4_T5_PST_SU_PNS1_23onesweep_lookback_stateEbbT6_jjT7_P12ihipStream_tbENKUlT_T0_SI_SN_E_clIPySD_S15_SD_EEDaS11_S12_SI_SN_EUlS11_E_NS1_11comp_targetILNS1_3genE10ELNS1_11target_archE1201ELNS1_3gpuE5ELNS1_3repE0EEENS1_47radix_sort_onesweep_sort_config_static_selectorELNS0_4arch9wavefront6targetE1EEEvSI_,comdat
.Lfunc_end552:
	.size	_ZN7rocprim17ROCPRIM_400000_NS6detail17trampoline_kernelINS0_14default_configENS1_35radix_sort_onesweep_config_selectorIyyEEZZNS1_29radix_sort_onesweep_iterationIS3_Lb0EN6thrust23THRUST_200600_302600_NS6detail15normal_iteratorINS8_10device_ptrIyEEEESD_SD_SD_jNS0_19identity_decomposerENS1_16block_id_wrapperIjLb1EEEEE10hipError_tT1_PNSt15iterator_traitsISI_E10value_typeET2_T3_PNSJ_ISO_E10value_typeET4_T5_PST_SU_PNS1_23onesweep_lookback_stateEbbT6_jjT7_P12ihipStream_tbENKUlT_T0_SI_SN_E_clIPySD_S15_SD_EEDaS11_S12_SI_SN_EUlS11_E_NS1_11comp_targetILNS1_3genE10ELNS1_11target_archE1201ELNS1_3gpuE5ELNS1_3repE0EEENS1_47radix_sort_onesweep_sort_config_static_selectorELNS0_4arch9wavefront6targetE1EEEvSI_, .Lfunc_end552-_ZN7rocprim17ROCPRIM_400000_NS6detail17trampoline_kernelINS0_14default_configENS1_35radix_sort_onesweep_config_selectorIyyEEZZNS1_29radix_sort_onesweep_iterationIS3_Lb0EN6thrust23THRUST_200600_302600_NS6detail15normal_iteratorINS8_10device_ptrIyEEEESD_SD_SD_jNS0_19identity_decomposerENS1_16block_id_wrapperIjLb1EEEEE10hipError_tT1_PNSt15iterator_traitsISI_E10value_typeET2_T3_PNSJ_ISO_E10value_typeET4_T5_PST_SU_PNS1_23onesweep_lookback_stateEbbT6_jjT7_P12ihipStream_tbENKUlT_T0_SI_SN_E_clIPySD_S15_SD_EEDaS11_S12_SI_SN_EUlS11_E_NS1_11comp_targetILNS1_3genE10ELNS1_11target_archE1201ELNS1_3gpuE5ELNS1_3repE0EEENS1_47radix_sort_onesweep_sort_config_static_selectorELNS0_4arch9wavefront6targetE1EEEvSI_
                                        ; -- End function
	.set _ZN7rocprim17ROCPRIM_400000_NS6detail17trampoline_kernelINS0_14default_configENS1_35radix_sort_onesweep_config_selectorIyyEEZZNS1_29radix_sort_onesweep_iterationIS3_Lb0EN6thrust23THRUST_200600_302600_NS6detail15normal_iteratorINS8_10device_ptrIyEEEESD_SD_SD_jNS0_19identity_decomposerENS1_16block_id_wrapperIjLb1EEEEE10hipError_tT1_PNSt15iterator_traitsISI_E10value_typeET2_T3_PNSJ_ISO_E10value_typeET4_T5_PST_SU_PNS1_23onesweep_lookback_stateEbbT6_jjT7_P12ihipStream_tbENKUlT_T0_SI_SN_E_clIPySD_S15_SD_EEDaS11_S12_SI_SN_EUlS11_E_NS1_11comp_targetILNS1_3genE10ELNS1_11target_archE1201ELNS1_3gpuE5ELNS1_3repE0EEENS1_47radix_sort_onesweep_sort_config_static_selectorELNS0_4arch9wavefront6targetE1EEEvSI_.num_vgpr, 0
	.set _ZN7rocprim17ROCPRIM_400000_NS6detail17trampoline_kernelINS0_14default_configENS1_35radix_sort_onesweep_config_selectorIyyEEZZNS1_29radix_sort_onesweep_iterationIS3_Lb0EN6thrust23THRUST_200600_302600_NS6detail15normal_iteratorINS8_10device_ptrIyEEEESD_SD_SD_jNS0_19identity_decomposerENS1_16block_id_wrapperIjLb1EEEEE10hipError_tT1_PNSt15iterator_traitsISI_E10value_typeET2_T3_PNSJ_ISO_E10value_typeET4_T5_PST_SU_PNS1_23onesweep_lookback_stateEbbT6_jjT7_P12ihipStream_tbENKUlT_T0_SI_SN_E_clIPySD_S15_SD_EEDaS11_S12_SI_SN_EUlS11_E_NS1_11comp_targetILNS1_3genE10ELNS1_11target_archE1201ELNS1_3gpuE5ELNS1_3repE0EEENS1_47radix_sort_onesweep_sort_config_static_selectorELNS0_4arch9wavefront6targetE1EEEvSI_.num_agpr, 0
	.set _ZN7rocprim17ROCPRIM_400000_NS6detail17trampoline_kernelINS0_14default_configENS1_35radix_sort_onesweep_config_selectorIyyEEZZNS1_29radix_sort_onesweep_iterationIS3_Lb0EN6thrust23THRUST_200600_302600_NS6detail15normal_iteratorINS8_10device_ptrIyEEEESD_SD_SD_jNS0_19identity_decomposerENS1_16block_id_wrapperIjLb1EEEEE10hipError_tT1_PNSt15iterator_traitsISI_E10value_typeET2_T3_PNSJ_ISO_E10value_typeET4_T5_PST_SU_PNS1_23onesweep_lookback_stateEbbT6_jjT7_P12ihipStream_tbENKUlT_T0_SI_SN_E_clIPySD_S15_SD_EEDaS11_S12_SI_SN_EUlS11_E_NS1_11comp_targetILNS1_3genE10ELNS1_11target_archE1201ELNS1_3gpuE5ELNS1_3repE0EEENS1_47radix_sort_onesweep_sort_config_static_selectorELNS0_4arch9wavefront6targetE1EEEvSI_.numbered_sgpr, 0
	.set _ZN7rocprim17ROCPRIM_400000_NS6detail17trampoline_kernelINS0_14default_configENS1_35radix_sort_onesweep_config_selectorIyyEEZZNS1_29radix_sort_onesweep_iterationIS3_Lb0EN6thrust23THRUST_200600_302600_NS6detail15normal_iteratorINS8_10device_ptrIyEEEESD_SD_SD_jNS0_19identity_decomposerENS1_16block_id_wrapperIjLb1EEEEE10hipError_tT1_PNSt15iterator_traitsISI_E10value_typeET2_T3_PNSJ_ISO_E10value_typeET4_T5_PST_SU_PNS1_23onesweep_lookback_stateEbbT6_jjT7_P12ihipStream_tbENKUlT_T0_SI_SN_E_clIPySD_S15_SD_EEDaS11_S12_SI_SN_EUlS11_E_NS1_11comp_targetILNS1_3genE10ELNS1_11target_archE1201ELNS1_3gpuE5ELNS1_3repE0EEENS1_47radix_sort_onesweep_sort_config_static_selectorELNS0_4arch9wavefront6targetE1EEEvSI_.num_named_barrier, 0
	.set _ZN7rocprim17ROCPRIM_400000_NS6detail17trampoline_kernelINS0_14default_configENS1_35radix_sort_onesweep_config_selectorIyyEEZZNS1_29radix_sort_onesweep_iterationIS3_Lb0EN6thrust23THRUST_200600_302600_NS6detail15normal_iteratorINS8_10device_ptrIyEEEESD_SD_SD_jNS0_19identity_decomposerENS1_16block_id_wrapperIjLb1EEEEE10hipError_tT1_PNSt15iterator_traitsISI_E10value_typeET2_T3_PNSJ_ISO_E10value_typeET4_T5_PST_SU_PNS1_23onesweep_lookback_stateEbbT6_jjT7_P12ihipStream_tbENKUlT_T0_SI_SN_E_clIPySD_S15_SD_EEDaS11_S12_SI_SN_EUlS11_E_NS1_11comp_targetILNS1_3genE10ELNS1_11target_archE1201ELNS1_3gpuE5ELNS1_3repE0EEENS1_47radix_sort_onesweep_sort_config_static_selectorELNS0_4arch9wavefront6targetE1EEEvSI_.private_seg_size, 0
	.set _ZN7rocprim17ROCPRIM_400000_NS6detail17trampoline_kernelINS0_14default_configENS1_35radix_sort_onesweep_config_selectorIyyEEZZNS1_29radix_sort_onesweep_iterationIS3_Lb0EN6thrust23THRUST_200600_302600_NS6detail15normal_iteratorINS8_10device_ptrIyEEEESD_SD_SD_jNS0_19identity_decomposerENS1_16block_id_wrapperIjLb1EEEEE10hipError_tT1_PNSt15iterator_traitsISI_E10value_typeET2_T3_PNSJ_ISO_E10value_typeET4_T5_PST_SU_PNS1_23onesweep_lookback_stateEbbT6_jjT7_P12ihipStream_tbENKUlT_T0_SI_SN_E_clIPySD_S15_SD_EEDaS11_S12_SI_SN_EUlS11_E_NS1_11comp_targetILNS1_3genE10ELNS1_11target_archE1201ELNS1_3gpuE5ELNS1_3repE0EEENS1_47radix_sort_onesweep_sort_config_static_selectorELNS0_4arch9wavefront6targetE1EEEvSI_.uses_vcc, 0
	.set _ZN7rocprim17ROCPRIM_400000_NS6detail17trampoline_kernelINS0_14default_configENS1_35radix_sort_onesweep_config_selectorIyyEEZZNS1_29radix_sort_onesweep_iterationIS3_Lb0EN6thrust23THRUST_200600_302600_NS6detail15normal_iteratorINS8_10device_ptrIyEEEESD_SD_SD_jNS0_19identity_decomposerENS1_16block_id_wrapperIjLb1EEEEE10hipError_tT1_PNSt15iterator_traitsISI_E10value_typeET2_T3_PNSJ_ISO_E10value_typeET4_T5_PST_SU_PNS1_23onesweep_lookback_stateEbbT6_jjT7_P12ihipStream_tbENKUlT_T0_SI_SN_E_clIPySD_S15_SD_EEDaS11_S12_SI_SN_EUlS11_E_NS1_11comp_targetILNS1_3genE10ELNS1_11target_archE1201ELNS1_3gpuE5ELNS1_3repE0EEENS1_47radix_sort_onesweep_sort_config_static_selectorELNS0_4arch9wavefront6targetE1EEEvSI_.uses_flat_scratch, 0
	.set _ZN7rocprim17ROCPRIM_400000_NS6detail17trampoline_kernelINS0_14default_configENS1_35radix_sort_onesweep_config_selectorIyyEEZZNS1_29radix_sort_onesweep_iterationIS3_Lb0EN6thrust23THRUST_200600_302600_NS6detail15normal_iteratorINS8_10device_ptrIyEEEESD_SD_SD_jNS0_19identity_decomposerENS1_16block_id_wrapperIjLb1EEEEE10hipError_tT1_PNSt15iterator_traitsISI_E10value_typeET2_T3_PNSJ_ISO_E10value_typeET4_T5_PST_SU_PNS1_23onesweep_lookback_stateEbbT6_jjT7_P12ihipStream_tbENKUlT_T0_SI_SN_E_clIPySD_S15_SD_EEDaS11_S12_SI_SN_EUlS11_E_NS1_11comp_targetILNS1_3genE10ELNS1_11target_archE1201ELNS1_3gpuE5ELNS1_3repE0EEENS1_47radix_sort_onesweep_sort_config_static_selectorELNS0_4arch9wavefront6targetE1EEEvSI_.has_dyn_sized_stack, 0
	.set _ZN7rocprim17ROCPRIM_400000_NS6detail17trampoline_kernelINS0_14default_configENS1_35radix_sort_onesweep_config_selectorIyyEEZZNS1_29radix_sort_onesweep_iterationIS3_Lb0EN6thrust23THRUST_200600_302600_NS6detail15normal_iteratorINS8_10device_ptrIyEEEESD_SD_SD_jNS0_19identity_decomposerENS1_16block_id_wrapperIjLb1EEEEE10hipError_tT1_PNSt15iterator_traitsISI_E10value_typeET2_T3_PNSJ_ISO_E10value_typeET4_T5_PST_SU_PNS1_23onesweep_lookback_stateEbbT6_jjT7_P12ihipStream_tbENKUlT_T0_SI_SN_E_clIPySD_S15_SD_EEDaS11_S12_SI_SN_EUlS11_E_NS1_11comp_targetILNS1_3genE10ELNS1_11target_archE1201ELNS1_3gpuE5ELNS1_3repE0EEENS1_47radix_sort_onesweep_sort_config_static_selectorELNS0_4arch9wavefront6targetE1EEEvSI_.has_recursion, 0
	.set _ZN7rocprim17ROCPRIM_400000_NS6detail17trampoline_kernelINS0_14default_configENS1_35radix_sort_onesweep_config_selectorIyyEEZZNS1_29radix_sort_onesweep_iterationIS3_Lb0EN6thrust23THRUST_200600_302600_NS6detail15normal_iteratorINS8_10device_ptrIyEEEESD_SD_SD_jNS0_19identity_decomposerENS1_16block_id_wrapperIjLb1EEEEE10hipError_tT1_PNSt15iterator_traitsISI_E10value_typeET2_T3_PNSJ_ISO_E10value_typeET4_T5_PST_SU_PNS1_23onesweep_lookback_stateEbbT6_jjT7_P12ihipStream_tbENKUlT_T0_SI_SN_E_clIPySD_S15_SD_EEDaS11_S12_SI_SN_EUlS11_E_NS1_11comp_targetILNS1_3genE10ELNS1_11target_archE1201ELNS1_3gpuE5ELNS1_3repE0EEENS1_47radix_sort_onesweep_sort_config_static_selectorELNS0_4arch9wavefront6targetE1EEEvSI_.has_indirect_call, 0
	.section	.AMDGPU.csdata,"",@progbits
; Kernel info:
; codeLenInByte = 0
; TotalNumSgprs: 6
; NumVgprs: 0
; NumAgprs: 0
; TotalNumVgprs: 0
; ScratchSize: 0
; MemoryBound: 0
; FloatMode: 240
; IeeeMode: 1
; LDSByteSize: 0 bytes/workgroup (compile time only)
; SGPRBlocks: 0
; VGPRBlocks: 0
; NumSGPRsForWavesPerEU: 6
; NumVGPRsForWavesPerEU: 1
; AccumOffset: 4
; Occupancy: 8
; WaveLimiterHint : 0
; COMPUTE_PGM_RSRC2:SCRATCH_EN: 0
; COMPUTE_PGM_RSRC2:USER_SGPR: 2
; COMPUTE_PGM_RSRC2:TRAP_HANDLER: 0
; COMPUTE_PGM_RSRC2:TGID_X_EN: 1
; COMPUTE_PGM_RSRC2:TGID_Y_EN: 0
; COMPUTE_PGM_RSRC2:TGID_Z_EN: 0
; COMPUTE_PGM_RSRC2:TIDIG_COMP_CNT: 0
; COMPUTE_PGM_RSRC3_GFX90A:ACCUM_OFFSET: 0
; COMPUTE_PGM_RSRC3_GFX90A:TG_SPLIT: 0
	.section	.text._ZN7rocprim17ROCPRIM_400000_NS6detail17trampoline_kernelINS0_14default_configENS1_35radix_sort_onesweep_config_selectorIyyEEZZNS1_29radix_sort_onesweep_iterationIS3_Lb0EN6thrust23THRUST_200600_302600_NS6detail15normal_iteratorINS8_10device_ptrIyEEEESD_SD_SD_jNS0_19identity_decomposerENS1_16block_id_wrapperIjLb1EEEEE10hipError_tT1_PNSt15iterator_traitsISI_E10value_typeET2_T3_PNSJ_ISO_E10value_typeET4_T5_PST_SU_PNS1_23onesweep_lookback_stateEbbT6_jjT7_P12ihipStream_tbENKUlT_T0_SI_SN_E_clIPySD_S15_SD_EEDaS11_S12_SI_SN_EUlS11_E_NS1_11comp_targetILNS1_3genE9ELNS1_11target_archE1100ELNS1_3gpuE3ELNS1_3repE0EEENS1_47radix_sort_onesweep_sort_config_static_selectorELNS0_4arch9wavefront6targetE1EEEvSI_,"axG",@progbits,_ZN7rocprim17ROCPRIM_400000_NS6detail17trampoline_kernelINS0_14default_configENS1_35radix_sort_onesweep_config_selectorIyyEEZZNS1_29radix_sort_onesweep_iterationIS3_Lb0EN6thrust23THRUST_200600_302600_NS6detail15normal_iteratorINS8_10device_ptrIyEEEESD_SD_SD_jNS0_19identity_decomposerENS1_16block_id_wrapperIjLb1EEEEE10hipError_tT1_PNSt15iterator_traitsISI_E10value_typeET2_T3_PNSJ_ISO_E10value_typeET4_T5_PST_SU_PNS1_23onesweep_lookback_stateEbbT6_jjT7_P12ihipStream_tbENKUlT_T0_SI_SN_E_clIPySD_S15_SD_EEDaS11_S12_SI_SN_EUlS11_E_NS1_11comp_targetILNS1_3genE9ELNS1_11target_archE1100ELNS1_3gpuE3ELNS1_3repE0EEENS1_47radix_sort_onesweep_sort_config_static_selectorELNS0_4arch9wavefront6targetE1EEEvSI_,comdat
	.protected	_ZN7rocprim17ROCPRIM_400000_NS6detail17trampoline_kernelINS0_14default_configENS1_35radix_sort_onesweep_config_selectorIyyEEZZNS1_29radix_sort_onesweep_iterationIS3_Lb0EN6thrust23THRUST_200600_302600_NS6detail15normal_iteratorINS8_10device_ptrIyEEEESD_SD_SD_jNS0_19identity_decomposerENS1_16block_id_wrapperIjLb1EEEEE10hipError_tT1_PNSt15iterator_traitsISI_E10value_typeET2_T3_PNSJ_ISO_E10value_typeET4_T5_PST_SU_PNS1_23onesweep_lookback_stateEbbT6_jjT7_P12ihipStream_tbENKUlT_T0_SI_SN_E_clIPySD_S15_SD_EEDaS11_S12_SI_SN_EUlS11_E_NS1_11comp_targetILNS1_3genE9ELNS1_11target_archE1100ELNS1_3gpuE3ELNS1_3repE0EEENS1_47radix_sort_onesweep_sort_config_static_selectorELNS0_4arch9wavefront6targetE1EEEvSI_ ; -- Begin function _ZN7rocprim17ROCPRIM_400000_NS6detail17trampoline_kernelINS0_14default_configENS1_35radix_sort_onesweep_config_selectorIyyEEZZNS1_29radix_sort_onesweep_iterationIS3_Lb0EN6thrust23THRUST_200600_302600_NS6detail15normal_iteratorINS8_10device_ptrIyEEEESD_SD_SD_jNS0_19identity_decomposerENS1_16block_id_wrapperIjLb1EEEEE10hipError_tT1_PNSt15iterator_traitsISI_E10value_typeET2_T3_PNSJ_ISO_E10value_typeET4_T5_PST_SU_PNS1_23onesweep_lookback_stateEbbT6_jjT7_P12ihipStream_tbENKUlT_T0_SI_SN_E_clIPySD_S15_SD_EEDaS11_S12_SI_SN_EUlS11_E_NS1_11comp_targetILNS1_3genE9ELNS1_11target_archE1100ELNS1_3gpuE3ELNS1_3repE0EEENS1_47radix_sort_onesweep_sort_config_static_selectorELNS0_4arch9wavefront6targetE1EEEvSI_
	.globl	_ZN7rocprim17ROCPRIM_400000_NS6detail17trampoline_kernelINS0_14default_configENS1_35radix_sort_onesweep_config_selectorIyyEEZZNS1_29radix_sort_onesweep_iterationIS3_Lb0EN6thrust23THRUST_200600_302600_NS6detail15normal_iteratorINS8_10device_ptrIyEEEESD_SD_SD_jNS0_19identity_decomposerENS1_16block_id_wrapperIjLb1EEEEE10hipError_tT1_PNSt15iterator_traitsISI_E10value_typeET2_T3_PNSJ_ISO_E10value_typeET4_T5_PST_SU_PNS1_23onesweep_lookback_stateEbbT6_jjT7_P12ihipStream_tbENKUlT_T0_SI_SN_E_clIPySD_S15_SD_EEDaS11_S12_SI_SN_EUlS11_E_NS1_11comp_targetILNS1_3genE9ELNS1_11target_archE1100ELNS1_3gpuE3ELNS1_3repE0EEENS1_47radix_sort_onesweep_sort_config_static_selectorELNS0_4arch9wavefront6targetE1EEEvSI_
	.p2align	8
	.type	_ZN7rocprim17ROCPRIM_400000_NS6detail17trampoline_kernelINS0_14default_configENS1_35radix_sort_onesweep_config_selectorIyyEEZZNS1_29radix_sort_onesweep_iterationIS3_Lb0EN6thrust23THRUST_200600_302600_NS6detail15normal_iteratorINS8_10device_ptrIyEEEESD_SD_SD_jNS0_19identity_decomposerENS1_16block_id_wrapperIjLb1EEEEE10hipError_tT1_PNSt15iterator_traitsISI_E10value_typeET2_T3_PNSJ_ISO_E10value_typeET4_T5_PST_SU_PNS1_23onesweep_lookback_stateEbbT6_jjT7_P12ihipStream_tbENKUlT_T0_SI_SN_E_clIPySD_S15_SD_EEDaS11_S12_SI_SN_EUlS11_E_NS1_11comp_targetILNS1_3genE9ELNS1_11target_archE1100ELNS1_3gpuE3ELNS1_3repE0EEENS1_47radix_sort_onesweep_sort_config_static_selectorELNS0_4arch9wavefront6targetE1EEEvSI_,@function
_ZN7rocprim17ROCPRIM_400000_NS6detail17trampoline_kernelINS0_14default_configENS1_35radix_sort_onesweep_config_selectorIyyEEZZNS1_29radix_sort_onesweep_iterationIS3_Lb0EN6thrust23THRUST_200600_302600_NS6detail15normal_iteratorINS8_10device_ptrIyEEEESD_SD_SD_jNS0_19identity_decomposerENS1_16block_id_wrapperIjLb1EEEEE10hipError_tT1_PNSt15iterator_traitsISI_E10value_typeET2_T3_PNSJ_ISO_E10value_typeET4_T5_PST_SU_PNS1_23onesweep_lookback_stateEbbT6_jjT7_P12ihipStream_tbENKUlT_T0_SI_SN_E_clIPySD_S15_SD_EEDaS11_S12_SI_SN_EUlS11_E_NS1_11comp_targetILNS1_3genE9ELNS1_11target_archE1100ELNS1_3gpuE3ELNS1_3repE0EEENS1_47radix_sort_onesweep_sort_config_static_selectorELNS0_4arch9wavefront6targetE1EEEvSI_: ; @_ZN7rocprim17ROCPRIM_400000_NS6detail17trampoline_kernelINS0_14default_configENS1_35radix_sort_onesweep_config_selectorIyyEEZZNS1_29radix_sort_onesweep_iterationIS3_Lb0EN6thrust23THRUST_200600_302600_NS6detail15normal_iteratorINS8_10device_ptrIyEEEESD_SD_SD_jNS0_19identity_decomposerENS1_16block_id_wrapperIjLb1EEEEE10hipError_tT1_PNSt15iterator_traitsISI_E10value_typeET2_T3_PNSJ_ISO_E10value_typeET4_T5_PST_SU_PNS1_23onesweep_lookback_stateEbbT6_jjT7_P12ihipStream_tbENKUlT_T0_SI_SN_E_clIPySD_S15_SD_EEDaS11_S12_SI_SN_EUlS11_E_NS1_11comp_targetILNS1_3genE9ELNS1_11target_archE1100ELNS1_3gpuE3ELNS1_3repE0EEENS1_47radix_sort_onesweep_sort_config_static_selectorELNS0_4arch9wavefront6targetE1EEEvSI_
; %bb.0:
	.section	.rodata,"a",@progbits
	.p2align	6, 0x0
	.amdhsa_kernel _ZN7rocprim17ROCPRIM_400000_NS6detail17trampoline_kernelINS0_14default_configENS1_35radix_sort_onesweep_config_selectorIyyEEZZNS1_29radix_sort_onesweep_iterationIS3_Lb0EN6thrust23THRUST_200600_302600_NS6detail15normal_iteratorINS8_10device_ptrIyEEEESD_SD_SD_jNS0_19identity_decomposerENS1_16block_id_wrapperIjLb1EEEEE10hipError_tT1_PNSt15iterator_traitsISI_E10value_typeET2_T3_PNSJ_ISO_E10value_typeET4_T5_PST_SU_PNS1_23onesweep_lookback_stateEbbT6_jjT7_P12ihipStream_tbENKUlT_T0_SI_SN_E_clIPySD_S15_SD_EEDaS11_S12_SI_SN_EUlS11_E_NS1_11comp_targetILNS1_3genE9ELNS1_11target_archE1100ELNS1_3gpuE3ELNS1_3repE0EEENS1_47radix_sort_onesweep_sort_config_static_selectorELNS0_4arch9wavefront6targetE1EEEvSI_
		.amdhsa_group_segment_fixed_size 0
		.amdhsa_private_segment_fixed_size 0
		.amdhsa_kernarg_size 88
		.amdhsa_user_sgpr_count 2
		.amdhsa_user_sgpr_dispatch_ptr 0
		.amdhsa_user_sgpr_queue_ptr 0
		.amdhsa_user_sgpr_kernarg_segment_ptr 1
		.amdhsa_user_sgpr_dispatch_id 0
		.amdhsa_user_sgpr_kernarg_preload_length 0
		.amdhsa_user_sgpr_kernarg_preload_offset 0
		.amdhsa_user_sgpr_private_segment_size 0
		.amdhsa_uses_dynamic_stack 0
		.amdhsa_enable_private_segment 0
		.amdhsa_system_sgpr_workgroup_id_x 1
		.amdhsa_system_sgpr_workgroup_id_y 0
		.amdhsa_system_sgpr_workgroup_id_z 0
		.amdhsa_system_sgpr_workgroup_info 0
		.amdhsa_system_vgpr_workitem_id 0
		.amdhsa_next_free_vgpr 1
		.amdhsa_next_free_sgpr 0
		.amdhsa_accum_offset 4
		.amdhsa_reserve_vcc 0
		.amdhsa_float_round_mode_32 0
		.amdhsa_float_round_mode_16_64 0
		.amdhsa_float_denorm_mode_32 3
		.amdhsa_float_denorm_mode_16_64 3
		.amdhsa_dx10_clamp 1
		.amdhsa_ieee_mode 1
		.amdhsa_fp16_overflow 0
		.amdhsa_tg_split 0
		.amdhsa_exception_fp_ieee_invalid_op 0
		.amdhsa_exception_fp_denorm_src 0
		.amdhsa_exception_fp_ieee_div_zero 0
		.amdhsa_exception_fp_ieee_overflow 0
		.amdhsa_exception_fp_ieee_underflow 0
		.amdhsa_exception_fp_ieee_inexact 0
		.amdhsa_exception_int_div_zero 0
	.end_amdhsa_kernel
	.section	.text._ZN7rocprim17ROCPRIM_400000_NS6detail17trampoline_kernelINS0_14default_configENS1_35radix_sort_onesweep_config_selectorIyyEEZZNS1_29radix_sort_onesweep_iterationIS3_Lb0EN6thrust23THRUST_200600_302600_NS6detail15normal_iteratorINS8_10device_ptrIyEEEESD_SD_SD_jNS0_19identity_decomposerENS1_16block_id_wrapperIjLb1EEEEE10hipError_tT1_PNSt15iterator_traitsISI_E10value_typeET2_T3_PNSJ_ISO_E10value_typeET4_T5_PST_SU_PNS1_23onesweep_lookback_stateEbbT6_jjT7_P12ihipStream_tbENKUlT_T0_SI_SN_E_clIPySD_S15_SD_EEDaS11_S12_SI_SN_EUlS11_E_NS1_11comp_targetILNS1_3genE9ELNS1_11target_archE1100ELNS1_3gpuE3ELNS1_3repE0EEENS1_47radix_sort_onesweep_sort_config_static_selectorELNS0_4arch9wavefront6targetE1EEEvSI_,"axG",@progbits,_ZN7rocprim17ROCPRIM_400000_NS6detail17trampoline_kernelINS0_14default_configENS1_35radix_sort_onesweep_config_selectorIyyEEZZNS1_29radix_sort_onesweep_iterationIS3_Lb0EN6thrust23THRUST_200600_302600_NS6detail15normal_iteratorINS8_10device_ptrIyEEEESD_SD_SD_jNS0_19identity_decomposerENS1_16block_id_wrapperIjLb1EEEEE10hipError_tT1_PNSt15iterator_traitsISI_E10value_typeET2_T3_PNSJ_ISO_E10value_typeET4_T5_PST_SU_PNS1_23onesweep_lookback_stateEbbT6_jjT7_P12ihipStream_tbENKUlT_T0_SI_SN_E_clIPySD_S15_SD_EEDaS11_S12_SI_SN_EUlS11_E_NS1_11comp_targetILNS1_3genE9ELNS1_11target_archE1100ELNS1_3gpuE3ELNS1_3repE0EEENS1_47radix_sort_onesweep_sort_config_static_selectorELNS0_4arch9wavefront6targetE1EEEvSI_,comdat
.Lfunc_end553:
	.size	_ZN7rocprim17ROCPRIM_400000_NS6detail17trampoline_kernelINS0_14default_configENS1_35radix_sort_onesweep_config_selectorIyyEEZZNS1_29radix_sort_onesweep_iterationIS3_Lb0EN6thrust23THRUST_200600_302600_NS6detail15normal_iteratorINS8_10device_ptrIyEEEESD_SD_SD_jNS0_19identity_decomposerENS1_16block_id_wrapperIjLb1EEEEE10hipError_tT1_PNSt15iterator_traitsISI_E10value_typeET2_T3_PNSJ_ISO_E10value_typeET4_T5_PST_SU_PNS1_23onesweep_lookback_stateEbbT6_jjT7_P12ihipStream_tbENKUlT_T0_SI_SN_E_clIPySD_S15_SD_EEDaS11_S12_SI_SN_EUlS11_E_NS1_11comp_targetILNS1_3genE9ELNS1_11target_archE1100ELNS1_3gpuE3ELNS1_3repE0EEENS1_47radix_sort_onesweep_sort_config_static_selectorELNS0_4arch9wavefront6targetE1EEEvSI_, .Lfunc_end553-_ZN7rocprim17ROCPRIM_400000_NS6detail17trampoline_kernelINS0_14default_configENS1_35radix_sort_onesweep_config_selectorIyyEEZZNS1_29radix_sort_onesweep_iterationIS3_Lb0EN6thrust23THRUST_200600_302600_NS6detail15normal_iteratorINS8_10device_ptrIyEEEESD_SD_SD_jNS0_19identity_decomposerENS1_16block_id_wrapperIjLb1EEEEE10hipError_tT1_PNSt15iterator_traitsISI_E10value_typeET2_T3_PNSJ_ISO_E10value_typeET4_T5_PST_SU_PNS1_23onesweep_lookback_stateEbbT6_jjT7_P12ihipStream_tbENKUlT_T0_SI_SN_E_clIPySD_S15_SD_EEDaS11_S12_SI_SN_EUlS11_E_NS1_11comp_targetILNS1_3genE9ELNS1_11target_archE1100ELNS1_3gpuE3ELNS1_3repE0EEENS1_47radix_sort_onesweep_sort_config_static_selectorELNS0_4arch9wavefront6targetE1EEEvSI_
                                        ; -- End function
	.set _ZN7rocprim17ROCPRIM_400000_NS6detail17trampoline_kernelINS0_14default_configENS1_35radix_sort_onesweep_config_selectorIyyEEZZNS1_29radix_sort_onesweep_iterationIS3_Lb0EN6thrust23THRUST_200600_302600_NS6detail15normal_iteratorINS8_10device_ptrIyEEEESD_SD_SD_jNS0_19identity_decomposerENS1_16block_id_wrapperIjLb1EEEEE10hipError_tT1_PNSt15iterator_traitsISI_E10value_typeET2_T3_PNSJ_ISO_E10value_typeET4_T5_PST_SU_PNS1_23onesweep_lookback_stateEbbT6_jjT7_P12ihipStream_tbENKUlT_T0_SI_SN_E_clIPySD_S15_SD_EEDaS11_S12_SI_SN_EUlS11_E_NS1_11comp_targetILNS1_3genE9ELNS1_11target_archE1100ELNS1_3gpuE3ELNS1_3repE0EEENS1_47radix_sort_onesweep_sort_config_static_selectorELNS0_4arch9wavefront6targetE1EEEvSI_.num_vgpr, 0
	.set _ZN7rocprim17ROCPRIM_400000_NS6detail17trampoline_kernelINS0_14default_configENS1_35radix_sort_onesweep_config_selectorIyyEEZZNS1_29radix_sort_onesweep_iterationIS3_Lb0EN6thrust23THRUST_200600_302600_NS6detail15normal_iteratorINS8_10device_ptrIyEEEESD_SD_SD_jNS0_19identity_decomposerENS1_16block_id_wrapperIjLb1EEEEE10hipError_tT1_PNSt15iterator_traitsISI_E10value_typeET2_T3_PNSJ_ISO_E10value_typeET4_T5_PST_SU_PNS1_23onesweep_lookback_stateEbbT6_jjT7_P12ihipStream_tbENKUlT_T0_SI_SN_E_clIPySD_S15_SD_EEDaS11_S12_SI_SN_EUlS11_E_NS1_11comp_targetILNS1_3genE9ELNS1_11target_archE1100ELNS1_3gpuE3ELNS1_3repE0EEENS1_47radix_sort_onesweep_sort_config_static_selectorELNS0_4arch9wavefront6targetE1EEEvSI_.num_agpr, 0
	.set _ZN7rocprim17ROCPRIM_400000_NS6detail17trampoline_kernelINS0_14default_configENS1_35radix_sort_onesweep_config_selectorIyyEEZZNS1_29radix_sort_onesweep_iterationIS3_Lb0EN6thrust23THRUST_200600_302600_NS6detail15normal_iteratorINS8_10device_ptrIyEEEESD_SD_SD_jNS0_19identity_decomposerENS1_16block_id_wrapperIjLb1EEEEE10hipError_tT1_PNSt15iterator_traitsISI_E10value_typeET2_T3_PNSJ_ISO_E10value_typeET4_T5_PST_SU_PNS1_23onesweep_lookback_stateEbbT6_jjT7_P12ihipStream_tbENKUlT_T0_SI_SN_E_clIPySD_S15_SD_EEDaS11_S12_SI_SN_EUlS11_E_NS1_11comp_targetILNS1_3genE9ELNS1_11target_archE1100ELNS1_3gpuE3ELNS1_3repE0EEENS1_47radix_sort_onesweep_sort_config_static_selectorELNS0_4arch9wavefront6targetE1EEEvSI_.numbered_sgpr, 0
	.set _ZN7rocprim17ROCPRIM_400000_NS6detail17trampoline_kernelINS0_14default_configENS1_35radix_sort_onesweep_config_selectorIyyEEZZNS1_29radix_sort_onesweep_iterationIS3_Lb0EN6thrust23THRUST_200600_302600_NS6detail15normal_iteratorINS8_10device_ptrIyEEEESD_SD_SD_jNS0_19identity_decomposerENS1_16block_id_wrapperIjLb1EEEEE10hipError_tT1_PNSt15iterator_traitsISI_E10value_typeET2_T3_PNSJ_ISO_E10value_typeET4_T5_PST_SU_PNS1_23onesweep_lookback_stateEbbT6_jjT7_P12ihipStream_tbENKUlT_T0_SI_SN_E_clIPySD_S15_SD_EEDaS11_S12_SI_SN_EUlS11_E_NS1_11comp_targetILNS1_3genE9ELNS1_11target_archE1100ELNS1_3gpuE3ELNS1_3repE0EEENS1_47radix_sort_onesweep_sort_config_static_selectorELNS0_4arch9wavefront6targetE1EEEvSI_.num_named_barrier, 0
	.set _ZN7rocprim17ROCPRIM_400000_NS6detail17trampoline_kernelINS0_14default_configENS1_35radix_sort_onesweep_config_selectorIyyEEZZNS1_29radix_sort_onesweep_iterationIS3_Lb0EN6thrust23THRUST_200600_302600_NS6detail15normal_iteratorINS8_10device_ptrIyEEEESD_SD_SD_jNS0_19identity_decomposerENS1_16block_id_wrapperIjLb1EEEEE10hipError_tT1_PNSt15iterator_traitsISI_E10value_typeET2_T3_PNSJ_ISO_E10value_typeET4_T5_PST_SU_PNS1_23onesweep_lookback_stateEbbT6_jjT7_P12ihipStream_tbENKUlT_T0_SI_SN_E_clIPySD_S15_SD_EEDaS11_S12_SI_SN_EUlS11_E_NS1_11comp_targetILNS1_3genE9ELNS1_11target_archE1100ELNS1_3gpuE3ELNS1_3repE0EEENS1_47radix_sort_onesweep_sort_config_static_selectorELNS0_4arch9wavefront6targetE1EEEvSI_.private_seg_size, 0
	.set _ZN7rocprim17ROCPRIM_400000_NS6detail17trampoline_kernelINS0_14default_configENS1_35radix_sort_onesweep_config_selectorIyyEEZZNS1_29radix_sort_onesweep_iterationIS3_Lb0EN6thrust23THRUST_200600_302600_NS6detail15normal_iteratorINS8_10device_ptrIyEEEESD_SD_SD_jNS0_19identity_decomposerENS1_16block_id_wrapperIjLb1EEEEE10hipError_tT1_PNSt15iterator_traitsISI_E10value_typeET2_T3_PNSJ_ISO_E10value_typeET4_T5_PST_SU_PNS1_23onesweep_lookback_stateEbbT6_jjT7_P12ihipStream_tbENKUlT_T0_SI_SN_E_clIPySD_S15_SD_EEDaS11_S12_SI_SN_EUlS11_E_NS1_11comp_targetILNS1_3genE9ELNS1_11target_archE1100ELNS1_3gpuE3ELNS1_3repE0EEENS1_47radix_sort_onesweep_sort_config_static_selectorELNS0_4arch9wavefront6targetE1EEEvSI_.uses_vcc, 0
	.set _ZN7rocprim17ROCPRIM_400000_NS6detail17trampoline_kernelINS0_14default_configENS1_35radix_sort_onesweep_config_selectorIyyEEZZNS1_29radix_sort_onesweep_iterationIS3_Lb0EN6thrust23THRUST_200600_302600_NS6detail15normal_iteratorINS8_10device_ptrIyEEEESD_SD_SD_jNS0_19identity_decomposerENS1_16block_id_wrapperIjLb1EEEEE10hipError_tT1_PNSt15iterator_traitsISI_E10value_typeET2_T3_PNSJ_ISO_E10value_typeET4_T5_PST_SU_PNS1_23onesweep_lookback_stateEbbT6_jjT7_P12ihipStream_tbENKUlT_T0_SI_SN_E_clIPySD_S15_SD_EEDaS11_S12_SI_SN_EUlS11_E_NS1_11comp_targetILNS1_3genE9ELNS1_11target_archE1100ELNS1_3gpuE3ELNS1_3repE0EEENS1_47radix_sort_onesweep_sort_config_static_selectorELNS0_4arch9wavefront6targetE1EEEvSI_.uses_flat_scratch, 0
	.set _ZN7rocprim17ROCPRIM_400000_NS6detail17trampoline_kernelINS0_14default_configENS1_35radix_sort_onesweep_config_selectorIyyEEZZNS1_29radix_sort_onesweep_iterationIS3_Lb0EN6thrust23THRUST_200600_302600_NS6detail15normal_iteratorINS8_10device_ptrIyEEEESD_SD_SD_jNS0_19identity_decomposerENS1_16block_id_wrapperIjLb1EEEEE10hipError_tT1_PNSt15iterator_traitsISI_E10value_typeET2_T3_PNSJ_ISO_E10value_typeET4_T5_PST_SU_PNS1_23onesweep_lookback_stateEbbT6_jjT7_P12ihipStream_tbENKUlT_T0_SI_SN_E_clIPySD_S15_SD_EEDaS11_S12_SI_SN_EUlS11_E_NS1_11comp_targetILNS1_3genE9ELNS1_11target_archE1100ELNS1_3gpuE3ELNS1_3repE0EEENS1_47radix_sort_onesweep_sort_config_static_selectorELNS0_4arch9wavefront6targetE1EEEvSI_.has_dyn_sized_stack, 0
	.set _ZN7rocprim17ROCPRIM_400000_NS6detail17trampoline_kernelINS0_14default_configENS1_35radix_sort_onesweep_config_selectorIyyEEZZNS1_29radix_sort_onesweep_iterationIS3_Lb0EN6thrust23THRUST_200600_302600_NS6detail15normal_iteratorINS8_10device_ptrIyEEEESD_SD_SD_jNS0_19identity_decomposerENS1_16block_id_wrapperIjLb1EEEEE10hipError_tT1_PNSt15iterator_traitsISI_E10value_typeET2_T3_PNSJ_ISO_E10value_typeET4_T5_PST_SU_PNS1_23onesweep_lookback_stateEbbT6_jjT7_P12ihipStream_tbENKUlT_T0_SI_SN_E_clIPySD_S15_SD_EEDaS11_S12_SI_SN_EUlS11_E_NS1_11comp_targetILNS1_3genE9ELNS1_11target_archE1100ELNS1_3gpuE3ELNS1_3repE0EEENS1_47radix_sort_onesweep_sort_config_static_selectorELNS0_4arch9wavefront6targetE1EEEvSI_.has_recursion, 0
	.set _ZN7rocprim17ROCPRIM_400000_NS6detail17trampoline_kernelINS0_14default_configENS1_35radix_sort_onesweep_config_selectorIyyEEZZNS1_29radix_sort_onesweep_iterationIS3_Lb0EN6thrust23THRUST_200600_302600_NS6detail15normal_iteratorINS8_10device_ptrIyEEEESD_SD_SD_jNS0_19identity_decomposerENS1_16block_id_wrapperIjLb1EEEEE10hipError_tT1_PNSt15iterator_traitsISI_E10value_typeET2_T3_PNSJ_ISO_E10value_typeET4_T5_PST_SU_PNS1_23onesweep_lookback_stateEbbT6_jjT7_P12ihipStream_tbENKUlT_T0_SI_SN_E_clIPySD_S15_SD_EEDaS11_S12_SI_SN_EUlS11_E_NS1_11comp_targetILNS1_3genE9ELNS1_11target_archE1100ELNS1_3gpuE3ELNS1_3repE0EEENS1_47radix_sort_onesweep_sort_config_static_selectorELNS0_4arch9wavefront6targetE1EEEvSI_.has_indirect_call, 0
	.section	.AMDGPU.csdata,"",@progbits
; Kernel info:
; codeLenInByte = 0
; TotalNumSgprs: 6
; NumVgprs: 0
; NumAgprs: 0
; TotalNumVgprs: 0
; ScratchSize: 0
; MemoryBound: 0
; FloatMode: 240
; IeeeMode: 1
; LDSByteSize: 0 bytes/workgroup (compile time only)
; SGPRBlocks: 0
; VGPRBlocks: 0
; NumSGPRsForWavesPerEU: 6
; NumVGPRsForWavesPerEU: 1
; AccumOffset: 4
; Occupancy: 8
; WaveLimiterHint : 0
; COMPUTE_PGM_RSRC2:SCRATCH_EN: 0
; COMPUTE_PGM_RSRC2:USER_SGPR: 2
; COMPUTE_PGM_RSRC2:TRAP_HANDLER: 0
; COMPUTE_PGM_RSRC2:TGID_X_EN: 1
; COMPUTE_PGM_RSRC2:TGID_Y_EN: 0
; COMPUTE_PGM_RSRC2:TGID_Z_EN: 0
; COMPUTE_PGM_RSRC2:TIDIG_COMP_CNT: 0
; COMPUTE_PGM_RSRC3_GFX90A:ACCUM_OFFSET: 0
; COMPUTE_PGM_RSRC3_GFX90A:TG_SPLIT: 0
	.section	.text._ZN7rocprim17ROCPRIM_400000_NS6detail17trampoline_kernelINS0_14default_configENS1_35radix_sort_onesweep_config_selectorIyyEEZZNS1_29radix_sort_onesweep_iterationIS3_Lb0EN6thrust23THRUST_200600_302600_NS6detail15normal_iteratorINS8_10device_ptrIyEEEESD_SD_SD_jNS0_19identity_decomposerENS1_16block_id_wrapperIjLb1EEEEE10hipError_tT1_PNSt15iterator_traitsISI_E10value_typeET2_T3_PNSJ_ISO_E10value_typeET4_T5_PST_SU_PNS1_23onesweep_lookback_stateEbbT6_jjT7_P12ihipStream_tbENKUlT_T0_SI_SN_E_clIPySD_S15_SD_EEDaS11_S12_SI_SN_EUlS11_E_NS1_11comp_targetILNS1_3genE8ELNS1_11target_archE1030ELNS1_3gpuE2ELNS1_3repE0EEENS1_47radix_sort_onesweep_sort_config_static_selectorELNS0_4arch9wavefront6targetE1EEEvSI_,"axG",@progbits,_ZN7rocprim17ROCPRIM_400000_NS6detail17trampoline_kernelINS0_14default_configENS1_35radix_sort_onesweep_config_selectorIyyEEZZNS1_29radix_sort_onesweep_iterationIS3_Lb0EN6thrust23THRUST_200600_302600_NS6detail15normal_iteratorINS8_10device_ptrIyEEEESD_SD_SD_jNS0_19identity_decomposerENS1_16block_id_wrapperIjLb1EEEEE10hipError_tT1_PNSt15iterator_traitsISI_E10value_typeET2_T3_PNSJ_ISO_E10value_typeET4_T5_PST_SU_PNS1_23onesweep_lookback_stateEbbT6_jjT7_P12ihipStream_tbENKUlT_T0_SI_SN_E_clIPySD_S15_SD_EEDaS11_S12_SI_SN_EUlS11_E_NS1_11comp_targetILNS1_3genE8ELNS1_11target_archE1030ELNS1_3gpuE2ELNS1_3repE0EEENS1_47radix_sort_onesweep_sort_config_static_selectorELNS0_4arch9wavefront6targetE1EEEvSI_,comdat
	.protected	_ZN7rocprim17ROCPRIM_400000_NS6detail17trampoline_kernelINS0_14default_configENS1_35radix_sort_onesweep_config_selectorIyyEEZZNS1_29radix_sort_onesweep_iterationIS3_Lb0EN6thrust23THRUST_200600_302600_NS6detail15normal_iteratorINS8_10device_ptrIyEEEESD_SD_SD_jNS0_19identity_decomposerENS1_16block_id_wrapperIjLb1EEEEE10hipError_tT1_PNSt15iterator_traitsISI_E10value_typeET2_T3_PNSJ_ISO_E10value_typeET4_T5_PST_SU_PNS1_23onesweep_lookback_stateEbbT6_jjT7_P12ihipStream_tbENKUlT_T0_SI_SN_E_clIPySD_S15_SD_EEDaS11_S12_SI_SN_EUlS11_E_NS1_11comp_targetILNS1_3genE8ELNS1_11target_archE1030ELNS1_3gpuE2ELNS1_3repE0EEENS1_47radix_sort_onesweep_sort_config_static_selectorELNS0_4arch9wavefront6targetE1EEEvSI_ ; -- Begin function _ZN7rocprim17ROCPRIM_400000_NS6detail17trampoline_kernelINS0_14default_configENS1_35radix_sort_onesweep_config_selectorIyyEEZZNS1_29radix_sort_onesweep_iterationIS3_Lb0EN6thrust23THRUST_200600_302600_NS6detail15normal_iteratorINS8_10device_ptrIyEEEESD_SD_SD_jNS0_19identity_decomposerENS1_16block_id_wrapperIjLb1EEEEE10hipError_tT1_PNSt15iterator_traitsISI_E10value_typeET2_T3_PNSJ_ISO_E10value_typeET4_T5_PST_SU_PNS1_23onesweep_lookback_stateEbbT6_jjT7_P12ihipStream_tbENKUlT_T0_SI_SN_E_clIPySD_S15_SD_EEDaS11_S12_SI_SN_EUlS11_E_NS1_11comp_targetILNS1_3genE8ELNS1_11target_archE1030ELNS1_3gpuE2ELNS1_3repE0EEENS1_47radix_sort_onesweep_sort_config_static_selectorELNS0_4arch9wavefront6targetE1EEEvSI_
	.globl	_ZN7rocprim17ROCPRIM_400000_NS6detail17trampoline_kernelINS0_14default_configENS1_35radix_sort_onesweep_config_selectorIyyEEZZNS1_29radix_sort_onesweep_iterationIS3_Lb0EN6thrust23THRUST_200600_302600_NS6detail15normal_iteratorINS8_10device_ptrIyEEEESD_SD_SD_jNS0_19identity_decomposerENS1_16block_id_wrapperIjLb1EEEEE10hipError_tT1_PNSt15iterator_traitsISI_E10value_typeET2_T3_PNSJ_ISO_E10value_typeET4_T5_PST_SU_PNS1_23onesweep_lookback_stateEbbT6_jjT7_P12ihipStream_tbENKUlT_T0_SI_SN_E_clIPySD_S15_SD_EEDaS11_S12_SI_SN_EUlS11_E_NS1_11comp_targetILNS1_3genE8ELNS1_11target_archE1030ELNS1_3gpuE2ELNS1_3repE0EEENS1_47radix_sort_onesweep_sort_config_static_selectorELNS0_4arch9wavefront6targetE1EEEvSI_
	.p2align	8
	.type	_ZN7rocprim17ROCPRIM_400000_NS6detail17trampoline_kernelINS0_14default_configENS1_35radix_sort_onesweep_config_selectorIyyEEZZNS1_29radix_sort_onesweep_iterationIS3_Lb0EN6thrust23THRUST_200600_302600_NS6detail15normal_iteratorINS8_10device_ptrIyEEEESD_SD_SD_jNS0_19identity_decomposerENS1_16block_id_wrapperIjLb1EEEEE10hipError_tT1_PNSt15iterator_traitsISI_E10value_typeET2_T3_PNSJ_ISO_E10value_typeET4_T5_PST_SU_PNS1_23onesweep_lookback_stateEbbT6_jjT7_P12ihipStream_tbENKUlT_T0_SI_SN_E_clIPySD_S15_SD_EEDaS11_S12_SI_SN_EUlS11_E_NS1_11comp_targetILNS1_3genE8ELNS1_11target_archE1030ELNS1_3gpuE2ELNS1_3repE0EEENS1_47radix_sort_onesweep_sort_config_static_selectorELNS0_4arch9wavefront6targetE1EEEvSI_,@function
_ZN7rocprim17ROCPRIM_400000_NS6detail17trampoline_kernelINS0_14default_configENS1_35radix_sort_onesweep_config_selectorIyyEEZZNS1_29radix_sort_onesweep_iterationIS3_Lb0EN6thrust23THRUST_200600_302600_NS6detail15normal_iteratorINS8_10device_ptrIyEEEESD_SD_SD_jNS0_19identity_decomposerENS1_16block_id_wrapperIjLb1EEEEE10hipError_tT1_PNSt15iterator_traitsISI_E10value_typeET2_T3_PNSJ_ISO_E10value_typeET4_T5_PST_SU_PNS1_23onesweep_lookback_stateEbbT6_jjT7_P12ihipStream_tbENKUlT_T0_SI_SN_E_clIPySD_S15_SD_EEDaS11_S12_SI_SN_EUlS11_E_NS1_11comp_targetILNS1_3genE8ELNS1_11target_archE1030ELNS1_3gpuE2ELNS1_3repE0EEENS1_47radix_sort_onesweep_sort_config_static_selectorELNS0_4arch9wavefront6targetE1EEEvSI_: ; @_ZN7rocprim17ROCPRIM_400000_NS6detail17trampoline_kernelINS0_14default_configENS1_35radix_sort_onesweep_config_selectorIyyEEZZNS1_29radix_sort_onesweep_iterationIS3_Lb0EN6thrust23THRUST_200600_302600_NS6detail15normal_iteratorINS8_10device_ptrIyEEEESD_SD_SD_jNS0_19identity_decomposerENS1_16block_id_wrapperIjLb1EEEEE10hipError_tT1_PNSt15iterator_traitsISI_E10value_typeET2_T3_PNSJ_ISO_E10value_typeET4_T5_PST_SU_PNS1_23onesweep_lookback_stateEbbT6_jjT7_P12ihipStream_tbENKUlT_T0_SI_SN_E_clIPySD_S15_SD_EEDaS11_S12_SI_SN_EUlS11_E_NS1_11comp_targetILNS1_3genE8ELNS1_11target_archE1030ELNS1_3gpuE2ELNS1_3repE0EEENS1_47radix_sort_onesweep_sort_config_static_selectorELNS0_4arch9wavefront6targetE1EEEvSI_
; %bb.0:
	.section	.rodata,"a",@progbits
	.p2align	6, 0x0
	.amdhsa_kernel _ZN7rocprim17ROCPRIM_400000_NS6detail17trampoline_kernelINS0_14default_configENS1_35radix_sort_onesweep_config_selectorIyyEEZZNS1_29radix_sort_onesweep_iterationIS3_Lb0EN6thrust23THRUST_200600_302600_NS6detail15normal_iteratorINS8_10device_ptrIyEEEESD_SD_SD_jNS0_19identity_decomposerENS1_16block_id_wrapperIjLb1EEEEE10hipError_tT1_PNSt15iterator_traitsISI_E10value_typeET2_T3_PNSJ_ISO_E10value_typeET4_T5_PST_SU_PNS1_23onesweep_lookback_stateEbbT6_jjT7_P12ihipStream_tbENKUlT_T0_SI_SN_E_clIPySD_S15_SD_EEDaS11_S12_SI_SN_EUlS11_E_NS1_11comp_targetILNS1_3genE8ELNS1_11target_archE1030ELNS1_3gpuE2ELNS1_3repE0EEENS1_47radix_sort_onesweep_sort_config_static_selectorELNS0_4arch9wavefront6targetE1EEEvSI_
		.amdhsa_group_segment_fixed_size 0
		.amdhsa_private_segment_fixed_size 0
		.amdhsa_kernarg_size 88
		.amdhsa_user_sgpr_count 2
		.amdhsa_user_sgpr_dispatch_ptr 0
		.amdhsa_user_sgpr_queue_ptr 0
		.amdhsa_user_sgpr_kernarg_segment_ptr 1
		.amdhsa_user_sgpr_dispatch_id 0
		.amdhsa_user_sgpr_kernarg_preload_length 0
		.amdhsa_user_sgpr_kernarg_preload_offset 0
		.amdhsa_user_sgpr_private_segment_size 0
		.amdhsa_uses_dynamic_stack 0
		.amdhsa_enable_private_segment 0
		.amdhsa_system_sgpr_workgroup_id_x 1
		.amdhsa_system_sgpr_workgroup_id_y 0
		.amdhsa_system_sgpr_workgroup_id_z 0
		.amdhsa_system_sgpr_workgroup_info 0
		.amdhsa_system_vgpr_workitem_id 0
		.amdhsa_next_free_vgpr 1
		.amdhsa_next_free_sgpr 0
		.amdhsa_accum_offset 4
		.amdhsa_reserve_vcc 0
		.amdhsa_float_round_mode_32 0
		.amdhsa_float_round_mode_16_64 0
		.amdhsa_float_denorm_mode_32 3
		.amdhsa_float_denorm_mode_16_64 3
		.amdhsa_dx10_clamp 1
		.amdhsa_ieee_mode 1
		.amdhsa_fp16_overflow 0
		.amdhsa_tg_split 0
		.amdhsa_exception_fp_ieee_invalid_op 0
		.amdhsa_exception_fp_denorm_src 0
		.amdhsa_exception_fp_ieee_div_zero 0
		.amdhsa_exception_fp_ieee_overflow 0
		.amdhsa_exception_fp_ieee_underflow 0
		.amdhsa_exception_fp_ieee_inexact 0
		.amdhsa_exception_int_div_zero 0
	.end_amdhsa_kernel
	.section	.text._ZN7rocprim17ROCPRIM_400000_NS6detail17trampoline_kernelINS0_14default_configENS1_35radix_sort_onesweep_config_selectorIyyEEZZNS1_29radix_sort_onesweep_iterationIS3_Lb0EN6thrust23THRUST_200600_302600_NS6detail15normal_iteratorINS8_10device_ptrIyEEEESD_SD_SD_jNS0_19identity_decomposerENS1_16block_id_wrapperIjLb1EEEEE10hipError_tT1_PNSt15iterator_traitsISI_E10value_typeET2_T3_PNSJ_ISO_E10value_typeET4_T5_PST_SU_PNS1_23onesweep_lookback_stateEbbT6_jjT7_P12ihipStream_tbENKUlT_T0_SI_SN_E_clIPySD_S15_SD_EEDaS11_S12_SI_SN_EUlS11_E_NS1_11comp_targetILNS1_3genE8ELNS1_11target_archE1030ELNS1_3gpuE2ELNS1_3repE0EEENS1_47radix_sort_onesweep_sort_config_static_selectorELNS0_4arch9wavefront6targetE1EEEvSI_,"axG",@progbits,_ZN7rocprim17ROCPRIM_400000_NS6detail17trampoline_kernelINS0_14default_configENS1_35radix_sort_onesweep_config_selectorIyyEEZZNS1_29radix_sort_onesweep_iterationIS3_Lb0EN6thrust23THRUST_200600_302600_NS6detail15normal_iteratorINS8_10device_ptrIyEEEESD_SD_SD_jNS0_19identity_decomposerENS1_16block_id_wrapperIjLb1EEEEE10hipError_tT1_PNSt15iterator_traitsISI_E10value_typeET2_T3_PNSJ_ISO_E10value_typeET4_T5_PST_SU_PNS1_23onesweep_lookback_stateEbbT6_jjT7_P12ihipStream_tbENKUlT_T0_SI_SN_E_clIPySD_S15_SD_EEDaS11_S12_SI_SN_EUlS11_E_NS1_11comp_targetILNS1_3genE8ELNS1_11target_archE1030ELNS1_3gpuE2ELNS1_3repE0EEENS1_47radix_sort_onesweep_sort_config_static_selectorELNS0_4arch9wavefront6targetE1EEEvSI_,comdat
.Lfunc_end554:
	.size	_ZN7rocprim17ROCPRIM_400000_NS6detail17trampoline_kernelINS0_14default_configENS1_35radix_sort_onesweep_config_selectorIyyEEZZNS1_29radix_sort_onesweep_iterationIS3_Lb0EN6thrust23THRUST_200600_302600_NS6detail15normal_iteratorINS8_10device_ptrIyEEEESD_SD_SD_jNS0_19identity_decomposerENS1_16block_id_wrapperIjLb1EEEEE10hipError_tT1_PNSt15iterator_traitsISI_E10value_typeET2_T3_PNSJ_ISO_E10value_typeET4_T5_PST_SU_PNS1_23onesweep_lookback_stateEbbT6_jjT7_P12ihipStream_tbENKUlT_T0_SI_SN_E_clIPySD_S15_SD_EEDaS11_S12_SI_SN_EUlS11_E_NS1_11comp_targetILNS1_3genE8ELNS1_11target_archE1030ELNS1_3gpuE2ELNS1_3repE0EEENS1_47radix_sort_onesweep_sort_config_static_selectorELNS0_4arch9wavefront6targetE1EEEvSI_, .Lfunc_end554-_ZN7rocprim17ROCPRIM_400000_NS6detail17trampoline_kernelINS0_14default_configENS1_35radix_sort_onesweep_config_selectorIyyEEZZNS1_29radix_sort_onesweep_iterationIS3_Lb0EN6thrust23THRUST_200600_302600_NS6detail15normal_iteratorINS8_10device_ptrIyEEEESD_SD_SD_jNS0_19identity_decomposerENS1_16block_id_wrapperIjLb1EEEEE10hipError_tT1_PNSt15iterator_traitsISI_E10value_typeET2_T3_PNSJ_ISO_E10value_typeET4_T5_PST_SU_PNS1_23onesweep_lookback_stateEbbT6_jjT7_P12ihipStream_tbENKUlT_T0_SI_SN_E_clIPySD_S15_SD_EEDaS11_S12_SI_SN_EUlS11_E_NS1_11comp_targetILNS1_3genE8ELNS1_11target_archE1030ELNS1_3gpuE2ELNS1_3repE0EEENS1_47radix_sort_onesweep_sort_config_static_selectorELNS0_4arch9wavefront6targetE1EEEvSI_
                                        ; -- End function
	.set _ZN7rocprim17ROCPRIM_400000_NS6detail17trampoline_kernelINS0_14default_configENS1_35radix_sort_onesweep_config_selectorIyyEEZZNS1_29radix_sort_onesweep_iterationIS3_Lb0EN6thrust23THRUST_200600_302600_NS6detail15normal_iteratorINS8_10device_ptrIyEEEESD_SD_SD_jNS0_19identity_decomposerENS1_16block_id_wrapperIjLb1EEEEE10hipError_tT1_PNSt15iterator_traitsISI_E10value_typeET2_T3_PNSJ_ISO_E10value_typeET4_T5_PST_SU_PNS1_23onesweep_lookback_stateEbbT6_jjT7_P12ihipStream_tbENKUlT_T0_SI_SN_E_clIPySD_S15_SD_EEDaS11_S12_SI_SN_EUlS11_E_NS1_11comp_targetILNS1_3genE8ELNS1_11target_archE1030ELNS1_3gpuE2ELNS1_3repE0EEENS1_47radix_sort_onesweep_sort_config_static_selectorELNS0_4arch9wavefront6targetE1EEEvSI_.num_vgpr, 0
	.set _ZN7rocprim17ROCPRIM_400000_NS6detail17trampoline_kernelINS0_14default_configENS1_35radix_sort_onesweep_config_selectorIyyEEZZNS1_29radix_sort_onesweep_iterationIS3_Lb0EN6thrust23THRUST_200600_302600_NS6detail15normal_iteratorINS8_10device_ptrIyEEEESD_SD_SD_jNS0_19identity_decomposerENS1_16block_id_wrapperIjLb1EEEEE10hipError_tT1_PNSt15iterator_traitsISI_E10value_typeET2_T3_PNSJ_ISO_E10value_typeET4_T5_PST_SU_PNS1_23onesweep_lookback_stateEbbT6_jjT7_P12ihipStream_tbENKUlT_T0_SI_SN_E_clIPySD_S15_SD_EEDaS11_S12_SI_SN_EUlS11_E_NS1_11comp_targetILNS1_3genE8ELNS1_11target_archE1030ELNS1_3gpuE2ELNS1_3repE0EEENS1_47radix_sort_onesweep_sort_config_static_selectorELNS0_4arch9wavefront6targetE1EEEvSI_.num_agpr, 0
	.set _ZN7rocprim17ROCPRIM_400000_NS6detail17trampoline_kernelINS0_14default_configENS1_35radix_sort_onesweep_config_selectorIyyEEZZNS1_29radix_sort_onesweep_iterationIS3_Lb0EN6thrust23THRUST_200600_302600_NS6detail15normal_iteratorINS8_10device_ptrIyEEEESD_SD_SD_jNS0_19identity_decomposerENS1_16block_id_wrapperIjLb1EEEEE10hipError_tT1_PNSt15iterator_traitsISI_E10value_typeET2_T3_PNSJ_ISO_E10value_typeET4_T5_PST_SU_PNS1_23onesweep_lookback_stateEbbT6_jjT7_P12ihipStream_tbENKUlT_T0_SI_SN_E_clIPySD_S15_SD_EEDaS11_S12_SI_SN_EUlS11_E_NS1_11comp_targetILNS1_3genE8ELNS1_11target_archE1030ELNS1_3gpuE2ELNS1_3repE0EEENS1_47radix_sort_onesweep_sort_config_static_selectorELNS0_4arch9wavefront6targetE1EEEvSI_.numbered_sgpr, 0
	.set _ZN7rocprim17ROCPRIM_400000_NS6detail17trampoline_kernelINS0_14default_configENS1_35radix_sort_onesweep_config_selectorIyyEEZZNS1_29radix_sort_onesweep_iterationIS3_Lb0EN6thrust23THRUST_200600_302600_NS6detail15normal_iteratorINS8_10device_ptrIyEEEESD_SD_SD_jNS0_19identity_decomposerENS1_16block_id_wrapperIjLb1EEEEE10hipError_tT1_PNSt15iterator_traitsISI_E10value_typeET2_T3_PNSJ_ISO_E10value_typeET4_T5_PST_SU_PNS1_23onesweep_lookback_stateEbbT6_jjT7_P12ihipStream_tbENKUlT_T0_SI_SN_E_clIPySD_S15_SD_EEDaS11_S12_SI_SN_EUlS11_E_NS1_11comp_targetILNS1_3genE8ELNS1_11target_archE1030ELNS1_3gpuE2ELNS1_3repE0EEENS1_47radix_sort_onesweep_sort_config_static_selectorELNS0_4arch9wavefront6targetE1EEEvSI_.num_named_barrier, 0
	.set _ZN7rocprim17ROCPRIM_400000_NS6detail17trampoline_kernelINS0_14default_configENS1_35radix_sort_onesweep_config_selectorIyyEEZZNS1_29radix_sort_onesweep_iterationIS3_Lb0EN6thrust23THRUST_200600_302600_NS6detail15normal_iteratorINS8_10device_ptrIyEEEESD_SD_SD_jNS0_19identity_decomposerENS1_16block_id_wrapperIjLb1EEEEE10hipError_tT1_PNSt15iterator_traitsISI_E10value_typeET2_T3_PNSJ_ISO_E10value_typeET4_T5_PST_SU_PNS1_23onesweep_lookback_stateEbbT6_jjT7_P12ihipStream_tbENKUlT_T0_SI_SN_E_clIPySD_S15_SD_EEDaS11_S12_SI_SN_EUlS11_E_NS1_11comp_targetILNS1_3genE8ELNS1_11target_archE1030ELNS1_3gpuE2ELNS1_3repE0EEENS1_47radix_sort_onesweep_sort_config_static_selectorELNS0_4arch9wavefront6targetE1EEEvSI_.private_seg_size, 0
	.set _ZN7rocprim17ROCPRIM_400000_NS6detail17trampoline_kernelINS0_14default_configENS1_35radix_sort_onesweep_config_selectorIyyEEZZNS1_29radix_sort_onesweep_iterationIS3_Lb0EN6thrust23THRUST_200600_302600_NS6detail15normal_iteratorINS8_10device_ptrIyEEEESD_SD_SD_jNS0_19identity_decomposerENS1_16block_id_wrapperIjLb1EEEEE10hipError_tT1_PNSt15iterator_traitsISI_E10value_typeET2_T3_PNSJ_ISO_E10value_typeET4_T5_PST_SU_PNS1_23onesweep_lookback_stateEbbT6_jjT7_P12ihipStream_tbENKUlT_T0_SI_SN_E_clIPySD_S15_SD_EEDaS11_S12_SI_SN_EUlS11_E_NS1_11comp_targetILNS1_3genE8ELNS1_11target_archE1030ELNS1_3gpuE2ELNS1_3repE0EEENS1_47radix_sort_onesweep_sort_config_static_selectorELNS0_4arch9wavefront6targetE1EEEvSI_.uses_vcc, 0
	.set _ZN7rocprim17ROCPRIM_400000_NS6detail17trampoline_kernelINS0_14default_configENS1_35radix_sort_onesweep_config_selectorIyyEEZZNS1_29radix_sort_onesweep_iterationIS3_Lb0EN6thrust23THRUST_200600_302600_NS6detail15normal_iteratorINS8_10device_ptrIyEEEESD_SD_SD_jNS0_19identity_decomposerENS1_16block_id_wrapperIjLb1EEEEE10hipError_tT1_PNSt15iterator_traitsISI_E10value_typeET2_T3_PNSJ_ISO_E10value_typeET4_T5_PST_SU_PNS1_23onesweep_lookback_stateEbbT6_jjT7_P12ihipStream_tbENKUlT_T0_SI_SN_E_clIPySD_S15_SD_EEDaS11_S12_SI_SN_EUlS11_E_NS1_11comp_targetILNS1_3genE8ELNS1_11target_archE1030ELNS1_3gpuE2ELNS1_3repE0EEENS1_47radix_sort_onesweep_sort_config_static_selectorELNS0_4arch9wavefront6targetE1EEEvSI_.uses_flat_scratch, 0
	.set _ZN7rocprim17ROCPRIM_400000_NS6detail17trampoline_kernelINS0_14default_configENS1_35radix_sort_onesweep_config_selectorIyyEEZZNS1_29radix_sort_onesweep_iterationIS3_Lb0EN6thrust23THRUST_200600_302600_NS6detail15normal_iteratorINS8_10device_ptrIyEEEESD_SD_SD_jNS0_19identity_decomposerENS1_16block_id_wrapperIjLb1EEEEE10hipError_tT1_PNSt15iterator_traitsISI_E10value_typeET2_T3_PNSJ_ISO_E10value_typeET4_T5_PST_SU_PNS1_23onesweep_lookback_stateEbbT6_jjT7_P12ihipStream_tbENKUlT_T0_SI_SN_E_clIPySD_S15_SD_EEDaS11_S12_SI_SN_EUlS11_E_NS1_11comp_targetILNS1_3genE8ELNS1_11target_archE1030ELNS1_3gpuE2ELNS1_3repE0EEENS1_47radix_sort_onesweep_sort_config_static_selectorELNS0_4arch9wavefront6targetE1EEEvSI_.has_dyn_sized_stack, 0
	.set _ZN7rocprim17ROCPRIM_400000_NS6detail17trampoline_kernelINS0_14default_configENS1_35radix_sort_onesweep_config_selectorIyyEEZZNS1_29radix_sort_onesweep_iterationIS3_Lb0EN6thrust23THRUST_200600_302600_NS6detail15normal_iteratorINS8_10device_ptrIyEEEESD_SD_SD_jNS0_19identity_decomposerENS1_16block_id_wrapperIjLb1EEEEE10hipError_tT1_PNSt15iterator_traitsISI_E10value_typeET2_T3_PNSJ_ISO_E10value_typeET4_T5_PST_SU_PNS1_23onesweep_lookback_stateEbbT6_jjT7_P12ihipStream_tbENKUlT_T0_SI_SN_E_clIPySD_S15_SD_EEDaS11_S12_SI_SN_EUlS11_E_NS1_11comp_targetILNS1_3genE8ELNS1_11target_archE1030ELNS1_3gpuE2ELNS1_3repE0EEENS1_47radix_sort_onesweep_sort_config_static_selectorELNS0_4arch9wavefront6targetE1EEEvSI_.has_recursion, 0
	.set _ZN7rocprim17ROCPRIM_400000_NS6detail17trampoline_kernelINS0_14default_configENS1_35radix_sort_onesweep_config_selectorIyyEEZZNS1_29radix_sort_onesweep_iterationIS3_Lb0EN6thrust23THRUST_200600_302600_NS6detail15normal_iteratorINS8_10device_ptrIyEEEESD_SD_SD_jNS0_19identity_decomposerENS1_16block_id_wrapperIjLb1EEEEE10hipError_tT1_PNSt15iterator_traitsISI_E10value_typeET2_T3_PNSJ_ISO_E10value_typeET4_T5_PST_SU_PNS1_23onesweep_lookback_stateEbbT6_jjT7_P12ihipStream_tbENKUlT_T0_SI_SN_E_clIPySD_S15_SD_EEDaS11_S12_SI_SN_EUlS11_E_NS1_11comp_targetILNS1_3genE8ELNS1_11target_archE1030ELNS1_3gpuE2ELNS1_3repE0EEENS1_47radix_sort_onesweep_sort_config_static_selectorELNS0_4arch9wavefront6targetE1EEEvSI_.has_indirect_call, 0
	.section	.AMDGPU.csdata,"",@progbits
; Kernel info:
; codeLenInByte = 0
; TotalNumSgprs: 6
; NumVgprs: 0
; NumAgprs: 0
; TotalNumVgprs: 0
; ScratchSize: 0
; MemoryBound: 0
; FloatMode: 240
; IeeeMode: 1
; LDSByteSize: 0 bytes/workgroup (compile time only)
; SGPRBlocks: 0
; VGPRBlocks: 0
; NumSGPRsForWavesPerEU: 6
; NumVGPRsForWavesPerEU: 1
; AccumOffset: 4
; Occupancy: 8
; WaveLimiterHint : 0
; COMPUTE_PGM_RSRC2:SCRATCH_EN: 0
; COMPUTE_PGM_RSRC2:USER_SGPR: 2
; COMPUTE_PGM_RSRC2:TRAP_HANDLER: 0
; COMPUTE_PGM_RSRC2:TGID_X_EN: 1
; COMPUTE_PGM_RSRC2:TGID_Y_EN: 0
; COMPUTE_PGM_RSRC2:TGID_Z_EN: 0
; COMPUTE_PGM_RSRC2:TIDIG_COMP_CNT: 0
; COMPUTE_PGM_RSRC3_GFX90A:ACCUM_OFFSET: 0
; COMPUTE_PGM_RSRC3_GFX90A:TG_SPLIT: 0
	.section	.text._ZN7rocprim17ROCPRIM_400000_NS6detail17trampoline_kernelINS0_14default_configENS1_35radix_sort_onesweep_config_selectorIyyEEZZNS1_29radix_sort_onesweep_iterationIS3_Lb0EN6thrust23THRUST_200600_302600_NS6detail15normal_iteratorINS8_10device_ptrIyEEEESD_SD_SD_jNS0_19identity_decomposerENS1_16block_id_wrapperIjLb0EEEEE10hipError_tT1_PNSt15iterator_traitsISI_E10value_typeET2_T3_PNSJ_ISO_E10value_typeET4_T5_PST_SU_PNS1_23onesweep_lookback_stateEbbT6_jjT7_P12ihipStream_tbENKUlT_T0_SI_SN_E_clISD_SD_SD_SD_EEDaS11_S12_SI_SN_EUlS11_E_NS1_11comp_targetILNS1_3genE0ELNS1_11target_archE4294967295ELNS1_3gpuE0ELNS1_3repE0EEENS1_47radix_sort_onesweep_sort_config_static_selectorELNS0_4arch9wavefront6targetE1EEEvSI_,"axG",@progbits,_ZN7rocprim17ROCPRIM_400000_NS6detail17trampoline_kernelINS0_14default_configENS1_35radix_sort_onesweep_config_selectorIyyEEZZNS1_29radix_sort_onesweep_iterationIS3_Lb0EN6thrust23THRUST_200600_302600_NS6detail15normal_iteratorINS8_10device_ptrIyEEEESD_SD_SD_jNS0_19identity_decomposerENS1_16block_id_wrapperIjLb0EEEEE10hipError_tT1_PNSt15iterator_traitsISI_E10value_typeET2_T3_PNSJ_ISO_E10value_typeET4_T5_PST_SU_PNS1_23onesweep_lookback_stateEbbT6_jjT7_P12ihipStream_tbENKUlT_T0_SI_SN_E_clISD_SD_SD_SD_EEDaS11_S12_SI_SN_EUlS11_E_NS1_11comp_targetILNS1_3genE0ELNS1_11target_archE4294967295ELNS1_3gpuE0ELNS1_3repE0EEENS1_47radix_sort_onesweep_sort_config_static_selectorELNS0_4arch9wavefront6targetE1EEEvSI_,comdat
	.protected	_ZN7rocprim17ROCPRIM_400000_NS6detail17trampoline_kernelINS0_14default_configENS1_35radix_sort_onesweep_config_selectorIyyEEZZNS1_29radix_sort_onesweep_iterationIS3_Lb0EN6thrust23THRUST_200600_302600_NS6detail15normal_iteratorINS8_10device_ptrIyEEEESD_SD_SD_jNS0_19identity_decomposerENS1_16block_id_wrapperIjLb0EEEEE10hipError_tT1_PNSt15iterator_traitsISI_E10value_typeET2_T3_PNSJ_ISO_E10value_typeET4_T5_PST_SU_PNS1_23onesweep_lookback_stateEbbT6_jjT7_P12ihipStream_tbENKUlT_T0_SI_SN_E_clISD_SD_SD_SD_EEDaS11_S12_SI_SN_EUlS11_E_NS1_11comp_targetILNS1_3genE0ELNS1_11target_archE4294967295ELNS1_3gpuE0ELNS1_3repE0EEENS1_47radix_sort_onesweep_sort_config_static_selectorELNS0_4arch9wavefront6targetE1EEEvSI_ ; -- Begin function _ZN7rocprim17ROCPRIM_400000_NS6detail17trampoline_kernelINS0_14default_configENS1_35radix_sort_onesweep_config_selectorIyyEEZZNS1_29radix_sort_onesweep_iterationIS3_Lb0EN6thrust23THRUST_200600_302600_NS6detail15normal_iteratorINS8_10device_ptrIyEEEESD_SD_SD_jNS0_19identity_decomposerENS1_16block_id_wrapperIjLb0EEEEE10hipError_tT1_PNSt15iterator_traitsISI_E10value_typeET2_T3_PNSJ_ISO_E10value_typeET4_T5_PST_SU_PNS1_23onesweep_lookback_stateEbbT6_jjT7_P12ihipStream_tbENKUlT_T0_SI_SN_E_clISD_SD_SD_SD_EEDaS11_S12_SI_SN_EUlS11_E_NS1_11comp_targetILNS1_3genE0ELNS1_11target_archE4294967295ELNS1_3gpuE0ELNS1_3repE0EEENS1_47radix_sort_onesweep_sort_config_static_selectorELNS0_4arch9wavefront6targetE1EEEvSI_
	.globl	_ZN7rocprim17ROCPRIM_400000_NS6detail17trampoline_kernelINS0_14default_configENS1_35radix_sort_onesweep_config_selectorIyyEEZZNS1_29radix_sort_onesweep_iterationIS3_Lb0EN6thrust23THRUST_200600_302600_NS6detail15normal_iteratorINS8_10device_ptrIyEEEESD_SD_SD_jNS0_19identity_decomposerENS1_16block_id_wrapperIjLb0EEEEE10hipError_tT1_PNSt15iterator_traitsISI_E10value_typeET2_T3_PNSJ_ISO_E10value_typeET4_T5_PST_SU_PNS1_23onesweep_lookback_stateEbbT6_jjT7_P12ihipStream_tbENKUlT_T0_SI_SN_E_clISD_SD_SD_SD_EEDaS11_S12_SI_SN_EUlS11_E_NS1_11comp_targetILNS1_3genE0ELNS1_11target_archE4294967295ELNS1_3gpuE0ELNS1_3repE0EEENS1_47radix_sort_onesweep_sort_config_static_selectorELNS0_4arch9wavefront6targetE1EEEvSI_
	.p2align	8
	.type	_ZN7rocprim17ROCPRIM_400000_NS6detail17trampoline_kernelINS0_14default_configENS1_35radix_sort_onesweep_config_selectorIyyEEZZNS1_29radix_sort_onesweep_iterationIS3_Lb0EN6thrust23THRUST_200600_302600_NS6detail15normal_iteratorINS8_10device_ptrIyEEEESD_SD_SD_jNS0_19identity_decomposerENS1_16block_id_wrapperIjLb0EEEEE10hipError_tT1_PNSt15iterator_traitsISI_E10value_typeET2_T3_PNSJ_ISO_E10value_typeET4_T5_PST_SU_PNS1_23onesweep_lookback_stateEbbT6_jjT7_P12ihipStream_tbENKUlT_T0_SI_SN_E_clISD_SD_SD_SD_EEDaS11_S12_SI_SN_EUlS11_E_NS1_11comp_targetILNS1_3genE0ELNS1_11target_archE4294967295ELNS1_3gpuE0ELNS1_3repE0EEENS1_47radix_sort_onesweep_sort_config_static_selectorELNS0_4arch9wavefront6targetE1EEEvSI_,@function
_ZN7rocprim17ROCPRIM_400000_NS6detail17trampoline_kernelINS0_14default_configENS1_35radix_sort_onesweep_config_selectorIyyEEZZNS1_29radix_sort_onesweep_iterationIS3_Lb0EN6thrust23THRUST_200600_302600_NS6detail15normal_iteratorINS8_10device_ptrIyEEEESD_SD_SD_jNS0_19identity_decomposerENS1_16block_id_wrapperIjLb0EEEEE10hipError_tT1_PNSt15iterator_traitsISI_E10value_typeET2_T3_PNSJ_ISO_E10value_typeET4_T5_PST_SU_PNS1_23onesweep_lookback_stateEbbT6_jjT7_P12ihipStream_tbENKUlT_T0_SI_SN_E_clISD_SD_SD_SD_EEDaS11_S12_SI_SN_EUlS11_E_NS1_11comp_targetILNS1_3genE0ELNS1_11target_archE4294967295ELNS1_3gpuE0ELNS1_3repE0EEENS1_47radix_sort_onesweep_sort_config_static_selectorELNS0_4arch9wavefront6targetE1EEEvSI_: ; @_ZN7rocprim17ROCPRIM_400000_NS6detail17trampoline_kernelINS0_14default_configENS1_35radix_sort_onesweep_config_selectorIyyEEZZNS1_29radix_sort_onesweep_iterationIS3_Lb0EN6thrust23THRUST_200600_302600_NS6detail15normal_iteratorINS8_10device_ptrIyEEEESD_SD_SD_jNS0_19identity_decomposerENS1_16block_id_wrapperIjLb0EEEEE10hipError_tT1_PNSt15iterator_traitsISI_E10value_typeET2_T3_PNSJ_ISO_E10value_typeET4_T5_PST_SU_PNS1_23onesweep_lookback_stateEbbT6_jjT7_P12ihipStream_tbENKUlT_T0_SI_SN_E_clISD_SD_SD_SD_EEDaS11_S12_SI_SN_EUlS11_E_NS1_11comp_targetILNS1_3genE0ELNS1_11target_archE4294967295ELNS1_3gpuE0ELNS1_3repE0EEENS1_47radix_sort_onesweep_sort_config_static_selectorELNS0_4arch9wavefront6targetE1EEEvSI_
; %bb.0:
	.section	.rodata,"a",@progbits
	.p2align	6, 0x0
	.amdhsa_kernel _ZN7rocprim17ROCPRIM_400000_NS6detail17trampoline_kernelINS0_14default_configENS1_35radix_sort_onesweep_config_selectorIyyEEZZNS1_29radix_sort_onesweep_iterationIS3_Lb0EN6thrust23THRUST_200600_302600_NS6detail15normal_iteratorINS8_10device_ptrIyEEEESD_SD_SD_jNS0_19identity_decomposerENS1_16block_id_wrapperIjLb0EEEEE10hipError_tT1_PNSt15iterator_traitsISI_E10value_typeET2_T3_PNSJ_ISO_E10value_typeET4_T5_PST_SU_PNS1_23onesweep_lookback_stateEbbT6_jjT7_P12ihipStream_tbENKUlT_T0_SI_SN_E_clISD_SD_SD_SD_EEDaS11_S12_SI_SN_EUlS11_E_NS1_11comp_targetILNS1_3genE0ELNS1_11target_archE4294967295ELNS1_3gpuE0ELNS1_3repE0EEENS1_47radix_sort_onesweep_sort_config_static_selectorELNS0_4arch9wavefront6targetE1EEEvSI_
		.amdhsa_group_segment_fixed_size 0
		.amdhsa_private_segment_fixed_size 0
		.amdhsa_kernarg_size 88
		.amdhsa_user_sgpr_count 2
		.amdhsa_user_sgpr_dispatch_ptr 0
		.amdhsa_user_sgpr_queue_ptr 0
		.amdhsa_user_sgpr_kernarg_segment_ptr 1
		.amdhsa_user_sgpr_dispatch_id 0
		.amdhsa_user_sgpr_kernarg_preload_length 0
		.amdhsa_user_sgpr_kernarg_preload_offset 0
		.amdhsa_user_sgpr_private_segment_size 0
		.amdhsa_uses_dynamic_stack 0
		.amdhsa_enable_private_segment 0
		.amdhsa_system_sgpr_workgroup_id_x 1
		.amdhsa_system_sgpr_workgroup_id_y 0
		.amdhsa_system_sgpr_workgroup_id_z 0
		.amdhsa_system_sgpr_workgroup_info 0
		.amdhsa_system_vgpr_workitem_id 0
		.amdhsa_next_free_vgpr 1
		.amdhsa_next_free_sgpr 0
		.amdhsa_accum_offset 4
		.amdhsa_reserve_vcc 0
		.amdhsa_float_round_mode_32 0
		.amdhsa_float_round_mode_16_64 0
		.amdhsa_float_denorm_mode_32 3
		.amdhsa_float_denorm_mode_16_64 3
		.amdhsa_dx10_clamp 1
		.amdhsa_ieee_mode 1
		.amdhsa_fp16_overflow 0
		.amdhsa_tg_split 0
		.amdhsa_exception_fp_ieee_invalid_op 0
		.amdhsa_exception_fp_denorm_src 0
		.amdhsa_exception_fp_ieee_div_zero 0
		.amdhsa_exception_fp_ieee_overflow 0
		.amdhsa_exception_fp_ieee_underflow 0
		.amdhsa_exception_fp_ieee_inexact 0
		.amdhsa_exception_int_div_zero 0
	.end_amdhsa_kernel
	.section	.text._ZN7rocprim17ROCPRIM_400000_NS6detail17trampoline_kernelINS0_14default_configENS1_35radix_sort_onesweep_config_selectorIyyEEZZNS1_29radix_sort_onesweep_iterationIS3_Lb0EN6thrust23THRUST_200600_302600_NS6detail15normal_iteratorINS8_10device_ptrIyEEEESD_SD_SD_jNS0_19identity_decomposerENS1_16block_id_wrapperIjLb0EEEEE10hipError_tT1_PNSt15iterator_traitsISI_E10value_typeET2_T3_PNSJ_ISO_E10value_typeET4_T5_PST_SU_PNS1_23onesweep_lookback_stateEbbT6_jjT7_P12ihipStream_tbENKUlT_T0_SI_SN_E_clISD_SD_SD_SD_EEDaS11_S12_SI_SN_EUlS11_E_NS1_11comp_targetILNS1_3genE0ELNS1_11target_archE4294967295ELNS1_3gpuE0ELNS1_3repE0EEENS1_47radix_sort_onesweep_sort_config_static_selectorELNS0_4arch9wavefront6targetE1EEEvSI_,"axG",@progbits,_ZN7rocprim17ROCPRIM_400000_NS6detail17trampoline_kernelINS0_14default_configENS1_35radix_sort_onesweep_config_selectorIyyEEZZNS1_29radix_sort_onesweep_iterationIS3_Lb0EN6thrust23THRUST_200600_302600_NS6detail15normal_iteratorINS8_10device_ptrIyEEEESD_SD_SD_jNS0_19identity_decomposerENS1_16block_id_wrapperIjLb0EEEEE10hipError_tT1_PNSt15iterator_traitsISI_E10value_typeET2_T3_PNSJ_ISO_E10value_typeET4_T5_PST_SU_PNS1_23onesweep_lookback_stateEbbT6_jjT7_P12ihipStream_tbENKUlT_T0_SI_SN_E_clISD_SD_SD_SD_EEDaS11_S12_SI_SN_EUlS11_E_NS1_11comp_targetILNS1_3genE0ELNS1_11target_archE4294967295ELNS1_3gpuE0ELNS1_3repE0EEENS1_47radix_sort_onesweep_sort_config_static_selectorELNS0_4arch9wavefront6targetE1EEEvSI_,comdat
.Lfunc_end555:
	.size	_ZN7rocprim17ROCPRIM_400000_NS6detail17trampoline_kernelINS0_14default_configENS1_35radix_sort_onesweep_config_selectorIyyEEZZNS1_29radix_sort_onesweep_iterationIS3_Lb0EN6thrust23THRUST_200600_302600_NS6detail15normal_iteratorINS8_10device_ptrIyEEEESD_SD_SD_jNS0_19identity_decomposerENS1_16block_id_wrapperIjLb0EEEEE10hipError_tT1_PNSt15iterator_traitsISI_E10value_typeET2_T3_PNSJ_ISO_E10value_typeET4_T5_PST_SU_PNS1_23onesweep_lookback_stateEbbT6_jjT7_P12ihipStream_tbENKUlT_T0_SI_SN_E_clISD_SD_SD_SD_EEDaS11_S12_SI_SN_EUlS11_E_NS1_11comp_targetILNS1_3genE0ELNS1_11target_archE4294967295ELNS1_3gpuE0ELNS1_3repE0EEENS1_47radix_sort_onesweep_sort_config_static_selectorELNS0_4arch9wavefront6targetE1EEEvSI_, .Lfunc_end555-_ZN7rocprim17ROCPRIM_400000_NS6detail17trampoline_kernelINS0_14default_configENS1_35radix_sort_onesweep_config_selectorIyyEEZZNS1_29radix_sort_onesweep_iterationIS3_Lb0EN6thrust23THRUST_200600_302600_NS6detail15normal_iteratorINS8_10device_ptrIyEEEESD_SD_SD_jNS0_19identity_decomposerENS1_16block_id_wrapperIjLb0EEEEE10hipError_tT1_PNSt15iterator_traitsISI_E10value_typeET2_T3_PNSJ_ISO_E10value_typeET4_T5_PST_SU_PNS1_23onesweep_lookback_stateEbbT6_jjT7_P12ihipStream_tbENKUlT_T0_SI_SN_E_clISD_SD_SD_SD_EEDaS11_S12_SI_SN_EUlS11_E_NS1_11comp_targetILNS1_3genE0ELNS1_11target_archE4294967295ELNS1_3gpuE0ELNS1_3repE0EEENS1_47radix_sort_onesweep_sort_config_static_selectorELNS0_4arch9wavefront6targetE1EEEvSI_
                                        ; -- End function
	.set _ZN7rocprim17ROCPRIM_400000_NS6detail17trampoline_kernelINS0_14default_configENS1_35radix_sort_onesweep_config_selectorIyyEEZZNS1_29radix_sort_onesweep_iterationIS3_Lb0EN6thrust23THRUST_200600_302600_NS6detail15normal_iteratorINS8_10device_ptrIyEEEESD_SD_SD_jNS0_19identity_decomposerENS1_16block_id_wrapperIjLb0EEEEE10hipError_tT1_PNSt15iterator_traitsISI_E10value_typeET2_T3_PNSJ_ISO_E10value_typeET4_T5_PST_SU_PNS1_23onesweep_lookback_stateEbbT6_jjT7_P12ihipStream_tbENKUlT_T0_SI_SN_E_clISD_SD_SD_SD_EEDaS11_S12_SI_SN_EUlS11_E_NS1_11comp_targetILNS1_3genE0ELNS1_11target_archE4294967295ELNS1_3gpuE0ELNS1_3repE0EEENS1_47radix_sort_onesweep_sort_config_static_selectorELNS0_4arch9wavefront6targetE1EEEvSI_.num_vgpr, 0
	.set _ZN7rocprim17ROCPRIM_400000_NS6detail17trampoline_kernelINS0_14default_configENS1_35radix_sort_onesweep_config_selectorIyyEEZZNS1_29radix_sort_onesweep_iterationIS3_Lb0EN6thrust23THRUST_200600_302600_NS6detail15normal_iteratorINS8_10device_ptrIyEEEESD_SD_SD_jNS0_19identity_decomposerENS1_16block_id_wrapperIjLb0EEEEE10hipError_tT1_PNSt15iterator_traitsISI_E10value_typeET2_T3_PNSJ_ISO_E10value_typeET4_T5_PST_SU_PNS1_23onesweep_lookback_stateEbbT6_jjT7_P12ihipStream_tbENKUlT_T0_SI_SN_E_clISD_SD_SD_SD_EEDaS11_S12_SI_SN_EUlS11_E_NS1_11comp_targetILNS1_3genE0ELNS1_11target_archE4294967295ELNS1_3gpuE0ELNS1_3repE0EEENS1_47radix_sort_onesweep_sort_config_static_selectorELNS0_4arch9wavefront6targetE1EEEvSI_.num_agpr, 0
	.set _ZN7rocprim17ROCPRIM_400000_NS6detail17trampoline_kernelINS0_14default_configENS1_35radix_sort_onesweep_config_selectorIyyEEZZNS1_29radix_sort_onesweep_iterationIS3_Lb0EN6thrust23THRUST_200600_302600_NS6detail15normal_iteratorINS8_10device_ptrIyEEEESD_SD_SD_jNS0_19identity_decomposerENS1_16block_id_wrapperIjLb0EEEEE10hipError_tT1_PNSt15iterator_traitsISI_E10value_typeET2_T3_PNSJ_ISO_E10value_typeET4_T5_PST_SU_PNS1_23onesweep_lookback_stateEbbT6_jjT7_P12ihipStream_tbENKUlT_T0_SI_SN_E_clISD_SD_SD_SD_EEDaS11_S12_SI_SN_EUlS11_E_NS1_11comp_targetILNS1_3genE0ELNS1_11target_archE4294967295ELNS1_3gpuE0ELNS1_3repE0EEENS1_47radix_sort_onesweep_sort_config_static_selectorELNS0_4arch9wavefront6targetE1EEEvSI_.numbered_sgpr, 0
	.set _ZN7rocprim17ROCPRIM_400000_NS6detail17trampoline_kernelINS0_14default_configENS1_35radix_sort_onesweep_config_selectorIyyEEZZNS1_29radix_sort_onesweep_iterationIS3_Lb0EN6thrust23THRUST_200600_302600_NS6detail15normal_iteratorINS8_10device_ptrIyEEEESD_SD_SD_jNS0_19identity_decomposerENS1_16block_id_wrapperIjLb0EEEEE10hipError_tT1_PNSt15iterator_traitsISI_E10value_typeET2_T3_PNSJ_ISO_E10value_typeET4_T5_PST_SU_PNS1_23onesweep_lookback_stateEbbT6_jjT7_P12ihipStream_tbENKUlT_T0_SI_SN_E_clISD_SD_SD_SD_EEDaS11_S12_SI_SN_EUlS11_E_NS1_11comp_targetILNS1_3genE0ELNS1_11target_archE4294967295ELNS1_3gpuE0ELNS1_3repE0EEENS1_47radix_sort_onesweep_sort_config_static_selectorELNS0_4arch9wavefront6targetE1EEEvSI_.num_named_barrier, 0
	.set _ZN7rocprim17ROCPRIM_400000_NS6detail17trampoline_kernelINS0_14default_configENS1_35radix_sort_onesweep_config_selectorIyyEEZZNS1_29radix_sort_onesweep_iterationIS3_Lb0EN6thrust23THRUST_200600_302600_NS6detail15normal_iteratorINS8_10device_ptrIyEEEESD_SD_SD_jNS0_19identity_decomposerENS1_16block_id_wrapperIjLb0EEEEE10hipError_tT1_PNSt15iterator_traitsISI_E10value_typeET2_T3_PNSJ_ISO_E10value_typeET4_T5_PST_SU_PNS1_23onesweep_lookback_stateEbbT6_jjT7_P12ihipStream_tbENKUlT_T0_SI_SN_E_clISD_SD_SD_SD_EEDaS11_S12_SI_SN_EUlS11_E_NS1_11comp_targetILNS1_3genE0ELNS1_11target_archE4294967295ELNS1_3gpuE0ELNS1_3repE0EEENS1_47radix_sort_onesweep_sort_config_static_selectorELNS0_4arch9wavefront6targetE1EEEvSI_.private_seg_size, 0
	.set _ZN7rocprim17ROCPRIM_400000_NS6detail17trampoline_kernelINS0_14default_configENS1_35radix_sort_onesweep_config_selectorIyyEEZZNS1_29radix_sort_onesweep_iterationIS3_Lb0EN6thrust23THRUST_200600_302600_NS6detail15normal_iteratorINS8_10device_ptrIyEEEESD_SD_SD_jNS0_19identity_decomposerENS1_16block_id_wrapperIjLb0EEEEE10hipError_tT1_PNSt15iterator_traitsISI_E10value_typeET2_T3_PNSJ_ISO_E10value_typeET4_T5_PST_SU_PNS1_23onesweep_lookback_stateEbbT6_jjT7_P12ihipStream_tbENKUlT_T0_SI_SN_E_clISD_SD_SD_SD_EEDaS11_S12_SI_SN_EUlS11_E_NS1_11comp_targetILNS1_3genE0ELNS1_11target_archE4294967295ELNS1_3gpuE0ELNS1_3repE0EEENS1_47radix_sort_onesweep_sort_config_static_selectorELNS0_4arch9wavefront6targetE1EEEvSI_.uses_vcc, 0
	.set _ZN7rocprim17ROCPRIM_400000_NS6detail17trampoline_kernelINS0_14default_configENS1_35radix_sort_onesweep_config_selectorIyyEEZZNS1_29radix_sort_onesweep_iterationIS3_Lb0EN6thrust23THRUST_200600_302600_NS6detail15normal_iteratorINS8_10device_ptrIyEEEESD_SD_SD_jNS0_19identity_decomposerENS1_16block_id_wrapperIjLb0EEEEE10hipError_tT1_PNSt15iterator_traitsISI_E10value_typeET2_T3_PNSJ_ISO_E10value_typeET4_T5_PST_SU_PNS1_23onesweep_lookback_stateEbbT6_jjT7_P12ihipStream_tbENKUlT_T0_SI_SN_E_clISD_SD_SD_SD_EEDaS11_S12_SI_SN_EUlS11_E_NS1_11comp_targetILNS1_3genE0ELNS1_11target_archE4294967295ELNS1_3gpuE0ELNS1_3repE0EEENS1_47radix_sort_onesweep_sort_config_static_selectorELNS0_4arch9wavefront6targetE1EEEvSI_.uses_flat_scratch, 0
	.set _ZN7rocprim17ROCPRIM_400000_NS6detail17trampoline_kernelINS0_14default_configENS1_35radix_sort_onesweep_config_selectorIyyEEZZNS1_29radix_sort_onesweep_iterationIS3_Lb0EN6thrust23THRUST_200600_302600_NS6detail15normal_iteratorINS8_10device_ptrIyEEEESD_SD_SD_jNS0_19identity_decomposerENS1_16block_id_wrapperIjLb0EEEEE10hipError_tT1_PNSt15iterator_traitsISI_E10value_typeET2_T3_PNSJ_ISO_E10value_typeET4_T5_PST_SU_PNS1_23onesweep_lookback_stateEbbT6_jjT7_P12ihipStream_tbENKUlT_T0_SI_SN_E_clISD_SD_SD_SD_EEDaS11_S12_SI_SN_EUlS11_E_NS1_11comp_targetILNS1_3genE0ELNS1_11target_archE4294967295ELNS1_3gpuE0ELNS1_3repE0EEENS1_47radix_sort_onesweep_sort_config_static_selectorELNS0_4arch9wavefront6targetE1EEEvSI_.has_dyn_sized_stack, 0
	.set _ZN7rocprim17ROCPRIM_400000_NS6detail17trampoline_kernelINS0_14default_configENS1_35radix_sort_onesweep_config_selectorIyyEEZZNS1_29radix_sort_onesweep_iterationIS3_Lb0EN6thrust23THRUST_200600_302600_NS6detail15normal_iteratorINS8_10device_ptrIyEEEESD_SD_SD_jNS0_19identity_decomposerENS1_16block_id_wrapperIjLb0EEEEE10hipError_tT1_PNSt15iterator_traitsISI_E10value_typeET2_T3_PNSJ_ISO_E10value_typeET4_T5_PST_SU_PNS1_23onesweep_lookback_stateEbbT6_jjT7_P12ihipStream_tbENKUlT_T0_SI_SN_E_clISD_SD_SD_SD_EEDaS11_S12_SI_SN_EUlS11_E_NS1_11comp_targetILNS1_3genE0ELNS1_11target_archE4294967295ELNS1_3gpuE0ELNS1_3repE0EEENS1_47radix_sort_onesweep_sort_config_static_selectorELNS0_4arch9wavefront6targetE1EEEvSI_.has_recursion, 0
	.set _ZN7rocprim17ROCPRIM_400000_NS6detail17trampoline_kernelINS0_14default_configENS1_35radix_sort_onesweep_config_selectorIyyEEZZNS1_29radix_sort_onesweep_iterationIS3_Lb0EN6thrust23THRUST_200600_302600_NS6detail15normal_iteratorINS8_10device_ptrIyEEEESD_SD_SD_jNS0_19identity_decomposerENS1_16block_id_wrapperIjLb0EEEEE10hipError_tT1_PNSt15iterator_traitsISI_E10value_typeET2_T3_PNSJ_ISO_E10value_typeET4_T5_PST_SU_PNS1_23onesweep_lookback_stateEbbT6_jjT7_P12ihipStream_tbENKUlT_T0_SI_SN_E_clISD_SD_SD_SD_EEDaS11_S12_SI_SN_EUlS11_E_NS1_11comp_targetILNS1_3genE0ELNS1_11target_archE4294967295ELNS1_3gpuE0ELNS1_3repE0EEENS1_47radix_sort_onesweep_sort_config_static_selectorELNS0_4arch9wavefront6targetE1EEEvSI_.has_indirect_call, 0
	.section	.AMDGPU.csdata,"",@progbits
; Kernel info:
; codeLenInByte = 0
; TotalNumSgprs: 6
; NumVgprs: 0
; NumAgprs: 0
; TotalNumVgprs: 0
; ScratchSize: 0
; MemoryBound: 0
; FloatMode: 240
; IeeeMode: 1
; LDSByteSize: 0 bytes/workgroup (compile time only)
; SGPRBlocks: 0
; VGPRBlocks: 0
; NumSGPRsForWavesPerEU: 6
; NumVGPRsForWavesPerEU: 1
; AccumOffset: 4
; Occupancy: 8
; WaveLimiterHint : 0
; COMPUTE_PGM_RSRC2:SCRATCH_EN: 0
; COMPUTE_PGM_RSRC2:USER_SGPR: 2
; COMPUTE_PGM_RSRC2:TRAP_HANDLER: 0
; COMPUTE_PGM_RSRC2:TGID_X_EN: 1
; COMPUTE_PGM_RSRC2:TGID_Y_EN: 0
; COMPUTE_PGM_RSRC2:TGID_Z_EN: 0
; COMPUTE_PGM_RSRC2:TIDIG_COMP_CNT: 0
; COMPUTE_PGM_RSRC3_GFX90A:ACCUM_OFFSET: 0
; COMPUTE_PGM_RSRC3_GFX90A:TG_SPLIT: 0
	.section	.text._ZN7rocprim17ROCPRIM_400000_NS6detail17trampoline_kernelINS0_14default_configENS1_35radix_sort_onesweep_config_selectorIyyEEZZNS1_29radix_sort_onesweep_iterationIS3_Lb0EN6thrust23THRUST_200600_302600_NS6detail15normal_iteratorINS8_10device_ptrIyEEEESD_SD_SD_jNS0_19identity_decomposerENS1_16block_id_wrapperIjLb0EEEEE10hipError_tT1_PNSt15iterator_traitsISI_E10value_typeET2_T3_PNSJ_ISO_E10value_typeET4_T5_PST_SU_PNS1_23onesweep_lookback_stateEbbT6_jjT7_P12ihipStream_tbENKUlT_T0_SI_SN_E_clISD_SD_SD_SD_EEDaS11_S12_SI_SN_EUlS11_E_NS1_11comp_targetILNS1_3genE6ELNS1_11target_archE950ELNS1_3gpuE13ELNS1_3repE0EEENS1_47radix_sort_onesweep_sort_config_static_selectorELNS0_4arch9wavefront6targetE1EEEvSI_,"axG",@progbits,_ZN7rocprim17ROCPRIM_400000_NS6detail17trampoline_kernelINS0_14default_configENS1_35radix_sort_onesweep_config_selectorIyyEEZZNS1_29radix_sort_onesweep_iterationIS3_Lb0EN6thrust23THRUST_200600_302600_NS6detail15normal_iteratorINS8_10device_ptrIyEEEESD_SD_SD_jNS0_19identity_decomposerENS1_16block_id_wrapperIjLb0EEEEE10hipError_tT1_PNSt15iterator_traitsISI_E10value_typeET2_T3_PNSJ_ISO_E10value_typeET4_T5_PST_SU_PNS1_23onesweep_lookback_stateEbbT6_jjT7_P12ihipStream_tbENKUlT_T0_SI_SN_E_clISD_SD_SD_SD_EEDaS11_S12_SI_SN_EUlS11_E_NS1_11comp_targetILNS1_3genE6ELNS1_11target_archE950ELNS1_3gpuE13ELNS1_3repE0EEENS1_47radix_sort_onesweep_sort_config_static_selectorELNS0_4arch9wavefront6targetE1EEEvSI_,comdat
	.protected	_ZN7rocprim17ROCPRIM_400000_NS6detail17trampoline_kernelINS0_14default_configENS1_35radix_sort_onesweep_config_selectorIyyEEZZNS1_29radix_sort_onesweep_iterationIS3_Lb0EN6thrust23THRUST_200600_302600_NS6detail15normal_iteratorINS8_10device_ptrIyEEEESD_SD_SD_jNS0_19identity_decomposerENS1_16block_id_wrapperIjLb0EEEEE10hipError_tT1_PNSt15iterator_traitsISI_E10value_typeET2_T3_PNSJ_ISO_E10value_typeET4_T5_PST_SU_PNS1_23onesweep_lookback_stateEbbT6_jjT7_P12ihipStream_tbENKUlT_T0_SI_SN_E_clISD_SD_SD_SD_EEDaS11_S12_SI_SN_EUlS11_E_NS1_11comp_targetILNS1_3genE6ELNS1_11target_archE950ELNS1_3gpuE13ELNS1_3repE0EEENS1_47radix_sort_onesweep_sort_config_static_selectorELNS0_4arch9wavefront6targetE1EEEvSI_ ; -- Begin function _ZN7rocprim17ROCPRIM_400000_NS6detail17trampoline_kernelINS0_14default_configENS1_35radix_sort_onesweep_config_selectorIyyEEZZNS1_29radix_sort_onesweep_iterationIS3_Lb0EN6thrust23THRUST_200600_302600_NS6detail15normal_iteratorINS8_10device_ptrIyEEEESD_SD_SD_jNS0_19identity_decomposerENS1_16block_id_wrapperIjLb0EEEEE10hipError_tT1_PNSt15iterator_traitsISI_E10value_typeET2_T3_PNSJ_ISO_E10value_typeET4_T5_PST_SU_PNS1_23onesweep_lookback_stateEbbT6_jjT7_P12ihipStream_tbENKUlT_T0_SI_SN_E_clISD_SD_SD_SD_EEDaS11_S12_SI_SN_EUlS11_E_NS1_11comp_targetILNS1_3genE6ELNS1_11target_archE950ELNS1_3gpuE13ELNS1_3repE0EEENS1_47radix_sort_onesweep_sort_config_static_selectorELNS0_4arch9wavefront6targetE1EEEvSI_
	.globl	_ZN7rocprim17ROCPRIM_400000_NS6detail17trampoline_kernelINS0_14default_configENS1_35radix_sort_onesweep_config_selectorIyyEEZZNS1_29radix_sort_onesweep_iterationIS3_Lb0EN6thrust23THRUST_200600_302600_NS6detail15normal_iteratorINS8_10device_ptrIyEEEESD_SD_SD_jNS0_19identity_decomposerENS1_16block_id_wrapperIjLb0EEEEE10hipError_tT1_PNSt15iterator_traitsISI_E10value_typeET2_T3_PNSJ_ISO_E10value_typeET4_T5_PST_SU_PNS1_23onesweep_lookback_stateEbbT6_jjT7_P12ihipStream_tbENKUlT_T0_SI_SN_E_clISD_SD_SD_SD_EEDaS11_S12_SI_SN_EUlS11_E_NS1_11comp_targetILNS1_3genE6ELNS1_11target_archE950ELNS1_3gpuE13ELNS1_3repE0EEENS1_47radix_sort_onesweep_sort_config_static_selectorELNS0_4arch9wavefront6targetE1EEEvSI_
	.p2align	8
	.type	_ZN7rocprim17ROCPRIM_400000_NS6detail17trampoline_kernelINS0_14default_configENS1_35radix_sort_onesweep_config_selectorIyyEEZZNS1_29radix_sort_onesweep_iterationIS3_Lb0EN6thrust23THRUST_200600_302600_NS6detail15normal_iteratorINS8_10device_ptrIyEEEESD_SD_SD_jNS0_19identity_decomposerENS1_16block_id_wrapperIjLb0EEEEE10hipError_tT1_PNSt15iterator_traitsISI_E10value_typeET2_T3_PNSJ_ISO_E10value_typeET4_T5_PST_SU_PNS1_23onesweep_lookback_stateEbbT6_jjT7_P12ihipStream_tbENKUlT_T0_SI_SN_E_clISD_SD_SD_SD_EEDaS11_S12_SI_SN_EUlS11_E_NS1_11comp_targetILNS1_3genE6ELNS1_11target_archE950ELNS1_3gpuE13ELNS1_3repE0EEENS1_47radix_sort_onesweep_sort_config_static_selectorELNS0_4arch9wavefront6targetE1EEEvSI_,@function
_ZN7rocprim17ROCPRIM_400000_NS6detail17trampoline_kernelINS0_14default_configENS1_35radix_sort_onesweep_config_selectorIyyEEZZNS1_29radix_sort_onesweep_iterationIS3_Lb0EN6thrust23THRUST_200600_302600_NS6detail15normal_iteratorINS8_10device_ptrIyEEEESD_SD_SD_jNS0_19identity_decomposerENS1_16block_id_wrapperIjLb0EEEEE10hipError_tT1_PNSt15iterator_traitsISI_E10value_typeET2_T3_PNSJ_ISO_E10value_typeET4_T5_PST_SU_PNS1_23onesweep_lookback_stateEbbT6_jjT7_P12ihipStream_tbENKUlT_T0_SI_SN_E_clISD_SD_SD_SD_EEDaS11_S12_SI_SN_EUlS11_E_NS1_11comp_targetILNS1_3genE6ELNS1_11target_archE950ELNS1_3gpuE13ELNS1_3repE0EEENS1_47radix_sort_onesweep_sort_config_static_selectorELNS0_4arch9wavefront6targetE1EEEvSI_: ; @_ZN7rocprim17ROCPRIM_400000_NS6detail17trampoline_kernelINS0_14default_configENS1_35radix_sort_onesweep_config_selectorIyyEEZZNS1_29radix_sort_onesweep_iterationIS3_Lb0EN6thrust23THRUST_200600_302600_NS6detail15normal_iteratorINS8_10device_ptrIyEEEESD_SD_SD_jNS0_19identity_decomposerENS1_16block_id_wrapperIjLb0EEEEE10hipError_tT1_PNSt15iterator_traitsISI_E10value_typeET2_T3_PNSJ_ISO_E10value_typeET4_T5_PST_SU_PNS1_23onesweep_lookback_stateEbbT6_jjT7_P12ihipStream_tbENKUlT_T0_SI_SN_E_clISD_SD_SD_SD_EEDaS11_S12_SI_SN_EUlS11_E_NS1_11comp_targetILNS1_3genE6ELNS1_11target_archE950ELNS1_3gpuE13ELNS1_3repE0EEENS1_47radix_sort_onesweep_sort_config_static_selectorELNS0_4arch9wavefront6targetE1EEEvSI_
; %bb.0:
	s_load_dwordx4 s[52:55], s[2:3], 0x44
	s_load_dwordx8 s[40:47], s[2:3], 0x0
	s_load_dwordx4 s[48:51], s[2:3], 0x28
	s_load_dwordx2 s[38:39], s[2:3], 0x38
	v_and_b32_e32 v2, 0x3ff, v0
	v_bfe_u32 v3, v0, 10, 10
	v_bfe_u32 v28, v0, 20, 10
	s_mov_b64 s[6:7], -1
	s_waitcnt lgkmcnt(0)
	s_cmp_ge_u32 s4, s54
	v_mbcnt_lo_u32_b32 v30, -1, 0
	v_lshlrev_b32_e32 v29, 3, v2
	s_cbranch_scc0 .LBB556_116
; %bb.1:
	s_load_dword s5, s[2:3], 0x20
	s_lshl_b32 s8, s54, 13
	s_lshl_b32 s6, s4, 13
	s_mov_b32 s7, 0
	s_lshl_b64 s[54:55], s[6:7], 3
	s_waitcnt lgkmcnt(0)
	s_sub_i32 s5, s5, s8
	v_mbcnt_hi_u32_b32 v26, -1, v30
	s_add_u32 s6, s40, s54
	v_and_b32_e32 v8, 63, v26
	s_addc_u32 s7, s41, s55
	v_and_b32_e32 v9, 0x1e00, v29
	v_mov_b32_e32 v1, 0
	v_lshlrev_b32_e32 v0, 3, v8
	v_lshl_add_u64 v[6:7], s[6:7], 0, v[0:1]
	v_lshlrev_b32_e32 v4, 3, v9
	v_mov_b32_e32 v5, v1
	v_or_b32_e32 v1, v8, v9
	v_lshl_add_u64 v[22:23], v[6:7], 0, v[4:5]
	v_cmp_gt_u32_e32 vcc, s5, v1
	v_mov_b64_e32 v[6:7], -1
	v_mov_b64_e32 v[8:9], -1
	s_and_saveexec_b64 s[6:7], vcc
	s_cbranch_execz .LBB556_3
; %bb.2:
	global_load_dwordx2 v[8:9], v[22:23], off
.LBB556_3:
	s_or_b64 exec, exec, s[6:7]
	v_or_b32_e32 v5, 64, v1
	v_cmp_gt_u32_e64 s[16:17], s5, v5
	s_and_saveexec_b64 s[6:7], s[16:17]
	s_cbranch_execz .LBB556_5
; %bb.4:
	global_load_dwordx2 v[6:7], v[22:23], off offset:512
.LBB556_5:
	s_or_b64 exec, exec, s[6:7]
	v_or_b32_e32 v5, 0x80, v1
	v_cmp_gt_u32_e64 s[26:27], s5, v5
	v_mov_b64_e32 v[10:11], -1
	v_mov_b64_e32 v[12:13], -1
	s_and_saveexec_b64 s[6:7], s[26:27]
	s_cbranch_execz .LBB556_7
; %bb.6:
	global_load_dwordx2 v[12:13], v[22:23], off offset:1024
.LBB556_7:
	s_or_b64 exec, exec, s[6:7]
	v_or_b32_e32 v5, 0xc0, v1
	v_cmp_gt_u32_e64 s[6:7], s5, v5
	s_and_saveexec_b64 s[8:9], s[6:7]
	s_cbranch_execz .LBB556_9
; %bb.8:
	global_load_dwordx2 v[10:11], v[22:23], off offset:1536
.LBB556_9:
	s_or_b64 exec, exec, s[8:9]
	v_or_b32_e32 v5, 0x100, v1
	v_cmp_gt_u32_e64 s[8:9], s5, v5
	v_mov_b64_e32 v[14:15], -1
	v_mov_b64_e32 v[16:17], -1
	s_and_saveexec_b64 s[10:11], s[8:9]
	s_cbranch_execz .LBB556_11
; %bb.10:
	global_load_dwordx2 v[16:17], v[22:23], off offset:2048
.LBB556_11:
	;; [unrolled: 18-line block ×3, first 2 shown]
	s_or_b64 exec, exec, s[14:15]
	v_or_b32_e32 v1, 0x1c0, v1
	v_cmp_gt_u32_e64 s[14:15], s5, v1
	s_and_saveexec_b64 s[18:19], s[14:15]
	s_cbranch_execz .LBB556_17
; %bb.16:
	global_load_dwordx2 v[18:19], v[22:23], off offset:3584
.LBB556_17:
	s_or_b64 exec, exec, s[18:19]
	s_load_dword s18, s[2:3], 0x64
	s_load_dword s33, s[2:3], 0x58
	s_add_u32 s19, s2, 0x58
	s_addc_u32 s20, s3, 0
	v_mov_b32_e32 v23, 0
	s_waitcnt lgkmcnt(0)
	s_lshr_b32 s21, s18, 16
	s_cmp_lt_u32 s4, s33
	s_cselect_b32 s18, 12, 18
	s_add_u32 s18, s19, s18
	s_addc_u32 s19, s20, 0
	global_load_ushort v1, v23, s[18:19]
	s_waitcnt vmcnt(1)
	v_lshrrev_b64 v[24:25], s52, v[8:9]
	s_lshl_b32 s18, -1, s53
	v_bitop3_b32 v24, v24, s18, v24 bitop3:0x30
	s_movk_i32 s57, 0x44
	v_and_b32_e32 v22, 1, v24
	v_lshlrev_b32_e32 v33, 30, v24
	v_mov_b32_e32 v32, v23
	s_not_b32 s56, s18
	v_mul_lo_u32 v46, v24, s57
	v_lshlrev_b32_e32 v35, 29, v24
	v_lshlrev_b32_e32 v37, 28, v24
	;; [unrolled: 1-line block ×6, first 2 shown]
	v_lshl_add_u64 v[24:25], v[22:23], 0, -1
	v_cmp_ne_u32_e64 s[18:19], 0, v22
	v_not_b32_e32 v22, v33
	v_mov_b32_e32 v34, v23
	v_mov_b32_e32 v36, v23
	v_mad_u32_u24 v27, v28, s21, v3
	v_cmp_gt_i64_e64 s[20:21], 0, v[32:33]
	v_not_b32_e32 v31, v35
	v_xor_b32_e32 v25, s19, v25
	v_ashrrev_i32_e32 v22, 31, v22
	v_cmp_gt_i64_e64 s[22:23], 0, v[34:35]
	v_cmp_gt_i64_e64 s[24:25], 0, v[36:37]
	v_not_b32_e32 v32, v37
	v_xor_b32_e32 v24, s18, v24
	v_ashrrev_i32_e32 v31, 31, v31
	v_and_b32_e32 v25, exec_hi, v25
	v_xor_b32_e32 v36, s21, v22
	v_mov_b32_e32 v38, v23
	v_not_b32_e32 v33, v39
	v_ashrrev_i32_e32 v32, 31, v32
	v_and_b32_e32 v24, exec_lo, v24
	v_xor_b32_e32 v22, s20, v22
	v_xor_b32_e32 v37, s23, v31
	v_and_b32_e32 v25, v25, v36
	v_mov_b32_e32 v40, v23
	v_cmp_gt_i64_e64 s[28:29], 0, v[38:39]
	v_not_b32_e32 v34, v41
	v_ashrrev_i32_e32 v33, 31, v33
	v_xor_b32_e32 v38, s25, v32
	v_and_b32_e32 v22, v24, v22
	v_and_b32_e32 v24, v25, v37
	v_mov_b32_e32 v42, v23
	v_cmp_gt_i64_e64 s[30:31], 0, v[40:41]
	v_not_b32_e32 v35, v43
	v_ashrrev_i32_e32 v34, 31, v34
	v_xor_b32_e32 v39, s29, v33
	v_and_b32_e32 v24, v24, v38
	v_cmp_gt_i64_e64 s[34:35], 0, v[42:43]
	v_ashrrev_i32_e32 v35, 31, v35
	v_xor_b32_e32 v40, s31, v34
	v_and_b32_e32 v24, v24, v39
	v_xor_b32_e32 v31, s22, v31
	v_xor_b32_e32 v41, s35, v35
	v_and_b32_e32 v24, v24, v40
	v_xor_b32_e32 v32, s24, v32
	v_and_b32_e32 v22, v22, v31
	v_and_b32_e32 v31, v24, v41
	v_xor_b32_e32 v33, s28, v33
	v_and_b32_e32 v22, v22, v32
	v_mov_b32_e32 v44, v23
	v_xor_b32_e32 v34, s30, v34
	v_and_b32_e32 v22, v22, v33
	v_cmp_gt_i64_e64 s[36:37], 0, v[44:45]
	v_xor_b32_e32 v35, s34, v35
	v_and_b32_e32 v22, v22, v34
	v_and_b32_e32 v22, v22, v35
	v_mul_u32_u24_e32 v5, 20, v2
	ds_write2_b32 v5, v23, v23 offset0:16 offset1:17
	ds_write2_b32 v5, v23, v23 offset0:18 offset1:19
	ds_write_b32 v5, v23 offset:80
	s_waitcnt lgkmcnt(0)
	s_barrier
	s_waitcnt vmcnt(0)
	; wave barrier
	v_mad_u64_u32 v[24:25], s[18:19], v27, v1, v[2:3]
	v_lshrrev_b32_e32 v1, 4, v24
	v_and_b32_e32 v40, 0xffffffc, v1
	v_not_b32_e32 v1, v45
	v_ashrrev_i32_e32 v1, 31, v1
	v_xor_b32_e32 v24, s37, v1
	v_xor_b32_e32 v1, s36, v1
	v_and_b32_e32 v25, v31, v24
	v_and_b32_e32 v24, v22, v1
	v_mbcnt_lo_u32_b32 v1, v24, 0
	v_mbcnt_hi_u32_b32 v31, v25, v1
	v_cmp_eq_u32_e64 s[18:19], 0, v31
	v_cmp_ne_u64_e64 s[20:21], 0, v[24:25]
	s_and_b64 s[20:21], s[20:21], s[18:19]
	v_add_u32_e32 v27, v40, v46
	s_and_saveexec_b64 s[18:19], s[20:21]
; %bb.18:
	v_bcnt_u32_b32 v1, v24, 0
	v_bcnt_u32_b32 v1, v25, v1
	ds_write_b32 v27, v1 offset:64
; %bb.19:
	s_or_b64 exec, exec, s[18:19]
	v_lshrrev_b64 v[24:25], s52, v[6:7]
	v_and_b32_e32 v32, s56, v24
	v_and_b32_e32 v22, 1, v32
	v_lshl_add_u64 v[24:25], v[22:23], 0, -1
	v_cmp_ne_u32_e64 s[18:19], 0, v22
	v_mul_lo_u32 v1, v32, s57
	v_add_u32_e32 v34, v40, v1
	v_xor_b32_e32 v24, s18, v24
	v_xor_b32_e32 v22, s19, v25
	v_and_b32_e32 v33, exec_lo, v24
	v_lshlrev_b32_e32 v25, 30, v32
	v_mov_b32_e32 v24, v23
	v_cmp_gt_i64_e64 s[18:19], 0, v[24:25]
	v_not_b32_e32 v24, v25
	v_ashrrev_i32_e32 v24, 31, v24
	v_and_b32_e32 v22, exec_hi, v22
	v_xor_b32_e32 v25, s19, v24
	v_xor_b32_e32 v24, s18, v24
	v_and_b32_e32 v22, v22, v25
	v_and_b32_e32 v33, v33, v24
	v_lshlrev_b32_e32 v25, 29, v32
	v_mov_b32_e32 v24, v23
	v_cmp_gt_i64_e64 s[18:19], 0, v[24:25]
	v_not_b32_e32 v24, v25
	v_ashrrev_i32_e32 v24, 31, v24
	v_xor_b32_e32 v25, s19, v24
	v_xor_b32_e32 v24, s18, v24
	v_and_b32_e32 v22, v22, v25
	v_and_b32_e32 v33, v33, v24
	v_lshlrev_b32_e32 v25, 28, v32
	v_mov_b32_e32 v24, v23
	v_cmp_gt_i64_e64 s[18:19], 0, v[24:25]
	v_not_b32_e32 v24, v25
	v_ashrrev_i32_e32 v24, 31, v24
	;; [unrolled: 9-line block ×5, first 2 shown]
	v_xor_b32_e32 v25, s19, v24
	v_xor_b32_e32 v24, s18, v24
	v_and_b32_e32 v22, v22, v25
	v_lshlrev_b32_e32 v25, 24, v32
	v_and_b32_e32 v33, v33, v24
	v_mov_b32_e32 v24, v23
	v_not_b32_e32 v23, v25
	v_cmp_gt_i64_e64 s[18:19], 0, v[24:25]
	v_ashrrev_i32_e32 v23, 31, v23
	s_nop 0
	v_xor_b32_e32 v24, s19, v23
	v_xor_b32_e32 v25, s18, v23
	; wave barrier
	ds_read_b32 v1, v34 offset:64
	v_and_b32_e32 v23, v22, v24
	v_and_b32_e32 v22, v33, v25
	v_mbcnt_lo_u32_b32 v24, v22, 0
	v_mbcnt_hi_u32_b32 v32, v23, v24
	v_cmp_eq_u32_e64 s[18:19], 0, v32
	v_cmp_ne_u64_e64 s[20:21], 0, v[22:23]
	s_and_b64 s[20:21], s[20:21], s[18:19]
	; wave barrier
	s_and_saveexec_b64 s[18:19], s[20:21]
	s_cbranch_execz .LBB556_21
; %bb.20:
	v_bcnt_u32_b32 v22, v22, 0
	v_bcnt_u32_b32 v22, v23, v22
	s_waitcnt lgkmcnt(0)
	v_add_u32_e32 v22, v1, v22
	ds_write_b32 v34, v22 offset:64
.LBB556_21:
	s_or_b64 exec, exec, s[18:19]
	v_lshrrev_b64 v[22:23], s52, v[12:13]
	v_and_b32_e32 v35, s56, v22
	s_movk_i32 s22, 0x44
	v_mul_lo_u32 v22, v35, s22
	v_add_u32_e32 v37, v40, v22
	v_and_b32_e32 v22, 1, v35
	v_mov_b32_e32 v23, 0
	v_lshl_add_u64 v[24:25], v[22:23], 0, -1
	v_cmp_ne_u32_e64 s[18:19], 0, v22
	; wave barrier
	s_nop 1
	v_xor_b32_e32 v24, s18, v24
	v_xor_b32_e32 v22, s19, v25
	v_and_b32_e32 v36, exec_lo, v24
	v_lshlrev_b32_e32 v25, 30, v35
	v_mov_b32_e32 v24, v23
	v_cmp_gt_i64_e64 s[18:19], 0, v[24:25]
	v_not_b32_e32 v24, v25
	v_ashrrev_i32_e32 v24, 31, v24
	v_and_b32_e32 v22, exec_hi, v22
	v_xor_b32_e32 v25, s19, v24
	v_xor_b32_e32 v24, s18, v24
	v_and_b32_e32 v22, v22, v25
	v_and_b32_e32 v36, v36, v24
	v_lshlrev_b32_e32 v25, 29, v35
	v_mov_b32_e32 v24, v23
	v_cmp_gt_i64_e64 s[18:19], 0, v[24:25]
	v_not_b32_e32 v24, v25
	v_ashrrev_i32_e32 v24, 31, v24
	v_xor_b32_e32 v25, s19, v24
	v_xor_b32_e32 v24, s18, v24
	v_and_b32_e32 v22, v22, v25
	v_and_b32_e32 v36, v36, v24
	v_lshlrev_b32_e32 v25, 28, v35
	v_mov_b32_e32 v24, v23
	v_cmp_gt_i64_e64 s[18:19], 0, v[24:25]
	v_not_b32_e32 v24, v25
	v_ashrrev_i32_e32 v24, 31, v24
	;; [unrolled: 9-line block ×6, first 2 shown]
	v_xor_b32_e32 v25, s19, v24
	v_xor_b32_e32 v24, s18, v24
	ds_read_b32 v33, v37 offset:64
	v_and_b32_e32 v24, v36, v24
	v_and_b32_e32 v25, v22, v25
	v_mbcnt_lo_u32_b32 v22, v24, 0
	v_mbcnt_hi_u32_b32 v35, v25, v22
	v_cmp_eq_u32_e64 s[18:19], 0, v35
	v_cmp_ne_u64_e64 s[20:21], 0, v[24:25]
	s_and_b64 s[20:21], s[20:21], s[18:19]
	; wave barrier
	s_and_saveexec_b64 s[18:19], s[20:21]
	s_cbranch_execz .LBB556_23
; %bb.22:
	v_bcnt_u32_b32 v22, v24, 0
	v_bcnt_u32_b32 v22, v25, v22
	s_waitcnt lgkmcnt(0)
	v_add_u32_e32 v22, v33, v22
	ds_write_b32 v37, v22 offset:64
.LBB556_23:
	s_or_b64 exec, exec, s[18:19]
	v_lshrrev_b64 v[24:25], s52, v[10:11]
	v_and_b32_e32 v38, s56, v24
	v_mul_lo_u32 v22, v38, s22
	v_add_u32_e32 v41, v40, v22
	v_and_b32_e32 v22, 1, v38
	v_lshl_add_u64 v[24:25], v[22:23], 0, -1
	v_cmp_ne_u32_e64 s[18:19], 0, v22
	; wave barrier
	s_nop 1
	v_xor_b32_e32 v24, s18, v24
	v_xor_b32_e32 v22, s19, v25
	v_and_b32_e32 v39, exec_lo, v24
	v_lshlrev_b32_e32 v25, 30, v38
	v_mov_b32_e32 v24, v23
	v_cmp_gt_i64_e64 s[18:19], 0, v[24:25]
	v_not_b32_e32 v24, v25
	v_ashrrev_i32_e32 v24, 31, v24
	v_and_b32_e32 v22, exec_hi, v22
	v_xor_b32_e32 v25, s19, v24
	v_xor_b32_e32 v24, s18, v24
	v_and_b32_e32 v22, v22, v25
	v_and_b32_e32 v39, v39, v24
	v_lshlrev_b32_e32 v25, 29, v38
	v_mov_b32_e32 v24, v23
	v_cmp_gt_i64_e64 s[18:19], 0, v[24:25]
	v_not_b32_e32 v24, v25
	v_ashrrev_i32_e32 v24, 31, v24
	v_xor_b32_e32 v25, s19, v24
	v_xor_b32_e32 v24, s18, v24
	v_and_b32_e32 v22, v22, v25
	v_and_b32_e32 v39, v39, v24
	v_lshlrev_b32_e32 v25, 28, v38
	v_mov_b32_e32 v24, v23
	v_cmp_gt_i64_e64 s[18:19], 0, v[24:25]
	v_not_b32_e32 v24, v25
	v_ashrrev_i32_e32 v24, 31, v24
	;; [unrolled: 9-line block ×5, first 2 shown]
	v_xor_b32_e32 v25, s19, v24
	v_xor_b32_e32 v24, s18, v24
	v_and_b32_e32 v22, v22, v25
	v_lshlrev_b32_e32 v25, 24, v38
	v_and_b32_e32 v39, v39, v24
	v_mov_b32_e32 v24, v23
	v_not_b32_e32 v23, v25
	v_cmp_gt_i64_e64 s[18:19], 0, v[24:25]
	v_ashrrev_i32_e32 v23, 31, v23
	ds_read_b32 v36, v41 offset:64
	v_xor_b32_e32 v24, s19, v23
	v_xor_b32_e32 v25, s18, v23
	v_and_b32_e32 v23, v22, v24
	v_and_b32_e32 v22, v39, v25
	v_mbcnt_lo_u32_b32 v24, v22, 0
	v_mbcnt_hi_u32_b32 v38, v23, v24
	v_cmp_eq_u32_e64 s[18:19], 0, v38
	v_cmp_ne_u64_e64 s[20:21], 0, v[22:23]
	s_and_b64 s[20:21], s[20:21], s[18:19]
	; wave barrier
	s_and_saveexec_b64 s[18:19], s[20:21]
	s_cbranch_execz .LBB556_25
; %bb.24:
	v_bcnt_u32_b32 v22, v22, 0
	v_bcnt_u32_b32 v22, v23, v22
	s_waitcnt lgkmcnt(0)
	v_add_u32_e32 v22, v36, v22
	ds_write_b32 v41, v22 offset:64
.LBB556_25:
	s_or_b64 exec, exec, s[18:19]
	v_lshrrev_b64 v[22:23], s52, v[16:17]
	v_and_b32_e32 v42, s56, v22
	v_mul_lo_u32 v22, v42, s22
	v_add_u32_e32 v44, v40, v22
	v_and_b32_e32 v22, 1, v42
	v_mov_b32_e32 v23, 0
	v_lshl_add_u64 v[24:25], v[22:23], 0, -1
	v_cmp_ne_u32_e64 s[18:19], 0, v22
	; wave barrier
	s_nop 1
	v_xor_b32_e32 v24, s18, v24
	v_xor_b32_e32 v22, s19, v25
	v_and_b32_e32 v43, exec_lo, v24
	v_lshlrev_b32_e32 v25, 30, v42
	v_mov_b32_e32 v24, v23
	v_cmp_gt_i64_e64 s[18:19], 0, v[24:25]
	v_not_b32_e32 v24, v25
	v_ashrrev_i32_e32 v24, 31, v24
	v_and_b32_e32 v22, exec_hi, v22
	v_xor_b32_e32 v25, s19, v24
	v_xor_b32_e32 v24, s18, v24
	v_and_b32_e32 v22, v22, v25
	v_and_b32_e32 v43, v43, v24
	v_lshlrev_b32_e32 v25, 29, v42
	v_mov_b32_e32 v24, v23
	v_cmp_gt_i64_e64 s[18:19], 0, v[24:25]
	v_not_b32_e32 v24, v25
	v_ashrrev_i32_e32 v24, 31, v24
	v_xor_b32_e32 v25, s19, v24
	v_xor_b32_e32 v24, s18, v24
	v_and_b32_e32 v22, v22, v25
	v_and_b32_e32 v43, v43, v24
	v_lshlrev_b32_e32 v25, 28, v42
	v_mov_b32_e32 v24, v23
	v_cmp_gt_i64_e64 s[18:19], 0, v[24:25]
	v_not_b32_e32 v24, v25
	v_ashrrev_i32_e32 v24, 31, v24
	;; [unrolled: 9-line block ×6, first 2 shown]
	v_xor_b32_e32 v25, s19, v24
	v_xor_b32_e32 v24, s18, v24
	ds_read_b32 v39, v44 offset:64
	v_and_b32_e32 v24, v43, v24
	v_and_b32_e32 v25, v22, v25
	v_mbcnt_lo_u32_b32 v22, v24, 0
	v_mbcnt_hi_u32_b32 v42, v25, v22
	v_cmp_eq_u32_e64 s[18:19], 0, v42
	v_cmp_ne_u64_e64 s[20:21], 0, v[24:25]
	s_and_b64 s[20:21], s[20:21], s[18:19]
	; wave barrier
	s_and_saveexec_b64 s[18:19], s[20:21]
	s_cbranch_execz .LBB556_27
; %bb.26:
	v_bcnt_u32_b32 v22, v24, 0
	v_bcnt_u32_b32 v22, v25, v22
	s_waitcnt lgkmcnt(0)
	v_add_u32_e32 v22, v39, v22
	ds_write_b32 v44, v22 offset:64
.LBB556_27:
	s_or_b64 exec, exec, s[18:19]
	v_lshrrev_b64 v[24:25], s52, v[14:15]
	v_and_b32_e32 v45, s56, v24
	v_mul_lo_u32 v22, v45, s22
	v_add_u32_e32 v47, v40, v22
	v_and_b32_e32 v22, 1, v45
	v_lshl_add_u64 v[24:25], v[22:23], 0, -1
	v_cmp_ne_u32_e64 s[18:19], 0, v22
	; wave barrier
	s_nop 1
	v_xor_b32_e32 v24, s18, v24
	v_xor_b32_e32 v22, s19, v25
	v_and_b32_e32 v46, exec_lo, v24
	v_lshlrev_b32_e32 v25, 30, v45
	v_mov_b32_e32 v24, v23
	v_cmp_gt_i64_e64 s[18:19], 0, v[24:25]
	v_not_b32_e32 v24, v25
	v_ashrrev_i32_e32 v24, 31, v24
	v_and_b32_e32 v22, exec_hi, v22
	v_xor_b32_e32 v25, s19, v24
	v_xor_b32_e32 v24, s18, v24
	v_and_b32_e32 v22, v22, v25
	v_and_b32_e32 v46, v46, v24
	v_lshlrev_b32_e32 v25, 29, v45
	v_mov_b32_e32 v24, v23
	v_cmp_gt_i64_e64 s[18:19], 0, v[24:25]
	v_not_b32_e32 v24, v25
	v_ashrrev_i32_e32 v24, 31, v24
	v_xor_b32_e32 v25, s19, v24
	v_xor_b32_e32 v24, s18, v24
	v_and_b32_e32 v22, v22, v25
	v_and_b32_e32 v46, v46, v24
	v_lshlrev_b32_e32 v25, 28, v45
	v_mov_b32_e32 v24, v23
	v_cmp_gt_i64_e64 s[18:19], 0, v[24:25]
	v_not_b32_e32 v24, v25
	v_ashrrev_i32_e32 v24, 31, v24
	;; [unrolled: 9-line block ×5, first 2 shown]
	v_xor_b32_e32 v25, s19, v24
	v_xor_b32_e32 v24, s18, v24
	v_and_b32_e32 v22, v22, v25
	v_lshlrev_b32_e32 v25, 24, v45
	v_and_b32_e32 v46, v46, v24
	v_mov_b32_e32 v24, v23
	v_not_b32_e32 v23, v25
	v_cmp_gt_i64_e64 s[18:19], 0, v[24:25]
	v_ashrrev_i32_e32 v23, 31, v23
	ds_read_b32 v43, v47 offset:64
	v_xor_b32_e32 v24, s19, v23
	v_xor_b32_e32 v25, s18, v23
	v_and_b32_e32 v23, v22, v24
	v_and_b32_e32 v22, v46, v25
	v_mbcnt_lo_u32_b32 v24, v22, 0
	v_mbcnt_hi_u32_b32 v45, v23, v24
	v_cmp_eq_u32_e64 s[18:19], 0, v45
	v_cmp_ne_u64_e64 s[20:21], 0, v[22:23]
	s_and_b64 s[20:21], s[20:21], s[18:19]
	; wave barrier
	s_and_saveexec_b64 s[18:19], s[20:21]
	s_cbranch_execz .LBB556_29
; %bb.28:
	v_bcnt_u32_b32 v22, v22, 0
	v_bcnt_u32_b32 v22, v23, v22
	s_waitcnt lgkmcnt(0)
	v_add_u32_e32 v22, v43, v22
	ds_write_b32 v47, v22 offset:64
.LBB556_29:
	s_or_b64 exec, exec, s[18:19]
	v_lshrrev_b64 v[22:23], s52, v[20:21]
	v_and_b32_e32 v48, s56, v22
	v_mul_lo_u32 v22, v48, s22
	v_add_u32_e32 v50, v40, v22
	v_and_b32_e32 v22, 1, v48
	v_mov_b32_e32 v23, 0
	v_lshl_add_u64 v[24:25], v[22:23], 0, -1
	v_cmp_ne_u32_e64 s[18:19], 0, v22
	; wave barrier
	s_nop 1
	v_xor_b32_e32 v24, s18, v24
	v_xor_b32_e32 v22, s19, v25
	v_and_b32_e32 v49, exec_lo, v24
	v_lshlrev_b32_e32 v25, 30, v48
	v_mov_b32_e32 v24, v23
	v_cmp_gt_i64_e64 s[18:19], 0, v[24:25]
	v_not_b32_e32 v24, v25
	v_ashrrev_i32_e32 v24, 31, v24
	v_and_b32_e32 v22, exec_hi, v22
	v_xor_b32_e32 v25, s19, v24
	v_xor_b32_e32 v24, s18, v24
	v_and_b32_e32 v22, v22, v25
	v_and_b32_e32 v49, v49, v24
	v_lshlrev_b32_e32 v25, 29, v48
	v_mov_b32_e32 v24, v23
	v_cmp_gt_i64_e64 s[18:19], 0, v[24:25]
	v_not_b32_e32 v24, v25
	v_ashrrev_i32_e32 v24, 31, v24
	v_xor_b32_e32 v25, s19, v24
	v_xor_b32_e32 v24, s18, v24
	v_and_b32_e32 v22, v22, v25
	v_and_b32_e32 v49, v49, v24
	v_lshlrev_b32_e32 v25, 28, v48
	v_mov_b32_e32 v24, v23
	v_cmp_gt_i64_e64 s[18:19], 0, v[24:25]
	v_not_b32_e32 v24, v25
	v_ashrrev_i32_e32 v24, 31, v24
	v_xor_b32_e32 v25, s19, v24
	v_xor_b32_e32 v24, s18, v24
	v_and_b32_e32 v22, v22, v25
	v_and_b32_e32 v49, v49, v24
	v_lshlrev_b32_e32 v25, 27, v48
	v_mov_b32_e32 v24, v23
	v_cmp_gt_i64_e64 s[18:19], 0, v[24:25]
	v_not_b32_e32 v24, v25
	v_ashrrev_i32_e32 v24, 31, v24
	v_xor_b32_e32 v25, s19, v24
	v_xor_b32_e32 v24, s18, v24
	v_and_b32_e32 v22, v22, v25
	v_and_b32_e32 v49, v49, v24
	v_lshlrev_b32_e32 v25, 26, v48
	v_mov_b32_e32 v24, v23
	v_cmp_gt_i64_e64 s[18:19], 0, v[24:25]
	v_not_b32_e32 v24, v25
	v_ashrrev_i32_e32 v24, 31, v24
	v_xor_b32_e32 v25, s19, v24
	v_xor_b32_e32 v24, s18, v24
	v_and_b32_e32 v22, v22, v25
	v_and_b32_e32 v49, v49, v24
	v_lshlrev_b32_e32 v25, 25, v48
	v_mov_b32_e32 v24, v23
	v_cmp_gt_i64_e64 s[18:19], 0, v[24:25]
	v_not_b32_e32 v24, v25
	v_ashrrev_i32_e32 v24, 31, v24
	v_xor_b32_e32 v25, s19, v24
	v_xor_b32_e32 v24, s18, v24
	v_and_b32_e32 v22, v22, v25
	v_and_b32_e32 v49, v49, v24
	v_lshlrev_b32_e32 v25, 24, v48
	v_mov_b32_e32 v24, v23
	v_cmp_gt_i64_e64 s[18:19], 0, v[24:25]
	v_not_b32_e32 v24, v25
	v_ashrrev_i32_e32 v24, 31, v24
	v_xor_b32_e32 v25, s19, v24
	v_xor_b32_e32 v24, s18, v24
	ds_read_b32 v46, v50 offset:64
	v_and_b32_e32 v24, v49, v24
	v_and_b32_e32 v25, v22, v25
	v_mbcnt_lo_u32_b32 v22, v24, 0
	v_mbcnt_hi_u32_b32 v48, v25, v22
	v_cmp_eq_u32_e64 s[18:19], 0, v48
	v_cmp_ne_u64_e64 s[20:21], 0, v[24:25]
	s_and_b64 s[20:21], s[20:21], s[18:19]
	; wave barrier
	s_and_saveexec_b64 s[18:19], s[20:21]
	s_cbranch_execz .LBB556_31
; %bb.30:
	v_bcnt_u32_b32 v22, v24, 0
	v_bcnt_u32_b32 v22, v25, v22
	s_waitcnt lgkmcnt(0)
	v_add_u32_e32 v22, v46, v22
	ds_write_b32 v50, v22 offset:64
.LBB556_31:
	s_or_b64 exec, exec, s[18:19]
	v_lshrrev_b64 v[24:25], s52, v[18:19]
	v_and_b32_e32 v51, s56, v24
	v_mul_lo_u32 v22, v51, s22
	v_add_u32_e32 v40, v40, v22
	v_and_b32_e32 v22, 1, v51
	v_lshl_add_u64 v[24:25], v[22:23], 0, -1
	v_cmp_ne_u32_e64 s[18:19], 0, v22
	; wave barrier
	s_nop 1
	v_xor_b32_e32 v24, s18, v24
	v_xor_b32_e32 v22, s19, v25
	v_and_b32_e32 v52, exec_lo, v24
	v_lshlrev_b32_e32 v25, 30, v51
	v_mov_b32_e32 v24, v23
	v_cmp_gt_i64_e64 s[18:19], 0, v[24:25]
	v_not_b32_e32 v24, v25
	v_ashrrev_i32_e32 v24, 31, v24
	v_and_b32_e32 v22, exec_hi, v22
	v_xor_b32_e32 v25, s19, v24
	v_xor_b32_e32 v24, s18, v24
	v_and_b32_e32 v22, v22, v25
	v_and_b32_e32 v52, v52, v24
	v_lshlrev_b32_e32 v25, 29, v51
	v_mov_b32_e32 v24, v23
	v_cmp_gt_i64_e64 s[18:19], 0, v[24:25]
	v_not_b32_e32 v24, v25
	v_ashrrev_i32_e32 v24, 31, v24
	v_xor_b32_e32 v25, s19, v24
	v_xor_b32_e32 v24, s18, v24
	v_and_b32_e32 v22, v22, v25
	v_and_b32_e32 v52, v52, v24
	v_lshlrev_b32_e32 v25, 28, v51
	v_mov_b32_e32 v24, v23
	v_cmp_gt_i64_e64 s[18:19], 0, v[24:25]
	v_not_b32_e32 v24, v25
	v_ashrrev_i32_e32 v24, 31, v24
	v_xor_b32_e32 v25, s19, v24
	v_xor_b32_e32 v24, s18, v24
	v_and_b32_e32 v22, v22, v25
	v_and_b32_e32 v52, v52, v24
	v_lshlrev_b32_e32 v25, 27, v51
	v_mov_b32_e32 v24, v23
	v_cmp_gt_i64_e64 s[18:19], 0, v[24:25]
	v_not_b32_e32 v24, v25
	v_ashrrev_i32_e32 v24, 31, v24
	v_xor_b32_e32 v25, s19, v24
	v_xor_b32_e32 v24, s18, v24
	v_and_b32_e32 v22, v22, v25
	v_and_b32_e32 v52, v52, v24
	v_lshlrev_b32_e32 v25, 26, v51
	v_mov_b32_e32 v24, v23
	v_cmp_gt_i64_e64 s[18:19], 0, v[24:25]
	v_not_b32_e32 v24, v25
	v_ashrrev_i32_e32 v24, 31, v24
	v_xor_b32_e32 v25, s19, v24
	v_xor_b32_e32 v24, s18, v24
	v_and_b32_e32 v22, v22, v25
	v_and_b32_e32 v52, v52, v24
	v_lshlrev_b32_e32 v25, 25, v51
	v_mov_b32_e32 v24, v23
	v_cmp_gt_i64_e64 s[18:19], 0, v[24:25]
	v_not_b32_e32 v24, v25
	v_ashrrev_i32_e32 v24, 31, v24
	v_xor_b32_e32 v25, s19, v24
	v_xor_b32_e32 v24, s18, v24
	v_and_b32_e32 v22, v22, v25
	v_lshlrev_b32_e32 v25, 24, v51
	v_and_b32_e32 v52, v52, v24
	v_mov_b32_e32 v24, v23
	v_not_b32_e32 v23, v25
	v_cmp_gt_i64_e64 s[18:19], 0, v[24:25]
	v_ashrrev_i32_e32 v23, 31, v23
	ds_read_b32 v49, v40 offset:64
	v_xor_b32_e32 v24, s19, v23
	v_xor_b32_e32 v25, s18, v23
	v_and_b32_e32 v23, v22, v24
	v_and_b32_e32 v22, v52, v25
	v_mbcnt_lo_u32_b32 v24, v22, 0
	v_mbcnt_hi_u32_b32 v51, v23, v24
	v_cmp_eq_u32_e64 s[18:19], 0, v51
	v_cmp_ne_u64_e64 s[20:21], 0, v[22:23]
	s_and_b64 s[20:21], s[20:21], s[18:19]
	; wave barrier
	s_and_saveexec_b64 s[18:19], s[20:21]
	s_cbranch_execz .LBB556_33
; %bb.32:
	v_bcnt_u32_b32 v22, v22, 0
	v_bcnt_u32_b32 v22, v23, v22
	s_waitcnt lgkmcnt(0)
	v_add_u32_e32 v22, v49, v22
	ds_write_b32 v40, v22 offset:64
.LBB556_33:
	s_or_b64 exec, exec, s[18:19]
	; wave barrier
	s_waitcnt lgkmcnt(0)
	s_barrier
	ds_read2_b32 v[24:25], v5 offset0:16 offset1:17
	ds_read2_b32 v[22:23], v5 offset0:18 offset1:19
	ds_read_b32 v52, v5 offset:80
	v_cmp_lt_u32_e64 s[28:29], 31, v26
	s_waitcnt lgkmcnt(1)
	v_add3_u32 v53, v25, v24, v22
	s_waitcnt lgkmcnt(0)
	v_add3_u32 v52, v53, v23, v52
	v_and_b32_e32 v53, 15, v26
	v_cmp_eq_u32_e64 s[18:19], 0, v53
	v_mov_b32_dpp v54, v52 row_shr:1 row_mask:0xf bank_mask:0xf
	v_cmp_lt_u32_e64 s[20:21], 1, v53
	v_cndmask_b32_e64 v54, v54, 0, s[18:19]
	v_add_u32_e32 v52, v54, v52
	v_cmp_lt_u32_e64 s[22:23], 3, v53
	v_cmp_lt_u32_e64 s[24:25], 7, v53
	v_mov_b32_dpp v54, v52 row_shr:2 row_mask:0xf bank_mask:0xf
	v_cndmask_b32_e64 v54, 0, v54, s[20:21]
	v_add_u32_e32 v52, v52, v54
	s_nop 1
	v_mov_b32_dpp v54, v52 row_shr:4 row_mask:0xf bank_mask:0xf
	v_cndmask_b32_e64 v54, 0, v54, s[22:23]
	v_add_u32_e32 v52, v52, v54
	s_nop 1
	v_mov_b32_dpp v54, v52 row_shr:8 row_mask:0xf bank_mask:0xf
	v_cndmask_b32_e64 v53, 0, v54, s[24:25]
	v_add_u32_e32 v52, v52, v53
	v_bfe_i32 v54, v26, 4, 1
	s_nop 0
	v_mov_b32_dpp v53, v52 row_bcast:15 row_mask:0xf bank_mask:0xf
	v_and_b32_e32 v53, v54, v53
	v_add_u32_e32 v52, v52, v53
	v_and_b32_e32 v54, 63, v2
	s_nop 0
	v_mov_b32_dpp v53, v52 row_bcast:31 row_mask:0xf bank_mask:0xf
	v_cndmask_b32_e64 v53, 0, v53, s[28:29]
	v_add_u32_e32 v52, v52, v53
	v_lshrrev_b32_e32 v53, 6, v2
	v_cmp_eq_u32_e64 s[28:29], 63, v54
	s_and_saveexec_b64 s[30:31], s[28:29]
; %bb.34:
	v_lshlrev_b32_e32 v54, 2, v53
	ds_write_b32 v54, v52
; %bb.35:
	s_or_b64 exec, exec, s[30:31]
	v_cmp_gt_u32_e64 s[28:29], 16, v2
	s_waitcnt lgkmcnt(0)
	s_barrier
	s_and_saveexec_b64 s[30:31], s[28:29]
	s_cbranch_execz .LBB556_37
; %bb.36:
	v_lshlrev_b32_e32 v54, 2, v2
	ds_read_b32 v55, v54
	s_waitcnt lgkmcnt(0)
	s_nop 0
	v_mov_b32_dpp v56, v55 row_shr:1 row_mask:0xf bank_mask:0xf
	v_cndmask_b32_e64 v56, v56, 0, s[18:19]
	v_add_u32_e32 v55, v56, v55
	s_nop 1
	v_mov_b32_dpp v56, v55 row_shr:2 row_mask:0xf bank_mask:0xf
	v_cndmask_b32_e64 v56, 0, v56, s[20:21]
	v_add_u32_e32 v55, v55, v56
	;; [unrolled: 4-line block ×4, first 2 shown]
	ds_write_b32 v54, v55
.LBB556_37:
	s_or_b64 exec, exec, s[30:31]
	v_cmp_lt_u32_e64 s[18:19], 63, v2
	v_mov_b32_e32 v54, 0
	s_waitcnt lgkmcnt(0)
	s_barrier
	s_and_saveexec_b64 s[20:21], s[18:19]
; %bb.38:
	v_lshl_add_u32 v53, v53, 2, -4
	ds_read_b32 v54, v53
; %bb.39:
	s_or_b64 exec, exec, s[20:21]
	v_subrev_co_u32_e64 v53, s[18:19], 1, v26
	v_and_b32_e32 v55, 64, v26
	v_cmp_lt_i32_e64 s[20:21], v53, v55
	s_waitcnt lgkmcnt(0)
	v_add_u32_e32 v52, v54, v52
	s_movk_i32 s22, 0x100
	v_cndmask_b32_e64 v26, v53, v26, s[20:21]
	v_lshlrev_b32_e32 v26, 2, v26
	ds_bpermute_b32 v26, v26, v52
	v_cmp_gt_u32_e64 s[20:21], s22, v2
	s_waitcnt lgkmcnt(0)
	v_cndmask_b32_e64 v26, v26, v54, s[18:19]
	v_cmp_ne_u32_e64 s[18:19], 0, v2
	s_nop 1
	v_cndmask_b32_e64 v26, 0, v26, s[18:19]
	v_add_u32_e32 v24, v26, v24
	v_add_u32_e32 v25, v24, v25
	;; [unrolled: 1-line block ×4, first 2 shown]
	ds_write2_b32 v5, v26, v24 offset0:16 offset1:17
	ds_write2_b32 v5, v25, v22 offset0:18 offset1:19
	ds_write_b32 v5, v23 offset:80
	s_waitcnt lgkmcnt(0)
	s_barrier
	ds_read_b32 v55, v27 offset:64
	ds_read_b32 v5, v34 offset:64
	ds_read_b32 v52, v37 offset:64
	ds_read_b32 v53, v41 offset:64
	ds_read_b32 v54, v44 offset:64
	ds_read_b32 v47, v47 offset:64
	ds_read_b32 v41, v50 offset:64
	ds_read_b32 v44, v40 offset:64
	s_movk_i32 s18, 0xff
	v_cmp_lt_u32_e64 s[18:19], s18, v2
                                        ; implicit-def: $vgpr34
                                        ; implicit-def: $vgpr37
	s_and_saveexec_b64 s[24:25], s[20:21]
	s_cbranch_execz .LBB556_43
; %bb.40:
	v_mul_u32_u24_e32 v22, 0x44, v2
	ds_read_b32 v34, v22 offset:64
	v_add_u32_e32 v23, 1, v2
	v_cmp_ne_u32_e64 s[22:23], s22, v23
	v_mov_b32_e32 v22, 0x2000
	s_and_saveexec_b64 s[28:29], s[22:23]
; %bb.41:
	v_mul_u32_u24_e32 v22, 0x44, v23
	ds_read_b32 v22, v22 offset:64
; %bb.42:
	s_or_b64 exec, exec, s[28:29]
	s_waitcnt lgkmcnt(0)
	v_sub_u32_e32 v37, v22, v34
.LBB556_43:
	s_or_b64 exec, exec, s[24:25]
	v_mov_b32_e32 v23, 0
	v_lshlrev_b32_e32 v40, 2, v2
	s_waitcnt lgkmcnt(0)
	s_barrier
	s_and_saveexec_b64 s[22:23], s[20:21]
	s_cbranch_execz .LBB556_53
; %bb.44:
	v_lshl_add_u32 v22, s4, 8, v2
	v_lshl_add_u64 v[24:25], v[22:23], 2, s[38:39]
	v_or_b32_e32 v22, 2.0, v37
	s_mov_b64 s[24:25], 0
	s_brev_b32 s34, -4
	s_mov_b32 s35, s4
	v_mov_b32_e32 v50, 0
	global_store_dword v[24:25], v22, off sc1
                                        ; implicit-def: $sgpr20_sgpr21
	s_branch .LBB556_47
.LBB556_45:                             ;   in Loop: Header=BB556_47 Depth=1
	s_or_b64 exec, exec, s[30:31]
.LBB556_46:                             ;   in Loop: Header=BB556_47 Depth=1
	s_or_b64 exec, exec, s[28:29]
	v_and_b32_e32 v26, 0x3fffffff, v22
	v_add_u32_e32 v50, v26, v50
	v_cmp_gt_i32_e64 s[20:21], -2.0, v22
	s_and_b64 s[28:29], exec, s[20:21]
	s_or_b64 s[24:25], s[28:29], s[24:25]
	s_andn2_b64 exec, exec, s[24:25]
	s_cbranch_execz .LBB556_52
.LBB556_47:                             ; =>This Loop Header: Depth=1
                                        ;     Child Loop BB556_50 Depth 2
	s_or_b64 s[20:21], s[20:21], exec
	s_cmp_eq_u32 s35, 0
	s_cbranch_scc1 .LBB556_51
; %bb.48:                               ;   in Loop: Header=BB556_47 Depth=1
	s_add_i32 s35, s35, -1
	v_lshl_or_b32 v22, s35, 8, v2
	v_lshl_add_u64 v[26:27], v[22:23], 2, s[38:39]
	global_load_dword v22, v[26:27], off sc1
	s_waitcnt vmcnt(0)
	v_cmp_gt_u32_e64 s[20:21], 2.0, v22
	s_and_saveexec_b64 s[28:29], s[20:21]
	s_cbranch_execz .LBB556_46
; %bb.49:                               ;   in Loop: Header=BB556_47 Depth=1
	s_mov_b64 s[30:31], 0
.LBB556_50:                             ;   Parent Loop BB556_47 Depth=1
                                        ; =>  This Inner Loop Header: Depth=2
	global_load_dword v22, v[26:27], off sc1
	s_waitcnt vmcnt(0)
	v_cmp_lt_u32_e64 s[20:21], s34, v22
	s_or_b64 s[30:31], s[20:21], s[30:31]
	s_andn2_b64 exec, exec, s[30:31]
	s_cbranch_execnz .LBB556_50
	s_branch .LBB556_45
.LBB556_51:                             ;   in Loop: Header=BB556_47 Depth=1
                                        ; implicit-def: $sgpr35
	s_and_b64 s[28:29], exec, s[20:21]
	s_or_b64 s[24:25], s[28:29], s[24:25]
	s_andn2_b64 exec, exec, s[24:25]
	s_cbranch_execnz .LBB556_47
.LBB556_52:
	s_or_b64 exec, exec, s[24:25]
	v_add_u32_e32 v22, v50, v37
	v_or_b32_e32 v22, 0x80000000, v22
	global_store_dword v[24:25], v22, off sc1
	global_load_dword v22, v40, s[48:49]
	v_sub_u32_e32 v23, v50, v34
	s_waitcnt vmcnt(0)
	v_add_u32_e32 v22, v23, v22
	ds_write_b32 v40, v22
.LBB556_53:
	s_or_b64 exec, exec, s[22:23]
	s_load_dwordx2 s[20:21], s[0:1], 0x4
	v_add_u32_e32 v24, v55, v31
	v_add3_u32 v22, v32, v1, v5
	v_add3_u32 v23, v35, v33, v52
	;; [unrolled: 1-line block ×3, first 2 shown]
	s_waitcnt lgkmcnt(0)
	s_lshr_b32 s0, s20, 16
	s_mul_i32 s0, s0, s21
	v_mul_lo_u32 v25, s0, v2
	v_mul_u32_u24_e32 v27, s21, v3
	v_add3_u32 v25, v25, v27, v28
	v_mov_b32_e32 v27, 0x5050
	v_add3_u32 v55, v42, v39, v54
	v_add3_u32 v56, v45, v43, v47
	;; [unrolled: 1-line block ×4, first 2 shown]
	v_lshl_add_u32 v25, v25, 5, v27
	v_mov_b32_e32 v57, 0x400
	s_movk_i32 s22, 0x400
	v_lshl_add_u32 v26, v26, 3, v57
	v_add3_u32 v27, v51, v44, v49
	v_lshl_add_u32 v31, v31, 3, v57
	v_add3_u32 v41, v48, v41, v46
	;; [unrolled: 2-line block ×7, first 2 shown]
	v_lshl_add_u32 v46, v24, 3, v57
	s_mov_b32 s23, 0
	s_movk_i32 s24, 0x800
	v_add_u32_e32 v47, v40, v40
	v_mov_b32_e32 v23, 0
	v_mov_b32_e32 v1, v2
	;; [unrolled: 1-line block ×3, first 2 shown]
	s_mov_b32 s25, 0
	s_branch .LBB556_55
.LBB556_54:                             ;   in Loop: Header=BB556_55 Depth=1
	s_or_b64 exec, exec, s[20:21]
	s_addk_i32 s25, 0xc000
	s_addk_i32 s23, 0xf800
	v_add_u32_e32 v5, 8, v5
	s_cmp_eq_u32 s25, 0xffff0000
	v_add_u32_e32 v1, 0x800, v1
	s_waitcnt lgkmcnt(0)
	s_barrier
	s_cbranch_scc1 .LBB556_75
.LBB556_55:                             ; =>This Inner Loop Header: Depth=1
	v_add_u32_e32 v22, s23, v24
	v_cmp_gt_u32_e64 s[0:1], s24, v22
	s_and_saveexec_b64 s[20:21], s[0:1]
; %bb.56:                               ;   in Loop: Header=BB556_55 Depth=1
	v_add_u32_e32 v22, s25, v46
	ds_write_b64 v22, v[8:9]
; %bb.57:                               ;   in Loop: Header=BB556_55 Depth=1
	s_or_b64 exec, exec, s[20:21]
	v_add_u32_e32 v22, s23, v32
	v_cmp_gt_u32_e64 s[0:1], s24, v22
	s_and_saveexec_b64 s[20:21], s[0:1]
; %bb.58:                               ;   in Loop: Header=BB556_55 Depth=1
	v_add_u32_e32 v22, s25, v35
	ds_write_b64 v22, v[6:7]
; %bb.59:                               ;   in Loop: Header=BB556_55 Depth=1
	s_or_b64 exec, exec, s[20:21]
	v_add_u32_e32 v22, s23, v33
	v_cmp_gt_u32_e64 s[0:1], s24, v22
	s_and_saveexec_b64 s[20:21], s[0:1]
; %bb.60:                               ;   in Loop: Header=BB556_55 Depth=1
	v_add_u32_e32 v22, s25, v38
	ds_write_b64 v22, v[12:13]
; %bb.61:                               ;   in Loop: Header=BB556_55 Depth=1
	s_or_b64 exec, exec, s[20:21]
	v_add_u32_e32 v22, s23, v36
	v_cmp_gt_u32_e64 s[0:1], s24, v22
	s_and_saveexec_b64 s[20:21], s[0:1]
; %bb.62:                               ;   in Loop: Header=BB556_55 Depth=1
	v_add_u32_e32 v22, s25, v42
	ds_write_b64 v22, v[10:11]
; %bb.63:                               ;   in Loop: Header=BB556_55 Depth=1
	s_or_b64 exec, exec, s[20:21]
	v_add_u32_e32 v22, s23, v39
	v_cmp_gt_u32_e64 s[0:1], s24, v22
	s_and_saveexec_b64 s[20:21], s[0:1]
; %bb.64:                               ;   in Loop: Header=BB556_55 Depth=1
	v_add_u32_e32 v22, s25, v45
	ds_write_b64 v22, v[16:17]
; %bb.65:                               ;   in Loop: Header=BB556_55 Depth=1
	s_or_b64 exec, exec, s[20:21]
	v_add_u32_e32 v22, s23, v43
	v_cmp_gt_u32_e64 s[0:1], s24, v22
	s_and_saveexec_b64 s[20:21], s[0:1]
; %bb.66:                               ;   in Loop: Header=BB556_55 Depth=1
	v_add_u32_e32 v22, s25, v44
	ds_write_b64 v22, v[14:15]
; %bb.67:                               ;   in Loop: Header=BB556_55 Depth=1
	s_or_b64 exec, exec, s[20:21]
	v_add_u32_e32 v22, s23, v41
	v_cmp_gt_u32_e64 s[0:1], s24, v22
	s_and_saveexec_b64 s[20:21], s[0:1]
; %bb.68:                               ;   in Loop: Header=BB556_55 Depth=1
	v_add_u32_e32 v22, s25, v31
	ds_write_b64 v22, v[20:21]
; %bb.69:                               ;   in Loop: Header=BB556_55 Depth=1
	s_or_b64 exec, exec, s[20:21]
	v_add_u32_e32 v22, s23, v27
	v_cmp_gt_u32_e64 s[0:1], s24, v22
	s_and_saveexec_b64 s[20:21], s[0:1]
; %bb.70:                               ;   in Loop: Header=BB556_55 Depth=1
	v_add_u32_e32 v22, s25, v26
	ds_write_b64 v22, v[18:19]
; %bb.71:                               ;   in Loop: Header=BB556_55 Depth=1
	s_or_b64 exec, exec, s[20:21]
	v_cmp_gt_u32_e64 s[0:1], s5, v1
	s_waitcnt lgkmcnt(0)
	s_barrier
	s_and_saveexec_b64 s[20:21], s[0:1]
	s_cbranch_execz .LBB556_73
; %bb.72:                               ;   in Loop: Header=BB556_55 Depth=1
	ds_read_b64 v[48:49], v47 offset:1024
	s_waitcnt lgkmcnt(0)
	v_lshrrev_b64 v[50:51], s52, v[48:49]
	v_and_b32_e32 v52, s56, v50
	v_lshlrev_b32_e32 v22, 2, v52
	ds_read_b32 v22, v22
	ds_write_b32 v5, v52
	s_waitcnt lgkmcnt(1)
	v_add_u32_e32 v22, v1, v22
	v_lshl_add_u64 v[50:51], v[22:23], 3, s[42:43]
	global_store_dwordx2 v[50:51], v[48:49], off
.LBB556_73:                             ;   in Loop: Header=BB556_55 Depth=1
	s_or_b64 exec, exec, s[20:21]
	v_add_u32_e32 v22, 0x400, v1
	v_cmp_gt_u32_e64 s[0:1], s5, v22
	s_and_saveexec_b64 s[20:21], s[0:1]
	s_cbranch_execz .LBB556_54
; %bb.74:                               ;   in Loop: Header=BB556_55 Depth=1
	ds_read_b64 v[48:49], v47 offset:9216
	s_waitcnt lgkmcnt(0)
	v_lshrrev_b64 v[50:51], s52, v[48:49]
	v_and_b32_e32 v52, s56, v50
	v_lshlrev_b32_e32 v22, 2, v52
	ds_read_b32 v22, v22
	ds_write_b32 v5, v52 offset:4
	s_waitcnt lgkmcnt(1)
	v_add3_u32 v22, v1, v22, s22
	v_lshl_add_u64 v[50:51], v[22:23], 3, s[42:43]
	global_store_dwordx2 v[50:51], v[48:49], off
	s_branch .LBB556_54
.LBB556_75:
	s_add_u32 s0, s44, s54
	s_addc_u32 s1, s45, s55
	v_mov_b32_e32 v1, 0
	v_lshl_add_u64 v[6:7], s[0:1], 0, v[0:1]
	v_mov_b32_e32 v5, v1
	v_lshl_add_u64 v[18:19], v[6:7], 0, v[4:5]
                                        ; implicit-def: $vgpr0_vgpr1
	s_and_saveexec_b64 s[0:1], vcc
	s_cbranch_execz .LBB556_83
; %bb.76:
	global_load_dwordx2 v[0:1], v[18:19], off
	s_or_b64 exec, exec, s[0:1]
                                        ; implicit-def: $vgpr4_vgpr5
	s_and_saveexec_b64 s[0:1], s[16:17]
	s_cbranch_execnz .LBB556_84
.LBB556_77:
	s_or_b64 exec, exec, s[0:1]
                                        ; implicit-def: $vgpr6_vgpr7
	s_and_saveexec_b64 s[0:1], s[26:27]
	s_cbranch_execz .LBB556_85
.LBB556_78:
	global_load_dwordx2 v[6:7], v[18:19], off offset:1024
	s_or_b64 exec, exec, s[0:1]
                                        ; implicit-def: $vgpr8_vgpr9
	s_and_saveexec_b64 s[0:1], s[6:7]
	s_cbranch_execnz .LBB556_86
.LBB556_79:
	s_or_b64 exec, exec, s[0:1]
                                        ; implicit-def: $vgpr10_vgpr11
	s_and_saveexec_b64 s[0:1], s[8:9]
	s_cbranch_execz .LBB556_87
.LBB556_80:
	global_load_dwordx2 v[10:11], v[18:19], off offset:2048
	s_or_b64 exec, exec, s[0:1]
                                        ; implicit-def: $vgpr12_vgpr13
	s_and_saveexec_b64 s[0:1], s[10:11]
	s_cbranch_execnz .LBB556_88
.LBB556_81:
	s_or_b64 exec, exec, s[0:1]
                                        ; implicit-def: $vgpr14_vgpr15
	s_and_saveexec_b64 s[0:1], s[12:13]
	s_cbranch_execz .LBB556_89
.LBB556_82:
	global_load_dwordx2 v[14:15], v[18:19], off offset:3072
	s_or_b64 exec, exec, s[0:1]
                                        ; implicit-def: $vgpr16_vgpr17
	s_and_saveexec_b64 s[0:1], s[14:15]
	s_cbranch_execnz .LBB556_90
	s_branch .LBB556_91
.LBB556_83:
	s_or_b64 exec, exec, s[0:1]
                                        ; implicit-def: $vgpr4_vgpr5
	s_and_saveexec_b64 s[0:1], s[16:17]
	s_cbranch_execz .LBB556_77
.LBB556_84:
	global_load_dwordx2 v[4:5], v[18:19], off offset:512
	s_or_b64 exec, exec, s[0:1]
                                        ; implicit-def: $vgpr6_vgpr7
	s_and_saveexec_b64 s[0:1], s[26:27]
	s_cbranch_execnz .LBB556_78
.LBB556_85:
	s_or_b64 exec, exec, s[0:1]
                                        ; implicit-def: $vgpr8_vgpr9
	s_and_saveexec_b64 s[0:1], s[6:7]
	s_cbranch_execz .LBB556_79
.LBB556_86:
	global_load_dwordx2 v[8:9], v[18:19], off offset:1536
	s_or_b64 exec, exec, s[0:1]
                                        ; implicit-def: $vgpr10_vgpr11
	s_and_saveexec_b64 s[0:1], s[8:9]
	s_cbranch_execnz .LBB556_80
.LBB556_87:
	s_or_b64 exec, exec, s[0:1]
                                        ; implicit-def: $vgpr12_vgpr13
	s_and_saveexec_b64 s[0:1], s[10:11]
	s_cbranch_execz .LBB556_81
.LBB556_88:
	global_load_dwordx2 v[12:13], v[18:19], off offset:2560
	s_or_b64 exec, exec, s[0:1]
                                        ; implicit-def: $vgpr14_vgpr15
	s_and_saveexec_b64 s[0:1], s[12:13]
	s_cbranch_execnz .LBB556_82
.LBB556_89:
	s_or_b64 exec, exec, s[0:1]
                                        ; implicit-def: $vgpr16_vgpr17
	s_and_saveexec_b64 s[0:1], s[14:15]
	s_cbranch_execz .LBB556_91
.LBB556_90:
	global_load_dwordx2 v[16:17], v[18:19], off offset:3584
.LBB556_91:
	s_or_b64 exec, exec, s[0:1]
	s_mov_b32 s6, 0
	s_movk_i32 s7, 0x800
	v_mov_b32_e32 v19, 0
	s_movk_i32 s8, 0x400
	s_mov_b32 s9, 0
	v_mov_b32_e32 v20, v2
	s_waitcnt vmcnt(0)
	s_branch .LBB556_93
.LBB556_92:                             ;   in Loop: Header=BB556_93 Depth=1
	s_or_b64 exec, exec, s[0:1]
	s_addk_i32 s9, 0xc000
	s_addk_i32 s6, 0xf800
	v_add_u32_e32 v20, 0x800, v20
	s_cmp_eq_u32 s9, 0xffff0000
	v_add_u32_e32 v25, 8, v25
	s_barrier
	s_cbranch_scc1 .LBB556_113
.LBB556_93:                             ; =>This Inner Loop Header: Depth=1
	v_add_u32_e32 v18, s6, v24
	v_cmp_gt_u32_e32 vcc, s7, v18
	s_and_saveexec_b64 s[0:1], vcc
; %bb.94:                               ;   in Loop: Header=BB556_93 Depth=1
	v_add_u32_e32 v18, s9, v46
	ds_write_b64 v18, v[0:1]
; %bb.95:                               ;   in Loop: Header=BB556_93 Depth=1
	s_or_b64 exec, exec, s[0:1]
	v_add_u32_e32 v18, s6, v32
	v_cmp_gt_u32_e32 vcc, s7, v18
	s_and_saveexec_b64 s[0:1], vcc
; %bb.96:                               ;   in Loop: Header=BB556_93 Depth=1
	v_add_u32_e32 v18, s9, v35
	ds_write_b64 v18, v[4:5]
; %bb.97:                               ;   in Loop: Header=BB556_93 Depth=1
	s_or_b64 exec, exec, s[0:1]
	;; [unrolled: 8-line block ×3, first 2 shown]
	v_add_u32_e32 v18, s6, v36
	v_cmp_gt_u32_e32 vcc, s7, v18
	s_and_saveexec_b64 s[0:1], vcc
; %bb.100:                              ;   in Loop: Header=BB556_93 Depth=1
	v_add_u32_e32 v18, s9, v42
	ds_write_b64 v18, v[8:9]
; %bb.101:                              ;   in Loop: Header=BB556_93 Depth=1
	s_or_b64 exec, exec, s[0:1]
	v_add_u32_e32 v18, s6, v39
	v_cmp_gt_u32_e32 vcc, s7, v18
	s_and_saveexec_b64 s[0:1], vcc
; %bb.102:                              ;   in Loop: Header=BB556_93 Depth=1
	v_add_u32_e32 v18, s9, v45
	ds_write_b64 v18, v[10:11]
; %bb.103:                              ;   in Loop: Header=BB556_93 Depth=1
	s_or_b64 exec, exec, s[0:1]
	;; [unrolled: 8-line block ×5, first 2 shown]
	v_cmp_gt_u32_e32 vcc, s5, v20
	s_waitcnt lgkmcnt(0)
	s_barrier
	s_and_saveexec_b64 s[0:1], vcc
	s_cbranch_execz .LBB556_111
; %bb.110:                              ;   in Loop: Header=BB556_93 Depth=1
	ds_read_b32 v18, v25
	s_waitcnt lgkmcnt(0)
	v_lshlrev_b32_e32 v18, 2, v18
	ds_read_b32 v18, v18
	ds_read_b64 v[22:23], v47 offset:1024
	s_waitcnt lgkmcnt(1)
	v_add_u32_e32 v18, v20, v18
	v_lshl_add_u64 v[48:49], v[18:19], 3, s[46:47]
	s_waitcnt lgkmcnt(0)
	global_store_dwordx2 v[48:49], v[22:23], off
.LBB556_111:                            ;   in Loop: Header=BB556_93 Depth=1
	s_or_b64 exec, exec, s[0:1]
	v_add_u32_e32 v18, 0x400, v20
	v_cmp_gt_u32_e32 vcc, s5, v18
	s_and_saveexec_b64 s[0:1], vcc
	s_cbranch_execz .LBB556_92
; %bb.112:                              ;   in Loop: Header=BB556_93 Depth=1
	ds_read_b32 v18, v25 offset:4
	s_waitcnt lgkmcnt(0)
	v_lshlrev_b32_e32 v18, 2, v18
	ds_read_b32 v18, v18
	ds_read_b64 v[22:23], v47 offset:9216
	s_waitcnt lgkmcnt(1)
	v_add3_u32 v18, v20, v18, s8
	v_lshl_add_u64 v[48:49], v[18:19], 3, s[46:47]
	s_waitcnt lgkmcnt(0)
	global_store_dwordx2 v[48:49], v[22:23], off
	s_branch .LBB556_92
.LBB556_113:
	s_add_i32 s33, s33, -1
	s_cmp_eq_u32 s4, s33
	s_cselect_b64 s[0:1], -1, 0
	s_xor_b64 s[6:7], s[18:19], -1
	s_and_b64 s[6:7], s[6:7], s[0:1]
	s_and_saveexec_b64 s[0:1], s[6:7]
	s_cbranch_execz .LBB556_115
; %bb.114:
	ds_read_b32 v0, v40
	s_waitcnt lgkmcnt(0)
	v_add3_u32 v0, v34, v37, v0
	global_store_dword v40, v0, s[50:51]
.LBB556_115:
	s_or_b64 exec, exec, s[0:1]
	s_mov_b64 s[6:7], 0
.LBB556_116:
	s_and_b64 vcc, exec, s[6:7]
	s_cbranch_vccz .LBB556_191
; %bb.117:
	s_lshl_b32 s0, s4, 13
	s_mov_b32 s1, 0
	s_lshl_b64 s[10:11], s[0:1], 3
	v_mbcnt_hi_u32_b32 v26, -1, v30
	s_add_u32 s0, s40, s10
	v_and_b32_e32 v0, 63, v26
	v_mov_b32_e32 v23, 0
	s_addc_u32 s1, s41, s11
	v_and_b32_e32 v4, 0x1e00, v29
	v_lshlrev_b32_e32 v0, 3, v0
	v_mov_b32_e32 v1, v23
	v_lshl_add_u64 v[6:7], s[0:1], 0, v[0:1]
	v_lshlrev_b32_e32 v4, 3, v4
	v_mov_b32_e32 v5, v23
	v_lshl_add_u64 v[24:25], v[6:7], 0, v[4:5]
	global_load_dwordx2 v[6:7], v[24:25], off
	s_load_dword s0, s[2:3], 0x64
	s_load_dword s5, s[2:3], 0x58
	s_add_u32 s1, s2, 0x58
	s_addc_u32 s2, s3, 0
	v_mul_u32_u24_e32 v5, 20, v2
	s_waitcnt lgkmcnt(0)
	s_lshr_b32 s3, s0, 16
	s_cmp_lt_u32 s4, s5
	s_cselect_b32 s0, 12, 18
	s_add_u32 s0, s1, s0
	s_addc_u32 s1, s2, 0
	global_load_ushort v1, v23, s[0:1]
	ds_write2_b32 v5, v23, v23 offset0:16 offset1:17
	ds_write2_b32 v5, v23, v23 offset0:18 offset1:19
	ds_write_b32 v5, v23 offset:80
	global_load_dwordx2 v[8:9], v[24:25], off offset:512
	global_load_dwordx2 v[10:11], v[24:25], off offset:1024
	;; [unrolled: 1-line block ×7, first 2 shown]
	s_lshl_b32 s0, -1, s53
	v_mov_b32_e32 v30, v23
	v_mad_u32_u24 v3, v28, s3, v3
	v_mov_b32_e32 v32, v23
	s_not_b32 s14, s0
	v_mov_b32_e32 v34, v23
	v_mov_b32_e32 v36, v23
	;; [unrolled: 1-line block ×3, first 2 shown]
	s_movk_i32 s12, 0x44
	s_waitcnt lgkmcnt(0)
	s_barrier
	s_waitcnt vmcnt(8)
	; wave barrier
	v_lshrrev_b64 v[24:25], s52, v[6:7]
	v_bitop3_b32 v27, v24, s0, v24 bitop3:0x30
	v_and_b32_e32 v22, 1, v27
	v_lshlrev_b32_e32 v31, 30, v27
	v_lshlrev_b32_e32 v33, 29, v27
	v_lshl_add_u64 v[24:25], v[22:23], 0, -1
	v_cmp_ne_u32_e32 vcc, 0, v22
	v_not_b32_e32 v22, v31
	v_lshlrev_b32_e32 v35, 28, v27
	v_cmp_gt_i64_e64 s[0:1], 0, v[30:31]
	v_not_b32_e32 v30, v33
	s_waitcnt vmcnt(7)
	v_mad_u64_u32 v[28:29], s[16:17], v3, v1, v[2:3]
	v_xor_b32_e32 v1, vcc_hi, v25
	v_xor_b32_e32 v3, vcc_lo, v24
	v_ashrrev_i32_e32 v22, 31, v22
	v_lshlrev_b32_e32 v37, 27, v27
	v_cmp_gt_i64_e64 s[2:3], 0, v[32:33]
	v_not_b32_e32 v31, v35
	v_ashrrev_i32_e32 v24, 31, v30
	v_and_b32_e32 v1, exec_hi, v1
	v_and_b32_e32 v3, exec_lo, v3
	v_xor_b32_e32 v30, s1, v22
	v_xor_b32_e32 v22, s0, v22
	v_lshlrev_b32_e32 v39, 26, v27
	v_cmp_gt_i64_e64 s[6:7], 0, v[34:35]
	v_not_b32_e32 v32, v37
	v_ashrrev_i32_e32 v25, 31, v31
	v_xor_b32_e32 v31, s3, v24
	v_xor_b32_e32 v24, s2, v24
	v_and_b32_e32 v1, v1, v30
	v_and_b32_e32 v3, v3, v22
	v_cmp_gt_i64_e64 s[8:9], 0, v[36:37]
	v_ashrrev_i32_e32 v29, 31, v32
	v_xor_b32_e32 v32, s7, v25
	v_xor_b32_e32 v25, s6, v25
	v_and_b32_e32 v1, v1, v31
	v_and_b32_e32 v3, v3, v24
	v_not_b32_e32 v22, v39
	v_xor_b32_e32 v33, s9, v29
	v_xor_b32_e32 v29, s8, v29
	v_and_b32_e32 v1, v1, v32
	v_and_b32_e32 v3, v3, v25
	v_cmp_gt_i64_e32 vcc, 0, v[38:39]
	v_ashrrev_i32_e32 v22, 31, v22
	v_and_b32_e32 v1, v1, v33
	v_and_b32_e32 v3, v3, v29
	v_xor_b32_e32 v24, vcc_hi, v22
	v_xor_b32_e32 v22, vcc_lo, v22
	v_lshlrev_b32_e32 v25, 25, v27
	v_and_b32_e32 v1, v1, v24
	v_and_b32_e32 v3, v3, v22
	v_mov_b32_e32 v24, v23
	v_not_b32_e32 v22, v25
	v_cmp_gt_i64_e32 vcc, 0, v[24:25]
	v_ashrrev_i32_e32 v22, 31, v22
	v_lshlrev_b32_e32 v25, 24, v27
	v_xor_b32_e32 v24, vcc_hi, v22
	v_xor_b32_e32 v22, vcc_lo, v22
	v_and_b32_e32 v1, v1, v24
	v_and_b32_e32 v3, v3, v22
	v_mov_b32_e32 v24, v23
	v_not_b32_e32 v22, v25
	v_cmp_gt_i64_e32 vcc, 0, v[24:25]
	v_ashrrev_i32_e32 v22, 31, v22
	v_lshrrev_b32_e32 v28, 4, v28
	v_xor_b32_e32 v24, vcc_hi, v22
	v_xor_b32_e32 v22, vcc_lo, v22
	v_and_b32_e32 v25, v1, v24
	v_and_b32_e32 v24, v3, v22
	v_mbcnt_lo_u32_b32 v1, v24, 0
	v_mbcnt_hi_u32_b32 v3, v25, v1
	v_mul_lo_u32 v40, v27, s12
	v_and_b32_e32 v35, 0xffffffc, v28
	v_cmp_eq_u32_e32 vcc, 0, v3
	v_cmp_ne_u64_e64 s[0:1], 0, v[24:25]
	s_and_b64 s[2:3], s[0:1], vcc
	v_add_u32_e32 v27, v35, v40
	s_and_saveexec_b64 s[0:1], s[2:3]
; %bb.118:
	v_bcnt_u32_b32 v1, v24, 0
	v_bcnt_u32_b32 v1, v25, v1
	ds_write_b32 v27, v1 offset:64
; %bb.119:
	s_or_b64 exec, exec, s[0:1]
	s_waitcnt vmcnt(6)
	v_lshrrev_b64 v[24:25], s52, v[8:9]
	v_and_b32_e32 v28, s14, v24
	v_and_b32_e32 v22, 1, v28
	v_lshl_add_u64 v[24:25], v[22:23], 0, -1
	v_cmp_ne_u32_e32 vcc, 0, v22
	v_mul_lo_u32 v1, v28, s12
	v_add_u32_e32 v30, v35, v1
	v_xor_b32_e32 v24, vcc_lo, v24
	v_xor_b32_e32 v22, vcc_hi, v25
	v_and_b32_e32 v29, exec_lo, v24
	v_lshlrev_b32_e32 v25, 30, v28
	v_mov_b32_e32 v24, v23
	v_cmp_gt_i64_e32 vcc, 0, v[24:25]
	v_not_b32_e32 v24, v25
	v_ashrrev_i32_e32 v24, 31, v24
	v_and_b32_e32 v22, exec_hi, v22
	v_xor_b32_e32 v25, vcc_hi, v24
	v_xor_b32_e32 v24, vcc_lo, v24
	v_and_b32_e32 v22, v22, v25
	v_and_b32_e32 v29, v29, v24
	v_lshlrev_b32_e32 v25, 29, v28
	v_mov_b32_e32 v24, v23
	v_cmp_gt_i64_e32 vcc, 0, v[24:25]
	v_not_b32_e32 v24, v25
	v_ashrrev_i32_e32 v24, 31, v24
	v_xor_b32_e32 v25, vcc_hi, v24
	v_xor_b32_e32 v24, vcc_lo, v24
	v_and_b32_e32 v22, v22, v25
	v_and_b32_e32 v29, v29, v24
	v_lshlrev_b32_e32 v25, 28, v28
	v_mov_b32_e32 v24, v23
	v_cmp_gt_i64_e32 vcc, 0, v[24:25]
	v_not_b32_e32 v24, v25
	v_ashrrev_i32_e32 v24, 31, v24
	;; [unrolled: 9-line block ×5, first 2 shown]
	v_xor_b32_e32 v25, vcc_hi, v24
	v_xor_b32_e32 v24, vcc_lo, v24
	v_and_b32_e32 v22, v22, v25
	v_lshlrev_b32_e32 v25, 24, v28
	v_and_b32_e32 v29, v29, v24
	v_mov_b32_e32 v24, v23
	v_not_b32_e32 v23, v25
	v_cmp_gt_i64_e32 vcc, 0, v[24:25]
	v_ashrrev_i32_e32 v23, 31, v23
	s_nop 0
	v_xor_b32_e32 v24, vcc_hi, v23
	v_xor_b32_e32 v25, vcc_lo, v23
	; wave barrier
	ds_read_b32 v1, v30 offset:64
	v_and_b32_e32 v23, v22, v24
	v_and_b32_e32 v22, v29, v25
	v_mbcnt_lo_u32_b32 v24, v22, 0
	v_mbcnt_hi_u32_b32 v28, v23, v24
	v_cmp_eq_u32_e32 vcc, 0, v28
	v_cmp_ne_u64_e64 s[0:1], 0, v[22:23]
	s_and_b64 s[2:3], s[0:1], vcc
	; wave barrier
	s_and_saveexec_b64 s[0:1], s[2:3]
	s_cbranch_execz .LBB556_121
; %bb.120:
	v_bcnt_u32_b32 v22, v22, 0
	v_bcnt_u32_b32 v22, v23, v22
	s_waitcnt lgkmcnt(0)
	v_add_u32_e32 v22, v1, v22
	ds_write_b32 v30, v22 offset:64
.LBB556_121:
	s_or_b64 exec, exec, s[0:1]
	s_waitcnt vmcnt(5)
	v_lshrrev_b64 v[22:23], s52, v[10:11]
	v_and_b32_e32 v31, s14, v22
	s_movk_i32 s2, 0x44
	v_mul_lo_u32 v22, v31, s2
	v_add_u32_e32 v33, v35, v22
	v_and_b32_e32 v22, 1, v31
	v_mov_b32_e32 v23, 0
	v_lshl_add_u64 v[24:25], v[22:23], 0, -1
	v_cmp_ne_u32_e32 vcc, 0, v22
	; wave barrier
	s_nop 1
	v_xor_b32_e32 v24, vcc_lo, v24
	v_xor_b32_e32 v22, vcc_hi, v25
	v_and_b32_e32 v32, exec_lo, v24
	v_lshlrev_b32_e32 v25, 30, v31
	v_mov_b32_e32 v24, v23
	v_cmp_gt_i64_e32 vcc, 0, v[24:25]
	v_not_b32_e32 v24, v25
	v_ashrrev_i32_e32 v24, 31, v24
	v_and_b32_e32 v22, exec_hi, v22
	v_xor_b32_e32 v25, vcc_hi, v24
	v_xor_b32_e32 v24, vcc_lo, v24
	v_and_b32_e32 v22, v22, v25
	v_and_b32_e32 v32, v32, v24
	v_lshlrev_b32_e32 v25, 29, v31
	v_mov_b32_e32 v24, v23
	v_cmp_gt_i64_e32 vcc, 0, v[24:25]
	v_not_b32_e32 v24, v25
	v_ashrrev_i32_e32 v24, 31, v24
	v_xor_b32_e32 v25, vcc_hi, v24
	v_xor_b32_e32 v24, vcc_lo, v24
	v_and_b32_e32 v22, v22, v25
	v_and_b32_e32 v32, v32, v24
	v_lshlrev_b32_e32 v25, 28, v31
	v_mov_b32_e32 v24, v23
	v_cmp_gt_i64_e32 vcc, 0, v[24:25]
	v_not_b32_e32 v24, v25
	v_ashrrev_i32_e32 v24, 31, v24
	;; [unrolled: 9-line block ×6, first 2 shown]
	v_xor_b32_e32 v25, vcc_hi, v24
	v_xor_b32_e32 v24, vcc_lo, v24
	ds_read_b32 v29, v33 offset:64
	v_and_b32_e32 v24, v32, v24
	v_and_b32_e32 v25, v22, v25
	v_mbcnt_lo_u32_b32 v22, v24, 0
	v_mbcnt_hi_u32_b32 v31, v25, v22
	v_cmp_eq_u32_e32 vcc, 0, v31
	v_cmp_ne_u64_e64 s[0:1], 0, v[24:25]
	s_and_b64 s[6:7], s[0:1], vcc
	; wave barrier
	s_and_saveexec_b64 s[0:1], s[6:7]
	s_cbranch_execz .LBB556_123
; %bb.122:
	v_bcnt_u32_b32 v22, v24, 0
	v_bcnt_u32_b32 v22, v25, v22
	s_waitcnt lgkmcnt(0)
	v_add_u32_e32 v22, v29, v22
	ds_write_b32 v33, v22 offset:64
.LBB556_123:
	s_or_b64 exec, exec, s[0:1]
	s_waitcnt vmcnt(4)
	v_lshrrev_b64 v[24:25], s52, v[12:13]
	v_and_b32_e32 v34, s14, v24
	v_mul_lo_u32 v22, v34, s2
	v_add_u32_e32 v37, v35, v22
	v_and_b32_e32 v22, 1, v34
	v_lshl_add_u64 v[24:25], v[22:23], 0, -1
	v_cmp_ne_u32_e32 vcc, 0, v22
	; wave barrier
	s_nop 1
	v_xor_b32_e32 v24, vcc_lo, v24
	v_xor_b32_e32 v22, vcc_hi, v25
	v_and_b32_e32 v36, exec_lo, v24
	v_lshlrev_b32_e32 v25, 30, v34
	v_mov_b32_e32 v24, v23
	v_cmp_gt_i64_e32 vcc, 0, v[24:25]
	v_not_b32_e32 v24, v25
	v_ashrrev_i32_e32 v24, 31, v24
	v_and_b32_e32 v22, exec_hi, v22
	v_xor_b32_e32 v25, vcc_hi, v24
	v_xor_b32_e32 v24, vcc_lo, v24
	v_and_b32_e32 v22, v22, v25
	v_and_b32_e32 v36, v36, v24
	v_lshlrev_b32_e32 v25, 29, v34
	v_mov_b32_e32 v24, v23
	v_cmp_gt_i64_e32 vcc, 0, v[24:25]
	v_not_b32_e32 v24, v25
	v_ashrrev_i32_e32 v24, 31, v24
	v_xor_b32_e32 v25, vcc_hi, v24
	v_xor_b32_e32 v24, vcc_lo, v24
	v_and_b32_e32 v22, v22, v25
	v_and_b32_e32 v36, v36, v24
	v_lshlrev_b32_e32 v25, 28, v34
	v_mov_b32_e32 v24, v23
	v_cmp_gt_i64_e32 vcc, 0, v[24:25]
	v_not_b32_e32 v24, v25
	v_ashrrev_i32_e32 v24, 31, v24
	;; [unrolled: 9-line block ×5, first 2 shown]
	v_xor_b32_e32 v25, vcc_hi, v24
	v_xor_b32_e32 v24, vcc_lo, v24
	v_and_b32_e32 v22, v22, v25
	v_lshlrev_b32_e32 v25, 24, v34
	v_and_b32_e32 v36, v36, v24
	v_mov_b32_e32 v24, v23
	v_not_b32_e32 v23, v25
	v_cmp_gt_i64_e32 vcc, 0, v[24:25]
	v_ashrrev_i32_e32 v23, 31, v23
	ds_read_b32 v32, v37 offset:64
	v_xor_b32_e32 v24, vcc_hi, v23
	v_xor_b32_e32 v25, vcc_lo, v23
	v_and_b32_e32 v23, v22, v24
	v_and_b32_e32 v22, v36, v25
	v_mbcnt_lo_u32_b32 v24, v22, 0
	v_mbcnt_hi_u32_b32 v34, v23, v24
	v_cmp_eq_u32_e32 vcc, 0, v34
	v_cmp_ne_u64_e64 s[0:1], 0, v[22:23]
	s_and_b64 s[2:3], s[0:1], vcc
	; wave barrier
	s_and_saveexec_b64 s[0:1], s[2:3]
	s_cbranch_execz .LBB556_125
; %bb.124:
	v_bcnt_u32_b32 v22, v22, 0
	v_bcnt_u32_b32 v22, v23, v22
	s_waitcnt lgkmcnt(0)
	v_add_u32_e32 v22, v32, v22
	ds_write_b32 v37, v22 offset:64
.LBB556_125:
	s_or_b64 exec, exec, s[0:1]
	s_waitcnt vmcnt(3)
	v_lshrrev_b64 v[22:23], s52, v[14:15]
	v_and_b32_e32 v38, s14, v22
	s_movk_i32 s2, 0x44
	v_mul_lo_u32 v22, v38, s2
	v_add_u32_e32 v40, v35, v22
	v_and_b32_e32 v22, 1, v38
	v_mov_b32_e32 v23, 0
	v_lshl_add_u64 v[24:25], v[22:23], 0, -1
	v_cmp_ne_u32_e32 vcc, 0, v22
	; wave barrier
	s_nop 1
	v_xor_b32_e32 v24, vcc_lo, v24
	v_xor_b32_e32 v22, vcc_hi, v25
	v_and_b32_e32 v39, exec_lo, v24
	v_lshlrev_b32_e32 v25, 30, v38
	v_mov_b32_e32 v24, v23
	v_cmp_gt_i64_e32 vcc, 0, v[24:25]
	v_not_b32_e32 v24, v25
	v_ashrrev_i32_e32 v24, 31, v24
	v_and_b32_e32 v22, exec_hi, v22
	v_xor_b32_e32 v25, vcc_hi, v24
	v_xor_b32_e32 v24, vcc_lo, v24
	v_and_b32_e32 v22, v22, v25
	v_and_b32_e32 v39, v39, v24
	v_lshlrev_b32_e32 v25, 29, v38
	v_mov_b32_e32 v24, v23
	v_cmp_gt_i64_e32 vcc, 0, v[24:25]
	v_not_b32_e32 v24, v25
	v_ashrrev_i32_e32 v24, 31, v24
	v_xor_b32_e32 v25, vcc_hi, v24
	v_xor_b32_e32 v24, vcc_lo, v24
	v_and_b32_e32 v22, v22, v25
	v_and_b32_e32 v39, v39, v24
	v_lshlrev_b32_e32 v25, 28, v38
	v_mov_b32_e32 v24, v23
	v_cmp_gt_i64_e32 vcc, 0, v[24:25]
	v_not_b32_e32 v24, v25
	v_ashrrev_i32_e32 v24, 31, v24
	;; [unrolled: 9-line block ×6, first 2 shown]
	v_xor_b32_e32 v25, vcc_hi, v24
	v_xor_b32_e32 v24, vcc_lo, v24
	ds_read_b32 v36, v40 offset:64
	v_and_b32_e32 v24, v39, v24
	v_and_b32_e32 v25, v22, v25
	v_mbcnt_lo_u32_b32 v22, v24, 0
	v_mbcnt_hi_u32_b32 v38, v25, v22
	v_cmp_eq_u32_e32 vcc, 0, v38
	v_cmp_ne_u64_e64 s[0:1], 0, v[24:25]
	s_and_b64 s[6:7], s[0:1], vcc
	; wave barrier
	s_and_saveexec_b64 s[0:1], s[6:7]
	s_cbranch_execz .LBB556_127
; %bb.126:
	v_bcnt_u32_b32 v22, v24, 0
	v_bcnt_u32_b32 v22, v25, v22
	s_waitcnt lgkmcnt(0)
	v_add_u32_e32 v22, v36, v22
	ds_write_b32 v40, v22 offset:64
.LBB556_127:
	s_or_b64 exec, exec, s[0:1]
	s_waitcnt vmcnt(2)
	v_lshrrev_b64 v[24:25], s52, v[16:17]
	v_and_b32_e32 v41, s14, v24
	v_mul_lo_u32 v22, v41, s2
	v_add_u32_e32 v43, v35, v22
	v_and_b32_e32 v22, 1, v41
	v_lshl_add_u64 v[24:25], v[22:23], 0, -1
	v_cmp_ne_u32_e32 vcc, 0, v22
	; wave barrier
	s_nop 1
	v_xor_b32_e32 v24, vcc_lo, v24
	v_xor_b32_e32 v22, vcc_hi, v25
	v_and_b32_e32 v42, exec_lo, v24
	v_lshlrev_b32_e32 v25, 30, v41
	v_mov_b32_e32 v24, v23
	v_cmp_gt_i64_e32 vcc, 0, v[24:25]
	v_not_b32_e32 v24, v25
	v_ashrrev_i32_e32 v24, 31, v24
	v_and_b32_e32 v22, exec_hi, v22
	v_xor_b32_e32 v25, vcc_hi, v24
	v_xor_b32_e32 v24, vcc_lo, v24
	v_and_b32_e32 v22, v22, v25
	v_and_b32_e32 v42, v42, v24
	v_lshlrev_b32_e32 v25, 29, v41
	v_mov_b32_e32 v24, v23
	v_cmp_gt_i64_e32 vcc, 0, v[24:25]
	v_not_b32_e32 v24, v25
	v_ashrrev_i32_e32 v24, 31, v24
	v_xor_b32_e32 v25, vcc_hi, v24
	v_xor_b32_e32 v24, vcc_lo, v24
	v_and_b32_e32 v22, v22, v25
	v_and_b32_e32 v42, v42, v24
	v_lshlrev_b32_e32 v25, 28, v41
	v_mov_b32_e32 v24, v23
	v_cmp_gt_i64_e32 vcc, 0, v[24:25]
	v_not_b32_e32 v24, v25
	v_ashrrev_i32_e32 v24, 31, v24
	v_xor_b32_e32 v25, vcc_hi, v24
	v_xor_b32_e32 v24, vcc_lo, v24
	v_and_b32_e32 v22, v22, v25
	v_and_b32_e32 v42, v42, v24
	v_lshlrev_b32_e32 v25, 27, v41
	v_mov_b32_e32 v24, v23
	v_cmp_gt_i64_e32 vcc, 0, v[24:25]
	v_not_b32_e32 v24, v25
	v_ashrrev_i32_e32 v24, 31, v24
	v_xor_b32_e32 v25, vcc_hi, v24
	v_xor_b32_e32 v24, vcc_lo, v24
	v_and_b32_e32 v22, v22, v25
	v_and_b32_e32 v42, v42, v24
	v_lshlrev_b32_e32 v25, 26, v41
	v_mov_b32_e32 v24, v23
	v_cmp_gt_i64_e32 vcc, 0, v[24:25]
	v_not_b32_e32 v24, v25
	v_ashrrev_i32_e32 v24, 31, v24
	v_xor_b32_e32 v25, vcc_hi, v24
	v_xor_b32_e32 v24, vcc_lo, v24
	v_and_b32_e32 v22, v22, v25
	v_and_b32_e32 v42, v42, v24
	v_lshlrev_b32_e32 v25, 25, v41
	v_mov_b32_e32 v24, v23
	v_cmp_gt_i64_e32 vcc, 0, v[24:25]
	v_not_b32_e32 v24, v25
	v_ashrrev_i32_e32 v24, 31, v24
	v_xor_b32_e32 v25, vcc_hi, v24
	v_xor_b32_e32 v24, vcc_lo, v24
	v_and_b32_e32 v22, v22, v25
	v_lshlrev_b32_e32 v25, 24, v41
	v_and_b32_e32 v42, v42, v24
	v_mov_b32_e32 v24, v23
	v_not_b32_e32 v23, v25
	v_cmp_gt_i64_e32 vcc, 0, v[24:25]
	v_ashrrev_i32_e32 v23, 31, v23
	ds_read_b32 v39, v43 offset:64
	v_xor_b32_e32 v24, vcc_hi, v23
	v_xor_b32_e32 v25, vcc_lo, v23
	v_and_b32_e32 v23, v22, v24
	v_and_b32_e32 v22, v42, v25
	v_mbcnt_lo_u32_b32 v24, v22, 0
	v_mbcnt_hi_u32_b32 v41, v23, v24
	v_cmp_eq_u32_e32 vcc, 0, v41
	v_cmp_ne_u64_e64 s[0:1], 0, v[22:23]
	s_and_b64 s[2:3], s[0:1], vcc
	; wave barrier
	s_and_saveexec_b64 s[0:1], s[2:3]
	s_cbranch_execz .LBB556_129
; %bb.128:
	v_bcnt_u32_b32 v22, v22, 0
	v_bcnt_u32_b32 v22, v23, v22
	s_waitcnt lgkmcnt(0)
	v_add_u32_e32 v22, v39, v22
	ds_write_b32 v43, v22 offset:64
.LBB556_129:
	s_or_b64 exec, exec, s[0:1]
	s_waitcnt vmcnt(1)
	v_lshrrev_b64 v[22:23], s52, v[18:19]
	v_and_b32_e32 v44, s14, v22
	s_movk_i32 s2, 0x44
	v_mul_lo_u32 v22, v44, s2
	v_add_u32_e32 v46, v35, v22
	v_and_b32_e32 v22, 1, v44
	v_mov_b32_e32 v23, 0
	v_lshl_add_u64 v[24:25], v[22:23], 0, -1
	v_cmp_ne_u32_e32 vcc, 0, v22
	; wave barrier
	s_nop 1
	v_xor_b32_e32 v24, vcc_lo, v24
	v_xor_b32_e32 v22, vcc_hi, v25
	v_and_b32_e32 v45, exec_lo, v24
	v_lshlrev_b32_e32 v25, 30, v44
	v_mov_b32_e32 v24, v23
	v_cmp_gt_i64_e32 vcc, 0, v[24:25]
	v_not_b32_e32 v24, v25
	v_ashrrev_i32_e32 v24, 31, v24
	v_and_b32_e32 v22, exec_hi, v22
	v_xor_b32_e32 v25, vcc_hi, v24
	v_xor_b32_e32 v24, vcc_lo, v24
	v_and_b32_e32 v22, v22, v25
	v_and_b32_e32 v45, v45, v24
	v_lshlrev_b32_e32 v25, 29, v44
	v_mov_b32_e32 v24, v23
	v_cmp_gt_i64_e32 vcc, 0, v[24:25]
	v_not_b32_e32 v24, v25
	v_ashrrev_i32_e32 v24, 31, v24
	v_xor_b32_e32 v25, vcc_hi, v24
	v_xor_b32_e32 v24, vcc_lo, v24
	v_and_b32_e32 v22, v22, v25
	v_and_b32_e32 v45, v45, v24
	v_lshlrev_b32_e32 v25, 28, v44
	v_mov_b32_e32 v24, v23
	v_cmp_gt_i64_e32 vcc, 0, v[24:25]
	v_not_b32_e32 v24, v25
	v_ashrrev_i32_e32 v24, 31, v24
	;; [unrolled: 9-line block ×6, first 2 shown]
	v_xor_b32_e32 v25, vcc_hi, v24
	v_xor_b32_e32 v24, vcc_lo, v24
	ds_read_b32 v42, v46 offset:64
	v_and_b32_e32 v24, v45, v24
	v_and_b32_e32 v25, v22, v25
	v_mbcnt_lo_u32_b32 v22, v24, 0
	v_mbcnt_hi_u32_b32 v44, v25, v22
	v_cmp_eq_u32_e32 vcc, 0, v44
	v_cmp_ne_u64_e64 s[0:1], 0, v[24:25]
	s_and_b64 s[6:7], s[0:1], vcc
	; wave barrier
	s_and_saveexec_b64 s[0:1], s[6:7]
	s_cbranch_execz .LBB556_131
; %bb.130:
	v_bcnt_u32_b32 v22, v24, 0
	v_bcnt_u32_b32 v22, v25, v22
	s_waitcnt lgkmcnt(0)
	v_add_u32_e32 v22, v42, v22
	ds_write_b32 v46, v22 offset:64
.LBB556_131:
	s_or_b64 exec, exec, s[0:1]
	s_waitcnt vmcnt(0)
	v_lshrrev_b64 v[24:25], s52, v[20:21]
	v_and_b32_e32 v47, s14, v24
	v_mul_lo_u32 v22, v47, s2
	v_add_u32_e32 v48, v35, v22
	v_and_b32_e32 v22, 1, v47
	v_lshl_add_u64 v[24:25], v[22:23], 0, -1
	v_cmp_ne_u32_e32 vcc, 0, v22
	; wave barrier
	s_nop 1
	v_xor_b32_e32 v24, vcc_lo, v24
	v_xor_b32_e32 v22, vcc_hi, v25
	v_and_b32_e32 v35, exec_lo, v24
	v_lshlrev_b32_e32 v25, 30, v47
	v_mov_b32_e32 v24, v23
	v_cmp_gt_i64_e32 vcc, 0, v[24:25]
	v_not_b32_e32 v24, v25
	v_ashrrev_i32_e32 v24, 31, v24
	v_and_b32_e32 v22, exec_hi, v22
	v_xor_b32_e32 v25, vcc_hi, v24
	v_xor_b32_e32 v24, vcc_lo, v24
	v_and_b32_e32 v22, v22, v25
	v_and_b32_e32 v35, v35, v24
	v_lshlrev_b32_e32 v25, 29, v47
	v_mov_b32_e32 v24, v23
	v_cmp_gt_i64_e32 vcc, 0, v[24:25]
	v_not_b32_e32 v24, v25
	v_ashrrev_i32_e32 v24, 31, v24
	v_xor_b32_e32 v25, vcc_hi, v24
	v_xor_b32_e32 v24, vcc_lo, v24
	v_and_b32_e32 v22, v22, v25
	v_and_b32_e32 v35, v35, v24
	v_lshlrev_b32_e32 v25, 28, v47
	v_mov_b32_e32 v24, v23
	v_cmp_gt_i64_e32 vcc, 0, v[24:25]
	v_not_b32_e32 v24, v25
	v_ashrrev_i32_e32 v24, 31, v24
	;; [unrolled: 9-line block ×5, first 2 shown]
	v_xor_b32_e32 v25, vcc_hi, v24
	v_xor_b32_e32 v24, vcc_lo, v24
	v_and_b32_e32 v22, v22, v25
	v_lshlrev_b32_e32 v25, 24, v47
	v_and_b32_e32 v35, v35, v24
	v_mov_b32_e32 v24, v23
	v_not_b32_e32 v23, v25
	v_cmp_gt_i64_e32 vcc, 0, v[24:25]
	v_ashrrev_i32_e32 v23, 31, v23
	ds_read_b32 v45, v48 offset:64
	v_xor_b32_e32 v24, vcc_hi, v23
	v_xor_b32_e32 v25, vcc_lo, v23
	v_and_b32_e32 v23, v22, v24
	v_and_b32_e32 v22, v35, v25
	v_mbcnt_lo_u32_b32 v24, v22, 0
	v_mbcnt_hi_u32_b32 v47, v23, v24
	v_cmp_eq_u32_e32 vcc, 0, v47
	v_cmp_ne_u64_e64 s[0:1], 0, v[22:23]
	s_and_b64 s[2:3], s[0:1], vcc
	; wave barrier
	s_and_saveexec_b64 s[0:1], s[2:3]
	s_cbranch_execz .LBB556_133
; %bb.132:
	v_bcnt_u32_b32 v22, v22, 0
	v_bcnt_u32_b32 v22, v23, v22
	s_waitcnt lgkmcnt(0)
	v_add_u32_e32 v22, v45, v22
	ds_write_b32 v48, v22 offset:64
.LBB556_133:
	s_or_b64 exec, exec, s[0:1]
	; wave barrier
	s_waitcnt lgkmcnt(0)
	s_barrier
	ds_read2_b32 v[24:25], v5 offset0:16 offset1:17
	ds_read2_b32 v[22:23], v5 offset0:18 offset1:19
	ds_read_b32 v35, v5 offset:80
	v_cmp_lt_u32_e64 s[8:9], 31, v26
	s_waitcnt lgkmcnt(1)
	v_add3_u32 v49, v25, v24, v22
	s_waitcnt lgkmcnt(0)
	v_add3_u32 v35, v49, v23, v35
	v_and_b32_e32 v49, 15, v26
	v_cmp_eq_u32_e32 vcc, 0, v49
	v_mov_b32_dpp v50, v35 row_shr:1 row_mask:0xf bank_mask:0xf
	v_cmp_lt_u32_e64 s[0:1], 1, v49
	v_cndmask_b32_e64 v50, v50, 0, vcc
	v_add_u32_e32 v35, v50, v35
	v_cmp_lt_u32_e64 s[2:3], 3, v49
	v_cmp_lt_u32_e64 s[6:7], 7, v49
	v_mov_b32_dpp v50, v35 row_shr:2 row_mask:0xf bank_mask:0xf
	v_cndmask_b32_e64 v50, 0, v50, s[0:1]
	v_add_u32_e32 v35, v35, v50
	s_nop 1
	v_mov_b32_dpp v50, v35 row_shr:4 row_mask:0xf bank_mask:0xf
	v_cndmask_b32_e64 v50, 0, v50, s[2:3]
	v_add_u32_e32 v35, v35, v50
	s_nop 1
	v_mov_b32_dpp v50, v35 row_shr:8 row_mask:0xf bank_mask:0xf
	v_cndmask_b32_e64 v49, 0, v50, s[6:7]
	v_add_u32_e32 v35, v35, v49
	v_bfe_i32 v50, v26, 4, 1
	s_nop 0
	v_mov_b32_dpp v49, v35 row_bcast:15 row_mask:0xf bank_mask:0xf
	v_and_b32_e32 v49, v50, v49
	v_add_u32_e32 v35, v35, v49
	v_lshrrev_b32_e32 v50, 6, v2
	s_nop 0
	v_mov_b32_dpp v49, v35 row_bcast:31 row_mask:0xf bank_mask:0xf
	v_cndmask_b32_e64 v49, 0, v49, s[8:9]
	v_add_u32_e32 v49, v35, v49
	v_and_b32_e32 v35, 63, v2
	v_cmp_eq_u32_e64 s[8:9], 63, v35
	s_and_saveexec_b64 s[12:13], s[8:9]
; %bb.134:
	v_lshlrev_b32_e32 v35, 2, v50
	ds_write_b32 v35, v49
; %bb.135:
	s_or_b64 exec, exec, s[12:13]
	v_cmp_gt_u32_e64 s[8:9], 16, v2
	v_lshlrev_b32_e32 v35, 2, v2
	s_waitcnt lgkmcnt(0)
	s_barrier
	s_and_saveexec_b64 s[12:13], s[8:9]
	s_cbranch_execz .LBB556_137
; %bb.136:
	ds_read_b32 v51, v35
	s_waitcnt lgkmcnt(0)
	s_nop 0
	v_mov_b32_dpp v52, v51 row_shr:1 row_mask:0xf bank_mask:0xf
	v_cndmask_b32_e64 v52, v52, 0, vcc
	v_add_u32_e32 v51, v52, v51
	s_nop 1
	v_mov_b32_dpp v52, v51 row_shr:2 row_mask:0xf bank_mask:0xf
	v_cndmask_b32_e64 v52, 0, v52, s[0:1]
	v_add_u32_e32 v51, v51, v52
	s_nop 1
	v_mov_b32_dpp v52, v51 row_shr:4 row_mask:0xf bank_mask:0xf
	v_cndmask_b32_e64 v52, 0, v52, s[2:3]
	;; [unrolled: 4-line block ×3, first 2 shown]
	v_add_u32_e32 v51, v51, v52
	ds_write_b32 v35, v51
.LBB556_137:
	s_or_b64 exec, exec, s[12:13]
	v_cmp_lt_u32_e32 vcc, 63, v2
	v_mov_b32_e32 v51, 0
	s_waitcnt lgkmcnt(0)
	s_barrier
	s_and_saveexec_b64 s[0:1], vcc
; %bb.138:
	v_lshl_add_u32 v50, v50, 2, -4
	ds_read_b32 v51, v50
; %bb.139:
	s_or_b64 exec, exec, s[0:1]
	v_subrev_co_u32_e32 v50, vcc, 1, v26
	v_and_b32_e32 v52, 64, v26
	v_cmp_lt_i32_e64 s[0:1], v50, v52
	s_waitcnt lgkmcnt(0)
	v_add_u32_e32 v49, v51, v49
	s_movk_i32 s2, 0x100
	v_cndmask_b32_e64 v26, v50, v26, s[0:1]
	v_lshlrev_b32_e32 v26, 2, v26
	ds_bpermute_b32 v26, v26, v49
	s_movk_i32 s0, 0xff
	s_waitcnt lgkmcnt(0)
	v_cndmask_b32_e32 v26, v26, v51, vcc
	v_cmp_ne_u32_e32 vcc, 0, v2
	s_nop 1
	v_cndmask_b32_e32 v26, 0, v26, vcc
	v_add_u32_e32 v24, v26, v24
	v_add_u32_e32 v25, v24, v25
	;; [unrolled: 1-line block ×4, first 2 shown]
	ds_write2_b32 v5, v26, v24 offset0:16 offset1:17
	ds_write2_b32 v5, v25, v22 offset0:18 offset1:19
	ds_write_b32 v5, v23 offset:80
	s_waitcnt lgkmcnt(0)
	s_barrier
	ds_read_b32 v52, v27 offset:64
	ds_read_b32 v5, v30 offset:64
	;; [unrolled: 1-line block ×8, first 2 shown]
	v_cmp_lt_u32_e32 vcc, s0, v2
	v_cmp_gt_u32_e64 s[0:1], s2, v2
                                        ; implicit-def: $vgpr30
                                        ; implicit-def: $vgpr33
	s_and_saveexec_b64 s[6:7], s[0:1]
	s_cbranch_execz .LBB556_143
; %bb.140:
	v_mul_u32_u24_e32 v22, 0x44, v2
	ds_read_b32 v30, v22 offset:64
	v_add_u32_e32 v23, 1, v2
	v_cmp_ne_u32_e64 s[2:3], s2, v23
	v_mov_b32_e32 v22, 0x2000
	s_and_saveexec_b64 s[8:9], s[2:3]
; %bb.141:
	v_mul_u32_u24_e32 v22, 0x44, v23
	ds_read_b32 v22, v22 offset:64
; %bb.142:
	s_or_b64 exec, exec, s[8:9]
	s_waitcnt lgkmcnt(0)
	v_sub_u32_e32 v33, v22, v30
.LBB556_143:
	s_or_b64 exec, exec, s[6:7]
	v_mov_b32_e32 v23, 0
	s_waitcnt lgkmcnt(0)
	s_barrier
	s_and_saveexec_b64 s[2:3], s[0:1]
	s_cbranch_execz .LBB556_153
; %bb.144:
	v_lshl_add_u32 v22, s4, 8, v2
	v_lshl_add_u64 v[24:25], v[22:23], 2, s[38:39]
	v_or_b32_e32 v22, 2.0, v33
	s_mov_b64 s[6:7], 0
	s_brev_b32 s15, -4
	s_mov_b32 s16, s4
	v_mov_b32_e32 v46, 0
	global_store_dword v[24:25], v22, off sc1
                                        ; implicit-def: $sgpr0_sgpr1
	s_branch .LBB556_147
.LBB556_145:                            ;   in Loop: Header=BB556_147 Depth=1
	s_or_b64 exec, exec, s[12:13]
.LBB556_146:                            ;   in Loop: Header=BB556_147 Depth=1
	s_or_b64 exec, exec, s[8:9]
	v_and_b32_e32 v26, 0x3fffffff, v22
	v_add_u32_e32 v46, v26, v46
	v_cmp_gt_i32_e64 s[0:1], -2.0, v22
	s_and_b64 s[8:9], exec, s[0:1]
	s_or_b64 s[6:7], s[8:9], s[6:7]
	s_andn2_b64 exec, exec, s[6:7]
	s_cbranch_execz .LBB556_152
.LBB556_147:                            ; =>This Loop Header: Depth=1
                                        ;     Child Loop BB556_150 Depth 2
	s_or_b64 s[0:1], s[0:1], exec
	s_cmp_eq_u32 s16, 0
	s_cbranch_scc1 .LBB556_151
; %bb.148:                              ;   in Loop: Header=BB556_147 Depth=1
	s_add_i32 s16, s16, -1
	v_lshl_or_b32 v22, s16, 8, v2
	v_lshl_add_u64 v[26:27], v[22:23], 2, s[38:39]
	global_load_dword v22, v[26:27], off sc1
	s_waitcnt vmcnt(0)
	v_cmp_gt_u32_e64 s[0:1], 2.0, v22
	s_and_saveexec_b64 s[8:9], s[0:1]
	s_cbranch_execz .LBB556_146
; %bb.149:                              ;   in Loop: Header=BB556_147 Depth=1
	s_mov_b64 s[12:13], 0
.LBB556_150:                            ;   Parent Loop BB556_147 Depth=1
                                        ; =>  This Inner Loop Header: Depth=2
	global_load_dword v22, v[26:27], off sc1
	s_waitcnt vmcnt(0)
	v_cmp_lt_u32_e64 s[0:1], s15, v22
	s_or_b64 s[12:13], s[0:1], s[12:13]
	s_andn2_b64 exec, exec, s[12:13]
	s_cbranch_execnz .LBB556_150
	s_branch .LBB556_145
.LBB556_151:                            ;   in Loop: Header=BB556_147 Depth=1
                                        ; implicit-def: $sgpr16
	s_and_b64 s[8:9], exec, s[0:1]
	s_or_b64 s[6:7], s[8:9], s[6:7]
	s_andn2_b64 exec, exec, s[6:7]
	s_cbranch_execnz .LBB556_147
.LBB556_152:
	s_or_b64 exec, exec, s[6:7]
	v_add_u32_e32 v22, v46, v33
	v_or_b32_e32 v22, 0x80000000, v22
	global_store_dword v[24:25], v22, off sc1
	global_load_dword v22, v35, s[48:49]
	v_sub_u32_e32 v23, v46, v30
	s_waitcnt vmcnt(0)
	v_add_u32_e32 v22, v23, v22
	ds_write_b32 v35, v22
.LBB556_153:
	s_or_b64 exec, exec, s[2:3]
	v_add_u32_e32 v3, v52, v3
	v_add3_u32 v22, v28, v1, v5
	v_add3_u32 v23, v31, v29, v49
	;; [unrolled: 1-line block ×7, first 2 shown]
	v_mov_b32_e32 v53, 0x400
	s_mov_b32 s6, s52
	s_mov_b32 s7, s14
	s_movk_i32 s8, 0x400
	v_lshl_add_u32 v24, v24, 3, v53
	v_add3_u32 v25, v47, v43, v45
	v_lshl_add_u32 v26, v26, 3, v53
	v_add3_u32 v27, v44, v37, v42
	;; [unrolled: 2-line block ×7, first 2 shown]
	v_lshl_add_u32 v41, v3, 3, v53
	s_mov_b32 s9, 0
	s_mov_b32 s12, 0
	s_movk_i32 s13, 0x800
	v_add_u32_e32 v42, v35, v35
	v_mov_b32_e32 v23, 0
	v_mov_b32_e32 v1, v2
	s_mov_b32 s15, 0
	s_branch .LBB556_155
.LBB556_154:                            ;   in Loop: Header=BB556_155 Depth=1
	s_or_b64 exec, exec, s[2:3]
	s_waitcnt lgkmcnt(0)
	s_barrier
	ds_read2st64_b64 v[44:47], v42 offset0:2 offset1:18
	s_addk_i32 s15, 0xc000
	s_addk_i32 s12, 0xf800
	s_waitcnt lgkmcnt(0)
	v_lshrrev_b64 v[48:49], s52, v[44:45]
	v_lshrrev_b64 v[50:51], s6, v[46:47]
	v_and_b32_e32 v48, s14, v48
	v_and_b32_e32 v49, s7, v50
	v_lshlrev_b32_e32 v5, 2, v48
	ds_read_b32 v5, v5
	v_lshlrev_b32_e32 v22, 2, v49
	ds_read_b32 v43, v22
	s_waitcnt lgkmcnt(1)
	v_add_u32_e32 v22, v1, v5
	v_lshl_add_u64 v[50:51], v[22:23], 3, s[42:43]
	s_waitcnt lgkmcnt(0)
	v_add3_u32 v22, v1, v43, s8
	global_store_dwordx2 v[50:51], v[44:45], off
	v_lshl_add_u64 v[44:45], v[22:23], 3, s[42:43]
	global_store_dwordx2 v[44:45], v[46:47], off
	scratch_store_dwordx2 off, v[48:49], s9
	s_add_i32 s9, s9, 8
	s_cmp_eq_u32 s15, 0xffff0000
	v_add_u32_e32 v1, 0x800, v1
	s_barrier
	s_cbranch_scc1 .LBB556_171
.LBB556_155:                            ; =>This Inner Loop Header: Depth=1
	v_add_u32_e32 v5, s12, v3
	v_cmp_gt_u32_e64 s[0:1], s13, v5
	s_and_saveexec_b64 s[2:3], s[0:1]
; %bb.156:                              ;   in Loop: Header=BB556_155 Depth=1
	v_add_u32_e32 v5, s15, v41
	ds_write_b64 v5, v[6:7]
; %bb.157:                              ;   in Loop: Header=BB556_155 Depth=1
	s_or_b64 exec, exec, s[2:3]
	v_add_u32_e32 v5, s12, v28
	v_cmp_gt_u32_e64 s[0:1], s13, v5
	s_and_saveexec_b64 s[2:3], s[0:1]
; %bb.158:                              ;   in Loop: Header=BB556_155 Depth=1
	v_add_u32_e32 v5, s15, v31
	ds_write_b64 v5, v[8:9]
; %bb.159:                              ;   in Loop: Header=BB556_155 Depth=1
	s_or_b64 exec, exec, s[2:3]
	;; [unrolled: 8-line block ×7, first 2 shown]
	v_add_u32_e32 v5, s12, v25
	v_cmp_gt_u32_e64 s[0:1], s13, v5
	s_and_saveexec_b64 s[2:3], s[0:1]
	s_cbranch_execz .LBB556_154
; %bb.170:                              ;   in Loop: Header=BB556_155 Depth=1
	v_add_u32_e32 v5, s15, v24
	ds_write_b64 v5, v[20:21]
	s_branch .LBB556_154
.LBB556_171:
	s_add_u32 s0, s44, s10
	s_addc_u32 s1, s45, s11
	v_mov_b32_e32 v1, 0
	v_lshl_add_u64 v[6:7], s[0:1], 0, v[0:1]
	v_mov_b32_e32 v5, v1
	v_lshl_add_u64 v[20:21], v[6:7], 0, v[4:5]
	global_load_dwordx2 v[4:5], v[20:21], off
	global_load_dwordx2 v[6:7], v[20:21], off offset:512
	global_load_dwordx2 v[8:9], v[20:21], off offset:1024
	;; [unrolled: 1-line block ×7, first 2 shown]
	s_mov_b32 s6, 0
	s_mov_b32 s7, 0
	s_movk_i32 s8, 0x800
	s_movk_i32 s9, 0x400
	s_mov_b32 s10, 0
	s_branch .LBB556_173
.LBB556_172:                            ;   in Loop: Header=BB556_173 Depth=1
	s_or_b64 exec, exec, s[2:3]
	s_waitcnt lgkmcnt(0)
	s_barrier
	scratch_load_dwordx2 v[44:45], off, s6
	ds_read2st64_b64 v[20:23], v42 offset0:2 offset1:18
	s_addk_i32 s10, 0xc000
	s_addk_i32 s7, 0xf800
	s_add_i32 s6, s6, 8
	s_cmp_eq_u32 s10, 0xffff0000
	s_waitcnt vmcnt(0)
	v_lshlrev_b32_e32 v0, 2, v44
	ds_read_b32 v0, v0
	v_lshlrev_b32_e32 v43, 2, v45
	ds_read_b32 v43, v43
	s_waitcnt lgkmcnt(1)
	v_add_u32_e32 v0, v2, v0
	v_lshl_add_u64 v[44:45], v[0:1], 3, s[46:47]
	s_waitcnt lgkmcnt(0)
	v_add3_u32 v0, v2, v43, s9
	global_store_dwordx2 v[44:45], v[20:21], off
	v_lshl_add_u64 v[20:21], v[0:1], 3, s[46:47]
	v_add_u32_e32 v2, 0x800, v2
	global_store_dwordx2 v[20:21], v[22:23], off
	s_barrier
	s_cbranch_scc1 .LBB556_189
.LBB556_173:                            ; =>This Inner Loop Header: Depth=1
	v_add_u32_e32 v0, s7, v3
	v_cmp_gt_u32_e64 s[0:1], s8, v0
	s_and_saveexec_b64 s[2:3], s[0:1]
	s_cbranch_execz .LBB556_175
; %bb.174:                              ;   in Loop: Header=BB556_173 Depth=1
	v_add_u32_e32 v0, s10, v41
	s_waitcnt vmcnt(7)
	ds_write_b64 v0, v[4:5]
.LBB556_175:                            ;   in Loop: Header=BB556_173 Depth=1
	s_or_b64 exec, exec, s[2:3]
	v_add_u32_e32 v0, s7, v28
	v_cmp_gt_u32_e64 s[0:1], s8, v0
	s_and_saveexec_b64 s[2:3], s[0:1]
	s_cbranch_execz .LBB556_177
; %bb.176:                              ;   in Loop: Header=BB556_173 Depth=1
	v_add_u32_e32 v0, s10, v31
	s_waitcnt vmcnt(6)
	ds_write_b64 v0, v[6:7]
.LBB556_177:                            ;   in Loop: Header=BB556_173 Depth=1
	s_or_b64 exec, exec, s[2:3]
	;; [unrolled: 10-line block ×7, first 2 shown]
	v_add_u32_e32 v0, s7, v25
	v_cmp_gt_u32_e64 s[0:1], s8, v0
	s_and_saveexec_b64 s[2:3], s[0:1]
	s_cbranch_execz .LBB556_172
; %bb.188:                              ;   in Loop: Header=BB556_173 Depth=1
	v_add_u32_e32 v0, s10, v24
	s_waitcnt vmcnt(0)
	ds_write_b64 v0, v[18:19]
	s_branch .LBB556_172
.LBB556_189:
	s_add_i32 s5, s5, -1
	s_cmp_eq_u32 s4, s5
	s_cselect_b64 s[0:1], -1, 0
	s_xor_b64 s[2:3], vcc, -1
	s_and_b64 s[0:1], s[2:3], s[0:1]
	s_and_saveexec_b64 s[2:3], s[0:1]
	s_cbranch_execz .LBB556_191
; %bb.190:
	ds_read_b32 v0, v35
	s_waitcnt lgkmcnt(0)
	v_add3_u32 v0, v30, v33, v0
	global_store_dword v35, v0, s[50:51]
.LBB556_191:
	s_endpgm
	.section	.rodata,"a",@progbits
	.p2align	6, 0x0
	.amdhsa_kernel _ZN7rocprim17ROCPRIM_400000_NS6detail17trampoline_kernelINS0_14default_configENS1_35radix_sort_onesweep_config_selectorIyyEEZZNS1_29radix_sort_onesweep_iterationIS3_Lb0EN6thrust23THRUST_200600_302600_NS6detail15normal_iteratorINS8_10device_ptrIyEEEESD_SD_SD_jNS0_19identity_decomposerENS1_16block_id_wrapperIjLb0EEEEE10hipError_tT1_PNSt15iterator_traitsISI_E10value_typeET2_T3_PNSJ_ISO_E10value_typeET4_T5_PST_SU_PNS1_23onesweep_lookback_stateEbbT6_jjT7_P12ihipStream_tbENKUlT_T0_SI_SN_E_clISD_SD_SD_SD_EEDaS11_S12_SI_SN_EUlS11_E_NS1_11comp_targetILNS1_3genE6ELNS1_11target_archE950ELNS1_3gpuE13ELNS1_3repE0EEENS1_47radix_sort_onesweep_sort_config_static_selectorELNS0_4arch9wavefront6targetE1EEEvSI_
		.amdhsa_group_segment_fixed_size 53328
		.amdhsa_private_segment_fixed_size 48
		.amdhsa_kernarg_size 344
		.amdhsa_user_sgpr_count 4
		.amdhsa_user_sgpr_dispatch_ptr 1
		.amdhsa_user_sgpr_queue_ptr 0
		.amdhsa_user_sgpr_kernarg_segment_ptr 1
		.amdhsa_user_sgpr_dispatch_id 0
		.amdhsa_user_sgpr_kernarg_preload_length 0
		.amdhsa_user_sgpr_kernarg_preload_offset 0
		.amdhsa_user_sgpr_private_segment_size 0
		.amdhsa_uses_dynamic_stack 0
		.amdhsa_enable_private_segment 1
		.amdhsa_system_sgpr_workgroup_id_x 1
		.amdhsa_system_sgpr_workgroup_id_y 0
		.amdhsa_system_sgpr_workgroup_id_z 0
		.amdhsa_system_sgpr_workgroup_info 0
		.amdhsa_system_vgpr_workitem_id 2
		.amdhsa_next_free_vgpr 58
		.amdhsa_next_free_sgpr 58
		.amdhsa_accum_offset 60
		.amdhsa_reserve_vcc 1
		.amdhsa_float_round_mode_32 0
		.amdhsa_float_round_mode_16_64 0
		.amdhsa_float_denorm_mode_32 3
		.amdhsa_float_denorm_mode_16_64 3
		.amdhsa_dx10_clamp 1
		.amdhsa_ieee_mode 1
		.amdhsa_fp16_overflow 0
		.amdhsa_tg_split 0
		.amdhsa_exception_fp_ieee_invalid_op 0
		.amdhsa_exception_fp_denorm_src 0
		.amdhsa_exception_fp_ieee_div_zero 0
		.amdhsa_exception_fp_ieee_overflow 0
		.amdhsa_exception_fp_ieee_underflow 0
		.amdhsa_exception_fp_ieee_inexact 0
		.amdhsa_exception_int_div_zero 0
	.end_amdhsa_kernel
	.section	.text._ZN7rocprim17ROCPRIM_400000_NS6detail17trampoline_kernelINS0_14default_configENS1_35radix_sort_onesweep_config_selectorIyyEEZZNS1_29radix_sort_onesweep_iterationIS3_Lb0EN6thrust23THRUST_200600_302600_NS6detail15normal_iteratorINS8_10device_ptrIyEEEESD_SD_SD_jNS0_19identity_decomposerENS1_16block_id_wrapperIjLb0EEEEE10hipError_tT1_PNSt15iterator_traitsISI_E10value_typeET2_T3_PNSJ_ISO_E10value_typeET4_T5_PST_SU_PNS1_23onesweep_lookback_stateEbbT6_jjT7_P12ihipStream_tbENKUlT_T0_SI_SN_E_clISD_SD_SD_SD_EEDaS11_S12_SI_SN_EUlS11_E_NS1_11comp_targetILNS1_3genE6ELNS1_11target_archE950ELNS1_3gpuE13ELNS1_3repE0EEENS1_47radix_sort_onesweep_sort_config_static_selectorELNS0_4arch9wavefront6targetE1EEEvSI_,"axG",@progbits,_ZN7rocprim17ROCPRIM_400000_NS6detail17trampoline_kernelINS0_14default_configENS1_35radix_sort_onesweep_config_selectorIyyEEZZNS1_29radix_sort_onesweep_iterationIS3_Lb0EN6thrust23THRUST_200600_302600_NS6detail15normal_iteratorINS8_10device_ptrIyEEEESD_SD_SD_jNS0_19identity_decomposerENS1_16block_id_wrapperIjLb0EEEEE10hipError_tT1_PNSt15iterator_traitsISI_E10value_typeET2_T3_PNSJ_ISO_E10value_typeET4_T5_PST_SU_PNS1_23onesweep_lookback_stateEbbT6_jjT7_P12ihipStream_tbENKUlT_T0_SI_SN_E_clISD_SD_SD_SD_EEDaS11_S12_SI_SN_EUlS11_E_NS1_11comp_targetILNS1_3genE6ELNS1_11target_archE950ELNS1_3gpuE13ELNS1_3repE0EEENS1_47radix_sort_onesweep_sort_config_static_selectorELNS0_4arch9wavefront6targetE1EEEvSI_,comdat
.Lfunc_end556:
	.size	_ZN7rocprim17ROCPRIM_400000_NS6detail17trampoline_kernelINS0_14default_configENS1_35radix_sort_onesweep_config_selectorIyyEEZZNS1_29radix_sort_onesweep_iterationIS3_Lb0EN6thrust23THRUST_200600_302600_NS6detail15normal_iteratorINS8_10device_ptrIyEEEESD_SD_SD_jNS0_19identity_decomposerENS1_16block_id_wrapperIjLb0EEEEE10hipError_tT1_PNSt15iterator_traitsISI_E10value_typeET2_T3_PNSJ_ISO_E10value_typeET4_T5_PST_SU_PNS1_23onesweep_lookback_stateEbbT6_jjT7_P12ihipStream_tbENKUlT_T0_SI_SN_E_clISD_SD_SD_SD_EEDaS11_S12_SI_SN_EUlS11_E_NS1_11comp_targetILNS1_3genE6ELNS1_11target_archE950ELNS1_3gpuE13ELNS1_3repE0EEENS1_47radix_sort_onesweep_sort_config_static_selectorELNS0_4arch9wavefront6targetE1EEEvSI_, .Lfunc_end556-_ZN7rocprim17ROCPRIM_400000_NS6detail17trampoline_kernelINS0_14default_configENS1_35radix_sort_onesweep_config_selectorIyyEEZZNS1_29radix_sort_onesweep_iterationIS3_Lb0EN6thrust23THRUST_200600_302600_NS6detail15normal_iteratorINS8_10device_ptrIyEEEESD_SD_SD_jNS0_19identity_decomposerENS1_16block_id_wrapperIjLb0EEEEE10hipError_tT1_PNSt15iterator_traitsISI_E10value_typeET2_T3_PNSJ_ISO_E10value_typeET4_T5_PST_SU_PNS1_23onesweep_lookback_stateEbbT6_jjT7_P12ihipStream_tbENKUlT_T0_SI_SN_E_clISD_SD_SD_SD_EEDaS11_S12_SI_SN_EUlS11_E_NS1_11comp_targetILNS1_3genE6ELNS1_11target_archE950ELNS1_3gpuE13ELNS1_3repE0EEENS1_47radix_sort_onesweep_sort_config_static_selectorELNS0_4arch9wavefront6targetE1EEEvSI_
                                        ; -- End function
	.set _ZN7rocprim17ROCPRIM_400000_NS6detail17trampoline_kernelINS0_14default_configENS1_35radix_sort_onesweep_config_selectorIyyEEZZNS1_29radix_sort_onesweep_iterationIS3_Lb0EN6thrust23THRUST_200600_302600_NS6detail15normal_iteratorINS8_10device_ptrIyEEEESD_SD_SD_jNS0_19identity_decomposerENS1_16block_id_wrapperIjLb0EEEEE10hipError_tT1_PNSt15iterator_traitsISI_E10value_typeET2_T3_PNSJ_ISO_E10value_typeET4_T5_PST_SU_PNS1_23onesweep_lookback_stateEbbT6_jjT7_P12ihipStream_tbENKUlT_T0_SI_SN_E_clISD_SD_SD_SD_EEDaS11_S12_SI_SN_EUlS11_E_NS1_11comp_targetILNS1_3genE6ELNS1_11target_archE950ELNS1_3gpuE13ELNS1_3repE0EEENS1_47radix_sort_onesweep_sort_config_static_selectorELNS0_4arch9wavefront6targetE1EEEvSI_.num_vgpr, 58
	.set _ZN7rocprim17ROCPRIM_400000_NS6detail17trampoline_kernelINS0_14default_configENS1_35radix_sort_onesweep_config_selectorIyyEEZZNS1_29radix_sort_onesweep_iterationIS3_Lb0EN6thrust23THRUST_200600_302600_NS6detail15normal_iteratorINS8_10device_ptrIyEEEESD_SD_SD_jNS0_19identity_decomposerENS1_16block_id_wrapperIjLb0EEEEE10hipError_tT1_PNSt15iterator_traitsISI_E10value_typeET2_T3_PNSJ_ISO_E10value_typeET4_T5_PST_SU_PNS1_23onesweep_lookback_stateEbbT6_jjT7_P12ihipStream_tbENKUlT_T0_SI_SN_E_clISD_SD_SD_SD_EEDaS11_S12_SI_SN_EUlS11_E_NS1_11comp_targetILNS1_3genE6ELNS1_11target_archE950ELNS1_3gpuE13ELNS1_3repE0EEENS1_47radix_sort_onesweep_sort_config_static_selectorELNS0_4arch9wavefront6targetE1EEEvSI_.num_agpr, 0
	.set _ZN7rocprim17ROCPRIM_400000_NS6detail17trampoline_kernelINS0_14default_configENS1_35radix_sort_onesweep_config_selectorIyyEEZZNS1_29radix_sort_onesweep_iterationIS3_Lb0EN6thrust23THRUST_200600_302600_NS6detail15normal_iteratorINS8_10device_ptrIyEEEESD_SD_SD_jNS0_19identity_decomposerENS1_16block_id_wrapperIjLb0EEEEE10hipError_tT1_PNSt15iterator_traitsISI_E10value_typeET2_T3_PNSJ_ISO_E10value_typeET4_T5_PST_SU_PNS1_23onesweep_lookback_stateEbbT6_jjT7_P12ihipStream_tbENKUlT_T0_SI_SN_E_clISD_SD_SD_SD_EEDaS11_S12_SI_SN_EUlS11_E_NS1_11comp_targetILNS1_3genE6ELNS1_11target_archE950ELNS1_3gpuE13ELNS1_3repE0EEENS1_47radix_sort_onesweep_sort_config_static_selectorELNS0_4arch9wavefront6targetE1EEEvSI_.numbered_sgpr, 58
	.set _ZN7rocprim17ROCPRIM_400000_NS6detail17trampoline_kernelINS0_14default_configENS1_35radix_sort_onesweep_config_selectorIyyEEZZNS1_29radix_sort_onesweep_iterationIS3_Lb0EN6thrust23THRUST_200600_302600_NS6detail15normal_iteratorINS8_10device_ptrIyEEEESD_SD_SD_jNS0_19identity_decomposerENS1_16block_id_wrapperIjLb0EEEEE10hipError_tT1_PNSt15iterator_traitsISI_E10value_typeET2_T3_PNSJ_ISO_E10value_typeET4_T5_PST_SU_PNS1_23onesweep_lookback_stateEbbT6_jjT7_P12ihipStream_tbENKUlT_T0_SI_SN_E_clISD_SD_SD_SD_EEDaS11_S12_SI_SN_EUlS11_E_NS1_11comp_targetILNS1_3genE6ELNS1_11target_archE950ELNS1_3gpuE13ELNS1_3repE0EEENS1_47radix_sort_onesweep_sort_config_static_selectorELNS0_4arch9wavefront6targetE1EEEvSI_.num_named_barrier, 0
	.set _ZN7rocprim17ROCPRIM_400000_NS6detail17trampoline_kernelINS0_14default_configENS1_35radix_sort_onesweep_config_selectorIyyEEZZNS1_29radix_sort_onesweep_iterationIS3_Lb0EN6thrust23THRUST_200600_302600_NS6detail15normal_iteratorINS8_10device_ptrIyEEEESD_SD_SD_jNS0_19identity_decomposerENS1_16block_id_wrapperIjLb0EEEEE10hipError_tT1_PNSt15iterator_traitsISI_E10value_typeET2_T3_PNSJ_ISO_E10value_typeET4_T5_PST_SU_PNS1_23onesweep_lookback_stateEbbT6_jjT7_P12ihipStream_tbENKUlT_T0_SI_SN_E_clISD_SD_SD_SD_EEDaS11_S12_SI_SN_EUlS11_E_NS1_11comp_targetILNS1_3genE6ELNS1_11target_archE950ELNS1_3gpuE13ELNS1_3repE0EEENS1_47radix_sort_onesweep_sort_config_static_selectorELNS0_4arch9wavefront6targetE1EEEvSI_.private_seg_size, 48
	.set _ZN7rocprim17ROCPRIM_400000_NS6detail17trampoline_kernelINS0_14default_configENS1_35radix_sort_onesweep_config_selectorIyyEEZZNS1_29radix_sort_onesweep_iterationIS3_Lb0EN6thrust23THRUST_200600_302600_NS6detail15normal_iteratorINS8_10device_ptrIyEEEESD_SD_SD_jNS0_19identity_decomposerENS1_16block_id_wrapperIjLb0EEEEE10hipError_tT1_PNSt15iterator_traitsISI_E10value_typeET2_T3_PNSJ_ISO_E10value_typeET4_T5_PST_SU_PNS1_23onesweep_lookback_stateEbbT6_jjT7_P12ihipStream_tbENKUlT_T0_SI_SN_E_clISD_SD_SD_SD_EEDaS11_S12_SI_SN_EUlS11_E_NS1_11comp_targetILNS1_3genE6ELNS1_11target_archE950ELNS1_3gpuE13ELNS1_3repE0EEENS1_47radix_sort_onesweep_sort_config_static_selectorELNS0_4arch9wavefront6targetE1EEEvSI_.uses_vcc, 1
	.set _ZN7rocprim17ROCPRIM_400000_NS6detail17trampoline_kernelINS0_14default_configENS1_35radix_sort_onesweep_config_selectorIyyEEZZNS1_29radix_sort_onesweep_iterationIS3_Lb0EN6thrust23THRUST_200600_302600_NS6detail15normal_iteratorINS8_10device_ptrIyEEEESD_SD_SD_jNS0_19identity_decomposerENS1_16block_id_wrapperIjLb0EEEEE10hipError_tT1_PNSt15iterator_traitsISI_E10value_typeET2_T3_PNSJ_ISO_E10value_typeET4_T5_PST_SU_PNS1_23onesweep_lookback_stateEbbT6_jjT7_P12ihipStream_tbENKUlT_T0_SI_SN_E_clISD_SD_SD_SD_EEDaS11_S12_SI_SN_EUlS11_E_NS1_11comp_targetILNS1_3genE6ELNS1_11target_archE950ELNS1_3gpuE13ELNS1_3repE0EEENS1_47radix_sort_onesweep_sort_config_static_selectorELNS0_4arch9wavefront6targetE1EEEvSI_.uses_flat_scratch, 0
	.set _ZN7rocprim17ROCPRIM_400000_NS6detail17trampoline_kernelINS0_14default_configENS1_35radix_sort_onesweep_config_selectorIyyEEZZNS1_29radix_sort_onesweep_iterationIS3_Lb0EN6thrust23THRUST_200600_302600_NS6detail15normal_iteratorINS8_10device_ptrIyEEEESD_SD_SD_jNS0_19identity_decomposerENS1_16block_id_wrapperIjLb0EEEEE10hipError_tT1_PNSt15iterator_traitsISI_E10value_typeET2_T3_PNSJ_ISO_E10value_typeET4_T5_PST_SU_PNS1_23onesweep_lookback_stateEbbT6_jjT7_P12ihipStream_tbENKUlT_T0_SI_SN_E_clISD_SD_SD_SD_EEDaS11_S12_SI_SN_EUlS11_E_NS1_11comp_targetILNS1_3genE6ELNS1_11target_archE950ELNS1_3gpuE13ELNS1_3repE0EEENS1_47radix_sort_onesweep_sort_config_static_selectorELNS0_4arch9wavefront6targetE1EEEvSI_.has_dyn_sized_stack, 0
	.set _ZN7rocprim17ROCPRIM_400000_NS6detail17trampoline_kernelINS0_14default_configENS1_35radix_sort_onesweep_config_selectorIyyEEZZNS1_29radix_sort_onesweep_iterationIS3_Lb0EN6thrust23THRUST_200600_302600_NS6detail15normal_iteratorINS8_10device_ptrIyEEEESD_SD_SD_jNS0_19identity_decomposerENS1_16block_id_wrapperIjLb0EEEEE10hipError_tT1_PNSt15iterator_traitsISI_E10value_typeET2_T3_PNSJ_ISO_E10value_typeET4_T5_PST_SU_PNS1_23onesweep_lookback_stateEbbT6_jjT7_P12ihipStream_tbENKUlT_T0_SI_SN_E_clISD_SD_SD_SD_EEDaS11_S12_SI_SN_EUlS11_E_NS1_11comp_targetILNS1_3genE6ELNS1_11target_archE950ELNS1_3gpuE13ELNS1_3repE0EEENS1_47radix_sort_onesweep_sort_config_static_selectorELNS0_4arch9wavefront6targetE1EEEvSI_.has_recursion, 0
	.set _ZN7rocprim17ROCPRIM_400000_NS6detail17trampoline_kernelINS0_14default_configENS1_35radix_sort_onesweep_config_selectorIyyEEZZNS1_29radix_sort_onesweep_iterationIS3_Lb0EN6thrust23THRUST_200600_302600_NS6detail15normal_iteratorINS8_10device_ptrIyEEEESD_SD_SD_jNS0_19identity_decomposerENS1_16block_id_wrapperIjLb0EEEEE10hipError_tT1_PNSt15iterator_traitsISI_E10value_typeET2_T3_PNSJ_ISO_E10value_typeET4_T5_PST_SU_PNS1_23onesweep_lookback_stateEbbT6_jjT7_P12ihipStream_tbENKUlT_T0_SI_SN_E_clISD_SD_SD_SD_EEDaS11_S12_SI_SN_EUlS11_E_NS1_11comp_targetILNS1_3genE6ELNS1_11target_archE950ELNS1_3gpuE13ELNS1_3repE0EEENS1_47radix_sort_onesweep_sort_config_static_selectorELNS0_4arch9wavefront6targetE1EEEvSI_.has_indirect_call, 0
	.section	.AMDGPU.csdata,"",@progbits
; Kernel info:
; codeLenInByte = 12556
; TotalNumSgprs: 64
; NumVgprs: 58
; NumAgprs: 0
; TotalNumVgprs: 58
; ScratchSize: 48
; MemoryBound: 0
; FloatMode: 240
; IeeeMode: 1
; LDSByteSize: 53328 bytes/workgroup (compile time only)
; SGPRBlocks: 7
; VGPRBlocks: 7
; NumSGPRsForWavesPerEU: 64
; NumVGPRsForWavesPerEU: 58
; AccumOffset: 60
; Occupancy: 8
; WaveLimiterHint : 1
; COMPUTE_PGM_RSRC2:SCRATCH_EN: 1
; COMPUTE_PGM_RSRC2:USER_SGPR: 4
; COMPUTE_PGM_RSRC2:TRAP_HANDLER: 0
; COMPUTE_PGM_RSRC2:TGID_X_EN: 1
; COMPUTE_PGM_RSRC2:TGID_Y_EN: 0
; COMPUTE_PGM_RSRC2:TGID_Z_EN: 0
; COMPUTE_PGM_RSRC2:TIDIG_COMP_CNT: 2
; COMPUTE_PGM_RSRC3_GFX90A:ACCUM_OFFSET: 14
; COMPUTE_PGM_RSRC3_GFX90A:TG_SPLIT: 0
	.section	.text._ZN7rocprim17ROCPRIM_400000_NS6detail17trampoline_kernelINS0_14default_configENS1_35radix_sort_onesweep_config_selectorIyyEEZZNS1_29radix_sort_onesweep_iterationIS3_Lb0EN6thrust23THRUST_200600_302600_NS6detail15normal_iteratorINS8_10device_ptrIyEEEESD_SD_SD_jNS0_19identity_decomposerENS1_16block_id_wrapperIjLb0EEEEE10hipError_tT1_PNSt15iterator_traitsISI_E10value_typeET2_T3_PNSJ_ISO_E10value_typeET4_T5_PST_SU_PNS1_23onesweep_lookback_stateEbbT6_jjT7_P12ihipStream_tbENKUlT_T0_SI_SN_E_clISD_SD_SD_SD_EEDaS11_S12_SI_SN_EUlS11_E_NS1_11comp_targetILNS1_3genE5ELNS1_11target_archE942ELNS1_3gpuE9ELNS1_3repE0EEENS1_47radix_sort_onesweep_sort_config_static_selectorELNS0_4arch9wavefront6targetE1EEEvSI_,"axG",@progbits,_ZN7rocprim17ROCPRIM_400000_NS6detail17trampoline_kernelINS0_14default_configENS1_35radix_sort_onesweep_config_selectorIyyEEZZNS1_29radix_sort_onesweep_iterationIS3_Lb0EN6thrust23THRUST_200600_302600_NS6detail15normal_iteratorINS8_10device_ptrIyEEEESD_SD_SD_jNS0_19identity_decomposerENS1_16block_id_wrapperIjLb0EEEEE10hipError_tT1_PNSt15iterator_traitsISI_E10value_typeET2_T3_PNSJ_ISO_E10value_typeET4_T5_PST_SU_PNS1_23onesweep_lookback_stateEbbT6_jjT7_P12ihipStream_tbENKUlT_T0_SI_SN_E_clISD_SD_SD_SD_EEDaS11_S12_SI_SN_EUlS11_E_NS1_11comp_targetILNS1_3genE5ELNS1_11target_archE942ELNS1_3gpuE9ELNS1_3repE0EEENS1_47radix_sort_onesweep_sort_config_static_selectorELNS0_4arch9wavefront6targetE1EEEvSI_,comdat
	.protected	_ZN7rocprim17ROCPRIM_400000_NS6detail17trampoline_kernelINS0_14default_configENS1_35radix_sort_onesweep_config_selectorIyyEEZZNS1_29radix_sort_onesweep_iterationIS3_Lb0EN6thrust23THRUST_200600_302600_NS6detail15normal_iteratorINS8_10device_ptrIyEEEESD_SD_SD_jNS0_19identity_decomposerENS1_16block_id_wrapperIjLb0EEEEE10hipError_tT1_PNSt15iterator_traitsISI_E10value_typeET2_T3_PNSJ_ISO_E10value_typeET4_T5_PST_SU_PNS1_23onesweep_lookback_stateEbbT6_jjT7_P12ihipStream_tbENKUlT_T0_SI_SN_E_clISD_SD_SD_SD_EEDaS11_S12_SI_SN_EUlS11_E_NS1_11comp_targetILNS1_3genE5ELNS1_11target_archE942ELNS1_3gpuE9ELNS1_3repE0EEENS1_47radix_sort_onesweep_sort_config_static_selectorELNS0_4arch9wavefront6targetE1EEEvSI_ ; -- Begin function _ZN7rocprim17ROCPRIM_400000_NS6detail17trampoline_kernelINS0_14default_configENS1_35radix_sort_onesweep_config_selectorIyyEEZZNS1_29radix_sort_onesweep_iterationIS3_Lb0EN6thrust23THRUST_200600_302600_NS6detail15normal_iteratorINS8_10device_ptrIyEEEESD_SD_SD_jNS0_19identity_decomposerENS1_16block_id_wrapperIjLb0EEEEE10hipError_tT1_PNSt15iterator_traitsISI_E10value_typeET2_T3_PNSJ_ISO_E10value_typeET4_T5_PST_SU_PNS1_23onesweep_lookback_stateEbbT6_jjT7_P12ihipStream_tbENKUlT_T0_SI_SN_E_clISD_SD_SD_SD_EEDaS11_S12_SI_SN_EUlS11_E_NS1_11comp_targetILNS1_3genE5ELNS1_11target_archE942ELNS1_3gpuE9ELNS1_3repE0EEENS1_47radix_sort_onesweep_sort_config_static_selectorELNS0_4arch9wavefront6targetE1EEEvSI_
	.globl	_ZN7rocprim17ROCPRIM_400000_NS6detail17trampoline_kernelINS0_14default_configENS1_35radix_sort_onesweep_config_selectorIyyEEZZNS1_29radix_sort_onesweep_iterationIS3_Lb0EN6thrust23THRUST_200600_302600_NS6detail15normal_iteratorINS8_10device_ptrIyEEEESD_SD_SD_jNS0_19identity_decomposerENS1_16block_id_wrapperIjLb0EEEEE10hipError_tT1_PNSt15iterator_traitsISI_E10value_typeET2_T3_PNSJ_ISO_E10value_typeET4_T5_PST_SU_PNS1_23onesweep_lookback_stateEbbT6_jjT7_P12ihipStream_tbENKUlT_T0_SI_SN_E_clISD_SD_SD_SD_EEDaS11_S12_SI_SN_EUlS11_E_NS1_11comp_targetILNS1_3genE5ELNS1_11target_archE942ELNS1_3gpuE9ELNS1_3repE0EEENS1_47radix_sort_onesweep_sort_config_static_selectorELNS0_4arch9wavefront6targetE1EEEvSI_
	.p2align	8
	.type	_ZN7rocprim17ROCPRIM_400000_NS6detail17trampoline_kernelINS0_14default_configENS1_35radix_sort_onesweep_config_selectorIyyEEZZNS1_29radix_sort_onesweep_iterationIS3_Lb0EN6thrust23THRUST_200600_302600_NS6detail15normal_iteratorINS8_10device_ptrIyEEEESD_SD_SD_jNS0_19identity_decomposerENS1_16block_id_wrapperIjLb0EEEEE10hipError_tT1_PNSt15iterator_traitsISI_E10value_typeET2_T3_PNSJ_ISO_E10value_typeET4_T5_PST_SU_PNS1_23onesweep_lookback_stateEbbT6_jjT7_P12ihipStream_tbENKUlT_T0_SI_SN_E_clISD_SD_SD_SD_EEDaS11_S12_SI_SN_EUlS11_E_NS1_11comp_targetILNS1_3genE5ELNS1_11target_archE942ELNS1_3gpuE9ELNS1_3repE0EEENS1_47radix_sort_onesweep_sort_config_static_selectorELNS0_4arch9wavefront6targetE1EEEvSI_,@function
_ZN7rocprim17ROCPRIM_400000_NS6detail17trampoline_kernelINS0_14default_configENS1_35radix_sort_onesweep_config_selectorIyyEEZZNS1_29radix_sort_onesweep_iterationIS3_Lb0EN6thrust23THRUST_200600_302600_NS6detail15normal_iteratorINS8_10device_ptrIyEEEESD_SD_SD_jNS0_19identity_decomposerENS1_16block_id_wrapperIjLb0EEEEE10hipError_tT1_PNSt15iterator_traitsISI_E10value_typeET2_T3_PNSJ_ISO_E10value_typeET4_T5_PST_SU_PNS1_23onesweep_lookback_stateEbbT6_jjT7_P12ihipStream_tbENKUlT_T0_SI_SN_E_clISD_SD_SD_SD_EEDaS11_S12_SI_SN_EUlS11_E_NS1_11comp_targetILNS1_3genE5ELNS1_11target_archE942ELNS1_3gpuE9ELNS1_3repE0EEENS1_47radix_sort_onesweep_sort_config_static_selectorELNS0_4arch9wavefront6targetE1EEEvSI_: ; @_ZN7rocprim17ROCPRIM_400000_NS6detail17trampoline_kernelINS0_14default_configENS1_35radix_sort_onesweep_config_selectorIyyEEZZNS1_29radix_sort_onesweep_iterationIS3_Lb0EN6thrust23THRUST_200600_302600_NS6detail15normal_iteratorINS8_10device_ptrIyEEEESD_SD_SD_jNS0_19identity_decomposerENS1_16block_id_wrapperIjLb0EEEEE10hipError_tT1_PNSt15iterator_traitsISI_E10value_typeET2_T3_PNSJ_ISO_E10value_typeET4_T5_PST_SU_PNS1_23onesweep_lookback_stateEbbT6_jjT7_P12ihipStream_tbENKUlT_T0_SI_SN_E_clISD_SD_SD_SD_EEDaS11_S12_SI_SN_EUlS11_E_NS1_11comp_targetILNS1_3genE5ELNS1_11target_archE942ELNS1_3gpuE9ELNS1_3repE0EEENS1_47radix_sort_onesweep_sort_config_static_selectorELNS0_4arch9wavefront6targetE1EEEvSI_
; %bb.0:
	.section	.rodata,"a",@progbits
	.p2align	6, 0x0
	.amdhsa_kernel _ZN7rocprim17ROCPRIM_400000_NS6detail17trampoline_kernelINS0_14default_configENS1_35radix_sort_onesweep_config_selectorIyyEEZZNS1_29radix_sort_onesweep_iterationIS3_Lb0EN6thrust23THRUST_200600_302600_NS6detail15normal_iteratorINS8_10device_ptrIyEEEESD_SD_SD_jNS0_19identity_decomposerENS1_16block_id_wrapperIjLb0EEEEE10hipError_tT1_PNSt15iterator_traitsISI_E10value_typeET2_T3_PNSJ_ISO_E10value_typeET4_T5_PST_SU_PNS1_23onesweep_lookback_stateEbbT6_jjT7_P12ihipStream_tbENKUlT_T0_SI_SN_E_clISD_SD_SD_SD_EEDaS11_S12_SI_SN_EUlS11_E_NS1_11comp_targetILNS1_3genE5ELNS1_11target_archE942ELNS1_3gpuE9ELNS1_3repE0EEENS1_47radix_sort_onesweep_sort_config_static_selectorELNS0_4arch9wavefront6targetE1EEEvSI_
		.amdhsa_group_segment_fixed_size 0
		.amdhsa_private_segment_fixed_size 0
		.amdhsa_kernarg_size 88
		.amdhsa_user_sgpr_count 2
		.amdhsa_user_sgpr_dispatch_ptr 0
		.amdhsa_user_sgpr_queue_ptr 0
		.amdhsa_user_sgpr_kernarg_segment_ptr 1
		.amdhsa_user_sgpr_dispatch_id 0
		.amdhsa_user_sgpr_kernarg_preload_length 0
		.amdhsa_user_sgpr_kernarg_preload_offset 0
		.amdhsa_user_sgpr_private_segment_size 0
		.amdhsa_uses_dynamic_stack 0
		.amdhsa_enable_private_segment 0
		.amdhsa_system_sgpr_workgroup_id_x 1
		.amdhsa_system_sgpr_workgroup_id_y 0
		.amdhsa_system_sgpr_workgroup_id_z 0
		.amdhsa_system_sgpr_workgroup_info 0
		.amdhsa_system_vgpr_workitem_id 0
		.amdhsa_next_free_vgpr 1
		.amdhsa_next_free_sgpr 0
		.amdhsa_accum_offset 4
		.amdhsa_reserve_vcc 0
		.amdhsa_float_round_mode_32 0
		.amdhsa_float_round_mode_16_64 0
		.amdhsa_float_denorm_mode_32 3
		.amdhsa_float_denorm_mode_16_64 3
		.amdhsa_dx10_clamp 1
		.amdhsa_ieee_mode 1
		.amdhsa_fp16_overflow 0
		.amdhsa_tg_split 0
		.amdhsa_exception_fp_ieee_invalid_op 0
		.amdhsa_exception_fp_denorm_src 0
		.amdhsa_exception_fp_ieee_div_zero 0
		.amdhsa_exception_fp_ieee_overflow 0
		.amdhsa_exception_fp_ieee_underflow 0
		.amdhsa_exception_fp_ieee_inexact 0
		.amdhsa_exception_int_div_zero 0
	.end_amdhsa_kernel
	.section	.text._ZN7rocprim17ROCPRIM_400000_NS6detail17trampoline_kernelINS0_14default_configENS1_35radix_sort_onesweep_config_selectorIyyEEZZNS1_29radix_sort_onesweep_iterationIS3_Lb0EN6thrust23THRUST_200600_302600_NS6detail15normal_iteratorINS8_10device_ptrIyEEEESD_SD_SD_jNS0_19identity_decomposerENS1_16block_id_wrapperIjLb0EEEEE10hipError_tT1_PNSt15iterator_traitsISI_E10value_typeET2_T3_PNSJ_ISO_E10value_typeET4_T5_PST_SU_PNS1_23onesweep_lookback_stateEbbT6_jjT7_P12ihipStream_tbENKUlT_T0_SI_SN_E_clISD_SD_SD_SD_EEDaS11_S12_SI_SN_EUlS11_E_NS1_11comp_targetILNS1_3genE5ELNS1_11target_archE942ELNS1_3gpuE9ELNS1_3repE0EEENS1_47radix_sort_onesweep_sort_config_static_selectorELNS0_4arch9wavefront6targetE1EEEvSI_,"axG",@progbits,_ZN7rocprim17ROCPRIM_400000_NS6detail17trampoline_kernelINS0_14default_configENS1_35radix_sort_onesweep_config_selectorIyyEEZZNS1_29radix_sort_onesweep_iterationIS3_Lb0EN6thrust23THRUST_200600_302600_NS6detail15normal_iteratorINS8_10device_ptrIyEEEESD_SD_SD_jNS0_19identity_decomposerENS1_16block_id_wrapperIjLb0EEEEE10hipError_tT1_PNSt15iterator_traitsISI_E10value_typeET2_T3_PNSJ_ISO_E10value_typeET4_T5_PST_SU_PNS1_23onesweep_lookback_stateEbbT6_jjT7_P12ihipStream_tbENKUlT_T0_SI_SN_E_clISD_SD_SD_SD_EEDaS11_S12_SI_SN_EUlS11_E_NS1_11comp_targetILNS1_3genE5ELNS1_11target_archE942ELNS1_3gpuE9ELNS1_3repE0EEENS1_47radix_sort_onesweep_sort_config_static_selectorELNS0_4arch9wavefront6targetE1EEEvSI_,comdat
.Lfunc_end557:
	.size	_ZN7rocprim17ROCPRIM_400000_NS6detail17trampoline_kernelINS0_14default_configENS1_35radix_sort_onesweep_config_selectorIyyEEZZNS1_29radix_sort_onesweep_iterationIS3_Lb0EN6thrust23THRUST_200600_302600_NS6detail15normal_iteratorINS8_10device_ptrIyEEEESD_SD_SD_jNS0_19identity_decomposerENS1_16block_id_wrapperIjLb0EEEEE10hipError_tT1_PNSt15iterator_traitsISI_E10value_typeET2_T3_PNSJ_ISO_E10value_typeET4_T5_PST_SU_PNS1_23onesweep_lookback_stateEbbT6_jjT7_P12ihipStream_tbENKUlT_T0_SI_SN_E_clISD_SD_SD_SD_EEDaS11_S12_SI_SN_EUlS11_E_NS1_11comp_targetILNS1_3genE5ELNS1_11target_archE942ELNS1_3gpuE9ELNS1_3repE0EEENS1_47radix_sort_onesweep_sort_config_static_selectorELNS0_4arch9wavefront6targetE1EEEvSI_, .Lfunc_end557-_ZN7rocprim17ROCPRIM_400000_NS6detail17trampoline_kernelINS0_14default_configENS1_35radix_sort_onesweep_config_selectorIyyEEZZNS1_29radix_sort_onesweep_iterationIS3_Lb0EN6thrust23THRUST_200600_302600_NS6detail15normal_iteratorINS8_10device_ptrIyEEEESD_SD_SD_jNS0_19identity_decomposerENS1_16block_id_wrapperIjLb0EEEEE10hipError_tT1_PNSt15iterator_traitsISI_E10value_typeET2_T3_PNSJ_ISO_E10value_typeET4_T5_PST_SU_PNS1_23onesweep_lookback_stateEbbT6_jjT7_P12ihipStream_tbENKUlT_T0_SI_SN_E_clISD_SD_SD_SD_EEDaS11_S12_SI_SN_EUlS11_E_NS1_11comp_targetILNS1_3genE5ELNS1_11target_archE942ELNS1_3gpuE9ELNS1_3repE0EEENS1_47radix_sort_onesweep_sort_config_static_selectorELNS0_4arch9wavefront6targetE1EEEvSI_
                                        ; -- End function
	.set _ZN7rocprim17ROCPRIM_400000_NS6detail17trampoline_kernelINS0_14default_configENS1_35radix_sort_onesweep_config_selectorIyyEEZZNS1_29radix_sort_onesweep_iterationIS3_Lb0EN6thrust23THRUST_200600_302600_NS6detail15normal_iteratorINS8_10device_ptrIyEEEESD_SD_SD_jNS0_19identity_decomposerENS1_16block_id_wrapperIjLb0EEEEE10hipError_tT1_PNSt15iterator_traitsISI_E10value_typeET2_T3_PNSJ_ISO_E10value_typeET4_T5_PST_SU_PNS1_23onesweep_lookback_stateEbbT6_jjT7_P12ihipStream_tbENKUlT_T0_SI_SN_E_clISD_SD_SD_SD_EEDaS11_S12_SI_SN_EUlS11_E_NS1_11comp_targetILNS1_3genE5ELNS1_11target_archE942ELNS1_3gpuE9ELNS1_3repE0EEENS1_47radix_sort_onesweep_sort_config_static_selectorELNS0_4arch9wavefront6targetE1EEEvSI_.num_vgpr, 0
	.set _ZN7rocprim17ROCPRIM_400000_NS6detail17trampoline_kernelINS0_14default_configENS1_35radix_sort_onesweep_config_selectorIyyEEZZNS1_29radix_sort_onesweep_iterationIS3_Lb0EN6thrust23THRUST_200600_302600_NS6detail15normal_iteratorINS8_10device_ptrIyEEEESD_SD_SD_jNS0_19identity_decomposerENS1_16block_id_wrapperIjLb0EEEEE10hipError_tT1_PNSt15iterator_traitsISI_E10value_typeET2_T3_PNSJ_ISO_E10value_typeET4_T5_PST_SU_PNS1_23onesweep_lookback_stateEbbT6_jjT7_P12ihipStream_tbENKUlT_T0_SI_SN_E_clISD_SD_SD_SD_EEDaS11_S12_SI_SN_EUlS11_E_NS1_11comp_targetILNS1_3genE5ELNS1_11target_archE942ELNS1_3gpuE9ELNS1_3repE0EEENS1_47radix_sort_onesweep_sort_config_static_selectorELNS0_4arch9wavefront6targetE1EEEvSI_.num_agpr, 0
	.set _ZN7rocprim17ROCPRIM_400000_NS6detail17trampoline_kernelINS0_14default_configENS1_35radix_sort_onesweep_config_selectorIyyEEZZNS1_29radix_sort_onesweep_iterationIS3_Lb0EN6thrust23THRUST_200600_302600_NS6detail15normal_iteratorINS8_10device_ptrIyEEEESD_SD_SD_jNS0_19identity_decomposerENS1_16block_id_wrapperIjLb0EEEEE10hipError_tT1_PNSt15iterator_traitsISI_E10value_typeET2_T3_PNSJ_ISO_E10value_typeET4_T5_PST_SU_PNS1_23onesweep_lookback_stateEbbT6_jjT7_P12ihipStream_tbENKUlT_T0_SI_SN_E_clISD_SD_SD_SD_EEDaS11_S12_SI_SN_EUlS11_E_NS1_11comp_targetILNS1_3genE5ELNS1_11target_archE942ELNS1_3gpuE9ELNS1_3repE0EEENS1_47radix_sort_onesweep_sort_config_static_selectorELNS0_4arch9wavefront6targetE1EEEvSI_.numbered_sgpr, 0
	.set _ZN7rocprim17ROCPRIM_400000_NS6detail17trampoline_kernelINS0_14default_configENS1_35radix_sort_onesweep_config_selectorIyyEEZZNS1_29radix_sort_onesweep_iterationIS3_Lb0EN6thrust23THRUST_200600_302600_NS6detail15normal_iteratorINS8_10device_ptrIyEEEESD_SD_SD_jNS0_19identity_decomposerENS1_16block_id_wrapperIjLb0EEEEE10hipError_tT1_PNSt15iterator_traitsISI_E10value_typeET2_T3_PNSJ_ISO_E10value_typeET4_T5_PST_SU_PNS1_23onesweep_lookback_stateEbbT6_jjT7_P12ihipStream_tbENKUlT_T0_SI_SN_E_clISD_SD_SD_SD_EEDaS11_S12_SI_SN_EUlS11_E_NS1_11comp_targetILNS1_3genE5ELNS1_11target_archE942ELNS1_3gpuE9ELNS1_3repE0EEENS1_47radix_sort_onesweep_sort_config_static_selectorELNS0_4arch9wavefront6targetE1EEEvSI_.num_named_barrier, 0
	.set _ZN7rocprim17ROCPRIM_400000_NS6detail17trampoline_kernelINS0_14default_configENS1_35radix_sort_onesweep_config_selectorIyyEEZZNS1_29radix_sort_onesweep_iterationIS3_Lb0EN6thrust23THRUST_200600_302600_NS6detail15normal_iteratorINS8_10device_ptrIyEEEESD_SD_SD_jNS0_19identity_decomposerENS1_16block_id_wrapperIjLb0EEEEE10hipError_tT1_PNSt15iterator_traitsISI_E10value_typeET2_T3_PNSJ_ISO_E10value_typeET4_T5_PST_SU_PNS1_23onesweep_lookback_stateEbbT6_jjT7_P12ihipStream_tbENKUlT_T0_SI_SN_E_clISD_SD_SD_SD_EEDaS11_S12_SI_SN_EUlS11_E_NS1_11comp_targetILNS1_3genE5ELNS1_11target_archE942ELNS1_3gpuE9ELNS1_3repE0EEENS1_47radix_sort_onesweep_sort_config_static_selectorELNS0_4arch9wavefront6targetE1EEEvSI_.private_seg_size, 0
	.set _ZN7rocprim17ROCPRIM_400000_NS6detail17trampoline_kernelINS0_14default_configENS1_35radix_sort_onesweep_config_selectorIyyEEZZNS1_29radix_sort_onesweep_iterationIS3_Lb0EN6thrust23THRUST_200600_302600_NS6detail15normal_iteratorINS8_10device_ptrIyEEEESD_SD_SD_jNS0_19identity_decomposerENS1_16block_id_wrapperIjLb0EEEEE10hipError_tT1_PNSt15iterator_traitsISI_E10value_typeET2_T3_PNSJ_ISO_E10value_typeET4_T5_PST_SU_PNS1_23onesweep_lookback_stateEbbT6_jjT7_P12ihipStream_tbENKUlT_T0_SI_SN_E_clISD_SD_SD_SD_EEDaS11_S12_SI_SN_EUlS11_E_NS1_11comp_targetILNS1_3genE5ELNS1_11target_archE942ELNS1_3gpuE9ELNS1_3repE0EEENS1_47radix_sort_onesweep_sort_config_static_selectorELNS0_4arch9wavefront6targetE1EEEvSI_.uses_vcc, 0
	.set _ZN7rocprim17ROCPRIM_400000_NS6detail17trampoline_kernelINS0_14default_configENS1_35radix_sort_onesweep_config_selectorIyyEEZZNS1_29radix_sort_onesweep_iterationIS3_Lb0EN6thrust23THRUST_200600_302600_NS6detail15normal_iteratorINS8_10device_ptrIyEEEESD_SD_SD_jNS0_19identity_decomposerENS1_16block_id_wrapperIjLb0EEEEE10hipError_tT1_PNSt15iterator_traitsISI_E10value_typeET2_T3_PNSJ_ISO_E10value_typeET4_T5_PST_SU_PNS1_23onesweep_lookback_stateEbbT6_jjT7_P12ihipStream_tbENKUlT_T0_SI_SN_E_clISD_SD_SD_SD_EEDaS11_S12_SI_SN_EUlS11_E_NS1_11comp_targetILNS1_3genE5ELNS1_11target_archE942ELNS1_3gpuE9ELNS1_3repE0EEENS1_47radix_sort_onesweep_sort_config_static_selectorELNS0_4arch9wavefront6targetE1EEEvSI_.uses_flat_scratch, 0
	.set _ZN7rocprim17ROCPRIM_400000_NS6detail17trampoline_kernelINS0_14default_configENS1_35radix_sort_onesweep_config_selectorIyyEEZZNS1_29radix_sort_onesweep_iterationIS3_Lb0EN6thrust23THRUST_200600_302600_NS6detail15normal_iteratorINS8_10device_ptrIyEEEESD_SD_SD_jNS0_19identity_decomposerENS1_16block_id_wrapperIjLb0EEEEE10hipError_tT1_PNSt15iterator_traitsISI_E10value_typeET2_T3_PNSJ_ISO_E10value_typeET4_T5_PST_SU_PNS1_23onesweep_lookback_stateEbbT6_jjT7_P12ihipStream_tbENKUlT_T0_SI_SN_E_clISD_SD_SD_SD_EEDaS11_S12_SI_SN_EUlS11_E_NS1_11comp_targetILNS1_3genE5ELNS1_11target_archE942ELNS1_3gpuE9ELNS1_3repE0EEENS1_47radix_sort_onesweep_sort_config_static_selectorELNS0_4arch9wavefront6targetE1EEEvSI_.has_dyn_sized_stack, 0
	.set _ZN7rocprim17ROCPRIM_400000_NS6detail17trampoline_kernelINS0_14default_configENS1_35radix_sort_onesweep_config_selectorIyyEEZZNS1_29radix_sort_onesweep_iterationIS3_Lb0EN6thrust23THRUST_200600_302600_NS6detail15normal_iteratorINS8_10device_ptrIyEEEESD_SD_SD_jNS0_19identity_decomposerENS1_16block_id_wrapperIjLb0EEEEE10hipError_tT1_PNSt15iterator_traitsISI_E10value_typeET2_T3_PNSJ_ISO_E10value_typeET4_T5_PST_SU_PNS1_23onesweep_lookback_stateEbbT6_jjT7_P12ihipStream_tbENKUlT_T0_SI_SN_E_clISD_SD_SD_SD_EEDaS11_S12_SI_SN_EUlS11_E_NS1_11comp_targetILNS1_3genE5ELNS1_11target_archE942ELNS1_3gpuE9ELNS1_3repE0EEENS1_47radix_sort_onesweep_sort_config_static_selectorELNS0_4arch9wavefront6targetE1EEEvSI_.has_recursion, 0
	.set _ZN7rocprim17ROCPRIM_400000_NS6detail17trampoline_kernelINS0_14default_configENS1_35radix_sort_onesweep_config_selectorIyyEEZZNS1_29radix_sort_onesweep_iterationIS3_Lb0EN6thrust23THRUST_200600_302600_NS6detail15normal_iteratorINS8_10device_ptrIyEEEESD_SD_SD_jNS0_19identity_decomposerENS1_16block_id_wrapperIjLb0EEEEE10hipError_tT1_PNSt15iterator_traitsISI_E10value_typeET2_T3_PNSJ_ISO_E10value_typeET4_T5_PST_SU_PNS1_23onesweep_lookback_stateEbbT6_jjT7_P12ihipStream_tbENKUlT_T0_SI_SN_E_clISD_SD_SD_SD_EEDaS11_S12_SI_SN_EUlS11_E_NS1_11comp_targetILNS1_3genE5ELNS1_11target_archE942ELNS1_3gpuE9ELNS1_3repE0EEENS1_47radix_sort_onesweep_sort_config_static_selectorELNS0_4arch9wavefront6targetE1EEEvSI_.has_indirect_call, 0
	.section	.AMDGPU.csdata,"",@progbits
; Kernel info:
; codeLenInByte = 0
; TotalNumSgprs: 6
; NumVgprs: 0
; NumAgprs: 0
; TotalNumVgprs: 0
; ScratchSize: 0
; MemoryBound: 0
; FloatMode: 240
; IeeeMode: 1
; LDSByteSize: 0 bytes/workgroup (compile time only)
; SGPRBlocks: 0
; VGPRBlocks: 0
; NumSGPRsForWavesPerEU: 6
; NumVGPRsForWavesPerEU: 1
; AccumOffset: 4
; Occupancy: 8
; WaveLimiterHint : 0
; COMPUTE_PGM_RSRC2:SCRATCH_EN: 0
; COMPUTE_PGM_RSRC2:USER_SGPR: 2
; COMPUTE_PGM_RSRC2:TRAP_HANDLER: 0
; COMPUTE_PGM_RSRC2:TGID_X_EN: 1
; COMPUTE_PGM_RSRC2:TGID_Y_EN: 0
; COMPUTE_PGM_RSRC2:TGID_Z_EN: 0
; COMPUTE_PGM_RSRC2:TIDIG_COMP_CNT: 0
; COMPUTE_PGM_RSRC3_GFX90A:ACCUM_OFFSET: 0
; COMPUTE_PGM_RSRC3_GFX90A:TG_SPLIT: 0
	.section	.text._ZN7rocprim17ROCPRIM_400000_NS6detail17trampoline_kernelINS0_14default_configENS1_35radix_sort_onesweep_config_selectorIyyEEZZNS1_29radix_sort_onesweep_iterationIS3_Lb0EN6thrust23THRUST_200600_302600_NS6detail15normal_iteratorINS8_10device_ptrIyEEEESD_SD_SD_jNS0_19identity_decomposerENS1_16block_id_wrapperIjLb0EEEEE10hipError_tT1_PNSt15iterator_traitsISI_E10value_typeET2_T3_PNSJ_ISO_E10value_typeET4_T5_PST_SU_PNS1_23onesweep_lookback_stateEbbT6_jjT7_P12ihipStream_tbENKUlT_T0_SI_SN_E_clISD_SD_SD_SD_EEDaS11_S12_SI_SN_EUlS11_E_NS1_11comp_targetILNS1_3genE2ELNS1_11target_archE906ELNS1_3gpuE6ELNS1_3repE0EEENS1_47radix_sort_onesweep_sort_config_static_selectorELNS0_4arch9wavefront6targetE1EEEvSI_,"axG",@progbits,_ZN7rocprim17ROCPRIM_400000_NS6detail17trampoline_kernelINS0_14default_configENS1_35radix_sort_onesweep_config_selectorIyyEEZZNS1_29radix_sort_onesweep_iterationIS3_Lb0EN6thrust23THRUST_200600_302600_NS6detail15normal_iteratorINS8_10device_ptrIyEEEESD_SD_SD_jNS0_19identity_decomposerENS1_16block_id_wrapperIjLb0EEEEE10hipError_tT1_PNSt15iterator_traitsISI_E10value_typeET2_T3_PNSJ_ISO_E10value_typeET4_T5_PST_SU_PNS1_23onesweep_lookback_stateEbbT6_jjT7_P12ihipStream_tbENKUlT_T0_SI_SN_E_clISD_SD_SD_SD_EEDaS11_S12_SI_SN_EUlS11_E_NS1_11comp_targetILNS1_3genE2ELNS1_11target_archE906ELNS1_3gpuE6ELNS1_3repE0EEENS1_47radix_sort_onesweep_sort_config_static_selectorELNS0_4arch9wavefront6targetE1EEEvSI_,comdat
	.protected	_ZN7rocprim17ROCPRIM_400000_NS6detail17trampoline_kernelINS0_14default_configENS1_35radix_sort_onesweep_config_selectorIyyEEZZNS1_29radix_sort_onesweep_iterationIS3_Lb0EN6thrust23THRUST_200600_302600_NS6detail15normal_iteratorINS8_10device_ptrIyEEEESD_SD_SD_jNS0_19identity_decomposerENS1_16block_id_wrapperIjLb0EEEEE10hipError_tT1_PNSt15iterator_traitsISI_E10value_typeET2_T3_PNSJ_ISO_E10value_typeET4_T5_PST_SU_PNS1_23onesweep_lookback_stateEbbT6_jjT7_P12ihipStream_tbENKUlT_T0_SI_SN_E_clISD_SD_SD_SD_EEDaS11_S12_SI_SN_EUlS11_E_NS1_11comp_targetILNS1_3genE2ELNS1_11target_archE906ELNS1_3gpuE6ELNS1_3repE0EEENS1_47radix_sort_onesweep_sort_config_static_selectorELNS0_4arch9wavefront6targetE1EEEvSI_ ; -- Begin function _ZN7rocprim17ROCPRIM_400000_NS6detail17trampoline_kernelINS0_14default_configENS1_35radix_sort_onesweep_config_selectorIyyEEZZNS1_29radix_sort_onesweep_iterationIS3_Lb0EN6thrust23THRUST_200600_302600_NS6detail15normal_iteratorINS8_10device_ptrIyEEEESD_SD_SD_jNS0_19identity_decomposerENS1_16block_id_wrapperIjLb0EEEEE10hipError_tT1_PNSt15iterator_traitsISI_E10value_typeET2_T3_PNSJ_ISO_E10value_typeET4_T5_PST_SU_PNS1_23onesweep_lookback_stateEbbT6_jjT7_P12ihipStream_tbENKUlT_T0_SI_SN_E_clISD_SD_SD_SD_EEDaS11_S12_SI_SN_EUlS11_E_NS1_11comp_targetILNS1_3genE2ELNS1_11target_archE906ELNS1_3gpuE6ELNS1_3repE0EEENS1_47radix_sort_onesweep_sort_config_static_selectorELNS0_4arch9wavefront6targetE1EEEvSI_
	.globl	_ZN7rocprim17ROCPRIM_400000_NS6detail17trampoline_kernelINS0_14default_configENS1_35radix_sort_onesweep_config_selectorIyyEEZZNS1_29radix_sort_onesweep_iterationIS3_Lb0EN6thrust23THRUST_200600_302600_NS6detail15normal_iteratorINS8_10device_ptrIyEEEESD_SD_SD_jNS0_19identity_decomposerENS1_16block_id_wrapperIjLb0EEEEE10hipError_tT1_PNSt15iterator_traitsISI_E10value_typeET2_T3_PNSJ_ISO_E10value_typeET4_T5_PST_SU_PNS1_23onesweep_lookback_stateEbbT6_jjT7_P12ihipStream_tbENKUlT_T0_SI_SN_E_clISD_SD_SD_SD_EEDaS11_S12_SI_SN_EUlS11_E_NS1_11comp_targetILNS1_3genE2ELNS1_11target_archE906ELNS1_3gpuE6ELNS1_3repE0EEENS1_47radix_sort_onesweep_sort_config_static_selectorELNS0_4arch9wavefront6targetE1EEEvSI_
	.p2align	8
	.type	_ZN7rocprim17ROCPRIM_400000_NS6detail17trampoline_kernelINS0_14default_configENS1_35radix_sort_onesweep_config_selectorIyyEEZZNS1_29radix_sort_onesweep_iterationIS3_Lb0EN6thrust23THRUST_200600_302600_NS6detail15normal_iteratorINS8_10device_ptrIyEEEESD_SD_SD_jNS0_19identity_decomposerENS1_16block_id_wrapperIjLb0EEEEE10hipError_tT1_PNSt15iterator_traitsISI_E10value_typeET2_T3_PNSJ_ISO_E10value_typeET4_T5_PST_SU_PNS1_23onesweep_lookback_stateEbbT6_jjT7_P12ihipStream_tbENKUlT_T0_SI_SN_E_clISD_SD_SD_SD_EEDaS11_S12_SI_SN_EUlS11_E_NS1_11comp_targetILNS1_3genE2ELNS1_11target_archE906ELNS1_3gpuE6ELNS1_3repE0EEENS1_47radix_sort_onesweep_sort_config_static_selectorELNS0_4arch9wavefront6targetE1EEEvSI_,@function
_ZN7rocprim17ROCPRIM_400000_NS6detail17trampoline_kernelINS0_14default_configENS1_35radix_sort_onesweep_config_selectorIyyEEZZNS1_29radix_sort_onesweep_iterationIS3_Lb0EN6thrust23THRUST_200600_302600_NS6detail15normal_iteratorINS8_10device_ptrIyEEEESD_SD_SD_jNS0_19identity_decomposerENS1_16block_id_wrapperIjLb0EEEEE10hipError_tT1_PNSt15iterator_traitsISI_E10value_typeET2_T3_PNSJ_ISO_E10value_typeET4_T5_PST_SU_PNS1_23onesweep_lookback_stateEbbT6_jjT7_P12ihipStream_tbENKUlT_T0_SI_SN_E_clISD_SD_SD_SD_EEDaS11_S12_SI_SN_EUlS11_E_NS1_11comp_targetILNS1_3genE2ELNS1_11target_archE906ELNS1_3gpuE6ELNS1_3repE0EEENS1_47radix_sort_onesweep_sort_config_static_selectorELNS0_4arch9wavefront6targetE1EEEvSI_: ; @_ZN7rocprim17ROCPRIM_400000_NS6detail17trampoline_kernelINS0_14default_configENS1_35radix_sort_onesweep_config_selectorIyyEEZZNS1_29radix_sort_onesweep_iterationIS3_Lb0EN6thrust23THRUST_200600_302600_NS6detail15normal_iteratorINS8_10device_ptrIyEEEESD_SD_SD_jNS0_19identity_decomposerENS1_16block_id_wrapperIjLb0EEEEE10hipError_tT1_PNSt15iterator_traitsISI_E10value_typeET2_T3_PNSJ_ISO_E10value_typeET4_T5_PST_SU_PNS1_23onesweep_lookback_stateEbbT6_jjT7_P12ihipStream_tbENKUlT_T0_SI_SN_E_clISD_SD_SD_SD_EEDaS11_S12_SI_SN_EUlS11_E_NS1_11comp_targetILNS1_3genE2ELNS1_11target_archE906ELNS1_3gpuE6ELNS1_3repE0EEENS1_47radix_sort_onesweep_sort_config_static_selectorELNS0_4arch9wavefront6targetE1EEEvSI_
; %bb.0:
	.section	.rodata,"a",@progbits
	.p2align	6, 0x0
	.amdhsa_kernel _ZN7rocprim17ROCPRIM_400000_NS6detail17trampoline_kernelINS0_14default_configENS1_35radix_sort_onesweep_config_selectorIyyEEZZNS1_29radix_sort_onesweep_iterationIS3_Lb0EN6thrust23THRUST_200600_302600_NS6detail15normal_iteratorINS8_10device_ptrIyEEEESD_SD_SD_jNS0_19identity_decomposerENS1_16block_id_wrapperIjLb0EEEEE10hipError_tT1_PNSt15iterator_traitsISI_E10value_typeET2_T3_PNSJ_ISO_E10value_typeET4_T5_PST_SU_PNS1_23onesweep_lookback_stateEbbT6_jjT7_P12ihipStream_tbENKUlT_T0_SI_SN_E_clISD_SD_SD_SD_EEDaS11_S12_SI_SN_EUlS11_E_NS1_11comp_targetILNS1_3genE2ELNS1_11target_archE906ELNS1_3gpuE6ELNS1_3repE0EEENS1_47radix_sort_onesweep_sort_config_static_selectorELNS0_4arch9wavefront6targetE1EEEvSI_
		.amdhsa_group_segment_fixed_size 0
		.amdhsa_private_segment_fixed_size 0
		.amdhsa_kernarg_size 88
		.amdhsa_user_sgpr_count 2
		.amdhsa_user_sgpr_dispatch_ptr 0
		.amdhsa_user_sgpr_queue_ptr 0
		.amdhsa_user_sgpr_kernarg_segment_ptr 1
		.amdhsa_user_sgpr_dispatch_id 0
		.amdhsa_user_sgpr_kernarg_preload_length 0
		.amdhsa_user_sgpr_kernarg_preload_offset 0
		.amdhsa_user_sgpr_private_segment_size 0
		.amdhsa_uses_dynamic_stack 0
		.amdhsa_enable_private_segment 0
		.amdhsa_system_sgpr_workgroup_id_x 1
		.amdhsa_system_sgpr_workgroup_id_y 0
		.amdhsa_system_sgpr_workgroup_id_z 0
		.amdhsa_system_sgpr_workgroup_info 0
		.amdhsa_system_vgpr_workitem_id 0
		.amdhsa_next_free_vgpr 1
		.amdhsa_next_free_sgpr 0
		.amdhsa_accum_offset 4
		.amdhsa_reserve_vcc 0
		.amdhsa_float_round_mode_32 0
		.amdhsa_float_round_mode_16_64 0
		.amdhsa_float_denorm_mode_32 3
		.amdhsa_float_denorm_mode_16_64 3
		.amdhsa_dx10_clamp 1
		.amdhsa_ieee_mode 1
		.amdhsa_fp16_overflow 0
		.amdhsa_tg_split 0
		.amdhsa_exception_fp_ieee_invalid_op 0
		.amdhsa_exception_fp_denorm_src 0
		.amdhsa_exception_fp_ieee_div_zero 0
		.amdhsa_exception_fp_ieee_overflow 0
		.amdhsa_exception_fp_ieee_underflow 0
		.amdhsa_exception_fp_ieee_inexact 0
		.amdhsa_exception_int_div_zero 0
	.end_amdhsa_kernel
	.section	.text._ZN7rocprim17ROCPRIM_400000_NS6detail17trampoline_kernelINS0_14default_configENS1_35radix_sort_onesweep_config_selectorIyyEEZZNS1_29radix_sort_onesweep_iterationIS3_Lb0EN6thrust23THRUST_200600_302600_NS6detail15normal_iteratorINS8_10device_ptrIyEEEESD_SD_SD_jNS0_19identity_decomposerENS1_16block_id_wrapperIjLb0EEEEE10hipError_tT1_PNSt15iterator_traitsISI_E10value_typeET2_T3_PNSJ_ISO_E10value_typeET4_T5_PST_SU_PNS1_23onesweep_lookback_stateEbbT6_jjT7_P12ihipStream_tbENKUlT_T0_SI_SN_E_clISD_SD_SD_SD_EEDaS11_S12_SI_SN_EUlS11_E_NS1_11comp_targetILNS1_3genE2ELNS1_11target_archE906ELNS1_3gpuE6ELNS1_3repE0EEENS1_47radix_sort_onesweep_sort_config_static_selectorELNS0_4arch9wavefront6targetE1EEEvSI_,"axG",@progbits,_ZN7rocprim17ROCPRIM_400000_NS6detail17trampoline_kernelINS0_14default_configENS1_35radix_sort_onesweep_config_selectorIyyEEZZNS1_29radix_sort_onesweep_iterationIS3_Lb0EN6thrust23THRUST_200600_302600_NS6detail15normal_iteratorINS8_10device_ptrIyEEEESD_SD_SD_jNS0_19identity_decomposerENS1_16block_id_wrapperIjLb0EEEEE10hipError_tT1_PNSt15iterator_traitsISI_E10value_typeET2_T3_PNSJ_ISO_E10value_typeET4_T5_PST_SU_PNS1_23onesweep_lookback_stateEbbT6_jjT7_P12ihipStream_tbENKUlT_T0_SI_SN_E_clISD_SD_SD_SD_EEDaS11_S12_SI_SN_EUlS11_E_NS1_11comp_targetILNS1_3genE2ELNS1_11target_archE906ELNS1_3gpuE6ELNS1_3repE0EEENS1_47radix_sort_onesweep_sort_config_static_selectorELNS0_4arch9wavefront6targetE1EEEvSI_,comdat
.Lfunc_end558:
	.size	_ZN7rocprim17ROCPRIM_400000_NS6detail17trampoline_kernelINS0_14default_configENS1_35radix_sort_onesweep_config_selectorIyyEEZZNS1_29radix_sort_onesweep_iterationIS3_Lb0EN6thrust23THRUST_200600_302600_NS6detail15normal_iteratorINS8_10device_ptrIyEEEESD_SD_SD_jNS0_19identity_decomposerENS1_16block_id_wrapperIjLb0EEEEE10hipError_tT1_PNSt15iterator_traitsISI_E10value_typeET2_T3_PNSJ_ISO_E10value_typeET4_T5_PST_SU_PNS1_23onesweep_lookback_stateEbbT6_jjT7_P12ihipStream_tbENKUlT_T0_SI_SN_E_clISD_SD_SD_SD_EEDaS11_S12_SI_SN_EUlS11_E_NS1_11comp_targetILNS1_3genE2ELNS1_11target_archE906ELNS1_3gpuE6ELNS1_3repE0EEENS1_47radix_sort_onesweep_sort_config_static_selectorELNS0_4arch9wavefront6targetE1EEEvSI_, .Lfunc_end558-_ZN7rocprim17ROCPRIM_400000_NS6detail17trampoline_kernelINS0_14default_configENS1_35radix_sort_onesweep_config_selectorIyyEEZZNS1_29radix_sort_onesweep_iterationIS3_Lb0EN6thrust23THRUST_200600_302600_NS6detail15normal_iteratorINS8_10device_ptrIyEEEESD_SD_SD_jNS0_19identity_decomposerENS1_16block_id_wrapperIjLb0EEEEE10hipError_tT1_PNSt15iterator_traitsISI_E10value_typeET2_T3_PNSJ_ISO_E10value_typeET4_T5_PST_SU_PNS1_23onesweep_lookback_stateEbbT6_jjT7_P12ihipStream_tbENKUlT_T0_SI_SN_E_clISD_SD_SD_SD_EEDaS11_S12_SI_SN_EUlS11_E_NS1_11comp_targetILNS1_3genE2ELNS1_11target_archE906ELNS1_3gpuE6ELNS1_3repE0EEENS1_47radix_sort_onesweep_sort_config_static_selectorELNS0_4arch9wavefront6targetE1EEEvSI_
                                        ; -- End function
	.set _ZN7rocprim17ROCPRIM_400000_NS6detail17trampoline_kernelINS0_14default_configENS1_35radix_sort_onesweep_config_selectorIyyEEZZNS1_29radix_sort_onesweep_iterationIS3_Lb0EN6thrust23THRUST_200600_302600_NS6detail15normal_iteratorINS8_10device_ptrIyEEEESD_SD_SD_jNS0_19identity_decomposerENS1_16block_id_wrapperIjLb0EEEEE10hipError_tT1_PNSt15iterator_traitsISI_E10value_typeET2_T3_PNSJ_ISO_E10value_typeET4_T5_PST_SU_PNS1_23onesweep_lookback_stateEbbT6_jjT7_P12ihipStream_tbENKUlT_T0_SI_SN_E_clISD_SD_SD_SD_EEDaS11_S12_SI_SN_EUlS11_E_NS1_11comp_targetILNS1_3genE2ELNS1_11target_archE906ELNS1_3gpuE6ELNS1_3repE0EEENS1_47radix_sort_onesweep_sort_config_static_selectorELNS0_4arch9wavefront6targetE1EEEvSI_.num_vgpr, 0
	.set _ZN7rocprim17ROCPRIM_400000_NS6detail17trampoline_kernelINS0_14default_configENS1_35radix_sort_onesweep_config_selectorIyyEEZZNS1_29radix_sort_onesweep_iterationIS3_Lb0EN6thrust23THRUST_200600_302600_NS6detail15normal_iteratorINS8_10device_ptrIyEEEESD_SD_SD_jNS0_19identity_decomposerENS1_16block_id_wrapperIjLb0EEEEE10hipError_tT1_PNSt15iterator_traitsISI_E10value_typeET2_T3_PNSJ_ISO_E10value_typeET4_T5_PST_SU_PNS1_23onesweep_lookback_stateEbbT6_jjT7_P12ihipStream_tbENKUlT_T0_SI_SN_E_clISD_SD_SD_SD_EEDaS11_S12_SI_SN_EUlS11_E_NS1_11comp_targetILNS1_3genE2ELNS1_11target_archE906ELNS1_3gpuE6ELNS1_3repE0EEENS1_47radix_sort_onesweep_sort_config_static_selectorELNS0_4arch9wavefront6targetE1EEEvSI_.num_agpr, 0
	.set _ZN7rocprim17ROCPRIM_400000_NS6detail17trampoline_kernelINS0_14default_configENS1_35radix_sort_onesweep_config_selectorIyyEEZZNS1_29radix_sort_onesweep_iterationIS3_Lb0EN6thrust23THRUST_200600_302600_NS6detail15normal_iteratorINS8_10device_ptrIyEEEESD_SD_SD_jNS0_19identity_decomposerENS1_16block_id_wrapperIjLb0EEEEE10hipError_tT1_PNSt15iterator_traitsISI_E10value_typeET2_T3_PNSJ_ISO_E10value_typeET4_T5_PST_SU_PNS1_23onesweep_lookback_stateEbbT6_jjT7_P12ihipStream_tbENKUlT_T0_SI_SN_E_clISD_SD_SD_SD_EEDaS11_S12_SI_SN_EUlS11_E_NS1_11comp_targetILNS1_3genE2ELNS1_11target_archE906ELNS1_3gpuE6ELNS1_3repE0EEENS1_47radix_sort_onesweep_sort_config_static_selectorELNS0_4arch9wavefront6targetE1EEEvSI_.numbered_sgpr, 0
	.set _ZN7rocprim17ROCPRIM_400000_NS6detail17trampoline_kernelINS0_14default_configENS1_35radix_sort_onesweep_config_selectorIyyEEZZNS1_29radix_sort_onesweep_iterationIS3_Lb0EN6thrust23THRUST_200600_302600_NS6detail15normal_iteratorINS8_10device_ptrIyEEEESD_SD_SD_jNS0_19identity_decomposerENS1_16block_id_wrapperIjLb0EEEEE10hipError_tT1_PNSt15iterator_traitsISI_E10value_typeET2_T3_PNSJ_ISO_E10value_typeET4_T5_PST_SU_PNS1_23onesweep_lookback_stateEbbT6_jjT7_P12ihipStream_tbENKUlT_T0_SI_SN_E_clISD_SD_SD_SD_EEDaS11_S12_SI_SN_EUlS11_E_NS1_11comp_targetILNS1_3genE2ELNS1_11target_archE906ELNS1_3gpuE6ELNS1_3repE0EEENS1_47radix_sort_onesweep_sort_config_static_selectorELNS0_4arch9wavefront6targetE1EEEvSI_.num_named_barrier, 0
	.set _ZN7rocprim17ROCPRIM_400000_NS6detail17trampoline_kernelINS0_14default_configENS1_35radix_sort_onesweep_config_selectorIyyEEZZNS1_29radix_sort_onesweep_iterationIS3_Lb0EN6thrust23THRUST_200600_302600_NS6detail15normal_iteratorINS8_10device_ptrIyEEEESD_SD_SD_jNS0_19identity_decomposerENS1_16block_id_wrapperIjLb0EEEEE10hipError_tT1_PNSt15iterator_traitsISI_E10value_typeET2_T3_PNSJ_ISO_E10value_typeET4_T5_PST_SU_PNS1_23onesweep_lookback_stateEbbT6_jjT7_P12ihipStream_tbENKUlT_T0_SI_SN_E_clISD_SD_SD_SD_EEDaS11_S12_SI_SN_EUlS11_E_NS1_11comp_targetILNS1_3genE2ELNS1_11target_archE906ELNS1_3gpuE6ELNS1_3repE0EEENS1_47radix_sort_onesweep_sort_config_static_selectorELNS0_4arch9wavefront6targetE1EEEvSI_.private_seg_size, 0
	.set _ZN7rocprim17ROCPRIM_400000_NS6detail17trampoline_kernelINS0_14default_configENS1_35radix_sort_onesweep_config_selectorIyyEEZZNS1_29radix_sort_onesweep_iterationIS3_Lb0EN6thrust23THRUST_200600_302600_NS6detail15normal_iteratorINS8_10device_ptrIyEEEESD_SD_SD_jNS0_19identity_decomposerENS1_16block_id_wrapperIjLb0EEEEE10hipError_tT1_PNSt15iterator_traitsISI_E10value_typeET2_T3_PNSJ_ISO_E10value_typeET4_T5_PST_SU_PNS1_23onesweep_lookback_stateEbbT6_jjT7_P12ihipStream_tbENKUlT_T0_SI_SN_E_clISD_SD_SD_SD_EEDaS11_S12_SI_SN_EUlS11_E_NS1_11comp_targetILNS1_3genE2ELNS1_11target_archE906ELNS1_3gpuE6ELNS1_3repE0EEENS1_47radix_sort_onesweep_sort_config_static_selectorELNS0_4arch9wavefront6targetE1EEEvSI_.uses_vcc, 0
	.set _ZN7rocprim17ROCPRIM_400000_NS6detail17trampoline_kernelINS0_14default_configENS1_35radix_sort_onesweep_config_selectorIyyEEZZNS1_29radix_sort_onesweep_iterationIS3_Lb0EN6thrust23THRUST_200600_302600_NS6detail15normal_iteratorINS8_10device_ptrIyEEEESD_SD_SD_jNS0_19identity_decomposerENS1_16block_id_wrapperIjLb0EEEEE10hipError_tT1_PNSt15iterator_traitsISI_E10value_typeET2_T3_PNSJ_ISO_E10value_typeET4_T5_PST_SU_PNS1_23onesweep_lookback_stateEbbT6_jjT7_P12ihipStream_tbENKUlT_T0_SI_SN_E_clISD_SD_SD_SD_EEDaS11_S12_SI_SN_EUlS11_E_NS1_11comp_targetILNS1_3genE2ELNS1_11target_archE906ELNS1_3gpuE6ELNS1_3repE0EEENS1_47radix_sort_onesweep_sort_config_static_selectorELNS0_4arch9wavefront6targetE1EEEvSI_.uses_flat_scratch, 0
	.set _ZN7rocprim17ROCPRIM_400000_NS6detail17trampoline_kernelINS0_14default_configENS1_35radix_sort_onesweep_config_selectorIyyEEZZNS1_29radix_sort_onesweep_iterationIS3_Lb0EN6thrust23THRUST_200600_302600_NS6detail15normal_iteratorINS8_10device_ptrIyEEEESD_SD_SD_jNS0_19identity_decomposerENS1_16block_id_wrapperIjLb0EEEEE10hipError_tT1_PNSt15iterator_traitsISI_E10value_typeET2_T3_PNSJ_ISO_E10value_typeET4_T5_PST_SU_PNS1_23onesweep_lookback_stateEbbT6_jjT7_P12ihipStream_tbENKUlT_T0_SI_SN_E_clISD_SD_SD_SD_EEDaS11_S12_SI_SN_EUlS11_E_NS1_11comp_targetILNS1_3genE2ELNS1_11target_archE906ELNS1_3gpuE6ELNS1_3repE0EEENS1_47radix_sort_onesweep_sort_config_static_selectorELNS0_4arch9wavefront6targetE1EEEvSI_.has_dyn_sized_stack, 0
	.set _ZN7rocprim17ROCPRIM_400000_NS6detail17trampoline_kernelINS0_14default_configENS1_35radix_sort_onesweep_config_selectorIyyEEZZNS1_29radix_sort_onesweep_iterationIS3_Lb0EN6thrust23THRUST_200600_302600_NS6detail15normal_iteratorINS8_10device_ptrIyEEEESD_SD_SD_jNS0_19identity_decomposerENS1_16block_id_wrapperIjLb0EEEEE10hipError_tT1_PNSt15iterator_traitsISI_E10value_typeET2_T3_PNSJ_ISO_E10value_typeET4_T5_PST_SU_PNS1_23onesweep_lookback_stateEbbT6_jjT7_P12ihipStream_tbENKUlT_T0_SI_SN_E_clISD_SD_SD_SD_EEDaS11_S12_SI_SN_EUlS11_E_NS1_11comp_targetILNS1_3genE2ELNS1_11target_archE906ELNS1_3gpuE6ELNS1_3repE0EEENS1_47radix_sort_onesweep_sort_config_static_selectorELNS0_4arch9wavefront6targetE1EEEvSI_.has_recursion, 0
	.set _ZN7rocprim17ROCPRIM_400000_NS6detail17trampoline_kernelINS0_14default_configENS1_35radix_sort_onesweep_config_selectorIyyEEZZNS1_29radix_sort_onesweep_iterationIS3_Lb0EN6thrust23THRUST_200600_302600_NS6detail15normal_iteratorINS8_10device_ptrIyEEEESD_SD_SD_jNS0_19identity_decomposerENS1_16block_id_wrapperIjLb0EEEEE10hipError_tT1_PNSt15iterator_traitsISI_E10value_typeET2_T3_PNSJ_ISO_E10value_typeET4_T5_PST_SU_PNS1_23onesweep_lookback_stateEbbT6_jjT7_P12ihipStream_tbENKUlT_T0_SI_SN_E_clISD_SD_SD_SD_EEDaS11_S12_SI_SN_EUlS11_E_NS1_11comp_targetILNS1_3genE2ELNS1_11target_archE906ELNS1_3gpuE6ELNS1_3repE0EEENS1_47radix_sort_onesweep_sort_config_static_selectorELNS0_4arch9wavefront6targetE1EEEvSI_.has_indirect_call, 0
	.section	.AMDGPU.csdata,"",@progbits
; Kernel info:
; codeLenInByte = 0
; TotalNumSgprs: 6
; NumVgprs: 0
; NumAgprs: 0
; TotalNumVgprs: 0
; ScratchSize: 0
; MemoryBound: 0
; FloatMode: 240
; IeeeMode: 1
; LDSByteSize: 0 bytes/workgroup (compile time only)
; SGPRBlocks: 0
; VGPRBlocks: 0
; NumSGPRsForWavesPerEU: 6
; NumVGPRsForWavesPerEU: 1
; AccumOffset: 4
; Occupancy: 8
; WaveLimiterHint : 0
; COMPUTE_PGM_RSRC2:SCRATCH_EN: 0
; COMPUTE_PGM_RSRC2:USER_SGPR: 2
; COMPUTE_PGM_RSRC2:TRAP_HANDLER: 0
; COMPUTE_PGM_RSRC2:TGID_X_EN: 1
; COMPUTE_PGM_RSRC2:TGID_Y_EN: 0
; COMPUTE_PGM_RSRC2:TGID_Z_EN: 0
; COMPUTE_PGM_RSRC2:TIDIG_COMP_CNT: 0
; COMPUTE_PGM_RSRC3_GFX90A:ACCUM_OFFSET: 0
; COMPUTE_PGM_RSRC3_GFX90A:TG_SPLIT: 0
	.section	.text._ZN7rocprim17ROCPRIM_400000_NS6detail17trampoline_kernelINS0_14default_configENS1_35radix_sort_onesweep_config_selectorIyyEEZZNS1_29radix_sort_onesweep_iterationIS3_Lb0EN6thrust23THRUST_200600_302600_NS6detail15normal_iteratorINS8_10device_ptrIyEEEESD_SD_SD_jNS0_19identity_decomposerENS1_16block_id_wrapperIjLb0EEEEE10hipError_tT1_PNSt15iterator_traitsISI_E10value_typeET2_T3_PNSJ_ISO_E10value_typeET4_T5_PST_SU_PNS1_23onesweep_lookback_stateEbbT6_jjT7_P12ihipStream_tbENKUlT_T0_SI_SN_E_clISD_SD_SD_SD_EEDaS11_S12_SI_SN_EUlS11_E_NS1_11comp_targetILNS1_3genE4ELNS1_11target_archE910ELNS1_3gpuE8ELNS1_3repE0EEENS1_47radix_sort_onesweep_sort_config_static_selectorELNS0_4arch9wavefront6targetE1EEEvSI_,"axG",@progbits,_ZN7rocprim17ROCPRIM_400000_NS6detail17trampoline_kernelINS0_14default_configENS1_35radix_sort_onesweep_config_selectorIyyEEZZNS1_29radix_sort_onesweep_iterationIS3_Lb0EN6thrust23THRUST_200600_302600_NS6detail15normal_iteratorINS8_10device_ptrIyEEEESD_SD_SD_jNS0_19identity_decomposerENS1_16block_id_wrapperIjLb0EEEEE10hipError_tT1_PNSt15iterator_traitsISI_E10value_typeET2_T3_PNSJ_ISO_E10value_typeET4_T5_PST_SU_PNS1_23onesweep_lookback_stateEbbT6_jjT7_P12ihipStream_tbENKUlT_T0_SI_SN_E_clISD_SD_SD_SD_EEDaS11_S12_SI_SN_EUlS11_E_NS1_11comp_targetILNS1_3genE4ELNS1_11target_archE910ELNS1_3gpuE8ELNS1_3repE0EEENS1_47radix_sort_onesweep_sort_config_static_selectorELNS0_4arch9wavefront6targetE1EEEvSI_,comdat
	.protected	_ZN7rocprim17ROCPRIM_400000_NS6detail17trampoline_kernelINS0_14default_configENS1_35radix_sort_onesweep_config_selectorIyyEEZZNS1_29radix_sort_onesweep_iterationIS3_Lb0EN6thrust23THRUST_200600_302600_NS6detail15normal_iteratorINS8_10device_ptrIyEEEESD_SD_SD_jNS0_19identity_decomposerENS1_16block_id_wrapperIjLb0EEEEE10hipError_tT1_PNSt15iterator_traitsISI_E10value_typeET2_T3_PNSJ_ISO_E10value_typeET4_T5_PST_SU_PNS1_23onesweep_lookback_stateEbbT6_jjT7_P12ihipStream_tbENKUlT_T0_SI_SN_E_clISD_SD_SD_SD_EEDaS11_S12_SI_SN_EUlS11_E_NS1_11comp_targetILNS1_3genE4ELNS1_11target_archE910ELNS1_3gpuE8ELNS1_3repE0EEENS1_47radix_sort_onesweep_sort_config_static_selectorELNS0_4arch9wavefront6targetE1EEEvSI_ ; -- Begin function _ZN7rocprim17ROCPRIM_400000_NS6detail17trampoline_kernelINS0_14default_configENS1_35radix_sort_onesweep_config_selectorIyyEEZZNS1_29radix_sort_onesweep_iterationIS3_Lb0EN6thrust23THRUST_200600_302600_NS6detail15normal_iteratorINS8_10device_ptrIyEEEESD_SD_SD_jNS0_19identity_decomposerENS1_16block_id_wrapperIjLb0EEEEE10hipError_tT1_PNSt15iterator_traitsISI_E10value_typeET2_T3_PNSJ_ISO_E10value_typeET4_T5_PST_SU_PNS1_23onesweep_lookback_stateEbbT6_jjT7_P12ihipStream_tbENKUlT_T0_SI_SN_E_clISD_SD_SD_SD_EEDaS11_S12_SI_SN_EUlS11_E_NS1_11comp_targetILNS1_3genE4ELNS1_11target_archE910ELNS1_3gpuE8ELNS1_3repE0EEENS1_47radix_sort_onesweep_sort_config_static_selectorELNS0_4arch9wavefront6targetE1EEEvSI_
	.globl	_ZN7rocprim17ROCPRIM_400000_NS6detail17trampoline_kernelINS0_14default_configENS1_35radix_sort_onesweep_config_selectorIyyEEZZNS1_29radix_sort_onesweep_iterationIS3_Lb0EN6thrust23THRUST_200600_302600_NS6detail15normal_iteratorINS8_10device_ptrIyEEEESD_SD_SD_jNS0_19identity_decomposerENS1_16block_id_wrapperIjLb0EEEEE10hipError_tT1_PNSt15iterator_traitsISI_E10value_typeET2_T3_PNSJ_ISO_E10value_typeET4_T5_PST_SU_PNS1_23onesweep_lookback_stateEbbT6_jjT7_P12ihipStream_tbENKUlT_T0_SI_SN_E_clISD_SD_SD_SD_EEDaS11_S12_SI_SN_EUlS11_E_NS1_11comp_targetILNS1_3genE4ELNS1_11target_archE910ELNS1_3gpuE8ELNS1_3repE0EEENS1_47radix_sort_onesweep_sort_config_static_selectorELNS0_4arch9wavefront6targetE1EEEvSI_
	.p2align	8
	.type	_ZN7rocprim17ROCPRIM_400000_NS6detail17trampoline_kernelINS0_14default_configENS1_35radix_sort_onesweep_config_selectorIyyEEZZNS1_29radix_sort_onesweep_iterationIS3_Lb0EN6thrust23THRUST_200600_302600_NS6detail15normal_iteratorINS8_10device_ptrIyEEEESD_SD_SD_jNS0_19identity_decomposerENS1_16block_id_wrapperIjLb0EEEEE10hipError_tT1_PNSt15iterator_traitsISI_E10value_typeET2_T3_PNSJ_ISO_E10value_typeET4_T5_PST_SU_PNS1_23onesweep_lookback_stateEbbT6_jjT7_P12ihipStream_tbENKUlT_T0_SI_SN_E_clISD_SD_SD_SD_EEDaS11_S12_SI_SN_EUlS11_E_NS1_11comp_targetILNS1_3genE4ELNS1_11target_archE910ELNS1_3gpuE8ELNS1_3repE0EEENS1_47radix_sort_onesweep_sort_config_static_selectorELNS0_4arch9wavefront6targetE1EEEvSI_,@function
_ZN7rocprim17ROCPRIM_400000_NS6detail17trampoline_kernelINS0_14default_configENS1_35radix_sort_onesweep_config_selectorIyyEEZZNS1_29radix_sort_onesweep_iterationIS3_Lb0EN6thrust23THRUST_200600_302600_NS6detail15normal_iteratorINS8_10device_ptrIyEEEESD_SD_SD_jNS0_19identity_decomposerENS1_16block_id_wrapperIjLb0EEEEE10hipError_tT1_PNSt15iterator_traitsISI_E10value_typeET2_T3_PNSJ_ISO_E10value_typeET4_T5_PST_SU_PNS1_23onesweep_lookback_stateEbbT6_jjT7_P12ihipStream_tbENKUlT_T0_SI_SN_E_clISD_SD_SD_SD_EEDaS11_S12_SI_SN_EUlS11_E_NS1_11comp_targetILNS1_3genE4ELNS1_11target_archE910ELNS1_3gpuE8ELNS1_3repE0EEENS1_47radix_sort_onesweep_sort_config_static_selectorELNS0_4arch9wavefront6targetE1EEEvSI_: ; @_ZN7rocprim17ROCPRIM_400000_NS6detail17trampoline_kernelINS0_14default_configENS1_35radix_sort_onesweep_config_selectorIyyEEZZNS1_29radix_sort_onesweep_iterationIS3_Lb0EN6thrust23THRUST_200600_302600_NS6detail15normal_iteratorINS8_10device_ptrIyEEEESD_SD_SD_jNS0_19identity_decomposerENS1_16block_id_wrapperIjLb0EEEEE10hipError_tT1_PNSt15iterator_traitsISI_E10value_typeET2_T3_PNSJ_ISO_E10value_typeET4_T5_PST_SU_PNS1_23onesweep_lookback_stateEbbT6_jjT7_P12ihipStream_tbENKUlT_T0_SI_SN_E_clISD_SD_SD_SD_EEDaS11_S12_SI_SN_EUlS11_E_NS1_11comp_targetILNS1_3genE4ELNS1_11target_archE910ELNS1_3gpuE8ELNS1_3repE0EEENS1_47radix_sort_onesweep_sort_config_static_selectorELNS0_4arch9wavefront6targetE1EEEvSI_
; %bb.0:
	.section	.rodata,"a",@progbits
	.p2align	6, 0x0
	.amdhsa_kernel _ZN7rocprim17ROCPRIM_400000_NS6detail17trampoline_kernelINS0_14default_configENS1_35radix_sort_onesweep_config_selectorIyyEEZZNS1_29radix_sort_onesweep_iterationIS3_Lb0EN6thrust23THRUST_200600_302600_NS6detail15normal_iteratorINS8_10device_ptrIyEEEESD_SD_SD_jNS0_19identity_decomposerENS1_16block_id_wrapperIjLb0EEEEE10hipError_tT1_PNSt15iterator_traitsISI_E10value_typeET2_T3_PNSJ_ISO_E10value_typeET4_T5_PST_SU_PNS1_23onesweep_lookback_stateEbbT6_jjT7_P12ihipStream_tbENKUlT_T0_SI_SN_E_clISD_SD_SD_SD_EEDaS11_S12_SI_SN_EUlS11_E_NS1_11comp_targetILNS1_3genE4ELNS1_11target_archE910ELNS1_3gpuE8ELNS1_3repE0EEENS1_47radix_sort_onesweep_sort_config_static_selectorELNS0_4arch9wavefront6targetE1EEEvSI_
		.amdhsa_group_segment_fixed_size 0
		.amdhsa_private_segment_fixed_size 0
		.amdhsa_kernarg_size 88
		.amdhsa_user_sgpr_count 2
		.amdhsa_user_sgpr_dispatch_ptr 0
		.amdhsa_user_sgpr_queue_ptr 0
		.amdhsa_user_sgpr_kernarg_segment_ptr 1
		.amdhsa_user_sgpr_dispatch_id 0
		.amdhsa_user_sgpr_kernarg_preload_length 0
		.amdhsa_user_sgpr_kernarg_preload_offset 0
		.amdhsa_user_sgpr_private_segment_size 0
		.amdhsa_uses_dynamic_stack 0
		.amdhsa_enable_private_segment 0
		.amdhsa_system_sgpr_workgroup_id_x 1
		.amdhsa_system_sgpr_workgroup_id_y 0
		.amdhsa_system_sgpr_workgroup_id_z 0
		.amdhsa_system_sgpr_workgroup_info 0
		.amdhsa_system_vgpr_workitem_id 0
		.amdhsa_next_free_vgpr 1
		.amdhsa_next_free_sgpr 0
		.amdhsa_accum_offset 4
		.amdhsa_reserve_vcc 0
		.amdhsa_float_round_mode_32 0
		.amdhsa_float_round_mode_16_64 0
		.amdhsa_float_denorm_mode_32 3
		.amdhsa_float_denorm_mode_16_64 3
		.amdhsa_dx10_clamp 1
		.amdhsa_ieee_mode 1
		.amdhsa_fp16_overflow 0
		.amdhsa_tg_split 0
		.amdhsa_exception_fp_ieee_invalid_op 0
		.amdhsa_exception_fp_denorm_src 0
		.amdhsa_exception_fp_ieee_div_zero 0
		.amdhsa_exception_fp_ieee_overflow 0
		.amdhsa_exception_fp_ieee_underflow 0
		.amdhsa_exception_fp_ieee_inexact 0
		.amdhsa_exception_int_div_zero 0
	.end_amdhsa_kernel
	.section	.text._ZN7rocprim17ROCPRIM_400000_NS6detail17trampoline_kernelINS0_14default_configENS1_35radix_sort_onesweep_config_selectorIyyEEZZNS1_29radix_sort_onesweep_iterationIS3_Lb0EN6thrust23THRUST_200600_302600_NS6detail15normal_iteratorINS8_10device_ptrIyEEEESD_SD_SD_jNS0_19identity_decomposerENS1_16block_id_wrapperIjLb0EEEEE10hipError_tT1_PNSt15iterator_traitsISI_E10value_typeET2_T3_PNSJ_ISO_E10value_typeET4_T5_PST_SU_PNS1_23onesweep_lookback_stateEbbT6_jjT7_P12ihipStream_tbENKUlT_T0_SI_SN_E_clISD_SD_SD_SD_EEDaS11_S12_SI_SN_EUlS11_E_NS1_11comp_targetILNS1_3genE4ELNS1_11target_archE910ELNS1_3gpuE8ELNS1_3repE0EEENS1_47radix_sort_onesweep_sort_config_static_selectorELNS0_4arch9wavefront6targetE1EEEvSI_,"axG",@progbits,_ZN7rocprim17ROCPRIM_400000_NS6detail17trampoline_kernelINS0_14default_configENS1_35radix_sort_onesweep_config_selectorIyyEEZZNS1_29radix_sort_onesweep_iterationIS3_Lb0EN6thrust23THRUST_200600_302600_NS6detail15normal_iteratorINS8_10device_ptrIyEEEESD_SD_SD_jNS0_19identity_decomposerENS1_16block_id_wrapperIjLb0EEEEE10hipError_tT1_PNSt15iterator_traitsISI_E10value_typeET2_T3_PNSJ_ISO_E10value_typeET4_T5_PST_SU_PNS1_23onesweep_lookback_stateEbbT6_jjT7_P12ihipStream_tbENKUlT_T0_SI_SN_E_clISD_SD_SD_SD_EEDaS11_S12_SI_SN_EUlS11_E_NS1_11comp_targetILNS1_3genE4ELNS1_11target_archE910ELNS1_3gpuE8ELNS1_3repE0EEENS1_47radix_sort_onesweep_sort_config_static_selectorELNS0_4arch9wavefront6targetE1EEEvSI_,comdat
.Lfunc_end559:
	.size	_ZN7rocprim17ROCPRIM_400000_NS6detail17trampoline_kernelINS0_14default_configENS1_35radix_sort_onesweep_config_selectorIyyEEZZNS1_29radix_sort_onesweep_iterationIS3_Lb0EN6thrust23THRUST_200600_302600_NS6detail15normal_iteratorINS8_10device_ptrIyEEEESD_SD_SD_jNS0_19identity_decomposerENS1_16block_id_wrapperIjLb0EEEEE10hipError_tT1_PNSt15iterator_traitsISI_E10value_typeET2_T3_PNSJ_ISO_E10value_typeET4_T5_PST_SU_PNS1_23onesweep_lookback_stateEbbT6_jjT7_P12ihipStream_tbENKUlT_T0_SI_SN_E_clISD_SD_SD_SD_EEDaS11_S12_SI_SN_EUlS11_E_NS1_11comp_targetILNS1_3genE4ELNS1_11target_archE910ELNS1_3gpuE8ELNS1_3repE0EEENS1_47radix_sort_onesweep_sort_config_static_selectorELNS0_4arch9wavefront6targetE1EEEvSI_, .Lfunc_end559-_ZN7rocprim17ROCPRIM_400000_NS6detail17trampoline_kernelINS0_14default_configENS1_35radix_sort_onesweep_config_selectorIyyEEZZNS1_29radix_sort_onesweep_iterationIS3_Lb0EN6thrust23THRUST_200600_302600_NS6detail15normal_iteratorINS8_10device_ptrIyEEEESD_SD_SD_jNS0_19identity_decomposerENS1_16block_id_wrapperIjLb0EEEEE10hipError_tT1_PNSt15iterator_traitsISI_E10value_typeET2_T3_PNSJ_ISO_E10value_typeET4_T5_PST_SU_PNS1_23onesweep_lookback_stateEbbT6_jjT7_P12ihipStream_tbENKUlT_T0_SI_SN_E_clISD_SD_SD_SD_EEDaS11_S12_SI_SN_EUlS11_E_NS1_11comp_targetILNS1_3genE4ELNS1_11target_archE910ELNS1_3gpuE8ELNS1_3repE0EEENS1_47radix_sort_onesweep_sort_config_static_selectorELNS0_4arch9wavefront6targetE1EEEvSI_
                                        ; -- End function
	.set _ZN7rocprim17ROCPRIM_400000_NS6detail17trampoline_kernelINS0_14default_configENS1_35radix_sort_onesweep_config_selectorIyyEEZZNS1_29radix_sort_onesweep_iterationIS3_Lb0EN6thrust23THRUST_200600_302600_NS6detail15normal_iteratorINS8_10device_ptrIyEEEESD_SD_SD_jNS0_19identity_decomposerENS1_16block_id_wrapperIjLb0EEEEE10hipError_tT1_PNSt15iterator_traitsISI_E10value_typeET2_T3_PNSJ_ISO_E10value_typeET4_T5_PST_SU_PNS1_23onesweep_lookback_stateEbbT6_jjT7_P12ihipStream_tbENKUlT_T0_SI_SN_E_clISD_SD_SD_SD_EEDaS11_S12_SI_SN_EUlS11_E_NS1_11comp_targetILNS1_3genE4ELNS1_11target_archE910ELNS1_3gpuE8ELNS1_3repE0EEENS1_47radix_sort_onesweep_sort_config_static_selectorELNS0_4arch9wavefront6targetE1EEEvSI_.num_vgpr, 0
	.set _ZN7rocprim17ROCPRIM_400000_NS6detail17trampoline_kernelINS0_14default_configENS1_35radix_sort_onesweep_config_selectorIyyEEZZNS1_29radix_sort_onesweep_iterationIS3_Lb0EN6thrust23THRUST_200600_302600_NS6detail15normal_iteratorINS8_10device_ptrIyEEEESD_SD_SD_jNS0_19identity_decomposerENS1_16block_id_wrapperIjLb0EEEEE10hipError_tT1_PNSt15iterator_traitsISI_E10value_typeET2_T3_PNSJ_ISO_E10value_typeET4_T5_PST_SU_PNS1_23onesweep_lookback_stateEbbT6_jjT7_P12ihipStream_tbENKUlT_T0_SI_SN_E_clISD_SD_SD_SD_EEDaS11_S12_SI_SN_EUlS11_E_NS1_11comp_targetILNS1_3genE4ELNS1_11target_archE910ELNS1_3gpuE8ELNS1_3repE0EEENS1_47radix_sort_onesweep_sort_config_static_selectorELNS0_4arch9wavefront6targetE1EEEvSI_.num_agpr, 0
	.set _ZN7rocprim17ROCPRIM_400000_NS6detail17trampoline_kernelINS0_14default_configENS1_35radix_sort_onesweep_config_selectorIyyEEZZNS1_29radix_sort_onesweep_iterationIS3_Lb0EN6thrust23THRUST_200600_302600_NS6detail15normal_iteratorINS8_10device_ptrIyEEEESD_SD_SD_jNS0_19identity_decomposerENS1_16block_id_wrapperIjLb0EEEEE10hipError_tT1_PNSt15iterator_traitsISI_E10value_typeET2_T3_PNSJ_ISO_E10value_typeET4_T5_PST_SU_PNS1_23onesweep_lookback_stateEbbT6_jjT7_P12ihipStream_tbENKUlT_T0_SI_SN_E_clISD_SD_SD_SD_EEDaS11_S12_SI_SN_EUlS11_E_NS1_11comp_targetILNS1_3genE4ELNS1_11target_archE910ELNS1_3gpuE8ELNS1_3repE0EEENS1_47radix_sort_onesweep_sort_config_static_selectorELNS0_4arch9wavefront6targetE1EEEvSI_.numbered_sgpr, 0
	.set _ZN7rocprim17ROCPRIM_400000_NS6detail17trampoline_kernelINS0_14default_configENS1_35radix_sort_onesweep_config_selectorIyyEEZZNS1_29radix_sort_onesweep_iterationIS3_Lb0EN6thrust23THRUST_200600_302600_NS6detail15normal_iteratorINS8_10device_ptrIyEEEESD_SD_SD_jNS0_19identity_decomposerENS1_16block_id_wrapperIjLb0EEEEE10hipError_tT1_PNSt15iterator_traitsISI_E10value_typeET2_T3_PNSJ_ISO_E10value_typeET4_T5_PST_SU_PNS1_23onesweep_lookback_stateEbbT6_jjT7_P12ihipStream_tbENKUlT_T0_SI_SN_E_clISD_SD_SD_SD_EEDaS11_S12_SI_SN_EUlS11_E_NS1_11comp_targetILNS1_3genE4ELNS1_11target_archE910ELNS1_3gpuE8ELNS1_3repE0EEENS1_47radix_sort_onesweep_sort_config_static_selectorELNS0_4arch9wavefront6targetE1EEEvSI_.num_named_barrier, 0
	.set _ZN7rocprim17ROCPRIM_400000_NS6detail17trampoline_kernelINS0_14default_configENS1_35radix_sort_onesweep_config_selectorIyyEEZZNS1_29radix_sort_onesweep_iterationIS3_Lb0EN6thrust23THRUST_200600_302600_NS6detail15normal_iteratorINS8_10device_ptrIyEEEESD_SD_SD_jNS0_19identity_decomposerENS1_16block_id_wrapperIjLb0EEEEE10hipError_tT1_PNSt15iterator_traitsISI_E10value_typeET2_T3_PNSJ_ISO_E10value_typeET4_T5_PST_SU_PNS1_23onesweep_lookback_stateEbbT6_jjT7_P12ihipStream_tbENKUlT_T0_SI_SN_E_clISD_SD_SD_SD_EEDaS11_S12_SI_SN_EUlS11_E_NS1_11comp_targetILNS1_3genE4ELNS1_11target_archE910ELNS1_3gpuE8ELNS1_3repE0EEENS1_47radix_sort_onesweep_sort_config_static_selectorELNS0_4arch9wavefront6targetE1EEEvSI_.private_seg_size, 0
	.set _ZN7rocprim17ROCPRIM_400000_NS6detail17trampoline_kernelINS0_14default_configENS1_35radix_sort_onesweep_config_selectorIyyEEZZNS1_29radix_sort_onesweep_iterationIS3_Lb0EN6thrust23THRUST_200600_302600_NS6detail15normal_iteratorINS8_10device_ptrIyEEEESD_SD_SD_jNS0_19identity_decomposerENS1_16block_id_wrapperIjLb0EEEEE10hipError_tT1_PNSt15iterator_traitsISI_E10value_typeET2_T3_PNSJ_ISO_E10value_typeET4_T5_PST_SU_PNS1_23onesweep_lookback_stateEbbT6_jjT7_P12ihipStream_tbENKUlT_T0_SI_SN_E_clISD_SD_SD_SD_EEDaS11_S12_SI_SN_EUlS11_E_NS1_11comp_targetILNS1_3genE4ELNS1_11target_archE910ELNS1_3gpuE8ELNS1_3repE0EEENS1_47radix_sort_onesweep_sort_config_static_selectorELNS0_4arch9wavefront6targetE1EEEvSI_.uses_vcc, 0
	.set _ZN7rocprim17ROCPRIM_400000_NS6detail17trampoline_kernelINS0_14default_configENS1_35radix_sort_onesweep_config_selectorIyyEEZZNS1_29radix_sort_onesweep_iterationIS3_Lb0EN6thrust23THRUST_200600_302600_NS6detail15normal_iteratorINS8_10device_ptrIyEEEESD_SD_SD_jNS0_19identity_decomposerENS1_16block_id_wrapperIjLb0EEEEE10hipError_tT1_PNSt15iterator_traitsISI_E10value_typeET2_T3_PNSJ_ISO_E10value_typeET4_T5_PST_SU_PNS1_23onesweep_lookback_stateEbbT6_jjT7_P12ihipStream_tbENKUlT_T0_SI_SN_E_clISD_SD_SD_SD_EEDaS11_S12_SI_SN_EUlS11_E_NS1_11comp_targetILNS1_3genE4ELNS1_11target_archE910ELNS1_3gpuE8ELNS1_3repE0EEENS1_47radix_sort_onesweep_sort_config_static_selectorELNS0_4arch9wavefront6targetE1EEEvSI_.uses_flat_scratch, 0
	.set _ZN7rocprim17ROCPRIM_400000_NS6detail17trampoline_kernelINS0_14default_configENS1_35radix_sort_onesweep_config_selectorIyyEEZZNS1_29radix_sort_onesweep_iterationIS3_Lb0EN6thrust23THRUST_200600_302600_NS6detail15normal_iteratorINS8_10device_ptrIyEEEESD_SD_SD_jNS0_19identity_decomposerENS1_16block_id_wrapperIjLb0EEEEE10hipError_tT1_PNSt15iterator_traitsISI_E10value_typeET2_T3_PNSJ_ISO_E10value_typeET4_T5_PST_SU_PNS1_23onesweep_lookback_stateEbbT6_jjT7_P12ihipStream_tbENKUlT_T0_SI_SN_E_clISD_SD_SD_SD_EEDaS11_S12_SI_SN_EUlS11_E_NS1_11comp_targetILNS1_3genE4ELNS1_11target_archE910ELNS1_3gpuE8ELNS1_3repE0EEENS1_47radix_sort_onesweep_sort_config_static_selectorELNS0_4arch9wavefront6targetE1EEEvSI_.has_dyn_sized_stack, 0
	.set _ZN7rocprim17ROCPRIM_400000_NS6detail17trampoline_kernelINS0_14default_configENS1_35radix_sort_onesweep_config_selectorIyyEEZZNS1_29radix_sort_onesweep_iterationIS3_Lb0EN6thrust23THRUST_200600_302600_NS6detail15normal_iteratorINS8_10device_ptrIyEEEESD_SD_SD_jNS0_19identity_decomposerENS1_16block_id_wrapperIjLb0EEEEE10hipError_tT1_PNSt15iterator_traitsISI_E10value_typeET2_T3_PNSJ_ISO_E10value_typeET4_T5_PST_SU_PNS1_23onesweep_lookback_stateEbbT6_jjT7_P12ihipStream_tbENKUlT_T0_SI_SN_E_clISD_SD_SD_SD_EEDaS11_S12_SI_SN_EUlS11_E_NS1_11comp_targetILNS1_3genE4ELNS1_11target_archE910ELNS1_3gpuE8ELNS1_3repE0EEENS1_47radix_sort_onesweep_sort_config_static_selectorELNS0_4arch9wavefront6targetE1EEEvSI_.has_recursion, 0
	.set _ZN7rocprim17ROCPRIM_400000_NS6detail17trampoline_kernelINS0_14default_configENS1_35radix_sort_onesweep_config_selectorIyyEEZZNS1_29radix_sort_onesweep_iterationIS3_Lb0EN6thrust23THRUST_200600_302600_NS6detail15normal_iteratorINS8_10device_ptrIyEEEESD_SD_SD_jNS0_19identity_decomposerENS1_16block_id_wrapperIjLb0EEEEE10hipError_tT1_PNSt15iterator_traitsISI_E10value_typeET2_T3_PNSJ_ISO_E10value_typeET4_T5_PST_SU_PNS1_23onesweep_lookback_stateEbbT6_jjT7_P12ihipStream_tbENKUlT_T0_SI_SN_E_clISD_SD_SD_SD_EEDaS11_S12_SI_SN_EUlS11_E_NS1_11comp_targetILNS1_3genE4ELNS1_11target_archE910ELNS1_3gpuE8ELNS1_3repE0EEENS1_47radix_sort_onesweep_sort_config_static_selectorELNS0_4arch9wavefront6targetE1EEEvSI_.has_indirect_call, 0
	.section	.AMDGPU.csdata,"",@progbits
; Kernel info:
; codeLenInByte = 0
; TotalNumSgprs: 6
; NumVgprs: 0
; NumAgprs: 0
; TotalNumVgprs: 0
; ScratchSize: 0
; MemoryBound: 0
; FloatMode: 240
; IeeeMode: 1
; LDSByteSize: 0 bytes/workgroup (compile time only)
; SGPRBlocks: 0
; VGPRBlocks: 0
; NumSGPRsForWavesPerEU: 6
; NumVGPRsForWavesPerEU: 1
; AccumOffset: 4
; Occupancy: 8
; WaveLimiterHint : 0
; COMPUTE_PGM_RSRC2:SCRATCH_EN: 0
; COMPUTE_PGM_RSRC2:USER_SGPR: 2
; COMPUTE_PGM_RSRC2:TRAP_HANDLER: 0
; COMPUTE_PGM_RSRC2:TGID_X_EN: 1
; COMPUTE_PGM_RSRC2:TGID_Y_EN: 0
; COMPUTE_PGM_RSRC2:TGID_Z_EN: 0
; COMPUTE_PGM_RSRC2:TIDIG_COMP_CNT: 0
; COMPUTE_PGM_RSRC3_GFX90A:ACCUM_OFFSET: 0
; COMPUTE_PGM_RSRC3_GFX90A:TG_SPLIT: 0
	.section	.text._ZN7rocprim17ROCPRIM_400000_NS6detail17trampoline_kernelINS0_14default_configENS1_35radix_sort_onesweep_config_selectorIyyEEZZNS1_29radix_sort_onesweep_iterationIS3_Lb0EN6thrust23THRUST_200600_302600_NS6detail15normal_iteratorINS8_10device_ptrIyEEEESD_SD_SD_jNS0_19identity_decomposerENS1_16block_id_wrapperIjLb0EEEEE10hipError_tT1_PNSt15iterator_traitsISI_E10value_typeET2_T3_PNSJ_ISO_E10value_typeET4_T5_PST_SU_PNS1_23onesweep_lookback_stateEbbT6_jjT7_P12ihipStream_tbENKUlT_T0_SI_SN_E_clISD_SD_SD_SD_EEDaS11_S12_SI_SN_EUlS11_E_NS1_11comp_targetILNS1_3genE3ELNS1_11target_archE908ELNS1_3gpuE7ELNS1_3repE0EEENS1_47radix_sort_onesweep_sort_config_static_selectorELNS0_4arch9wavefront6targetE1EEEvSI_,"axG",@progbits,_ZN7rocprim17ROCPRIM_400000_NS6detail17trampoline_kernelINS0_14default_configENS1_35radix_sort_onesweep_config_selectorIyyEEZZNS1_29radix_sort_onesweep_iterationIS3_Lb0EN6thrust23THRUST_200600_302600_NS6detail15normal_iteratorINS8_10device_ptrIyEEEESD_SD_SD_jNS0_19identity_decomposerENS1_16block_id_wrapperIjLb0EEEEE10hipError_tT1_PNSt15iterator_traitsISI_E10value_typeET2_T3_PNSJ_ISO_E10value_typeET4_T5_PST_SU_PNS1_23onesweep_lookback_stateEbbT6_jjT7_P12ihipStream_tbENKUlT_T0_SI_SN_E_clISD_SD_SD_SD_EEDaS11_S12_SI_SN_EUlS11_E_NS1_11comp_targetILNS1_3genE3ELNS1_11target_archE908ELNS1_3gpuE7ELNS1_3repE0EEENS1_47radix_sort_onesweep_sort_config_static_selectorELNS0_4arch9wavefront6targetE1EEEvSI_,comdat
	.protected	_ZN7rocprim17ROCPRIM_400000_NS6detail17trampoline_kernelINS0_14default_configENS1_35radix_sort_onesweep_config_selectorIyyEEZZNS1_29radix_sort_onesweep_iterationIS3_Lb0EN6thrust23THRUST_200600_302600_NS6detail15normal_iteratorINS8_10device_ptrIyEEEESD_SD_SD_jNS0_19identity_decomposerENS1_16block_id_wrapperIjLb0EEEEE10hipError_tT1_PNSt15iterator_traitsISI_E10value_typeET2_T3_PNSJ_ISO_E10value_typeET4_T5_PST_SU_PNS1_23onesweep_lookback_stateEbbT6_jjT7_P12ihipStream_tbENKUlT_T0_SI_SN_E_clISD_SD_SD_SD_EEDaS11_S12_SI_SN_EUlS11_E_NS1_11comp_targetILNS1_3genE3ELNS1_11target_archE908ELNS1_3gpuE7ELNS1_3repE0EEENS1_47radix_sort_onesweep_sort_config_static_selectorELNS0_4arch9wavefront6targetE1EEEvSI_ ; -- Begin function _ZN7rocprim17ROCPRIM_400000_NS6detail17trampoline_kernelINS0_14default_configENS1_35radix_sort_onesweep_config_selectorIyyEEZZNS1_29radix_sort_onesweep_iterationIS3_Lb0EN6thrust23THRUST_200600_302600_NS6detail15normal_iteratorINS8_10device_ptrIyEEEESD_SD_SD_jNS0_19identity_decomposerENS1_16block_id_wrapperIjLb0EEEEE10hipError_tT1_PNSt15iterator_traitsISI_E10value_typeET2_T3_PNSJ_ISO_E10value_typeET4_T5_PST_SU_PNS1_23onesweep_lookback_stateEbbT6_jjT7_P12ihipStream_tbENKUlT_T0_SI_SN_E_clISD_SD_SD_SD_EEDaS11_S12_SI_SN_EUlS11_E_NS1_11comp_targetILNS1_3genE3ELNS1_11target_archE908ELNS1_3gpuE7ELNS1_3repE0EEENS1_47radix_sort_onesweep_sort_config_static_selectorELNS0_4arch9wavefront6targetE1EEEvSI_
	.globl	_ZN7rocprim17ROCPRIM_400000_NS6detail17trampoline_kernelINS0_14default_configENS1_35radix_sort_onesweep_config_selectorIyyEEZZNS1_29radix_sort_onesweep_iterationIS3_Lb0EN6thrust23THRUST_200600_302600_NS6detail15normal_iteratorINS8_10device_ptrIyEEEESD_SD_SD_jNS0_19identity_decomposerENS1_16block_id_wrapperIjLb0EEEEE10hipError_tT1_PNSt15iterator_traitsISI_E10value_typeET2_T3_PNSJ_ISO_E10value_typeET4_T5_PST_SU_PNS1_23onesweep_lookback_stateEbbT6_jjT7_P12ihipStream_tbENKUlT_T0_SI_SN_E_clISD_SD_SD_SD_EEDaS11_S12_SI_SN_EUlS11_E_NS1_11comp_targetILNS1_3genE3ELNS1_11target_archE908ELNS1_3gpuE7ELNS1_3repE0EEENS1_47radix_sort_onesweep_sort_config_static_selectorELNS0_4arch9wavefront6targetE1EEEvSI_
	.p2align	8
	.type	_ZN7rocprim17ROCPRIM_400000_NS6detail17trampoline_kernelINS0_14default_configENS1_35radix_sort_onesweep_config_selectorIyyEEZZNS1_29radix_sort_onesweep_iterationIS3_Lb0EN6thrust23THRUST_200600_302600_NS6detail15normal_iteratorINS8_10device_ptrIyEEEESD_SD_SD_jNS0_19identity_decomposerENS1_16block_id_wrapperIjLb0EEEEE10hipError_tT1_PNSt15iterator_traitsISI_E10value_typeET2_T3_PNSJ_ISO_E10value_typeET4_T5_PST_SU_PNS1_23onesweep_lookback_stateEbbT6_jjT7_P12ihipStream_tbENKUlT_T0_SI_SN_E_clISD_SD_SD_SD_EEDaS11_S12_SI_SN_EUlS11_E_NS1_11comp_targetILNS1_3genE3ELNS1_11target_archE908ELNS1_3gpuE7ELNS1_3repE0EEENS1_47radix_sort_onesweep_sort_config_static_selectorELNS0_4arch9wavefront6targetE1EEEvSI_,@function
_ZN7rocprim17ROCPRIM_400000_NS6detail17trampoline_kernelINS0_14default_configENS1_35radix_sort_onesweep_config_selectorIyyEEZZNS1_29radix_sort_onesweep_iterationIS3_Lb0EN6thrust23THRUST_200600_302600_NS6detail15normal_iteratorINS8_10device_ptrIyEEEESD_SD_SD_jNS0_19identity_decomposerENS1_16block_id_wrapperIjLb0EEEEE10hipError_tT1_PNSt15iterator_traitsISI_E10value_typeET2_T3_PNSJ_ISO_E10value_typeET4_T5_PST_SU_PNS1_23onesweep_lookback_stateEbbT6_jjT7_P12ihipStream_tbENKUlT_T0_SI_SN_E_clISD_SD_SD_SD_EEDaS11_S12_SI_SN_EUlS11_E_NS1_11comp_targetILNS1_3genE3ELNS1_11target_archE908ELNS1_3gpuE7ELNS1_3repE0EEENS1_47radix_sort_onesweep_sort_config_static_selectorELNS0_4arch9wavefront6targetE1EEEvSI_: ; @_ZN7rocprim17ROCPRIM_400000_NS6detail17trampoline_kernelINS0_14default_configENS1_35radix_sort_onesweep_config_selectorIyyEEZZNS1_29radix_sort_onesweep_iterationIS3_Lb0EN6thrust23THRUST_200600_302600_NS6detail15normal_iteratorINS8_10device_ptrIyEEEESD_SD_SD_jNS0_19identity_decomposerENS1_16block_id_wrapperIjLb0EEEEE10hipError_tT1_PNSt15iterator_traitsISI_E10value_typeET2_T3_PNSJ_ISO_E10value_typeET4_T5_PST_SU_PNS1_23onesweep_lookback_stateEbbT6_jjT7_P12ihipStream_tbENKUlT_T0_SI_SN_E_clISD_SD_SD_SD_EEDaS11_S12_SI_SN_EUlS11_E_NS1_11comp_targetILNS1_3genE3ELNS1_11target_archE908ELNS1_3gpuE7ELNS1_3repE0EEENS1_47radix_sort_onesweep_sort_config_static_selectorELNS0_4arch9wavefront6targetE1EEEvSI_
; %bb.0:
	.section	.rodata,"a",@progbits
	.p2align	6, 0x0
	.amdhsa_kernel _ZN7rocprim17ROCPRIM_400000_NS6detail17trampoline_kernelINS0_14default_configENS1_35radix_sort_onesweep_config_selectorIyyEEZZNS1_29radix_sort_onesweep_iterationIS3_Lb0EN6thrust23THRUST_200600_302600_NS6detail15normal_iteratorINS8_10device_ptrIyEEEESD_SD_SD_jNS0_19identity_decomposerENS1_16block_id_wrapperIjLb0EEEEE10hipError_tT1_PNSt15iterator_traitsISI_E10value_typeET2_T3_PNSJ_ISO_E10value_typeET4_T5_PST_SU_PNS1_23onesweep_lookback_stateEbbT6_jjT7_P12ihipStream_tbENKUlT_T0_SI_SN_E_clISD_SD_SD_SD_EEDaS11_S12_SI_SN_EUlS11_E_NS1_11comp_targetILNS1_3genE3ELNS1_11target_archE908ELNS1_3gpuE7ELNS1_3repE0EEENS1_47radix_sort_onesweep_sort_config_static_selectorELNS0_4arch9wavefront6targetE1EEEvSI_
		.amdhsa_group_segment_fixed_size 0
		.amdhsa_private_segment_fixed_size 0
		.amdhsa_kernarg_size 88
		.amdhsa_user_sgpr_count 2
		.amdhsa_user_sgpr_dispatch_ptr 0
		.amdhsa_user_sgpr_queue_ptr 0
		.amdhsa_user_sgpr_kernarg_segment_ptr 1
		.amdhsa_user_sgpr_dispatch_id 0
		.amdhsa_user_sgpr_kernarg_preload_length 0
		.amdhsa_user_sgpr_kernarg_preload_offset 0
		.amdhsa_user_sgpr_private_segment_size 0
		.amdhsa_uses_dynamic_stack 0
		.amdhsa_enable_private_segment 0
		.amdhsa_system_sgpr_workgroup_id_x 1
		.amdhsa_system_sgpr_workgroup_id_y 0
		.amdhsa_system_sgpr_workgroup_id_z 0
		.amdhsa_system_sgpr_workgroup_info 0
		.amdhsa_system_vgpr_workitem_id 0
		.amdhsa_next_free_vgpr 1
		.amdhsa_next_free_sgpr 0
		.amdhsa_accum_offset 4
		.amdhsa_reserve_vcc 0
		.amdhsa_float_round_mode_32 0
		.amdhsa_float_round_mode_16_64 0
		.amdhsa_float_denorm_mode_32 3
		.amdhsa_float_denorm_mode_16_64 3
		.amdhsa_dx10_clamp 1
		.amdhsa_ieee_mode 1
		.amdhsa_fp16_overflow 0
		.amdhsa_tg_split 0
		.amdhsa_exception_fp_ieee_invalid_op 0
		.amdhsa_exception_fp_denorm_src 0
		.amdhsa_exception_fp_ieee_div_zero 0
		.amdhsa_exception_fp_ieee_overflow 0
		.amdhsa_exception_fp_ieee_underflow 0
		.amdhsa_exception_fp_ieee_inexact 0
		.amdhsa_exception_int_div_zero 0
	.end_amdhsa_kernel
	.section	.text._ZN7rocprim17ROCPRIM_400000_NS6detail17trampoline_kernelINS0_14default_configENS1_35radix_sort_onesweep_config_selectorIyyEEZZNS1_29radix_sort_onesweep_iterationIS3_Lb0EN6thrust23THRUST_200600_302600_NS6detail15normal_iteratorINS8_10device_ptrIyEEEESD_SD_SD_jNS0_19identity_decomposerENS1_16block_id_wrapperIjLb0EEEEE10hipError_tT1_PNSt15iterator_traitsISI_E10value_typeET2_T3_PNSJ_ISO_E10value_typeET4_T5_PST_SU_PNS1_23onesweep_lookback_stateEbbT6_jjT7_P12ihipStream_tbENKUlT_T0_SI_SN_E_clISD_SD_SD_SD_EEDaS11_S12_SI_SN_EUlS11_E_NS1_11comp_targetILNS1_3genE3ELNS1_11target_archE908ELNS1_3gpuE7ELNS1_3repE0EEENS1_47radix_sort_onesweep_sort_config_static_selectorELNS0_4arch9wavefront6targetE1EEEvSI_,"axG",@progbits,_ZN7rocprim17ROCPRIM_400000_NS6detail17trampoline_kernelINS0_14default_configENS1_35radix_sort_onesweep_config_selectorIyyEEZZNS1_29radix_sort_onesweep_iterationIS3_Lb0EN6thrust23THRUST_200600_302600_NS6detail15normal_iteratorINS8_10device_ptrIyEEEESD_SD_SD_jNS0_19identity_decomposerENS1_16block_id_wrapperIjLb0EEEEE10hipError_tT1_PNSt15iterator_traitsISI_E10value_typeET2_T3_PNSJ_ISO_E10value_typeET4_T5_PST_SU_PNS1_23onesweep_lookback_stateEbbT6_jjT7_P12ihipStream_tbENKUlT_T0_SI_SN_E_clISD_SD_SD_SD_EEDaS11_S12_SI_SN_EUlS11_E_NS1_11comp_targetILNS1_3genE3ELNS1_11target_archE908ELNS1_3gpuE7ELNS1_3repE0EEENS1_47radix_sort_onesweep_sort_config_static_selectorELNS0_4arch9wavefront6targetE1EEEvSI_,comdat
.Lfunc_end560:
	.size	_ZN7rocprim17ROCPRIM_400000_NS6detail17trampoline_kernelINS0_14default_configENS1_35radix_sort_onesweep_config_selectorIyyEEZZNS1_29radix_sort_onesweep_iterationIS3_Lb0EN6thrust23THRUST_200600_302600_NS6detail15normal_iteratorINS8_10device_ptrIyEEEESD_SD_SD_jNS0_19identity_decomposerENS1_16block_id_wrapperIjLb0EEEEE10hipError_tT1_PNSt15iterator_traitsISI_E10value_typeET2_T3_PNSJ_ISO_E10value_typeET4_T5_PST_SU_PNS1_23onesweep_lookback_stateEbbT6_jjT7_P12ihipStream_tbENKUlT_T0_SI_SN_E_clISD_SD_SD_SD_EEDaS11_S12_SI_SN_EUlS11_E_NS1_11comp_targetILNS1_3genE3ELNS1_11target_archE908ELNS1_3gpuE7ELNS1_3repE0EEENS1_47radix_sort_onesweep_sort_config_static_selectorELNS0_4arch9wavefront6targetE1EEEvSI_, .Lfunc_end560-_ZN7rocprim17ROCPRIM_400000_NS6detail17trampoline_kernelINS0_14default_configENS1_35radix_sort_onesweep_config_selectorIyyEEZZNS1_29radix_sort_onesweep_iterationIS3_Lb0EN6thrust23THRUST_200600_302600_NS6detail15normal_iteratorINS8_10device_ptrIyEEEESD_SD_SD_jNS0_19identity_decomposerENS1_16block_id_wrapperIjLb0EEEEE10hipError_tT1_PNSt15iterator_traitsISI_E10value_typeET2_T3_PNSJ_ISO_E10value_typeET4_T5_PST_SU_PNS1_23onesweep_lookback_stateEbbT6_jjT7_P12ihipStream_tbENKUlT_T0_SI_SN_E_clISD_SD_SD_SD_EEDaS11_S12_SI_SN_EUlS11_E_NS1_11comp_targetILNS1_3genE3ELNS1_11target_archE908ELNS1_3gpuE7ELNS1_3repE0EEENS1_47radix_sort_onesweep_sort_config_static_selectorELNS0_4arch9wavefront6targetE1EEEvSI_
                                        ; -- End function
	.set _ZN7rocprim17ROCPRIM_400000_NS6detail17trampoline_kernelINS0_14default_configENS1_35radix_sort_onesweep_config_selectorIyyEEZZNS1_29radix_sort_onesweep_iterationIS3_Lb0EN6thrust23THRUST_200600_302600_NS6detail15normal_iteratorINS8_10device_ptrIyEEEESD_SD_SD_jNS0_19identity_decomposerENS1_16block_id_wrapperIjLb0EEEEE10hipError_tT1_PNSt15iterator_traitsISI_E10value_typeET2_T3_PNSJ_ISO_E10value_typeET4_T5_PST_SU_PNS1_23onesweep_lookback_stateEbbT6_jjT7_P12ihipStream_tbENKUlT_T0_SI_SN_E_clISD_SD_SD_SD_EEDaS11_S12_SI_SN_EUlS11_E_NS1_11comp_targetILNS1_3genE3ELNS1_11target_archE908ELNS1_3gpuE7ELNS1_3repE0EEENS1_47radix_sort_onesweep_sort_config_static_selectorELNS0_4arch9wavefront6targetE1EEEvSI_.num_vgpr, 0
	.set _ZN7rocprim17ROCPRIM_400000_NS6detail17trampoline_kernelINS0_14default_configENS1_35radix_sort_onesweep_config_selectorIyyEEZZNS1_29radix_sort_onesweep_iterationIS3_Lb0EN6thrust23THRUST_200600_302600_NS6detail15normal_iteratorINS8_10device_ptrIyEEEESD_SD_SD_jNS0_19identity_decomposerENS1_16block_id_wrapperIjLb0EEEEE10hipError_tT1_PNSt15iterator_traitsISI_E10value_typeET2_T3_PNSJ_ISO_E10value_typeET4_T5_PST_SU_PNS1_23onesweep_lookback_stateEbbT6_jjT7_P12ihipStream_tbENKUlT_T0_SI_SN_E_clISD_SD_SD_SD_EEDaS11_S12_SI_SN_EUlS11_E_NS1_11comp_targetILNS1_3genE3ELNS1_11target_archE908ELNS1_3gpuE7ELNS1_3repE0EEENS1_47radix_sort_onesweep_sort_config_static_selectorELNS0_4arch9wavefront6targetE1EEEvSI_.num_agpr, 0
	.set _ZN7rocprim17ROCPRIM_400000_NS6detail17trampoline_kernelINS0_14default_configENS1_35radix_sort_onesweep_config_selectorIyyEEZZNS1_29radix_sort_onesweep_iterationIS3_Lb0EN6thrust23THRUST_200600_302600_NS6detail15normal_iteratorINS8_10device_ptrIyEEEESD_SD_SD_jNS0_19identity_decomposerENS1_16block_id_wrapperIjLb0EEEEE10hipError_tT1_PNSt15iterator_traitsISI_E10value_typeET2_T3_PNSJ_ISO_E10value_typeET4_T5_PST_SU_PNS1_23onesweep_lookback_stateEbbT6_jjT7_P12ihipStream_tbENKUlT_T0_SI_SN_E_clISD_SD_SD_SD_EEDaS11_S12_SI_SN_EUlS11_E_NS1_11comp_targetILNS1_3genE3ELNS1_11target_archE908ELNS1_3gpuE7ELNS1_3repE0EEENS1_47radix_sort_onesweep_sort_config_static_selectorELNS0_4arch9wavefront6targetE1EEEvSI_.numbered_sgpr, 0
	.set _ZN7rocprim17ROCPRIM_400000_NS6detail17trampoline_kernelINS0_14default_configENS1_35radix_sort_onesweep_config_selectorIyyEEZZNS1_29radix_sort_onesweep_iterationIS3_Lb0EN6thrust23THRUST_200600_302600_NS6detail15normal_iteratorINS8_10device_ptrIyEEEESD_SD_SD_jNS0_19identity_decomposerENS1_16block_id_wrapperIjLb0EEEEE10hipError_tT1_PNSt15iterator_traitsISI_E10value_typeET2_T3_PNSJ_ISO_E10value_typeET4_T5_PST_SU_PNS1_23onesweep_lookback_stateEbbT6_jjT7_P12ihipStream_tbENKUlT_T0_SI_SN_E_clISD_SD_SD_SD_EEDaS11_S12_SI_SN_EUlS11_E_NS1_11comp_targetILNS1_3genE3ELNS1_11target_archE908ELNS1_3gpuE7ELNS1_3repE0EEENS1_47radix_sort_onesweep_sort_config_static_selectorELNS0_4arch9wavefront6targetE1EEEvSI_.num_named_barrier, 0
	.set _ZN7rocprim17ROCPRIM_400000_NS6detail17trampoline_kernelINS0_14default_configENS1_35radix_sort_onesweep_config_selectorIyyEEZZNS1_29radix_sort_onesweep_iterationIS3_Lb0EN6thrust23THRUST_200600_302600_NS6detail15normal_iteratorINS8_10device_ptrIyEEEESD_SD_SD_jNS0_19identity_decomposerENS1_16block_id_wrapperIjLb0EEEEE10hipError_tT1_PNSt15iterator_traitsISI_E10value_typeET2_T3_PNSJ_ISO_E10value_typeET4_T5_PST_SU_PNS1_23onesweep_lookback_stateEbbT6_jjT7_P12ihipStream_tbENKUlT_T0_SI_SN_E_clISD_SD_SD_SD_EEDaS11_S12_SI_SN_EUlS11_E_NS1_11comp_targetILNS1_3genE3ELNS1_11target_archE908ELNS1_3gpuE7ELNS1_3repE0EEENS1_47radix_sort_onesweep_sort_config_static_selectorELNS0_4arch9wavefront6targetE1EEEvSI_.private_seg_size, 0
	.set _ZN7rocprim17ROCPRIM_400000_NS6detail17trampoline_kernelINS0_14default_configENS1_35radix_sort_onesweep_config_selectorIyyEEZZNS1_29radix_sort_onesweep_iterationIS3_Lb0EN6thrust23THRUST_200600_302600_NS6detail15normal_iteratorINS8_10device_ptrIyEEEESD_SD_SD_jNS0_19identity_decomposerENS1_16block_id_wrapperIjLb0EEEEE10hipError_tT1_PNSt15iterator_traitsISI_E10value_typeET2_T3_PNSJ_ISO_E10value_typeET4_T5_PST_SU_PNS1_23onesweep_lookback_stateEbbT6_jjT7_P12ihipStream_tbENKUlT_T0_SI_SN_E_clISD_SD_SD_SD_EEDaS11_S12_SI_SN_EUlS11_E_NS1_11comp_targetILNS1_3genE3ELNS1_11target_archE908ELNS1_3gpuE7ELNS1_3repE0EEENS1_47radix_sort_onesweep_sort_config_static_selectorELNS0_4arch9wavefront6targetE1EEEvSI_.uses_vcc, 0
	.set _ZN7rocprim17ROCPRIM_400000_NS6detail17trampoline_kernelINS0_14default_configENS1_35radix_sort_onesweep_config_selectorIyyEEZZNS1_29radix_sort_onesweep_iterationIS3_Lb0EN6thrust23THRUST_200600_302600_NS6detail15normal_iteratorINS8_10device_ptrIyEEEESD_SD_SD_jNS0_19identity_decomposerENS1_16block_id_wrapperIjLb0EEEEE10hipError_tT1_PNSt15iterator_traitsISI_E10value_typeET2_T3_PNSJ_ISO_E10value_typeET4_T5_PST_SU_PNS1_23onesweep_lookback_stateEbbT6_jjT7_P12ihipStream_tbENKUlT_T0_SI_SN_E_clISD_SD_SD_SD_EEDaS11_S12_SI_SN_EUlS11_E_NS1_11comp_targetILNS1_3genE3ELNS1_11target_archE908ELNS1_3gpuE7ELNS1_3repE0EEENS1_47radix_sort_onesweep_sort_config_static_selectorELNS0_4arch9wavefront6targetE1EEEvSI_.uses_flat_scratch, 0
	.set _ZN7rocprim17ROCPRIM_400000_NS6detail17trampoline_kernelINS0_14default_configENS1_35radix_sort_onesweep_config_selectorIyyEEZZNS1_29radix_sort_onesweep_iterationIS3_Lb0EN6thrust23THRUST_200600_302600_NS6detail15normal_iteratorINS8_10device_ptrIyEEEESD_SD_SD_jNS0_19identity_decomposerENS1_16block_id_wrapperIjLb0EEEEE10hipError_tT1_PNSt15iterator_traitsISI_E10value_typeET2_T3_PNSJ_ISO_E10value_typeET4_T5_PST_SU_PNS1_23onesweep_lookback_stateEbbT6_jjT7_P12ihipStream_tbENKUlT_T0_SI_SN_E_clISD_SD_SD_SD_EEDaS11_S12_SI_SN_EUlS11_E_NS1_11comp_targetILNS1_3genE3ELNS1_11target_archE908ELNS1_3gpuE7ELNS1_3repE0EEENS1_47radix_sort_onesweep_sort_config_static_selectorELNS0_4arch9wavefront6targetE1EEEvSI_.has_dyn_sized_stack, 0
	.set _ZN7rocprim17ROCPRIM_400000_NS6detail17trampoline_kernelINS0_14default_configENS1_35radix_sort_onesweep_config_selectorIyyEEZZNS1_29radix_sort_onesweep_iterationIS3_Lb0EN6thrust23THRUST_200600_302600_NS6detail15normal_iteratorINS8_10device_ptrIyEEEESD_SD_SD_jNS0_19identity_decomposerENS1_16block_id_wrapperIjLb0EEEEE10hipError_tT1_PNSt15iterator_traitsISI_E10value_typeET2_T3_PNSJ_ISO_E10value_typeET4_T5_PST_SU_PNS1_23onesweep_lookback_stateEbbT6_jjT7_P12ihipStream_tbENKUlT_T0_SI_SN_E_clISD_SD_SD_SD_EEDaS11_S12_SI_SN_EUlS11_E_NS1_11comp_targetILNS1_3genE3ELNS1_11target_archE908ELNS1_3gpuE7ELNS1_3repE0EEENS1_47radix_sort_onesweep_sort_config_static_selectorELNS0_4arch9wavefront6targetE1EEEvSI_.has_recursion, 0
	.set _ZN7rocprim17ROCPRIM_400000_NS6detail17trampoline_kernelINS0_14default_configENS1_35radix_sort_onesweep_config_selectorIyyEEZZNS1_29radix_sort_onesweep_iterationIS3_Lb0EN6thrust23THRUST_200600_302600_NS6detail15normal_iteratorINS8_10device_ptrIyEEEESD_SD_SD_jNS0_19identity_decomposerENS1_16block_id_wrapperIjLb0EEEEE10hipError_tT1_PNSt15iterator_traitsISI_E10value_typeET2_T3_PNSJ_ISO_E10value_typeET4_T5_PST_SU_PNS1_23onesweep_lookback_stateEbbT6_jjT7_P12ihipStream_tbENKUlT_T0_SI_SN_E_clISD_SD_SD_SD_EEDaS11_S12_SI_SN_EUlS11_E_NS1_11comp_targetILNS1_3genE3ELNS1_11target_archE908ELNS1_3gpuE7ELNS1_3repE0EEENS1_47radix_sort_onesweep_sort_config_static_selectorELNS0_4arch9wavefront6targetE1EEEvSI_.has_indirect_call, 0
	.section	.AMDGPU.csdata,"",@progbits
; Kernel info:
; codeLenInByte = 0
; TotalNumSgprs: 6
; NumVgprs: 0
; NumAgprs: 0
; TotalNumVgprs: 0
; ScratchSize: 0
; MemoryBound: 0
; FloatMode: 240
; IeeeMode: 1
; LDSByteSize: 0 bytes/workgroup (compile time only)
; SGPRBlocks: 0
; VGPRBlocks: 0
; NumSGPRsForWavesPerEU: 6
; NumVGPRsForWavesPerEU: 1
; AccumOffset: 4
; Occupancy: 8
; WaveLimiterHint : 0
; COMPUTE_PGM_RSRC2:SCRATCH_EN: 0
; COMPUTE_PGM_RSRC2:USER_SGPR: 2
; COMPUTE_PGM_RSRC2:TRAP_HANDLER: 0
; COMPUTE_PGM_RSRC2:TGID_X_EN: 1
; COMPUTE_PGM_RSRC2:TGID_Y_EN: 0
; COMPUTE_PGM_RSRC2:TGID_Z_EN: 0
; COMPUTE_PGM_RSRC2:TIDIG_COMP_CNT: 0
; COMPUTE_PGM_RSRC3_GFX90A:ACCUM_OFFSET: 0
; COMPUTE_PGM_RSRC3_GFX90A:TG_SPLIT: 0
	.section	.text._ZN7rocprim17ROCPRIM_400000_NS6detail17trampoline_kernelINS0_14default_configENS1_35radix_sort_onesweep_config_selectorIyyEEZZNS1_29radix_sort_onesweep_iterationIS3_Lb0EN6thrust23THRUST_200600_302600_NS6detail15normal_iteratorINS8_10device_ptrIyEEEESD_SD_SD_jNS0_19identity_decomposerENS1_16block_id_wrapperIjLb0EEEEE10hipError_tT1_PNSt15iterator_traitsISI_E10value_typeET2_T3_PNSJ_ISO_E10value_typeET4_T5_PST_SU_PNS1_23onesweep_lookback_stateEbbT6_jjT7_P12ihipStream_tbENKUlT_T0_SI_SN_E_clISD_SD_SD_SD_EEDaS11_S12_SI_SN_EUlS11_E_NS1_11comp_targetILNS1_3genE10ELNS1_11target_archE1201ELNS1_3gpuE5ELNS1_3repE0EEENS1_47radix_sort_onesweep_sort_config_static_selectorELNS0_4arch9wavefront6targetE1EEEvSI_,"axG",@progbits,_ZN7rocprim17ROCPRIM_400000_NS6detail17trampoline_kernelINS0_14default_configENS1_35radix_sort_onesweep_config_selectorIyyEEZZNS1_29radix_sort_onesweep_iterationIS3_Lb0EN6thrust23THRUST_200600_302600_NS6detail15normal_iteratorINS8_10device_ptrIyEEEESD_SD_SD_jNS0_19identity_decomposerENS1_16block_id_wrapperIjLb0EEEEE10hipError_tT1_PNSt15iterator_traitsISI_E10value_typeET2_T3_PNSJ_ISO_E10value_typeET4_T5_PST_SU_PNS1_23onesweep_lookback_stateEbbT6_jjT7_P12ihipStream_tbENKUlT_T0_SI_SN_E_clISD_SD_SD_SD_EEDaS11_S12_SI_SN_EUlS11_E_NS1_11comp_targetILNS1_3genE10ELNS1_11target_archE1201ELNS1_3gpuE5ELNS1_3repE0EEENS1_47radix_sort_onesweep_sort_config_static_selectorELNS0_4arch9wavefront6targetE1EEEvSI_,comdat
	.protected	_ZN7rocprim17ROCPRIM_400000_NS6detail17trampoline_kernelINS0_14default_configENS1_35radix_sort_onesweep_config_selectorIyyEEZZNS1_29radix_sort_onesweep_iterationIS3_Lb0EN6thrust23THRUST_200600_302600_NS6detail15normal_iteratorINS8_10device_ptrIyEEEESD_SD_SD_jNS0_19identity_decomposerENS1_16block_id_wrapperIjLb0EEEEE10hipError_tT1_PNSt15iterator_traitsISI_E10value_typeET2_T3_PNSJ_ISO_E10value_typeET4_T5_PST_SU_PNS1_23onesweep_lookback_stateEbbT6_jjT7_P12ihipStream_tbENKUlT_T0_SI_SN_E_clISD_SD_SD_SD_EEDaS11_S12_SI_SN_EUlS11_E_NS1_11comp_targetILNS1_3genE10ELNS1_11target_archE1201ELNS1_3gpuE5ELNS1_3repE0EEENS1_47radix_sort_onesweep_sort_config_static_selectorELNS0_4arch9wavefront6targetE1EEEvSI_ ; -- Begin function _ZN7rocprim17ROCPRIM_400000_NS6detail17trampoline_kernelINS0_14default_configENS1_35radix_sort_onesweep_config_selectorIyyEEZZNS1_29radix_sort_onesweep_iterationIS3_Lb0EN6thrust23THRUST_200600_302600_NS6detail15normal_iteratorINS8_10device_ptrIyEEEESD_SD_SD_jNS0_19identity_decomposerENS1_16block_id_wrapperIjLb0EEEEE10hipError_tT1_PNSt15iterator_traitsISI_E10value_typeET2_T3_PNSJ_ISO_E10value_typeET4_T5_PST_SU_PNS1_23onesweep_lookback_stateEbbT6_jjT7_P12ihipStream_tbENKUlT_T0_SI_SN_E_clISD_SD_SD_SD_EEDaS11_S12_SI_SN_EUlS11_E_NS1_11comp_targetILNS1_3genE10ELNS1_11target_archE1201ELNS1_3gpuE5ELNS1_3repE0EEENS1_47radix_sort_onesweep_sort_config_static_selectorELNS0_4arch9wavefront6targetE1EEEvSI_
	.globl	_ZN7rocprim17ROCPRIM_400000_NS6detail17trampoline_kernelINS0_14default_configENS1_35radix_sort_onesweep_config_selectorIyyEEZZNS1_29radix_sort_onesweep_iterationIS3_Lb0EN6thrust23THRUST_200600_302600_NS6detail15normal_iteratorINS8_10device_ptrIyEEEESD_SD_SD_jNS0_19identity_decomposerENS1_16block_id_wrapperIjLb0EEEEE10hipError_tT1_PNSt15iterator_traitsISI_E10value_typeET2_T3_PNSJ_ISO_E10value_typeET4_T5_PST_SU_PNS1_23onesweep_lookback_stateEbbT6_jjT7_P12ihipStream_tbENKUlT_T0_SI_SN_E_clISD_SD_SD_SD_EEDaS11_S12_SI_SN_EUlS11_E_NS1_11comp_targetILNS1_3genE10ELNS1_11target_archE1201ELNS1_3gpuE5ELNS1_3repE0EEENS1_47radix_sort_onesweep_sort_config_static_selectorELNS0_4arch9wavefront6targetE1EEEvSI_
	.p2align	8
	.type	_ZN7rocprim17ROCPRIM_400000_NS6detail17trampoline_kernelINS0_14default_configENS1_35radix_sort_onesweep_config_selectorIyyEEZZNS1_29radix_sort_onesweep_iterationIS3_Lb0EN6thrust23THRUST_200600_302600_NS6detail15normal_iteratorINS8_10device_ptrIyEEEESD_SD_SD_jNS0_19identity_decomposerENS1_16block_id_wrapperIjLb0EEEEE10hipError_tT1_PNSt15iterator_traitsISI_E10value_typeET2_T3_PNSJ_ISO_E10value_typeET4_T5_PST_SU_PNS1_23onesweep_lookback_stateEbbT6_jjT7_P12ihipStream_tbENKUlT_T0_SI_SN_E_clISD_SD_SD_SD_EEDaS11_S12_SI_SN_EUlS11_E_NS1_11comp_targetILNS1_3genE10ELNS1_11target_archE1201ELNS1_3gpuE5ELNS1_3repE0EEENS1_47radix_sort_onesweep_sort_config_static_selectorELNS0_4arch9wavefront6targetE1EEEvSI_,@function
_ZN7rocprim17ROCPRIM_400000_NS6detail17trampoline_kernelINS0_14default_configENS1_35radix_sort_onesweep_config_selectorIyyEEZZNS1_29radix_sort_onesweep_iterationIS3_Lb0EN6thrust23THRUST_200600_302600_NS6detail15normal_iteratorINS8_10device_ptrIyEEEESD_SD_SD_jNS0_19identity_decomposerENS1_16block_id_wrapperIjLb0EEEEE10hipError_tT1_PNSt15iterator_traitsISI_E10value_typeET2_T3_PNSJ_ISO_E10value_typeET4_T5_PST_SU_PNS1_23onesweep_lookback_stateEbbT6_jjT7_P12ihipStream_tbENKUlT_T0_SI_SN_E_clISD_SD_SD_SD_EEDaS11_S12_SI_SN_EUlS11_E_NS1_11comp_targetILNS1_3genE10ELNS1_11target_archE1201ELNS1_3gpuE5ELNS1_3repE0EEENS1_47radix_sort_onesweep_sort_config_static_selectorELNS0_4arch9wavefront6targetE1EEEvSI_: ; @_ZN7rocprim17ROCPRIM_400000_NS6detail17trampoline_kernelINS0_14default_configENS1_35radix_sort_onesweep_config_selectorIyyEEZZNS1_29radix_sort_onesweep_iterationIS3_Lb0EN6thrust23THRUST_200600_302600_NS6detail15normal_iteratorINS8_10device_ptrIyEEEESD_SD_SD_jNS0_19identity_decomposerENS1_16block_id_wrapperIjLb0EEEEE10hipError_tT1_PNSt15iterator_traitsISI_E10value_typeET2_T3_PNSJ_ISO_E10value_typeET4_T5_PST_SU_PNS1_23onesweep_lookback_stateEbbT6_jjT7_P12ihipStream_tbENKUlT_T0_SI_SN_E_clISD_SD_SD_SD_EEDaS11_S12_SI_SN_EUlS11_E_NS1_11comp_targetILNS1_3genE10ELNS1_11target_archE1201ELNS1_3gpuE5ELNS1_3repE0EEENS1_47radix_sort_onesweep_sort_config_static_selectorELNS0_4arch9wavefront6targetE1EEEvSI_
; %bb.0:
	.section	.rodata,"a",@progbits
	.p2align	6, 0x0
	.amdhsa_kernel _ZN7rocprim17ROCPRIM_400000_NS6detail17trampoline_kernelINS0_14default_configENS1_35radix_sort_onesweep_config_selectorIyyEEZZNS1_29radix_sort_onesweep_iterationIS3_Lb0EN6thrust23THRUST_200600_302600_NS6detail15normal_iteratorINS8_10device_ptrIyEEEESD_SD_SD_jNS0_19identity_decomposerENS1_16block_id_wrapperIjLb0EEEEE10hipError_tT1_PNSt15iterator_traitsISI_E10value_typeET2_T3_PNSJ_ISO_E10value_typeET4_T5_PST_SU_PNS1_23onesweep_lookback_stateEbbT6_jjT7_P12ihipStream_tbENKUlT_T0_SI_SN_E_clISD_SD_SD_SD_EEDaS11_S12_SI_SN_EUlS11_E_NS1_11comp_targetILNS1_3genE10ELNS1_11target_archE1201ELNS1_3gpuE5ELNS1_3repE0EEENS1_47radix_sort_onesweep_sort_config_static_selectorELNS0_4arch9wavefront6targetE1EEEvSI_
		.amdhsa_group_segment_fixed_size 0
		.amdhsa_private_segment_fixed_size 0
		.amdhsa_kernarg_size 88
		.amdhsa_user_sgpr_count 2
		.amdhsa_user_sgpr_dispatch_ptr 0
		.amdhsa_user_sgpr_queue_ptr 0
		.amdhsa_user_sgpr_kernarg_segment_ptr 1
		.amdhsa_user_sgpr_dispatch_id 0
		.amdhsa_user_sgpr_kernarg_preload_length 0
		.amdhsa_user_sgpr_kernarg_preload_offset 0
		.amdhsa_user_sgpr_private_segment_size 0
		.amdhsa_uses_dynamic_stack 0
		.amdhsa_enable_private_segment 0
		.amdhsa_system_sgpr_workgroup_id_x 1
		.amdhsa_system_sgpr_workgroup_id_y 0
		.amdhsa_system_sgpr_workgroup_id_z 0
		.amdhsa_system_sgpr_workgroup_info 0
		.amdhsa_system_vgpr_workitem_id 0
		.amdhsa_next_free_vgpr 1
		.amdhsa_next_free_sgpr 0
		.amdhsa_accum_offset 4
		.amdhsa_reserve_vcc 0
		.amdhsa_float_round_mode_32 0
		.amdhsa_float_round_mode_16_64 0
		.amdhsa_float_denorm_mode_32 3
		.amdhsa_float_denorm_mode_16_64 3
		.amdhsa_dx10_clamp 1
		.amdhsa_ieee_mode 1
		.amdhsa_fp16_overflow 0
		.amdhsa_tg_split 0
		.amdhsa_exception_fp_ieee_invalid_op 0
		.amdhsa_exception_fp_denorm_src 0
		.amdhsa_exception_fp_ieee_div_zero 0
		.amdhsa_exception_fp_ieee_overflow 0
		.amdhsa_exception_fp_ieee_underflow 0
		.amdhsa_exception_fp_ieee_inexact 0
		.amdhsa_exception_int_div_zero 0
	.end_amdhsa_kernel
	.section	.text._ZN7rocprim17ROCPRIM_400000_NS6detail17trampoline_kernelINS0_14default_configENS1_35radix_sort_onesweep_config_selectorIyyEEZZNS1_29radix_sort_onesweep_iterationIS3_Lb0EN6thrust23THRUST_200600_302600_NS6detail15normal_iteratorINS8_10device_ptrIyEEEESD_SD_SD_jNS0_19identity_decomposerENS1_16block_id_wrapperIjLb0EEEEE10hipError_tT1_PNSt15iterator_traitsISI_E10value_typeET2_T3_PNSJ_ISO_E10value_typeET4_T5_PST_SU_PNS1_23onesweep_lookback_stateEbbT6_jjT7_P12ihipStream_tbENKUlT_T0_SI_SN_E_clISD_SD_SD_SD_EEDaS11_S12_SI_SN_EUlS11_E_NS1_11comp_targetILNS1_3genE10ELNS1_11target_archE1201ELNS1_3gpuE5ELNS1_3repE0EEENS1_47radix_sort_onesweep_sort_config_static_selectorELNS0_4arch9wavefront6targetE1EEEvSI_,"axG",@progbits,_ZN7rocprim17ROCPRIM_400000_NS6detail17trampoline_kernelINS0_14default_configENS1_35radix_sort_onesweep_config_selectorIyyEEZZNS1_29radix_sort_onesweep_iterationIS3_Lb0EN6thrust23THRUST_200600_302600_NS6detail15normal_iteratorINS8_10device_ptrIyEEEESD_SD_SD_jNS0_19identity_decomposerENS1_16block_id_wrapperIjLb0EEEEE10hipError_tT1_PNSt15iterator_traitsISI_E10value_typeET2_T3_PNSJ_ISO_E10value_typeET4_T5_PST_SU_PNS1_23onesweep_lookback_stateEbbT6_jjT7_P12ihipStream_tbENKUlT_T0_SI_SN_E_clISD_SD_SD_SD_EEDaS11_S12_SI_SN_EUlS11_E_NS1_11comp_targetILNS1_3genE10ELNS1_11target_archE1201ELNS1_3gpuE5ELNS1_3repE0EEENS1_47radix_sort_onesweep_sort_config_static_selectorELNS0_4arch9wavefront6targetE1EEEvSI_,comdat
.Lfunc_end561:
	.size	_ZN7rocprim17ROCPRIM_400000_NS6detail17trampoline_kernelINS0_14default_configENS1_35radix_sort_onesweep_config_selectorIyyEEZZNS1_29radix_sort_onesweep_iterationIS3_Lb0EN6thrust23THRUST_200600_302600_NS6detail15normal_iteratorINS8_10device_ptrIyEEEESD_SD_SD_jNS0_19identity_decomposerENS1_16block_id_wrapperIjLb0EEEEE10hipError_tT1_PNSt15iterator_traitsISI_E10value_typeET2_T3_PNSJ_ISO_E10value_typeET4_T5_PST_SU_PNS1_23onesweep_lookback_stateEbbT6_jjT7_P12ihipStream_tbENKUlT_T0_SI_SN_E_clISD_SD_SD_SD_EEDaS11_S12_SI_SN_EUlS11_E_NS1_11comp_targetILNS1_3genE10ELNS1_11target_archE1201ELNS1_3gpuE5ELNS1_3repE0EEENS1_47radix_sort_onesweep_sort_config_static_selectorELNS0_4arch9wavefront6targetE1EEEvSI_, .Lfunc_end561-_ZN7rocprim17ROCPRIM_400000_NS6detail17trampoline_kernelINS0_14default_configENS1_35radix_sort_onesweep_config_selectorIyyEEZZNS1_29radix_sort_onesweep_iterationIS3_Lb0EN6thrust23THRUST_200600_302600_NS6detail15normal_iteratorINS8_10device_ptrIyEEEESD_SD_SD_jNS0_19identity_decomposerENS1_16block_id_wrapperIjLb0EEEEE10hipError_tT1_PNSt15iterator_traitsISI_E10value_typeET2_T3_PNSJ_ISO_E10value_typeET4_T5_PST_SU_PNS1_23onesweep_lookback_stateEbbT6_jjT7_P12ihipStream_tbENKUlT_T0_SI_SN_E_clISD_SD_SD_SD_EEDaS11_S12_SI_SN_EUlS11_E_NS1_11comp_targetILNS1_3genE10ELNS1_11target_archE1201ELNS1_3gpuE5ELNS1_3repE0EEENS1_47radix_sort_onesweep_sort_config_static_selectorELNS0_4arch9wavefront6targetE1EEEvSI_
                                        ; -- End function
	.set _ZN7rocprim17ROCPRIM_400000_NS6detail17trampoline_kernelINS0_14default_configENS1_35radix_sort_onesweep_config_selectorIyyEEZZNS1_29radix_sort_onesweep_iterationIS3_Lb0EN6thrust23THRUST_200600_302600_NS6detail15normal_iteratorINS8_10device_ptrIyEEEESD_SD_SD_jNS0_19identity_decomposerENS1_16block_id_wrapperIjLb0EEEEE10hipError_tT1_PNSt15iterator_traitsISI_E10value_typeET2_T3_PNSJ_ISO_E10value_typeET4_T5_PST_SU_PNS1_23onesweep_lookback_stateEbbT6_jjT7_P12ihipStream_tbENKUlT_T0_SI_SN_E_clISD_SD_SD_SD_EEDaS11_S12_SI_SN_EUlS11_E_NS1_11comp_targetILNS1_3genE10ELNS1_11target_archE1201ELNS1_3gpuE5ELNS1_3repE0EEENS1_47radix_sort_onesweep_sort_config_static_selectorELNS0_4arch9wavefront6targetE1EEEvSI_.num_vgpr, 0
	.set _ZN7rocprim17ROCPRIM_400000_NS6detail17trampoline_kernelINS0_14default_configENS1_35radix_sort_onesweep_config_selectorIyyEEZZNS1_29radix_sort_onesweep_iterationIS3_Lb0EN6thrust23THRUST_200600_302600_NS6detail15normal_iteratorINS8_10device_ptrIyEEEESD_SD_SD_jNS0_19identity_decomposerENS1_16block_id_wrapperIjLb0EEEEE10hipError_tT1_PNSt15iterator_traitsISI_E10value_typeET2_T3_PNSJ_ISO_E10value_typeET4_T5_PST_SU_PNS1_23onesweep_lookback_stateEbbT6_jjT7_P12ihipStream_tbENKUlT_T0_SI_SN_E_clISD_SD_SD_SD_EEDaS11_S12_SI_SN_EUlS11_E_NS1_11comp_targetILNS1_3genE10ELNS1_11target_archE1201ELNS1_3gpuE5ELNS1_3repE0EEENS1_47radix_sort_onesweep_sort_config_static_selectorELNS0_4arch9wavefront6targetE1EEEvSI_.num_agpr, 0
	.set _ZN7rocprim17ROCPRIM_400000_NS6detail17trampoline_kernelINS0_14default_configENS1_35radix_sort_onesweep_config_selectorIyyEEZZNS1_29radix_sort_onesweep_iterationIS3_Lb0EN6thrust23THRUST_200600_302600_NS6detail15normal_iteratorINS8_10device_ptrIyEEEESD_SD_SD_jNS0_19identity_decomposerENS1_16block_id_wrapperIjLb0EEEEE10hipError_tT1_PNSt15iterator_traitsISI_E10value_typeET2_T3_PNSJ_ISO_E10value_typeET4_T5_PST_SU_PNS1_23onesweep_lookback_stateEbbT6_jjT7_P12ihipStream_tbENKUlT_T0_SI_SN_E_clISD_SD_SD_SD_EEDaS11_S12_SI_SN_EUlS11_E_NS1_11comp_targetILNS1_3genE10ELNS1_11target_archE1201ELNS1_3gpuE5ELNS1_3repE0EEENS1_47radix_sort_onesweep_sort_config_static_selectorELNS0_4arch9wavefront6targetE1EEEvSI_.numbered_sgpr, 0
	.set _ZN7rocprim17ROCPRIM_400000_NS6detail17trampoline_kernelINS0_14default_configENS1_35radix_sort_onesweep_config_selectorIyyEEZZNS1_29radix_sort_onesweep_iterationIS3_Lb0EN6thrust23THRUST_200600_302600_NS6detail15normal_iteratorINS8_10device_ptrIyEEEESD_SD_SD_jNS0_19identity_decomposerENS1_16block_id_wrapperIjLb0EEEEE10hipError_tT1_PNSt15iterator_traitsISI_E10value_typeET2_T3_PNSJ_ISO_E10value_typeET4_T5_PST_SU_PNS1_23onesweep_lookback_stateEbbT6_jjT7_P12ihipStream_tbENKUlT_T0_SI_SN_E_clISD_SD_SD_SD_EEDaS11_S12_SI_SN_EUlS11_E_NS1_11comp_targetILNS1_3genE10ELNS1_11target_archE1201ELNS1_3gpuE5ELNS1_3repE0EEENS1_47radix_sort_onesweep_sort_config_static_selectorELNS0_4arch9wavefront6targetE1EEEvSI_.num_named_barrier, 0
	.set _ZN7rocprim17ROCPRIM_400000_NS6detail17trampoline_kernelINS0_14default_configENS1_35radix_sort_onesweep_config_selectorIyyEEZZNS1_29radix_sort_onesweep_iterationIS3_Lb0EN6thrust23THRUST_200600_302600_NS6detail15normal_iteratorINS8_10device_ptrIyEEEESD_SD_SD_jNS0_19identity_decomposerENS1_16block_id_wrapperIjLb0EEEEE10hipError_tT1_PNSt15iterator_traitsISI_E10value_typeET2_T3_PNSJ_ISO_E10value_typeET4_T5_PST_SU_PNS1_23onesweep_lookback_stateEbbT6_jjT7_P12ihipStream_tbENKUlT_T0_SI_SN_E_clISD_SD_SD_SD_EEDaS11_S12_SI_SN_EUlS11_E_NS1_11comp_targetILNS1_3genE10ELNS1_11target_archE1201ELNS1_3gpuE5ELNS1_3repE0EEENS1_47radix_sort_onesweep_sort_config_static_selectorELNS0_4arch9wavefront6targetE1EEEvSI_.private_seg_size, 0
	.set _ZN7rocprim17ROCPRIM_400000_NS6detail17trampoline_kernelINS0_14default_configENS1_35radix_sort_onesweep_config_selectorIyyEEZZNS1_29radix_sort_onesweep_iterationIS3_Lb0EN6thrust23THRUST_200600_302600_NS6detail15normal_iteratorINS8_10device_ptrIyEEEESD_SD_SD_jNS0_19identity_decomposerENS1_16block_id_wrapperIjLb0EEEEE10hipError_tT1_PNSt15iterator_traitsISI_E10value_typeET2_T3_PNSJ_ISO_E10value_typeET4_T5_PST_SU_PNS1_23onesweep_lookback_stateEbbT6_jjT7_P12ihipStream_tbENKUlT_T0_SI_SN_E_clISD_SD_SD_SD_EEDaS11_S12_SI_SN_EUlS11_E_NS1_11comp_targetILNS1_3genE10ELNS1_11target_archE1201ELNS1_3gpuE5ELNS1_3repE0EEENS1_47radix_sort_onesweep_sort_config_static_selectorELNS0_4arch9wavefront6targetE1EEEvSI_.uses_vcc, 0
	.set _ZN7rocprim17ROCPRIM_400000_NS6detail17trampoline_kernelINS0_14default_configENS1_35radix_sort_onesweep_config_selectorIyyEEZZNS1_29radix_sort_onesweep_iterationIS3_Lb0EN6thrust23THRUST_200600_302600_NS6detail15normal_iteratorINS8_10device_ptrIyEEEESD_SD_SD_jNS0_19identity_decomposerENS1_16block_id_wrapperIjLb0EEEEE10hipError_tT1_PNSt15iterator_traitsISI_E10value_typeET2_T3_PNSJ_ISO_E10value_typeET4_T5_PST_SU_PNS1_23onesweep_lookback_stateEbbT6_jjT7_P12ihipStream_tbENKUlT_T0_SI_SN_E_clISD_SD_SD_SD_EEDaS11_S12_SI_SN_EUlS11_E_NS1_11comp_targetILNS1_3genE10ELNS1_11target_archE1201ELNS1_3gpuE5ELNS1_3repE0EEENS1_47radix_sort_onesweep_sort_config_static_selectorELNS0_4arch9wavefront6targetE1EEEvSI_.uses_flat_scratch, 0
	.set _ZN7rocprim17ROCPRIM_400000_NS6detail17trampoline_kernelINS0_14default_configENS1_35radix_sort_onesweep_config_selectorIyyEEZZNS1_29radix_sort_onesweep_iterationIS3_Lb0EN6thrust23THRUST_200600_302600_NS6detail15normal_iteratorINS8_10device_ptrIyEEEESD_SD_SD_jNS0_19identity_decomposerENS1_16block_id_wrapperIjLb0EEEEE10hipError_tT1_PNSt15iterator_traitsISI_E10value_typeET2_T3_PNSJ_ISO_E10value_typeET4_T5_PST_SU_PNS1_23onesweep_lookback_stateEbbT6_jjT7_P12ihipStream_tbENKUlT_T0_SI_SN_E_clISD_SD_SD_SD_EEDaS11_S12_SI_SN_EUlS11_E_NS1_11comp_targetILNS1_3genE10ELNS1_11target_archE1201ELNS1_3gpuE5ELNS1_3repE0EEENS1_47radix_sort_onesweep_sort_config_static_selectorELNS0_4arch9wavefront6targetE1EEEvSI_.has_dyn_sized_stack, 0
	.set _ZN7rocprim17ROCPRIM_400000_NS6detail17trampoline_kernelINS0_14default_configENS1_35radix_sort_onesweep_config_selectorIyyEEZZNS1_29radix_sort_onesweep_iterationIS3_Lb0EN6thrust23THRUST_200600_302600_NS6detail15normal_iteratorINS8_10device_ptrIyEEEESD_SD_SD_jNS0_19identity_decomposerENS1_16block_id_wrapperIjLb0EEEEE10hipError_tT1_PNSt15iterator_traitsISI_E10value_typeET2_T3_PNSJ_ISO_E10value_typeET4_T5_PST_SU_PNS1_23onesweep_lookback_stateEbbT6_jjT7_P12ihipStream_tbENKUlT_T0_SI_SN_E_clISD_SD_SD_SD_EEDaS11_S12_SI_SN_EUlS11_E_NS1_11comp_targetILNS1_3genE10ELNS1_11target_archE1201ELNS1_3gpuE5ELNS1_3repE0EEENS1_47radix_sort_onesweep_sort_config_static_selectorELNS0_4arch9wavefront6targetE1EEEvSI_.has_recursion, 0
	.set _ZN7rocprim17ROCPRIM_400000_NS6detail17trampoline_kernelINS0_14default_configENS1_35radix_sort_onesweep_config_selectorIyyEEZZNS1_29radix_sort_onesweep_iterationIS3_Lb0EN6thrust23THRUST_200600_302600_NS6detail15normal_iteratorINS8_10device_ptrIyEEEESD_SD_SD_jNS0_19identity_decomposerENS1_16block_id_wrapperIjLb0EEEEE10hipError_tT1_PNSt15iterator_traitsISI_E10value_typeET2_T3_PNSJ_ISO_E10value_typeET4_T5_PST_SU_PNS1_23onesweep_lookback_stateEbbT6_jjT7_P12ihipStream_tbENKUlT_T0_SI_SN_E_clISD_SD_SD_SD_EEDaS11_S12_SI_SN_EUlS11_E_NS1_11comp_targetILNS1_3genE10ELNS1_11target_archE1201ELNS1_3gpuE5ELNS1_3repE0EEENS1_47radix_sort_onesweep_sort_config_static_selectorELNS0_4arch9wavefront6targetE1EEEvSI_.has_indirect_call, 0
	.section	.AMDGPU.csdata,"",@progbits
; Kernel info:
; codeLenInByte = 0
; TotalNumSgprs: 6
; NumVgprs: 0
; NumAgprs: 0
; TotalNumVgprs: 0
; ScratchSize: 0
; MemoryBound: 0
; FloatMode: 240
; IeeeMode: 1
; LDSByteSize: 0 bytes/workgroup (compile time only)
; SGPRBlocks: 0
; VGPRBlocks: 0
; NumSGPRsForWavesPerEU: 6
; NumVGPRsForWavesPerEU: 1
; AccumOffset: 4
; Occupancy: 8
; WaveLimiterHint : 0
; COMPUTE_PGM_RSRC2:SCRATCH_EN: 0
; COMPUTE_PGM_RSRC2:USER_SGPR: 2
; COMPUTE_PGM_RSRC2:TRAP_HANDLER: 0
; COMPUTE_PGM_RSRC2:TGID_X_EN: 1
; COMPUTE_PGM_RSRC2:TGID_Y_EN: 0
; COMPUTE_PGM_RSRC2:TGID_Z_EN: 0
; COMPUTE_PGM_RSRC2:TIDIG_COMP_CNT: 0
; COMPUTE_PGM_RSRC3_GFX90A:ACCUM_OFFSET: 0
; COMPUTE_PGM_RSRC3_GFX90A:TG_SPLIT: 0
	.section	.text._ZN7rocprim17ROCPRIM_400000_NS6detail17trampoline_kernelINS0_14default_configENS1_35radix_sort_onesweep_config_selectorIyyEEZZNS1_29radix_sort_onesweep_iterationIS3_Lb0EN6thrust23THRUST_200600_302600_NS6detail15normal_iteratorINS8_10device_ptrIyEEEESD_SD_SD_jNS0_19identity_decomposerENS1_16block_id_wrapperIjLb0EEEEE10hipError_tT1_PNSt15iterator_traitsISI_E10value_typeET2_T3_PNSJ_ISO_E10value_typeET4_T5_PST_SU_PNS1_23onesweep_lookback_stateEbbT6_jjT7_P12ihipStream_tbENKUlT_T0_SI_SN_E_clISD_SD_SD_SD_EEDaS11_S12_SI_SN_EUlS11_E_NS1_11comp_targetILNS1_3genE9ELNS1_11target_archE1100ELNS1_3gpuE3ELNS1_3repE0EEENS1_47radix_sort_onesweep_sort_config_static_selectorELNS0_4arch9wavefront6targetE1EEEvSI_,"axG",@progbits,_ZN7rocprim17ROCPRIM_400000_NS6detail17trampoline_kernelINS0_14default_configENS1_35radix_sort_onesweep_config_selectorIyyEEZZNS1_29radix_sort_onesweep_iterationIS3_Lb0EN6thrust23THRUST_200600_302600_NS6detail15normal_iteratorINS8_10device_ptrIyEEEESD_SD_SD_jNS0_19identity_decomposerENS1_16block_id_wrapperIjLb0EEEEE10hipError_tT1_PNSt15iterator_traitsISI_E10value_typeET2_T3_PNSJ_ISO_E10value_typeET4_T5_PST_SU_PNS1_23onesweep_lookback_stateEbbT6_jjT7_P12ihipStream_tbENKUlT_T0_SI_SN_E_clISD_SD_SD_SD_EEDaS11_S12_SI_SN_EUlS11_E_NS1_11comp_targetILNS1_3genE9ELNS1_11target_archE1100ELNS1_3gpuE3ELNS1_3repE0EEENS1_47radix_sort_onesweep_sort_config_static_selectorELNS0_4arch9wavefront6targetE1EEEvSI_,comdat
	.protected	_ZN7rocprim17ROCPRIM_400000_NS6detail17trampoline_kernelINS0_14default_configENS1_35radix_sort_onesweep_config_selectorIyyEEZZNS1_29radix_sort_onesweep_iterationIS3_Lb0EN6thrust23THRUST_200600_302600_NS6detail15normal_iteratorINS8_10device_ptrIyEEEESD_SD_SD_jNS0_19identity_decomposerENS1_16block_id_wrapperIjLb0EEEEE10hipError_tT1_PNSt15iterator_traitsISI_E10value_typeET2_T3_PNSJ_ISO_E10value_typeET4_T5_PST_SU_PNS1_23onesweep_lookback_stateEbbT6_jjT7_P12ihipStream_tbENKUlT_T0_SI_SN_E_clISD_SD_SD_SD_EEDaS11_S12_SI_SN_EUlS11_E_NS1_11comp_targetILNS1_3genE9ELNS1_11target_archE1100ELNS1_3gpuE3ELNS1_3repE0EEENS1_47radix_sort_onesweep_sort_config_static_selectorELNS0_4arch9wavefront6targetE1EEEvSI_ ; -- Begin function _ZN7rocprim17ROCPRIM_400000_NS6detail17trampoline_kernelINS0_14default_configENS1_35radix_sort_onesweep_config_selectorIyyEEZZNS1_29radix_sort_onesweep_iterationIS3_Lb0EN6thrust23THRUST_200600_302600_NS6detail15normal_iteratorINS8_10device_ptrIyEEEESD_SD_SD_jNS0_19identity_decomposerENS1_16block_id_wrapperIjLb0EEEEE10hipError_tT1_PNSt15iterator_traitsISI_E10value_typeET2_T3_PNSJ_ISO_E10value_typeET4_T5_PST_SU_PNS1_23onesweep_lookback_stateEbbT6_jjT7_P12ihipStream_tbENKUlT_T0_SI_SN_E_clISD_SD_SD_SD_EEDaS11_S12_SI_SN_EUlS11_E_NS1_11comp_targetILNS1_3genE9ELNS1_11target_archE1100ELNS1_3gpuE3ELNS1_3repE0EEENS1_47radix_sort_onesweep_sort_config_static_selectorELNS0_4arch9wavefront6targetE1EEEvSI_
	.globl	_ZN7rocprim17ROCPRIM_400000_NS6detail17trampoline_kernelINS0_14default_configENS1_35radix_sort_onesweep_config_selectorIyyEEZZNS1_29radix_sort_onesweep_iterationIS3_Lb0EN6thrust23THRUST_200600_302600_NS6detail15normal_iteratorINS8_10device_ptrIyEEEESD_SD_SD_jNS0_19identity_decomposerENS1_16block_id_wrapperIjLb0EEEEE10hipError_tT1_PNSt15iterator_traitsISI_E10value_typeET2_T3_PNSJ_ISO_E10value_typeET4_T5_PST_SU_PNS1_23onesweep_lookback_stateEbbT6_jjT7_P12ihipStream_tbENKUlT_T0_SI_SN_E_clISD_SD_SD_SD_EEDaS11_S12_SI_SN_EUlS11_E_NS1_11comp_targetILNS1_3genE9ELNS1_11target_archE1100ELNS1_3gpuE3ELNS1_3repE0EEENS1_47radix_sort_onesweep_sort_config_static_selectorELNS0_4arch9wavefront6targetE1EEEvSI_
	.p2align	8
	.type	_ZN7rocprim17ROCPRIM_400000_NS6detail17trampoline_kernelINS0_14default_configENS1_35radix_sort_onesweep_config_selectorIyyEEZZNS1_29radix_sort_onesweep_iterationIS3_Lb0EN6thrust23THRUST_200600_302600_NS6detail15normal_iteratorINS8_10device_ptrIyEEEESD_SD_SD_jNS0_19identity_decomposerENS1_16block_id_wrapperIjLb0EEEEE10hipError_tT1_PNSt15iterator_traitsISI_E10value_typeET2_T3_PNSJ_ISO_E10value_typeET4_T5_PST_SU_PNS1_23onesweep_lookback_stateEbbT6_jjT7_P12ihipStream_tbENKUlT_T0_SI_SN_E_clISD_SD_SD_SD_EEDaS11_S12_SI_SN_EUlS11_E_NS1_11comp_targetILNS1_3genE9ELNS1_11target_archE1100ELNS1_3gpuE3ELNS1_3repE0EEENS1_47radix_sort_onesweep_sort_config_static_selectorELNS0_4arch9wavefront6targetE1EEEvSI_,@function
_ZN7rocprim17ROCPRIM_400000_NS6detail17trampoline_kernelINS0_14default_configENS1_35radix_sort_onesweep_config_selectorIyyEEZZNS1_29radix_sort_onesweep_iterationIS3_Lb0EN6thrust23THRUST_200600_302600_NS6detail15normal_iteratorINS8_10device_ptrIyEEEESD_SD_SD_jNS0_19identity_decomposerENS1_16block_id_wrapperIjLb0EEEEE10hipError_tT1_PNSt15iterator_traitsISI_E10value_typeET2_T3_PNSJ_ISO_E10value_typeET4_T5_PST_SU_PNS1_23onesweep_lookback_stateEbbT6_jjT7_P12ihipStream_tbENKUlT_T0_SI_SN_E_clISD_SD_SD_SD_EEDaS11_S12_SI_SN_EUlS11_E_NS1_11comp_targetILNS1_3genE9ELNS1_11target_archE1100ELNS1_3gpuE3ELNS1_3repE0EEENS1_47radix_sort_onesweep_sort_config_static_selectorELNS0_4arch9wavefront6targetE1EEEvSI_: ; @_ZN7rocprim17ROCPRIM_400000_NS6detail17trampoline_kernelINS0_14default_configENS1_35radix_sort_onesweep_config_selectorIyyEEZZNS1_29radix_sort_onesweep_iterationIS3_Lb0EN6thrust23THRUST_200600_302600_NS6detail15normal_iteratorINS8_10device_ptrIyEEEESD_SD_SD_jNS0_19identity_decomposerENS1_16block_id_wrapperIjLb0EEEEE10hipError_tT1_PNSt15iterator_traitsISI_E10value_typeET2_T3_PNSJ_ISO_E10value_typeET4_T5_PST_SU_PNS1_23onesweep_lookback_stateEbbT6_jjT7_P12ihipStream_tbENKUlT_T0_SI_SN_E_clISD_SD_SD_SD_EEDaS11_S12_SI_SN_EUlS11_E_NS1_11comp_targetILNS1_3genE9ELNS1_11target_archE1100ELNS1_3gpuE3ELNS1_3repE0EEENS1_47radix_sort_onesweep_sort_config_static_selectorELNS0_4arch9wavefront6targetE1EEEvSI_
; %bb.0:
	.section	.rodata,"a",@progbits
	.p2align	6, 0x0
	.amdhsa_kernel _ZN7rocprim17ROCPRIM_400000_NS6detail17trampoline_kernelINS0_14default_configENS1_35radix_sort_onesweep_config_selectorIyyEEZZNS1_29radix_sort_onesweep_iterationIS3_Lb0EN6thrust23THRUST_200600_302600_NS6detail15normal_iteratorINS8_10device_ptrIyEEEESD_SD_SD_jNS0_19identity_decomposerENS1_16block_id_wrapperIjLb0EEEEE10hipError_tT1_PNSt15iterator_traitsISI_E10value_typeET2_T3_PNSJ_ISO_E10value_typeET4_T5_PST_SU_PNS1_23onesweep_lookback_stateEbbT6_jjT7_P12ihipStream_tbENKUlT_T0_SI_SN_E_clISD_SD_SD_SD_EEDaS11_S12_SI_SN_EUlS11_E_NS1_11comp_targetILNS1_3genE9ELNS1_11target_archE1100ELNS1_3gpuE3ELNS1_3repE0EEENS1_47radix_sort_onesweep_sort_config_static_selectorELNS0_4arch9wavefront6targetE1EEEvSI_
		.amdhsa_group_segment_fixed_size 0
		.amdhsa_private_segment_fixed_size 0
		.amdhsa_kernarg_size 88
		.amdhsa_user_sgpr_count 2
		.amdhsa_user_sgpr_dispatch_ptr 0
		.amdhsa_user_sgpr_queue_ptr 0
		.amdhsa_user_sgpr_kernarg_segment_ptr 1
		.amdhsa_user_sgpr_dispatch_id 0
		.amdhsa_user_sgpr_kernarg_preload_length 0
		.amdhsa_user_sgpr_kernarg_preload_offset 0
		.amdhsa_user_sgpr_private_segment_size 0
		.amdhsa_uses_dynamic_stack 0
		.amdhsa_enable_private_segment 0
		.amdhsa_system_sgpr_workgroup_id_x 1
		.amdhsa_system_sgpr_workgroup_id_y 0
		.amdhsa_system_sgpr_workgroup_id_z 0
		.amdhsa_system_sgpr_workgroup_info 0
		.amdhsa_system_vgpr_workitem_id 0
		.amdhsa_next_free_vgpr 1
		.amdhsa_next_free_sgpr 0
		.amdhsa_accum_offset 4
		.amdhsa_reserve_vcc 0
		.amdhsa_float_round_mode_32 0
		.amdhsa_float_round_mode_16_64 0
		.amdhsa_float_denorm_mode_32 3
		.amdhsa_float_denorm_mode_16_64 3
		.amdhsa_dx10_clamp 1
		.amdhsa_ieee_mode 1
		.amdhsa_fp16_overflow 0
		.amdhsa_tg_split 0
		.amdhsa_exception_fp_ieee_invalid_op 0
		.amdhsa_exception_fp_denorm_src 0
		.amdhsa_exception_fp_ieee_div_zero 0
		.amdhsa_exception_fp_ieee_overflow 0
		.amdhsa_exception_fp_ieee_underflow 0
		.amdhsa_exception_fp_ieee_inexact 0
		.amdhsa_exception_int_div_zero 0
	.end_amdhsa_kernel
	.section	.text._ZN7rocprim17ROCPRIM_400000_NS6detail17trampoline_kernelINS0_14default_configENS1_35radix_sort_onesweep_config_selectorIyyEEZZNS1_29radix_sort_onesweep_iterationIS3_Lb0EN6thrust23THRUST_200600_302600_NS6detail15normal_iteratorINS8_10device_ptrIyEEEESD_SD_SD_jNS0_19identity_decomposerENS1_16block_id_wrapperIjLb0EEEEE10hipError_tT1_PNSt15iterator_traitsISI_E10value_typeET2_T3_PNSJ_ISO_E10value_typeET4_T5_PST_SU_PNS1_23onesweep_lookback_stateEbbT6_jjT7_P12ihipStream_tbENKUlT_T0_SI_SN_E_clISD_SD_SD_SD_EEDaS11_S12_SI_SN_EUlS11_E_NS1_11comp_targetILNS1_3genE9ELNS1_11target_archE1100ELNS1_3gpuE3ELNS1_3repE0EEENS1_47radix_sort_onesweep_sort_config_static_selectorELNS0_4arch9wavefront6targetE1EEEvSI_,"axG",@progbits,_ZN7rocprim17ROCPRIM_400000_NS6detail17trampoline_kernelINS0_14default_configENS1_35radix_sort_onesweep_config_selectorIyyEEZZNS1_29radix_sort_onesweep_iterationIS3_Lb0EN6thrust23THRUST_200600_302600_NS6detail15normal_iteratorINS8_10device_ptrIyEEEESD_SD_SD_jNS0_19identity_decomposerENS1_16block_id_wrapperIjLb0EEEEE10hipError_tT1_PNSt15iterator_traitsISI_E10value_typeET2_T3_PNSJ_ISO_E10value_typeET4_T5_PST_SU_PNS1_23onesweep_lookback_stateEbbT6_jjT7_P12ihipStream_tbENKUlT_T0_SI_SN_E_clISD_SD_SD_SD_EEDaS11_S12_SI_SN_EUlS11_E_NS1_11comp_targetILNS1_3genE9ELNS1_11target_archE1100ELNS1_3gpuE3ELNS1_3repE0EEENS1_47radix_sort_onesweep_sort_config_static_selectorELNS0_4arch9wavefront6targetE1EEEvSI_,comdat
.Lfunc_end562:
	.size	_ZN7rocprim17ROCPRIM_400000_NS6detail17trampoline_kernelINS0_14default_configENS1_35radix_sort_onesweep_config_selectorIyyEEZZNS1_29radix_sort_onesweep_iterationIS3_Lb0EN6thrust23THRUST_200600_302600_NS6detail15normal_iteratorINS8_10device_ptrIyEEEESD_SD_SD_jNS0_19identity_decomposerENS1_16block_id_wrapperIjLb0EEEEE10hipError_tT1_PNSt15iterator_traitsISI_E10value_typeET2_T3_PNSJ_ISO_E10value_typeET4_T5_PST_SU_PNS1_23onesweep_lookback_stateEbbT6_jjT7_P12ihipStream_tbENKUlT_T0_SI_SN_E_clISD_SD_SD_SD_EEDaS11_S12_SI_SN_EUlS11_E_NS1_11comp_targetILNS1_3genE9ELNS1_11target_archE1100ELNS1_3gpuE3ELNS1_3repE0EEENS1_47radix_sort_onesweep_sort_config_static_selectorELNS0_4arch9wavefront6targetE1EEEvSI_, .Lfunc_end562-_ZN7rocprim17ROCPRIM_400000_NS6detail17trampoline_kernelINS0_14default_configENS1_35radix_sort_onesweep_config_selectorIyyEEZZNS1_29radix_sort_onesweep_iterationIS3_Lb0EN6thrust23THRUST_200600_302600_NS6detail15normal_iteratorINS8_10device_ptrIyEEEESD_SD_SD_jNS0_19identity_decomposerENS1_16block_id_wrapperIjLb0EEEEE10hipError_tT1_PNSt15iterator_traitsISI_E10value_typeET2_T3_PNSJ_ISO_E10value_typeET4_T5_PST_SU_PNS1_23onesweep_lookback_stateEbbT6_jjT7_P12ihipStream_tbENKUlT_T0_SI_SN_E_clISD_SD_SD_SD_EEDaS11_S12_SI_SN_EUlS11_E_NS1_11comp_targetILNS1_3genE9ELNS1_11target_archE1100ELNS1_3gpuE3ELNS1_3repE0EEENS1_47radix_sort_onesweep_sort_config_static_selectorELNS0_4arch9wavefront6targetE1EEEvSI_
                                        ; -- End function
	.set _ZN7rocprim17ROCPRIM_400000_NS6detail17trampoline_kernelINS0_14default_configENS1_35radix_sort_onesweep_config_selectorIyyEEZZNS1_29radix_sort_onesweep_iterationIS3_Lb0EN6thrust23THRUST_200600_302600_NS6detail15normal_iteratorINS8_10device_ptrIyEEEESD_SD_SD_jNS0_19identity_decomposerENS1_16block_id_wrapperIjLb0EEEEE10hipError_tT1_PNSt15iterator_traitsISI_E10value_typeET2_T3_PNSJ_ISO_E10value_typeET4_T5_PST_SU_PNS1_23onesweep_lookback_stateEbbT6_jjT7_P12ihipStream_tbENKUlT_T0_SI_SN_E_clISD_SD_SD_SD_EEDaS11_S12_SI_SN_EUlS11_E_NS1_11comp_targetILNS1_3genE9ELNS1_11target_archE1100ELNS1_3gpuE3ELNS1_3repE0EEENS1_47radix_sort_onesweep_sort_config_static_selectorELNS0_4arch9wavefront6targetE1EEEvSI_.num_vgpr, 0
	.set _ZN7rocprim17ROCPRIM_400000_NS6detail17trampoline_kernelINS0_14default_configENS1_35radix_sort_onesweep_config_selectorIyyEEZZNS1_29radix_sort_onesweep_iterationIS3_Lb0EN6thrust23THRUST_200600_302600_NS6detail15normal_iteratorINS8_10device_ptrIyEEEESD_SD_SD_jNS0_19identity_decomposerENS1_16block_id_wrapperIjLb0EEEEE10hipError_tT1_PNSt15iterator_traitsISI_E10value_typeET2_T3_PNSJ_ISO_E10value_typeET4_T5_PST_SU_PNS1_23onesweep_lookback_stateEbbT6_jjT7_P12ihipStream_tbENKUlT_T0_SI_SN_E_clISD_SD_SD_SD_EEDaS11_S12_SI_SN_EUlS11_E_NS1_11comp_targetILNS1_3genE9ELNS1_11target_archE1100ELNS1_3gpuE3ELNS1_3repE0EEENS1_47radix_sort_onesweep_sort_config_static_selectorELNS0_4arch9wavefront6targetE1EEEvSI_.num_agpr, 0
	.set _ZN7rocprim17ROCPRIM_400000_NS6detail17trampoline_kernelINS0_14default_configENS1_35radix_sort_onesweep_config_selectorIyyEEZZNS1_29radix_sort_onesweep_iterationIS3_Lb0EN6thrust23THRUST_200600_302600_NS6detail15normal_iteratorINS8_10device_ptrIyEEEESD_SD_SD_jNS0_19identity_decomposerENS1_16block_id_wrapperIjLb0EEEEE10hipError_tT1_PNSt15iterator_traitsISI_E10value_typeET2_T3_PNSJ_ISO_E10value_typeET4_T5_PST_SU_PNS1_23onesweep_lookback_stateEbbT6_jjT7_P12ihipStream_tbENKUlT_T0_SI_SN_E_clISD_SD_SD_SD_EEDaS11_S12_SI_SN_EUlS11_E_NS1_11comp_targetILNS1_3genE9ELNS1_11target_archE1100ELNS1_3gpuE3ELNS1_3repE0EEENS1_47radix_sort_onesweep_sort_config_static_selectorELNS0_4arch9wavefront6targetE1EEEvSI_.numbered_sgpr, 0
	.set _ZN7rocprim17ROCPRIM_400000_NS6detail17trampoline_kernelINS0_14default_configENS1_35radix_sort_onesweep_config_selectorIyyEEZZNS1_29radix_sort_onesweep_iterationIS3_Lb0EN6thrust23THRUST_200600_302600_NS6detail15normal_iteratorINS8_10device_ptrIyEEEESD_SD_SD_jNS0_19identity_decomposerENS1_16block_id_wrapperIjLb0EEEEE10hipError_tT1_PNSt15iterator_traitsISI_E10value_typeET2_T3_PNSJ_ISO_E10value_typeET4_T5_PST_SU_PNS1_23onesweep_lookback_stateEbbT6_jjT7_P12ihipStream_tbENKUlT_T0_SI_SN_E_clISD_SD_SD_SD_EEDaS11_S12_SI_SN_EUlS11_E_NS1_11comp_targetILNS1_3genE9ELNS1_11target_archE1100ELNS1_3gpuE3ELNS1_3repE0EEENS1_47radix_sort_onesweep_sort_config_static_selectorELNS0_4arch9wavefront6targetE1EEEvSI_.num_named_barrier, 0
	.set _ZN7rocprim17ROCPRIM_400000_NS6detail17trampoline_kernelINS0_14default_configENS1_35radix_sort_onesweep_config_selectorIyyEEZZNS1_29radix_sort_onesweep_iterationIS3_Lb0EN6thrust23THRUST_200600_302600_NS6detail15normal_iteratorINS8_10device_ptrIyEEEESD_SD_SD_jNS0_19identity_decomposerENS1_16block_id_wrapperIjLb0EEEEE10hipError_tT1_PNSt15iterator_traitsISI_E10value_typeET2_T3_PNSJ_ISO_E10value_typeET4_T5_PST_SU_PNS1_23onesweep_lookback_stateEbbT6_jjT7_P12ihipStream_tbENKUlT_T0_SI_SN_E_clISD_SD_SD_SD_EEDaS11_S12_SI_SN_EUlS11_E_NS1_11comp_targetILNS1_3genE9ELNS1_11target_archE1100ELNS1_3gpuE3ELNS1_3repE0EEENS1_47radix_sort_onesweep_sort_config_static_selectorELNS0_4arch9wavefront6targetE1EEEvSI_.private_seg_size, 0
	.set _ZN7rocprim17ROCPRIM_400000_NS6detail17trampoline_kernelINS0_14default_configENS1_35radix_sort_onesweep_config_selectorIyyEEZZNS1_29radix_sort_onesweep_iterationIS3_Lb0EN6thrust23THRUST_200600_302600_NS6detail15normal_iteratorINS8_10device_ptrIyEEEESD_SD_SD_jNS0_19identity_decomposerENS1_16block_id_wrapperIjLb0EEEEE10hipError_tT1_PNSt15iterator_traitsISI_E10value_typeET2_T3_PNSJ_ISO_E10value_typeET4_T5_PST_SU_PNS1_23onesweep_lookback_stateEbbT6_jjT7_P12ihipStream_tbENKUlT_T0_SI_SN_E_clISD_SD_SD_SD_EEDaS11_S12_SI_SN_EUlS11_E_NS1_11comp_targetILNS1_3genE9ELNS1_11target_archE1100ELNS1_3gpuE3ELNS1_3repE0EEENS1_47radix_sort_onesweep_sort_config_static_selectorELNS0_4arch9wavefront6targetE1EEEvSI_.uses_vcc, 0
	.set _ZN7rocprim17ROCPRIM_400000_NS6detail17trampoline_kernelINS0_14default_configENS1_35radix_sort_onesweep_config_selectorIyyEEZZNS1_29radix_sort_onesweep_iterationIS3_Lb0EN6thrust23THRUST_200600_302600_NS6detail15normal_iteratorINS8_10device_ptrIyEEEESD_SD_SD_jNS0_19identity_decomposerENS1_16block_id_wrapperIjLb0EEEEE10hipError_tT1_PNSt15iterator_traitsISI_E10value_typeET2_T3_PNSJ_ISO_E10value_typeET4_T5_PST_SU_PNS1_23onesweep_lookback_stateEbbT6_jjT7_P12ihipStream_tbENKUlT_T0_SI_SN_E_clISD_SD_SD_SD_EEDaS11_S12_SI_SN_EUlS11_E_NS1_11comp_targetILNS1_3genE9ELNS1_11target_archE1100ELNS1_3gpuE3ELNS1_3repE0EEENS1_47radix_sort_onesweep_sort_config_static_selectorELNS0_4arch9wavefront6targetE1EEEvSI_.uses_flat_scratch, 0
	.set _ZN7rocprim17ROCPRIM_400000_NS6detail17trampoline_kernelINS0_14default_configENS1_35radix_sort_onesweep_config_selectorIyyEEZZNS1_29radix_sort_onesweep_iterationIS3_Lb0EN6thrust23THRUST_200600_302600_NS6detail15normal_iteratorINS8_10device_ptrIyEEEESD_SD_SD_jNS0_19identity_decomposerENS1_16block_id_wrapperIjLb0EEEEE10hipError_tT1_PNSt15iterator_traitsISI_E10value_typeET2_T3_PNSJ_ISO_E10value_typeET4_T5_PST_SU_PNS1_23onesweep_lookback_stateEbbT6_jjT7_P12ihipStream_tbENKUlT_T0_SI_SN_E_clISD_SD_SD_SD_EEDaS11_S12_SI_SN_EUlS11_E_NS1_11comp_targetILNS1_3genE9ELNS1_11target_archE1100ELNS1_3gpuE3ELNS1_3repE0EEENS1_47radix_sort_onesweep_sort_config_static_selectorELNS0_4arch9wavefront6targetE1EEEvSI_.has_dyn_sized_stack, 0
	.set _ZN7rocprim17ROCPRIM_400000_NS6detail17trampoline_kernelINS0_14default_configENS1_35radix_sort_onesweep_config_selectorIyyEEZZNS1_29radix_sort_onesweep_iterationIS3_Lb0EN6thrust23THRUST_200600_302600_NS6detail15normal_iteratorINS8_10device_ptrIyEEEESD_SD_SD_jNS0_19identity_decomposerENS1_16block_id_wrapperIjLb0EEEEE10hipError_tT1_PNSt15iterator_traitsISI_E10value_typeET2_T3_PNSJ_ISO_E10value_typeET4_T5_PST_SU_PNS1_23onesweep_lookback_stateEbbT6_jjT7_P12ihipStream_tbENKUlT_T0_SI_SN_E_clISD_SD_SD_SD_EEDaS11_S12_SI_SN_EUlS11_E_NS1_11comp_targetILNS1_3genE9ELNS1_11target_archE1100ELNS1_3gpuE3ELNS1_3repE0EEENS1_47radix_sort_onesweep_sort_config_static_selectorELNS0_4arch9wavefront6targetE1EEEvSI_.has_recursion, 0
	.set _ZN7rocprim17ROCPRIM_400000_NS6detail17trampoline_kernelINS0_14default_configENS1_35radix_sort_onesweep_config_selectorIyyEEZZNS1_29radix_sort_onesweep_iterationIS3_Lb0EN6thrust23THRUST_200600_302600_NS6detail15normal_iteratorINS8_10device_ptrIyEEEESD_SD_SD_jNS0_19identity_decomposerENS1_16block_id_wrapperIjLb0EEEEE10hipError_tT1_PNSt15iterator_traitsISI_E10value_typeET2_T3_PNSJ_ISO_E10value_typeET4_T5_PST_SU_PNS1_23onesweep_lookback_stateEbbT6_jjT7_P12ihipStream_tbENKUlT_T0_SI_SN_E_clISD_SD_SD_SD_EEDaS11_S12_SI_SN_EUlS11_E_NS1_11comp_targetILNS1_3genE9ELNS1_11target_archE1100ELNS1_3gpuE3ELNS1_3repE0EEENS1_47radix_sort_onesweep_sort_config_static_selectorELNS0_4arch9wavefront6targetE1EEEvSI_.has_indirect_call, 0
	.section	.AMDGPU.csdata,"",@progbits
; Kernel info:
; codeLenInByte = 0
; TotalNumSgprs: 6
; NumVgprs: 0
; NumAgprs: 0
; TotalNumVgprs: 0
; ScratchSize: 0
; MemoryBound: 0
; FloatMode: 240
; IeeeMode: 1
; LDSByteSize: 0 bytes/workgroup (compile time only)
; SGPRBlocks: 0
; VGPRBlocks: 0
; NumSGPRsForWavesPerEU: 6
; NumVGPRsForWavesPerEU: 1
; AccumOffset: 4
; Occupancy: 8
; WaveLimiterHint : 0
; COMPUTE_PGM_RSRC2:SCRATCH_EN: 0
; COMPUTE_PGM_RSRC2:USER_SGPR: 2
; COMPUTE_PGM_RSRC2:TRAP_HANDLER: 0
; COMPUTE_PGM_RSRC2:TGID_X_EN: 1
; COMPUTE_PGM_RSRC2:TGID_Y_EN: 0
; COMPUTE_PGM_RSRC2:TGID_Z_EN: 0
; COMPUTE_PGM_RSRC2:TIDIG_COMP_CNT: 0
; COMPUTE_PGM_RSRC3_GFX90A:ACCUM_OFFSET: 0
; COMPUTE_PGM_RSRC3_GFX90A:TG_SPLIT: 0
	.section	.text._ZN7rocprim17ROCPRIM_400000_NS6detail17trampoline_kernelINS0_14default_configENS1_35radix_sort_onesweep_config_selectorIyyEEZZNS1_29radix_sort_onesweep_iterationIS3_Lb0EN6thrust23THRUST_200600_302600_NS6detail15normal_iteratorINS8_10device_ptrIyEEEESD_SD_SD_jNS0_19identity_decomposerENS1_16block_id_wrapperIjLb0EEEEE10hipError_tT1_PNSt15iterator_traitsISI_E10value_typeET2_T3_PNSJ_ISO_E10value_typeET4_T5_PST_SU_PNS1_23onesweep_lookback_stateEbbT6_jjT7_P12ihipStream_tbENKUlT_T0_SI_SN_E_clISD_SD_SD_SD_EEDaS11_S12_SI_SN_EUlS11_E_NS1_11comp_targetILNS1_3genE8ELNS1_11target_archE1030ELNS1_3gpuE2ELNS1_3repE0EEENS1_47radix_sort_onesweep_sort_config_static_selectorELNS0_4arch9wavefront6targetE1EEEvSI_,"axG",@progbits,_ZN7rocprim17ROCPRIM_400000_NS6detail17trampoline_kernelINS0_14default_configENS1_35radix_sort_onesweep_config_selectorIyyEEZZNS1_29radix_sort_onesweep_iterationIS3_Lb0EN6thrust23THRUST_200600_302600_NS6detail15normal_iteratorINS8_10device_ptrIyEEEESD_SD_SD_jNS0_19identity_decomposerENS1_16block_id_wrapperIjLb0EEEEE10hipError_tT1_PNSt15iterator_traitsISI_E10value_typeET2_T3_PNSJ_ISO_E10value_typeET4_T5_PST_SU_PNS1_23onesweep_lookback_stateEbbT6_jjT7_P12ihipStream_tbENKUlT_T0_SI_SN_E_clISD_SD_SD_SD_EEDaS11_S12_SI_SN_EUlS11_E_NS1_11comp_targetILNS1_3genE8ELNS1_11target_archE1030ELNS1_3gpuE2ELNS1_3repE0EEENS1_47radix_sort_onesweep_sort_config_static_selectorELNS0_4arch9wavefront6targetE1EEEvSI_,comdat
	.protected	_ZN7rocprim17ROCPRIM_400000_NS6detail17trampoline_kernelINS0_14default_configENS1_35radix_sort_onesweep_config_selectorIyyEEZZNS1_29radix_sort_onesweep_iterationIS3_Lb0EN6thrust23THRUST_200600_302600_NS6detail15normal_iteratorINS8_10device_ptrIyEEEESD_SD_SD_jNS0_19identity_decomposerENS1_16block_id_wrapperIjLb0EEEEE10hipError_tT1_PNSt15iterator_traitsISI_E10value_typeET2_T3_PNSJ_ISO_E10value_typeET4_T5_PST_SU_PNS1_23onesweep_lookback_stateEbbT6_jjT7_P12ihipStream_tbENKUlT_T0_SI_SN_E_clISD_SD_SD_SD_EEDaS11_S12_SI_SN_EUlS11_E_NS1_11comp_targetILNS1_3genE8ELNS1_11target_archE1030ELNS1_3gpuE2ELNS1_3repE0EEENS1_47radix_sort_onesweep_sort_config_static_selectorELNS0_4arch9wavefront6targetE1EEEvSI_ ; -- Begin function _ZN7rocprim17ROCPRIM_400000_NS6detail17trampoline_kernelINS0_14default_configENS1_35radix_sort_onesweep_config_selectorIyyEEZZNS1_29radix_sort_onesweep_iterationIS3_Lb0EN6thrust23THRUST_200600_302600_NS6detail15normal_iteratorINS8_10device_ptrIyEEEESD_SD_SD_jNS0_19identity_decomposerENS1_16block_id_wrapperIjLb0EEEEE10hipError_tT1_PNSt15iterator_traitsISI_E10value_typeET2_T3_PNSJ_ISO_E10value_typeET4_T5_PST_SU_PNS1_23onesweep_lookback_stateEbbT6_jjT7_P12ihipStream_tbENKUlT_T0_SI_SN_E_clISD_SD_SD_SD_EEDaS11_S12_SI_SN_EUlS11_E_NS1_11comp_targetILNS1_3genE8ELNS1_11target_archE1030ELNS1_3gpuE2ELNS1_3repE0EEENS1_47radix_sort_onesweep_sort_config_static_selectorELNS0_4arch9wavefront6targetE1EEEvSI_
	.globl	_ZN7rocprim17ROCPRIM_400000_NS6detail17trampoline_kernelINS0_14default_configENS1_35radix_sort_onesweep_config_selectorIyyEEZZNS1_29radix_sort_onesweep_iterationIS3_Lb0EN6thrust23THRUST_200600_302600_NS6detail15normal_iteratorINS8_10device_ptrIyEEEESD_SD_SD_jNS0_19identity_decomposerENS1_16block_id_wrapperIjLb0EEEEE10hipError_tT1_PNSt15iterator_traitsISI_E10value_typeET2_T3_PNSJ_ISO_E10value_typeET4_T5_PST_SU_PNS1_23onesweep_lookback_stateEbbT6_jjT7_P12ihipStream_tbENKUlT_T0_SI_SN_E_clISD_SD_SD_SD_EEDaS11_S12_SI_SN_EUlS11_E_NS1_11comp_targetILNS1_3genE8ELNS1_11target_archE1030ELNS1_3gpuE2ELNS1_3repE0EEENS1_47radix_sort_onesweep_sort_config_static_selectorELNS0_4arch9wavefront6targetE1EEEvSI_
	.p2align	8
	.type	_ZN7rocprim17ROCPRIM_400000_NS6detail17trampoline_kernelINS0_14default_configENS1_35radix_sort_onesweep_config_selectorIyyEEZZNS1_29radix_sort_onesweep_iterationIS3_Lb0EN6thrust23THRUST_200600_302600_NS6detail15normal_iteratorINS8_10device_ptrIyEEEESD_SD_SD_jNS0_19identity_decomposerENS1_16block_id_wrapperIjLb0EEEEE10hipError_tT1_PNSt15iterator_traitsISI_E10value_typeET2_T3_PNSJ_ISO_E10value_typeET4_T5_PST_SU_PNS1_23onesweep_lookback_stateEbbT6_jjT7_P12ihipStream_tbENKUlT_T0_SI_SN_E_clISD_SD_SD_SD_EEDaS11_S12_SI_SN_EUlS11_E_NS1_11comp_targetILNS1_3genE8ELNS1_11target_archE1030ELNS1_3gpuE2ELNS1_3repE0EEENS1_47radix_sort_onesweep_sort_config_static_selectorELNS0_4arch9wavefront6targetE1EEEvSI_,@function
_ZN7rocprim17ROCPRIM_400000_NS6detail17trampoline_kernelINS0_14default_configENS1_35radix_sort_onesweep_config_selectorIyyEEZZNS1_29radix_sort_onesweep_iterationIS3_Lb0EN6thrust23THRUST_200600_302600_NS6detail15normal_iteratorINS8_10device_ptrIyEEEESD_SD_SD_jNS0_19identity_decomposerENS1_16block_id_wrapperIjLb0EEEEE10hipError_tT1_PNSt15iterator_traitsISI_E10value_typeET2_T3_PNSJ_ISO_E10value_typeET4_T5_PST_SU_PNS1_23onesweep_lookback_stateEbbT6_jjT7_P12ihipStream_tbENKUlT_T0_SI_SN_E_clISD_SD_SD_SD_EEDaS11_S12_SI_SN_EUlS11_E_NS1_11comp_targetILNS1_3genE8ELNS1_11target_archE1030ELNS1_3gpuE2ELNS1_3repE0EEENS1_47radix_sort_onesweep_sort_config_static_selectorELNS0_4arch9wavefront6targetE1EEEvSI_: ; @_ZN7rocprim17ROCPRIM_400000_NS6detail17trampoline_kernelINS0_14default_configENS1_35radix_sort_onesweep_config_selectorIyyEEZZNS1_29radix_sort_onesweep_iterationIS3_Lb0EN6thrust23THRUST_200600_302600_NS6detail15normal_iteratorINS8_10device_ptrIyEEEESD_SD_SD_jNS0_19identity_decomposerENS1_16block_id_wrapperIjLb0EEEEE10hipError_tT1_PNSt15iterator_traitsISI_E10value_typeET2_T3_PNSJ_ISO_E10value_typeET4_T5_PST_SU_PNS1_23onesweep_lookback_stateEbbT6_jjT7_P12ihipStream_tbENKUlT_T0_SI_SN_E_clISD_SD_SD_SD_EEDaS11_S12_SI_SN_EUlS11_E_NS1_11comp_targetILNS1_3genE8ELNS1_11target_archE1030ELNS1_3gpuE2ELNS1_3repE0EEENS1_47radix_sort_onesweep_sort_config_static_selectorELNS0_4arch9wavefront6targetE1EEEvSI_
; %bb.0:
	.section	.rodata,"a",@progbits
	.p2align	6, 0x0
	.amdhsa_kernel _ZN7rocprim17ROCPRIM_400000_NS6detail17trampoline_kernelINS0_14default_configENS1_35radix_sort_onesweep_config_selectorIyyEEZZNS1_29radix_sort_onesweep_iterationIS3_Lb0EN6thrust23THRUST_200600_302600_NS6detail15normal_iteratorINS8_10device_ptrIyEEEESD_SD_SD_jNS0_19identity_decomposerENS1_16block_id_wrapperIjLb0EEEEE10hipError_tT1_PNSt15iterator_traitsISI_E10value_typeET2_T3_PNSJ_ISO_E10value_typeET4_T5_PST_SU_PNS1_23onesweep_lookback_stateEbbT6_jjT7_P12ihipStream_tbENKUlT_T0_SI_SN_E_clISD_SD_SD_SD_EEDaS11_S12_SI_SN_EUlS11_E_NS1_11comp_targetILNS1_3genE8ELNS1_11target_archE1030ELNS1_3gpuE2ELNS1_3repE0EEENS1_47radix_sort_onesweep_sort_config_static_selectorELNS0_4arch9wavefront6targetE1EEEvSI_
		.amdhsa_group_segment_fixed_size 0
		.amdhsa_private_segment_fixed_size 0
		.amdhsa_kernarg_size 88
		.amdhsa_user_sgpr_count 2
		.amdhsa_user_sgpr_dispatch_ptr 0
		.amdhsa_user_sgpr_queue_ptr 0
		.amdhsa_user_sgpr_kernarg_segment_ptr 1
		.amdhsa_user_sgpr_dispatch_id 0
		.amdhsa_user_sgpr_kernarg_preload_length 0
		.amdhsa_user_sgpr_kernarg_preload_offset 0
		.amdhsa_user_sgpr_private_segment_size 0
		.amdhsa_uses_dynamic_stack 0
		.amdhsa_enable_private_segment 0
		.amdhsa_system_sgpr_workgroup_id_x 1
		.amdhsa_system_sgpr_workgroup_id_y 0
		.amdhsa_system_sgpr_workgroup_id_z 0
		.amdhsa_system_sgpr_workgroup_info 0
		.amdhsa_system_vgpr_workitem_id 0
		.amdhsa_next_free_vgpr 1
		.amdhsa_next_free_sgpr 0
		.amdhsa_accum_offset 4
		.amdhsa_reserve_vcc 0
		.amdhsa_float_round_mode_32 0
		.amdhsa_float_round_mode_16_64 0
		.amdhsa_float_denorm_mode_32 3
		.amdhsa_float_denorm_mode_16_64 3
		.amdhsa_dx10_clamp 1
		.amdhsa_ieee_mode 1
		.amdhsa_fp16_overflow 0
		.amdhsa_tg_split 0
		.amdhsa_exception_fp_ieee_invalid_op 0
		.amdhsa_exception_fp_denorm_src 0
		.amdhsa_exception_fp_ieee_div_zero 0
		.amdhsa_exception_fp_ieee_overflow 0
		.amdhsa_exception_fp_ieee_underflow 0
		.amdhsa_exception_fp_ieee_inexact 0
		.amdhsa_exception_int_div_zero 0
	.end_amdhsa_kernel
	.section	.text._ZN7rocprim17ROCPRIM_400000_NS6detail17trampoline_kernelINS0_14default_configENS1_35radix_sort_onesweep_config_selectorIyyEEZZNS1_29radix_sort_onesweep_iterationIS3_Lb0EN6thrust23THRUST_200600_302600_NS6detail15normal_iteratorINS8_10device_ptrIyEEEESD_SD_SD_jNS0_19identity_decomposerENS1_16block_id_wrapperIjLb0EEEEE10hipError_tT1_PNSt15iterator_traitsISI_E10value_typeET2_T3_PNSJ_ISO_E10value_typeET4_T5_PST_SU_PNS1_23onesweep_lookback_stateEbbT6_jjT7_P12ihipStream_tbENKUlT_T0_SI_SN_E_clISD_SD_SD_SD_EEDaS11_S12_SI_SN_EUlS11_E_NS1_11comp_targetILNS1_3genE8ELNS1_11target_archE1030ELNS1_3gpuE2ELNS1_3repE0EEENS1_47radix_sort_onesweep_sort_config_static_selectorELNS0_4arch9wavefront6targetE1EEEvSI_,"axG",@progbits,_ZN7rocprim17ROCPRIM_400000_NS6detail17trampoline_kernelINS0_14default_configENS1_35radix_sort_onesweep_config_selectorIyyEEZZNS1_29radix_sort_onesweep_iterationIS3_Lb0EN6thrust23THRUST_200600_302600_NS6detail15normal_iteratorINS8_10device_ptrIyEEEESD_SD_SD_jNS0_19identity_decomposerENS1_16block_id_wrapperIjLb0EEEEE10hipError_tT1_PNSt15iterator_traitsISI_E10value_typeET2_T3_PNSJ_ISO_E10value_typeET4_T5_PST_SU_PNS1_23onesweep_lookback_stateEbbT6_jjT7_P12ihipStream_tbENKUlT_T0_SI_SN_E_clISD_SD_SD_SD_EEDaS11_S12_SI_SN_EUlS11_E_NS1_11comp_targetILNS1_3genE8ELNS1_11target_archE1030ELNS1_3gpuE2ELNS1_3repE0EEENS1_47radix_sort_onesweep_sort_config_static_selectorELNS0_4arch9wavefront6targetE1EEEvSI_,comdat
.Lfunc_end563:
	.size	_ZN7rocprim17ROCPRIM_400000_NS6detail17trampoline_kernelINS0_14default_configENS1_35radix_sort_onesweep_config_selectorIyyEEZZNS1_29radix_sort_onesweep_iterationIS3_Lb0EN6thrust23THRUST_200600_302600_NS6detail15normal_iteratorINS8_10device_ptrIyEEEESD_SD_SD_jNS0_19identity_decomposerENS1_16block_id_wrapperIjLb0EEEEE10hipError_tT1_PNSt15iterator_traitsISI_E10value_typeET2_T3_PNSJ_ISO_E10value_typeET4_T5_PST_SU_PNS1_23onesweep_lookback_stateEbbT6_jjT7_P12ihipStream_tbENKUlT_T0_SI_SN_E_clISD_SD_SD_SD_EEDaS11_S12_SI_SN_EUlS11_E_NS1_11comp_targetILNS1_3genE8ELNS1_11target_archE1030ELNS1_3gpuE2ELNS1_3repE0EEENS1_47radix_sort_onesweep_sort_config_static_selectorELNS0_4arch9wavefront6targetE1EEEvSI_, .Lfunc_end563-_ZN7rocprim17ROCPRIM_400000_NS6detail17trampoline_kernelINS0_14default_configENS1_35radix_sort_onesweep_config_selectorIyyEEZZNS1_29radix_sort_onesweep_iterationIS3_Lb0EN6thrust23THRUST_200600_302600_NS6detail15normal_iteratorINS8_10device_ptrIyEEEESD_SD_SD_jNS0_19identity_decomposerENS1_16block_id_wrapperIjLb0EEEEE10hipError_tT1_PNSt15iterator_traitsISI_E10value_typeET2_T3_PNSJ_ISO_E10value_typeET4_T5_PST_SU_PNS1_23onesweep_lookback_stateEbbT6_jjT7_P12ihipStream_tbENKUlT_T0_SI_SN_E_clISD_SD_SD_SD_EEDaS11_S12_SI_SN_EUlS11_E_NS1_11comp_targetILNS1_3genE8ELNS1_11target_archE1030ELNS1_3gpuE2ELNS1_3repE0EEENS1_47radix_sort_onesweep_sort_config_static_selectorELNS0_4arch9wavefront6targetE1EEEvSI_
                                        ; -- End function
	.set _ZN7rocprim17ROCPRIM_400000_NS6detail17trampoline_kernelINS0_14default_configENS1_35radix_sort_onesweep_config_selectorIyyEEZZNS1_29radix_sort_onesweep_iterationIS3_Lb0EN6thrust23THRUST_200600_302600_NS6detail15normal_iteratorINS8_10device_ptrIyEEEESD_SD_SD_jNS0_19identity_decomposerENS1_16block_id_wrapperIjLb0EEEEE10hipError_tT1_PNSt15iterator_traitsISI_E10value_typeET2_T3_PNSJ_ISO_E10value_typeET4_T5_PST_SU_PNS1_23onesweep_lookback_stateEbbT6_jjT7_P12ihipStream_tbENKUlT_T0_SI_SN_E_clISD_SD_SD_SD_EEDaS11_S12_SI_SN_EUlS11_E_NS1_11comp_targetILNS1_3genE8ELNS1_11target_archE1030ELNS1_3gpuE2ELNS1_3repE0EEENS1_47radix_sort_onesweep_sort_config_static_selectorELNS0_4arch9wavefront6targetE1EEEvSI_.num_vgpr, 0
	.set _ZN7rocprim17ROCPRIM_400000_NS6detail17trampoline_kernelINS0_14default_configENS1_35radix_sort_onesweep_config_selectorIyyEEZZNS1_29radix_sort_onesweep_iterationIS3_Lb0EN6thrust23THRUST_200600_302600_NS6detail15normal_iteratorINS8_10device_ptrIyEEEESD_SD_SD_jNS0_19identity_decomposerENS1_16block_id_wrapperIjLb0EEEEE10hipError_tT1_PNSt15iterator_traitsISI_E10value_typeET2_T3_PNSJ_ISO_E10value_typeET4_T5_PST_SU_PNS1_23onesweep_lookback_stateEbbT6_jjT7_P12ihipStream_tbENKUlT_T0_SI_SN_E_clISD_SD_SD_SD_EEDaS11_S12_SI_SN_EUlS11_E_NS1_11comp_targetILNS1_3genE8ELNS1_11target_archE1030ELNS1_3gpuE2ELNS1_3repE0EEENS1_47radix_sort_onesweep_sort_config_static_selectorELNS0_4arch9wavefront6targetE1EEEvSI_.num_agpr, 0
	.set _ZN7rocprim17ROCPRIM_400000_NS6detail17trampoline_kernelINS0_14default_configENS1_35radix_sort_onesweep_config_selectorIyyEEZZNS1_29radix_sort_onesweep_iterationIS3_Lb0EN6thrust23THRUST_200600_302600_NS6detail15normal_iteratorINS8_10device_ptrIyEEEESD_SD_SD_jNS0_19identity_decomposerENS1_16block_id_wrapperIjLb0EEEEE10hipError_tT1_PNSt15iterator_traitsISI_E10value_typeET2_T3_PNSJ_ISO_E10value_typeET4_T5_PST_SU_PNS1_23onesweep_lookback_stateEbbT6_jjT7_P12ihipStream_tbENKUlT_T0_SI_SN_E_clISD_SD_SD_SD_EEDaS11_S12_SI_SN_EUlS11_E_NS1_11comp_targetILNS1_3genE8ELNS1_11target_archE1030ELNS1_3gpuE2ELNS1_3repE0EEENS1_47radix_sort_onesweep_sort_config_static_selectorELNS0_4arch9wavefront6targetE1EEEvSI_.numbered_sgpr, 0
	.set _ZN7rocprim17ROCPRIM_400000_NS6detail17trampoline_kernelINS0_14default_configENS1_35radix_sort_onesweep_config_selectorIyyEEZZNS1_29radix_sort_onesweep_iterationIS3_Lb0EN6thrust23THRUST_200600_302600_NS6detail15normal_iteratorINS8_10device_ptrIyEEEESD_SD_SD_jNS0_19identity_decomposerENS1_16block_id_wrapperIjLb0EEEEE10hipError_tT1_PNSt15iterator_traitsISI_E10value_typeET2_T3_PNSJ_ISO_E10value_typeET4_T5_PST_SU_PNS1_23onesweep_lookback_stateEbbT6_jjT7_P12ihipStream_tbENKUlT_T0_SI_SN_E_clISD_SD_SD_SD_EEDaS11_S12_SI_SN_EUlS11_E_NS1_11comp_targetILNS1_3genE8ELNS1_11target_archE1030ELNS1_3gpuE2ELNS1_3repE0EEENS1_47radix_sort_onesweep_sort_config_static_selectorELNS0_4arch9wavefront6targetE1EEEvSI_.num_named_barrier, 0
	.set _ZN7rocprim17ROCPRIM_400000_NS6detail17trampoline_kernelINS0_14default_configENS1_35radix_sort_onesweep_config_selectorIyyEEZZNS1_29radix_sort_onesweep_iterationIS3_Lb0EN6thrust23THRUST_200600_302600_NS6detail15normal_iteratorINS8_10device_ptrIyEEEESD_SD_SD_jNS0_19identity_decomposerENS1_16block_id_wrapperIjLb0EEEEE10hipError_tT1_PNSt15iterator_traitsISI_E10value_typeET2_T3_PNSJ_ISO_E10value_typeET4_T5_PST_SU_PNS1_23onesweep_lookback_stateEbbT6_jjT7_P12ihipStream_tbENKUlT_T0_SI_SN_E_clISD_SD_SD_SD_EEDaS11_S12_SI_SN_EUlS11_E_NS1_11comp_targetILNS1_3genE8ELNS1_11target_archE1030ELNS1_3gpuE2ELNS1_3repE0EEENS1_47radix_sort_onesweep_sort_config_static_selectorELNS0_4arch9wavefront6targetE1EEEvSI_.private_seg_size, 0
	.set _ZN7rocprim17ROCPRIM_400000_NS6detail17trampoline_kernelINS0_14default_configENS1_35radix_sort_onesweep_config_selectorIyyEEZZNS1_29radix_sort_onesweep_iterationIS3_Lb0EN6thrust23THRUST_200600_302600_NS6detail15normal_iteratorINS8_10device_ptrIyEEEESD_SD_SD_jNS0_19identity_decomposerENS1_16block_id_wrapperIjLb0EEEEE10hipError_tT1_PNSt15iterator_traitsISI_E10value_typeET2_T3_PNSJ_ISO_E10value_typeET4_T5_PST_SU_PNS1_23onesweep_lookback_stateEbbT6_jjT7_P12ihipStream_tbENKUlT_T0_SI_SN_E_clISD_SD_SD_SD_EEDaS11_S12_SI_SN_EUlS11_E_NS1_11comp_targetILNS1_3genE8ELNS1_11target_archE1030ELNS1_3gpuE2ELNS1_3repE0EEENS1_47radix_sort_onesweep_sort_config_static_selectorELNS0_4arch9wavefront6targetE1EEEvSI_.uses_vcc, 0
	.set _ZN7rocprim17ROCPRIM_400000_NS6detail17trampoline_kernelINS0_14default_configENS1_35radix_sort_onesweep_config_selectorIyyEEZZNS1_29radix_sort_onesweep_iterationIS3_Lb0EN6thrust23THRUST_200600_302600_NS6detail15normal_iteratorINS8_10device_ptrIyEEEESD_SD_SD_jNS0_19identity_decomposerENS1_16block_id_wrapperIjLb0EEEEE10hipError_tT1_PNSt15iterator_traitsISI_E10value_typeET2_T3_PNSJ_ISO_E10value_typeET4_T5_PST_SU_PNS1_23onesweep_lookback_stateEbbT6_jjT7_P12ihipStream_tbENKUlT_T0_SI_SN_E_clISD_SD_SD_SD_EEDaS11_S12_SI_SN_EUlS11_E_NS1_11comp_targetILNS1_3genE8ELNS1_11target_archE1030ELNS1_3gpuE2ELNS1_3repE0EEENS1_47radix_sort_onesweep_sort_config_static_selectorELNS0_4arch9wavefront6targetE1EEEvSI_.uses_flat_scratch, 0
	.set _ZN7rocprim17ROCPRIM_400000_NS6detail17trampoline_kernelINS0_14default_configENS1_35radix_sort_onesweep_config_selectorIyyEEZZNS1_29radix_sort_onesweep_iterationIS3_Lb0EN6thrust23THRUST_200600_302600_NS6detail15normal_iteratorINS8_10device_ptrIyEEEESD_SD_SD_jNS0_19identity_decomposerENS1_16block_id_wrapperIjLb0EEEEE10hipError_tT1_PNSt15iterator_traitsISI_E10value_typeET2_T3_PNSJ_ISO_E10value_typeET4_T5_PST_SU_PNS1_23onesweep_lookback_stateEbbT6_jjT7_P12ihipStream_tbENKUlT_T0_SI_SN_E_clISD_SD_SD_SD_EEDaS11_S12_SI_SN_EUlS11_E_NS1_11comp_targetILNS1_3genE8ELNS1_11target_archE1030ELNS1_3gpuE2ELNS1_3repE0EEENS1_47radix_sort_onesweep_sort_config_static_selectorELNS0_4arch9wavefront6targetE1EEEvSI_.has_dyn_sized_stack, 0
	.set _ZN7rocprim17ROCPRIM_400000_NS6detail17trampoline_kernelINS0_14default_configENS1_35radix_sort_onesweep_config_selectorIyyEEZZNS1_29radix_sort_onesweep_iterationIS3_Lb0EN6thrust23THRUST_200600_302600_NS6detail15normal_iteratorINS8_10device_ptrIyEEEESD_SD_SD_jNS0_19identity_decomposerENS1_16block_id_wrapperIjLb0EEEEE10hipError_tT1_PNSt15iterator_traitsISI_E10value_typeET2_T3_PNSJ_ISO_E10value_typeET4_T5_PST_SU_PNS1_23onesweep_lookback_stateEbbT6_jjT7_P12ihipStream_tbENKUlT_T0_SI_SN_E_clISD_SD_SD_SD_EEDaS11_S12_SI_SN_EUlS11_E_NS1_11comp_targetILNS1_3genE8ELNS1_11target_archE1030ELNS1_3gpuE2ELNS1_3repE0EEENS1_47radix_sort_onesweep_sort_config_static_selectorELNS0_4arch9wavefront6targetE1EEEvSI_.has_recursion, 0
	.set _ZN7rocprim17ROCPRIM_400000_NS6detail17trampoline_kernelINS0_14default_configENS1_35radix_sort_onesweep_config_selectorIyyEEZZNS1_29radix_sort_onesweep_iterationIS3_Lb0EN6thrust23THRUST_200600_302600_NS6detail15normal_iteratorINS8_10device_ptrIyEEEESD_SD_SD_jNS0_19identity_decomposerENS1_16block_id_wrapperIjLb0EEEEE10hipError_tT1_PNSt15iterator_traitsISI_E10value_typeET2_T3_PNSJ_ISO_E10value_typeET4_T5_PST_SU_PNS1_23onesweep_lookback_stateEbbT6_jjT7_P12ihipStream_tbENKUlT_T0_SI_SN_E_clISD_SD_SD_SD_EEDaS11_S12_SI_SN_EUlS11_E_NS1_11comp_targetILNS1_3genE8ELNS1_11target_archE1030ELNS1_3gpuE2ELNS1_3repE0EEENS1_47radix_sort_onesweep_sort_config_static_selectorELNS0_4arch9wavefront6targetE1EEEvSI_.has_indirect_call, 0
	.section	.AMDGPU.csdata,"",@progbits
; Kernel info:
; codeLenInByte = 0
; TotalNumSgprs: 6
; NumVgprs: 0
; NumAgprs: 0
; TotalNumVgprs: 0
; ScratchSize: 0
; MemoryBound: 0
; FloatMode: 240
; IeeeMode: 1
; LDSByteSize: 0 bytes/workgroup (compile time only)
; SGPRBlocks: 0
; VGPRBlocks: 0
; NumSGPRsForWavesPerEU: 6
; NumVGPRsForWavesPerEU: 1
; AccumOffset: 4
; Occupancy: 8
; WaveLimiterHint : 0
; COMPUTE_PGM_RSRC2:SCRATCH_EN: 0
; COMPUTE_PGM_RSRC2:USER_SGPR: 2
; COMPUTE_PGM_RSRC2:TRAP_HANDLER: 0
; COMPUTE_PGM_RSRC2:TGID_X_EN: 1
; COMPUTE_PGM_RSRC2:TGID_Y_EN: 0
; COMPUTE_PGM_RSRC2:TGID_Z_EN: 0
; COMPUTE_PGM_RSRC2:TIDIG_COMP_CNT: 0
; COMPUTE_PGM_RSRC3_GFX90A:ACCUM_OFFSET: 0
; COMPUTE_PGM_RSRC3_GFX90A:TG_SPLIT: 0
	.section	.text._ZN7rocprim17ROCPRIM_400000_NS6detail17trampoline_kernelINS0_14default_configENS1_35radix_sort_onesweep_config_selectorIyyEEZZNS1_29radix_sort_onesweep_iterationIS3_Lb0EN6thrust23THRUST_200600_302600_NS6detail15normal_iteratorINS8_10device_ptrIyEEEESD_SD_SD_jNS0_19identity_decomposerENS1_16block_id_wrapperIjLb0EEEEE10hipError_tT1_PNSt15iterator_traitsISI_E10value_typeET2_T3_PNSJ_ISO_E10value_typeET4_T5_PST_SU_PNS1_23onesweep_lookback_stateEbbT6_jjT7_P12ihipStream_tbENKUlT_T0_SI_SN_E_clISD_PySD_S15_EEDaS11_S12_SI_SN_EUlS11_E_NS1_11comp_targetILNS1_3genE0ELNS1_11target_archE4294967295ELNS1_3gpuE0ELNS1_3repE0EEENS1_47radix_sort_onesweep_sort_config_static_selectorELNS0_4arch9wavefront6targetE1EEEvSI_,"axG",@progbits,_ZN7rocprim17ROCPRIM_400000_NS6detail17trampoline_kernelINS0_14default_configENS1_35radix_sort_onesweep_config_selectorIyyEEZZNS1_29radix_sort_onesweep_iterationIS3_Lb0EN6thrust23THRUST_200600_302600_NS6detail15normal_iteratorINS8_10device_ptrIyEEEESD_SD_SD_jNS0_19identity_decomposerENS1_16block_id_wrapperIjLb0EEEEE10hipError_tT1_PNSt15iterator_traitsISI_E10value_typeET2_T3_PNSJ_ISO_E10value_typeET4_T5_PST_SU_PNS1_23onesweep_lookback_stateEbbT6_jjT7_P12ihipStream_tbENKUlT_T0_SI_SN_E_clISD_PySD_S15_EEDaS11_S12_SI_SN_EUlS11_E_NS1_11comp_targetILNS1_3genE0ELNS1_11target_archE4294967295ELNS1_3gpuE0ELNS1_3repE0EEENS1_47radix_sort_onesweep_sort_config_static_selectorELNS0_4arch9wavefront6targetE1EEEvSI_,comdat
	.protected	_ZN7rocprim17ROCPRIM_400000_NS6detail17trampoline_kernelINS0_14default_configENS1_35radix_sort_onesweep_config_selectorIyyEEZZNS1_29radix_sort_onesweep_iterationIS3_Lb0EN6thrust23THRUST_200600_302600_NS6detail15normal_iteratorINS8_10device_ptrIyEEEESD_SD_SD_jNS0_19identity_decomposerENS1_16block_id_wrapperIjLb0EEEEE10hipError_tT1_PNSt15iterator_traitsISI_E10value_typeET2_T3_PNSJ_ISO_E10value_typeET4_T5_PST_SU_PNS1_23onesweep_lookback_stateEbbT6_jjT7_P12ihipStream_tbENKUlT_T0_SI_SN_E_clISD_PySD_S15_EEDaS11_S12_SI_SN_EUlS11_E_NS1_11comp_targetILNS1_3genE0ELNS1_11target_archE4294967295ELNS1_3gpuE0ELNS1_3repE0EEENS1_47radix_sort_onesweep_sort_config_static_selectorELNS0_4arch9wavefront6targetE1EEEvSI_ ; -- Begin function _ZN7rocprim17ROCPRIM_400000_NS6detail17trampoline_kernelINS0_14default_configENS1_35radix_sort_onesweep_config_selectorIyyEEZZNS1_29radix_sort_onesweep_iterationIS3_Lb0EN6thrust23THRUST_200600_302600_NS6detail15normal_iteratorINS8_10device_ptrIyEEEESD_SD_SD_jNS0_19identity_decomposerENS1_16block_id_wrapperIjLb0EEEEE10hipError_tT1_PNSt15iterator_traitsISI_E10value_typeET2_T3_PNSJ_ISO_E10value_typeET4_T5_PST_SU_PNS1_23onesweep_lookback_stateEbbT6_jjT7_P12ihipStream_tbENKUlT_T0_SI_SN_E_clISD_PySD_S15_EEDaS11_S12_SI_SN_EUlS11_E_NS1_11comp_targetILNS1_3genE0ELNS1_11target_archE4294967295ELNS1_3gpuE0ELNS1_3repE0EEENS1_47radix_sort_onesweep_sort_config_static_selectorELNS0_4arch9wavefront6targetE1EEEvSI_
	.globl	_ZN7rocprim17ROCPRIM_400000_NS6detail17trampoline_kernelINS0_14default_configENS1_35radix_sort_onesweep_config_selectorIyyEEZZNS1_29radix_sort_onesweep_iterationIS3_Lb0EN6thrust23THRUST_200600_302600_NS6detail15normal_iteratorINS8_10device_ptrIyEEEESD_SD_SD_jNS0_19identity_decomposerENS1_16block_id_wrapperIjLb0EEEEE10hipError_tT1_PNSt15iterator_traitsISI_E10value_typeET2_T3_PNSJ_ISO_E10value_typeET4_T5_PST_SU_PNS1_23onesweep_lookback_stateEbbT6_jjT7_P12ihipStream_tbENKUlT_T0_SI_SN_E_clISD_PySD_S15_EEDaS11_S12_SI_SN_EUlS11_E_NS1_11comp_targetILNS1_3genE0ELNS1_11target_archE4294967295ELNS1_3gpuE0ELNS1_3repE0EEENS1_47radix_sort_onesweep_sort_config_static_selectorELNS0_4arch9wavefront6targetE1EEEvSI_
	.p2align	8
	.type	_ZN7rocprim17ROCPRIM_400000_NS6detail17trampoline_kernelINS0_14default_configENS1_35radix_sort_onesweep_config_selectorIyyEEZZNS1_29radix_sort_onesweep_iterationIS3_Lb0EN6thrust23THRUST_200600_302600_NS6detail15normal_iteratorINS8_10device_ptrIyEEEESD_SD_SD_jNS0_19identity_decomposerENS1_16block_id_wrapperIjLb0EEEEE10hipError_tT1_PNSt15iterator_traitsISI_E10value_typeET2_T3_PNSJ_ISO_E10value_typeET4_T5_PST_SU_PNS1_23onesweep_lookback_stateEbbT6_jjT7_P12ihipStream_tbENKUlT_T0_SI_SN_E_clISD_PySD_S15_EEDaS11_S12_SI_SN_EUlS11_E_NS1_11comp_targetILNS1_3genE0ELNS1_11target_archE4294967295ELNS1_3gpuE0ELNS1_3repE0EEENS1_47radix_sort_onesweep_sort_config_static_selectorELNS0_4arch9wavefront6targetE1EEEvSI_,@function
_ZN7rocprim17ROCPRIM_400000_NS6detail17trampoline_kernelINS0_14default_configENS1_35radix_sort_onesweep_config_selectorIyyEEZZNS1_29radix_sort_onesweep_iterationIS3_Lb0EN6thrust23THRUST_200600_302600_NS6detail15normal_iteratorINS8_10device_ptrIyEEEESD_SD_SD_jNS0_19identity_decomposerENS1_16block_id_wrapperIjLb0EEEEE10hipError_tT1_PNSt15iterator_traitsISI_E10value_typeET2_T3_PNSJ_ISO_E10value_typeET4_T5_PST_SU_PNS1_23onesweep_lookback_stateEbbT6_jjT7_P12ihipStream_tbENKUlT_T0_SI_SN_E_clISD_PySD_S15_EEDaS11_S12_SI_SN_EUlS11_E_NS1_11comp_targetILNS1_3genE0ELNS1_11target_archE4294967295ELNS1_3gpuE0ELNS1_3repE0EEENS1_47radix_sort_onesweep_sort_config_static_selectorELNS0_4arch9wavefront6targetE1EEEvSI_: ; @_ZN7rocprim17ROCPRIM_400000_NS6detail17trampoline_kernelINS0_14default_configENS1_35radix_sort_onesweep_config_selectorIyyEEZZNS1_29radix_sort_onesweep_iterationIS3_Lb0EN6thrust23THRUST_200600_302600_NS6detail15normal_iteratorINS8_10device_ptrIyEEEESD_SD_SD_jNS0_19identity_decomposerENS1_16block_id_wrapperIjLb0EEEEE10hipError_tT1_PNSt15iterator_traitsISI_E10value_typeET2_T3_PNSJ_ISO_E10value_typeET4_T5_PST_SU_PNS1_23onesweep_lookback_stateEbbT6_jjT7_P12ihipStream_tbENKUlT_T0_SI_SN_E_clISD_PySD_S15_EEDaS11_S12_SI_SN_EUlS11_E_NS1_11comp_targetILNS1_3genE0ELNS1_11target_archE4294967295ELNS1_3gpuE0ELNS1_3repE0EEENS1_47radix_sort_onesweep_sort_config_static_selectorELNS0_4arch9wavefront6targetE1EEEvSI_
; %bb.0:
	.section	.rodata,"a",@progbits
	.p2align	6, 0x0
	.amdhsa_kernel _ZN7rocprim17ROCPRIM_400000_NS6detail17trampoline_kernelINS0_14default_configENS1_35radix_sort_onesweep_config_selectorIyyEEZZNS1_29radix_sort_onesweep_iterationIS3_Lb0EN6thrust23THRUST_200600_302600_NS6detail15normal_iteratorINS8_10device_ptrIyEEEESD_SD_SD_jNS0_19identity_decomposerENS1_16block_id_wrapperIjLb0EEEEE10hipError_tT1_PNSt15iterator_traitsISI_E10value_typeET2_T3_PNSJ_ISO_E10value_typeET4_T5_PST_SU_PNS1_23onesweep_lookback_stateEbbT6_jjT7_P12ihipStream_tbENKUlT_T0_SI_SN_E_clISD_PySD_S15_EEDaS11_S12_SI_SN_EUlS11_E_NS1_11comp_targetILNS1_3genE0ELNS1_11target_archE4294967295ELNS1_3gpuE0ELNS1_3repE0EEENS1_47radix_sort_onesweep_sort_config_static_selectorELNS0_4arch9wavefront6targetE1EEEvSI_
		.amdhsa_group_segment_fixed_size 0
		.amdhsa_private_segment_fixed_size 0
		.amdhsa_kernarg_size 88
		.amdhsa_user_sgpr_count 2
		.amdhsa_user_sgpr_dispatch_ptr 0
		.amdhsa_user_sgpr_queue_ptr 0
		.amdhsa_user_sgpr_kernarg_segment_ptr 1
		.amdhsa_user_sgpr_dispatch_id 0
		.amdhsa_user_sgpr_kernarg_preload_length 0
		.amdhsa_user_sgpr_kernarg_preload_offset 0
		.amdhsa_user_sgpr_private_segment_size 0
		.amdhsa_uses_dynamic_stack 0
		.amdhsa_enable_private_segment 0
		.amdhsa_system_sgpr_workgroup_id_x 1
		.amdhsa_system_sgpr_workgroup_id_y 0
		.amdhsa_system_sgpr_workgroup_id_z 0
		.amdhsa_system_sgpr_workgroup_info 0
		.amdhsa_system_vgpr_workitem_id 0
		.amdhsa_next_free_vgpr 1
		.amdhsa_next_free_sgpr 0
		.amdhsa_accum_offset 4
		.amdhsa_reserve_vcc 0
		.amdhsa_float_round_mode_32 0
		.amdhsa_float_round_mode_16_64 0
		.amdhsa_float_denorm_mode_32 3
		.amdhsa_float_denorm_mode_16_64 3
		.amdhsa_dx10_clamp 1
		.amdhsa_ieee_mode 1
		.amdhsa_fp16_overflow 0
		.amdhsa_tg_split 0
		.amdhsa_exception_fp_ieee_invalid_op 0
		.amdhsa_exception_fp_denorm_src 0
		.amdhsa_exception_fp_ieee_div_zero 0
		.amdhsa_exception_fp_ieee_overflow 0
		.amdhsa_exception_fp_ieee_underflow 0
		.amdhsa_exception_fp_ieee_inexact 0
		.amdhsa_exception_int_div_zero 0
	.end_amdhsa_kernel
	.section	.text._ZN7rocprim17ROCPRIM_400000_NS6detail17trampoline_kernelINS0_14default_configENS1_35radix_sort_onesweep_config_selectorIyyEEZZNS1_29radix_sort_onesweep_iterationIS3_Lb0EN6thrust23THRUST_200600_302600_NS6detail15normal_iteratorINS8_10device_ptrIyEEEESD_SD_SD_jNS0_19identity_decomposerENS1_16block_id_wrapperIjLb0EEEEE10hipError_tT1_PNSt15iterator_traitsISI_E10value_typeET2_T3_PNSJ_ISO_E10value_typeET4_T5_PST_SU_PNS1_23onesweep_lookback_stateEbbT6_jjT7_P12ihipStream_tbENKUlT_T0_SI_SN_E_clISD_PySD_S15_EEDaS11_S12_SI_SN_EUlS11_E_NS1_11comp_targetILNS1_3genE0ELNS1_11target_archE4294967295ELNS1_3gpuE0ELNS1_3repE0EEENS1_47radix_sort_onesweep_sort_config_static_selectorELNS0_4arch9wavefront6targetE1EEEvSI_,"axG",@progbits,_ZN7rocprim17ROCPRIM_400000_NS6detail17trampoline_kernelINS0_14default_configENS1_35radix_sort_onesweep_config_selectorIyyEEZZNS1_29radix_sort_onesweep_iterationIS3_Lb0EN6thrust23THRUST_200600_302600_NS6detail15normal_iteratorINS8_10device_ptrIyEEEESD_SD_SD_jNS0_19identity_decomposerENS1_16block_id_wrapperIjLb0EEEEE10hipError_tT1_PNSt15iterator_traitsISI_E10value_typeET2_T3_PNSJ_ISO_E10value_typeET4_T5_PST_SU_PNS1_23onesweep_lookback_stateEbbT6_jjT7_P12ihipStream_tbENKUlT_T0_SI_SN_E_clISD_PySD_S15_EEDaS11_S12_SI_SN_EUlS11_E_NS1_11comp_targetILNS1_3genE0ELNS1_11target_archE4294967295ELNS1_3gpuE0ELNS1_3repE0EEENS1_47radix_sort_onesweep_sort_config_static_selectorELNS0_4arch9wavefront6targetE1EEEvSI_,comdat
.Lfunc_end564:
	.size	_ZN7rocprim17ROCPRIM_400000_NS6detail17trampoline_kernelINS0_14default_configENS1_35radix_sort_onesweep_config_selectorIyyEEZZNS1_29radix_sort_onesweep_iterationIS3_Lb0EN6thrust23THRUST_200600_302600_NS6detail15normal_iteratorINS8_10device_ptrIyEEEESD_SD_SD_jNS0_19identity_decomposerENS1_16block_id_wrapperIjLb0EEEEE10hipError_tT1_PNSt15iterator_traitsISI_E10value_typeET2_T3_PNSJ_ISO_E10value_typeET4_T5_PST_SU_PNS1_23onesweep_lookback_stateEbbT6_jjT7_P12ihipStream_tbENKUlT_T0_SI_SN_E_clISD_PySD_S15_EEDaS11_S12_SI_SN_EUlS11_E_NS1_11comp_targetILNS1_3genE0ELNS1_11target_archE4294967295ELNS1_3gpuE0ELNS1_3repE0EEENS1_47radix_sort_onesweep_sort_config_static_selectorELNS0_4arch9wavefront6targetE1EEEvSI_, .Lfunc_end564-_ZN7rocprim17ROCPRIM_400000_NS6detail17trampoline_kernelINS0_14default_configENS1_35radix_sort_onesweep_config_selectorIyyEEZZNS1_29radix_sort_onesweep_iterationIS3_Lb0EN6thrust23THRUST_200600_302600_NS6detail15normal_iteratorINS8_10device_ptrIyEEEESD_SD_SD_jNS0_19identity_decomposerENS1_16block_id_wrapperIjLb0EEEEE10hipError_tT1_PNSt15iterator_traitsISI_E10value_typeET2_T3_PNSJ_ISO_E10value_typeET4_T5_PST_SU_PNS1_23onesweep_lookback_stateEbbT6_jjT7_P12ihipStream_tbENKUlT_T0_SI_SN_E_clISD_PySD_S15_EEDaS11_S12_SI_SN_EUlS11_E_NS1_11comp_targetILNS1_3genE0ELNS1_11target_archE4294967295ELNS1_3gpuE0ELNS1_3repE0EEENS1_47radix_sort_onesweep_sort_config_static_selectorELNS0_4arch9wavefront6targetE1EEEvSI_
                                        ; -- End function
	.set _ZN7rocprim17ROCPRIM_400000_NS6detail17trampoline_kernelINS0_14default_configENS1_35radix_sort_onesweep_config_selectorIyyEEZZNS1_29radix_sort_onesweep_iterationIS3_Lb0EN6thrust23THRUST_200600_302600_NS6detail15normal_iteratorINS8_10device_ptrIyEEEESD_SD_SD_jNS0_19identity_decomposerENS1_16block_id_wrapperIjLb0EEEEE10hipError_tT1_PNSt15iterator_traitsISI_E10value_typeET2_T3_PNSJ_ISO_E10value_typeET4_T5_PST_SU_PNS1_23onesweep_lookback_stateEbbT6_jjT7_P12ihipStream_tbENKUlT_T0_SI_SN_E_clISD_PySD_S15_EEDaS11_S12_SI_SN_EUlS11_E_NS1_11comp_targetILNS1_3genE0ELNS1_11target_archE4294967295ELNS1_3gpuE0ELNS1_3repE0EEENS1_47radix_sort_onesweep_sort_config_static_selectorELNS0_4arch9wavefront6targetE1EEEvSI_.num_vgpr, 0
	.set _ZN7rocprim17ROCPRIM_400000_NS6detail17trampoline_kernelINS0_14default_configENS1_35radix_sort_onesweep_config_selectorIyyEEZZNS1_29radix_sort_onesweep_iterationIS3_Lb0EN6thrust23THRUST_200600_302600_NS6detail15normal_iteratorINS8_10device_ptrIyEEEESD_SD_SD_jNS0_19identity_decomposerENS1_16block_id_wrapperIjLb0EEEEE10hipError_tT1_PNSt15iterator_traitsISI_E10value_typeET2_T3_PNSJ_ISO_E10value_typeET4_T5_PST_SU_PNS1_23onesweep_lookback_stateEbbT6_jjT7_P12ihipStream_tbENKUlT_T0_SI_SN_E_clISD_PySD_S15_EEDaS11_S12_SI_SN_EUlS11_E_NS1_11comp_targetILNS1_3genE0ELNS1_11target_archE4294967295ELNS1_3gpuE0ELNS1_3repE0EEENS1_47radix_sort_onesweep_sort_config_static_selectorELNS0_4arch9wavefront6targetE1EEEvSI_.num_agpr, 0
	.set _ZN7rocprim17ROCPRIM_400000_NS6detail17trampoline_kernelINS0_14default_configENS1_35radix_sort_onesweep_config_selectorIyyEEZZNS1_29radix_sort_onesweep_iterationIS3_Lb0EN6thrust23THRUST_200600_302600_NS6detail15normal_iteratorINS8_10device_ptrIyEEEESD_SD_SD_jNS0_19identity_decomposerENS1_16block_id_wrapperIjLb0EEEEE10hipError_tT1_PNSt15iterator_traitsISI_E10value_typeET2_T3_PNSJ_ISO_E10value_typeET4_T5_PST_SU_PNS1_23onesweep_lookback_stateEbbT6_jjT7_P12ihipStream_tbENKUlT_T0_SI_SN_E_clISD_PySD_S15_EEDaS11_S12_SI_SN_EUlS11_E_NS1_11comp_targetILNS1_3genE0ELNS1_11target_archE4294967295ELNS1_3gpuE0ELNS1_3repE0EEENS1_47radix_sort_onesweep_sort_config_static_selectorELNS0_4arch9wavefront6targetE1EEEvSI_.numbered_sgpr, 0
	.set _ZN7rocprim17ROCPRIM_400000_NS6detail17trampoline_kernelINS0_14default_configENS1_35radix_sort_onesweep_config_selectorIyyEEZZNS1_29radix_sort_onesweep_iterationIS3_Lb0EN6thrust23THRUST_200600_302600_NS6detail15normal_iteratorINS8_10device_ptrIyEEEESD_SD_SD_jNS0_19identity_decomposerENS1_16block_id_wrapperIjLb0EEEEE10hipError_tT1_PNSt15iterator_traitsISI_E10value_typeET2_T3_PNSJ_ISO_E10value_typeET4_T5_PST_SU_PNS1_23onesweep_lookback_stateEbbT6_jjT7_P12ihipStream_tbENKUlT_T0_SI_SN_E_clISD_PySD_S15_EEDaS11_S12_SI_SN_EUlS11_E_NS1_11comp_targetILNS1_3genE0ELNS1_11target_archE4294967295ELNS1_3gpuE0ELNS1_3repE0EEENS1_47radix_sort_onesweep_sort_config_static_selectorELNS0_4arch9wavefront6targetE1EEEvSI_.num_named_barrier, 0
	.set _ZN7rocprim17ROCPRIM_400000_NS6detail17trampoline_kernelINS0_14default_configENS1_35radix_sort_onesweep_config_selectorIyyEEZZNS1_29radix_sort_onesweep_iterationIS3_Lb0EN6thrust23THRUST_200600_302600_NS6detail15normal_iteratorINS8_10device_ptrIyEEEESD_SD_SD_jNS0_19identity_decomposerENS1_16block_id_wrapperIjLb0EEEEE10hipError_tT1_PNSt15iterator_traitsISI_E10value_typeET2_T3_PNSJ_ISO_E10value_typeET4_T5_PST_SU_PNS1_23onesweep_lookback_stateEbbT6_jjT7_P12ihipStream_tbENKUlT_T0_SI_SN_E_clISD_PySD_S15_EEDaS11_S12_SI_SN_EUlS11_E_NS1_11comp_targetILNS1_3genE0ELNS1_11target_archE4294967295ELNS1_3gpuE0ELNS1_3repE0EEENS1_47radix_sort_onesweep_sort_config_static_selectorELNS0_4arch9wavefront6targetE1EEEvSI_.private_seg_size, 0
	.set _ZN7rocprim17ROCPRIM_400000_NS6detail17trampoline_kernelINS0_14default_configENS1_35radix_sort_onesweep_config_selectorIyyEEZZNS1_29radix_sort_onesweep_iterationIS3_Lb0EN6thrust23THRUST_200600_302600_NS6detail15normal_iteratorINS8_10device_ptrIyEEEESD_SD_SD_jNS0_19identity_decomposerENS1_16block_id_wrapperIjLb0EEEEE10hipError_tT1_PNSt15iterator_traitsISI_E10value_typeET2_T3_PNSJ_ISO_E10value_typeET4_T5_PST_SU_PNS1_23onesweep_lookback_stateEbbT6_jjT7_P12ihipStream_tbENKUlT_T0_SI_SN_E_clISD_PySD_S15_EEDaS11_S12_SI_SN_EUlS11_E_NS1_11comp_targetILNS1_3genE0ELNS1_11target_archE4294967295ELNS1_3gpuE0ELNS1_3repE0EEENS1_47radix_sort_onesweep_sort_config_static_selectorELNS0_4arch9wavefront6targetE1EEEvSI_.uses_vcc, 0
	.set _ZN7rocprim17ROCPRIM_400000_NS6detail17trampoline_kernelINS0_14default_configENS1_35radix_sort_onesweep_config_selectorIyyEEZZNS1_29radix_sort_onesweep_iterationIS3_Lb0EN6thrust23THRUST_200600_302600_NS6detail15normal_iteratorINS8_10device_ptrIyEEEESD_SD_SD_jNS0_19identity_decomposerENS1_16block_id_wrapperIjLb0EEEEE10hipError_tT1_PNSt15iterator_traitsISI_E10value_typeET2_T3_PNSJ_ISO_E10value_typeET4_T5_PST_SU_PNS1_23onesweep_lookback_stateEbbT6_jjT7_P12ihipStream_tbENKUlT_T0_SI_SN_E_clISD_PySD_S15_EEDaS11_S12_SI_SN_EUlS11_E_NS1_11comp_targetILNS1_3genE0ELNS1_11target_archE4294967295ELNS1_3gpuE0ELNS1_3repE0EEENS1_47radix_sort_onesweep_sort_config_static_selectorELNS0_4arch9wavefront6targetE1EEEvSI_.uses_flat_scratch, 0
	.set _ZN7rocprim17ROCPRIM_400000_NS6detail17trampoline_kernelINS0_14default_configENS1_35radix_sort_onesweep_config_selectorIyyEEZZNS1_29radix_sort_onesweep_iterationIS3_Lb0EN6thrust23THRUST_200600_302600_NS6detail15normal_iteratorINS8_10device_ptrIyEEEESD_SD_SD_jNS0_19identity_decomposerENS1_16block_id_wrapperIjLb0EEEEE10hipError_tT1_PNSt15iterator_traitsISI_E10value_typeET2_T3_PNSJ_ISO_E10value_typeET4_T5_PST_SU_PNS1_23onesweep_lookback_stateEbbT6_jjT7_P12ihipStream_tbENKUlT_T0_SI_SN_E_clISD_PySD_S15_EEDaS11_S12_SI_SN_EUlS11_E_NS1_11comp_targetILNS1_3genE0ELNS1_11target_archE4294967295ELNS1_3gpuE0ELNS1_3repE0EEENS1_47radix_sort_onesweep_sort_config_static_selectorELNS0_4arch9wavefront6targetE1EEEvSI_.has_dyn_sized_stack, 0
	.set _ZN7rocprim17ROCPRIM_400000_NS6detail17trampoline_kernelINS0_14default_configENS1_35radix_sort_onesweep_config_selectorIyyEEZZNS1_29radix_sort_onesweep_iterationIS3_Lb0EN6thrust23THRUST_200600_302600_NS6detail15normal_iteratorINS8_10device_ptrIyEEEESD_SD_SD_jNS0_19identity_decomposerENS1_16block_id_wrapperIjLb0EEEEE10hipError_tT1_PNSt15iterator_traitsISI_E10value_typeET2_T3_PNSJ_ISO_E10value_typeET4_T5_PST_SU_PNS1_23onesweep_lookback_stateEbbT6_jjT7_P12ihipStream_tbENKUlT_T0_SI_SN_E_clISD_PySD_S15_EEDaS11_S12_SI_SN_EUlS11_E_NS1_11comp_targetILNS1_3genE0ELNS1_11target_archE4294967295ELNS1_3gpuE0ELNS1_3repE0EEENS1_47radix_sort_onesweep_sort_config_static_selectorELNS0_4arch9wavefront6targetE1EEEvSI_.has_recursion, 0
	.set _ZN7rocprim17ROCPRIM_400000_NS6detail17trampoline_kernelINS0_14default_configENS1_35radix_sort_onesweep_config_selectorIyyEEZZNS1_29radix_sort_onesweep_iterationIS3_Lb0EN6thrust23THRUST_200600_302600_NS6detail15normal_iteratorINS8_10device_ptrIyEEEESD_SD_SD_jNS0_19identity_decomposerENS1_16block_id_wrapperIjLb0EEEEE10hipError_tT1_PNSt15iterator_traitsISI_E10value_typeET2_T3_PNSJ_ISO_E10value_typeET4_T5_PST_SU_PNS1_23onesweep_lookback_stateEbbT6_jjT7_P12ihipStream_tbENKUlT_T0_SI_SN_E_clISD_PySD_S15_EEDaS11_S12_SI_SN_EUlS11_E_NS1_11comp_targetILNS1_3genE0ELNS1_11target_archE4294967295ELNS1_3gpuE0ELNS1_3repE0EEENS1_47radix_sort_onesweep_sort_config_static_selectorELNS0_4arch9wavefront6targetE1EEEvSI_.has_indirect_call, 0
	.section	.AMDGPU.csdata,"",@progbits
; Kernel info:
; codeLenInByte = 0
; TotalNumSgprs: 6
; NumVgprs: 0
; NumAgprs: 0
; TotalNumVgprs: 0
; ScratchSize: 0
; MemoryBound: 0
; FloatMode: 240
; IeeeMode: 1
; LDSByteSize: 0 bytes/workgroup (compile time only)
; SGPRBlocks: 0
; VGPRBlocks: 0
; NumSGPRsForWavesPerEU: 6
; NumVGPRsForWavesPerEU: 1
; AccumOffset: 4
; Occupancy: 8
; WaveLimiterHint : 0
; COMPUTE_PGM_RSRC2:SCRATCH_EN: 0
; COMPUTE_PGM_RSRC2:USER_SGPR: 2
; COMPUTE_PGM_RSRC2:TRAP_HANDLER: 0
; COMPUTE_PGM_RSRC2:TGID_X_EN: 1
; COMPUTE_PGM_RSRC2:TGID_Y_EN: 0
; COMPUTE_PGM_RSRC2:TGID_Z_EN: 0
; COMPUTE_PGM_RSRC2:TIDIG_COMP_CNT: 0
; COMPUTE_PGM_RSRC3_GFX90A:ACCUM_OFFSET: 0
; COMPUTE_PGM_RSRC3_GFX90A:TG_SPLIT: 0
	.section	.text._ZN7rocprim17ROCPRIM_400000_NS6detail17trampoline_kernelINS0_14default_configENS1_35radix_sort_onesweep_config_selectorIyyEEZZNS1_29radix_sort_onesweep_iterationIS3_Lb0EN6thrust23THRUST_200600_302600_NS6detail15normal_iteratorINS8_10device_ptrIyEEEESD_SD_SD_jNS0_19identity_decomposerENS1_16block_id_wrapperIjLb0EEEEE10hipError_tT1_PNSt15iterator_traitsISI_E10value_typeET2_T3_PNSJ_ISO_E10value_typeET4_T5_PST_SU_PNS1_23onesweep_lookback_stateEbbT6_jjT7_P12ihipStream_tbENKUlT_T0_SI_SN_E_clISD_PySD_S15_EEDaS11_S12_SI_SN_EUlS11_E_NS1_11comp_targetILNS1_3genE6ELNS1_11target_archE950ELNS1_3gpuE13ELNS1_3repE0EEENS1_47radix_sort_onesweep_sort_config_static_selectorELNS0_4arch9wavefront6targetE1EEEvSI_,"axG",@progbits,_ZN7rocprim17ROCPRIM_400000_NS6detail17trampoline_kernelINS0_14default_configENS1_35radix_sort_onesweep_config_selectorIyyEEZZNS1_29radix_sort_onesweep_iterationIS3_Lb0EN6thrust23THRUST_200600_302600_NS6detail15normal_iteratorINS8_10device_ptrIyEEEESD_SD_SD_jNS0_19identity_decomposerENS1_16block_id_wrapperIjLb0EEEEE10hipError_tT1_PNSt15iterator_traitsISI_E10value_typeET2_T3_PNSJ_ISO_E10value_typeET4_T5_PST_SU_PNS1_23onesweep_lookback_stateEbbT6_jjT7_P12ihipStream_tbENKUlT_T0_SI_SN_E_clISD_PySD_S15_EEDaS11_S12_SI_SN_EUlS11_E_NS1_11comp_targetILNS1_3genE6ELNS1_11target_archE950ELNS1_3gpuE13ELNS1_3repE0EEENS1_47radix_sort_onesweep_sort_config_static_selectorELNS0_4arch9wavefront6targetE1EEEvSI_,comdat
	.protected	_ZN7rocprim17ROCPRIM_400000_NS6detail17trampoline_kernelINS0_14default_configENS1_35radix_sort_onesweep_config_selectorIyyEEZZNS1_29radix_sort_onesweep_iterationIS3_Lb0EN6thrust23THRUST_200600_302600_NS6detail15normal_iteratorINS8_10device_ptrIyEEEESD_SD_SD_jNS0_19identity_decomposerENS1_16block_id_wrapperIjLb0EEEEE10hipError_tT1_PNSt15iterator_traitsISI_E10value_typeET2_T3_PNSJ_ISO_E10value_typeET4_T5_PST_SU_PNS1_23onesweep_lookback_stateEbbT6_jjT7_P12ihipStream_tbENKUlT_T0_SI_SN_E_clISD_PySD_S15_EEDaS11_S12_SI_SN_EUlS11_E_NS1_11comp_targetILNS1_3genE6ELNS1_11target_archE950ELNS1_3gpuE13ELNS1_3repE0EEENS1_47radix_sort_onesweep_sort_config_static_selectorELNS0_4arch9wavefront6targetE1EEEvSI_ ; -- Begin function _ZN7rocprim17ROCPRIM_400000_NS6detail17trampoline_kernelINS0_14default_configENS1_35radix_sort_onesweep_config_selectorIyyEEZZNS1_29radix_sort_onesweep_iterationIS3_Lb0EN6thrust23THRUST_200600_302600_NS6detail15normal_iteratorINS8_10device_ptrIyEEEESD_SD_SD_jNS0_19identity_decomposerENS1_16block_id_wrapperIjLb0EEEEE10hipError_tT1_PNSt15iterator_traitsISI_E10value_typeET2_T3_PNSJ_ISO_E10value_typeET4_T5_PST_SU_PNS1_23onesweep_lookback_stateEbbT6_jjT7_P12ihipStream_tbENKUlT_T0_SI_SN_E_clISD_PySD_S15_EEDaS11_S12_SI_SN_EUlS11_E_NS1_11comp_targetILNS1_3genE6ELNS1_11target_archE950ELNS1_3gpuE13ELNS1_3repE0EEENS1_47radix_sort_onesweep_sort_config_static_selectorELNS0_4arch9wavefront6targetE1EEEvSI_
	.globl	_ZN7rocprim17ROCPRIM_400000_NS6detail17trampoline_kernelINS0_14default_configENS1_35radix_sort_onesweep_config_selectorIyyEEZZNS1_29radix_sort_onesweep_iterationIS3_Lb0EN6thrust23THRUST_200600_302600_NS6detail15normal_iteratorINS8_10device_ptrIyEEEESD_SD_SD_jNS0_19identity_decomposerENS1_16block_id_wrapperIjLb0EEEEE10hipError_tT1_PNSt15iterator_traitsISI_E10value_typeET2_T3_PNSJ_ISO_E10value_typeET4_T5_PST_SU_PNS1_23onesweep_lookback_stateEbbT6_jjT7_P12ihipStream_tbENKUlT_T0_SI_SN_E_clISD_PySD_S15_EEDaS11_S12_SI_SN_EUlS11_E_NS1_11comp_targetILNS1_3genE6ELNS1_11target_archE950ELNS1_3gpuE13ELNS1_3repE0EEENS1_47radix_sort_onesweep_sort_config_static_selectorELNS0_4arch9wavefront6targetE1EEEvSI_
	.p2align	8
	.type	_ZN7rocprim17ROCPRIM_400000_NS6detail17trampoline_kernelINS0_14default_configENS1_35radix_sort_onesweep_config_selectorIyyEEZZNS1_29radix_sort_onesweep_iterationIS3_Lb0EN6thrust23THRUST_200600_302600_NS6detail15normal_iteratorINS8_10device_ptrIyEEEESD_SD_SD_jNS0_19identity_decomposerENS1_16block_id_wrapperIjLb0EEEEE10hipError_tT1_PNSt15iterator_traitsISI_E10value_typeET2_T3_PNSJ_ISO_E10value_typeET4_T5_PST_SU_PNS1_23onesweep_lookback_stateEbbT6_jjT7_P12ihipStream_tbENKUlT_T0_SI_SN_E_clISD_PySD_S15_EEDaS11_S12_SI_SN_EUlS11_E_NS1_11comp_targetILNS1_3genE6ELNS1_11target_archE950ELNS1_3gpuE13ELNS1_3repE0EEENS1_47radix_sort_onesweep_sort_config_static_selectorELNS0_4arch9wavefront6targetE1EEEvSI_,@function
_ZN7rocprim17ROCPRIM_400000_NS6detail17trampoline_kernelINS0_14default_configENS1_35radix_sort_onesweep_config_selectorIyyEEZZNS1_29radix_sort_onesweep_iterationIS3_Lb0EN6thrust23THRUST_200600_302600_NS6detail15normal_iteratorINS8_10device_ptrIyEEEESD_SD_SD_jNS0_19identity_decomposerENS1_16block_id_wrapperIjLb0EEEEE10hipError_tT1_PNSt15iterator_traitsISI_E10value_typeET2_T3_PNSJ_ISO_E10value_typeET4_T5_PST_SU_PNS1_23onesweep_lookback_stateEbbT6_jjT7_P12ihipStream_tbENKUlT_T0_SI_SN_E_clISD_PySD_S15_EEDaS11_S12_SI_SN_EUlS11_E_NS1_11comp_targetILNS1_3genE6ELNS1_11target_archE950ELNS1_3gpuE13ELNS1_3repE0EEENS1_47radix_sort_onesweep_sort_config_static_selectorELNS0_4arch9wavefront6targetE1EEEvSI_: ; @_ZN7rocprim17ROCPRIM_400000_NS6detail17trampoline_kernelINS0_14default_configENS1_35radix_sort_onesweep_config_selectorIyyEEZZNS1_29radix_sort_onesweep_iterationIS3_Lb0EN6thrust23THRUST_200600_302600_NS6detail15normal_iteratorINS8_10device_ptrIyEEEESD_SD_SD_jNS0_19identity_decomposerENS1_16block_id_wrapperIjLb0EEEEE10hipError_tT1_PNSt15iterator_traitsISI_E10value_typeET2_T3_PNSJ_ISO_E10value_typeET4_T5_PST_SU_PNS1_23onesweep_lookback_stateEbbT6_jjT7_P12ihipStream_tbENKUlT_T0_SI_SN_E_clISD_PySD_S15_EEDaS11_S12_SI_SN_EUlS11_E_NS1_11comp_targetILNS1_3genE6ELNS1_11target_archE950ELNS1_3gpuE13ELNS1_3repE0EEENS1_47radix_sort_onesweep_sort_config_static_selectorELNS0_4arch9wavefront6targetE1EEEvSI_
; %bb.0:
	s_load_dwordx4 s[52:55], s[2:3], 0x44
	s_load_dwordx8 s[40:47], s[2:3], 0x0
	s_load_dwordx4 s[48:51], s[2:3], 0x28
	s_load_dwordx2 s[38:39], s[2:3], 0x38
	v_and_b32_e32 v2, 0x3ff, v0
	v_bfe_u32 v3, v0, 10, 10
	v_bfe_u32 v28, v0, 20, 10
	s_mov_b64 s[6:7], -1
	s_waitcnt lgkmcnt(0)
	s_cmp_ge_u32 s4, s54
	v_mbcnt_lo_u32_b32 v30, -1, 0
	v_lshlrev_b32_e32 v29, 3, v2
	s_cbranch_scc0 .LBB565_116
; %bb.1:
	s_load_dword s5, s[2:3], 0x20
	s_lshl_b32 s8, s54, 13
	s_lshl_b32 s6, s4, 13
	s_mov_b32 s7, 0
	s_lshl_b64 s[54:55], s[6:7], 3
	s_waitcnt lgkmcnt(0)
	s_sub_i32 s5, s5, s8
	v_mbcnt_hi_u32_b32 v26, -1, v30
	s_add_u32 s6, s40, s54
	v_and_b32_e32 v8, 63, v26
	s_addc_u32 s7, s41, s55
	v_and_b32_e32 v9, 0x1e00, v29
	v_mov_b32_e32 v1, 0
	v_lshlrev_b32_e32 v0, 3, v8
	v_lshl_add_u64 v[6:7], s[6:7], 0, v[0:1]
	v_lshlrev_b32_e32 v4, 3, v9
	v_mov_b32_e32 v5, v1
	v_or_b32_e32 v1, v8, v9
	v_lshl_add_u64 v[22:23], v[6:7], 0, v[4:5]
	v_cmp_gt_u32_e32 vcc, s5, v1
	v_mov_b64_e32 v[6:7], -1
	v_mov_b64_e32 v[8:9], -1
	s_and_saveexec_b64 s[6:7], vcc
	s_cbranch_execz .LBB565_3
; %bb.2:
	global_load_dwordx2 v[8:9], v[22:23], off
.LBB565_3:
	s_or_b64 exec, exec, s[6:7]
	v_or_b32_e32 v5, 64, v1
	v_cmp_gt_u32_e64 s[16:17], s5, v5
	s_and_saveexec_b64 s[6:7], s[16:17]
	s_cbranch_execz .LBB565_5
; %bb.4:
	global_load_dwordx2 v[6:7], v[22:23], off offset:512
.LBB565_5:
	s_or_b64 exec, exec, s[6:7]
	v_or_b32_e32 v5, 0x80, v1
	v_cmp_gt_u32_e64 s[26:27], s5, v5
	v_mov_b64_e32 v[10:11], -1
	v_mov_b64_e32 v[12:13], -1
	s_and_saveexec_b64 s[6:7], s[26:27]
	s_cbranch_execz .LBB565_7
; %bb.6:
	global_load_dwordx2 v[12:13], v[22:23], off offset:1024
.LBB565_7:
	s_or_b64 exec, exec, s[6:7]
	v_or_b32_e32 v5, 0xc0, v1
	v_cmp_gt_u32_e64 s[6:7], s5, v5
	s_and_saveexec_b64 s[8:9], s[6:7]
	s_cbranch_execz .LBB565_9
; %bb.8:
	global_load_dwordx2 v[10:11], v[22:23], off offset:1536
.LBB565_9:
	s_or_b64 exec, exec, s[8:9]
	v_or_b32_e32 v5, 0x100, v1
	v_cmp_gt_u32_e64 s[8:9], s5, v5
	v_mov_b64_e32 v[14:15], -1
	v_mov_b64_e32 v[16:17], -1
	s_and_saveexec_b64 s[10:11], s[8:9]
	s_cbranch_execz .LBB565_11
; %bb.10:
	global_load_dwordx2 v[16:17], v[22:23], off offset:2048
.LBB565_11:
	;; [unrolled: 18-line block ×3, first 2 shown]
	s_or_b64 exec, exec, s[14:15]
	v_or_b32_e32 v1, 0x1c0, v1
	v_cmp_gt_u32_e64 s[14:15], s5, v1
	s_and_saveexec_b64 s[18:19], s[14:15]
	s_cbranch_execz .LBB565_17
; %bb.16:
	global_load_dwordx2 v[18:19], v[22:23], off offset:3584
.LBB565_17:
	s_or_b64 exec, exec, s[18:19]
	s_load_dword s18, s[2:3], 0x64
	s_load_dword s33, s[2:3], 0x58
	s_add_u32 s19, s2, 0x58
	s_addc_u32 s20, s3, 0
	v_mov_b32_e32 v23, 0
	s_waitcnt lgkmcnt(0)
	s_lshr_b32 s21, s18, 16
	s_cmp_lt_u32 s4, s33
	s_cselect_b32 s18, 12, 18
	s_add_u32 s18, s19, s18
	s_addc_u32 s19, s20, 0
	global_load_ushort v1, v23, s[18:19]
	s_waitcnt vmcnt(1)
	v_lshrrev_b64 v[24:25], s52, v[8:9]
	s_lshl_b32 s18, -1, s53
	v_bitop3_b32 v24, v24, s18, v24 bitop3:0x30
	s_movk_i32 s57, 0x44
	v_and_b32_e32 v22, 1, v24
	v_lshlrev_b32_e32 v33, 30, v24
	v_mov_b32_e32 v32, v23
	s_not_b32 s56, s18
	v_mul_lo_u32 v46, v24, s57
	v_lshlrev_b32_e32 v35, 29, v24
	v_lshlrev_b32_e32 v37, 28, v24
	;; [unrolled: 1-line block ×6, first 2 shown]
	v_lshl_add_u64 v[24:25], v[22:23], 0, -1
	v_cmp_ne_u32_e64 s[18:19], 0, v22
	v_not_b32_e32 v22, v33
	v_mov_b32_e32 v34, v23
	v_mov_b32_e32 v36, v23
	v_mad_u32_u24 v27, v28, s21, v3
	v_cmp_gt_i64_e64 s[20:21], 0, v[32:33]
	v_not_b32_e32 v31, v35
	v_xor_b32_e32 v25, s19, v25
	v_ashrrev_i32_e32 v22, 31, v22
	v_cmp_gt_i64_e64 s[22:23], 0, v[34:35]
	v_cmp_gt_i64_e64 s[24:25], 0, v[36:37]
	v_not_b32_e32 v32, v37
	v_xor_b32_e32 v24, s18, v24
	v_ashrrev_i32_e32 v31, 31, v31
	v_and_b32_e32 v25, exec_hi, v25
	v_xor_b32_e32 v36, s21, v22
	v_mov_b32_e32 v38, v23
	v_not_b32_e32 v33, v39
	v_ashrrev_i32_e32 v32, 31, v32
	v_and_b32_e32 v24, exec_lo, v24
	v_xor_b32_e32 v22, s20, v22
	v_xor_b32_e32 v37, s23, v31
	v_and_b32_e32 v25, v25, v36
	v_mov_b32_e32 v40, v23
	v_cmp_gt_i64_e64 s[28:29], 0, v[38:39]
	v_not_b32_e32 v34, v41
	v_ashrrev_i32_e32 v33, 31, v33
	v_xor_b32_e32 v38, s25, v32
	v_and_b32_e32 v22, v24, v22
	v_and_b32_e32 v24, v25, v37
	v_mov_b32_e32 v42, v23
	v_cmp_gt_i64_e64 s[30:31], 0, v[40:41]
	v_not_b32_e32 v35, v43
	v_ashrrev_i32_e32 v34, 31, v34
	v_xor_b32_e32 v39, s29, v33
	v_and_b32_e32 v24, v24, v38
	v_cmp_gt_i64_e64 s[34:35], 0, v[42:43]
	v_ashrrev_i32_e32 v35, 31, v35
	v_xor_b32_e32 v40, s31, v34
	v_and_b32_e32 v24, v24, v39
	v_xor_b32_e32 v31, s22, v31
	v_xor_b32_e32 v41, s35, v35
	v_and_b32_e32 v24, v24, v40
	v_xor_b32_e32 v32, s24, v32
	v_and_b32_e32 v22, v22, v31
	v_and_b32_e32 v31, v24, v41
	v_xor_b32_e32 v33, s28, v33
	v_and_b32_e32 v22, v22, v32
	v_mov_b32_e32 v44, v23
	v_xor_b32_e32 v34, s30, v34
	v_and_b32_e32 v22, v22, v33
	v_cmp_gt_i64_e64 s[36:37], 0, v[44:45]
	v_xor_b32_e32 v35, s34, v35
	v_and_b32_e32 v22, v22, v34
	v_and_b32_e32 v22, v22, v35
	v_mul_u32_u24_e32 v5, 20, v2
	ds_write2_b32 v5, v23, v23 offset0:16 offset1:17
	ds_write2_b32 v5, v23, v23 offset0:18 offset1:19
	ds_write_b32 v5, v23 offset:80
	s_waitcnt lgkmcnt(0)
	s_barrier
	s_waitcnt vmcnt(0)
	; wave barrier
	v_mad_u64_u32 v[24:25], s[18:19], v27, v1, v[2:3]
	v_lshrrev_b32_e32 v1, 4, v24
	v_and_b32_e32 v40, 0xffffffc, v1
	v_not_b32_e32 v1, v45
	v_ashrrev_i32_e32 v1, 31, v1
	v_xor_b32_e32 v24, s37, v1
	v_xor_b32_e32 v1, s36, v1
	v_and_b32_e32 v25, v31, v24
	v_and_b32_e32 v24, v22, v1
	v_mbcnt_lo_u32_b32 v1, v24, 0
	v_mbcnt_hi_u32_b32 v31, v25, v1
	v_cmp_eq_u32_e64 s[18:19], 0, v31
	v_cmp_ne_u64_e64 s[20:21], 0, v[24:25]
	s_and_b64 s[20:21], s[20:21], s[18:19]
	v_add_u32_e32 v27, v40, v46
	s_and_saveexec_b64 s[18:19], s[20:21]
; %bb.18:
	v_bcnt_u32_b32 v1, v24, 0
	v_bcnt_u32_b32 v1, v25, v1
	ds_write_b32 v27, v1 offset:64
; %bb.19:
	s_or_b64 exec, exec, s[18:19]
	v_lshrrev_b64 v[24:25], s52, v[6:7]
	v_and_b32_e32 v32, s56, v24
	v_and_b32_e32 v22, 1, v32
	v_lshl_add_u64 v[24:25], v[22:23], 0, -1
	v_cmp_ne_u32_e64 s[18:19], 0, v22
	v_mul_lo_u32 v1, v32, s57
	v_add_u32_e32 v34, v40, v1
	v_xor_b32_e32 v24, s18, v24
	v_xor_b32_e32 v22, s19, v25
	v_and_b32_e32 v33, exec_lo, v24
	v_lshlrev_b32_e32 v25, 30, v32
	v_mov_b32_e32 v24, v23
	v_cmp_gt_i64_e64 s[18:19], 0, v[24:25]
	v_not_b32_e32 v24, v25
	v_ashrrev_i32_e32 v24, 31, v24
	v_and_b32_e32 v22, exec_hi, v22
	v_xor_b32_e32 v25, s19, v24
	v_xor_b32_e32 v24, s18, v24
	v_and_b32_e32 v22, v22, v25
	v_and_b32_e32 v33, v33, v24
	v_lshlrev_b32_e32 v25, 29, v32
	v_mov_b32_e32 v24, v23
	v_cmp_gt_i64_e64 s[18:19], 0, v[24:25]
	v_not_b32_e32 v24, v25
	v_ashrrev_i32_e32 v24, 31, v24
	v_xor_b32_e32 v25, s19, v24
	v_xor_b32_e32 v24, s18, v24
	v_and_b32_e32 v22, v22, v25
	v_and_b32_e32 v33, v33, v24
	v_lshlrev_b32_e32 v25, 28, v32
	v_mov_b32_e32 v24, v23
	v_cmp_gt_i64_e64 s[18:19], 0, v[24:25]
	v_not_b32_e32 v24, v25
	v_ashrrev_i32_e32 v24, 31, v24
	;; [unrolled: 9-line block ×5, first 2 shown]
	v_xor_b32_e32 v25, s19, v24
	v_xor_b32_e32 v24, s18, v24
	v_and_b32_e32 v22, v22, v25
	v_lshlrev_b32_e32 v25, 24, v32
	v_and_b32_e32 v33, v33, v24
	v_mov_b32_e32 v24, v23
	v_not_b32_e32 v23, v25
	v_cmp_gt_i64_e64 s[18:19], 0, v[24:25]
	v_ashrrev_i32_e32 v23, 31, v23
	s_nop 0
	v_xor_b32_e32 v24, s19, v23
	v_xor_b32_e32 v25, s18, v23
	; wave barrier
	ds_read_b32 v1, v34 offset:64
	v_and_b32_e32 v23, v22, v24
	v_and_b32_e32 v22, v33, v25
	v_mbcnt_lo_u32_b32 v24, v22, 0
	v_mbcnt_hi_u32_b32 v32, v23, v24
	v_cmp_eq_u32_e64 s[18:19], 0, v32
	v_cmp_ne_u64_e64 s[20:21], 0, v[22:23]
	s_and_b64 s[20:21], s[20:21], s[18:19]
	; wave barrier
	s_and_saveexec_b64 s[18:19], s[20:21]
	s_cbranch_execz .LBB565_21
; %bb.20:
	v_bcnt_u32_b32 v22, v22, 0
	v_bcnt_u32_b32 v22, v23, v22
	s_waitcnt lgkmcnt(0)
	v_add_u32_e32 v22, v1, v22
	ds_write_b32 v34, v22 offset:64
.LBB565_21:
	s_or_b64 exec, exec, s[18:19]
	v_lshrrev_b64 v[22:23], s52, v[12:13]
	v_and_b32_e32 v35, s56, v22
	s_movk_i32 s22, 0x44
	v_mul_lo_u32 v22, v35, s22
	v_add_u32_e32 v37, v40, v22
	v_and_b32_e32 v22, 1, v35
	v_mov_b32_e32 v23, 0
	v_lshl_add_u64 v[24:25], v[22:23], 0, -1
	v_cmp_ne_u32_e64 s[18:19], 0, v22
	; wave barrier
	s_nop 1
	v_xor_b32_e32 v24, s18, v24
	v_xor_b32_e32 v22, s19, v25
	v_and_b32_e32 v36, exec_lo, v24
	v_lshlrev_b32_e32 v25, 30, v35
	v_mov_b32_e32 v24, v23
	v_cmp_gt_i64_e64 s[18:19], 0, v[24:25]
	v_not_b32_e32 v24, v25
	v_ashrrev_i32_e32 v24, 31, v24
	v_and_b32_e32 v22, exec_hi, v22
	v_xor_b32_e32 v25, s19, v24
	v_xor_b32_e32 v24, s18, v24
	v_and_b32_e32 v22, v22, v25
	v_and_b32_e32 v36, v36, v24
	v_lshlrev_b32_e32 v25, 29, v35
	v_mov_b32_e32 v24, v23
	v_cmp_gt_i64_e64 s[18:19], 0, v[24:25]
	v_not_b32_e32 v24, v25
	v_ashrrev_i32_e32 v24, 31, v24
	v_xor_b32_e32 v25, s19, v24
	v_xor_b32_e32 v24, s18, v24
	v_and_b32_e32 v22, v22, v25
	v_and_b32_e32 v36, v36, v24
	v_lshlrev_b32_e32 v25, 28, v35
	v_mov_b32_e32 v24, v23
	v_cmp_gt_i64_e64 s[18:19], 0, v[24:25]
	v_not_b32_e32 v24, v25
	v_ashrrev_i32_e32 v24, 31, v24
	;; [unrolled: 9-line block ×6, first 2 shown]
	v_xor_b32_e32 v25, s19, v24
	v_xor_b32_e32 v24, s18, v24
	ds_read_b32 v33, v37 offset:64
	v_and_b32_e32 v24, v36, v24
	v_and_b32_e32 v25, v22, v25
	v_mbcnt_lo_u32_b32 v22, v24, 0
	v_mbcnt_hi_u32_b32 v35, v25, v22
	v_cmp_eq_u32_e64 s[18:19], 0, v35
	v_cmp_ne_u64_e64 s[20:21], 0, v[24:25]
	s_and_b64 s[20:21], s[20:21], s[18:19]
	; wave barrier
	s_and_saveexec_b64 s[18:19], s[20:21]
	s_cbranch_execz .LBB565_23
; %bb.22:
	v_bcnt_u32_b32 v22, v24, 0
	v_bcnt_u32_b32 v22, v25, v22
	s_waitcnt lgkmcnt(0)
	v_add_u32_e32 v22, v33, v22
	ds_write_b32 v37, v22 offset:64
.LBB565_23:
	s_or_b64 exec, exec, s[18:19]
	v_lshrrev_b64 v[24:25], s52, v[10:11]
	v_and_b32_e32 v38, s56, v24
	v_mul_lo_u32 v22, v38, s22
	v_add_u32_e32 v41, v40, v22
	v_and_b32_e32 v22, 1, v38
	v_lshl_add_u64 v[24:25], v[22:23], 0, -1
	v_cmp_ne_u32_e64 s[18:19], 0, v22
	; wave barrier
	s_nop 1
	v_xor_b32_e32 v24, s18, v24
	v_xor_b32_e32 v22, s19, v25
	v_and_b32_e32 v39, exec_lo, v24
	v_lshlrev_b32_e32 v25, 30, v38
	v_mov_b32_e32 v24, v23
	v_cmp_gt_i64_e64 s[18:19], 0, v[24:25]
	v_not_b32_e32 v24, v25
	v_ashrrev_i32_e32 v24, 31, v24
	v_and_b32_e32 v22, exec_hi, v22
	v_xor_b32_e32 v25, s19, v24
	v_xor_b32_e32 v24, s18, v24
	v_and_b32_e32 v22, v22, v25
	v_and_b32_e32 v39, v39, v24
	v_lshlrev_b32_e32 v25, 29, v38
	v_mov_b32_e32 v24, v23
	v_cmp_gt_i64_e64 s[18:19], 0, v[24:25]
	v_not_b32_e32 v24, v25
	v_ashrrev_i32_e32 v24, 31, v24
	v_xor_b32_e32 v25, s19, v24
	v_xor_b32_e32 v24, s18, v24
	v_and_b32_e32 v22, v22, v25
	v_and_b32_e32 v39, v39, v24
	v_lshlrev_b32_e32 v25, 28, v38
	v_mov_b32_e32 v24, v23
	v_cmp_gt_i64_e64 s[18:19], 0, v[24:25]
	v_not_b32_e32 v24, v25
	v_ashrrev_i32_e32 v24, 31, v24
	;; [unrolled: 9-line block ×5, first 2 shown]
	v_xor_b32_e32 v25, s19, v24
	v_xor_b32_e32 v24, s18, v24
	v_and_b32_e32 v22, v22, v25
	v_lshlrev_b32_e32 v25, 24, v38
	v_and_b32_e32 v39, v39, v24
	v_mov_b32_e32 v24, v23
	v_not_b32_e32 v23, v25
	v_cmp_gt_i64_e64 s[18:19], 0, v[24:25]
	v_ashrrev_i32_e32 v23, 31, v23
	ds_read_b32 v36, v41 offset:64
	v_xor_b32_e32 v24, s19, v23
	v_xor_b32_e32 v25, s18, v23
	v_and_b32_e32 v23, v22, v24
	v_and_b32_e32 v22, v39, v25
	v_mbcnt_lo_u32_b32 v24, v22, 0
	v_mbcnt_hi_u32_b32 v38, v23, v24
	v_cmp_eq_u32_e64 s[18:19], 0, v38
	v_cmp_ne_u64_e64 s[20:21], 0, v[22:23]
	s_and_b64 s[20:21], s[20:21], s[18:19]
	; wave barrier
	s_and_saveexec_b64 s[18:19], s[20:21]
	s_cbranch_execz .LBB565_25
; %bb.24:
	v_bcnt_u32_b32 v22, v22, 0
	v_bcnt_u32_b32 v22, v23, v22
	s_waitcnt lgkmcnt(0)
	v_add_u32_e32 v22, v36, v22
	ds_write_b32 v41, v22 offset:64
.LBB565_25:
	s_or_b64 exec, exec, s[18:19]
	v_lshrrev_b64 v[22:23], s52, v[16:17]
	v_and_b32_e32 v42, s56, v22
	v_mul_lo_u32 v22, v42, s22
	v_add_u32_e32 v44, v40, v22
	v_and_b32_e32 v22, 1, v42
	v_mov_b32_e32 v23, 0
	v_lshl_add_u64 v[24:25], v[22:23], 0, -1
	v_cmp_ne_u32_e64 s[18:19], 0, v22
	; wave barrier
	s_nop 1
	v_xor_b32_e32 v24, s18, v24
	v_xor_b32_e32 v22, s19, v25
	v_and_b32_e32 v43, exec_lo, v24
	v_lshlrev_b32_e32 v25, 30, v42
	v_mov_b32_e32 v24, v23
	v_cmp_gt_i64_e64 s[18:19], 0, v[24:25]
	v_not_b32_e32 v24, v25
	v_ashrrev_i32_e32 v24, 31, v24
	v_and_b32_e32 v22, exec_hi, v22
	v_xor_b32_e32 v25, s19, v24
	v_xor_b32_e32 v24, s18, v24
	v_and_b32_e32 v22, v22, v25
	v_and_b32_e32 v43, v43, v24
	v_lshlrev_b32_e32 v25, 29, v42
	v_mov_b32_e32 v24, v23
	v_cmp_gt_i64_e64 s[18:19], 0, v[24:25]
	v_not_b32_e32 v24, v25
	v_ashrrev_i32_e32 v24, 31, v24
	v_xor_b32_e32 v25, s19, v24
	v_xor_b32_e32 v24, s18, v24
	v_and_b32_e32 v22, v22, v25
	v_and_b32_e32 v43, v43, v24
	v_lshlrev_b32_e32 v25, 28, v42
	v_mov_b32_e32 v24, v23
	v_cmp_gt_i64_e64 s[18:19], 0, v[24:25]
	v_not_b32_e32 v24, v25
	v_ashrrev_i32_e32 v24, 31, v24
	;; [unrolled: 9-line block ×6, first 2 shown]
	v_xor_b32_e32 v25, s19, v24
	v_xor_b32_e32 v24, s18, v24
	ds_read_b32 v39, v44 offset:64
	v_and_b32_e32 v24, v43, v24
	v_and_b32_e32 v25, v22, v25
	v_mbcnt_lo_u32_b32 v22, v24, 0
	v_mbcnt_hi_u32_b32 v42, v25, v22
	v_cmp_eq_u32_e64 s[18:19], 0, v42
	v_cmp_ne_u64_e64 s[20:21], 0, v[24:25]
	s_and_b64 s[20:21], s[20:21], s[18:19]
	; wave barrier
	s_and_saveexec_b64 s[18:19], s[20:21]
	s_cbranch_execz .LBB565_27
; %bb.26:
	v_bcnt_u32_b32 v22, v24, 0
	v_bcnt_u32_b32 v22, v25, v22
	s_waitcnt lgkmcnt(0)
	v_add_u32_e32 v22, v39, v22
	ds_write_b32 v44, v22 offset:64
.LBB565_27:
	s_or_b64 exec, exec, s[18:19]
	v_lshrrev_b64 v[24:25], s52, v[14:15]
	v_and_b32_e32 v45, s56, v24
	v_mul_lo_u32 v22, v45, s22
	v_add_u32_e32 v47, v40, v22
	v_and_b32_e32 v22, 1, v45
	v_lshl_add_u64 v[24:25], v[22:23], 0, -1
	v_cmp_ne_u32_e64 s[18:19], 0, v22
	; wave barrier
	s_nop 1
	v_xor_b32_e32 v24, s18, v24
	v_xor_b32_e32 v22, s19, v25
	v_and_b32_e32 v46, exec_lo, v24
	v_lshlrev_b32_e32 v25, 30, v45
	v_mov_b32_e32 v24, v23
	v_cmp_gt_i64_e64 s[18:19], 0, v[24:25]
	v_not_b32_e32 v24, v25
	v_ashrrev_i32_e32 v24, 31, v24
	v_and_b32_e32 v22, exec_hi, v22
	v_xor_b32_e32 v25, s19, v24
	v_xor_b32_e32 v24, s18, v24
	v_and_b32_e32 v22, v22, v25
	v_and_b32_e32 v46, v46, v24
	v_lshlrev_b32_e32 v25, 29, v45
	v_mov_b32_e32 v24, v23
	v_cmp_gt_i64_e64 s[18:19], 0, v[24:25]
	v_not_b32_e32 v24, v25
	v_ashrrev_i32_e32 v24, 31, v24
	v_xor_b32_e32 v25, s19, v24
	v_xor_b32_e32 v24, s18, v24
	v_and_b32_e32 v22, v22, v25
	v_and_b32_e32 v46, v46, v24
	v_lshlrev_b32_e32 v25, 28, v45
	v_mov_b32_e32 v24, v23
	v_cmp_gt_i64_e64 s[18:19], 0, v[24:25]
	v_not_b32_e32 v24, v25
	v_ashrrev_i32_e32 v24, 31, v24
	;; [unrolled: 9-line block ×5, first 2 shown]
	v_xor_b32_e32 v25, s19, v24
	v_xor_b32_e32 v24, s18, v24
	v_and_b32_e32 v22, v22, v25
	v_lshlrev_b32_e32 v25, 24, v45
	v_and_b32_e32 v46, v46, v24
	v_mov_b32_e32 v24, v23
	v_not_b32_e32 v23, v25
	v_cmp_gt_i64_e64 s[18:19], 0, v[24:25]
	v_ashrrev_i32_e32 v23, 31, v23
	ds_read_b32 v43, v47 offset:64
	v_xor_b32_e32 v24, s19, v23
	v_xor_b32_e32 v25, s18, v23
	v_and_b32_e32 v23, v22, v24
	v_and_b32_e32 v22, v46, v25
	v_mbcnt_lo_u32_b32 v24, v22, 0
	v_mbcnt_hi_u32_b32 v45, v23, v24
	v_cmp_eq_u32_e64 s[18:19], 0, v45
	v_cmp_ne_u64_e64 s[20:21], 0, v[22:23]
	s_and_b64 s[20:21], s[20:21], s[18:19]
	; wave barrier
	s_and_saveexec_b64 s[18:19], s[20:21]
	s_cbranch_execz .LBB565_29
; %bb.28:
	v_bcnt_u32_b32 v22, v22, 0
	v_bcnt_u32_b32 v22, v23, v22
	s_waitcnt lgkmcnt(0)
	v_add_u32_e32 v22, v43, v22
	ds_write_b32 v47, v22 offset:64
.LBB565_29:
	s_or_b64 exec, exec, s[18:19]
	v_lshrrev_b64 v[22:23], s52, v[20:21]
	v_and_b32_e32 v48, s56, v22
	v_mul_lo_u32 v22, v48, s22
	v_add_u32_e32 v50, v40, v22
	v_and_b32_e32 v22, 1, v48
	v_mov_b32_e32 v23, 0
	v_lshl_add_u64 v[24:25], v[22:23], 0, -1
	v_cmp_ne_u32_e64 s[18:19], 0, v22
	; wave barrier
	s_nop 1
	v_xor_b32_e32 v24, s18, v24
	v_xor_b32_e32 v22, s19, v25
	v_and_b32_e32 v49, exec_lo, v24
	v_lshlrev_b32_e32 v25, 30, v48
	v_mov_b32_e32 v24, v23
	v_cmp_gt_i64_e64 s[18:19], 0, v[24:25]
	v_not_b32_e32 v24, v25
	v_ashrrev_i32_e32 v24, 31, v24
	v_and_b32_e32 v22, exec_hi, v22
	v_xor_b32_e32 v25, s19, v24
	v_xor_b32_e32 v24, s18, v24
	v_and_b32_e32 v22, v22, v25
	v_and_b32_e32 v49, v49, v24
	v_lshlrev_b32_e32 v25, 29, v48
	v_mov_b32_e32 v24, v23
	v_cmp_gt_i64_e64 s[18:19], 0, v[24:25]
	v_not_b32_e32 v24, v25
	v_ashrrev_i32_e32 v24, 31, v24
	v_xor_b32_e32 v25, s19, v24
	v_xor_b32_e32 v24, s18, v24
	v_and_b32_e32 v22, v22, v25
	v_and_b32_e32 v49, v49, v24
	v_lshlrev_b32_e32 v25, 28, v48
	v_mov_b32_e32 v24, v23
	v_cmp_gt_i64_e64 s[18:19], 0, v[24:25]
	v_not_b32_e32 v24, v25
	v_ashrrev_i32_e32 v24, 31, v24
	;; [unrolled: 9-line block ×6, first 2 shown]
	v_xor_b32_e32 v25, s19, v24
	v_xor_b32_e32 v24, s18, v24
	ds_read_b32 v46, v50 offset:64
	v_and_b32_e32 v24, v49, v24
	v_and_b32_e32 v25, v22, v25
	v_mbcnt_lo_u32_b32 v22, v24, 0
	v_mbcnt_hi_u32_b32 v48, v25, v22
	v_cmp_eq_u32_e64 s[18:19], 0, v48
	v_cmp_ne_u64_e64 s[20:21], 0, v[24:25]
	s_and_b64 s[20:21], s[20:21], s[18:19]
	; wave barrier
	s_and_saveexec_b64 s[18:19], s[20:21]
	s_cbranch_execz .LBB565_31
; %bb.30:
	v_bcnt_u32_b32 v22, v24, 0
	v_bcnt_u32_b32 v22, v25, v22
	s_waitcnt lgkmcnt(0)
	v_add_u32_e32 v22, v46, v22
	ds_write_b32 v50, v22 offset:64
.LBB565_31:
	s_or_b64 exec, exec, s[18:19]
	v_lshrrev_b64 v[24:25], s52, v[18:19]
	v_and_b32_e32 v51, s56, v24
	v_mul_lo_u32 v22, v51, s22
	v_add_u32_e32 v40, v40, v22
	v_and_b32_e32 v22, 1, v51
	v_lshl_add_u64 v[24:25], v[22:23], 0, -1
	v_cmp_ne_u32_e64 s[18:19], 0, v22
	; wave barrier
	s_nop 1
	v_xor_b32_e32 v24, s18, v24
	v_xor_b32_e32 v22, s19, v25
	v_and_b32_e32 v52, exec_lo, v24
	v_lshlrev_b32_e32 v25, 30, v51
	v_mov_b32_e32 v24, v23
	v_cmp_gt_i64_e64 s[18:19], 0, v[24:25]
	v_not_b32_e32 v24, v25
	v_ashrrev_i32_e32 v24, 31, v24
	v_and_b32_e32 v22, exec_hi, v22
	v_xor_b32_e32 v25, s19, v24
	v_xor_b32_e32 v24, s18, v24
	v_and_b32_e32 v22, v22, v25
	v_and_b32_e32 v52, v52, v24
	v_lshlrev_b32_e32 v25, 29, v51
	v_mov_b32_e32 v24, v23
	v_cmp_gt_i64_e64 s[18:19], 0, v[24:25]
	v_not_b32_e32 v24, v25
	v_ashrrev_i32_e32 v24, 31, v24
	v_xor_b32_e32 v25, s19, v24
	v_xor_b32_e32 v24, s18, v24
	v_and_b32_e32 v22, v22, v25
	v_and_b32_e32 v52, v52, v24
	v_lshlrev_b32_e32 v25, 28, v51
	v_mov_b32_e32 v24, v23
	v_cmp_gt_i64_e64 s[18:19], 0, v[24:25]
	v_not_b32_e32 v24, v25
	v_ashrrev_i32_e32 v24, 31, v24
	;; [unrolled: 9-line block ×5, first 2 shown]
	v_xor_b32_e32 v25, s19, v24
	v_xor_b32_e32 v24, s18, v24
	v_and_b32_e32 v22, v22, v25
	v_lshlrev_b32_e32 v25, 24, v51
	v_and_b32_e32 v52, v52, v24
	v_mov_b32_e32 v24, v23
	v_not_b32_e32 v23, v25
	v_cmp_gt_i64_e64 s[18:19], 0, v[24:25]
	v_ashrrev_i32_e32 v23, 31, v23
	ds_read_b32 v49, v40 offset:64
	v_xor_b32_e32 v24, s19, v23
	v_xor_b32_e32 v25, s18, v23
	v_and_b32_e32 v23, v22, v24
	v_and_b32_e32 v22, v52, v25
	v_mbcnt_lo_u32_b32 v24, v22, 0
	v_mbcnt_hi_u32_b32 v51, v23, v24
	v_cmp_eq_u32_e64 s[18:19], 0, v51
	v_cmp_ne_u64_e64 s[20:21], 0, v[22:23]
	s_and_b64 s[20:21], s[20:21], s[18:19]
	; wave barrier
	s_and_saveexec_b64 s[18:19], s[20:21]
	s_cbranch_execz .LBB565_33
; %bb.32:
	v_bcnt_u32_b32 v22, v22, 0
	v_bcnt_u32_b32 v22, v23, v22
	s_waitcnt lgkmcnt(0)
	v_add_u32_e32 v22, v49, v22
	ds_write_b32 v40, v22 offset:64
.LBB565_33:
	s_or_b64 exec, exec, s[18:19]
	; wave barrier
	s_waitcnt lgkmcnt(0)
	s_barrier
	ds_read2_b32 v[24:25], v5 offset0:16 offset1:17
	ds_read2_b32 v[22:23], v5 offset0:18 offset1:19
	ds_read_b32 v52, v5 offset:80
	v_cmp_lt_u32_e64 s[28:29], 31, v26
	s_waitcnt lgkmcnt(1)
	v_add3_u32 v53, v25, v24, v22
	s_waitcnt lgkmcnt(0)
	v_add3_u32 v52, v53, v23, v52
	v_and_b32_e32 v53, 15, v26
	v_cmp_eq_u32_e64 s[18:19], 0, v53
	v_mov_b32_dpp v54, v52 row_shr:1 row_mask:0xf bank_mask:0xf
	v_cmp_lt_u32_e64 s[20:21], 1, v53
	v_cndmask_b32_e64 v54, v54, 0, s[18:19]
	v_add_u32_e32 v52, v54, v52
	v_cmp_lt_u32_e64 s[22:23], 3, v53
	v_cmp_lt_u32_e64 s[24:25], 7, v53
	v_mov_b32_dpp v54, v52 row_shr:2 row_mask:0xf bank_mask:0xf
	v_cndmask_b32_e64 v54, 0, v54, s[20:21]
	v_add_u32_e32 v52, v52, v54
	s_nop 1
	v_mov_b32_dpp v54, v52 row_shr:4 row_mask:0xf bank_mask:0xf
	v_cndmask_b32_e64 v54, 0, v54, s[22:23]
	v_add_u32_e32 v52, v52, v54
	s_nop 1
	v_mov_b32_dpp v54, v52 row_shr:8 row_mask:0xf bank_mask:0xf
	v_cndmask_b32_e64 v53, 0, v54, s[24:25]
	v_add_u32_e32 v52, v52, v53
	v_bfe_i32 v54, v26, 4, 1
	s_nop 0
	v_mov_b32_dpp v53, v52 row_bcast:15 row_mask:0xf bank_mask:0xf
	v_and_b32_e32 v53, v54, v53
	v_add_u32_e32 v52, v52, v53
	v_and_b32_e32 v54, 63, v2
	s_nop 0
	v_mov_b32_dpp v53, v52 row_bcast:31 row_mask:0xf bank_mask:0xf
	v_cndmask_b32_e64 v53, 0, v53, s[28:29]
	v_add_u32_e32 v52, v52, v53
	v_lshrrev_b32_e32 v53, 6, v2
	v_cmp_eq_u32_e64 s[28:29], 63, v54
	s_and_saveexec_b64 s[30:31], s[28:29]
; %bb.34:
	v_lshlrev_b32_e32 v54, 2, v53
	ds_write_b32 v54, v52
; %bb.35:
	s_or_b64 exec, exec, s[30:31]
	v_cmp_gt_u32_e64 s[28:29], 16, v2
	s_waitcnt lgkmcnt(0)
	s_barrier
	s_and_saveexec_b64 s[30:31], s[28:29]
	s_cbranch_execz .LBB565_37
; %bb.36:
	v_lshlrev_b32_e32 v54, 2, v2
	ds_read_b32 v55, v54
	s_waitcnt lgkmcnt(0)
	s_nop 0
	v_mov_b32_dpp v56, v55 row_shr:1 row_mask:0xf bank_mask:0xf
	v_cndmask_b32_e64 v56, v56, 0, s[18:19]
	v_add_u32_e32 v55, v56, v55
	s_nop 1
	v_mov_b32_dpp v56, v55 row_shr:2 row_mask:0xf bank_mask:0xf
	v_cndmask_b32_e64 v56, 0, v56, s[20:21]
	v_add_u32_e32 v55, v55, v56
	;; [unrolled: 4-line block ×4, first 2 shown]
	ds_write_b32 v54, v55
.LBB565_37:
	s_or_b64 exec, exec, s[30:31]
	v_cmp_lt_u32_e64 s[18:19], 63, v2
	v_mov_b32_e32 v54, 0
	s_waitcnt lgkmcnt(0)
	s_barrier
	s_and_saveexec_b64 s[20:21], s[18:19]
; %bb.38:
	v_lshl_add_u32 v53, v53, 2, -4
	ds_read_b32 v54, v53
; %bb.39:
	s_or_b64 exec, exec, s[20:21]
	v_subrev_co_u32_e64 v53, s[18:19], 1, v26
	v_and_b32_e32 v55, 64, v26
	v_cmp_lt_i32_e64 s[20:21], v53, v55
	s_waitcnt lgkmcnt(0)
	v_add_u32_e32 v52, v54, v52
	s_movk_i32 s22, 0x100
	v_cndmask_b32_e64 v26, v53, v26, s[20:21]
	v_lshlrev_b32_e32 v26, 2, v26
	ds_bpermute_b32 v26, v26, v52
	v_cmp_gt_u32_e64 s[20:21], s22, v2
	s_waitcnt lgkmcnt(0)
	v_cndmask_b32_e64 v26, v26, v54, s[18:19]
	v_cmp_ne_u32_e64 s[18:19], 0, v2
	s_nop 1
	v_cndmask_b32_e64 v26, 0, v26, s[18:19]
	v_add_u32_e32 v24, v26, v24
	v_add_u32_e32 v25, v24, v25
	;; [unrolled: 1-line block ×4, first 2 shown]
	ds_write2_b32 v5, v26, v24 offset0:16 offset1:17
	ds_write2_b32 v5, v25, v22 offset0:18 offset1:19
	ds_write_b32 v5, v23 offset:80
	s_waitcnt lgkmcnt(0)
	s_barrier
	ds_read_b32 v55, v27 offset:64
	ds_read_b32 v5, v34 offset:64
	;; [unrolled: 1-line block ×8, first 2 shown]
	s_movk_i32 s18, 0xff
	v_cmp_lt_u32_e64 s[18:19], s18, v2
                                        ; implicit-def: $vgpr34
                                        ; implicit-def: $vgpr37
	s_and_saveexec_b64 s[24:25], s[20:21]
	s_cbranch_execz .LBB565_43
; %bb.40:
	v_mul_u32_u24_e32 v22, 0x44, v2
	ds_read_b32 v34, v22 offset:64
	v_add_u32_e32 v23, 1, v2
	v_cmp_ne_u32_e64 s[22:23], s22, v23
	v_mov_b32_e32 v22, 0x2000
	s_and_saveexec_b64 s[28:29], s[22:23]
; %bb.41:
	v_mul_u32_u24_e32 v22, 0x44, v23
	ds_read_b32 v22, v22 offset:64
; %bb.42:
	s_or_b64 exec, exec, s[28:29]
	s_waitcnt lgkmcnt(0)
	v_sub_u32_e32 v37, v22, v34
.LBB565_43:
	s_or_b64 exec, exec, s[24:25]
	v_mov_b32_e32 v23, 0
	v_lshlrev_b32_e32 v40, 2, v2
	s_waitcnt lgkmcnt(0)
	s_barrier
	s_and_saveexec_b64 s[22:23], s[20:21]
	s_cbranch_execz .LBB565_53
; %bb.44:
	v_lshl_add_u32 v22, s4, 8, v2
	v_lshl_add_u64 v[24:25], v[22:23], 2, s[38:39]
	v_or_b32_e32 v22, 2.0, v37
	s_mov_b64 s[24:25], 0
	s_brev_b32 s34, -4
	s_mov_b32 s35, s4
	v_mov_b32_e32 v50, 0
	global_store_dword v[24:25], v22, off sc1
                                        ; implicit-def: $sgpr20_sgpr21
	s_branch .LBB565_47
.LBB565_45:                             ;   in Loop: Header=BB565_47 Depth=1
	s_or_b64 exec, exec, s[30:31]
.LBB565_46:                             ;   in Loop: Header=BB565_47 Depth=1
	s_or_b64 exec, exec, s[28:29]
	v_and_b32_e32 v26, 0x3fffffff, v22
	v_add_u32_e32 v50, v26, v50
	v_cmp_gt_i32_e64 s[20:21], -2.0, v22
	s_and_b64 s[28:29], exec, s[20:21]
	s_or_b64 s[24:25], s[28:29], s[24:25]
	s_andn2_b64 exec, exec, s[24:25]
	s_cbranch_execz .LBB565_52
.LBB565_47:                             ; =>This Loop Header: Depth=1
                                        ;     Child Loop BB565_50 Depth 2
	s_or_b64 s[20:21], s[20:21], exec
	s_cmp_eq_u32 s35, 0
	s_cbranch_scc1 .LBB565_51
; %bb.48:                               ;   in Loop: Header=BB565_47 Depth=1
	s_add_i32 s35, s35, -1
	v_lshl_or_b32 v22, s35, 8, v2
	v_lshl_add_u64 v[26:27], v[22:23], 2, s[38:39]
	global_load_dword v22, v[26:27], off sc1
	s_waitcnt vmcnt(0)
	v_cmp_gt_u32_e64 s[20:21], 2.0, v22
	s_and_saveexec_b64 s[28:29], s[20:21]
	s_cbranch_execz .LBB565_46
; %bb.49:                               ;   in Loop: Header=BB565_47 Depth=1
	s_mov_b64 s[30:31], 0
.LBB565_50:                             ;   Parent Loop BB565_47 Depth=1
                                        ; =>  This Inner Loop Header: Depth=2
	global_load_dword v22, v[26:27], off sc1
	s_waitcnt vmcnt(0)
	v_cmp_lt_u32_e64 s[20:21], s34, v22
	s_or_b64 s[30:31], s[20:21], s[30:31]
	s_andn2_b64 exec, exec, s[30:31]
	s_cbranch_execnz .LBB565_50
	s_branch .LBB565_45
.LBB565_51:                             ;   in Loop: Header=BB565_47 Depth=1
                                        ; implicit-def: $sgpr35
	s_and_b64 s[28:29], exec, s[20:21]
	s_or_b64 s[24:25], s[28:29], s[24:25]
	s_andn2_b64 exec, exec, s[24:25]
	s_cbranch_execnz .LBB565_47
.LBB565_52:
	s_or_b64 exec, exec, s[24:25]
	v_add_u32_e32 v22, v50, v37
	v_or_b32_e32 v22, 0x80000000, v22
	global_store_dword v[24:25], v22, off sc1
	global_load_dword v22, v40, s[48:49]
	v_sub_u32_e32 v23, v50, v34
	s_waitcnt vmcnt(0)
	v_add_u32_e32 v22, v23, v22
	ds_write_b32 v40, v22
.LBB565_53:
	s_or_b64 exec, exec, s[22:23]
	s_load_dwordx2 s[20:21], s[0:1], 0x4
	v_add_u32_e32 v24, v55, v31
	v_add3_u32 v22, v32, v1, v5
	v_add3_u32 v23, v35, v33, v52
	;; [unrolled: 1-line block ×3, first 2 shown]
	s_waitcnt lgkmcnt(0)
	s_lshr_b32 s0, s20, 16
	s_mul_i32 s0, s0, s21
	v_mul_lo_u32 v25, s0, v2
	v_mul_u32_u24_e32 v27, s21, v3
	v_add3_u32 v25, v25, v27, v28
	v_mov_b32_e32 v27, 0x5050
	v_add3_u32 v55, v42, v39, v54
	v_add3_u32 v56, v45, v43, v47
	;; [unrolled: 1-line block ×4, first 2 shown]
	v_lshl_add_u32 v25, v25, 5, v27
	v_mov_b32_e32 v57, 0x400
	s_movk_i32 s22, 0x400
	v_lshl_add_u32 v26, v26, 3, v57
	v_add3_u32 v27, v51, v44, v49
	v_lshl_add_u32 v31, v31, 3, v57
	v_add3_u32 v41, v48, v41, v46
	v_lshl_add_u32 v44, v56, 3, v57
	v_add3_u32 v43, v45, v47, v43
	v_lshl_add_u32 v45, v55, 3, v57
	v_add3_u32 v39, v42, v54, v39
	v_lshl_add_u32 v42, v50, 3, v57
	v_add3_u32 v36, v38, v53, v36
	v_lshl_add_u32 v38, v23, 3, v57
	v_add3_u32 v33, v35, v52, v33
	v_lshl_add_u32 v35, v22, 3, v57
	v_add3_u32 v32, v32, v5, v1
	v_lshl_add_u32 v46, v24, 3, v57
	s_mov_b32 s23, 0
	s_movk_i32 s24, 0x800
	v_add_u32_e32 v47, v40, v40
	v_mov_b32_e32 v23, 0
	v_mov_b32_e32 v1, v2
	;; [unrolled: 1-line block ×3, first 2 shown]
	s_mov_b32 s25, 0
	s_branch .LBB565_55
.LBB565_54:                             ;   in Loop: Header=BB565_55 Depth=1
	s_or_b64 exec, exec, s[20:21]
	s_addk_i32 s25, 0xc000
	s_addk_i32 s23, 0xf800
	v_add_u32_e32 v5, 8, v5
	s_cmp_eq_u32 s25, 0xffff0000
	v_add_u32_e32 v1, 0x800, v1
	s_waitcnt lgkmcnt(0)
	s_barrier
	s_cbranch_scc1 .LBB565_75
.LBB565_55:                             ; =>This Inner Loop Header: Depth=1
	v_add_u32_e32 v22, s23, v24
	v_cmp_gt_u32_e64 s[0:1], s24, v22
	s_and_saveexec_b64 s[20:21], s[0:1]
; %bb.56:                               ;   in Loop: Header=BB565_55 Depth=1
	v_add_u32_e32 v22, s25, v46
	ds_write_b64 v22, v[8:9]
; %bb.57:                               ;   in Loop: Header=BB565_55 Depth=1
	s_or_b64 exec, exec, s[20:21]
	v_add_u32_e32 v22, s23, v32
	v_cmp_gt_u32_e64 s[0:1], s24, v22
	s_and_saveexec_b64 s[20:21], s[0:1]
; %bb.58:                               ;   in Loop: Header=BB565_55 Depth=1
	v_add_u32_e32 v22, s25, v35
	ds_write_b64 v22, v[6:7]
; %bb.59:                               ;   in Loop: Header=BB565_55 Depth=1
	s_or_b64 exec, exec, s[20:21]
	;; [unrolled: 8-line block ×8, first 2 shown]
	v_cmp_gt_u32_e64 s[0:1], s5, v1
	s_waitcnt lgkmcnt(0)
	s_barrier
	s_and_saveexec_b64 s[20:21], s[0:1]
	s_cbranch_execz .LBB565_73
; %bb.72:                               ;   in Loop: Header=BB565_55 Depth=1
	ds_read_b64 v[48:49], v47 offset:1024
	s_waitcnt lgkmcnt(0)
	v_lshrrev_b64 v[50:51], s52, v[48:49]
	v_and_b32_e32 v52, s56, v50
	v_lshlrev_b32_e32 v22, 2, v52
	ds_read_b32 v22, v22
	ds_write_b32 v5, v52
	s_waitcnt lgkmcnt(1)
	v_add_u32_e32 v22, v1, v22
	v_lshl_add_u64 v[50:51], v[22:23], 3, s[42:43]
	global_store_dwordx2 v[50:51], v[48:49], off
.LBB565_73:                             ;   in Loop: Header=BB565_55 Depth=1
	s_or_b64 exec, exec, s[20:21]
	v_add_u32_e32 v22, 0x400, v1
	v_cmp_gt_u32_e64 s[0:1], s5, v22
	s_and_saveexec_b64 s[20:21], s[0:1]
	s_cbranch_execz .LBB565_54
; %bb.74:                               ;   in Loop: Header=BB565_55 Depth=1
	ds_read_b64 v[48:49], v47 offset:9216
	s_waitcnt lgkmcnt(0)
	v_lshrrev_b64 v[50:51], s52, v[48:49]
	v_and_b32_e32 v52, s56, v50
	v_lshlrev_b32_e32 v22, 2, v52
	ds_read_b32 v22, v22
	ds_write_b32 v5, v52 offset:4
	s_waitcnt lgkmcnt(1)
	v_add3_u32 v22, v1, v22, s22
	v_lshl_add_u64 v[50:51], v[22:23], 3, s[42:43]
	global_store_dwordx2 v[50:51], v[48:49], off
	s_branch .LBB565_54
.LBB565_75:
	s_add_u32 s0, s44, s54
	s_addc_u32 s1, s45, s55
	v_mov_b32_e32 v1, 0
	v_lshl_add_u64 v[6:7], s[0:1], 0, v[0:1]
	v_mov_b32_e32 v5, v1
	v_lshl_add_u64 v[18:19], v[6:7], 0, v[4:5]
                                        ; implicit-def: $vgpr0_vgpr1
	s_and_saveexec_b64 s[0:1], vcc
	s_cbranch_execz .LBB565_83
; %bb.76:
	global_load_dwordx2 v[0:1], v[18:19], off
	s_or_b64 exec, exec, s[0:1]
                                        ; implicit-def: $vgpr4_vgpr5
	s_and_saveexec_b64 s[0:1], s[16:17]
	s_cbranch_execnz .LBB565_84
.LBB565_77:
	s_or_b64 exec, exec, s[0:1]
                                        ; implicit-def: $vgpr6_vgpr7
	s_and_saveexec_b64 s[0:1], s[26:27]
	s_cbranch_execz .LBB565_85
.LBB565_78:
	global_load_dwordx2 v[6:7], v[18:19], off offset:1024
	s_or_b64 exec, exec, s[0:1]
                                        ; implicit-def: $vgpr8_vgpr9
	s_and_saveexec_b64 s[0:1], s[6:7]
	s_cbranch_execnz .LBB565_86
.LBB565_79:
	s_or_b64 exec, exec, s[0:1]
                                        ; implicit-def: $vgpr10_vgpr11
	s_and_saveexec_b64 s[0:1], s[8:9]
	s_cbranch_execz .LBB565_87
.LBB565_80:
	global_load_dwordx2 v[10:11], v[18:19], off offset:2048
	s_or_b64 exec, exec, s[0:1]
                                        ; implicit-def: $vgpr12_vgpr13
	s_and_saveexec_b64 s[0:1], s[10:11]
	s_cbranch_execnz .LBB565_88
.LBB565_81:
	s_or_b64 exec, exec, s[0:1]
                                        ; implicit-def: $vgpr14_vgpr15
	s_and_saveexec_b64 s[0:1], s[12:13]
	s_cbranch_execz .LBB565_89
.LBB565_82:
	global_load_dwordx2 v[14:15], v[18:19], off offset:3072
	s_or_b64 exec, exec, s[0:1]
                                        ; implicit-def: $vgpr16_vgpr17
	s_and_saveexec_b64 s[0:1], s[14:15]
	s_cbranch_execnz .LBB565_90
	s_branch .LBB565_91
.LBB565_83:
	s_or_b64 exec, exec, s[0:1]
                                        ; implicit-def: $vgpr4_vgpr5
	s_and_saveexec_b64 s[0:1], s[16:17]
	s_cbranch_execz .LBB565_77
.LBB565_84:
	global_load_dwordx2 v[4:5], v[18:19], off offset:512
	s_or_b64 exec, exec, s[0:1]
                                        ; implicit-def: $vgpr6_vgpr7
	s_and_saveexec_b64 s[0:1], s[26:27]
	s_cbranch_execnz .LBB565_78
.LBB565_85:
	s_or_b64 exec, exec, s[0:1]
                                        ; implicit-def: $vgpr8_vgpr9
	s_and_saveexec_b64 s[0:1], s[6:7]
	s_cbranch_execz .LBB565_79
.LBB565_86:
	global_load_dwordx2 v[8:9], v[18:19], off offset:1536
	s_or_b64 exec, exec, s[0:1]
                                        ; implicit-def: $vgpr10_vgpr11
	s_and_saveexec_b64 s[0:1], s[8:9]
	s_cbranch_execnz .LBB565_80
.LBB565_87:
	s_or_b64 exec, exec, s[0:1]
                                        ; implicit-def: $vgpr12_vgpr13
	s_and_saveexec_b64 s[0:1], s[10:11]
	s_cbranch_execz .LBB565_81
.LBB565_88:
	global_load_dwordx2 v[12:13], v[18:19], off offset:2560
	s_or_b64 exec, exec, s[0:1]
                                        ; implicit-def: $vgpr14_vgpr15
	s_and_saveexec_b64 s[0:1], s[12:13]
	s_cbranch_execnz .LBB565_82
.LBB565_89:
	s_or_b64 exec, exec, s[0:1]
                                        ; implicit-def: $vgpr16_vgpr17
	s_and_saveexec_b64 s[0:1], s[14:15]
	s_cbranch_execz .LBB565_91
.LBB565_90:
	global_load_dwordx2 v[16:17], v[18:19], off offset:3584
.LBB565_91:
	s_or_b64 exec, exec, s[0:1]
	s_mov_b32 s6, 0
	s_movk_i32 s7, 0x800
	v_mov_b32_e32 v19, 0
	s_movk_i32 s8, 0x400
	s_mov_b32 s9, 0
	v_mov_b32_e32 v20, v2
	s_waitcnt vmcnt(0)
	s_branch .LBB565_93
.LBB565_92:                             ;   in Loop: Header=BB565_93 Depth=1
	s_or_b64 exec, exec, s[0:1]
	s_addk_i32 s9, 0xc000
	s_addk_i32 s6, 0xf800
	v_add_u32_e32 v20, 0x800, v20
	s_cmp_eq_u32 s9, 0xffff0000
	v_add_u32_e32 v25, 8, v25
	s_barrier
	s_cbranch_scc1 .LBB565_113
.LBB565_93:                             ; =>This Inner Loop Header: Depth=1
	v_add_u32_e32 v18, s6, v24
	v_cmp_gt_u32_e32 vcc, s7, v18
	s_and_saveexec_b64 s[0:1], vcc
; %bb.94:                               ;   in Loop: Header=BB565_93 Depth=1
	v_add_u32_e32 v18, s9, v46
	ds_write_b64 v18, v[0:1]
; %bb.95:                               ;   in Loop: Header=BB565_93 Depth=1
	s_or_b64 exec, exec, s[0:1]
	v_add_u32_e32 v18, s6, v32
	v_cmp_gt_u32_e32 vcc, s7, v18
	s_and_saveexec_b64 s[0:1], vcc
; %bb.96:                               ;   in Loop: Header=BB565_93 Depth=1
	v_add_u32_e32 v18, s9, v35
	ds_write_b64 v18, v[4:5]
; %bb.97:                               ;   in Loop: Header=BB565_93 Depth=1
	s_or_b64 exec, exec, s[0:1]
	v_add_u32_e32 v18, s6, v33
	v_cmp_gt_u32_e32 vcc, s7, v18
	s_and_saveexec_b64 s[0:1], vcc
; %bb.98:                               ;   in Loop: Header=BB565_93 Depth=1
	v_add_u32_e32 v18, s9, v38
	ds_write_b64 v18, v[6:7]
; %bb.99:                               ;   in Loop: Header=BB565_93 Depth=1
	s_or_b64 exec, exec, s[0:1]
	v_add_u32_e32 v18, s6, v36
	v_cmp_gt_u32_e32 vcc, s7, v18
	s_and_saveexec_b64 s[0:1], vcc
; %bb.100:                              ;   in Loop: Header=BB565_93 Depth=1
	v_add_u32_e32 v18, s9, v42
	ds_write_b64 v18, v[8:9]
; %bb.101:                              ;   in Loop: Header=BB565_93 Depth=1
	s_or_b64 exec, exec, s[0:1]
	v_add_u32_e32 v18, s6, v39
	v_cmp_gt_u32_e32 vcc, s7, v18
	s_and_saveexec_b64 s[0:1], vcc
; %bb.102:                              ;   in Loop: Header=BB565_93 Depth=1
	v_add_u32_e32 v18, s9, v45
	ds_write_b64 v18, v[10:11]
; %bb.103:                              ;   in Loop: Header=BB565_93 Depth=1
	s_or_b64 exec, exec, s[0:1]
	v_add_u32_e32 v18, s6, v43
	v_cmp_gt_u32_e32 vcc, s7, v18
	s_and_saveexec_b64 s[0:1], vcc
; %bb.104:                              ;   in Loop: Header=BB565_93 Depth=1
	v_add_u32_e32 v18, s9, v44
	ds_write_b64 v18, v[12:13]
; %bb.105:                              ;   in Loop: Header=BB565_93 Depth=1
	s_or_b64 exec, exec, s[0:1]
	v_add_u32_e32 v18, s6, v41
	v_cmp_gt_u32_e32 vcc, s7, v18
	s_and_saveexec_b64 s[0:1], vcc
; %bb.106:                              ;   in Loop: Header=BB565_93 Depth=1
	v_add_u32_e32 v18, s9, v31
	ds_write_b64 v18, v[14:15]
; %bb.107:                              ;   in Loop: Header=BB565_93 Depth=1
	s_or_b64 exec, exec, s[0:1]
	v_add_u32_e32 v18, s6, v27
	v_cmp_gt_u32_e32 vcc, s7, v18
	s_and_saveexec_b64 s[0:1], vcc
; %bb.108:                              ;   in Loop: Header=BB565_93 Depth=1
	v_add_u32_e32 v18, s9, v26
	ds_write_b64 v18, v[16:17]
; %bb.109:                              ;   in Loop: Header=BB565_93 Depth=1
	s_or_b64 exec, exec, s[0:1]
	v_cmp_gt_u32_e32 vcc, s5, v20
	s_waitcnt lgkmcnt(0)
	s_barrier
	s_and_saveexec_b64 s[0:1], vcc
	s_cbranch_execz .LBB565_111
; %bb.110:                              ;   in Loop: Header=BB565_93 Depth=1
	ds_read_b32 v18, v25
	s_waitcnt lgkmcnt(0)
	v_lshlrev_b32_e32 v18, 2, v18
	ds_read_b32 v18, v18
	ds_read_b64 v[22:23], v47 offset:1024
	s_waitcnt lgkmcnt(1)
	v_add_u32_e32 v18, v20, v18
	v_lshl_add_u64 v[48:49], v[18:19], 3, s[46:47]
	s_waitcnt lgkmcnt(0)
	global_store_dwordx2 v[48:49], v[22:23], off
.LBB565_111:                            ;   in Loop: Header=BB565_93 Depth=1
	s_or_b64 exec, exec, s[0:1]
	v_add_u32_e32 v18, 0x400, v20
	v_cmp_gt_u32_e32 vcc, s5, v18
	s_and_saveexec_b64 s[0:1], vcc
	s_cbranch_execz .LBB565_92
; %bb.112:                              ;   in Loop: Header=BB565_93 Depth=1
	ds_read_b32 v18, v25 offset:4
	s_waitcnt lgkmcnt(0)
	v_lshlrev_b32_e32 v18, 2, v18
	ds_read_b32 v18, v18
	ds_read_b64 v[22:23], v47 offset:9216
	s_waitcnt lgkmcnt(1)
	v_add3_u32 v18, v20, v18, s8
	v_lshl_add_u64 v[48:49], v[18:19], 3, s[46:47]
	s_waitcnt lgkmcnt(0)
	global_store_dwordx2 v[48:49], v[22:23], off
	s_branch .LBB565_92
.LBB565_113:
	s_add_i32 s33, s33, -1
	s_cmp_eq_u32 s4, s33
	s_cselect_b64 s[0:1], -1, 0
	s_xor_b64 s[6:7], s[18:19], -1
	s_and_b64 s[6:7], s[6:7], s[0:1]
	s_and_saveexec_b64 s[0:1], s[6:7]
	s_cbranch_execz .LBB565_115
; %bb.114:
	ds_read_b32 v0, v40
	s_waitcnt lgkmcnt(0)
	v_add3_u32 v0, v34, v37, v0
	global_store_dword v40, v0, s[50:51]
.LBB565_115:
	s_or_b64 exec, exec, s[0:1]
	s_mov_b64 s[6:7], 0
.LBB565_116:
	s_and_b64 vcc, exec, s[6:7]
	s_cbranch_vccz .LBB565_191
; %bb.117:
	s_lshl_b32 s0, s4, 13
	s_mov_b32 s1, 0
	s_lshl_b64 s[10:11], s[0:1], 3
	v_mbcnt_hi_u32_b32 v26, -1, v30
	s_add_u32 s0, s40, s10
	v_and_b32_e32 v0, 63, v26
	v_mov_b32_e32 v23, 0
	s_addc_u32 s1, s41, s11
	v_and_b32_e32 v4, 0x1e00, v29
	v_lshlrev_b32_e32 v0, 3, v0
	v_mov_b32_e32 v1, v23
	v_lshl_add_u64 v[6:7], s[0:1], 0, v[0:1]
	v_lshlrev_b32_e32 v4, 3, v4
	v_mov_b32_e32 v5, v23
	v_lshl_add_u64 v[24:25], v[6:7], 0, v[4:5]
	global_load_dwordx2 v[6:7], v[24:25], off
	s_load_dword s0, s[2:3], 0x64
	s_load_dword s5, s[2:3], 0x58
	s_add_u32 s1, s2, 0x58
	s_addc_u32 s2, s3, 0
	v_mul_u32_u24_e32 v5, 20, v2
	s_waitcnt lgkmcnt(0)
	s_lshr_b32 s3, s0, 16
	s_cmp_lt_u32 s4, s5
	s_cselect_b32 s0, 12, 18
	s_add_u32 s0, s1, s0
	s_addc_u32 s1, s2, 0
	global_load_ushort v1, v23, s[0:1]
	ds_write2_b32 v5, v23, v23 offset0:16 offset1:17
	ds_write2_b32 v5, v23, v23 offset0:18 offset1:19
	ds_write_b32 v5, v23 offset:80
	global_load_dwordx2 v[8:9], v[24:25], off offset:512
	global_load_dwordx2 v[10:11], v[24:25], off offset:1024
	;; [unrolled: 1-line block ×7, first 2 shown]
	s_lshl_b32 s0, -1, s53
	v_mov_b32_e32 v30, v23
	v_mad_u32_u24 v3, v28, s3, v3
	v_mov_b32_e32 v32, v23
	s_not_b32 s14, s0
	v_mov_b32_e32 v34, v23
	v_mov_b32_e32 v36, v23
	v_mov_b32_e32 v38, v23
	s_movk_i32 s12, 0x44
	s_waitcnt lgkmcnt(0)
	s_barrier
	s_waitcnt vmcnt(8)
	; wave barrier
	v_lshrrev_b64 v[24:25], s52, v[6:7]
	v_bitop3_b32 v27, v24, s0, v24 bitop3:0x30
	v_and_b32_e32 v22, 1, v27
	v_lshlrev_b32_e32 v31, 30, v27
	v_lshlrev_b32_e32 v33, 29, v27
	v_lshl_add_u64 v[24:25], v[22:23], 0, -1
	v_cmp_ne_u32_e32 vcc, 0, v22
	v_not_b32_e32 v22, v31
	v_lshlrev_b32_e32 v35, 28, v27
	v_cmp_gt_i64_e64 s[0:1], 0, v[30:31]
	v_not_b32_e32 v30, v33
	s_waitcnt vmcnt(7)
	v_mad_u64_u32 v[28:29], s[16:17], v3, v1, v[2:3]
	v_xor_b32_e32 v1, vcc_hi, v25
	v_xor_b32_e32 v3, vcc_lo, v24
	v_ashrrev_i32_e32 v22, 31, v22
	v_lshlrev_b32_e32 v37, 27, v27
	v_cmp_gt_i64_e64 s[2:3], 0, v[32:33]
	v_not_b32_e32 v31, v35
	v_ashrrev_i32_e32 v24, 31, v30
	v_and_b32_e32 v1, exec_hi, v1
	v_and_b32_e32 v3, exec_lo, v3
	v_xor_b32_e32 v30, s1, v22
	v_xor_b32_e32 v22, s0, v22
	v_lshlrev_b32_e32 v39, 26, v27
	v_cmp_gt_i64_e64 s[6:7], 0, v[34:35]
	v_not_b32_e32 v32, v37
	v_ashrrev_i32_e32 v25, 31, v31
	v_xor_b32_e32 v31, s3, v24
	v_xor_b32_e32 v24, s2, v24
	v_and_b32_e32 v1, v1, v30
	v_and_b32_e32 v3, v3, v22
	v_cmp_gt_i64_e64 s[8:9], 0, v[36:37]
	v_ashrrev_i32_e32 v29, 31, v32
	v_xor_b32_e32 v32, s7, v25
	v_xor_b32_e32 v25, s6, v25
	v_and_b32_e32 v1, v1, v31
	v_and_b32_e32 v3, v3, v24
	v_not_b32_e32 v22, v39
	v_xor_b32_e32 v33, s9, v29
	v_xor_b32_e32 v29, s8, v29
	v_and_b32_e32 v1, v1, v32
	v_and_b32_e32 v3, v3, v25
	v_cmp_gt_i64_e32 vcc, 0, v[38:39]
	v_ashrrev_i32_e32 v22, 31, v22
	v_and_b32_e32 v1, v1, v33
	v_and_b32_e32 v3, v3, v29
	v_xor_b32_e32 v24, vcc_hi, v22
	v_xor_b32_e32 v22, vcc_lo, v22
	v_lshlrev_b32_e32 v25, 25, v27
	v_and_b32_e32 v1, v1, v24
	v_and_b32_e32 v3, v3, v22
	v_mov_b32_e32 v24, v23
	v_not_b32_e32 v22, v25
	v_cmp_gt_i64_e32 vcc, 0, v[24:25]
	v_ashrrev_i32_e32 v22, 31, v22
	v_lshlrev_b32_e32 v25, 24, v27
	v_xor_b32_e32 v24, vcc_hi, v22
	v_xor_b32_e32 v22, vcc_lo, v22
	v_and_b32_e32 v1, v1, v24
	v_and_b32_e32 v3, v3, v22
	v_mov_b32_e32 v24, v23
	v_not_b32_e32 v22, v25
	v_cmp_gt_i64_e32 vcc, 0, v[24:25]
	v_ashrrev_i32_e32 v22, 31, v22
	v_lshrrev_b32_e32 v28, 4, v28
	v_xor_b32_e32 v24, vcc_hi, v22
	v_xor_b32_e32 v22, vcc_lo, v22
	v_and_b32_e32 v25, v1, v24
	v_and_b32_e32 v24, v3, v22
	v_mbcnt_lo_u32_b32 v1, v24, 0
	v_mbcnt_hi_u32_b32 v3, v25, v1
	v_mul_lo_u32 v40, v27, s12
	v_and_b32_e32 v35, 0xffffffc, v28
	v_cmp_eq_u32_e32 vcc, 0, v3
	v_cmp_ne_u64_e64 s[0:1], 0, v[24:25]
	s_and_b64 s[2:3], s[0:1], vcc
	v_add_u32_e32 v27, v35, v40
	s_and_saveexec_b64 s[0:1], s[2:3]
; %bb.118:
	v_bcnt_u32_b32 v1, v24, 0
	v_bcnt_u32_b32 v1, v25, v1
	ds_write_b32 v27, v1 offset:64
; %bb.119:
	s_or_b64 exec, exec, s[0:1]
	s_waitcnt vmcnt(6)
	v_lshrrev_b64 v[24:25], s52, v[8:9]
	v_and_b32_e32 v28, s14, v24
	v_and_b32_e32 v22, 1, v28
	v_lshl_add_u64 v[24:25], v[22:23], 0, -1
	v_cmp_ne_u32_e32 vcc, 0, v22
	v_mul_lo_u32 v1, v28, s12
	v_add_u32_e32 v30, v35, v1
	v_xor_b32_e32 v24, vcc_lo, v24
	v_xor_b32_e32 v22, vcc_hi, v25
	v_and_b32_e32 v29, exec_lo, v24
	v_lshlrev_b32_e32 v25, 30, v28
	v_mov_b32_e32 v24, v23
	v_cmp_gt_i64_e32 vcc, 0, v[24:25]
	v_not_b32_e32 v24, v25
	v_ashrrev_i32_e32 v24, 31, v24
	v_and_b32_e32 v22, exec_hi, v22
	v_xor_b32_e32 v25, vcc_hi, v24
	v_xor_b32_e32 v24, vcc_lo, v24
	v_and_b32_e32 v22, v22, v25
	v_and_b32_e32 v29, v29, v24
	v_lshlrev_b32_e32 v25, 29, v28
	v_mov_b32_e32 v24, v23
	v_cmp_gt_i64_e32 vcc, 0, v[24:25]
	v_not_b32_e32 v24, v25
	v_ashrrev_i32_e32 v24, 31, v24
	v_xor_b32_e32 v25, vcc_hi, v24
	v_xor_b32_e32 v24, vcc_lo, v24
	v_and_b32_e32 v22, v22, v25
	v_and_b32_e32 v29, v29, v24
	v_lshlrev_b32_e32 v25, 28, v28
	v_mov_b32_e32 v24, v23
	v_cmp_gt_i64_e32 vcc, 0, v[24:25]
	v_not_b32_e32 v24, v25
	v_ashrrev_i32_e32 v24, 31, v24
	;; [unrolled: 9-line block ×5, first 2 shown]
	v_xor_b32_e32 v25, vcc_hi, v24
	v_xor_b32_e32 v24, vcc_lo, v24
	v_and_b32_e32 v22, v22, v25
	v_lshlrev_b32_e32 v25, 24, v28
	v_and_b32_e32 v29, v29, v24
	v_mov_b32_e32 v24, v23
	v_not_b32_e32 v23, v25
	v_cmp_gt_i64_e32 vcc, 0, v[24:25]
	v_ashrrev_i32_e32 v23, 31, v23
	s_nop 0
	v_xor_b32_e32 v24, vcc_hi, v23
	v_xor_b32_e32 v25, vcc_lo, v23
	; wave barrier
	ds_read_b32 v1, v30 offset:64
	v_and_b32_e32 v23, v22, v24
	v_and_b32_e32 v22, v29, v25
	v_mbcnt_lo_u32_b32 v24, v22, 0
	v_mbcnt_hi_u32_b32 v28, v23, v24
	v_cmp_eq_u32_e32 vcc, 0, v28
	v_cmp_ne_u64_e64 s[0:1], 0, v[22:23]
	s_and_b64 s[2:3], s[0:1], vcc
	; wave barrier
	s_and_saveexec_b64 s[0:1], s[2:3]
	s_cbranch_execz .LBB565_121
; %bb.120:
	v_bcnt_u32_b32 v22, v22, 0
	v_bcnt_u32_b32 v22, v23, v22
	s_waitcnt lgkmcnt(0)
	v_add_u32_e32 v22, v1, v22
	ds_write_b32 v30, v22 offset:64
.LBB565_121:
	s_or_b64 exec, exec, s[0:1]
	s_waitcnt vmcnt(5)
	v_lshrrev_b64 v[22:23], s52, v[10:11]
	v_and_b32_e32 v31, s14, v22
	s_movk_i32 s2, 0x44
	v_mul_lo_u32 v22, v31, s2
	v_add_u32_e32 v33, v35, v22
	v_and_b32_e32 v22, 1, v31
	v_mov_b32_e32 v23, 0
	v_lshl_add_u64 v[24:25], v[22:23], 0, -1
	v_cmp_ne_u32_e32 vcc, 0, v22
	; wave barrier
	s_nop 1
	v_xor_b32_e32 v24, vcc_lo, v24
	v_xor_b32_e32 v22, vcc_hi, v25
	v_and_b32_e32 v32, exec_lo, v24
	v_lshlrev_b32_e32 v25, 30, v31
	v_mov_b32_e32 v24, v23
	v_cmp_gt_i64_e32 vcc, 0, v[24:25]
	v_not_b32_e32 v24, v25
	v_ashrrev_i32_e32 v24, 31, v24
	v_and_b32_e32 v22, exec_hi, v22
	v_xor_b32_e32 v25, vcc_hi, v24
	v_xor_b32_e32 v24, vcc_lo, v24
	v_and_b32_e32 v22, v22, v25
	v_and_b32_e32 v32, v32, v24
	v_lshlrev_b32_e32 v25, 29, v31
	v_mov_b32_e32 v24, v23
	v_cmp_gt_i64_e32 vcc, 0, v[24:25]
	v_not_b32_e32 v24, v25
	v_ashrrev_i32_e32 v24, 31, v24
	v_xor_b32_e32 v25, vcc_hi, v24
	v_xor_b32_e32 v24, vcc_lo, v24
	v_and_b32_e32 v22, v22, v25
	v_and_b32_e32 v32, v32, v24
	v_lshlrev_b32_e32 v25, 28, v31
	v_mov_b32_e32 v24, v23
	v_cmp_gt_i64_e32 vcc, 0, v[24:25]
	v_not_b32_e32 v24, v25
	v_ashrrev_i32_e32 v24, 31, v24
	;; [unrolled: 9-line block ×6, first 2 shown]
	v_xor_b32_e32 v25, vcc_hi, v24
	v_xor_b32_e32 v24, vcc_lo, v24
	ds_read_b32 v29, v33 offset:64
	v_and_b32_e32 v24, v32, v24
	v_and_b32_e32 v25, v22, v25
	v_mbcnt_lo_u32_b32 v22, v24, 0
	v_mbcnt_hi_u32_b32 v31, v25, v22
	v_cmp_eq_u32_e32 vcc, 0, v31
	v_cmp_ne_u64_e64 s[0:1], 0, v[24:25]
	s_and_b64 s[6:7], s[0:1], vcc
	; wave barrier
	s_and_saveexec_b64 s[0:1], s[6:7]
	s_cbranch_execz .LBB565_123
; %bb.122:
	v_bcnt_u32_b32 v22, v24, 0
	v_bcnt_u32_b32 v22, v25, v22
	s_waitcnt lgkmcnt(0)
	v_add_u32_e32 v22, v29, v22
	ds_write_b32 v33, v22 offset:64
.LBB565_123:
	s_or_b64 exec, exec, s[0:1]
	s_waitcnt vmcnt(4)
	v_lshrrev_b64 v[24:25], s52, v[12:13]
	v_and_b32_e32 v34, s14, v24
	v_mul_lo_u32 v22, v34, s2
	v_add_u32_e32 v37, v35, v22
	v_and_b32_e32 v22, 1, v34
	v_lshl_add_u64 v[24:25], v[22:23], 0, -1
	v_cmp_ne_u32_e32 vcc, 0, v22
	; wave barrier
	s_nop 1
	v_xor_b32_e32 v24, vcc_lo, v24
	v_xor_b32_e32 v22, vcc_hi, v25
	v_and_b32_e32 v36, exec_lo, v24
	v_lshlrev_b32_e32 v25, 30, v34
	v_mov_b32_e32 v24, v23
	v_cmp_gt_i64_e32 vcc, 0, v[24:25]
	v_not_b32_e32 v24, v25
	v_ashrrev_i32_e32 v24, 31, v24
	v_and_b32_e32 v22, exec_hi, v22
	v_xor_b32_e32 v25, vcc_hi, v24
	v_xor_b32_e32 v24, vcc_lo, v24
	v_and_b32_e32 v22, v22, v25
	v_and_b32_e32 v36, v36, v24
	v_lshlrev_b32_e32 v25, 29, v34
	v_mov_b32_e32 v24, v23
	v_cmp_gt_i64_e32 vcc, 0, v[24:25]
	v_not_b32_e32 v24, v25
	v_ashrrev_i32_e32 v24, 31, v24
	v_xor_b32_e32 v25, vcc_hi, v24
	v_xor_b32_e32 v24, vcc_lo, v24
	v_and_b32_e32 v22, v22, v25
	v_and_b32_e32 v36, v36, v24
	v_lshlrev_b32_e32 v25, 28, v34
	v_mov_b32_e32 v24, v23
	v_cmp_gt_i64_e32 vcc, 0, v[24:25]
	v_not_b32_e32 v24, v25
	v_ashrrev_i32_e32 v24, 31, v24
	;; [unrolled: 9-line block ×5, first 2 shown]
	v_xor_b32_e32 v25, vcc_hi, v24
	v_xor_b32_e32 v24, vcc_lo, v24
	v_and_b32_e32 v22, v22, v25
	v_lshlrev_b32_e32 v25, 24, v34
	v_and_b32_e32 v36, v36, v24
	v_mov_b32_e32 v24, v23
	v_not_b32_e32 v23, v25
	v_cmp_gt_i64_e32 vcc, 0, v[24:25]
	v_ashrrev_i32_e32 v23, 31, v23
	ds_read_b32 v32, v37 offset:64
	v_xor_b32_e32 v24, vcc_hi, v23
	v_xor_b32_e32 v25, vcc_lo, v23
	v_and_b32_e32 v23, v22, v24
	v_and_b32_e32 v22, v36, v25
	v_mbcnt_lo_u32_b32 v24, v22, 0
	v_mbcnt_hi_u32_b32 v34, v23, v24
	v_cmp_eq_u32_e32 vcc, 0, v34
	v_cmp_ne_u64_e64 s[0:1], 0, v[22:23]
	s_and_b64 s[2:3], s[0:1], vcc
	; wave barrier
	s_and_saveexec_b64 s[0:1], s[2:3]
	s_cbranch_execz .LBB565_125
; %bb.124:
	v_bcnt_u32_b32 v22, v22, 0
	v_bcnt_u32_b32 v22, v23, v22
	s_waitcnt lgkmcnt(0)
	v_add_u32_e32 v22, v32, v22
	ds_write_b32 v37, v22 offset:64
.LBB565_125:
	s_or_b64 exec, exec, s[0:1]
	s_waitcnt vmcnt(3)
	v_lshrrev_b64 v[22:23], s52, v[14:15]
	v_and_b32_e32 v38, s14, v22
	s_movk_i32 s2, 0x44
	v_mul_lo_u32 v22, v38, s2
	v_add_u32_e32 v40, v35, v22
	v_and_b32_e32 v22, 1, v38
	v_mov_b32_e32 v23, 0
	v_lshl_add_u64 v[24:25], v[22:23], 0, -1
	v_cmp_ne_u32_e32 vcc, 0, v22
	; wave barrier
	s_nop 1
	v_xor_b32_e32 v24, vcc_lo, v24
	v_xor_b32_e32 v22, vcc_hi, v25
	v_and_b32_e32 v39, exec_lo, v24
	v_lshlrev_b32_e32 v25, 30, v38
	v_mov_b32_e32 v24, v23
	v_cmp_gt_i64_e32 vcc, 0, v[24:25]
	v_not_b32_e32 v24, v25
	v_ashrrev_i32_e32 v24, 31, v24
	v_and_b32_e32 v22, exec_hi, v22
	v_xor_b32_e32 v25, vcc_hi, v24
	v_xor_b32_e32 v24, vcc_lo, v24
	v_and_b32_e32 v22, v22, v25
	v_and_b32_e32 v39, v39, v24
	v_lshlrev_b32_e32 v25, 29, v38
	v_mov_b32_e32 v24, v23
	v_cmp_gt_i64_e32 vcc, 0, v[24:25]
	v_not_b32_e32 v24, v25
	v_ashrrev_i32_e32 v24, 31, v24
	v_xor_b32_e32 v25, vcc_hi, v24
	v_xor_b32_e32 v24, vcc_lo, v24
	v_and_b32_e32 v22, v22, v25
	v_and_b32_e32 v39, v39, v24
	v_lshlrev_b32_e32 v25, 28, v38
	v_mov_b32_e32 v24, v23
	v_cmp_gt_i64_e32 vcc, 0, v[24:25]
	v_not_b32_e32 v24, v25
	v_ashrrev_i32_e32 v24, 31, v24
	;; [unrolled: 9-line block ×6, first 2 shown]
	v_xor_b32_e32 v25, vcc_hi, v24
	v_xor_b32_e32 v24, vcc_lo, v24
	ds_read_b32 v36, v40 offset:64
	v_and_b32_e32 v24, v39, v24
	v_and_b32_e32 v25, v22, v25
	v_mbcnt_lo_u32_b32 v22, v24, 0
	v_mbcnt_hi_u32_b32 v38, v25, v22
	v_cmp_eq_u32_e32 vcc, 0, v38
	v_cmp_ne_u64_e64 s[0:1], 0, v[24:25]
	s_and_b64 s[6:7], s[0:1], vcc
	; wave barrier
	s_and_saveexec_b64 s[0:1], s[6:7]
	s_cbranch_execz .LBB565_127
; %bb.126:
	v_bcnt_u32_b32 v22, v24, 0
	v_bcnt_u32_b32 v22, v25, v22
	s_waitcnt lgkmcnt(0)
	v_add_u32_e32 v22, v36, v22
	ds_write_b32 v40, v22 offset:64
.LBB565_127:
	s_or_b64 exec, exec, s[0:1]
	s_waitcnt vmcnt(2)
	v_lshrrev_b64 v[24:25], s52, v[16:17]
	v_and_b32_e32 v41, s14, v24
	v_mul_lo_u32 v22, v41, s2
	v_add_u32_e32 v43, v35, v22
	v_and_b32_e32 v22, 1, v41
	v_lshl_add_u64 v[24:25], v[22:23], 0, -1
	v_cmp_ne_u32_e32 vcc, 0, v22
	; wave barrier
	s_nop 1
	v_xor_b32_e32 v24, vcc_lo, v24
	v_xor_b32_e32 v22, vcc_hi, v25
	v_and_b32_e32 v42, exec_lo, v24
	v_lshlrev_b32_e32 v25, 30, v41
	v_mov_b32_e32 v24, v23
	v_cmp_gt_i64_e32 vcc, 0, v[24:25]
	v_not_b32_e32 v24, v25
	v_ashrrev_i32_e32 v24, 31, v24
	v_and_b32_e32 v22, exec_hi, v22
	v_xor_b32_e32 v25, vcc_hi, v24
	v_xor_b32_e32 v24, vcc_lo, v24
	v_and_b32_e32 v22, v22, v25
	v_and_b32_e32 v42, v42, v24
	v_lshlrev_b32_e32 v25, 29, v41
	v_mov_b32_e32 v24, v23
	v_cmp_gt_i64_e32 vcc, 0, v[24:25]
	v_not_b32_e32 v24, v25
	v_ashrrev_i32_e32 v24, 31, v24
	v_xor_b32_e32 v25, vcc_hi, v24
	v_xor_b32_e32 v24, vcc_lo, v24
	v_and_b32_e32 v22, v22, v25
	v_and_b32_e32 v42, v42, v24
	v_lshlrev_b32_e32 v25, 28, v41
	v_mov_b32_e32 v24, v23
	v_cmp_gt_i64_e32 vcc, 0, v[24:25]
	v_not_b32_e32 v24, v25
	v_ashrrev_i32_e32 v24, 31, v24
	;; [unrolled: 9-line block ×5, first 2 shown]
	v_xor_b32_e32 v25, vcc_hi, v24
	v_xor_b32_e32 v24, vcc_lo, v24
	v_and_b32_e32 v22, v22, v25
	v_lshlrev_b32_e32 v25, 24, v41
	v_and_b32_e32 v42, v42, v24
	v_mov_b32_e32 v24, v23
	v_not_b32_e32 v23, v25
	v_cmp_gt_i64_e32 vcc, 0, v[24:25]
	v_ashrrev_i32_e32 v23, 31, v23
	ds_read_b32 v39, v43 offset:64
	v_xor_b32_e32 v24, vcc_hi, v23
	v_xor_b32_e32 v25, vcc_lo, v23
	v_and_b32_e32 v23, v22, v24
	v_and_b32_e32 v22, v42, v25
	v_mbcnt_lo_u32_b32 v24, v22, 0
	v_mbcnt_hi_u32_b32 v41, v23, v24
	v_cmp_eq_u32_e32 vcc, 0, v41
	v_cmp_ne_u64_e64 s[0:1], 0, v[22:23]
	s_and_b64 s[2:3], s[0:1], vcc
	; wave barrier
	s_and_saveexec_b64 s[0:1], s[2:3]
	s_cbranch_execz .LBB565_129
; %bb.128:
	v_bcnt_u32_b32 v22, v22, 0
	v_bcnt_u32_b32 v22, v23, v22
	s_waitcnt lgkmcnt(0)
	v_add_u32_e32 v22, v39, v22
	ds_write_b32 v43, v22 offset:64
.LBB565_129:
	s_or_b64 exec, exec, s[0:1]
	s_waitcnt vmcnt(1)
	v_lshrrev_b64 v[22:23], s52, v[18:19]
	v_and_b32_e32 v44, s14, v22
	s_movk_i32 s2, 0x44
	v_mul_lo_u32 v22, v44, s2
	v_add_u32_e32 v46, v35, v22
	v_and_b32_e32 v22, 1, v44
	v_mov_b32_e32 v23, 0
	v_lshl_add_u64 v[24:25], v[22:23], 0, -1
	v_cmp_ne_u32_e32 vcc, 0, v22
	; wave barrier
	s_nop 1
	v_xor_b32_e32 v24, vcc_lo, v24
	v_xor_b32_e32 v22, vcc_hi, v25
	v_and_b32_e32 v45, exec_lo, v24
	v_lshlrev_b32_e32 v25, 30, v44
	v_mov_b32_e32 v24, v23
	v_cmp_gt_i64_e32 vcc, 0, v[24:25]
	v_not_b32_e32 v24, v25
	v_ashrrev_i32_e32 v24, 31, v24
	v_and_b32_e32 v22, exec_hi, v22
	v_xor_b32_e32 v25, vcc_hi, v24
	v_xor_b32_e32 v24, vcc_lo, v24
	v_and_b32_e32 v22, v22, v25
	v_and_b32_e32 v45, v45, v24
	v_lshlrev_b32_e32 v25, 29, v44
	v_mov_b32_e32 v24, v23
	v_cmp_gt_i64_e32 vcc, 0, v[24:25]
	v_not_b32_e32 v24, v25
	v_ashrrev_i32_e32 v24, 31, v24
	v_xor_b32_e32 v25, vcc_hi, v24
	v_xor_b32_e32 v24, vcc_lo, v24
	v_and_b32_e32 v22, v22, v25
	v_and_b32_e32 v45, v45, v24
	v_lshlrev_b32_e32 v25, 28, v44
	v_mov_b32_e32 v24, v23
	v_cmp_gt_i64_e32 vcc, 0, v[24:25]
	v_not_b32_e32 v24, v25
	v_ashrrev_i32_e32 v24, 31, v24
	;; [unrolled: 9-line block ×6, first 2 shown]
	v_xor_b32_e32 v25, vcc_hi, v24
	v_xor_b32_e32 v24, vcc_lo, v24
	ds_read_b32 v42, v46 offset:64
	v_and_b32_e32 v24, v45, v24
	v_and_b32_e32 v25, v22, v25
	v_mbcnt_lo_u32_b32 v22, v24, 0
	v_mbcnt_hi_u32_b32 v44, v25, v22
	v_cmp_eq_u32_e32 vcc, 0, v44
	v_cmp_ne_u64_e64 s[0:1], 0, v[24:25]
	s_and_b64 s[6:7], s[0:1], vcc
	; wave barrier
	s_and_saveexec_b64 s[0:1], s[6:7]
	s_cbranch_execz .LBB565_131
; %bb.130:
	v_bcnt_u32_b32 v22, v24, 0
	v_bcnt_u32_b32 v22, v25, v22
	s_waitcnt lgkmcnt(0)
	v_add_u32_e32 v22, v42, v22
	ds_write_b32 v46, v22 offset:64
.LBB565_131:
	s_or_b64 exec, exec, s[0:1]
	s_waitcnt vmcnt(0)
	v_lshrrev_b64 v[24:25], s52, v[20:21]
	v_and_b32_e32 v47, s14, v24
	v_mul_lo_u32 v22, v47, s2
	v_add_u32_e32 v48, v35, v22
	v_and_b32_e32 v22, 1, v47
	v_lshl_add_u64 v[24:25], v[22:23], 0, -1
	v_cmp_ne_u32_e32 vcc, 0, v22
	; wave barrier
	s_nop 1
	v_xor_b32_e32 v24, vcc_lo, v24
	v_xor_b32_e32 v22, vcc_hi, v25
	v_and_b32_e32 v35, exec_lo, v24
	v_lshlrev_b32_e32 v25, 30, v47
	v_mov_b32_e32 v24, v23
	v_cmp_gt_i64_e32 vcc, 0, v[24:25]
	v_not_b32_e32 v24, v25
	v_ashrrev_i32_e32 v24, 31, v24
	v_and_b32_e32 v22, exec_hi, v22
	v_xor_b32_e32 v25, vcc_hi, v24
	v_xor_b32_e32 v24, vcc_lo, v24
	v_and_b32_e32 v22, v22, v25
	v_and_b32_e32 v35, v35, v24
	v_lshlrev_b32_e32 v25, 29, v47
	v_mov_b32_e32 v24, v23
	v_cmp_gt_i64_e32 vcc, 0, v[24:25]
	v_not_b32_e32 v24, v25
	v_ashrrev_i32_e32 v24, 31, v24
	v_xor_b32_e32 v25, vcc_hi, v24
	v_xor_b32_e32 v24, vcc_lo, v24
	v_and_b32_e32 v22, v22, v25
	v_and_b32_e32 v35, v35, v24
	v_lshlrev_b32_e32 v25, 28, v47
	v_mov_b32_e32 v24, v23
	v_cmp_gt_i64_e32 vcc, 0, v[24:25]
	v_not_b32_e32 v24, v25
	v_ashrrev_i32_e32 v24, 31, v24
	;; [unrolled: 9-line block ×5, first 2 shown]
	v_xor_b32_e32 v25, vcc_hi, v24
	v_xor_b32_e32 v24, vcc_lo, v24
	v_and_b32_e32 v22, v22, v25
	v_lshlrev_b32_e32 v25, 24, v47
	v_and_b32_e32 v35, v35, v24
	v_mov_b32_e32 v24, v23
	v_not_b32_e32 v23, v25
	v_cmp_gt_i64_e32 vcc, 0, v[24:25]
	v_ashrrev_i32_e32 v23, 31, v23
	ds_read_b32 v45, v48 offset:64
	v_xor_b32_e32 v24, vcc_hi, v23
	v_xor_b32_e32 v25, vcc_lo, v23
	v_and_b32_e32 v23, v22, v24
	v_and_b32_e32 v22, v35, v25
	v_mbcnt_lo_u32_b32 v24, v22, 0
	v_mbcnt_hi_u32_b32 v47, v23, v24
	v_cmp_eq_u32_e32 vcc, 0, v47
	v_cmp_ne_u64_e64 s[0:1], 0, v[22:23]
	s_and_b64 s[2:3], s[0:1], vcc
	; wave barrier
	s_and_saveexec_b64 s[0:1], s[2:3]
	s_cbranch_execz .LBB565_133
; %bb.132:
	v_bcnt_u32_b32 v22, v22, 0
	v_bcnt_u32_b32 v22, v23, v22
	s_waitcnt lgkmcnt(0)
	v_add_u32_e32 v22, v45, v22
	ds_write_b32 v48, v22 offset:64
.LBB565_133:
	s_or_b64 exec, exec, s[0:1]
	; wave barrier
	s_waitcnt lgkmcnt(0)
	s_barrier
	ds_read2_b32 v[24:25], v5 offset0:16 offset1:17
	ds_read2_b32 v[22:23], v5 offset0:18 offset1:19
	ds_read_b32 v35, v5 offset:80
	v_cmp_lt_u32_e64 s[8:9], 31, v26
	s_waitcnt lgkmcnt(1)
	v_add3_u32 v49, v25, v24, v22
	s_waitcnt lgkmcnt(0)
	v_add3_u32 v35, v49, v23, v35
	v_and_b32_e32 v49, 15, v26
	v_cmp_eq_u32_e32 vcc, 0, v49
	v_mov_b32_dpp v50, v35 row_shr:1 row_mask:0xf bank_mask:0xf
	v_cmp_lt_u32_e64 s[0:1], 1, v49
	v_cndmask_b32_e64 v50, v50, 0, vcc
	v_add_u32_e32 v35, v50, v35
	v_cmp_lt_u32_e64 s[2:3], 3, v49
	v_cmp_lt_u32_e64 s[6:7], 7, v49
	v_mov_b32_dpp v50, v35 row_shr:2 row_mask:0xf bank_mask:0xf
	v_cndmask_b32_e64 v50, 0, v50, s[0:1]
	v_add_u32_e32 v35, v35, v50
	s_nop 1
	v_mov_b32_dpp v50, v35 row_shr:4 row_mask:0xf bank_mask:0xf
	v_cndmask_b32_e64 v50, 0, v50, s[2:3]
	v_add_u32_e32 v35, v35, v50
	s_nop 1
	v_mov_b32_dpp v50, v35 row_shr:8 row_mask:0xf bank_mask:0xf
	v_cndmask_b32_e64 v49, 0, v50, s[6:7]
	v_add_u32_e32 v35, v35, v49
	v_bfe_i32 v50, v26, 4, 1
	s_nop 0
	v_mov_b32_dpp v49, v35 row_bcast:15 row_mask:0xf bank_mask:0xf
	v_and_b32_e32 v49, v50, v49
	v_add_u32_e32 v35, v35, v49
	v_lshrrev_b32_e32 v50, 6, v2
	s_nop 0
	v_mov_b32_dpp v49, v35 row_bcast:31 row_mask:0xf bank_mask:0xf
	v_cndmask_b32_e64 v49, 0, v49, s[8:9]
	v_add_u32_e32 v49, v35, v49
	v_and_b32_e32 v35, 63, v2
	v_cmp_eq_u32_e64 s[8:9], 63, v35
	s_and_saveexec_b64 s[12:13], s[8:9]
; %bb.134:
	v_lshlrev_b32_e32 v35, 2, v50
	ds_write_b32 v35, v49
; %bb.135:
	s_or_b64 exec, exec, s[12:13]
	v_cmp_gt_u32_e64 s[8:9], 16, v2
	v_lshlrev_b32_e32 v35, 2, v2
	s_waitcnt lgkmcnt(0)
	s_barrier
	s_and_saveexec_b64 s[12:13], s[8:9]
	s_cbranch_execz .LBB565_137
; %bb.136:
	ds_read_b32 v51, v35
	s_waitcnt lgkmcnt(0)
	s_nop 0
	v_mov_b32_dpp v52, v51 row_shr:1 row_mask:0xf bank_mask:0xf
	v_cndmask_b32_e64 v52, v52, 0, vcc
	v_add_u32_e32 v51, v52, v51
	s_nop 1
	v_mov_b32_dpp v52, v51 row_shr:2 row_mask:0xf bank_mask:0xf
	v_cndmask_b32_e64 v52, 0, v52, s[0:1]
	v_add_u32_e32 v51, v51, v52
	s_nop 1
	v_mov_b32_dpp v52, v51 row_shr:4 row_mask:0xf bank_mask:0xf
	v_cndmask_b32_e64 v52, 0, v52, s[2:3]
	;; [unrolled: 4-line block ×3, first 2 shown]
	v_add_u32_e32 v51, v51, v52
	ds_write_b32 v35, v51
.LBB565_137:
	s_or_b64 exec, exec, s[12:13]
	v_cmp_lt_u32_e32 vcc, 63, v2
	v_mov_b32_e32 v51, 0
	s_waitcnt lgkmcnt(0)
	s_barrier
	s_and_saveexec_b64 s[0:1], vcc
; %bb.138:
	v_lshl_add_u32 v50, v50, 2, -4
	ds_read_b32 v51, v50
; %bb.139:
	s_or_b64 exec, exec, s[0:1]
	v_subrev_co_u32_e32 v50, vcc, 1, v26
	v_and_b32_e32 v52, 64, v26
	v_cmp_lt_i32_e64 s[0:1], v50, v52
	s_waitcnt lgkmcnt(0)
	v_add_u32_e32 v49, v51, v49
	s_movk_i32 s2, 0x100
	v_cndmask_b32_e64 v26, v50, v26, s[0:1]
	v_lshlrev_b32_e32 v26, 2, v26
	ds_bpermute_b32 v26, v26, v49
	s_movk_i32 s0, 0xff
	s_waitcnt lgkmcnt(0)
	v_cndmask_b32_e32 v26, v26, v51, vcc
	v_cmp_ne_u32_e32 vcc, 0, v2
	s_nop 1
	v_cndmask_b32_e32 v26, 0, v26, vcc
	v_add_u32_e32 v24, v26, v24
	v_add_u32_e32 v25, v24, v25
	;; [unrolled: 1-line block ×4, first 2 shown]
	ds_write2_b32 v5, v26, v24 offset0:16 offset1:17
	ds_write2_b32 v5, v25, v22 offset0:18 offset1:19
	ds_write_b32 v5, v23 offset:80
	s_waitcnt lgkmcnt(0)
	s_barrier
	ds_read_b32 v52, v27 offset:64
	ds_read_b32 v5, v30 offset:64
	;; [unrolled: 1-line block ×8, first 2 shown]
	v_cmp_lt_u32_e32 vcc, s0, v2
	v_cmp_gt_u32_e64 s[0:1], s2, v2
                                        ; implicit-def: $vgpr30
                                        ; implicit-def: $vgpr33
	s_and_saveexec_b64 s[6:7], s[0:1]
	s_cbranch_execz .LBB565_143
; %bb.140:
	v_mul_u32_u24_e32 v22, 0x44, v2
	ds_read_b32 v30, v22 offset:64
	v_add_u32_e32 v23, 1, v2
	v_cmp_ne_u32_e64 s[2:3], s2, v23
	v_mov_b32_e32 v22, 0x2000
	s_and_saveexec_b64 s[8:9], s[2:3]
; %bb.141:
	v_mul_u32_u24_e32 v22, 0x44, v23
	ds_read_b32 v22, v22 offset:64
; %bb.142:
	s_or_b64 exec, exec, s[8:9]
	s_waitcnt lgkmcnt(0)
	v_sub_u32_e32 v33, v22, v30
.LBB565_143:
	s_or_b64 exec, exec, s[6:7]
	v_mov_b32_e32 v23, 0
	s_waitcnt lgkmcnt(0)
	s_barrier
	s_and_saveexec_b64 s[2:3], s[0:1]
	s_cbranch_execz .LBB565_153
; %bb.144:
	v_lshl_add_u32 v22, s4, 8, v2
	v_lshl_add_u64 v[24:25], v[22:23], 2, s[38:39]
	v_or_b32_e32 v22, 2.0, v33
	s_mov_b64 s[6:7], 0
	s_brev_b32 s15, -4
	s_mov_b32 s16, s4
	v_mov_b32_e32 v46, 0
	global_store_dword v[24:25], v22, off sc1
                                        ; implicit-def: $sgpr0_sgpr1
	s_branch .LBB565_147
.LBB565_145:                            ;   in Loop: Header=BB565_147 Depth=1
	s_or_b64 exec, exec, s[12:13]
.LBB565_146:                            ;   in Loop: Header=BB565_147 Depth=1
	s_or_b64 exec, exec, s[8:9]
	v_and_b32_e32 v26, 0x3fffffff, v22
	v_add_u32_e32 v46, v26, v46
	v_cmp_gt_i32_e64 s[0:1], -2.0, v22
	s_and_b64 s[8:9], exec, s[0:1]
	s_or_b64 s[6:7], s[8:9], s[6:7]
	s_andn2_b64 exec, exec, s[6:7]
	s_cbranch_execz .LBB565_152
.LBB565_147:                            ; =>This Loop Header: Depth=1
                                        ;     Child Loop BB565_150 Depth 2
	s_or_b64 s[0:1], s[0:1], exec
	s_cmp_eq_u32 s16, 0
	s_cbranch_scc1 .LBB565_151
; %bb.148:                              ;   in Loop: Header=BB565_147 Depth=1
	s_add_i32 s16, s16, -1
	v_lshl_or_b32 v22, s16, 8, v2
	v_lshl_add_u64 v[26:27], v[22:23], 2, s[38:39]
	global_load_dword v22, v[26:27], off sc1
	s_waitcnt vmcnt(0)
	v_cmp_gt_u32_e64 s[0:1], 2.0, v22
	s_and_saveexec_b64 s[8:9], s[0:1]
	s_cbranch_execz .LBB565_146
; %bb.149:                              ;   in Loop: Header=BB565_147 Depth=1
	s_mov_b64 s[12:13], 0
.LBB565_150:                            ;   Parent Loop BB565_147 Depth=1
                                        ; =>  This Inner Loop Header: Depth=2
	global_load_dword v22, v[26:27], off sc1
	s_waitcnt vmcnt(0)
	v_cmp_lt_u32_e64 s[0:1], s15, v22
	s_or_b64 s[12:13], s[0:1], s[12:13]
	s_andn2_b64 exec, exec, s[12:13]
	s_cbranch_execnz .LBB565_150
	s_branch .LBB565_145
.LBB565_151:                            ;   in Loop: Header=BB565_147 Depth=1
                                        ; implicit-def: $sgpr16
	s_and_b64 s[8:9], exec, s[0:1]
	s_or_b64 s[6:7], s[8:9], s[6:7]
	s_andn2_b64 exec, exec, s[6:7]
	s_cbranch_execnz .LBB565_147
.LBB565_152:
	s_or_b64 exec, exec, s[6:7]
	v_add_u32_e32 v22, v46, v33
	v_or_b32_e32 v22, 0x80000000, v22
	global_store_dword v[24:25], v22, off sc1
	global_load_dword v22, v35, s[48:49]
	v_sub_u32_e32 v23, v46, v30
	s_waitcnt vmcnt(0)
	v_add_u32_e32 v22, v23, v22
	ds_write_b32 v35, v22
.LBB565_153:
	s_or_b64 exec, exec, s[2:3]
	v_add_u32_e32 v3, v52, v3
	v_add3_u32 v22, v28, v1, v5
	v_add3_u32 v23, v31, v29, v49
	;; [unrolled: 1-line block ×7, first 2 shown]
	v_mov_b32_e32 v53, 0x400
	s_mov_b32 s6, s52
	s_mov_b32 s7, s14
	s_movk_i32 s8, 0x400
	v_lshl_add_u32 v24, v24, 3, v53
	v_add3_u32 v25, v47, v43, v45
	v_lshl_add_u32 v26, v26, 3, v53
	v_add3_u32 v27, v44, v37, v42
	;; [unrolled: 2-line block ×7, first 2 shown]
	v_lshl_add_u32 v41, v3, 3, v53
	s_mov_b32 s9, 0
	s_mov_b32 s12, 0
	s_movk_i32 s13, 0x800
	v_add_u32_e32 v42, v35, v35
	v_mov_b32_e32 v23, 0
	v_mov_b32_e32 v1, v2
	s_mov_b32 s15, 0
	s_branch .LBB565_155
.LBB565_154:                            ;   in Loop: Header=BB565_155 Depth=1
	s_or_b64 exec, exec, s[2:3]
	s_waitcnt lgkmcnt(0)
	s_barrier
	ds_read2st64_b64 v[44:47], v42 offset0:2 offset1:18
	s_addk_i32 s15, 0xc000
	s_addk_i32 s12, 0xf800
	s_waitcnt lgkmcnt(0)
	v_lshrrev_b64 v[48:49], s52, v[44:45]
	v_lshrrev_b64 v[50:51], s6, v[46:47]
	v_and_b32_e32 v48, s14, v48
	v_and_b32_e32 v49, s7, v50
	v_lshlrev_b32_e32 v5, 2, v48
	ds_read_b32 v5, v5
	v_lshlrev_b32_e32 v22, 2, v49
	ds_read_b32 v43, v22
	s_waitcnt lgkmcnt(1)
	v_add_u32_e32 v22, v1, v5
	v_lshl_add_u64 v[50:51], v[22:23], 3, s[42:43]
	s_waitcnt lgkmcnt(0)
	v_add3_u32 v22, v1, v43, s8
	global_store_dwordx2 v[50:51], v[44:45], off
	v_lshl_add_u64 v[44:45], v[22:23], 3, s[42:43]
	global_store_dwordx2 v[44:45], v[46:47], off
	scratch_store_dwordx2 off, v[48:49], s9
	s_add_i32 s9, s9, 8
	s_cmp_eq_u32 s15, 0xffff0000
	v_add_u32_e32 v1, 0x800, v1
	s_barrier
	s_cbranch_scc1 .LBB565_171
.LBB565_155:                            ; =>This Inner Loop Header: Depth=1
	v_add_u32_e32 v5, s12, v3
	v_cmp_gt_u32_e64 s[0:1], s13, v5
	s_and_saveexec_b64 s[2:3], s[0:1]
; %bb.156:                              ;   in Loop: Header=BB565_155 Depth=1
	v_add_u32_e32 v5, s15, v41
	ds_write_b64 v5, v[6:7]
; %bb.157:                              ;   in Loop: Header=BB565_155 Depth=1
	s_or_b64 exec, exec, s[2:3]
	v_add_u32_e32 v5, s12, v28
	v_cmp_gt_u32_e64 s[0:1], s13, v5
	s_and_saveexec_b64 s[2:3], s[0:1]
; %bb.158:                              ;   in Loop: Header=BB565_155 Depth=1
	v_add_u32_e32 v5, s15, v31
	ds_write_b64 v5, v[8:9]
; %bb.159:                              ;   in Loop: Header=BB565_155 Depth=1
	s_or_b64 exec, exec, s[2:3]
	;; [unrolled: 8-line block ×7, first 2 shown]
	v_add_u32_e32 v5, s12, v25
	v_cmp_gt_u32_e64 s[0:1], s13, v5
	s_and_saveexec_b64 s[2:3], s[0:1]
	s_cbranch_execz .LBB565_154
; %bb.170:                              ;   in Loop: Header=BB565_155 Depth=1
	v_add_u32_e32 v5, s15, v24
	ds_write_b64 v5, v[20:21]
	s_branch .LBB565_154
.LBB565_171:
	s_add_u32 s0, s44, s10
	s_addc_u32 s1, s45, s11
	v_mov_b32_e32 v1, 0
	v_lshl_add_u64 v[6:7], s[0:1], 0, v[0:1]
	v_mov_b32_e32 v5, v1
	v_lshl_add_u64 v[20:21], v[6:7], 0, v[4:5]
	global_load_dwordx2 v[4:5], v[20:21], off
	global_load_dwordx2 v[6:7], v[20:21], off offset:512
	global_load_dwordx2 v[8:9], v[20:21], off offset:1024
	global_load_dwordx2 v[10:11], v[20:21], off offset:1536
	global_load_dwordx2 v[12:13], v[20:21], off offset:2048
	global_load_dwordx2 v[14:15], v[20:21], off offset:2560
	global_load_dwordx2 v[16:17], v[20:21], off offset:3072
	global_load_dwordx2 v[18:19], v[20:21], off offset:3584
	s_mov_b32 s6, 0
	s_mov_b32 s7, 0
	s_movk_i32 s8, 0x800
	s_movk_i32 s9, 0x400
	s_mov_b32 s10, 0
	s_branch .LBB565_173
.LBB565_172:                            ;   in Loop: Header=BB565_173 Depth=1
	s_or_b64 exec, exec, s[2:3]
	s_waitcnt lgkmcnt(0)
	s_barrier
	scratch_load_dwordx2 v[44:45], off, s6
	ds_read2st64_b64 v[20:23], v42 offset0:2 offset1:18
	s_addk_i32 s10, 0xc000
	s_addk_i32 s7, 0xf800
	s_add_i32 s6, s6, 8
	s_cmp_eq_u32 s10, 0xffff0000
	s_waitcnt vmcnt(0)
	v_lshlrev_b32_e32 v0, 2, v44
	ds_read_b32 v0, v0
	v_lshlrev_b32_e32 v43, 2, v45
	ds_read_b32 v43, v43
	s_waitcnt lgkmcnt(1)
	v_add_u32_e32 v0, v2, v0
	v_lshl_add_u64 v[44:45], v[0:1], 3, s[46:47]
	s_waitcnt lgkmcnt(0)
	v_add3_u32 v0, v2, v43, s9
	global_store_dwordx2 v[44:45], v[20:21], off
	v_lshl_add_u64 v[20:21], v[0:1], 3, s[46:47]
	v_add_u32_e32 v2, 0x800, v2
	global_store_dwordx2 v[20:21], v[22:23], off
	s_barrier
	s_cbranch_scc1 .LBB565_189
.LBB565_173:                            ; =>This Inner Loop Header: Depth=1
	v_add_u32_e32 v0, s7, v3
	v_cmp_gt_u32_e64 s[0:1], s8, v0
	s_and_saveexec_b64 s[2:3], s[0:1]
	s_cbranch_execz .LBB565_175
; %bb.174:                              ;   in Loop: Header=BB565_173 Depth=1
	v_add_u32_e32 v0, s10, v41
	s_waitcnt vmcnt(7)
	ds_write_b64 v0, v[4:5]
.LBB565_175:                            ;   in Loop: Header=BB565_173 Depth=1
	s_or_b64 exec, exec, s[2:3]
	v_add_u32_e32 v0, s7, v28
	v_cmp_gt_u32_e64 s[0:1], s8, v0
	s_and_saveexec_b64 s[2:3], s[0:1]
	s_cbranch_execz .LBB565_177
; %bb.176:                              ;   in Loop: Header=BB565_173 Depth=1
	v_add_u32_e32 v0, s10, v31
	s_waitcnt vmcnt(6)
	ds_write_b64 v0, v[6:7]
.LBB565_177:                            ;   in Loop: Header=BB565_173 Depth=1
	s_or_b64 exec, exec, s[2:3]
	;; [unrolled: 10-line block ×7, first 2 shown]
	v_add_u32_e32 v0, s7, v25
	v_cmp_gt_u32_e64 s[0:1], s8, v0
	s_and_saveexec_b64 s[2:3], s[0:1]
	s_cbranch_execz .LBB565_172
; %bb.188:                              ;   in Loop: Header=BB565_173 Depth=1
	v_add_u32_e32 v0, s10, v24
	s_waitcnt vmcnt(0)
	ds_write_b64 v0, v[18:19]
	s_branch .LBB565_172
.LBB565_189:
	s_add_i32 s5, s5, -1
	s_cmp_eq_u32 s4, s5
	s_cselect_b64 s[0:1], -1, 0
	s_xor_b64 s[2:3], vcc, -1
	s_and_b64 s[0:1], s[2:3], s[0:1]
	s_and_saveexec_b64 s[2:3], s[0:1]
	s_cbranch_execz .LBB565_191
; %bb.190:
	ds_read_b32 v0, v35
	s_waitcnt lgkmcnt(0)
	v_add3_u32 v0, v30, v33, v0
	global_store_dword v35, v0, s[50:51]
.LBB565_191:
	s_endpgm
	.section	.rodata,"a",@progbits
	.p2align	6, 0x0
	.amdhsa_kernel _ZN7rocprim17ROCPRIM_400000_NS6detail17trampoline_kernelINS0_14default_configENS1_35radix_sort_onesweep_config_selectorIyyEEZZNS1_29radix_sort_onesweep_iterationIS3_Lb0EN6thrust23THRUST_200600_302600_NS6detail15normal_iteratorINS8_10device_ptrIyEEEESD_SD_SD_jNS0_19identity_decomposerENS1_16block_id_wrapperIjLb0EEEEE10hipError_tT1_PNSt15iterator_traitsISI_E10value_typeET2_T3_PNSJ_ISO_E10value_typeET4_T5_PST_SU_PNS1_23onesweep_lookback_stateEbbT6_jjT7_P12ihipStream_tbENKUlT_T0_SI_SN_E_clISD_PySD_S15_EEDaS11_S12_SI_SN_EUlS11_E_NS1_11comp_targetILNS1_3genE6ELNS1_11target_archE950ELNS1_3gpuE13ELNS1_3repE0EEENS1_47radix_sort_onesweep_sort_config_static_selectorELNS0_4arch9wavefront6targetE1EEEvSI_
		.amdhsa_group_segment_fixed_size 53328
		.amdhsa_private_segment_fixed_size 48
		.amdhsa_kernarg_size 344
		.amdhsa_user_sgpr_count 4
		.amdhsa_user_sgpr_dispatch_ptr 1
		.amdhsa_user_sgpr_queue_ptr 0
		.amdhsa_user_sgpr_kernarg_segment_ptr 1
		.amdhsa_user_sgpr_dispatch_id 0
		.amdhsa_user_sgpr_kernarg_preload_length 0
		.amdhsa_user_sgpr_kernarg_preload_offset 0
		.amdhsa_user_sgpr_private_segment_size 0
		.amdhsa_uses_dynamic_stack 0
		.amdhsa_enable_private_segment 1
		.amdhsa_system_sgpr_workgroup_id_x 1
		.amdhsa_system_sgpr_workgroup_id_y 0
		.amdhsa_system_sgpr_workgroup_id_z 0
		.amdhsa_system_sgpr_workgroup_info 0
		.amdhsa_system_vgpr_workitem_id 2
		.amdhsa_next_free_vgpr 58
		.amdhsa_next_free_sgpr 58
		.amdhsa_accum_offset 60
		.amdhsa_reserve_vcc 1
		.amdhsa_float_round_mode_32 0
		.amdhsa_float_round_mode_16_64 0
		.amdhsa_float_denorm_mode_32 3
		.amdhsa_float_denorm_mode_16_64 3
		.amdhsa_dx10_clamp 1
		.amdhsa_ieee_mode 1
		.amdhsa_fp16_overflow 0
		.amdhsa_tg_split 0
		.amdhsa_exception_fp_ieee_invalid_op 0
		.amdhsa_exception_fp_denorm_src 0
		.amdhsa_exception_fp_ieee_div_zero 0
		.amdhsa_exception_fp_ieee_overflow 0
		.amdhsa_exception_fp_ieee_underflow 0
		.amdhsa_exception_fp_ieee_inexact 0
		.amdhsa_exception_int_div_zero 0
	.end_amdhsa_kernel
	.section	.text._ZN7rocprim17ROCPRIM_400000_NS6detail17trampoline_kernelINS0_14default_configENS1_35radix_sort_onesweep_config_selectorIyyEEZZNS1_29radix_sort_onesweep_iterationIS3_Lb0EN6thrust23THRUST_200600_302600_NS6detail15normal_iteratorINS8_10device_ptrIyEEEESD_SD_SD_jNS0_19identity_decomposerENS1_16block_id_wrapperIjLb0EEEEE10hipError_tT1_PNSt15iterator_traitsISI_E10value_typeET2_T3_PNSJ_ISO_E10value_typeET4_T5_PST_SU_PNS1_23onesweep_lookback_stateEbbT6_jjT7_P12ihipStream_tbENKUlT_T0_SI_SN_E_clISD_PySD_S15_EEDaS11_S12_SI_SN_EUlS11_E_NS1_11comp_targetILNS1_3genE6ELNS1_11target_archE950ELNS1_3gpuE13ELNS1_3repE0EEENS1_47radix_sort_onesweep_sort_config_static_selectorELNS0_4arch9wavefront6targetE1EEEvSI_,"axG",@progbits,_ZN7rocprim17ROCPRIM_400000_NS6detail17trampoline_kernelINS0_14default_configENS1_35radix_sort_onesweep_config_selectorIyyEEZZNS1_29radix_sort_onesweep_iterationIS3_Lb0EN6thrust23THRUST_200600_302600_NS6detail15normal_iteratorINS8_10device_ptrIyEEEESD_SD_SD_jNS0_19identity_decomposerENS1_16block_id_wrapperIjLb0EEEEE10hipError_tT1_PNSt15iterator_traitsISI_E10value_typeET2_T3_PNSJ_ISO_E10value_typeET4_T5_PST_SU_PNS1_23onesweep_lookback_stateEbbT6_jjT7_P12ihipStream_tbENKUlT_T0_SI_SN_E_clISD_PySD_S15_EEDaS11_S12_SI_SN_EUlS11_E_NS1_11comp_targetILNS1_3genE6ELNS1_11target_archE950ELNS1_3gpuE13ELNS1_3repE0EEENS1_47radix_sort_onesweep_sort_config_static_selectorELNS0_4arch9wavefront6targetE1EEEvSI_,comdat
.Lfunc_end565:
	.size	_ZN7rocprim17ROCPRIM_400000_NS6detail17trampoline_kernelINS0_14default_configENS1_35radix_sort_onesweep_config_selectorIyyEEZZNS1_29radix_sort_onesweep_iterationIS3_Lb0EN6thrust23THRUST_200600_302600_NS6detail15normal_iteratorINS8_10device_ptrIyEEEESD_SD_SD_jNS0_19identity_decomposerENS1_16block_id_wrapperIjLb0EEEEE10hipError_tT1_PNSt15iterator_traitsISI_E10value_typeET2_T3_PNSJ_ISO_E10value_typeET4_T5_PST_SU_PNS1_23onesweep_lookback_stateEbbT6_jjT7_P12ihipStream_tbENKUlT_T0_SI_SN_E_clISD_PySD_S15_EEDaS11_S12_SI_SN_EUlS11_E_NS1_11comp_targetILNS1_3genE6ELNS1_11target_archE950ELNS1_3gpuE13ELNS1_3repE0EEENS1_47radix_sort_onesweep_sort_config_static_selectorELNS0_4arch9wavefront6targetE1EEEvSI_, .Lfunc_end565-_ZN7rocprim17ROCPRIM_400000_NS6detail17trampoline_kernelINS0_14default_configENS1_35radix_sort_onesweep_config_selectorIyyEEZZNS1_29radix_sort_onesweep_iterationIS3_Lb0EN6thrust23THRUST_200600_302600_NS6detail15normal_iteratorINS8_10device_ptrIyEEEESD_SD_SD_jNS0_19identity_decomposerENS1_16block_id_wrapperIjLb0EEEEE10hipError_tT1_PNSt15iterator_traitsISI_E10value_typeET2_T3_PNSJ_ISO_E10value_typeET4_T5_PST_SU_PNS1_23onesweep_lookback_stateEbbT6_jjT7_P12ihipStream_tbENKUlT_T0_SI_SN_E_clISD_PySD_S15_EEDaS11_S12_SI_SN_EUlS11_E_NS1_11comp_targetILNS1_3genE6ELNS1_11target_archE950ELNS1_3gpuE13ELNS1_3repE0EEENS1_47radix_sort_onesweep_sort_config_static_selectorELNS0_4arch9wavefront6targetE1EEEvSI_
                                        ; -- End function
	.set _ZN7rocprim17ROCPRIM_400000_NS6detail17trampoline_kernelINS0_14default_configENS1_35radix_sort_onesweep_config_selectorIyyEEZZNS1_29radix_sort_onesweep_iterationIS3_Lb0EN6thrust23THRUST_200600_302600_NS6detail15normal_iteratorINS8_10device_ptrIyEEEESD_SD_SD_jNS0_19identity_decomposerENS1_16block_id_wrapperIjLb0EEEEE10hipError_tT1_PNSt15iterator_traitsISI_E10value_typeET2_T3_PNSJ_ISO_E10value_typeET4_T5_PST_SU_PNS1_23onesweep_lookback_stateEbbT6_jjT7_P12ihipStream_tbENKUlT_T0_SI_SN_E_clISD_PySD_S15_EEDaS11_S12_SI_SN_EUlS11_E_NS1_11comp_targetILNS1_3genE6ELNS1_11target_archE950ELNS1_3gpuE13ELNS1_3repE0EEENS1_47radix_sort_onesweep_sort_config_static_selectorELNS0_4arch9wavefront6targetE1EEEvSI_.num_vgpr, 58
	.set _ZN7rocprim17ROCPRIM_400000_NS6detail17trampoline_kernelINS0_14default_configENS1_35radix_sort_onesweep_config_selectorIyyEEZZNS1_29radix_sort_onesweep_iterationIS3_Lb0EN6thrust23THRUST_200600_302600_NS6detail15normal_iteratorINS8_10device_ptrIyEEEESD_SD_SD_jNS0_19identity_decomposerENS1_16block_id_wrapperIjLb0EEEEE10hipError_tT1_PNSt15iterator_traitsISI_E10value_typeET2_T3_PNSJ_ISO_E10value_typeET4_T5_PST_SU_PNS1_23onesweep_lookback_stateEbbT6_jjT7_P12ihipStream_tbENKUlT_T0_SI_SN_E_clISD_PySD_S15_EEDaS11_S12_SI_SN_EUlS11_E_NS1_11comp_targetILNS1_3genE6ELNS1_11target_archE950ELNS1_3gpuE13ELNS1_3repE0EEENS1_47radix_sort_onesweep_sort_config_static_selectorELNS0_4arch9wavefront6targetE1EEEvSI_.num_agpr, 0
	.set _ZN7rocprim17ROCPRIM_400000_NS6detail17trampoline_kernelINS0_14default_configENS1_35radix_sort_onesweep_config_selectorIyyEEZZNS1_29radix_sort_onesweep_iterationIS3_Lb0EN6thrust23THRUST_200600_302600_NS6detail15normal_iteratorINS8_10device_ptrIyEEEESD_SD_SD_jNS0_19identity_decomposerENS1_16block_id_wrapperIjLb0EEEEE10hipError_tT1_PNSt15iterator_traitsISI_E10value_typeET2_T3_PNSJ_ISO_E10value_typeET4_T5_PST_SU_PNS1_23onesweep_lookback_stateEbbT6_jjT7_P12ihipStream_tbENKUlT_T0_SI_SN_E_clISD_PySD_S15_EEDaS11_S12_SI_SN_EUlS11_E_NS1_11comp_targetILNS1_3genE6ELNS1_11target_archE950ELNS1_3gpuE13ELNS1_3repE0EEENS1_47radix_sort_onesweep_sort_config_static_selectorELNS0_4arch9wavefront6targetE1EEEvSI_.numbered_sgpr, 58
	.set _ZN7rocprim17ROCPRIM_400000_NS6detail17trampoline_kernelINS0_14default_configENS1_35radix_sort_onesweep_config_selectorIyyEEZZNS1_29radix_sort_onesweep_iterationIS3_Lb0EN6thrust23THRUST_200600_302600_NS6detail15normal_iteratorINS8_10device_ptrIyEEEESD_SD_SD_jNS0_19identity_decomposerENS1_16block_id_wrapperIjLb0EEEEE10hipError_tT1_PNSt15iterator_traitsISI_E10value_typeET2_T3_PNSJ_ISO_E10value_typeET4_T5_PST_SU_PNS1_23onesweep_lookback_stateEbbT6_jjT7_P12ihipStream_tbENKUlT_T0_SI_SN_E_clISD_PySD_S15_EEDaS11_S12_SI_SN_EUlS11_E_NS1_11comp_targetILNS1_3genE6ELNS1_11target_archE950ELNS1_3gpuE13ELNS1_3repE0EEENS1_47radix_sort_onesweep_sort_config_static_selectorELNS0_4arch9wavefront6targetE1EEEvSI_.num_named_barrier, 0
	.set _ZN7rocprim17ROCPRIM_400000_NS6detail17trampoline_kernelINS0_14default_configENS1_35radix_sort_onesweep_config_selectorIyyEEZZNS1_29radix_sort_onesweep_iterationIS3_Lb0EN6thrust23THRUST_200600_302600_NS6detail15normal_iteratorINS8_10device_ptrIyEEEESD_SD_SD_jNS0_19identity_decomposerENS1_16block_id_wrapperIjLb0EEEEE10hipError_tT1_PNSt15iterator_traitsISI_E10value_typeET2_T3_PNSJ_ISO_E10value_typeET4_T5_PST_SU_PNS1_23onesweep_lookback_stateEbbT6_jjT7_P12ihipStream_tbENKUlT_T0_SI_SN_E_clISD_PySD_S15_EEDaS11_S12_SI_SN_EUlS11_E_NS1_11comp_targetILNS1_3genE6ELNS1_11target_archE950ELNS1_3gpuE13ELNS1_3repE0EEENS1_47radix_sort_onesweep_sort_config_static_selectorELNS0_4arch9wavefront6targetE1EEEvSI_.private_seg_size, 48
	.set _ZN7rocprim17ROCPRIM_400000_NS6detail17trampoline_kernelINS0_14default_configENS1_35radix_sort_onesweep_config_selectorIyyEEZZNS1_29radix_sort_onesweep_iterationIS3_Lb0EN6thrust23THRUST_200600_302600_NS6detail15normal_iteratorINS8_10device_ptrIyEEEESD_SD_SD_jNS0_19identity_decomposerENS1_16block_id_wrapperIjLb0EEEEE10hipError_tT1_PNSt15iterator_traitsISI_E10value_typeET2_T3_PNSJ_ISO_E10value_typeET4_T5_PST_SU_PNS1_23onesweep_lookback_stateEbbT6_jjT7_P12ihipStream_tbENKUlT_T0_SI_SN_E_clISD_PySD_S15_EEDaS11_S12_SI_SN_EUlS11_E_NS1_11comp_targetILNS1_3genE6ELNS1_11target_archE950ELNS1_3gpuE13ELNS1_3repE0EEENS1_47radix_sort_onesweep_sort_config_static_selectorELNS0_4arch9wavefront6targetE1EEEvSI_.uses_vcc, 1
	.set _ZN7rocprim17ROCPRIM_400000_NS6detail17trampoline_kernelINS0_14default_configENS1_35radix_sort_onesweep_config_selectorIyyEEZZNS1_29radix_sort_onesweep_iterationIS3_Lb0EN6thrust23THRUST_200600_302600_NS6detail15normal_iteratorINS8_10device_ptrIyEEEESD_SD_SD_jNS0_19identity_decomposerENS1_16block_id_wrapperIjLb0EEEEE10hipError_tT1_PNSt15iterator_traitsISI_E10value_typeET2_T3_PNSJ_ISO_E10value_typeET4_T5_PST_SU_PNS1_23onesweep_lookback_stateEbbT6_jjT7_P12ihipStream_tbENKUlT_T0_SI_SN_E_clISD_PySD_S15_EEDaS11_S12_SI_SN_EUlS11_E_NS1_11comp_targetILNS1_3genE6ELNS1_11target_archE950ELNS1_3gpuE13ELNS1_3repE0EEENS1_47radix_sort_onesweep_sort_config_static_selectorELNS0_4arch9wavefront6targetE1EEEvSI_.uses_flat_scratch, 0
	.set _ZN7rocprim17ROCPRIM_400000_NS6detail17trampoline_kernelINS0_14default_configENS1_35radix_sort_onesweep_config_selectorIyyEEZZNS1_29radix_sort_onesweep_iterationIS3_Lb0EN6thrust23THRUST_200600_302600_NS6detail15normal_iteratorINS8_10device_ptrIyEEEESD_SD_SD_jNS0_19identity_decomposerENS1_16block_id_wrapperIjLb0EEEEE10hipError_tT1_PNSt15iterator_traitsISI_E10value_typeET2_T3_PNSJ_ISO_E10value_typeET4_T5_PST_SU_PNS1_23onesweep_lookback_stateEbbT6_jjT7_P12ihipStream_tbENKUlT_T0_SI_SN_E_clISD_PySD_S15_EEDaS11_S12_SI_SN_EUlS11_E_NS1_11comp_targetILNS1_3genE6ELNS1_11target_archE950ELNS1_3gpuE13ELNS1_3repE0EEENS1_47radix_sort_onesweep_sort_config_static_selectorELNS0_4arch9wavefront6targetE1EEEvSI_.has_dyn_sized_stack, 0
	.set _ZN7rocprim17ROCPRIM_400000_NS6detail17trampoline_kernelINS0_14default_configENS1_35radix_sort_onesweep_config_selectorIyyEEZZNS1_29radix_sort_onesweep_iterationIS3_Lb0EN6thrust23THRUST_200600_302600_NS6detail15normal_iteratorINS8_10device_ptrIyEEEESD_SD_SD_jNS0_19identity_decomposerENS1_16block_id_wrapperIjLb0EEEEE10hipError_tT1_PNSt15iterator_traitsISI_E10value_typeET2_T3_PNSJ_ISO_E10value_typeET4_T5_PST_SU_PNS1_23onesweep_lookback_stateEbbT6_jjT7_P12ihipStream_tbENKUlT_T0_SI_SN_E_clISD_PySD_S15_EEDaS11_S12_SI_SN_EUlS11_E_NS1_11comp_targetILNS1_3genE6ELNS1_11target_archE950ELNS1_3gpuE13ELNS1_3repE0EEENS1_47radix_sort_onesweep_sort_config_static_selectorELNS0_4arch9wavefront6targetE1EEEvSI_.has_recursion, 0
	.set _ZN7rocprim17ROCPRIM_400000_NS6detail17trampoline_kernelINS0_14default_configENS1_35radix_sort_onesweep_config_selectorIyyEEZZNS1_29radix_sort_onesweep_iterationIS3_Lb0EN6thrust23THRUST_200600_302600_NS6detail15normal_iteratorINS8_10device_ptrIyEEEESD_SD_SD_jNS0_19identity_decomposerENS1_16block_id_wrapperIjLb0EEEEE10hipError_tT1_PNSt15iterator_traitsISI_E10value_typeET2_T3_PNSJ_ISO_E10value_typeET4_T5_PST_SU_PNS1_23onesweep_lookback_stateEbbT6_jjT7_P12ihipStream_tbENKUlT_T0_SI_SN_E_clISD_PySD_S15_EEDaS11_S12_SI_SN_EUlS11_E_NS1_11comp_targetILNS1_3genE6ELNS1_11target_archE950ELNS1_3gpuE13ELNS1_3repE0EEENS1_47radix_sort_onesweep_sort_config_static_selectorELNS0_4arch9wavefront6targetE1EEEvSI_.has_indirect_call, 0
	.section	.AMDGPU.csdata,"",@progbits
; Kernel info:
; codeLenInByte = 12556
; TotalNumSgprs: 64
; NumVgprs: 58
; NumAgprs: 0
; TotalNumVgprs: 58
; ScratchSize: 48
; MemoryBound: 0
; FloatMode: 240
; IeeeMode: 1
; LDSByteSize: 53328 bytes/workgroup (compile time only)
; SGPRBlocks: 7
; VGPRBlocks: 7
; NumSGPRsForWavesPerEU: 64
; NumVGPRsForWavesPerEU: 58
; AccumOffset: 60
; Occupancy: 8
; WaveLimiterHint : 1
; COMPUTE_PGM_RSRC2:SCRATCH_EN: 1
; COMPUTE_PGM_RSRC2:USER_SGPR: 4
; COMPUTE_PGM_RSRC2:TRAP_HANDLER: 0
; COMPUTE_PGM_RSRC2:TGID_X_EN: 1
; COMPUTE_PGM_RSRC2:TGID_Y_EN: 0
; COMPUTE_PGM_RSRC2:TGID_Z_EN: 0
; COMPUTE_PGM_RSRC2:TIDIG_COMP_CNT: 2
; COMPUTE_PGM_RSRC3_GFX90A:ACCUM_OFFSET: 14
; COMPUTE_PGM_RSRC3_GFX90A:TG_SPLIT: 0
	.section	.text._ZN7rocprim17ROCPRIM_400000_NS6detail17trampoline_kernelINS0_14default_configENS1_35radix_sort_onesweep_config_selectorIyyEEZZNS1_29radix_sort_onesweep_iterationIS3_Lb0EN6thrust23THRUST_200600_302600_NS6detail15normal_iteratorINS8_10device_ptrIyEEEESD_SD_SD_jNS0_19identity_decomposerENS1_16block_id_wrapperIjLb0EEEEE10hipError_tT1_PNSt15iterator_traitsISI_E10value_typeET2_T3_PNSJ_ISO_E10value_typeET4_T5_PST_SU_PNS1_23onesweep_lookback_stateEbbT6_jjT7_P12ihipStream_tbENKUlT_T0_SI_SN_E_clISD_PySD_S15_EEDaS11_S12_SI_SN_EUlS11_E_NS1_11comp_targetILNS1_3genE5ELNS1_11target_archE942ELNS1_3gpuE9ELNS1_3repE0EEENS1_47radix_sort_onesweep_sort_config_static_selectorELNS0_4arch9wavefront6targetE1EEEvSI_,"axG",@progbits,_ZN7rocprim17ROCPRIM_400000_NS6detail17trampoline_kernelINS0_14default_configENS1_35radix_sort_onesweep_config_selectorIyyEEZZNS1_29radix_sort_onesweep_iterationIS3_Lb0EN6thrust23THRUST_200600_302600_NS6detail15normal_iteratorINS8_10device_ptrIyEEEESD_SD_SD_jNS0_19identity_decomposerENS1_16block_id_wrapperIjLb0EEEEE10hipError_tT1_PNSt15iterator_traitsISI_E10value_typeET2_T3_PNSJ_ISO_E10value_typeET4_T5_PST_SU_PNS1_23onesweep_lookback_stateEbbT6_jjT7_P12ihipStream_tbENKUlT_T0_SI_SN_E_clISD_PySD_S15_EEDaS11_S12_SI_SN_EUlS11_E_NS1_11comp_targetILNS1_3genE5ELNS1_11target_archE942ELNS1_3gpuE9ELNS1_3repE0EEENS1_47radix_sort_onesweep_sort_config_static_selectorELNS0_4arch9wavefront6targetE1EEEvSI_,comdat
	.protected	_ZN7rocprim17ROCPRIM_400000_NS6detail17trampoline_kernelINS0_14default_configENS1_35radix_sort_onesweep_config_selectorIyyEEZZNS1_29radix_sort_onesweep_iterationIS3_Lb0EN6thrust23THRUST_200600_302600_NS6detail15normal_iteratorINS8_10device_ptrIyEEEESD_SD_SD_jNS0_19identity_decomposerENS1_16block_id_wrapperIjLb0EEEEE10hipError_tT1_PNSt15iterator_traitsISI_E10value_typeET2_T3_PNSJ_ISO_E10value_typeET4_T5_PST_SU_PNS1_23onesweep_lookback_stateEbbT6_jjT7_P12ihipStream_tbENKUlT_T0_SI_SN_E_clISD_PySD_S15_EEDaS11_S12_SI_SN_EUlS11_E_NS1_11comp_targetILNS1_3genE5ELNS1_11target_archE942ELNS1_3gpuE9ELNS1_3repE0EEENS1_47radix_sort_onesweep_sort_config_static_selectorELNS0_4arch9wavefront6targetE1EEEvSI_ ; -- Begin function _ZN7rocprim17ROCPRIM_400000_NS6detail17trampoline_kernelINS0_14default_configENS1_35radix_sort_onesweep_config_selectorIyyEEZZNS1_29radix_sort_onesweep_iterationIS3_Lb0EN6thrust23THRUST_200600_302600_NS6detail15normal_iteratorINS8_10device_ptrIyEEEESD_SD_SD_jNS0_19identity_decomposerENS1_16block_id_wrapperIjLb0EEEEE10hipError_tT1_PNSt15iterator_traitsISI_E10value_typeET2_T3_PNSJ_ISO_E10value_typeET4_T5_PST_SU_PNS1_23onesweep_lookback_stateEbbT6_jjT7_P12ihipStream_tbENKUlT_T0_SI_SN_E_clISD_PySD_S15_EEDaS11_S12_SI_SN_EUlS11_E_NS1_11comp_targetILNS1_3genE5ELNS1_11target_archE942ELNS1_3gpuE9ELNS1_3repE0EEENS1_47radix_sort_onesweep_sort_config_static_selectorELNS0_4arch9wavefront6targetE1EEEvSI_
	.globl	_ZN7rocprim17ROCPRIM_400000_NS6detail17trampoline_kernelINS0_14default_configENS1_35radix_sort_onesweep_config_selectorIyyEEZZNS1_29radix_sort_onesweep_iterationIS3_Lb0EN6thrust23THRUST_200600_302600_NS6detail15normal_iteratorINS8_10device_ptrIyEEEESD_SD_SD_jNS0_19identity_decomposerENS1_16block_id_wrapperIjLb0EEEEE10hipError_tT1_PNSt15iterator_traitsISI_E10value_typeET2_T3_PNSJ_ISO_E10value_typeET4_T5_PST_SU_PNS1_23onesweep_lookback_stateEbbT6_jjT7_P12ihipStream_tbENKUlT_T0_SI_SN_E_clISD_PySD_S15_EEDaS11_S12_SI_SN_EUlS11_E_NS1_11comp_targetILNS1_3genE5ELNS1_11target_archE942ELNS1_3gpuE9ELNS1_3repE0EEENS1_47radix_sort_onesweep_sort_config_static_selectorELNS0_4arch9wavefront6targetE1EEEvSI_
	.p2align	8
	.type	_ZN7rocprim17ROCPRIM_400000_NS6detail17trampoline_kernelINS0_14default_configENS1_35radix_sort_onesweep_config_selectorIyyEEZZNS1_29radix_sort_onesweep_iterationIS3_Lb0EN6thrust23THRUST_200600_302600_NS6detail15normal_iteratorINS8_10device_ptrIyEEEESD_SD_SD_jNS0_19identity_decomposerENS1_16block_id_wrapperIjLb0EEEEE10hipError_tT1_PNSt15iterator_traitsISI_E10value_typeET2_T3_PNSJ_ISO_E10value_typeET4_T5_PST_SU_PNS1_23onesweep_lookback_stateEbbT6_jjT7_P12ihipStream_tbENKUlT_T0_SI_SN_E_clISD_PySD_S15_EEDaS11_S12_SI_SN_EUlS11_E_NS1_11comp_targetILNS1_3genE5ELNS1_11target_archE942ELNS1_3gpuE9ELNS1_3repE0EEENS1_47radix_sort_onesweep_sort_config_static_selectorELNS0_4arch9wavefront6targetE1EEEvSI_,@function
_ZN7rocprim17ROCPRIM_400000_NS6detail17trampoline_kernelINS0_14default_configENS1_35radix_sort_onesweep_config_selectorIyyEEZZNS1_29radix_sort_onesweep_iterationIS3_Lb0EN6thrust23THRUST_200600_302600_NS6detail15normal_iteratorINS8_10device_ptrIyEEEESD_SD_SD_jNS0_19identity_decomposerENS1_16block_id_wrapperIjLb0EEEEE10hipError_tT1_PNSt15iterator_traitsISI_E10value_typeET2_T3_PNSJ_ISO_E10value_typeET4_T5_PST_SU_PNS1_23onesweep_lookback_stateEbbT6_jjT7_P12ihipStream_tbENKUlT_T0_SI_SN_E_clISD_PySD_S15_EEDaS11_S12_SI_SN_EUlS11_E_NS1_11comp_targetILNS1_3genE5ELNS1_11target_archE942ELNS1_3gpuE9ELNS1_3repE0EEENS1_47radix_sort_onesweep_sort_config_static_selectorELNS0_4arch9wavefront6targetE1EEEvSI_: ; @_ZN7rocprim17ROCPRIM_400000_NS6detail17trampoline_kernelINS0_14default_configENS1_35radix_sort_onesweep_config_selectorIyyEEZZNS1_29radix_sort_onesweep_iterationIS3_Lb0EN6thrust23THRUST_200600_302600_NS6detail15normal_iteratorINS8_10device_ptrIyEEEESD_SD_SD_jNS0_19identity_decomposerENS1_16block_id_wrapperIjLb0EEEEE10hipError_tT1_PNSt15iterator_traitsISI_E10value_typeET2_T3_PNSJ_ISO_E10value_typeET4_T5_PST_SU_PNS1_23onesweep_lookback_stateEbbT6_jjT7_P12ihipStream_tbENKUlT_T0_SI_SN_E_clISD_PySD_S15_EEDaS11_S12_SI_SN_EUlS11_E_NS1_11comp_targetILNS1_3genE5ELNS1_11target_archE942ELNS1_3gpuE9ELNS1_3repE0EEENS1_47radix_sort_onesweep_sort_config_static_selectorELNS0_4arch9wavefront6targetE1EEEvSI_
; %bb.0:
	.section	.rodata,"a",@progbits
	.p2align	6, 0x0
	.amdhsa_kernel _ZN7rocprim17ROCPRIM_400000_NS6detail17trampoline_kernelINS0_14default_configENS1_35radix_sort_onesweep_config_selectorIyyEEZZNS1_29radix_sort_onesweep_iterationIS3_Lb0EN6thrust23THRUST_200600_302600_NS6detail15normal_iteratorINS8_10device_ptrIyEEEESD_SD_SD_jNS0_19identity_decomposerENS1_16block_id_wrapperIjLb0EEEEE10hipError_tT1_PNSt15iterator_traitsISI_E10value_typeET2_T3_PNSJ_ISO_E10value_typeET4_T5_PST_SU_PNS1_23onesweep_lookback_stateEbbT6_jjT7_P12ihipStream_tbENKUlT_T0_SI_SN_E_clISD_PySD_S15_EEDaS11_S12_SI_SN_EUlS11_E_NS1_11comp_targetILNS1_3genE5ELNS1_11target_archE942ELNS1_3gpuE9ELNS1_3repE0EEENS1_47radix_sort_onesweep_sort_config_static_selectorELNS0_4arch9wavefront6targetE1EEEvSI_
		.amdhsa_group_segment_fixed_size 0
		.amdhsa_private_segment_fixed_size 0
		.amdhsa_kernarg_size 88
		.amdhsa_user_sgpr_count 2
		.amdhsa_user_sgpr_dispatch_ptr 0
		.amdhsa_user_sgpr_queue_ptr 0
		.amdhsa_user_sgpr_kernarg_segment_ptr 1
		.amdhsa_user_sgpr_dispatch_id 0
		.amdhsa_user_sgpr_kernarg_preload_length 0
		.amdhsa_user_sgpr_kernarg_preload_offset 0
		.amdhsa_user_sgpr_private_segment_size 0
		.amdhsa_uses_dynamic_stack 0
		.amdhsa_enable_private_segment 0
		.amdhsa_system_sgpr_workgroup_id_x 1
		.amdhsa_system_sgpr_workgroup_id_y 0
		.amdhsa_system_sgpr_workgroup_id_z 0
		.amdhsa_system_sgpr_workgroup_info 0
		.amdhsa_system_vgpr_workitem_id 0
		.amdhsa_next_free_vgpr 1
		.amdhsa_next_free_sgpr 0
		.amdhsa_accum_offset 4
		.amdhsa_reserve_vcc 0
		.amdhsa_float_round_mode_32 0
		.amdhsa_float_round_mode_16_64 0
		.amdhsa_float_denorm_mode_32 3
		.amdhsa_float_denorm_mode_16_64 3
		.amdhsa_dx10_clamp 1
		.amdhsa_ieee_mode 1
		.amdhsa_fp16_overflow 0
		.amdhsa_tg_split 0
		.amdhsa_exception_fp_ieee_invalid_op 0
		.amdhsa_exception_fp_denorm_src 0
		.amdhsa_exception_fp_ieee_div_zero 0
		.amdhsa_exception_fp_ieee_overflow 0
		.amdhsa_exception_fp_ieee_underflow 0
		.amdhsa_exception_fp_ieee_inexact 0
		.amdhsa_exception_int_div_zero 0
	.end_amdhsa_kernel
	.section	.text._ZN7rocprim17ROCPRIM_400000_NS6detail17trampoline_kernelINS0_14default_configENS1_35radix_sort_onesweep_config_selectorIyyEEZZNS1_29radix_sort_onesweep_iterationIS3_Lb0EN6thrust23THRUST_200600_302600_NS6detail15normal_iteratorINS8_10device_ptrIyEEEESD_SD_SD_jNS0_19identity_decomposerENS1_16block_id_wrapperIjLb0EEEEE10hipError_tT1_PNSt15iterator_traitsISI_E10value_typeET2_T3_PNSJ_ISO_E10value_typeET4_T5_PST_SU_PNS1_23onesweep_lookback_stateEbbT6_jjT7_P12ihipStream_tbENKUlT_T0_SI_SN_E_clISD_PySD_S15_EEDaS11_S12_SI_SN_EUlS11_E_NS1_11comp_targetILNS1_3genE5ELNS1_11target_archE942ELNS1_3gpuE9ELNS1_3repE0EEENS1_47radix_sort_onesweep_sort_config_static_selectorELNS0_4arch9wavefront6targetE1EEEvSI_,"axG",@progbits,_ZN7rocprim17ROCPRIM_400000_NS6detail17trampoline_kernelINS0_14default_configENS1_35radix_sort_onesweep_config_selectorIyyEEZZNS1_29radix_sort_onesweep_iterationIS3_Lb0EN6thrust23THRUST_200600_302600_NS6detail15normal_iteratorINS8_10device_ptrIyEEEESD_SD_SD_jNS0_19identity_decomposerENS1_16block_id_wrapperIjLb0EEEEE10hipError_tT1_PNSt15iterator_traitsISI_E10value_typeET2_T3_PNSJ_ISO_E10value_typeET4_T5_PST_SU_PNS1_23onesweep_lookback_stateEbbT6_jjT7_P12ihipStream_tbENKUlT_T0_SI_SN_E_clISD_PySD_S15_EEDaS11_S12_SI_SN_EUlS11_E_NS1_11comp_targetILNS1_3genE5ELNS1_11target_archE942ELNS1_3gpuE9ELNS1_3repE0EEENS1_47radix_sort_onesweep_sort_config_static_selectorELNS0_4arch9wavefront6targetE1EEEvSI_,comdat
.Lfunc_end566:
	.size	_ZN7rocprim17ROCPRIM_400000_NS6detail17trampoline_kernelINS0_14default_configENS1_35radix_sort_onesweep_config_selectorIyyEEZZNS1_29radix_sort_onesweep_iterationIS3_Lb0EN6thrust23THRUST_200600_302600_NS6detail15normal_iteratorINS8_10device_ptrIyEEEESD_SD_SD_jNS0_19identity_decomposerENS1_16block_id_wrapperIjLb0EEEEE10hipError_tT1_PNSt15iterator_traitsISI_E10value_typeET2_T3_PNSJ_ISO_E10value_typeET4_T5_PST_SU_PNS1_23onesweep_lookback_stateEbbT6_jjT7_P12ihipStream_tbENKUlT_T0_SI_SN_E_clISD_PySD_S15_EEDaS11_S12_SI_SN_EUlS11_E_NS1_11comp_targetILNS1_3genE5ELNS1_11target_archE942ELNS1_3gpuE9ELNS1_3repE0EEENS1_47radix_sort_onesweep_sort_config_static_selectorELNS0_4arch9wavefront6targetE1EEEvSI_, .Lfunc_end566-_ZN7rocprim17ROCPRIM_400000_NS6detail17trampoline_kernelINS0_14default_configENS1_35radix_sort_onesweep_config_selectorIyyEEZZNS1_29radix_sort_onesweep_iterationIS3_Lb0EN6thrust23THRUST_200600_302600_NS6detail15normal_iteratorINS8_10device_ptrIyEEEESD_SD_SD_jNS0_19identity_decomposerENS1_16block_id_wrapperIjLb0EEEEE10hipError_tT1_PNSt15iterator_traitsISI_E10value_typeET2_T3_PNSJ_ISO_E10value_typeET4_T5_PST_SU_PNS1_23onesweep_lookback_stateEbbT6_jjT7_P12ihipStream_tbENKUlT_T0_SI_SN_E_clISD_PySD_S15_EEDaS11_S12_SI_SN_EUlS11_E_NS1_11comp_targetILNS1_3genE5ELNS1_11target_archE942ELNS1_3gpuE9ELNS1_3repE0EEENS1_47radix_sort_onesweep_sort_config_static_selectorELNS0_4arch9wavefront6targetE1EEEvSI_
                                        ; -- End function
	.set _ZN7rocprim17ROCPRIM_400000_NS6detail17trampoline_kernelINS0_14default_configENS1_35radix_sort_onesweep_config_selectorIyyEEZZNS1_29radix_sort_onesweep_iterationIS3_Lb0EN6thrust23THRUST_200600_302600_NS6detail15normal_iteratorINS8_10device_ptrIyEEEESD_SD_SD_jNS0_19identity_decomposerENS1_16block_id_wrapperIjLb0EEEEE10hipError_tT1_PNSt15iterator_traitsISI_E10value_typeET2_T3_PNSJ_ISO_E10value_typeET4_T5_PST_SU_PNS1_23onesweep_lookback_stateEbbT6_jjT7_P12ihipStream_tbENKUlT_T0_SI_SN_E_clISD_PySD_S15_EEDaS11_S12_SI_SN_EUlS11_E_NS1_11comp_targetILNS1_3genE5ELNS1_11target_archE942ELNS1_3gpuE9ELNS1_3repE0EEENS1_47radix_sort_onesweep_sort_config_static_selectorELNS0_4arch9wavefront6targetE1EEEvSI_.num_vgpr, 0
	.set _ZN7rocprim17ROCPRIM_400000_NS6detail17trampoline_kernelINS0_14default_configENS1_35radix_sort_onesweep_config_selectorIyyEEZZNS1_29radix_sort_onesweep_iterationIS3_Lb0EN6thrust23THRUST_200600_302600_NS6detail15normal_iteratorINS8_10device_ptrIyEEEESD_SD_SD_jNS0_19identity_decomposerENS1_16block_id_wrapperIjLb0EEEEE10hipError_tT1_PNSt15iterator_traitsISI_E10value_typeET2_T3_PNSJ_ISO_E10value_typeET4_T5_PST_SU_PNS1_23onesweep_lookback_stateEbbT6_jjT7_P12ihipStream_tbENKUlT_T0_SI_SN_E_clISD_PySD_S15_EEDaS11_S12_SI_SN_EUlS11_E_NS1_11comp_targetILNS1_3genE5ELNS1_11target_archE942ELNS1_3gpuE9ELNS1_3repE0EEENS1_47radix_sort_onesweep_sort_config_static_selectorELNS0_4arch9wavefront6targetE1EEEvSI_.num_agpr, 0
	.set _ZN7rocprim17ROCPRIM_400000_NS6detail17trampoline_kernelINS0_14default_configENS1_35radix_sort_onesweep_config_selectorIyyEEZZNS1_29radix_sort_onesweep_iterationIS3_Lb0EN6thrust23THRUST_200600_302600_NS6detail15normal_iteratorINS8_10device_ptrIyEEEESD_SD_SD_jNS0_19identity_decomposerENS1_16block_id_wrapperIjLb0EEEEE10hipError_tT1_PNSt15iterator_traitsISI_E10value_typeET2_T3_PNSJ_ISO_E10value_typeET4_T5_PST_SU_PNS1_23onesweep_lookback_stateEbbT6_jjT7_P12ihipStream_tbENKUlT_T0_SI_SN_E_clISD_PySD_S15_EEDaS11_S12_SI_SN_EUlS11_E_NS1_11comp_targetILNS1_3genE5ELNS1_11target_archE942ELNS1_3gpuE9ELNS1_3repE0EEENS1_47radix_sort_onesweep_sort_config_static_selectorELNS0_4arch9wavefront6targetE1EEEvSI_.numbered_sgpr, 0
	.set _ZN7rocprim17ROCPRIM_400000_NS6detail17trampoline_kernelINS0_14default_configENS1_35radix_sort_onesweep_config_selectorIyyEEZZNS1_29radix_sort_onesweep_iterationIS3_Lb0EN6thrust23THRUST_200600_302600_NS6detail15normal_iteratorINS8_10device_ptrIyEEEESD_SD_SD_jNS0_19identity_decomposerENS1_16block_id_wrapperIjLb0EEEEE10hipError_tT1_PNSt15iterator_traitsISI_E10value_typeET2_T3_PNSJ_ISO_E10value_typeET4_T5_PST_SU_PNS1_23onesweep_lookback_stateEbbT6_jjT7_P12ihipStream_tbENKUlT_T0_SI_SN_E_clISD_PySD_S15_EEDaS11_S12_SI_SN_EUlS11_E_NS1_11comp_targetILNS1_3genE5ELNS1_11target_archE942ELNS1_3gpuE9ELNS1_3repE0EEENS1_47radix_sort_onesweep_sort_config_static_selectorELNS0_4arch9wavefront6targetE1EEEvSI_.num_named_barrier, 0
	.set _ZN7rocprim17ROCPRIM_400000_NS6detail17trampoline_kernelINS0_14default_configENS1_35radix_sort_onesweep_config_selectorIyyEEZZNS1_29radix_sort_onesweep_iterationIS3_Lb0EN6thrust23THRUST_200600_302600_NS6detail15normal_iteratorINS8_10device_ptrIyEEEESD_SD_SD_jNS0_19identity_decomposerENS1_16block_id_wrapperIjLb0EEEEE10hipError_tT1_PNSt15iterator_traitsISI_E10value_typeET2_T3_PNSJ_ISO_E10value_typeET4_T5_PST_SU_PNS1_23onesweep_lookback_stateEbbT6_jjT7_P12ihipStream_tbENKUlT_T0_SI_SN_E_clISD_PySD_S15_EEDaS11_S12_SI_SN_EUlS11_E_NS1_11comp_targetILNS1_3genE5ELNS1_11target_archE942ELNS1_3gpuE9ELNS1_3repE0EEENS1_47radix_sort_onesweep_sort_config_static_selectorELNS0_4arch9wavefront6targetE1EEEvSI_.private_seg_size, 0
	.set _ZN7rocprim17ROCPRIM_400000_NS6detail17trampoline_kernelINS0_14default_configENS1_35radix_sort_onesweep_config_selectorIyyEEZZNS1_29radix_sort_onesweep_iterationIS3_Lb0EN6thrust23THRUST_200600_302600_NS6detail15normal_iteratorINS8_10device_ptrIyEEEESD_SD_SD_jNS0_19identity_decomposerENS1_16block_id_wrapperIjLb0EEEEE10hipError_tT1_PNSt15iterator_traitsISI_E10value_typeET2_T3_PNSJ_ISO_E10value_typeET4_T5_PST_SU_PNS1_23onesweep_lookback_stateEbbT6_jjT7_P12ihipStream_tbENKUlT_T0_SI_SN_E_clISD_PySD_S15_EEDaS11_S12_SI_SN_EUlS11_E_NS1_11comp_targetILNS1_3genE5ELNS1_11target_archE942ELNS1_3gpuE9ELNS1_3repE0EEENS1_47radix_sort_onesweep_sort_config_static_selectorELNS0_4arch9wavefront6targetE1EEEvSI_.uses_vcc, 0
	.set _ZN7rocprim17ROCPRIM_400000_NS6detail17trampoline_kernelINS0_14default_configENS1_35radix_sort_onesweep_config_selectorIyyEEZZNS1_29radix_sort_onesweep_iterationIS3_Lb0EN6thrust23THRUST_200600_302600_NS6detail15normal_iteratorINS8_10device_ptrIyEEEESD_SD_SD_jNS0_19identity_decomposerENS1_16block_id_wrapperIjLb0EEEEE10hipError_tT1_PNSt15iterator_traitsISI_E10value_typeET2_T3_PNSJ_ISO_E10value_typeET4_T5_PST_SU_PNS1_23onesweep_lookback_stateEbbT6_jjT7_P12ihipStream_tbENKUlT_T0_SI_SN_E_clISD_PySD_S15_EEDaS11_S12_SI_SN_EUlS11_E_NS1_11comp_targetILNS1_3genE5ELNS1_11target_archE942ELNS1_3gpuE9ELNS1_3repE0EEENS1_47radix_sort_onesweep_sort_config_static_selectorELNS0_4arch9wavefront6targetE1EEEvSI_.uses_flat_scratch, 0
	.set _ZN7rocprim17ROCPRIM_400000_NS6detail17trampoline_kernelINS0_14default_configENS1_35radix_sort_onesweep_config_selectorIyyEEZZNS1_29radix_sort_onesweep_iterationIS3_Lb0EN6thrust23THRUST_200600_302600_NS6detail15normal_iteratorINS8_10device_ptrIyEEEESD_SD_SD_jNS0_19identity_decomposerENS1_16block_id_wrapperIjLb0EEEEE10hipError_tT1_PNSt15iterator_traitsISI_E10value_typeET2_T3_PNSJ_ISO_E10value_typeET4_T5_PST_SU_PNS1_23onesweep_lookback_stateEbbT6_jjT7_P12ihipStream_tbENKUlT_T0_SI_SN_E_clISD_PySD_S15_EEDaS11_S12_SI_SN_EUlS11_E_NS1_11comp_targetILNS1_3genE5ELNS1_11target_archE942ELNS1_3gpuE9ELNS1_3repE0EEENS1_47radix_sort_onesweep_sort_config_static_selectorELNS0_4arch9wavefront6targetE1EEEvSI_.has_dyn_sized_stack, 0
	.set _ZN7rocprim17ROCPRIM_400000_NS6detail17trampoline_kernelINS0_14default_configENS1_35radix_sort_onesweep_config_selectorIyyEEZZNS1_29radix_sort_onesweep_iterationIS3_Lb0EN6thrust23THRUST_200600_302600_NS6detail15normal_iteratorINS8_10device_ptrIyEEEESD_SD_SD_jNS0_19identity_decomposerENS1_16block_id_wrapperIjLb0EEEEE10hipError_tT1_PNSt15iterator_traitsISI_E10value_typeET2_T3_PNSJ_ISO_E10value_typeET4_T5_PST_SU_PNS1_23onesweep_lookback_stateEbbT6_jjT7_P12ihipStream_tbENKUlT_T0_SI_SN_E_clISD_PySD_S15_EEDaS11_S12_SI_SN_EUlS11_E_NS1_11comp_targetILNS1_3genE5ELNS1_11target_archE942ELNS1_3gpuE9ELNS1_3repE0EEENS1_47radix_sort_onesweep_sort_config_static_selectorELNS0_4arch9wavefront6targetE1EEEvSI_.has_recursion, 0
	.set _ZN7rocprim17ROCPRIM_400000_NS6detail17trampoline_kernelINS0_14default_configENS1_35radix_sort_onesweep_config_selectorIyyEEZZNS1_29radix_sort_onesweep_iterationIS3_Lb0EN6thrust23THRUST_200600_302600_NS6detail15normal_iteratorINS8_10device_ptrIyEEEESD_SD_SD_jNS0_19identity_decomposerENS1_16block_id_wrapperIjLb0EEEEE10hipError_tT1_PNSt15iterator_traitsISI_E10value_typeET2_T3_PNSJ_ISO_E10value_typeET4_T5_PST_SU_PNS1_23onesweep_lookback_stateEbbT6_jjT7_P12ihipStream_tbENKUlT_T0_SI_SN_E_clISD_PySD_S15_EEDaS11_S12_SI_SN_EUlS11_E_NS1_11comp_targetILNS1_3genE5ELNS1_11target_archE942ELNS1_3gpuE9ELNS1_3repE0EEENS1_47radix_sort_onesweep_sort_config_static_selectorELNS0_4arch9wavefront6targetE1EEEvSI_.has_indirect_call, 0
	.section	.AMDGPU.csdata,"",@progbits
; Kernel info:
; codeLenInByte = 0
; TotalNumSgprs: 6
; NumVgprs: 0
; NumAgprs: 0
; TotalNumVgprs: 0
; ScratchSize: 0
; MemoryBound: 0
; FloatMode: 240
; IeeeMode: 1
; LDSByteSize: 0 bytes/workgroup (compile time only)
; SGPRBlocks: 0
; VGPRBlocks: 0
; NumSGPRsForWavesPerEU: 6
; NumVGPRsForWavesPerEU: 1
; AccumOffset: 4
; Occupancy: 8
; WaveLimiterHint : 0
; COMPUTE_PGM_RSRC2:SCRATCH_EN: 0
; COMPUTE_PGM_RSRC2:USER_SGPR: 2
; COMPUTE_PGM_RSRC2:TRAP_HANDLER: 0
; COMPUTE_PGM_RSRC2:TGID_X_EN: 1
; COMPUTE_PGM_RSRC2:TGID_Y_EN: 0
; COMPUTE_PGM_RSRC2:TGID_Z_EN: 0
; COMPUTE_PGM_RSRC2:TIDIG_COMP_CNT: 0
; COMPUTE_PGM_RSRC3_GFX90A:ACCUM_OFFSET: 0
; COMPUTE_PGM_RSRC3_GFX90A:TG_SPLIT: 0
	.section	.text._ZN7rocprim17ROCPRIM_400000_NS6detail17trampoline_kernelINS0_14default_configENS1_35radix_sort_onesweep_config_selectorIyyEEZZNS1_29radix_sort_onesweep_iterationIS3_Lb0EN6thrust23THRUST_200600_302600_NS6detail15normal_iteratorINS8_10device_ptrIyEEEESD_SD_SD_jNS0_19identity_decomposerENS1_16block_id_wrapperIjLb0EEEEE10hipError_tT1_PNSt15iterator_traitsISI_E10value_typeET2_T3_PNSJ_ISO_E10value_typeET4_T5_PST_SU_PNS1_23onesweep_lookback_stateEbbT6_jjT7_P12ihipStream_tbENKUlT_T0_SI_SN_E_clISD_PySD_S15_EEDaS11_S12_SI_SN_EUlS11_E_NS1_11comp_targetILNS1_3genE2ELNS1_11target_archE906ELNS1_3gpuE6ELNS1_3repE0EEENS1_47radix_sort_onesweep_sort_config_static_selectorELNS0_4arch9wavefront6targetE1EEEvSI_,"axG",@progbits,_ZN7rocprim17ROCPRIM_400000_NS6detail17trampoline_kernelINS0_14default_configENS1_35radix_sort_onesweep_config_selectorIyyEEZZNS1_29radix_sort_onesweep_iterationIS3_Lb0EN6thrust23THRUST_200600_302600_NS6detail15normal_iteratorINS8_10device_ptrIyEEEESD_SD_SD_jNS0_19identity_decomposerENS1_16block_id_wrapperIjLb0EEEEE10hipError_tT1_PNSt15iterator_traitsISI_E10value_typeET2_T3_PNSJ_ISO_E10value_typeET4_T5_PST_SU_PNS1_23onesweep_lookback_stateEbbT6_jjT7_P12ihipStream_tbENKUlT_T0_SI_SN_E_clISD_PySD_S15_EEDaS11_S12_SI_SN_EUlS11_E_NS1_11comp_targetILNS1_3genE2ELNS1_11target_archE906ELNS1_3gpuE6ELNS1_3repE0EEENS1_47radix_sort_onesweep_sort_config_static_selectorELNS0_4arch9wavefront6targetE1EEEvSI_,comdat
	.protected	_ZN7rocprim17ROCPRIM_400000_NS6detail17trampoline_kernelINS0_14default_configENS1_35radix_sort_onesweep_config_selectorIyyEEZZNS1_29radix_sort_onesweep_iterationIS3_Lb0EN6thrust23THRUST_200600_302600_NS6detail15normal_iteratorINS8_10device_ptrIyEEEESD_SD_SD_jNS0_19identity_decomposerENS1_16block_id_wrapperIjLb0EEEEE10hipError_tT1_PNSt15iterator_traitsISI_E10value_typeET2_T3_PNSJ_ISO_E10value_typeET4_T5_PST_SU_PNS1_23onesweep_lookback_stateEbbT6_jjT7_P12ihipStream_tbENKUlT_T0_SI_SN_E_clISD_PySD_S15_EEDaS11_S12_SI_SN_EUlS11_E_NS1_11comp_targetILNS1_3genE2ELNS1_11target_archE906ELNS1_3gpuE6ELNS1_3repE0EEENS1_47radix_sort_onesweep_sort_config_static_selectorELNS0_4arch9wavefront6targetE1EEEvSI_ ; -- Begin function _ZN7rocprim17ROCPRIM_400000_NS6detail17trampoline_kernelINS0_14default_configENS1_35radix_sort_onesweep_config_selectorIyyEEZZNS1_29radix_sort_onesweep_iterationIS3_Lb0EN6thrust23THRUST_200600_302600_NS6detail15normal_iteratorINS8_10device_ptrIyEEEESD_SD_SD_jNS0_19identity_decomposerENS1_16block_id_wrapperIjLb0EEEEE10hipError_tT1_PNSt15iterator_traitsISI_E10value_typeET2_T3_PNSJ_ISO_E10value_typeET4_T5_PST_SU_PNS1_23onesweep_lookback_stateEbbT6_jjT7_P12ihipStream_tbENKUlT_T0_SI_SN_E_clISD_PySD_S15_EEDaS11_S12_SI_SN_EUlS11_E_NS1_11comp_targetILNS1_3genE2ELNS1_11target_archE906ELNS1_3gpuE6ELNS1_3repE0EEENS1_47radix_sort_onesweep_sort_config_static_selectorELNS0_4arch9wavefront6targetE1EEEvSI_
	.globl	_ZN7rocprim17ROCPRIM_400000_NS6detail17trampoline_kernelINS0_14default_configENS1_35radix_sort_onesweep_config_selectorIyyEEZZNS1_29radix_sort_onesweep_iterationIS3_Lb0EN6thrust23THRUST_200600_302600_NS6detail15normal_iteratorINS8_10device_ptrIyEEEESD_SD_SD_jNS0_19identity_decomposerENS1_16block_id_wrapperIjLb0EEEEE10hipError_tT1_PNSt15iterator_traitsISI_E10value_typeET2_T3_PNSJ_ISO_E10value_typeET4_T5_PST_SU_PNS1_23onesweep_lookback_stateEbbT6_jjT7_P12ihipStream_tbENKUlT_T0_SI_SN_E_clISD_PySD_S15_EEDaS11_S12_SI_SN_EUlS11_E_NS1_11comp_targetILNS1_3genE2ELNS1_11target_archE906ELNS1_3gpuE6ELNS1_3repE0EEENS1_47radix_sort_onesweep_sort_config_static_selectorELNS0_4arch9wavefront6targetE1EEEvSI_
	.p2align	8
	.type	_ZN7rocprim17ROCPRIM_400000_NS6detail17trampoline_kernelINS0_14default_configENS1_35radix_sort_onesweep_config_selectorIyyEEZZNS1_29radix_sort_onesweep_iterationIS3_Lb0EN6thrust23THRUST_200600_302600_NS6detail15normal_iteratorINS8_10device_ptrIyEEEESD_SD_SD_jNS0_19identity_decomposerENS1_16block_id_wrapperIjLb0EEEEE10hipError_tT1_PNSt15iterator_traitsISI_E10value_typeET2_T3_PNSJ_ISO_E10value_typeET4_T5_PST_SU_PNS1_23onesweep_lookback_stateEbbT6_jjT7_P12ihipStream_tbENKUlT_T0_SI_SN_E_clISD_PySD_S15_EEDaS11_S12_SI_SN_EUlS11_E_NS1_11comp_targetILNS1_3genE2ELNS1_11target_archE906ELNS1_3gpuE6ELNS1_3repE0EEENS1_47radix_sort_onesweep_sort_config_static_selectorELNS0_4arch9wavefront6targetE1EEEvSI_,@function
_ZN7rocprim17ROCPRIM_400000_NS6detail17trampoline_kernelINS0_14default_configENS1_35radix_sort_onesweep_config_selectorIyyEEZZNS1_29radix_sort_onesweep_iterationIS3_Lb0EN6thrust23THRUST_200600_302600_NS6detail15normal_iteratorINS8_10device_ptrIyEEEESD_SD_SD_jNS0_19identity_decomposerENS1_16block_id_wrapperIjLb0EEEEE10hipError_tT1_PNSt15iterator_traitsISI_E10value_typeET2_T3_PNSJ_ISO_E10value_typeET4_T5_PST_SU_PNS1_23onesweep_lookback_stateEbbT6_jjT7_P12ihipStream_tbENKUlT_T0_SI_SN_E_clISD_PySD_S15_EEDaS11_S12_SI_SN_EUlS11_E_NS1_11comp_targetILNS1_3genE2ELNS1_11target_archE906ELNS1_3gpuE6ELNS1_3repE0EEENS1_47radix_sort_onesweep_sort_config_static_selectorELNS0_4arch9wavefront6targetE1EEEvSI_: ; @_ZN7rocprim17ROCPRIM_400000_NS6detail17trampoline_kernelINS0_14default_configENS1_35radix_sort_onesweep_config_selectorIyyEEZZNS1_29radix_sort_onesweep_iterationIS3_Lb0EN6thrust23THRUST_200600_302600_NS6detail15normal_iteratorINS8_10device_ptrIyEEEESD_SD_SD_jNS0_19identity_decomposerENS1_16block_id_wrapperIjLb0EEEEE10hipError_tT1_PNSt15iterator_traitsISI_E10value_typeET2_T3_PNSJ_ISO_E10value_typeET4_T5_PST_SU_PNS1_23onesweep_lookback_stateEbbT6_jjT7_P12ihipStream_tbENKUlT_T0_SI_SN_E_clISD_PySD_S15_EEDaS11_S12_SI_SN_EUlS11_E_NS1_11comp_targetILNS1_3genE2ELNS1_11target_archE906ELNS1_3gpuE6ELNS1_3repE0EEENS1_47radix_sort_onesweep_sort_config_static_selectorELNS0_4arch9wavefront6targetE1EEEvSI_
; %bb.0:
	.section	.rodata,"a",@progbits
	.p2align	6, 0x0
	.amdhsa_kernel _ZN7rocprim17ROCPRIM_400000_NS6detail17trampoline_kernelINS0_14default_configENS1_35radix_sort_onesweep_config_selectorIyyEEZZNS1_29radix_sort_onesweep_iterationIS3_Lb0EN6thrust23THRUST_200600_302600_NS6detail15normal_iteratorINS8_10device_ptrIyEEEESD_SD_SD_jNS0_19identity_decomposerENS1_16block_id_wrapperIjLb0EEEEE10hipError_tT1_PNSt15iterator_traitsISI_E10value_typeET2_T3_PNSJ_ISO_E10value_typeET4_T5_PST_SU_PNS1_23onesweep_lookback_stateEbbT6_jjT7_P12ihipStream_tbENKUlT_T0_SI_SN_E_clISD_PySD_S15_EEDaS11_S12_SI_SN_EUlS11_E_NS1_11comp_targetILNS1_3genE2ELNS1_11target_archE906ELNS1_3gpuE6ELNS1_3repE0EEENS1_47radix_sort_onesweep_sort_config_static_selectorELNS0_4arch9wavefront6targetE1EEEvSI_
		.amdhsa_group_segment_fixed_size 0
		.amdhsa_private_segment_fixed_size 0
		.amdhsa_kernarg_size 88
		.amdhsa_user_sgpr_count 2
		.amdhsa_user_sgpr_dispatch_ptr 0
		.amdhsa_user_sgpr_queue_ptr 0
		.amdhsa_user_sgpr_kernarg_segment_ptr 1
		.amdhsa_user_sgpr_dispatch_id 0
		.amdhsa_user_sgpr_kernarg_preload_length 0
		.amdhsa_user_sgpr_kernarg_preload_offset 0
		.amdhsa_user_sgpr_private_segment_size 0
		.amdhsa_uses_dynamic_stack 0
		.amdhsa_enable_private_segment 0
		.amdhsa_system_sgpr_workgroup_id_x 1
		.amdhsa_system_sgpr_workgroup_id_y 0
		.amdhsa_system_sgpr_workgroup_id_z 0
		.amdhsa_system_sgpr_workgroup_info 0
		.amdhsa_system_vgpr_workitem_id 0
		.amdhsa_next_free_vgpr 1
		.amdhsa_next_free_sgpr 0
		.amdhsa_accum_offset 4
		.amdhsa_reserve_vcc 0
		.amdhsa_float_round_mode_32 0
		.amdhsa_float_round_mode_16_64 0
		.amdhsa_float_denorm_mode_32 3
		.amdhsa_float_denorm_mode_16_64 3
		.amdhsa_dx10_clamp 1
		.amdhsa_ieee_mode 1
		.amdhsa_fp16_overflow 0
		.amdhsa_tg_split 0
		.amdhsa_exception_fp_ieee_invalid_op 0
		.amdhsa_exception_fp_denorm_src 0
		.amdhsa_exception_fp_ieee_div_zero 0
		.amdhsa_exception_fp_ieee_overflow 0
		.amdhsa_exception_fp_ieee_underflow 0
		.amdhsa_exception_fp_ieee_inexact 0
		.amdhsa_exception_int_div_zero 0
	.end_amdhsa_kernel
	.section	.text._ZN7rocprim17ROCPRIM_400000_NS6detail17trampoline_kernelINS0_14default_configENS1_35radix_sort_onesweep_config_selectorIyyEEZZNS1_29radix_sort_onesweep_iterationIS3_Lb0EN6thrust23THRUST_200600_302600_NS6detail15normal_iteratorINS8_10device_ptrIyEEEESD_SD_SD_jNS0_19identity_decomposerENS1_16block_id_wrapperIjLb0EEEEE10hipError_tT1_PNSt15iterator_traitsISI_E10value_typeET2_T3_PNSJ_ISO_E10value_typeET4_T5_PST_SU_PNS1_23onesweep_lookback_stateEbbT6_jjT7_P12ihipStream_tbENKUlT_T0_SI_SN_E_clISD_PySD_S15_EEDaS11_S12_SI_SN_EUlS11_E_NS1_11comp_targetILNS1_3genE2ELNS1_11target_archE906ELNS1_3gpuE6ELNS1_3repE0EEENS1_47radix_sort_onesweep_sort_config_static_selectorELNS0_4arch9wavefront6targetE1EEEvSI_,"axG",@progbits,_ZN7rocprim17ROCPRIM_400000_NS6detail17trampoline_kernelINS0_14default_configENS1_35radix_sort_onesweep_config_selectorIyyEEZZNS1_29radix_sort_onesweep_iterationIS3_Lb0EN6thrust23THRUST_200600_302600_NS6detail15normal_iteratorINS8_10device_ptrIyEEEESD_SD_SD_jNS0_19identity_decomposerENS1_16block_id_wrapperIjLb0EEEEE10hipError_tT1_PNSt15iterator_traitsISI_E10value_typeET2_T3_PNSJ_ISO_E10value_typeET4_T5_PST_SU_PNS1_23onesweep_lookback_stateEbbT6_jjT7_P12ihipStream_tbENKUlT_T0_SI_SN_E_clISD_PySD_S15_EEDaS11_S12_SI_SN_EUlS11_E_NS1_11comp_targetILNS1_3genE2ELNS1_11target_archE906ELNS1_3gpuE6ELNS1_3repE0EEENS1_47radix_sort_onesweep_sort_config_static_selectorELNS0_4arch9wavefront6targetE1EEEvSI_,comdat
.Lfunc_end567:
	.size	_ZN7rocprim17ROCPRIM_400000_NS6detail17trampoline_kernelINS0_14default_configENS1_35radix_sort_onesweep_config_selectorIyyEEZZNS1_29radix_sort_onesweep_iterationIS3_Lb0EN6thrust23THRUST_200600_302600_NS6detail15normal_iteratorINS8_10device_ptrIyEEEESD_SD_SD_jNS0_19identity_decomposerENS1_16block_id_wrapperIjLb0EEEEE10hipError_tT1_PNSt15iterator_traitsISI_E10value_typeET2_T3_PNSJ_ISO_E10value_typeET4_T5_PST_SU_PNS1_23onesweep_lookback_stateEbbT6_jjT7_P12ihipStream_tbENKUlT_T0_SI_SN_E_clISD_PySD_S15_EEDaS11_S12_SI_SN_EUlS11_E_NS1_11comp_targetILNS1_3genE2ELNS1_11target_archE906ELNS1_3gpuE6ELNS1_3repE0EEENS1_47radix_sort_onesweep_sort_config_static_selectorELNS0_4arch9wavefront6targetE1EEEvSI_, .Lfunc_end567-_ZN7rocprim17ROCPRIM_400000_NS6detail17trampoline_kernelINS0_14default_configENS1_35radix_sort_onesweep_config_selectorIyyEEZZNS1_29radix_sort_onesweep_iterationIS3_Lb0EN6thrust23THRUST_200600_302600_NS6detail15normal_iteratorINS8_10device_ptrIyEEEESD_SD_SD_jNS0_19identity_decomposerENS1_16block_id_wrapperIjLb0EEEEE10hipError_tT1_PNSt15iterator_traitsISI_E10value_typeET2_T3_PNSJ_ISO_E10value_typeET4_T5_PST_SU_PNS1_23onesweep_lookback_stateEbbT6_jjT7_P12ihipStream_tbENKUlT_T0_SI_SN_E_clISD_PySD_S15_EEDaS11_S12_SI_SN_EUlS11_E_NS1_11comp_targetILNS1_3genE2ELNS1_11target_archE906ELNS1_3gpuE6ELNS1_3repE0EEENS1_47radix_sort_onesweep_sort_config_static_selectorELNS0_4arch9wavefront6targetE1EEEvSI_
                                        ; -- End function
	.set _ZN7rocprim17ROCPRIM_400000_NS6detail17trampoline_kernelINS0_14default_configENS1_35radix_sort_onesweep_config_selectorIyyEEZZNS1_29radix_sort_onesweep_iterationIS3_Lb0EN6thrust23THRUST_200600_302600_NS6detail15normal_iteratorINS8_10device_ptrIyEEEESD_SD_SD_jNS0_19identity_decomposerENS1_16block_id_wrapperIjLb0EEEEE10hipError_tT1_PNSt15iterator_traitsISI_E10value_typeET2_T3_PNSJ_ISO_E10value_typeET4_T5_PST_SU_PNS1_23onesweep_lookback_stateEbbT6_jjT7_P12ihipStream_tbENKUlT_T0_SI_SN_E_clISD_PySD_S15_EEDaS11_S12_SI_SN_EUlS11_E_NS1_11comp_targetILNS1_3genE2ELNS1_11target_archE906ELNS1_3gpuE6ELNS1_3repE0EEENS1_47radix_sort_onesweep_sort_config_static_selectorELNS0_4arch9wavefront6targetE1EEEvSI_.num_vgpr, 0
	.set _ZN7rocprim17ROCPRIM_400000_NS6detail17trampoline_kernelINS0_14default_configENS1_35radix_sort_onesweep_config_selectorIyyEEZZNS1_29radix_sort_onesweep_iterationIS3_Lb0EN6thrust23THRUST_200600_302600_NS6detail15normal_iteratorINS8_10device_ptrIyEEEESD_SD_SD_jNS0_19identity_decomposerENS1_16block_id_wrapperIjLb0EEEEE10hipError_tT1_PNSt15iterator_traitsISI_E10value_typeET2_T3_PNSJ_ISO_E10value_typeET4_T5_PST_SU_PNS1_23onesweep_lookback_stateEbbT6_jjT7_P12ihipStream_tbENKUlT_T0_SI_SN_E_clISD_PySD_S15_EEDaS11_S12_SI_SN_EUlS11_E_NS1_11comp_targetILNS1_3genE2ELNS1_11target_archE906ELNS1_3gpuE6ELNS1_3repE0EEENS1_47radix_sort_onesweep_sort_config_static_selectorELNS0_4arch9wavefront6targetE1EEEvSI_.num_agpr, 0
	.set _ZN7rocprim17ROCPRIM_400000_NS6detail17trampoline_kernelINS0_14default_configENS1_35radix_sort_onesweep_config_selectorIyyEEZZNS1_29radix_sort_onesweep_iterationIS3_Lb0EN6thrust23THRUST_200600_302600_NS6detail15normal_iteratorINS8_10device_ptrIyEEEESD_SD_SD_jNS0_19identity_decomposerENS1_16block_id_wrapperIjLb0EEEEE10hipError_tT1_PNSt15iterator_traitsISI_E10value_typeET2_T3_PNSJ_ISO_E10value_typeET4_T5_PST_SU_PNS1_23onesweep_lookback_stateEbbT6_jjT7_P12ihipStream_tbENKUlT_T0_SI_SN_E_clISD_PySD_S15_EEDaS11_S12_SI_SN_EUlS11_E_NS1_11comp_targetILNS1_3genE2ELNS1_11target_archE906ELNS1_3gpuE6ELNS1_3repE0EEENS1_47radix_sort_onesweep_sort_config_static_selectorELNS0_4arch9wavefront6targetE1EEEvSI_.numbered_sgpr, 0
	.set _ZN7rocprim17ROCPRIM_400000_NS6detail17trampoline_kernelINS0_14default_configENS1_35radix_sort_onesweep_config_selectorIyyEEZZNS1_29radix_sort_onesweep_iterationIS3_Lb0EN6thrust23THRUST_200600_302600_NS6detail15normal_iteratorINS8_10device_ptrIyEEEESD_SD_SD_jNS0_19identity_decomposerENS1_16block_id_wrapperIjLb0EEEEE10hipError_tT1_PNSt15iterator_traitsISI_E10value_typeET2_T3_PNSJ_ISO_E10value_typeET4_T5_PST_SU_PNS1_23onesweep_lookback_stateEbbT6_jjT7_P12ihipStream_tbENKUlT_T0_SI_SN_E_clISD_PySD_S15_EEDaS11_S12_SI_SN_EUlS11_E_NS1_11comp_targetILNS1_3genE2ELNS1_11target_archE906ELNS1_3gpuE6ELNS1_3repE0EEENS1_47radix_sort_onesweep_sort_config_static_selectorELNS0_4arch9wavefront6targetE1EEEvSI_.num_named_barrier, 0
	.set _ZN7rocprim17ROCPRIM_400000_NS6detail17trampoline_kernelINS0_14default_configENS1_35radix_sort_onesweep_config_selectorIyyEEZZNS1_29radix_sort_onesweep_iterationIS3_Lb0EN6thrust23THRUST_200600_302600_NS6detail15normal_iteratorINS8_10device_ptrIyEEEESD_SD_SD_jNS0_19identity_decomposerENS1_16block_id_wrapperIjLb0EEEEE10hipError_tT1_PNSt15iterator_traitsISI_E10value_typeET2_T3_PNSJ_ISO_E10value_typeET4_T5_PST_SU_PNS1_23onesweep_lookback_stateEbbT6_jjT7_P12ihipStream_tbENKUlT_T0_SI_SN_E_clISD_PySD_S15_EEDaS11_S12_SI_SN_EUlS11_E_NS1_11comp_targetILNS1_3genE2ELNS1_11target_archE906ELNS1_3gpuE6ELNS1_3repE0EEENS1_47radix_sort_onesweep_sort_config_static_selectorELNS0_4arch9wavefront6targetE1EEEvSI_.private_seg_size, 0
	.set _ZN7rocprim17ROCPRIM_400000_NS6detail17trampoline_kernelINS0_14default_configENS1_35radix_sort_onesweep_config_selectorIyyEEZZNS1_29radix_sort_onesweep_iterationIS3_Lb0EN6thrust23THRUST_200600_302600_NS6detail15normal_iteratorINS8_10device_ptrIyEEEESD_SD_SD_jNS0_19identity_decomposerENS1_16block_id_wrapperIjLb0EEEEE10hipError_tT1_PNSt15iterator_traitsISI_E10value_typeET2_T3_PNSJ_ISO_E10value_typeET4_T5_PST_SU_PNS1_23onesweep_lookback_stateEbbT6_jjT7_P12ihipStream_tbENKUlT_T0_SI_SN_E_clISD_PySD_S15_EEDaS11_S12_SI_SN_EUlS11_E_NS1_11comp_targetILNS1_3genE2ELNS1_11target_archE906ELNS1_3gpuE6ELNS1_3repE0EEENS1_47radix_sort_onesweep_sort_config_static_selectorELNS0_4arch9wavefront6targetE1EEEvSI_.uses_vcc, 0
	.set _ZN7rocprim17ROCPRIM_400000_NS6detail17trampoline_kernelINS0_14default_configENS1_35radix_sort_onesweep_config_selectorIyyEEZZNS1_29radix_sort_onesweep_iterationIS3_Lb0EN6thrust23THRUST_200600_302600_NS6detail15normal_iteratorINS8_10device_ptrIyEEEESD_SD_SD_jNS0_19identity_decomposerENS1_16block_id_wrapperIjLb0EEEEE10hipError_tT1_PNSt15iterator_traitsISI_E10value_typeET2_T3_PNSJ_ISO_E10value_typeET4_T5_PST_SU_PNS1_23onesweep_lookback_stateEbbT6_jjT7_P12ihipStream_tbENKUlT_T0_SI_SN_E_clISD_PySD_S15_EEDaS11_S12_SI_SN_EUlS11_E_NS1_11comp_targetILNS1_3genE2ELNS1_11target_archE906ELNS1_3gpuE6ELNS1_3repE0EEENS1_47radix_sort_onesweep_sort_config_static_selectorELNS0_4arch9wavefront6targetE1EEEvSI_.uses_flat_scratch, 0
	.set _ZN7rocprim17ROCPRIM_400000_NS6detail17trampoline_kernelINS0_14default_configENS1_35radix_sort_onesweep_config_selectorIyyEEZZNS1_29radix_sort_onesweep_iterationIS3_Lb0EN6thrust23THRUST_200600_302600_NS6detail15normal_iteratorINS8_10device_ptrIyEEEESD_SD_SD_jNS0_19identity_decomposerENS1_16block_id_wrapperIjLb0EEEEE10hipError_tT1_PNSt15iterator_traitsISI_E10value_typeET2_T3_PNSJ_ISO_E10value_typeET4_T5_PST_SU_PNS1_23onesweep_lookback_stateEbbT6_jjT7_P12ihipStream_tbENKUlT_T0_SI_SN_E_clISD_PySD_S15_EEDaS11_S12_SI_SN_EUlS11_E_NS1_11comp_targetILNS1_3genE2ELNS1_11target_archE906ELNS1_3gpuE6ELNS1_3repE0EEENS1_47radix_sort_onesweep_sort_config_static_selectorELNS0_4arch9wavefront6targetE1EEEvSI_.has_dyn_sized_stack, 0
	.set _ZN7rocprim17ROCPRIM_400000_NS6detail17trampoline_kernelINS0_14default_configENS1_35radix_sort_onesweep_config_selectorIyyEEZZNS1_29radix_sort_onesweep_iterationIS3_Lb0EN6thrust23THRUST_200600_302600_NS6detail15normal_iteratorINS8_10device_ptrIyEEEESD_SD_SD_jNS0_19identity_decomposerENS1_16block_id_wrapperIjLb0EEEEE10hipError_tT1_PNSt15iterator_traitsISI_E10value_typeET2_T3_PNSJ_ISO_E10value_typeET4_T5_PST_SU_PNS1_23onesweep_lookback_stateEbbT6_jjT7_P12ihipStream_tbENKUlT_T0_SI_SN_E_clISD_PySD_S15_EEDaS11_S12_SI_SN_EUlS11_E_NS1_11comp_targetILNS1_3genE2ELNS1_11target_archE906ELNS1_3gpuE6ELNS1_3repE0EEENS1_47radix_sort_onesweep_sort_config_static_selectorELNS0_4arch9wavefront6targetE1EEEvSI_.has_recursion, 0
	.set _ZN7rocprim17ROCPRIM_400000_NS6detail17trampoline_kernelINS0_14default_configENS1_35radix_sort_onesweep_config_selectorIyyEEZZNS1_29radix_sort_onesweep_iterationIS3_Lb0EN6thrust23THRUST_200600_302600_NS6detail15normal_iteratorINS8_10device_ptrIyEEEESD_SD_SD_jNS0_19identity_decomposerENS1_16block_id_wrapperIjLb0EEEEE10hipError_tT1_PNSt15iterator_traitsISI_E10value_typeET2_T3_PNSJ_ISO_E10value_typeET4_T5_PST_SU_PNS1_23onesweep_lookback_stateEbbT6_jjT7_P12ihipStream_tbENKUlT_T0_SI_SN_E_clISD_PySD_S15_EEDaS11_S12_SI_SN_EUlS11_E_NS1_11comp_targetILNS1_3genE2ELNS1_11target_archE906ELNS1_3gpuE6ELNS1_3repE0EEENS1_47radix_sort_onesweep_sort_config_static_selectorELNS0_4arch9wavefront6targetE1EEEvSI_.has_indirect_call, 0
	.section	.AMDGPU.csdata,"",@progbits
; Kernel info:
; codeLenInByte = 0
; TotalNumSgprs: 6
; NumVgprs: 0
; NumAgprs: 0
; TotalNumVgprs: 0
; ScratchSize: 0
; MemoryBound: 0
; FloatMode: 240
; IeeeMode: 1
; LDSByteSize: 0 bytes/workgroup (compile time only)
; SGPRBlocks: 0
; VGPRBlocks: 0
; NumSGPRsForWavesPerEU: 6
; NumVGPRsForWavesPerEU: 1
; AccumOffset: 4
; Occupancy: 8
; WaveLimiterHint : 0
; COMPUTE_PGM_RSRC2:SCRATCH_EN: 0
; COMPUTE_PGM_RSRC2:USER_SGPR: 2
; COMPUTE_PGM_RSRC2:TRAP_HANDLER: 0
; COMPUTE_PGM_RSRC2:TGID_X_EN: 1
; COMPUTE_PGM_RSRC2:TGID_Y_EN: 0
; COMPUTE_PGM_RSRC2:TGID_Z_EN: 0
; COMPUTE_PGM_RSRC2:TIDIG_COMP_CNT: 0
; COMPUTE_PGM_RSRC3_GFX90A:ACCUM_OFFSET: 0
; COMPUTE_PGM_RSRC3_GFX90A:TG_SPLIT: 0
	.section	.text._ZN7rocprim17ROCPRIM_400000_NS6detail17trampoline_kernelINS0_14default_configENS1_35radix_sort_onesweep_config_selectorIyyEEZZNS1_29radix_sort_onesweep_iterationIS3_Lb0EN6thrust23THRUST_200600_302600_NS6detail15normal_iteratorINS8_10device_ptrIyEEEESD_SD_SD_jNS0_19identity_decomposerENS1_16block_id_wrapperIjLb0EEEEE10hipError_tT1_PNSt15iterator_traitsISI_E10value_typeET2_T3_PNSJ_ISO_E10value_typeET4_T5_PST_SU_PNS1_23onesweep_lookback_stateEbbT6_jjT7_P12ihipStream_tbENKUlT_T0_SI_SN_E_clISD_PySD_S15_EEDaS11_S12_SI_SN_EUlS11_E_NS1_11comp_targetILNS1_3genE4ELNS1_11target_archE910ELNS1_3gpuE8ELNS1_3repE0EEENS1_47radix_sort_onesweep_sort_config_static_selectorELNS0_4arch9wavefront6targetE1EEEvSI_,"axG",@progbits,_ZN7rocprim17ROCPRIM_400000_NS6detail17trampoline_kernelINS0_14default_configENS1_35radix_sort_onesweep_config_selectorIyyEEZZNS1_29radix_sort_onesweep_iterationIS3_Lb0EN6thrust23THRUST_200600_302600_NS6detail15normal_iteratorINS8_10device_ptrIyEEEESD_SD_SD_jNS0_19identity_decomposerENS1_16block_id_wrapperIjLb0EEEEE10hipError_tT1_PNSt15iterator_traitsISI_E10value_typeET2_T3_PNSJ_ISO_E10value_typeET4_T5_PST_SU_PNS1_23onesweep_lookback_stateEbbT6_jjT7_P12ihipStream_tbENKUlT_T0_SI_SN_E_clISD_PySD_S15_EEDaS11_S12_SI_SN_EUlS11_E_NS1_11comp_targetILNS1_3genE4ELNS1_11target_archE910ELNS1_3gpuE8ELNS1_3repE0EEENS1_47radix_sort_onesweep_sort_config_static_selectorELNS0_4arch9wavefront6targetE1EEEvSI_,comdat
	.protected	_ZN7rocprim17ROCPRIM_400000_NS6detail17trampoline_kernelINS0_14default_configENS1_35radix_sort_onesweep_config_selectorIyyEEZZNS1_29radix_sort_onesweep_iterationIS3_Lb0EN6thrust23THRUST_200600_302600_NS6detail15normal_iteratorINS8_10device_ptrIyEEEESD_SD_SD_jNS0_19identity_decomposerENS1_16block_id_wrapperIjLb0EEEEE10hipError_tT1_PNSt15iterator_traitsISI_E10value_typeET2_T3_PNSJ_ISO_E10value_typeET4_T5_PST_SU_PNS1_23onesweep_lookback_stateEbbT6_jjT7_P12ihipStream_tbENKUlT_T0_SI_SN_E_clISD_PySD_S15_EEDaS11_S12_SI_SN_EUlS11_E_NS1_11comp_targetILNS1_3genE4ELNS1_11target_archE910ELNS1_3gpuE8ELNS1_3repE0EEENS1_47radix_sort_onesweep_sort_config_static_selectorELNS0_4arch9wavefront6targetE1EEEvSI_ ; -- Begin function _ZN7rocprim17ROCPRIM_400000_NS6detail17trampoline_kernelINS0_14default_configENS1_35radix_sort_onesweep_config_selectorIyyEEZZNS1_29radix_sort_onesweep_iterationIS3_Lb0EN6thrust23THRUST_200600_302600_NS6detail15normal_iteratorINS8_10device_ptrIyEEEESD_SD_SD_jNS0_19identity_decomposerENS1_16block_id_wrapperIjLb0EEEEE10hipError_tT1_PNSt15iterator_traitsISI_E10value_typeET2_T3_PNSJ_ISO_E10value_typeET4_T5_PST_SU_PNS1_23onesweep_lookback_stateEbbT6_jjT7_P12ihipStream_tbENKUlT_T0_SI_SN_E_clISD_PySD_S15_EEDaS11_S12_SI_SN_EUlS11_E_NS1_11comp_targetILNS1_3genE4ELNS1_11target_archE910ELNS1_3gpuE8ELNS1_3repE0EEENS1_47radix_sort_onesweep_sort_config_static_selectorELNS0_4arch9wavefront6targetE1EEEvSI_
	.globl	_ZN7rocprim17ROCPRIM_400000_NS6detail17trampoline_kernelINS0_14default_configENS1_35radix_sort_onesweep_config_selectorIyyEEZZNS1_29radix_sort_onesweep_iterationIS3_Lb0EN6thrust23THRUST_200600_302600_NS6detail15normal_iteratorINS8_10device_ptrIyEEEESD_SD_SD_jNS0_19identity_decomposerENS1_16block_id_wrapperIjLb0EEEEE10hipError_tT1_PNSt15iterator_traitsISI_E10value_typeET2_T3_PNSJ_ISO_E10value_typeET4_T5_PST_SU_PNS1_23onesweep_lookback_stateEbbT6_jjT7_P12ihipStream_tbENKUlT_T0_SI_SN_E_clISD_PySD_S15_EEDaS11_S12_SI_SN_EUlS11_E_NS1_11comp_targetILNS1_3genE4ELNS1_11target_archE910ELNS1_3gpuE8ELNS1_3repE0EEENS1_47radix_sort_onesweep_sort_config_static_selectorELNS0_4arch9wavefront6targetE1EEEvSI_
	.p2align	8
	.type	_ZN7rocprim17ROCPRIM_400000_NS6detail17trampoline_kernelINS0_14default_configENS1_35radix_sort_onesweep_config_selectorIyyEEZZNS1_29radix_sort_onesweep_iterationIS3_Lb0EN6thrust23THRUST_200600_302600_NS6detail15normal_iteratorINS8_10device_ptrIyEEEESD_SD_SD_jNS0_19identity_decomposerENS1_16block_id_wrapperIjLb0EEEEE10hipError_tT1_PNSt15iterator_traitsISI_E10value_typeET2_T3_PNSJ_ISO_E10value_typeET4_T5_PST_SU_PNS1_23onesweep_lookback_stateEbbT6_jjT7_P12ihipStream_tbENKUlT_T0_SI_SN_E_clISD_PySD_S15_EEDaS11_S12_SI_SN_EUlS11_E_NS1_11comp_targetILNS1_3genE4ELNS1_11target_archE910ELNS1_3gpuE8ELNS1_3repE0EEENS1_47radix_sort_onesweep_sort_config_static_selectorELNS0_4arch9wavefront6targetE1EEEvSI_,@function
_ZN7rocprim17ROCPRIM_400000_NS6detail17trampoline_kernelINS0_14default_configENS1_35radix_sort_onesweep_config_selectorIyyEEZZNS1_29radix_sort_onesweep_iterationIS3_Lb0EN6thrust23THRUST_200600_302600_NS6detail15normal_iteratorINS8_10device_ptrIyEEEESD_SD_SD_jNS0_19identity_decomposerENS1_16block_id_wrapperIjLb0EEEEE10hipError_tT1_PNSt15iterator_traitsISI_E10value_typeET2_T3_PNSJ_ISO_E10value_typeET4_T5_PST_SU_PNS1_23onesweep_lookback_stateEbbT6_jjT7_P12ihipStream_tbENKUlT_T0_SI_SN_E_clISD_PySD_S15_EEDaS11_S12_SI_SN_EUlS11_E_NS1_11comp_targetILNS1_3genE4ELNS1_11target_archE910ELNS1_3gpuE8ELNS1_3repE0EEENS1_47radix_sort_onesweep_sort_config_static_selectorELNS0_4arch9wavefront6targetE1EEEvSI_: ; @_ZN7rocprim17ROCPRIM_400000_NS6detail17trampoline_kernelINS0_14default_configENS1_35radix_sort_onesweep_config_selectorIyyEEZZNS1_29radix_sort_onesweep_iterationIS3_Lb0EN6thrust23THRUST_200600_302600_NS6detail15normal_iteratorINS8_10device_ptrIyEEEESD_SD_SD_jNS0_19identity_decomposerENS1_16block_id_wrapperIjLb0EEEEE10hipError_tT1_PNSt15iterator_traitsISI_E10value_typeET2_T3_PNSJ_ISO_E10value_typeET4_T5_PST_SU_PNS1_23onesweep_lookback_stateEbbT6_jjT7_P12ihipStream_tbENKUlT_T0_SI_SN_E_clISD_PySD_S15_EEDaS11_S12_SI_SN_EUlS11_E_NS1_11comp_targetILNS1_3genE4ELNS1_11target_archE910ELNS1_3gpuE8ELNS1_3repE0EEENS1_47radix_sort_onesweep_sort_config_static_selectorELNS0_4arch9wavefront6targetE1EEEvSI_
; %bb.0:
	.section	.rodata,"a",@progbits
	.p2align	6, 0x0
	.amdhsa_kernel _ZN7rocprim17ROCPRIM_400000_NS6detail17trampoline_kernelINS0_14default_configENS1_35radix_sort_onesweep_config_selectorIyyEEZZNS1_29radix_sort_onesweep_iterationIS3_Lb0EN6thrust23THRUST_200600_302600_NS6detail15normal_iteratorINS8_10device_ptrIyEEEESD_SD_SD_jNS0_19identity_decomposerENS1_16block_id_wrapperIjLb0EEEEE10hipError_tT1_PNSt15iterator_traitsISI_E10value_typeET2_T3_PNSJ_ISO_E10value_typeET4_T5_PST_SU_PNS1_23onesweep_lookback_stateEbbT6_jjT7_P12ihipStream_tbENKUlT_T0_SI_SN_E_clISD_PySD_S15_EEDaS11_S12_SI_SN_EUlS11_E_NS1_11comp_targetILNS1_3genE4ELNS1_11target_archE910ELNS1_3gpuE8ELNS1_3repE0EEENS1_47radix_sort_onesweep_sort_config_static_selectorELNS0_4arch9wavefront6targetE1EEEvSI_
		.amdhsa_group_segment_fixed_size 0
		.amdhsa_private_segment_fixed_size 0
		.amdhsa_kernarg_size 88
		.amdhsa_user_sgpr_count 2
		.amdhsa_user_sgpr_dispatch_ptr 0
		.amdhsa_user_sgpr_queue_ptr 0
		.amdhsa_user_sgpr_kernarg_segment_ptr 1
		.amdhsa_user_sgpr_dispatch_id 0
		.amdhsa_user_sgpr_kernarg_preload_length 0
		.amdhsa_user_sgpr_kernarg_preload_offset 0
		.amdhsa_user_sgpr_private_segment_size 0
		.amdhsa_uses_dynamic_stack 0
		.amdhsa_enable_private_segment 0
		.amdhsa_system_sgpr_workgroup_id_x 1
		.amdhsa_system_sgpr_workgroup_id_y 0
		.amdhsa_system_sgpr_workgroup_id_z 0
		.amdhsa_system_sgpr_workgroup_info 0
		.amdhsa_system_vgpr_workitem_id 0
		.amdhsa_next_free_vgpr 1
		.amdhsa_next_free_sgpr 0
		.amdhsa_accum_offset 4
		.amdhsa_reserve_vcc 0
		.amdhsa_float_round_mode_32 0
		.amdhsa_float_round_mode_16_64 0
		.amdhsa_float_denorm_mode_32 3
		.amdhsa_float_denorm_mode_16_64 3
		.amdhsa_dx10_clamp 1
		.amdhsa_ieee_mode 1
		.amdhsa_fp16_overflow 0
		.amdhsa_tg_split 0
		.amdhsa_exception_fp_ieee_invalid_op 0
		.amdhsa_exception_fp_denorm_src 0
		.amdhsa_exception_fp_ieee_div_zero 0
		.amdhsa_exception_fp_ieee_overflow 0
		.amdhsa_exception_fp_ieee_underflow 0
		.amdhsa_exception_fp_ieee_inexact 0
		.amdhsa_exception_int_div_zero 0
	.end_amdhsa_kernel
	.section	.text._ZN7rocprim17ROCPRIM_400000_NS6detail17trampoline_kernelINS0_14default_configENS1_35radix_sort_onesweep_config_selectorIyyEEZZNS1_29radix_sort_onesweep_iterationIS3_Lb0EN6thrust23THRUST_200600_302600_NS6detail15normal_iteratorINS8_10device_ptrIyEEEESD_SD_SD_jNS0_19identity_decomposerENS1_16block_id_wrapperIjLb0EEEEE10hipError_tT1_PNSt15iterator_traitsISI_E10value_typeET2_T3_PNSJ_ISO_E10value_typeET4_T5_PST_SU_PNS1_23onesweep_lookback_stateEbbT6_jjT7_P12ihipStream_tbENKUlT_T0_SI_SN_E_clISD_PySD_S15_EEDaS11_S12_SI_SN_EUlS11_E_NS1_11comp_targetILNS1_3genE4ELNS1_11target_archE910ELNS1_3gpuE8ELNS1_3repE0EEENS1_47radix_sort_onesweep_sort_config_static_selectorELNS0_4arch9wavefront6targetE1EEEvSI_,"axG",@progbits,_ZN7rocprim17ROCPRIM_400000_NS6detail17trampoline_kernelINS0_14default_configENS1_35radix_sort_onesweep_config_selectorIyyEEZZNS1_29radix_sort_onesweep_iterationIS3_Lb0EN6thrust23THRUST_200600_302600_NS6detail15normal_iteratorINS8_10device_ptrIyEEEESD_SD_SD_jNS0_19identity_decomposerENS1_16block_id_wrapperIjLb0EEEEE10hipError_tT1_PNSt15iterator_traitsISI_E10value_typeET2_T3_PNSJ_ISO_E10value_typeET4_T5_PST_SU_PNS1_23onesweep_lookback_stateEbbT6_jjT7_P12ihipStream_tbENKUlT_T0_SI_SN_E_clISD_PySD_S15_EEDaS11_S12_SI_SN_EUlS11_E_NS1_11comp_targetILNS1_3genE4ELNS1_11target_archE910ELNS1_3gpuE8ELNS1_3repE0EEENS1_47radix_sort_onesweep_sort_config_static_selectorELNS0_4arch9wavefront6targetE1EEEvSI_,comdat
.Lfunc_end568:
	.size	_ZN7rocprim17ROCPRIM_400000_NS6detail17trampoline_kernelINS0_14default_configENS1_35radix_sort_onesweep_config_selectorIyyEEZZNS1_29radix_sort_onesweep_iterationIS3_Lb0EN6thrust23THRUST_200600_302600_NS6detail15normal_iteratorINS8_10device_ptrIyEEEESD_SD_SD_jNS0_19identity_decomposerENS1_16block_id_wrapperIjLb0EEEEE10hipError_tT1_PNSt15iterator_traitsISI_E10value_typeET2_T3_PNSJ_ISO_E10value_typeET4_T5_PST_SU_PNS1_23onesweep_lookback_stateEbbT6_jjT7_P12ihipStream_tbENKUlT_T0_SI_SN_E_clISD_PySD_S15_EEDaS11_S12_SI_SN_EUlS11_E_NS1_11comp_targetILNS1_3genE4ELNS1_11target_archE910ELNS1_3gpuE8ELNS1_3repE0EEENS1_47radix_sort_onesweep_sort_config_static_selectorELNS0_4arch9wavefront6targetE1EEEvSI_, .Lfunc_end568-_ZN7rocprim17ROCPRIM_400000_NS6detail17trampoline_kernelINS0_14default_configENS1_35radix_sort_onesweep_config_selectorIyyEEZZNS1_29radix_sort_onesweep_iterationIS3_Lb0EN6thrust23THRUST_200600_302600_NS6detail15normal_iteratorINS8_10device_ptrIyEEEESD_SD_SD_jNS0_19identity_decomposerENS1_16block_id_wrapperIjLb0EEEEE10hipError_tT1_PNSt15iterator_traitsISI_E10value_typeET2_T3_PNSJ_ISO_E10value_typeET4_T5_PST_SU_PNS1_23onesweep_lookback_stateEbbT6_jjT7_P12ihipStream_tbENKUlT_T0_SI_SN_E_clISD_PySD_S15_EEDaS11_S12_SI_SN_EUlS11_E_NS1_11comp_targetILNS1_3genE4ELNS1_11target_archE910ELNS1_3gpuE8ELNS1_3repE0EEENS1_47radix_sort_onesweep_sort_config_static_selectorELNS0_4arch9wavefront6targetE1EEEvSI_
                                        ; -- End function
	.set _ZN7rocprim17ROCPRIM_400000_NS6detail17trampoline_kernelINS0_14default_configENS1_35radix_sort_onesweep_config_selectorIyyEEZZNS1_29radix_sort_onesweep_iterationIS3_Lb0EN6thrust23THRUST_200600_302600_NS6detail15normal_iteratorINS8_10device_ptrIyEEEESD_SD_SD_jNS0_19identity_decomposerENS1_16block_id_wrapperIjLb0EEEEE10hipError_tT1_PNSt15iterator_traitsISI_E10value_typeET2_T3_PNSJ_ISO_E10value_typeET4_T5_PST_SU_PNS1_23onesweep_lookback_stateEbbT6_jjT7_P12ihipStream_tbENKUlT_T0_SI_SN_E_clISD_PySD_S15_EEDaS11_S12_SI_SN_EUlS11_E_NS1_11comp_targetILNS1_3genE4ELNS1_11target_archE910ELNS1_3gpuE8ELNS1_3repE0EEENS1_47radix_sort_onesweep_sort_config_static_selectorELNS0_4arch9wavefront6targetE1EEEvSI_.num_vgpr, 0
	.set _ZN7rocprim17ROCPRIM_400000_NS6detail17trampoline_kernelINS0_14default_configENS1_35radix_sort_onesweep_config_selectorIyyEEZZNS1_29radix_sort_onesweep_iterationIS3_Lb0EN6thrust23THRUST_200600_302600_NS6detail15normal_iteratorINS8_10device_ptrIyEEEESD_SD_SD_jNS0_19identity_decomposerENS1_16block_id_wrapperIjLb0EEEEE10hipError_tT1_PNSt15iterator_traitsISI_E10value_typeET2_T3_PNSJ_ISO_E10value_typeET4_T5_PST_SU_PNS1_23onesweep_lookback_stateEbbT6_jjT7_P12ihipStream_tbENKUlT_T0_SI_SN_E_clISD_PySD_S15_EEDaS11_S12_SI_SN_EUlS11_E_NS1_11comp_targetILNS1_3genE4ELNS1_11target_archE910ELNS1_3gpuE8ELNS1_3repE0EEENS1_47radix_sort_onesweep_sort_config_static_selectorELNS0_4arch9wavefront6targetE1EEEvSI_.num_agpr, 0
	.set _ZN7rocprim17ROCPRIM_400000_NS6detail17trampoline_kernelINS0_14default_configENS1_35radix_sort_onesweep_config_selectorIyyEEZZNS1_29radix_sort_onesweep_iterationIS3_Lb0EN6thrust23THRUST_200600_302600_NS6detail15normal_iteratorINS8_10device_ptrIyEEEESD_SD_SD_jNS0_19identity_decomposerENS1_16block_id_wrapperIjLb0EEEEE10hipError_tT1_PNSt15iterator_traitsISI_E10value_typeET2_T3_PNSJ_ISO_E10value_typeET4_T5_PST_SU_PNS1_23onesweep_lookback_stateEbbT6_jjT7_P12ihipStream_tbENKUlT_T0_SI_SN_E_clISD_PySD_S15_EEDaS11_S12_SI_SN_EUlS11_E_NS1_11comp_targetILNS1_3genE4ELNS1_11target_archE910ELNS1_3gpuE8ELNS1_3repE0EEENS1_47radix_sort_onesweep_sort_config_static_selectorELNS0_4arch9wavefront6targetE1EEEvSI_.numbered_sgpr, 0
	.set _ZN7rocprim17ROCPRIM_400000_NS6detail17trampoline_kernelINS0_14default_configENS1_35radix_sort_onesweep_config_selectorIyyEEZZNS1_29radix_sort_onesweep_iterationIS3_Lb0EN6thrust23THRUST_200600_302600_NS6detail15normal_iteratorINS8_10device_ptrIyEEEESD_SD_SD_jNS0_19identity_decomposerENS1_16block_id_wrapperIjLb0EEEEE10hipError_tT1_PNSt15iterator_traitsISI_E10value_typeET2_T3_PNSJ_ISO_E10value_typeET4_T5_PST_SU_PNS1_23onesweep_lookback_stateEbbT6_jjT7_P12ihipStream_tbENKUlT_T0_SI_SN_E_clISD_PySD_S15_EEDaS11_S12_SI_SN_EUlS11_E_NS1_11comp_targetILNS1_3genE4ELNS1_11target_archE910ELNS1_3gpuE8ELNS1_3repE0EEENS1_47radix_sort_onesweep_sort_config_static_selectorELNS0_4arch9wavefront6targetE1EEEvSI_.num_named_barrier, 0
	.set _ZN7rocprim17ROCPRIM_400000_NS6detail17trampoline_kernelINS0_14default_configENS1_35radix_sort_onesweep_config_selectorIyyEEZZNS1_29radix_sort_onesweep_iterationIS3_Lb0EN6thrust23THRUST_200600_302600_NS6detail15normal_iteratorINS8_10device_ptrIyEEEESD_SD_SD_jNS0_19identity_decomposerENS1_16block_id_wrapperIjLb0EEEEE10hipError_tT1_PNSt15iterator_traitsISI_E10value_typeET2_T3_PNSJ_ISO_E10value_typeET4_T5_PST_SU_PNS1_23onesweep_lookback_stateEbbT6_jjT7_P12ihipStream_tbENKUlT_T0_SI_SN_E_clISD_PySD_S15_EEDaS11_S12_SI_SN_EUlS11_E_NS1_11comp_targetILNS1_3genE4ELNS1_11target_archE910ELNS1_3gpuE8ELNS1_3repE0EEENS1_47radix_sort_onesweep_sort_config_static_selectorELNS0_4arch9wavefront6targetE1EEEvSI_.private_seg_size, 0
	.set _ZN7rocprim17ROCPRIM_400000_NS6detail17trampoline_kernelINS0_14default_configENS1_35radix_sort_onesweep_config_selectorIyyEEZZNS1_29radix_sort_onesweep_iterationIS3_Lb0EN6thrust23THRUST_200600_302600_NS6detail15normal_iteratorINS8_10device_ptrIyEEEESD_SD_SD_jNS0_19identity_decomposerENS1_16block_id_wrapperIjLb0EEEEE10hipError_tT1_PNSt15iterator_traitsISI_E10value_typeET2_T3_PNSJ_ISO_E10value_typeET4_T5_PST_SU_PNS1_23onesweep_lookback_stateEbbT6_jjT7_P12ihipStream_tbENKUlT_T0_SI_SN_E_clISD_PySD_S15_EEDaS11_S12_SI_SN_EUlS11_E_NS1_11comp_targetILNS1_3genE4ELNS1_11target_archE910ELNS1_3gpuE8ELNS1_3repE0EEENS1_47radix_sort_onesweep_sort_config_static_selectorELNS0_4arch9wavefront6targetE1EEEvSI_.uses_vcc, 0
	.set _ZN7rocprim17ROCPRIM_400000_NS6detail17trampoline_kernelINS0_14default_configENS1_35radix_sort_onesweep_config_selectorIyyEEZZNS1_29radix_sort_onesweep_iterationIS3_Lb0EN6thrust23THRUST_200600_302600_NS6detail15normal_iteratorINS8_10device_ptrIyEEEESD_SD_SD_jNS0_19identity_decomposerENS1_16block_id_wrapperIjLb0EEEEE10hipError_tT1_PNSt15iterator_traitsISI_E10value_typeET2_T3_PNSJ_ISO_E10value_typeET4_T5_PST_SU_PNS1_23onesweep_lookback_stateEbbT6_jjT7_P12ihipStream_tbENKUlT_T0_SI_SN_E_clISD_PySD_S15_EEDaS11_S12_SI_SN_EUlS11_E_NS1_11comp_targetILNS1_3genE4ELNS1_11target_archE910ELNS1_3gpuE8ELNS1_3repE0EEENS1_47radix_sort_onesweep_sort_config_static_selectorELNS0_4arch9wavefront6targetE1EEEvSI_.uses_flat_scratch, 0
	.set _ZN7rocprim17ROCPRIM_400000_NS6detail17trampoline_kernelINS0_14default_configENS1_35radix_sort_onesweep_config_selectorIyyEEZZNS1_29radix_sort_onesweep_iterationIS3_Lb0EN6thrust23THRUST_200600_302600_NS6detail15normal_iteratorINS8_10device_ptrIyEEEESD_SD_SD_jNS0_19identity_decomposerENS1_16block_id_wrapperIjLb0EEEEE10hipError_tT1_PNSt15iterator_traitsISI_E10value_typeET2_T3_PNSJ_ISO_E10value_typeET4_T5_PST_SU_PNS1_23onesweep_lookback_stateEbbT6_jjT7_P12ihipStream_tbENKUlT_T0_SI_SN_E_clISD_PySD_S15_EEDaS11_S12_SI_SN_EUlS11_E_NS1_11comp_targetILNS1_3genE4ELNS1_11target_archE910ELNS1_3gpuE8ELNS1_3repE0EEENS1_47radix_sort_onesweep_sort_config_static_selectorELNS0_4arch9wavefront6targetE1EEEvSI_.has_dyn_sized_stack, 0
	.set _ZN7rocprim17ROCPRIM_400000_NS6detail17trampoline_kernelINS0_14default_configENS1_35radix_sort_onesweep_config_selectorIyyEEZZNS1_29radix_sort_onesweep_iterationIS3_Lb0EN6thrust23THRUST_200600_302600_NS6detail15normal_iteratorINS8_10device_ptrIyEEEESD_SD_SD_jNS0_19identity_decomposerENS1_16block_id_wrapperIjLb0EEEEE10hipError_tT1_PNSt15iterator_traitsISI_E10value_typeET2_T3_PNSJ_ISO_E10value_typeET4_T5_PST_SU_PNS1_23onesweep_lookback_stateEbbT6_jjT7_P12ihipStream_tbENKUlT_T0_SI_SN_E_clISD_PySD_S15_EEDaS11_S12_SI_SN_EUlS11_E_NS1_11comp_targetILNS1_3genE4ELNS1_11target_archE910ELNS1_3gpuE8ELNS1_3repE0EEENS1_47radix_sort_onesweep_sort_config_static_selectorELNS0_4arch9wavefront6targetE1EEEvSI_.has_recursion, 0
	.set _ZN7rocprim17ROCPRIM_400000_NS6detail17trampoline_kernelINS0_14default_configENS1_35radix_sort_onesweep_config_selectorIyyEEZZNS1_29radix_sort_onesweep_iterationIS3_Lb0EN6thrust23THRUST_200600_302600_NS6detail15normal_iteratorINS8_10device_ptrIyEEEESD_SD_SD_jNS0_19identity_decomposerENS1_16block_id_wrapperIjLb0EEEEE10hipError_tT1_PNSt15iterator_traitsISI_E10value_typeET2_T3_PNSJ_ISO_E10value_typeET4_T5_PST_SU_PNS1_23onesweep_lookback_stateEbbT6_jjT7_P12ihipStream_tbENKUlT_T0_SI_SN_E_clISD_PySD_S15_EEDaS11_S12_SI_SN_EUlS11_E_NS1_11comp_targetILNS1_3genE4ELNS1_11target_archE910ELNS1_3gpuE8ELNS1_3repE0EEENS1_47radix_sort_onesweep_sort_config_static_selectorELNS0_4arch9wavefront6targetE1EEEvSI_.has_indirect_call, 0
	.section	.AMDGPU.csdata,"",@progbits
; Kernel info:
; codeLenInByte = 0
; TotalNumSgprs: 6
; NumVgprs: 0
; NumAgprs: 0
; TotalNumVgprs: 0
; ScratchSize: 0
; MemoryBound: 0
; FloatMode: 240
; IeeeMode: 1
; LDSByteSize: 0 bytes/workgroup (compile time only)
; SGPRBlocks: 0
; VGPRBlocks: 0
; NumSGPRsForWavesPerEU: 6
; NumVGPRsForWavesPerEU: 1
; AccumOffset: 4
; Occupancy: 8
; WaveLimiterHint : 0
; COMPUTE_PGM_RSRC2:SCRATCH_EN: 0
; COMPUTE_PGM_RSRC2:USER_SGPR: 2
; COMPUTE_PGM_RSRC2:TRAP_HANDLER: 0
; COMPUTE_PGM_RSRC2:TGID_X_EN: 1
; COMPUTE_PGM_RSRC2:TGID_Y_EN: 0
; COMPUTE_PGM_RSRC2:TGID_Z_EN: 0
; COMPUTE_PGM_RSRC2:TIDIG_COMP_CNT: 0
; COMPUTE_PGM_RSRC3_GFX90A:ACCUM_OFFSET: 0
; COMPUTE_PGM_RSRC3_GFX90A:TG_SPLIT: 0
	.section	.text._ZN7rocprim17ROCPRIM_400000_NS6detail17trampoline_kernelINS0_14default_configENS1_35radix_sort_onesweep_config_selectorIyyEEZZNS1_29radix_sort_onesweep_iterationIS3_Lb0EN6thrust23THRUST_200600_302600_NS6detail15normal_iteratorINS8_10device_ptrIyEEEESD_SD_SD_jNS0_19identity_decomposerENS1_16block_id_wrapperIjLb0EEEEE10hipError_tT1_PNSt15iterator_traitsISI_E10value_typeET2_T3_PNSJ_ISO_E10value_typeET4_T5_PST_SU_PNS1_23onesweep_lookback_stateEbbT6_jjT7_P12ihipStream_tbENKUlT_T0_SI_SN_E_clISD_PySD_S15_EEDaS11_S12_SI_SN_EUlS11_E_NS1_11comp_targetILNS1_3genE3ELNS1_11target_archE908ELNS1_3gpuE7ELNS1_3repE0EEENS1_47radix_sort_onesweep_sort_config_static_selectorELNS0_4arch9wavefront6targetE1EEEvSI_,"axG",@progbits,_ZN7rocprim17ROCPRIM_400000_NS6detail17trampoline_kernelINS0_14default_configENS1_35radix_sort_onesweep_config_selectorIyyEEZZNS1_29radix_sort_onesweep_iterationIS3_Lb0EN6thrust23THRUST_200600_302600_NS6detail15normal_iteratorINS8_10device_ptrIyEEEESD_SD_SD_jNS0_19identity_decomposerENS1_16block_id_wrapperIjLb0EEEEE10hipError_tT1_PNSt15iterator_traitsISI_E10value_typeET2_T3_PNSJ_ISO_E10value_typeET4_T5_PST_SU_PNS1_23onesweep_lookback_stateEbbT6_jjT7_P12ihipStream_tbENKUlT_T0_SI_SN_E_clISD_PySD_S15_EEDaS11_S12_SI_SN_EUlS11_E_NS1_11comp_targetILNS1_3genE3ELNS1_11target_archE908ELNS1_3gpuE7ELNS1_3repE0EEENS1_47radix_sort_onesweep_sort_config_static_selectorELNS0_4arch9wavefront6targetE1EEEvSI_,comdat
	.protected	_ZN7rocprim17ROCPRIM_400000_NS6detail17trampoline_kernelINS0_14default_configENS1_35radix_sort_onesweep_config_selectorIyyEEZZNS1_29radix_sort_onesweep_iterationIS3_Lb0EN6thrust23THRUST_200600_302600_NS6detail15normal_iteratorINS8_10device_ptrIyEEEESD_SD_SD_jNS0_19identity_decomposerENS1_16block_id_wrapperIjLb0EEEEE10hipError_tT1_PNSt15iterator_traitsISI_E10value_typeET2_T3_PNSJ_ISO_E10value_typeET4_T5_PST_SU_PNS1_23onesweep_lookback_stateEbbT6_jjT7_P12ihipStream_tbENKUlT_T0_SI_SN_E_clISD_PySD_S15_EEDaS11_S12_SI_SN_EUlS11_E_NS1_11comp_targetILNS1_3genE3ELNS1_11target_archE908ELNS1_3gpuE7ELNS1_3repE0EEENS1_47radix_sort_onesweep_sort_config_static_selectorELNS0_4arch9wavefront6targetE1EEEvSI_ ; -- Begin function _ZN7rocprim17ROCPRIM_400000_NS6detail17trampoline_kernelINS0_14default_configENS1_35radix_sort_onesweep_config_selectorIyyEEZZNS1_29radix_sort_onesweep_iterationIS3_Lb0EN6thrust23THRUST_200600_302600_NS6detail15normal_iteratorINS8_10device_ptrIyEEEESD_SD_SD_jNS0_19identity_decomposerENS1_16block_id_wrapperIjLb0EEEEE10hipError_tT1_PNSt15iterator_traitsISI_E10value_typeET2_T3_PNSJ_ISO_E10value_typeET4_T5_PST_SU_PNS1_23onesweep_lookback_stateEbbT6_jjT7_P12ihipStream_tbENKUlT_T0_SI_SN_E_clISD_PySD_S15_EEDaS11_S12_SI_SN_EUlS11_E_NS1_11comp_targetILNS1_3genE3ELNS1_11target_archE908ELNS1_3gpuE7ELNS1_3repE0EEENS1_47radix_sort_onesweep_sort_config_static_selectorELNS0_4arch9wavefront6targetE1EEEvSI_
	.globl	_ZN7rocprim17ROCPRIM_400000_NS6detail17trampoline_kernelINS0_14default_configENS1_35radix_sort_onesweep_config_selectorIyyEEZZNS1_29radix_sort_onesweep_iterationIS3_Lb0EN6thrust23THRUST_200600_302600_NS6detail15normal_iteratorINS8_10device_ptrIyEEEESD_SD_SD_jNS0_19identity_decomposerENS1_16block_id_wrapperIjLb0EEEEE10hipError_tT1_PNSt15iterator_traitsISI_E10value_typeET2_T3_PNSJ_ISO_E10value_typeET4_T5_PST_SU_PNS1_23onesweep_lookback_stateEbbT6_jjT7_P12ihipStream_tbENKUlT_T0_SI_SN_E_clISD_PySD_S15_EEDaS11_S12_SI_SN_EUlS11_E_NS1_11comp_targetILNS1_3genE3ELNS1_11target_archE908ELNS1_3gpuE7ELNS1_3repE0EEENS1_47radix_sort_onesweep_sort_config_static_selectorELNS0_4arch9wavefront6targetE1EEEvSI_
	.p2align	8
	.type	_ZN7rocprim17ROCPRIM_400000_NS6detail17trampoline_kernelINS0_14default_configENS1_35radix_sort_onesweep_config_selectorIyyEEZZNS1_29radix_sort_onesweep_iterationIS3_Lb0EN6thrust23THRUST_200600_302600_NS6detail15normal_iteratorINS8_10device_ptrIyEEEESD_SD_SD_jNS0_19identity_decomposerENS1_16block_id_wrapperIjLb0EEEEE10hipError_tT1_PNSt15iterator_traitsISI_E10value_typeET2_T3_PNSJ_ISO_E10value_typeET4_T5_PST_SU_PNS1_23onesweep_lookback_stateEbbT6_jjT7_P12ihipStream_tbENKUlT_T0_SI_SN_E_clISD_PySD_S15_EEDaS11_S12_SI_SN_EUlS11_E_NS1_11comp_targetILNS1_3genE3ELNS1_11target_archE908ELNS1_3gpuE7ELNS1_3repE0EEENS1_47radix_sort_onesweep_sort_config_static_selectorELNS0_4arch9wavefront6targetE1EEEvSI_,@function
_ZN7rocprim17ROCPRIM_400000_NS6detail17trampoline_kernelINS0_14default_configENS1_35radix_sort_onesweep_config_selectorIyyEEZZNS1_29radix_sort_onesweep_iterationIS3_Lb0EN6thrust23THRUST_200600_302600_NS6detail15normal_iteratorINS8_10device_ptrIyEEEESD_SD_SD_jNS0_19identity_decomposerENS1_16block_id_wrapperIjLb0EEEEE10hipError_tT1_PNSt15iterator_traitsISI_E10value_typeET2_T3_PNSJ_ISO_E10value_typeET4_T5_PST_SU_PNS1_23onesweep_lookback_stateEbbT6_jjT7_P12ihipStream_tbENKUlT_T0_SI_SN_E_clISD_PySD_S15_EEDaS11_S12_SI_SN_EUlS11_E_NS1_11comp_targetILNS1_3genE3ELNS1_11target_archE908ELNS1_3gpuE7ELNS1_3repE0EEENS1_47radix_sort_onesweep_sort_config_static_selectorELNS0_4arch9wavefront6targetE1EEEvSI_: ; @_ZN7rocprim17ROCPRIM_400000_NS6detail17trampoline_kernelINS0_14default_configENS1_35radix_sort_onesweep_config_selectorIyyEEZZNS1_29radix_sort_onesweep_iterationIS3_Lb0EN6thrust23THRUST_200600_302600_NS6detail15normal_iteratorINS8_10device_ptrIyEEEESD_SD_SD_jNS0_19identity_decomposerENS1_16block_id_wrapperIjLb0EEEEE10hipError_tT1_PNSt15iterator_traitsISI_E10value_typeET2_T3_PNSJ_ISO_E10value_typeET4_T5_PST_SU_PNS1_23onesweep_lookback_stateEbbT6_jjT7_P12ihipStream_tbENKUlT_T0_SI_SN_E_clISD_PySD_S15_EEDaS11_S12_SI_SN_EUlS11_E_NS1_11comp_targetILNS1_3genE3ELNS1_11target_archE908ELNS1_3gpuE7ELNS1_3repE0EEENS1_47radix_sort_onesweep_sort_config_static_selectorELNS0_4arch9wavefront6targetE1EEEvSI_
; %bb.0:
	.section	.rodata,"a",@progbits
	.p2align	6, 0x0
	.amdhsa_kernel _ZN7rocprim17ROCPRIM_400000_NS6detail17trampoline_kernelINS0_14default_configENS1_35radix_sort_onesweep_config_selectorIyyEEZZNS1_29radix_sort_onesweep_iterationIS3_Lb0EN6thrust23THRUST_200600_302600_NS6detail15normal_iteratorINS8_10device_ptrIyEEEESD_SD_SD_jNS0_19identity_decomposerENS1_16block_id_wrapperIjLb0EEEEE10hipError_tT1_PNSt15iterator_traitsISI_E10value_typeET2_T3_PNSJ_ISO_E10value_typeET4_T5_PST_SU_PNS1_23onesweep_lookback_stateEbbT6_jjT7_P12ihipStream_tbENKUlT_T0_SI_SN_E_clISD_PySD_S15_EEDaS11_S12_SI_SN_EUlS11_E_NS1_11comp_targetILNS1_3genE3ELNS1_11target_archE908ELNS1_3gpuE7ELNS1_3repE0EEENS1_47radix_sort_onesweep_sort_config_static_selectorELNS0_4arch9wavefront6targetE1EEEvSI_
		.amdhsa_group_segment_fixed_size 0
		.amdhsa_private_segment_fixed_size 0
		.amdhsa_kernarg_size 88
		.amdhsa_user_sgpr_count 2
		.amdhsa_user_sgpr_dispatch_ptr 0
		.amdhsa_user_sgpr_queue_ptr 0
		.amdhsa_user_sgpr_kernarg_segment_ptr 1
		.amdhsa_user_sgpr_dispatch_id 0
		.amdhsa_user_sgpr_kernarg_preload_length 0
		.amdhsa_user_sgpr_kernarg_preload_offset 0
		.amdhsa_user_sgpr_private_segment_size 0
		.amdhsa_uses_dynamic_stack 0
		.amdhsa_enable_private_segment 0
		.amdhsa_system_sgpr_workgroup_id_x 1
		.amdhsa_system_sgpr_workgroup_id_y 0
		.amdhsa_system_sgpr_workgroup_id_z 0
		.amdhsa_system_sgpr_workgroup_info 0
		.amdhsa_system_vgpr_workitem_id 0
		.amdhsa_next_free_vgpr 1
		.amdhsa_next_free_sgpr 0
		.amdhsa_accum_offset 4
		.amdhsa_reserve_vcc 0
		.amdhsa_float_round_mode_32 0
		.amdhsa_float_round_mode_16_64 0
		.amdhsa_float_denorm_mode_32 3
		.amdhsa_float_denorm_mode_16_64 3
		.amdhsa_dx10_clamp 1
		.amdhsa_ieee_mode 1
		.amdhsa_fp16_overflow 0
		.amdhsa_tg_split 0
		.amdhsa_exception_fp_ieee_invalid_op 0
		.amdhsa_exception_fp_denorm_src 0
		.amdhsa_exception_fp_ieee_div_zero 0
		.amdhsa_exception_fp_ieee_overflow 0
		.amdhsa_exception_fp_ieee_underflow 0
		.amdhsa_exception_fp_ieee_inexact 0
		.amdhsa_exception_int_div_zero 0
	.end_amdhsa_kernel
	.section	.text._ZN7rocprim17ROCPRIM_400000_NS6detail17trampoline_kernelINS0_14default_configENS1_35radix_sort_onesweep_config_selectorIyyEEZZNS1_29radix_sort_onesweep_iterationIS3_Lb0EN6thrust23THRUST_200600_302600_NS6detail15normal_iteratorINS8_10device_ptrIyEEEESD_SD_SD_jNS0_19identity_decomposerENS1_16block_id_wrapperIjLb0EEEEE10hipError_tT1_PNSt15iterator_traitsISI_E10value_typeET2_T3_PNSJ_ISO_E10value_typeET4_T5_PST_SU_PNS1_23onesweep_lookback_stateEbbT6_jjT7_P12ihipStream_tbENKUlT_T0_SI_SN_E_clISD_PySD_S15_EEDaS11_S12_SI_SN_EUlS11_E_NS1_11comp_targetILNS1_3genE3ELNS1_11target_archE908ELNS1_3gpuE7ELNS1_3repE0EEENS1_47radix_sort_onesweep_sort_config_static_selectorELNS0_4arch9wavefront6targetE1EEEvSI_,"axG",@progbits,_ZN7rocprim17ROCPRIM_400000_NS6detail17trampoline_kernelINS0_14default_configENS1_35radix_sort_onesweep_config_selectorIyyEEZZNS1_29radix_sort_onesweep_iterationIS3_Lb0EN6thrust23THRUST_200600_302600_NS6detail15normal_iteratorINS8_10device_ptrIyEEEESD_SD_SD_jNS0_19identity_decomposerENS1_16block_id_wrapperIjLb0EEEEE10hipError_tT1_PNSt15iterator_traitsISI_E10value_typeET2_T3_PNSJ_ISO_E10value_typeET4_T5_PST_SU_PNS1_23onesweep_lookback_stateEbbT6_jjT7_P12ihipStream_tbENKUlT_T0_SI_SN_E_clISD_PySD_S15_EEDaS11_S12_SI_SN_EUlS11_E_NS1_11comp_targetILNS1_3genE3ELNS1_11target_archE908ELNS1_3gpuE7ELNS1_3repE0EEENS1_47radix_sort_onesweep_sort_config_static_selectorELNS0_4arch9wavefront6targetE1EEEvSI_,comdat
.Lfunc_end569:
	.size	_ZN7rocprim17ROCPRIM_400000_NS6detail17trampoline_kernelINS0_14default_configENS1_35radix_sort_onesweep_config_selectorIyyEEZZNS1_29radix_sort_onesweep_iterationIS3_Lb0EN6thrust23THRUST_200600_302600_NS6detail15normal_iteratorINS8_10device_ptrIyEEEESD_SD_SD_jNS0_19identity_decomposerENS1_16block_id_wrapperIjLb0EEEEE10hipError_tT1_PNSt15iterator_traitsISI_E10value_typeET2_T3_PNSJ_ISO_E10value_typeET4_T5_PST_SU_PNS1_23onesweep_lookback_stateEbbT6_jjT7_P12ihipStream_tbENKUlT_T0_SI_SN_E_clISD_PySD_S15_EEDaS11_S12_SI_SN_EUlS11_E_NS1_11comp_targetILNS1_3genE3ELNS1_11target_archE908ELNS1_3gpuE7ELNS1_3repE0EEENS1_47radix_sort_onesweep_sort_config_static_selectorELNS0_4arch9wavefront6targetE1EEEvSI_, .Lfunc_end569-_ZN7rocprim17ROCPRIM_400000_NS6detail17trampoline_kernelINS0_14default_configENS1_35radix_sort_onesweep_config_selectorIyyEEZZNS1_29radix_sort_onesweep_iterationIS3_Lb0EN6thrust23THRUST_200600_302600_NS6detail15normal_iteratorINS8_10device_ptrIyEEEESD_SD_SD_jNS0_19identity_decomposerENS1_16block_id_wrapperIjLb0EEEEE10hipError_tT1_PNSt15iterator_traitsISI_E10value_typeET2_T3_PNSJ_ISO_E10value_typeET4_T5_PST_SU_PNS1_23onesweep_lookback_stateEbbT6_jjT7_P12ihipStream_tbENKUlT_T0_SI_SN_E_clISD_PySD_S15_EEDaS11_S12_SI_SN_EUlS11_E_NS1_11comp_targetILNS1_3genE3ELNS1_11target_archE908ELNS1_3gpuE7ELNS1_3repE0EEENS1_47radix_sort_onesweep_sort_config_static_selectorELNS0_4arch9wavefront6targetE1EEEvSI_
                                        ; -- End function
	.set _ZN7rocprim17ROCPRIM_400000_NS6detail17trampoline_kernelINS0_14default_configENS1_35radix_sort_onesweep_config_selectorIyyEEZZNS1_29radix_sort_onesweep_iterationIS3_Lb0EN6thrust23THRUST_200600_302600_NS6detail15normal_iteratorINS8_10device_ptrIyEEEESD_SD_SD_jNS0_19identity_decomposerENS1_16block_id_wrapperIjLb0EEEEE10hipError_tT1_PNSt15iterator_traitsISI_E10value_typeET2_T3_PNSJ_ISO_E10value_typeET4_T5_PST_SU_PNS1_23onesweep_lookback_stateEbbT6_jjT7_P12ihipStream_tbENKUlT_T0_SI_SN_E_clISD_PySD_S15_EEDaS11_S12_SI_SN_EUlS11_E_NS1_11comp_targetILNS1_3genE3ELNS1_11target_archE908ELNS1_3gpuE7ELNS1_3repE0EEENS1_47radix_sort_onesweep_sort_config_static_selectorELNS0_4arch9wavefront6targetE1EEEvSI_.num_vgpr, 0
	.set _ZN7rocprim17ROCPRIM_400000_NS6detail17trampoline_kernelINS0_14default_configENS1_35radix_sort_onesweep_config_selectorIyyEEZZNS1_29radix_sort_onesweep_iterationIS3_Lb0EN6thrust23THRUST_200600_302600_NS6detail15normal_iteratorINS8_10device_ptrIyEEEESD_SD_SD_jNS0_19identity_decomposerENS1_16block_id_wrapperIjLb0EEEEE10hipError_tT1_PNSt15iterator_traitsISI_E10value_typeET2_T3_PNSJ_ISO_E10value_typeET4_T5_PST_SU_PNS1_23onesweep_lookback_stateEbbT6_jjT7_P12ihipStream_tbENKUlT_T0_SI_SN_E_clISD_PySD_S15_EEDaS11_S12_SI_SN_EUlS11_E_NS1_11comp_targetILNS1_3genE3ELNS1_11target_archE908ELNS1_3gpuE7ELNS1_3repE0EEENS1_47radix_sort_onesweep_sort_config_static_selectorELNS0_4arch9wavefront6targetE1EEEvSI_.num_agpr, 0
	.set _ZN7rocprim17ROCPRIM_400000_NS6detail17trampoline_kernelINS0_14default_configENS1_35radix_sort_onesweep_config_selectorIyyEEZZNS1_29radix_sort_onesweep_iterationIS3_Lb0EN6thrust23THRUST_200600_302600_NS6detail15normal_iteratorINS8_10device_ptrIyEEEESD_SD_SD_jNS0_19identity_decomposerENS1_16block_id_wrapperIjLb0EEEEE10hipError_tT1_PNSt15iterator_traitsISI_E10value_typeET2_T3_PNSJ_ISO_E10value_typeET4_T5_PST_SU_PNS1_23onesweep_lookback_stateEbbT6_jjT7_P12ihipStream_tbENKUlT_T0_SI_SN_E_clISD_PySD_S15_EEDaS11_S12_SI_SN_EUlS11_E_NS1_11comp_targetILNS1_3genE3ELNS1_11target_archE908ELNS1_3gpuE7ELNS1_3repE0EEENS1_47radix_sort_onesweep_sort_config_static_selectorELNS0_4arch9wavefront6targetE1EEEvSI_.numbered_sgpr, 0
	.set _ZN7rocprim17ROCPRIM_400000_NS6detail17trampoline_kernelINS0_14default_configENS1_35radix_sort_onesweep_config_selectorIyyEEZZNS1_29radix_sort_onesweep_iterationIS3_Lb0EN6thrust23THRUST_200600_302600_NS6detail15normal_iteratorINS8_10device_ptrIyEEEESD_SD_SD_jNS0_19identity_decomposerENS1_16block_id_wrapperIjLb0EEEEE10hipError_tT1_PNSt15iterator_traitsISI_E10value_typeET2_T3_PNSJ_ISO_E10value_typeET4_T5_PST_SU_PNS1_23onesweep_lookback_stateEbbT6_jjT7_P12ihipStream_tbENKUlT_T0_SI_SN_E_clISD_PySD_S15_EEDaS11_S12_SI_SN_EUlS11_E_NS1_11comp_targetILNS1_3genE3ELNS1_11target_archE908ELNS1_3gpuE7ELNS1_3repE0EEENS1_47radix_sort_onesweep_sort_config_static_selectorELNS0_4arch9wavefront6targetE1EEEvSI_.num_named_barrier, 0
	.set _ZN7rocprim17ROCPRIM_400000_NS6detail17trampoline_kernelINS0_14default_configENS1_35radix_sort_onesweep_config_selectorIyyEEZZNS1_29radix_sort_onesweep_iterationIS3_Lb0EN6thrust23THRUST_200600_302600_NS6detail15normal_iteratorINS8_10device_ptrIyEEEESD_SD_SD_jNS0_19identity_decomposerENS1_16block_id_wrapperIjLb0EEEEE10hipError_tT1_PNSt15iterator_traitsISI_E10value_typeET2_T3_PNSJ_ISO_E10value_typeET4_T5_PST_SU_PNS1_23onesweep_lookback_stateEbbT6_jjT7_P12ihipStream_tbENKUlT_T0_SI_SN_E_clISD_PySD_S15_EEDaS11_S12_SI_SN_EUlS11_E_NS1_11comp_targetILNS1_3genE3ELNS1_11target_archE908ELNS1_3gpuE7ELNS1_3repE0EEENS1_47radix_sort_onesweep_sort_config_static_selectorELNS0_4arch9wavefront6targetE1EEEvSI_.private_seg_size, 0
	.set _ZN7rocprim17ROCPRIM_400000_NS6detail17trampoline_kernelINS0_14default_configENS1_35radix_sort_onesweep_config_selectorIyyEEZZNS1_29radix_sort_onesweep_iterationIS3_Lb0EN6thrust23THRUST_200600_302600_NS6detail15normal_iteratorINS8_10device_ptrIyEEEESD_SD_SD_jNS0_19identity_decomposerENS1_16block_id_wrapperIjLb0EEEEE10hipError_tT1_PNSt15iterator_traitsISI_E10value_typeET2_T3_PNSJ_ISO_E10value_typeET4_T5_PST_SU_PNS1_23onesweep_lookback_stateEbbT6_jjT7_P12ihipStream_tbENKUlT_T0_SI_SN_E_clISD_PySD_S15_EEDaS11_S12_SI_SN_EUlS11_E_NS1_11comp_targetILNS1_3genE3ELNS1_11target_archE908ELNS1_3gpuE7ELNS1_3repE0EEENS1_47radix_sort_onesweep_sort_config_static_selectorELNS0_4arch9wavefront6targetE1EEEvSI_.uses_vcc, 0
	.set _ZN7rocprim17ROCPRIM_400000_NS6detail17trampoline_kernelINS0_14default_configENS1_35radix_sort_onesweep_config_selectorIyyEEZZNS1_29radix_sort_onesweep_iterationIS3_Lb0EN6thrust23THRUST_200600_302600_NS6detail15normal_iteratorINS8_10device_ptrIyEEEESD_SD_SD_jNS0_19identity_decomposerENS1_16block_id_wrapperIjLb0EEEEE10hipError_tT1_PNSt15iterator_traitsISI_E10value_typeET2_T3_PNSJ_ISO_E10value_typeET4_T5_PST_SU_PNS1_23onesweep_lookback_stateEbbT6_jjT7_P12ihipStream_tbENKUlT_T0_SI_SN_E_clISD_PySD_S15_EEDaS11_S12_SI_SN_EUlS11_E_NS1_11comp_targetILNS1_3genE3ELNS1_11target_archE908ELNS1_3gpuE7ELNS1_3repE0EEENS1_47radix_sort_onesweep_sort_config_static_selectorELNS0_4arch9wavefront6targetE1EEEvSI_.uses_flat_scratch, 0
	.set _ZN7rocprim17ROCPRIM_400000_NS6detail17trampoline_kernelINS0_14default_configENS1_35radix_sort_onesweep_config_selectorIyyEEZZNS1_29radix_sort_onesweep_iterationIS3_Lb0EN6thrust23THRUST_200600_302600_NS6detail15normal_iteratorINS8_10device_ptrIyEEEESD_SD_SD_jNS0_19identity_decomposerENS1_16block_id_wrapperIjLb0EEEEE10hipError_tT1_PNSt15iterator_traitsISI_E10value_typeET2_T3_PNSJ_ISO_E10value_typeET4_T5_PST_SU_PNS1_23onesweep_lookback_stateEbbT6_jjT7_P12ihipStream_tbENKUlT_T0_SI_SN_E_clISD_PySD_S15_EEDaS11_S12_SI_SN_EUlS11_E_NS1_11comp_targetILNS1_3genE3ELNS1_11target_archE908ELNS1_3gpuE7ELNS1_3repE0EEENS1_47radix_sort_onesweep_sort_config_static_selectorELNS0_4arch9wavefront6targetE1EEEvSI_.has_dyn_sized_stack, 0
	.set _ZN7rocprim17ROCPRIM_400000_NS6detail17trampoline_kernelINS0_14default_configENS1_35radix_sort_onesweep_config_selectorIyyEEZZNS1_29radix_sort_onesweep_iterationIS3_Lb0EN6thrust23THRUST_200600_302600_NS6detail15normal_iteratorINS8_10device_ptrIyEEEESD_SD_SD_jNS0_19identity_decomposerENS1_16block_id_wrapperIjLb0EEEEE10hipError_tT1_PNSt15iterator_traitsISI_E10value_typeET2_T3_PNSJ_ISO_E10value_typeET4_T5_PST_SU_PNS1_23onesweep_lookback_stateEbbT6_jjT7_P12ihipStream_tbENKUlT_T0_SI_SN_E_clISD_PySD_S15_EEDaS11_S12_SI_SN_EUlS11_E_NS1_11comp_targetILNS1_3genE3ELNS1_11target_archE908ELNS1_3gpuE7ELNS1_3repE0EEENS1_47radix_sort_onesweep_sort_config_static_selectorELNS0_4arch9wavefront6targetE1EEEvSI_.has_recursion, 0
	.set _ZN7rocprim17ROCPRIM_400000_NS6detail17trampoline_kernelINS0_14default_configENS1_35radix_sort_onesweep_config_selectorIyyEEZZNS1_29radix_sort_onesweep_iterationIS3_Lb0EN6thrust23THRUST_200600_302600_NS6detail15normal_iteratorINS8_10device_ptrIyEEEESD_SD_SD_jNS0_19identity_decomposerENS1_16block_id_wrapperIjLb0EEEEE10hipError_tT1_PNSt15iterator_traitsISI_E10value_typeET2_T3_PNSJ_ISO_E10value_typeET4_T5_PST_SU_PNS1_23onesweep_lookback_stateEbbT6_jjT7_P12ihipStream_tbENKUlT_T0_SI_SN_E_clISD_PySD_S15_EEDaS11_S12_SI_SN_EUlS11_E_NS1_11comp_targetILNS1_3genE3ELNS1_11target_archE908ELNS1_3gpuE7ELNS1_3repE0EEENS1_47radix_sort_onesweep_sort_config_static_selectorELNS0_4arch9wavefront6targetE1EEEvSI_.has_indirect_call, 0
	.section	.AMDGPU.csdata,"",@progbits
; Kernel info:
; codeLenInByte = 0
; TotalNumSgprs: 6
; NumVgprs: 0
; NumAgprs: 0
; TotalNumVgprs: 0
; ScratchSize: 0
; MemoryBound: 0
; FloatMode: 240
; IeeeMode: 1
; LDSByteSize: 0 bytes/workgroup (compile time only)
; SGPRBlocks: 0
; VGPRBlocks: 0
; NumSGPRsForWavesPerEU: 6
; NumVGPRsForWavesPerEU: 1
; AccumOffset: 4
; Occupancy: 8
; WaveLimiterHint : 0
; COMPUTE_PGM_RSRC2:SCRATCH_EN: 0
; COMPUTE_PGM_RSRC2:USER_SGPR: 2
; COMPUTE_PGM_RSRC2:TRAP_HANDLER: 0
; COMPUTE_PGM_RSRC2:TGID_X_EN: 1
; COMPUTE_PGM_RSRC2:TGID_Y_EN: 0
; COMPUTE_PGM_RSRC2:TGID_Z_EN: 0
; COMPUTE_PGM_RSRC2:TIDIG_COMP_CNT: 0
; COMPUTE_PGM_RSRC3_GFX90A:ACCUM_OFFSET: 0
; COMPUTE_PGM_RSRC3_GFX90A:TG_SPLIT: 0
	.section	.text._ZN7rocprim17ROCPRIM_400000_NS6detail17trampoline_kernelINS0_14default_configENS1_35radix_sort_onesweep_config_selectorIyyEEZZNS1_29radix_sort_onesweep_iterationIS3_Lb0EN6thrust23THRUST_200600_302600_NS6detail15normal_iteratorINS8_10device_ptrIyEEEESD_SD_SD_jNS0_19identity_decomposerENS1_16block_id_wrapperIjLb0EEEEE10hipError_tT1_PNSt15iterator_traitsISI_E10value_typeET2_T3_PNSJ_ISO_E10value_typeET4_T5_PST_SU_PNS1_23onesweep_lookback_stateEbbT6_jjT7_P12ihipStream_tbENKUlT_T0_SI_SN_E_clISD_PySD_S15_EEDaS11_S12_SI_SN_EUlS11_E_NS1_11comp_targetILNS1_3genE10ELNS1_11target_archE1201ELNS1_3gpuE5ELNS1_3repE0EEENS1_47radix_sort_onesweep_sort_config_static_selectorELNS0_4arch9wavefront6targetE1EEEvSI_,"axG",@progbits,_ZN7rocprim17ROCPRIM_400000_NS6detail17trampoline_kernelINS0_14default_configENS1_35radix_sort_onesweep_config_selectorIyyEEZZNS1_29radix_sort_onesweep_iterationIS3_Lb0EN6thrust23THRUST_200600_302600_NS6detail15normal_iteratorINS8_10device_ptrIyEEEESD_SD_SD_jNS0_19identity_decomposerENS1_16block_id_wrapperIjLb0EEEEE10hipError_tT1_PNSt15iterator_traitsISI_E10value_typeET2_T3_PNSJ_ISO_E10value_typeET4_T5_PST_SU_PNS1_23onesweep_lookback_stateEbbT6_jjT7_P12ihipStream_tbENKUlT_T0_SI_SN_E_clISD_PySD_S15_EEDaS11_S12_SI_SN_EUlS11_E_NS1_11comp_targetILNS1_3genE10ELNS1_11target_archE1201ELNS1_3gpuE5ELNS1_3repE0EEENS1_47radix_sort_onesweep_sort_config_static_selectorELNS0_4arch9wavefront6targetE1EEEvSI_,comdat
	.protected	_ZN7rocprim17ROCPRIM_400000_NS6detail17trampoline_kernelINS0_14default_configENS1_35radix_sort_onesweep_config_selectorIyyEEZZNS1_29radix_sort_onesweep_iterationIS3_Lb0EN6thrust23THRUST_200600_302600_NS6detail15normal_iteratorINS8_10device_ptrIyEEEESD_SD_SD_jNS0_19identity_decomposerENS1_16block_id_wrapperIjLb0EEEEE10hipError_tT1_PNSt15iterator_traitsISI_E10value_typeET2_T3_PNSJ_ISO_E10value_typeET4_T5_PST_SU_PNS1_23onesweep_lookback_stateEbbT6_jjT7_P12ihipStream_tbENKUlT_T0_SI_SN_E_clISD_PySD_S15_EEDaS11_S12_SI_SN_EUlS11_E_NS1_11comp_targetILNS1_3genE10ELNS1_11target_archE1201ELNS1_3gpuE5ELNS1_3repE0EEENS1_47radix_sort_onesweep_sort_config_static_selectorELNS0_4arch9wavefront6targetE1EEEvSI_ ; -- Begin function _ZN7rocprim17ROCPRIM_400000_NS6detail17trampoline_kernelINS0_14default_configENS1_35radix_sort_onesweep_config_selectorIyyEEZZNS1_29radix_sort_onesweep_iterationIS3_Lb0EN6thrust23THRUST_200600_302600_NS6detail15normal_iteratorINS8_10device_ptrIyEEEESD_SD_SD_jNS0_19identity_decomposerENS1_16block_id_wrapperIjLb0EEEEE10hipError_tT1_PNSt15iterator_traitsISI_E10value_typeET2_T3_PNSJ_ISO_E10value_typeET4_T5_PST_SU_PNS1_23onesweep_lookback_stateEbbT6_jjT7_P12ihipStream_tbENKUlT_T0_SI_SN_E_clISD_PySD_S15_EEDaS11_S12_SI_SN_EUlS11_E_NS1_11comp_targetILNS1_3genE10ELNS1_11target_archE1201ELNS1_3gpuE5ELNS1_3repE0EEENS1_47radix_sort_onesweep_sort_config_static_selectorELNS0_4arch9wavefront6targetE1EEEvSI_
	.globl	_ZN7rocprim17ROCPRIM_400000_NS6detail17trampoline_kernelINS0_14default_configENS1_35radix_sort_onesweep_config_selectorIyyEEZZNS1_29radix_sort_onesweep_iterationIS3_Lb0EN6thrust23THRUST_200600_302600_NS6detail15normal_iteratorINS8_10device_ptrIyEEEESD_SD_SD_jNS0_19identity_decomposerENS1_16block_id_wrapperIjLb0EEEEE10hipError_tT1_PNSt15iterator_traitsISI_E10value_typeET2_T3_PNSJ_ISO_E10value_typeET4_T5_PST_SU_PNS1_23onesweep_lookback_stateEbbT6_jjT7_P12ihipStream_tbENKUlT_T0_SI_SN_E_clISD_PySD_S15_EEDaS11_S12_SI_SN_EUlS11_E_NS1_11comp_targetILNS1_3genE10ELNS1_11target_archE1201ELNS1_3gpuE5ELNS1_3repE0EEENS1_47radix_sort_onesweep_sort_config_static_selectorELNS0_4arch9wavefront6targetE1EEEvSI_
	.p2align	8
	.type	_ZN7rocprim17ROCPRIM_400000_NS6detail17trampoline_kernelINS0_14default_configENS1_35radix_sort_onesweep_config_selectorIyyEEZZNS1_29radix_sort_onesweep_iterationIS3_Lb0EN6thrust23THRUST_200600_302600_NS6detail15normal_iteratorINS8_10device_ptrIyEEEESD_SD_SD_jNS0_19identity_decomposerENS1_16block_id_wrapperIjLb0EEEEE10hipError_tT1_PNSt15iterator_traitsISI_E10value_typeET2_T3_PNSJ_ISO_E10value_typeET4_T5_PST_SU_PNS1_23onesweep_lookback_stateEbbT6_jjT7_P12ihipStream_tbENKUlT_T0_SI_SN_E_clISD_PySD_S15_EEDaS11_S12_SI_SN_EUlS11_E_NS1_11comp_targetILNS1_3genE10ELNS1_11target_archE1201ELNS1_3gpuE5ELNS1_3repE0EEENS1_47radix_sort_onesweep_sort_config_static_selectorELNS0_4arch9wavefront6targetE1EEEvSI_,@function
_ZN7rocprim17ROCPRIM_400000_NS6detail17trampoline_kernelINS0_14default_configENS1_35radix_sort_onesweep_config_selectorIyyEEZZNS1_29radix_sort_onesweep_iterationIS3_Lb0EN6thrust23THRUST_200600_302600_NS6detail15normal_iteratorINS8_10device_ptrIyEEEESD_SD_SD_jNS0_19identity_decomposerENS1_16block_id_wrapperIjLb0EEEEE10hipError_tT1_PNSt15iterator_traitsISI_E10value_typeET2_T3_PNSJ_ISO_E10value_typeET4_T5_PST_SU_PNS1_23onesweep_lookback_stateEbbT6_jjT7_P12ihipStream_tbENKUlT_T0_SI_SN_E_clISD_PySD_S15_EEDaS11_S12_SI_SN_EUlS11_E_NS1_11comp_targetILNS1_3genE10ELNS1_11target_archE1201ELNS1_3gpuE5ELNS1_3repE0EEENS1_47radix_sort_onesweep_sort_config_static_selectorELNS0_4arch9wavefront6targetE1EEEvSI_: ; @_ZN7rocprim17ROCPRIM_400000_NS6detail17trampoline_kernelINS0_14default_configENS1_35radix_sort_onesweep_config_selectorIyyEEZZNS1_29radix_sort_onesweep_iterationIS3_Lb0EN6thrust23THRUST_200600_302600_NS6detail15normal_iteratorINS8_10device_ptrIyEEEESD_SD_SD_jNS0_19identity_decomposerENS1_16block_id_wrapperIjLb0EEEEE10hipError_tT1_PNSt15iterator_traitsISI_E10value_typeET2_T3_PNSJ_ISO_E10value_typeET4_T5_PST_SU_PNS1_23onesweep_lookback_stateEbbT6_jjT7_P12ihipStream_tbENKUlT_T0_SI_SN_E_clISD_PySD_S15_EEDaS11_S12_SI_SN_EUlS11_E_NS1_11comp_targetILNS1_3genE10ELNS1_11target_archE1201ELNS1_3gpuE5ELNS1_3repE0EEENS1_47radix_sort_onesweep_sort_config_static_selectorELNS0_4arch9wavefront6targetE1EEEvSI_
; %bb.0:
	.section	.rodata,"a",@progbits
	.p2align	6, 0x0
	.amdhsa_kernel _ZN7rocprim17ROCPRIM_400000_NS6detail17trampoline_kernelINS0_14default_configENS1_35radix_sort_onesweep_config_selectorIyyEEZZNS1_29radix_sort_onesweep_iterationIS3_Lb0EN6thrust23THRUST_200600_302600_NS6detail15normal_iteratorINS8_10device_ptrIyEEEESD_SD_SD_jNS0_19identity_decomposerENS1_16block_id_wrapperIjLb0EEEEE10hipError_tT1_PNSt15iterator_traitsISI_E10value_typeET2_T3_PNSJ_ISO_E10value_typeET4_T5_PST_SU_PNS1_23onesweep_lookback_stateEbbT6_jjT7_P12ihipStream_tbENKUlT_T0_SI_SN_E_clISD_PySD_S15_EEDaS11_S12_SI_SN_EUlS11_E_NS1_11comp_targetILNS1_3genE10ELNS1_11target_archE1201ELNS1_3gpuE5ELNS1_3repE0EEENS1_47radix_sort_onesweep_sort_config_static_selectorELNS0_4arch9wavefront6targetE1EEEvSI_
		.amdhsa_group_segment_fixed_size 0
		.amdhsa_private_segment_fixed_size 0
		.amdhsa_kernarg_size 88
		.amdhsa_user_sgpr_count 2
		.amdhsa_user_sgpr_dispatch_ptr 0
		.amdhsa_user_sgpr_queue_ptr 0
		.amdhsa_user_sgpr_kernarg_segment_ptr 1
		.amdhsa_user_sgpr_dispatch_id 0
		.amdhsa_user_sgpr_kernarg_preload_length 0
		.amdhsa_user_sgpr_kernarg_preload_offset 0
		.amdhsa_user_sgpr_private_segment_size 0
		.amdhsa_uses_dynamic_stack 0
		.amdhsa_enable_private_segment 0
		.amdhsa_system_sgpr_workgroup_id_x 1
		.amdhsa_system_sgpr_workgroup_id_y 0
		.amdhsa_system_sgpr_workgroup_id_z 0
		.amdhsa_system_sgpr_workgroup_info 0
		.amdhsa_system_vgpr_workitem_id 0
		.amdhsa_next_free_vgpr 1
		.amdhsa_next_free_sgpr 0
		.amdhsa_accum_offset 4
		.amdhsa_reserve_vcc 0
		.amdhsa_float_round_mode_32 0
		.amdhsa_float_round_mode_16_64 0
		.amdhsa_float_denorm_mode_32 3
		.amdhsa_float_denorm_mode_16_64 3
		.amdhsa_dx10_clamp 1
		.amdhsa_ieee_mode 1
		.amdhsa_fp16_overflow 0
		.amdhsa_tg_split 0
		.amdhsa_exception_fp_ieee_invalid_op 0
		.amdhsa_exception_fp_denorm_src 0
		.amdhsa_exception_fp_ieee_div_zero 0
		.amdhsa_exception_fp_ieee_overflow 0
		.amdhsa_exception_fp_ieee_underflow 0
		.amdhsa_exception_fp_ieee_inexact 0
		.amdhsa_exception_int_div_zero 0
	.end_amdhsa_kernel
	.section	.text._ZN7rocprim17ROCPRIM_400000_NS6detail17trampoline_kernelINS0_14default_configENS1_35radix_sort_onesweep_config_selectorIyyEEZZNS1_29radix_sort_onesweep_iterationIS3_Lb0EN6thrust23THRUST_200600_302600_NS6detail15normal_iteratorINS8_10device_ptrIyEEEESD_SD_SD_jNS0_19identity_decomposerENS1_16block_id_wrapperIjLb0EEEEE10hipError_tT1_PNSt15iterator_traitsISI_E10value_typeET2_T3_PNSJ_ISO_E10value_typeET4_T5_PST_SU_PNS1_23onesweep_lookback_stateEbbT6_jjT7_P12ihipStream_tbENKUlT_T0_SI_SN_E_clISD_PySD_S15_EEDaS11_S12_SI_SN_EUlS11_E_NS1_11comp_targetILNS1_3genE10ELNS1_11target_archE1201ELNS1_3gpuE5ELNS1_3repE0EEENS1_47radix_sort_onesweep_sort_config_static_selectorELNS0_4arch9wavefront6targetE1EEEvSI_,"axG",@progbits,_ZN7rocprim17ROCPRIM_400000_NS6detail17trampoline_kernelINS0_14default_configENS1_35radix_sort_onesweep_config_selectorIyyEEZZNS1_29radix_sort_onesweep_iterationIS3_Lb0EN6thrust23THRUST_200600_302600_NS6detail15normal_iteratorINS8_10device_ptrIyEEEESD_SD_SD_jNS0_19identity_decomposerENS1_16block_id_wrapperIjLb0EEEEE10hipError_tT1_PNSt15iterator_traitsISI_E10value_typeET2_T3_PNSJ_ISO_E10value_typeET4_T5_PST_SU_PNS1_23onesweep_lookback_stateEbbT6_jjT7_P12ihipStream_tbENKUlT_T0_SI_SN_E_clISD_PySD_S15_EEDaS11_S12_SI_SN_EUlS11_E_NS1_11comp_targetILNS1_3genE10ELNS1_11target_archE1201ELNS1_3gpuE5ELNS1_3repE0EEENS1_47radix_sort_onesweep_sort_config_static_selectorELNS0_4arch9wavefront6targetE1EEEvSI_,comdat
.Lfunc_end570:
	.size	_ZN7rocprim17ROCPRIM_400000_NS6detail17trampoline_kernelINS0_14default_configENS1_35radix_sort_onesweep_config_selectorIyyEEZZNS1_29radix_sort_onesweep_iterationIS3_Lb0EN6thrust23THRUST_200600_302600_NS6detail15normal_iteratorINS8_10device_ptrIyEEEESD_SD_SD_jNS0_19identity_decomposerENS1_16block_id_wrapperIjLb0EEEEE10hipError_tT1_PNSt15iterator_traitsISI_E10value_typeET2_T3_PNSJ_ISO_E10value_typeET4_T5_PST_SU_PNS1_23onesweep_lookback_stateEbbT6_jjT7_P12ihipStream_tbENKUlT_T0_SI_SN_E_clISD_PySD_S15_EEDaS11_S12_SI_SN_EUlS11_E_NS1_11comp_targetILNS1_3genE10ELNS1_11target_archE1201ELNS1_3gpuE5ELNS1_3repE0EEENS1_47radix_sort_onesweep_sort_config_static_selectorELNS0_4arch9wavefront6targetE1EEEvSI_, .Lfunc_end570-_ZN7rocprim17ROCPRIM_400000_NS6detail17trampoline_kernelINS0_14default_configENS1_35radix_sort_onesweep_config_selectorIyyEEZZNS1_29radix_sort_onesweep_iterationIS3_Lb0EN6thrust23THRUST_200600_302600_NS6detail15normal_iteratorINS8_10device_ptrIyEEEESD_SD_SD_jNS0_19identity_decomposerENS1_16block_id_wrapperIjLb0EEEEE10hipError_tT1_PNSt15iterator_traitsISI_E10value_typeET2_T3_PNSJ_ISO_E10value_typeET4_T5_PST_SU_PNS1_23onesweep_lookback_stateEbbT6_jjT7_P12ihipStream_tbENKUlT_T0_SI_SN_E_clISD_PySD_S15_EEDaS11_S12_SI_SN_EUlS11_E_NS1_11comp_targetILNS1_3genE10ELNS1_11target_archE1201ELNS1_3gpuE5ELNS1_3repE0EEENS1_47radix_sort_onesweep_sort_config_static_selectorELNS0_4arch9wavefront6targetE1EEEvSI_
                                        ; -- End function
	.set _ZN7rocprim17ROCPRIM_400000_NS6detail17trampoline_kernelINS0_14default_configENS1_35radix_sort_onesweep_config_selectorIyyEEZZNS1_29radix_sort_onesweep_iterationIS3_Lb0EN6thrust23THRUST_200600_302600_NS6detail15normal_iteratorINS8_10device_ptrIyEEEESD_SD_SD_jNS0_19identity_decomposerENS1_16block_id_wrapperIjLb0EEEEE10hipError_tT1_PNSt15iterator_traitsISI_E10value_typeET2_T3_PNSJ_ISO_E10value_typeET4_T5_PST_SU_PNS1_23onesweep_lookback_stateEbbT6_jjT7_P12ihipStream_tbENKUlT_T0_SI_SN_E_clISD_PySD_S15_EEDaS11_S12_SI_SN_EUlS11_E_NS1_11comp_targetILNS1_3genE10ELNS1_11target_archE1201ELNS1_3gpuE5ELNS1_3repE0EEENS1_47radix_sort_onesweep_sort_config_static_selectorELNS0_4arch9wavefront6targetE1EEEvSI_.num_vgpr, 0
	.set _ZN7rocprim17ROCPRIM_400000_NS6detail17trampoline_kernelINS0_14default_configENS1_35radix_sort_onesweep_config_selectorIyyEEZZNS1_29radix_sort_onesweep_iterationIS3_Lb0EN6thrust23THRUST_200600_302600_NS6detail15normal_iteratorINS8_10device_ptrIyEEEESD_SD_SD_jNS0_19identity_decomposerENS1_16block_id_wrapperIjLb0EEEEE10hipError_tT1_PNSt15iterator_traitsISI_E10value_typeET2_T3_PNSJ_ISO_E10value_typeET4_T5_PST_SU_PNS1_23onesweep_lookback_stateEbbT6_jjT7_P12ihipStream_tbENKUlT_T0_SI_SN_E_clISD_PySD_S15_EEDaS11_S12_SI_SN_EUlS11_E_NS1_11comp_targetILNS1_3genE10ELNS1_11target_archE1201ELNS1_3gpuE5ELNS1_3repE0EEENS1_47radix_sort_onesweep_sort_config_static_selectorELNS0_4arch9wavefront6targetE1EEEvSI_.num_agpr, 0
	.set _ZN7rocprim17ROCPRIM_400000_NS6detail17trampoline_kernelINS0_14default_configENS1_35radix_sort_onesweep_config_selectorIyyEEZZNS1_29radix_sort_onesweep_iterationIS3_Lb0EN6thrust23THRUST_200600_302600_NS6detail15normal_iteratorINS8_10device_ptrIyEEEESD_SD_SD_jNS0_19identity_decomposerENS1_16block_id_wrapperIjLb0EEEEE10hipError_tT1_PNSt15iterator_traitsISI_E10value_typeET2_T3_PNSJ_ISO_E10value_typeET4_T5_PST_SU_PNS1_23onesweep_lookback_stateEbbT6_jjT7_P12ihipStream_tbENKUlT_T0_SI_SN_E_clISD_PySD_S15_EEDaS11_S12_SI_SN_EUlS11_E_NS1_11comp_targetILNS1_3genE10ELNS1_11target_archE1201ELNS1_3gpuE5ELNS1_3repE0EEENS1_47radix_sort_onesweep_sort_config_static_selectorELNS0_4arch9wavefront6targetE1EEEvSI_.numbered_sgpr, 0
	.set _ZN7rocprim17ROCPRIM_400000_NS6detail17trampoline_kernelINS0_14default_configENS1_35radix_sort_onesweep_config_selectorIyyEEZZNS1_29radix_sort_onesweep_iterationIS3_Lb0EN6thrust23THRUST_200600_302600_NS6detail15normal_iteratorINS8_10device_ptrIyEEEESD_SD_SD_jNS0_19identity_decomposerENS1_16block_id_wrapperIjLb0EEEEE10hipError_tT1_PNSt15iterator_traitsISI_E10value_typeET2_T3_PNSJ_ISO_E10value_typeET4_T5_PST_SU_PNS1_23onesweep_lookback_stateEbbT6_jjT7_P12ihipStream_tbENKUlT_T0_SI_SN_E_clISD_PySD_S15_EEDaS11_S12_SI_SN_EUlS11_E_NS1_11comp_targetILNS1_3genE10ELNS1_11target_archE1201ELNS1_3gpuE5ELNS1_3repE0EEENS1_47radix_sort_onesweep_sort_config_static_selectorELNS0_4arch9wavefront6targetE1EEEvSI_.num_named_barrier, 0
	.set _ZN7rocprim17ROCPRIM_400000_NS6detail17trampoline_kernelINS0_14default_configENS1_35radix_sort_onesweep_config_selectorIyyEEZZNS1_29radix_sort_onesweep_iterationIS3_Lb0EN6thrust23THRUST_200600_302600_NS6detail15normal_iteratorINS8_10device_ptrIyEEEESD_SD_SD_jNS0_19identity_decomposerENS1_16block_id_wrapperIjLb0EEEEE10hipError_tT1_PNSt15iterator_traitsISI_E10value_typeET2_T3_PNSJ_ISO_E10value_typeET4_T5_PST_SU_PNS1_23onesweep_lookback_stateEbbT6_jjT7_P12ihipStream_tbENKUlT_T0_SI_SN_E_clISD_PySD_S15_EEDaS11_S12_SI_SN_EUlS11_E_NS1_11comp_targetILNS1_3genE10ELNS1_11target_archE1201ELNS1_3gpuE5ELNS1_3repE0EEENS1_47radix_sort_onesweep_sort_config_static_selectorELNS0_4arch9wavefront6targetE1EEEvSI_.private_seg_size, 0
	.set _ZN7rocprim17ROCPRIM_400000_NS6detail17trampoline_kernelINS0_14default_configENS1_35radix_sort_onesweep_config_selectorIyyEEZZNS1_29radix_sort_onesweep_iterationIS3_Lb0EN6thrust23THRUST_200600_302600_NS6detail15normal_iteratorINS8_10device_ptrIyEEEESD_SD_SD_jNS0_19identity_decomposerENS1_16block_id_wrapperIjLb0EEEEE10hipError_tT1_PNSt15iterator_traitsISI_E10value_typeET2_T3_PNSJ_ISO_E10value_typeET4_T5_PST_SU_PNS1_23onesweep_lookback_stateEbbT6_jjT7_P12ihipStream_tbENKUlT_T0_SI_SN_E_clISD_PySD_S15_EEDaS11_S12_SI_SN_EUlS11_E_NS1_11comp_targetILNS1_3genE10ELNS1_11target_archE1201ELNS1_3gpuE5ELNS1_3repE0EEENS1_47radix_sort_onesweep_sort_config_static_selectorELNS0_4arch9wavefront6targetE1EEEvSI_.uses_vcc, 0
	.set _ZN7rocprim17ROCPRIM_400000_NS6detail17trampoline_kernelINS0_14default_configENS1_35radix_sort_onesweep_config_selectorIyyEEZZNS1_29radix_sort_onesweep_iterationIS3_Lb0EN6thrust23THRUST_200600_302600_NS6detail15normal_iteratorINS8_10device_ptrIyEEEESD_SD_SD_jNS0_19identity_decomposerENS1_16block_id_wrapperIjLb0EEEEE10hipError_tT1_PNSt15iterator_traitsISI_E10value_typeET2_T3_PNSJ_ISO_E10value_typeET4_T5_PST_SU_PNS1_23onesweep_lookback_stateEbbT6_jjT7_P12ihipStream_tbENKUlT_T0_SI_SN_E_clISD_PySD_S15_EEDaS11_S12_SI_SN_EUlS11_E_NS1_11comp_targetILNS1_3genE10ELNS1_11target_archE1201ELNS1_3gpuE5ELNS1_3repE0EEENS1_47radix_sort_onesweep_sort_config_static_selectorELNS0_4arch9wavefront6targetE1EEEvSI_.uses_flat_scratch, 0
	.set _ZN7rocprim17ROCPRIM_400000_NS6detail17trampoline_kernelINS0_14default_configENS1_35radix_sort_onesweep_config_selectorIyyEEZZNS1_29radix_sort_onesweep_iterationIS3_Lb0EN6thrust23THRUST_200600_302600_NS6detail15normal_iteratorINS8_10device_ptrIyEEEESD_SD_SD_jNS0_19identity_decomposerENS1_16block_id_wrapperIjLb0EEEEE10hipError_tT1_PNSt15iterator_traitsISI_E10value_typeET2_T3_PNSJ_ISO_E10value_typeET4_T5_PST_SU_PNS1_23onesweep_lookback_stateEbbT6_jjT7_P12ihipStream_tbENKUlT_T0_SI_SN_E_clISD_PySD_S15_EEDaS11_S12_SI_SN_EUlS11_E_NS1_11comp_targetILNS1_3genE10ELNS1_11target_archE1201ELNS1_3gpuE5ELNS1_3repE0EEENS1_47radix_sort_onesweep_sort_config_static_selectorELNS0_4arch9wavefront6targetE1EEEvSI_.has_dyn_sized_stack, 0
	.set _ZN7rocprim17ROCPRIM_400000_NS6detail17trampoline_kernelINS0_14default_configENS1_35radix_sort_onesweep_config_selectorIyyEEZZNS1_29radix_sort_onesweep_iterationIS3_Lb0EN6thrust23THRUST_200600_302600_NS6detail15normal_iteratorINS8_10device_ptrIyEEEESD_SD_SD_jNS0_19identity_decomposerENS1_16block_id_wrapperIjLb0EEEEE10hipError_tT1_PNSt15iterator_traitsISI_E10value_typeET2_T3_PNSJ_ISO_E10value_typeET4_T5_PST_SU_PNS1_23onesweep_lookback_stateEbbT6_jjT7_P12ihipStream_tbENKUlT_T0_SI_SN_E_clISD_PySD_S15_EEDaS11_S12_SI_SN_EUlS11_E_NS1_11comp_targetILNS1_3genE10ELNS1_11target_archE1201ELNS1_3gpuE5ELNS1_3repE0EEENS1_47radix_sort_onesweep_sort_config_static_selectorELNS0_4arch9wavefront6targetE1EEEvSI_.has_recursion, 0
	.set _ZN7rocprim17ROCPRIM_400000_NS6detail17trampoline_kernelINS0_14default_configENS1_35radix_sort_onesweep_config_selectorIyyEEZZNS1_29radix_sort_onesweep_iterationIS3_Lb0EN6thrust23THRUST_200600_302600_NS6detail15normal_iteratorINS8_10device_ptrIyEEEESD_SD_SD_jNS0_19identity_decomposerENS1_16block_id_wrapperIjLb0EEEEE10hipError_tT1_PNSt15iterator_traitsISI_E10value_typeET2_T3_PNSJ_ISO_E10value_typeET4_T5_PST_SU_PNS1_23onesweep_lookback_stateEbbT6_jjT7_P12ihipStream_tbENKUlT_T0_SI_SN_E_clISD_PySD_S15_EEDaS11_S12_SI_SN_EUlS11_E_NS1_11comp_targetILNS1_3genE10ELNS1_11target_archE1201ELNS1_3gpuE5ELNS1_3repE0EEENS1_47radix_sort_onesweep_sort_config_static_selectorELNS0_4arch9wavefront6targetE1EEEvSI_.has_indirect_call, 0
	.section	.AMDGPU.csdata,"",@progbits
; Kernel info:
; codeLenInByte = 0
; TotalNumSgprs: 6
; NumVgprs: 0
; NumAgprs: 0
; TotalNumVgprs: 0
; ScratchSize: 0
; MemoryBound: 0
; FloatMode: 240
; IeeeMode: 1
; LDSByteSize: 0 bytes/workgroup (compile time only)
; SGPRBlocks: 0
; VGPRBlocks: 0
; NumSGPRsForWavesPerEU: 6
; NumVGPRsForWavesPerEU: 1
; AccumOffset: 4
; Occupancy: 8
; WaveLimiterHint : 0
; COMPUTE_PGM_RSRC2:SCRATCH_EN: 0
; COMPUTE_PGM_RSRC2:USER_SGPR: 2
; COMPUTE_PGM_RSRC2:TRAP_HANDLER: 0
; COMPUTE_PGM_RSRC2:TGID_X_EN: 1
; COMPUTE_PGM_RSRC2:TGID_Y_EN: 0
; COMPUTE_PGM_RSRC2:TGID_Z_EN: 0
; COMPUTE_PGM_RSRC2:TIDIG_COMP_CNT: 0
; COMPUTE_PGM_RSRC3_GFX90A:ACCUM_OFFSET: 0
; COMPUTE_PGM_RSRC3_GFX90A:TG_SPLIT: 0
	.section	.text._ZN7rocprim17ROCPRIM_400000_NS6detail17trampoline_kernelINS0_14default_configENS1_35radix_sort_onesweep_config_selectorIyyEEZZNS1_29radix_sort_onesweep_iterationIS3_Lb0EN6thrust23THRUST_200600_302600_NS6detail15normal_iteratorINS8_10device_ptrIyEEEESD_SD_SD_jNS0_19identity_decomposerENS1_16block_id_wrapperIjLb0EEEEE10hipError_tT1_PNSt15iterator_traitsISI_E10value_typeET2_T3_PNSJ_ISO_E10value_typeET4_T5_PST_SU_PNS1_23onesweep_lookback_stateEbbT6_jjT7_P12ihipStream_tbENKUlT_T0_SI_SN_E_clISD_PySD_S15_EEDaS11_S12_SI_SN_EUlS11_E_NS1_11comp_targetILNS1_3genE9ELNS1_11target_archE1100ELNS1_3gpuE3ELNS1_3repE0EEENS1_47radix_sort_onesweep_sort_config_static_selectorELNS0_4arch9wavefront6targetE1EEEvSI_,"axG",@progbits,_ZN7rocprim17ROCPRIM_400000_NS6detail17trampoline_kernelINS0_14default_configENS1_35radix_sort_onesweep_config_selectorIyyEEZZNS1_29radix_sort_onesweep_iterationIS3_Lb0EN6thrust23THRUST_200600_302600_NS6detail15normal_iteratorINS8_10device_ptrIyEEEESD_SD_SD_jNS0_19identity_decomposerENS1_16block_id_wrapperIjLb0EEEEE10hipError_tT1_PNSt15iterator_traitsISI_E10value_typeET2_T3_PNSJ_ISO_E10value_typeET4_T5_PST_SU_PNS1_23onesweep_lookback_stateEbbT6_jjT7_P12ihipStream_tbENKUlT_T0_SI_SN_E_clISD_PySD_S15_EEDaS11_S12_SI_SN_EUlS11_E_NS1_11comp_targetILNS1_3genE9ELNS1_11target_archE1100ELNS1_3gpuE3ELNS1_3repE0EEENS1_47radix_sort_onesweep_sort_config_static_selectorELNS0_4arch9wavefront6targetE1EEEvSI_,comdat
	.protected	_ZN7rocprim17ROCPRIM_400000_NS6detail17trampoline_kernelINS0_14default_configENS1_35radix_sort_onesweep_config_selectorIyyEEZZNS1_29radix_sort_onesweep_iterationIS3_Lb0EN6thrust23THRUST_200600_302600_NS6detail15normal_iteratorINS8_10device_ptrIyEEEESD_SD_SD_jNS0_19identity_decomposerENS1_16block_id_wrapperIjLb0EEEEE10hipError_tT1_PNSt15iterator_traitsISI_E10value_typeET2_T3_PNSJ_ISO_E10value_typeET4_T5_PST_SU_PNS1_23onesweep_lookback_stateEbbT6_jjT7_P12ihipStream_tbENKUlT_T0_SI_SN_E_clISD_PySD_S15_EEDaS11_S12_SI_SN_EUlS11_E_NS1_11comp_targetILNS1_3genE9ELNS1_11target_archE1100ELNS1_3gpuE3ELNS1_3repE0EEENS1_47radix_sort_onesweep_sort_config_static_selectorELNS0_4arch9wavefront6targetE1EEEvSI_ ; -- Begin function _ZN7rocprim17ROCPRIM_400000_NS6detail17trampoline_kernelINS0_14default_configENS1_35radix_sort_onesweep_config_selectorIyyEEZZNS1_29radix_sort_onesweep_iterationIS3_Lb0EN6thrust23THRUST_200600_302600_NS6detail15normal_iteratorINS8_10device_ptrIyEEEESD_SD_SD_jNS0_19identity_decomposerENS1_16block_id_wrapperIjLb0EEEEE10hipError_tT1_PNSt15iterator_traitsISI_E10value_typeET2_T3_PNSJ_ISO_E10value_typeET4_T5_PST_SU_PNS1_23onesweep_lookback_stateEbbT6_jjT7_P12ihipStream_tbENKUlT_T0_SI_SN_E_clISD_PySD_S15_EEDaS11_S12_SI_SN_EUlS11_E_NS1_11comp_targetILNS1_3genE9ELNS1_11target_archE1100ELNS1_3gpuE3ELNS1_3repE0EEENS1_47radix_sort_onesweep_sort_config_static_selectorELNS0_4arch9wavefront6targetE1EEEvSI_
	.globl	_ZN7rocprim17ROCPRIM_400000_NS6detail17trampoline_kernelINS0_14default_configENS1_35radix_sort_onesweep_config_selectorIyyEEZZNS1_29radix_sort_onesweep_iterationIS3_Lb0EN6thrust23THRUST_200600_302600_NS6detail15normal_iteratorINS8_10device_ptrIyEEEESD_SD_SD_jNS0_19identity_decomposerENS1_16block_id_wrapperIjLb0EEEEE10hipError_tT1_PNSt15iterator_traitsISI_E10value_typeET2_T3_PNSJ_ISO_E10value_typeET4_T5_PST_SU_PNS1_23onesweep_lookback_stateEbbT6_jjT7_P12ihipStream_tbENKUlT_T0_SI_SN_E_clISD_PySD_S15_EEDaS11_S12_SI_SN_EUlS11_E_NS1_11comp_targetILNS1_3genE9ELNS1_11target_archE1100ELNS1_3gpuE3ELNS1_3repE0EEENS1_47radix_sort_onesweep_sort_config_static_selectorELNS0_4arch9wavefront6targetE1EEEvSI_
	.p2align	8
	.type	_ZN7rocprim17ROCPRIM_400000_NS6detail17trampoline_kernelINS0_14default_configENS1_35radix_sort_onesweep_config_selectorIyyEEZZNS1_29radix_sort_onesweep_iterationIS3_Lb0EN6thrust23THRUST_200600_302600_NS6detail15normal_iteratorINS8_10device_ptrIyEEEESD_SD_SD_jNS0_19identity_decomposerENS1_16block_id_wrapperIjLb0EEEEE10hipError_tT1_PNSt15iterator_traitsISI_E10value_typeET2_T3_PNSJ_ISO_E10value_typeET4_T5_PST_SU_PNS1_23onesweep_lookback_stateEbbT6_jjT7_P12ihipStream_tbENKUlT_T0_SI_SN_E_clISD_PySD_S15_EEDaS11_S12_SI_SN_EUlS11_E_NS1_11comp_targetILNS1_3genE9ELNS1_11target_archE1100ELNS1_3gpuE3ELNS1_3repE0EEENS1_47radix_sort_onesweep_sort_config_static_selectorELNS0_4arch9wavefront6targetE1EEEvSI_,@function
_ZN7rocprim17ROCPRIM_400000_NS6detail17trampoline_kernelINS0_14default_configENS1_35radix_sort_onesweep_config_selectorIyyEEZZNS1_29radix_sort_onesweep_iterationIS3_Lb0EN6thrust23THRUST_200600_302600_NS6detail15normal_iteratorINS8_10device_ptrIyEEEESD_SD_SD_jNS0_19identity_decomposerENS1_16block_id_wrapperIjLb0EEEEE10hipError_tT1_PNSt15iterator_traitsISI_E10value_typeET2_T3_PNSJ_ISO_E10value_typeET4_T5_PST_SU_PNS1_23onesweep_lookback_stateEbbT6_jjT7_P12ihipStream_tbENKUlT_T0_SI_SN_E_clISD_PySD_S15_EEDaS11_S12_SI_SN_EUlS11_E_NS1_11comp_targetILNS1_3genE9ELNS1_11target_archE1100ELNS1_3gpuE3ELNS1_3repE0EEENS1_47radix_sort_onesweep_sort_config_static_selectorELNS0_4arch9wavefront6targetE1EEEvSI_: ; @_ZN7rocprim17ROCPRIM_400000_NS6detail17trampoline_kernelINS0_14default_configENS1_35radix_sort_onesweep_config_selectorIyyEEZZNS1_29radix_sort_onesweep_iterationIS3_Lb0EN6thrust23THRUST_200600_302600_NS6detail15normal_iteratorINS8_10device_ptrIyEEEESD_SD_SD_jNS0_19identity_decomposerENS1_16block_id_wrapperIjLb0EEEEE10hipError_tT1_PNSt15iterator_traitsISI_E10value_typeET2_T3_PNSJ_ISO_E10value_typeET4_T5_PST_SU_PNS1_23onesweep_lookback_stateEbbT6_jjT7_P12ihipStream_tbENKUlT_T0_SI_SN_E_clISD_PySD_S15_EEDaS11_S12_SI_SN_EUlS11_E_NS1_11comp_targetILNS1_3genE9ELNS1_11target_archE1100ELNS1_3gpuE3ELNS1_3repE0EEENS1_47radix_sort_onesweep_sort_config_static_selectorELNS0_4arch9wavefront6targetE1EEEvSI_
; %bb.0:
	.section	.rodata,"a",@progbits
	.p2align	6, 0x0
	.amdhsa_kernel _ZN7rocprim17ROCPRIM_400000_NS6detail17trampoline_kernelINS0_14default_configENS1_35radix_sort_onesweep_config_selectorIyyEEZZNS1_29radix_sort_onesweep_iterationIS3_Lb0EN6thrust23THRUST_200600_302600_NS6detail15normal_iteratorINS8_10device_ptrIyEEEESD_SD_SD_jNS0_19identity_decomposerENS1_16block_id_wrapperIjLb0EEEEE10hipError_tT1_PNSt15iterator_traitsISI_E10value_typeET2_T3_PNSJ_ISO_E10value_typeET4_T5_PST_SU_PNS1_23onesweep_lookback_stateEbbT6_jjT7_P12ihipStream_tbENKUlT_T0_SI_SN_E_clISD_PySD_S15_EEDaS11_S12_SI_SN_EUlS11_E_NS1_11comp_targetILNS1_3genE9ELNS1_11target_archE1100ELNS1_3gpuE3ELNS1_3repE0EEENS1_47radix_sort_onesweep_sort_config_static_selectorELNS0_4arch9wavefront6targetE1EEEvSI_
		.amdhsa_group_segment_fixed_size 0
		.amdhsa_private_segment_fixed_size 0
		.amdhsa_kernarg_size 88
		.amdhsa_user_sgpr_count 2
		.amdhsa_user_sgpr_dispatch_ptr 0
		.amdhsa_user_sgpr_queue_ptr 0
		.amdhsa_user_sgpr_kernarg_segment_ptr 1
		.amdhsa_user_sgpr_dispatch_id 0
		.amdhsa_user_sgpr_kernarg_preload_length 0
		.amdhsa_user_sgpr_kernarg_preload_offset 0
		.amdhsa_user_sgpr_private_segment_size 0
		.amdhsa_uses_dynamic_stack 0
		.amdhsa_enable_private_segment 0
		.amdhsa_system_sgpr_workgroup_id_x 1
		.amdhsa_system_sgpr_workgroup_id_y 0
		.amdhsa_system_sgpr_workgroup_id_z 0
		.amdhsa_system_sgpr_workgroup_info 0
		.amdhsa_system_vgpr_workitem_id 0
		.amdhsa_next_free_vgpr 1
		.amdhsa_next_free_sgpr 0
		.amdhsa_accum_offset 4
		.amdhsa_reserve_vcc 0
		.amdhsa_float_round_mode_32 0
		.amdhsa_float_round_mode_16_64 0
		.amdhsa_float_denorm_mode_32 3
		.amdhsa_float_denorm_mode_16_64 3
		.amdhsa_dx10_clamp 1
		.amdhsa_ieee_mode 1
		.amdhsa_fp16_overflow 0
		.amdhsa_tg_split 0
		.amdhsa_exception_fp_ieee_invalid_op 0
		.amdhsa_exception_fp_denorm_src 0
		.amdhsa_exception_fp_ieee_div_zero 0
		.amdhsa_exception_fp_ieee_overflow 0
		.amdhsa_exception_fp_ieee_underflow 0
		.amdhsa_exception_fp_ieee_inexact 0
		.amdhsa_exception_int_div_zero 0
	.end_amdhsa_kernel
	.section	.text._ZN7rocprim17ROCPRIM_400000_NS6detail17trampoline_kernelINS0_14default_configENS1_35radix_sort_onesweep_config_selectorIyyEEZZNS1_29radix_sort_onesweep_iterationIS3_Lb0EN6thrust23THRUST_200600_302600_NS6detail15normal_iteratorINS8_10device_ptrIyEEEESD_SD_SD_jNS0_19identity_decomposerENS1_16block_id_wrapperIjLb0EEEEE10hipError_tT1_PNSt15iterator_traitsISI_E10value_typeET2_T3_PNSJ_ISO_E10value_typeET4_T5_PST_SU_PNS1_23onesweep_lookback_stateEbbT6_jjT7_P12ihipStream_tbENKUlT_T0_SI_SN_E_clISD_PySD_S15_EEDaS11_S12_SI_SN_EUlS11_E_NS1_11comp_targetILNS1_3genE9ELNS1_11target_archE1100ELNS1_3gpuE3ELNS1_3repE0EEENS1_47radix_sort_onesweep_sort_config_static_selectorELNS0_4arch9wavefront6targetE1EEEvSI_,"axG",@progbits,_ZN7rocprim17ROCPRIM_400000_NS6detail17trampoline_kernelINS0_14default_configENS1_35radix_sort_onesweep_config_selectorIyyEEZZNS1_29radix_sort_onesweep_iterationIS3_Lb0EN6thrust23THRUST_200600_302600_NS6detail15normal_iteratorINS8_10device_ptrIyEEEESD_SD_SD_jNS0_19identity_decomposerENS1_16block_id_wrapperIjLb0EEEEE10hipError_tT1_PNSt15iterator_traitsISI_E10value_typeET2_T3_PNSJ_ISO_E10value_typeET4_T5_PST_SU_PNS1_23onesweep_lookback_stateEbbT6_jjT7_P12ihipStream_tbENKUlT_T0_SI_SN_E_clISD_PySD_S15_EEDaS11_S12_SI_SN_EUlS11_E_NS1_11comp_targetILNS1_3genE9ELNS1_11target_archE1100ELNS1_3gpuE3ELNS1_3repE0EEENS1_47radix_sort_onesweep_sort_config_static_selectorELNS0_4arch9wavefront6targetE1EEEvSI_,comdat
.Lfunc_end571:
	.size	_ZN7rocprim17ROCPRIM_400000_NS6detail17trampoline_kernelINS0_14default_configENS1_35radix_sort_onesweep_config_selectorIyyEEZZNS1_29radix_sort_onesweep_iterationIS3_Lb0EN6thrust23THRUST_200600_302600_NS6detail15normal_iteratorINS8_10device_ptrIyEEEESD_SD_SD_jNS0_19identity_decomposerENS1_16block_id_wrapperIjLb0EEEEE10hipError_tT1_PNSt15iterator_traitsISI_E10value_typeET2_T3_PNSJ_ISO_E10value_typeET4_T5_PST_SU_PNS1_23onesweep_lookback_stateEbbT6_jjT7_P12ihipStream_tbENKUlT_T0_SI_SN_E_clISD_PySD_S15_EEDaS11_S12_SI_SN_EUlS11_E_NS1_11comp_targetILNS1_3genE9ELNS1_11target_archE1100ELNS1_3gpuE3ELNS1_3repE0EEENS1_47radix_sort_onesweep_sort_config_static_selectorELNS0_4arch9wavefront6targetE1EEEvSI_, .Lfunc_end571-_ZN7rocprim17ROCPRIM_400000_NS6detail17trampoline_kernelINS0_14default_configENS1_35radix_sort_onesweep_config_selectorIyyEEZZNS1_29radix_sort_onesweep_iterationIS3_Lb0EN6thrust23THRUST_200600_302600_NS6detail15normal_iteratorINS8_10device_ptrIyEEEESD_SD_SD_jNS0_19identity_decomposerENS1_16block_id_wrapperIjLb0EEEEE10hipError_tT1_PNSt15iterator_traitsISI_E10value_typeET2_T3_PNSJ_ISO_E10value_typeET4_T5_PST_SU_PNS1_23onesweep_lookback_stateEbbT6_jjT7_P12ihipStream_tbENKUlT_T0_SI_SN_E_clISD_PySD_S15_EEDaS11_S12_SI_SN_EUlS11_E_NS1_11comp_targetILNS1_3genE9ELNS1_11target_archE1100ELNS1_3gpuE3ELNS1_3repE0EEENS1_47radix_sort_onesweep_sort_config_static_selectorELNS0_4arch9wavefront6targetE1EEEvSI_
                                        ; -- End function
	.set _ZN7rocprim17ROCPRIM_400000_NS6detail17trampoline_kernelINS0_14default_configENS1_35radix_sort_onesweep_config_selectorIyyEEZZNS1_29radix_sort_onesweep_iterationIS3_Lb0EN6thrust23THRUST_200600_302600_NS6detail15normal_iteratorINS8_10device_ptrIyEEEESD_SD_SD_jNS0_19identity_decomposerENS1_16block_id_wrapperIjLb0EEEEE10hipError_tT1_PNSt15iterator_traitsISI_E10value_typeET2_T3_PNSJ_ISO_E10value_typeET4_T5_PST_SU_PNS1_23onesweep_lookback_stateEbbT6_jjT7_P12ihipStream_tbENKUlT_T0_SI_SN_E_clISD_PySD_S15_EEDaS11_S12_SI_SN_EUlS11_E_NS1_11comp_targetILNS1_3genE9ELNS1_11target_archE1100ELNS1_3gpuE3ELNS1_3repE0EEENS1_47radix_sort_onesweep_sort_config_static_selectorELNS0_4arch9wavefront6targetE1EEEvSI_.num_vgpr, 0
	.set _ZN7rocprim17ROCPRIM_400000_NS6detail17trampoline_kernelINS0_14default_configENS1_35radix_sort_onesweep_config_selectorIyyEEZZNS1_29radix_sort_onesweep_iterationIS3_Lb0EN6thrust23THRUST_200600_302600_NS6detail15normal_iteratorINS8_10device_ptrIyEEEESD_SD_SD_jNS0_19identity_decomposerENS1_16block_id_wrapperIjLb0EEEEE10hipError_tT1_PNSt15iterator_traitsISI_E10value_typeET2_T3_PNSJ_ISO_E10value_typeET4_T5_PST_SU_PNS1_23onesweep_lookback_stateEbbT6_jjT7_P12ihipStream_tbENKUlT_T0_SI_SN_E_clISD_PySD_S15_EEDaS11_S12_SI_SN_EUlS11_E_NS1_11comp_targetILNS1_3genE9ELNS1_11target_archE1100ELNS1_3gpuE3ELNS1_3repE0EEENS1_47radix_sort_onesweep_sort_config_static_selectorELNS0_4arch9wavefront6targetE1EEEvSI_.num_agpr, 0
	.set _ZN7rocprim17ROCPRIM_400000_NS6detail17trampoline_kernelINS0_14default_configENS1_35radix_sort_onesweep_config_selectorIyyEEZZNS1_29radix_sort_onesweep_iterationIS3_Lb0EN6thrust23THRUST_200600_302600_NS6detail15normal_iteratorINS8_10device_ptrIyEEEESD_SD_SD_jNS0_19identity_decomposerENS1_16block_id_wrapperIjLb0EEEEE10hipError_tT1_PNSt15iterator_traitsISI_E10value_typeET2_T3_PNSJ_ISO_E10value_typeET4_T5_PST_SU_PNS1_23onesweep_lookback_stateEbbT6_jjT7_P12ihipStream_tbENKUlT_T0_SI_SN_E_clISD_PySD_S15_EEDaS11_S12_SI_SN_EUlS11_E_NS1_11comp_targetILNS1_3genE9ELNS1_11target_archE1100ELNS1_3gpuE3ELNS1_3repE0EEENS1_47radix_sort_onesweep_sort_config_static_selectorELNS0_4arch9wavefront6targetE1EEEvSI_.numbered_sgpr, 0
	.set _ZN7rocprim17ROCPRIM_400000_NS6detail17trampoline_kernelINS0_14default_configENS1_35radix_sort_onesweep_config_selectorIyyEEZZNS1_29radix_sort_onesweep_iterationIS3_Lb0EN6thrust23THRUST_200600_302600_NS6detail15normal_iteratorINS8_10device_ptrIyEEEESD_SD_SD_jNS0_19identity_decomposerENS1_16block_id_wrapperIjLb0EEEEE10hipError_tT1_PNSt15iterator_traitsISI_E10value_typeET2_T3_PNSJ_ISO_E10value_typeET4_T5_PST_SU_PNS1_23onesweep_lookback_stateEbbT6_jjT7_P12ihipStream_tbENKUlT_T0_SI_SN_E_clISD_PySD_S15_EEDaS11_S12_SI_SN_EUlS11_E_NS1_11comp_targetILNS1_3genE9ELNS1_11target_archE1100ELNS1_3gpuE3ELNS1_3repE0EEENS1_47radix_sort_onesweep_sort_config_static_selectorELNS0_4arch9wavefront6targetE1EEEvSI_.num_named_barrier, 0
	.set _ZN7rocprim17ROCPRIM_400000_NS6detail17trampoline_kernelINS0_14default_configENS1_35radix_sort_onesweep_config_selectorIyyEEZZNS1_29radix_sort_onesweep_iterationIS3_Lb0EN6thrust23THRUST_200600_302600_NS6detail15normal_iteratorINS8_10device_ptrIyEEEESD_SD_SD_jNS0_19identity_decomposerENS1_16block_id_wrapperIjLb0EEEEE10hipError_tT1_PNSt15iterator_traitsISI_E10value_typeET2_T3_PNSJ_ISO_E10value_typeET4_T5_PST_SU_PNS1_23onesweep_lookback_stateEbbT6_jjT7_P12ihipStream_tbENKUlT_T0_SI_SN_E_clISD_PySD_S15_EEDaS11_S12_SI_SN_EUlS11_E_NS1_11comp_targetILNS1_3genE9ELNS1_11target_archE1100ELNS1_3gpuE3ELNS1_3repE0EEENS1_47radix_sort_onesweep_sort_config_static_selectorELNS0_4arch9wavefront6targetE1EEEvSI_.private_seg_size, 0
	.set _ZN7rocprim17ROCPRIM_400000_NS6detail17trampoline_kernelINS0_14default_configENS1_35radix_sort_onesweep_config_selectorIyyEEZZNS1_29radix_sort_onesweep_iterationIS3_Lb0EN6thrust23THRUST_200600_302600_NS6detail15normal_iteratorINS8_10device_ptrIyEEEESD_SD_SD_jNS0_19identity_decomposerENS1_16block_id_wrapperIjLb0EEEEE10hipError_tT1_PNSt15iterator_traitsISI_E10value_typeET2_T3_PNSJ_ISO_E10value_typeET4_T5_PST_SU_PNS1_23onesweep_lookback_stateEbbT6_jjT7_P12ihipStream_tbENKUlT_T0_SI_SN_E_clISD_PySD_S15_EEDaS11_S12_SI_SN_EUlS11_E_NS1_11comp_targetILNS1_3genE9ELNS1_11target_archE1100ELNS1_3gpuE3ELNS1_3repE0EEENS1_47radix_sort_onesweep_sort_config_static_selectorELNS0_4arch9wavefront6targetE1EEEvSI_.uses_vcc, 0
	.set _ZN7rocprim17ROCPRIM_400000_NS6detail17trampoline_kernelINS0_14default_configENS1_35radix_sort_onesweep_config_selectorIyyEEZZNS1_29radix_sort_onesweep_iterationIS3_Lb0EN6thrust23THRUST_200600_302600_NS6detail15normal_iteratorINS8_10device_ptrIyEEEESD_SD_SD_jNS0_19identity_decomposerENS1_16block_id_wrapperIjLb0EEEEE10hipError_tT1_PNSt15iterator_traitsISI_E10value_typeET2_T3_PNSJ_ISO_E10value_typeET4_T5_PST_SU_PNS1_23onesweep_lookback_stateEbbT6_jjT7_P12ihipStream_tbENKUlT_T0_SI_SN_E_clISD_PySD_S15_EEDaS11_S12_SI_SN_EUlS11_E_NS1_11comp_targetILNS1_3genE9ELNS1_11target_archE1100ELNS1_3gpuE3ELNS1_3repE0EEENS1_47radix_sort_onesweep_sort_config_static_selectorELNS0_4arch9wavefront6targetE1EEEvSI_.uses_flat_scratch, 0
	.set _ZN7rocprim17ROCPRIM_400000_NS6detail17trampoline_kernelINS0_14default_configENS1_35radix_sort_onesweep_config_selectorIyyEEZZNS1_29radix_sort_onesweep_iterationIS3_Lb0EN6thrust23THRUST_200600_302600_NS6detail15normal_iteratorINS8_10device_ptrIyEEEESD_SD_SD_jNS0_19identity_decomposerENS1_16block_id_wrapperIjLb0EEEEE10hipError_tT1_PNSt15iterator_traitsISI_E10value_typeET2_T3_PNSJ_ISO_E10value_typeET4_T5_PST_SU_PNS1_23onesweep_lookback_stateEbbT6_jjT7_P12ihipStream_tbENKUlT_T0_SI_SN_E_clISD_PySD_S15_EEDaS11_S12_SI_SN_EUlS11_E_NS1_11comp_targetILNS1_3genE9ELNS1_11target_archE1100ELNS1_3gpuE3ELNS1_3repE0EEENS1_47radix_sort_onesweep_sort_config_static_selectorELNS0_4arch9wavefront6targetE1EEEvSI_.has_dyn_sized_stack, 0
	.set _ZN7rocprim17ROCPRIM_400000_NS6detail17trampoline_kernelINS0_14default_configENS1_35radix_sort_onesweep_config_selectorIyyEEZZNS1_29radix_sort_onesweep_iterationIS3_Lb0EN6thrust23THRUST_200600_302600_NS6detail15normal_iteratorINS8_10device_ptrIyEEEESD_SD_SD_jNS0_19identity_decomposerENS1_16block_id_wrapperIjLb0EEEEE10hipError_tT1_PNSt15iterator_traitsISI_E10value_typeET2_T3_PNSJ_ISO_E10value_typeET4_T5_PST_SU_PNS1_23onesweep_lookback_stateEbbT6_jjT7_P12ihipStream_tbENKUlT_T0_SI_SN_E_clISD_PySD_S15_EEDaS11_S12_SI_SN_EUlS11_E_NS1_11comp_targetILNS1_3genE9ELNS1_11target_archE1100ELNS1_3gpuE3ELNS1_3repE0EEENS1_47radix_sort_onesweep_sort_config_static_selectorELNS0_4arch9wavefront6targetE1EEEvSI_.has_recursion, 0
	.set _ZN7rocprim17ROCPRIM_400000_NS6detail17trampoline_kernelINS0_14default_configENS1_35radix_sort_onesweep_config_selectorIyyEEZZNS1_29radix_sort_onesweep_iterationIS3_Lb0EN6thrust23THRUST_200600_302600_NS6detail15normal_iteratorINS8_10device_ptrIyEEEESD_SD_SD_jNS0_19identity_decomposerENS1_16block_id_wrapperIjLb0EEEEE10hipError_tT1_PNSt15iterator_traitsISI_E10value_typeET2_T3_PNSJ_ISO_E10value_typeET4_T5_PST_SU_PNS1_23onesweep_lookback_stateEbbT6_jjT7_P12ihipStream_tbENKUlT_T0_SI_SN_E_clISD_PySD_S15_EEDaS11_S12_SI_SN_EUlS11_E_NS1_11comp_targetILNS1_3genE9ELNS1_11target_archE1100ELNS1_3gpuE3ELNS1_3repE0EEENS1_47radix_sort_onesweep_sort_config_static_selectorELNS0_4arch9wavefront6targetE1EEEvSI_.has_indirect_call, 0
	.section	.AMDGPU.csdata,"",@progbits
; Kernel info:
; codeLenInByte = 0
; TotalNumSgprs: 6
; NumVgprs: 0
; NumAgprs: 0
; TotalNumVgprs: 0
; ScratchSize: 0
; MemoryBound: 0
; FloatMode: 240
; IeeeMode: 1
; LDSByteSize: 0 bytes/workgroup (compile time only)
; SGPRBlocks: 0
; VGPRBlocks: 0
; NumSGPRsForWavesPerEU: 6
; NumVGPRsForWavesPerEU: 1
; AccumOffset: 4
; Occupancy: 8
; WaveLimiterHint : 0
; COMPUTE_PGM_RSRC2:SCRATCH_EN: 0
; COMPUTE_PGM_RSRC2:USER_SGPR: 2
; COMPUTE_PGM_RSRC2:TRAP_HANDLER: 0
; COMPUTE_PGM_RSRC2:TGID_X_EN: 1
; COMPUTE_PGM_RSRC2:TGID_Y_EN: 0
; COMPUTE_PGM_RSRC2:TGID_Z_EN: 0
; COMPUTE_PGM_RSRC2:TIDIG_COMP_CNT: 0
; COMPUTE_PGM_RSRC3_GFX90A:ACCUM_OFFSET: 0
; COMPUTE_PGM_RSRC3_GFX90A:TG_SPLIT: 0
	.section	.text._ZN7rocprim17ROCPRIM_400000_NS6detail17trampoline_kernelINS0_14default_configENS1_35radix_sort_onesweep_config_selectorIyyEEZZNS1_29radix_sort_onesweep_iterationIS3_Lb0EN6thrust23THRUST_200600_302600_NS6detail15normal_iteratorINS8_10device_ptrIyEEEESD_SD_SD_jNS0_19identity_decomposerENS1_16block_id_wrapperIjLb0EEEEE10hipError_tT1_PNSt15iterator_traitsISI_E10value_typeET2_T3_PNSJ_ISO_E10value_typeET4_T5_PST_SU_PNS1_23onesweep_lookback_stateEbbT6_jjT7_P12ihipStream_tbENKUlT_T0_SI_SN_E_clISD_PySD_S15_EEDaS11_S12_SI_SN_EUlS11_E_NS1_11comp_targetILNS1_3genE8ELNS1_11target_archE1030ELNS1_3gpuE2ELNS1_3repE0EEENS1_47radix_sort_onesweep_sort_config_static_selectorELNS0_4arch9wavefront6targetE1EEEvSI_,"axG",@progbits,_ZN7rocprim17ROCPRIM_400000_NS6detail17trampoline_kernelINS0_14default_configENS1_35radix_sort_onesweep_config_selectorIyyEEZZNS1_29radix_sort_onesweep_iterationIS3_Lb0EN6thrust23THRUST_200600_302600_NS6detail15normal_iteratorINS8_10device_ptrIyEEEESD_SD_SD_jNS0_19identity_decomposerENS1_16block_id_wrapperIjLb0EEEEE10hipError_tT1_PNSt15iterator_traitsISI_E10value_typeET2_T3_PNSJ_ISO_E10value_typeET4_T5_PST_SU_PNS1_23onesweep_lookback_stateEbbT6_jjT7_P12ihipStream_tbENKUlT_T0_SI_SN_E_clISD_PySD_S15_EEDaS11_S12_SI_SN_EUlS11_E_NS1_11comp_targetILNS1_3genE8ELNS1_11target_archE1030ELNS1_3gpuE2ELNS1_3repE0EEENS1_47radix_sort_onesweep_sort_config_static_selectorELNS0_4arch9wavefront6targetE1EEEvSI_,comdat
	.protected	_ZN7rocprim17ROCPRIM_400000_NS6detail17trampoline_kernelINS0_14default_configENS1_35radix_sort_onesweep_config_selectorIyyEEZZNS1_29radix_sort_onesweep_iterationIS3_Lb0EN6thrust23THRUST_200600_302600_NS6detail15normal_iteratorINS8_10device_ptrIyEEEESD_SD_SD_jNS0_19identity_decomposerENS1_16block_id_wrapperIjLb0EEEEE10hipError_tT1_PNSt15iterator_traitsISI_E10value_typeET2_T3_PNSJ_ISO_E10value_typeET4_T5_PST_SU_PNS1_23onesweep_lookback_stateEbbT6_jjT7_P12ihipStream_tbENKUlT_T0_SI_SN_E_clISD_PySD_S15_EEDaS11_S12_SI_SN_EUlS11_E_NS1_11comp_targetILNS1_3genE8ELNS1_11target_archE1030ELNS1_3gpuE2ELNS1_3repE0EEENS1_47radix_sort_onesweep_sort_config_static_selectorELNS0_4arch9wavefront6targetE1EEEvSI_ ; -- Begin function _ZN7rocprim17ROCPRIM_400000_NS6detail17trampoline_kernelINS0_14default_configENS1_35radix_sort_onesweep_config_selectorIyyEEZZNS1_29radix_sort_onesweep_iterationIS3_Lb0EN6thrust23THRUST_200600_302600_NS6detail15normal_iteratorINS8_10device_ptrIyEEEESD_SD_SD_jNS0_19identity_decomposerENS1_16block_id_wrapperIjLb0EEEEE10hipError_tT1_PNSt15iterator_traitsISI_E10value_typeET2_T3_PNSJ_ISO_E10value_typeET4_T5_PST_SU_PNS1_23onesweep_lookback_stateEbbT6_jjT7_P12ihipStream_tbENKUlT_T0_SI_SN_E_clISD_PySD_S15_EEDaS11_S12_SI_SN_EUlS11_E_NS1_11comp_targetILNS1_3genE8ELNS1_11target_archE1030ELNS1_3gpuE2ELNS1_3repE0EEENS1_47radix_sort_onesweep_sort_config_static_selectorELNS0_4arch9wavefront6targetE1EEEvSI_
	.globl	_ZN7rocprim17ROCPRIM_400000_NS6detail17trampoline_kernelINS0_14default_configENS1_35radix_sort_onesweep_config_selectorIyyEEZZNS1_29radix_sort_onesweep_iterationIS3_Lb0EN6thrust23THRUST_200600_302600_NS6detail15normal_iteratorINS8_10device_ptrIyEEEESD_SD_SD_jNS0_19identity_decomposerENS1_16block_id_wrapperIjLb0EEEEE10hipError_tT1_PNSt15iterator_traitsISI_E10value_typeET2_T3_PNSJ_ISO_E10value_typeET4_T5_PST_SU_PNS1_23onesweep_lookback_stateEbbT6_jjT7_P12ihipStream_tbENKUlT_T0_SI_SN_E_clISD_PySD_S15_EEDaS11_S12_SI_SN_EUlS11_E_NS1_11comp_targetILNS1_3genE8ELNS1_11target_archE1030ELNS1_3gpuE2ELNS1_3repE0EEENS1_47radix_sort_onesweep_sort_config_static_selectorELNS0_4arch9wavefront6targetE1EEEvSI_
	.p2align	8
	.type	_ZN7rocprim17ROCPRIM_400000_NS6detail17trampoline_kernelINS0_14default_configENS1_35radix_sort_onesweep_config_selectorIyyEEZZNS1_29radix_sort_onesweep_iterationIS3_Lb0EN6thrust23THRUST_200600_302600_NS6detail15normal_iteratorINS8_10device_ptrIyEEEESD_SD_SD_jNS0_19identity_decomposerENS1_16block_id_wrapperIjLb0EEEEE10hipError_tT1_PNSt15iterator_traitsISI_E10value_typeET2_T3_PNSJ_ISO_E10value_typeET4_T5_PST_SU_PNS1_23onesweep_lookback_stateEbbT6_jjT7_P12ihipStream_tbENKUlT_T0_SI_SN_E_clISD_PySD_S15_EEDaS11_S12_SI_SN_EUlS11_E_NS1_11comp_targetILNS1_3genE8ELNS1_11target_archE1030ELNS1_3gpuE2ELNS1_3repE0EEENS1_47radix_sort_onesweep_sort_config_static_selectorELNS0_4arch9wavefront6targetE1EEEvSI_,@function
_ZN7rocprim17ROCPRIM_400000_NS6detail17trampoline_kernelINS0_14default_configENS1_35radix_sort_onesweep_config_selectorIyyEEZZNS1_29radix_sort_onesweep_iterationIS3_Lb0EN6thrust23THRUST_200600_302600_NS6detail15normal_iteratorINS8_10device_ptrIyEEEESD_SD_SD_jNS0_19identity_decomposerENS1_16block_id_wrapperIjLb0EEEEE10hipError_tT1_PNSt15iterator_traitsISI_E10value_typeET2_T3_PNSJ_ISO_E10value_typeET4_T5_PST_SU_PNS1_23onesweep_lookback_stateEbbT6_jjT7_P12ihipStream_tbENKUlT_T0_SI_SN_E_clISD_PySD_S15_EEDaS11_S12_SI_SN_EUlS11_E_NS1_11comp_targetILNS1_3genE8ELNS1_11target_archE1030ELNS1_3gpuE2ELNS1_3repE0EEENS1_47radix_sort_onesweep_sort_config_static_selectorELNS0_4arch9wavefront6targetE1EEEvSI_: ; @_ZN7rocprim17ROCPRIM_400000_NS6detail17trampoline_kernelINS0_14default_configENS1_35radix_sort_onesweep_config_selectorIyyEEZZNS1_29radix_sort_onesweep_iterationIS3_Lb0EN6thrust23THRUST_200600_302600_NS6detail15normal_iteratorINS8_10device_ptrIyEEEESD_SD_SD_jNS0_19identity_decomposerENS1_16block_id_wrapperIjLb0EEEEE10hipError_tT1_PNSt15iterator_traitsISI_E10value_typeET2_T3_PNSJ_ISO_E10value_typeET4_T5_PST_SU_PNS1_23onesweep_lookback_stateEbbT6_jjT7_P12ihipStream_tbENKUlT_T0_SI_SN_E_clISD_PySD_S15_EEDaS11_S12_SI_SN_EUlS11_E_NS1_11comp_targetILNS1_3genE8ELNS1_11target_archE1030ELNS1_3gpuE2ELNS1_3repE0EEENS1_47radix_sort_onesweep_sort_config_static_selectorELNS0_4arch9wavefront6targetE1EEEvSI_
; %bb.0:
	.section	.rodata,"a",@progbits
	.p2align	6, 0x0
	.amdhsa_kernel _ZN7rocprim17ROCPRIM_400000_NS6detail17trampoline_kernelINS0_14default_configENS1_35radix_sort_onesweep_config_selectorIyyEEZZNS1_29radix_sort_onesweep_iterationIS3_Lb0EN6thrust23THRUST_200600_302600_NS6detail15normal_iteratorINS8_10device_ptrIyEEEESD_SD_SD_jNS0_19identity_decomposerENS1_16block_id_wrapperIjLb0EEEEE10hipError_tT1_PNSt15iterator_traitsISI_E10value_typeET2_T3_PNSJ_ISO_E10value_typeET4_T5_PST_SU_PNS1_23onesweep_lookback_stateEbbT6_jjT7_P12ihipStream_tbENKUlT_T0_SI_SN_E_clISD_PySD_S15_EEDaS11_S12_SI_SN_EUlS11_E_NS1_11comp_targetILNS1_3genE8ELNS1_11target_archE1030ELNS1_3gpuE2ELNS1_3repE0EEENS1_47radix_sort_onesweep_sort_config_static_selectorELNS0_4arch9wavefront6targetE1EEEvSI_
		.amdhsa_group_segment_fixed_size 0
		.amdhsa_private_segment_fixed_size 0
		.amdhsa_kernarg_size 88
		.amdhsa_user_sgpr_count 2
		.amdhsa_user_sgpr_dispatch_ptr 0
		.amdhsa_user_sgpr_queue_ptr 0
		.amdhsa_user_sgpr_kernarg_segment_ptr 1
		.amdhsa_user_sgpr_dispatch_id 0
		.amdhsa_user_sgpr_kernarg_preload_length 0
		.amdhsa_user_sgpr_kernarg_preload_offset 0
		.amdhsa_user_sgpr_private_segment_size 0
		.amdhsa_uses_dynamic_stack 0
		.amdhsa_enable_private_segment 0
		.amdhsa_system_sgpr_workgroup_id_x 1
		.amdhsa_system_sgpr_workgroup_id_y 0
		.amdhsa_system_sgpr_workgroup_id_z 0
		.amdhsa_system_sgpr_workgroup_info 0
		.amdhsa_system_vgpr_workitem_id 0
		.amdhsa_next_free_vgpr 1
		.amdhsa_next_free_sgpr 0
		.amdhsa_accum_offset 4
		.amdhsa_reserve_vcc 0
		.amdhsa_float_round_mode_32 0
		.amdhsa_float_round_mode_16_64 0
		.amdhsa_float_denorm_mode_32 3
		.amdhsa_float_denorm_mode_16_64 3
		.amdhsa_dx10_clamp 1
		.amdhsa_ieee_mode 1
		.amdhsa_fp16_overflow 0
		.amdhsa_tg_split 0
		.amdhsa_exception_fp_ieee_invalid_op 0
		.amdhsa_exception_fp_denorm_src 0
		.amdhsa_exception_fp_ieee_div_zero 0
		.amdhsa_exception_fp_ieee_overflow 0
		.amdhsa_exception_fp_ieee_underflow 0
		.amdhsa_exception_fp_ieee_inexact 0
		.amdhsa_exception_int_div_zero 0
	.end_amdhsa_kernel
	.section	.text._ZN7rocprim17ROCPRIM_400000_NS6detail17trampoline_kernelINS0_14default_configENS1_35radix_sort_onesweep_config_selectorIyyEEZZNS1_29radix_sort_onesweep_iterationIS3_Lb0EN6thrust23THRUST_200600_302600_NS6detail15normal_iteratorINS8_10device_ptrIyEEEESD_SD_SD_jNS0_19identity_decomposerENS1_16block_id_wrapperIjLb0EEEEE10hipError_tT1_PNSt15iterator_traitsISI_E10value_typeET2_T3_PNSJ_ISO_E10value_typeET4_T5_PST_SU_PNS1_23onesweep_lookback_stateEbbT6_jjT7_P12ihipStream_tbENKUlT_T0_SI_SN_E_clISD_PySD_S15_EEDaS11_S12_SI_SN_EUlS11_E_NS1_11comp_targetILNS1_3genE8ELNS1_11target_archE1030ELNS1_3gpuE2ELNS1_3repE0EEENS1_47radix_sort_onesweep_sort_config_static_selectorELNS0_4arch9wavefront6targetE1EEEvSI_,"axG",@progbits,_ZN7rocprim17ROCPRIM_400000_NS6detail17trampoline_kernelINS0_14default_configENS1_35radix_sort_onesweep_config_selectorIyyEEZZNS1_29radix_sort_onesweep_iterationIS3_Lb0EN6thrust23THRUST_200600_302600_NS6detail15normal_iteratorINS8_10device_ptrIyEEEESD_SD_SD_jNS0_19identity_decomposerENS1_16block_id_wrapperIjLb0EEEEE10hipError_tT1_PNSt15iterator_traitsISI_E10value_typeET2_T3_PNSJ_ISO_E10value_typeET4_T5_PST_SU_PNS1_23onesweep_lookback_stateEbbT6_jjT7_P12ihipStream_tbENKUlT_T0_SI_SN_E_clISD_PySD_S15_EEDaS11_S12_SI_SN_EUlS11_E_NS1_11comp_targetILNS1_3genE8ELNS1_11target_archE1030ELNS1_3gpuE2ELNS1_3repE0EEENS1_47radix_sort_onesweep_sort_config_static_selectorELNS0_4arch9wavefront6targetE1EEEvSI_,comdat
.Lfunc_end572:
	.size	_ZN7rocprim17ROCPRIM_400000_NS6detail17trampoline_kernelINS0_14default_configENS1_35radix_sort_onesweep_config_selectorIyyEEZZNS1_29radix_sort_onesweep_iterationIS3_Lb0EN6thrust23THRUST_200600_302600_NS6detail15normal_iteratorINS8_10device_ptrIyEEEESD_SD_SD_jNS0_19identity_decomposerENS1_16block_id_wrapperIjLb0EEEEE10hipError_tT1_PNSt15iterator_traitsISI_E10value_typeET2_T3_PNSJ_ISO_E10value_typeET4_T5_PST_SU_PNS1_23onesweep_lookback_stateEbbT6_jjT7_P12ihipStream_tbENKUlT_T0_SI_SN_E_clISD_PySD_S15_EEDaS11_S12_SI_SN_EUlS11_E_NS1_11comp_targetILNS1_3genE8ELNS1_11target_archE1030ELNS1_3gpuE2ELNS1_3repE0EEENS1_47radix_sort_onesweep_sort_config_static_selectorELNS0_4arch9wavefront6targetE1EEEvSI_, .Lfunc_end572-_ZN7rocprim17ROCPRIM_400000_NS6detail17trampoline_kernelINS0_14default_configENS1_35radix_sort_onesweep_config_selectorIyyEEZZNS1_29radix_sort_onesweep_iterationIS3_Lb0EN6thrust23THRUST_200600_302600_NS6detail15normal_iteratorINS8_10device_ptrIyEEEESD_SD_SD_jNS0_19identity_decomposerENS1_16block_id_wrapperIjLb0EEEEE10hipError_tT1_PNSt15iterator_traitsISI_E10value_typeET2_T3_PNSJ_ISO_E10value_typeET4_T5_PST_SU_PNS1_23onesweep_lookback_stateEbbT6_jjT7_P12ihipStream_tbENKUlT_T0_SI_SN_E_clISD_PySD_S15_EEDaS11_S12_SI_SN_EUlS11_E_NS1_11comp_targetILNS1_3genE8ELNS1_11target_archE1030ELNS1_3gpuE2ELNS1_3repE0EEENS1_47radix_sort_onesweep_sort_config_static_selectorELNS0_4arch9wavefront6targetE1EEEvSI_
                                        ; -- End function
	.set _ZN7rocprim17ROCPRIM_400000_NS6detail17trampoline_kernelINS0_14default_configENS1_35radix_sort_onesweep_config_selectorIyyEEZZNS1_29radix_sort_onesweep_iterationIS3_Lb0EN6thrust23THRUST_200600_302600_NS6detail15normal_iteratorINS8_10device_ptrIyEEEESD_SD_SD_jNS0_19identity_decomposerENS1_16block_id_wrapperIjLb0EEEEE10hipError_tT1_PNSt15iterator_traitsISI_E10value_typeET2_T3_PNSJ_ISO_E10value_typeET4_T5_PST_SU_PNS1_23onesweep_lookback_stateEbbT6_jjT7_P12ihipStream_tbENKUlT_T0_SI_SN_E_clISD_PySD_S15_EEDaS11_S12_SI_SN_EUlS11_E_NS1_11comp_targetILNS1_3genE8ELNS1_11target_archE1030ELNS1_3gpuE2ELNS1_3repE0EEENS1_47radix_sort_onesweep_sort_config_static_selectorELNS0_4arch9wavefront6targetE1EEEvSI_.num_vgpr, 0
	.set _ZN7rocprim17ROCPRIM_400000_NS6detail17trampoline_kernelINS0_14default_configENS1_35radix_sort_onesweep_config_selectorIyyEEZZNS1_29radix_sort_onesweep_iterationIS3_Lb0EN6thrust23THRUST_200600_302600_NS6detail15normal_iteratorINS8_10device_ptrIyEEEESD_SD_SD_jNS0_19identity_decomposerENS1_16block_id_wrapperIjLb0EEEEE10hipError_tT1_PNSt15iterator_traitsISI_E10value_typeET2_T3_PNSJ_ISO_E10value_typeET4_T5_PST_SU_PNS1_23onesweep_lookback_stateEbbT6_jjT7_P12ihipStream_tbENKUlT_T0_SI_SN_E_clISD_PySD_S15_EEDaS11_S12_SI_SN_EUlS11_E_NS1_11comp_targetILNS1_3genE8ELNS1_11target_archE1030ELNS1_3gpuE2ELNS1_3repE0EEENS1_47radix_sort_onesweep_sort_config_static_selectorELNS0_4arch9wavefront6targetE1EEEvSI_.num_agpr, 0
	.set _ZN7rocprim17ROCPRIM_400000_NS6detail17trampoline_kernelINS0_14default_configENS1_35radix_sort_onesweep_config_selectorIyyEEZZNS1_29radix_sort_onesweep_iterationIS3_Lb0EN6thrust23THRUST_200600_302600_NS6detail15normal_iteratorINS8_10device_ptrIyEEEESD_SD_SD_jNS0_19identity_decomposerENS1_16block_id_wrapperIjLb0EEEEE10hipError_tT1_PNSt15iterator_traitsISI_E10value_typeET2_T3_PNSJ_ISO_E10value_typeET4_T5_PST_SU_PNS1_23onesweep_lookback_stateEbbT6_jjT7_P12ihipStream_tbENKUlT_T0_SI_SN_E_clISD_PySD_S15_EEDaS11_S12_SI_SN_EUlS11_E_NS1_11comp_targetILNS1_3genE8ELNS1_11target_archE1030ELNS1_3gpuE2ELNS1_3repE0EEENS1_47radix_sort_onesweep_sort_config_static_selectorELNS0_4arch9wavefront6targetE1EEEvSI_.numbered_sgpr, 0
	.set _ZN7rocprim17ROCPRIM_400000_NS6detail17trampoline_kernelINS0_14default_configENS1_35radix_sort_onesweep_config_selectorIyyEEZZNS1_29radix_sort_onesweep_iterationIS3_Lb0EN6thrust23THRUST_200600_302600_NS6detail15normal_iteratorINS8_10device_ptrIyEEEESD_SD_SD_jNS0_19identity_decomposerENS1_16block_id_wrapperIjLb0EEEEE10hipError_tT1_PNSt15iterator_traitsISI_E10value_typeET2_T3_PNSJ_ISO_E10value_typeET4_T5_PST_SU_PNS1_23onesweep_lookback_stateEbbT6_jjT7_P12ihipStream_tbENKUlT_T0_SI_SN_E_clISD_PySD_S15_EEDaS11_S12_SI_SN_EUlS11_E_NS1_11comp_targetILNS1_3genE8ELNS1_11target_archE1030ELNS1_3gpuE2ELNS1_3repE0EEENS1_47radix_sort_onesweep_sort_config_static_selectorELNS0_4arch9wavefront6targetE1EEEvSI_.num_named_barrier, 0
	.set _ZN7rocprim17ROCPRIM_400000_NS6detail17trampoline_kernelINS0_14default_configENS1_35radix_sort_onesweep_config_selectorIyyEEZZNS1_29radix_sort_onesweep_iterationIS3_Lb0EN6thrust23THRUST_200600_302600_NS6detail15normal_iteratorINS8_10device_ptrIyEEEESD_SD_SD_jNS0_19identity_decomposerENS1_16block_id_wrapperIjLb0EEEEE10hipError_tT1_PNSt15iterator_traitsISI_E10value_typeET2_T3_PNSJ_ISO_E10value_typeET4_T5_PST_SU_PNS1_23onesweep_lookback_stateEbbT6_jjT7_P12ihipStream_tbENKUlT_T0_SI_SN_E_clISD_PySD_S15_EEDaS11_S12_SI_SN_EUlS11_E_NS1_11comp_targetILNS1_3genE8ELNS1_11target_archE1030ELNS1_3gpuE2ELNS1_3repE0EEENS1_47radix_sort_onesweep_sort_config_static_selectorELNS0_4arch9wavefront6targetE1EEEvSI_.private_seg_size, 0
	.set _ZN7rocprim17ROCPRIM_400000_NS6detail17trampoline_kernelINS0_14default_configENS1_35radix_sort_onesweep_config_selectorIyyEEZZNS1_29radix_sort_onesweep_iterationIS3_Lb0EN6thrust23THRUST_200600_302600_NS6detail15normal_iteratorINS8_10device_ptrIyEEEESD_SD_SD_jNS0_19identity_decomposerENS1_16block_id_wrapperIjLb0EEEEE10hipError_tT1_PNSt15iterator_traitsISI_E10value_typeET2_T3_PNSJ_ISO_E10value_typeET4_T5_PST_SU_PNS1_23onesweep_lookback_stateEbbT6_jjT7_P12ihipStream_tbENKUlT_T0_SI_SN_E_clISD_PySD_S15_EEDaS11_S12_SI_SN_EUlS11_E_NS1_11comp_targetILNS1_3genE8ELNS1_11target_archE1030ELNS1_3gpuE2ELNS1_3repE0EEENS1_47radix_sort_onesweep_sort_config_static_selectorELNS0_4arch9wavefront6targetE1EEEvSI_.uses_vcc, 0
	.set _ZN7rocprim17ROCPRIM_400000_NS6detail17trampoline_kernelINS0_14default_configENS1_35radix_sort_onesweep_config_selectorIyyEEZZNS1_29radix_sort_onesweep_iterationIS3_Lb0EN6thrust23THRUST_200600_302600_NS6detail15normal_iteratorINS8_10device_ptrIyEEEESD_SD_SD_jNS0_19identity_decomposerENS1_16block_id_wrapperIjLb0EEEEE10hipError_tT1_PNSt15iterator_traitsISI_E10value_typeET2_T3_PNSJ_ISO_E10value_typeET4_T5_PST_SU_PNS1_23onesweep_lookback_stateEbbT6_jjT7_P12ihipStream_tbENKUlT_T0_SI_SN_E_clISD_PySD_S15_EEDaS11_S12_SI_SN_EUlS11_E_NS1_11comp_targetILNS1_3genE8ELNS1_11target_archE1030ELNS1_3gpuE2ELNS1_3repE0EEENS1_47radix_sort_onesweep_sort_config_static_selectorELNS0_4arch9wavefront6targetE1EEEvSI_.uses_flat_scratch, 0
	.set _ZN7rocprim17ROCPRIM_400000_NS6detail17trampoline_kernelINS0_14default_configENS1_35radix_sort_onesweep_config_selectorIyyEEZZNS1_29radix_sort_onesweep_iterationIS3_Lb0EN6thrust23THRUST_200600_302600_NS6detail15normal_iteratorINS8_10device_ptrIyEEEESD_SD_SD_jNS0_19identity_decomposerENS1_16block_id_wrapperIjLb0EEEEE10hipError_tT1_PNSt15iterator_traitsISI_E10value_typeET2_T3_PNSJ_ISO_E10value_typeET4_T5_PST_SU_PNS1_23onesweep_lookback_stateEbbT6_jjT7_P12ihipStream_tbENKUlT_T0_SI_SN_E_clISD_PySD_S15_EEDaS11_S12_SI_SN_EUlS11_E_NS1_11comp_targetILNS1_3genE8ELNS1_11target_archE1030ELNS1_3gpuE2ELNS1_3repE0EEENS1_47radix_sort_onesweep_sort_config_static_selectorELNS0_4arch9wavefront6targetE1EEEvSI_.has_dyn_sized_stack, 0
	.set _ZN7rocprim17ROCPRIM_400000_NS6detail17trampoline_kernelINS0_14default_configENS1_35radix_sort_onesweep_config_selectorIyyEEZZNS1_29radix_sort_onesweep_iterationIS3_Lb0EN6thrust23THRUST_200600_302600_NS6detail15normal_iteratorINS8_10device_ptrIyEEEESD_SD_SD_jNS0_19identity_decomposerENS1_16block_id_wrapperIjLb0EEEEE10hipError_tT1_PNSt15iterator_traitsISI_E10value_typeET2_T3_PNSJ_ISO_E10value_typeET4_T5_PST_SU_PNS1_23onesweep_lookback_stateEbbT6_jjT7_P12ihipStream_tbENKUlT_T0_SI_SN_E_clISD_PySD_S15_EEDaS11_S12_SI_SN_EUlS11_E_NS1_11comp_targetILNS1_3genE8ELNS1_11target_archE1030ELNS1_3gpuE2ELNS1_3repE0EEENS1_47radix_sort_onesweep_sort_config_static_selectorELNS0_4arch9wavefront6targetE1EEEvSI_.has_recursion, 0
	.set _ZN7rocprim17ROCPRIM_400000_NS6detail17trampoline_kernelINS0_14default_configENS1_35radix_sort_onesweep_config_selectorIyyEEZZNS1_29radix_sort_onesweep_iterationIS3_Lb0EN6thrust23THRUST_200600_302600_NS6detail15normal_iteratorINS8_10device_ptrIyEEEESD_SD_SD_jNS0_19identity_decomposerENS1_16block_id_wrapperIjLb0EEEEE10hipError_tT1_PNSt15iterator_traitsISI_E10value_typeET2_T3_PNSJ_ISO_E10value_typeET4_T5_PST_SU_PNS1_23onesweep_lookback_stateEbbT6_jjT7_P12ihipStream_tbENKUlT_T0_SI_SN_E_clISD_PySD_S15_EEDaS11_S12_SI_SN_EUlS11_E_NS1_11comp_targetILNS1_3genE8ELNS1_11target_archE1030ELNS1_3gpuE2ELNS1_3repE0EEENS1_47radix_sort_onesweep_sort_config_static_selectorELNS0_4arch9wavefront6targetE1EEEvSI_.has_indirect_call, 0
	.section	.AMDGPU.csdata,"",@progbits
; Kernel info:
; codeLenInByte = 0
; TotalNumSgprs: 6
; NumVgprs: 0
; NumAgprs: 0
; TotalNumVgprs: 0
; ScratchSize: 0
; MemoryBound: 0
; FloatMode: 240
; IeeeMode: 1
; LDSByteSize: 0 bytes/workgroup (compile time only)
; SGPRBlocks: 0
; VGPRBlocks: 0
; NumSGPRsForWavesPerEU: 6
; NumVGPRsForWavesPerEU: 1
; AccumOffset: 4
; Occupancy: 8
; WaveLimiterHint : 0
; COMPUTE_PGM_RSRC2:SCRATCH_EN: 0
; COMPUTE_PGM_RSRC2:USER_SGPR: 2
; COMPUTE_PGM_RSRC2:TRAP_HANDLER: 0
; COMPUTE_PGM_RSRC2:TGID_X_EN: 1
; COMPUTE_PGM_RSRC2:TGID_Y_EN: 0
; COMPUTE_PGM_RSRC2:TGID_Z_EN: 0
; COMPUTE_PGM_RSRC2:TIDIG_COMP_CNT: 0
; COMPUTE_PGM_RSRC3_GFX90A:ACCUM_OFFSET: 0
; COMPUTE_PGM_RSRC3_GFX90A:TG_SPLIT: 0
	.section	.text._ZN7rocprim17ROCPRIM_400000_NS6detail17trampoline_kernelINS0_14default_configENS1_35radix_sort_onesweep_config_selectorIyyEEZZNS1_29radix_sort_onesweep_iterationIS3_Lb0EN6thrust23THRUST_200600_302600_NS6detail15normal_iteratorINS8_10device_ptrIyEEEESD_SD_SD_jNS0_19identity_decomposerENS1_16block_id_wrapperIjLb0EEEEE10hipError_tT1_PNSt15iterator_traitsISI_E10value_typeET2_T3_PNSJ_ISO_E10value_typeET4_T5_PST_SU_PNS1_23onesweep_lookback_stateEbbT6_jjT7_P12ihipStream_tbENKUlT_T0_SI_SN_E_clIPySD_S15_SD_EEDaS11_S12_SI_SN_EUlS11_E_NS1_11comp_targetILNS1_3genE0ELNS1_11target_archE4294967295ELNS1_3gpuE0ELNS1_3repE0EEENS1_47radix_sort_onesweep_sort_config_static_selectorELNS0_4arch9wavefront6targetE1EEEvSI_,"axG",@progbits,_ZN7rocprim17ROCPRIM_400000_NS6detail17trampoline_kernelINS0_14default_configENS1_35radix_sort_onesweep_config_selectorIyyEEZZNS1_29radix_sort_onesweep_iterationIS3_Lb0EN6thrust23THRUST_200600_302600_NS6detail15normal_iteratorINS8_10device_ptrIyEEEESD_SD_SD_jNS0_19identity_decomposerENS1_16block_id_wrapperIjLb0EEEEE10hipError_tT1_PNSt15iterator_traitsISI_E10value_typeET2_T3_PNSJ_ISO_E10value_typeET4_T5_PST_SU_PNS1_23onesweep_lookback_stateEbbT6_jjT7_P12ihipStream_tbENKUlT_T0_SI_SN_E_clIPySD_S15_SD_EEDaS11_S12_SI_SN_EUlS11_E_NS1_11comp_targetILNS1_3genE0ELNS1_11target_archE4294967295ELNS1_3gpuE0ELNS1_3repE0EEENS1_47radix_sort_onesweep_sort_config_static_selectorELNS0_4arch9wavefront6targetE1EEEvSI_,comdat
	.protected	_ZN7rocprim17ROCPRIM_400000_NS6detail17trampoline_kernelINS0_14default_configENS1_35radix_sort_onesweep_config_selectorIyyEEZZNS1_29radix_sort_onesweep_iterationIS3_Lb0EN6thrust23THRUST_200600_302600_NS6detail15normal_iteratorINS8_10device_ptrIyEEEESD_SD_SD_jNS0_19identity_decomposerENS1_16block_id_wrapperIjLb0EEEEE10hipError_tT1_PNSt15iterator_traitsISI_E10value_typeET2_T3_PNSJ_ISO_E10value_typeET4_T5_PST_SU_PNS1_23onesweep_lookback_stateEbbT6_jjT7_P12ihipStream_tbENKUlT_T0_SI_SN_E_clIPySD_S15_SD_EEDaS11_S12_SI_SN_EUlS11_E_NS1_11comp_targetILNS1_3genE0ELNS1_11target_archE4294967295ELNS1_3gpuE0ELNS1_3repE0EEENS1_47radix_sort_onesweep_sort_config_static_selectorELNS0_4arch9wavefront6targetE1EEEvSI_ ; -- Begin function _ZN7rocprim17ROCPRIM_400000_NS6detail17trampoline_kernelINS0_14default_configENS1_35radix_sort_onesweep_config_selectorIyyEEZZNS1_29radix_sort_onesweep_iterationIS3_Lb0EN6thrust23THRUST_200600_302600_NS6detail15normal_iteratorINS8_10device_ptrIyEEEESD_SD_SD_jNS0_19identity_decomposerENS1_16block_id_wrapperIjLb0EEEEE10hipError_tT1_PNSt15iterator_traitsISI_E10value_typeET2_T3_PNSJ_ISO_E10value_typeET4_T5_PST_SU_PNS1_23onesweep_lookback_stateEbbT6_jjT7_P12ihipStream_tbENKUlT_T0_SI_SN_E_clIPySD_S15_SD_EEDaS11_S12_SI_SN_EUlS11_E_NS1_11comp_targetILNS1_3genE0ELNS1_11target_archE4294967295ELNS1_3gpuE0ELNS1_3repE0EEENS1_47radix_sort_onesweep_sort_config_static_selectorELNS0_4arch9wavefront6targetE1EEEvSI_
	.globl	_ZN7rocprim17ROCPRIM_400000_NS6detail17trampoline_kernelINS0_14default_configENS1_35radix_sort_onesweep_config_selectorIyyEEZZNS1_29radix_sort_onesweep_iterationIS3_Lb0EN6thrust23THRUST_200600_302600_NS6detail15normal_iteratorINS8_10device_ptrIyEEEESD_SD_SD_jNS0_19identity_decomposerENS1_16block_id_wrapperIjLb0EEEEE10hipError_tT1_PNSt15iterator_traitsISI_E10value_typeET2_T3_PNSJ_ISO_E10value_typeET4_T5_PST_SU_PNS1_23onesweep_lookback_stateEbbT6_jjT7_P12ihipStream_tbENKUlT_T0_SI_SN_E_clIPySD_S15_SD_EEDaS11_S12_SI_SN_EUlS11_E_NS1_11comp_targetILNS1_3genE0ELNS1_11target_archE4294967295ELNS1_3gpuE0ELNS1_3repE0EEENS1_47radix_sort_onesweep_sort_config_static_selectorELNS0_4arch9wavefront6targetE1EEEvSI_
	.p2align	8
	.type	_ZN7rocprim17ROCPRIM_400000_NS6detail17trampoline_kernelINS0_14default_configENS1_35radix_sort_onesweep_config_selectorIyyEEZZNS1_29radix_sort_onesweep_iterationIS3_Lb0EN6thrust23THRUST_200600_302600_NS6detail15normal_iteratorINS8_10device_ptrIyEEEESD_SD_SD_jNS0_19identity_decomposerENS1_16block_id_wrapperIjLb0EEEEE10hipError_tT1_PNSt15iterator_traitsISI_E10value_typeET2_T3_PNSJ_ISO_E10value_typeET4_T5_PST_SU_PNS1_23onesweep_lookback_stateEbbT6_jjT7_P12ihipStream_tbENKUlT_T0_SI_SN_E_clIPySD_S15_SD_EEDaS11_S12_SI_SN_EUlS11_E_NS1_11comp_targetILNS1_3genE0ELNS1_11target_archE4294967295ELNS1_3gpuE0ELNS1_3repE0EEENS1_47radix_sort_onesweep_sort_config_static_selectorELNS0_4arch9wavefront6targetE1EEEvSI_,@function
_ZN7rocprim17ROCPRIM_400000_NS6detail17trampoline_kernelINS0_14default_configENS1_35radix_sort_onesweep_config_selectorIyyEEZZNS1_29radix_sort_onesweep_iterationIS3_Lb0EN6thrust23THRUST_200600_302600_NS6detail15normal_iteratorINS8_10device_ptrIyEEEESD_SD_SD_jNS0_19identity_decomposerENS1_16block_id_wrapperIjLb0EEEEE10hipError_tT1_PNSt15iterator_traitsISI_E10value_typeET2_T3_PNSJ_ISO_E10value_typeET4_T5_PST_SU_PNS1_23onesweep_lookback_stateEbbT6_jjT7_P12ihipStream_tbENKUlT_T0_SI_SN_E_clIPySD_S15_SD_EEDaS11_S12_SI_SN_EUlS11_E_NS1_11comp_targetILNS1_3genE0ELNS1_11target_archE4294967295ELNS1_3gpuE0ELNS1_3repE0EEENS1_47radix_sort_onesweep_sort_config_static_selectorELNS0_4arch9wavefront6targetE1EEEvSI_: ; @_ZN7rocprim17ROCPRIM_400000_NS6detail17trampoline_kernelINS0_14default_configENS1_35radix_sort_onesweep_config_selectorIyyEEZZNS1_29radix_sort_onesweep_iterationIS3_Lb0EN6thrust23THRUST_200600_302600_NS6detail15normal_iteratorINS8_10device_ptrIyEEEESD_SD_SD_jNS0_19identity_decomposerENS1_16block_id_wrapperIjLb0EEEEE10hipError_tT1_PNSt15iterator_traitsISI_E10value_typeET2_T3_PNSJ_ISO_E10value_typeET4_T5_PST_SU_PNS1_23onesweep_lookback_stateEbbT6_jjT7_P12ihipStream_tbENKUlT_T0_SI_SN_E_clIPySD_S15_SD_EEDaS11_S12_SI_SN_EUlS11_E_NS1_11comp_targetILNS1_3genE0ELNS1_11target_archE4294967295ELNS1_3gpuE0ELNS1_3repE0EEENS1_47radix_sort_onesweep_sort_config_static_selectorELNS0_4arch9wavefront6targetE1EEEvSI_
; %bb.0:
	.section	.rodata,"a",@progbits
	.p2align	6, 0x0
	.amdhsa_kernel _ZN7rocprim17ROCPRIM_400000_NS6detail17trampoline_kernelINS0_14default_configENS1_35radix_sort_onesweep_config_selectorIyyEEZZNS1_29radix_sort_onesweep_iterationIS3_Lb0EN6thrust23THRUST_200600_302600_NS6detail15normal_iteratorINS8_10device_ptrIyEEEESD_SD_SD_jNS0_19identity_decomposerENS1_16block_id_wrapperIjLb0EEEEE10hipError_tT1_PNSt15iterator_traitsISI_E10value_typeET2_T3_PNSJ_ISO_E10value_typeET4_T5_PST_SU_PNS1_23onesweep_lookback_stateEbbT6_jjT7_P12ihipStream_tbENKUlT_T0_SI_SN_E_clIPySD_S15_SD_EEDaS11_S12_SI_SN_EUlS11_E_NS1_11comp_targetILNS1_3genE0ELNS1_11target_archE4294967295ELNS1_3gpuE0ELNS1_3repE0EEENS1_47radix_sort_onesweep_sort_config_static_selectorELNS0_4arch9wavefront6targetE1EEEvSI_
		.amdhsa_group_segment_fixed_size 0
		.amdhsa_private_segment_fixed_size 0
		.amdhsa_kernarg_size 88
		.amdhsa_user_sgpr_count 2
		.amdhsa_user_sgpr_dispatch_ptr 0
		.amdhsa_user_sgpr_queue_ptr 0
		.amdhsa_user_sgpr_kernarg_segment_ptr 1
		.amdhsa_user_sgpr_dispatch_id 0
		.amdhsa_user_sgpr_kernarg_preload_length 0
		.amdhsa_user_sgpr_kernarg_preload_offset 0
		.amdhsa_user_sgpr_private_segment_size 0
		.amdhsa_uses_dynamic_stack 0
		.amdhsa_enable_private_segment 0
		.amdhsa_system_sgpr_workgroup_id_x 1
		.amdhsa_system_sgpr_workgroup_id_y 0
		.amdhsa_system_sgpr_workgroup_id_z 0
		.amdhsa_system_sgpr_workgroup_info 0
		.amdhsa_system_vgpr_workitem_id 0
		.amdhsa_next_free_vgpr 1
		.amdhsa_next_free_sgpr 0
		.amdhsa_accum_offset 4
		.amdhsa_reserve_vcc 0
		.amdhsa_float_round_mode_32 0
		.amdhsa_float_round_mode_16_64 0
		.amdhsa_float_denorm_mode_32 3
		.amdhsa_float_denorm_mode_16_64 3
		.amdhsa_dx10_clamp 1
		.amdhsa_ieee_mode 1
		.amdhsa_fp16_overflow 0
		.amdhsa_tg_split 0
		.amdhsa_exception_fp_ieee_invalid_op 0
		.amdhsa_exception_fp_denorm_src 0
		.amdhsa_exception_fp_ieee_div_zero 0
		.amdhsa_exception_fp_ieee_overflow 0
		.amdhsa_exception_fp_ieee_underflow 0
		.amdhsa_exception_fp_ieee_inexact 0
		.amdhsa_exception_int_div_zero 0
	.end_amdhsa_kernel
	.section	.text._ZN7rocprim17ROCPRIM_400000_NS6detail17trampoline_kernelINS0_14default_configENS1_35radix_sort_onesweep_config_selectorIyyEEZZNS1_29radix_sort_onesweep_iterationIS3_Lb0EN6thrust23THRUST_200600_302600_NS6detail15normal_iteratorINS8_10device_ptrIyEEEESD_SD_SD_jNS0_19identity_decomposerENS1_16block_id_wrapperIjLb0EEEEE10hipError_tT1_PNSt15iterator_traitsISI_E10value_typeET2_T3_PNSJ_ISO_E10value_typeET4_T5_PST_SU_PNS1_23onesweep_lookback_stateEbbT6_jjT7_P12ihipStream_tbENKUlT_T0_SI_SN_E_clIPySD_S15_SD_EEDaS11_S12_SI_SN_EUlS11_E_NS1_11comp_targetILNS1_3genE0ELNS1_11target_archE4294967295ELNS1_3gpuE0ELNS1_3repE0EEENS1_47radix_sort_onesweep_sort_config_static_selectorELNS0_4arch9wavefront6targetE1EEEvSI_,"axG",@progbits,_ZN7rocprim17ROCPRIM_400000_NS6detail17trampoline_kernelINS0_14default_configENS1_35radix_sort_onesweep_config_selectorIyyEEZZNS1_29radix_sort_onesweep_iterationIS3_Lb0EN6thrust23THRUST_200600_302600_NS6detail15normal_iteratorINS8_10device_ptrIyEEEESD_SD_SD_jNS0_19identity_decomposerENS1_16block_id_wrapperIjLb0EEEEE10hipError_tT1_PNSt15iterator_traitsISI_E10value_typeET2_T3_PNSJ_ISO_E10value_typeET4_T5_PST_SU_PNS1_23onesweep_lookback_stateEbbT6_jjT7_P12ihipStream_tbENKUlT_T0_SI_SN_E_clIPySD_S15_SD_EEDaS11_S12_SI_SN_EUlS11_E_NS1_11comp_targetILNS1_3genE0ELNS1_11target_archE4294967295ELNS1_3gpuE0ELNS1_3repE0EEENS1_47radix_sort_onesweep_sort_config_static_selectorELNS0_4arch9wavefront6targetE1EEEvSI_,comdat
.Lfunc_end573:
	.size	_ZN7rocprim17ROCPRIM_400000_NS6detail17trampoline_kernelINS0_14default_configENS1_35radix_sort_onesweep_config_selectorIyyEEZZNS1_29radix_sort_onesweep_iterationIS3_Lb0EN6thrust23THRUST_200600_302600_NS6detail15normal_iteratorINS8_10device_ptrIyEEEESD_SD_SD_jNS0_19identity_decomposerENS1_16block_id_wrapperIjLb0EEEEE10hipError_tT1_PNSt15iterator_traitsISI_E10value_typeET2_T3_PNSJ_ISO_E10value_typeET4_T5_PST_SU_PNS1_23onesweep_lookback_stateEbbT6_jjT7_P12ihipStream_tbENKUlT_T0_SI_SN_E_clIPySD_S15_SD_EEDaS11_S12_SI_SN_EUlS11_E_NS1_11comp_targetILNS1_3genE0ELNS1_11target_archE4294967295ELNS1_3gpuE0ELNS1_3repE0EEENS1_47radix_sort_onesweep_sort_config_static_selectorELNS0_4arch9wavefront6targetE1EEEvSI_, .Lfunc_end573-_ZN7rocprim17ROCPRIM_400000_NS6detail17trampoline_kernelINS0_14default_configENS1_35radix_sort_onesweep_config_selectorIyyEEZZNS1_29radix_sort_onesweep_iterationIS3_Lb0EN6thrust23THRUST_200600_302600_NS6detail15normal_iteratorINS8_10device_ptrIyEEEESD_SD_SD_jNS0_19identity_decomposerENS1_16block_id_wrapperIjLb0EEEEE10hipError_tT1_PNSt15iterator_traitsISI_E10value_typeET2_T3_PNSJ_ISO_E10value_typeET4_T5_PST_SU_PNS1_23onesweep_lookback_stateEbbT6_jjT7_P12ihipStream_tbENKUlT_T0_SI_SN_E_clIPySD_S15_SD_EEDaS11_S12_SI_SN_EUlS11_E_NS1_11comp_targetILNS1_3genE0ELNS1_11target_archE4294967295ELNS1_3gpuE0ELNS1_3repE0EEENS1_47radix_sort_onesweep_sort_config_static_selectorELNS0_4arch9wavefront6targetE1EEEvSI_
                                        ; -- End function
	.set _ZN7rocprim17ROCPRIM_400000_NS6detail17trampoline_kernelINS0_14default_configENS1_35radix_sort_onesweep_config_selectorIyyEEZZNS1_29radix_sort_onesweep_iterationIS3_Lb0EN6thrust23THRUST_200600_302600_NS6detail15normal_iteratorINS8_10device_ptrIyEEEESD_SD_SD_jNS0_19identity_decomposerENS1_16block_id_wrapperIjLb0EEEEE10hipError_tT1_PNSt15iterator_traitsISI_E10value_typeET2_T3_PNSJ_ISO_E10value_typeET4_T5_PST_SU_PNS1_23onesweep_lookback_stateEbbT6_jjT7_P12ihipStream_tbENKUlT_T0_SI_SN_E_clIPySD_S15_SD_EEDaS11_S12_SI_SN_EUlS11_E_NS1_11comp_targetILNS1_3genE0ELNS1_11target_archE4294967295ELNS1_3gpuE0ELNS1_3repE0EEENS1_47radix_sort_onesweep_sort_config_static_selectorELNS0_4arch9wavefront6targetE1EEEvSI_.num_vgpr, 0
	.set _ZN7rocprim17ROCPRIM_400000_NS6detail17trampoline_kernelINS0_14default_configENS1_35radix_sort_onesweep_config_selectorIyyEEZZNS1_29radix_sort_onesweep_iterationIS3_Lb0EN6thrust23THRUST_200600_302600_NS6detail15normal_iteratorINS8_10device_ptrIyEEEESD_SD_SD_jNS0_19identity_decomposerENS1_16block_id_wrapperIjLb0EEEEE10hipError_tT1_PNSt15iterator_traitsISI_E10value_typeET2_T3_PNSJ_ISO_E10value_typeET4_T5_PST_SU_PNS1_23onesweep_lookback_stateEbbT6_jjT7_P12ihipStream_tbENKUlT_T0_SI_SN_E_clIPySD_S15_SD_EEDaS11_S12_SI_SN_EUlS11_E_NS1_11comp_targetILNS1_3genE0ELNS1_11target_archE4294967295ELNS1_3gpuE0ELNS1_3repE0EEENS1_47radix_sort_onesweep_sort_config_static_selectorELNS0_4arch9wavefront6targetE1EEEvSI_.num_agpr, 0
	.set _ZN7rocprim17ROCPRIM_400000_NS6detail17trampoline_kernelINS0_14default_configENS1_35radix_sort_onesweep_config_selectorIyyEEZZNS1_29radix_sort_onesweep_iterationIS3_Lb0EN6thrust23THRUST_200600_302600_NS6detail15normal_iteratorINS8_10device_ptrIyEEEESD_SD_SD_jNS0_19identity_decomposerENS1_16block_id_wrapperIjLb0EEEEE10hipError_tT1_PNSt15iterator_traitsISI_E10value_typeET2_T3_PNSJ_ISO_E10value_typeET4_T5_PST_SU_PNS1_23onesweep_lookback_stateEbbT6_jjT7_P12ihipStream_tbENKUlT_T0_SI_SN_E_clIPySD_S15_SD_EEDaS11_S12_SI_SN_EUlS11_E_NS1_11comp_targetILNS1_3genE0ELNS1_11target_archE4294967295ELNS1_3gpuE0ELNS1_3repE0EEENS1_47radix_sort_onesweep_sort_config_static_selectorELNS0_4arch9wavefront6targetE1EEEvSI_.numbered_sgpr, 0
	.set _ZN7rocprim17ROCPRIM_400000_NS6detail17trampoline_kernelINS0_14default_configENS1_35radix_sort_onesweep_config_selectorIyyEEZZNS1_29radix_sort_onesweep_iterationIS3_Lb0EN6thrust23THRUST_200600_302600_NS6detail15normal_iteratorINS8_10device_ptrIyEEEESD_SD_SD_jNS0_19identity_decomposerENS1_16block_id_wrapperIjLb0EEEEE10hipError_tT1_PNSt15iterator_traitsISI_E10value_typeET2_T3_PNSJ_ISO_E10value_typeET4_T5_PST_SU_PNS1_23onesweep_lookback_stateEbbT6_jjT7_P12ihipStream_tbENKUlT_T0_SI_SN_E_clIPySD_S15_SD_EEDaS11_S12_SI_SN_EUlS11_E_NS1_11comp_targetILNS1_3genE0ELNS1_11target_archE4294967295ELNS1_3gpuE0ELNS1_3repE0EEENS1_47radix_sort_onesweep_sort_config_static_selectorELNS0_4arch9wavefront6targetE1EEEvSI_.num_named_barrier, 0
	.set _ZN7rocprim17ROCPRIM_400000_NS6detail17trampoline_kernelINS0_14default_configENS1_35radix_sort_onesweep_config_selectorIyyEEZZNS1_29radix_sort_onesweep_iterationIS3_Lb0EN6thrust23THRUST_200600_302600_NS6detail15normal_iteratorINS8_10device_ptrIyEEEESD_SD_SD_jNS0_19identity_decomposerENS1_16block_id_wrapperIjLb0EEEEE10hipError_tT1_PNSt15iterator_traitsISI_E10value_typeET2_T3_PNSJ_ISO_E10value_typeET4_T5_PST_SU_PNS1_23onesweep_lookback_stateEbbT6_jjT7_P12ihipStream_tbENKUlT_T0_SI_SN_E_clIPySD_S15_SD_EEDaS11_S12_SI_SN_EUlS11_E_NS1_11comp_targetILNS1_3genE0ELNS1_11target_archE4294967295ELNS1_3gpuE0ELNS1_3repE0EEENS1_47radix_sort_onesweep_sort_config_static_selectorELNS0_4arch9wavefront6targetE1EEEvSI_.private_seg_size, 0
	.set _ZN7rocprim17ROCPRIM_400000_NS6detail17trampoline_kernelINS0_14default_configENS1_35radix_sort_onesweep_config_selectorIyyEEZZNS1_29radix_sort_onesweep_iterationIS3_Lb0EN6thrust23THRUST_200600_302600_NS6detail15normal_iteratorINS8_10device_ptrIyEEEESD_SD_SD_jNS0_19identity_decomposerENS1_16block_id_wrapperIjLb0EEEEE10hipError_tT1_PNSt15iterator_traitsISI_E10value_typeET2_T3_PNSJ_ISO_E10value_typeET4_T5_PST_SU_PNS1_23onesweep_lookback_stateEbbT6_jjT7_P12ihipStream_tbENKUlT_T0_SI_SN_E_clIPySD_S15_SD_EEDaS11_S12_SI_SN_EUlS11_E_NS1_11comp_targetILNS1_3genE0ELNS1_11target_archE4294967295ELNS1_3gpuE0ELNS1_3repE0EEENS1_47radix_sort_onesweep_sort_config_static_selectorELNS0_4arch9wavefront6targetE1EEEvSI_.uses_vcc, 0
	.set _ZN7rocprim17ROCPRIM_400000_NS6detail17trampoline_kernelINS0_14default_configENS1_35radix_sort_onesweep_config_selectorIyyEEZZNS1_29radix_sort_onesweep_iterationIS3_Lb0EN6thrust23THRUST_200600_302600_NS6detail15normal_iteratorINS8_10device_ptrIyEEEESD_SD_SD_jNS0_19identity_decomposerENS1_16block_id_wrapperIjLb0EEEEE10hipError_tT1_PNSt15iterator_traitsISI_E10value_typeET2_T3_PNSJ_ISO_E10value_typeET4_T5_PST_SU_PNS1_23onesweep_lookback_stateEbbT6_jjT7_P12ihipStream_tbENKUlT_T0_SI_SN_E_clIPySD_S15_SD_EEDaS11_S12_SI_SN_EUlS11_E_NS1_11comp_targetILNS1_3genE0ELNS1_11target_archE4294967295ELNS1_3gpuE0ELNS1_3repE0EEENS1_47radix_sort_onesweep_sort_config_static_selectorELNS0_4arch9wavefront6targetE1EEEvSI_.uses_flat_scratch, 0
	.set _ZN7rocprim17ROCPRIM_400000_NS6detail17trampoline_kernelINS0_14default_configENS1_35radix_sort_onesweep_config_selectorIyyEEZZNS1_29radix_sort_onesweep_iterationIS3_Lb0EN6thrust23THRUST_200600_302600_NS6detail15normal_iteratorINS8_10device_ptrIyEEEESD_SD_SD_jNS0_19identity_decomposerENS1_16block_id_wrapperIjLb0EEEEE10hipError_tT1_PNSt15iterator_traitsISI_E10value_typeET2_T3_PNSJ_ISO_E10value_typeET4_T5_PST_SU_PNS1_23onesweep_lookback_stateEbbT6_jjT7_P12ihipStream_tbENKUlT_T0_SI_SN_E_clIPySD_S15_SD_EEDaS11_S12_SI_SN_EUlS11_E_NS1_11comp_targetILNS1_3genE0ELNS1_11target_archE4294967295ELNS1_3gpuE0ELNS1_3repE0EEENS1_47radix_sort_onesweep_sort_config_static_selectorELNS0_4arch9wavefront6targetE1EEEvSI_.has_dyn_sized_stack, 0
	.set _ZN7rocprim17ROCPRIM_400000_NS6detail17trampoline_kernelINS0_14default_configENS1_35radix_sort_onesweep_config_selectorIyyEEZZNS1_29radix_sort_onesweep_iterationIS3_Lb0EN6thrust23THRUST_200600_302600_NS6detail15normal_iteratorINS8_10device_ptrIyEEEESD_SD_SD_jNS0_19identity_decomposerENS1_16block_id_wrapperIjLb0EEEEE10hipError_tT1_PNSt15iterator_traitsISI_E10value_typeET2_T3_PNSJ_ISO_E10value_typeET4_T5_PST_SU_PNS1_23onesweep_lookback_stateEbbT6_jjT7_P12ihipStream_tbENKUlT_T0_SI_SN_E_clIPySD_S15_SD_EEDaS11_S12_SI_SN_EUlS11_E_NS1_11comp_targetILNS1_3genE0ELNS1_11target_archE4294967295ELNS1_3gpuE0ELNS1_3repE0EEENS1_47radix_sort_onesweep_sort_config_static_selectorELNS0_4arch9wavefront6targetE1EEEvSI_.has_recursion, 0
	.set _ZN7rocprim17ROCPRIM_400000_NS6detail17trampoline_kernelINS0_14default_configENS1_35radix_sort_onesweep_config_selectorIyyEEZZNS1_29radix_sort_onesweep_iterationIS3_Lb0EN6thrust23THRUST_200600_302600_NS6detail15normal_iteratorINS8_10device_ptrIyEEEESD_SD_SD_jNS0_19identity_decomposerENS1_16block_id_wrapperIjLb0EEEEE10hipError_tT1_PNSt15iterator_traitsISI_E10value_typeET2_T3_PNSJ_ISO_E10value_typeET4_T5_PST_SU_PNS1_23onesweep_lookback_stateEbbT6_jjT7_P12ihipStream_tbENKUlT_T0_SI_SN_E_clIPySD_S15_SD_EEDaS11_S12_SI_SN_EUlS11_E_NS1_11comp_targetILNS1_3genE0ELNS1_11target_archE4294967295ELNS1_3gpuE0ELNS1_3repE0EEENS1_47radix_sort_onesweep_sort_config_static_selectorELNS0_4arch9wavefront6targetE1EEEvSI_.has_indirect_call, 0
	.section	.AMDGPU.csdata,"",@progbits
; Kernel info:
; codeLenInByte = 0
; TotalNumSgprs: 6
; NumVgprs: 0
; NumAgprs: 0
; TotalNumVgprs: 0
; ScratchSize: 0
; MemoryBound: 0
; FloatMode: 240
; IeeeMode: 1
; LDSByteSize: 0 bytes/workgroup (compile time only)
; SGPRBlocks: 0
; VGPRBlocks: 0
; NumSGPRsForWavesPerEU: 6
; NumVGPRsForWavesPerEU: 1
; AccumOffset: 4
; Occupancy: 8
; WaveLimiterHint : 0
; COMPUTE_PGM_RSRC2:SCRATCH_EN: 0
; COMPUTE_PGM_RSRC2:USER_SGPR: 2
; COMPUTE_PGM_RSRC2:TRAP_HANDLER: 0
; COMPUTE_PGM_RSRC2:TGID_X_EN: 1
; COMPUTE_PGM_RSRC2:TGID_Y_EN: 0
; COMPUTE_PGM_RSRC2:TGID_Z_EN: 0
; COMPUTE_PGM_RSRC2:TIDIG_COMP_CNT: 0
; COMPUTE_PGM_RSRC3_GFX90A:ACCUM_OFFSET: 0
; COMPUTE_PGM_RSRC3_GFX90A:TG_SPLIT: 0
	.section	.text._ZN7rocprim17ROCPRIM_400000_NS6detail17trampoline_kernelINS0_14default_configENS1_35radix_sort_onesweep_config_selectorIyyEEZZNS1_29radix_sort_onesweep_iterationIS3_Lb0EN6thrust23THRUST_200600_302600_NS6detail15normal_iteratorINS8_10device_ptrIyEEEESD_SD_SD_jNS0_19identity_decomposerENS1_16block_id_wrapperIjLb0EEEEE10hipError_tT1_PNSt15iterator_traitsISI_E10value_typeET2_T3_PNSJ_ISO_E10value_typeET4_T5_PST_SU_PNS1_23onesweep_lookback_stateEbbT6_jjT7_P12ihipStream_tbENKUlT_T0_SI_SN_E_clIPySD_S15_SD_EEDaS11_S12_SI_SN_EUlS11_E_NS1_11comp_targetILNS1_3genE6ELNS1_11target_archE950ELNS1_3gpuE13ELNS1_3repE0EEENS1_47radix_sort_onesweep_sort_config_static_selectorELNS0_4arch9wavefront6targetE1EEEvSI_,"axG",@progbits,_ZN7rocprim17ROCPRIM_400000_NS6detail17trampoline_kernelINS0_14default_configENS1_35radix_sort_onesweep_config_selectorIyyEEZZNS1_29radix_sort_onesweep_iterationIS3_Lb0EN6thrust23THRUST_200600_302600_NS6detail15normal_iteratorINS8_10device_ptrIyEEEESD_SD_SD_jNS0_19identity_decomposerENS1_16block_id_wrapperIjLb0EEEEE10hipError_tT1_PNSt15iterator_traitsISI_E10value_typeET2_T3_PNSJ_ISO_E10value_typeET4_T5_PST_SU_PNS1_23onesweep_lookback_stateEbbT6_jjT7_P12ihipStream_tbENKUlT_T0_SI_SN_E_clIPySD_S15_SD_EEDaS11_S12_SI_SN_EUlS11_E_NS1_11comp_targetILNS1_3genE6ELNS1_11target_archE950ELNS1_3gpuE13ELNS1_3repE0EEENS1_47radix_sort_onesweep_sort_config_static_selectorELNS0_4arch9wavefront6targetE1EEEvSI_,comdat
	.protected	_ZN7rocprim17ROCPRIM_400000_NS6detail17trampoline_kernelINS0_14default_configENS1_35radix_sort_onesweep_config_selectorIyyEEZZNS1_29radix_sort_onesweep_iterationIS3_Lb0EN6thrust23THRUST_200600_302600_NS6detail15normal_iteratorINS8_10device_ptrIyEEEESD_SD_SD_jNS0_19identity_decomposerENS1_16block_id_wrapperIjLb0EEEEE10hipError_tT1_PNSt15iterator_traitsISI_E10value_typeET2_T3_PNSJ_ISO_E10value_typeET4_T5_PST_SU_PNS1_23onesweep_lookback_stateEbbT6_jjT7_P12ihipStream_tbENKUlT_T0_SI_SN_E_clIPySD_S15_SD_EEDaS11_S12_SI_SN_EUlS11_E_NS1_11comp_targetILNS1_3genE6ELNS1_11target_archE950ELNS1_3gpuE13ELNS1_3repE0EEENS1_47radix_sort_onesweep_sort_config_static_selectorELNS0_4arch9wavefront6targetE1EEEvSI_ ; -- Begin function _ZN7rocprim17ROCPRIM_400000_NS6detail17trampoline_kernelINS0_14default_configENS1_35radix_sort_onesweep_config_selectorIyyEEZZNS1_29radix_sort_onesweep_iterationIS3_Lb0EN6thrust23THRUST_200600_302600_NS6detail15normal_iteratorINS8_10device_ptrIyEEEESD_SD_SD_jNS0_19identity_decomposerENS1_16block_id_wrapperIjLb0EEEEE10hipError_tT1_PNSt15iterator_traitsISI_E10value_typeET2_T3_PNSJ_ISO_E10value_typeET4_T5_PST_SU_PNS1_23onesweep_lookback_stateEbbT6_jjT7_P12ihipStream_tbENKUlT_T0_SI_SN_E_clIPySD_S15_SD_EEDaS11_S12_SI_SN_EUlS11_E_NS1_11comp_targetILNS1_3genE6ELNS1_11target_archE950ELNS1_3gpuE13ELNS1_3repE0EEENS1_47radix_sort_onesweep_sort_config_static_selectorELNS0_4arch9wavefront6targetE1EEEvSI_
	.globl	_ZN7rocprim17ROCPRIM_400000_NS6detail17trampoline_kernelINS0_14default_configENS1_35radix_sort_onesweep_config_selectorIyyEEZZNS1_29radix_sort_onesweep_iterationIS3_Lb0EN6thrust23THRUST_200600_302600_NS6detail15normal_iteratorINS8_10device_ptrIyEEEESD_SD_SD_jNS0_19identity_decomposerENS1_16block_id_wrapperIjLb0EEEEE10hipError_tT1_PNSt15iterator_traitsISI_E10value_typeET2_T3_PNSJ_ISO_E10value_typeET4_T5_PST_SU_PNS1_23onesweep_lookback_stateEbbT6_jjT7_P12ihipStream_tbENKUlT_T0_SI_SN_E_clIPySD_S15_SD_EEDaS11_S12_SI_SN_EUlS11_E_NS1_11comp_targetILNS1_3genE6ELNS1_11target_archE950ELNS1_3gpuE13ELNS1_3repE0EEENS1_47radix_sort_onesweep_sort_config_static_selectorELNS0_4arch9wavefront6targetE1EEEvSI_
	.p2align	8
	.type	_ZN7rocprim17ROCPRIM_400000_NS6detail17trampoline_kernelINS0_14default_configENS1_35radix_sort_onesweep_config_selectorIyyEEZZNS1_29radix_sort_onesweep_iterationIS3_Lb0EN6thrust23THRUST_200600_302600_NS6detail15normal_iteratorINS8_10device_ptrIyEEEESD_SD_SD_jNS0_19identity_decomposerENS1_16block_id_wrapperIjLb0EEEEE10hipError_tT1_PNSt15iterator_traitsISI_E10value_typeET2_T3_PNSJ_ISO_E10value_typeET4_T5_PST_SU_PNS1_23onesweep_lookback_stateEbbT6_jjT7_P12ihipStream_tbENKUlT_T0_SI_SN_E_clIPySD_S15_SD_EEDaS11_S12_SI_SN_EUlS11_E_NS1_11comp_targetILNS1_3genE6ELNS1_11target_archE950ELNS1_3gpuE13ELNS1_3repE0EEENS1_47radix_sort_onesweep_sort_config_static_selectorELNS0_4arch9wavefront6targetE1EEEvSI_,@function
_ZN7rocprim17ROCPRIM_400000_NS6detail17trampoline_kernelINS0_14default_configENS1_35radix_sort_onesweep_config_selectorIyyEEZZNS1_29radix_sort_onesweep_iterationIS3_Lb0EN6thrust23THRUST_200600_302600_NS6detail15normal_iteratorINS8_10device_ptrIyEEEESD_SD_SD_jNS0_19identity_decomposerENS1_16block_id_wrapperIjLb0EEEEE10hipError_tT1_PNSt15iterator_traitsISI_E10value_typeET2_T3_PNSJ_ISO_E10value_typeET4_T5_PST_SU_PNS1_23onesweep_lookback_stateEbbT6_jjT7_P12ihipStream_tbENKUlT_T0_SI_SN_E_clIPySD_S15_SD_EEDaS11_S12_SI_SN_EUlS11_E_NS1_11comp_targetILNS1_3genE6ELNS1_11target_archE950ELNS1_3gpuE13ELNS1_3repE0EEENS1_47radix_sort_onesweep_sort_config_static_selectorELNS0_4arch9wavefront6targetE1EEEvSI_: ; @_ZN7rocprim17ROCPRIM_400000_NS6detail17trampoline_kernelINS0_14default_configENS1_35radix_sort_onesweep_config_selectorIyyEEZZNS1_29radix_sort_onesweep_iterationIS3_Lb0EN6thrust23THRUST_200600_302600_NS6detail15normal_iteratorINS8_10device_ptrIyEEEESD_SD_SD_jNS0_19identity_decomposerENS1_16block_id_wrapperIjLb0EEEEE10hipError_tT1_PNSt15iterator_traitsISI_E10value_typeET2_T3_PNSJ_ISO_E10value_typeET4_T5_PST_SU_PNS1_23onesweep_lookback_stateEbbT6_jjT7_P12ihipStream_tbENKUlT_T0_SI_SN_E_clIPySD_S15_SD_EEDaS11_S12_SI_SN_EUlS11_E_NS1_11comp_targetILNS1_3genE6ELNS1_11target_archE950ELNS1_3gpuE13ELNS1_3repE0EEENS1_47radix_sort_onesweep_sort_config_static_selectorELNS0_4arch9wavefront6targetE1EEEvSI_
; %bb.0:
	s_load_dwordx4 s[52:55], s[2:3], 0x44
	s_load_dwordx8 s[40:47], s[2:3], 0x0
	s_load_dwordx4 s[48:51], s[2:3], 0x28
	s_load_dwordx2 s[38:39], s[2:3], 0x38
	v_and_b32_e32 v2, 0x3ff, v0
	v_bfe_u32 v3, v0, 10, 10
	v_bfe_u32 v28, v0, 20, 10
	s_mov_b64 s[6:7], -1
	s_waitcnt lgkmcnt(0)
	s_cmp_ge_u32 s4, s54
	v_mbcnt_lo_u32_b32 v30, -1, 0
	v_lshlrev_b32_e32 v29, 3, v2
	s_cbranch_scc0 .LBB574_116
; %bb.1:
	s_load_dword s5, s[2:3], 0x20
	s_lshl_b32 s8, s54, 13
	s_lshl_b32 s6, s4, 13
	s_mov_b32 s7, 0
	s_lshl_b64 s[54:55], s[6:7], 3
	s_waitcnt lgkmcnt(0)
	s_sub_i32 s5, s5, s8
	v_mbcnt_hi_u32_b32 v26, -1, v30
	s_add_u32 s6, s40, s54
	v_and_b32_e32 v8, 63, v26
	s_addc_u32 s7, s41, s55
	v_and_b32_e32 v9, 0x1e00, v29
	v_mov_b32_e32 v1, 0
	v_lshlrev_b32_e32 v0, 3, v8
	v_lshl_add_u64 v[6:7], s[6:7], 0, v[0:1]
	v_lshlrev_b32_e32 v4, 3, v9
	v_mov_b32_e32 v5, v1
	v_or_b32_e32 v1, v8, v9
	v_lshl_add_u64 v[22:23], v[6:7], 0, v[4:5]
	v_cmp_gt_u32_e32 vcc, s5, v1
	v_mov_b64_e32 v[6:7], -1
	v_mov_b64_e32 v[8:9], -1
	s_and_saveexec_b64 s[6:7], vcc
	s_cbranch_execz .LBB574_3
; %bb.2:
	global_load_dwordx2 v[8:9], v[22:23], off
.LBB574_3:
	s_or_b64 exec, exec, s[6:7]
	v_or_b32_e32 v5, 64, v1
	v_cmp_gt_u32_e64 s[16:17], s5, v5
	s_and_saveexec_b64 s[6:7], s[16:17]
	s_cbranch_execz .LBB574_5
; %bb.4:
	global_load_dwordx2 v[6:7], v[22:23], off offset:512
.LBB574_5:
	s_or_b64 exec, exec, s[6:7]
	v_or_b32_e32 v5, 0x80, v1
	v_cmp_gt_u32_e64 s[26:27], s5, v5
	v_mov_b64_e32 v[10:11], -1
	v_mov_b64_e32 v[12:13], -1
	s_and_saveexec_b64 s[6:7], s[26:27]
	s_cbranch_execz .LBB574_7
; %bb.6:
	global_load_dwordx2 v[12:13], v[22:23], off offset:1024
.LBB574_7:
	s_or_b64 exec, exec, s[6:7]
	v_or_b32_e32 v5, 0xc0, v1
	v_cmp_gt_u32_e64 s[6:7], s5, v5
	s_and_saveexec_b64 s[8:9], s[6:7]
	s_cbranch_execz .LBB574_9
; %bb.8:
	global_load_dwordx2 v[10:11], v[22:23], off offset:1536
.LBB574_9:
	s_or_b64 exec, exec, s[8:9]
	v_or_b32_e32 v5, 0x100, v1
	v_cmp_gt_u32_e64 s[8:9], s5, v5
	v_mov_b64_e32 v[14:15], -1
	v_mov_b64_e32 v[16:17], -1
	s_and_saveexec_b64 s[10:11], s[8:9]
	s_cbranch_execz .LBB574_11
; %bb.10:
	global_load_dwordx2 v[16:17], v[22:23], off offset:2048
.LBB574_11:
	s_or_b64 exec, exec, s[10:11]
	v_or_b32_e32 v5, 0x140, v1
	v_cmp_gt_u32_e64 s[10:11], s5, v5
	s_and_saveexec_b64 s[12:13], s[10:11]
	s_cbranch_execz .LBB574_13
; %bb.12:
	global_load_dwordx2 v[14:15], v[22:23], off offset:2560
.LBB574_13:
	s_or_b64 exec, exec, s[12:13]
	v_or_b32_e32 v5, 0x180, v1
	v_cmp_gt_u32_e64 s[12:13], s5, v5
	v_mov_b64_e32 v[18:19], -1
	v_mov_b64_e32 v[20:21], -1
	s_and_saveexec_b64 s[14:15], s[12:13]
	s_cbranch_execz .LBB574_15
; %bb.14:
	global_load_dwordx2 v[20:21], v[22:23], off offset:3072
.LBB574_15:
	s_or_b64 exec, exec, s[14:15]
	v_or_b32_e32 v1, 0x1c0, v1
	v_cmp_gt_u32_e64 s[14:15], s5, v1
	s_and_saveexec_b64 s[18:19], s[14:15]
	s_cbranch_execz .LBB574_17
; %bb.16:
	global_load_dwordx2 v[18:19], v[22:23], off offset:3584
.LBB574_17:
	s_or_b64 exec, exec, s[18:19]
	s_load_dword s18, s[2:3], 0x64
	s_load_dword s33, s[2:3], 0x58
	s_add_u32 s19, s2, 0x58
	s_addc_u32 s20, s3, 0
	v_mov_b32_e32 v23, 0
	s_waitcnt lgkmcnt(0)
	s_lshr_b32 s21, s18, 16
	s_cmp_lt_u32 s4, s33
	s_cselect_b32 s18, 12, 18
	s_add_u32 s18, s19, s18
	s_addc_u32 s19, s20, 0
	global_load_ushort v1, v23, s[18:19]
	s_waitcnt vmcnt(1)
	v_lshrrev_b64 v[24:25], s52, v[8:9]
	s_lshl_b32 s18, -1, s53
	v_bitop3_b32 v24, v24, s18, v24 bitop3:0x30
	s_movk_i32 s57, 0x44
	v_and_b32_e32 v22, 1, v24
	v_lshlrev_b32_e32 v33, 30, v24
	v_mov_b32_e32 v32, v23
	s_not_b32 s56, s18
	v_mul_lo_u32 v46, v24, s57
	v_lshlrev_b32_e32 v35, 29, v24
	v_lshlrev_b32_e32 v37, 28, v24
	;; [unrolled: 1-line block ×6, first 2 shown]
	v_lshl_add_u64 v[24:25], v[22:23], 0, -1
	v_cmp_ne_u32_e64 s[18:19], 0, v22
	v_not_b32_e32 v22, v33
	v_mov_b32_e32 v34, v23
	v_mov_b32_e32 v36, v23
	v_mad_u32_u24 v27, v28, s21, v3
	v_cmp_gt_i64_e64 s[20:21], 0, v[32:33]
	v_not_b32_e32 v31, v35
	v_xor_b32_e32 v25, s19, v25
	v_ashrrev_i32_e32 v22, 31, v22
	v_cmp_gt_i64_e64 s[22:23], 0, v[34:35]
	v_cmp_gt_i64_e64 s[24:25], 0, v[36:37]
	v_not_b32_e32 v32, v37
	v_xor_b32_e32 v24, s18, v24
	v_ashrrev_i32_e32 v31, 31, v31
	v_and_b32_e32 v25, exec_hi, v25
	v_xor_b32_e32 v36, s21, v22
	v_mov_b32_e32 v38, v23
	v_not_b32_e32 v33, v39
	v_ashrrev_i32_e32 v32, 31, v32
	v_and_b32_e32 v24, exec_lo, v24
	v_xor_b32_e32 v22, s20, v22
	v_xor_b32_e32 v37, s23, v31
	v_and_b32_e32 v25, v25, v36
	v_mov_b32_e32 v40, v23
	v_cmp_gt_i64_e64 s[28:29], 0, v[38:39]
	v_not_b32_e32 v34, v41
	v_ashrrev_i32_e32 v33, 31, v33
	v_xor_b32_e32 v38, s25, v32
	v_and_b32_e32 v22, v24, v22
	v_and_b32_e32 v24, v25, v37
	v_mov_b32_e32 v42, v23
	v_cmp_gt_i64_e64 s[30:31], 0, v[40:41]
	v_not_b32_e32 v35, v43
	v_ashrrev_i32_e32 v34, 31, v34
	v_xor_b32_e32 v39, s29, v33
	v_and_b32_e32 v24, v24, v38
	v_cmp_gt_i64_e64 s[34:35], 0, v[42:43]
	v_ashrrev_i32_e32 v35, 31, v35
	v_xor_b32_e32 v40, s31, v34
	v_and_b32_e32 v24, v24, v39
	v_xor_b32_e32 v31, s22, v31
	v_xor_b32_e32 v41, s35, v35
	v_and_b32_e32 v24, v24, v40
	v_xor_b32_e32 v32, s24, v32
	v_and_b32_e32 v22, v22, v31
	v_and_b32_e32 v31, v24, v41
	v_xor_b32_e32 v33, s28, v33
	v_and_b32_e32 v22, v22, v32
	v_mov_b32_e32 v44, v23
	v_xor_b32_e32 v34, s30, v34
	v_and_b32_e32 v22, v22, v33
	v_cmp_gt_i64_e64 s[36:37], 0, v[44:45]
	v_xor_b32_e32 v35, s34, v35
	v_and_b32_e32 v22, v22, v34
	v_and_b32_e32 v22, v22, v35
	v_mul_u32_u24_e32 v5, 20, v2
	ds_write2_b32 v5, v23, v23 offset0:16 offset1:17
	ds_write2_b32 v5, v23, v23 offset0:18 offset1:19
	ds_write_b32 v5, v23 offset:80
	s_waitcnt lgkmcnt(0)
	s_barrier
	s_waitcnt vmcnt(0)
	; wave barrier
	v_mad_u64_u32 v[24:25], s[18:19], v27, v1, v[2:3]
	v_lshrrev_b32_e32 v1, 4, v24
	v_and_b32_e32 v40, 0xffffffc, v1
	v_not_b32_e32 v1, v45
	v_ashrrev_i32_e32 v1, 31, v1
	v_xor_b32_e32 v24, s37, v1
	v_xor_b32_e32 v1, s36, v1
	v_and_b32_e32 v25, v31, v24
	v_and_b32_e32 v24, v22, v1
	v_mbcnt_lo_u32_b32 v1, v24, 0
	v_mbcnt_hi_u32_b32 v31, v25, v1
	v_cmp_eq_u32_e64 s[18:19], 0, v31
	v_cmp_ne_u64_e64 s[20:21], 0, v[24:25]
	s_and_b64 s[20:21], s[20:21], s[18:19]
	v_add_u32_e32 v27, v40, v46
	s_and_saveexec_b64 s[18:19], s[20:21]
; %bb.18:
	v_bcnt_u32_b32 v1, v24, 0
	v_bcnt_u32_b32 v1, v25, v1
	ds_write_b32 v27, v1 offset:64
; %bb.19:
	s_or_b64 exec, exec, s[18:19]
	v_lshrrev_b64 v[24:25], s52, v[6:7]
	v_and_b32_e32 v32, s56, v24
	v_and_b32_e32 v22, 1, v32
	v_lshl_add_u64 v[24:25], v[22:23], 0, -1
	v_cmp_ne_u32_e64 s[18:19], 0, v22
	v_mul_lo_u32 v1, v32, s57
	v_add_u32_e32 v34, v40, v1
	v_xor_b32_e32 v24, s18, v24
	v_xor_b32_e32 v22, s19, v25
	v_and_b32_e32 v33, exec_lo, v24
	v_lshlrev_b32_e32 v25, 30, v32
	v_mov_b32_e32 v24, v23
	v_cmp_gt_i64_e64 s[18:19], 0, v[24:25]
	v_not_b32_e32 v24, v25
	v_ashrrev_i32_e32 v24, 31, v24
	v_and_b32_e32 v22, exec_hi, v22
	v_xor_b32_e32 v25, s19, v24
	v_xor_b32_e32 v24, s18, v24
	v_and_b32_e32 v22, v22, v25
	v_and_b32_e32 v33, v33, v24
	v_lshlrev_b32_e32 v25, 29, v32
	v_mov_b32_e32 v24, v23
	v_cmp_gt_i64_e64 s[18:19], 0, v[24:25]
	v_not_b32_e32 v24, v25
	v_ashrrev_i32_e32 v24, 31, v24
	v_xor_b32_e32 v25, s19, v24
	v_xor_b32_e32 v24, s18, v24
	v_and_b32_e32 v22, v22, v25
	v_and_b32_e32 v33, v33, v24
	v_lshlrev_b32_e32 v25, 28, v32
	v_mov_b32_e32 v24, v23
	v_cmp_gt_i64_e64 s[18:19], 0, v[24:25]
	v_not_b32_e32 v24, v25
	v_ashrrev_i32_e32 v24, 31, v24
	;; [unrolled: 9-line block ×5, first 2 shown]
	v_xor_b32_e32 v25, s19, v24
	v_xor_b32_e32 v24, s18, v24
	v_and_b32_e32 v22, v22, v25
	v_lshlrev_b32_e32 v25, 24, v32
	v_and_b32_e32 v33, v33, v24
	v_mov_b32_e32 v24, v23
	v_not_b32_e32 v23, v25
	v_cmp_gt_i64_e64 s[18:19], 0, v[24:25]
	v_ashrrev_i32_e32 v23, 31, v23
	s_nop 0
	v_xor_b32_e32 v24, s19, v23
	v_xor_b32_e32 v25, s18, v23
	; wave barrier
	ds_read_b32 v1, v34 offset:64
	v_and_b32_e32 v23, v22, v24
	v_and_b32_e32 v22, v33, v25
	v_mbcnt_lo_u32_b32 v24, v22, 0
	v_mbcnt_hi_u32_b32 v32, v23, v24
	v_cmp_eq_u32_e64 s[18:19], 0, v32
	v_cmp_ne_u64_e64 s[20:21], 0, v[22:23]
	s_and_b64 s[20:21], s[20:21], s[18:19]
	; wave barrier
	s_and_saveexec_b64 s[18:19], s[20:21]
	s_cbranch_execz .LBB574_21
; %bb.20:
	v_bcnt_u32_b32 v22, v22, 0
	v_bcnt_u32_b32 v22, v23, v22
	s_waitcnt lgkmcnt(0)
	v_add_u32_e32 v22, v1, v22
	ds_write_b32 v34, v22 offset:64
.LBB574_21:
	s_or_b64 exec, exec, s[18:19]
	v_lshrrev_b64 v[22:23], s52, v[12:13]
	v_and_b32_e32 v35, s56, v22
	s_movk_i32 s22, 0x44
	v_mul_lo_u32 v22, v35, s22
	v_add_u32_e32 v37, v40, v22
	v_and_b32_e32 v22, 1, v35
	v_mov_b32_e32 v23, 0
	v_lshl_add_u64 v[24:25], v[22:23], 0, -1
	v_cmp_ne_u32_e64 s[18:19], 0, v22
	; wave barrier
	s_nop 1
	v_xor_b32_e32 v24, s18, v24
	v_xor_b32_e32 v22, s19, v25
	v_and_b32_e32 v36, exec_lo, v24
	v_lshlrev_b32_e32 v25, 30, v35
	v_mov_b32_e32 v24, v23
	v_cmp_gt_i64_e64 s[18:19], 0, v[24:25]
	v_not_b32_e32 v24, v25
	v_ashrrev_i32_e32 v24, 31, v24
	v_and_b32_e32 v22, exec_hi, v22
	v_xor_b32_e32 v25, s19, v24
	v_xor_b32_e32 v24, s18, v24
	v_and_b32_e32 v22, v22, v25
	v_and_b32_e32 v36, v36, v24
	v_lshlrev_b32_e32 v25, 29, v35
	v_mov_b32_e32 v24, v23
	v_cmp_gt_i64_e64 s[18:19], 0, v[24:25]
	v_not_b32_e32 v24, v25
	v_ashrrev_i32_e32 v24, 31, v24
	v_xor_b32_e32 v25, s19, v24
	v_xor_b32_e32 v24, s18, v24
	v_and_b32_e32 v22, v22, v25
	v_and_b32_e32 v36, v36, v24
	v_lshlrev_b32_e32 v25, 28, v35
	v_mov_b32_e32 v24, v23
	v_cmp_gt_i64_e64 s[18:19], 0, v[24:25]
	v_not_b32_e32 v24, v25
	v_ashrrev_i32_e32 v24, 31, v24
	;; [unrolled: 9-line block ×6, first 2 shown]
	v_xor_b32_e32 v25, s19, v24
	v_xor_b32_e32 v24, s18, v24
	ds_read_b32 v33, v37 offset:64
	v_and_b32_e32 v24, v36, v24
	v_and_b32_e32 v25, v22, v25
	v_mbcnt_lo_u32_b32 v22, v24, 0
	v_mbcnt_hi_u32_b32 v35, v25, v22
	v_cmp_eq_u32_e64 s[18:19], 0, v35
	v_cmp_ne_u64_e64 s[20:21], 0, v[24:25]
	s_and_b64 s[20:21], s[20:21], s[18:19]
	; wave barrier
	s_and_saveexec_b64 s[18:19], s[20:21]
	s_cbranch_execz .LBB574_23
; %bb.22:
	v_bcnt_u32_b32 v22, v24, 0
	v_bcnt_u32_b32 v22, v25, v22
	s_waitcnt lgkmcnt(0)
	v_add_u32_e32 v22, v33, v22
	ds_write_b32 v37, v22 offset:64
.LBB574_23:
	s_or_b64 exec, exec, s[18:19]
	v_lshrrev_b64 v[24:25], s52, v[10:11]
	v_and_b32_e32 v38, s56, v24
	v_mul_lo_u32 v22, v38, s22
	v_add_u32_e32 v41, v40, v22
	v_and_b32_e32 v22, 1, v38
	v_lshl_add_u64 v[24:25], v[22:23], 0, -1
	v_cmp_ne_u32_e64 s[18:19], 0, v22
	; wave barrier
	s_nop 1
	v_xor_b32_e32 v24, s18, v24
	v_xor_b32_e32 v22, s19, v25
	v_and_b32_e32 v39, exec_lo, v24
	v_lshlrev_b32_e32 v25, 30, v38
	v_mov_b32_e32 v24, v23
	v_cmp_gt_i64_e64 s[18:19], 0, v[24:25]
	v_not_b32_e32 v24, v25
	v_ashrrev_i32_e32 v24, 31, v24
	v_and_b32_e32 v22, exec_hi, v22
	v_xor_b32_e32 v25, s19, v24
	v_xor_b32_e32 v24, s18, v24
	v_and_b32_e32 v22, v22, v25
	v_and_b32_e32 v39, v39, v24
	v_lshlrev_b32_e32 v25, 29, v38
	v_mov_b32_e32 v24, v23
	v_cmp_gt_i64_e64 s[18:19], 0, v[24:25]
	v_not_b32_e32 v24, v25
	v_ashrrev_i32_e32 v24, 31, v24
	v_xor_b32_e32 v25, s19, v24
	v_xor_b32_e32 v24, s18, v24
	v_and_b32_e32 v22, v22, v25
	v_and_b32_e32 v39, v39, v24
	v_lshlrev_b32_e32 v25, 28, v38
	v_mov_b32_e32 v24, v23
	v_cmp_gt_i64_e64 s[18:19], 0, v[24:25]
	v_not_b32_e32 v24, v25
	v_ashrrev_i32_e32 v24, 31, v24
	;; [unrolled: 9-line block ×5, first 2 shown]
	v_xor_b32_e32 v25, s19, v24
	v_xor_b32_e32 v24, s18, v24
	v_and_b32_e32 v22, v22, v25
	v_lshlrev_b32_e32 v25, 24, v38
	v_and_b32_e32 v39, v39, v24
	v_mov_b32_e32 v24, v23
	v_not_b32_e32 v23, v25
	v_cmp_gt_i64_e64 s[18:19], 0, v[24:25]
	v_ashrrev_i32_e32 v23, 31, v23
	ds_read_b32 v36, v41 offset:64
	v_xor_b32_e32 v24, s19, v23
	v_xor_b32_e32 v25, s18, v23
	v_and_b32_e32 v23, v22, v24
	v_and_b32_e32 v22, v39, v25
	v_mbcnt_lo_u32_b32 v24, v22, 0
	v_mbcnt_hi_u32_b32 v38, v23, v24
	v_cmp_eq_u32_e64 s[18:19], 0, v38
	v_cmp_ne_u64_e64 s[20:21], 0, v[22:23]
	s_and_b64 s[20:21], s[20:21], s[18:19]
	; wave barrier
	s_and_saveexec_b64 s[18:19], s[20:21]
	s_cbranch_execz .LBB574_25
; %bb.24:
	v_bcnt_u32_b32 v22, v22, 0
	v_bcnt_u32_b32 v22, v23, v22
	s_waitcnt lgkmcnt(0)
	v_add_u32_e32 v22, v36, v22
	ds_write_b32 v41, v22 offset:64
.LBB574_25:
	s_or_b64 exec, exec, s[18:19]
	v_lshrrev_b64 v[22:23], s52, v[16:17]
	v_and_b32_e32 v42, s56, v22
	v_mul_lo_u32 v22, v42, s22
	v_add_u32_e32 v44, v40, v22
	v_and_b32_e32 v22, 1, v42
	v_mov_b32_e32 v23, 0
	v_lshl_add_u64 v[24:25], v[22:23], 0, -1
	v_cmp_ne_u32_e64 s[18:19], 0, v22
	; wave barrier
	s_nop 1
	v_xor_b32_e32 v24, s18, v24
	v_xor_b32_e32 v22, s19, v25
	v_and_b32_e32 v43, exec_lo, v24
	v_lshlrev_b32_e32 v25, 30, v42
	v_mov_b32_e32 v24, v23
	v_cmp_gt_i64_e64 s[18:19], 0, v[24:25]
	v_not_b32_e32 v24, v25
	v_ashrrev_i32_e32 v24, 31, v24
	v_and_b32_e32 v22, exec_hi, v22
	v_xor_b32_e32 v25, s19, v24
	v_xor_b32_e32 v24, s18, v24
	v_and_b32_e32 v22, v22, v25
	v_and_b32_e32 v43, v43, v24
	v_lshlrev_b32_e32 v25, 29, v42
	v_mov_b32_e32 v24, v23
	v_cmp_gt_i64_e64 s[18:19], 0, v[24:25]
	v_not_b32_e32 v24, v25
	v_ashrrev_i32_e32 v24, 31, v24
	v_xor_b32_e32 v25, s19, v24
	v_xor_b32_e32 v24, s18, v24
	v_and_b32_e32 v22, v22, v25
	v_and_b32_e32 v43, v43, v24
	v_lshlrev_b32_e32 v25, 28, v42
	v_mov_b32_e32 v24, v23
	v_cmp_gt_i64_e64 s[18:19], 0, v[24:25]
	v_not_b32_e32 v24, v25
	v_ashrrev_i32_e32 v24, 31, v24
	;; [unrolled: 9-line block ×6, first 2 shown]
	v_xor_b32_e32 v25, s19, v24
	v_xor_b32_e32 v24, s18, v24
	ds_read_b32 v39, v44 offset:64
	v_and_b32_e32 v24, v43, v24
	v_and_b32_e32 v25, v22, v25
	v_mbcnt_lo_u32_b32 v22, v24, 0
	v_mbcnt_hi_u32_b32 v42, v25, v22
	v_cmp_eq_u32_e64 s[18:19], 0, v42
	v_cmp_ne_u64_e64 s[20:21], 0, v[24:25]
	s_and_b64 s[20:21], s[20:21], s[18:19]
	; wave barrier
	s_and_saveexec_b64 s[18:19], s[20:21]
	s_cbranch_execz .LBB574_27
; %bb.26:
	v_bcnt_u32_b32 v22, v24, 0
	v_bcnt_u32_b32 v22, v25, v22
	s_waitcnt lgkmcnt(0)
	v_add_u32_e32 v22, v39, v22
	ds_write_b32 v44, v22 offset:64
.LBB574_27:
	s_or_b64 exec, exec, s[18:19]
	v_lshrrev_b64 v[24:25], s52, v[14:15]
	v_and_b32_e32 v45, s56, v24
	v_mul_lo_u32 v22, v45, s22
	v_add_u32_e32 v47, v40, v22
	v_and_b32_e32 v22, 1, v45
	v_lshl_add_u64 v[24:25], v[22:23], 0, -1
	v_cmp_ne_u32_e64 s[18:19], 0, v22
	; wave barrier
	s_nop 1
	v_xor_b32_e32 v24, s18, v24
	v_xor_b32_e32 v22, s19, v25
	v_and_b32_e32 v46, exec_lo, v24
	v_lshlrev_b32_e32 v25, 30, v45
	v_mov_b32_e32 v24, v23
	v_cmp_gt_i64_e64 s[18:19], 0, v[24:25]
	v_not_b32_e32 v24, v25
	v_ashrrev_i32_e32 v24, 31, v24
	v_and_b32_e32 v22, exec_hi, v22
	v_xor_b32_e32 v25, s19, v24
	v_xor_b32_e32 v24, s18, v24
	v_and_b32_e32 v22, v22, v25
	v_and_b32_e32 v46, v46, v24
	v_lshlrev_b32_e32 v25, 29, v45
	v_mov_b32_e32 v24, v23
	v_cmp_gt_i64_e64 s[18:19], 0, v[24:25]
	v_not_b32_e32 v24, v25
	v_ashrrev_i32_e32 v24, 31, v24
	v_xor_b32_e32 v25, s19, v24
	v_xor_b32_e32 v24, s18, v24
	v_and_b32_e32 v22, v22, v25
	v_and_b32_e32 v46, v46, v24
	v_lshlrev_b32_e32 v25, 28, v45
	v_mov_b32_e32 v24, v23
	v_cmp_gt_i64_e64 s[18:19], 0, v[24:25]
	v_not_b32_e32 v24, v25
	v_ashrrev_i32_e32 v24, 31, v24
	;; [unrolled: 9-line block ×5, first 2 shown]
	v_xor_b32_e32 v25, s19, v24
	v_xor_b32_e32 v24, s18, v24
	v_and_b32_e32 v22, v22, v25
	v_lshlrev_b32_e32 v25, 24, v45
	v_and_b32_e32 v46, v46, v24
	v_mov_b32_e32 v24, v23
	v_not_b32_e32 v23, v25
	v_cmp_gt_i64_e64 s[18:19], 0, v[24:25]
	v_ashrrev_i32_e32 v23, 31, v23
	ds_read_b32 v43, v47 offset:64
	v_xor_b32_e32 v24, s19, v23
	v_xor_b32_e32 v25, s18, v23
	v_and_b32_e32 v23, v22, v24
	v_and_b32_e32 v22, v46, v25
	v_mbcnt_lo_u32_b32 v24, v22, 0
	v_mbcnt_hi_u32_b32 v45, v23, v24
	v_cmp_eq_u32_e64 s[18:19], 0, v45
	v_cmp_ne_u64_e64 s[20:21], 0, v[22:23]
	s_and_b64 s[20:21], s[20:21], s[18:19]
	; wave barrier
	s_and_saveexec_b64 s[18:19], s[20:21]
	s_cbranch_execz .LBB574_29
; %bb.28:
	v_bcnt_u32_b32 v22, v22, 0
	v_bcnt_u32_b32 v22, v23, v22
	s_waitcnt lgkmcnt(0)
	v_add_u32_e32 v22, v43, v22
	ds_write_b32 v47, v22 offset:64
.LBB574_29:
	s_or_b64 exec, exec, s[18:19]
	v_lshrrev_b64 v[22:23], s52, v[20:21]
	v_and_b32_e32 v48, s56, v22
	v_mul_lo_u32 v22, v48, s22
	v_add_u32_e32 v50, v40, v22
	v_and_b32_e32 v22, 1, v48
	v_mov_b32_e32 v23, 0
	v_lshl_add_u64 v[24:25], v[22:23], 0, -1
	v_cmp_ne_u32_e64 s[18:19], 0, v22
	; wave barrier
	s_nop 1
	v_xor_b32_e32 v24, s18, v24
	v_xor_b32_e32 v22, s19, v25
	v_and_b32_e32 v49, exec_lo, v24
	v_lshlrev_b32_e32 v25, 30, v48
	v_mov_b32_e32 v24, v23
	v_cmp_gt_i64_e64 s[18:19], 0, v[24:25]
	v_not_b32_e32 v24, v25
	v_ashrrev_i32_e32 v24, 31, v24
	v_and_b32_e32 v22, exec_hi, v22
	v_xor_b32_e32 v25, s19, v24
	v_xor_b32_e32 v24, s18, v24
	v_and_b32_e32 v22, v22, v25
	v_and_b32_e32 v49, v49, v24
	v_lshlrev_b32_e32 v25, 29, v48
	v_mov_b32_e32 v24, v23
	v_cmp_gt_i64_e64 s[18:19], 0, v[24:25]
	v_not_b32_e32 v24, v25
	v_ashrrev_i32_e32 v24, 31, v24
	v_xor_b32_e32 v25, s19, v24
	v_xor_b32_e32 v24, s18, v24
	v_and_b32_e32 v22, v22, v25
	v_and_b32_e32 v49, v49, v24
	v_lshlrev_b32_e32 v25, 28, v48
	v_mov_b32_e32 v24, v23
	v_cmp_gt_i64_e64 s[18:19], 0, v[24:25]
	v_not_b32_e32 v24, v25
	v_ashrrev_i32_e32 v24, 31, v24
	;; [unrolled: 9-line block ×6, first 2 shown]
	v_xor_b32_e32 v25, s19, v24
	v_xor_b32_e32 v24, s18, v24
	ds_read_b32 v46, v50 offset:64
	v_and_b32_e32 v24, v49, v24
	v_and_b32_e32 v25, v22, v25
	v_mbcnt_lo_u32_b32 v22, v24, 0
	v_mbcnt_hi_u32_b32 v48, v25, v22
	v_cmp_eq_u32_e64 s[18:19], 0, v48
	v_cmp_ne_u64_e64 s[20:21], 0, v[24:25]
	s_and_b64 s[20:21], s[20:21], s[18:19]
	; wave barrier
	s_and_saveexec_b64 s[18:19], s[20:21]
	s_cbranch_execz .LBB574_31
; %bb.30:
	v_bcnt_u32_b32 v22, v24, 0
	v_bcnt_u32_b32 v22, v25, v22
	s_waitcnt lgkmcnt(0)
	v_add_u32_e32 v22, v46, v22
	ds_write_b32 v50, v22 offset:64
.LBB574_31:
	s_or_b64 exec, exec, s[18:19]
	v_lshrrev_b64 v[24:25], s52, v[18:19]
	v_and_b32_e32 v51, s56, v24
	v_mul_lo_u32 v22, v51, s22
	v_add_u32_e32 v40, v40, v22
	v_and_b32_e32 v22, 1, v51
	v_lshl_add_u64 v[24:25], v[22:23], 0, -1
	v_cmp_ne_u32_e64 s[18:19], 0, v22
	; wave barrier
	s_nop 1
	v_xor_b32_e32 v24, s18, v24
	v_xor_b32_e32 v22, s19, v25
	v_and_b32_e32 v52, exec_lo, v24
	v_lshlrev_b32_e32 v25, 30, v51
	v_mov_b32_e32 v24, v23
	v_cmp_gt_i64_e64 s[18:19], 0, v[24:25]
	v_not_b32_e32 v24, v25
	v_ashrrev_i32_e32 v24, 31, v24
	v_and_b32_e32 v22, exec_hi, v22
	v_xor_b32_e32 v25, s19, v24
	v_xor_b32_e32 v24, s18, v24
	v_and_b32_e32 v22, v22, v25
	v_and_b32_e32 v52, v52, v24
	v_lshlrev_b32_e32 v25, 29, v51
	v_mov_b32_e32 v24, v23
	v_cmp_gt_i64_e64 s[18:19], 0, v[24:25]
	v_not_b32_e32 v24, v25
	v_ashrrev_i32_e32 v24, 31, v24
	v_xor_b32_e32 v25, s19, v24
	v_xor_b32_e32 v24, s18, v24
	v_and_b32_e32 v22, v22, v25
	v_and_b32_e32 v52, v52, v24
	v_lshlrev_b32_e32 v25, 28, v51
	v_mov_b32_e32 v24, v23
	v_cmp_gt_i64_e64 s[18:19], 0, v[24:25]
	v_not_b32_e32 v24, v25
	v_ashrrev_i32_e32 v24, 31, v24
	;; [unrolled: 9-line block ×5, first 2 shown]
	v_xor_b32_e32 v25, s19, v24
	v_xor_b32_e32 v24, s18, v24
	v_and_b32_e32 v22, v22, v25
	v_lshlrev_b32_e32 v25, 24, v51
	v_and_b32_e32 v52, v52, v24
	v_mov_b32_e32 v24, v23
	v_not_b32_e32 v23, v25
	v_cmp_gt_i64_e64 s[18:19], 0, v[24:25]
	v_ashrrev_i32_e32 v23, 31, v23
	ds_read_b32 v49, v40 offset:64
	v_xor_b32_e32 v24, s19, v23
	v_xor_b32_e32 v25, s18, v23
	v_and_b32_e32 v23, v22, v24
	v_and_b32_e32 v22, v52, v25
	v_mbcnt_lo_u32_b32 v24, v22, 0
	v_mbcnt_hi_u32_b32 v51, v23, v24
	v_cmp_eq_u32_e64 s[18:19], 0, v51
	v_cmp_ne_u64_e64 s[20:21], 0, v[22:23]
	s_and_b64 s[20:21], s[20:21], s[18:19]
	; wave barrier
	s_and_saveexec_b64 s[18:19], s[20:21]
	s_cbranch_execz .LBB574_33
; %bb.32:
	v_bcnt_u32_b32 v22, v22, 0
	v_bcnt_u32_b32 v22, v23, v22
	s_waitcnt lgkmcnt(0)
	v_add_u32_e32 v22, v49, v22
	ds_write_b32 v40, v22 offset:64
.LBB574_33:
	s_or_b64 exec, exec, s[18:19]
	; wave barrier
	s_waitcnt lgkmcnt(0)
	s_barrier
	ds_read2_b32 v[24:25], v5 offset0:16 offset1:17
	ds_read2_b32 v[22:23], v5 offset0:18 offset1:19
	ds_read_b32 v52, v5 offset:80
	v_cmp_lt_u32_e64 s[28:29], 31, v26
	s_waitcnt lgkmcnt(1)
	v_add3_u32 v53, v25, v24, v22
	s_waitcnt lgkmcnt(0)
	v_add3_u32 v52, v53, v23, v52
	v_and_b32_e32 v53, 15, v26
	v_cmp_eq_u32_e64 s[18:19], 0, v53
	v_mov_b32_dpp v54, v52 row_shr:1 row_mask:0xf bank_mask:0xf
	v_cmp_lt_u32_e64 s[20:21], 1, v53
	v_cndmask_b32_e64 v54, v54, 0, s[18:19]
	v_add_u32_e32 v52, v54, v52
	v_cmp_lt_u32_e64 s[22:23], 3, v53
	v_cmp_lt_u32_e64 s[24:25], 7, v53
	v_mov_b32_dpp v54, v52 row_shr:2 row_mask:0xf bank_mask:0xf
	v_cndmask_b32_e64 v54, 0, v54, s[20:21]
	v_add_u32_e32 v52, v52, v54
	s_nop 1
	v_mov_b32_dpp v54, v52 row_shr:4 row_mask:0xf bank_mask:0xf
	v_cndmask_b32_e64 v54, 0, v54, s[22:23]
	v_add_u32_e32 v52, v52, v54
	s_nop 1
	v_mov_b32_dpp v54, v52 row_shr:8 row_mask:0xf bank_mask:0xf
	v_cndmask_b32_e64 v53, 0, v54, s[24:25]
	v_add_u32_e32 v52, v52, v53
	v_bfe_i32 v54, v26, 4, 1
	s_nop 0
	v_mov_b32_dpp v53, v52 row_bcast:15 row_mask:0xf bank_mask:0xf
	v_and_b32_e32 v53, v54, v53
	v_add_u32_e32 v52, v52, v53
	v_and_b32_e32 v54, 63, v2
	s_nop 0
	v_mov_b32_dpp v53, v52 row_bcast:31 row_mask:0xf bank_mask:0xf
	v_cndmask_b32_e64 v53, 0, v53, s[28:29]
	v_add_u32_e32 v52, v52, v53
	v_lshrrev_b32_e32 v53, 6, v2
	v_cmp_eq_u32_e64 s[28:29], 63, v54
	s_and_saveexec_b64 s[30:31], s[28:29]
; %bb.34:
	v_lshlrev_b32_e32 v54, 2, v53
	ds_write_b32 v54, v52
; %bb.35:
	s_or_b64 exec, exec, s[30:31]
	v_cmp_gt_u32_e64 s[28:29], 16, v2
	s_waitcnt lgkmcnt(0)
	s_barrier
	s_and_saveexec_b64 s[30:31], s[28:29]
	s_cbranch_execz .LBB574_37
; %bb.36:
	v_lshlrev_b32_e32 v54, 2, v2
	ds_read_b32 v55, v54
	s_waitcnt lgkmcnt(0)
	s_nop 0
	v_mov_b32_dpp v56, v55 row_shr:1 row_mask:0xf bank_mask:0xf
	v_cndmask_b32_e64 v56, v56, 0, s[18:19]
	v_add_u32_e32 v55, v56, v55
	s_nop 1
	v_mov_b32_dpp v56, v55 row_shr:2 row_mask:0xf bank_mask:0xf
	v_cndmask_b32_e64 v56, 0, v56, s[20:21]
	v_add_u32_e32 v55, v55, v56
	;; [unrolled: 4-line block ×4, first 2 shown]
	ds_write_b32 v54, v55
.LBB574_37:
	s_or_b64 exec, exec, s[30:31]
	v_cmp_lt_u32_e64 s[18:19], 63, v2
	v_mov_b32_e32 v54, 0
	s_waitcnt lgkmcnt(0)
	s_barrier
	s_and_saveexec_b64 s[20:21], s[18:19]
; %bb.38:
	v_lshl_add_u32 v53, v53, 2, -4
	ds_read_b32 v54, v53
; %bb.39:
	s_or_b64 exec, exec, s[20:21]
	v_subrev_co_u32_e64 v53, s[18:19], 1, v26
	v_and_b32_e32 v55, 64, v26
	v_cmp_lt_i32_e64 s[20:21], v53, v55
	s_waitcnt lgkmcnt(0)
	v_add_u32_e32 v52, v54, v52
	s_movk_i32 s22, 0x100
	v_cndmask_b32_e64 v26, v53, v26, s[20:21]
	v_lshlrev_b32_e32 v26, 2, v26
	ds_bpermute_b32 v26, v26, v52
	v_cmp_gt_u32_e64 s[20:21], s22, v2
	s_waitcnt lgkmcnt(0)
	v_cndmask_b32_e64 v26, v26, v54, s[18:19]
	v_cmp_ne_u32_e64 s[18:19], 0, v2
	s_nop 1
	v_cndmask_b32_e64 v26, 0, v26, s[18:19]
	v_add_u32_e32 v24, v26, v24
	v_add_u32_e32 v25, v24, v25
	;; [unrolled: 1-line block ×4, first 2 shown]
	ds_write2_b32 v5, v26, v24 offset0:16 offset1:17
	ds_write2_b32 v5, v25, v22 offset0:18 offset1:19
	ds_write_b32 v5, v23 offset:80
	s_waitcnt lgkmcnt(0)
	s_barrier
	ds_read_b32 v55, v27 offset:64
	ds_read_b32 v5, v34 offset:64
	;; [unrolled: 1-line block ×8, first 2 shown]
	s_movk_i32 s18, 0xff
	v_cmp_lt_u32_e64 s[18:19], s18, v2
                                        ; implicit-def: $vgpr34
                                        ; implicit-def: $vgpr37
	s_and_saveexec_b64 s[24:25], s[20:21]
	s_cbranch_execz .LBB574_43
; %bb.40:
	v_mul_u32_u24_e32 v22, 0x44, v2
	ds_read_b32 v34, v22 offset:64
	v_add_u32_e32 v23, 1, v2
	v_cmp_ne_u32_e64 s[22:23], s22, v23
	v_mov_b32_e32 v22, 0x2000
	s_and_saveexec_b64 s[28:29], s[22:23]
; %bb.41:
	v_mul_u32_u24_e32 v22, 0x44, v23
	ds_read_b32 v22, v22 offset:64
; %bb.42:
	s_or_b64 exec, exec, s[28:29]
	s_waitcnt lgkmcnt(0)
	v_sub_u32_e32 v37, v22, v34
.LBB574_43:
	s_or_b64 exec, exec, s[24:25]
	v_mov_b32_e32 v23, 0
	v_lshlrev_b32_e32 v40, 2, v2
	s_waitcnt lgkmcnt(0)
	s_barrier
	s_and_saveexec_b64 s[22:23], s[20:21]
	s_cbranch_execz .LBB574_53
; %bb.44:
	v_lshl_add_u32 v22, s4, 8, v2
	v_lshl_add_u64 v[24:25], v[22:23], 2, s[38:39]
	v_or_b32_e32 v22, 2.0, v37
	s_mov_b64 s[24:25], 0
	s_brev_b32 s34, -4
	s_mov_b32 s35, s4
	v_mov_b32_e32 v50, 0
	global_store_dword v[24:25], v22, off sc1
                                        ; implicit-def: $sgpr20_sgpr21
	s_branch .LBB574_47
.LBB574_45:                             ;   in Loop: Header=BB574_47 Depth=1
	s_or_b64 exec, exec, s[30:31]
.LBB574_46:                             ;   in Loop: Header=BB574_47 Depth=1
	s_or_b64 exec, exec, s[28:29]
	v_and_b32_e32 v26, 0x3fffffff, v22
	v_add_u32_e32 v50, v26, v50
	v_cmp_gt_i32_e64 s[20:21], -2.0, v22
	s_and_b64 s[28:29], exec, s[20:21]
	s_or_b64 s[24:25], s[28:29], s[24:25]
	s_andn2_b64 exec, exec, s[24:25]
	s_cbranch_execz .LBB574_52
.LBB574_47:                             ; =>This Loop Header: Depth=1
                                        ;     Child Loop BB574_50 Depth 2
	s_or_b64 s[20:21], s[20:21], exec
	s_cmp_eq_u32 s35, 0
	s_cbranch_scc1 .LBB574_51
; %bb.48:                               ;   in Loop: Header=BB574_47 Depth=1
	s_add_i32 s35, s35, -1
	v_lshl_or_b32 v22, s35, 8, v2
	v_lshl_add_u64 v[26:27], v[22:23], 2, s[38:39]
	global_load_dword v22, v[26:27], off sc1
	s_waitcnt vmcnt(0)
	v_cmp_gt_u32_e64 s[20:21], 2.0, v22
	s_and_saveexec_b64 s[28:29], s[20:21]
	s_cbranch_execz .LBB574_46
; %bb.49:                               ;   in Loop: Header=BB574_47 Depth=1
	s_mov_b64 s[30:31], 0
.LBB574_50:                             ;   Parent Loop BB574_47 Depth=1
                                        ; =>  This Inner Loop Header: Depth=2
	global_load_dword v22, v[26:27], off sc1
	s_waitcnt vmcnt(0)
	v_cmp_lt_u32_e64 s[20:21], s34, v22
	s_or_b64 s[30:31], s[20:21], s[30:31]
	s_andn2_b64 exec, exec, s[30:31]
	s_cbranch_execnz .LBB574_50
	s_branch .LBB574_45
.LBB574_51:                             ;   in Loop: Header=BB574_47 Depth=1
                                        ; implicit-def: $sgpr35
	s_and_b64 s[28:29], exec, s[20:21]
	s_or_b64 s[24:25], s[28:29], s[24:25]
	s_andn2_b64 exec, exec, s[24:25]
	s_cbranch_execnz .LBB574_47
.LBB574_52:
	s_or_b64 exec, exec, s[24:25]
	v_add_u32_e32 v22, v50, v37
	v_or_b32_e32 v22, 0x80000000, v22
	global_store_dword v[24:25], v22, off sc1
	global_load_dword v22, v40, s[48:49]
	v_sub_u32_e32 v23, v50, v34
	s_waitcnt vmcnt(0)
	v_add_u32_e32 v22, v23, v22
	ds_write_b32 v40, v22
.LBB574_53:
	s_or_b64 exec, exec, s[22:23]
	s_load_dwordx2 s[20:21], s[0:1], 0x4
	v_add_u32_e32 v24, v55, v31
	v_add3_u32 v22, v32, v1, v5
	v_add3_u32 v23, v35, v33, v52
	v_add3_u32 v50, v38, v36, v53
	s_waitcnt lgkmcnt(0)
	s_lshr_b32 s0, s20, 16
	s_mul_i32 s0, s0, s21
	v_mul_lo_u32 v25, s0, v2
	v_mul_u32_u24_e32 v27, s21, v3
	v_add3_u32 v25, v25, v27, v28
	v_mov_b32_e32 v27, 0x5050
	v_add3_u32 v55, v42, v39, v54
	v_add3_u32 v56, v45, v43, v47
	;; [unrolled: 1-line block ×4, first 2 shown]
	v_lshl_add_u32 v25, v25, 5, v27
	v_mov_b32_e32 v57, 0x400
	s_movk_i32 s22, 0x400
	v_lshl_add_u32 v26, v26, 3, v57
	v_add3_u32 v27, v51, v44, v49
	v_lshl_add_u32 v31, v31, 3, v57
	v_add3_u32 v41, v48, v41, v46
	;; [unrolled: 2-line block ×7, first 2 shown]
	v_lshl_add_u32 v46, v24, 3, v57
	s_mov_b32 s23, 0
	s_movk_i32 s24, 0x800
	v_add_u32_e32 v47, v40, v40
	v_mov_b32_e32 v23, 0
	v_mov_b32_e32 v1, v2
	;; [unrolled: 1-line block ×3, first 2 shown]
	s_mov_b32 s25, 0
	s_branch .LBB574_55
.LBB574_54:                             ;   in Loop: Header=BB574_55 Depth=1
	s_or_b64 exec, exec, s[20:21]
	s_addk_i32 s25, 0xc000
	s_addk_i32 s23, 0xf800
	v_add_u32_e32 v5, 8, v5
	s_cmp_eq_u32 s25, 0xffff0000
	v_add_u32_e32 v1, 0x800, v1
	s_waitcnt lgkmcnt(0)
	s_barrier
	s_cbranch_scc1 .LBB574_75
.LBB574_55:                             ; =>This Inner Loop Header: Depth=1
	v_add_u32_e32 v22, s23, v24
	v_cmp_gt_u32_e64 s[0:1], s24, v22
	s_and_saveexec_b64 s[20:21], s[0:1]
; %bb.56:                               ;   in Loop: Header=BB574_55 Depth=1
	v_add_u32_e32 v22, s25, v46
	ds_write_b64 v22, v[8:9]
; %bb.57:                               ;   in Loop: Header=BB574_55 Depth=1
	s_or_b64 exec, exec, s[20:21]
	v_add_u32_e32 v22, s23, v32
	v_cmp_gt_u32_e64 s[0:1], s24, v22
	s_and_saveexec_b64 s[20:21], s[0:1]
; %bb.58:                               ;   in Loop: Header=BB574_55 Depth=1
	v_add_u32_e32 v22, s25, v35
	ds_write_b64 v22, v[6:7]
; %bb.59:                               ;   in Loop: Header=BB574_55 Depth=1
	s_or_b64 exec, exec, s[20:21]
	;; [unrolled: 8-line block ×8, first 2 shown]
	v_cmp_gt_u32_e64 s[0:1], s5, v1
	s_waitcnt lgkmcnt(0)
	s_barrier
	s_and_saveexec_b64 s[20:21], s[0:1]
	s_cbranch_execz .LBB574_73
; %bb.72:                               ;   in Loop: Header=BB574_55 Depth=1
	ds_read_b64 v[48:49], v47 offset:1024
	s_waitcnt lgkmcnt(0)
	v_lshrrev_b64 v[50:51], s52, v[48:49]
	v_and_b32_e32 v52, s56, v50
	v_lshlrev_b32_e32 v22, 2, v52
	ds_read_b32 v22, v22
	ds_write_b32 v5, v52
	s_waitcnt lgkmcnt(1)
	v_add_u32_e32 v22, v1, v22
	v_lshl_add_u64 v[50:51], v[22:23], 3, s[42:43]
	global_store_dwordx2 v[50:51], v[48:49], off
.LBB574_73:                             ;   in Loop: Header=BB574_55 Depth=1
	s_or_b64 exec, exec, s[20:21]
	v_add_u32_e32 v22, 0x400, v1
	v_cmp_gt_u32_e64 s[0:1], s5, v22
	s_and_saveexec_b64 s[20:21], s[0:1]
	s_cbranch_execz .LBB574_54
; %bb.74:                               ;   in Loop: Header=BB574_55 Depth=1
	ds_read_b64 v[48:49], v47 offset:9216
	s_waitcnt lgkmcnt(0)
	v_lshrrev_b64 v[50:51], s52, v[48:49]
	v_and_b32_e32 v52, s56, v50
	v_lshlrev_b32_e32 v22, 2, v52
	ds_read_b32 v22, v22
	ds_write_b32 v5, v52 offset:4
	s_waitcnt lgkmcnt(1)
	v_add3_u32 v22, v1, v22, s22
	v_lshl_add_u64 v[50:51], v[22:23], 3, s[42:43]
	global_store_dwordx2 v[50:51], v[48:49], off
	s_branch .LBB574_54
.LBB574_75:
	s_add_u32 s0, s44, s54
	s_addc_u32 s1, s45, s55
	v_mov_b32_e32 v1, 0
	v_lshl_add_u64 v[6:7], s[0:1], 0, v[0:1]
	v_mov_b32_e32 v5, v1
	v_lshl_add_u64 v[18:19], v[6:7], 0, v[4:5]
                                        ; implicit-def: $vgpr0_vgpr1
	s_and_saveexec_b64 s[0:1], vcc
	s_cbranch_execz .LBB574_83
; %bb.76:
	global_load_dwordx2 v[0:1], v[18:19], off
	s_or_b64 exec, exec, s[0:1]
                                        ; implicit-def: $vgpr4_vgpr5
	s_and_saveexec_b64 s[0:1], s[16:17]
	s_cbranch_execnz .LBB574_84
.LBB574_77:
	s_or_b64 exec, exec, s[0:1]
                                        ; implicit-def: $vgpr6_vgpr7
	s_and_saveexec_b64 s[0:1], s[26:27]
	s_cbranch_execz .LBB574_85
.LBB574_78:
	global_load_dwordx2 v[6:7], v[18:19], off offset:1024
	s_or_b64 exec, exec, s[0:1]
                                        ; implicit-def: $vgpr8_vgpr9
	s_and_saveexec_b64 s[0:1], s[6:7]
	s_cbranch_execnz .LBB574_86
.LBB574_79:
	s_or_b64 exec, exec, s[0:1]
                                        ; implicit-def: $vgpr10_vgpr11
	s_and_saveexec_b64 s[0:1], s[8:9]
	s_cbranch_execz .LBB574_87
.LBB574_80:
	global_load_dwordx2 v[10:11], v[18:19], off offset:2048
	s_or_b64 exec, exec, s[0:1]
                                        ; implicit-def: $vgpr12_vgpr13
	s_and_saveexec_b64 s[0:1], s[10:11]
	s_cbranch_execnz .LBB574_88
.LBB574_81:
	s_or_b64 exec, exec, s[0:1]
                                        ; implicit-def: $vgpr14_vgpr15
	s_and_saveexec_b64 s[0:1], s[12:13]
	s_cbranch_execz .LBB574_89
.LBB574_82:
	global_load_dwordx2 v[14:15], v[18:19], off offset:3072
	s_or_b64 exec, exec, s[0:1]
                                        ; implicit-def: $vgpr16_vgpr17
	s_and_saveexec_b64 s[0:1], s[14:15]
	s_cbranch_execnz .LBB574_90
	s_branch .LBB574_91
.LBB574_83:
	s_or_b64 exec, exec, s[0:1]
                                        ; implicit-def: $vgpr4_vgpr5
	s_and_saveexec_b64 s[0:1], s[16:17]
	s_cbranch_execz .LBB574_77
.LBB574_84:
	global_load_dwordx2 v[4:5], v[18:19], off offset:512
	s_or_b64 exec, exec, s[0:1]
                                        ; implicit-def: $vgpr6_vgpr7
	s_and_saveexec_b64 s[0:1], s[26:27]
	s_cbranch_execnz .LBB574_78
.LBB574_85:
	s_or_b64 exec, exec, s[0:1]
                                        ; implicit-def: $vgpr8_vgpr9
	s_and_saveexec_b64 s[0:1], s[6:7]
	s_cbranch_execz .LBB574_79
.LBB574_86:
	global_load_dwordx2 v[8:9], v[18:19], off offset:1536
	s_or_b64 exec, exec, s[0:1]
                                        ; implicit-def: $vgpr10_vgpr11
	s_and_saveexec_b64 s[0:1], s[8:9]
	s_cbranch_execnz .LBB574_80
.LBB574_87:
	s_or_b64 exec, exec, s[0:1]
                                        ; implicit-def: $vgpr12_vgpr13
	s_and_saveexec_b64 s[0:1], s[10:11]
	s_cbranch_execz .LBB574_81
.LBB574_88:
	global_load_dwordx2 v[12:13], v[18:19], off offset:2560
	s_or_b64 exec, exec, s[0:1]
                                        ; implicit-def: $vgpr14_vgpr15
	s_and_saveexec_b64 s[0:1], s[12:13]
	s_cbranch_execnz .LBB574_82
.LBB574_89:
	s_or_b64 exec, exec, s[0:1]
                                        ; implicit-def: $vgpr16_vgpr17
	s_and_saveexec_b64 s[0:1], s[14:15]
	s_cbranch_execz .LBB574_91
.LBB574_90:
	global_load_dwordx2 v[16:17], v[18:19], off offset:3584
.LBB574_91:
	s_or_b64 exec, exec, s[0:1]
	s_mov_b32 s6, 0
	s_movk_i32 s7, 0x800
	v_mov_b32_e32 v19, 0
	s_movk_i32 s8, 0x400
	s_mov_b32 s9, 0
	v_mov_b32_e32 v20, v2
	s_waitcnt vmcnt(0)
	s_branch .LBB574_93
.LBB574_92:                             ;   in Loop: Header=BB574_93 Depth=1
	s_or_b64 exec, exec, s[0:1]
	s_addk_i32 s9, 0xc000
	s_addk_i32 s6, 0xf800
	v_add_u32_e32 v20, 0x800, v20
	s_cmp_eq_u32 s9, 0xffff0000
	v_add_u32_e32 v25, 8, v25
	s_barrier
	s_cbranch_scc1 .LBB574_113
.LBB574_93:                             ; =>This Inner Loop Header: Depth=1
	v_add_u32_e32 v18, s6, v24
	v_cmp_gt_u32_e32 vcc, s7, v18
	s_and_saveexec_b64 s[0:1], vcc
; %bb.94:                               ;   in Loop: Header=BB574_93 Depth=1
	v_add_u32_e32 v18, s9, v46
	ds_write_b64 v18, v[0:1]
; %bb.95:                               ;   in Loop: Header=BB574_93 Depth=1
	s_or_b64 exec, exec, s[0:1]
	v_add_u32_e32 v18, s6, v32
	v_cmp_gt_u32_e32 vcc, s7, v18
	s_and_saveexec_b64 s[0:1], vcc
; %bb.96:                               ;   in Loop: Header=BB574_93 Depth=1
	v_add_u32_e32 v18, s9, v35
	ds_write_b64 v18, v[4:5]
; %bb.97:                               ;   in Loop: Header=BB574_93 Depth=1
	s_or_b64 exec, exec, s[0:1]
	v_add_u32_e32 v18, s6, v33
	v_cmp_gt_u32_e32 vcc, s7, v18
	s_and_saveexec_b64 s[0:1], vcc
; %bb.98:                               ;   in Loop: Header=BB574_93 Depth=1
	v_add_u32_e32 v18, s9, v38
	ds_write_b64 v18, v[6:7]
; %bb.99:                               ;   in Loop: Header=BB574_93 Depth=1
	s_or_b64 exec, exec, s[0:1]
	v_add_u32_e32 v18, s6, v36
	v_cmp_gt_u32_e32 vcc, s7, v18
	s_and_saveexec_b64 s[0:1], vcc
; %bb.100:                              ;   in Loop: Header=BB574_93 Depth=1
	v_add_u32_e32 v18, s9, v42
	ds_write_b64 v18, v[8:9]
; %bb.101:                              ;   in Loop: Header=BB574_93 Depth=1
	s_or_b64 exec, exec, s[0:1]
	v_add_u32_e32 v18, s6, v39
	v_cmp_gt_u32_e32 vcc, s7, v18
	s_and_saveexec_b64 s[0:1], vcc
; %bb.102:                              ;   in Loop: Header=BB574_93 Depth=1
	v_add_u32_e32 v18, s9, v45
	ds_write_b64 v18, v[10:11]
; %bb.103:                              ;   in Loop: Header=BB574_93 Depth=1
	s_or_b64 exec, exec, s[0:1]
	;; [unrolled: 8-line block ×5, first 2 shown]
	v_cmp_gt_u32_e32 vcc, s5, v20
	s_waitcnt lgkmcnt(0)
	s_barrier
	s_and_saveexec_b64 s[0:1], vcc
	s_cbranch_execz .LBB574_111
; %bb.110:                              ;   in Loop: Header=BB574_93 Depth=1
	ds_read_b32 v18, v25
	s_waitcnt lgkmcnt(0)
	v_lshlrev_b32_e32 v18, 2, v18
	ds_read_b32 v18, v18
	ds_read_b64 v[22:23], v47 offset:1024
	s_waitcnt lgkmcnt(1)
	v_add_u32_e32 v18, v20, v18
	v_lshl_add_u64 v[48:49], v[18:19], 3, s[46:47]
	s_waitcnt lgkmcnt(0)
	global_store_dwordx2 v[48:49], v[22:23], off
.LBB574_111:                            ;   in Loop: Header=BB574_93 Depth=1
	s_or_b64 exec, exec, s[0:1]
	v_add_u32_e32 v18, 0x400, v20
	v_cmp_gt_u32_e32 vcc, s5, v18
	s_and_saveexec_b64 s[0:1], vcc
	s_cbranch_execz .LBB574_92
; %bb.112:                              ;   in Loop: Header=BB574_93 Depth=1
	ds_read_b32 v18, v25 offset:4
	s_waitcnt lgkmcnt(0)
	v_lshlrev_b32_e32 v18, 2, v18
	ds_read_b32 v18, v18
	ds_read_b64 v[22:23], v47 offset:9216
	s_waitcnt lgkmcnt(1)
	v_add3_u32 v18, v20, v18, s8
	v_lshl_add_u64 v[48:49], v[18:19], 3, s[46:47]
	s_waitcnt lgkmcnt(0)
	global_store_dwordx2 v[48:49], v[22:23], off
	s_branch .LBB574_92
.LBB574_113:
	s_add_i32 s33, s33, -1
	s_cmp_eq_u32 s4, s33
	s_cselect_b64 s[0:1], -1, 0
	s_xor_b64 s[6:7], s[18:19], -1
	s_and_b64 s[6:7], s[6:7], s[0:1]
	s_and_saveexec_b64 s[0:1], s[6:7]
	s_cbranch_execz .LBB574_115
; %bb.114:
	ds_read_b32 v0, v40
	s_waitcnt lgkmcnt(0)
	v_add3_u32 v0, v34, v37, v0
	global_store_dword v40, v0, s[50:51]
.LBB574_115:
	s_or_b64 exec, exec, s[0:1]
	s_mov_b64 s[6:7], 0
.LBB574_116:
	s_and_b64 vcc, exec, s[6:7]
	s_cbranch_vccz .LBB574_191
; %bb.117:
	s_lshl_b32 s0, s4, 13
	s_mov_b32 s1, 0
	s_lshl_b64 s[10:11], s[0:1], 3
	v_mbcnt_hi_u32_b32 v26, -1, v30
	s_add_u32 s0, s40, s10
	v_and_b32_e32 v0, 63, v26
	v_mov_b32_e32 v23, 0
	s_addc_u32 s1, s41, s11
	v_and_b32_e32 v4, 0x1e00, v29
	v_lshlrev_b32_e32 v0, 3, v0
	v_mov_b32_e32 v1, v23
	v_lshl_add_u64 v[6:7], s[0:1], 0, v[0:1]
	v_lshlrev_b32_e32 v4, 3, v4
	v_mov_b32_e32 v5, v23
	v_lshl_add_u64 v[24:25], v[6:7], 0, v[4:5]
	global_load_dwordx2 v[6:7], v[24:25], off
	s_load_dword s0, s[2:3], 0x64
	s_load_dword s5, s[2:3], 0x58
	s_add_u32 s1, s2, 0x58
	s_addc_u32 s2, s3, 0
	v_mul_u32_u24_e32 v5, 20, v2
	s_waitcnt lgkmcnt(0)
	s_lshr_b32 s3, s0, 16
	s_cmp_lt_u32 s4, s5
	s_cselect_b32 s0, 12, 18
	s_add_u32 s0, s1, s0
	s_addc_u32 s1, s2, 0
	global_load_ushort v1, v23, s[0:1]
	ds_write2_b32 v5, v23, v23 offset0:16 offset1:17
	ds_write2_b32 v5, v23, v23 offset0:18 offset1:19
	ds_write_b32 v5, v23 offset:80
	global_load_dwordx2 v[8:9], v[24:25], off offset:512
	global_load_dwordx2 v[10:11], v[24:25], off offset:1024
	;; [unrolled: 1-line block ×7, first 2 shown]
	s_lshl_b32 s0, -1, s53
	v_mov_b32_e32 v30, v23
	v_mad_u32_u24 v3, v28, s3, v3
	v_mov_b32_e32 v32, v23
	s_not_b32 s14, s0
	v_mov_b32_e32 v34, v23
	v_mov_b32_e32 v36, v23
	;; [unrolled: 1-line block ×3, first 2 shown]
	s_movk_i32 s12, 0x44
	s_waitcnt lgkmcnt(0)
	s_barrier
	s_waitcnt vmcnt(8)
	; wave barrier
	v_lshrrev_b64 v[24:25], s52, v[6:7]
	v_bitop3_b32 v27, v24, s0, v24 bitop3:0x30
	v_and_b32_e32 v22, 1, v27
	v_lshlrev_b32_e32 v31, 30, v27
	v_lshlrev_b32_e32 v33, 29, v27
	v_lshl_add_u64 v[24:25], v[22:23], 0, -1
	v_cmp_ne_u32_e32 vcc, 0, v22
	v_not_b32_e32 v22, v31
	v_lshlrev_b32_e32 v35, 28, v27
	v_cmp_gt_i64_e64 s[0:1], 0, v[30:31]
	v_not_b32_e32 v30, v33
	s_waitcnt vmcnt(7)
	v_mad_u64_u32 v[28:29], s[16:17], v3, v1, v[2:3]
	v_xor_b32_e32 v1, vcc_hi, v25
	v_xor_b32_e32 v3, vcc_lo, v24
	v_ashrrev_i32_e32 v22, 31, v22
	v_lshlrev_b32_e32 v37, 27, v27
	v_cmp_gt_i64_e64 s[2:3], 0, v[32:33]
	v_not_b32_e32 v31, v35
	v_ashrrev_i32_e32 v24, 31, v30
	v_and_b32_e32 v1, exec_hi, v1
	v_and_b32_e32 v3, exec_lo, v3
	v_xor_b32_e32 v30, s1, v22
	v_xor_b32_e32 v22, s0, v22
	v_lshlrev_b32_e32 v39, 26, v27
	v_cmp_gt_i64_e64 s[6:7], 0, v[34:35]
	v_not_b32_e32 v32, v37
	v_ashrrev_i32_e32 v25, 31, v31
	v_xor_b32_e32 v31, s3, v24
	v_xor_b32_e32 v24, s2, v24
	v_and_b32_e32 v1, v1, v30
	v_and_b32_e32 v3, v3, v22
	v_cmp_gt_i64_e64 s[8:9], 0, v[36:37]
	v_ashrrev_i32_e32 v29, 31, v32
	v_xor_b32_e32 v32, s7, v25
	v_xor_b32_e32 v25, s6, v25
	v_and_b32_e32 v1, v1, v31
	v_and_b32_e32 v3, v3, v24
	v_not_b32_e32 v22, v39
	v_xor_b32_e32 v33, s9, v29
	v_xor_b32_e32 v29, s8, v29
	v_and_b32_e32 v1, v1, v32
	v_and_b32_e32 v3, v3, v25
	v_cmp_gt_i64_e32 vcc, 0, v[38:39]
	v_ashrrev_i32_e32 v22, 31, v22
	v_and_b32_e32 v1, v1, v33
	v_and_b32_e32 v3, v3, v29
	v_xor_b32_e32 v24, vcc_hi, v22
	v_xor_b32_e32 v22, vcc_lo, v22
	v_lshlrev_b32_e32 v25, 25, v27
	v_and_b32_e32 v1, v1, v24
	v_and_b32_e32 v3, v3, v22
	v_mov_b32_e32 v24, v23
	v_not_b32_e32 v22, v25
	v_cmp_gt_i64_e32 vcc, 0, v[24:25]
	v_ashrrev_i32_e32 v22, 31, v22
	v_lshlrev_b32_e32 v25, 24, v27
	v_xor_b32_e32 v24, vcc_hi, v22
	v_xor_b32_e32 v22, vcc_lo, v22
	v_and_b32_e32 v1, v1, v24
	v_and_b32_e32 v3, v3, v22
	v_mov_b32_e32 v24, v23
	v_not_b32_e32 v22, v25
	v_cmp_gt_i64_e32 vcc, 0, v[24:25]
	v_ashrrev_i32_e32 v22, 31, v22
	v_lshrrev_b32_e32 v28, 4, v28
	v_xor_b32_e32 v24, vcc_hi, v22
	v_xor_b32_e32 v22, vcc_lo, v22
	v_and_b32_e32 v25, v1, v24
	v_and_b32_e32 v24, v3, v22
	v_mbcnt_lo_u32_b32 v1, v24, 0
	v_mbcnt_hi_u32_b32 v3, v25, v1
	v_mul_lo_u32 v40, v27, s12
	v_and_b32_e32 v35, 0xffffffc, v28
	v_cmp_eq_u32_e32 vcc, 0, v3
	v_cmp_ne_u64_e64 s[0:1], 0, v[24:25]
	s_and_b64 s[2:3], s[0:1], vcc
	v_add_u32_e32 v27, v35, v40
	s_and_saveexec_b64 s[0:1], s[2:3]
; %bb.118:
	v_bcnt_u32_b32 v1, v24, 0
	v_bcnt_u32_b32 v1, v25, v1
	ds_write_b32 v27, v1 offset:64
; %bb.119:
	s_or_b64 exec, exec, s[0:1]
	s_waitcnt vmcnt(6)
	v_lshrrev_b64 v[24:25], s52, v[8:9]
	v_and_b32_e32 v28, s14, v24
	v_and_b32_e32 v22, 1, v28
	v_lshl_add_u64 v[24:25], v[22:23], 0, -1
	v_cmp_ne_u32_e32 vcc, 0, v22
	v_mul_lo_u32 v1, v28, s12
	v_add_u32_e32 v30, v35, v1
	v_xor_b32_e32 v24, vcc_lo, v24
	v_xor_b32_e32 v22, vcc_hi, v25
	v_and_b32_e32 v29, exec_lo, v24
	v_lshlrev_b32_e32 v25, 30, v28
	v_mov_b32_e32 v24, v23
	v_cmp_gt_i64_e32 vcc, 0, v[24:25]
	v_not_b32_e32 v24, v25
	v_ashrrev_i32_e32 v24, 31, v24
	v_and_b32_e32 v22, exec_hi, v22
	v_xor_b32_e32 v25, vcc_hi, v24
	v_xor_b32_e32 v24, vcc_lo, v24
	v_and_b32_e32 v22, v22, v25
	v_and_b32_e32 v29, v29, v24
	v_lshlrev_b32_e32 v25, 29, v28
	v_mov_b32_e32 v24, v23
	v_cmp_gt_i64_e32 vcc, 0, v[24:25]
	v_not_b32_e32 v24, v25
	v_ashrrev_i32_e32 v24, 31, v24
	v_xor_b32_e32 v25, vcc_hi, v24
	v_xor_b32_e32 v24, vcc_lo, v24
	v_and_b32_e32 v22, v22, v25
	v_and_b32_e32 v29, v29, v24
	v_lshlrev_b32_e32 v25, 28, v28
	v_mov_b32_e32 v24, v23
	v_cmp_gt_i64_e32 vcc, 0, v[24:25]
	v_not_b32_e32 v24, v25
	v_ashrrev_i32_e32 v24, 31, v24
	;; [unrolled: 9-line block ×5, first 2 shown]
	v_xor_b32_e32 v25, vcc_hi, v24
	v_xor_b32_e32 v24, vcc_lo, v24
	v_and_b32_e32 v22, v22, v25
	v_lshlrev_b32_e32 v25, 24, v28
	v_and_b32_e32 v29, v29, v24
	v_mov_b32_e32 v24, v23
	v_not_b32_e32 v23, v25
	v_cmp_gt_i64_e32 vcc, 0, v[24:25]
	v_ashrrev_i32_e32 v23, 31, v23
	s_nop 0
	v_xor_b32_e32 v24, vcc_hi, v23
	v_xor_b32_e32 v25, vcc_lo, v23
	; wave barrier
	ds_read_b32 v1, v30 offset:64
	v_and_b32_e32 v23, v22, v24
	v_and_b32_e32 v22, v29, v25
	v_mbcnt_lo_u32_b32 v24, v22, 0
	v_mbcnt_hi_u32_b32 v28, v23, v24
	v_cmp_eq_u32_e32 vcc, 0, v28
	v_cmp_ne_u64_e64 s[0:1], 0, v[22:23]
	s_and_b64 s[2:3], s[0:1], vcc
	; wave barrier
	s_and_saveexec_b64 s[0:1], s[2:3]
	s_cbranch_execz .LBB574_121
; %bb.120:
	v_bcnt_u32_b32 v22, v22, 0
	v_bcnt_u32_b32 v22, v23, v22
	s_waitcnt lgkmcnt(0)
	v_add_u32_e32 v22, v1, v22
	ds_write_b32 v30, v22 offset:64
.LBB574_121:
	s_or_b64 exec, exec, s[0:1]
	s_waitcnt vmcnt(5)
	v_lshrrev_b64 v[22:23], s52, v[10:11]
	v_and_b32_e32 v31, s14, v22
	s_movk_i32 s2, 0x44
	v_mul_lo_u32 v22, v31, s2
	v_add_u32_e32 v33, v35, v22
	v_and_b32_e32 v22, 1, v31
	v_mov_b32_e32 v23, 0
	v_lshl_add_u64 v[24:25], v[22:23], 0, -1
	v_cmp_ne_u32_e32 vcc, 0, v22
	; wave barrier
	s_nop 1
	v_xor_b32_e32 v24, vcc_lo, v24
	v_xor_b32_e32 v22, vcc_hi, v25
	v_and_b32_e32 v32, exec_lo, v24
	v_lshlrev_b32_e32 v25, 30, v31
	v_mov_b32_e32 v24, v23
	v_cmp_gt_i64_e32 vcc, 0, v[24:25]
	v_not_b32_e32 v24, v25
	v_ashrrev_i32_e32 v24, 31, v24
	v_and_b32_e32 v22, exec_hi, v22
	v_xor_b32_e32 v25, vcc_hi, v24
	v_xor_b32_e32 v24, vcc_lo, v24
	v_and_b32_e32 v22, v22, v25
	v_and_b32_e32 v32, v32, v24
	v_lshlrev_b32_e32 v25, 29, v31
	v_mov_b32_e32 v24, v23
	v_cmp_gt_i64_e32 vcc, 0, v[24:25]
	v_not_b32_e32 v24, v25
	v_ashrrev_i32_e32 v24, 31, v24
	v_xor_b32_e32 v25, vcc_hi, v24
	v_xor_b32_e32 v24, vcc_lo, v24
	v_and_b32_e32 v22, v22, v25
	v_and_b32_e32 v32, v32, v24
	v_lshlrev_b32_e32 v25, 28, v31
	v_mov_b32_e32 v24, v23
	v_cmp_gt_i64_e32 vcc, 0, v[24:25]
	v_not_b32_e32 v24, v25
	v_ashrrev_i32_e32 v24, 31, v24
	;; [unrolled: 9-line block ×6, first 2 shown]
	v_xor_b32_e32 v25, vcc_hi, v24
	v_xor_b32_e32 v24, vcc_lo, v24
	ds_read_b32 v29, v33 offset:64
	v_and_b32_e32 v24, v32, v24
	v_and_b32_e32 v25, v22, v25
	v_mbcnt_lo_u32_b32 v22, v24, 0
	v_mbcnt_hi_u32_b32 v31, v25, v22
	v_cmp_eq_u32_e32 vcc, 0, v31
	v_cmp_ne_u64_e64 s[0:1], 0, v[24:25]
	s_and_b64 s[6:7], s[0:1], vcc
	; wave barrier
	s_and_saveexec_b64 s[0:1], s[6:7]
	s_cbranch_execz .LBB574_123
; %bb.122:
	v_bcnt_u32_b32 v22, v24, 0
	v_bcnt_u32_b32 v22, v25, v22
	s_waitcnt lgkmcnt(0)
	v_add_u32_e32 v22, v29, v22
	ds_write_b32 v33, v22 offset:64
.LBB574_123:
	s_or_b64 exec, exec, s[0:1]
	s_waitcnt vmcnt(4)
	v_lshrrev_b64 v[24:25], s52, v[12:13]
	v_and_b32_e32 v34, s14, v24
	v_mul_lo_u32 v22, v34, s2
	v_add_u32_e32 v37, v35, v22
	v_and_b32_e32 v22, 1, v34
	v_lshl_add_u64 v[24:25], v[22:23], 0, -1
	v_cmp_ne_u32_e32 vcc, 0, v22
	; wave barrier
	s_nop 1
	v_xor_b32_e32 v24, vcc_lo, v24
	v_xor_b32_e32 v22, vcc_hi, v25
	v_and_b32_e32 v36, exec_lo, v24
	v_lshlrev_b32_e32 v25, 30, v34
	v_mov_b32_e32 v24, v23
	v_cmp_gt_i64_e32 vcc, 0, v[24:25]
	v_not_b32_e32 v24, v25
	v_ashrrev_i32_e32 v24, 31, v24
	v_and_b32_e32 v22, exec_hi, v22
	v_xor_b32_e32 v25, vcc_hi, v24
	v_xor_b32_e32 v24, vcc_lo, v24
	v_and_b32_e32 v22, v22, v25
	v_and_b32_e32 v36, v36, v24
	v_lshlrev_b32_e32 v25, 29, v34
	v_mov_b32_e32 v24, v23
	v_cmp_gt_i64_e32 vcc, 0, v[24:25]
	v_not_b32_e32 v24, v25
	v_ashrrev_i32_e32 v24, 31, v24
	v_xor_b32_e32 v25, vcc_hi, v24
	v_xor_b32_e32 v24, vcc_lo, v24
	v_and_b32_e32 v22, v22, v25
	v_and_b32_e32 v36, v36, v24
	v_lshlrev_b32_e32 v25, 28, v34
	v_mov_b32_e32 v24, v23
	v_cmp_gt_i64_e32 vcc, 0, v[24:25]
	v_not_b32_e32 v24, v25
	v_ashrrev_i32_e32 v24, 31, v24
	;; [unrolled: 9-line block ×5, first 2 shown]
	v_xor_b32_e32 v25, vcc_hi, v24
	v_xor_b32_e32 v24, vcc_lo, v24
	v_and_b32_e32 v22, v22, v25
	v_lshlrev_b32_e32 v25, 24, v34
	v_and_b32_e32 v36, v36, v24
	v_mov_b32_e32 v24, v23
	v_not_b32_e32 v23, v25
	v_cmp_gt_i64_e32 vcc, 0, v[24:25]
	v_ashrrev_i32_e32 v23, 31, v23
	ds_read_b32 v32, v37 offset:64
	v_xor_b32_e32 v24, vcc_hi, v23
	v_xor_b32_e32 v25, vcc_lo, v23
	v_and_b32_e32 v23, v22, v24
	v_and_b32_e32 v22, v36, v25
	v_mbcnt_lo_u32_b32 v24, v22, 0
	v_mbcnt_hi_u32_b32 v34, v23, v24
	v_cmp_eq_u32_e32 vcc, 0, v34
	v_cmp_ne_u64_e64 s[0:1], 0, v[22:23]
	s_and_b64 s[2:3], s[0:1], vcc
	; wave barrier
	s_and_saveexec_b64 s[0:1], s[2:3]
	s_cbranch_execz .LBB574_125
; %bb.124:
	v_bcnt_u32_b32 v22, v22, 0
	v_bcnt_u32_b32 v22, v23, v22
	s_waitcnt lgkmcnt(0)
	v_add_u32_e32 v22, v32, v22
	ds_write_b32 v37, v22 offset:64
.LBB574_125:
	s_or_b64 exec, exec, s[0:1]
	s_waitcnt vmcnt(3)
	v_lshrrev_b64 v[22:23], s52, v[14:15]
	v_and_b32_e32 v38, s14, v22
	s_movk_i32 s2, 0x44
	v_mul_lo_u32 v22, v38, s2
	v_add_u32_e32 v40, v35, v22
	v_and_b32_e32 v22, 1, v38
	v_mov_b32_e32 v23, 0
	v_lshl_add_u64 v[24:25], v[22:23], 0, -1
	v_cmp_ne_u32_e32 vcc, 0, v22
	; wave barrier
	s_nop 1
	v_xor_b32_e32 v24, vcc_lo, v24
	v_xor_b32_e32 v22, vcc_hi, v25
	v_and_b32_e32 v39, exec_lo, v24
	v_lshlrev_b32_e32 v25, 30, v38
	v_mov_b32_e32 v24, v23
	v_cmp_gt_i64_e32 vcc, 0, v[24:25]
	v_not_b32_e32 v24, v25
	v_ashrrev_i32_e32 v24, 31, v24
	v_and_b32_e32 v22, exec_hi, v22
	v_xor_b32_e32 v25, vcc_hi, v24
	v_xor_b32_e32 v24, vcc_lo, v24
	v_and_b32_e32 v22, v22, v25
	v_and_b32_e32 v39, v39, v24
	v_lshlrev_b32_e32 v25, 29, v38
	v_mov_b32_e32 v24, v23
	v_cmp_gt_i64_e32 vcc, 0, v[24:25]
	v_not_b32_e32 v24, v25
	v_ashrrev_i32_e32 v24, 31, v24
	v_xor_b32_e32 v25, vcc_hi, v24
	v_xor_b32_e32 v24, vcc_lo, v24
	v_and_b32_e32 v22, v22, v25
	v_and_b32_e32 v39, v39, v24
	v_lshlrev_b32_e32 v25, 28, v38
	v_mov_b32_e32 v24, v23
	v_cmp_gt_i64_e32 vcc, 0, v[24:25]
	v_not_b32_e32 v24, v25
	v_ashrrev_i32_e32 v24, 31, v24
	;; [unrolled: 9-line block ×6, first 2 shown]
	v_xor_b32_e32 v25, vcc_hi, v24
	v_xor_b32_e32 v24, vcc_lo, v24
	ds_read_b32 v36, v40 offset:64
	v_and_b32_e32 v24, v39, v24
	v_and_b32_e32 v25, v22, v25
	v_mbcnt_lo_u32_b32 v22, v24, 0
	v_mbcnt_hi_u32_b32 v38, v25, v22
	v_cmp_eq_u32_e32 vcc, 0, v38
	v_cmp_ne_u64_e64 s[0:1], 0, v[24:25]
	s_and_b64 s[6:7], s[0:1], vcc
	; wave barrier
	s_and_saveexec_b64 s[0:1], s[6:7]
	s_cbranch_execz .LBB574_127
; %bb.126:
	v_bcnt_u32_b32 v22, v24, 0
	v_bcnt_u32_b32 v22, v25, v22
	s_waitcnt lgkmcnt(0)
	v_add_u32_e32 v22, v36, v22
	ds_write_b32 v40, v22 offset:64
.LBB574_127:
	s_or_b64 exec, exec, s[0:1]
	s_waitcnt vmcnt(2)
	v_lshrrev_b64 v[24:25], s52, v[16:17]
	v_and_b32_e32 v41, s14, v24
	v_mul_lo_u32 v22, v41, s2
	v_add_u32_e32 v43, v35, v22
	v_and_b32_e32 v22, 1, v41
	v_lshl_add_u64 v[24:25], v[22:23], 0, -1
	v_cmp_ne_u32_e32 vcc, 0, v22
	; wave barrier
	s_nop 1
	v_xor_b32_e32 v24, vcc_lo, v24
	v_xor_b32_e32 v22, vcc_hi, v25
	v_and_b32_e32 v42, exec_lo, v24
	v_lshlrev_b32_e32 v25, 30, v41
	v_mov_b32_e32 v24, v23
	v_cmp_gt_i64_e32 vcc, 0, v[24:25]
	v_not_b32_e32 v24, v25
	v_ashrrev_i32_e32 v24, 31, v24
	v_and_b32_e32 v22, exec_hi, v22
	v_xor_b32_e32 v25, vcc_hi, v24
	v_xor_b32_e32 v24, vcc_lo, v24
	v_and_b32_e32 v22, v22, v25
	v_and_b32_e32 v42, v42, v24
	v_lshlrev_b32_e32 v25, 29, v41
	v_mov_b32_e32 v24, v23
	v_cmp_gt_i64_e32 vcc, 0, v[24:25]
	v_not_b32_e32 v24, v25
	v_ashrrev_i32_e32 v24, 31, v24
	v_xor_b32_e32 v25, vcc_hi, v24
	v_xor_b32_e32 v24, vcc_lo, v24
	v_and_b32_e32 v22, v22, v25
	v_and_b32_e32 v42, v42, v24
	v_lshlrev_b32_e32 v25, 28, v41
	v_mov_b32_e32 v24, v23
	v_cmp_gt_i64_e32 vcc, 0, v[24:25]
	v_not_b32_e32 v24, v25
	v_ashrrev_i32_e32 v24, 31, v24
	;; [unrolled: 9-line block ×5, first 2 shown]
	v_xor_b32_e32 v25, vcc_hi, v24
	v_xor_b32_e32 v24, vcc_lo, v24
	v_and_b32_e32 v22, v22, v25
	v_lshlrev_b32_e32 v25, 24, v41
	v_and_b32_e32 v42, v42, v24
	v_mov_b32_e32 v24, v23
	v_not_b32_e32 v23, v25
	v_cmp_gt_i64_e32 vcc, 0, v[24:25]
	v_ashrrev_i32_e32 v23, 31, v23
	ds_read_b32 v39, v43 offset:64
	v_xor_b32_e32 v24, vcc_hi, v23
	v_xor_b32_e32 v25, vcc_lo, v23
	v_and_b32_e32 v23, v22, v24
	v_and_b32_e32 v22, v42, v25
	v_mbcnt_lo_u32_b32 v24, v22, 0
	v_mbcnt_hi_u32_b32 v41, v23, v24
	v_cmp_eq_u32_e32 vcc, 0, v41
	v_cmp_ne_u64_e64 s[0:1], 0, v[22:23]
	s_and_b64 s[2:3], s[0:1], vcc
	; wave barrier
	s_and_saveexec_b64 s[0:1], s[2:3]
	s_cbranch_execz .LBB574_129
; %bb.128:
	v_bcnt_u32_b32 v22, v22, 0
	v_bcnt_u32_b32 v22, v23, v22
	s_waitcnt lgkmcnt(0)
	v_add_u32_e32 v22, v39, v22
	ds_write_b32 v43, v22 offset:64
.LBB574_129:
	s_or_b64 exec, exec, s[0:1]
	s_waitcnt vmcnt(1)
	v_lshrrev_b64 v[22:23], s52, v[18:19]
	v_and_b32_e32 v44, s14, v22
	s_movk_i32 s2, 0x44
	v_mul_lo_u32 v22, v44, s2
	v_add_u32_e32 v46, v35, v22
	v_and_b32_e32 v22, 1, v44
	v_mov_b32_e32 v23, 0
	v_lshl_add_u64 v[24:25], v[22:23], 0, -1
	v_cmp_ne_u32_e32 vcc, 0, v22
	; wave barrier
	s_nop 1
	v_xor_b32_e32 v24, vcc_lo, v24
	v_xor_b32_e32 v22, vcc_hi, v25
	v_and_b32_e32 v45, exec_lo, v24
	v_lshlrev_b32_e32 v25, 30, v44
	v_mov_b32_e32 v24, v23
	v_cmp_gt_i64_e32 vcc, 0, v[24:25]
	v_not_b32_e32 v24, v25
	v_ashrrev_i32_e32 v24, 31, v24
	v_and_b32_e32 v22, exec_hi, v22
	v_xor_b32_e32 v25, vcc_hi, v24
	v_xor_b32_e32 v24, vcc_lo, v24
	v_and_b32_e32 v22, v22, v25
	v_and_b32_e32 v45, v45, v24
	v_lshlrev_b32_e32 v25, 29, v44
	v_mov_b32_e32 v24, v23
	v_cmp_gt_i64_e32 vcc, 0, v[24:25]
	v_not_b32_e32 v24, v25
	v_ashrrev_i32_e32 v24, 31, v24
	v_xor_b32_e32 v25, vcc_hi, v24
	v_xor_b32_e32 v24, vcc_lo, v24
	v_and_b32_e32 v22, v22, v25
	v_and_b32_e32 v45, v45, v24
	v_lshlrev_b32_e32 v25, 28, v44
	v_mov_b32_e32 v24, v23
	v_cmp_gt_i64_e32 vcc, 0, v[24:25]
	v_not_b32_e32 v24, v25
	v_ashrrev_i32_e32 v24, 31, v24
	;; [unrolled: 9-line block ×6, first 2 shown]
	v_xor_b32_e32 v25, vcc_hi, v24
	v_xor_b32_e32 v24, vcc_lo, v24
	ds_read_b32 v42, v46 offset:64
	v_and_b32_e32 v24, v45, v24
	v_and_b32_e32 v25, v22, v25
	v_mbcnt_lo_u32_b32 v22, v24, 0
	v_mbcnt_hi_u32_b32 v44, v25, v22
	v_cmp_eq_u32_e32 vcc, 0, v44
	v_cmp_ne_u64_e64 s[0:1], 0, v[24:25]
	s_and_b64 s[6:7], s[0:1], vcc
	; wave barrier
	s_and_saveexec_b64 s[0:1], s[6:7]
	s_cbranch_execz .LBB574_131
; %bb.130:
	v_bcnt_u32_b32 v22, v24, 0
	v_bcnt_u32_b32 v22, v25, v22
	s_waitcnt lgkmcnt(0)
	v_add_u32_e32 v22, v42, v22
	ds_write_b32 v46, v22 offset:64
.LBB574_131:
	s_or_b64 exec, exec, s[0:1]
	s_waitcnt vmcnt(0)
	v_lshrrev_b64 v[24:25], s52, v[20:21]
	v_and_b32_e32 v47, s14, v24
	v_mul_lo_u32 v22, v47, s2
	v_add_u32_e32 v48, v35, v22
	v_and_b32_e32 v22, 1, v47
	v_lshl_add_u64 v[24:25], v[22:23], 0, -1
	v_cmp_ne_u32_e32 vcc, 0, v22
	; wave barrier
	s_nop 1
	v_xor_b32_e32 v24, vcc_lo, v24
	v_xor_b32_e32 v22, vcc_hi, v25
	v_and_b32_e32 v35, exec_lo, v24
	v_lshlrev_b32_e32 v25, 30, v47
	v_mov_b32_e32 v24, v23
	v_cmp_gt_i64_e32 vcc, 0, v[24:25]
	v_not_b32_e32 v24, v25
	v_ashrrev_i32_e32 v24, 31, v24
	v_and_b32_e32 v22, exec_hi, v22
	v_xor_b32_e32 v25, vcc_hi, v24
	v_xor_b32_e32 v24, vcc_lo, v24
	v_and_b32_e32 v22, v22, v25
	v_and_b32_e32 v35, v35, v24
	v_lshlrev_b32_e32 v25, 29, v47
	v_mov_b32_e32 v24, v23
	v_cmp_gt_i64_e32 vcc, 0, v[24:25]
	v_not_b32_e32 v24, v25
	v_ashrrev_i32_e32 v24, 31, v24
	v_xor_b32_e32 v25, vcc_hi, v24
	v_xor_b32_e32 v24, vcc_lo, v24
	v_and_b32_e32 v22, v22, v25
	v_and_b32_e32 v35, v35, v24
	v_lshlrev_b32_e32 v25, 28, v47
	v_mov_b32_e32 v24, v23
	v_cmp_gt_i64_e32 vcc, 0, v[24:25]
	v_not_b32_e32 v24, v25
	v_ashrrev_i32_e32 v24, 31, v24
	;; [unrolled: 9-line block ×5, first 2 shown]
	v_xor_b32_e32 v25, vcc_hi, v24
	v_xor_b32_e32 v24, vcc_lo, v24
	v_and_b32_e32 v22, v22, v25
	v_lshlrev_b32_e32 v25, 24, v47
	v_and_b32_e32 v35, v35, v24
	v_mov_b32_e32 v24, v23
	v_not_b32_e32 v23, v25
	v_cmp_gt_i64_e32 vcc, 0, v[24:25]
	v_ashrrev_i32_e32 v23, 31, v23
	ds_read_b32 v45, v48 offset:64
	v_xor_b32_e32 v24, vcc_hi, v23
	v_xor_b32_e32 v25, vcc_lo, v23
	v_and_b32_e32 v23, v22, v24
	v_and_b32_e32 v22, v35, v25
	v_mbcnt_lo_u32_b32 v24, v22, 0
	v_mbcnt_hi_u32_b32 v47, v23, v24
	v_cmp_eq_u32_e32 vcc, 0, v47
	v_cmp_ne_u64_e64 s[0:1], 0, v[22:23]
	s_and_b64 s[2:3], s[0:1], vcc
	; wave barrier
	s_and_saveexec_b64 s[0:1], s[2:3]
	s_cbranch_execz .LBB574_133
; %bb.132:
	v_bcnt_u32_b32 v22, v22, 0
	v_bcnt_u32_b32 v22, v23, v22
	s_waitcnt lgkmcnt(0)
	v_add_u32_e32 v22, v45, v22
	ds_write_b32 v48, v22 offset:64
.LBB574_133:
	s_or_b64 exec, exec, s[0:1]
	; wave barrier
	s_waitcnt lgkmcnt(0)
	s_barrier
	ds_read2_b32 v[24:25], v5 offset0:16 offset1:17
	ds_read2_b32 v[22:23], v5 offset0:18 offset1:19
	ds_read_b32 v35, v5 offset:80
	v_cmp_lt_u32_e64 s[8:9], 31, v26
	s_waitcnt lgkmcnt(1)
	v_add3_u32 v49, v25, v24, v22
	s_waitcnt lgkmcnt(0)
	v_add3_u32 v35, v49, v23, v35
	v_and_b32_e32 v49, 15, v26
	v_cmp_eq_u32_e32 vcc, 0, v49
	v_mov_b32_dpp v50, v35 row_shr:1 row_mask:0xf bank_mask:0xf
	v_cmp_lt_u32_e64 s[0:1], 1, v49
	v_cndmask_b32_e64 v50, v50, 0, vcc
	v_add_u32_e32 v35, v50, v35
	v_cmp_lt_u32_e64 s[2:3], 3, v49
	v_cmp_lt_u32_e64 s[6:7], 7, v49
	v_mov_b32_dpp v50, v35 row_shr:2 row_mask:0xf bank_mask:0xf
	v_cndmask_b32_e64 v50, 0, v50, s[0:1]
	v_add_u32_e32 v35, v35, v50
	s_nop 1
	v_mov_b32_dpp v50, v35 row_shr:4 row_mask:0xf bank_mask:0xf
	v_cndmask_b32_e64 v50, 0, v50, s[2:3]
	v_add_u32_e32 v35, v35, v50
	s_nop 1
	v_mov_b32_dpp v50, v35 row_shr:8 row_mask:0xf bank_mask:0xf
	v_cndmask_b32_e64 v49, 0, v50, s[6:7]
	v_add_u32_e32 v35, v35, v49
	v_bfe_i32 v50, v26, 4, 1
	s_nop 0
	v_mov_b32_dpp v49, v35 row_bcast:15 row_mask:0xf bank_mask:0xf
	v_and_b32_e32 v49, v50, v49
	v_add_u32_e32 v35, v35, v49
	v_lshrrev_b32_e32 v50, 6, v2
	s_nop 0
	v_mov_b32_dpp v49, v35 row_bcast:31 row_mask:0xf bank_mask:0xf
	v_cndmask_b32_e64 v49, 0, v49, s[8:9]
	v_add_u32_e32 v49, v35, v49
	v_and_b32_e32 v35, 63, v2
	v_cmp_eq_u32_e64 s[8:9], 63, v35
	s_and_saveexec_b64 s[12:13], s[8:9]
; %bb.134:
	v_lshlrev_b32_e32 v35, 2, v50
	ds_write_b32 v35, v49
; %bb.135:
	s_or_b64 exec, exec, s[12:13]
	v_cmp_gt_u32_e64 s[8:9], 16, v2
	v_lshlrev_b32_e32 v35, 2, v2
	s_waitcnt lgkmcnt(0)
	s_barrier
	s_and_saveexec_b64 s[12:13], s[8:9]
	s_cbranch_execz .LBB574_137
; %bb.136:
	ds_read_b32 v51, v35
	s_waitcnt lgkmcnt(0)
	s_nop 0
	v_mov_b32_dpp v52, v51 row_shr:1 row_mask:0xf bank_mask:0xf
	v_cndmask_b32_e64 v52, v52, 0, vcc
	v_add_u32_e32 v51, v52, v51
	s_nop 1
	v_mov_b32_dpp v52, v51 row_shr:2 row_mask:0xf bank_mask:0xf
	v_cndmask_b32_e64 v52, 0, v52, s[0:1]
	v_add_u32_e32 v51, v51, v52
	s_nop 1
	v_mov_b32_dpp v52, v51 row_shr:4 row_mask:0xf bank_mask:0xf
	v_cndmask_b32_e64 v52, 0, v52, s[2:3]
	;; [unrolled: 4-line block ×3, first 2 shown]
	v_add_u32_e32 v51, v51, v52
	ds_write_b32 v35, v51
.LBB574_137:
	s_or_b64 exec, exec, s[12:13]
	v_cmp_lt_u32_e32 vcc, 63, v2
	v_mov_b32_e32 v51, 0
	s_waitcnt lgkmcnt(0)
	s_barrier
	s_and_saveexec_b64 s[0:1], vcc
; %bb.138:
	v_lshl_add_u32 v50, v50, 2, -4
	ds_read_b32 v51, v50
; %bb.139:
	s_or_b64 exec, exec, s[0:1]
	v_subrev_co_u32_e32 v50, vcc, 1, v26
	v_and_b32_e32 v52, 64, v26
	v_cmp_lt_i32_e64 s[0:1], v50, v52
	s_waitcnt lgkmcnt(0)
	v_add_u32_e32 v49, v51, v49
	s_movk_i32 s2, 0x100
	v_cndmask_b32_e64 v26, v50, v26, s[0:1]
	v_lshlrev_b32_e32 v26, 2, v26
	ds_bpermute_b32 v26, v26, v49
	s_movk_i32 s0, 0xff
	s_waitcnt lgkmcnt(0)
	v_cndmask_b32_e32 v26, v26, v51, vcc
	v_cmp_ne_u32_e32 vcc, 0, v2
	s_nop 1
	v_cndmask_b32_e32 v26, 0, v26, vcc
	v_add_u32_e32 v24, v26, v24
	v_add_u32_e32 v25, v24, v25
	;; [unrolled: 1-line block ×4, first 2 shown]
	ds_write2_b32 v5, v26, v24 offset0:16 offset1:17
	ds_write2_b32 v5, v25, v22 offset0:18 offset1:19
	ds_write_b32 v5, v23 offset:80
	s_waitcnt lgkmcnt(0)
	s_barrier
	ds_read_b32 v52, v27 offset:64
	ds_read_b32 v5, v30 offset:64
	;; [unrolled: 1-line block ×8, first 2 shown]
	v_cmp_lt_u32_e32 vcc, s0, v2
	v_cmp_gt_u32_e64 s[0:1], s2, v2
                                        ; implicit-def: $vgpr30
                                        ; implicit-def: $vgpr33
	s_and_saveexec_b64 s[6:7], s[0:1]
	s_cbranch_execz .LBB574_143
; %bb.140:
	v_mul_u32_u24_e32 v22, 0x44, v2
	ds_read_b32 v30, v22 offset:64
	v_add_u32_e32 v23, 1, v2
	v_cmp_ne_u32_e64 s[2:3], s2, v23
	v_mov_b32_e32 v22, 0x2000
	s_and_saveexec_b64 s[8:9], s[2:3]
; %bb.141:
	v_mul_u32_u24_e32 v22, 0x44, v23
	ds_read_b32 v22, v22 offset:64
; %bb.142:
	s_or_b64 exec, exec, s[8:9]
	s_waitcnt lgkmcnt(0)
	v_sub_u32_e32 v33, v22, v30
.LBB574_143:
	s_or_b64 exec, exec, s[6:7]
	v_mov_b32_e32 v23, 0
	s_waitcnt lgkmcnt(0)
	s_barrier
	s_and_saveexec_b64 s[2:3], s[0:1]
	s_cbranch_execz .LBB574_153
; %bb.144:
	v_lshl_add_u32 v22, s4, 8, v2
	v_lshl_add_u64 v[24:25], v[22:23], 2, s[38:39]
	v_or_b32_e32 v22, 2.0, v33
	s_mov_b64 s[6:7], 0
	s_brev_b32 s15, -4
	s_mov_b32 s16, s4
	v_mov_b32_e32 v46, 0
	global_store_dword v[24:25], v22, off sc1
                                        ; implicit-def: $sgpr0_sgpr1
	s_branch .LBB574_147
.LBB574_145:                            ;   in Loop: Header=BB574_147 Depth=1
	s_or_b64 exec, exec, s[12:13]
.LBB574_146:                            ;   in Loop: Header=BB574_147 Depth=1
	s_or_b64 exec, exec, s[8:9]
	v_and_b32_e32 v26, 0x3fffffff, v22
	v_add_u32_e32 v46, v26, v46
	v_cmp_gt_i32_e64 s[0:1], -2.0, v22
	s_and_b64 s[8:9], exec, s[0:1]
	s_or_b64 s[6:7], s[8:9], s[6:7]
	s_andn2_b64 exec, exec, s[6:7]
	s_cbranch_execz .LBB574_152
.LBB574_147:                            ; =>This Loop Header: Depth=1
                                        ;     Child Loop BB574_150 Depth 2
	s_or_b64 s[0:1], s[0:1], exec
	s_cmp_eq_u32 s16, 0
	s_cbranch_scc1 .LBB574_151
; %bb.148:                              ;   in Loop: Header=BB574_147 Depth=1
	s_add_i32 s16, s16, -1
	v_lshl_or_b32 v22, s16, 8, v2
	v_lshl_add_u64 v[26:27], v[22:23], 2, s[38:39]
	global_load_dword v22, v[26:27], off sc1
	s_waitcnt vmcnt(0)
	v_cmp_gt_u32_e64 s[0:1], 2.0, v22
	s_and_saveexec_b64 s[8:9], s[0:1]
	s_cbranch_execz .LBB574_146
; %bb.149:                              ;   in Loop: Header=BB574_147 Depth=1
	s_mov_b64 s[12:13], 0
.LBB574_150:                            ;   Parent Loop BB574_147 Depth=1
                                        ; =>  This Inner Loop Header: Depth=2
	global_load_dword v22, v[26:27], off sc1
	s_waitcnt vmcnt(0)
	v_cmp_lt_u32_e64 s[0:1], s15, v22
	s_or_b64 s[12:13], s[0:1], s[12:13]
	s_andn2_b64 exec, exec, s[12:13]
	s_cbranch_execnz .LBB574_150
	s_branch .LBB574_145
.LBB574_151:                            ;   in Loop: Header=BB574_147 Depth=1
                                        ; implicit-def: $sgpr16
	s_and_b64 s[8:9], exec, s[0:1]
	s_or_b64 s[6:7], s[8:9], s[6:7]
	s_andn2_b64 exec, exec, s[6:7]
	s_cbranch_execnz .LBB574_147
.LBB574_152:
	s_or_b64 exec, exec, s[6:7]
	v_add_u32_e32 v22, v46, v33
	v_or_b32_e32 v22, 0x80000000, v22
	global_store_dword v[24:25], v22, off sc1
	global_load_dword v22, v35, s[48:49]
	v_sub_u32_e32 v23, v46, v30
	s_waitcnt vmcnt(0)
	v_add_u32_e32 v22, v23, v22
	ds_write_b32 v35, v22
.LBB574_153:
	s_or_b64 exec, exec, s[2:3]
	v_add_u32_e32 v3, v52, v3
	v_add3_u32 v22, v28, v1, v5
	v_add3_u32 v23, v31, v29, v49
	;; [unrolled: 1-line block ×7, first 2 shown]
	v_mov_b32_e32 v53, 0x400
	s_mov_b32 s6, s52
	s_mov_b32 s7, s14
	s_movk_i32 s8, 0x400
	v_lshl_add_u32 v24, v24, 3, v53
	v_add3_u32 v25, v47, v43, v45
	v_lshl_add_u32 v26, v26, 3, v53
	v_add3_u32 v27, v44, v37, v42
	;; [unrolled: 2-line block ×7, first 2 shown]
	v_lshl_add_u32 v41, v3, 3, v53
	s_mov_b32 s9, 0
	s_mov_b32 s12, 0
	s_movk_i32 s13, 0x800
	v_add_u32_e32 v42, v35, v35
	v_mov_b32_e32 v23, 0
	v_mov_b32_e32 v1, v2
	s_mov_b32 s15, 0
	s_branch .LBB574_155
.LBB574_154:                            ;   in Loop: Header=BB574_155 Depth=1
	s_or_b64 exec, exec, s[2:3]
	s_waitcnt lgkmcnt(0)
	s_barrier
	ds_read2st64_b64 v[44:47], v42 offset0:2 offset1:18
	s_addk_i32 s15, 0xc000
	s_addk_i32 s12, 0xf800
	s_waitcnt lgkmcnt(0)
	v_lshrrev_b64 v[48:49], s52, v[44:45]
	v_lshrrev_b64 v[50:51], s6, v[46:47]
	v_and_b32_e32 v48, s14, v48
	v_and_b32_e32 v49, s7, v50
	v_lshlrev_b32_e32 v5, 2, v48
	ds_read_b32 v5, v5
	v_lshlrev_b32_e32 v22, 2, v49
	ds_read_b32 v43, v22
	s_waitcnt lgkmcnt(1)
	v_add_u32_e32 v22, v1, v5
	v_lshl_add_u64 v[50:51], v[22:23], 3, s[42:43]
	s_waitcnt lgkmcnt(0)
	v_add3_u32 v22, v1, v43, s8
	global_store_dwordx2 v[50:51], v[44:45], off
	v_lshl_add_u64 v[44:45], v[22:23], 3, s[42:43]
	global_store_dwordx2 v[44:45], v[46:47], off
	scratch_store_dwordx2 off, v[48:49], s9
	s_add_i32 s9, s9, 8
	s_cmp_eq_u32 s15, 0xffff0000
	v_add_u32_e32 v1, 0x800, v1
	s_barrier
	s_cbranch_scc1 .LBB574_171
.LBB574_155:                            ; =>This Inner Loop Header: Depth=1
	v_add_u32_e32 v5, s12, v3
	v_cmp_gt_u32_e64 s[0:1], s13, v5
	s_and_saveexec_b64 s[2:3], s[0:1]
; %bb.156:                              ;   in Loop: Header=BB574_155 Depth=1
	v_add_u32_e32 v5, s15, v41
	ds_write_b64 v5, v[6:7]
; %bb.157:                              ;   in Loop: Header=BB574_155 Depth=1
	s_or_b64 exec, exec, s[2:3]
	v_add_u32_e32 v5, s12, v28
	v_cmp_gt_u32_e64 s[0:1], s13, v5
	s_and_saveexec_b64 s[2:3], s[0:1]
; %bb.158:                              ;   in Loop: Header=BB574_155 Depth=1
	v_add_u32_e32 v5, s15, v31
	ds_write_b64 v5, v[8:9]
; %bb.159:                              ;   in Loop: Header=BB574_155 Depth=1
	s_or_b64 exec, exec, s[2:3]
	;; [unrolled: 8-line block ×7, first 2 shown]
	v_add_u32_e32 v5, s12, v25
	v_cmp_gt_u32_e64 s[0:1], s13, v5
	s_and_saveexec_b64 s[2:3], s[0:1]
	s_cbranch_execz .LBB574_154
; %bb.170:                              ;   in Loop: Header=BB574_155 Depth=1
	v_add_u32_e32 v5, s15, v24
	ds_write_b64 v5, v[20:21]
	s_branch .LBB574_154
.LBB574_171:
	s_add_u32 s0, s44, s10
	s_addc_u32 s1, s45, s11
	v_mov_b32_e32 v1, 0
	v_lshl_add_u64 v[6:7], s[0:1], 0, v[0:1]
	v_mov_b32_e32 v5, v1
	v_lshl_add_u64 v[20:21], v[6:7], 0, v[4:5]
	global_load_dwordx2 v[4:5], v[20:21], off
	global_load_dwordx2 v[6:7], v[20:21], off offset:512
	global_load_dwordx2 v[8:9], v[20:21], off offset:1024
	;; [unrolled: 1-line block ×7, first 2 shown]
	s_mov_b32 s6, 0
	s_mov_b32 s7, 0
	s_movk_i32 s8, 0x800
	s_movk_i32 s9, 0x400
	s_mov_b32 s10, 0
	s_branch .LBB574_173
.LBB574_172:                            ;   in Loop: Header=BB574_173 Depth=1
	s_or_b64 exec, exec, s[2:3]
	s_waitcnt lgkmcnt(0)
	s_barrier
	scratch_load_dwordx2 v[44:45], off, s6
	ds_read2st64_b64 v[20:23], v42 offset0:2 offset1:18
	s_addk_i32 s10, 0xc000
	s_addk_i32 s7, 0xf800
	s_add_i32 s6, s6, 8
	s_cmp_eq_u32 s10, 0xffff0000
	s_waitcnt vmcnt(0)
	v_lshlrev_b32_e32 v0, 2, v44
	ds_read_b32 v0, v0
	v_lshlrev_b32_e32 v43, 2, v45
	ds_read_b32 v43, v43
	s_waitcnt lgkmcnt(1)
	v_add_u32_e32 v0, v2, v0
	v_lshl_add_u64 v[44:45], v[0:1], 3, s[46:47]
	s_waitcnt lgkmcnt(0)
	v_add3_u32 v0, v2, v43, s9
	global_store_dwordx2 v[44:45], v[20:21], off
	v_lshl_add_u64 v[20:21], v[0:1], 3, s[46:47]
	v_add_u32_e32 v2, 0x800, v2
	global_store_dwordx2 v[20:21], v[22:23], off
	s_barrier
	s_cbranch_scc1 .LBB574_189
.LBB574_173:                            ; =>This Inner Loop Header: Depth=1
	v_add_u32_e32 v0, s7, v3
	v_cmp_gt_u32_e64 s[0:1], s8, v0
	s_and_saveexec_b64 s[2:3], s[0:1]
	s_cbranch_execz .LBB574_175
; %bb.174:                              ;   in Loop: Header=BB574_173 Depth=1
	v_add_u32_e32 v0, s10, v41
	s_waitcnt vmcnt(7)
	ds_write_b64 v0, v[4:5]
.LBB574_175:                            ;   in Loop: Header=BB574_173 Depth=1
	s_or_b64 exec, exec, s[2:3]
	v_add_u32_e32 v0, s7, v28
	v_cmp_gt_u32_e64 s[0:1], s8, v0
	s_and_saveexec_b64 s[2:3], s[0:1]
	s_cbranch_execz .LBB574_177
; %bb.176:                              ;   in Loop: Header=BB574_173 Depth=1
	v_add_u32_e32 v0, s10, v31
	s_waitcnt vmcnt(6)
	ds_write_b64 v0, v[6:7]
.LBB574_177:                            ;   in Loop: Header=BB574_173 Depth=1
	s_or_b64 exec, exec, s[2:3]
	;; [unrolled: 10-line block ×7, first 2 shown]
	v_add_u32_e32 v0, s7, v25
	v_cmp_gt_u32_e64 s[0:1], s8, v0
	s_and_saveexec_b64 s[2:3], s[0:1]
	s_cbranch_execz .LBB574_172
; %bb.188:                              ;   in Loop: Header=BB574_173 Depth=1
	v_add_u32_e32 v0, s10, v24
	s_waitcnt vmcnt(0)
	ds_write_b64 v0, v[18:19]
	s_branch .LBB574_172
.LBB574_189:
	s_add_i32 s5, s5, -1
	s_cmp_eq_u32 s4, s5
	s_cselect_b64 s[0:1], -1, 0
	s_xor_b64 s[2:3], vcc, -1
	s_and_b64 s[0:1], s[2:3], s[0:1]
	s_and_saveexec_b64 s[2:3], s[0:1]
	s_cbranch_execz .LBB574_191
; %bb.190:
	ds_read_b32 v0, v35
	s_waitcnt lgkmcnt(0)
	v_add3_u32 v0, v30, v33, v0
	global_store_dword v35, v0, s[50:51]
.LBB574_191:
	s_endpgm
	.section	.rodata,"a",@progbits
	.p2align	6, 0x0
	.amdhsa_kernel _ZN7rocprim17ROCPRIM_400000_NS6detail17trampoline_kernelINS0_14default_configENS1_35radix_sort_onesweep_config_selectorIyyEEZZNS1_29radix_sort_onesweep_iterationIS3_Lb0EN6thrust23THRUST_200600_302600_NS6detail15normal_iteratorINS8_10device_ptrIyEEEESD_SD_SD_jNS0_19identity_decomposerENS1_16block_id_wrapperIjLb0EEEEE10hipError_tT1_PNSt15iterator_traitsISI_E10value_typeET2_T3_PNSJ_ISO_E10value_typeET4_T5_PST_SU_PNS1_23onesweep_lookback_stateEbbT6_jjT7_P12ihipStream_tbENKUlT_T0_SI_SN_E_clIPySD_S15_SD_EEDaS11_S12_SI_SN_EUlS11_E_NS1_11comp_targetILNS1_3genE6ELNS1_11target_archE950ELNS1_3gpuE13ELNS1_3repE0EEENS1_47radix_sort_onesweep_sort_config_static_selectorELNS0_4arch9wavefront6targetE1EEEvSI_
		.amdhsa_group_segment_fixed_size 53328
		.amdhsa_private_segment_fixed_size 48
		.amdhsa_kernarg_size 344
		.amdhsa_user_sgpr_count 4
		.amdhsa_user_sgpr_dispatch_ptr 1
		.amdhsa_user_sgpr_queue_ptr 0
		.amdhsa_user_sgpr_kernarg_segment_ptr 1
		.amdhsa_user_sgpr_dispatch_id 0
		.amdhsa_user_sgpr_kernarg_preload_length 0
		.amdhsa_user_sgpr_kernarg_preload_offset 0
		.amdhsa_user_sgpr_private_segment_size 0
		.amdhsa_uses_dynamic_stack 0
		.amdhsa_enable_private_segment 1
		.amdhsa_system_sgpr_workgroup_id_x 1
		.amdhsa_system_sgpr_workgroup_id_y 0
		.amdhsa_system_sgpr_workgroup_id_z 0
		.amdhsa_system_sgpr_workgroup_info 0
		.amdhsa_system_vgpr_workitem_id 2
		.amdhsa_next_free_vgpr 58
		.amdhsa_next_free_sgpr 58
		.amdhsa_accum_offset 60
		.amdhsa_reserve_vcc 1
		.amdhsa_float_round_mode_32 0
		.amdhsa_float_round_mode_16_64 0
		.amdhsa_float_denorm_mode_32 3
		.amdhsa_float_denorm_mode_16_64 3
		.amdhsa_dx10_clamp 1
		.amdhsa_ieee_mode 1
		.amdhsa_fp16_overflow 0
		.amdhsa_tg_split 0
		.amdhsa_exception_fp_ieee_invalid_op 0
		.amdhsa_exception_fp_denorm_src 0
		.amdhsa_exception_fp_ieee_div_zero 0
		.amdhsa_exception_fp_ieee_overflow 0
		.amdhsa_exception_fp_ieee_underflow 0
		.amdhsa_exception_fp_ieee_inexact 0
		.amdhsa_exception_int_div_zero 0
	.end_amdhsa_kernel
	.section	.text._ZN7rocprim17ROCPRIM_400000_NS6detail17trampoline_kernelINS0_14default_configENS1_35radix_sort_onesweep_config_selectorIyyEEZZNS1_29radix_sort_onesweep_iterationIS3_Lb0EN6thrust23THRUST_200600_302600_NS6detail15normal_iteratorINS8_10device_ptrIyEEEESD_SD_SD_jNS0_19identity_decomposerENS1_16block_id_wrapperIjLb0EEEEE10hipError_tT1_PNSt15iterator_traitsISI_E10value_typeET2_T3_PNSJ_ISO_E10value_typeET4_T5_PST_SU_PNS1_23onesweep_lookback_stateEbbT6_jjT7_P12ihipStream_tbENKUlT_T0_SI_SN_E_clIPySD_S15_SD_EEDaS11_S12_SI_SN_EUlS11_E_NS1_11comp_targetILNS1_3genE6ELNS1_11target_archE950ELNS1_3gpuE13ELNS1_3repE0EEENS1_47radix_sort_onesweep_sort_config_static_selectorELNS0_4arch9wavefront6targetE1EEEvSI_,"axG",@progbits,_ZN7rocprim17ROCPRIM_400000_NS6detail17trampoline_kernelINS0_14default_configENS1_35radix_sort_onesweep_config_selectorIyyEEZZNS1_29radix_sort_onesweep_iterationIS3_Lb0EN6thrust23THRUST_200600_302600_NS6detail15normal_iteratorINS8_10device_ptrIyEEEESD_SD_SD_jNS0_19identity_decomposerENS1_16block_id_wrapperIjLb0EEEEE10hipError_tT1_PNSt15iterator_traitsISI_E10value_typeET2_T3_PNSJ_ISO_E10value_typeET4_T5_PST_SU_PNS1_23onesweep_lookback_stateEbbT6_jjT7_P12ihipStream_tbENKUlT_T0_SI_SN_E_clIPySD_S15_SD_EEDaS11_S12_SI_SN_EUlS11_E_NS1_11comp_targetILNS1_3genE6ELNS1_11target_archE950ELNS1_3gpuE13ELNS1_3repE0EEENS1_47radix_sort_onesweep_sort_config_static_selectorELNS0_4arch9wavefront6targetE1EEEvSI_,comdat
.Lfunc_end574:
	.size	_ZN7rocprim17ROCPRIM_400000_NS6detail17trampoline_kernelINS0_14default_configENS1_35radix_sort_onesweep_config_selectorIyyEEZZNS1_29radix_sort_onesweep_iterationIS3_Lb0EN6thrust23THRUST_200600_302600_NS6detail15normal_iteratorINS8_10device_ptrIyEEEESD_SD_SD_jNS0_19identity_decomposerENS1_16block_id_wrapperIjLb0EEEEE10hipError_tT1_PNSt15iterator_traitsISI_E10value_typeET2_T3_PNSJ_ISO_E10value_typeET4_T5_PST_SU_PNS1_23onesweep_lookback_stateEbbT6_jjT7_P12ihipStream_tbENKUlT_T0_SI_SN_E_clIPySD_S15_SD_EEDaS11_S12_SI_SN_EUlS11_E_NS1_11comp_targetILNS1_3genE6ELNS1_11target_archE950ELNS1_3gpuE13ELNS1_3repE0EEENS1_47radix_sort_onesweep_sort_config_static_selectorELNS0_4arch9wavefront6targetE1EEEvSI_, .Lfunc_end574-_ZN7rocprim17ROCPRIM_400000_NS6detail17trampoline_kernelINS0_14default_configENS1_35radix_sort_onesweep_config_selectorIyyEEZZNS1_29radix_sort_onesweep_iterationIS3_Lb0EN6thrust23THRUST_200600_302600_NS6detail15normal_iteratorINS8_10device_ptrIyEEEESD_SD_SD_jNS0_19identity_decomposerENS1_16block_id_wrapperIjLb0EEEEE10hipError_tT1_PNSt15iterator_traitsISI_E10value_typeET2_T3_PNSJ_ISO_E10value_typeET4_T5_PST_SU_PNS1_23onesweep_lookback_stateEbbT6_jjT7_P12ihipStream_tbENKUlT_T0_SI_SN_E_clIPySD_S15_SD_EEDaS11_S12_SI_SN_EUlS11_E_NS1_11comp_targetILNS1_3genE6ELNS1_11target_archE950ELNS1_3gpuE13ELNS1_3repE0EEENS1_47radix_sort_onesweep_sort_config_static_selectorELNS0_4arch9wavefront6targetE1EEEvSI_
                                        ; -- End function
	.set _ZN7rocprim17ROCPRIM_400000_NS6detail17trampoline_kernelINS0_14default_configENS1_35radix_sort_onesweep_config_selectorIyyEEZZNS1_29radix_sort_onesweep_iterationIS3_Lb0EN6thrust23THRUST_200600_302600_NS6detail15normal_iteratorINS8_10device_ptrIyEEEESD_SD_SD_jNS0_19identity_decomposerENS1_16block_id_wrapperIjLb0EEEEE10hipError_tT1_PNSt15iterator_traitsISI_E10value_typeET2_T3_PNSJ_ISO_E10value_typeET4_T5_PST_SU_PNS1_23onesweep_lookback_stateEbbT6_jjT7_P12ihipStream_tbENKUlT_T0_SI_SN_E_clIPySD_S15_SD_EEDaS11_S12_SI_SN_EUlS11_E_NS1_11comp_targetILNS1_3genE6ELNS1_11target_archE950ELNS1_3gpuE13ELNS1_3repE0EEENS1_47radix_sort_onesweep_sort_config_static_selectorELNS0_4arch9wavefront6targetE1EEEvSI_.num_vgpr, 58
	.set _ZN7rocprim17ROCPRIM_400000_NS6detail17trampoline_kernelINS0_14default_configENS1_35radix_sort_onesweep_config_selectorIyyEEZZNS1_29radix_sort_onesweep_iterationIS3_Lb0EN6thrust23THRUST_200600_302600_NS6detail15normal_iteratorINS8_10device_ptrIyEEEESD_SD_SD_jNS0_19identity_decomposerENS1_16block_id_wrapperIjLb0EEEEE10hipError_tT1_PNSt15iterator_traitsISI_E10value_typeET2_T3_PNSJ_ISO_E10value_typeET4_T5_PST_SU_PNS1_23onesweep_lookback_stateEbbT6_jjT7_P12ihipStream_tbENKUlT_T0_SI_SN_E_clIPySD_S15_SD_EEDaS11_S12_SI_SN_EUlS11_E_NS1_11comp_targetILNS1_3genE6ELNS1_11target_archE950ELNS1_3gpuE13ELNS1_3repE0EEENS1_47radix_sort_onesweep_sort_config_static_selectorELNS0_4arch9wavefront6targetE1EEEvSI_.num_agpr, 0
	.set _ZN7rocprim17ROCPRIM_400000_NS6detail17trampoline_kernelINS0_14default_configENS1_35radix_sort_onesweep_config_selectorIyyEEZZNS1_29radix_sort_onesweep_iterationIS3_Lb0EN6thrust23THRUST_200600_302600_NS6detail15normal_iteratorINS8_10device_ptrIyEEEESD_SD_SD_jNS0_19identity_decomposerENS1_16block_id_wrapperIjLb0EEEEE10hipError_tT1_PNSt15iterator_traitsISI_E10value_typeET2_T3_PNSJ_ISO_E10value_typeET4_T5_PST_SU_PNS1_23onesweep_lookback_stateEbbT6_jjT7_P12ihipStream_tbENKUlT_T0_SI_SN_E_clIPySD_S15_SD_EEDaS11_S12_SI_SN_EUlS11_E_NS1_11comp_targetILNS1_3genE6ELNS1_11target_archE950ELNS1_3gpuE13ELNS1_3repE0EEENS1_47radix_sort_onesweep_sort_config_static_selectorELNS0_4arch9wavefront6targetE1EEEvSI_.numbered_sgpr, 58
	.set _ZN7rocprim17ROCPRIM_400000_NS6detail17trampoline_kernelINS0_14default_configENS1_35radix_sort_onesweep_config_selectorIyyEEZZNS1_29radix_sort_onesweep_iterationIS3_Lb0EN6thrust23THRUST_200600_302600_NS6detail15normal_iteratorINS8_10device_ptrIyEEEESD_SD_SD_jNS0_19identity_decomposerENS1_16block_id_wrapperIjLb0EEEEE10hipError_tT1_PNSt15iterator_traitsISI_E10value_typeET2_T3_PNSJ_ISO_E10value_typeET4_T5_PST_SU_PNS1_23onesweep_lookback_stateEbbT6_jjT7_P12ihipStream_tbENKUlT_T0_SI_SN_E_clIPySD_S15_SD_EEDaS11_S12_SI_SN_EUlS11_E_NS1_11comp_targetILNS1_3genE6ELNS1_11target_archE950ELNS1_3gpuE13ELNS1_3repE0EEENS1_47radix_sort_onesweep_sort_config_static_selectorELNS0_4arch9wavefront6targetE1EEEvSI_.num_named_barrier, 0
	.set _ZN7rocprim17ROCPRIM_400000_NS6detail17trampoline_kernelINS0_14default_configENS1_35radix_sort_onesweep_config_selectorIyyEEZZNS1_29radix_sort_onesweep_iterationIS3_Lb0EN6thrust23THRUST_200600_302600_NS6detail15normal_iteratorINS8_10device_ptrIyEEEESD_SD_SD_jNS0_19identity_decomposerENS1_16block_id_wrapperIjLb0EEEEE10hipError_tT1_PNSt15iterator_traitsISI_E10value_typeET2_T3_PNSJ_ISO_E10value_typeET4_T5_PST_SU_PNS1_23onesweep_lookback_stateEbbT6_jjT7_P12ihipStream_tbENKUlT_T0_SI_SN_E_clIPySD_S15_SD_EEDaS11_S12_SI_SN_EUlS11_E_NS1_11comp_targetILNS1_3genE6ELNS1_11target_archE950ELNS1_3gpuE13ELNS1_3repE0EEENS1_47radix_sort_onesweep_sort_config_static_selectorELNS0_4arch9wavefront6targetE1EEEvSI_.private_seg_size, 48
	.set _ZN7rocprim17ROCPRIM_400000_NS6detail17trampoline_kernelINS0_14default_configENS1_35radix_sort_onesweep_config_selectorIyyEEZZNS1_29radix_sort_onesweep_iterationIS3_Lb0EN6thrust23THRUST_200600_302600_NS6detail15normal_iteratorINS8_10device_ptrIyEEEESD_SD_SD_jNS0_19identity_decomposerENS1_16block_id_wrapperIjLb0EEEEE10hipError_tT1_PNSt15iterator_traitsISI_E10value_typeET2_T3_PNSJ_ISO_E10value_typeET4_T5_PST_SU_PNS1_23onesweep_lookback_stateEbbT6_jjT7_P12ihipStream_tbENKUlT_T0_SI_SN_E_clIPySD_S15_SD_EEDaS11_S12_SI_SN_EUlS11_E_NS1_11comp_targetILNS1_3genE6ELNS1_11target_archE950ELNS1_3gpuE13ELNS1_3repE0EEENS1_47radix_sort_onesweep_sort_config_static_selectorELNS0_4arch9wavefront6targetE1EEEvSI_.uses_vcc, 1
	.set _ZN7rocprim17ROCPRIM_400000_NS6detail17trampoline_kernelINS0_14default_configENS1_35radix_sort_onesweep_config_selectorIyyEEZZNS1_29radix_sort_onesweep_iterationIS3_Lb0EN6thrust23THRUST_200600_302600_NS6detail15normal_iteratorINS8_10device_ptrIyEEEESD_SD_SD_jNS0_19identity_decomposerENS1_16block_id_wrapperIjLb0EEEEE10hipError_tT1_PNSt15iterator_traitsISI_E10value_typeET2_T3_PNSJ_ISO_E10value_typeET4_T5_PST_SU_PNS1_23onesweep_lookback_stateEbbT6_jjT7_P12ihipStream_tbENKUlT_T0_SI_SN_E_clIPySD_S15_SD_EEDaS11_S12_SI_SN_EUlS11_E_NS1_11comp_targetILNS1_3genE6ELNS1_11target_archE950ELNS1_3gpuE13ELNS1_3repE0EEENS1_47radix_sort_onesweep_sort_config_static_selectorELNS0_4arch9wavefront6targetE1EEEvSI_.uses_flat_scratch, 0
	.set _ZN7rocprim17ROCPRIM_400000_NS6detail17trampoline_kernelINS0_14default_configENS1_35radix_sort_onesweep_config_selectorIyyEEZZNS1_29radix_sort_onesweep_iterationIS3_Lb0EN6thrust23THRUST_200600_302600_NS6detail15normal_iteratorINS8_10device_ptrIyEEEESD_SD_SD_jNS0_19identity_decomposerENS1_16block_id_wrapperIjLb0EEEEE10hipError_tT1_PNSt15iterator_traitsISI_E10value_typeET2_T3_PNSJ_ISO_E10value_typeET4_T5_PST_SU_PNS1_23onesweep_lookback_stateEbbT6_jjT7_P12ihipStream_tbENKUlT_T0_SI_SN_E_clIPySD_S15_SD_EEDaS11_S12_SI_SN_EUlS11_E_NS1_11comp_targetILNS1_3genE6ELNS1_11target_archE950ELNS1_3gpuE13ELNS1_3repE0EEENS1_47radix_sort_onesweep_sort_config_static_selectorELNS0_4arch9wavefront6targetE1EEEvSI_.has_dyn_sized_stack, 0
	.set _ZN7rocprim17ROCPRIM_400000_NS6detail17trampoline_kernelINS0_14default_configENS1_35radix_sort_onesweep_config_selectorIyyEEZZNS1_29radix_sort_onesweep_iterationIS3_Lb0EN6thrust23THRUST_200600_302600_NS6detail15normal_iteratorINS8_10device_ptrIyEEEESD_SD_SD_jNS0_19identity_decomposerENS1_16block_id_wrapperIjLb0EEEEE10hipError_tT1_PNSt15iterator_traitsISI_E10value_typeET2_T3_PNSJ_ISO_E10value_typeET4_T5_PST_SU_PNS1_23onesweep_lookback_stateEbbT6_jjT7_P12ihipStream_tbENKUlT_T0_SI_SN_E_clIPySD_S15_SD_EEDaS11_S12_SI_SN_EUlS11_E_NS1_11comp_targetILNS1_3genE6ELNS1_11target_archE950ELNS1_3gpuE13ELNS1_3repE0EEENS1_47radix_sort_onesweep_sort_config_static_selectorELNS0_4arch9wavefront6targetE1EEEvSI_.has_recursion, 0
	.set _ZN7rocprim17ROCPRIM_400000_NS6detail17trampoline_kernelINS0_14default_configENS1_35radix_sort_onesweep_config_selectorIyyEEZZNS1_29radix_sort_onesweep_iterationIS3_Lb0EN6thrust23THRUST_200600_302600_NS6detail15normal_iteratorINS8_10device_ptrIyEEEESD_SD_SD_jNS0_19identity_decomposerENS1_16block_id_wrapperIjLb0EEEEE10hipError_tT1_PNSt15iterator_traitsISI_E10value_typeET2_T3_PNSJ_ISO_E10value_typeET4_T5_PST_SU_PNS1_23onesweep_lookback_stateEbbT6_jjT7_P12ihipStream_tbENKUlT_T0_SI_SN_E_clIPySD_S15_SD_EEDaS11_S12_SI_SN_EUlS11_E_NS1_11comp_targetILNS1_3genE6ELNS1_11target_archE950ELNS1_3gpuE13ELNS1_3repE0EEENS1_47radix_sort_onesweep_sort_config_static_selectorELNS0_4arch9wavefront6targetE1EEEvSI_.has_indirect_call, 0
	.section	.AMDGPU.csdata,"",@progbits
; Kernel info:
; codeLenInByte = 12556
; TotalNumSgprs: 64
; NumVgprs: 58
; NumAgprs: 0
; TotalNumVgprs: 58
; ScratchSize: 48
; MemoryBound: 0
; FloatMode: 240
; IeeeMode: 1
; LDSByteSize: 53328 bytes/workgroup (compile time only)
; SGPRBlocks: 7
; VGPRBlocks: 7
; NumSGPRsForWavesPerEU: 64
; NumVGPRsForWavesPerEU: 58
; AccumOffset: 60
; Occupancy: 8
; WaveLimiterHint : 1
; COMPUTE_PGM_RSRC2:SCRATCH_EN: 1
; COMPUTE_PGM_RSRC2:USER_SGPR: 4
; COMPUTE_PGM_RSRC2:TRAP_HANDLER: 0
; COMPUTE_PGM_RSRC2:TGID_X_EN: 1
; COMPUTE_PGM_RSRC2:TGID_Y_EN: 0
; COMPUTE_PGM_RSRC2:TGID_Z_EN: 0
; COMPUTE_PGM_RSRC2:TIDIG_COMP_CNT: 2
; COMPUTE_PGM_RSRC3_GFX90A:ACCUM_OFFSET: 14
; COMPUTE_PGM_RSRC3_GFX90A:TG_SPLIT: 0
	.section	.text._ZN7rocprim17ROCPRIM_400000_NS6detail17trampoline_kernelINS0_14default_configENS1_35radix_sort_onesweep_config_selectorIyyEEZZNS1_29radix_sort_onesweep_iterationIS3_Lb0EN6thrust23THRUST_200600_302600_NS6detail15normal_iteratorINS8_10device_ptrIyEEEESD_SD_SD_jNS0_19identity_decomposerENS1_16block_id_wrapperIjLb0EEEEE10hipError_tT1_PNSt15iterator_traitsISI_E10value_typeET2_T3_PNSJ_ISO_E10value_typeET4_T5_PST_SU_PNS1_23onesweep_lookback_stateEbbT6_jjT7_P12ihipStream_tbENKUlT_T0_SI_SN_E_clIPySD_S15_SD_EEDaS11_S12_SI_SN_EUlS11_E_NS1_11comp_targetILNS1_3genE5ELNS1_11target_archE942ELNS1_3gpuE9ELNS1_3repE0EEENS1_47radix_sort_onesweep_sort_config_static_selectorELNS0_4arch9wavefront6targetE1EEEvSI_,"axG",@progbits,_ZN7rocprim17ROCPRIM_400000_NS6detail17trampoline_kernelINS0_14default_configENS1_35radix_sort_onesweep_config_selectorIyyEEZZNS1_29radix_sort_onesweep_iterationIS3_Lb0EN6thrust23THRUST_200600_302600_NS6detail15normal_iteratorINS8_10device_ptrIyEEEESD_SD_SD_jNS0_19identity_decomposerENS1_16block_id_wrapperIjLb0EEEEE10hipError_tT1_PNSt15iterator_traitsISI_E10value_typeET2_T3_PNSJ_ISO_E10value_typeET4_T5_PST_SU_PNS1_23onesweep_lookback_stateEbbT6_jjT7_P12ihipStream_tbENKUlT_T0_SI_SN_E_clIPySD_S15_SD_EEDaS11_S12_SI_SN_EUlS11_E_NS1_11comp_targetILNS1_3genE5ELNS1_11target_archE942ELNS1_3gpuE9ELNS1_3repE0EEENS1_47radix_sort_onesweep_sort_config_static_selectorELNS0_4arch9wavefront6targetE1EEEvSI_,comdat
	.protected	_ZN7rocprim17ROCPRIM_400000_NS6detail17trampoline_kernelINS0_14default_configENS1_35radix_sort_onesweep_config_selectorIyyEEZZNS1_29radix_sort_onesweep_iterationIS3_Lb0EN6thrust23THRUST_200600_302600_NS6detail15normal_iteratorINS8_10device_ptrIyEEEESD_SD_SD_jNS0_19identity_decomposerENS1_16block_id_wrapperIjLb0EEEEE10hipError_tT1_PNSt15iterator_traitsISI_E10value_typeET2_T3_PNSJ_ISO_E10value_typeET4_T5_PST_SU_PNS1_23onesweep_lookback_stateEbbT6_jjT7_P12ihipStream_tbENKUlT_T0_SI_SN_E_clIPySD_S15_SD_EEDaS11_S12_SI_SN_EUlS11_E_NS1_11comp_targetILNS1_3genE5ELNS1_11target_archE942ELNS1_3gpuE9ELNS1_3repE0EEENS1_47radix_sort_onesweep_sort_config_static_selectorELNS0_4arch9wavefront6targetE1EEEvSI_ ; -- Begin function _ZN7rocprim17ROCPRIM_400000_NS6detail17trampoline_kernelINS0_14default_configENS1_35radix_sort_onesweep_config_selectorIyyEEZZNS1_29radix_sort_onesweep_iterationIS3_Lb0EN6thrust23THRUST_200600_302600_NS6detail15normal_iteratorINS8_10device_ptrIyEEEESD_SD_SD_jNS0_19identity_decomposerENS1_16block_id_wrapperIjLb0EEEEE10hipError_tT1_PNSt15iterator_traitsISI_E10value_typeET2_T3_PNSJ_ISO_E10value_typeET4_T5_PST_SU_PNS1_23onesweep_lookback_stateEbbT6_jjT7_P12ihipStream_tbENKUlT_T0_SI_SN_E_clIPySD_S15_SD_EEDaS11_S12_SI_SN_EUlS11_E_NS1_11comp_targetILNS1_3genE5ELNS1_11target_archE942ELNS1_3gpuE9ELNS1_3repE0EEENS1_47radix_sort_onesweep_sort_config_static_selectorELNS0_4arch9wavefront6targetE1EEEvSI_
	.globl	_ZN7rocprim17ROCPRIM_400000_NS6detail17trampoline_kernelINS0_14default_configENS1_35radix_sort_onesweep_config_selectorIyyEEZZNS1_29radix_sort_onesweep_iterationIS3_Lb0EN6thrust23THRUST_200600_302600_NS6detail15normal_iteratorINS8_10device_ptrIyEEEESD_SD_SD_jNS0_19identity_decomposerENS1_16block_id_wrapperIjLb0EEEEE10hipError_tT1_PNSt15iterator_traitsISI_E10value_typeET2_T3_PNSJ_ISO_E10value_typeET4_T5_PST_SU_PNS1_23onesweep_lookback_stateEbbT6_jjT7_P12ihipStream_tbENKUlT_T0_SI_SN_E_clIPySD_S15_SD_EEDaS11_S12_SI_SN_EUlS11_E_NS1_11comp_targetILNS1_3genE5ELNS1_11target_archE942ELNS1_3gpuE9ELNS1_3repE0EEENS1_47radix_sort_onesweep_sort_config_static_selectorELNS0_4arch9wavefront6targetE1EEEvSI_
	.p2align	8
	.type	_ZN7rocprim17ROCPRIM_400000_NS6detail17trampoline_kernelINS0_14default_configENS1_35radix_sort_onesweep_config_selectorIyyEEZZNS1_29radix_sort_onesweep_iterationIS3_Lb0EN6thrust23THRUST_200600_302600_NS6detail15normal_iteratorINS8_10device_ptrIyEEEESD_SD_SD_jNS0_19identity_decomposerENS1_16block_id_wrapperIjLb0EEEEE10hipError_tT1_PNSt15iterator_traitsISI_E10value_typeET2_T3_PNSJ_ISO_E10value_typeET4_T5_PST_SU_PNS1_23onesweep_lookback_stateEbbT6_jjT7_P12ihipStream_tbENKUlT_T0_SI_SN_E_clIPySD_S15_SD_EEDaS11_S12_SI_SN_EUlS11_E_NS1_11comp_targetILNS1_3genE5ELNS1_11target_archE942ELNS1_3gpuE9ELNS1_3repE0EEENS1_47radix_sort_onesweep_sort_config_static_selectorELNS0_4arch9wavefront6targetE1EEEvSI_,@function
_ZN7rocprim17ROCPRIM_400000_NS6detail17trampoline_kernelINS0_14default_configENS1_35radix_sort_onesweep_config_selectorIyyEEZZNS1_29radix_sort_onesweep_iterationIS3_Lb0EN6thrust23THRUST_200600_302600_NS6detail15normal_iteratorINS8_10device_ptrIyEEEESD_SD_SD_jNS0_19identity_decomposerENS1_16block_id_wrapperIjLb0EEEEE10hipError_tT1_PNSt15iterator_traitsISI_E10value_typeET2_T3_PNSJ_ISO_E10value_typeET4_T5_PST_SU_PNS1_23onesweep_lookback_stateEbbT6_jjT7_P12ihipStream_tbENKUlT_T0_SI_SN_E_clIPySD_S15_SD_EEDaS11_S12_SI_SN_EUlS11_E_NS1_11comp_targetILNS1_3genE5ELNS1_11target_archE942ELNS1_3gpuE9ELNS1_3repE0EEENS1_47radix_sort_onesweep_sort_config_static_selectorELNS0_4arch9wavefront6targetE1EEEvSI_: ; @_ZN7rocprim17ROCPRIM_400000_NS6detail17trampoline_kernelINS0_14default_configENS1_35radix_sort_onesweep_config_selectorIyyEEZZNS1_29radix_sort_onesweep_iterationIS3_Lb0EN6thrust23THRUST_200600_302600_NS6detail15normal_iteratorINS8_10device_ptrIyEEEESD_SD_SD_jNS0_19identity_decomposerENS1_16block_id_wrapperIjLb0EEEEE10hipError_tT1_PNSt15iterator_traitsISI_E10value_typeET2_T3_PNSJ_ISO_E10value_typeET4_T5_PST_SU_PNS1_23onesweep_lookback_stateEbbT6_jjT7_P12ihipStream_tbENKUlT_T0_SI_SN_E_clIPySD_S15_SD_EEDaS11_S12_SI_SN_EUlS11_E_NS1_11comp_targetILNS1_3genE5ELNS1_11target_archE942ELNS1_3gpuE9ELNS1_3repE0EEENS1_47radix_sort_onesweep_sort_config_static_selectorELNS0_4arch9wavefront6targetE1EEEvSI_
; %bb.0:
	.section	.rodata,"a",@progbits
	.p2align	6, 0x0
	.amdhsa_kernel _ZN7rocprim17ROCPRIM_400000_NS6detail17trampoline_kernelINS0_14default_configENS1_35radix_sort_onesweep_config_selectorIyyEEZZNS1_29radix_sort_onesweep_iterationIS3_Lb0EN6thrust23THRUST_200600_302600_NS6detail15normal_iteratorINS8_10device_ptrIyEEEESD_SD_SD_jNS0_19identity_decomposerENS1_16block_id_wrapperIjLb0EEEEE10hipError_tT1_PNSt15iterator_traitsISI_E10value_typeET2_T3_PNSJ_ISO_E10value_typeET4_T5_PST_SU_PNS1_23onesweep_lookback_stateEbbT6_jjT7_P12ihipStream_tbENKUlT_T0_SI_SN_E_clIPySD_S15_SD_EEDaS11_S12_SI_SN_EUlS11_E_NS1_11comp_targetILNS1_3genE5ELNS1_11target_archE942ELNS1_3gpuE9ELNS1_3repE0EEENS1_47radix_sort_onesweep_sort_config_static_selectorELNS0_4arch9wavefront6targetE1EEEvSI_
		.amdhsa_group_segment_fixed_size 0
		.amdhsa_private_segment_fixed_size 0
		.amdhsa_kernarg_size 88
		.amdhsa_user_sgpr_count 2
		.amdhsa_user_sgpr_dispatch_ptr 0
		.amdhsa_user_sgpr_queue_ptr 0
		.amdhsa_user_sgpr_kernarg_segment_ptr 1
		.amdhsa_user_sgpr_dispatch_id 0
		.amdhsa_user_sgpr_kernarg_preload_length 0
		.amdhsa_user_sgpr_kernarg_preload_offset 0
		.amdhsa_user_sgpr_private_segment_size 0
		.amdhsa_uses_dynamic_stack 0
		.amdhsa_enable_private_segment 0
		.amdhsa_system_sgpr_workgroup_id_x 1
		.amdhsa_system_sgpr_workgroup_id_y 0
		.amdhsa_system_sgpr_workgroup_id_z 0
		.amdhsa_system_sgpr_workgroup_info 0
		.amdhsa_system_vgpr_workitem_id 0
		.amdhsa_next_free_vgpr 1
		.amdhsa_next_free_sgpr 0
		.amdhsa_accum_offset 4
		.amdhsa_reserve_vcc 0
		.amdhsa_float_round_mode_32 0
		.amdhsa_float_round_mode_16_64 0
		.amdhsa_float_denorm_mode_32 3
		.amdhsa_float_denorm_mode_16_64 3
		.amdhsa_dx10_clamp 1
		.amdhsa_ieee_mode 1
		.amdhsa_fp16_overflow 0
		.amdhsa_tg_split 0
		.amdhsa_exception_fp_ieee_invalid_op 0
		.amdhsa_exception_fp_denorm_src 0
		.amdhsa_exception_fp_ieee_div_zero 0
		.amdhsa_exception_fp_ieee_overflow 0
		.amdhsa_exception_fp_ieee_underflow 0
		.amdhsa_exception_fp_ieee_inexact 0
		.amdhsa_exception_int_div_zero 0
	.end_amdhsa_kernel
	.section	.text._ZN7rocprim17ROCPRIM_400000_NS6detail17trampoline_kernelINS0_14default_configENS1_35radix_sort_onesweep_config_selectorIyyEEZZNS1_29radix_sort_onesweep_iterationIS3_Lb0EN6thrust23THRUST_200600_302600_NS6detail15normal_iteratorINS8_10device_ptrIyEEEESD_SD_SD_jNS0_19identity_decomposerENS1_16block_id_wrapperIjLb0EEEEE10hipError_tT1_PNSt15iterator_traitsISI_E10value_typeET2_T3_PNSJ_ISO_E10value_typeET4_T5_PST_SU_PNS1_23onesweep_lookback_stateEbbT6_jjT7_P12ihipStream_tbENKUlT_T0_SI_SN_E_clIPySD_S15_SD_EEDaS11_S12_SI_SN_EUlS11_E_NS1_11comp_targetILNS1_3genE5ELNS1_11target_archE942ELNS1_3gpuE9ELNS1_3repE0EEENS1_47radix_sort_onesweep_sort_config_static_selectorELNS0_4arch9wavefront6targetE1EEEvSI_,"axG",@progbits,_ZN7rocprim17ROCPRIM_400000_NS6detail17trampoline_kernelINS0_14default_configENS1_35radix_sort_onesweep_config_selectorIyyEEZZNS1_29radix_sort_onesweep_iterationIS3_Lb0EN6thrust23THRUST_200600_302600_NS6detail15normal_iteratorINS8_10device_ptrIyEEEESD_SD_SD_jNS0_19identity_decomposerENS1_16block_id_wrapperIjLb0EEEEE10hipError_tT1_PNSt15iterator_traitsISI_E10value_typeET2_T3_PNSJ_ISO_E10value_typeET4_T5_PST_SU_PNS1_23onesweep_lookback_stateEbbT6_jjT7_P12ihipStream_tbENKUlT_T0_SI_SN_E_clIPySD_S15_SD_EEDaS11_S12_SI_SN_EUlS11_E_NS1_11comp_targetILNS1_3genE5ELNS1_11target_archE942ELNS1_3gpuE9ELNS1_3repE0EEENS1_47radix_sort_onesweep_sort_config_static_selectorELNS0_4arch9wavefront6targetE1EEEvSI_,comdat
.Lfunc_end575:
	.size	_ZN7rocprim17ROCPRIM_400000_NS6detail17trampoline_kernelINS0_14default_configENS1_35radix_sort_onesweep_config_selectorIyyEEZZNS1_29radix_sort_onesweep_iterationIS3_Lb0EN6thrust23THRUST_200600_302600_NS6detail15normal_iteratorINS8_10device_ptrIyEEEESD_SD_SD_jNS0_19identity_decomposerENS1_16block_id_wrapperIjLb0EEEEE10hipError_tT1_PNSt15iterator_traitsISI_E10value_typeET2_T3_PNSJ_ISO_E10value_typeET4_T5_PST_SU_PNS1_23onesweep_lookback_stateEbbT6_jjT7_P12ihipStream_tbENKUlT_T0_SI_SN_E_clIPySD_S15_SD_EEDaS11_S12_SI_SN_EUlS11_E_NS1_11comp_targetILNS1_3genE5ELNS1_11target_archE942ELNS1_3gpuE9ELNS1_3repE0EEENS1_47radix_sort_onesweep_sort_config_static_selectorELNS0_4arch9wavefront6targetE1EEEvSI_, .Lfunc_end575-_ZN7rocprim17ROCPRIM_400000_NS6detail17trampoline_kernelINS0_14default_configENS1_35radix_sort_onesweep_config_selectorIyyEEZZNS1_29radix_sort_onesweep_iterationIS3_Lb0EN6thrust23THRUST_200600_302600_NS6detail15normal_iteratorINS8_10device_ptrIyEEEESD_SD_SD_jNS0_19identity_decomposerENS1_16block_id_wrapperIjLb0EEEEE10hipError_tT1_PNSt15iterator_traitsISI_E10value_typeET2_T3_PNSJ_ISO_E10value_typeET4_T5_PST_SU_PNS1_23onesweep_lookback_stateEbbT6_jjT7_P12ihipStream_tbENKUlT_T0_SI_SN_E_clIPySD_S15_SD_EEDaS11_S12_SI_SN_EUlS11_E_NS1_11comp_targetILNS1_3genE5ELNS1_11target_archE942ELNS1_3gpuE9ELNS1_3repE0EEENS1_47radix_sort_onesweep_sort_config_static_selectorELNS0_4arch9wavefront6targetE1EEEvSI_
                                        ; -- End function
	.set _ZN7rocprim17ROCPRIM_400000_NS6detail17trampoline_kernelINS0_14default_configENS1_35radix_sort_onesweep_config_selectorIyyEEZZNS1_29radix_sort_onesweep_iterationIS3_Lb0EN6thrust23THRUST_200600_302600_NS6detail15normal_iteratorINS8_10device_ptrIyEEEESD_SD_SD_jNS0_19identity_decomposerENS1_16block_id_wrapperIjLb0EEEEE10hipError_tT1_PNSt15iterator_traitsISI_E10value_typeET2_T3_PNSJ_ISO_E10value_typeET4_T5_PST_SU_PNS1_23onesweep_lookback_stateEbbT6_jjT7_P12ihipStream_tbENKUlT_T0_SI_SN_E_clIPySD_S15_SD_EEDaS11_S12_SI_SN_EUlS11_E_NS1_11comp_targetILNS1_3genE5ELNS1_11target_archE942ELNS1_3gpuE9ELNS1_3repE0EEENS1_47radix_sort_onesweep_sort_config_static_selectorELNS0_4arch9wavefront6targetE1EEEvSI_.num_vgpr, 0
	.set _ZN7rocprim17ROCPRIM_400000_NS6detail17trampoline_kernelINS0_14default_configENS1_35radix_sort_onesweep_config_selectorIyyEEZZNS1_29radix_sort_onesweep_iterationIS3_Lb0EN6thrust23THRUST_200600_302600_NS6detail15normal_iteratorINS8_10device_ptrIyEEEESD_SD_SD_jNS0_19identity_decomposerENS1_16block_id_wrapperIjLb0EEEEE10hipError_tT1_PNSt15iterator_traitsISI_E10value_typeET2_T3_PNSJ_ISO_E10value_typeET4_T5_PST_SU_PNS1_23onesweep_lookback_stateEbbT6_jjT7_P12ihipStream_tbENKUlT_T0_SI_SN_E_clIPySD_S15_SD_EEDaS11_S12_SI_SN_EUlS11_E_NS1_11comp_targetILNS1_3genE5ELNS1_11target_archE942ELNS1_3gpuE9ELNS1_3repE0EEENS1_47radix_sort_onesweep_sort_config_static_selectorELNS0_4arch9wavefront6targetE1EEEvSI_.num_agpr, 0
	.set _ZN7rocprim17ROCPRIM_400000_NS6detail17trampoline_kernelINS0_14default_configENS1_35radix_sort_onesweep_config_selectorIyyEEZZNS1_29radix_sort_onesweep_iterationIS3_Lb0EN6thrust23THRUST_200600_302600_NS6detail15normal_iteratorINS8_10device_ptrIyEEEESD_SD_SD_jNS0_19identity_decomposerENS1_16block_id_wrapperIjLb0EEEEE10hipError_tT1_PNSt15iterator_traitsISI_E10value_typeET2_T3_PNSJ_ISO_E10value_typeET4_T5_PST_SU_PNS1_23onesweep_lookback_stateEbbT6_jjT7_P12ihipStream_tbENKUlT_T0_SI_SN_E_clIPySD_S15_SD_EEDaS11_S12_SI_SN_EUlS11_E_NS1_11comp_targetILNS1_3genE5ELNS1_11target_archE942ELNS1_3gpuE9ELNS1_3repE0EEENS1_47radix_sort_onesweep_sort_config_static_selectorELNS0_4arch9wavefront6targetE1EEEvSI_.numbered_sgpr, 0
	.set _ZN7rocprim17ROCPRIM_400000_NS6detail17trampoline_kernelINS0_14default_configENS1_35radix_sort_onesweep_config_selectorIyyEEZZNS1_29radix_sort_onesweep_iterationIS3_Lb0EN6thrust23THRUST_200600_302600_NS6detail15normal_iteratorINS8_10device_ptrIyEEEESD_SD_SD_jNS0_19identity_decomposerENS1_16block_id_wrapperIjLb0EEEEE10hipError_tT1_PNSt15iterator_traitsISI_E10value_typeET2_T3_PNSJ_ISO_E10value_typeET4_T5_PST_SU_PNS1_23onesweep_lookback_stateEbbT6_jjT7_P12ihipStream_tbENKUlT_T0_SI_SN_E_clIPySD_S15_SD_EEDaS11_S12_SI_SN_EUlS11_E_NS1_11comp_targetILNS1_3genE5ELNS1_11target_archE942ELNS1_3gpuE9ELNS1_3repE0EEENS1_47radix_sort_onesweep_sort_config_static_selectorELNS0_4arch9wavefront6targetE1EEEvSI_.num_named_barrier, 0
	.set _ZN7rocprim17ROCPRIM_400000_NS6detail17trampoline_kernelINS0_14default_configENS1_35radix_sort_onesweep_config_selectorIyyEEZZNS1_29radix_sort_onesweep_iterationIS3_Lb0EN6thrust23THRUST_200600_302600_NS6detail15normal_iteratorINS8_10device_ptrIyEEEESD_SD_SD_jNS0_19identity_decomposerENS1_16block_id_wrapperIjLb0EEEEE10hipError_tT1_PNSt15iterator_traitsISI_E10value_typeET2_T3_PNSJ_ISO_E10value_typeET4_T5_PST_SU_PNS1_23onesweep_lookback_stateEbbT6_jjT7_P12ihipStream_tbENKUlT_T0_SI_SN_E_clIPySD_S15_SD_EEDaS11_S12_SI_SN_EUlS11_E_NS1_11comp_targetILNS1_3genE5ELNS1_11target_archE942ELNS1_3gpuE9ELNS1_3repE0EEENS1_47radix_sort_onesweep_sort_config_static_selectorELNS0_4arch9wavefront6targetE1EEEvSI_.private_seg_size, 0
	.set _ZN7rocprim17ROCPRIM_400000_NS6detail17trampoline_kernelINS0_14default_configENS1_35radix_sort_onesweep_config_selectorIyyEEZZNS1_29radix_sort_onesweep_iterationIS3_Lb0EN6thrust23THRUST_200600_302600_NS6detail15normal_iteratorINS8_10device_ptrIyEEEESD_SD_SD_jNS0_19identity_decomposerENS1_16block_id_wrapperIjLb0EEEEE10hipError_tT1_PNSt15iterator_traitsISI_E10value_typeET2_T3_PNSJ_ISO_E10value_typeET4_T5_PST_SU_PNS1_23onesweep_lookback_stateEbbT6_jjT7_P12ihipStream_tbENKUlT_T0_SI_SN_E_clIPySD_S15_SD_EEDaS11_S12_SI_SN_EUlS11_E_NS1_11comp_targetILNS1_3genE5ELNS1_11target_archE942ELNS1_3gpuE9ELNS1_3repE0EEENS1_47radix_sort_onesweep_sort_config_static_selectorELNS0_4arch9wavefront6targetE1EEEvSI_.uses_vcc, 0
	.set _ZN7rocprim17ROCPRIM_400000_NS6detail17trampoline_kernelINS0_14default_configENS1_35radix_sort_onesweep_config_selectorIyyEEZZNS1_29radix_sort_onesweep_iterationIS3_Lb0EN6thrust23THRUST_200600_302600_NS6detail15normal_iteratorINS8_10device_ptrIyEEEESD_SD_SD_jNS0_19identity_decomposerENS1_16block_id_wrapperIjLb0EEEEE10hipError_tT1_PNSt15iterator_traitsISI_E10value_typeET2_T3_PNSJ_ISO_E10value_typeET4_T5_PST_SU_PNS1_23onesweep_lookback_stateEbbT6_jjT7_P12ihipStream_tbENKUlT_T0_SI_SN_E_clIPySD_S15_SD_EEDaS11_S12_SI_SN_EUlS11_E_NS1_11comp_targetILNS1_3genE5ELNS1_11target_archE942ELNS1_3gpuE9ELNS1_3repE0EEENS1_47radix_sort_onesweep_sort_config_static_selectorELNS0_4arch9wavefront6targetE1EEEvSI_.uses_flat_scratch, 0
	.set _ZN7rocprim17ROCPRIM_400000_NS6detail17trampoline_kernelINS0_14default_configENS1_35radix_sort_onesweep_config_selectorIyyEEZZNS1_29radix_sort_onesweep_iterationIS3_Lb0EN6thrust23THRUST_200600_302600_NS6detail15normal_iteratorINS8_10device_ptrIyEEEESD_SD_SD_jNS0_19identity_decomposerENS1_16block_id_wrapperIjLb0EEEEE10hipError_tT1_PNSt15iterator_traitsISI_E10value_typeET2_T3_PNSJ_ISO_E10value_typeET4_T5_PST_SU_PNS1_23onesweep_lookback_stateEbbT6_jjT7_P12ihipStream_tbENKUlT_T0_SI_SN_E_clIPySD_S15_SD_EEDaS11_S12_SI_SN_EUlS11_E_NS1_11comp_targetILNS1_3genE5ELNS1_11target_archE942ELNS1_3gpuE9ELNS1_3repE0EEENS1_47radix_sort_onesweep_sort_config_static_selectorELNS0_4arch9wavefront6targetE1EEEvSI_.has_dyn_sized_stack, 0
	.set _ZN7rocprim17ROCPRIM_400000_NS6detail17trampoline_kernelINS0_14default_configENS1_35radix_sort_onesweep_config_selectorIyyEEZZNS1_29radix_sort_onesweep_iterationIS3_Lb0EN6thrust23THRUST_200600_302600_NS6detail15normal_iteratorINS8_10device_ptrIyEEEESD_SD_SD_jNS0_19identity_decomposerENS1_16block_id_wrapperIjLb0EEEEE10hipError_tT1_PNSt15iterator_traitsISI_E10value_typeET2_T3_PNSJ_ISO_E10value_typeET4_T5_PST_SU_PNS1_23onesweep_lookback_stateEbbT6_jjT7_P12ihipStream_tbENKUlT_T0_SI_SN_E_clIPySD_S15_SD_EEDaS11_S12_SI_SN_EUlS11_E_NS1_11comp_targetILNS1_3genE5ELNS1_11target_archE942ELNS1_3gpuE9ELNS1_3repE0EEENS1_47radix_sort_onesweep_sort_config_static_selectorELNS0_4arch9wavefront6targetE1EEEvSI_.has_recursion, 0
	.set _ZN7rocprim17ROCPRIM_400000_NS6detail17trampoline_kernelINS0_14default_configENS1_35radix_sort_onesweep_config_selectorIyyEEZZNS1_29radix_sort_onesweep_iterationIS3_Lb0EN6thrust23THRUST_200600_302600_NS6detail15normal_iteratorINS8_10device_ptrIyEEEESD_SD_SD_jNS0_19identity_decomposerENS1_16block_id_wrapperIjLb0EEEEE10hipError_tT1_PNSt15iterator_traitsISI_E10value_typeET2_T3_PNSJ_ISO_E10value_typeET4_T5_PST_SU_PNS1_23onesweep_lookback_stateEbbT6_jjT7_P12ihipStream_tbENKUlT_T0_SI_SN_E_clIPySD_S15_SD_EEDaS11_S12_SI_SN_EUlS11_E_NS1_11comp_targetILNS1_3genE5ELNS1_11target_archE942ELNS1_3gpuE9ELNS1_3repE0EEENS1_47radix_sort_onesweep_sort_config_static_selectorELNS0_4arch9wavefront6targetE1EEEvSI_.has_indirect_call, 0
	.section	.AMDGPU.csdata,"",@progbits
; Kernel info:
; codeLenInByte = 0
; TotalNumSgprs: 6
; NumVgprs: 0
; NumAgprs: 0
; TotalNumVgprs: 0
; ScratchSize: 0
; MemoryBound: 0
; FloatMode: 240
; IeeeMode: 1
; LDSByteSize: 0 bytes/workgroup (compile time only)
; SGPRBlocks: 0
; VGPRBlocks: 0
; NumSGPRsForWavesPerEU: 6
; NumVGPRsForWavesPerEU: 1
; AccumOffset: 4
; Occupancy: 8
; WaveLimiterHint : 0
; COMPUTE_PGM_RSRC2:SCRATCH_EN: 0
; COMPUTE_PGM_RSRC2:USER_SGPR: 2
; COMPUTE_PGM_RSRC2:TRAP_HANDLER: 0
; COMPUTE_PGM_RSRC2:TGID_X_EN: 1
; COMPUTE_PGM_RSRC2:TGID_Y_EN: 0
; COMPUTE_PGM_RSRC2:TGID_Z_EN: 0
; COMPUTE_PGM_RSRC2:TIDIG_COMP_CNT: 0
; COMPUTE_PGM_RSRC3_GFX90A:ACCUM_OFFSET: 0
; COMPUTE_PGM_RSRC3_GFX90A:TG_SPLIT: 0
	.section	.text._ZN7rocprim17ROCPRIM_400000_NS6detail17trampoline_kernelINS0_14default_configENS1_35radix_sort_onesweep_config_selectorIyyEEZZNS1_29radix_sort_onesweep_iterationIS3_Lb0EN6thrust23THRUST_200600_302600_NS6detail15normal_iteratorINS8_10device_ptrIyEEEESD_SD_SD_jNS0_19identity_decomposerENS1_16block_id_wrapperIjLb0EEEEE10hipError_tT1_PNSt15iterator_traitsISI_E10value_typeET2_T3_PNSJ_ISO_E10value_typeET4_T5_PST_SU_PNS1_23onesweep_lookback_stateEbbT6_jjT7_P12ihipStream_tbENKUlT_T0_SI_SN_E_clIPySD_S15_SD_EEDaS11_S12_SI_SN_EUlS11_E_NS1_11comp_targetILNS1_3genE2ELNS1_11target_archE906ELNS1_3gpuE6ELNS1_3repE0EEENS1_47radix_sort_onesweep_sort_config_static_selectorELNS0_4arch9wavefront6targetE1EEEvSI_,"axG",@progbits,_ZN7rocprim17ROCPRIM_400000_NS6detail17trampoline_kernelINS0_14default_configENS1_35radix_sort_onesweep_config_selectorIyyEEZZNS1_29radix_sort_onesweep_iterationIS3_Lb0EN6thrust23THRUST_200600_302600_NS6detail15normal_iteratorINS8_10device_ptrIyEEEESD_SD_SD_jNS0_19identity_decomposerENS1_16block_id_wrapperIjLb0EEEEE10hipError_tT1_PNSt15iterator_traitsISI_E10value_typeET2_T3_PNSJ_ISO_E10value_typeET4_T5_PST_SU_PNS1_23onesweep_lookback_stateEbbT6_jjT7_P12ihipStream_tbENKUlT_T0_SI_SN_E_clIPySD_S15_SD_EEDaS11_S12_SI_SN_EUlS11_E_NS1_11comp_targetILNS1_3genE2ELNS1_11target_archE906ELNS1_3gpuE6ELNS1_3repE0EEENS1_47radix_sort_onesweep_sort_config_static_selectorELNS0_4arch9wavefront6targetE1EEEvSI_,comdat
	.protected	_ZN7rocprim17ROCPRIM_400000_NS6detail17trampoline_kernelINS0_14default_configENS1_35radix_sort_onesweep_config_selectorIyyEEZZNS1_29radix_sort_onesweep_iterationIS3_Lb0EN6thrust23THRUST_200600_302600_NS6detail15normal_iteratorINS8_10device_ptrIyEEEESD_SD_SD_jNS0_19identity_decomposerENS1_16block_id_wrapperIjLb0EEEEE10hipError_tT1_PNSt15iterator_traitsISI_E10value_typeET2_T3_PNSJ_ISO_E10value_typeET4_T5_PST_SU_PNS1_23onesweep_lookback_stateEbbT6_jjT7_P12ihipStream_tbENKUlT_T0_SI_SN_E_clIPySD_S15_SD_EEDaS11_S12_SI_SN_EUlS11_E_NS1_11comp_targetILNS1_3genE2ELNS1_11target_archE906ELNS1_3gpuE6ELNS1_3repE0EEENS1_47radix_sort_onesweep_sort_config_static_selectorELNS0_4arch9wavefront6targetE1EEEvSI_ ; -- Begin function _ZN7rocprim17ROCPRIM_400000_NS6detail17trampoline_kernelINS0_14default_configENS1_35radix_sort_onesweep_config_selectorIyyEEZZNS1_29radix_sort_onesweep_iterationIS3_Lb0EN6thrust23THRUST_200600_302600_NS6detail15normal_iteratorINS8_10device_ptrIyEEEESD_SD_SD_jNS0_19identity_decomposerENS1_16block_id_wrapperIjLb0EEEEE10hipError_tT1_PNSt15iterator_traitsISI_E10value_typeET2_T3_PNSJ_ISO_E10value_typeET4_T5_PST_SU_PNS1_23onesweep_lookback_stateEbbT6_jjT7_P12ihipStream_tbENKUlT_T0_SI_SN_E_clIPySD_S15_SD_EEDaS11_S12_SI_SN_EUlS11_E_NS1_11comp_targetILNS1_3genE2ELNS1_11target_archE906ELNS1_3gpuE6ELNS1_3repE0EEENS1_47radix_sort_onesweep_sort_config_static_selectorELNS0_4arch9wavefront6targetE1EEEvSI_
	.globl	_ZN7rocprim17ROCPRIM_400000_NS6detail17trampoline_kernelINS0_14default_configENS1_35radix_sort_onesweep_config_selectorIyyEEZZNS1_29radix_sort_onesweep_iterationIS3_Lb0EN6thrust23THRUST_200600_302600_NS6detail15normal_iteratorINS8_10device_ptrIyEEEESD_SD_SD_jNS0_19identity_decomposerENS1_16block_id_wrapperIjLb0EEEEE10hipError_tT1_PNSt15iterator_traitsISI_E10value_typeET2_T3_PNSJ_ISO_E10value_typeET4_T5_PST_SU_PNS1_23onesweep_lookback_stateEbbT6_jjT7_P12ihipStream_tbENKUlT_T0_SI_SN_E_clIPySD_S15_SD_EEDaS11_S12_SI_SN_EUlS11_E_NS1_11comp_targetILNS1_3genE2ELNS1_11target_archE906ELNS1_3gpuE6ELNS1_3repE0EEENS1_47radix_sort_onesweep_sort_config_static_selectorELNS0_4arch9wavefront6targetE1EEEvSI_
	.p2align	8
	.type	_ZN7rocprim17ROCPRIM_400000_NS6detail17trampoline_kernelINS0_14default_configENS1_35radix_sort_onesweep_config_selectorIyyEEZZNS1_29radix_sort_onesweep_iterationIS3_Lb0EN6thrust23THRUST_200600_302600_NS6detail15normal_iteratorINS8_10device_ptrIyEEEESD_SD_SD_jNS0_19identity_decomposerENS1_16block_id_wrapperIjLb0EEEEE10hipError_tT1_PNSt15iterator_traitsISI_E10value_typeET2_T3_PNSJ_ISO_E10value_typeET4_T5_PST_SU_PNS1_23onesweep_lookback_stateEbbT6_jjT7_P12ihipStream_tbENKUlT_T0_SI_SN_E_clIPySD_S15_SD_EEDaS11_S12_SI_SN_EUlS11_E_NS1_11comp_targetILNS1_3genE2ELNS1_11target_archE906ELNS1_3gpuE6ELNS1_3repE0EEENS1_47radix_sort_onesweep_sort_config_static_selectorELNS0_4arch9wavefront6targetE1EEEvSI_,@function
_ZN7rocprim17ROCPRIM_400000_NS6detail17trampoline_kernelINS0_14default_configENS1_35radix_sort_onesweep_config_selectorIyyEEZZNS1_29radix_sort_onesweep_iterationIS3_Lb0EN6thrust23THRUST_200600_302600_NS6detail15normal_iteratorINS8_10device_ptrIyEEEESD_SD_SD_jNS0_19identity_decomposerENS1_16block_id_wrapperIjLb0EEEEE10hipError_tT1_PNSt15iterator_traitsISI_E10value_typeET2_T3_PNSJ_ISO_E10value_typeET4_T5_PST_SU_PNS1_23onesweep_lookback_stateEbbT6_jjT7_P12ihipStream_tbENKUlT_T0_SI_SN_E_clIPySD_S15_SD_EEDaS11_S12_SI_SN_EUlS11_E_NS1_11comp_targetILNS1_3genE2ELNS1_11target_archE906ELNS1_3gpuE6ELNS1_3repE0EEENS1_47radix_sort_onesweep_sort_config_static_selectorELNS0_4arch9wavefront6targetE1EEEvSI_: ; @_ZN7rocprim17ROCPRIM_400000_NS6detail17trampoline_kernelINS0_14default_configENS1_35radix_sort_onesweep_config_selectorIyyEEZZNS1_29radix_sort_onesweep_iterationIS3_Lb0EN6thrust23THRUST_200600_302600_NS6detail15normal_iteratorINS8_10device_ptrIyEEEESD_SD_SD_jNS0_19identity_decomposerENS1_16block_id_wrapperIjLb0EEEEE10hipError_tT1_PNSt15iterator_traitsISI_E10value_typeET2_T3_PNSJ_ISO_E10value_typeET4_T5_PST_SU_PNS1_23onesweep_lookback_stateEbbT6_jjT7_P12ihipStream_tbENKUlT_T0_SI_SN_E_clIPySD_S15_SD_EEDaS11_S12_SI_SN_EUlS11_E_NS1_11comp_targetILNS1_3genE2ELNS1_11target_archE906ELNS1_3gpuE6ELNS1_3repE0EEENS1_47radix_sort_onesweep_sort_config_static_selectorELNS0_4arch9wavefront6targetE1EEEvSI_
; %bb.0:
	.section	.rodata,"a",@progbits
	.p2align	6, 0x0
	.amdhsa_kernel _ZN7rocprim17ROCPRIM_400000_NS6detail17trampoline_kernelINS0_14default_configENS1_35radix_sort_onesweep_config_selectorIyyEEZZNS1_29radix_sort_onesweep_iterationIS3_Lb0EN6thrust23THRUST_200600_302600_NS6detail15normal_iteratorINS8_10device_ptrIyEEEESD_SD_SD_jNS0_19identity_decomposerENS1_16block_id_wrapperIjLb0EEEEE10hipError_tT1_PNSt15iterator_traitsISI_E10value_typeET2_T3_PNSJ_ISO_E10value_typeET4_T5_PST_SU_PNS1_23onesweep_lookback_stateEbbT6_jjT7_P12ihipStream_tbENKUlT_T0_SI_SN_E_clIPySD_S15_SD_EEDaS11_S12_SI_SN_EUlS11_E_NS1_11comp_targetILNS1_3genE2ELNS1_11target_archE906ELNS1_3gpuE6ELNS1_3repE0EEENS1_47radix_sort_onesweep_sort_config_static_selectorELNS0_4arch9wavefront6targetE1EEEvSI_
		.amdhsa_group_segment_fixed_size 0
		.amdhsa_private_segment_fixed_size 0
		.amdhsa_kernarg_size 88
		.amdhsa_user_sgpr_count 2
		.amdhsa_user_sgpr_dispatch_ptr 0
		.amdhsa_user_sgpr_queue_ptr 0
		.amdhsa_user_sgpr_kernarg_segment_ptr 1
		.amdhsa_user_sgpr_dispatch_id 0
		.amdhsa_user_sgpr_kernarg_preload_length 0
		.amdhsa_user_sgpr_kernarg_preload_offset 0
		.amdhsa_user_sgpr_private_segment_size 0
		.amdhsa_uses_dynamic_stack 0
		.amdhsa_enable_private_segment 0
		.amdhsa_system_sgpr_workgroup_id_x 1
		.amdhsa_system_sgpr_workgroup_id_y 0
		.amdhsa_system_sgpr_workgroup_id_z 0
		.amdhsa_system_sgpr_workgroup_info 0
		.amdhsa_system_vgpr_workitem_id 0
		.amdhsa_next_free_vgpr 1
		.amdhsa_next_free_sgpr 0
		.amdhsa_accum_offset 4
		.amdhsa_reserve_vcc 0
		.amdhsa_float_round_mode_32 0
		.amdhsa_float_round_mode_16_64 0
		.amdhsa_float_denorm_mode_32 3
		.amdhsa_float_denorm_mode_16_64 3
		.amdhsa_dx10_clamp 1
		.amdhsa_ieee_mode 1
		.amdhsa_fp16_overflow 0
		.amdhsa_tg_split 0
		.amdhsa_exception_fp_ieee_invalid_op 0
		.amdhsa_exception_fp_denorm_src 0
		.amdhsa_exception_fp_ieee_div_zero 0
		.amdhsa_exception_fp_ieee_overflow 0
		.amdhsa_exception_fp_ieee_underflow 0
		.amdhsa_exception_fp_ieee_inexact 0
		.amdhsa_exception_int_div_zero 0
	.end_amdhsa_kernel
	.section	.text._ZN7rocprim17ROCPRIM_400000_NS6detail17trampoline_kernelINS0_14default_configENS1_35radix_sort_onesweep_config_selectorIyyEEZZNS1_29radix_sort_onesweep_iterationIS3_Lb0EN6thrust23THRUST_200600_302600_NS6detail15normal_iteratorINS8_10device_ptrIyEEEESD_SD_SD_jNS0_19identity_decomposerENS1_16block_id_wrapperIjLb0EEEEE10hipError_tT1_PNSt15iterator_traitsISI_E10value_typeET2_T3_PNSJ_ISO_E10value_typeET4_T5_PST_SU_PNS1_23onesweep_lookback_stateEbbT6_jjT7_P12ihipStream_tbENKUlT_T0_SI_SN_E_clIPySD_S15_SD_EEDaS11_S12_SI_SN_EUlS11_E_NS1_11comp_targetILNS1_3genE2ELNS1_11target_archE906ELNS1_3gpuE6ELNS1_3repE0EEENS1_47radix_sort_onesweep_sort_config_static_selectorELNS0_4arch9wavefront6targetE1EEEvSI_,"axG",@progbits,_ZN7rocprim17ROCPRIM_400000_NS6detail17trampoline_kernelINS0_14default_configENS1_35radix_sort_onesweep_config_selectorIyyEEZZNS1_29radix_sort_onesweep_iterationIS3_Lb0EN6thrust23THRUST_200600_302600_NS6detail15normal_iteratorINS8_10device_ptrIyEEEESD_SD_SD_jNS0_19identity_decomposerENS1_16block_id_wrapperIjLb0EEEEE10hipError_tT1_PNSt15iterator_traitsISI_E10value_typeET2_T3_PNSJ_ISO_E10value_typeET4_T5_PST_SU_PNS1_23onesweep_lookback_stateEbbT6_jjT7_P12ihipStream_tbENKUlT_T0_SI_SN_E_clIPySD_S15_SD_EEDaS11_S12_SI_SN_EUlS11_E_NS1_11comp_targetILNS1_3genE2ELNS1_11target_archE906ELNS1_3gpuE6ELNS1_3repE0EEENS1_47radix_sort_onesweep_sort_config_static_selectorELNS0_4arch9wavefront6targetE1EEEvSI_,comdat
.Lfunc_end576:
	.size	_ZN7rocprim17ROCPRIM_400000_NS6detail17trampoline_kernelINS0_14default_configENS1_35radix_sort_onesweep_config_selectorIyyEEZZNS1_29radix_sort_onesweep_iterationIS3_Lb0EN6thrust23THRUST_200600_302600_NS6detail15normal_iteratorINS8_10device_ptrIyEEEESD_SD_SD_jNS0_19identity_decomposerENS1_16block_id_wrapperIjLb0EEEEE10hipError_tT1_PNSt15iterator_traitsISI_E10value_typeET2_T3_PNSJ_ISO_E10value_typeET4_T5_PST_SU_PNS1_23onesweep_lookback_stateEbbT6_jjT7_P12ihipStream_tbENKUlT_T0_SI_SN_E_clIPySD_S15_SD_EEDaS11_S12_SI_SN_EUlS11_E_NS1_11comp_targetILNS1_3genE2ELNS1_11target_archE906ELNS1_3gpuE6ELNS1_3repE0EEENS1_47radix_sort_onesweep_sort_config_static_selectorELNS0_4arch9wavefront6targetE1EEEvSI_, .Lfunc_end576-_ZN7rocprim17ROCPRIM_400000_NS6detail17trampoline_kernelINS0_14default_configENS1_35radix_sort_onesweep_config_selectorIyyEEZZNS1_29radix_sort_onesweep_iterationIS3_Lb0EN6thrust23THRUST_200600_302600_NS6detail15normal_iteratorINS8_10device_ptrIyEEEESD_SD_SD_jNS0_19identity_decomposerENS1_16block_id_wrapperIjLb0EEEEE10hipError_tT1_PNSt15iterator_traitsISI_E10value_typeET2_T3_PNSJ_ISO_E10value_typeET4_T5_PST_SU_PNS1_23onesweep_lookback_stateEbbT6_jjT7_P12ihipStream_tbENKUlT_T0_SI_SN_E_clIPySD_S15_SD_EEDaS11_S12_SI_SN_EUlS11_E_NS1_11comp_targetILNS1_3genE2ELNS1_11target_archE906ELNS1_3gpuE6ELNS1_3repE0EEENS1_47radix_sort_onesweep_sort_config_static_selectorELNS0_4arch9wavefront6targetE1EEEvSI_
                                        ; -- End function
	.set _ZN7rocprim17ROCPRIM_400000_NS6detail17trampoline_kernelINS0_14default_configENS1_35radix_sort_onesweep_config_selectorIyyEEZZNS1_29radix_sort_onesweep_iterationIS3_Lb0EN6thrust23THRUST_200600_302600_NS6detail15normal_iteratorINS8_10device_ptrIyEEEESD_SD_SD_jNS0_19identity_decomposerENS1_16block_id_wrapperIjLb0EEEEE10hipError_tT1_PNSt15iterator_traitsISI_E10value_typeET2_T3_PNSJ_ISO_E10value_typeET4_T5_PST_SU_PNS1_23onesweep_lookback_stateEbbT6_jjT7_P12ihipStream_tbENKUlT_T0_SI_SN_E_clIPySD_S15_SD_EEDaS11_S12_SI_SN_EUlS11_E_NS1_11comp_targetILNS1_3genE2ELNS1_11target_archE906ELNS1_3gpuE6ELNS1_3repE0EEENS1_47radix_sort_onesweep_sort_config_static_selectorELNS0_4arch9wavefront6targetE1EEEvSI_.num_vgpr, 0
	.set _ZN7rocprim17ROCPRIM_400000_NS6detail17trampoline_kernelINS0_14default_configENS1_35radix_sort_onesweep_config_selectorIyyEEZZNS1_29radix_sort_onesweep_iterationIS3_Lb0EN6thrust23THRUST_200600_302600_NS6detail15normal_iteratorINS8_10device_ptrIyEEEESD_SD_SD_jNS0_19identity_decomposerENS1_16block_id_wrapperIjLb0EEEEE10hipError_tT1_PNSt15iterator_traitsISI_E10value_typeET2_T3_PNSJ_ISO_E10value_typeET4_T5_PST_SU_PNS1_23onesweep_lookback_stateEbbT6_jjT7_P12ihipStream_tbENKUlT_T0_SI_SN_E_clIPySD_S15_SD_EEDaS11_S12_SI_SN_EUlS11_E_NS1_11comp_targetILNS1_3genE2ELNS1_11target_archE906ELNS1_3gpuE6ELNS1_3repE0EEENS1_47radix_sort_onesweep_sort_config_static_selectorELNS0_4arch9wavefront6targetE1EEEvSI_.num_agpr, 0
	.set _ZN7rocprim17ROCPRIM_400000_NS6detail17trampoline_kernelINS0_14default_configENS1_35radix_sort_onesweep_config_selectorIyyEEZZNS1_29radix_sort_onesweep_iterationIS3_Lb0EN6thrust23THRUST_200600_302600_NS6detail15normal_iteratorINS8_10device_ptrIyEEEESD_SD_SD_jNS0_19identity_decomposerENS1_16block_id_wrapperIjLb0EEEEE10hipError_tT1_PNSt15iterator_traitsISI_E10value_typeET2_T3_PNSJ_ISO_E10value_typeET4_T5_PST_SU_PNS1_23onesweep_lookback_stateEbbT6_jjT7_P12ihipStream_tbENKUlT_T0_SI_SN_E_clIPySD_S15_SD_EEDaS11_S12_SI_SN_EUlS11_E_NS1_11comp_targetILNS1_3genE2ELNS1_11target_archE906ELNS1_3gpuE6ELNS1_3repE0EEENS1_47radix_sort_onesweep_sort_config_static_selectorELNS0_4arch9wavefront6targetE1EEEvSI_.numbered_sgpr, 0
	.set _ZN7rocprim17ROCPRIM_400000_NS6detail17trampoline_kernelINS0_14default_configENS1_35radix_sort_onesweep_config_selectorIyyEEZZNS1_29radix_sort_onesweep_iterationIS3_Lb0EN6thrust23THRUST_200600_302600_NS6detail15normal_iteratorINS8_10device_ptrIyEEEESD_SD_SD_jNS0_19identity_decomposerENS1_16block_id_wrapperIjLb0EEEEE10hipError_tT1_PNSt15iterator_traitsISI_E10value_typeET2_T3_PNSJ_ISO_E10value_typeET4_T5_PST_SU_PNS1_23onesweep_lookback_stateEbbT6_jjT7_P12ihipStream_tbENKUlT_T0_SI_SN_E_clIPySD_S15_SD_EEDaS11_S12_SI_SN_EUlS11_E_NS1_11comp_targetILNS1_3genE2ELNS1_11target_archE906ELNS1_3gpuE6ELNS1_3repE0EEENS1_47radix_sort_onesweep_sort_config_static_selectorELNS0_4arch9wavefront6targetE1EEEvSI_.num_named_barrier, 0
	.set _ZN7rocprim17ROCPRIM_400000_NS6detail17trampoline_kernelINS0_14default_configENS1_35radix_sort_onesweep_config_selectorIyyEEZZNS1_29radix_sort_onesweep_iterationIS3_Lb0EN6thrust23THRUST_200600_302600_NS6detail15normal_iteratorINS8_10device_ptrIyEEEESD_SD_SD_jNS0_19identity_decomposerENS1_16block_id_wrapperIjLb0EEEEE10hipError_tT1_PNSt15iterator_traitsISI_E10value_typeET2_T3_PNSJ_ISO_E10value_typeET4_T5_PST_SU_PNS1_23onesweep_lookback_stateEbbT6_jjT7_P12ihipStream_tbENKUlT_T0_SI_SN_E_clIPySD_S15_SD_EEDaS11_S12_SI_SN_EUlS11_E_NS1_11comp_targetILNS1_3genE2ELNS1_11target_archE906ELNS1_3gpuE6ELNS1_3repE0EEENS1_47radix_sort_onesweep_sort_config_static_selectorELNS0_4arch9wavefront6targetE1EEEvSI_.private_seg_size, 0
	.set _ZN7rocprim17ROCPRIM_400000_NS6detail17trampoline_kernelINS0_14default_configENS1_35radix_sort_onesweep_config_selectorIyyEEZZNS1_29radix_sort_onesweep_iterationIS3_Lb0EN6thrust23THRUST_200600_302600_NS6detail15normal_iteratorINS8_10device_ptrIyEEEESD_SD_SD_jNS0_19identity_decomposerENS1_16block_id_wrapperIjLb0EEEEE10hipError_tT1_PNSt15iterator_traitsISI_E10value_typeET2_T3_PNSJ_ISO_E10value_typeET4_T5_PST_SU_PNS1_23onesweep_lookback_stateEbbT6_jjT7_P12ihipStream_tbENKUlT_T0_SI_SN_E_clIPySD_S15_SD_EEDaS11_S12_SI_SN_EUlS11_E_NS1_11comp_targetILNS1_3genE2ELNS1_11target_archE906ELNS1_3gpuE6ELNS1_3repE0EEENS1_47radix_sort_onesweep_sort_config_static_selectorELNS0_4arch9wavefront6targetE1EEEvSI_.uses_vcc, 0
	.set _ZN7rocprim17ROCPRIM_400000_NS6detail17trampoline_kernelINS0_14default_configENS1_35radix_sort_onesweep_config_selectorIyyEEZZNS1_29radix_sort_onesweep_iterationIS3_Lb0EN6thrust23THRUST_200600_302600_NS6detail15normal_iteratorINS8_10device_ptrIyEEEESD_SD_SD_jNS0_19identity_decomposerENS1_16block_id_wrapperIjLb0EEEEE10hipError_tT1_PNSt15iterator_traitsISI_E10value_typeET2_T3_PNSJ_ISO_E10value_typeET4_T5_PST_SU_PNS1_23onesweep_lookback_stateEbbT6_jjT7_P12ihipStream_tbENKUlT_T0_SI_SN_E_clIPySD_S15_SD_EEDaS11_S12_SI_SN_EUlS11_E_NS1_11comp_targetILNS1_3genE2ELNS1_11target_archE906ELNS1_3gpuE6ELNS1_3repE0EEENS1_47radix_sort_onesweep_sort_config_static_selectorELNS0_4arch9wavefront6targetE1EEEvSI_.uses_flat_scratch, 0
	.set _ZN7rocprim17ROCPRIM_400000_NS6detail17trampoline_kernelINS0_14default_configENS1_35radix_sort_onesweep_config_selectorIyyEEZZNS1_29radix_sort_onesweep_iterationIS3_Lb0EN6thrust23THRUST_200600_302600_NS6detail15normal_iteratorINS8_10device_ptrIyEEEESD_SD_SD_jNS0_19identity_decomposerENS1_16block_id_wrapperIjLb0EEEEE10hipError_tT1_PNSt15iterator_traitsISI_E10value_typeET2_T3_PNSJ_ISO_E10value_typeET4_T5_PST_SU_PNS1_23onesweep_lookback_stateEbbT6_jjT7_P12ihipStream_tbENKUlT_T0_SI_SN_E_clIPySD_S15_SD_EEDaS11_S12_SI_SN_EUlS11_E_NS1_11comp_targetILNS1_3genE2ELNS1_11target_archE906ELNS1_3gpuE6ELNS1_3repE0EEENS1_47radix_sort_onesweep_sort_config_static_selectorELNS0_4arch9wavefront6targetE1EEEvSI_.has_dyn_sized_stack, 0
	.set _ZN7rocprim17ROCPRIM_400000_NS6detail17trampoline_kernelINS0_14default_configENS1_35radix_sort_onesweep_config_selectorIyyEEZZNS1_29radix_sort_onesweep_iterationIS3_Lb0EN6thrust23THRUST_200600_302600_NS6detail15normal_iteratorINS8_10device_ptrIyEEEESD_SD_SD_jNS0_19identity_decomposerENS1_16block_id_wrapperIjLb0EEEEE10hipError_tT1_PNSt15iterator_traitsISI_E10value_typeET2_T3_PNSJ_ISO_E10value_typeET4_T5_PST_SU_PNS1_23onesweep_lookback_stateEbbT6_jjT7_P12ihipStream_tbENKUlT_T0_SI_SN_E_clIPySD_S15_SD_EEDaS11_S12_SI_SN_EUlS11_E_NS1_11comp_targetILNS1_3genE2ELNS1_11target_archE906ELNS1_3gpuE6ELNS1_3repE0EEENS1_47radix_sort_onesweep_sort_config_static_selectorELNS0_4arch9wavefront6targetE1EEEvSI_.has_recursion, 0
	.set _ZN7rocprim17ROCPRIM_400000_NS6detail17trampoline_kernelINS0_14default_configENS1_35radix_sort_onesweep_config_selectorIyyEEZZNS1_29radix_sort_onesweep_iterationIS3_Lb0EN6thrust23THRUST_200600_302600_NS6detail15normal_iteratorINS8_10device_ptrIyEEEESD_SD_SD_jNS0_19identity_decomposerENS1_16block_id_wrapperIjLb0EEEEE10hipError_tT1_PNSt15iterator_traitsISI_E10value_typeET2_T3_PNSJ_ISO_E10value_typeET4_T5_PST_SU_PNS1_23onesweep_lookback_stateEbbT6_jjT7_P12ihipStream_tbENKUlT_T0_SI_SN_E_clIPySD_S15_SD_EEDaS11_S12_SI_SN_EUlS11_E_NS1_11comp_targetILNS1_3genE2ELNS1_11target_archE906ELNS1_3gpuE6ELNS1_3repE0EEENS1_47radix_sort_onesweep_sort_config_static_selectorELNS0_4arch9wavefront6targetE1EEEvSI_.has_indirect_call, 0
	.section	.AMDGPU.csdata,"",@progbits
; Kernel info:
; codeLenInByte = 0
; TotalNumSgprs: 6
; NumVgprs: 0
; NumAgprs: 0
; TotalNumVgprs: 0
; ScratchSize: 0
; MemoryBound: 0
; FloatMode: 240
; IeeeMode: 1
; LDSByteSize: 0 bytes/workgroup (compile time only)
; SGPRBlocks: 0
; VGPRBlocks: 0
; NumSGPRsForWavesPerEU: 6
; NumVGPRsForWavesPerEU: 1
; AccumOffset: 4
; Occupancy: 8
; WaveLimiterHint : 0
; COMPUTE_PGM_RSRC2:SCRATCH_EN: 0
; COMPUTE_PGM_RSRC2:USER_SGPR: 2
; COMPUTE_PGM_RSRC2:TRAP_HANDLER: 0
; COMPUTE_PGM_RSRC2:TGID_X_EN: 1
; COMPUTE_PGM_RSRC2:TGID_Y_EN: 0
; COMPUTE_PGM_RSRC2:TGID_Z_EN: 0
; COMPUTE_PGM_RSRC2:TIDIG_COMP_CNT: 0
; COMPUTE_PGM_RSRC3_GFX90A:ACCUM_OFFSET: 0
; COMPUTE_PGM_RSRC3_GFX90A:TG_SPLIT: 0
	.section	.text._ZN7rocprim17ROCPRIM_400000_NS6detail17trampoline_kernelINS0_14default_configENS1_35radix_sort_onesweep_config_selectorIyyEEZZNS1_29radix_sort_onesweep_iterationIS3_Lb0EN6thrust23THRUST_200600_302600_NS6detail15normal_iteratorINS8_10device_ptrIyEEEESD_SD_SD_jNS0_19identity_decomposerENS1_16block_id_wrapperIjLb0EEEEE10hipError_tT1_PNSt15iterator_traitsISI_E10value_typeET2_T3_PNSJ_ISO_E10value_typeET4_T5_PST_SU_PNS1_23onesweep_lookback_stateEbbT6_jjT7_P12ihipStream_tbENKUlT_T0_SI_SN_E_clIPySD_S15_SD_EEDaS11_S12_SI_SN_EUlS11_E_NS1_11comp_targetILNS1_3genE4ELNS1_11target_archE910ELNS1_3gpuE8ELNS1_3repE0EEENS1_47radix_sort_onesweep_sort_config_static_selectorELNS0_4arch9wavefront6targetE1EEEvSI_,"axG",@progbits,_ZN7rocprim17ROCPRIM_400000_NS6detail17trampoline_kernelINS0_14default_configENS1_35radix_sort_onesweep_config_selectorIyyEEZZNS1_29radix_sort_onesweep_iterationIS3_Lb0EN6thrust23THRUST_200600_302600_NS6detail15normal_iteratorINS8_10device_ptrIyEEEESD_SD_SD_jNS0_19identity_decomposerENS1_16block_id_wrapperIjLb0EEEEE10hipError_tT1_PNSt15iterator_traitsISI_E10value_typeET2_T3_PNSJ_ISO_E10value_typeET4_T5_PST_SU_PNS1_23onesweep_lookback_stateEbbT6_jjT7_P12ihipStream_tbENKUlT_T0_SI_SN_E_clIPySD_S15_SD_EEDaS11_S12_SI_SN_EUlS11_E_NS1_11comp_targetILNS1_3genE4ELNS1_11target_archE910ELNS1_3gpuE8ELNS1_3repE0EEENS1_47radix_sort_onesweep_sort_config_static_selectorELNS0_4arch9wavefront6targetE1EEEvSI_,comdat
	.protected	_ZN7rocprim17ROCPRIM_400000_NS6detail17trampoline_kernelINS0_14default_configENS1_35radix_sort_onesweep_config_selectorIyyEEZZNS1_29radix_sort_onesweep_iterationIS3_Lb0EN6thrust23THRUST_200600_302600_NS6detail15normal_iteratorINS8_10device_ptrIyEEEESD_SD_SD_jNS0_19identity_decomposerENS1_16block_id_wrapperIjLb0EEEEE10hipError_tT1_PNSt15iterator_traitsISI_E10value_typeET2_T3_PNSJ_ISO_E10value_typeET4_T5_PST_SU_PNS1_23onesweep_lookback_stateEbbT6_jjT7_P12ihipStream_tbENKUlT_T0_SI_SN_E_clIPySD_S15_SD_EEDaS11_S12_SI_SN_EUlS11_E_NS1_11comp_targetILNS1_3genE4ELNS1_11target_archE910ELNS1_3gpuE8ELNS1_3repE0EEENS1_47radix_sort_onesweep_sort_config_static_selectorELNS0_4arch9wavefront6targetE1EEEvSI_ ; -- Begin function _ZN7rocprim17ROCPRIM_400000_NS6detail17trampoline_kernelINS0_14default_configENS1_35radix_sort_onesweep_config_selectorIyyEEZZNS1_29radix_sort_onesweep_iterationIS3_Lb0EN6thrust23THRUST_200600_302600_NS6detail15normal_iteratorINS8_10device_ptrIyEEEESD_SD_SD_jNS0_19identity_decomposerENS1_16block_id_wrapperIjLb0EEEEE10hipError_tT1_PNSt15iterator_traitsISI_E10value_typeET2_T3_PNSJ_ISO_E10value_typeET4_T5_PST_SU_PNS1_23onesweep_lookback_stateEbbT6_jjT7_P12ihipStream_tbENKUlT_T0_SI_SN_E_clIPySD_S15_SD_EEDaS11_S12_SI_SN_EUlS11_E_NS1_11comp_targetILNS1_3genE4ELNS1_11target_archE910ELNS1_3gpuE8ELNS1_3repE0EEENS1_47radix_sort_onesweep_sort_config_static_selectorELNS0_4arch9wavefront6targetE1EEEvSI_
	.globl	_ZN7rocprim17ROCPRIM_400000_NS6detail17trampoline_kernelINS0_14default_configENS1_35radix_sort_onesweep_config_selectorIyyEEZZNS1_29radix_sort_onesweep_iterationIS3_Lb0EN6thrust23THRUST_200600_302600_NS6detail15normal_iteratorINS8_10device_ptrIyEEEESD_SD_SD_jNS0_19identity_decomposerENS1_16block_id_wrapperIjLb0EEEEE10hipError_tT1_PNSt15iterator_traitsISI_E10value_typeET2_T3_PNSJ_ISO_E10value_typeET4_T5_PST_SU_PNS1_23onesweep_lookback_stateEbbT6_jjT7_P12ihipStream_tbENKUlT_T0_SI_SN_E_clIPySD_S15_SD_EEDaS11_S12_SI_SN_EUlS11_E_NS1_11comp_targetILNS1_3genE4ELNS1_11target_archE910ELNS1_3gpuE8ELNS1_3repE0EEENS1_47radix_sort_onesweep_sort_config_static_selectorELNS0_4arch9wavefront6targetE1EEEvSI_
	.p2align	8
	.type	_ZN7rocprim17ROCPRIM_400000_NS6detail17trampoline_kernelINS0_14default_configENS1_35radix_sort_onesweep_config_selectorIyyEEZZNS1_29radix_sort_onesweep_iterationIS3_Lb0EN6thrust23THRUST_200600_302600_NS6detail15normal_iteratorINS8_10device_ptrIyEEEESD_SD_SD_jNS0_19identity_decomposerENS1_16block_id_wrapperIjLb0EEEEE10hipError_tT1_PNSt15iterator_traitsISI_E10value_typeET2_T3_PNSJ_ISO_E10value_typeET4_T5_PST_SU_PNS1_23onesweep_lookback_stateEbbT6_jjT7_P12ihipStream_tbENKUlT_T0_SI_SN_E_clIPySD_S15_SD_EEDaS11_S12_SI_SN_EUlS11_E_NS1_11comp_targetILNS1_3genE4ELNS1_11target_archE910ELNS1_3gpuE8ELNS1_3repE0EEENS1_47radix_sort_onesweep_sort_config_static_selectorELNS0_4arch9wavefront6targetE1EEEvSI_,@function
_ZN7rocprim17ROCPRIM_400000_NS6detail17trampoline_kernelINS0_14default_configENS1_35radix_sort_onesweep_config_selectorIyyEEZZNS1_29radix_sort_onesweep_iterationIS3_Lb0EN6thrust23THRUST_200600_302600_NS6detail15normal_iteratorINS8_10device_ptrIyEEEESD_SD_SD_jNS0_19identity_decomposerENS1_16block_id_wrapperIjLb0EEEEE10hipError_tT1_PNSt15iterator_traitsISI_E10value_typeET2_T3_PNSJ_ISO_E10value_typeET4_T5_PST_SU_PNS1_23onesweep_lookback_stateEbbT6_jjT7_P12ihipStream_tbENKUlT_T0_SI_SN_E_clIPySD_S15_SD_EEDaS11_S12_SI_SN_EUlS11_E_NS1_11comp_targetILNS1_3genE4ELNS1_11target_archE910ELNS1_3gpuE8ELNS1_3repE0EEENS1_47radix_sort_onesweep_sort_config_static_selectorELNS0_4arch9wavefront6targetE1EEEvSI_: ; @_ZN7rocprim17ROCPRIM_400000_NS6detail17trampoline_kernelINS0_14default_configENS1_35radix_sort_onesweep_config_selectorIyyEEZZNS1_29radix_sort_onesweep_iterationIS3_Lb0EN6thrust23THRUST_200600_302600_NS6detail15normal_iteratorINS8_10device_ptrIyEEEESD_SD_SD_jNS0_19identity_decomposerENS1_16block_id_wrapperIjLb0EEEEE10hipError_tT1_PNSt15iterator_traitsISI_E10value_typeET2_T3_PNSJ_ISO_E10value_typeET4_T5_PST_SU_PNS1_23onesweep_lookback_stateEbbT6_jjT7_P12ihipStream_tbENKUlT_T0_SI_SN_E_clIPySD_S15_SD_EEDaS11_S12_SI_SN_EUlS11_E_NS1_11comp_targetILNS1_3genE4ELNS1_11target_archE910ELNS1_3gpuE8ELNS1_3repE0EEENS1_47radix_sort_onesweep_sort_config_static_selectorELNS0_4arch9wavefront6targetE1EEEvSI_
; %bb.0:
	.section	.rodata,"a",@progbits
	.p2align	6, 0x0
	.amdhsa_kernel _ZN7rocprim17ROCPRIM_400000_NS6detail17trampoline_kernelINS0_14default_configENS1_35radix_sort_onesweep_config_selectorIyyEEZZNS1_29radix_sort_onesweep_iterationIS3_Lb0EN6thrust23THRUST_200600_302600_NS6detail15normal_iteratorINS8_10device_ptrIyEEEESD_SD_SD_jNS0_19identity_decomposerENS1_16block_id_wrapperIjLb0EEEEE10hipError_tT1_PNSt15iterator_traitsISI_E10value_typeET2_T3_PNSJ_ISO_E10value_typeET4_T5_PST_SU_PNS1_23onesweep_lookback_stateEbbT6_jjT7_P12ihipStream_tbENKUlT_T0_SI_SN_E_clIPySD_S15_SD_EEDaS11_S12_SI_SN_EUlS11_E_NS1_11comp_targetILNS1_3genE4ELNS1_11target_archE910ELNS1_3gpuE8ELNS1_3repE0EEENS1_47radix_sort_onesweep_sort_config_static_selectorELNS0_4arch9wavefront6targetE1EEEvSI_
		.amdhsa_group_segment_fixed_size 0
		.amdhsa_private_segment_fixed_size 0
		.amdhsa_kernarg_size 88
		.amdhsa_user_sgpr_count 2
		.amdhsa_user_sgpr_dispatch_ptr 0
		.amdhsa_user_sgpr_queue_ptr 0
		.amdhsa_user_sgpr_kernarg_segment_ptr 1
		.amdhsa_user_sgpr_dispatch_id 0
		.amdhsa_user_sgpr_kernarg_preload_length 0
		.amdhsa_user_sgpr_kernarg_preload_offset 0
		.amdhsa_user_sgpr_private_segment_size 0
		.amdhsa_uses_dynamic_stack 0
		.amdhsa_enable_private_segment 0
		.amdhsa_system_sgpr_workgroup_id_x 1
		.amdhsa_system_sgpr_workgroup_id_y 0
		.amdhsa_system_sgpr_workgroup_id_z 0
		.amdhsa_system_sgpr_workgroup_info 0
		.amdhsa_system_vgpr_workitem_id 0
		.amdhsa_next_free_vgpr 1
		.amdhsa_next_free_sgpr 0
		.amdhsa_accum_offset 4
		.amdhsa_reserve_vcc 0
		.amdhsa_float_round_mode_32 0
		.amdhsa_float_round_mode_16_64 0
		.amdhsa_float_denorm_mode_32 3
		.amdhsa_float_denorm_mode_16_64 3
		.amdhsa_dx10_clamp 1
		.amdhsa_ieee_mode 1
		.amdhsa_fp16_overflow 0
		.amdhsa_tg_split 0
		.amdhsa_exception_fp_ieee_invalid_op 0
		.amdhsa_exception_fp_denorm_src 0
		.amdhsa_exception_fp_ieee_div_zero 0
		.amdhsa_exception_fp_ieee_overflow 0
		.amdhsa_exception_fp_ieee_underflow 0
		.amdhsa_exception_fp_ieee_inexact 0
		.amdhsa_exception_int_div_zero 0
	.end_amdhsa_kernel
	.section	.text._ZN7rocprim17ROCPRIM_400000_NS6detail17trampoline_kernelINS0_14default_configENS1_35radix_sort_onesweep_config_selectorIyyEEZZNS1_29radix_sort_onesweep_iterationIS3_Lb0EN6thrust23THRUST_200600_302600_NS6detail15normal_iteratorINS8_10device_ptrIyEEEESD_SD_SD_jNS0_19identity_decomposerENS1_16block_id_wrapperIjLb0EEEEE10hipError_tT1_PNSt15iterator_traitsISI_E10value_typeET2_T3_PNSJ_ISO_E10value_typeET4_T5_PST_SU_PNS1_23onesweep_lookback_stateEbbT6_jjT7_P12ihipStream_tbENKUlT_T0_SI_SN_E_clIPySD_S15_SD_EEDaS11_S12_SI_SN_EUlS11_E_NS1_11comp_targetILNS1_3genE4ELNS1_11target_archE910ELNS1_3gpuE8ELNS1_3repE0EEENS1_47radix_sort_onesweep_sort_config_static_selectorELNS0_4arch9wavefront6targetE1EEEvSI_,"axG",@progbits,_ZN7rocprim17ROCPRIM_400000_NS6detail17trampoline_kernelINS0_14default_configENS1_35radix_sort_onesweep_config_selectorIyyEEZZNS1_29radix_sort_onesweep_iterationIS3_Lb0EN6thrust23THRUST_200600_302600_NS6detail15normal_iteratorINS8_10device_ptrIyEEEESD_SD_SD_jNS0_19identity_decomposerENS1_16block_id_wrapperIjLb0EEEEE10hipError_tT1_PNSt15iterator_traitsISI_E10value_typeET2_T3_PNSJ_ISO_E10value_typeET4_T5_PST_SU_PNS1_23onesweep_lookback_stateEbbT6_jjT7_P12ihipStream_tbENKUlT_T0_SI_SN_E_clIPySD_S15_SD_EEDaS11_S12_SI_SN_EUlS11_E_NS1_11comp_targetILNS1_3genE4ELNS1_11target_archE910ELNS1_3gpuE8ELNS1_3repE0EEENS1_47radix_sort_onesweep_sort_config_static_selectorELNS0_4arch9wavefront6targetE1EEEvSI_,comdat
.Lfunc_end577:
	.size	_ZN7rocprim17ROCPRIM_400000_NS6detail17trampoline_kernelINS0_14default_configENS1_35radix_sort_onesweep_config_selectorIyyEEZZNS1_29radix_sort_onesweep_iterationIS3_Lb0EN6thrust23THRUST_200600_302600_NS6detail15normal_iteratorINS8_10device_ptrIyEEEESD_SD_SD_jNS0_19identity_decomposerENS1_16block_id_wrapperIjLb0EEEEE10hipError_tT1_PNSt15iterator_traitsISI_E10value_typeET2_T3_PNSJ_ISO_E10value_typeET4_T5_PST_SU_PNS1_23onesweep_lookback_stateEbbT6_jjT7_P12ihipStream_tbENKUlT_T0_SI_SN_E_clIPySD_S15_SD_EEDaS11_S12_SI_SN_EUlS11_E_NS1_11comp_targetILNS1_3genE4ELNS1_11target_archE910ELNS1_3gpuE8ELNS1_3repE0EEENS1_47radix_sort_onesweep_sort_config_static_selectorELNS0_4arch9wavefront6targetE1EEEvSI_, .Lfunc_end577-_ZN7rocprim17ROCPRIM_400000_NS6detail17trampoline_kernelINS0_14default_configENS1_35radix_sort_onesweep_config_selectorIyyEEZZNS1_29radix_sort_onesweep_iterationIS3_Lb0EN6thrust23THRUST_200600_302600_NS6detail15normal_iteratorINS8_10device_ptrIyEEEESD_SD_SD_jNS0_19identity_decomposerENS1_16block_id_wrapperIjLb0EEEEE10hipError_tT1_PNSt15iterator_traitsISI_E10value_typeET2_T3_PNSJ_ISO_E10value_typeET4_T5_PST_SU_PNS1_23onesweep_lookback_stateEbbT6_jjT7_P12ihipStream_tbENKUlT_T0_SI_SN_E_clIPySD_S15_SD_EEDaS11_S12_SI_SN_EUlS11_E_NS1_11comp_targetILNS1_3genE4ELNS1_11target_archE910ELNS1_3gpuE8ELNS1_3repE0EEENS1_47radix_sort_onesweep_sort_config_static_selectorELNS0_4arch9wavefront6targetE1EEEvSI_
                                        ; -- End function
	.set _ZN7rocprim17ROCPRIM_400000_NS6detail17trampoline_kernelINS0_14default_configENS1_35radix_sort_onesweep_config_selectorIyyEEZZNS1_29radix_sort_onesweep_iterationIS3_Lb0EN6thrust23THRUST_200600_302600_NS6detail15normal_iteratorINS8_10device_ptrIyEEEESD_SD_SD_jNS0_19identity_decomposerENS1_16block_id_wrapperIjLb0EEEEE10hipError_tT1_PNSt15iterator_traitsISI_E10value_typeET2_T3_PNSJ_ISO_E10value_typeET4_T5_PST_SU_PNS1_23onesweep_lookback_stateEbbT6_jjT7_P12ihipStream_tbENKUlT_T0_SI_SN_E_clIPySD_S15_SD_EEDaS11_S12_SI_SN_EUlS11_E_NS1_11comp_targetILNS1_3genE4ELNS1_11target_archE910ELNS1_3gpuE8ELNS1_3repE0EEENS1_47radix_sort_onesweep_sort_config_static_selectorELNS0_4arch9wavefront6targetE1EEEvSI_.num_vgpr, 0
	.set _ZN7rocprim17ROCPRIM_400000_NS6detail17trampoline_kernelINS0_14default_configENS1_35radix_sort_onesweep_config_selectorIyyEEZZNS1_29radix_sort_onesweep_iterationIS3_Lb0EN6thrust23THRUST_200600_302600_NS6detail15normal_iteratorINS8_10device_ptrIyEEEESD_SD_SD_jNS0_19identity_decomposerENS1_16block_id_wrapperIjLb0EEEEE10hipError_tT1_PNSt15iterator_traitsISI_E10value_typeET2_T3_PNSJ_ISO_E10value_typeET4_T5_PST_SU_PNS1_23onesweep_lookback_stateEbbT6_jjT7_P12ihipStream_tbENKUlT_T0_SI_SN_E_clIPySD_S15_SD_EEDaS11_S12_SI_SN_EUlS11_E_NS1_11comp_targetILNS1_3genE4ELNS1_11target_archE910ELNS1_3gpuE8ELNS1_3repE0EEENS1_47radix_sort_onesweep_sort_config_static_selectorELNS0_4arch9wavefront6targetE1EEEvSI_.num_agpr, 0
	.set _ZN7rocprim17ROCPRIM_400000_NS6detail17trampoline_kernelINS0_14default_configENS1_35radix_sort_onesweep_config_selectorIyyEEZZNS1_29radix_sort_onesweep_iterationIS3_Lb0EN6thrust23THRUST_200600_302600_NS6detail15normal_iteratorINS8_10device_ptrIyEEEESD_SD_SD_jNS0_19identity_decomposerENS1_16block_id_wrapperIjLb0EEEEE10hipError_tT1_PNSt15iterator_traitsISI_E10value_typeET2_T3_PNSJ_ISO_E10value_typeET4_T5_PST_SU_PNS1_23onesweep_lookback_stateEbbT6_jjT7_P12ihipStream_tbENKUlT_T0_SI_SN_E_clIPySD_S15_SD_EEDaS11_S12_SI_SN_EUlS11_E_NS1_11comp_targetILNS1_3genE4ELNS1_11target_archE910ELNS1_3gpuE8ELNS1_3repE0EEENS1_47radix_sort_onesweep_sort_config_static_selectorELNS0_4arch9wavefront6targetE1EEEvSI_.numbered_sgpr, 0
	.set _ZN7rocprim17ROCPRIM_400000_NS6detail17trampoline_kernelINS0_14default_configENS1_35radix_sort_onesweep_config_selectorIyyEEZZNS1_29radix_sort_onesweep_iterationIS3_Lb0EN6thrust23THRUST_200600_302600_NS6detail15normal_iteratorINS8_10device_ptrIyEEEESD_SD_SD_jNS0_19identity_decomposerENS1_16block_id_wrapperIjLb0EEEEE10hipError_tT1_PNSt15iterator_traitsISI_E10value_typeET2_T3_PNSJ_ISO_E10value_typeET4_T5_PST_SU_PNS1_23onesweep_lookback_stateEbbT6_jjT7_P12ihipStream_tbENKUlT_T0_SI_SN_E_clIPySD_S15_SD_EEDaS11_S12_SI_SN_EUlS11_E_NS1_11comp_targetILNS1_3genE4ELNS1_11target_archE910ELNS1_3gpuE8ELNS1_3repE0EEENS1_47radix_sort_onesweep_sort_config_static_selectorELNS0_4arch9wavefront6targetE1EEEvSI_.num_named_barrier, 0
	.set _ZN7rocprim17ROCPRIM_400000_NS6detail17trampoline_kernelINS0_14default_configENS1_35radix_sort_onesweep_config_selectorIyyEEZZNS1_29radix_sort_onesweep_iterationIS3_Lb0EN6thrust23THRUST_200600_302600_NS6detail15normal_iteratorINS8_10device_ptrIyEEEESD_SD_SD_jNS0_19identity_decomposerENS1_16block_id_wrapperIjLb0EEEEE10hipError_tT1_PNSt15iterator_traitsISI_E10value_typeET2_T3_PNSJ_ISO_E10value_typeET4_T5_PST_SU_PNS1_23onesweep_lookback_stateEbbT6_jjT7_P12ihipStream_tbENKUlT_T0_SI_SN_E_clIPySD_S15_SD_EEDaS11_S12_SI_SN_EUlS11_E_NS1_11comp_targetILNS1_3genE4ELNS1_11target_archE910ELNS1_3gpuE8ELNS1_3repE0EEENS1_47radix_sort_onesweep_sort_config_static_selectorELNS0_4arch9wavefront6targetE1EEEvSI_.private_seg_size, 0
	.set _ZN7rocprim17ROCPRIM_400000_NS6detail17trampoline_kernelINS0_14default_configENS1_35radix_sort_onesweep_config_selectorIyyEEZZNS1_29radix_sort_onesweep_iterationIS3_Lb0EN6thrust23THRUST_200600_302600_NS6detail15normal_iteratorINS8_10device_ptrIyEEEESD_SD_SD_jNS0_19identity_decomposerENS1_16block_id_wrapperIjLb0EEEEE10hipError_tT1_PNSt15iterator_traitsISI_E10value_typeET2_T3_PNSJ_ISO_E10value_typeET4_T5_PST_SU_PNS1_23onesweep_lookback_stateEbbT6_jjT7_P12ihipStream_tbENKUlT_T0_SI_SN_E_clIPySD_S15_SD_EEDaS11_S12_SI_SN_EUlS11_E_NS1_11comp_targetILNS1_3genE4ELNS1_11target_archE910ELNS1_3gpuE8ELNS1_3repE0EEENS1_47radix_sort_onesweep_sort_config_static_selectorELNS0_4arch9wavefront6targetE1EEEvSI_.uses_vcc, 0
	.set _ZN7rocprim17ROCPRIM_400000_NS6detail17trampoline_kernelINS0_14default_configENS1_35radix_sort_onesweep_config_selectorIyyEEZZNS1_29radix_sort_onesweep_iterationIS3_Lb0EN6thrust23THRUST_200600_302600_NS6detail15normal_iteratorINS8_10device_ptrIyEEEESD_SD_SD_jNS0_19identity_decomposerENS1_16block_id_wrapperIjLb0EEEEE10hipError_tT1_PNSt15iterator_traitsISI_E10value_typeET2_T3_PNSJ_ISO_E10value_typeET4_T5_PST_SU_PNS1_23onesweep_lookback_stateEbbT6_jjT7_P12ihipStream_tbENKUlT_T0_SI_SN_E_clIPySD_S15_SD_EEDaS11_S12_SI_SN_EUlS11_E_NS1_11comp_targetILNS1_3genE4ELNS1_11target_archE910ELNS1_3gpuE8ELNS1_3repE0EEENS1_47radix_sort_onesweep_sort_config_static_selectorELNS0_4arch9wavefront6targetE1EEEvSI_.uses_flat_scratch, 0
	.set _ZN7rocprim17ROCPRIM_400000_NS6detail17trampoline_kernelINS0_14default_configENS1_35radix_sort_onesweep_config_selectorIyyEEZZNS1_29radix_sort_onesweep_iterationIS3_Lb0EN6thrust23THRUST_200600_302600_NS6detail15normal_iteratorINS8_10device_ptrIyEEEESD_SD_SD_jNS0_19identity_decomposerENS1_16block_id_wrapperIjLb0EEEEE10hipError_tT1_PNSt15iterator_traitsISI_E10value_typeET2_T3_PNSJ_ISO_E10value_typeET4_T5_PST_SU_PNS1_23onesweep_lookback_stateEbbT6_jjT7_P12ihipStream_tbENKUlT_T0_SI_SN_E_clIPySD_S15_SD_EEDaS11_S12_SI_SN_EUlS11_E_NS1_11comp_targetILNS1_3genE4ELNS1_11target_archE910ELNS1_3gpuE8ELNS1_3repE0EEENS1_47radix_sort_onesweep_sort_config_static_selectorELNS0_4arch9wavefront6targetE1EEEvSI_.has_dyn_sized_stack, 0
	.set _ZN7rocprim17ROCPRIM_400000_NS6detail17trampoline_kernelINS0_14default_configENS1_35radix_sort_onesweep_config_selectorIyyEEZZNS1_29radix_sort_onesweep_iterationIS3_Lb0EN6thrust23THRUST_200600_302600_NS6detail15normal_iteratorINS8_10device_ptrIyEEEESD_SD_SD_jNS0_19identity_decomposerENS1_16block_id_wrapperIjLb0EEEEE10hipError_tT1_PNSt15iterator_traitsISI_E10value_typeET2_T3_PNSJ_ISO_E10value_typeET4_T5_PST_SU_PNS1_23onesweep_lookback_stateEbbT6_jjT7_P12ihipStream_tbENKUlT_T0_SI_SN_E_clIPySD_S15_SD_EEDaS11_S12_SI_SN_EUlS11_E_NS1_11comp_targetILNS1_3genE4ELNS1_11target_archE910ELNS1_3gpuE8ELNS1_3repE0EEENS1_47radix_sort_onesweep_sort_config_static_selectorELNS0_4arch9wavefront6targetE1EEEvSI_.has_recursion, 0
	.set _ZN7rocprim17ROCPRIM_400000_NS6detail17trampoline_kernelINS0_14default_configENS1_35radix_sort_onesweep_config_selectorIyyEEZZNS1_29radix_sort_onesweep_iterationIS3_Lb0EN6thrust23THRUST_200600_302600_NS6detail15normal_iteratorINS8_10device_ptrIyEEEESD_SD_SD_jNS0_19identity_decomposerENS1_16block_id_wrapperIjLb0EEEEE10hipError_tT1_PNSt15iterator_traitsISI_E10value_typeET2_T3_PNSJ_ISO_E10value_typeET4_T5_PST_SU_PNS1_23onesweep_lookback_stateEbbT6_jjT7_P12ihipStream_tbENKUlT_T0_SI_SN_E_clIPySD_S15_SD_EEDaS11_S12_SI_SN_EUlS11_E_NS1_11comp_targetILNS1_3genE4ELNS1_11target_archE910ELNS1_3gpuE8ELNS1_3repE0EEENS1_47radix_sort_onesweep_sort_config_static_selectorELNS0_4arch9wavefront6targetE1EEEvSI_.has_indirect_call, 0
	.section	.AMDGPU.csdata,"",@progbits
; Kernel info:
; codeLenInByte = 0
; TotalNumSgprs: 6
; NumVgprs: 0
; NumAgprs: 0
; TotalNumVgprs: 0
; ScratchSize: 0
; MemoryBound: 0
; FloatMode: 240
; IeeeMode: 1
; LDSByteSize: 0 bytes/workgroup (compile time only)
; SGPRBlocks: 0
; VGPRBlocks: 0
; NumSGPRsForWavesPerEU: 6
; NumVGPRsForWavesPerEU: 1
; AccumOffset: 4
; Occupancy: 8
; WaveLimiterHint : 0
; COMPUTE_PGM_RSRC2:SCRATCH_EN: 0
; COMPUTE_PGM_RSRC2:USER_SGPR: 2
; COMPUTE_PGM_RSRC2:TRAP_HANDLER: 0
; COMPUTE_PGM_RSRC2:TGID_X_EN: 1
; COMPUTE_PGM_RSRC2:TGID_Y_EN: 0
; COMPUTE_PGM_RSRC2:TGID_Z_EN: 0
; COMPUTE_PGM_RSRC2:TIDIG_COMP_CNT: 0
; COMPUTE_PGM_RSRC3_GFX90A:ACCUM_OFFSET: 0
; COMPUTE_PGM_RSRC3_GFX90A:TG_SPLIT: 0
	.section	.text._ZN7rocprim17ROCPRIM_400000_NS6detail17trampoline_kernelINS0_14default_configENS1_35radix_sort_onesweep_config_selectorIyyEEZZNS1_29radix_sort_onesweep_iterationIS3_Lb0EN6thrust23THRUST_200600_302600_NS6detail15normal_iteratorINS8_10device_ptrIyEEEESD_SD_SD_jNS0_19identity_decomposerENS1_16block_id_wrapperIjLb0EEEEE10hipError_tT1_PNSt15iterator_traitsISI_E10value_typeET2_T3_PNSJ_ISO_E10value_typeET4_T5_PST_SU_PNS1_23onesweep_lookback_stateEbbT6_jjT7_P12ihipStream_tbENKUlT_T0_SI_SN_E_clIPySD_S15_SD_EEDaS11_S12_SI_SN_EUlS11_E_NS1_11comp_targetILNS1_3genE3ELNS1_11target_archE908ELNS1_3gpuE7ELNS1_3repE0EEENS1_47radix_sort_onesweep_sort_config_static_selectorELNS0_4arch9wavefront6targetE1EEEvSI_,"axG",@progbits,_ZN7rocprim17ROCPRIM_400000_NS6detail17trampoline_kernelINS0_14default_configENS1_35radix_sort_onesweep_config_selectorIyyEEZZNS1_29radix_sort_onesweep_iterationIS3_Lb0EN6thrust23THRUST_200600_302600_NS6detail15normal_iteratorINS8_10device_ptrIyEEEESD_SD_SD_jNS0_19identity_decomposerENS1_16block_id_wrapperIjLb0EEEEE10hipError_tT1_PNSt15iterator_traitsISI_E10value_typeET2_T3_PNSJ_ISO_E10value_typeET4_T5_PST_SU_PNS1_23onesweep_lookback_stateEbbT6_jjT7_P12ihipStream_tbENKUlT_T0_SI_SN_E_clIPySD_S15_SD_EEDaS11_S12_SI_SN_EUlS11_E_NS1_11comp_targetILNS1_3genE3ELNS1_11target_archE908ELNS1_3gpuE7ELNS1_3repE0EEENS1_47radix_sort_onesweep_sort_config_static_selectorELNS0_4arch9wavefront6targetE1EEEvSI_,comdat
	.protected	_ZN7rocprim17ROCPRIM_400000_NS6detail17trampoline_kernelINS0_14default_configENS1_35radix_sort_onesweep_config_selectorIyyEEZZNS1_29radix_sort_onesweep_iterationIS3_Lb0EN6thrust23THRUST_200600_302600_NS6detail15normal_iteratorINS8_10device_ptrIyEEEESD_SD_SD_jNS0_19identity_decomposerENS1_16block_id_wrapperIjLb0EEEEE10hipError_tT1_PNSt15iterator_traitsISI_E10value_typeET2_T3_PNSJ_ISO_E10value_typeET4_T5_PST_SU_PNS1_23onesweep_lookback_stateEbbT6_jjT7_P12ihipStream_tbENKUlT_T0_SI_SN_E_clIPySD_S15_SD_EEDaS11_S12_SI_SN_EUlS11_E_NS1_11comp_targetILNS1_3genE3ELNS1_11target_archE908ELNS1_3gpuE7ELNS1_3repE0EEENS1_47radix_sort_onesweep_sort_config_static_selectorELNS0_4arch9wavefront6targetE1EEEvSI_ ; -- Begin function _ZN7rocprim17ROCPRIM_400000_NS6detail17trampoline_kernelINS0_14default_configENS1_35radix_sort_onesweep_config_selectorIyyEEZZNS1_29radix_sort_onesweep_iterationIS3_Lb0EN6thrust23THRUST_200600_302600_NS6detail15normal_iteratorINS8_10device_ptrIyEEEESD_SD_SD_jNS0_19identity_decomposerENS1_16block_id_wrapperIjLb0EEEEE10hipError_tT1_PNSt15iterator_traitsISI_E10value_typeET2_T3_PNSJ_ISO_E10value_typeET4_T5_PST_SU_PNS1_23onesweep_lookback_stateEbbT6_jjT7_P12ihipStream_tbENKUlT_T0_SI_SN_E_clIPySD_S15_SD_EEDaS11_S12_SI_SN_EUlS11_E_NS1_11comp_targetILNS1_3genE3ELNS1_11target_archE908ELNS1_3gpuE7ELNS1_3repE0EEENS1_47radix_sort_onesweep_sort_config_static_selectorELNS0_4arch9wavefront6targetE1EEEvSI_
	.globl	_ZN7rocprim17ROCPRIM_400000_NS6detail17trampoline_kernelINS0_14default_configENS1_35radix_sort_onesweep_config_selectorIyyEEZZNS1_29radix_sort_onesweep_iterationIS3_Lb0EN6thrust23THRUST_200600_302600_NS6detail15normal_iteratorINS8_10device_ptrIyEEEESD_SD_SD_jNS0_19identity_decomposerENS1_16block_id_wrapperIjLb0EEEEE10hipError_tT1_PNSt15iterator_traitsISI_E10value_typeET2_T3_PNSJ_ISO_E10value_typeET4_T5_PST_SU_PNS1_23onesweep_lookback_stateEbbT6_jjT7_P12ihipStream_tbENKUlT_T0_SI_SN_E_clIPySD_S15_SD_EEDaS11_S12_SI_SN_EUlS11_E_NS1_11comp_targetILNS1_3genE3ELNS1_11target_archE908ELNS1_3gpuE7ELNS1_3repE0EEENS1_47radix_sort_onesweep_sort_config_static_selectorELNS0_4arch9wavefront6targetE1EEEvSI_
	.p2align	8
	.type	_ZN7rocprim17ROCPRIM_400000_NS6detail17trampoline_kernelINS0_14default_configENS1_35radix_sort_onesweep_config_selectorIyyEEZZNS1_29radix_sort_onesweep_iterationIS3_Lb0EN6thrust23THRUST_200600_302600_NS6detail15normal_iteratorINS8_10device_ptrIyEEEESD_SD_SD_jNS0_19identity_decomposerENS1_16block_id_wrapperIjLb0EEEEE10hipError_tT1_PNSt15iterator_traitsISI_E10value_typeET2_T3_PNSJ_ISO_E10value_typeET4_T5_PST_SU_PNS1_23onesweep_lookback_stateEbbT6_jjT7_P12ihipStream_tbENKUlT_T0_SI_SN_E_clIPySD_S15_SD_EEDaS11_S12_SI_SN_EUlS11_E_NS1_11comp_targetILNS1_3genE3ELNS1_11target_archE908ELNS1_3gpuE7ELNS1_3repE0EEENS1_47radix_sort_onesweep_sort_config_static_selectorELNS0_4arch9wavefront6targetE1EEEvSI_,@function
_ZN7rocprim17ROCPRIM_400000_NS6detail17trampoline_kernelINS0_14default_configENS1_35radix_sort_onesweep_config_selectorIyyEEZZNS1_29radix_sort_onesweep_iterationIS3_Lb0EN6thrust23THRUST_200600_302600_NS6detail15normal_iteratorINS8_10device_ptrIyEEEESD_SD_SD_jNS0_19identity_decomposerENS1_16block_id_wrapperIjLb0EEEEE10hipError_tT1_PNSt15iterator_traitsISI_E10value_typeET2_T3_PNSJ_ISO_E10value_typeET4_T5_PST_SU_PNS1_23onesweep_lookback_stateEbbT6_jjT7_P12ihipStream_tbENKUlT_T0_SI_SN_E_clIPySD_S15_SD_EEDaS11_S12_SI_SN_EUlS11_E_NS1_11comp_targetILNS1_3genE3ELNS1_11target_archE908ELNS1_3gpuE7ELNS1_3repE0EEENS1_47radix_sort_onesweep_sort_config_static_selectorELNS0_4arch9wavefront6targetE1EEEvSI_: ; @_ZN7rocprim17ROCPRIM_400000_NS6detail17trampoline_kernelINS0_14default_configENS1_35radix_sort_onesweep_config_selectorIyyEEZZNS1_29radix_sort_onesweep_iterationIS3_Lb0EN6thrust23THRUST_200600_302600_NS6detail15normal_iteratorINS8_10device_ptrIyEEEESD_SD_SD_jNS0_19identity_decomposerENS1_16block_id_wrapperIjLb0EEEEE10hipError_tT1_PNSt15iterator_traitsISI_E10value_typeET2_T3_PNSJ_ISO_E10value_typeET4_T5_PST_SU_PNS1_23onesweep_lookback_stateEbbT6_jjT7_P12ihipStream_tbENKUlT_T0_SI_SN_E_clIPySD_S15_SD_EEDaS11_S12_SI_SN_EUlS11_E_NS1_11comp_targetILNS1_3genE3ELNS1_11target_archE908ELNS1_3gpuE7ELNS1_3repE0EEENS1_47radix_sort_onesweep_sort_config_static_selectorELNS0_4arch9wavefront6targetE1EEEvSI_
; %bb.0:
	.section	.rodata,"a",@progbits
	.p2align	6, 0x0
	.amdhsa_kernel _ZN7rocprim17ROCPRIM_400000_NS6detail17trampoline_kernelINS0_14default_configENS1_35radix_sort_onesweep_config_selectorIyyEEZZNS1_29radix_sort_onesweep_iterationIS3_Lb0EN6thrust23THRUST_200600_302600_NS6detail15normal_iteratorINS8_10device_ptrIyEEEESD_SD_SD_jNS0_19identity_decomposerENS1_16block_id_wrapperIjLb0EEEEE10hipError_tT1_PNSt15iterator_traitsISI_E10value_typeET2_T3_PNSJ_ISO_E10value_typeET4_T5_PST_SU_PNS1_23onesweep_lookback_stateEbbT6_jjT7_P12ihipStream_tbENKUlT_T0_SI_SN_E_clIPySD_S15_SD_EEDaS11_S12_SI_SN_EUlS11_E_NS1_11comp_targetILNS1_3genE3ELNS1_11target_archE908ELNS1_3gpuE7ELNS1_3repE0EEENS1_47radix_sort_onesweep_sort_config_static_selectorELNS0_4arch9wavefront6targetE1EEEvSI_
		.amdhsa_group_segment_fixed_size 0
		.amdhsa_private_segment_fixed_size 0
		.amdhsa_kernarg_size 88
		.amdhsa_user_sgpr_count 2
		.amdhsa_user_sgpr_dispatch_ptr 0
		.amdhsa_user_sgpr_queue_ptr 0
		.amdhsa_user_sgpr_kernarg_segment_ptr 1
		.amdhsa_user_sgpr_dispatch_id 0
		.amdhsa_user_sgpr_kernarg_preload_length 0
		.amdhsa_user_sgpr_kernarg_preload_offset 0
		.amdhsa_user_sgpr_private_segment_size 0
		.amdhsa_uses_dynamic_stack 0
		.amdhsa_enable_private_segment 0
		.amdhsa_system_sgpr_workgroup_id_x 1
		.amdhsa_system_sgpr_workgroup_id_y 0
		.amdhsa_system_sgpr_workgroup_id_z 0
		.amdhsa_system_sgpr_workgroup_info 0
		.amdhsa_system_vgpr_workitem_id 0
		.amdhsa_next_free_vgpr 1
		.amdhsa_next_free_sgpr 0
		.amdhsa_accum_offset 4
		.amdhsa_reserve_vcc 0
		.amdhsa_float_round_mode_32 0
		.amdhsa_float_round_mode_16_64 0
		.amdhsa_float_denorm_mode_32 3
		.amdhsa_float_denorm_mode_16_64 3
		.amdhsa_dx10_clamp 1
		.amdhsa_ieee_mode 1
		.amdhsa_fp16_overflow 0
		.amdhsa_tg_split 0
		.amdhsa_exception_fp_ieee_invalid_op 0
		.amdhsa_exception_fp_denorm_src 0
		.amdhsa_exception_fp_ieee_div_zero 0
		.amdhsa_exception_fp_ieee_overflow 0
		.amdhsa_exception_fp_ieee_underflow 0
		.amdhsa_exception_fp_ieee_inexact 0
		.amdhsa_exception_int_div_zero 0
	.end_amdhsa_kernel
	.section	.text._ZN7rocprim17ROCPRIM_400000_NS6detail17trampoline_kernelINS0_14default_configENS1_35radix_sort_onesweep_config_selectorIyyEEZZNS1_29radix_sort_onesweep_iterationIS3_Lb0EN6thrust23THRUST_200600_302600_NS6detail15normal_iteratorINS8_10device_ptrIyEEEESD_SD_SD_jNS0_19identity_decomposerENS1_16block_id_wrapperIjLb0EEEEE10hipError_tT1_PNSt15iterator_traitsISI_E10value_typeET2_T3_PNSJ_ISO_E10value_typeET4_T5_PST_SU_PNS1_23onesweep_lookback_stateEbbT6_jjT7_P12ihipStream_tbENKUlT_T0_SI_SN_E_clIPySD_S15_SD_EEDaS11_S12_SI_SN_EUlS11_E_NS1_11comp_targetILNS1_3genE3ELNS1_11target_archE908ELNS1_3gpuE7ELNS1_3repE0EEENS1_47radix_sort_onesweep_sort_config_static_selectorELNS0_4arch9wavefront6targetE1EEEvSI_,"axG",@progbits,_ZN7rocprim17ROCPRIM_400000_NS6detail17trampoline_kernelINS0_14default_configENS1_35radix_sort_onesweep_config_selectorIyyEEZZNS1_29radix_sort_onesweep_iterationIS3_Lb0EN6thrust23THRUST_200600_302600_NS6detail15normal_iteratorINS8_10device_ptrIyEEEESD_SD_SD_jNS0_19identity_decomposerENS1_16block_id_wrapperIjLb0EEEEE10hipError_tT1_PNSt15iterator_traitsISI_E10value_typeET2_T3_PNSJ_ISO_E10value_typeET4_T5_PST_SU_PNS1_23onesweep_lookback_stateEbbT6_jjT7_P12ihipStream_tbENKUlT_T0_SI_SN_E_clIPySD_S15_SD_EEDaS11_S12_SI_SN_EUlS11_E_NS1_11comp_targetILNS1_3genE3ELNS1_11target_archE908ELNS1_3gpuE7ELNS1_3repE0EEENS1_47radix_sort_onesweep_sort_config_static_selectorELNS0_4arch9wavefront6targetE1EEEvSI_,comdat
.Lfunc_end578:
	.size	_ZN7rocprim17ROCPRIM_400000_NS6detail17trampoline_kernelINS0_14default_configENS1_35radix_sort_onesweep_config_selectorIyyEEZZNS1_29radix_sort_onesweep_iterationIS3_Lb0EN6thrust23THRUST_200600_302600_NS6detail15normal_iteratorINS8_10device_ptrIyEEEESD_SD_SD_jNS0_19identity_decomposerENS1_16block_id_wrapperIjLb0EEEEE10hipError_tT1_PNSt15iterator_traitsISI_E10value_typeET2_T3_PNSJ_ISO_E10value_typeET4_T5_PST_SU_PNS1_23onesweep_lookback_stateEbbT6_jjT7_P12ihipStream_tbENKUlT_T0_SI_SN_E_clIPySD_S15_SD_EEDaS11_S12_SI_SN_EUlS11_E_NS1_11comp_targetILNS1_3genE3ELNS1_11target_archE908ELNS1_3gpuE7ELNS1_3repE0EEENS1_47radix_sort_onesweep_sort_config_static_selectorELNS0_4arch9wavefront6targetE1EEEvSI_, .Lfunc_end578-_ZN7rocprim17ROCPRIM_400000_NS6detail17trampoline_kernelINS0_14default_configENS1_35radix_sort_onesweep_config_selectorIyyEEZZNS1_29radix_sort_onesweep_iterationIS3_Lb0EN6thrust23THRUST_200600_302600_NS6detail15normal_iteratorINS8_10device_ptrIyEEEESD_SD_SD_jNS0_19identity_decomposerENS1_16block_id_wrapperIjLb0EEEEE10hipError_tT1_PNSt15iterator_traitsISI_E10value_typeET2_T3_PNSJ_ISO_E10value_typeET4_T5_PST_SU_PNS1_23onesweep_lookback_stateEbbT6_jjT7_P12ihipStream_tbENKUlT_T0_SI_SN_E_clIPySD_S15_SD_EEDaS11_S12_SI_SN_EUlS11_E_NS1_11comp_targetILNS1_3genE3ELNS1_11target_archE908ELNS1_3gpuE7ELNS1_3repE0EEENS1_47radix_sort_onesweep_sort_config_static_selectorELNS0_4arch9wavefront6targetE1EEEvSI_
                                        ; -- End function
	.set _ZN7rocprim17ROCPRIM_400000_NS6detail17trampoline_kernelINS0_14default_configENS1_35radix_sort_onesweep_config_selectorIyyEEZZNS1_29radix_sort_onesweep_iterationIS3_Lb0EN6thrust23THRUST_200600_302600_NS6detail15normal_iteratorINS8_10device_ptrIyEEEESD_SD_SD_jNS0_19identity_decomposerENS1_16block_id_wrapperIjLb0EEEEE10hipError_tT1_PNSt15iterator_traitsISI_E10value_typeET2_T3_PNSJ_ISO_E10value_typeET4_T5_PST_SU_PNS1_23onesweep_lookback_stateEbbT6_jjT7_P12ihipStream_tbENKUlT_T0_SI_SN_E_clIPySD_S15_SD_EEDaS11_S12_SI_SN_EUlS11_E_NS1_11comp_targetILNS1_3genE3ELNS1_11target_archE908ELNS1_3gpuE7ELNS1_3repE0EEENS1_47radix_sort_onesweep_sort_config_static_selectorELNS0_4arch9wavefront6targetE1EEEvSI_.num_vgpr, 0
	.set _ZN7rocprim17ROCPRIM_400000_NS6detail17trampoline_kernelINS0_14default_configENS1_35radix_sort_onesweep_config_selectorIyyEEZZNS1_29radix_sort_onesweep_iterationIS3_Lb0EN6thrust23THRUST_200600_302600_NS6detail15normal_iteratorINS8_10device_ptrIyEEEESD_SD_SD_jNS0_19identity_decomposerENS1_16block_id_wrapperIjLb0EEEEE10hipError_tT1_PNSt15iterator_traitsISI_E10value_typeET2_T3_PNSJ_ISO_E10value_typeET4_T5_PST_SU_PNS1_23onesweep_lookback_stateEbbT6_jjT7_P12ihipStream_tbENKUlT_T0_SI_SN_E_clIPySD_S15_SD_EEDaS11_S12_SI_SN_EUlS11_E_NS1_11comp_targetILNS1_3genE3ELNS1_11target_archE908ELNS1_3gpuE7ELNS1_3repE0EEENS1_47radix_sort_onesweep_sort_config_static_selectorELNS0_4arch9wavefront6targetE1EEEvSI_.num_agpr, 0
	.set _ZN7rocprim17ROCPRIM_400000_NS6detail17trampoline_kernelINS0_14default_configENS1_35radix_sort_onesweep_config_selectorIyyEEZZNS1_29radix_sort_onesweep_iterationIS3_Lb0EN6thrust23THRUST_200600_302600_NS6detail15normal_iteratorINS8_10device_ptrIyEEEESD_SD_SD_jNS0_19identity_decomposerENS1_16block_id_wrapperIjLb0EEEEE10hipError_tT1_PNSt15iterator_traitsISI_E10value_typeET2_T3_PNSJ_ISO_E10value_typeET4_T5_PST_SU_PNS1_23onesweep_lookback_stateEbbT6_jjT7_P12ihipStream_tbENKUlT_T0_SI_SN_E_clIPySD_S15_SD_EEDaS11_S12_SI_SN_EUlS11_E_NS1_11comp_targetILNS1_3genE3ELNS1_11target_archE908ELNS1_3gpuE7ELNS1_3repE0EEENS1_47radix_sort_onesweep_sort_config_static_selectorELNS0_4arch9wavefront6targetE1EEEvSI_.numbered_sgpr, 0
	.set _ZN7rocprim17ROCPRIM_400000_NS6detail17trampoline_kernelINS0_14default_configENS1_35radix_sort_onesweep_config_selectorIyyEEZZNS1_29radix_sort_onesweep_iterationIS3_Lb0EN6thrust23THRUST_200600_302600_NS6detail15normal_iteratorINS8_10device_ptrIyEEEESD_SD_SD_jNS0_19identity_decomposerENS1_16block_id_wrapperIjLb0EEEEE10hipError_tT1_PNSt15iterator_traitsISI_E10value_typeET2_T3_PNSJ_ISO_E10value_typeET4_T5_PST_SU_PNS1_23onesweep_lookback_stateEbbT6_jjT7_P12ihipStream_tbENKUlT_T0_SI_SN_E_clIPySD_S15_SD_EEDaS11_S12_SI_SN_EUlS11_E_NS1_11comp_targetILNS1_3genE3ELNS1_11target_archE908ELNS1_3gpuE7ELNS1_3repE0EEENS1_47radix_sort_onesweep_sort_config_static_selectorELNS0_4arch9wavefront6targetE1EEEvSI_.num_named_barrier, 0
	.set _ZN7rocprim17ROCPRIM_400000_NS6detail17trampoline_kernelINS0_14default_configENS1_35radix_sort_onesweep_config_selectorIyyEEZZNS1_29radix_sort_onesweep_iterationIS3_Lb0EN6thrust23THRUST_200600_302600_NS6detail15normal_iteratorINS8_10device_ptrIyEEEESD_SD_SD_jNS0_19identity_decomposerENS1_16block_id_wrapperIjLb0EEEEE10hipError_tT1_PNSt15iterator_traitsISI_E10value_typeET2_T3_PNSJ_ISO_E10value_typeET4_T5_PST_SU_PNS1_23onesweep_lookback_stateEbbT6_jjT7_P12ihipStream_tbENKUlT_T0_SI_SN_E_clIPySD_S15_SD_EEDaS11_S12_SI_SN_EUlS11_E_NS1_11comp_targetILNS1_3genE3ELNS1_11target_archE908ELNS1_3gpuE7ELNS1_3repE0EEENS1_47radix_sort_onesweep_sort_config_static_selectorELNS0_4arch9wavefront6targetE1EEEvSI_.private_seg_size, 0
	.set _ZN7rocprim17ROCPRIM_400000_NS6detail17trampoline_kernelINS0_14default_configENS1_35radix_sort_onesweep_config_selectorIyyEEZZNS1_29radix_sort_onesweep_iterationIS3_Lb0EN6thrust23THRUST_200600_302600_NS6detail15normal_iteratorINS8_10device_ptrIyEEEESD_SD_SD_jNS0_19identity_decomposerENS1_16block_id_wrapperIjLb0EEEEE10hipError_tT1_PNSt15iterator_traitsISI_E10value_typeET2_T3_PNSJ_ISO_E10value_typeET4_T5_PST_SU_PNS1_23onesweep_lookback_stateEbbT6_jjT7_P12ihipStream_tbENKUlT_T0_SI_SN_E_clIPySD_S15_SD_EEDaS11_S12_SI_SN_EUlS11_E_NS1_11comp_targetILNS1_3genE3ELNS1_11target_archE908ELNS1_3gpuE7ELNS1_3repE0EEENS1_47radix_sort_onesweep_sort_config_static_selectorELNS0_4arch9wavefront6targetE1EEEvSI_.uses_vcc, 0
	.set _ZN7rocprim17ROCPRIM_400000_NS6detail17trampoline_kernelINS0_14default_configENS1_35radix_sort_onesweep_config_selectorIyyEEZZNS1_29radix_sort_onesweep_iterationIS3_Lb0EN6thrust23THRUST_200600_302600_NS6detail15normal_iteratorINS8_10device_ptrIyEEEESD_SD_SD_jNS0_19identity_decomposerENS1_16block_id_wrapperIjLb0EEEEE10hipError_tT1_PNSt15iterator_traitsISI_E10value_typeET2_T3_PNSJ_ISO_E10value_typeET4_T5_PST_SU_PNS1_23onesweep_lookback_stateEbbT6_jjT7_P12ihipStream_tbENKUlT_T0_SI_SN_E_clIPySD_S15_SD_EEDaS11_S12_SI_SN_EUlS11_E_NS1_11comp_targetILNS1_3genE3ELNS1_11target_archE908ELNS1_3gpuE7ELNS1_3repE0EEENS1_47radix_sort_onesweep_sort_config_static_selectorELNS0_4arch9wavefront6targetE1EEEvSI_.uses_flat_scratch, 0
	.set _ZN7rocprim17ROCPRIM_400000_NS6detail17trampoline_kernelINS0_14default_configENS1_35radix_sort_onesweep_config_selectorIyyEEZZNS1_29radix_sort_onesweep_iterationIS3_Lb0EN6thrust23THRUST_200600_302600_NS6detail15normal_iteratorINS8_10device_ptrIyEEEESD_SD_SD_jNS0_19identity_decomposerENS1_16block_id_wrapperIjLb0EEEEE10hipError_tT1_PNSt15iterator_traitsISI_E10value_typeET2_T3_PNSJ_ISO_E10value_typeET4_T5_PST_SU_PNS1_23onesweep_lookback_stateEbbT6_jjT7_P12ihipStream_tbENKUlT_T0_SI_SN_E_clIPySD_S15_SD_EEDaS11_S12_SI_SN_EUlS11_E_NS1_11comp_targetILNS1_3genE3ELNS1_11target_archE908ELNS1_3gpuE7ELNS1_3repE0EEENS1_47radix_sort_onesweep_sort_config_static_selectorELNS0_4arch9wavefront6targetE1EEEvSI_.has_dyn_sized_stack, 0
	.set _ZN7rocprim17ROCPRIM_400000_NS6detail17trampoline_kernelINS0_14default_configENS1_35radix_sort_onesweep_config_selectorIyyEEZZNS1_29radix_sort_onesweep_iterationIS3_Lb0EN6thrust23THRUST_200600_302600_NS6detail15normal_iteratorINS8_10device_ptrIyEEEESD_SD_SD_jNS0_19identity_decomposerENS1_16block_id_wrapperIjLb0EEEEE10hipError_tT1_PNSt15iterator_traitsISI_E10value_typeET2_T3_PNSJ_ISO_E10value_typeET4_T5_PST_SU_PNS1_23onesweep_lookback_stateEbbT6_jjT7_P12ihipStream_tbENKUlT_T0_SI_SN_E_clIPySD_S15_SD_EEDaS11_S12_SI_SN_EUlS11_E_NS1_11comp_targetILNS1_3genE3ELNS1_11target_archE908ELNS1_3gpuE7ELNS1_3repE0EEENS1_47radix_sort_onesweep_sort_config_static_selectorELNS0_4arch9wavefront6targetE1EEEvSI_.has_recursion, 0
	.set _ZN7rocprim17ROCPRIM_400000_NS6detail17trampoline_kernelINS0_14default_configENS1_35radix_sort_onesweep_config_selectorIyyEEZZNS1_29radix_sort_onesweep_iterationIS3_Lb0EN6thrust23THRUST_200600_302600_NS6detail15normal_iteratorINS8_10device_ptrIyEEEESD_SD_SD_jNS0_19identity_decomposerENS1_16block_id_wrapperIjLb0EEEEE10hipError_tT1_PNSt15iterator_traitsISI_E10value_typeET2_T3_PNSJ_ISO_E10value_typeET4_T5_PST_SU_PNS1_23onesweep_lookback_stateEbbT6_jjT7_P12ihipStream_tbENKUlT_T0_SI_SN_E_clIPySD_S15_SD_EEDaS11_S12_SI_SN_EUlS11_E_NS1_11comp_targetILNS1_3genE3ELNS1_11target_archE908ELNS1_3gpuE7ELNS1_3repE0EEENS1_47radix_sort_onesweep_sort_config_static_selectorELNS0_4arch9wavefront6targetE1EEEvSI_.has_indirect_call, 0
	.section	.AMDGPU.csdata,"",@progbits
; Kernel info:
; codeLenInByte = 0
; TotalNumSgprs: 6
; NumVgprs: 0
; NumAgprs: 0
; TotalNumVgprs: 0
; ScratchSize: 0
; MemoryBound: 0
; FloatMode: 240
; IeeeMode: 1
; LDSByteSize: 0 bytes/workgroup (compile time only)
; SGPRBlocks: 0
; VGPRBlocks: 0
; NumSGPRsForWavesPerEU: 6
; NumVGPRsForWavesPerEU: 1
; AccumOffset: 4
; Occupancy: 8
; WaveLimiterHint : 0
; COMPUTE_PGM_RSRC2:SCRATCH_EN: 0
; COMPUTE_PGM_RSRC2:USER_SGPR: 2
; COMPUTE_PGM_RSRC2:TRAP_HANDLER: 0
; COMPUTE_PGM_RSRC2:TGID_X_EN: 1
; COMPUTE_PGM_RSRC2:TGID_Y_EN: 0
; COMPUTE_PGM_RSRC2:TGID_Z_EN: 0
; COMPUTE_PGM_RSRC2:TIDIG_COMP_CNT: 0
; COMPUTE_PGM_RSRC3_GFX90A:ACCUM_OFFSET: 0
; COMPUTE_PGM_RSRC3_GFX90A:TG_SPLIT: 0
	.section	.text._ZN7rocprim17ROCPRIM_400000_NS6detail17trampoline_kernelINS0_14default_configENS1_35radix_sort_onesweep_config_selectorIyyEEZZNS1_29radix_sort_onesweep_iterationIS3_Lb0EN6thrust23THRUST_200600_302600_NS6detail15normal_iteratorINS8_10device_ptrIyEEEESD_SD_SD_jNS0_19identity_decomposerENS1_16block_id_wrapperIjLb0EEEEE10hipError_tT1_PNSt15iterator_traitsISI_E10value_typeET2_T3_PNSJ_ISO_E10value_typeET4_T5_PST_SU_PNS1_23onesweep_lookback_stateEbbT6_jjT7_P12ihipStream_tbENKUlT_T0_SI_SN_E_clIPySD_S15_SD_EEDaS11_S12_SI_SN_EUlS11_E_NS1_11comp_targetILNS1_3genE10ELNS1_11target_archE1201ELNS1_3gpuE5ELNS1_3repE0EEENS1_47radix_sort_onesweep_sort_config_static_selectorELNS0_4arch9wavefront6targetE1EEEvSI_,"axG",@progbits,_ZN7rocprim17ROCPRIM_400000_NS6detail17trampoline_kernelINS0_14default_configENS1_35radix_sort_onesweep_config_selectorIyyEEZZNS1_29radix_sort_onesweep_iterationIS3_Lb0EN6thrust23THRUST_200600_302600_NS6detail15normal_iteratorINS8_10device_ptrIyEEEESD_SD_SD_jNS0_19identity_decomposerENS1_16block_id_wrapperIjLb0EEEEE10hipError_tT1_PNSt15iterator_traitsISI_E10value_typeET2_T3_PNSJ_ISO_E10value_typeET4_T5_PST_SU_PNS1_23onesweep_lookback_stateEbbT6_jjT7_P12ihipStream_tbENKUlT_T0_SI_SN_E_clIPySD_S15_SD_EEDaS11_S12_SI_SN_EUlS11_E_NS1_11comp_targetILNS1_3genE10ELNS1_11target_archE1201ELNS1_3gpuE5ELNS1_3repE0EEENS1_47radix_sort_onesweep_sort_config_static_selectorELNS0_4arch9wavefront6targetE1EEEvSI_,comdat
	.protected	_ZN7rocprim17ROCPRIM_400000_NS6detail17trampoline_kernelINS0_14default_configENS1_35radix_sort_onesweep_config_selectorIyyEEZZNS1_29radix_sort_onesweep_iterationIS3_Lb0EN6thrust23THRUST_200600_302600_NS6detail15normal_iteratorINS8_10device_ptrIyEEEESD_SD_SD_jNS0_19identity_decomposerENS1_16block_id_wrapperIjLb0EEEEE10hipError_tT1_PNSt15iterator_traitsISI_E10value_typeET2_T3_PNSJ_ISO_E10value_typeET4_T5_PST_SU_PNS1_23onesweep_lookback_stateEbbT6_jjT7_P12ihipStream_tbENKUlT_T0_SI_SN_E_clIPySD_S15_SD_EEDaS11_S12_SI_SN_EUlS11_E_NS1_11comp_targetILNS1_3genE10ELNS1_11target_archE1201ELNS1_3gpuE5ELNS1_3repE0EEENS1_47radix_sort_onesweep_sort_config_static_selectorELNS0_4arch9wavefront6targetE1EEEvSI_ ; -- Begin function _ZN7rocprim17ROCPRIM_400000_NS6detail17trampoline_kernelINS0_14default_configENS1_35radix_sort_onesweep_config_selectorIyyEEZZNS1_29radix_sort_onesweep_iterationIS3_Lb0EN6thrust23THRUST_200600_302600_NS6detail15normal_iteratorINS8_10device_ptrIyEEEESD_SD_SD_jNS0_19identity_decomposerENS1_16block_id_wrapperIjLb0EEEEE10hipError_tT1_PNSt15iterator_traitsISI_E10value_typeET2_T3_PNSJ_ISO_E10value_typeET4_T5_PST_SU_PNS1_23onesweep_lookback_stateEbbT6_jjT7_P12ihipStream_tbENKUlT_T0_SI_SN_E_clIPySD_S15_SD_EEDaS11_S12_SI_SN_EUlS11_E_NS1_11comp_targetILNS1_3genE10ELNS1_11target_archE1201ELNS1_3gpuE5ELNS1_3repE0EEENS1_47radix_sort_onesweep_sort_config_static_selectorELNS0_4arch9wavefront6targetE1EEEvSI_
	.globl	_ZN7rocprim17ROCPRIM_400000_NS6detail17trampoline_kernelINS0_14default_configENS1_35radix_sort_onesweep_config_selectorIyyEEZZNS1_29radix_sort_onesweep_iterationIS3_Lb0EN6thrust23THRUST_200600_302600_NS6detail15normal_iteratorINS8_10device_ptrIyEEEESD_SD_SD_jNS0_19identity_decomposerENS1_16block_id_wrapperIjLb0EEEEE10hipError_tT1_PNSt15iterator_traitsISI_E10value_typeET2_T3_PNSJ_ISO_E10value_typeET4_T5_PST_SU_PNS1_23onesweep_lookback_stateEbbT6_jjT7_P12ihipStream_tbENKUlT_T0_SI_SN_E_clIPySD_S15_SD_EEDaS11_S12_SI_SN_EUlS11_E_NS1_11comp_targetILNS1_3genE10ELNS1_11target_archE1201ELNS1_3gpuE5ELNS1_3repE0EEENS1_47radix_sort_onesweep_sort_config_static_selectorELNS0_4arch9wavefront6targetE1EEEvSI_
	.p2align	8
	.type	_ZN7rocprim17ROCPRIM_400000_NS6detail17trampoline_kernelINS0_14default_configENS1_35radix_sort_onesweep_config_selectorIyyEEZZNS1_29radix_sort_onesweep_iterationIS3_Lb0EN6thrust23THRUST_200600_302600_NS6detail15normal_iteratorINS8_10device_ptrIyEEEESD_SD_SD_jNS0_19identity_decomposerENS1_16block_id_wrapperIjLb0EEEEE10hipError_tT1_PNSt15iterator_traitsISI_E10value_typeET2_T3_PNSJ_ISO_E10value_typeET4_T5_PST_SU_PNS1_23onesweep_lookback_stateEbbT6_jjT7_P12ihipStream_tbENKUlT_T0_SI_SN_E_clIPySD_S15_SD_EEDaS11_S12_SI_SN_EUlS11_E_NS1_11comp_targetILNS1_3genE10ELNS1_11target_archE1201ELNS1_3gpuE5ELNS1_3repE0EEENS1_47radix_sort_onesweep_sort_config_static_selectorELNS0_4arch9wavefront6targetE1EEEvSI_,@function
_ZN7rocprim17ROCPRIM_400000_NS6detail17trampoline_kernelINS0_14default_configENS1_35radix_sort_onesweep_config_selectorIyyEEZZNS1_29radix_sort_onesweep_iterationIS3_Lb0EN6thrust23THRUST_200600_302600_NS6detail15normal_iteratorINS8_10device_ptrIyEEEESD_SD_SD_jNS0_19identity_decomposerENS1_16block_id_wrapperIjLb0EEEEE10hipError_tT1_PNSt15iterator_traitsISI_E10value_typeET2_T3_PNSJ_ISO_E10value_typeET4_T5_PST_SU_PNS1_23onesweep_lookback_stateEbbT6_jjT7_P12ihipStream_tbENKUlT_T0_SI_SN_E_clIPySD_S15_SD_EEDaS11_S12_SI_SN_EUlS11_E_NS1_11comp_targetILNS1_3genE10ELNS1_11target_archE1201ELNS1_3gpuE5ELNS1_3repE0EEENS1_47radix_sort_onesweep_sort_config_static_selectorELNS0_4arch9wavefront6targetE1EEEvSI_: ; @_ZN7rocprim17ROCPRIM_400000_NS6detail17trampoline_kernelINS0_14default_configENS1_35radix_sort_onesweep_config_selectorIyyEEZZNS1_29radix_sort_onesweep_iterationIS3_Lb0EN6thrust23THRUST_200600_302600_NS6detail15normal_iteratorINS8_10device_ptrIyEEEESD_SD_SD_jNS0_19identity_decomposerENS1_16block_id_wrapperIjLb0EEEEE10hipError_tT1_PNSt15iterator_traitsISI_E10value_typeET2_T3_PNSJ_ISO_E10value_typeET4_T5_PST_SU_PNS1_23onesweep_lookback_stateEbbT6_jjT7_P12ihipStream_tbENKUlT_T0_SI_SN_E_clIPySD_S15_SD_EEDaS11_S12_SI_SN_EUlS11_E_NS1_11comp_targetILNS1_3genE10ELNS1_11target_archE1201ELNS1_3gpuE5ELNS1_3repE0EEENS1_47radix_sort_onesweep_sort_config_static_selectorELNS0_4arch9wavefront6targetE1EEEvSI_
; %bb.0:
	.section	.rodata,"a",@progbits
	.p2align	6, 0x0
	.amdhsa_kernel _ZN7rocprim17ROCPRIM_400000_NS6detail17trampoline_kernelINS0_14default_configENS1_35radix_sort_onesweep_config_selectorIyyEEZZNS1_29radix_sort_onesweep_iterationIS3_Lb0EN6thrust23THRUST_200600_302600_NS6detail15normal_iteratorINS8_10device_ptrIyEEEESD_SD_SD_jNS0_19identity_decomposerENS1_16block_id_wrapperIjLb0EEEEE10hipError_tT1_PNSt15iterator_traitsISI_E10value_typeET2_T3_PNSJ_ISO_E10value_typeET4_T5_PST_SU_PNS1_23onesweep_lookback_stateEbbT6_jjT7_P12ihipStream_tbENKUlT_T0_SI_SN_E_clIPySD_S15_SD_EEDaS11_S12_SI_SN_EUlS11_E_NS1_11comp_targetILNS1_3genE10ELNS1_11target_archE1201ELNS1_3gpuE5ELNS1_3repE0EEENS1_47radix_sort_onesweep_sort_config_static_selectorELNS0_4arch9wavefront6targetE1EEEvSI_
		.amdhsa_group_segment_fixed_size 0
		.amdhsa_private_segment_fixed_size 0
		.amdhsa_kernarg_size 88
		.amdhsa_user_sgpr_count 2
		.amdhsa_user_sgpr_dispatch_ptr 0
		.amdhsa_user_sgpr_queue_ptr 0
		.amdhsa_user_sgpr_kernarg_segment_ptr 1
		.amdhsa_user_sgpr_dispatch_id 0
		.amdhsa_user_sgpr_kernarg_preload_length 0
		.amdhsa_user_sgpr_kernarg_preload_offset 0
		.amdhsa_user_sgpr_private_segment_size 0
		.amdhsa_uses_dynamic_stack 0
		.amdhsa_enable_private_segment 0
		.amdhsa_system_sgpr_workgroup_id_x 1
		.amdhsa_system_sgpr_workgroup_id_y 0
		.amdhsa_system_sgpr_workgroup_id_z 0
		.amdhsa_system_sgpr_workgroup_info 0
		.amdhsa_system_vgpr_workitem_id 0
		.amdhsa_next_free_vgpr 1
		.amdhsa_next_free_sgpr 0
		.amdhsa_accum_offset 4
		.amdhsa_reserve_vcc 0
		.amdhsa_float_round_mode_32 0
		.amdhsa_float_round_mode_16_64 0
		.amdhsa_float_denorm_mode_32 3
		.amdhsa_float_denorm_mode_16_64 3
		.amdhsa_dx10_clamp 1
		.amdhsa_ieee_mode 1
		.amdhsa_fp16_overflow 0
		.amdhsa_tg_split 0
		.amdhsa_exception_fp_ieee_invalid_op 0
		.amdhsa_exception_fp_denorm_src 0
		.amdhsa_exception_fp_ieee_div_zero 0
		.amdhsa_exception_fp_ieee_overflow 0
		.amdhsa_exception_fp_ieee_underflow 0
		.amdhsa_exception_fp_ieee_inexact 0
		.amdhsa_exception_int_div_zero 0
	.end_amdhsa_kernel
	.section	.text._ZN7rocprim17ROCPRIM_400000_NS6detail17trampoline_kernelINS0_14default_configENS1_35radix_sort_onesweep_config_selectorIyyEEZZNS1_29radix_sort_onesweep_iterationIS3_Lb0EN6thrust23THRUST_200600_302600_NS6detail15normal_iteratorINS8_10device_ptrIyEEEESD_SD_SD_jNS0_19identity_decomposerENS1_16block_id_wrapperIjLb0EEEEE10hipError_tT1_PNSt15iterator_traitsISI_E10value_typeET2_T3_PNSJ_ISO_E10value_typeET4_T5_PST_SU_PNS1_23onesweep_lookback_stateEbbT6_jjT7_P12ihipStream_tbENKUlT_T0_SI_SN_E_clIPySD_S15_SD_EEDaS11_S12_SI_SN_EUlS11_E_NS1_11comp_targetILNS1_3genE10ELNS1_11target_archE1201ELNS1_3gpuE5ELNS1_3repE0EEENS1_47radix_sort_onesweep_sort_config_static_selectorELNS0_4arch9wavefront6targetE1EEEvSI_,"axG",@progbits,_ZN7rocprim17ROCPRIM_400000_NS6detail17trampoline_kernelINS0_14default_configENS1_35radix_sort_onesweep_config_selectorIyyEEZZNS1_29radix_sort_onesweep_iterationIS3_Lb0EN6thrust23THRUST_200600_302600_NS6detail15normal_iteratorINS8_10device_ptrIyEEEESD_SD_SD_jNS0_19identity_decomposerENS1_16block_id_wrapperIjLb0EEEEE10hipError_tT1_PNSt15iterator_traitsISI_E10value_typeET2_T3_PNSJ_ISO_E10value_typeET4_T5_PST_SU_PNS1_23onesweep_lookback_stateEbbT6_jjT7_P12ihipStream_tbENKUlT_T0_SI_SN_E_clIPySD_S15_SD_EEDaS11_S12_SI_SN_EUlS11_E_NS1_11comp_targetILNS1_3genE10ELNS1_11target_archE1201ELNS1_3gpuE5ELNS1_3repE0EEENS1_47radix_sort_onesweep_sort_config_static_selectorELNS0_4arch9wavefront6targetE1EEEvSI_,comdat
.Lfunc_end579:
	.size	_ZN7rocprim17ROCPRIM_400000_NS6detail17trampoline_kernelINS0_14default_configENS1_35radix_sort_onesweep_config_selectorIyyEEZZNS1_29radix_sort_onesweep_iterationIS3_Lb0EN6thrust23THRUST_200600_302600_NS6detail15normal_iteratorINS8_10device_ptrIyEEEESD_SD_SD_jNS0_19identity_decomposerENS1_16block_id_wrapperIjLb0EEEEE10hipError_tT1_PNSt15iterator_traitsISI_E10value_typeET2_T3_PNSJ_ISO_E10value_typeET4_T5_PST_SU_PNS1_23onesweep_lookback_stateEbbT6_jjT7_P12ihipStream_tbENKUlT_T0_SI_SN_E_clIPySD_S15_SD_EEDaS11_S12_SI_SN_EUlS11_E_NS1_11comp_targetILNS1_3genE10ELNS1_11target_archE1201ELNS1_3gpuE5ELNS1_3repE0EEENS1_47radix_sort_onesweep_sort_config_static_selectorELNS0_4arch9wavefront6targetE1EEEvSI_, .Lfunc_end579-_ZN7rocprim17ROCPRIM_400000_NS6detail17trampoline_kernelINS0_14default_configENS1_35radix_sort_onesweep_config_selectorIyyEEZZNS1_29radix_sort_onesweep_iterationIS3_Lb0EN6thrust23THRUST_200600_302600_NS6detail15normal_iteratorINS8_10device_ptrIyEEEESD_SD_SD_jNS0_19identity_decomposerENS1_16block_id_wrapperIjLb0EEEEE10hipError_tT1_PNSt15iterator_traitsISI_E10value_typeET2_T3_PNSJ_ISO_E10value_typeET4_T5_PST_SU_PNS1_23onesweep_lookback_stateEbbT6_jjT7_P12ihipStream_tbENKUlT_T0_SI_SN_E_clIPySD_S15_SD_EEDaS11_S12_SI_SN_EUlS11_E_NS1_11comp_targetILNS1_3genE10ELNS1_11target_archE1201ELNS1_3gpuE5ELNS1_3repE0EEENS1_47radix_sort_onesweep_sort_config_static_selectorELNS0_4arch9wavefront6targetE1EEEvSI_
                                        ; -- End function
	.set _ZN7rocprim17ROCPRIM_400000_NS6detail17trampoline_kernelINS0_14default_configENS1_35radix_sort_onesweep_config_selectorIyyEEZZNS1_29radix_sort_onesweep_iterationIS3_Lb0EN6thrust23THRUST_200600_302600_NS6detail15normal_iteratorINS8_10device_ptrIyEEEESD_SD_SD_jNS0_19identity_decomposerENS1_16block_id_wrapperIjLb0EEEEE10hipError_tT1_PNSt15iterator_traitsISI_E10value_typeET2_T3_PNSJ_ISO_E10value_typeET4_T5_PST_SU_PNS1_23onesweep_lookback_stateEbbT6_jjT7_P12ihipStream_tbENKUlT_T0_SI_SN_E_clIPySD_S15_SD_EEDaS11_S12_SI_SN_EUlS11_E_NS1_11comp_targetILNS1_3genE10ELNS1_11target_archE1201ELNS1_3gpuE5ELNS1_3repE0EEENS1_47radix_sort_onesweep_sort_config_static_selectorELNS0_4arch9wavefront6targetE1EEEvSI_.num_vgpr, 0
	.set _ZN7rocprim17ROCPRIM_400000_NS6detail17trampoline_kernelINS0_14default_configENS1_35radix_sort_onesweep_config_selectorIyyEEZZNS1_29radix_sort_onesweep_iterationIS3_Lb0EN6thrust23THRUST_200600_302600_NS6detail15normal_iteratorINS8_10device_ptrIyEEEESD_SD_SD_jNS0_19identity_decomposerENS1_16block_id_wrapperIjLb0EEEEE10hipError_tT1_PNSt15iterator_traitsISI_E10value_typeET2_T3_PNSJ_ISO_E10value_typeET4_T5_PST_SU_PNS1_23onesweep_lookback_stateEbbT6_jjT7_P12ihipStream_tbENKUlT_T0_SI_SN_E_clIPySD_S15_SD_EEDaS11_S12_SI_SN_EUlS11_E_NS1_11comp_targetILNS1_3genE10ELNS1_11target_archE1201ELNS1_3gpuE5ELNS1_3repE0EEENS1_47radix_sort_onesweep_sort_config_static_selectorELNS0_4arch9wavefront6targetE1EEEvSI_.num_agpr, 0
	.set _ZN7rocprim17ROCPRIM_400000_NS6detail17trampoline_kernelINS0_14default_configENS1_35radix_sort_onesweep_config_selectorIyyEEZZNS1_29radix_sort_onesweep_iterationIS3_Lb0EN6thrust23THRUST_200600_302600_NS6detail15normal_iteratorINS8_10device_ptrIyEEEESD_SD_SD_jNS0_19identity_decomposerENS1_16block_id_wrapperIjLb0EEEEE10hipError_tT1_PNSt15iterator_traitsISI_E10value_typeET2_T3_PNSJ_ISO_E10value_typeET4_T5_PST_SU_PNS1_23onesweep_lookback_stateEbbT6_jjT7_P12ihipStream_tbENKUlT_T0_SI_SN_E_clIPySD_S15_SD_EEDaS11_S12_SI_SN_EUlS11_E_NS1_11comp_targetILNS1_3genE10ELNS1_11target_archE1201ELNS1_3gpuE5ELNS1_3repE0EEENS1_47radix_sort_onesweep_sort_config_static_selectorELNS0_4arch9wavefront6targetE1EEEvSI_.numbered_sgpr, 0
	.set _ZN7rocprim17ROCPRIM_400000_NS6detail17trampoline_kernelINS0_14default_configENS1_35radix_sort_onesweep_config_selectorIyyEEZZNS1_29radix_sort_onesweep_iterationIS3_Lb0EN6thrust23THRUST_200600_302600_NS6detail15normal_iteratorINS8_10device_ptrIyEEEESD_SD_SD_jNS0_19identity_decomposerENS1_16block_id_wrapperIjLb0EEEEE10hipError_tT1_PNSt15iterator_traitsISI_E10value_typeET2_T3_PNSJ_ISO_E10value_typeET4_T5_PST_SU_PNS1_23onesweep_lookback_stateEbbT6_jjT7_P12ihipStream_tbENKUlT_T0_SI_SN_E_clIPySD_S15_SD_EEDaS11_S12_SI_SN_EUlS11_E_NS1_11comp_targetILNS1_3genE10ELNS1_11target_archE1201ELNS1_3gpuE5ELNS1_3repE0EEENS1_47radix_sort_onesweep_sort_config_static_selectorELNS0_4arch9wavefront6targetE1EEEvSI_.num_named_barrier, 0
	.set _ZN7rocprim17ROCPRIM_400000_NS6detail17trampoline_kernelINS0_14default_configENS1_35radix_sort_onesweep_config_selectorIyyEEZZNS1_29radix_sort_onesweep_iterationIS3_Lb0EN6thrust23THRUST_200600_302600_NS6detail15normal_iteratorINS8_10device_ptrIyEEEESD_SD_SD_jNS0_19identity_decomposerENS1_16block_id_wrapperIjLb0EEEEE10hipError_tT1_PNSt15iterator_traitsISI_E10value_typeET2_T3_PNSJ_ISO_E10value_typeET4_T5_PST_SU_PNS1_23onesweep_lookback_stateEbbT6_jjT7_P12ihipStream_tbENKUlT_T0_SI_SN_E_clIPySD_S15_SD_EEDaS11_S12_SI_SN_EUlS11_E_NS1_11comp_targetILNS1_3genE10ELNS1_11target_archE1201ELNS1_3gpuE5ELNS1_3repE0EEENS1_47radix_sort_onesweep_sort_config_static_selectorELNS0_4arch9wavefront6targetE1EEEvSI_.private_seg_size, 0
	.set _ZN7rocprim17ROCPRIM_400000_NS6detail17trampoline_kernelINS0_14default_configENS1_35radix_sort_onesweep_config_selectorIyyEEZZNS1_29radix_sort_onesweep_iterationIS3_Lb0EN6thrust23THRUST_200600_302600_NS6detail15normal_iteratorINS8_10device_ptrIyEEEESD_SD_SD_jNS0_19identity_decomposerENS1_16block_id_wrapperIjLb0EEEEE10hipError_tT1_PNSt15iterator_traitsISI_E10value_typeET2_T3_PNSJ_ISO_E10value_typeET4_T5_PST_SU_PNS1_23onesweep_lookback_stateEbbT6_jjT7_P12ihipStream_tbENKUlT_T0_SI_SN_E_clIPySD_S15_SD_EEDaS11_S12_SI_SN_EUlS11_E_NS1_11comp_targetILNS1_3genE10ELNS1_11target_archE1201ELNS1_3gpuE5ELNS1_3repE0EEENS1_47radix_sort_onesweep_sort_config_static_selectorELNS0_4arch9wavefront6targetE1EEEvSI_.uses_vcc, 0
	.set _ZN7rocprim17ROCPRIM_400000_NS6detail17trampoline_kernelINS0_14default_configENS1_35radix_sort_onesweep_config_selectorIyyEEZZNS1_29radix_sort_onesweep_iterationIS3_Lb0EN6thrust23THRUST_200600_302600_NS6detail15normal_iteratorINS8_10device_ptrIyEEEESD_SD_SD_jNS0_19identity_decomposerENS1_16block_id_wrapperIjLb0EEEEE10hipError_tT1_PNSt15iterator_traitsISI_E10value_typeET2_T3_PNSJ_ISO_E10value_typeET4_T5_PST_SU_PNS1_23onesweep_lookback_stateEbbT6_jjT7_P12ihipStream_tbENKUlT_T0_SI_SN_E_clIPySD_S15_SD_EEDaS11_S12_SI_SN_EUlS11_E_NS1_11comp_targetILNS1_3genE10ELNS1_11target_archE1201ELNS1_3gpuE5ELNS1_3repE0EEENS1_47radix_sort_onesweep_sort_config_static_selectorELNS0_4arch9wavefront6targetE1EEEvSI_.uses_flat_scratch, 0
	.set _ZN7rocprim17ROCPRIM_400000_NS6detail17trampoline_kernelINS0_14default_configENS1_35radix_sort_onesweep_config_selectorIyyEEZZNS1_29radix_sort_onesweep_iterationIS3_Lb0EN6thrust23THRUST_200600_302600_NS6detail15normal_iteratorINS8_10device_ptrIyEEEESD_SD_SD_jNS0_19identity_decomposerENS1_16block_id_wrapperIjLb0EEEEE10hipError_tT1_PNSt15iterator_traitsISI_E10value_typeET2_T3_PNSJ_ISO_E10value_typeET4_T5_PST_SU_PNS1_23onesweep_lookback_stateEbbT6_jjT7_P12ihipStream_tbENKUlT_T0_SI_SN_E_clIPySD_S15_SD_EEDaS11_S12_SI_SN_EUlS11_E_NS1_11comp_targetILNS1_3genE10ELNS1_11target_archE1201ELNS1_3gpuE5ELNS1_3repE0EEENS1_47radix_sort_onesweep_sort_config_static_selectorELNS0_4arch9wavefront6targetE1EEEvSI_.has_dyn_sized_stack, 0
	.set _ZN7rocprim17ROCPRIM_400000_NS6detail17trampoline_kernelINS0_14default_configENS1_35radix_sort_onesweep_config_selectorIyyEEZZNS1_29radix_sort_onesweep_iterationIS3_Lb0EN6thrust23THRUST_200600_302600_NS6detail15normal_iteratorINS8_10device_ptrIyEEEESD_SD_SD_jNS0_19identity_decomposerENS1_16block_id_wrapperIjLb0EEEEE10hipError_tT1_PNSt15iterator_traitsISI_E10value_typeET2_T3_PNSJ_ISO_E10value_typeET4_T5_PST_SU_PNS1_23onesweep_lookback_stateEbbT6_jjT7_P12ihipStream_tbENKUlT_T0_SI_SN_E_clIPySD_S15_SD_EEDaS11_S12_SI_SN_EUlS11_E_NS1_11comp_targetILNS1_3genE10ELNS1_11target_archE1201ELNS1_3gpuE5ELNS1_3repE0EEENS1_47radix_sort_onesweep_sort_config_static_selectorELNS0_4arch9wavefront6targetE1EEEvSI_.has_recursion, 0
	.set _ZN7rocprim17ROCPRIM_400000_NS6detail17trampoline_kernelINS0_14default_configENS1_35radix_sort_onesweep_config_selectorIyyEEZZNS1_29radix_sort_onesweep_iterationIS3_Lb0EN6thrust23THRUST_200600_302600_NS6detail15normal_iteratorINS8_10device_ptrIyEEEESD_SD_SD_jNS0_19identity_decomposerENS1_16block_id_wrapperIjLb0EEEEE10hipError_tT1_PNSt15iterator_traitsISI_E10value_typeET2_T3_PNSJ_ISO_E10value_typeET4_T5_PST_SU_PNS1_23onesweep_lookback_stateEbbT6_jjT7_P12ihipStream_tbENKUlT_T0_SI_SN_E_clIPySD_S15_SD_EEDaS11_S12_SI_SN_EUlS11_E_NS1_11comp_targetILNS1_3genE10ELNS1_11target_archE1201ELNS1_3gpuE5ELNS1_3repE0EEENS1_47radix_sort_onesweep_sort_config_static_selectorELNS0_4arch9wavefront6targetE1EEEvSI_.has_indirect_call, 0
	.section	.AMDGPU.csdata,"",@progbits
; Kernel info:
; codeLenInByte = 0
; TotalNumSgprs: 6
; NumVgprs: 0
; NumAgprs: 0
; TotalNumVgprs: 0
; ScratchSize: 0
; MemoryBound: 0
; FloatMode: 240
; IeeeMode: 1
; LDSByteSize: 0 bytes/workgroup (compile time only)
; SGPRBlocks: 0
; VGPRBlocks: 0
; NumSGPRsForWavesPerEU: 6
; NumVGPRsForWavesPerEU: 1
; AccumOffset: 4
; Occupancy: 8
; WaveLimiterHint : 0
; COMPUTE_PGM_RSRC2:SCRATCH_EN: 0
; COMPUTE_PGM_RSRC2:USER_SGPR: 2
; COMPUTE_PGM_RSRC2:TRAP_HANDLER: 0
; COMPUTE_PGM_RSRC2:TGID_X_EN: 1
; COMPUTE_PGM_RSRC2:TGID_Y_EN: 0
; COMPUTE_PGM_RSRC2:TGID_Z_EN: 0
; COMPUTE_PGM_RSRC2:TIDIG_COMP_CNT: 0
; COMPUTE_PGM_RSRC3_GFX90A:ACCUM_OFFSET: 0
; COMPUTE_PGM_RSRC3_GFX90A:TG_SPLIT: 0
	.section	.text._ZN7rocprim17ROCPRIM_400000_NS6detail17trampoline_kernelINS0_14default_configENS1_35radix_sort_onesweep_config_selectorIyyEEZZNS1_29radix_sort_onesweep_iterationIS3_Lb0EN6thrust23THRUST_200600_302600_NS6detail15normal_iteratorINS8_10device_ptrIyEEEESD_SD_SD_jNS0_19identity_decomposerENS1_16block_id_wrapperIjLb0EEEEE10hipError_tT1_PNSt15iterator_traitsISI_E10value_typeET2_T3_PNSJ_ISO_E10value_typeET4_T5_PST_SU_PNS1_23onesweep_lookback_stateEbbT6_jjT7_P12ihipStream_tbENKUlT_T0_SI_SN_E_clIPySD_S15_SD_EEDaS11_S12_SI_SN_EUlS11_E_NS1_11comp_targetILNS1_3genE9ELNS1_11target_archE1100ELNS1_3gpuE3ELNS1_3repE0EEENS1_47radix_sort_onesweep_sort_config_static_selectorELNS0_4arch9wavefront6targetE1EEEvSI_,"axG",@progbits,_ZN7rocprim17ROCPRIM_400000_NS6detail17trampoline_kernelINS0_14default_configENS1_35radix_sort_onesweep_config_selectorIyyEEZZNS1_29radix_sort_onesweep_iterationIS3_Lb0EN6thrust23THRUST_200600_302600_NS6detail15normal_iteratorINS8_10device_ptrIyEEEESD_SD_SD_jNS0_19identity_decomposerENS1_16block_id_wrapperIjLb0EEEEE10hipError_tT1_PNSt15iterator_traitsISI_E10value_typeET2_T3_PNSJ_ISO_E10value_typeET4_T5_PST_SU_PNS1_23onesweep_lookback_stateEbbT6_jjT7_P12ihipStream_tbENKUlT_T0_SI_SN_E_clIPySD_S15_SD_EEDaS11_S12_SI_SN_EUlS11_E_NS1_11comp_targetILNS1_3genE9ELNS1_11target_archE1100ELNS1_3gpuE3ELNS1_3repE0EEENS1_47radix_sort_onesweep_sort_config_static_selectorELNS0_4arch9wavefront6targetE1EEEvSI_,comdat
	.protected	_ZN7rocprim17ROCPRIM_400000_NS6detail17trampoline_kernelINS0_14default_configENS1_35radix_sort_onesweep_config_selectorIyyEEZZNS1_29radix_sort_onesweep_iterationIS3_Lb0EN6thrust23THRUST_200600_302600_NS6detail15normal_iteratorINS8_10device_ptrIyEEEESD_SD_SD_jNS0_19identity_decomposerENS1_16block_id_wrapperIjLb0EEEEE10hipError_tT1_PNSt15iterator_traitsISI_E10value_typeET2_T3_PNSJ_ISO_E10value_typeET4_T5_PST_SU_PNS1_23onesweep_lookback_stateEbbT6_jjT7_P12ihipStream_tbENKUlT_T0_SI_SN_E_clIPySD_S15_SD_EEDaS11_S12_SI_SN_EUlS11_E_NS1_11comp_targetILNS1_3genE9ELNS1_11target_archE1100ELNS1_3gpuE3ELNS1_3repE0EEENS1_47radix_sort_onesweep_sort_config_static_selectorELNS0_4arch9wavefront6targetE1EEEvSI_ ; -- Begin function _ZN7rocprim17ROCPRIM_400000_NS6detail17trampoline_kernelINS0_14default_configENS1_35radix_sort_onesweep_config_selectorIyyEEZZNS1_29radix_sort_onesweep_iterationIS3_Lb0EN6thrust23THRUST_200600_302600_NS6detail15normal_iteratorINS8_10device_ptrIyEEEESD_SD_SD_jNS0_19identity_decomposerENS1_16block_id_wrapperIjLb0EEEEE10hipError_tT1_PNSt15iterator_traitsISI_E10value_typeET2_T3_PNSJ_ISO_E10value_typeET4_T5_PST_SU_PNS1_23onesweep_lookback_stateEbbT6_jjT7_P12ihipStream_tbENKUlT_T0_SI_SN_E_clIPySD_S15_SD_EEDaS11_S12_SI_SN_EUlS11_E_NS1_11comp_targetILNS1_3genE9ELNS1_11target_archE1100ELNS1_3gpuE3ELNS1_3repE0EEENS1_47radix_sort_onesweep_sort_config_static_selectorELNS0_4arch9wavefront6targetE1EEEvSI_
	.globl	_ZN7rocprim17ROCPRIM_400000_NS6detail17trampoline_kernelINS0_14default_configENS1_35radix_sort_onesweep_config_selectorIyyEEZZNS1_29radix_sort_onesweep_iterationIS3_Lb0EN6thrust23THRUST_200600_302600_NS6detail15normal_iteratorINS8_10device_ptrIyEEEESD_SD_SD_jNS0_19identity_decomposerENS1_16block_id_wrapperIjLb0EEEEE10hipError_tT1_PNSt15iterator_traitsISI_E10value_typeET2_T3_PNSJ_ISO_E10value_typeET4_T5_PST_SU_PNS1_23onesweep_lookback_stateEbbT6_jjT7_P12ihipStream_tbENKUlT_T0_SI_SN_E_clIPySD_S15_SD_EEDaS11_S12_SI_SN_EUlS11_E_NS1_11comp_targetILNS1_3genE9ELNS1_11target_archE1100ELNS1_3gpuE3ELNS1_3repE0EEENS1_47radix_sort_onesweep_sort_config_static_selectorELNS0_4arch9wavefront6targetE1EEEvSI_
	.p2align	8
	.type	_ZN7rocprim17ROCPRIM_400000_NS6detail17trampoline_kernelINS0_14default_configENS1_35radix_sort_onesweep_config_selectorIyyEEZZNS1_29radix_sort_onesweep_iterationIS3_Lb0EN6thrust23THRUST_200600_302600_NS6detail15normal_iteratorINS8_10device_ptrIyEEEESD_SD_SD_jNS0_19identity_decomposerENS1_16block_id_wrapperIjLb0EEEEE10hipError_tT1_PNSt15iterator_traitsISI_E10value_typeET2_T3_PNSJ_ISO_E10value_typeET4_T5_PST_SU_PNS1_23onesweep_lookback_stateEbbT6_jjT7_P12ihipStream_tbENKUlT_T0_SI_SN_E_clIPySD_S15_SD_EEDaS11_S12_SI_SN_EUlS11_E_NS1_11comp_targetILNS1_3genE9ELNS1_11target_archE1100ELNS1_3gpuE3ELNS1_3repE0EEENS1_47radix_sort_onesweep_sort_config_static_selectorELNS0_4arch9wavefront6targetE1EEEvSI_,@function
_ZN7rocprim17ROCPRIM_400000_NS6detail17trampoline_kernelINS0_14default_configENS1_35radix_sort_onesweep_config_selectorIyyEEZZNS1_29radix_sort_onesweep_iterationIS3_Lb0EN6thrust23THRUST_200600_302600_NS6detail15normal_iteratorINS8_10device_ptrIyEEEESD_SD_SD_jNS0_19identity_decomposerENS1_16block_id_wrapperIjLb0EEEEE10hipError_tT1_PNSt15iterator_traitsISI_E10value_typeET2_T3_PNSJ_ISO_E10value_typeET4_T5_PST_SU_PNS1_23onesweep_lookback_stateEbbT6_jjT7_P12ihipStream_tbENKUlT_T0_SI_SN_E_clIPySD_S15_SD_EEDaS11_S12_SI_SN_EUlS11_E_NS1_11comp_targetILNS1_3genE9ELNS1_11target_archE1100ELNS1_3gpuE3ELNS1_3repE0EEENS1_47radix_sort_onesweep_sort_config_static_selectorELNS0_4arch9wavefront6targetE1EEEvSI_: ; @_ZN7rocprim17ROCPRIM_400000_NS6detail17trampoline_kernelINS0_14default_configENS1_35radix_sort_onesweep_config_selectorIyyEEZZNS1_29radix_sort_onesweep_iterationIS3_Lb0EN6thrust23THRUST_200600_302600_NS6detail15normal_iteratorINS8_10device_ptrIyEEEESD_SD_SD_jNS0_19identity_decomposerENS1_16block_id_wrapperIjLb0EEEEE10hipError_tT1_PNSt15iterator_traitsISI_E10value_typeET2_T3_PNSJ_ISO_E10value_typeET4_T5_PST_SU_PNS1_23onesweep_lookback_stateEbbT6_jjT7_P12ihipStream_tbENKUlT_T0_SI_SN_E_clIPySD_S15_SD_EEDaS11_S12_SI_SN_EUlS11_E_NS1_11comp_targetILNS1_3genE9ELNS1_11target_archE1100ELNS1_3gpuE3ELNS1_3repE0EEENS1_47radix_sort_onesweep_sort_config_static_selectorELNS0_4arch9wavefront6targetE1EEEvSI_
; %bb.0:
	.section	.rodata,"a",@progbits
	.p2align	6, 0x0
	.amdhsa_kernel _ZN7rocprim17ROCPRIM_400000_NS6detail17trampoline_kernelINS0_14default_configENS1_35radix_sort_onesweep_config_selectorIyyEEZZNS1_29radix_sort_onesweep_iterationIS3_Lb0EN6thrust23THRUST_200600_302600_NS6detail15normal_iteratorINS8_10device_ptrIyEEEESD_SD_SD_jNS0_19identity_decomposerENS1_16block_id_wrapperIjLb0EEEEE10hipError_tT1_PNSt15iterator_traitsISI_E10value_typeET2_T3_PNSJ_ISO_E10value_typeET4_T5_PST_SU_PNS1_23onesweep_lookback_stateEbbT6_jjT7_P12ihipStream_tbENKUlT_T0_SI_SN_E_clIPySD_S15_SD_EEDaS11_S12_SI_SN_EUlS11_E_NS1_11comp_targetILNS1_3genE9ELNS1_11target_archE1100ELNS1_3gpuE3ELNS1_3repE0EEENS1_47radix_sort_onesweep_sort_config_static_selectorELNS0_4arch9wavefront6targetE1EEEvSI_
		.amdhsa_group_segment_fixed_size 0
		.amdhsa_private_segment_fixed_size 0
		.amdhsa_kernarg_size 88
		.amdhsa_user_sgpr_count 2
		.amdhsa_user_sgpr_dispatch_ptr 0
		.amdhsa_user_sgpr_queue_ptr 0
		.amdhsa_user_sgpr_kernarg_segment_ptr 1
		.amdhsa_user_sgpr_dispatch_id 0
		.amdhsa_user_sgpr_kernarg_preload_length 0
		.amdhsa_user_sgpr_kernarg_preload_offset 0
		.amdhsa_user_sgpr_private_segment_size 0
		.amdhsa_uses_dynamic_stack 0
		.amdhsa_enable_private_segment 0
		.amdhsa_system_sgpr_workgroup_id_x 1
		.amdhsa_system_sgpr_workgroup_id_y 0
		.amdhsa_system_sgpr_workgroup_id_z 0
		.amdhsa_system_sgpr_workgroup_info 0
		.amdhsa_system_vgpr_workitem_id 0
		.amdhsa_next_free_vgpr 1
		.amdhsa_next_free_sgpr 0
		.amdhsa_accum_offset 4
		.amdhsa_reserve_vcc 0
		.amdhsa_float_round_mode_32 0
		.amdhsa_float_round_mode_16_64 0
		.amdhsa_float_denorm_mode_32 3
		.amdhsa_float_denorm_mode_16_64 3
		.amdhsa_dx10_clamp 1
		.amdhsa_ieee_mode 1
		.amdhsa_fp16_overflow 0
		.amdhsa_tg_split 0
		.amdhsa_exception_fp_ieee_invalid_op 0
		.amdhsa_exception_fp_denorm_src 0
		.amdhsa_exception_fp_ieee_div_zero 0
		.amdhsa_exception_fp_ieee_overflow 0
		.amdhsa_exception_fp_ieee_underflow 0
		.amdhsa_exception_fp_ieee_inexact 0
		.amdhsa_exception_int_div_zero 0
	.end_amdhsa_kernel
	.section	.text._ZN7rocprim17ROCPRIM_400000_NS6detail17trampoline_kernelINS0_14default_configENS1_35radix_sort_onesweep_config_selectorIyyEEZZNS1_29radix_sort_onesweep_iterationIS3_Lb0EN6thrust23THRUST_200600_302600_NS6detail15normal_iteratorINS8_10device_ptrIyEEEESD_SD_SD_jNS0_19identity_decomposerENS1_16block_id_wrapperIjLb0EEEEE10hipError_tT1_PNSt15iterator_traitsISI_E10value_typeET2_T3_PNSJ_ISO_E10value_typeET4_T5_PST_SU_PNS1_23onesweep_lookback_stateEbbT6_jjT7_P12ihipStream_tbENKUlT_T0_SI_SN_E_clIPySD_S15_SD_EEDaS11_S12_SI_SN_EUlS11_E_NS1_11comp_targetILNS1_3genE9ELNS1_11target_archE1100ELNS1_3gpuE3ELNS1_3repE0EEENS1_47radix_sort_onesweep_sort_config_static_selectorELNS0_4arch9wavefront6targetE1EEEvSI_,"axG",@progbits,_ZN7rocprim17ROCPRIM_400000_NS6detail17trampoline_kernelINS0_14default_configENS1_35radix_sort_onesweep_config_selectorIyyEEZZNS1_29radix_sort_onesweep_iterationIS3_Lb0EN6thrust23THRUST_200600_302600_NS6detail15normal_iteratorINS8_10device_ptrIyEEEESD_SD_SD_jNS0_19identity_decomposerENS1_16block_id_wrapperIjLb0EEEEE10hipError_tT1_PNSt15iterator_traitsISI_E10value_typeET2_T3_PNSJ_ISO_E10value_typeET4_T5_PST_SU_PNS1_23onesweep_lookback_stateEbbT6_jjT7_P12ihipStream_tbENKUlT_T0_SI_SN_E_clIPySD_S15_SD_EEDaS11_S12_SI_SN_EUlS11_E_NS1_11comp_targetILNS1_3genE9ELNS1_11target_archE1100ELNS1_3gpuE3ELNS1_3repE0EEENS1_47radix_sort_onesweep_sort_config_static_selectorELNS0_4arch9wavefront6targetE1EEEvSI_,comdat
.Lfunc_end580:
	.size	_ZN7rocprim17ROCPRIM_400000_NS6detail17trampoline_kernelINS0_14default_configENS1_35radix_sort_onesweep_config_selectorIyyEEZZNS1_29radix_sort_onesweep_iterationIS3_Lb0EN6thrust23THRUST_200600_302600_NS6detail15normal_iteratorINS8_10device_ptrIyEEEESD_SD_SD_jNS0_19identity_decomposerENS1_16block_id_wrapperIjLb0EEEEE10hipError_tT1_PNSt15iterator_traitsISI_E10value_typeET2_T3_PNSJ_ISO_E10value_typeET4_T5_PST_SU_PNS1_23onesweep_lookback_stateEbbT6_jjT7_P12ihipStream_tbENKUlT_T0_SI_SN_E_clIPySD_S15_SD_EEDaS11_S12_SI_SN_EUlS11_E_NS1_11comp_targetILNS1_3genE9ELNS1_11target_archE1100ELNS1_3gpuE3ELNS1_3repE0EEENS1_47radix_sort_onesweep_sort_config_static_selectorELNS0_4arch9wavefront6targetE1EEEvSI_, .Lfunc_end580-_ZN7rocprim17ROCPRIM_400000_NS6detail17trampoline_kernelINS0_14default_configENS1_35radix_sort_onesweep_config_selectorIyyEEZZNS1_29radix_sort_onesweep_iterationIS3_Lb0EN6thrust23THRUST_200600_302600_NS6detail15normal_iteratorINS8_10device_ptrIyEEEESD_SD_SD_jNS0_19identity_decomposerENS1_16block_id_wrapperIjLb0EEEEE10hipError_tT1_PNSt15iterator_traitsISI_E10value_typeET2_T3_PNSJ_ISO_E10value_typeET4_T5_PST_SU_PNS1_23onesweep_lookback_stateEbbT6_jjT7_P12ihipStream_tbENKUlT_T0_SI_SN_E_clIPySD_S15_SD_EEDaS11_S12_SI_SN_EUlS11_E_NS1_11comp_targetILNS1_3genE9ELNS1_11target_archE1100ELNS1_3gpuE3ELNS1_3repE0EEENS1_47radix_sort_onesweep_sort_config_static_selectorELNS0_4arch9wavefront6targetE1EEEvSI_
                                        ; -- End function
	.set _ZN7rocprim17ROCPRIM_400000_NS6detail17trampoline_kernelINS0_14default_configENS1_35radix_sort_onesweep_config_selectorIyyEEZZNS1_29radix_sort_onesweep_iterationIS3_Lb0EN6thrust23THRUST_200600_302600_NS6detail15normal_iteratorINS8_10device_ptrIyEEEESD_SD_SD_jNS0_19identity_decomposerENS1_16block_id_wrapperIjLb0EEEEE10hipError_tT1_PNSt15iterator_traitsISI_E10value_typeET2_T3_PNSJ_ISO_E10value_typeET4_T5_PST_SU_PNS1_23onesweep_lookback_stateEbbT6_jjT7_P12ihipStream_tbENKUlT_T0_SI_SN_E_clIPySD_S15_SD_EEDaS11_S12_SI_SN_EUlS11_E_NS1_11comp_targetILNS1_3genE9ELNS1_11target_archE1100ELNS1_3gpuE3ELNS1_3repE0EEENS1_47radix_sort_onesweep_sort_config_static_selectorELNS0_4arch9wavefront6targetE1EEEvSI_.num_vgpr, 0
	.set _ZN7rocprim17ROCPRIM_400000_NS6detail17trampoline_kernelINS0_14default_configENS1_35radix_sort_onesweep_config_selectorIyyEEZZNS1_29radix_sort_onesweep_iterationIS3_Lb0EN6thrust23THRUST_200600_302600_NS6detail15normal_iteratorINS8_10device_ptrIyEEEESD_SD_SD_jNS0_19identity_decomposerENS1_16block_id_wrapperIjLb0EEEEE10hipError_tT1_PNSt15iterator_traitsISI_E10value_typeET2_T3_PNSJ_ISO_E10value_typeET4_T5_PST_SU_PNS1_23onesweep_lookback_stateEbbT6_jjT7_P12ihipStream_tbENKUlT_T0_SI_SN_E_clIPySD_S15_SD_EEDaS11_S12_SI_SN_EUlS11_E_NS1_11comp_targetILNS1_3genE9ELNS1_11target_archE1100ELNS1_3gpuE3ELNS1_3repE0EEENS1_47radix_sort_onesweep_sort_config_static_selectorELNS0_4arch9wavefront6targetE1EEEvSI_.num_agpr, 0
	.set _ZN7rocprim17ROCPRIM_400000_NS6detail17trampoline_kernelINS0_14default_configENS1_35radix_sort_onesweep_config_selectorIyyEEZZNS1_29radix_sort_onesweep_iterationIS3_Lb0EN6thrust23THRUST_200600_302600_NS6detail15normal_iteratorINS8_10device_ptrIyEEEESD_SD_SD_jNS0_19identity_decomposerENS1_16block_id_wrapperIjLb0EEEEE10hipError_tT1_PNSt15iterator_traitsISI_E10value_typeET2_T3_PNSJ_ISO_E10value_typeET4_T5_PST_SU_PNS1_23onesweep_lookback_stateEbbT6_jjT7_P12ihipStream_tbENKUlT_T0_SI_SN_E_clIPySD_S15_SD_EEDaS11_S12_SI_SN_EUlS11_E_NS1_11comp_targetILNS1_3genE9ELNS1_11target_archE1100ELNS1_3gpuE3ELNS1_3repE0EEENS1_47radix_sort_onesweep_sort_config_static_selectorELNS0_4arch9wavefront6targetE1EEEvSI_.numbered_sgpr, 0
	.set _ZN7rocprim17ROCPRIM_400000_NS6detail17trampoline_kernelINS0_14default_configENS1_35radix_sort_onesweep_config_selectorIyyEEZZNS1_29radix_sort_onesweep_iterationIS3_Lb0EN6thrust23THRUST_200600_302600_NS6detail15normal_iteratorINS8_10device_ptrIyEEEESD_SD_SD_jNS0_19identity_decomposerENS1_16block_id_wrapperIjLb0EEEEE10hipError_tT1_PNSt15iterator_traitsISI_E10value_typeET2_T3_PNSJ_ISO_E10value_typeET4_T5_PST_SU_PNS1_23onesweep_lookback_stateEbbT6_jjT7_P12ihipStream_tbENKUlT_T0_SI_SN_E_clIPySD_S15_SD_EEDaS11_S12_SI_SN_EUlS11_E_NS1_11comp_targetILNS1_3genE9ELNS1_11target_archE1100ELNS1_3gpuE3ELNS1_3repE0EEENS1_47radix_sort_onesweep_sort_config_static_selectorELNS0_4arch9wavefront6targetE1EEEvSI_.num_named_barrier, 0
	.set _ZN7rocprim17ROCPRIM_400000_NS6detail17trampoline_kernelINS0_14default_configENS1_35radix_sort_onesweep_config_selectorIyyEEZZNS1_29radix_sort_onesweep_iterationIS3_Lb0EN6thrust23THRUST_200600_302600_NS6detail15normal_iteratorINS8_10device_ptrIyEEEESD_SD_SD_jNS0_19identity_decomposerENS1_16block_id_wrapperIjLb0EEEEE10hipError_tT1_PNSt15iterator_traitsISI_E10value_typeET2_T3_PNSJ_ISO_E10value_typeET4_T5_PST_SU_PNS1_23onesweep_lookback_stateEbbT6_jjT7_P12ihipStream_tbENKUlT_T0_SI_SN_E_clIPySD_S15_SD_EEDaS11_S12_SI_SN_EUlS11_E_NS1_11comp_targetILNS1_3genE9ELNS1_11target_archE1100ELNS1_3gpuE3ELNS1_3repE0EEENS1_47radix_sort_onesweep_sort_config_static_selectorELNS0_4arch9wavefront6targetE1EEEvSI_.private_seg_size, 0
	.set _ZN7rocprim17ROCPRIM_400000_NS6detail17trampoline_kernelINS0_14default_configENS1_35radix_sort_onesweep_config_selectorIyyEEZZNS1_29radix_sort_onesweep_iterationIS3_Lb0EN6thrust23THRUST_200600_302600_NS6detail15normal_iteratorINS8_10device_ptrIyEEEESD_SD_SD_jNS0_19identity_decomposerENS1_16block_id_wrapperIjLb0EEEEE10hipError_tT1_PNSt15iterator_traitsISI_E10value_typeET2_T3_PNSJ_ISO_E10value_typeET4_T5_PST_SU_PNS1_23onesweep_lookback_stateEbbT6_jjT7_P12ihipStream_tbENKUlT_T0_SI_SN_E_clIPySD_S15_SD_EEDaS11_S12_SI_SN_EUlS11_E_NS1_11comp_targetILNS1_3genE9ELNS1_11target_archE1100ELNS1_3gpuE3ELNS1_3repE0EEENS1_47radix_sort_onesweep_sort_config_static_selectorELNS0_4arch9wavefront6targetE1EEEvSI_.uses_vcc, 0
	.set _ZN7rocprim17ROCPRIM_400000_NS6detail17trampoline_kernelINS0_14default_configENS1_35radix_sort_onesweep_config_selectorIyyEEZZNS1_29radix_sort_onesweep_iterationIS3_Lb0EN6thrust23THRUST_200600_302600_NS6detail15normal_iteratorINS8_10device_ptrIyEEEESD_SD_SD_jNS0_19identity_decomposerENS1_16block_id_wrapperIjLb0EEEEE10hipError_tT1_PNSt15iterator_traitsISI_E10value_typeET2_T3_PNSJ_ISO_E10value_typeET4_T5_PST_SU_PNS1_23onesweep_lookback_stateEbbT6_jjT7_P12ihipStream_tbENKUlT_T0_SI_SN_E_clIPySD_S15_SD_EEDaS11_S12_SI_SN_EUlS11_E_NS1_11comp_targetILNS1_3genE9ELNS1_11target_archE1100ELNS1_3gpuE3ELNS1_3repE0EEENS1_47radix_sort_onesweep_sort_config_static_selectorELNS0_4arch9wavefront6targetE1EEEvSI_.uses_flat_scratch, 0
	.set _ZN7rocprim17ROCPRIM_400000_NS6detail17trampoline_kernelINS0_14default_configENS1_35radix_sort_onesweep_config_selectorIyyEEZZNS1_29radix_sort_onesweep_iterationIS3_Lb0EN6thrust23THRUST_200600_302600_NS6detail15normal_iteratorINS8_10device_ptrIyEEEESD_SD_SD_jNS0_19identity_decomposerENS1_16block_id_wrapperIjLb0EEEEE10hipError_tT1_PNSt15iterator_traitsISI_E10value_typeET2_T3_PNSJ_ISO_E10value_typeET4_T5_PST_SU_PNS1_23onesweep_lookback_stateEbbT6_jjT7_P12ihipStream_tbENKUlT_T0_SI_SN_E_clIPySD_S15_SD_EEDaS11_S12_SI_SN_EUlS11_E_NS1_11comp_targetILNS1_3genE9ELNS1_11target_archE1100ELNS1_3gpuE3ELNS1_3repE0EEENS1_47radix_sort_onesweep_sort_config_static_selectorELNS0_4arch9wavefront6targetE1EEEvSI_.has_dyn_sized_stack, 0
	.set _ZN7rocprim17ROCPRIM_400000_NS6detail17trampoline_kernelINS0_14default_configENS1_35radix_sort_onesweep_config_selectorIyyEEZZNS1_29radix_sort_onesweep_iterationIS3_Lb0EN6thrust23THRUST_200600_302600_NS6detail15normal_iteratorINS8_10device_ptrIyEEEESD_SD_SD_jNS0_19identity_decomposerENS1_16block_id_wrapperIjLb0EEEEE10hipError_tT1_PNSt15iterator_traitsISI_E10value_typeET2_T3_PNSJ_ISO_E10value_typeET4_T5_PST_SU_PNS1_23onesweep_lookback_stateEbbT6_jjT7_P12ihipStream_tbENKUlT_T0_SI_SN_E_clIPySD_S15_SD_EEDaS11_S12_SI_SN_EUlS11_E_NS1_11comp_targetILNS1_3genE9ELNS1_11target_archE1100ELNS1_3gpuE3ELNS1_3repE0EEENS1_47radix_sort_onesweep_sort_config_static_selectorELNS0_4arch9wavefront6targetE1EEEvSI_.has_recursion, 0
	.set _ZN7rocprim17ROCPRIM_400000_NS6detail17trampoline_kernelINS0_14default_configENS1_35radix_sort_onesweep_config_selectorIyyEEZZNS1_29radix_sort_onesweep_iterationIS3_Lb0EN6thrust23THRUST_200600_302600_NS6detail15normal_iteratorINS8_10device_ptrIyEEEESD_SD_SD_jNS0_19identity_decomposerENS1_16block_id_wrapperIjLb0EEEEE10hipError_tT1_PNSt15iterator_traitsISI_E10value_typeET2_T3_PNSJ_ISO_E10value_typeET4_T5_PST_SU_PNS1_23onesweep_lookback_stateEbbT6_jjT7_P12ihipStream_tbENKUlT_T0_SI_SN_E_clIPySD_S15_SD_EEDaS11_S12_SI_SN_EUlS11_E_NS1_11comp_targetILNS1_3genE9ELNS1_11target_archE1100ELNS1_3gpuE3ELNS1_3repE0EEENS1_47radix_sort_onesweep_sort_config_static_selectorELNS0_4arch9wavefront6targetE1EEEvSI_.has_indirect_call, 0
	.section	.AMDGPU.csdata,"",@progbits
; Kernel info:
; codeLenInByte = 0
; TotalNumSgprs: 6
; NumVgprs: 0
; NumAgprs: 0
; TotalNumVgprs: 0
; ScratchSize: 0
; MemoryBound: 0
; FloatMode: 240
; IeeeMode: 1
; LDSByteSize: 0 bytes/workgroup (compile time only)
; SGPRBlocks: 0
; VGPRBlocks: 0
; NumSGPRsForWavesPerEU: 6
; NumVGPRsForWavesPerEU: 1
; AccumOffset: 4
; Occupancy: 8
; WaveLimiterHint : 0
; COMPUTE_PGM_RSRC2:SCRATCH_EN: 0
; COMPUTE_PGM_RSRC2:USER_SGPR: 2
; COMPUTE_PGM_RSRC2:TRAP_HANDLER: 0
; COMPUTE_PGM_RSRC2:TGID_X_EN: 1
; COMPUTE_PGM_RSRC2:TGID_Y_EN: 0
; COMPUTE_PGM_RSRC2:TGID_Z_EN: 0
; COMPUTE_PGM_RSRC2:TIDIG_COMP_CNT: 0
; COMPUTE_PGM_RSRC3_GFX90A:ACCUM_OFFSET: 0
; COMPUTE_PGM_RSRC3_GFX90A:TG_SPLIT: 0
	.section	.text._ZN7rocprim17ROCPRIM_400000_NS6detail17trampoline_kernelINS0_14default_configENS1_35radix_sort_onesweep_config_selectorIyyEEZZNS1_29radix_sort_onesweep_iterationIS3_Lb0EN6thrust23THRUST_200600_302600_NS6detail15normal_iteratorINS8_10device_ptrIyEEEESD_SD_SD_jNS0_19identity_decomposerENS1_16block_id_wrapperIjLb0EEEEE10hipError_tT1_PNSt15iterator_traitsISI_E10value_typeET2_T3_PNSJ_ISO_E10value_typeET4_T5_PST_SU_PNS1_23onesweep_lookback_stateEbbT6_jjT7_P12ihipStream_tbENKUlT_T0_SI_SN_E_clIPySD_S15_SD_EEDaS11_S12_SI_SN_EUlS11_E_NS1_11comp_targetILNS1_3genE8ELNS1_11target_archE1030ELNS1_3gpuE2ELNS1_3repE0EEENS1_47radix_sort_onesweep_sort_config_static_selectorELNS0_4arch9wavefront6targetE1EEEvSI_,"axG",@progbits,_ZN7rocprim17ROCPRIM_400000_NS6detail17trampoline_kernelINS0_14default_configENS1_35radix_sort_onesweep_config_selectorIyyEEZZNS1_29radix_sort_onesweep_iterationIS3_Lb0EN6thrust23THRUST_200600_302600_NS6detail15normal_iteratorINS8_10device_ptrIyEEEESD_SD_SD_jNS0_19identity_decomposerENS1_16block_id_wrapperIjLb0EEEEE10hipError_tT1_PNSt15iterator_traitsISI_E10value_typeET2_T3_PNSJ_ISO_E10value_typeET4_T5_PST_SU_PNS1_23onesweep_lookback_stateEbbT6_jjT7_P12ihipStream_tbENKUlT_T0_SI_SN_E_clIPySD_S15_SD_EEDaS11_S12_SI_SN_EUlS11_E_NS1_11comp_targetILNS1_3genE8ELNS1_11target_archE1030ELNS1_3gpuE2ELNS1_3repE0EEENS1_47radix_sort_onesweep_sort_config_static_selectorELNS0_4arch9wavefront6targetE1EEEvSI_,comdat
	.protected	_ZN7rocprim17ROCPRIM_400000_NS6detail17trampoline_kernelINS0_14default_configENS1_35radix_sort_onesweep_config_selectorIyyEEZZNS1_29radix_sort_onesweep_iterationIS3_Lb0EN6thrust23THRUST_200600_302600_NS6detail15normal_iteratorINS8_10device_ptrIyEEEESD_SD_SD_jNS0_19identity_decomposerENS1_16block_id_wrapperIjLb0EEEEE10hipError_tT1_PNSt15iterator_traitsISI_E10value_typeET2_T3_PNSJ_ISO_E10value_typeET4_T5_PST_SU_PNS1_23onesweep_lookback_stateEbbT6_jjT7_P12ihipStream_tbENKUlT_T0_SI_SN_E_clIPySD_S15_SD_EEDaS11_S12_SI_SN_EUlS11_E_NS1_11comp_targetILNS1_3genE8ELNS1_11target_archE1030ELNS1_3gpuE2ELNS1_3repE0EEENS1_47radix_sort_onesweep_sort_config_static_selectorELNS0_4arch9wavefront6targetE1EEEvSI_ ; -- Begin function _ZN7rocprim17ROCPRIM_400000_NS6detail17trampoline_kernelINS0_14default_configENS1_35radix_sort_onesweep_config_selectorIyyEEZZNS1_29radix_sort_onesweep_iterationIS3_Lb0EN6thrust23THRUST_200600_302600_NS6detail15normal_iteratorINS8_10device_ptrIyEEEESD_SD_SD_jNS0_19identity_decomposerENS1_16block_id_wrapperIjLb0EEEEE10hipError_tT1_PNSt15iterator_traitsISI_E10value_typeET2_T3_PNSJ_ISO_E10value_typeET4_T5_PST_SU_PNS1_23onesweep_lookback_stateEbbT6_jjT7_P12ihipStream_tbENKUlT_T0_SI_SN_E_clIPySD_S15_SD_EEDaS11_S12_SI_SN_EUlS11_E_NS1_11comp_targetILNS1_3genE8ELNS1_11target_archE1030ELNS1_3gpuE2ELNS1_3repE0EEENS1_47radix_sort_onesweep_sort_config_static_selectorELNS0_4arch9wavefront6targetE1EEEvSI_
	.globl	_ZN7rocprim17ROCPRIM_400000_NS6detail17trampoline_kernelINS0_14default_configENS1_35radix_sort_onesweep_config_selectorIyyEEZZNS1_29radix_sort_onesweep_iterationIS3_Lb0EN6thrust23THRUST_200600_302600_NS6detail15normal_iteratorINS8_10device_ptrIyEEEESD_SD_SD_jNS0_19identity_decomposerENS1_16block_id_wrapperIjLb0EEEEE10hipError_tT1_PNSt15iterator_traitsISI_E10value_typeET2_T3_PNSJ_ISO_E10value_typeET4_T5_PST_SU_PNS1_23onesweep_lookback_stateEbbT6_jjT7_P12ihipStream_tbENKUlT_T0_SI_SN_E_clIPySD_S15_SD_EEDaS11_S12_SI_SN_EUlS11_E_NS1_11comp_targetILNS1_3genE8ELNS1_11target_archE1030ELNS1_3gpuE2ELNS1_3repE0EEENS1_47radix_sort_onesweep_sort_config_static_selectorELNS0_4arch9wavefront6targetE1EEEvSI_
	.p2align	8
	.type	_ZN7rocprim17ROCPRIM_400000_NS6detail17trampoline_kernelINS0_14default_configENS1_35radix_sort_onesweep_config_selectorIyyEEZZNS1_29radix_sort_onesweep_iterationIS3_Lb0EN6thrust23THRUST_200600_302600_NS6detail15normal_iteratorINS8_10device_ptrIyEEEESD_SD_SD_jNS0_19identity_decomposerENS1_16block_id_wrapperIjLb0EEEEE10hipError_tT1_PNSt15iterator_traitsISI_E10value_typeET2_T3_PNSJ_ISO_E10value_typeET4_T5_PST_SU_PNS1_23onesweep_lookback_stateEbbT6_jjT7_P12ihipStream_tbENKUlT_T0_SI_SN_E_clIPySD_S15_SD_EEDaS11_S12_SI_SN_EUlS11_E_NS1_11comp_targetILNS1_3genE8ELNS1_11target_archE1030ELNS1_3gpuE2ELNS1_3repE0EEENS1_47radix_sort_onesweep_sort_config_static_selectorELNS0_4arch9wavefront6targetE1EEEvSI_,@function
_ZN7rocprim17ROCPRIM_400000_NS6detail17trampoline_kernelINS0_14default_configENS1_35radix_sort_onesweep_config_selectorIyyEEZZNS1_29radix_sort_onesweep_iterationIS3_Lb0EN6thrust23THRUST_200600_302600_NS6detail15normal_iteratorINS8_10device_ptrIyEEEESD_SD_SD_jNS0_19identity_decomposerENS1_16block_id_wrapperIjLb0EEEEE10hipError_tT1_PNSt15iterator_traitsISI_E10value_typeET2_T3_PNSJ_ISO_E10value_typeET4_T5_PST_SU_PNS1_23onesweep_lookback_stateEbbT6_jjT7_P12ihipStream_tbENKUlT_T0_SI_SN_E_clIPySD_S15_SD_EEDaS11_S12_SI_SN_EUlS11_E_NS1_11comp_targetILNS1_3genE8ELNS1_11target_archE1030ELNS1_3gpuE2ELNS1_3repE0EEENS1_47radix_sort_onesweep_sort_config_static_selectorELNS0_4arch9wavefront6targetE1EEEvSI_: ; @_ZN7rocprim17ROCPRIM_400000_NS6detail17trampoline_kernelINS0_14default_configENS1_35radix_sort_onesweep_config_selectorIyyEEZZNS1_29radix_sort_onesweep_iterationIS3_Lb0EN6thrust23THRUST_200600_302600_NS6detail15normal_iteratorINS8_10device_ptrIyEEEESD_SD_SD_jNS0_19identity_decomposerENS1_16block_id_wrapperIjLb0EEEEE10hipError_tT1_PNSt15iterator_traitsISI_E10value_typeET2_T3_PNSJ_ISO_E10value_typeET4_T5_PST_SU_PNS1_23onesweep_lookback_stateEbbT6_jjT7_P12ihipStream_tbENKUlT_T0_SI_SN_E_clIPySD_S15_SD_EEDaS11_S12_SI_SN_EUlS11_E_NS1_11comp_targetILNS1_3genE8ELNS1_11target_archE1030ELNS1_3gpuE2ELNS1_3repE0EEENS1_47radix_sort_onesweep_sort_config_static_selectorELNS0_4arch9wavefront6targetE1EEEvSI_
; %bb.0:
	.section	.rodata,"a",@progbits
	.p2align	6, 0x0
	.amdhsa_kernel _ZN7rocprim17ROCPRIM_400000_NS6detail17trampoline_kernelINS0_14default_configENS1_35radix_sort_onesweep_config_selectorIyyEEZZNS1_29radix_sort_onesweep_iterationIS3_Lb0EN6thrust23THRUST_200600_302600_NS6detail15normal_iteratorINS8_10device_ptrIyEEEESD_SD_SD_jNS0_19identity_decomposerENS1_16block_id_wrapperIjLb0EEEEE10hipError_tT1_PNSt15iterator_traitsISI_E10value_typeET2_T3_PNSJ_ISO_E10value_typeET4_T5_PST_SU_PNS1_23onesweep_lookback_stateEbbT6_jjT7_P12ihipStream_tbENKUlT_T0_SI_SN_E_clIPySD_S15_SD_EEDaS11_S12_SI_SN_EUlS11_E_NS1_11comp_targetILNS1_3genE8ELNS1_11target_archE1030ELNS1_3gpuE2ELNS1_3repE0EEENS1_47radix_sort_onesweep_sort_config_static_selectorELNS0_4arch9wavefront6targetE1EEEvSI_
		.amdhsa_group_segment_fixed_size 0
		.amdhsa_private_segment_fixed_size 0
		.amdhsa_kernarg_size 88
		.amdhsa_user_sgpr_count 2
		.amdhsa_user_sgpr_dispatch_ptr 0
		.amdhsa_user_sgpr_queue_ptr 0
		.amdhsa_user_sgpr_kernarg_segment_ptr 1
		.amdhsa_user_sgpr_dispatch_id 0
		.amdhsa_user_sgpr_kernarg_preload_length 0
		.amdhsa_user_sgpr_kernarg_preload_offset 0
		.amdhsa_user_sgpr_private_segment_size 0
		.amdhsa_uses_dynamic_stack 0
		.amdhsa_enable_private_segment 0
		.amdhsa_system_sgpr_workgroup_id_x 1
		.amdhsa_system_sgpr_workgroup_id_y 0
		.amdhsa_system_sgpr_workgroup_id_z 0
		.amdhsa_system_sgpr_workgroup_info 0
		.amdhsa_system_vgpr_workitem_id 0
		.amdhsa_next_free_vgpr 1
		.amdhsa_next_free_sgpr 0
		.amdhsa_accum_offset 4
		.amdhsa_reserve_vcc 0
		.amdhsa_float_round_mode_32 0
		.amdhsa_float_round_mode_16_64 0
		.amdhsa_float_denorm_mode_32 3
		.amdhsa_float_denorm_mode_16_64 3
		.amdhsa_dx10_clamp 1
		.amdhsa_ieee_mode 1
		.amdhsa_fp16_overflow 0
		.amdhsa_tg_split 0
		.amdhsa_exception_fp_ieee_invalid_op 0
		.amdhsa_exception_fp_denorm_src 0
		.amdhsa_exception_fp_ieee_div_zero 0
		.amdhsa_exception_fp_ieee_overflow 0
		.amdhsa_exception_fp_ieee_underflow 0
		.amdhsa_exception_fp_ieee_inexact 0
		.amdhsa_exception_int_div_zero 0
	.end_amdhsa_kernel
	.section	.text._ZN7rocprim17ROCPRIM_400000_NS6detail17trampoline_kernelINS0_14default_configENS1_35radix_sort_onesweep_config_selectorIyyEEZZNS1_29radix_sort_onesweep_iterationIS3_Lb0EN6thrust23THRUST_200600_302600_NS6detail15normal_iteratorINS8_10device_ptrIyEEEESD_SD_SD_jNS0_19identity_decomposerENS1_16block_id_wrapperIjLb0EEEEE10hipError_tT1_PNSt15iterator_traitsISI_E10value_typeET2_T3_PNSJ_ISO_E10value_typeET4_T5_PST_SU_PNS1_23onesweep_lookback_stateEbbT6_jjT7_P12ihipStream_tbENKUlT_T0_SI_SN_E_clIPySD_S15_SD_EEDaS11_S12_SI_SN_EUlS11_E_NS1_11comp_targetILNS1_3genE8ELNS1_11target_archE1030ELNS1_3gpuE2ELNS1_3repE0EEENS1_47radix_sort_onesweep_sort_config_static_selectorELNS0_4arch9wavefront6targetE1EEEvSI_,"axG",@progbits,_ZN7rocprim17ROCPRIM_400000_NS6detail17trampoline_kernelINS0_14default_configENS1_35radix_sort_onesweep_config_selectorIyyEEZZNS1_29radix_sort_onesweep_iterationIS3_Lb0EN6thrust23THRUST_200600_302600_NS6detail15normal_iteratorINS8_10device_ptrIyEEEESD_SD_SD_jNS0_19identity_decomposerENS1_16block_id_wrapperIjLb0EEEEE10hipError_tT1_PNSt15iterator_traitsISI_E10value_typeET2_T3_PNSJ_ISO_E10value_typeET4_T5_PST_SU_PNS1_23onesweep_lookback_stateEbbT6_jjT7_P12ihipStream_tbENKUlT_T0_SI_SN_E_clIPySD_S15_SD_EEDaS11_S12_SI_SN_EUlS11_E_NS1_11comp_targetILNS1_3genE8ELNS1_11target_archE1030ELNS1_3gpuE2ELNS1_3repE0EEENS1_47radix_sort_onesweep_sort_config_static_selectorELNS0_4arch9wavefront6targetE1EEEvSI_,comdat
.Lfunc_end581:
	.size	_ZN7rocprim17ROCPRIM_400000_NS6detail17trampoline_kernelINS0_14default_configENS1_35radix_sort_onesweep_config_selectorIyyEEZZNS1_29radix_sort_onesweep_iterationIS3_Lb0EN6thrust23THRUST_200600_302600_NS6detail15normal_iteratorINS8_10device_ptrIyEEEESD_SD_SD_jNS0_19identity_decomposerENS1_16block_id_wrapperIjLb0EEEEE10hipError_tT1_PNSt15iterator_traitsISI_E10value_typeET2_T3_PNSJ_ISO_E10value_typeET4_T5_PST_SU_PNS1_23onesweep_lookback_stateEbbT6_jjT7_P12ihipStream_tbENKUlT_T0_SI_SN_E_clIPySD_S15_SD_EEDaS11_S12_SI_SN_EUlS11_E_NS1_11comp_targetILNS1_3genE8ELNS1_11target_archE1030ELNS1_3gpuE2ELNS1_3repE0EEENS1_47radix_sort_onesweep_sort_config_static_selectorELNS0_4arch9wavefront6targetE1EEEvSI_, .Lfunc_end581-_ZN7rocprim17ROCPRIM_400000_NS6detail17trampoline_kernelINS0_14default_configENS1_35radix_sort_onesweep_config_selectorIyyEEZZNS1_29radix_sort_onesweep_iterationIS3_Lb0EN6thrust23THRUST_200600_302600_NS6detail15normal_iteratorINS8_10device_ptrIyEEEESD_SD_SD_jNS0_19identity_decomposerENS1_16block_id_wrapperIjLb0EEEEE10hipError_tT1_PNSt15iterator_traitsISI_E10value_typeET2_T3_PNSJ_ISO_E10value_typeET4_T5_PST_SU_PNS1_23onesweep_lookback_stateEbbT6_jjT7_P12ihipStream_tbENKUlT_T0_SI_SN_E_clIPySD_S15_SD_EEDaS11_S12_SI_SN_EUlS11_E_NS1_11comp_targetILNS1_3genE8ELNS1_11target_archE1030ELNS1_3gpuE2ELNS1_3repE0EEENS1_47radix_sort_onesweep_sort_config_static_selectorELNS0_4arch9wavefront6targetE1EEEvSI_
                                        ; -- End function
	.set _ZN7rocprim17ROCPRIM_400000_NS6detail17trampoline_kernelINS0_14default_configENS1_35radix_sort_onesweep_config_selectorIyyEEZZNS1_29radix_sort_onesweep_iterationIS3_Lb0EN6thrust23THRUST_200600_302600_NS6detail15normal_iteratorINS8_10device_ptrIyEEEESD_SD_SD_jNS0_19identity_decomposerENS1_16block_id_wrapperIjLb0EEEEE10hipError_tT1_PNSt15iterator_traitsISI_E10value_typeET2_T3_PNSJ_ISO_E10value_typeET4_T5_PST_SU_PNS1_23onesweep_lookback_stateEbbT6_jjT7_P12ihipStream_tbENKUlT_T0_SI_SN_E_clIPySD_S15_SD_EEDaS11_S12_SI_SN_EUlS11_E_NS1_11comp_targetILNS1_3genE8ELNS1_11target_archE1030ELNS1_3gpuE2ELNS1_3repE0EEENS1_47radix_sort_onesweep_sort_config_static_selectorELNS0_4arch9wavefront6targetE1EEEvSI_.num_vgpr, 0
	.set _ZN7rocprim17ROCPRIM_400000_NS6detail17trampoline_kernelINS0_14default_configENS1_35radix_sort_onesweep_config_selectorIyyEEZZNS1_29radix_sort_onesweep_iterationIS3_Lb0EN6thrust23THRUST_200600_302600_NS6detail15normal_iteratorINS8_10device_ptrIyEEEESD_SD_SD_jNS0_19identity_decomposerENS1_16block_id_wrapperIjLb0EEEEE10hipError_tT1_PNSt15iterator_traitsISI_E10value_typeET2_T3_PNSJ_ISO_E10value_typeET4_T5_PST_SU_PNS1_23onesweep_lookback_stateEbbT6_jjT7_P12ihipStream_tbENKUlT_T0_SI_SN_E_clIPySD_S15_SD_EEDaS11_S12_SI_SN_EUlS11_E_NS1_11comp_targetILNS1_3genE8ELNS1_11target_archE1030ELNS1_3gpuE2ELNS1_3repE0EEENS1_47radix_sort_onesweep_sort_config_static_selectorELNS0_4arch9wavefront6targetE1EEEvSI_.num_agpr, 0
	.set _ZN7rocprim17ROCPRIM_400000_NS6detail17trampoline_kernelINS0_14default_configENS1_35radix_sort_onesweep_config_selectorIyyEEZZNS1_29radix_sort_onesweep_iterationIS3_Lb0EN6thrust23THRUST_200600_302600_NS6detail15normal_iteratorINS8_10device_ptrIyEEEESD_SD_SD_jNS0_19identity_decomposerENS1_16block_id_wrapperIjLb0EEEEE10hipError_tT1_PNSt15iterator_traitsISI_E10value_typeET2_T3_PNSJ_ISO_E10value_typeET4_T5_PST_SU_PNS1_23onesweep_lookback_stateEbbT6_jjT7_P12ihipStream_tbENKUlT_T0_SI_SN_E_clIPySD_S15_SD_EEDaS11_S12_SI_SN_EUlS11_E_NS1_11comp_targetILNS1_3genE8ELNS1_11target_archE1030ELNS1_3gpuE2ELNS1_3repE0EEENS1_47radix_sort_onesweep_sort_config_static_selectorELNS0_4arch9wavefront6targetE1EEEvSI_.numbered_sgpr, 0
	.set _ZN7rocprim17ROCPRIM_400000_NS6detail17trampoline_kernelINS0_14default_configENS1_35radix_sort_onesweep_config_selectorIyyEEZZNS1_29radix_sort_onesweep_iterationIS3_Lb0EN6thrust23THRUST_200600_302600_NS6detail15normal_iteratorINS8_10device_ptrIyEEEESD_SD_SD_jNS0_19identity_decomposerENS1_16block_id_wrapperIjLb0EEEEE10hipError_tT1_PNSt15iterator_traitsISI_E10value_typeET2_T3_PNSJ_ISO_E10value_typeET4_T5_PST_SU_PNS1_23onesweep_lookback_stateEbbT6_jjT7_P12ihipStream_tbENKUlT_T0_SI_SN_E_clIPySD_S15_SD_EEDaS11_S12_SI_SN_EUlS11_E_NS1_11comp_targetILNS1_3genE8ELNS1_11target_archE1030ELNS1_3gpuE2ELNS1_3repE0EEENS1_47radix_sort_onesweep_sort_config_static_selectorELNS0_4arch9wavefront6targetE1EEEvSI_.num_named_barrier, 0
	.set _ZN7rocprim17ROCPRIM_400000_NS6detail17trampoline_kernelINS0_14default_configENS1_35radix_sort_onesweep_config_selectorIyyEEZZNS1_29radix_sort_onesweep_iterationIS3_Lb0EN6thrust23THRUST_200600_302600_NS6detail15normal_iteratorINS8_10device_ptrIyEEEESD_SD_SD_jNS0_19identity_decomposerENS1_16block_id_wrapperIjLb0EEEEE10hipError_tT1_PNSt15iterator_traitsISI_E10value_typeET2_T3_PNSJ_ISO_E10value_typeET4_T5_PST_SU_PNS1_23onesweep_lookback_stateEbbT6_jjT7_P12ihipStream_tbENKUlT_T0_SI_SN_E_clIPySD_S15_SD_EEDaS11_S12_SI_SN_EUlS11_E_NS1_11comp_targetILNS1_3genE8ELNS1_11target_archE1030ELNS1_3gpuE2ELNS1_3repE0EEENS1_47radix_sort_onesweep_sort_config_static_selectorELNS0_4arch9wavefront6targetE1EEEvSI_.private_seg_size, 0
	.set _ZN7rocprim17ROCPRIM_400000_NS6detail17trampoline_kernelINS0_14default_configENS1_35radix_sort_onesweep_config_selectorIyyEEZZNS1_29radix_sort_onesweep_iterationIS3_Lb0EN6thrust23THRUST_200600_302600_NS6detail15normal_iteratorINS8_10device_ptrIyEEEESD_SD_SD_jNS0_19identity_decomposerENS1_16block_id_wrapperIjLb0EEEEE10hipError_tT1_PNSt15iterator_traitsISI_E10value_typeET2_T3_PNSJ_ISO_E10value_typeET4_T5_PST_SU_PNS1_23onesweep_lookback_stateEbbT6_jjT7_P12ihipStream_tbENKUlT_T0_SI_SN_E_clIPySD_S15_SD_EEDaS11_S12_SI_SN_EUlS11_E_NS1_11comp_targetILNS1_3genE8ELNS1_11target_archE1030ELNS1_3gpuE2ELNS1_3repE0EEENS1_47radix_sort_onesweep_sort_config_static_selectorELNS0_4arch9wavefront6targetE1EEEvSI_.uses_vcc, 0
	.set _ZN7rocprim17ROCPRIM_400000_NS6detail17trampoline_kernelINS0_14default_configENS1_35radix_sort_onesweep_config_selectorIyyEEZZNS1_29radix_sort_onesweep_iterationIS3_Lb0EN6thrust23THRUST_200600_302600_NS6detail15normal_iteratorINS8_10device_ptrIyEEEESD_SD_SD_jNS0_19identity_decomposerENS1_16block_id_wrapperIjLb0EEEEE10hipError_tT1_PNSt15iterator_traitsISI_E10value_typeET2_T3_PNSJ_ISO_E10value_typeET4_T5_PST_SU_PNS1_23onesweep_lookback_stateEbbT6_jjT7_P12ihipStream_tbENKUlT_T0_SI_SN_E_clIPySD_S15_SD_EEDaS11_S12_SI_SN_EUlS11_E_NS1_11comp_targetILNS1_3genE8ELNS1_11target_archE1030ELNS1_3gpuE2ELNS1_3repE0EEENS1_47radix_sort_onesweep_sort_config_static_selectorELNS0_4arch9wavefront6targetE1EEEvSI_.uses_flat_scratch, 0
	.set _ZN7rocprim17ROCPRIM_400000_NS6detail17trampoline_kernelINS0_14default_configENS1_35radix_sort_onesweep_config_selectorIyyEEZZNS1_29radix_sort_onesweep_iterationIS3_Lb0EN6thrust23THRUST_200600_302600_NS6detail15normal_iteratorINS8_10device_ptrIyEEEESD_SD_SD_jNS0_19identity_decomposerENS1_16block_id_wrapperIjLb0EEEEE10hipError_tT1_PNSt15iterator_traitsISI_E10value_typeET2_T3_PNSJ_ISO_E10value_typeET4_T5_PST_SU_PNS1_23onesweep_lookback_stateEbbT6_jjT7_P12ihipStream_tbENKUlT_T0_SI_SN_E_clIPySD_S15_SD_EEDaS11_S12_SI_SN_EUlS11_E_NS1_11comp_targetILNS1_3genE8ELNS1_11target_archE1030ELNS1_3gpuE2ELNS1_3repE0EEENS1_47radix_sort_onesweep_sort_config_static_selectorELNS0_4arch9wavefront6targetE1EEEvSI_.has_dyn_sized_stack, 0
	.set _ZN7rocprim17ROCPRIM_400000_NS6detail17trampoline_kernelINS0_14default_configENS1_35radix_sort_onesweep_config_selectorIyyEEZZNS1_29radix_sort_onesweep_iterationIS3_Lb0EN6thrust23THRUST_200600_302600_NS6detail15normal_iteratorINS8_10device_ptrIyEEEESD_SD_SD_jNS0_19identity_decomposerENS1_16block_id_wrapperIjLb0EEEEE10hipError_tT1_PNSt15iterator_traitsISI_E10value_typeET2_T3_PNSJ_ISO_E10value_typeET4_T5_PST_SU_PNS1_23onesweep_lookback_stateEbbT6_jjT7_P12ihipStream_tbENKUlT_T0_SI_SN_E_clIPySD_S15_SD_EEDaS11_S12_SI_SN_EUlS11_E_NS1_11comp_targetILNS1_3genE8ELNS1_11target_archE1030ELNS1_3gpuE2ELNS1_3repE0EEENS1_47radix_sort_onesweep_sort_config_static_selectorELNS0_4arch9wavefront6targetE1EEEvSI_.has_recursion, 0
	.set _ZN7rocprim17ROCPRIM_400000_NS6detail17trampoline_kernelINS0_14default_configENS1_35radix_sort_onesweep_config_selectorIyyEEZZNS1_29radix_sort_onesweep_iterationIS3_Lb0EN6thrust23THRUST_200600_302600_NS6detail15normal_iteratorINS8_10device_ptrIyEEEESD_SD_SD_jNS0_19identity_decomposerENS1_16block_id_wrapperIjLb0EEEEE10hipError_tT1_PNSt15iterator_traitsISI_E10value_typeET2_T3_PNSJ_ISO_E10value_typeET4_T5_PST_SU_PNS1_23onesweep_lookback_stateEbbT6_jjT7_P12ihipStream_tbENKUlT_T0_SI_SN_E_clIPySD_S15_SD_EEDaS11_S12_SI_SN_EUlS11_E_NS1_11comp_targetILNS1_3genE8ELNS1_11target_archE1030ELNS1_3gpuE2ELNS1_3repE0EEENS1_47radix_sort_onesweep_sort_config_static_selectorELNS0_4arch9wavefront6targetE1EEEvSI_.has_indirect_call, 0
	.section	.AMDGPU.csdata,"",@progbits
; Kernel info:
; codeLenInByte = 0
; TotalNumSgprs: 6
; NumVgprs: 0
; NumAgprs: 0
; TotalNumVgprs: 0
; ScratchSize: 0
; MemoryBound: 0
; FloatMode: 240
; IeeeMode: 1
; LDSByteSize: 0 bytes/workgroup (compile time only)
; SGPRBlocks: 0
; VGPRBlocks: 0
; NumSGPRsForWavesPerEU: 6
; NumVGPRsForWavesPerEU: 1
; AccumOffset: 4
; Occupancy: 8
; WaveLimiterHint : 0
; COMPUTE_PGM_RSRC2:SCRATCH_EN: 0
; COMPUTE_PGM_RSRC2:USER_SGPR: 2
; COMPUTE_PGM_RSRC2:TRAP_HANDLER: 0
; COMPUTE_PGM_RSRC2:TGID_X_EN: 1
; COMPUTE_PGM_RSRC2:TGID_Y_EN: 0
; COMPUTE_PGM_RSRC2:TGID_Z_EN: 0
; COMPUTE_PGM_RSRC2:TIDIG_COMP_CNT: 0
; COMPUTE_PGM_RSRC3_GFX90A:ACCUM_OFFSET: 0
; COMPUTE_PGM_RSRC3_GFX90A:TG_SPLIT: 0
	.section	.text._ZN7rocprim17ROCPRIM_400000_NS6detail17trampoline_kernelINS0_14default_configENS1_22reduce_config_selectorIN6thrust23THRUST_200600_302600_NS5tupleIblNS6_9null_typeES8_S8_S8_S8_S8_S8_S8_EEEEZNS1_11reduce_implILb1ES3_NS6_12zip_iteratorINS7_INS6_11hip_rocprim26transform_input_iterator_tIbNSD_35transform_pair_of_input_iterators_tIbNS6_6detail15normal_iteratorINS6_10device_ptrIKyEEEESL_NS6_8equal_toIyEEEENSG_9not_fun_tINSD_8identityEEEEENSD_19counting_iterator_tIlEES8_S8_S8_S8_S8_S8_S8_S8_EEEEPS9_S9_NSD_9__find_if7functorIS9_EEEE10hipError_tPvRmT1_T2_T3_mT4_P12ihipStream_tbEUlT_E0_NS1_11comp_targetILNS1_3genE0ELNS1_11target_archE4294967295ELNS1_3gpuE0ELNS1_3repE0EEENS1_30default_config_static_selectorELNS0_4arch9wavefront6targetE1EEEvS14_,"axG",@progbits,_ZN7rocprim17ROCPRIM_400000_NS6detail17trampoline_kernelINS0_14default_configENS1_22reduce_config_selectorIN6thrust23THRUST_200600_302600_NS5tupleIblNS6_9null_typeES8_S8_S8_S8_S8_S8_S8_EEEEZNS1_11reduce_implILb1ES3_NS6_12zip_iteratorINS7_INS6_11hip_rocprim26transform_input_iterator_tIbNSD_35transform_pair_of_input_iterators_tIbNS6_6detail15normal_iteratorINS6_10device_ptrIKyEEEESL_NS6_8equal_toIyEEEENSG_9not_fun_tINSD_8identityEEEEENSD_19counting_iterator_tIlEES8_S8_S8_S8_S8_S8_S8_S8_EEEEPS9_S9_NSD_9__find_if7functorIS9_EEEE10hipError_tPvRmT1_T2_T3_mT4_P12ihipStream_tbEUlT_E0_NS1_11comp_targetILNS1_3genE0ELNS1_11target_archE4294967295ELNS1_3gpuE0ELNS1_3repE0EEENS1_30default_config_static_selectorELNS0_4arch9wavefront6targetE1EEEvS14_,comdat
	.protected	_ZN7rocprim17ROCPRIM_400000_NS6detail17trampoline_kernelINS0_14default_configENS1_22reduce_config_selectorIN6thrust23THRUST_200600_302600_NS5tupleIblNS6_9null_typeES8_S8_S8_S8_S8_S8_S8_EEEEZNS1_11reduce_implILb1ES3_NS6_12zip_iteratorINS7_INS6_11hip_rocprim26transform_input_iterator_tIbNSD_35transform_pair_of_input_iterators_tIbNS6_6detail15normal_iteratorINS6_10device_ptrIKyEEEESL_NS6_8equal_toIyEEEENSG_9not_fun_tINSD_8identityEEEEENSD_19counting_iterator_tIlEES8_S8_S8_S8_S8_S8_S8_S8_EEEEPS9_S9_NSD_9__find_if7functorIS9_EEEE10hipError_tPvRmT1_T2_T3_mT4_P12ihipStream_tbEUlT_E0_NS1_11comp_targetILNS1_3genE0ELNS1_11target_archE4294967295ELNS1_3gpuE0ELNS1_3repE0EEENS1_30default_config_static_selectorELNS0_4arch9wavefront6targetE1EEEvS14_ ; -- Begin function _ZN7rocprim17ROCPRIM_400000_NS6detail17trampoline_kernelINS0_14default_configENS1_22reduce_config_selectorIN6thrust23THRUST_200600_302600_NS5tupleIblNS6_9null_typeES8_S8_S8_S8_S8_S8_S8_EEEEZNS1_11reduce_implILb1ES3_NS6_12zip_iteratorINS7_INS6_11hip_rocprim26transform_input_iterator_tIbNSD_35transform_pair_of_input_iterators_tIbNS6_6detail15normal_iteratorINS6_10device_ptrIKyEEEESL_NS6_8equal_toIyEEEENSG_9not_fun_tINSD_8identityEEEEENSD_19counting_iterator_tIlEES8_S8_S8_S8_S8_S8_S8_S8_EEEEPS9_S9_NSD_9__find_if7functorIS9_EEEE10hipError_tPvRmT1_T2_T3_mT4_P12ihipStream_tbEUlT_E0_NS1_11comp_targetILNS1_3genE0ELNS1_11target_archE4294967295ELNS1_3gpuE0ELNS1_3repE0EEENS1_30default_config_static_selectorELNS0_4arch9wavefront6targetE1EEEvS14_
	.globl	_ZN7rocprim17ROCPRIM_400000_NS6detail17trampoline_kernelINS0_14default_configENS1_22reduce_config_selectorIN6thrust23THRUST_200600_302600_NS5tupleIblNS6_9null_typeES8_S8_S8_S8_S8_S8_S8_EEEEZNS1_11reduce_implILb1ES3_NS6_12zip_iteratorINS7_INS6_11hip_rocprim26transform_input_iterator_tIbNSD_35transform_pair_of_input_iterators_tIbNS6_6detail15normal_iteratorINS6_10device_ptrIKyEEEESL_NS6_8equal_toIyEEEENSG_9not_fun_tINSD_8identityEEEEENSD_19counting_iterator_tIlEES8_S8_S8_S8_S8_S8_S8_S8_EEEEPS9_S9_NSD_9__find_if7functorIS9_EEEE10hipError_tPvRmT1_T2_T3_mT4_P12ihipStream_tbEUlT_E0_NS1_11comp_targetILNS1_3genE0ELNS1_11target_archE4294967295ELNS1_3gpuE0ELNS1_3repE0EEENS1_30default_config_static_selectorELNS0_4arch9wavefront6targetE1EEEvS14_
	.p2align	8
	.type	_ZN7rocprim17ROCPRIM_400000_NS6detail17trampoline_kernelINS0_14default_configENS1_22reduce_config_selectorIN6thrust23THRUST_200600_302600_NS5tupleIblNS6_9null_typeES8_S8_S8_S8_S8_S8_S8_EEEEZNS1_11reduce_implILb1ES3_NS6_12zip_iteratorINS7_INS6_11hip_rocprim26transform_input_iterator_tIbNSD_35transform_pair_of_input_iterators_tIbNS6_6detail15normal_iteratorINS6_10device_ptrIKyEEEESL_NS6_8equal_toIyEEEENSG_9not_fun_tINSD_8identityEEEEENSD_19counting_iterator_tIlEES8_S8_S8_S8_S8_S8_S8_S8_EEEEPS9_S9_NSD_9__find_if7functorIS9_EEEE10hipError_tPvRmT1_T2_T3_mT4_P12ihipStream_tbEUlT_E0_NS1_11comp_targetILNS1_3genE0ELNS1_11target_archE4294967295ELNS1_3gpuE0ELNS1_3repE0EEENS1_30default_config_static_selectorELNS0_4arch9wavefront6targetE1EEEvS14_,@function
_ZN7rocprim17ROCPRIM_400000_NS6detail17trampoline_kernelINS0_14default_configENS1_22reduce_config_selectorIN6thrust23THRUST_200600_302600_NS5tupleIblNS6_9null_typeES8_S8_S8_S8_S8_S8_S8_EEEEZNS1_11reduce_implILb1ES3_NS6_12zip_iteratorINS7_INS6_11hip_rocprim26transform_input_iterator_tIbNSD_35transform_pair_of_input_iterators_tIbNS6_6detail15normal_iteratorINS6_10device_ptrIKyEEEESL_NS6_8equal_toIyEEEENSG_9not_fun_tINSD_8identityEEEEENSD_19counting_iterator_tIlEES8_S8_S8_S8_S8_S8_S8_S8_EEEEPS9_S9_NSD_9__find_if7functorIS9_EEEE10hipError_tPvRmT1_T2_T3_mT4_P12ihipStream_tbEUlT_E0_NS1_11comp_targetILNS1_3genE0ELNS1_11target_archE4294967295ELNS1_3gpuE0ELNS1_3repE0EEENS1_30default_config_static_selectorELNS0_4arch9wavefront6targetE1EEEvS14_: ; @_ZN7rocprim17ROCPRIM_400000_NS6detail17trampoline_kernelINS0_14default_configENS1_22reduce_config_selectorIN6thrust23THRUST_200600_302600_NS5tupleIblNS6_9null_typeES8_S8_S8_S8_S8_S8_S8_EEEEZNS1_11reduce_implILb1ES3_NS6_12zip_iteratorINS7_INS6_11hip_rocprim26transform_input_iterator_tIbNSD_35transform_pair_of_input_iterators_tIbNS6_6detail15normal_iteratorINS6_10device_ptrIKyEEEESL_NS6_8equal_toIyEEEENSG_9not_fun_tINSD_8identityEEEEENSD_19counting_iterator_tIlEES8_S8_S8_S8_S8_S8_S8_S8_EEEEPS9_S9_NSD_9__find_if7functorIS9_EEEE10hipError_tPvRmT1_T2_T3_mT4_P12ihipStream_tbEUlT_E0_NS1_11comp_targetILNS1_3genE0ELNS1_11target_archE4294967295ELNS1_3gpuE0ELNS1_3repE0EEENS1_30default_config_static_selectorELNS0_4arch9wavefront6targetE1EEEvS14_
; %bb.0:
	s_load_dwordx8 s[8:15], s[0:1], 0x20
	s_load_dwordx4 s[4:7], s[0:1], 0x0
	s_load_dwordx4 s[16:19], s[0:1], 0x40
	s_mov_b32 s27, 0
	s_mov_b32 s3, s27
	s_waitcnt lgkmcnt(0)
	s_lshl_b64 s[20:21], s[10:11], 3
	s_add_u32 s22, s4, s20
	s_addc_u32 s23, s5, s21
	s_add_u32 s24, s6, s20
	s_addc_u32 s25, s7, s21
	s_lshl_b32 s26, s2, 8
	s_lshr_b64 s[4:5], s[12:13], 8
	s_lshl_b64 s[6:7], s[26:27], 3
	s_add_u32 s20, s22, s6
	s_addc_u32 s21, s23, s7
	s_add_u32 s22, s24, s6
	s_addc_u32 s23, s25, s7
	;; [unrolled: 2-line block ×4, first 2 shown]
	s_cmp_lg_u64 s[4:5], s[2:3]
	v_lshlrev_b32_e32 v10, 3, v0
	v_mbcnt_lo_u32_b32 v9, -1, 0
	s_cbranch_scc0 .LBB582_10
; %bb.1:
	global_load_dwordx2 v[2:3], v10, s[22:23]
	global_load_dwordx2 v[6:7], v10, s[22:23] offset:1024
	global_load_dwordx2 v[12:13], v10, s[20:21] offset:1024
	global_load_dwordx2 v[14:15], v10, s[20:21]
	v_mov_b32_e32 v1, 0
	s_mov_b64 s[4:5], 0x80
	v_lshl_add_u64 v[16:17], s[24:25], 0, v[0:1]
	v_lshl_add_u64 v[18:19], v[16:17], 0, s[4:5]
	v_mbcnt_hi_u32_b32 v4, -1, v9
	v_lshlrev_b32_e32 v1, 2, v4
	v_or_b32_e32 v5, 0xfc, v1
	s_waitcnt vmcnt(1)
	v_cmp_ne_u64_e32 vcc, v[12:13], v[6:7]
	s_waitcnt vmcnt(0)
	v_cmp_ne_u64_e64 s[4:5], v[14:15], v[2:3]
	s_nop 1
	v_cndmask_b32_e64 v3, v19, v17, s[4:5]
	v_cndmask_b32_e64 v2, v18, v16, s[4:5]
	s_or_b64 s[4:5], s[4:5], vcc
	v_cndmask_b32_e64 v8, 0, 1, s[4:5]
	v_mov_b32_dpp v7, v3 quad_perm:[1,0,3,2] row_mask:0xf bank_mask:0xf bound_ctrl:1
	v_mov_b32_dpp v6, v2 quad_perm:[1,0,3,2] row_mask:0xf bank_mask:0xf bound_ctrl:1
	;; [unrolled: 1-line block ×3, first 2 shown]
	v_cmp_lt_i64_e32 vcc, v[2:3], v[6:7]
	v_and_b32_e32 v11, 1, v11
	s_and_b64 vcc, s[4:5], vcc
	v_cndmask_b32_e32 v6, v6, v2, vcc
	v_cndmask_b32_e32 v7, v7, v3, vcc
	v_cmp_eq_u32_e32 vcc, 1, v11
	s_nop 1
	v_cndmask_b32_e32 v3, v3, v7, vcc
	v_cndmask_b32_e32 v2, v2, v6, vcc
	v_cndmask_b32_e64 v8, v8, 1, vcc
	v_mov_b32_dpp v7, v3 quad_perm:[2,3,0,1] row_mask:0xf bank_mask:0xf bound_ctrl:1
	v_mov_b32_dpp v6, v2 quad_perm:[2,3,0,1] row_mask:0xf bank_mask:0xf bound_ctrl:1
	v_and_b32_e32 v12, 1, v8
	v_mov_b32_dpp v11, v8 quad_perm:[2,3,0,1] row_mask:0xf bank_mask:0xf bound_ctrl:1
	v_cmp_eq_u32_e32 vcc, 1, v12
	v_cmp_lt_i64_e64 s[4:5], v[2:3], v[6:7]
	v_and_b32_e32 v11, 1, v11
	s_and_b64 vcc, vcc, s[4:5]
	v_cmp_eq_u32_e64 s[6:7], 1, v11
	v_cndmask_b32_e32 v6, v6, v2, vcc
	v_cndmask_b32_e32 v7, v7, v3, vcc
	v_cndmask_b32_e64 v8, v8, 1, s[6:7]
	v_cndmask_b32_e64 v2, v2, v6, s[6:7]
	;; [unrolled: 1-line block ×3, first 2 shown]
	v_and_b32_e32 v12, 1, v8
	v_mov_b32_dpp v6, v2 row_ror:4 row_mask:0xf bank_mask:0xf bound_ctrl:1
	v_mov_b32_dpp v7, v3 row_ror:4 row_mask:0xf bank_mask:0xf bound_ctrl:1
	;; [unrolled: 1-line block ×3, first 2 shown]
	v_cmp_eq_u32_e32 vcc, 1, v12
	v_cmp_lt_i64_e64 s[6:7], v[2:3], v[6:7]
	v_and_b32_e32 v11, 1, v11
	s_and_b64 vcc, vcc, s[6:7]
	v_cmp_eq_u32_e64 s[4:5], 1, v11
	v_cndmask_b32_e32 v6, v6, v2, vcc
	v_cndmask_b32_e32 v7, v7, v3, vcc
	v_cndmask_b32_e64 v8, v8, 1, s[4:5]
	v_cndmask_b32_e64 v2, v2, v6, s[4:5]
	;; [unrolled: 1-line block ×3, first 2 shown]
	v_and_b32_e32 v12, 1, v8
	v_mov_b32_dpp v6, v2 row_ror:8 row_mask:0xf bank_mask:0xf bound_ctrl:1
	v_mov_b32_dpp v7, v3 row_ror:8 row_mask:0xf bank_mask:0xf bound_ctrl:1
	;; [unrolled: 1-line block ×3, first 2 shown]
	v_cmp_eq_u32_e64 s[6:7], 1, v12
	v_cmp_lt_i64_e64 s[8:9], v[2:3], v[6:7]
	v_and_b32_e32 v11, 1, v11
	s_and_b64 s[6:7], s[6:7], s[8:9]
	v_cmp_eq_u32_e32 vcc, 1, v11
	v_cndmask_b32_e64 v6, v6, v2, s[6:7]
	v_cndmask_b32_e64 v7, v7, v3, s[6:7]
	v_cndmask_b32_e64 v8, v8, 1, vcc
	v_cndmask_b32_e32 v2, v2, v6, vcc
	v_cndmask_b32_e32 v3, v3, v7, vcc
	v_and_b32_e32 v12, 1, v8
	v_mov_b32_dpp v6, v2 row_bcast:15 row_mask:0xf bank_mask:0xf bound_ctrl:1
	v_mov_b32_dpp v7, v3 row_bcast:15 row_mask:0xf bank_mask:0xf bound_ctrl:1
	;; [unrolled: 1-line block ×3, first 2 shown]
	v_cmp_eq_u32_e64 s[4:5], 1, v12
	v_cmp_lt_i64_e64 s[8:9], v[2:3], v[6:7]
	v_and_b32_e32 v11, 1, v11
	s_and_b64 s[4:5], s[4:5], s[8:9]
	v_cmp_eq_u32_e64 s[10:11], 1, v11
	v_cndmask_b32_e64 v6, v6, v2, s[4:5]
	v_cndmask_b32_e64 v7, v7, v3, s[4:5]
	;; [unrolled: 1-line block ×5, first 2 shown]
	v_and_b32_e32 v12, 1, v8
	v_mov_b32_dpp v6, v2 row_bcast:31 row_mask:0xf bank_mask:0xf bound_ctrl:1
	v_mov_b32_dpp v7, v3 row_bcast:31 row_mask:0xf bank_mask:0xf bound_ctrl:1
	;; [unrolled: 1-line block ×3, first 2 shown]
	v_cmp_eq_u32_e64 s[6:7], 1, v12
	v_cmp_lt_i64_e64 s[4:5], v[2:3], v[6:7]
	v_and_b32_e32 v11, 1, v11
	s_and_b64 s[4:5], s[6:7], s[4:5]
	v_cmp_eq_u32_e32 vcc, 1, v11
	v_cndmask_b32_e64 v6, v6, v2, s[4:5]
	v_cndmask_b32_e64 v7, v7, v3, s[4:5]
	v_cndmask_b32_e64 v8, v8, 1, vcc
	v_cndmask_b32_e32 v2, v2, v6, vcc
	v_cndmask_b32_e32 v3, v3, v7, vcc
	ds_bpermute_b32 v8, v5, v8
	ds_bpermute_b32 v2, v5, v2
	ds_bpermute_b32 v3, v5, v3
	v_cmp_eq_u32_e32 vcc, 0, v4
	s_and_saveexec_b64 s[4:5], vcc
	s_cbranch_execz .LBB582_3
; %bb.2:
	v_lshrrev_b32_e32 v5, 2, v0
	v_and_b32_e32 v5, 16, v5
	s_waitcnt lgkmcnt(2)
	ds_write_b8 v5, v8
	s_waitcnt lgkmcnt(1)
	ds_write_b64 v5, v[2:3] offset:8
.LBB582_3:
	s_or_b64 exec, exec, s[4:5]
	v_cmp_gt_u32_e32 vcc, 64, v0
	s_waitcnt lgkmcnt(0)
	s_barrier
	s_and_saveexec_b64 s[4:5], vcc
	s_cbranch_execz .LBB582_9
; %bb.4:
	v_and_b32_e32 v2, 1, v4
	v_lshlrev_b32_e32 v2, 4, v2
	ds_read_u8 v11, v2
	ds_read_b64 v[4:5], v2 offset:8
	v_or_b32_e32 v3, 4, v1
	s_waitcnt lgkmcnt(1)
	v_and_b32_e32 v2, 0xff, v11
	ds_bpermute_b32 v1, v3, v2
	s_waitcnt lgkmcnt(1)
	ds_bpermute_b32 v6, v3, v4
	ds_bpermute_b32 v7, v3, v5
	s_waitcnt lgkmcnt(2)
	v_and_b32_e32 v2, v11, v1
	v_and_b32_e32 v2, 1, v2
	v_cmp_eq_u32_e32 vcc, 1, v2
                                        ; implicit-def: $vgpr2_vgpr3
	s_and_saveexec_b64 s[6:7], vcc
	s_xor_b64 s[6:7], exec, s[6:7]
	s_cbranch_execz .LBB582_6
; %bb.5:
	s_waitcnt lgkmcnt(0)
	v_cmp_lt_i64_e32 vcc, v[6:7], v[4:5]
                                        ; implicit-def: $vgpr11
                                        ; implicit-def: $vgpr1
	s_nop 1
	v_cndmask_b32_e32 v3, v5, v7, vcc
	v_cndmask_b32_e32 v2, v4, v6, vcc
                                        ; implicit-def: $vgpr6_vgpr7
                                        ; implicit-def: $vgpr4_vgpr5
.LBB582_6:
	s_or_saveexec_b64 s[6:7], s[6:7]
	v_mov_b32_e32 v8, 1
	s_xor_b64 exec, exec, s[6:7]
	s_cbranch_execz .LBB582_8
; %bb.7:
	v_and_b32_e32 v2, 1, v11
	v_cmp_eq_u32_e32 vcc, 1, v2
	s_waitcnt lgkmcnt(0)
	s_nop 0
	v_cndmask_b32_e32 v3, v7, v5, vcc
	v_cndmask_b32_e32 v2, v6, v4, vcc
	v_cndmask_b32_e64 v8, v1, 1, vcc
.LBB582_8:
	s_or_b64 exec, exec, s[6:7]
.LBB582_9:
	s_or_b64 exec, exec, s[4:5]
	s_load_dword s10, s[0:1], 0x50
	s_load_dwordx2 s[8:9], s[0:1], 0x58
	s_branch .LBB582_62
.LBB582_10:
                                        ; implicit-def: $vgpr2_vgpr3
                                        ; implicit-def: $vgpr8
	s_load_dword s10, s[0:1], 0x50
	s_load_dwordx2 s[8:9], s[0:1], 0x58
	s_cbranch_execz .LBB582_62
; %bb.11:
	s_sub_i32 s11, s12, s26
	v_cmp_gt_u32_e32 vcc, s11, v0
	s_waitcnt lgkmcnt(0)
	v_mov_b32_e32 v7, 0
	v_mov_b64_e32 v[4:5], 0
	v_mov_b64_e32 v[2:3], 0
	v_mov_b32_e32 v1, 0
	s_and_saveexec_b64 s[0:1], vcc
	s_cbranch_execz .LBB582_13
; %bb.12:
	global_load_dwordx2 v[12:13], v10, s[20:21]
	global_load_dwordx2 v[14:15], v10, s[22:23]
	v_mov_b32_e32 v1, 0
	v_lshl_add_u64 v[2:3], s[24:25], 0, v[0:1]
	s_waitcnt vmcnt(0)
	v_cmp_ne_u64_e32 vcc, v[12:13], v[14:15]
	s_nop 1
	v_cndmask_b32_e64 v1, 0, 1, vcc
.LBB582_13:
	s_or_b64 exec, exec, s[0:1]
	v_or_b32_e32 v6, 0x80, v0
	v_cmp_gt_u32_e32 vcc, s11, v6
	s_and_saveexec_b64 s[4:5], vcc
	s_cbranch_execz .LBB582_15
; %bb.14:
	global_load_dwordx2 v[12:13], v10, s[20:21] offset:1024
	global_load_dwordx2 v[14:15], v10, s[22:23] offset:1024
	v_mov_b32_e32 v7, 0
	v_lshl_add_u64 v[4:5], s[24:25], 0, v[6:7]
	s_waitcnt vmcnt(0)
	v_cmp_ne_u64_e64 s[0:1], v[12:13], v[14:15]
	s_nop 1
	v_cndmask_b32_e64 v7, 0, 1, s[0:1]
.LBB582_15:
	s_or_b64 exec, exec, s[4:5]
	v_and_b32_e32 v8, 0xffff, v7
	v_and_b32_e32 v7, 1, v7
	;; [unrolled: 1-line block ×3, first 2 shown]
	v_cmp_eq_u32_e64 s[0:1], 1, v7
	v_and_b32_e32 v1, 1, v1
	v_cmp_lt_i64_e64 s[4:5], v[4:5], v[2:3]
	v_cmp_eq_u32_e64 s[6:7], 1, v1
	s_and_b64 s[0:1], s[0:1], s[4:5]
	v_cndmask_b32_e64 v7, v3, v5, s[0:1]
	v_cndmask_b32_e64 v1, v8, 1, s[6:7]
	;; [unrolled: 1-line block ×4, first 2 shown]
	v_cndmask_b32_e32 v8, v6, v1, vcc
	v_mbcnt_hi_u32_b32 v1, -1, v9
	v_cndmask_b32_e64 v5, v5, v7, s[6:7]
	v_and_b32_e32 v6, 63, v1
	v_cndmask_b32_e32 v3, v3, v5, vcc
	v_cndmask_b32_e32 v2, v2, v4, vcc
	v_cmp_ne_u32_e32 vcc, 63, v6
	s_min_u32 s6, s11, 0x80
	v_and_b32_e32 v7, 64, v0
	v_addc_co_u32_e32 v4, vcc, 0, v1, vcc
	v_lshlrev_b32_e32 v5, 2, v4
	ds_bpermute_b32 v9, v5, v8
	ds_bpermute_b32 v4, v5, v2
	;; [unrolled: 1-line block ×3, first 2 shown]
	v_sub_u32_e64 v7, s6, v7 clamp
	v_add_u32_e32 v10, 1, v6
	v_cmp_lt_u32_e32 vcc, v10, v7
	s_and_saveexec_b64 s[0:1], vcc
	s_cbranch_execz .LBB582_21
; %bb.16:
	s_waitcnt lgkmcnt(2)
	v_and_b32_e32 v10, v9, v8
	v_cmp_ne_u32_e32 vcc, 0, v10
	s_and_saveexec_b64 s[4:5], vcc
	s_xor_b64 s[4:5], exec, s[4:5]
	s_cbranch_execz .LBB582_18
; %bb.17:
	s_waitcnt lgkmcnt(0)
	v_cmp_lt_i64_e32 vcc, v[4:5], v[2:3]
                                        ; implicit-def: $vgpr8
                                        ; implicit-def: $vgpr9
	s_nop 1
	v_cndmask_b32_e32 v3, v3, v5, vcc
	v_cndmask_b32_e32 v2, v2, v4, vcc
                                        ; implicit-def: $vgpr4_vgpr5
.LBB582_18:
	s_or_saveexec_b64 s[4:5], s[4:5]
	v_mov_b32_e32 v10, 1
	s_xor_b64 exec, exec, s[4:5]
	s_cbranch_execz .LBB582_20
; %bb.19:
	v_and_b32_e32 v8, 1, v8
	v_cmp_eq_u32_e32 vcc, 1, v8
	s_waitcnt lgkmcnt(1)
	s_nop 0
	v_cndmask_b32_e32 v2, v4, v2, vcc
	v_and_b32_e32 v4, 0xff, v9
	s_waitcnt lgkmcnt(0)
	v_cndmask_b32_e32 v3, v5, v3, vcc
	v_cndmask_b32_e64 v10, v4, 1, vcc
.LBB582_20:
	s_or_b64 exec, exec, s[4:5]
	v_mov_b32_e32 v8, v10
.LBB582_21:
	s_or_b64 exec, exec, s[0:1]
	v_cmp_gt_u32_e32 vcc, 62, v6
	v_add_u32_e32 v10, 2, v6
	s_waitcnt lgkmcnt(1)
	v_cndmask_b32_e64 v4, 0, 2, vcc
	s_waitcnt lgkmcnt(0)
	v_add_lshl_u32 v5, v4, v1, 2
	ds_bpermute_b32 v9, v5, v8
	ds_bpermute_b32 v4, v5, v2
	ds_bpermute_b32 v5, v5, v3
	v_cmp_lt_u32_e32 vcc, v10, v7
	s_and_saveexec_b64 s[0:1], vcc
	s_cbranch_execz .LBB582_27
; %bb.22:
	s_waitcnt lgkmcnt(2)
	v_and_b32_e32 v10, v8, v9
	v_and_b32_e32 v10, 1, v10
	v_cmp_eq_u32_e32 vcc, 1, v10
	s_and_saveexec_b64 s[4:5], vcc
	s_xor_b64 s[4:5], exec, s[4:5]
	s_cbranch_execz .LBB582_24
; %bb.23:
	s_waitcnt lgkmcnt(0)
	v_cmp_lt_i64_e32 vcc, v[4:5], v[2:3]
                                        ; implicit-def: $vgpr8
                                        ; implicit-def: $vgpr9
	s_nop 1
	v_cndmask_b32_e32 v3, v3, v5, vcc
	v_cndmask_b32_e32 v2, v2, v4, vcc
                                        ; implicit-def: $vgpr4_vgpr5
.LBB582_24:
	s_or_saveexec_b64 s[4:5], s[4:5]
	v_mov_b32_e32 v10, 1
	s_xor_b64 exec, exec, s[4:5]
	s_cbranch_execz .LBB582_26
; %bb.25:
	v_and_b32_e32 v8, 1, v8
	v_cmp_eq_u32_e32 vcc, 1, v8
	s_waitcnt lgkmcnt(1)
	s_nop 0
	v_cndmask_b32_e32 v2, v4, v2, vcc
	v_and_b32_e32 v4, 0xff, v9
	s_waitcnt lgkmcnt(0)
	v_cndmask_b32_e32 v3, v5, v3, vcc
	v_cndmask_b32_e64 v10, v4, 1, vcc
.LBB582_26:
	s_or_b64 exec, exec, s[4:5]
	v_mov_b32_e32 v8, v10
.LBB582_27:
	s_or_b64 exec, exec, s[0:1]
	v_cmp_gt_u32_e32 vcc, 60, v6
	v_add_u32_e32 v10, 4, v6
	s_waitcnt lgkmcnt(1)
	v_cndmask_b32_e64 v4, 0, 4, vcc
	s_waitcnt lgkmcnt(0)
	v_add_lshl_u32 v5, v4, v1, 2
	ds_bpermute_b32 v9, v5, v8
	ds_bpermute_b32 v4, v5, v2
	ds_bpermute_b32 v5, v5, v3
	v_cmp_lt_u32_e32 vcc, v10, v7
	s_and_saveexec_b64 s[0:1], vcc
	s_cbranch_execz .LBB582_33
; %bb.28:
	s_waitcnt lgkmcnt(2)
	v_and_b32_e32 v10, v8, v9
	v_and_b32_e32 v10, 1, v10
	v_cmp_eq_u32_e32 vcc, 1, v10
	s_and_saveexec_b64 s[4:5], vcc
	s_xor_b64 s[4:5], exec, s[4:5]
	s_cbranch_execz .LBB582_30
; %bb.29:
	s_waitcnt lgkmcnt(0)
	v_cmp_lt_i64_e32 vcc, v[4:5], v[2:3]
                                        ; implicit-def: $vgpr8
                                        ; implicit-def: $vgpr9
	s_nop 1
	v_cndmask_b32_e32 v3, v3, v5, vcc
	v_cndmask_b32_e32 v2, v2, v4, vcc
                                        ; implicit-def: $vgpr4_vgpr5
.LBB582_30:
	s_or_saveexec_b64 s[4:5], s[4:5]
	v_mov_b32_e32 v10, 1
	s_xor_b64 exec, exec, s[4:5]
	s_cbranch_execz .LBB582_32
; %bb.31:
	v_and_b32_e32 v8, 1, v8
	v_cmp_eq_u32_e32 vcc, 1, v8
	s_waitcnt lgkmcnt(1)
	s_nop 0
	v_cndmask_b32_e32 v2, v4, v2, vcc
	v_and_b32_e32 v4, 0xff, v9
	s_waitcnt lgkmcnt(0)
	v_cndmask_b32_e32 v3, v5, v3, vcc
	v_cndmask_b32_e64 v10, v4, 1, vcc
.LBB582_32:
	s_or_b64 exec, exec, s[4:5]
	v_mov_b32_e32 v8, v10
.LBB582_33:
	;; [unrolled: 49-line block ×4, first 2 shown]
	s_or_b64 exec, exec, s[0:1]
	s_waitcnt lgkmcnt(2)
	v_lshlrev_b32_e32 v9, 2, v1
	s_waitcnt lgkmcnt(0)
	v_or_b32_e32 v5, 0x80, v9
	ds_bpermute_b32 v10, v5, v8
	ds_bpermute_b32 v4, v5, v2
	;; [unrolled: 1-line block ×3, first 2 shown]
	v_add_u32_e32 v6, 32, v6
	v_cmp_lt_u32_e32 vcc, v6, v7
	v_mov_b32_e32 v6, v8
	s_and_saveexec_b64 s[0:1], vcc
	s_cbranch_execz .LBB582_51
; %bb.46:
	s_waitcnt lgkmcnt(2)
	v_and_b32_e32 v6, v8, v10
	v_and_b32_e32 v6, 1, v6
	v_cmp_eq_u32_e32 vcc, 1, v6
	s_and_saveexec_b64 s[4:5], vcc
	s_xor_b64 s[4:5], exec, s[4:5]
	s_cbranch_execz .LBB582_48
; %bb.47:
	s_waitcnt lgkmcnt(0)
	v_cmp_lt_i64_e32 vcc, v[4:5], v[2:3]
                                        ; implicit-def: $vgpr8
                                        ; implicit-def: $vgpr10
	s_nop 1
	v_cndmask_b32_e32 v3, v3, v5, vcc
	v_cndmask_b32_e32 v2, v2, v4, vcc
                                        ; implicit-def: $vgpr4_vgpr5
.LBB582_48:
	s_or_saveexec_b64 s[4:5], s[4:5]
	v_mov_b32_e32 v6, 1
	s_xor_b64 exec, exec, s[4:5]
	s_cbranch_execz .LBB582_50
; %bb.49:
	v_and_b32_e32 v6, 1, v8
	v_cmp_eq_u32_e32 vcc, 1, v6
	s_nop 1
	v_cndmask_b32_e64 v6, v10, 1, vcc
	s_waitcnt lgkmcnt(0)
	v_cndmask_b32_e32 v3, v5, v3, vcc
	v_cndmask_b32_e32 v2, v4, v2, vcc
.LBB582_50:
	s_or_b64 exec, exec, s[4:5]
	v_and_b32_e32 v8, 0xff, v6
.LBB582_51:
	s_or_b64 exec, exec, s[0:1]
	v_cmp_eq_u32_e32 vcc, 0, v1
	s_and_saveexec_b64 s[0:1], vcc
	s_cbranch_execz .LBB582_53
; %bb.52:
	s_waitcnt lgkmcnt(1)
	v_lshrrev_b32_e32 v4, 2, v0
	v_and_b32_e32 v4, 16, v4
	ds_write_b8 v4, v6 offset:32
	ds_write_b64 v4, v[2:3] offset:40
.LBB582_53:
	s_or_b64 exec, exec, s[0:1]
	v_cmp_gt_u32_e32 vcc, 2, v0
	s_waitcnt lgkmcnt(0)
	s_barrier
	s_and_saveexec_b64 s[0:1], vcc
	s_cbranch_execz .LBB582_61
; %bb.54:
	v_lshlrev_b32_e32 v2, 4, v1
	ds_read_u8 v6, v2 offset:32
	ds_read_b64 v[2:3], v2 offset:40
	v_or_b32_e32 v5, 4, v9
	s_add_i32 s6, s6, 63
	v_and_b32_e32 v1, 1, v1
	s_waitcnt lgkmcnt(1)
	v_and_b32_e32 v8, 0xff, v6
	s_waitcnt lgkmcnt(0)
	ds_bpermute_b32 v4, v5, v2
	ds_bpermute_b32 v7, v5, v8
	;; [unrolled: 1-line block ×3, first 2 shown]
	s_lshr_b32 s4, s6, 6
	v_add_u32_e32 v1, 1, v1
	v_cmp_gt_u32_e32 vcc, s4, v1
	s_and_saveexec_b64 s[4:5], vcc
	s_cbranch_execz .LBB582_60
; %bb.55:
	s_waitcnt lgkmcnt(1)
	v_and_b32_e32 v1, v8, v7
	v_and_b32_e32 v1, 1, v1
	v_cmp_eq_u32_e32 vcc, 1, v1
	s_and_saveexec_b64 s[6:7], vcc
	s_xor_b64 s[6:7], exec, s[6:7]
	s_cbranch_execz .LBB582_57
; %bb.56:
	s_waitcnt lgkmcnt(0)
	v_cmp_lt_i64_e32 vcc, v[4:5], v[2:3]
                                        ; implicit-def: $vgpr6
                                        ; implicit-def: $vgpr7
	s_nop 1
	v_cndmask_b32_e32 v3, v3, v5, vcc
	v_cndmask_b32_e32 v2, v2, v4, vcc
                                        ; implicit-def: $vgpr4_vgpr5
.LBB582_57:
	s_or_saveexec_b64 s[6:7], s[6:7]
	v_mov_b32_e32 v8, 1
	s_xor_b64 exec, exec, s[6:7]
	s_cbranch_execz .LBB582_59
; %bb.58:
	v_and_b32_e32 v1, 1, v6
	v_cmp_eq_u32_e32 vcc, 1, v1
	s_waitcnt lgkmcnt(0)
	s_nop 0
	v_cndmask_b32_e32 v3, v5, v3, vcc
	v_cndmask_b32_e32 v2, v4, v2, vcc
	v_cndmask_b32_e64 v8, v7, 1, vcc
.LBB582_59:
	s_or_b64 exec, exec, s[6:7]
.LBB582_60:
	s_or_b64 exec, exec, s[4:5]
.LBB582_61:
	s_or_b64 exec, exec, s[0:1]
.LBB582_62:
	v_cmp_eq_u32_e32 vcc, 0, v0
	s_and_saveexec_b64 s[0:1], vcc
	s_cbranch_execnz .LBB582_64
; %bb.63:
	s_endpgm
.LBB582_64:
	s_mul_i32 s0, s18, s17
	s_mul_hi_u32 s1, s18, s16
	s_add_i32 s0, s1, s0
	s_mul_i32 s1, s19, s16
	s_add_i32 s1, s0, s1
	s_mul_i32 s0, s18, s16
	s_lshl_b64 s[0:1], s[0:1], 4
	s_add_u32 s4, s14, s0
	s_addc_u32 s5, s15, s1
	s_cmp_eq_u64 s[12:13], 0
	s_waitcnt lgkmcnt(0)
	v_mov_b32_e32 v0, s9
	s_cselect_b64 vcc, -1, 0
	v_cndmask_b32_e32 v1, v3, v0, vcc
	v_mov_b32_e32 v0, s8
	s_lshl_b64 s[0:1], s[2:3], 4
	v_cndmask_b32_e32 v0, v2, v0, vcc
	v_mov_b32_e32 v2, s10
	s_add_u32 s0, s4, s0
	v_cndmask_b32_e32 v2, v8, v2, vcc
	s_addc_u32 s1, s5, s1
	v_mov_b32_e32 v3, 0
	global_store_byte v3, v2, s[0:1]
	global_store_dwordx2 v3, v[0:1], s[0:1] offset:8
	s_endpgm
	.section	.rodata,"a",@progbits
	.p2align	6, 0x0
	.amdhsa_kernel _ZN7rocprim17ROCPRIM_400000_NS6detail17trampoline_kernelINS0_14default_configENS1_22reduce_config_selectorIN6thrust23THRUST_200600_302600_NS5tupleIblNS6_9null_typeES8_S8_S8_S8_S8_S8_S8_EEEEZNS1_11reduce_implILb1ES3_NS6_12zip_iteratorINS7_INS6_11hip_rocprim26transform_input_iterator_tIbNSD_35transform_pair_of_input_iterators_tIbNS6_6detail15normal_iteratorINS6_10device_ptrIKyEEEESL_NS6_8equal_toIyEEEENSG_9not_fun_tINSD_8identityEEEEENSD_19counting_iterator_tIlEES8_S8_S8_S8_S8_S8_S8_S8_EEEEPS9_S9_NSD_9__find_if7functorIS9_EEEE10hipError_tPvRmT1_T2_T3_mT4_P12ihipStream_tbEUlT_E0_NS1_11comp_targetILNS1_3genE0ELNS1_11target_archE4294967295ELNS1_3gpuE0ELNS1_3repE0EEENS1_30default_config_static_selectorELNS0_4arch9wavefront6targetE1EEEvS14_
		.amdhsa_group_segment_fixed_size 64
		.amdhsa_private_segment_fixed_size 0
		.amdhsa_kernarg_size 104
		.amdhsa_user_sgpr_count 2
		.amdhsa_user_sgpr_dispatch_ptr 0
		.amdhsa_user_sgpr_queue_ptr 0
		.amdhsa_user_sgpr_kernarg_segment_ptr 1
		.amdhsa_user_sgpr_dispatch_id 0
		.amdhsa_user_sgpr_kernarg_preload_length 0
		.amdhsa_user_sgpr_kernarg_preload_offset 0
		.amdhsa_user_sgpr_private_segment_size 0
		.amdhsa_uses_dynamic_stack 0
		.amdhsa_enable_private_segment 0
		.amdhsa_system_sgpr_workgroup_id_x 1
		.amdhsa_system_sgpr_workgroup_id_y 0
		.amdhsa_system_sgpr_workgroup_id_z 0
		.amdhsa_system_sgpr_workgroup_info 0
		.amdhsa_system_vgpr_workitem_id 0
		.amdhsa_next_free_vgpr 20
		.amdhsa_next_free_sgpr 28
		.amdhsa_accum_offset 20
		.amdhsa_reserve_vcc 1
		.amdhsa_float_round_mode_32 0
		.amdhsa_float_round_mode_16_64 0
		.amdhsa_float_denorm_mode_32 3
		.amdhsa_float_denorm_mode_16_64 3
		.amdhsa_dx10_clamp 1
		.amdhsa_ieee_mode 1
		.amdhsa_fp16_overflow 0
		.amdhsa_tg_split 0
		.amdhsa_exception_fp_ieee_invalid_op 0
		.amdhsa_exception_fp_denorm_src 0
		.amdhsa_exception_fp_ieee_div_zero 0
		.amdhsa_exception_fp_ieee_overflow 0
		.amdhsa_exception_fp_ieee_underflow 0
		.amdhsa_exception_fp_ieee_inexact 0
		.amdhsa_exception_int_div_zero 0
	.end_amdhsa_kernel
	.section	.text._ZN7rocprim17ROCPRIM_400000_NS6detail17trampoline_kernelINS0_14default_configENS1_22reduce_config_selectorIN6thrust23THRUST_200600_302600_NS5tupleIblNS6_9null_typeES8_S8_S8_S8_S8_S8_S8_EEEEZNS1_11reduce_implILb1ES3_NS6_12zip_iteratorINS7_INS6_11hip_rocprim26transform_input_iterator_tIbNSD_35transform_pair_of_input_iterators_tIbNS6_6detail15normal_iteratorINS6_10device_ptrIKyEEEESL_NS6_8equal_toIyEEEENSG_9not_fun_tINSD_8identityEEEEENSD_19counting_iterator_tIlEES8_S8_S8_S8_S8_S8_S8_S8_EEEEPS9_S9_NSD_9__find_if7functorIS9_EEEE10hipError_tPvRmT1_T2_T3_mT4_P12ihipStream_tbEUlT_E0_NS1_11comp_targetILNS1_3genE0ELNS1_11target_archE4294967295ELNS1_3gpuE0ELNS1_3repE0EEENS1_30default_config_static_selectorELNS0_4arch9wavefront6targetE1EEEvS14_,"axG",@progbits,_ZN7rocprim17ROCPRIM_400000_NS6detail17trampoline_kernelINS0_14default_configENS1_22reduce_config_selectorIN6thrust23THRUST_200600_302600_NS5tupleIblNS6_9null_typeES8_S8_S8_S8_S8_S8_S8_EEEEZNS1_11reduce_implILb1ES3_NS6_12zip_iteratorINS7_INS6_11hip_rocprim26transform_input_iterator_tIbNSD_35transform_pair_of_input_iterators_tIbNS6_6detail15normal_iteratorINS6_10device_ptrIKyEEEESL_NS6_8equal_toIyEEEENSG_9not_fun_tINSD_8identityEEEEENSD_19counting_iterator_tIlEES8_S8_S8_S8_S8_S8_S8_S8_EEEEPS9_S9_NSD_9__find_if7functorIS9_EEEE10hipError_tPvRmT1_T2_T3_mT4_P12ihipStream_tbEUlT_E0_NS1_11comp_targetILNS1_3genE0ELNS1_11target_archE4294967295ELNS1_3gpuE0ELNS1_3repE0EEENS1_30default_config_static_selectorELNS0_4arch9wavefront6targetE1EEEvS14_,comdat
.Lfunc_end582:
	.size	_ZN7rocprim17ROCPRIM_400000_NS6detail17trampoline_kernelINS0_14default_configENS1_22reduce_config_selectorIN6thrust23THRUST_200600_302600_NS5tupleIblNS6_9null_typeES8_S8_S8_S8_S8_S8_S8_EEEEZNS1_11reduce_implILb1ES3_NS6_12zip_iteratorINS7_INS6_11hip_rocprim26transform_input_iterator_tIbNSD_35transform_pair_of_input_iterators_tIbNS6_6detail15normal_iteratorINS6_10device_ptrIKyEEEESL_NS6_8equal_toIyEEEENSG_9not_fun_tINSD_8identityEEEEENSD_19counting_iterator_tIlEES8_S8_S8_S8_S8_S8_S8_S8_EEEEPS9_S9_NSD_9__find_if7functorIS9_EEEE10hipError_tPvRmT1_T2_T3_mT4_P12ihipStream_tbEUlT_E0_NS1_11comp_targetILNS1_3genE0ELNS1_11target_archE4294967295ELNS1_3gpuE0ELNS1_3repE0EEENS1_30default_config_static_selectorELNS0_4arch9wavefront6targetE1EEEvS14_, .Lfunc_end582-_ZN7rocprim17ROCPRIM_400000_NS6detail17trampoline_kernelINS0_14default_configENS1_22reduce_config_selectorIN6thrust23THRUST_200600_302600_NS5tupleIblNS6_9null_typeES8_S8_S8_S8_S8_S8_S8_EEEEZNS1_11reduce_implILb1ES3_NS6_12zip_iteratorINS7_INS6_11hip_rocprim26transform_input_iterator_tIbNSD_35transform_pair_of_input_iterators_tIbNS6_6detail15normal_iteratorINS6_10device_ptrIKyEEEESL_NS6_8equal_toIyEEEENSG_9not_fun_tINSD_8identityEEEEENSD_19counting_iterator_tIlEES8_S8_S8_S8_S8_S8_S8_S8_EEEEPS9_S9_NSD_9__find_if7functorIS9_EEEE10hipError_tPvRmT1_T2_T3_mT4_P12ihipStream_tbEUlT_E0_NS1_11comp_targetILNS1_3genE0ELNS1_11target_archE4294967295ELNS1_3gpuE0ELNS1_3repE0EEENS1_30default_config_static_selectorELNS0_4arch9wavefront6targetE1EEEvS14_
                                        ; -- End function
	.set _ZN7rocprim17ROCPRIM_400000_NS6detail17trampoline_kernelINS0_14default_configENS1_22reduce_config_selectorIN6thrust23THRUST_200600_302600_NS5tupleIblNS6_9null_typeES8_S8_S8_S8_S8_S8_S8_EEEEZNS1_11reduce_implILb1ES3_NS6_12zip_iteratorINS7_INS6_11hip_rocprim26transform_input_iterator_tIbNSD_35transform_pair_of_input_iterators_tIbNS6_6detail15normal_iteratorINS6_10device_ptrIKyEEEESL_NS6_8equal_toIyEEEENSG_9not_fun_tINSD_8identityEEEEENSD_19counting_iterator_tIlEES8_S8_S8_S8_S8_S8_S8_S8_EEEEPS9_S9_NSD_9__find_if7functorIS9_EEEE10hipError_tPvRmT1_T2_T3_mT4_P12ihipStream_tbEUlT_E0_NS1_11comp_targetILNS1_3genE0ELNS1_11target_archE4294967295ELNS1_3gpuE0ELNS1_3repE0EEENS1_30default_config_static_selectorELNS0_4arch9wavefront6targetE1EEEvS14_.num_vgpr, 20
	.set _ZN7rocprim17ROCPRIM_400000_NS6detail17trampoline_kernelINS0_14default_configENS1_22reduce_config_selectorIN6thrust23THRUST_200600_302600_NS5tupleIblNS6_9null_typeES8_S8_S8_S8_S8_S8_S8_EEEEZNS1_11reduce_implILb1ES3_NS6_12zip_iteratorINS7_INS6_11hip_rocprim26transform_input_iterator_tIbNSD_35transform_pair_of_input_iterators_tIbNS6_6detail15normal_iteratorINS6_10device_ptrIKyEEEESL_NS6_8equal_toIyEEEENSG_9not_fun_tINSD_8identityEEEEENSD_19counting_iterator_tIlEES8_S8_S8_S8_S8_S8_S8_S8_EEEEPS9_S9_NSD_9__find_if7functorIS9_EEEE10hipError_tPvRmT1_T2_T3_mT4_P12ihipStream_tbEUlT_E0_NS1_11comp_targetILNS1_3genE0ELNS1_11target_archE4294967295ELNS1_3gpuE0ELNS1_3repE0EEENS1_30default_config_static_selectorELNS0_4arch9wavefront6targetE1EEEvS14_.num_agpr, 0
	.set _ZN7rocprim17ROCPRIM_400000_NS6detail17trampoline_kernelINS0_14default_configENS1_22reduce_config_selectorIN6thrust23THRUST_200600_302600_NS5tupleIblNS6_9null_typeES8_S8_S8_S8_S8_S8_S8_EEEEZNS1_11reduce_implILb1ES3_NS6_12zip_iteratorINS7_INS6_11hip_rocprim26transform_input_iterator_tIbNSD_35transform_pair_of_input_iterators_tIbNS6_6detail15normal_iteratorINS6_10device_ptrIKyEEEESL_NS6_8equal_toIyEEEENSG_9not_fun_tINSD_8identityEEEEENSD_19counting_iterator_tIlEES8_S8_S8_S8_S8_S8_S8_S8_EEEEPS9_S9_NSD_9__find_if7functorIS9_EEEE10hipError_tPvRmT1_T2_T3_mT4_P12ihipStream_tbEUlT_E0_NS1_11comp_targetILNS1_3genE0ELNS1_11target_archE4294967295ELNS1_3gpuE0ELNS1_3repE0EEENS1_30default_config_static_selectorELNS0_4arch9wavefront6targetE1EEEvS14_.numbered_sgpr, 28
	.set _ZN7rocprim17ROCPRIM_400000_NS6detail17trampoline_kernelINS0_14default_configENS1_22reduce_config_selectorIN6thrust23THRUST_200600_302600_NS5tupleIblNS6_9null_typeES8_S8_S8_S8_S8_S8_S8_EEEEZNS1_11reduce_implILb1ES3_NS6_12zip_iteratorINS7_INS6_11hip_rocprim26transform_input_iterator_tIbNSD_35transform_pair_of_input_iterators_tIbNS6_6detail15normal_iteratorINS6_10device_ptrIKyEEEESL_NS6_8equal_toIyEEEENSG_9not_fun_tINSD_8identityEEEEENSD_19counting_iterator_tIlEES8_S8_S8_S8_S8_S8_S8_S8_EEEEPS9_S9_NSD_9__find_if7functorIS9_EEEE10hipError_tPvRmT1_T2_T3_mT4_P12ihipStream_tbEUlT_E0_NS1_11comp_targetILNS1_3genE0ELNS1_11target_archE4294967295ELNS1_3gpuE0ELNS1_3repE0EEENS1_30default_config_static_selectorELNS0_4arch9wavefront6targetE1EEEvS14_.num_named_barrier, 0
	.set _ZN7rocprim17ROCPRIM_400000_NS6detail17trampoline_kernelINS0_14default_configENS1_22reduce_config_selectorIN6thrust23THRUST_200600_302600_NS5tupleIblNS6_9null_typeES8_S8_S8_S8_S8_S8_S8_EEEEZNS1_11reduce_implILb1ES3_NS6_12zip_iteratorINS7_INS6_11hip_rocprim26transform_input_iterator_tIbNSD_35transform_pair_of_input_iterators_tIbNS6_6detail15normal_iteratorINS6_10device_ptrIKyEEEESL_NS6_8equal_toIyEEEENSG_9not_fun_tINSD_8identityEEEEENSD_19counting_iterator_tIlEES8_S8_S8_S8_S8_S8_S8_S8_EEEEPS9_S9_NSD_9__find_if7functorIS9_EEEE10hipError_tPvRmT1_T2_T3_mT4_P12ihipStream_tbEUlT_E0_NS1_11comp_targetILNS1_3genE0ELNS1_11target_archE4294967295ELNS1_3gpuE0ELNS1_3repE0EEENS1_30default_config_static_selectorELNS0_4arch9wavefront6targetE1EEEvS14_.private_seg_size, 0
	.set _ZN7rocprim17ROCPRIM_400000_NS6detail17trampoline_kernelINS0_14default_configENS1_22reduce_config_selectorIN6thrust23THRUST_200600_302600_NS5tupleIblNS6_9null_typeES8_S8_S8_S8_S8_S8_S8_EEEEZNS1_11reduce_implILb1ES3_NS6_12zip_iteratorINS7_INS6_11hip_rocprim26transform_input_iterator_tIbNSD_35transform_pair_of_input_iterators_tIbNS6_6detail15normal_iteratorINS6_10device_ptrIKyEEEESL_NS6_8equal_toIyEEEENSG_9not_fun_tINSD_8identityEEEEENSD_19counting_iterator_tIlEES8_S8_S8_S8_S8_S8_S8_S8_EEEEPS9_S9_NSD_9__find_if7functorIS9_EEEE10hipError_tPvRmT1_T2_T3_mT4_P12ihipStream_tbEUlT_E0_NS1_11comp_targetILNS1_3genE0ELNS1_11target_archE4294967295ELNS1_3gpuE0ELNS1_3repE0EEENS1_30default_config_static_selectorELNS0_4arch9wavefront6targetE1EEEvS14_.uses_vcc, 1
	.set _ZN7rocprim17ROCPRIM_400000_NS6detail17trampoline_kernelINS0_14default_configENS1_22reduce_config_selectorIN6thrust23THRUST_200600_302600_NS5tupleIblNS6_9null_typeES8_S8_S8_S8_S8_S8_S8_EEEEZNS1_11reduce_implILb1ES3_NS6_12zip_iteratorINS7_INS6_11hip_rocprim26transform_input_iterator_tIbNSD_35transform_pair_of_input_iterators_tIbNS6_6detail15normal_iteratorINS6_10device_ptrIKyEEEESL_NS6_8equal_toIyEEEENSG_9not_fun_tINSD_8identityEEEEENSD_19counting_iterator_tIlEES8_S8_S8_S8_S8_S8_S8_S8_EEEEPS9_S9_NSD_9__find_if7functorIS9_EEEE10hipError_tPvRmT1_T2_T3_mT4_P12ihipStream_tbEUlT_E0_NS1_11comp_targetILNS1_3genE0ELNS1_11target_archE4294967295ELNS1_3gpuE0ELNS1_3repE0EEENS1_30default_config_static_selectorELNS0_4arch9wavefront6targetE1EEEvS14_.uses_flat_scratch, 0
	.set _ZN7rocprim17ROCPRIM_400000_NS6detail17trampoline_kernelINS0_14default_configENS1_22reduce_config_selectorIN6thrust23THRUST_200600_302600_NS5tupleIblNS6_9null_typeES8_S8_S8_S8_S8_S8_S8_EEEEZNS1_11reduce_implILb1ES3_NS6_12zip_iteratorINS7_INS6_11hip_rocprim26transform_input_iterator_tIbNSD_35transform_pair_of_input_iterators_tIbNS6_6detail15normal_iteratorINS6_10device_ptrIKyEEEESL_NS6_8equal_toIyEEEENSG_9not_fun_tINSD_8identityEEEEENSD_19counting_iterator_tIlEES8_S8_S8_S8_S8_S8_S8_S8_EEEEPS9_S9_NSD_9__find_if7functorIS9_EEEE10hipError_tPvRmT1_T2_T3_mT4_P12ihipStream_tbEUlT_E0_NS1_11comp_targetILNS1_3genE0ELNS1_11target_archE4294967295ELNS1_3gpuE0ELNS1_3repE0EEENS1_30default_config_static_selectorELNS0_4arch9wavefront6targetE1EEEvS14_.has_dyn_sized_stack, 0
	.set _ZN7rocprim17ROCPRIM_400000_NS6detail17trampoline_kernelINS0_14default_configENS1_22reduce_config_selectorIN6thrust23THRUST_200600_302600_NS5tupleIblNS6_9null_typeES8_S8_S8_S8_S8_S8_S8_EEEEZNS1_11reduce_implILb1ES3_NS6_12zip_iteratorINS7_INS6_11hip_rocprim26transform_input_iterator_tIbNSD_35transform_pair_of_input_iterators_tIbNS6_6detail15normal_iteratorINS6_10device_ptrIKyEEEESL_NS6_8equal_toIyEEEENSG_9not_fun_tINSD_8identityEEEEENSD_19counting_iterator_tIlEES8_S8_S8_S8_S8_S8_S8_S8_EEEEPS9_S9_NSD_9__find_if7functorIS9_EEEE10hipError_tPvRmT1_T2_T3_mT4_P12ihipStream_tbEUlT_E0_NS1_11comp_targetILNS1_3genE0ELNS1_11target_archE4294967295ELNS1_3gpuE0ELNS1_3repE0EEENS1_30default_config_static_selectorELNS0_4arch9wavefront6targetE1EEEvS14_.has_recursion, 0
	.set _ZN7rocprim17ROCPRIM_400000_NS6detail17trampoline_kernelINS0_14default_configENS1_22reduce_config_selectorIN6thrust23THRUST_200600_302600_NS5tupleIblNS6_9null_typeES8_S8_S8_S8_S8_S8_S8_EEEEZNS1_11reduce_implILb1ES3_NS6_12zip_iteratorINS7_INS6_11hip_rocprim26transform_input_iterator_tIbNSD_35transform_pair_of_input_iterators_tIbNS6_6detail15normal_iteratorINS6_10device_ptrIKyEEEESL_NS6_8equal_toIyEEEENSG_9not_fun_tINSD_8identityEEEEENSD_19counting_iterator_tIlEES8_S8_S8_S8_S8_S8_S8_S8_EEEEPS9_S9_NSD_9__find_if7functorIS9_EEEE10hipError_tPvRmT1_T2_T3_mT4_P12ihipStream_tbEUlT_E0_NS1_11comp_targetILNS1_3genE0ELNS1_11target_archE4294967295ELNS1_3gpuE0ELNS1_3repE0EEENS1_30default_config_static_selectorELNS0_4arch9wavefront6targetE1EEEvS14_.has_indirect_call, 0
	.section	.AMDGPU.csdata,"",@progbits
; Kernel info:
; codeLenInByte = 2860
; TotalNumSgprs: 34
; NumVgprs: 20
; NumAgprs: 0
; TotalNumVgprs: 20
; ScratchSize: 0
; MemoryBound: 0
; FloatMode: 240
; IeeeMode: 1
; LDSByteSize: 64 bytes/workgroup (compile time only)
; SGPRBlocks: 4
; VGPRBlocks: 2
; NumSGPRsForWavesPerEU: 34
; NumVGPRsForWavesPerEU: 20
; AccumOffset: 20
; Occupancy: 8
; WaveLimiterHint : 0
; COMPUTE_PGM_RSRC2:SCRATCH_EN: 0
; COMPUTE_PGM_RSRC2:USER_SGPR: 2
; COMPUTE_PGM_RSRC2:TRAP_HANDLER: 0
; COMPUTE_PGM_RSRC2:TGID_X_EN: 1
; COMPUTE_PGM_RSRC2:TGID_Y_EN: 0
; COMPUTE_PGM_RSRC2:TGID_Z_EN: 0
; COMPUTE_PGM_RSRC2:TIDIG_COMP_CNT: 0
; COMPUTE_PGM_RSRC3_GFX90A:ACCUM_OFFSET: 4
; COMPUTE_PGM_RSRC3_GFX90A:TG_SPLIT: 0
	.section	.text._ZN7rocprim17ROCPRIM_400000_NS6detail17trampoline_kernelINS0_14default_configENS1_22reduce_config_selectorIN6thrust23THRUST_200600_302600_NS5tupleIblNS6_9null_typeES8_S8_S8_S8_S8_S8_S8_EEEEZNS1_11reduce_implILb1ES3_NS6_12zip_iteratorINS7_INS6_11hip_rocprim26transform_input_iterator_tIbNSD_35transform_pair_of_input_iterators_tIbNS6_6detail15normal_iteratorINS6_10device_ptrIKyEEEESL_NS6_8equal_toIyEEEENSG_9not_fun_tINSD_8identityEEEEENSD_19counting_iterator_tIlEES8_S8_S8_S8_S8_S8_S8_S8_EEEEPS9_S9_NSD_9__find_if7functorIS9_EEEE10hipError_tPvRmT1_T2_T3_mT4_P12ihipStream_tbEUlT_E0_NS1_11comp_targetILNS1_3genE5ELNS1_11target_archE942ELNS1_3gpuE9ELNS1_3repE0EEENS1_30default_config_static_selectorELNS0_4arch9wavefront6targetE1EEEvS14_,"axG",@progbits,_ZN7rocprim17ROCPRIM_400000_NS6detail17trampoline_kernelINS0_14default_configENS1_22reduce_config_selectorIN6thrust23THRUST_200600_302600_NS5tupleIblNS6_9null_typeES8_S8_S8_S8_S8_S8_S8_EEEEZNS1_11reduce_implILb1ES3_NS6_12zip_iteratorINS7_INS6_11hip_rocprim26transform_input_iterator_tIbNSD_35transform_pair_of_input_iterators_tIbNS6_6detail15normal_iteratorINS6_10device_ptrIKyEEEESL_NS6_8equal_toIyEEEENSG_9not_fun_tINSD_8identityEEEEENSD_19counting_iterator_tIlEES8_S8_S8_S8_S8_S8_S8_S8_EEEEPS9_S9_NSD_9__find_if7functorIS9_EEEE10hipError_tPvRmT1_T2_T3_mT4_P12ihipStream_tbEUlT_E0_NS1_11comp_targetILNS1_3genE5ELNS1_11target_archE942ELNS1_3gpuE9ELNS1_3repE0EEENS1_30default_config_static_selectorELNS0_4arch9wavefront6targetE1EEEvS14_,comdat
	.protected	_ZN7rocprim17ROCPRIM_400000_NS6detail17trampoline_kernelINS0_14default_configENS1_22reduce_config_selectorIN6thrust23THRUST_200600_302600_NS5tupleIblNS6_9null_typeES8_S8_S8_S8_S8_S8_S8_EEEEZNS1_11reduce_implILb1ES3_NS6_12zip_iteratorINS7_INS6_11hip_rocprim26transform_input_iterator_tIbNSD_35transform_pair_of_input_iterators_tIbNS6_6detail15normal_iteratorINS6_10device_ptrIKyEEEESL_NS6_8equal_toIyEEEENSG_9not_fun_tINSD_8identityEEEEENSD_19counting_iterator_tIlEES8_S8_S8_S8_S8_S8_S8_S8_EEEEPS9_S9_NSD_9__find_if7functorIS9_EEEE10hipError_tPvRmT1_T2_T3_mT4_P12ihipStream_tbEUlT_E0_NS1_11comp_targetILNS1_3genE5ELNS1_11target_archE942ELNS1_3gpuE9ELNS1_3repE0EEENS1_30default_config_static_selectorELNS0_4arch9wavefront6targetE1EEEvS14_ ; -- Begin function _ZN7rocprim17ROCPRIM_400000_NS6detail17trampoline_kernelINS0_14default_configENS1_22reduce_config_selectorIN6thrust23THRUST_200600_302600_NS5tupleIblNS6_9null_typeES8_S8_S8_S8_S8_S8_S8_EEEEZNS1_11reduce_implILb1ES3_NS6_12zip_iteratorINS7_INS6_11hip_rocprim26transform_input_iterator_tIbNSD_35transform_pair_of_input_iterators_tIbNS6_6detail15normal_iteratorINS6_10device_ptrIKyEEEESL_NS6_8equal_toIyEEEENSG_9not_fun_tINSD_8identityEEEEENSD_19counting_iterator_tIlEES8_S8_S8_S8_S8_S8_S8_S8_EEEEPS9_S9_NSD_9__find_if7functorIS9_EEEE10hipError_tPvRmT1_T2_T3_mT4_P12ihipStream_tbEUlT_E0_NS1_11comp_targetILNS1_3genE5ELNS1_11target_archE942ELNS1_3gpuE9ELNS1_3repE0EEENS1_30default_config_static_selectorELNS0_4arch9wavefront6targetE1EEEvS14_
	.globl	_ZN7rocprim17ROCPRIM_400000_NS6detail17trampoline_kernelINS0_14default_configENS1_22reduce_config_selectorIN6thrust23THRUST_200600_302600_NS5tupleIblNS6_9null_typeES8_S8_S8_S8_S8_S8_S8_EEEEZNS1_11reduce_implILb1ES3_NS6_12zip_iteratorINS7_INS6_11hip_rocprim26transform_input_iterator_tIbNSD_35transform_pair_of_input_iterators_tIbNS6_6detail15normal_iteratorINS6_10device_ptrIKyEEEESL_NS6_8equal_toIyEEEENSG_9not_fun_tINSD_8identityEEEEENSD_19counting_iterator_tIlEES8_S8_S8_S8_S8_S8_S8_S8_EEEEPS9_S9_NSD_9__find_if7functorIS9_EEEE10hipError_tPvRmT1_T2_T3_mT4_P12ihipStream_tbEUlT_E0_NS1_11comp_targetILNS1_3genE5ELNS1_11target_archE942ELNS1_3gpuE9ELNS1_3repE0EEENS1_30default_config_static_selectorELNS0_4arch9wavefront6targetE1EEEvS14_
	.p2align	8
	.type	_ZN7rocprim17ROCPRIM_400000_NS6detail17trampoline_kernelINS0_14default_configENS1_22reduce_config_selectorIN6thrust23THRUST_200600_302600_NS5tupleIblNS6_9null_typeES8_S8_S8_S8_S8_S8_S8_EEEEZNS1_11reduce_implILb1ES3_NS6_12zip_iteratorINS7_INS6_11hip_rocprim26transform_input_iterator_tIbNSD_35transform_pair_of_input_iterators_tIbNS6_6detail15normal_iteratorINS6_10device_ptrIKyEEEESL_NS6_8equal_toIyEEEENSG_9not_fun_tINSD_8identityEEEEENSD_19counting_iterator_tIlEES8_S8_S8_S8_S8_S8_S8_S8_EEEEPS9_S9_NSD_9__find_if7functorIS9_EEEE10hipError_tPvRmT1_T2_T3_mT4_P12ihipStream_tbEUlT_E0_NS1_11comp_targetILNS1_3genE5ELNS1_11target_archE942ELNS1_3gpuE9ELNS1_3repE0EEENS1_30default_config_static_selectorELNS0_4arch9wavefront6targetE1EEEvS14_,@function
_ZN7rocprim17ROCPRIM_400000_NS6detail17trampoline_kernelINS0_14default_configENS1_22reduce_config_selectorIN6thrust23THRUST_200600_302600_NS5tupleIblNS6_9null_typeES8_S8_S8_S8_S8_S8_S8_EEEEZNS1_11reduce_implILb1ES3_NS6_12zip_iteratorINS7_INS6_11hip_rocprim26transform_input_iterator_tIbNSD_35transform_pair_of_input_iterators_tIbNS6_6detail15normal_iteratorINS6_10device_ptrIKyEEEESL_NS6_8equal_toIyEEEENSG_9not_fun_tINSD_8identityEEEEENSD_19counting_iterator_tIlEES8_S8_S8_S8_S8_S8_S8_S8_EEEEPS9_S9_NSD_9__find_if7functorIS9_EEEE10hipError_tPvRmT1_T2_T3_mT4_P12ihipStream_tbEUlT_E0_NS1_11comp_targetILNS1_3genE5ELNS1_11target_archE942ELNS1_3gpuE9ELNS1_3repE0EEENS1_30default_config_static_selectorELNS0_4arch9wavefront6targetE1EEEvS14_: ; @_ZN7rocprim17ROCPRIM_400000_NS6detail17trampoline_kernelINS0_14default_configENS1_22reduce_config_selectorIN6thrust23THRUST_200600_302600_NS5tupleIblNS6_9null_typeES8_S8_S8_S8_S8_S8_S8_EEEEZNS1_11reduce_implILb1ES3_NS6_12zip_iteratorINS7_INS6_11hip_rocprim26transform_input_iterator_tIbNSD_35transform_pair_of_input_iterators_tIbNS6_6detail15normal_iteratorINS6_10device_ptrIKyEEEESL_NS6_8equal_toIyEEEENSG_9not_fun_tINSD_8identityEEEEENSD_19counting_iterator_tIlEES8_S8_S8_S8_S8_S8_S8_S8_EEEEPS9_S9_NSD_9__find_if7functorIS9_EEEE10hipError_tPvRmT1_T2_T3_mT4_P12ihipStream_tbEUlT_E0_NS1_11comp_targetILNS1_3genE5ELNS1_11target_archE942ELNS1_3gpuE9ELNS1_3repE0EEENS1_30default_config_static_selectorELNS0_4arch9wavefront6targetE1EEEvS14_
; %bb.0:
	.section	.rodata,"a",@progbits
	.p2align	6, 0x0
	.amdhsa_kernel _ZN7rocprim17ROCPRIM_400000_NS6detail17trampoline_kernelINS0_14default_configENS1_22reduce_config_selectorIN6thrust23THRUST_200600_302600_NS5tupleIblNS6_9null_typeES8_S8_S8_S8_S8_S8_S8_EEEEZNS1_11reduce_implILb1ES3_NS6_12zip_iteratorINS7_INS6_11hip_rocprim26transform_input_iterator_tIbNSD_35transform_pair_of_input_iterators_tIbNS6_6detail15normal_iteratorINS6_10device_ptrIKyEEEESL_NS6_8equal_toIyEEEENSG_9not_fun_tINSD_8identityEEEEENSD_19counting_iterator_tIlEES8_S8_S8_S8_S8_S8_S8_S8_EEEEPS9_S9_NSD_9__find_if7functorIS9_EEEE10hipError_tPvRmT1_T2_T3_mT4_P12ihipStream_tbEUlT_E0_NS1_11comp_targetILNS1_3genE5ELNS1_11target_archE942ELNS1_3gpuE9ELNS1_3repE0EEENS1_30default_config_static_selectorELNS0_4arch9wavefront6targetE1EEEvS14_
		.amdhsa_group_segment_fixed_size 0
		.amdhsa_private_segment_fixed_size 0
		.amdhsa_kernarg_size 104
		.amdhsa_user_sgpr_count 2
		.amdhsa_user_sgpr_dispatch_ptr 0
		.amdhsa_user_sgpr_queue_ptr 0
		.amdhsa_user_sgpr_kernarg_segment_ptr 1
		.amdhsa_user_sgpr_dispatch_id 0
		.amdhsa_user_sgpr_kernarg_preload_length 0
		.amdhsa_user_sgpr_kernarg_preload_offset 0
		.amdhsa_user_sgpr_private_segment_size 0
		.amdhsa_uses_dynamic_stack 0
		.amdhsa_enable_private_segment 0
		.amdhsa_system_sgpr_workgroup_id_x 1
		.amdhsa_system_sgpr_workgroup_id_y 0
		.amdhsa_system_sgpr_workgroup_id_z 0
		.amdhsa_system_sgpr_workgroup_info 0
		.amdhsa_system_vgpr_workitem_id 0
		.amdhsa_next_free_vgpr 1
		.amdhsa_next_free_sgpr 0
		.amdhsa_accum_offset 4
		.amdhsa_reserve_vcc 0
		.amdhsa_float_round_mode_32 0
		.amdhsa_float_round_mode_16_64 0
		.amdhsa_float_denorm_mode_32 3
		.amdhsa_float_denorm_mode_16_64 3
		.amdhsa_dx10_clamp 1
		.amdhsa_ieee_mode 1
		.amdhsa_fp16_overflow 0
		.amdhsa_tg_split 0
		.amdhsa_exception_fp_ieee_invalid_op 0
		.amdhsa_exception_fp_denorm_src 0
		.amdhsa_exception_fp_ieee_div_zero 0
		.amdhsa_exception_fp_ieee_overflow 0
		.amdhsa_exception_fp_ieee_underflow 0
		.amdhsa_exception_fp_ieee_inexact 0
		.amdhsa_exception_int_div_zero 0
	.end_amdhsa_kernel
	.section	.text._ZN7rocprim17ROCPRIM_400000_NS6detail17trampoline_kernelINS0_14default_configENS1_22reduce_config_selectorIN6thrust23THRUST_200600_302600_NS5tupleIblNS6_9null_typeES8_S8_S8_S8_S8_S8_S8_EEEEZNS1_11reduce_implILb1ES3_NS6_12zip_iteratorINS7_INS6_11hip_rocprim26transform_input_iterator_tIbNSD_35transform_pair_of_input_iterators_tIbNS6_6detail15normal_iteratorINS6_10device_ptrIKyEEEESL_NS6_8equal_toIyEEEENSG_9not_fun_tINSD_8identityEEEEENSD_19counting_iterator_tIlEES8_S8_S8_S8_S8_S8_S8_S8_EEEEPS9_S9_NSD_9__find_if7functorIS9_EEEE10hipError_tPvRmT1_T2_T3_mT4_P12ihipStream_tbEUlT_E0_NS1_11comp_targetILNS1_3genE5ELNS1_11target_archE942ELNS1_3gpuE9ELNS1_3repE0EEENS1_30default_config_static_selectorELNS0_4arch9wavefront6targetE1EEEvS14_,"axG",@progbits,_ZN7rocprim17ROCPRIM_400000_NS6detail17trampoline_kernelINS0_14default_configENS1_22reduce_config_selectorIN6thrust23THRUST_200600_302600_NS5tupleIblNS6_9null_typeES8_S8_S8_S8_S8_S8_S8_EEEEZNS1_11reduce_implILb1ES3_NS6_12zip_iteratorINS7_INS6_11hip_rocprim26transform_input_iterator_tIbNSD_35transform_pair_of_input_iterators_tIbNS6_6detail15normal_iteratorINS6_10device_ptrIKyEEEESL_NS6_8equal_toIyEEEENSG_9not_fun_tINSD_8identityEEEEENSD_19counting_iterator_tIlEES8_S8_S8_S8_S8_S8_S8_S8_EEEEPS9_S9_NSD_9__find_if7functorIS9_EEEE10hipError_tPvRmT1_T2_T3_mT4_P12ihipStream_tbEUlT_E0_NS1_11comp_targetILNS1_3genE5ELNS1_11target_archE942ELNS1_3gpuE9ELNS1_3repE0EEENS1_30default_config_static_selectorELNS0_4arch9wavefront6targetE1EEEvS14_,comdat
.Lfunc_end583:
	.size	_ZN7rocprim17ROCPRIM_400000_NS6detail17trampoline_kernelINS0_14default_configENS1_22reduce_config_selectorIN6thrust23THRUST_200600_302600_NS5tupleIblNS6_9null_typeES8_S8_S8_S8_S8_S8_S8_EEEEZNS1_11reduce_implILb1ES3_NS6_12zip_iteratorINS7_INS6_11hip_rocprim26transform_input_iterator_tIbNSD_35transform_pair_of_input_iterators_tIbNS6_6detail15normal_iteratorINS6_10device_ptrIKyEEEESL_NS6_8equal_toIyEEEENSG_9not_fun_tINSD_8identityEEEEENSD_19counting_iterator_tIlEES8_S8_S8_S8_S8_S8_S8_S8_EEEEPS9_S9_NSD_9__find_if7functorIS9_EEEE10hipError_tPvRmT1_T2_T3_mT4_P12ihipStream_tbEUlT_E0_NS1_11comp_targetILNS1_3genE5ELNS1_11target_archE942ELNS1_3gpuE9ELNS1_3repE0EEENS1_30default_config_static_selectorELNS0_4arch9wavefront6targetE1EEEvS14_, .Lfunc_end583-_ZN7rocprim17ROCPRIM_400000_NS6detail17trampoline_kernelINS0_14default_configENS1_22reduce_config_selectorIN6thrust23THRUST_200600_302600_NS5tupleIblNS6_9null_typeES8_S8_S8_S8_S8_S8_S8_EEEEZNS1_11reduce_implILb1ES3_NS6_12zip_iteratorINS7_INS6_11hip_rocprim26transform_input_iterator_tIbNSD_35transform_pair_of_input_iterators_tIbNS6_6detail15normal_iteratorINS6_10device_ptrIKyEEEESL_NS6_8equal_toIyEEEENSG_9not_fun_tINSD_8identityEEEEENSD_19counting_iterator_tIlEES8_S8_S8_S8_S8_S8_S8_S8_EEEEPS9_S9_NSD_9__find_if7functorIS9_EEEE10hipError_tPvRmT1_T2_T3_mT4_P12ihipStream_tbEUlT_E0_NS1_11comp_targetILNS1_3genE5ELNS1_11target_archE942ELNS1_3gpuE9ELNS1_3repE0EEENS1_30default_config_static_selectorELNS0_4arch9wavefront6targetE1EEEvS14_
                                        ; -- End function
	.set _ZN7rocprim17ROCPRIM_400000_NS6detail17trampoline_kernelINS0_14default_configENS1_22reduce_config_selectorIN6thrust23THRUST_200600_302600_NS5tupleIblNS6_9null_typeES8_S8_S8_S8_S8_S8_S8_EEEEZNS1_11reduce_implILb1ES3_NS6_12zip_iteratorINS7_INS6_11hip_rocprim26transform_input_iterator_tIbNSD_35transform_pair_of_input_iterators_tIbNS6_6detail15normal_iteratorINS6_10device_ptrIKyEEEESL_NS6_8equal_toIyEEEENSG_9not_fun_tINSD_8identityEEEEENSD_19counting_iterator_tIlEES8_S8_S8_S8_S8_S8_S8_S8_EEEEPS9_S9_NSD_9__find_if7functorIS9_EEEE10hipError_tPvRmT1_T2_T3_mT4_P12ihipStream_tbEUlT_E0_NS1_11comp_targetILNS1_3genE5ELNS1_11target_archE942ELNS1_3gpuE9ELNS1_3repE0EEENS1_30default_config_static_selectorELNS0_4arch9wavefront6targetE1EEEvS14_.num_vgpr, 0
	.set _ZN7rocprim17ROCPRIM_400000_NS6detail17trampoline_kernelINS0_14default_configENS1_22reduce_config_selectorIN6thrust23THRUST_200600_302600_NS5tupleIblNS6_9null_typeES8_S8_S8_S8_S8_S8_S8_EEEEZNS1_11reduce_implILb1ES3_NS6_12zip_iteratorINS7_INS6_11hip_rocprim26transform_input_iterator_tIbNSD_35transform_pair_of_input_iterators_tIbNS6_6detail15normal_iteratorINS6_10device_ptrIKyEEEESL_NS6_8equal_toIyEEEENSG_9not_fun_tINSD_8identityEEEEENSD_19counting_iterator_tIlEES8_S8_S8_S8_S8_S8_S8_S8_EEEEPS9_S9_NSD_9__find_if7functorIS9_EEEE10hipError_tPvRmT1_T2_T3_mT4_P12ihipStream_tbEUlT_E0_NS1_11comp_targetILNS1_3genE5ELNS1_11target_archE942ELNS1_3gpuE9ELNS1_3repE0EEENS1_30default_config_static_selectorELNS0_4arch9wavefront6targetE1EEEvS14_.num_agpr, 0
	.set _ZN7rocprim17ROCPRIM_400000_NS6detail17trampoline_kernelINS0_14default_configENS1_22reduce_config_selectorIN6thrust23THRUST_200600_302600_NS5tupleIblNS6_9null_typeES8_S8_S8_S8_S8_S8_S8_EEEEZNS1_11reduce_implILb1ES3_NS6_12zip_iteratorINS7_INS6_11hip_rocprim26transform_input_iterator_tIbNSD_35transform_pair_of_input_iterators_tIbNS6_6detail15normal_iteratorINS6_10device_ptrIKyEEEESL_NS6_8equal_toIyEEEENSG_9not_fun_tINSD_8identityEEEEENSD_19counting_iterator_tIlEES8_S8_S8_S8_S8_S8_S8_S8_EEEEPS9_S9_NSD_9__find_if7functorIS9_EEEE10hipError_tPvRmT1_T2_T3_mT4_P12ihipStream_tbEUlT_E0_NS1_11comp_targetILNS1_3genE5ELNS1_11target_archE942ELNS1_3gpuE9ELNS1_3repE0EEENS1_30default_config_static_selectorELNS0_4arch9wavefront6targetE1EEEvS14_.numbered_sgpr, 0
	.set _ZN7rocprim17ROCPRIM_400000_NS6detail17trampoline_kernelINS0_14default_configENS1_22reduce_config_selectorIN6thrust23THRUST_200600_302600_NS5tupleIblNS6_9null_typeES8_S8_S8_S8_S8_S8_S8_EEEEZNS1_11reduce_implILb1ES3_NS6_12zip_iteratorINS7_INS6_11hip_rocprim26transform_input_iterator_tIbNSD_35transform_pair_of_input_iterators_tIbNS6_6detail15normal_iteratorINS6_10device_ptrIKyEEEESL_NS6_8equal_toIyEEEENSG_9not_fun_tINSD_8identityEEEEENSD_19counting_iterator_tIlEES8_S8_S8_S8_S8_S8_S8_S8_EEEEPS9_S9_NSD_9__find_if7functorIS9_EEEE10hipError_tPvRmT1_T2_T3_mT4_P12ihipStream_tbEUlT_E0_NS1_11comp_targetILNS1_3genE5ELNS1_11target_archE942ELNS1_3gpuE9ELNS1_3repE0EEENS1_30default_config_static_selectorELNS0_4arch9wavefront6targetE1EEEvS14_.num_named_barrier, 0
	.set _ZN7rocprim17ROCPRIM_400000_NS6detail17trampoline_kernelINS0_14default_configENS1_22reduce_config_selectorIN6thrust23THRUST_200600_302600_NS5tupleIblNS6_9null_typeES8_S8_S8_S8_S8_S8_S8_EEEEZNS1_11reduce_implILb1ES3_NS6_12zip_iteratorINS7_INS6_11hip_rocprim26transform_input_iterator_tIbNSD_35transform_pair_of_input_iterators_tIbNS6_6detail15normal_iteratorINS6_10device_ptrIKyEEEESL_NS6_8equal_toIyEEEENSG_9not_fun_tINSD_8identityEEEEENSD_19counting_iterator_tIlEES8_S8_S8_S8_S8_S8_S8_S8_EEEEPS9_S9_NSD_9__find_if7functorIS9_EEEE10hipError_tPvRmT1_T2_T3_mT4_P12ihipStream_tbEUlT_E0_NS1_11comp_targetILNS1_3genE5ELNS1_11target_archE942ELNS1_3gpuE9ELNS1_3repE0EEENS1_30default_config_static_selectorELNS0_4arch9wavefront6targetE1EEEvS14_.private_seg_size, 0
	.set _ZN7rocprim17ROCPRIM_400000_NS6detail17trampoline_kernelINS0_14default_configENS1_22reduce_config_selectorIN6thrust23THRUST_200600_302600_NS5tupleIblNS6_9null_typeES8_S8_S8_S8_S8_S8_S8_EEEEZNS1_11reduce_implILb1ES3_NS6_12zip_iteratorINS7_INS6_11hip_rocprim26transform_input_iterator_tIbNSD_35transform_pair_of_input_iterators_tIbNS6_6detail15normal_iteratorINS6_10device_ptrIKyEEEESL_NS6_8equal_toIyEEEENSG_9not_fun_tINSD_8identityEEEEENSD_19counting_iterator_tIlEES8_S8_S8_S8_S8_S8_S8_S8_EEEEPS9_S9_NSD_9__find_if7functorIS9_EEEE10hipError_tPvRmT1_T2_T3_mT4_P12ihipStream_tbEUlT_E0_NS1_11comp_targetILNS1_3genE5ELNS1_11target_archE942ELNS1_3gpuE9ELNS1_3repE0EEENS1_30default_config_static_selectorELNS0_4arch9wavefront6targetE1EEEvS14_.uses_vcc, 0
	.set _ZN7rocprim17ROCPRIM_400000_NS6detail17trampoline_kernelINS0_14default_configENS1_22reduce_config_selectorIN6thrust23THRUST_200600_302600_NS5tupleIblNS6_9null_typeES8_S8_S8_S8_S8_S8_S8_EEEEZNS1_11reduce_implILb1ES3_NS6_12zip_iteratorINS7_INS6_11hip_rocprim26transform_input_iterator_tIbNSD_35transform_pair_of_input_iterators_tIbNS6_6detail15normal_iteratorINS6_10device_ptrIKyEEEESL_NS6_8equal_toIyEEEENSG_9not_fun_tINSD_8identityEEEEENSD_19counting_iterator_tIlEES8_S8_S8_S8_S8_S8_S8_S8_EEEEPS9_S9_NSD_9__find_if7functorIS9_EEEE10hipError_tPvRmT1_T2_T3_mT4_P12ihipStream_tbEUlT_E0_NS1_11comp_targetILNS1_3genE5ELNS1_11target_archE942ELNS1_3gpuE9ELNS1_3repE0EEENS1_30default_config_static_selectorELNS0_4arch9wavefront6targetE1EEEvS14_.uses_flat_scratch, 0
	.set _ZN7rocprim17ROCPRIM_400000_NS6detail17trampoline_kernelINS0_14default_configENS1_22reduce_config_selectorIN6thrust23THRUST_200600_302600_NS5tupleIblNS6_9null_typeES8_S8_S8_S8_S8_S8_S8_EEEEZNS1_11reduce_implILb1ES3_NS6_12zip_iteratorINS7_INS6_11hip_rocprim26transform_input_iterator_tIbNSD_35transform_pair_of_input_iterators_tIbNS6_6detail15normal_iteratorINS6_10device_ptrIKyEEEESL_NS6_8equal_toIyEEEENSG_9not_fun_tINSD_8identityEEEEENSD_19counting_iterator_tIlEES8_S8_S8_S8_S8_S8_S8_S8_EEEEPS9_S9_NSD_9__find_if7functorIS9_EEEE10hipError_tPvRmT1_T2_T3_mT4_P12ihipStream_tbEUlT_E0_NS1_11comp_targetILNS1_3genE5ELNS1_11target_archE942ELNS1_3gpuE9ELNS1_3repE0EEENS1_30default_config_static_selectorELNS0_4arch9wavefront6targetE1EEEvS14_.has_dyn_sized_stack, 0
	.set _ZN7rocprim17ROCPRIM_400000_NS6detail17trampoline_kernelINS0_14default_configENS1_22reduce_config_selectorIN6thrust23THRUST_200600_302600_NS5tupleIblNS6_9null_typeES8_S8_S8_S8_S8_S8_S8_EEEEZNS1_11reduce_implILb1ES3_NS6_12zip_iteratorINS7_INS6_11hip_rocprim26transform_input_iterator_tIbNSD_35transform_pair_of_input_iterators_tIbNS6_6detail15normal_iteratorINS6_10device_ptrIKyEEEESL_NS6_8equal_toIyEEEENSG_9not_fun_tINSD_8identityEEEEENSD_19counting_iterator_tIlEES8_S8_S8_S8_S8_S8_S8_S8_EEEEPS9_S9_NSD_9__find_if7functorIS9_EEEE10hipError_tPvRmT1_T2_T3_mT4_P12ihipStream_tbEUlT_E0_NS1_11comp_targetILNS1_3genE5ELNS1_11target_archE942ELNS1_3gpuE9ELNS1_3repE0EEENS1_30default_config_static_selectorELNS0_4arch9wavefront6targetE1EEEvS14_.has_recursion, 0
	.set _ZN7rocprim17ROCPRIM_400000_NS6detail17trampoline_kernelINS0_14default_configENS1_22reduce_config_selectorIN6thrust23THRUST_200600_302600_NS5tupleIblNS6_9null_typeES8_S8_S8_S8_S8_S8_S8_EEEEZNS1_11reduce_implILb1ES3_NS6_12zip_iteratorINS7_INS6_11hip_rocprim26transform_input_iterator_tIbNSD_35transform_pair_of_input_iterators_tIbNS6_6detail15normal_iteratorINS6_10device_ptrIKyEEEESL_NS6_8equal_toIyEEEENSG_9not_fun_tINSD_8identityEEEEENSD_19counting_iterator_tIlEES8_S8_S8_S8_S8_S8_S8_S8_EEEEPS9_S9_NSD_9__find_if7functorIS9_EEEE10hipError_tPvRmT1_T2_T3_mT4_P12ihipStream_tbEUlT_E0_NS1_11comp_targetILNS1_3genE5ELNS1_11target_archE942ELNS1_3gpuE9ELNS1_3repE0EEENS1_30default_config_static_selectorELNS0_4arch9wavefront6targetE1EEEvS14_.has_indirect_call, 0
	.section	.AMDGPU.csdata,"",@progbits
; Kernel info:
; codeLenInByte = 0
; TotalNumSgprs: 6
; NumVgprs: 0
; NumAgprs: 0
; TotalNumVgprs: 0
; ScratchSize: 0
; MemoryBound: 0
; FloatMode: 240
; IeeeMode: 1
; LDSByteSize: 0 bytes/workgroup (compile time only)
; SGPRBlocks: 0
; VGPRBlocks: 0
; NumSGPRsForWavesPerEU: 6
; NumVGPRsForWavesPerEU: 1
; AccumOffset: 4
; Occupancy: 8
; WaveLimiterHint : 0
; COMPUTE_PGM_RSRC2:SCRATCH_EN: 0
; COMPUTE_PGM_RSRC2:USER_SGPR: 2
; COMPUTE_PGM_RSRC2:TRAP_HANDLER: 0
; COMPUTE_PGM_RSRC2:TGID_X_EN: 1
; COMPUTE_PGM_RSRC2:TGID_Y_EN: 0
; COMPUTE_PGM_RSRC2:TGID_Z_EN: 0
; COMPUTE_PGM_RSRC2:TIDIG_COMP_CNT: 0
; COMPUTE_PGM_RSRC3_GFX90A:ACCUM_OFFSET: 0
; COMPUTE_PGM_RSRC3_GFX90A:TG_SPLIT: 0
	.section	.text._ZN7rocprim17ROCPRIM_400000_NS6detail17trampoline_kernelINS0_14default_configENS1_22reduce_config_selectorIN6thrust23THRUST_200600_302600_NS5tupleIblNS6_9null_typeES8_S8_S8_S8_S8_S8_S8_EEEEZNS1_11reduce_implILb1ES3_NS6_12zip_iteratorINS7_INS6_11hip_rocprim26transform_input_iterator_tIbNSD_35transform_pair_of_input_iterators_tIbNS6_6detail15normal_iteratorINS6_10device_ptrIKyEEEESL_NS6_8equal_toIyEEEENSG_9not_fun_tINSD_8identityEEEEENSD_19counting_iterator_tIlEES8_S8_S8_S8_S8_S8_S8_S8_EEEEPS9_S9_NSD_9__find_if7functorIS9_EEEE10hipError_tPvRmT1_T2_T3_mT4_P12ihipStream_tbEUlT_E0_NS1_11comp_targetILNS1_3genE4ELNS1_11target_archE910ELNS1_3gpuE8ELNS1_3repE0EEENS1_30default_config_static_selectorELNS0_4arch9wavefront6targetE1EEEvS14_,"axG",@progbits,_ZN7rocprim17ROCPRIM_400000_NS6detail17trampoline_kernelINS0_14default_configENS1_22reduce_config_selectorIN6thrust23THRUST_200600_302600_NS5tupleIblNS6_9null_typeES8_S8_S8_S8_S8_S8_S8_EEEEZNS1_11reduce_implILb1ES3_NS6_12zip_iteratorINS7_INS6_11hip_rocprim26transform_input_iterator_tIbNSD_35transform_pair_of_input_iterators_tIbNS6_6detail15normal_iteratorINS6_10device_ptrIKyEEEESL_NS6_8equal_toIyEEEENSG_9not_fun_tINSD_8identityEEEEENSD_19counting_iterator_tIlEES8_S8_S8_S8_S8_S8_S8_S8_EEEEPS9_S9_NSD_9__find_if7functorIS9_EEEE10hipError_tPvRmT1_T2_T3_mT4_P12ihipStream_tbEUlT_E0_NS1_11comp_targetILNS1_3genE4ELNS1_11target_archE910ELNS1_3gpuE8ELNS1_3repE0EEENS1_30default_config_static_selectorELNS0_4arch9wavefront6targetE1EEEvS14_,comdat
	.protected	_ZN7rocprim17ROCPRIM_400000_NS6detail17trampoline_kernelINS0_14default_configENS1_22reduce_config_selectorIN6thrust23THRUST_200600_302600_NS5tupleIblNS6_9null_typeES8_S8_S8_S8_S8_S8_S8_EEEEZNS1_11reduce_implILb1ES3_NS6_12zip_iteratorINS7_INS6_11hip_rocprim26transform_input_iterator_tIbNSD_35transform_pair_of_input_iterators_tIbNS6_6detail15normal_iteratorINS6_10device_ptrIKyEEEESL_NS6_8equal_toIyEEEENSG_9not_fun_tINSD_8identityEEEEENSD_19counting_iterator_tIlEES8_S8_S8_S8_S8_S8_S8_S8_EEEEPS9_S9_NSD_9__find_if7functorIS9_EEEE10hipError_tPvRmT1_T2_T3_mT4_P12ihipStream_tbEUlT_E0_NS1_11comp_targetILNS1_3genE4ELNS1_11target_archE910ELNS1_3gpuE8ELNS1_3repE0EEENS1_30default_config_static_selectorELNS0_4arch9wavefront6targetE1EEEvS14_ ; -- Begin function _ZN7rocprim17ROCPRIM_400000_NS6detail17trampoline_kernelINS0_14default_configENS1_22reduce_config_selectorIN6thrust23THRUST_200600_302600_NS5tupleIblNS6_9null_typeES8_S8_S8_S8_S8_S8_S8_EEEEZNS1_11reduce_implILb1ES3_NS6_12zip_iteratorINS7_INS6_11hip_rocprim26transform_input_iterator_tIbNSD_35transform_pair_of_input_iterators_tIbNS6_6detail15normal_iteratorINS6_10device_ptrIKyEEEESL_NS6_8equal_toIyEEEENSG_9not_fun_tINSD_8identityEEEEENSD_19counting_iterator_tIlEES8_S8_S8_S8_S8_S8_S8_S8_EEEEPS9_S9_NSD_9__find_if7functorIS9_EEEE10hipError_tPvRmT1_T2_T3_mT4_P12ihipStream_tbEUlT_E0_NS1_11comp_targetILNS1_3genE4ELNS1_11target_archE910ELNS1_3gpuE8ELNS1_3repE0EEENS1_30default_config_static_selectorELNS0_4arch9wavefront6targetE1EEEvS14_
	.globl	_ZN7rocprim17ROCPRIM_400000_NS6detail17trampoline_kernelINS0_14default_configENS1_22reduce_config_selectorIN6thrust23THRUST_200600_302600_NS5tupleIblNS6_9null_typeES8_S8_S8_S8_S8_S8_S8_EEEEZNS1_11reduce_implILb1ES3_NS6_12zip_iteratorINS7_INS6_11hip_rocprim26transform_input_iterator_tIbNSD_35transform_pair_of_input_iterators_tIbNS6_6detail15normal_iteratorINS6_10device_ptrIKyEEEESL_NS6_8equal_toIyEEEENSG_9not_fun_tINSD_8identityEEEEENSD_19counting_iterator_tIlEES8_S8_S8_S8_S8_S8_S8_S8_EEEEPS9_S9_NSD_9__find_if7functorIS9_EEEE10hipError_tPvRmT1_T2_T3_mT4_P12ihipStream_tbEUlT_E0_NS1_11comp_targetILNS1_3genE4ELNS1_11target_archE910ELNS1_3gpuE8ELNS1_3repE0EEENS1_30default_config_static_selectorELNS0_4arch9wavefront6targetE1EEEvS14_
	.p2align	8
	.type	_ZN7rocprim17ROCPRIM_400000_NS6detail17trampoline_kernelINS0_14default_configENS1_22reduce_config_selectorIN6thrust23THRUST_200600_302600_NS5tupleIblNS6_9null_typeES8_S8_S8_S8_S8_S8_S8_EEEEZNS1_11reduce_implILb1ES3_NS6_12zip_iteratorINS7_INS6_11hip_rocprim26transform_input_iterator_tIbNSD_35transform_pair_of_input_iterators_tIbNS6_6detail15normal_iteratorINS6_10device_ptrIKyEEEESL_NS6_8equal_toIyEEEENSG_9not_fun_tINSD_8identityEEEEENSD_19counting_iterator_tIlEES8_S8_S8_S8_S8_S8_S8_S8_EEEEPS9_S9_NSD_9__find_if7functorIS9_EEEE10hipError_tPvRmT1_T2_T3_mT4_P12ihipStream_tbEUlT_E0_NS1_11comp_targetILNS1_3genE4ELNS1_11target_archE910ELNS1_3gpuE8ELNS1_3repE0EEENS1_30default_config_static_selectorELNS0_4arch9wavefront6targetE1EEEvS14_,@function
_ZN7rocprim17ROCPRIM_400000_NS6detail17trampoline_kernelINS0_14default_configENS1_22reduce_config_selectorIN6thrust23THRUST_200600_302600_NS5tupleIblNS6_9null_typeES8_S8_S8_S8_S8_S8_S8_EEEEZNS1_11reduce_implILb1ES3_NS6_12zip_iteratorINS7_INS6_11hip_rocprim26transform_input_iterator_tIbNSD_35transform_pair_of_input_iterators_tIbNS6_6detail15normal_iteratorINS6_10device_ptrIKyEEEESL_NS6_8equal_toIyEEEENSG_9not_fun_tINSD_8identityEEEEENSD_19counting_iterator_tIlEES8_S8_S8_S8_S8_S8_S8_S8_EEEEPS9_S9_NSD_9__find_if7functorIS9_EEEE10hipError_tPvRmT1_T2_T3_mT4_P12ihipStream_tbEUlT_E0_NS1_11comp_targetILNS1_3genE4ELNS1_11target_archE910ELNS1_3gpuE8ELNS1_3repE0EEENS1_30default_config_static_selectorELNS0_4arch9wavefront6targetE1EEEvS14_: ; @_ZN7rocprim17ROCPRIM_400000_NS6detail17trampoline_kernelINS0_14default_configENS1_22reduce_config_selectorIN6thrust23THRUST_200600_302600_NS5tupleIblNS6_9null_typeES8_S8_S8_S8_S8_S8_S8_EEEEZNS1_11reduce_implILb1ES3_NS6_12zip_iteratorINS7_INS6_11hip_rocprim26transform_input_iterator_tIbNSD_35transform_pair_of_input_iterators_tIbNS6_6detail15normal_iteratorINS6_10device_ptrIKyEEEESL_NS6_8equal_toIyEEEENSG_9not_fun_tINSD_8identityEEEEENSD_19counting_iterator_tIlEES8_S8_S8_S8_S8_S8_S8_S8_EEEEPS9_S9_NSD_9__find_if7functorIS9_EEEE10hipError_tPvRmT1_T2_T3_mT4_P12ihipStream_tbEUlT_E0_NS1_11comp_targetILNS1_3genE4ELNS1_11target_archE910ELNS1_3gpuE8ELNS1_3repE0EEENS1_30default_config_static_selectorELNS0_4arch9wavefront6targetE1EEEvS14_
; %bb.0:
	.section	.rodata,"a",@progbits
	.p2align	6, 0x0
	.amdhsa_kernel _ZN7rocprim17ROCPRIM_400000_NS6detail17trampoline_kernelINS0_14default_configENS1_22reduce_config_selectorIN6thrust23THRUST_200600_302600_NS5tupleIblNS6_9null_typeES8_S8_S8_S8_S8_S8_S8_EEEEZNS1_11reduce_implILb1ES3_NS6_12zip_iteratorINS7_INS6_11hip_rocprim26transform_input_iterator_tIbNSD_35transform_pair_of_input_iterators_tIbNS6_6detail15normal_iteratorINS6_10device_ptrIKyEEEESL_NS6_8equal_toIyEEEENSG_9not_fun_tINSD_8identityEEEEENSD_19counting_iterator_tIlEES8_S8_S8_S8_S8_S8_S8_S8_EEEEPS9_S9_NSD_9__find_if7functorIS9_EEEE10hipError_tPvRmT1_T2_T3_mT4_P12ihipStream_tbEUlT_E0_NS1_11comp_targetILNS1_3genE4ELNS1_11target_archE910ELNS1_3gpuE8ELNS1_3repE0EEENS1_30default_config_static_selectorELNS0_4arch9wavefront6targetE1EEEvS14_
		.amdhsa_group_segment_fixed_size 0
		.amdhsa_private_segment_fixed_size 0
		.amdhsa_kernarg_size 104
		.amdhsa_user_sgpr_count 2
		.amdhsa_user_sgpr_dispatch_ptr 0
		.amdhsa_user_sgpr_queue_ptr 0
		.amdhsa_user_sgpr_kernarg_segment_ptr 1
		.amdhsa_user_sgpr_dispatch_id 0
		.amdhsa_user_sgpr_kernarg_preload_length 0
		.amdhsa_user_sgpr_kernarg_preload_offset 0
		.amdhsa_user_sgpr_private_segment_size 0
		.amdhsa_uses_dynamic_stack 0
		.amdhsa_enable_private_segment 0
		.amdhsa_system_sgpr_workgroup_id_x 1
		.amdhsa_system_sgpr_workgroup_id_y 0
		.amdhsa_system_sgpr_workgroup_id_z 0
		.amdhsa_system_sgpr_workgroup_info 0
		.amdhsa_system_vgpr_workitem_id 0
		.amdhsa_next_free_vgpr 1
		.amdhsa_next_free_sgpr 0
		.amdhsa_accum_offset 4
		.amdhsa_reserve_vcc 0
		.amdhsa_float_round_mode_32 0
		.amdhsa_float_round_mode_16_64 0
		.amdhsa_float_denorm_mode_32 3
		.amdhsa_float_denorm_mode_16_64 3
		.amdhsa_dx10_clamp 1
		.amdhsa_ieee_mode 1
		.amdhsa_fp16_overflow 0
		.amdhsa_tg_split 0
		.amdhsa_exception_fp_ieee_invalid_op 0
		.amdhsa_exception_fp_denorm_src 0
		.amdhsa_exception_fp_ieee_div_zero 0
		.amdhsa_exception_fp_ieee_overflow 0
		.amdhsa_exception_fp_ieee_underflow 0
		.amdhsa_exception_fp_ieee_inexact 0
		.amdhsa_exception_int_div_zero 0
	.end_amdhsa_kernel
	.section	.text._ZN7rocprim17ROCPRIM_400000_NS6detail17trampoline_kernelINS0_14default_configENS1_22reduce_config_selectorIN6thrust23THRUST_200600_302600_NS5tupleIblNS6_9null_typeES8_S8_S8_S8_S8_S8_S8_EEEEZNS1_11reduce_implILb1ES3_NS6_12zip_iteratorINS7_INS6_11hip_rocprim26transform_input_iterator_tIbNSD_35transform_pair_of_input_iterators_tIbNS6_6detail15normal_iteratorINS6_10device_ptrIKyEEEESL_NS6_8equal_toIyEEEENSG_9not_fun_tINSD_8identityEEEEENSD_19counting_iterator_tIlEES8_S8_S8_S8_S8_S8_S8_S8_EEEEPS9_S9_NSD_9__find_if7functorIS9_EEEE10hipError_tPvRmT1_T2_T3_mT4_P12ihipStream_tbEUlT_E0_NS1_11comp_targetILNS1_3genE4ELNS1_11target_archE910ELNS1_3gpuE8ELNS1_3repE0EEENS1_30default_config_static_selectorELNS0_4arch9wavefront6targetE1EEEvS14_,"axG",@progbits,_ZN7rocprim17ROCPRIM_400000_NS6detail17trampoline_kernelINS0_14default_configENS1_22reduce_config_selectorIN6thrust23THRUST_200600_302600_NS5tupleIblNS6_9null_typeES8_S8_S8_S8_S8_S8_S8_EEEEZNS1_11reduce_implILb1ES3_NS6_12zip_iteratorINS7_INS6_11hip_rocprim26transform_input_iterator_tIbNSD_35transform_pair_of_input_iterators_tIbNS6_6detail15normal_iteratorINS6_10device_ptrIKyEEEESL_NS6_8equal_toIyEEEENSG_9not_fun_tINSD_8identityEEEEENSD_19counting_iterator_tIlEES8_S8_S8_S8_S8_S8_S8_S8_EEEEPS9_S9_NSD_9__find_if7functorIS9_EEEE10hipError_tPvRmT1_T2_T3_mT4_P12ihipStream_tbEUlT_E0_NS1_11comp_targetILNS1_3genE4ELNS1_11target_archE910ELNS1_3gpuE8ELNS1_3repE0EEENS1_30default_config_static_selectorELNS0_4arch9wavefront6targetE1EEEvS14_,comdat
.Lfunc_end584:
	.size	_ZN7rocprim17ROCPRIM_400000_NS6detail17trampoline_kernelINS0_14default_configENS1_22reduce_config_selectorIN6thrust23THRUST_200600_302600_NS5tupleIblNS6_9null_typeES8_S8_S8_S8_S8_S8_S8_EEEEZNS1_11reduce_implILb1ES3_NS6_12zip_iteratorINS7_INS6_11hip_rocprim26transform_input_iterator_tIbNSD_35transform_pair_of_input_iterators_tIbNS6_6detail15normal_iteratorINS6_10device_ptrIKyEEEESL_NS6_8equal_toIyEEEENSG_9not_fun_tINSD_8identityEEEEENSD_19counting_iterator_tIlEES8_S8_S8_S8_S8_S8_S8_S8_EEEEPS9_S9_NSD_9__find_if7functorIS9_EEEE10hipError_tPvRmT1_T2_T3_mT4_P12ihipStream_tbEUlT_E0_NS1_11comp_targetILNS1_3genE4ELNS1_11target_archE910ELNS1_3gpuE8ELNS1_3repE0EEENS1_30default_config_static_selectorELNS0_4arch9wavefront6targetE1EEEvS14_, .Lfunc_end584-_ZN7rocprim17ROCPRIM_400000_NS6detail17trampoline_kernelINS0_14default_configENS1_22reduce_config_selectorIN6thrust23THRUST_200600_302600_NS5tupleIblNS6_9null_typeES8_S8_S8_S8_S8_S8_S8_EEEEZNS1_11reduce_implILb1ES3_NS6_12zip_iteratorINS7_INS6_11hip_rocprim26transform_input_iterator_tIbNSD_35transform_pair_of_input_iterators_tIbNS6_6detail15normal_iteratorINS6_10device_ptrIKyEEEESL_NS6_8equal_toIyEEEENSG_9not_fun_tINSD_8identityEEEEENSD_19counting_iterator_tIlEES8_S8_S8_S8_S8_S8_S8_S8_EEEEPS9_S9_NSD_9__find_if7functorIS9_EEEE10hipError_tPvRmT1_T2_T3_mT4_P12ihipStream_tbEUlT_E0_NS1_11comp_targetILNS1_3genE4ELNS1_11target_archE910ELNS1_3gpuE8ELNS1_3repE0EEENS1_30default_config_static_selectorELNS0_4arch9wavefront6targetE1EEEvS14_
                                        ; -- End function
	.set _ZN7rocprim17ROCPRIM_400000_NS6detail17trampoline_kernelINS0_14default_configENS1_22reduce_config_selectorIN6thrust23THRUST_200600_302600_NS5tupleIblNS6_9null_typeES8_S8_S8_S8_S8_S8_S8_EEEEZNS1_11reduce_implILb1ES3_NS6_12zip_iteratorINS7_INS6_11hip_rocprim26transform_input_iterator_tIbNSD_35transform_pair_of_input_iterators_tIbNS6_6detail15normal_iteratorINS6_10device_ptrIKyEEEESL_NS6_8equal_toIyEEEENSG_9not_fun_tINSD_8identityEEEEENSD_19counting_iterator_tIlEES8_S8_S8_S8_S8_S8_S8_S8_EEEEPS9_S9_NSD_9__find_if7functorIS9_EEEE10hipError_tPvRmT1_T2_T3_mT4_P12ihipStream_tbEUlT_E0_NS1_11comp_targetILNS1_3genE4ELNS1_11target_archE910ELNS1_3gpuE8ELNS1_3repE0EEENS1_30default_config_static_selectorELNS0_4arch9wavefront6targetE1EEEvS14_.num_vgpr, 0
	.set _ZN7rocprim17ROCPRIM_400000_NS6detail17trampoline_kernelINS0_14default_configENS1_22reduce_config_selectorIN6thrust23THRUST_200600_302600_NS5tupleIblNS6_9null_typeES8_S8_S8_S8_S8_S8_S8_EEEEZNS1_11reduce_implILb1ES3_NS6_12zip_iteratorINS7_INS6_11hip_rocprim26transform_input_iterator_tIbNSD_35transform_pair_of_input_iterators_tIbNS6_6detail15normal_iteratorINS6_10device_ptrIKyEEEESL_NS6_8equal_toIyEEEENSG_9not_fun_tINSD_8identityEEEEENSD_19counting_iterator_tIlEES8_S8_S8_S8_S8_S8_S8_S8_EEEEPS9_S9_NSD_9__find_if7functorIS9_EEEE10hipError_tPvRmT1_T2_T3_mT4_P12ihipStream_tbEUlT_E0_NS1_11comp_targetILNS1_3genE4ELNS1_11target_archE910ELNS1_3gpuE8ELNS1_3repE0EEENS1_30default_config_static_selectorELNS0_4arch9wavefront6targetE1EEEvS14_.num_agpr, 0
	.set _ZN7rocprim17ROCPRIM_400000_NS6detail17trampoline_kernelINS0_14default_configENS1_22reduce_config_selectorIN6thrust23THRUST_200600_302600_NS5tupleIblNS6_9null_typeES8_S8_S8_S8_S8_S8_S8_EEEEZNS1_11reduce_implILb1ES3_NS6_12zip_iteratorINS7_INS6_11hip_rocprim26transform_input_iterator_tIbNSD_35transform_pair_of_input_iterators_tIbNS6_6detail15normal_iteratorINS6_10device_ptrIKyEEEESL_NS6_8equal_toIyEEEENSG_9not_fun_tINSD_8identityEEEEENSD_19counting_iterator_tIlEES8_S8_S8_S8_S8_S8_S8_S8_EEEEPS9_S9_NSD_9__find_if7functorIS9_EEEE10hipError_tPvRmT1_T2_T3_mT4_P12ihipStream_tbEUlT_E0_NS1_11comp_targetILNS1_3genE4ELNS1_11target_archE910ELNS1_3gpuE8ELNS1_3repE0EEENS1_30default_config_static_selectorELNS0_4arch9wavefront6targetE1EEEvS14_.numbered_sgpr, 0
	.set _ZN7rocprim17ROCPRIM_400000_NS6detail17trampoline_kernelINS0_14default_configENS1_22reduce_config_selectorIN6thrust23THRUST_200600_302600_NS5tupleIblNS6_9null_typeES8_S8_S8_S8_S8_S8_S8_EEEEZNS1_11reduce_implILb1ES3_NS6_12zip_iteratorINS7_INS6_11hip_rocprim26transform_input_iterator_tIbNSD_35transform_pair_of_input_iterators_tIbNS6_6detail15normal_iteratorINS6_10device_ptrIKyEEEESL_NS6_8equal_toIyEEEENSG_9not_fun_tINSD_8identityEEEEENSD_19counting_iterator_tIlEES8_S8_S8_S8_S8_S8_S8_S8_EEEEPS9_S9_NSD_9__find_if7functorIS9_EEEE10hipError_tPvRmT1_T2_T3_mT4_P12ihipStream_tbEUlT_E0_NS1_11comp_targetILNS1_3genE4ELNS1_11target_archE910ELNS1_3gpuE8ELNS1_3repE0EEENS1_30default_config_static_selectorELNS0_4arch9wavefront6targetE1EEEvS14_.num_named_barrier, 0
	.set _ZN7rocprim17ROCPRIM_400000_NS6detail17trampoline_kernelINS0_14default_configENS1_22reduce_config_selectorIN6thrust23THRUST_200600_302600_NS5tupleIblNS6_9null_typeES8_S8_S8_S8_S8_S8_S8_EEEEZNS1_11reduce_implILb1ES3_NS6_12zip_iteratorINS7_INS6_11hip_rocprim26transform_input_iterator_tIbNSD_35transform_pair_of_input_iterators_tIbNS6_6detail15normal_iteratorINS6_10device_ptrIKyEEEESL_NS6_8equal_toIyEEEENSG_9not_fun_tINSD_8identityEEEEENSD_19counting_iterator_tIlEES8_S8_S8_S8_S8_S8_S8_S8_EEEEPS9_S9_NSD_9__find_if7functorIS9_EEEE10hipError_tPvRmT1_T2_T3_mT4_P12ihipStream_tbEUlT_E0_NS1_11comp_targetILNS1_3genE4ELNS1_11target_archE910ELNS1_3gpuE8ELNS1_3repE0EEENS1_30default_config_static_selectorELNS0_4arch9wavefront6targetE1EEEvS14_.private_seg_size, 0
	.set _ZN7rocprim17ROCPRIM_400000_NS6detail17trampoline_kernelINS0_14default_configENS1_22reduce_config_selectorIN6thrust23THRUST_200600_302600_NS5tupleIblNS6_9null_typeES8_S8_S8_S8_S8_S8_S8_EEEEZNS1_11reduce_implILb1ES3_NS6_12zip_iteratorINS7_INS6_11hip_rocprim26transform_input_iterator_tIbNSD_35transform_pair_of_input_iterators_tIbNS6_6detail15normal_iteratorINS6_10device_ptrIKyEEEESL_NS6_8equal_toIyEEEENSG_9not_fun_tINSD_8identityEEEEENSD_19counting_iterator_tIlEES8_S8_S8_S8_S8_S8_S8_S8_EEEEPS9_S9_NSD_9__find_if7functorIS9_EEEE10hipError_tPvRmT1_T2_T3_mT4_P12ihipStream_tbEUlT_E0_NS1_11comp_targetILNS1_3genE4ELNS1_11target_archE910ELNS1_3gpuE8ELNS1_3repE0EEENS1_30default_config_static_selectorELNS0_4arch9wavefront6targetE1EEEvS14_.uses_vcc, 0
	.set _ZN7rocprim17ROCPRIM_400000_NS6detail17trampoline_kernelINS0_14default_configENS1_22reduce_config_selectorIN6thrust23THRUST_200600_302600_NS5tupleIblNS6_9null_typeES8_S8_S8_S8_S8_S8_S8_EEEEZNS1_11reduce_implILb1ES3_NS6_12zip_iteratorINS7_INS6_11hip_rocprim26transform_input_iterator_tIbNSD_35transform_pair_of_input_iterators_tIbNS6_6detail15normal_iteratorINS6_10device_ptrIKyEEEESL_NS6_8equal_toIyEEEENSG_9not_fun_tINSD_8identityEEEEENSD_19counting_iterator_tIlEES8_S8_S8_S8_S8_S8_S8_S8_EEEEPS9_S9_NSD_9__find_if7functorIS9_EEEE10hipError_tPvRmT1_T2_T3_mT4_P12ihipStream_tbEUlT_E0_NS1_11comp_targetILNS1_3genE4ELNS1_11target_archE910ELNS1_3gpuE8ELNS1_3repE0EEENS1_30default_config_static_selectorELNS0_4arch9wavefront6targetE1EEEvS14_.uses_flat_scratch, 0
	.set _ZN7rocprim17ROCPRIM_400000_NS6detail17trampoline_kernelINS0_14default_configENS1_22reduce_config_selectorIN6thrust23THRUST_200600_302600_NS5tupleIblNS6_9null_typeES8_S8_S8_S8_S8_S8_S8_EEEEZNS1_11reduce_implILb1ES3_NS6_12zip_iteratorINS7_INS6_11hip_rocprim26transform_input_iterator_tIbNSD_35transform_pair_of_input_iterators_tIbNS6_6detail15normal_iteratorINS6_10device_ptrIKyEEEESL_NS6_8equal_toIyEEEENSG_9not_fun_tINSD_8identityEEEEENSD_19counting_iterator_tIlEES8_S8_S8_S8_S8_S8_S8_S8_EEEEPS9_S9_NSD_9__find_if7functorIS9_EEEE10hipError_tPvRmT1_T2_T3_mT4_P12ihipStream_tbEUlT_E0_NS1_11comp_targetILNS1_3genE4ELNS1_11target_archE910ELNS1_3gpuE8ELNS1_3repE0EEENS1_30default_config_static_selectorELNS0_4arch9wavefront6targetE1EEEvS14_.has_dyn_sized_stack, 0
	.set _ZN7rocprim17ROCPRIM_400000_NS6detail17trampoline_kernelINS0_14default_configENS1_22reduce_config_selectorIN6thrust23THRUST_200600_302600_NS5tupleIblNS6_9null_typeES8_S8_S8_S8_S8_S8_S8_EEEEZNS1_11reduce_implILb1ES3_NS6_12zip_iteratorINS7_INS6_11hip_rocprim26transform_input_iterator_tIbNSD_35transform_pair_of_input_iterators_tIbNS6_6detail15normal_iteratorINS6_10device_ptrIKyEEEESL_NS6_8equal_toIyEEEENSG_9not_fun_tINSD_8identityEEEEENSD_19counting_iterator_tIlEES8_S8_S8_S8_S8_S8_S8_S8_EEEEPS9_S9_NSD_9__find_if7functorIS9_EEEE10hipError_tPvRmT1_T2_T3_mT4_P12ihipStream_tbEUlT_E0_NS1_11comp_targetILNS1_3genE4ELNS1_11target_archE910ELNS1_3gpuE8ELNS1_3repE0EEENS1_30default_config_static_selectorELNS0_4arch9wavefront6targetE1EEEvS14_.has_recursion, 0
	.set _ZN7rocprim17ROCPRIM_400000_NS6detail17trampoline_kernelINS0_14default_configENS1_22reduce_config_selectorIN6thrust23THRUST_200600_302600_NS5tupleIblNS6_9null_typeES8_S8_S8_S8_S8_S8_S8_EEEEZNS1_11reduce_implILb1ES3_NS6_12zip_iteratorINS7_INS6_11hip_rocprim26transform_input_iterator_tIbNSD_35transform_pair_of_input_iterators_tIbNS6_6detail15normal_iteratorINS6_10device_ptrIKyEEEESL_NS6_8equal_toIyEEEENSG_9not_fun_tINSD_8identityEEEEENSD_19counting_iterator_tIlEES8_S8_S8_S8_S8_S8_S8_S8_EEEEPS9_S9_NSD_9__find_if7functorIS9_EEEE10hipError_tPvRmT1_T2_T3_mT4_P12ihipStream_tbEUlT_E0_NS1_11comp_targetILNS1_3genE4ELNS1_11target_archE910ELNS1_3gpuE8ELNS1_3repE0EEENS1_30default_config_static_selectorELNS0_4arch9wavefront6targetE1EEEvS14_.has_indirect_call, 0
	.section	.AMDGPU.csdata,"",@progbits
; Kernel info:
; codeLenInByte = 0
; TotalNumSgprs: 6
; NumVgprs: 0
; NumAgprs: 0
; TotalNumVgprs: 0
; ScratchSize: 0
; MemoryBound: 0
; FloatMode: 240
; IeeeMode: 1
; LDSByteSize: 0 bytes/workgroup (compile time only)
; SGPRBlocks: 0
; VGPRBlocks: 0
; NumSGPRsForWavesPerEU: 6
; NumVGPRsForWavesPerEU: 1
; AccumOffset: 4
; Occupancy: 8
; WaveLimiterHint : 0
; COMPUTE_PGM_RSRC2:SCRATCH_EN: 0
; COMPUTE_PGM_RSRC2:USER_SGPR: 2
; COMPUTE_PGM_RSRC2:TRAP_HANDLER: 0
; COMPUTE_PGM_RSRC2:TGID_X_EN: 1
; COMPUTE_PGM_RSRC2:TGID_Y_EN: 0
; COMPUTE_PGM_RSRC2:TGID_Z_EN: 0
; COMPUTE_PGM_RSRC2:TIDIG_COMP_CNT: 0
; COMPUTE_PGM_RSRC3_GFX90A:ACCUM_OFFSET: 0
; COMPUTE_PGM_RSRC3_GFX90A:TG_SPLIT: 0
	.section	.text._ZN7rocprim17ROCPRIM_400000_NS6detail17trampoline_kernelINS0_14default_configENS1_22reduce_config_selectorIN6thrust23THRUST_200600_302600_NS5tupleIblNS6_9null_typeES8_S8_S8_S8_S8_S8_S8_EEEEZNS1_11reduce_implILb1ES3_NS6_12zip_iteratorINS7_INS6_11hip_rocprim26transform_input_iterator_tIbNSD_35transform_pair_of_input_iterators_tIbNS6_6detail15normal_iteratorINS6_10device_ptrIKyEEEESL_NS6_8equal_toIyEEEENSG_9not_fun_tINSD_8identityEEEEENSD_19counting_iterator_tIlEES8_S8_S8_S8_S8_S8_S8_S8_EEEEPS9_S9_NSD_9__find_if7functorIS9_EEEE10hipError_tPvRmT1_T2_T3_mT4_P12ihipStream_tbEUlT_E0_NS1_11comp_targetILNS1_3genE3ELNS1_11target_archE908ELNS1_3gpuE7ELNS1_3repE0EEENS1_30default_config_static_selectorELNS0_4arch9wavefront6targetE1EEEvS14_,"axG",@progbits,_ZN7rocprim17ROCPRIM_400000_NS6detail17trampoline_kernelINS0_14default_configENS1_22reduce_config_selectorIN6thrust23THRUST_200600_302600_NS5tupleIblNS6_9null_typeES8_S8_S8_S8_S8_S8_S8_EEEEZNS1_11reduce_implILb1ES3_NS6_12zip_iteratorINS7_INS6_11hip_rocprim26transform_input_iterator_tIbNSD_35transform_pair_of_input_iterators_tIbNS6_6detail15normal_iteratorINS6_10device_ptrIKyEEEESL_NS6_8equal_toIyEEEENSG_9not_fun_tINSD_8identityEEEEENSD_19counting_iterator_tIlEES8_S8_S8_S8_S8_S8_S8_S8_EEEEPS9_S9_NSD_9__find_if7functorIS9_EEEE10hipError_tPvRmT1_T2_T3_mT4_P12ihipStream_tbEUlT_E0_NS1_11comp_targetILNS1_3genE3ELNS1_11target_archE908ELNS1_3gpuE7ELNS1_3repE0EEENS1_30default_config_static_selectorELNS0_4arch9wavefront6targetE1EEEvS14_,comdat
	.protected	_ZN7rocprim17ROCPRIM_400000_NS6detail17trampoline_kernelINS0_14default_configENS1_22reduce_config_selectorIN6thrust23THRUST_200600_302600_NS5tupleIblNS6_9null_typeES8_S8_S8_S8_S8_S8_S8_EEEEZNS1_11reduce_implILb1ES3_NS6_12zip_iteratorINS7_INS6_11hip_rocprim26transform_input_iterator_tIbNSD_35transform_pair_of_input_iterators_tIbNS6_6detail15normal_iteratorINS6_10device_ptrIKyEEEESL_NS6_8equal_toIyEEEENSG_9not_fun_tINSD_8identityEEEEENSD_19counting_iterator_tIlEES8_S8_S8_S8_S8_S8_S8_S8_EEEEPS9_S9_NSD_9__find_if7functorIS9_EEEE10hipError_tPvRmT1_T2_T3_mT4_P12ihipStream_tbEUlT_E0_NS1_11comp_targetILNS1_3genE3ELNS1_11target_archE908ELNS1_3gpuE7ELNS1_3repE0EEENS1_30default_config_static_selectorELNS0_4arch9wavefront6targetE1EEEvS14_ ; -- Begin function _ZN7rocprim17ROCPRIM_400000_NS6detail17trampoline_kernelINS0_14default_configENS1_22reduce_config_selectorIN6thrust23THRUST_200600_302600_NS5tupleIblNS6_9null_typeES8_S8_S8_S8_S8_S8_S8_EEEEZNS1_11reduce_implILb1ES3_NS6_12zip_iteratorINS7_INS6_11hip_rocprim26transform_input_iterator_tIbNSD_35transform_pair_of_input_iterators_tIbNS6_6detail15normal_iteratorINS6_10device_ptrIKyEEEESL_NS6_8equal_toIyEEEENSG_9not_fun_tINSD_8identityEEEEENSD_19counting_iterator_tIlEES8_S8_S8_S8_S8_S8_S8_S8_EEEEPS9_S9_NSD_9__find_if7functorIS9_EEEE10hipError_tPvRmT1_T2_T3_mT4_P12ihipStream_tbEUlT_E0_NS1_11comp_targetILNS1_3genE3ELNS1_11target_archE908ELNS1_3gpuE7ELNS1_3repE0EEENS1_30default_config_static_selectorELNS0_4arch9wavefront6targetE1EEEvS14_
	.globl	_ZN7rocprim17ROCPRIM_400000_NS6detail17trampoline_kernelINS0_14default_configENS1_22reduce_config_selectorIN6thrust23THRUST_200600_302600_NS5tupleIblNS6_9null_typeES8_S8_S8_S8_S8_S8_S8_EEEEZNS1_11reduce_implILb1ES3_NS6_12zip_iteratorINS7_INS6_11hip_rocprim26transform_input_iterator_tIbNSD_35transform_pair_of_input_iterators_tIbNS6_6detail15normal_iteratorINS6_10device_ptrIKyEEEESL_NS6_8equal_toIyEEEENSG_9not_fun_tINSD_8identityEEEEENSD_19counting_iterator_tIlEES8_S8_S8_S8_S8_S8_S8_S8_EEEEPS9_S9_NSD_9__find_if7functorIS9_EEEE10hipError_tPvRmT1_T2_T3_mT4_P12ihipStream_tbEUlT_E0_NS1_11comp_targetILNS1_3genE3ELNS1_11target_archE908ELNS1_3gpuE7ELNS1_3repE0EEENS1_30default_config_static_selectorELNS0_4arch9wavefront6targetE1EEEvS14_
	.p2align	8
	.type	_ZN7rocprim17ROCPRIM_400000_NS6detail17trampoline_kernelINS0_14default_configENS1_22reduce_config_selectorIN6thrust23THRUST_200600_302600_NS5tupleIblNS6_9null_typeES8_S8_S8_S8_S8_S8_S8_EEEEZNS1_11reduce_implILb1ES3_NS6_12zip_iteratorINS7_INS6_11hip_rocprim26transform_input_iterator_tIbNSD_35transform_pair_of_input_iterators_tIbNS6_6detail15normal_iteratorINS6_10device_ptrIKyEEEESL_NS6_8equal_toIyEEEENSG_9not_fun_tINSD_8identityEEEEENSD_19counting_iterator_tIlEES8_S8_S8_S8_S8_S8_S8_S8_EEEEPS9_S9_NSD_9__find_if7functorIS9_EEEE10hipError_tPvRmT1_T2_T3_mT4_P12ihipStream_tbEUlT_E0_NS1_11comp_targetILNS1_3genE3ELNS1_11target_archE908ELNS1_3gpuE7ELNS1_3repE0EEENS1_30default_config_static_selectorELNS0_4arch9wavefront6targetE1EEEvS14_,@function
_ZN7rocprim17ROCPRIM_400000_NS6detail17trampoline_kernelINS0_14default_configENS1_22reduce_config_selectorIN6thrust23THRUST_200600_302600_NS5tupleIblNS6_9null_typeES8_S8_S8_S8_S8_S8_S8_EEEEZNS1_11reduce_implILb1ES3_NS6_12zip_iteratorINS7_INS6_11hip_rocprim26transform_input_iterator_tIbNSD_35transform_pair_of_input_iterators_tIbNS6_6detail15normal_iteratorINS6_10device_ptrIKyEEEESL_NS6_8equal_toIyEEEENSG_9not_fun_tINSD_8identityEEEEENSD_19counting_iterator_tIlEES8_S8_S8_S8_S8_S8_S8_S8_EEEEPS9_S9_NSD_9__find_if7functorIS9_EEEE10hipError_tPvRmT1_T2_T3_mT4_P12ihipStream_tbEUlT_E0_NS1_11comp_targetILNS1_3genE3ELNS1_11target_archE908ELNS1_3gpuE7ELNS1_3repE0EEENS1_30default_config_static_selectorELNS0_4arch9wavefront6targetE1EEEvS14_: ; @_ZN7rocprim17ROCPRIM_400000_NS6detail17trampoline_kernelINS0_14default_configENS1_22reduce_config_selectorIN6thrust23THRUST_200600_302600_NS5tupleIblNS6_9null_typeES8_S8_S8_S8_S8_S8_S8_EEEEZNS1_11reduce_implILb1ES3_NS6_12zip_iteratorINS7_INS6_11hip_rocprim26transform_input_iterator_tIbNSD_35transform_pair_of_input_iterators_tIbNS6_6detail15normal_iteratorINS6_10device_ptrIKyEEEESL_NS6_8equal_toIyEEEENSG_9not_fun_tINSD_8identityEEEEENSD_19counting_iterator_tIlEES8_S8_S8_S8_S8_S8_S8_S8_EEEEPS9_S9_NSD_9__find_if7functorIS9_EEEE10hipError_tPvRmT1_T2_T3_mT4_P12ihipStream_tbEUlT_E0_NS1_11comp_targetILNS1_3genE3ELNS1_11target_archE908ELNS1_3gpuE7ELNS1_3repE0EEENS1_30default_config_static_selectorELNS0_4arch9wavefront6targetE1EEEvS14_
; %bb.0:
	.section	.rodata,"a",@progbits
	.p2align	6, 0x0
	.amdhsa_kernel _ZN7rocprim17ROCPRIM_400000_NS6detail17trampoline_kernelINS0_14default_configENS1_22reduce_config_selectorIN6thrust23THRUST_200600_302600_NS5tupleIblNS6_9null_typeES8_S8_S8_S8_S8_S8_S8_EEEEZNS1_11reduce_implILb1ES3_NS6_12zip_iteratorINS7_INS6_11hip_rocprim26transform_input_iterator_tIbNSD_35transform_pair_of_input_iterators_tIbNS6_6detail15normal_iteratorINS6_10device_ptrIKyEEEESL_NS6_8equal_toIyEEEENSG_9not_fun_tINSD_8identityEEEEENSD_19counting_iterator_tIlEES8_S8_S8_S8_S8_S8_S8_S8_EEEEPS9_S9_NSD_9__find_if7functorIS9_EEEE10hipError_tPvRmT1_T2_T3_mT4_P12ihipStream_tbEUlT_E0_NS1_11comp_targetILNS1_3genE3ELNS1_11target_archE908ELNS1_3gpuE7ELNS1_3repE0EEENS1_30default_config_static_selectorELNS0_4arch9wavefront6targetE1EEEvS14_
		.amdhsa_group_segment_fixed_size 0
		.amdhsa_private_segment_fixed_size 0
		.amdhsa_kernarg_size 104
		.amdhsa_user_sgpr_count 2
		.amdhsa_user_sgpr_dispatch_ptr 0
		.amdhsa_user_sgpr_queue_ptr 0
		.amdhsa_user_sgpr_kernarg_segment_ptr 1
		.amdhsa_user_sgpr_dispatch_id 0
		.amdhsa_user_sgpr_kernarg_preload_length 0
		.amdhsa_user_sgpr_kernarg_preload_offset 0
		.amdhsa_user_sgpr_private_segment_size 0
		.amdhsa_uses_dynamic_stack 0
		.amdhsa_enable_private_segment 0
		.amdhsa_system_sgpr_workgroup_id_x 1
		.amdhsa_system_sgpr_workgroup_id_y 0
		.amdhsa_system_sgpr_workgroup_id_z 0
		.amdhsa_system_sgpr_workgroup_info 0
		.amdhsa_system_vgpr_workitem_id 0
		.amdhsa_next_free_vgpr 1
		.amdhsa_next_free_sgpr 0
		.amdhsa_accum_offset 4
		.amdhsa_reserve_vcc 0
		.amdhsa_float_round_mode_32 0
		.amdhsa_float_round_mode_16_64 0
		.amdhsa_float_denorm_mode_32 3
		.amdhsa_float_denorm_mode_16_64 3
		.amdhsa_dx10_clamp 1
		.amdhsa_ieee_mode 1
		.amdhsa_fp16_overflow 0
		.amdhsa_tg_split 0
		.amdhsa_exception_fp_ieee_invalid_op 0
		.amdhsa_exception_fp_denorm_src 0
		.amdhsa_exception_fp_ieee_div_zero 0
		.amdhsa_exception_fp_ieee_overflow 0
		.amdhsa_exception_fp_ieee_underflow 0
		.amdhsa_exception_fp_ieee_inexact 0
		.amdhsa_exception_int_div_zero 0
	.end_amdhsa_kernel
	.section	.text._ZN7rocprim17ROCPRIM_400000_NS6detail17trampoline_kernelINS0_14default_configENS1_22reduce_config_selectorIN6thrust23THRUST_200600_302600_NS5tupleIblNS6_9null_typeES8_S8_S8_S8_S8_S8_S8_EEEEZNS1_11reduce_implILb1ES3_NS6_12zip_iteratorINS7_INS6_11hip_rocprim26transform_input_iterator_tIbNSD_35transform_pair_of_input_iterators_tIbNS6_6detail15normal_iteratorINS6_10device_ptrIKyEEEESL_NS6_8equal_toIyEEEENSG_9not_fun_tINSD_8identityEEEEENSD_19counting_iterator_tIlEES8_S8_S8_S8_S8_S8_S8_S8_EEEEPS9_S9_NSD_9__find_if7functorIS9_EEEE10hipError_tPvRmT1_T2_T3_mT4_P12ihipStream_tbEUlT_E0_NS1_11comp_targetILNS1_3genE3ELNS1_11target_archE908ELNS1_3gpuE7ELNS1_3repE0EEENS1_30default_config_static_selectorELNS0_4arch9wavefront6targetE1EEEvS14_,"axG",@progbits,_ZN7rocprim17ROCPRIM_400000_NS6detail17trampoline_kernelINS0_14default_configENS1_22reduce_config_selectorIN6thrust23THRUST_200600_302600_NS5tupleIblNS6_9null_typeES8_S8_S8_S8_S8_S8_S8_EEEEZNS1_11reduce_implILb1ES3_NS6_12zip_iteratorINS7_INS6_11hip_rocprim26transform_input_iterator_tIbNSD_35transform_pair_of_input_iterators_tIbNS6_6detail15normal_iteratorINS6_10device_ptrIKyEEEESL_NS6_8equal_toIyEEEENSG_9not_fun_tINSD_8identityEEEEENSD_19counting_iterator_tIlEES8_S8_S8_S8_S8_S8_S8_S8_EEEEPS9_S9_NSD_9__find_if7functorIS9_EEEE10hipError_tPvRmT1_T2_T3_mT4_P12ihipStream_tbEUlT_E0_NS1_11comp_targetILNS1_3genE3ELNS1_11target_archE908ELNS1_3gpuE7ELNS1_3repE0EEENS1_30default_config_static_selectorELNS0_4arch9wavefront6targetE1EEEvS14_,comdat
.Lfunc_end585:
	.size	_ZN7rocprim17ROCPRIM_400000_NS6detail17trampoline_kernelINS0_14default_configENS1_22reduce_config_selectorIN6thrust23THRUST_200600_302600_NS5tupleIblNS6_9null_typeES8_S8_S8_S8_S8_S8_S8_EEEEZNS1_11reduce_implILb1ES3_NS6_12zip_iteratorINS7_INS6_11hip_rocprim26transform_input_iterator_tIbNSD_35transform_pair_of_input_iterators_tIbNS6_6detail15normal_iteratorINS6_10device_ptrIKyEEEESL_NS6_8equal_toIyEEEENSG_9not_fun_tINSD_8identityEEEEENSD_19counting_iterator_tIlEES8_S8_S8_S8_S8_S8_S8_S8_EEEEPS9_S9_NSD_9__find_if7functorIS9_EEEE10hipError_tPvRmT1_T2_T3_mT4_P12ihipStream_tbEUlT_E0_NS1_11comp_targetILNS1_3genE3ELNS1_11target_archE908ELNS1_3gpuE7ELNS1_3repE0EEENS1_30default_config_static_selectorELNS0_4arch9wavefront6targetE1EEEvS14_, .Lfunc_end585-_ZN7rocprim17ROCPRIM_400000_NS6detail17trampoline_kernelINS0_14default_configENS1_22reduce_config_selectorIN6thrust23THRUST_200600_302600_NS5tupleIblNS6_9null_typeES8_S8_S8_S8_S8_S8_S8_EEEEZNS1_11reduce_implILb1ES3_NS6_12zip_iteratorINS7_INS6_11hip_rocprim26transform_input_iterator_tIbNSD_35transform_pair_of_input_iterators_tIbNS6_6detail15normal_iteratorINS6_10device_ptrIKyEEEESL_NS6_8equal_toIyEEEENSG_9not_fun_tINSD_8identityEEEEENSD_19counting_iterator_tIlEES8_S8_S8_S8_S8_S8_S8_S8_EEEEPS9_S9_NSD_9__find_if7functorIS9_EEEE10hipError_tPvRmT1_T2_T3_mT4_P12ihipStream_tbEUlT_E0_NS1_11comp_targetILNS1_3genE3ELNS1_11target_archE908ELNS1_3gpuE7ELNS1_3repE0EEENS1_30default_config_static_selectorELNS0_4arch9wavefront6targetE1EEEvS14_
                                        ; -- End function
	.set _ZN7rocprim17ROCPRIM_400000_NS6detail17trampoline_kernelINS0_14default_configENS1_22reduce_config_selectorIN6thrust23THRUST_200600_302600_NS5tupleIblNS6_9null_typeES8_S8_S8_S8_S8_S8_S8_EEEEZNS1_11reduce_implILb1ES3_NS6_12zip_iteratorINS7_INS6_11hip_rocprim26transform_input_iterator_tIbNSD_35transform_pair_of_input_iterators_tIbNS6_6detail15normal_iteratorINS6_10device_ptrIKyEEEESL_NS6_8equal_toIyEEEENSG_9not_fun_tINSD_8identityEEEEENSD_19counting_iterator_tIlEES8_S8_S8_S8_S8_S8_S8_S8_EEEEPS9_S9_NSD_9__find_if7functorIS9_EEEE10hipError_tPvRmT1_T2_T3_mT4_P12ihipStream_tbEUlT_E0_NS1_11comp_targetILNS1_3genE3ELNS1_11target_archE908ELNS1_3gpuE7ELNS1_3repE0EEENS1_30default_config_static_selectorELNS0_4arch9wavefront6targetE1EEEvS14_.num_vgpr, 0
	.set _ZN7rocprim17ROCPRIM_400000_NS6detail17trampoline_kernelINS0_14default_configENS1_22reduce_config_selectorIN6thrust23THRUST_200600_302600_NS5tupleIblNS6_9null_typeES8_S8_S8_S8_S8_S8_S8_EEEEZNS1_11reduce_implILb1ES3_NS6_12zip_iteratorINS7_INS6_11hip_rocprim26transform_input_iterator_tIbNSD_35transform_pair_of_input_iterators_tIbNS6_6detail15normal_iteratorINS6_10device_ptrIKyEEEESL_NS6_8equal_toIyEEEENSG_9not_fun_tINSD_8identityEEEEENSD_19counting_iterator_tIlEES8_S8_S8_S8_S8_S8_S8_S8_EEEEPS9_S9_NSD_9__find_if7functorIS9_EEEE10hipError_tPvRmT1_T2_T3_mT4_P12ihipStream_tbEUlT_E0_NS1_11comp_targetILNS1_3genE3ELNS1_11target_archE908ELNS1_3gpuE7ELNS1_3repE0EEENS1_30default_config_static_selectorELNS0_4arch9wavefront6targetE1EEEvS14_.num_agpr, 0
	.set _ZN7rocprim17ROCPRIM_400000_NS6detail17trampoline_kernelINS0_14default_configENS1_22reduce_config_selectorIN6thrust23THRUST_200600_302600_NS5tupleIblNS6_9null_typeES8_S8_S8_S8_S8_S8_S8_EEEEZNS1_11reduce_implILb1ES3_NS6_12zip_iteratorINS7_INS6_11hip_rocprim26transform_input_iterator_tIbNSD_35transform_pair_of_input_iterators_tIbNS6_6detail15normal_iteratorINS6_10device_ptrIKyEEEESL_NS6_8equal_toIyEEEENSG_9not_fun_tINSD_8identityEEEEENSD_19counting_iterator_tIlEES8_S8_S8_S8_S8_S8_S8_S8_EEEEPS9_S9_NSD_9__find_if7functorIS9_EEEE10hipError_tPvRmT1_T2_T3_mT4_P12ihipStream_tbEUlT_E0_NS1_11comp_targetILNS1_3genE3ELNS1_11target_archE908ELNS1_3gpuE7ELNS1_3repE0EEENS1_30default_config_static_selectorELNS0_4arch9wavefront6targetE1EEEvS14_.numbered_sgpr, 0
	.set _ZN7rocprim17ROCPRIM_400000_NS6detail17trampoline_kernelINS0_14default_configENS1_22reduce_config_selectorIN6thrust23THRUST_200600_302600_NS5tupleIblNS6_9null_typeES8_S8_S8_S8_S8_S8_S8_EEEEZNS1_11reduce_implILb1ES3_NS6_12zip_iteratorINS7_INS6_11hip_rocprim26transform_input_iterator_tIbNSD_35transform_pair_of_input_iterators_tIbNS6_6detail15normal_iteratorINS6_10device_ptrIKyEEEESL_NS6_8equal_toIyEEEENSG_9not_fun_tINSD_8identityEEEEENSD_19counting_iterator_tIlEES8_S8_S8_S8_S8_S8_S8_S8_EEEEPS9_S9_NSD_9__find_if7functorIS9_EEEE10hipError_tPvRmT1_T2_T3_mT4_P12ihipStream_tbEUlT_E0_NS1_11comp_targetILNS1_3genE3ELNS1_11target_archE908ELNS1_3gpuE7ELNS1_3repE0EEENS1_30default_config_static_selectorELNS0_4arch9wavefront6targetE1EEEvS14_.num_named_barrier, 0
	.set _ZN7rocprim17ROCPRIM_400000_NS6detail17trampoline_kernelINS0_14default_configENS1_22reduce_config_selectorIN6thrust23THRUST_200600_302600_NS5tupleIblNS6_9null_typeES8_S8_S8_S8_S8_S8_S8_EEEEZNS1_11reduce_implILb1ES3_NS6_12zip_iteratorINS7_INS6_11hip_rocprim26transform_input_iterator_tIbNSD_35transform_pair_of_input_iterators_tIbNS6_6detail15normal_iteratorINS6_10device_ptrIKyEEEESL_NS6_8equal_toIyEEEENSG_9not_fun_tINSD_8identityEEEEENSD_19counting_iterator_tIlEES8_S8_S8_S8_S8_S8_S8_S8_EEEEPS9_S9_NSD_9__find_if7functorIS9_EEEE10hipError_tPvRmT1_T2_T3_mT4_P12ihipStream_tbEUlT_E0_NS1_11comp_targetILNS1_3genE3ELNS1_11target_archE908ELNS1_3gpuE7ELNS1_3repE0EEENS1_30default_config_static_selectorELNS0_4arch9wavefront6targetE1EEEvS14_.private_seg_size, 0
	.set _ZN7rocprim17ROCPRIM_400000_NS6detail17trampoline_kernelINS0_14default_configENS1_22reduce_config_selectorIN6thrust23THRUST_200600_302600_NS5tupleIblNS6_9null_typeES8_S8_S8_S8_S8_S8_S8_EEEEZNS1_11reduce_implILb1ES3_NS6_12zip_iteratorINS7_INS6_11hip_rocprim26transform_input_iterator_tIbNSD_35transform_pair_of_input_iterators_tIbNS6_6detail15normal_iteratorINS6_10device_ptrIKyEEEESL_NS6_8equal_toIyEEEENSG_9not_fun_tINSD_8identityEEEEENSD_19counting_iterator_tIlEES8_S8_S8_S8_S8_S8_S8_S8_EEEEPS9_S9_NSD_9__find_if7functorIS9_EEEE10hipError_tPvRmT1_T2_T3_mT4_P12ihipStream_tbEUlT_E0_NS1_11comp_targetILNS1_3genE3ELNS1_11target_archE908ELNS1_3gpuE7ELNS1_3repE0EEENS1_30default_config_static_selectorELNS0_4arch9wavefront6targetE1EEEvS14_.uses_vcc, 0
	.set _ZN7rocprim17ROCPRIM_400000_NS6detail17trampoline_kernelINS0_14default_configENS1_22reduce_config_selectorIN6thrust23THRUST_200600_302600_NS5tupleIblNS6_9null_typeES8_S8_S8_S8_S8_S8_S8_EEEEZNS1_11reduce_implILb1ES3_NS6_12zip_iteratorINS7_INS6_11hip_rocprim26transform_input_iterator_tIbNSD_35transform_pair_of_input_iterators_tIbNS6_6detail15normal_iteratorINS6_10device_ptrIKyEEEESL_NS6_8equal_toIyEEEENSG_9not_fun_tINSD_8identityEEEEENSD_19counting_iterator_tIlEES8_S8_S8_S8_S8_S8_S8_S8_EEEEPS9_S9_NSD_9__find_if7functorIS9_EEEE10hipError_tPvRmT1_T2_T3_mT4_P12ihipStream_tbEUlT_E0_NS1_11comp_targetILNS1_3genE3ELNS1_11target_archE908ELNS1_3gpuE7ELNS1_3repE0EEENS1_30default_config_static_selectorELNS0_4arch9wavefront6targetE1EEEvS14_.uses_flat_scratch, 0
	.set _ZN7rocprim17ROCPRIM_400000_NS6detail17trampoline_kernelINS0_14default_configENS1_22reduce_config_selectorIN6thrust23THRUST_200600_302600_NS5tupleIblNS6_9null_typeES8_S8_S8_S8_S8_S8_S8_EEEEZNS1_11reduce_implILb1ES3_NS6_12zip_iteratorINS7_INS6_11hip_rocprim26transform_input_iterator_tIbNSD_35transform_pair_of_input_iterators_tIbNS6_6detail15normal_iteratorINS6_10device_ptrIKyEEEESL_NS6_8equal_toIyEEEENSG_9not_fun_tINSD_8identityEEEEENSD_19counting_iterator_tIlEES8_S8_S8_S8_S8_S8_S8_S8_EEEEPS9_S9_NSD_9__find_if7functorIS9_EEEE10hipError_tPvRmT1_T2_T3_mT4_P12ihipStream_tbEUlT_E0_NS1_11comp_targetILNS1_3genE3ELNS1_11target_archE908ELNS1_3gpuE7ELNS1_3repE0EEENS1_30default_config_static_selectorELNS0_4arch9wavefront6targetE1EEEvS14_.has_dyn_sized_stack, 0
	.set _ZN7rocprim17ROCPRIM_400000_NS6detail17trampoline_kernelINS0_14default_configENS1_22reduce_config_selectorIN6thrust23THRUST_200600_302600_NS5tupleIblNS6_9null_typeES8_S8_S8_S8_S8_S8_S8_EEEEZNS1_11reduce_implILb1ES3_NS6_12zip_iteratorINS7_INS6_11hip_rocprim26transform_input_iterator_tIbNSD_35transform_pair_of_input_iterators_tIbNS6_6detail15normal_iteratorINS6_10device_ptrIKyEEEESL_NS6_8equal_toIyEEEENSG_9not_fun_tINSD_8identityEEEEENSD_19counting_iterator_tIlEES8_S8_S8_S8_S8_S8_S8_S8_EEEEPS9_S9_NSD_9__find_if7functorIS9_EEEE10hipError_tPvRmT1_T2_T3_mT4_P12ihipStream_tbEUlT_E0_NS1_11comp_targetILNS1_3genE3ELNS1_11target_archE908ELNS1_3gpuE7ELNS1_3repE0EEENS1_30default_config_static_selectorELNS0_4arch9wavefront6targetE1EEEvS14_.has_recursion, 0
	.set _ZN7rocprim17ROCPRIM_400000_NS6detail17trampoline_kernelINS0_14default_configENS1_22reduce_config_selectorIN6thrust23THRUST_200600_302600_NS5tupleIblNS6_9null_typeES8_S8_S8_S8_S8_S8_S8_EEEEZNS1_11reduce_implILb1ES3_NS6_12zip_iteratorINS7_INS6_11hip_rocprim26transform_input_iterator_tIbNSD_35transform_pair_of_input_iterators_tIbNS6_6detail15normal_iteratorINS6_10device_ptrIKyEEEESL_NS6_8equal_toIyEEEENSG_9not_fun_tINSD_8identityEEEEENSD_19counting_iterator_tIlEES8_S8_S8_S8_S8_S8_S8_S8_EEEEPS9_S9_NSD_9__find_if7functorIS9_EEEE10hipError_tPvRmT1_T2_T3_mT4_P12ihipStream_tbEUlT_E0_NS1_11comp_targetILNS1_3genE3ELNS1_11target_archE908ELNS1_3gpuE7ELNS1_3repE0EEENS1_30default_config_static_selectorELNS0_4arch9wavefront6targetE1EEEvS14_.has_indirect_call, 0
	.section	.AMDGPU.csdata,"",@progbits
; Kernel info:
; codeLenInByte = 0
; TotalNumSgprs: 6
; NumVgprs: 0
; NumAgprs: 0
; TotalNumVgprs: 0
; ScratchSize: 0
; MemoryBound: 0
; FloatMode: 240
; IeeeMode: 1
; LDSByteSize: 0 bytes/workgroup (compile time only)
; SGPRBlocks: 0
; VGPRBlocks: 0
; NumSGPRsForWavesPerEU: 6
; NumVGPRsForWavesPerEU: 1
; AccumOffset: 4
; Occupancy: 8
; WaveLimiterHint : 0
; COMPUTE_PGM_RSRC2:SCRATCH_EN: 0
; COMPUTE_PGM_RSRC2:USER_SGPR: 2
; COMPUTE_PGM_RSRC2:TRAP_HANDLER: 0
; COMPUTE_PGM_RSRC2:TGID_X_EN: 1
; COMPUTE_PGM_RSRC2:TGID_Y_EN: 0
; COMPUTE_PGM_RSRC2:TGID_Z_EN: 0
; COMPUTE_PGM_RSRC2:TIDIG_COMP_CNT: 0
; COMPUTE_PGM_RSRC3_GFX90A:ACCUM_OFFSET: 0
; COMPUTE_PGM_RSRC3_GFX90A:TG_SPLIT: 0
	.section	.text._ZN7rocprim17ROCPRIM_400000_NS6detail17trampoline_kernelINS0_14default_configENS1_22reduce_config_selectorIN6thrust23THRUST_200600_302600_NS5tupleIblNS6_9null_typeES8_S8_S8_S8_S8_S8_S8_EEEEZNS1_11reduce_implILb1ES3_NS6_12zip_iteratorINS7_INS6_11hip_rocprim26transform_input_iterator_tIbNSD_35transform_pair_of_input_iterators_tIbNS6_6detail15normal_iteratorINS6_10device_ptrIKyEEEESL_NS6_8equal_toIyEEEENSG_9not_fun_tINSD_8identityEEEEENSD_19counting_iterator_tIlEES8_S8_S8_S8_S8_S8_S8_S8_EEEEPS9_S9_NSD_9__find_if7functorIS9_EEEE10hipError_tPvRmT1_T2_T3_mT4_P12ihipStream_tbEUlT_E0_NS1_11comp_targetILNS1_3genE2ELNS1_11target_archE906ELNS1_3gpuE6ELNS1_3repE0EEENS1_30default_config_static_selectorELNS0_4arch9wavefront6targetE1EEEvS14_,"axG",@progbits,_ZN7rocprim17ROCPRIM_400000_NS6detail17trampoline_kernelINS0_14default_configENS1_22reduce_config_selectorIN6thrust23THRUST_200600_302600_NS5tupleIblNS6_9null_typeES8_S8_S8_S8_S8_S8_S8_EEEEZNS1_11reduce_implILb1ES3_NS6_12zip_iteratorINS7_INS6_11hip_rocprim26transform_input_iterator_tIbNSD_35transform_pair_of_input_iterators_tIbNS6_6detail15normal_iteratorINS6_10device_ptrIKyEEEESL_NS6_8equal_toIyEEEENSG_9not_fun_tINSD_8identityEEEEENSD_19counting_iterator_tIlEES8_S8_S8_S8_S8_S8_S8_S8_EEEEPS9_S9_NSD_9__find_if7functorIS9_EEEE10hipError_tPvRmT1_T2_T3_mT4_P12ihipStream_tbEUlT_E0_NS1_11comp_targetILNS1_3genE2ELNS1_11target_archE906ELNS1_3gpuE6ELNS1_3repE0EEENS1_30default_config_static_selectorELNS0_4arch9wavefront6targetE1EEEvS14_,comdat
	.protected	_ZN7rocprim17ROCPRIM_400000_NS6detail17trampoline_kernelINS0_14default_configENS1_22reduce_config_selectorIN6thrust23THRUST_200600_302600_NS5tupleIblNS6_9null_typeES8_S8_S8_S8_S8_S8_S8_EEEEZNS1_11reduce_implILb1ES3_NS6_12zip_iteratorINS7_INS6_11hip_rocprim26transform_input_iterator_tIbNSD_35transform_pair_of_input_iterators_tIbNS6_6detail15normal_iteratorINS6_10device_ptrIKyEEEESL_NS6_8equal_toIyEEEENSG_9not_fun_tINSD_8identityEEEEENSD_19counting_iterator_tIlEES8_S8_S8_S8_S8_S8_S8_S8_EEEEPS9_S9_NSD_9__find_if7functorIS9_EEEE10hipError_tPvRmT1_T2_T3_mT4_P12ihipStream_tbEUlT_E0_NS1_11comp_targetILNS1_3genE2ELNS1_11target_archE906ELNS1_3gpuE6ELNS1_3repE0EEENS1_30default_config_static_selectorELNS0_4arch9wavefront6targetE1EEEvS14_ ; -- Begin function _ZN7rocprim17ROCPRIM_400000_NS6detail17trampoline_kernelINS0_14default_configENS1_22reduce_config_selectorIN6thrust23THRUST_200600_302600_NS5tupleIblNS6_9null_typeES8_S8_S8_S8_S8_S8_S8_EEEEZNS1_11reduce_implILb1ES3_NS6_12zip_iteratorINS7_INS6_11hip_rocprim26transform_input_iterator_tIbNSD_35transform_pair_of_input_iterators_tIbNS6_6detail15normal_iteratorINS6_10device_ptrIKyEEEESL_NS6_8equal_toIyEEEENSG_9not_fun_tINSD_8identityEEEEENSD_19counting_iterator_tIlEES8_S8_S8_S8_S8_S8_S8_S8_EEEEPS9_S9_NSD_9__find_if7functorIS9_EEEE10hipError_tPvRmT1_T2_T3_mT4_P12ihipStream_tbEUlT_E0_NS1_11comp_targetILNS1_3genE2ELNS1_11target_archE906ELNS1_3gpuE6ELNS1_3repE0EEENS1_30default_config_static_selectorELNS0_4arch9wavefront6targetE1EEEvS14_
	.globl	_ZN7rocprim17ROCPRIM_400000_NS6detail17trampoline_kernelINS0_14default_configENS1_22reduce_config_selectorIN6thrust23THRUST_200600_302600_NS5tupleIblNS6_9null_typeES8_S8_S8_S8_S8_S8_S8_EEEEZNS1_11reduce_implILb1ES3_NS6_12zip_iteratorINS7_INS6_11hip_rocprim26transform_input_iterator_tIbNSD_35transform_pair_of_input_iterators_tIbNS6_6detail15normal_iteratorINS6_10device_ptrIKyEEEESL_NS6_8equal_toIyEEEENSG_9not_fun_tINSD_8identityEEEEENSD_19counting_iterator_tIlEES8_S8_S8_S8_S8_S8_S8_S8_EEEEPS9_S9_NSD_9__find_if7functorIS9_EEEE10hipError_tPvRmT1_T2_T3_mT4_P12ihipStream_tbEUlT_E0_NS1_11comp_targetILNS1_3genE2ELNS1_11target_archE906ELNS1_3gpuE6ELNS1_3repE0EEENS1_30default_config_static_selectorELNS0_4arch9wavefront6targetE1EEEvS14_
	.p2align	8
	.type	_ZN7rocprim17ROCPRIM_400000_NS6detail17trampoline_kernelINS0_14default_configENS1_22reduce_config_selectorIN6thrust23THRUST_200600_302600_NS5tupleIblNS6_9null_typeES8_S8_S8_S8_S8_S8_S8_EEEEZNS1_11reduce_implILb1ES3_NS6_12zip_iteratorINS7_INS6_11hip_rocprim26transform_input_iterator_tIbNSD_35transform_pair_of_input_iterators_tIbNS6_6detail15normal_iteratorINS6_10device_ptrIKyEEEESL_NS6_8equal_toIyEEEENSG_9not_fun_tINSD_8identityEEEEENSD_19counting_iterator_tIlEES8_S8_S8_S8_S8_S8_S8_S8_EEEEPS9_S9_NSD_9__find_if7functorIS9_EEEE10hipError_tPvRmT1_T2_T3_mT4_P12ihipStream_tbEUlT_E0_NS1_11comp_targetILNS1_3genE2ELNS1_11target_archE906ELNS1_3gpuE6ELNS1_3repE0EEENS1_30default_config_static_selectorELNS0_4arch9wavefront6targetE1EEEvS14_,@function
_ZN7rocprim17ROCPRIM_400000_NS6detail17trampoline_kernelINS0_14default_configENS1_22reduce_config_selectorIN6thrust23THRUST_200600_302600_NS5tupleIblNS6_9null_typeES8_S8_S8_S8_S8_S8_S8_EEEEZNS1_11reduce_implILb1ES3_NS6_12zip_iteratorINS7_INS6_11hip_rocprim26transform_input_iterator_tIbNSD_35transform_pair_of_input_iterators_tIbNS6_6detail15normal_iteratorINS6_10device_ptrIKyEEEESL_NS6_8equal_toIyEEEENSG_9not_fun_tINSD_8identityEEEEENSD_19counting_iterator_tIlEES8_S8_S8_S8_S8_S8_S8_S8_EEEEPS9_S9_NSD_9__find_if7functorIS9_EEEE10hipError_tPvRmT1_T2_T3_mT4_P12ihipStream_tbEUlT_E0_NS1_11comp_targetILNS1_3genE2ELNS1_11target_archE906ELNS1_3gpuE6ELNS1_3repE0EEENS1_30default_config_static_selectorELNS0_4arch9wavefront6targetE1EEEvS14_: ; @_ZN7rocprim17ROCPRIM_400000_NS6detail17trampoline_kernelINS0_14default_configENS1_22reduce_config_selectorIN6thrust23THRUST_200600_302600_NS5tupleIblNS6_9null_typeES8_S8_S8_S8_S8_S8_S8_EEEEZNS1_11reduce_implILb1ES3_NS6_12zip_iteratorINS7_INS6_11hip_rocprim26transform_input_iterator_tIbNSD_35transform_pair_of_input_iterators_tIbNS6_6detail15normal_iteratorINS6_10device_ptrIKyEEEESL_NS6_8equal_toIyEEEENSG_9not_fun_tINSD_8identityEEEEENSD_19counting_iterator_tIlEES8_S8_S8_S8_S8_S8_S8_S8_EEEEPS9_S9_NSD_9__find_if7functorIS9_EEEE10hipError_tPvRmT1_T2_T3_mT4_P12ihipStream_tbEUlT_E0_NS1_11comp_targetILNS1_3genE2ELNS1_11target_archE906ELNS1_3gpuE6ELNS1_3repE0EEENS1_30default_config_static_selectorELNS0_4arch9wavefront6targetE1EEEvS14_
; %bb.0:
	.section	.rodata,"a",@progbits
	.p2align	6, 0x0
	.amdhsa_kernel _ZN7rocprim17ROCPRIM_400000_NS6detail17trampoline_kernelINS0_14default_configENS1_22reduce_config_selectorIN6thrust23THRUST_200600_302600_NS5tupleIblNS6_9null_typeES8_S8_S8_S8_S8_S8_S8_EEEEZNS1_11reduce_implILb1ES3_NS6_12zip_iteratorINS7_INS6_11hip_rocprim26transform_input_iterator_tIbNSD_35transform_pair_of_input_iterators_tIbNS6_6detail15normal_iteratorINS6_10device_ptrIKyEEEESL_NS6_8equal_toIyEEEENSG_9not_fun_tINSD_8identityEEEEENSD_19counting_iterator_tIlEES8_S8_S8_S8_S8_S8_S8_S8_EEEEPS9_S9_NSD_9__find_if7functorIS9_EEEE10hipError_tPvRmT1_T2_T3_mT4_P12ihipStream_tbEUlT_E0_NS1_11comp_targetILNS1_3genE2ELNS1_11target_archE906ELNS1_3gpuE6ELNS1_3repE0EEENS1_30default_config_static_selectorELNS0_4arch9wavefront6targetE1EEEvS14_
		.amdhsa_group_segment_fixed_size 0
		.amdhsa_private_segment_fixed_size 0
		.amdhsa_kernarg_size 104
		.amdhsa_user_sgpr_count 2
		.amdhsa_user_sgpr_dispatch_ptr 0
		.amdhsa_user_sgpr_queue_ptr 0
		.amdhsa_user_sgpr_kernarg_segment_ptr 1
		.amdhsa_user_sgpr_dispatch_id 0
		.amdhsa_user_sgpr_kernarg_preload_length 0
		.amdhsa_user_sgpr_kernarg_preload_offset 0
		.amdhsa_user_sgpr_private_segment_size 0
		.amdhsa_uses_dynamic_stack 0
		.amdhsa_enable_private_segment 0
		.amdhsa_system_sgpr_workgroup_id_x 1
		.amdhsa_system_sgpr_workgroup_id_y 0
		.amdhsa_system_sgpr_workgroup_id_z 0
		.amdhsa_system_sgpr_workgroup_info 0
		.amdhsa_system_vgpr_workitem_id 0
		.amdhsa_next_free_vgpr 1
		.amdhsa_next_free_sgpr 0
		.amdhsa_accum_offset 4
		.amdhsa_reserve_vcc 0
		.amdhsa_float_round_mode_32 0
		.amdhsa_float_round_mode_16_64 0
		.amdhsa_float_denorm_mode_32 3
		.amdhsa_float_denorm_mode_16_64 3
		.amdhsa_dx10_clamp 1
		.amdhsa_ieee_mode 1
		.amdhsa_fp16_overflow 0
		.amdhsa_tg_split 0
		.amdhsa_exception_fp_ieee_invalid_op 0
		.amdhsa_exception_fp_denorm_src 0
		.amdhsa_exception_fp_ieee_div_zero 0
		.amdhsa_exception_fp_ieee_overflow 0
		.amdhsa_exception_fp_ieee_underflow 0
		.amdhsa_exception_fp_ieee_inexact 0
		.amdhsa_exception_int_div_zero 0
	.end_amdhsa_kernel
	.section	.text._ZN7rocprim17ROCPRIM_400000_NS6detail17trampoline_kernelINS0_14default_configENS1_22reduce_config_selectorIN6thrust23THRUST_200600_302600_NS5tupleIblNS6_9null_typeES8_S8_S8_S8_S8_S8_S8_EEEEZNS1_11reduce_implILb1ES3_NS6_12zip_iteratorINS7_INS6_11hip_rocprim26transform_input_iterator_tIbNSD_35transform_pair_of_input_iterators_tIbNS6_6detail15normal_iteratorINS6_10device_ptrIKyEEEESL_NS6_8equal_toIyEEEENSG_9not_fun_tINSD_8identityEEEEENSD_19counting_iterator_tIlEES8_S8_S8_S8_S8_S8_S8_S8_EEEEPS9_S9_NSD_9__find_if7functorIS9_EEEE10hipError_tPvRmT1_T2_T3_mT4_P12ihipStream_tbEUlT_E0_NS1_11comp_targetILNS1_3genE2ELNS1_11target_archE906ELNS1_3gpuE6ELNS1_3repE0EEENS1_30default_config_static_selectorELNS0_4arch9wavefront6targetE1EEEvS14_,"axG",@progbits,_ZN7rocprim17ROCPRIM_400000_NS6detail17trampoline_kernelINS0_14default_configENS1_22reduce_config_selectorIN6thrust23THRUST_200600_302600_NS5tupleIblNS6_9null_typeES8_S8_S8_S8_S8_S8_S8_EEEEZNS1_11reduce_implILb1ES3_NS6_12zip_iteratorINS7_INS6_11hip_rocprim26transform_input_iterator_tIbNSD_35transform_pair_of_input_iterators_tIbNS6_6detail15normal_iteratorINS6_10device_ptrIKyEEEESL_NS6_8equal_toIyEEEENSG_9not_fun_tINSD_8identityEEEEENSD_19counting_iterator_tIlEES8_S8_S8_S8_S8_S8_S8_S8_EEEEPS9_S9_NSD_9__find_if7functorIS9_EEEE10hipError_tPvRmT1_T2_T3_mT4_P12ihipStream_tbEUlT_E0_NS1_11comp_targetILNS1_3genE2ELNS1_11target_archE906ELNS1_3gpuE6ELNS1_3repE0EEENS1_30default_config_static_selectorELNS0_4arch9wavefront6targetE1EEEvS14_,comdat
.Lfunc_end586:
	.size	_ZN7rocprim17ROCPRIM_400000_NS6detail17trampoline_kernelINS0_14default_configENS1_22reduce_config_selectorIN6thrust23THRUST_200600_302600_NS5tupleIblNS6_9null_typeES8_S8_S8_S8_S8_S8_S8_EEEEZNS1_11reduce_implILb1ES3_NS6_12zip_iteratorINS7_INS6_11hip_rocprim26transform_input_iterator_tIbNSD_35transform_pair_of_input_iterators_tIbNS6_6detail15normal_iteratorINS6_10device_ptrIKyEEEESL_NS6_8equal_toIyEEEENSG_9not_fun_tINSD_8identityEEEEENSD_19counting_iterator_tIlEES8_S8_S8_S8_S8_S8_S8_S8_EEEEPS9_S9_NSD_9__find_if7functorIS9_EEEE10hipError_tPvRmT1_T2_T3_mT4_P12ihipStream_tbEUlT_E0_NS1_11comp_targetILNS1_3genE2ELNS1_11target_archE906ELNS1_3gpuE6ELNS1_3repE0EEENS1_30default_config_static_selectorELNS0_4arch9wavefront6targetE1EEEvS14_, .Lfunc_end586-_ZN7rocprim17ROCPRIM_400000_NS6detail17trampoline_kernelINS0_14default_configENS1_22reduce_config_selectorIN6thrust23THRUST_200600_302600_NS5tupleIblNS6_9null_typeES8_S8_S8_S8_S8_S8_S8_EEEEZNS1_11reduce_implILb1ES3_NS6_12zip_iteratorINS7_INS6_11hip_rocprim26transform_input_iterator_tIbNSD_35transform_pair_of_input_iterators_tIbNS6_6detail15normal_iteratorINS6_10device_ptrIKyEEEESL_NS6_8equal_toIyEEEENSG_9not_fun_tINSD_8identityEEEEENSD_19counting_iterator_tIlEES8_S8_S8_S8_S8_S8_S8_S8_EEEEPS9_S9_NSD_9__find_if7functorIS9_EEEE10hipError_tPvRmT1_T2_T3_mT4_P12ihipStream_tbEUlT_E0_NS1_11comp_targetILNS1_3genE2ELNS1_11target_archE906ELNS1_3gpuE6ELNS1_3repE0EEENS1_30default_config_static_selectorELNS0_4arch9wavefront6targetE1EEEvS14_
                                        ; -- End function
	.set _ZN7rocprim17ROCPRIM_400000_NS6detail17trampoline_kernelINS0_14default_configENS1_22reduce_config_selectorIN6thrust23THRUST_200600_302600_NS5tupleIblNS6_9null_typeES8_S8_S8_S8_S8_S8_S8_EEEEZNS1_11reduce_implILb1ES3_NS6_12zip_iteratorINS7_INS6_11hip_rocprim26transform_input_iterator_tIbNSD_35transform_pair_of_input_iterators_tIbNS6_6detail15normal_iteratorINS6_10device_ptrIKyEEEESL_NS6_8equal_toIyEEEENSG_9not_fun_tINSD_8identityEEEEENSD_19counting_iterator_tIlEES8_S8_S8_S8_S8_S8_S8_S8_EEEEPS9_S9_NSD_9__find_if7functorIS9_EEEE10hipError_tPvRmT1_T2_T3_mT4_P12ihipStream_tbEUlT_E0_NS1_11comp_targetILNS1_3genE2ELNS1_11target_archE906ELNS1_3gpuE6ELNS1_3repE0EEENS1_30default_config_static_selectorELNS0_4arch9wavefront6targetE1EEEvS14_.num_vgpr, 0
	.set _ZN7rocprim17ROCPRIM_400000_NS6detail17trampoline_kernelINS0_14default_configENS1_22reduce_config_selectorIN6thrust23THRUST_200600_302600_NS5tupleIblNS6_9null_typeES8_S8_S8_S8_S8_S8_S8_EEEEZNS1_11reduce_implILb1ES3_NS6_12zip_iteratorINS7_INS6_11hip_rocprim26transform_input_iterator_tIbNSD_35transform_pair_of_input_iterators_tIbNS6_6detail15normal_iteratorINS6_10device_ptrIKyEEEESL_NS6_8equal_toIyEEEENSG_9not_fun_tINSD_8identityEEEEENSD_19counting_iterator_tIlEES8_S8_S8_S8_S8_S8_S8_S8_EEEEPS9_S9_NSD_9__find_if7functorIS9_EEEE10hipError_tPvRmT1_T2_T3_mT4_P12ihipStream_tbEUlT_E0_NS1_11comp_targetILNS1_3genE2ELNS1_11target_archE906ELNS1_3gpuE6ELNS1_3repE0EEENS1_30default_config_static_selectorELNS0_4arch9wavefront6targetE1EEEvS14_.num_agpr, 0
	.set _ZN7rocprim17ROCPRIM_400000_NS6detail17trampoline_kernelINS0_14default_configENS1_22reduce_config_selectorIN6thrust23THRUST_200600_302600_NS5tupleIblNS6_9null_typeES8_S8_S8_S8_S8_S8_S8_EEEEZNS1_11reduce_implILb1ES3_NS6_12zip_iteratorINS7_INS6_11hip_rocprim26transform_input_iterator_tIbNSD_35transform_pair_of_input_iterators_tIbNS6_6detail15normal_iteratorINS6_10device_ptrIKyEEEESL_NS6_8equal_toIyEEEENSG_9not_fun_tINSD_8identityEEEEENSD_19counting_iterator_tIlEES8_S8_S8_S8_S8_S8_S8_S8_EEEEPS9_S9_NSD_9__find_if7functorIS9_EEEE10hipError_tPvRmT1_T2_T3_mT4_P12ihipStream_tbEUlT_E0_NS1_11comp_targetILNS1_3genE2ELNS1_11target_archE906ELNS1_3gpuE6ELNS1_3repE0EEENS1_30default_config_static_selectorELNS0_4arch9wavefront6targetE1EEEvS14_.numbered_sgpr, 0
	.set _ZN7rocprim17ROCPRIM_400000_NS6detail17trampoline_kernelINS0_14default_configENS1_22reduce_config_selectorIN6thrust23THRUST_200600_302600_NS5tupleIblNS6_9null_typeES8_S8_S8_S8_S8_S8_S8_EEEEZNS1_11reduce_implILb1ES3_NS6_12zip_iteratorINS7_INS6_11hip_rocprim26transform_input_iterator_tIbNSD_35transform_pair_of_input_iterators_tIbNS6_6detail15normal_iteratorINS6_10device_ptrIKyEEEESL_NS6_8equal_toIyEEEENSG_9not_fun_tINSD_8identityEEEEENSD_19counting_iterator_tIlEES8_S8_S8_S8_S8_S8_S8_S8_EEEEPS9_S9_NSD_9__find_if7functorIS9_EEEE10hipError_tPvRmT1_T2_T3_mT4_P12ihipStream_tbEUlT_E0_NS1_11comp_targetILNS1_3genE2ELNS1_11target_archE906ELNS1_3gpuE6ELNS1_3repE0EEENS1_30default_config_static_selectorELNS0_4arch9wavefront6targetE1EEEvS14_.num_named_barrier, 0
	.set _ZN7rocprim17ROCPRIM_400000_NS6detail17trampoline_kernelINS0_14default_configENS1_22reduce_config_selectorIN6thrust23THRUST_200600_302600_NS5tupleIblNS6_9null_typeES8_S8_S8_S8_S8_S8_S8_EEEEZNS1_11reduce_implILb1ES3_NS6_12zip_iteratorINS7_INS6_11hip_rocprim26transform_input_iterator_tIbNSD_35transform_pair_of_input_iterators_tIbNS6_6detail15normal_iteratorINS6_10device_ptrIKyEEEESL_NS6_8equal_toIyEEEENSG_9not_fun_tINSD_8identityEEEEENSD_19counting_iterator_tIlEES8_S8_S8_S8_S8_S8_S8_S8_EEEEPS9_S9_NSD_9__find_if7functorIS9_EEEE10hipError_tPvRmT1_T2_T3_mT4_P12ihipStream_tbEUlT_E0_NS1_11comp_targetILNS1_3genE2ELNS1_11target_archE906ELNS1_3gpuE6ELNS1_3repE0EEENS1_30default_config_static_selectorELNS0_4arch9wavefront6targetE1EEEvS14_.private_seg_size, 0
	.set _ZN7rocprim17ROCPRIM_400000_NS6detail17trampoline_kernelINS0_14default_configENS1_22reduce_config_selectorIN6thrust23THRUST_200600_302600_NS5tupleIblNS6_9null_typeES8_S8_S8_S8_S8_S8_S8_EEEEZNS1_11reduce_implILb1ES3_NS6_12zip_iteratorINS7_INS6_11hip_rocprim26transform_input_iterator_tIbNSD_35transform_pair_of_input_iterators_tIbNS6_6detail15normal_iteratorINS6_10device_ptrIKyEEEESL_NS6_8equal_toIyEEEENSG_9not_fun_tINSD_8identityEEEEENSD_19counting_iterator_tIlEES8_S8_S8_S8_S8_S8_S8_S8_EEEEPS9_S9_NSD_9__find_if7functorIS9_EEEE10hipError_tPvRmT1_T2_T3_mT4_P12ihipStream_tbEUlT_E0_NS1_11comp_targetILNS1_3genE2ELNS1_11target_archE906ELNS1_3gpuE6ELNS1_3repE0EEENS1_30default_config_static_selectorELNS0_4arch9wavefront6targetE1EEEvS14_.uses_vcc, 0
	.set _ZN7rocprim17ROCPRIM_400000_NS6detail17trampoline_kernelINS0_14default_configENS1_22reduce_config_selectorIN6thrust23THRUST_200600_302600_NS5tupleIblNS6_9null_typeES8_S8_S8_S8_S8_S8_S8_EEEEZNS1_11reduce_implILb1ES3_NS6_12zip_iteratorINS7_INS6_11hip_rocprim26transform_input_iterator_tIbNSD_35transform_pair_of_input_iterators_tIbNS6_6detail15normal_iteratorINS6_10device_ptrIKyEEEESL_NS6_8equal_toIyEEEENSG_9not_fun_tINSD_8identityEEEEENSD_19counting_iterator_tIlEES8_S8_S8_S8_S8_S8_S8_S8_EEEEPS9_S9_NSD_9__find_if7functorIS9_EEEE10hipError_tPvRmT1_T2_T3_mT4_P12ihipStream_tbEUlT_E0_NS1_11comp_targetILNS1_3genE2ELNS1_11target_archE906ELNS1_3gpuE6ELNS1_3repE0EEENS1_30default_config_static_selectorELNS0_4arch9wavefront6targetE1EEEvS14_.uses_flat_scratch, 0
	.set _ZN7rocprim17ROCPRIM_400000_NS6detail17trampoline_kernelINS0_14default_configENS1_22reduce_config_selectorIN6thrust23THRUST_200600_302600_NS5tupleIblNS6_9null_typeES8_S8_S8_S8_S8_S8_S8_EEEEZNS1_11reduce_implILb1ES3_NS6_12zip_iteratorINS7_INS6_11hip_rocprim26transform_input_iterator_tIbNSD_35transform_pair_of_input_iterators_tIbNS6_6detail15normal_iteratorINS6_10device_ptrIKyEEEESL_NS6_8equal_toIyEEEENSG_9not_fun_tINSD_8identityEEEEENSD_19counting_iterator_tIlEES8_S8_S8_S8_S8_S8_S8_S8_EEEEPS9_S9_NSD_9__find_if7functorIS9_EEEE10hipError_tPvRmT1_T2_T3_mT4_P12ihipStream_tbEUlT_E0_NS1_11comp_targetILNS1_3genE2ELNS1_11target_archE906ELNS1_3gpuE6ELNS1_3repE0EEENS1_30default_config_static_selectorELNS0_4arch9wavefront6targetE1EEEvS14_.has_dyn_sized_stack, 0
	.set _ZN7rocprim17ROCPRIM_400000_NS6detail17trampoline_kernelINS0_14default_configENS1_22reduce_config_selectorIN6thrust23THRUST_200600_302600_NS5tupleIblNS6_9null_typeES8_S8_S8_S8_S8_S8_S8_EEEEZNS1_11reduce_implILb1ES3_NS6_12zip_iteratorINS7_INS6_11hip_rocprim26transform_input_iterator_tIbNSD_35transform_pair_of_input_iterators_tIbNS6_6detail15normal_iteratorINS6_10device_ptrIKyEEEESL_NS6_8equal_toIyEEEENSG_9not_fun_tINSD_8identityEEEEENSD_19counting_iterator_tIlEES8_S8_S8_S8_S8_S8_S8_S8_EEEEPS9_S9_NSD_9__find_if7functorIS9_EEEE10hipError_tPvRmT1_T2_T3_mT4_P12ihipStream_tbEUlT_E0_NS1_11comp_targetILNS1_3genE2ELNS1_11target_archE906ELNS1_3gpuE6ELNS1_3repE0EEENS1_30default_config_static_selectorELNS0_4arch9wavefront6targetE1EEEvS14_.has_recursion, 0
	.set _ZN7rocprim17ROCPRIM_400000_NS6detail17trampoline_kernelINS0_14default_configENS1_22reduce_config_selectorIN6thrust23THRUST_200600_302600_NS5tupleIblNS6_9null_typeES8_S8_S8_S8_S8_S8_S8_EEEEZNS1_11reduce_implILb1ES3_NS6_12zip_iteratorINS7_INS6_11hip_rocprim26transform_input_iterator_tIbNSD_35transform_pair_of_input_iterators_tIbNS6_6detail15normal_iteratorINS6_10device_ptrIKyEEEESL_NS6_8equal_toIyEEEENSG_9not_fun_tINSD_8identityEEEEENSD_19counting_iterator_tIlEES8_S8_S8_S8_S8_S8_S8_S8_EEEEPS9_S9_NSD_9__find_if7functorIS9_EEEE10hipError_tPvRmT1_T2_T3_mT4_P12ihipStream_tbEUlT_E0_NS1_11comp_targetILNS1_3genE2ELNS1_11target_archE906ELNS1_3gpuE6ELNS1_3repE0EEENS1_30default_config_static_selectorELNS0_4arch9wavefront6targetE1EEEvS14_.has_indirect_call, 0
	.section	.AMDGPU.csdata,"",@progbits
; Kernel info:
; codeLenInByte = 0
; TotalNumSgprs: 6
; NumVgprs: 0
; NumAgprs: 0
; TotalNumVgprs: 0
; ScratchSize: 0
; MemoryBound: 0
; FloatMode: 240
; IeeeMode: 1
; LDSByteSize: 0 bytes/workgroup (compile time only)
; SGPRBlocks: 0
; VGPRBlocks: 0
; NumSGPRsForWavesPerEU: 6
; NumVGPRsForWavesPerEU: 1
; AccumOffset: 4
; Occupancy: 8
; WaveLimiterHint : 0
; COMPUTE_PGM_RSRC2:SCRATCH_EN: 0
; COMPUTE_PGM_RSRC2:USER_SGPR: 2
; COMPUTE_PGM_RSRC2:TRAP_HANDLER: 0
; COMPUTE_PGM_RSRC2:TGID_X_EN: 1
; COMPUTE_PGM_RSRC2:TGID_Y_EN: 0
; COMPUTE_PGM_RSRC2:TGID_Z_EN: 0
; COMPUTE_PGM_RSRC2:TIDIG_COMP_CNT: 0
; COMPUTE_PGM_RSRC3_GFX90A:ACCUM_OFFSET: 0
; COMPUTE_PGM_RSRC3_GFX90A:TG_SPLIT: 0
	.section	.text._ZN7rocprim17ROCPRIM_400000_NS6detail17trampoline_kernelINS0_14default_configENS1_22reduce_config_selectorIN6thrust23THRUST_200600_302600_NS5tupleIblNS6_9null_typeES8_S8_S8_S8_S8_S8_S8_EEEEZNS1_11reduce_implILb1ES3_NS6_12zip_iteratorINS7_INS6_11hip_rocprim26transform_input_iterator_tIbNSD_35transform_pair_of_input_iterators_tIbNS6_6detail15normal_iteratorINS6_10device_ptrIKyEEEESL_NS6_8equal_toIyEEEENSG_9not_fun_tINSD_8identityEEEEENSD_19counting_iterator_tIlEES8_S8_S8_S8_S8_S8_S8_S8_EEEEPS9_S9_NSD_9__find_if7functorIS9_EEEE10hipError_tPvRmT1_T2_T3_mT4_P12ihipStream_tbEUlT_E0_NS1_11comp_targetILNS1_3genE10ELNS1_11target_archE1201ELNS1_3gpuE5ELNS1_3repE0EEENS1_30default_config_static_selectorELNS0_4arch9wavefront6targetE1EEEvS14_,"axG",@progbits,_ZN7rocprim17ROCPRIM_400000_NS6detail17trampoline_kernelINS0_14default_configENS1_22reduce_config_selectorIN6thrust23THRUST_200600_302600_NS5tupleIblNS6_9null_typeES8_S8_S8_S8_S8_S8_S8_EEEEZNS1_11reduce_implILb1ES3_NS6_12zip_iteratorINS7_INS6_11hip_rocprim26transform_input_iterator_tIbNSD_35transform_pair_of_input_iterators_tIbNS6_6detail15normal_iteratorINS6_10device_ptrIKyEEEESL_NS6_8equal_toIyEEEENSG_9not_fun_tINSD_8identityEEEEENSD_19counting_iterator_tIlEES8_S8_S8_S8_S8_S8_S8_S8_EEEEPS9_S9_NSD_9__find_if7functorIS9_EEEE10hipError_tPvRmT1_T2_T3_mT4_P12ihipStream_tbEUlT_E0_NS1_11comp_targetILNS1_3genE10ELNS1_11target_archE1201ELNS1_3gpuE5ELNS1_3repE0EEENS1_30default_config_static_selectorELNS0_4arch9wavefront6targetE1EEEvS14_,comdat
	.protected	_ZN7rocprim17ROCPRIM_400000_NS6detail17trampoline_kernelINS0_14default_configENS1_22reduce_config_selectorIN6thrust23THRUST_200600_302600_NS5tupleIblNS6_9null_typeES8_S8_S8_S8_S8_S8_S8_EEEEZNS1_11reduce_implILb1ES3_NS6_12zip_iteratorINS7_INS6_11hip_rocprim26transform_input_iterator_tIbNSD_35transform_pair_of_input_iterators_tIbNS6_6detail15normal_iteratorINS6_10device_ptrIKyEEEESL_NS6_8equal_toIyEEEENSG_9not_fun_tINSD_8identityEEEEENSD_19counting_iterator_tIlEES8_S8_S8_S8_S8_S8_S8_S8_EEEEPS9_S9_NSD_9__find_if7functorIS9_EEEE10hipError_tPvRmT1_T2_T3_mT4_P12ihipStream_tbEUlT_E0_NS1_11comp_targetILNS1_3genE10ELNS1_11target_archE1201ELNS1_3gpuE5ELNS1_3repE0EEENS1_30default_config_static_selectorELNS0_4arch9wavefront6targetE1EEEvS14_ ; -- Begin function _ZN7rocprim17ROCPRIM_400000_NS6detail17trampoline_kernelINS0_14default_configENS1_22reduce_config_selectorIN6thrust23THRUST_200600_302600_NS5tupleIblNS6_9null_typeES8_S8_S8_S8_S8_S8_S8_EEEEZNS1_11reduce_implILb1ES3_NS6_12zip_iteratorINS7_INS6_11hip_rocprim26transform_input_iterator_tIbNSD_35transform_pair_of_input_iterators_tIbNS6_6detail15normal_iteratorINS6_10device_ptrIKyEEEESL_NS6_8equal_toIyEEEENSG_9not_fun_tINSD_8identityEEEEENSD_19counting_iterator_tIlEES8_S8_S8_S8_S8_S8_S8_S8_EEEEPS9_S9_NSD_9__find_if7functorIS9_EEEE10hipError_tPvRmT1_T2_T3_mT4_P12ihipStream_tbEUlT_E0_NS1_11comp_targetILNS1_3genE10ELNS1_11target_archE1201ELNS1_3gpuE5ELNS1_3repE0EEENS1_30default_config_static_selectorELNS0_4arch9wavefront6targetE1EEEvS14_
	.globl	_ZN7rocprim17ROCPRIM_400000_NS6detail17trampoline_kernelINS0_14default_configENS1_22reduce_config_selectorIN6thrust23THRUST_200600_302600_NS5tupleIblNS6_9null_typeES8_S8_S8_S8_S8_S8_S8_EEEEZNS1_11reduce_implILb1ES3_NS6_12zip_iteratorINS7_INS6_11hip_rocprim26transform_input_iterator_tIbNSD_35transform_pair_of_input_iterators_tIbNS6_6detail15normal_iteratorINS6_10device_ptrIKyEEEESL_NS6_8equal_toIyEEEENSG_9not_fun_tINSD_8identityEEEEENSD_19counting_iterator_tIlEES8_S8_S8_S8_S8_S8_S8_S8_EEEEPS9_S9_NSD_9__find_if7functorIS9_EEEE10hipError_tPvRmT1_T2_T3_mT4_P12ihipStream_tbEUlT_E0_NS1_11comp_targetILNS1_3genE10ELNS1_11target_archE1201ELNS1_3gpuE5ELNS1_3repE0EEENS1_30default_config_static_selectorELNS0_4arch9wavefront6targetE1EEEvS14_
	.p2align	8
	.type	_ZN7rocprim17ROCPRIM_400000_NS6detail17trampoline_kernelINS0_14default_configENS1_22reduce_config_selectorIN6thrust23THRUST_200600_302600_NS5tupleIblNS6_9null_typeES8_S8_S8_S8_S8_S8_S8_EEEEZNS1_11reduce_implILb1ES3_NS6_12zip_iteratorINS7_INS6_11hip_rocprim26transform_input_iterator_tIbNSD_35transform_pair_of_input_iterators_tIbNS6_6detail15normal_iteratorINS6_10device_ptrIKyEEEESL_NS6_8equal_toIyEEEENSG_9not_fun_tINSD_8identityEEEEENSD_19counting_iterator_tIlEES8_S8_S8_S8_S8_S8_S8_S8_EEEEPS9_S9_NSD_9__find_if7functorIS9_EEEE10hipError_tPvRmT1_T2_T3_mT4_P12ihipStream_tbEUlT_E0_NS1_11comp_targetILNS1_3genE10ELNS1_11target_archE1201ELNS1_3gpuE5ELNS1_3repE0EEENS1_30default_config_static_selectorELNS0_4arch9wavefront6targetE1EEEvS14_,@function
_ZN7rocprim17ROCPRIM_400000_NS6detail17trampoline_kernelINS0_14default_configENS1_22reduce_config_selectorIN6thrust23THRUST_200600_302600_NS5tupleIblNS6_9null_typeES8_S8_S8_S8_S8_S8_S8_EEEEZNS1_11reduce_implILb1ES3_NS6_12zip_iteratorINS7_INS6_11hip_rocprim26transform_input_iterator_tIbNSD_35transform_pair_of_input_iterators_tIbNS6_6detail15normal_iteratorINS6_10device_ptrIKyEEEESL_NS6_8equal_toIyEEEENSG_9not_fun_tINSD_8identityEEEEENSD_19counting_iterator_tIlEES8_S8_S8_S8_S8_S8_S8_S8_EEEEPS9_S9_NSD_9__find_if7functorIS9_EEEE10hipError_tPvRmT1_T2_T3_mT4_P12ihipStream_tbEUlT_E0_NS1_11comp_targetILNS1_3genE10ELNS1_11target_archE1201ELNS1_3gpuE5ELNS1_3repE0EEENS1_30default_config_static_selectorELNS0_4arch9wavefront6targetE1EEEvS14_: ; @_ZN7rocprim17ROCPRIM_400000_NS6detail17trampoline_kernelINS0_14default_configENS1_22reduce_config_selectorIN6thrust23THRUST_200600_302600_NS5tupleIblNS6_9null_typeES8_S8_S8_S8_S8_S8_S8_EEEEZNS1_11reduce_implILb1ES3_NS6_12zip_iteratorINS7_INS6_11hip_rocprim26transform_input_iterator_tIbNSD_35transform_pair_of_input_iterators_tIbNS6_6detail15normal_iteratorINS6_10device_ptrIKyEEEESL_NS6_8equal_toIyEEEENSG_9not_fun_tINSD_8identityEEEEENSD_19counting_iterator_tIlEES8_S8_S8_S8_S8_S8_S8_S8_EEEEPS9_S9_NSD_9__find_if7functorIS9_EEEE10hipError_tPvRmT1_T2_T3_mT4_P12ihipStream_tbEUlT_E0_NS1_11comp_targetILNS1_3genE10ELNS1_11target_archE1201ELNS1_3gpuE5ELNS1_3repE0EEENS1_30default_config_static_selectorELNS0_4arch9wavefront6targetE1EEEvS14_
; %bb.0:
	.section	.rodata,"a",@progbits
	.p2align	6, 0x0
	.amdhsa_kernel _ZN7rocprim17ROCPRIM_400000_NS6detail17trampoline_kernelINS0_14default_configENS1_22reduce_config_selectorIN6thrust23THRUST_200600_302600_NS5tupleIblNS6_9null_typeES8_S8_S8_S8_S8_S8_S8_EEEEZNS1_11reduce_implILb1ES3_NS6_12zip_iteratorINS7_INS6_11hip_rocprim26transform_input_iterator_tIbNSD_35transform_pair_of_input_iterators_tIbNS6_6detail15normal_iteratorINS6_10device_ptrIKyEEEESL_NS6_8equal_toIyEEEENSG_9not_fun_tINSD_8identityEEEEENSD_19counting_iterator_tIlEES8_S8_S8_S8_S8_S8_S8_S8_EEEEPS9_S9_NSD_9__find_if7functorIS9_EEEE10hipError_tPvRmT1_T2_T3_mT4_P12ihipStream_tbEUlT_E0_NS1_11comp_targetILNS1_3genE10ELNS1_11target_archE1201ELNS1_3gpuE5ELNS1_3repE0EEENS1_30default_config_static_selectorELNS0_4arch9wavefront6targetE1EEEvS14_
		.amdhsa_group_segment_fixed_size 0
		.amdhsa_private_segment_fixed_size 0
		.amdhsa_kernarg_size 104
		.amdhsa_user_sgpr_count 2
		.amdhsa_user_sgpr_dispatch_ptr 0
		.amdhsa_user_sgpr_queue_ptr 0
		.amdhsa_user_sgpr_kernarg_segment_ptr 1
		.amdhsa_user_sgpr_dispatch_id 0
		.amdhsa_user_sgpr_kernarg_preload_length 0
		.amdhsa_user_sgpr_kernarg_preload_offset 0
		.amdhsa_user_sgpr_private_segment_size 0
		.amdhsa_uses_dynamic_stack 0
		.amdhsa_enable_private_segment 0
		.amdhsa_system_sgpr_workgroup_id_x 1
		.amdhsa_system_sgpr_workgroup_id_y 0
		.amdhsa_system_sgpr_workgroup_id_z 0
		.amdhsa_system_sgpr_workgroup_info 0
		.amdhsa_system_vgpr_workitem_id 0
		.amdhsa_next_free_vgpr 1
		.amdhsa_next_free_sgpr 0
		.amdhsa_accum_offset 4
		.amdhsa_reserve_vcc 0
		.amdhsa_float_round_mode_32 0
		.amdhsa_float_round_mode_16_64 0
		.amdhsa_float_denorm_mode_32 3
		.amdhsa_float_denorm_mode_16_64 3
		.amdhsa_dx10_clamp 1
		.amdhsa_ieee_mode 1
		.amdhsa_fp16_overflow 0
		.amdhsa_tg_split 0
		.amdhsa_exception_fp_ieee_invalid_op 0
		.amdhsa_exception_fp_denorm_src 0
		.amdhsa_exception_fp_ieee_div_zero 0
		.amdhsa_exception_fp_ieee_overflow 0
		.amdhsa_exception_fp_ieee_underflow 0
		.amdhsa_exception_fp_ieee_inexact 0
		.amdhsa_exception_int_div_zero 0
	.end_amdhsa_kernel
	.section	.text._ZN7rocprim17ROCPRIM_400000_NS6detail17trampoline_kernelINS0_14default_configENS1_22reduce_config_selectorIN6thrust23THRUST_200600_302600_NS5tupleIblNS6_9null_typeES8_S8_S8_S8_S8_S8_S8_EEEEZNS1_11reduce_implILb1ES3_NS6_12zip_iteratorINS7_INS6_11hip_rocprim26transform_input_iterator_tIbNSD_35transform_pair_of_input_iterators_tIbNS6_6detail15normal_iteratorINS6_10device_ptrIKyEEEESL_NS6_8equal_toIyEEEENSG_9not_fun_tINSD_8identityEEEEENSD_19counting_iterator_tIlEES8_S8_S8_S8_S8_S8_S8_S8_EEEEPS9_S9_NSD_9__find_if7functorIS9_EEEE10hipError_tPvRmT1_T2_T3_mT4_P12ihipStream_tbEUlT_E0_NS1_11comp_targetILNS1_3genE10ELNS1_11target_archE1201ELNS1_3gpuE5ELNS1_3repE0EEENS1_30default_config_static_selectorELNS0_4arch9wavefront6targetE1EEEvS14_,"axG",@progbits,_ZN7rocprim17ROCPRIM_400000_NS6detail17trampoline_kernelINS0_14default_configENS1_22reduce_config_selectorIN6thrust23THRUST_200600_302600_NS5tupleIblNS6_9null_typeES8_S8_S8_S8_S8_S8_S8_EEEEZNS1_11reduce_implILb1ES3_NS6_12zip_iteratorINS7_INS6_11hip_rocprim26transform_input_iterator_tIbNSD_35transform_pair_of_input_iterators_tIbNS6_6detail15normal_iteratorINS6_10device_ptrIKyEEEESL_NS6_8equal_toIyEEEENSG_9not_fun_tINSD_8identityEEEEENSD_19counting_iterator_tIlEES8_S8_S8_S8_S8_S8_S8_S8_EEEEPS9_S9_NSD_9__find_if7functorIS9_EEEE10hipError_tPvRmT1_T2_T3_mT4_P12ihipStream_tbEUlT_E0_NS1_11comp_targetILNS1_3genE10ELNS1_11target_archE1201ELNS1_3gpuE5ELNS1_3repE0EEENS1_30default_config_static_selectorELNS0_4arch9wavefront6targetE1EEEvS14_,comdat
.Lfunc_end587:
	.size	_ZN7rocprim17ROCPRIM_400000_NS6detail17trampoline_kernelINS0_14default_configENS1_22reduce_config_selectorIN6thrust23THRUST_200600_302600_NS5tupleIblNS6_9null_typeES8_S8_S8_S8_S8_S8_S8_EEEEZNS1_11reduce_implILb1ES3_NS6_12zip_iteratorINS7_INS6_11hip_rocprim26transform_input_iterator_tIbNSD_35transform_pair_of_input_iterators_tIbNS6_6detail15normal_iteratorINS6_10device_ptrIKyEEEESL_NS6_8equal_toIyEEEENSG_9not_fun_tINSD_8identityEEEEENSD_19counting_iterator_tIlEES8_S8_S8_S8_S8_S8_S8_S8_EEEEPS9_S9_NSD_9__find_if7functorIS9_EEEE10hipError_tPvRmT1_T2_T3_mT4_P12ihipStream_tbEUlT_E0_NS1_11comp_targetILNS1_3genE10ELNS1_11target_archE1201ELNS1_3gpuE5ELNS1_3repE0EEENS1_30default_config_static_selectorELNS0_4arch9wavefront6targetE1EEEvS14_, .Lfunc_end587-_ZN7rocprim17ROCPRIM_400000_NS6detail17trampoline_kernelINS0_14default_configENS1_22reduce_config_selectorIN6thrust23THRUST_200600_302600_NS5tupleIblNS6_9null_typeES8_S8_S8_S8_S8_S8_S8_EEEEZNS1_11reduce_implILb1ES3_NS6_12zip_iteratorINS7_INS6_11hip_rocprim26transform_input_iterator_tIbNSD_35transform_pair_of_input_iterators_tIbNS6_6detail15normal_iteratorINS6_10device_ptrIKyEEEESL_NS6_8equal_toIyEEEENSG_9not_fun_tINSD_8identityEEEEENSD_19counting_iterator_tIlEES8_S8_S8_S8_S8_S8_S8_S8_EEEEPS9_S9_NSD_9__find_if7functorIS9_EEEE10hipError_tPvRmT1_T2_T3_mT4_P12ihipStream_tbEUlT_E0_NS1_11comp_targetILNS1_3genE10ELNS1_11target_archE1201ELNS1_3gpuE5ELNS1_3repE0EEENS1_30default_config_static_selectorELNS0_4arch9wavefront6targetE1EEEvS14_
                                        ; -- End function
	.set _ZN7rocprim17ROCPRIM_400000_NS6detail17trampoline_kernelINS0_14default_configENS1_22reduce_config_selectorIN6thrust23THRUST_200600_302600_NS5tupleIblNS6_9null_typeES8_S8_S8_S8_S8_S8_S8_EEEEZNS1_11reduce_implILb1ES3_NS6_12zip_iteratorINS7_INS6_11hip_rocprim26transform_input_iterator_tIbNSD_35transform_pair_of_input_iterators_tIbNS6_6detail15normal_iteratorINS6_10device_ptrIKyEEEESL_NS6_8equal_toIyEEEENSG_9not_fun_tINSD_8identityEEEEENSD_19counting_iterator_tIlEES8_S8_S8_S8_S8_S8_S8_S8_EEEEPS9_S9_NSD_9__find_if7functorIS9_EEEE10hipError_tPvRmT1_T2_T3_mT4_P12ihipStream_tbEUlT_E0_NS1_11comp_targetILNS1_3genE10ELNS1_11target_archE1201ELNS1_3gpuE5ELNS1_3repE0EEENS1_30default_config_static_selectorELNS0_4arch9wavefront6targetE1EEEvS14_.num_vgpr, 0
	.set _ZN7rocprim17ROCPRIM_400000_NS6detail17trampoline_kernelINS0_14default_configENS1_22reduce_config_selectorIN6thrust23THRUST_200600_302600_NS5tupleIblNS6_9null_typeES8_S8_S8_S8_S8_S8_S8_EEEEZNS1_11reduce_implILb1ES3_NS6_12zip_iteratorINS7_INS6_11hip_rocprim26transform_input_iterator_tIbNSD_35transform_pair_of_input_iterators_tIbNS6_6detail15normal_iteratorINS6_10device_ptrIKyEEEESL_NS6_8equal_toIyEEEENSG_9not_fun_tINSD_8identityEEEEENSD_19counting_iterator_tIlEES8_S8_S8_S8_S8_S8_S8_S8_EEEEPS9_S9_NSD_9__find_if7functorIS9_EEEE10hipError_tPvRmT1_T2_T3_mT4_P12ihipStream_tbEUlT_E0_NS1_11comp_targetILNS1_3genE10ELNS1_11target_archE1201ELNS1_3gpuE5ELNS1_3repE0EEENS1_30default_config_static_selectorELNS0_4arch9wavefront6targetE1EEEvS14_.num_agpr, 0
	.set _ZN7rocprim17ROCPRIM_400000_NS6detail17trampoline_kernelINS0_14default_configENS1_22reduce_config_selectorIN6thrust23THRUST_200600_302600_NS5tupleIblNS6_9null_typeES8_S8_S8_S8_S8_S8_S8_EEEEZNS1_11reduce_implILb1ES3_NS6_12zip_iteratorINS7_INS6_11hip_rocprim26transform_input_iterator_tIbNSD_35transform_pair_of_input_iterators_tIbNS6_6detail15normal_iteratorINS6_10device_ptrIKyEEEESL_NS6_8equal_toIyEEEENSG_9not_fun_tINSD_8identityEEEEENSD_19counting_iterator_tIlEES8_S8_S8_S8_S8_S8_S8_S8_EEEEPS9_S9_NSD_9__find_if7functorIS9_EEEE10hipError_tPvRmT1_T2_T3_mT4_P12ihipStream_tbEUlT_E0_NS1_11comp_targetILNS1_3genE10ELNS1_11target_archE1201ELNS1_3gpuE5ELNS1_3repE0EEENS1_30default_config_static_selectorELNS0_4arch9wavefront6targetE1EEEvS14_.numbered_sgpr, 0
	.set _ZN7rocprim17ROCPRIM_400000_NS6detail17trampoline_kernelINS0_14default_configENS1_22reduce_config_selectorIN6thrust23THRUST_200600_302600_NS5tupleIblNS6_9null_typeES8_S8_S8_S8_S8_S8_S8_EEEEZNS1_11reduce_implILb1ES3_NS6_12zip_iteratorINS7_INS6_11hip_rocprim26transform_input_iterator_tIbNSD_35transform_pair_of_input_iterators_tIbNS6_6detail15normal_iteratorINS6_10device_ptrIKyEEEESL_NS6_8equal_toIyEEEENSG_9not_fun_tINSD_8identityEEEEENSD_19counting_iterator_tIlEES8_S8_S8_S8_S8_S8_S8_S8_EEEEPS9_S9_NSD_9__find_if7functorIS9_EEEE10hipError_tPvRmT1_T2_T3_mT4_P12ihipStream_tbEUlT_E0_NS1_11comp_targetILNS1_3genE10ELNS1_11target_archE1201ELNS1_3gpuE5ELNS1_3repE0EEENS1_30default_config_static_selectorELNS0_4arch9wavefront6targetE1EEEvS14_.num_named_barrier, 0
	.set _ZN7rocprim17ROCPRIM_400000_NS6detail17trampoline_kernelINS0_14default_configENS1_22reduce_config_selectorIN6thrust23THRUST_200600_302600_NS5tupleIblNS6_9null_typeES8_S8_S8_S8_S8_S8_S8_EEEEZNS1_11reduce_implILb1ES3_NS6_12zip_iteratorINS7_INS6_11hip_rocprim26transform_input_iterator_tIbNSD_35transform_pair_of_input_iterators_tIbNS6_6detail15normal_iteratorINS6_10device_ptrIKyEEEESL_NS6_8equal_toIyEEEENSG_9not_fun_tINSD_8identityEEEEENSD_19counting_iterator_tIlEES8_S8_S8_S8_S8_S8_S8_S8_EEEEPS9_S9_NSD_9__find_if7functorIS9_EEEE10hipError_tPvRmT1_T2_T3_mT4_P12ihipStream_tbEUlT_E0_NS1_11comp_targetILNS1_3genE10ELNS1_11target_archE1201ELNS1_3gpuE5ELNS1_3repE0EEENS1_30default_config_static_selectorELNS0_4arch9wavefront6targetE1EEEvS14_.private_seg_size, 0
	.set _ZN7rocprim17ROCPRIM_400000_NS6detail17trampoline_kernelINS0_14default_configENS1_22reduce_config_selectorIN6thrust23THRUST_200600_302600_NS5tupleIblNS6_9null_typeES8_S8_S8_S8_S8_S8_S8_EEEEZNS1_11reduce_implILb1ES3_NS6_12zip_iteratorINS7_INS6_11hip_rocprim26transform_input_iterator_tIbNSD_35transform_pair_of_input_iterators_tIbNS6_6detail15normal_iteratorINS6_10device_ptrIKyEEEESL_NS6_8equal_toIyEEEENSG_9not_fun_tINSD_8identityEEEEENSD_19counting_iterator_tIlEES8_S8_S8_S8_S8_S8_S8_S8_EEEEPS9_S9_NSD_9__find_if7functorIS9_EEEE10hipError_tPvRmT1_T2_T3_mT4_P12ihipStream_tbEUlT_E0_NS1_11comp_targetILNS1_3genE10ELNS1_11target_archE1201ELNS1_3gpuE5ELNS1_3repE0EEENS1_30default_config_static_selectorELNS0_4arch9wavefront6targetE1EEEvS14_.uses_vcc, 0
	.set _ZN7rocprim17ROCPRIM_400000_NS6detail17trampoline_kernelINS0_14default_configENS1_22reduce_config_selectorIN6thrust23THRUST_200600_302600_NS5tupleIblNS6_9null_typeES8_S8_S8_S8_S8_S8_S8_EEEEZNS1_11reduce_implILb1ES3_NS6_12zip_iteratorINS7_INS6_11hip_rocprim26transform_input_iterator_tIbNSD_35transform_pair_of_input_iterators_tIbNS6_6detail15normal_iteratorINS6_10device_ptrIKyEEEESL_NS6_8equal_toIyEEEENSG_9not_fun_tINSD_8identityEEEEENSD_19counting_iterator_tIlEES8_S8_S8_S8_S8_S8_S8_S8_EEEEPS9_S9_NSD_9__find_if7functorIS9_EEEE10hipError_tPvRmT1_T2_T3_mT4_P12ihipStream_tbEUlT_E0_NS1_11comp_targetILNS1_3genE10ELNS1_11target_archE1201ELNS1_3gpuE5ELNS1_3repE0EEENS1_30default_config_static_selectorELNS0_4arch9wavefront6targetE1EEEvS14_.uses_flat_scratch, 0
	.set _ZN7rocprim17ROCPRIM_400000_NS6detail17trampoline_kernelINS0_14default_configENS1_22reduce_config_selectorIN6thrust23THRUST_200600_302600_NS5tupleIblNS6_9null_typeES8_S8_S8_S8_S8_S8_S8_EEEEZNS1_11reduce_implILb1ES3_NS6_12zip_iteratorINS7_INS6_11hip_rocprim26transform_input_iterator_tIbNSD_35transform_pair_of_input_iterators_tIbNS6_6detail15normal_iteratorINS6_10device_ptrIKyEEEESL_NS6_8equal_toIyEEEENSG_9not_fun_tINSD_8identityEEEEENSD_19counting_iterator_tIlEES8_S8_S8_S8_S8_S8_S8_S8_EEEEPS9_S9_NSD_9__find_if7functorIS9_EEEE10hipError_tPvRmT1_T2_T3_mT4_P12ihipStream_tbEUlT_E0_NS1_11comp_targetILNS1_3genE10ELNS1_11target_archE1201ELNS1_3gpuE5ELNS1_3repE0EEENS1_30default_config_static_selectorELNS0_4arch9wavefront6targetE1EEEvS14_.has_dyn_sized_stack, 0
	.set _ZN7rocprim17ROCPRIM_400000_NS6detail17trampoline_kernelINS0_14default_configENS1_22reduce_config_selectorIN6thrust23THRUST_200600_302600_NS5tupleIblNS6_9null_typeES8_S8_S8_S8_S8_S8_S8_EEEEZNS1_11reduce_implILb1ES3_NS6_12zip_iteratorINS7_INS6_11hip_rocprim26transform_input_iterator_tIbNSD_35transform_pair_of_input_iterators_tIbNS6_6detail15normal_iteratorINS6_10device_ptrIKyEEEESL_NS6_8equal_toIyEEEENSG_9not_fun_tINSD_8identityEEEEENSD_19counting_iterator_tIlEES8_S8_S8_S8_S8_S8_S8_S8_EEEEPS9_S9_NSD_9__find_if7functorIS9_EEEE10hipError_tPvRmT1_T2_T3_mT4_P12ihipStream_tbEUlT_E0_NS1_11comp_targetILNS1_3genE10ELNS1_11target_archE1201ELNS1_3gpuE5ELNS1_3repE0EEENS1_30default_config_static_selectorELNS0_4arch9wavefront6targetE1EEEvS14_.has_recursion, 0
	.set _ZN7rocprim17ROCPRIM_400000_NS6detail17trampoline_kernelINS0_14default_configENS1_22reduce_config_selectorIN6thrust23THRUST_200600_302600_NS5tupleIblNS6_9null_typeES8_S8_S8_S8_S8_S8_S8_EEEEZNS1_11reduce_implILb1ES3_NS6_12zip_iteratorINS7_INS6_11hip_rocprim26transform_input_iterator_tIbNSD_35transform_pair_of_input_iterators_tIbNS6_6detail15normal_iteratorINS6_10device_ptrIKyEEEESL_NS6_8equal_toIyEEEENSG_9not_fun_tINSD_8identityEEEEENSD_19counting_iterator_tIlEES8_S8_S8_S8_S8_S8_S8_S8_EEEEPS9_S9_NSD_9__find_if7functorIS9_EEEE10hipError_tPvRmT1_T2_T3_mT4_P12ihipStream_tbEUlT_E0_NS1_11comp_targetILNS1_3genE10ELNS1_11target_archE1201ELNS1_3gpuE5ELNS1_3repE0EEENS1_30default_config_static_selectorELNS0_4arch9wavefront6targetE1EEEvS14_.has_indirect_call, 0
	.section	.AMDGPU.csdata,"",@progbits
; Kernel info:
; codeLenInByte = 0
; TotalNumSgprs: 6
; NumVgprs: 0
; NumAgprs: 0
; TotalNumVgprs: 0
; ScratchSize: 0
; MemoryBound: 0
; FloatMode: 240
; IeeeMode: 1
; LDSByteSize: 0 bytes/workgroup (compile time only)
; SGPRBlocks: 0
; VGPRBlocks: 0
; NumSGPRsForWavesPerEU: 6
; NumVGPRsForWavesPerEU: 1
; AccumOffset: 4
; Occupancy: 8
; WaveLimiterHint : 0
; COMPUTE_PGM_RSRC2:SCRATCH_EN: 0
; COMPUTE_PGM_RSRC2:USER_SGPR: 2
; COMPUTE_PGM_RSRC2:TRAP_HANDLER: 0
; COMPUTE_PGM_RSRC2:TGID_X_EN: 1
; COMPUTE_PGM_RSRC2:TGID_Y_EN: 0
; COMPUTE_PGM_RSRC2:TGID_Z_EN: 0
; COMPUTE_PGM_RSRC2:TIDIG_COMP_CNT: 0
; COMPUTE_PGM_RSRC3_GFX90A:ACCUM_OFFSET: 0
; COMPUTE_PGM_RSRC3_GFX90A:TG_SPLIT: 0
	.section	.text._ZN7rocprim17ROCPRIM_400000_NS6detail17trampoline_kernelINS0_14default_configENS1_22reduce_config_selectorIN6thrust23THRUST_200600_302600_NS5tupleIblNS6_9null_typeES8_S8_S8_S8_S8_S8_S8_EEEEZNS1_11reduce_implILb1ES3_NS6_12zip_iteratorINS7_INS6_11hip_rocprim26transform_input_iterator_tIbNSD_35transform_pair_of_input_iterators_tIbNS6_6detail15normal_iteratorINS6_10device_ptrIKyEEEESL_NS6_8equal_toIyEEEENSG_9not_fun_tINSD_8identityEEEEENSD_19counting_iterator_tIlEES8_S8_S8_S8_S8_S8_S8_S8_EEEEPS9_S9_NSD_9__find_if7functorIS9_EEEE10hipError_tPvRmT1_T2_T3_mT4_P12ihipStream_tbEUlT_E0_NS1_11comp_targetILNS1_3genE10ELNS1_11target_archE1200ELNS1_3gpuE4ELNS1_3repE0EEENS1_30default_config_static_selectorELNS0_4arch9wavefront6targetE1EEEvS14_,"axG",@progbits,_ZN7rocprim17ROCPRIM_400000_NS6detail17trampoline_kernelINS0_14default_configENS1_22reduce_config_selectorIN6thrust23THRUST_200600_302600_NS5tupleIblNS6_9null_typeES8_S8_S8_S8_S8_S8_S8_EEEEZNS1_11reduce_implILb1ES3_NS6_12zip_iteratorINS7_INS6_11hip_rocprim26transform_input_iterator_tIbNSD_35transform_pair_of_input_iterators_tIbNS6_6detail15normal_iteratorINS6_10device_ptrIKyEEEESL_NS6_8equal_toIyEEEENSG_9not_fun_tINSD_8identityEEEEENSD_19counting_iterator_tIlEES8_S8_S8_S8_S8_S8_S8_S8_EEEEPS9_S9_NSD_9__find_if7functorIS9_EEEE10hipError_tPvRmT1_T2_T3_mT4_P12ihipStream_tbEUlT_E0_NS1_11comp_targetILNS1_3genE10ELNS1_11target_archE1200ELNS1_3gpuE4ELNS1_3repE0EEENS1_30default_config_static_selectorELNS0_4arch9wavefront6targetE1EEEvS14_,comdat
	.protected	_ZN7rocprim17ROCPRIM_400000_NS6detail17trampoline_kernelINS0_14default_configENS1_22reduce_config_selectorIN6thrust23THRUST_200600_302600_NS5tupleIblNS6_9null_typeES8_S8_S8_S8_S8_S8_S8_EEEEZNS1_11reduce_implILb1ES3_NS6_12zip_iteratorINS7_INS6_11hip_rocprim26transform_input_iterator_tIbNSD_35transform_pair_of_input_iterators_tIbNS6_6detail15normal_iteratorINS6_10device_ptrIKyEEEESL_NS6_8equal_toIyEEEENSG_9not_fun_tINSD_8identityEEEEENSD_19counting_iterator_tIlEES8_S8_S8_S8_S8_S8_S8_S8_EEEEPS9_S9_NSD_9__find_if7functorIS9_EEEE10hipError_tPvRmT1_T2_T3_mT4_P12ihipStream_tbEUlT_E0_NS1_11comp_targetILNS1_3genE10ELNS1_11target_archE1200ELNS1_3gpuE4ELNS1_3repE0EEENS1_30default_config_static_selectorELNS0_4arch9wavefront6targetE1EEEvS14_ ; -- Begin function _ZN7rocprim17ROCPRIM_400000_NS6detail17trampoline_kernelINS0_14default_configENS1_22reduce_config_selectorIN6thrust23THRUST_200600_302600_NS5tupleIblNS6_9null_typeES8_S8_S8_S8_S8_S8_S8_EEEEZNS1_11reduce_implILb1ES3_NS6_12zip_iteratorINS7_INS6_11hip_rocprim26transform_input_iterator_tIbNSD_35transform_pair_of_input_iterators_tIbNS6_6detail15normal_iteratorINS6_10device_ptrIKyEEEESL_NS6_8equal_toIyEEEENSG_9not_fun_tINSD_8identityEEEEENSD_19counting_iterator_tIlEES8_S8_S8_S8_S8_S8_S8_S8_EEEEPS9_S9_NSD_9__find_if7functorIS9_EEEE10hipError_tPvRmT1_T2_T3_mT4_P12ihipStream_tbEUlT_E0_NS1_11comp_targetILNS1_3genE10ELNS1_11target_archE1200ELNS1_3gpuE4ELNS1_3repE0EEENS1_30default_config_static_selectorELNS0_4arch9wavefront6targetE1EEEvS14_
	.globl	_ZN7rocprim17ROCPRIM_400000_NS6detail17trampoline_kernelINS0_14default_configENS1_22reduce_config_selectorIN6thrust23THRUST_200600_302600_NS5tupleIblNS6_9null_typeES8_S8_S8_S8_S8_S8_S8_EEEEZNS1_11reduce_implILb1ES3_NS6_12zip_iteratorINS7_INS6_11hip_rocprim26transform_input_iterator_tIbNSD_35transform_pair_of_input_iterators_tIbNS6_6detail15normal_iteratorINS6_10device_ptrIKyEEEESL_NS6_8equal_toIyEEEENSG_9not_fun_tINSD_8identityEEEEENSD_19counting_iterator_tIlEES8_S8_S8_S8_S8_S8_S8_S8_EEEEPS9_S9_NSD_9__find_if7functorIS9_EEEE10hipError_tPvRmT1_T2_T3_mT4_P12ihipStream_tbEUlT_E0_NS1_11comp_targetILNS1_3genE10ELNS1_11target_archE1200ELNS1_3gpuE4ELNS1_3repE0EEENS1_30default_config_static_selectorELNS0_4arch9wavefront6targetE1EEEvS14_
	.p2align	8
	.type	_ZN7rocprim17ROCPRIM_400000_NS6detail17trampoline_kernelINS0_14default_configENS1_22reduce_config_selectorIN6thrust23THRUST_200600_302600_NS5tupleIblNS6_9null_typeES8_S8_S8_S8_S8_S8_S8_EEEEZNS1_11reduce_implILb1ES3_NS6_12zip_iteratorINS7_INS6_11hip_rocprim26transform_input_iterator_tIbNSD_35transform_pair_of_input_iterators_tIbNS6_6detail15normal_iteratorINS6_10device_ptrIKyEEEESL_NS6_8equal_toIyEEEENSG_9not_fun_tINSD_8identityEEEEENSD_19counting_iterator_tIlEES8_S8_S8_S8_S8_S8_S8_S8_EEEEPS9_S9_NSD_9__find_if7functorIS9_EEEE10hipError_tPvRmT1_T2_T3_mT4_P12ihipStream_tbEUlT_E0_NS1_11comp_targetILNS1_3genE10ELNS1_11target_archE1200ELNS1_3gpuE4ELNS1_3repE0EEENS1_30default_config_static_selectorELNS0_4arch9wavefront6targetE1EEEvS14_,@function
_ZN7rocprim17ROCPRIM_400000_NS6detail17trampoline_kernelINS0_14default_configENS1_22reduce_config_selectorIN6thrust23THRUST_200600_302600_NS5tupleIblNS6_9null_typeES8_S8_S8_S8_S8_S8_S8_EEEEZNS1_11reduce_implILb1ES3_NS6_12zip_iteratorINS7_INS6_11hip_rocprim26transform_input_iterator_tIbNSD_35transform_pair_of_input_iterators_tIbNS6_6detail15normal_iteratorINS6_10device_ptrIKyEEEESL_NS6_8equal_toIyEEEENSG_9not_fun_tINSD_8identityEEEEENSD_19counting_iterator_tIlEES8_S8_S8_S8_S8_S8_S8_S8_EEEEPS9_S9_NSD_9__find_if7functorIS9_EEEE10hipError_tPvRmT1_T2_T3_mT4_P12ihipStream_tbEUlT_E0_NS1_11comp_targetILNS1_3genE10ELNS1_11target_archE1200ELNS1_3gpuE4ELNS1_3repE0EEENS1_30default_config_static_selectorELNS0_4arch9wavefront6targetE1EEEvS14_: ; @_ZN7rocprim17ROCPRIM_400000_NS6detail17trampoline_kernelINS0_14default_configENS1_22reduce_config_selectorIN6thrust23THRUST_200600_302600_NS5tupleIblNS6_9null_typeES8_S8_S8_S8_S8_S8_S8_EEEEZNS1_11reduce_implILb1ES3_NS6_12zip_iteratorINS7_INS6_11hip_rocprim26transform_input_iterator_tIbNSD_35transform_pair_of_input_iterators_tIbNS6_6detail15normal_iteratorINS6_10device_ptrIKyEEEESL_NS6_8equal_toIyEEEENSG_9not_fun_tINSD_8identityEEEEENSD_19counting_iterator_tIlEES8_S8_S8_S8_S8_S8_S8_S8_EEEEPS9_S9_NSD_9__find_if7functorIS9_EEEE10hipError_tPvRmT1_T2_T3_mT4_P12ihipStream_tbEUlT_E0_NS1_11comp_targetILNS1_3genE10ELNS1_11target_archE1200ELNS1_3gpuE4ELNS1_3repE0EEENS1_30default_config_static_selectorELNS0_4arch9wavefront6targetE1EEEvS14_
; %bb.0:
	.section	.rodata,"a",@progbits
	.p2align	6, 0x0
	.amdhsa_kernel _ZN7rocprim17ROCPRIM_400000_NS6detail17trampoline_kernelINS0_14default_configENS1_22reduce_config_selectorIN6thrust23THRUST_200600_302600_NS5tupleIblNS6_9null_typeES8_S8_S8_S8_S8_S8_S8_EEEEZNS1_11reduce_implILb1ES3_NS6_12zip_iteratorINS7_INS6_11hip_rocprim26transform_input_iterator_tIbNSD_35transform_pair_of_input_iterators_tIbNS6_6detail15normal_iteratorINS6_10device_ptrIKyEEEESL_NS6_8equal_toIyEEEENSG_9not_fun_tINSD_8identityEEEEENSD_19counting_iterator_tIlEES8_S8_S8_S8_S8_S8_S8_S8_EEEEPS9_S9_NSD_9__find_if7functorIS9_EEEE10hipError_tPvRmT1_T2_T3_mT4_P12ihipStream_tbEUlT_E0_NS1_11comp_targetILNS1_3genE10ELNS1_11target_archE1200ELNS1_3gpuE4ELNS1_3repE0EEENS1_30default_config_static_selectorELNS0_4arch9wavefront6targetE1EEEvS14_
		.amdhsa_group_segment_fixed_size 0
		.amdhsa_private_segment_fixed_size 0
		.amdhsa_kernarg_size 104
		.amdhsa_user_sgpr_count 2
		.amdhsa_user_sgpr_dispatch_ptr 0
		.amdhsa_user_sgpr_queue_ptr 0
		.amdhsa_user_sgpr_kernarg_segment_ptr 1
		.amdhsa_user_sgpr_dispatch_id 0
		.amdhsa_user_sgpr_kernarg_preload_length 0
		.amdhsa_user_sgpr_kernarg_preload_offset 0
		.amdhsa_user_sgpr_private_segment_size 0
		.amdhsa_uses_dynamic_stack 0
		.amdhsa_enable_private_segment 0
		.amdhsa_system_sgpr_workgroup_id_x 1
		.amdhsa_system_sgpr_workgroup_id_y 0
		.amdhsa_system_sgpr_workgroup_id_z 0
		.amdhsa_system_sgpr_workgroup_info 0
		.amdhsa_system_vgpr_workitem_id 0
		.amdhsa_next_free_vgpr 1
		.amdhsa_next_free_sgpr 0
		.amdhsa_accum_offset 4
		.amdhsa_reserve_vcc 0
		.amdhsa_float_round_mode_32 0
		.amdhsa_float_round_mode_16_64 0
		.amdhsa_float_denorm_mode_32 3
		.amdhsa_float_denorm_mode_16_64 3
		.amdhsa_dx10_clamp 1
		.amdhsa_ieee_mode 1
		.amdhsa_fp16_overflow 0
		.amdhsa_tg_split 0
		.amdhsa_exception_fp_ieee_invalid_op 0
		.amdhsa_exception_fp_denorm_src 0
		.amdhsa_exception_fp_ieee_div_zero 0
		.amdhsa_exception_fp_ieee_overflow 0
		.amdhsa_exception_fp_ieee_underflow 0
		.amdhsa_exception_fp_ieee_inexact 0
		.amdhsa_exception_int_div_zero 0
	.end_amdhsa_kernel
	.section	.text._ZN7rocprim17ROCPRIM_400000_NS6detail17trampoline_kernelINS0_14default_configENS1_22reduce_config_selectorIN6thrust23THRUST_200600_302600_NS5tupleIblNS6_9null_typeES8_S8_S8_S8_S8_S8_S8_EEEEZNS1_11reduce_implILb1ES3_NS6_12zip_iteratorINS7_INS6_11hip_rocprim26transform_input_iterator_tIbNSD_35transform_pair_of_input_iterators_tIbNS6_6detail15normal_iteratorINS6_10device_ptrIKyEEEESL_NS6_8equal_toIyEEEENSG_9not_fun_tINSD_8identityEEEEENSD_19counting_iterator_tIlEES8_S8_S8_S8_S8_S8_S8_S8_EEEEPS9_S9_NSD_9__find_if7functorIS9_EEEE10hipError_tPvRmT1_T2_T3_mT4_P12ihipStream_tbEUlT_E0_NS1_11comp_targetILNS1_3genE10ELNS1_11target_archE1200ELNS1_3gpuE4ELNS1_3repE0EEENS1_30default_config_static_selectorELNS0_4arch9wavefront6targetE1EEEvS14_,"axG",@progbits,_ZN7rocprim17ROCPRIM_400000_NS6detail17trampoline_kernelINS0_14default_configENS1_22reduce_config_selectorIN6thrust23THRUST_200600_302600_NS5tupleIblNS6_9null_typeES8_S8_S8_S8_S8_S8_S8_EEEEZNS1_11reduce_implILb1ES3_NS6_12zip_iteratorINS7_INS6_11hip_rocprim26transform_input_iterator_tIbNSD_35transform_pair_of_input_iterators_tIbNS6_6detail15normal_iteratorINS6_10device_ptrIKyEEEESL_NS6_8equal_toIyEEEENSG_9not_fun_tINSD_8identityEEEEENSD_19counting_iterator_tIlEES8_S8_S8_S8_S8_S8_S8_S8_EEEEPS9_S9_NSD_9__find_if7functorIS9_EEEE10hipError_tPvRmT1_T2_T3_mT4_P12ihipStream_tbEUlT_E0_NS1_11comp_targetILNS1_3genE10ELNS1_11target_archE1200ELNS1_3gpuE4ELNS1_3repE0EEENS1_30default_config_static_selectorELNS0_4arch9wavefront6targetE1EEEvS14_,comdat
.Lfunc_end588:
	.size	_ZN7rocprim17ROCPRIM_400000_NS6detail17trampoline_kernelINS0_14default_configENS1_22reduce_config_selectorIN6thrust23THRUST_200600_302600_NS5tupleIblNS6_9null_typeES8_S8_S8_S8_S8_S8_S8_EEEEZNS1_11reduce_implILb1ES3_NS6_12zip_iteratorINS7_INS6_11hip_rocprim26transform_input_iterator_tIbNSD_35transform_pair_of_input_iterators_tIbNS6_6detail15normal_iteratorINS6_10device_ptrIKyEEEESL_NS6_8equal_toIyEEEENSG_9not_fun_tINSD_8identityEEEEENSD_19counting_iterator_tIlEES8_S8_S8_S8_S8_S8_S8_S8_EEEEPS9_S9_NSD_9__find_if7functorIS9_EEEE10hipError_tPvRmT1_T2_T3_mT4_P12ihipStream_tbEUlT_E0_NS1_11comp_targetILNS1_3genE10ELNS1_11target_archE1200ELNS1_3gpuE4ELNS1_3repE0EEENS1_30default_config_static_selectorELNS0_4arch9wavefront6targetE1EEEvS14_, .Lfunc_end588-_ZN7rocprim17ROCPRIM_400000_NS6detail17trampoline_kernelINS0_14default_configENS1_22reduce_config_selectorIN6thrust23THRUST_200600_302600_NS5tupleIblNS6_9null_typeES8_S8_S8_S8_S8_S8_S8_EEEEZNS1_11reduce_implILb1ES3_NS6_12zip_iteratorINS7_INS6_11hip_rocprim26transform_input_iterator_tIbNSD_35transform_pair_of_input_iterators_tIbNS6_6detail15normal_iteratorINS6_10device_ptrIKyEEEESL_NS6_8equal_toIyEEEENSG_9not_fun_tINSD_8identityEEEEENSD_19counting_iterator_tIlEES8_S8_S8_S8_S8_S8_S8_S8_EEEEPS9_S9_NSD_9__find_if7functorIS9_EEEE10hipError_tPvRmT1_T2_T3_mT4_P12ihipStream_tbEUlT_E0_NS1_11comp_targetILNS1_3genE10ELNS1_11target_archE1200ELNS1_3gpuE4ELNS1_3repE0EEENS1_30default_config_static_selectorELNS0_4arch9wavefront6targetE1EEEvS14_
                                        ; -- End function
	.set _ZN7rocprim17ROCPRIM_400000_NS6detail17trampoline_kernelINS0_14default_configENS1_22reduce_config_selectorIN6thrust23THRUST_200600_302600_NS5tupleIblNS6_9null_typeES8_S8_S8_S8_S8_S8_S8_EEEEZNS1_11reduce_implILb1ES3_NS6_12zip_iteratorINS7_INS6_11hip_rocprim26transform_input_iterator_tIbNSD_35transform_pair_of_input_iterators_tIbNS6_6detail15normal_iteratorINS6_10device_ptrIKyEEEESL_NS6_8equal_toIyEEEENSG_9not_fun_tINSD_8identityEEEEENSD_19counting_iterator_tIlEES8_S8_S8_S8_S8_S8_S8_S8_EEEEPS9_S9_NSD_9__find_if7functorIS9_EEEE10hipError_tPvRmT1_T2_T3_mT4_P12ihipStream_tbEUlT_E0_NS1_11comp_targetILNS1_3genE10ELNS1_11target_archE1200ELNS1_3gpuE4ELNS1_3repE0EEENS1_30default_config_static_selectorELNS0_4arch9wavefront6targetE1EEEvS14_.num_vgpr, 0
	.set _ZN7rocprim17ROCPRIM_400000_NS6detail17trampoline_kernelINS0_14default_configENS1_22reduce_config_selectorIN6thrust23THRUST_200600_302600_NS5tupleIblNS6_9null_typeES8_S8_S8_S8_S8_S8_S8_EEEEZNS1_11reduce_implILb1ES3_NS6_12zip_iteratorINS7_INS6_11hip_rocprim26transform_input_iterator_tIbNSD_35transform_pair_of_input_iterators_tIbNS6_6detail15normal_iteratorINS6_10device_ptrIKyEEEESL_NS6_8equal_toIyEEEENSG_9not_fun_tINSD_8identityEEEEENSD_19counting_iterator_tIlEES8_S8_S8_S8_S8_S8_S8_S8_EEEEPS9_S9_NSD_9__find_if7functorIS9_EEEE10hipError_tPvRmT1_T2_T3_mT4_P12ihipStream_tbEUlT_E0_NS1_11comp_targetILNS1_3genE10ELNS1_11target_archE1200ELNS1_3gpuE4ELNS1_3repE0EEENS1_30default_config_static_selectorELNS0_4arch9wavefront6targetE1EEEvS14_.num_agpr, 0
	.set _ZN7rocprim17ROCPRIM_400000_NS6detail17trampoline_kernelINS0_14default_configENS1_22reduce_config_selectorIN6thrust23THRUST_200600_302600_NS5tupleIblNS6_9null_typeES8_S8_S8_S8_S8_S8_S8_EEEEZNS1_11reduce_implILb1ES3_NS6_12zip_iteratorINS7_INS6_11hip_rocprim26transform_input_iterator_tIbNSD_35transform_pair_of_input_iterators_tIbNS6_6detail15normal_iteratorINS6_10device_ptrIKyEEEESL_NS6_8equal_toIyEEEENSG_9not_fun_tINSD_8identityEEEEENSD_19counting_iterator_tIlEES8_S8_S8_S8_S8_S8_S8_S8_EEEEPS9_S9_NSD_9__find_if7functorIS9_EEEE10hipError_tPvRmT1_T2_T3_mT4_P12ihipStream_tbEUlT_E0_NS1_11comp_targetILNS1_3genE10ELNS1_11target_archE1200ELNS1_3gpuE4ELNS1_3repE0EEENS1_30default_config_static_selectorELNS0_4arch9wavefront6targetE1EEEvS14_.numbered_sgpr, 0
	.set _ZN7rocprim17ROCPRIM_400000_NS6detail17trampoline_kernelINS0_14default_configENS1_22reduce_config_selectorIN6thrust23THRUST_200600_302600_NS5tupleIblNS6_9null_typeES8_S8_S8_S8_S8_S8_S8_EEEEZNS1_11reduce_implILb1ES3_NS6_12zip_iteratorINS7_INS6_11hip_rocprim26transform_input_iterator_tIbNSD_35transform_pair_of_input_iterators_tIbNS6_6detail15normal_iteratorINS6_10device_ptrIKyEEEESL_NS6_8equal_toIyEEEENSG_9not_fun_tINSD_8identityEEEEENSD_19counting_iterator_tIlEES8_S8_S8_S8_S8_S8_S8_S8_EEEEPS9_S9_NSD_9__find_if7functorIS9_EEEE10hipError_tPvRmT1_T2_T3_mT4_P12ihipStream_tbEUlT_E0_NS1_11comp_targetILNS1_3genE10ELNS1_11target_archE1200ELNS1_3gpuE4ELNS1_3repE0EEENS1_30default_config_static_selectorELNS0_4arch9wavefront6targetE1EEEvS14_.num_named_barrier, 0
	.set _ZN7rocprim17ROCPRIM_400000_NS6detail17trampoline_kernelINS0_14default_configENS1_22reduce_config_selectorIN6thrust23THRUST_200600_302600_NS5tupleIblNS6_9null_typeES8_S8_S8_S8_S8_S8_S8_EEEEZNS1_11reduce_implILb1ES3_NS6_12zip_iteratorINS7_INS6_11hip_rocprim26transform_input_iterator_tIbNSD_35transform_pair_of_input_iterators_tIbNS6_6detail15normal_iteratorINS6_10device_ptrIKyEEEESL_NS6_8equal_toIyEEEENSG_9not_fun_tINSD_8identityEEEEENSD_19counting_iterator_tIlEES8_S8_S8_S8_S8_S8_S8_S8_EEEEPS9_S9_NSD_9__find_if7functorIS9_EEEE10hipError_tPvRmT1_T2_T3_mT4_P12ihipStream_tbEUlT_E0_NS1_11comp_targetILNS1_3genE10ELNS1_11target_archE1200ELNS1_3gpuE4ELNS1_3repE0EEENS1_30default_config_static_selectorELNS0_4arch9wavefront6targetE1EEEvS14_.private_seg_size, 0
	.set _ZN7rocprim17ROCPRIM_400000_NS6detail17trampoline_kernelINS0_14default_configENS1_22reduce_config_selectorIN6thrust23THRUST_200600_302600_NS5tupleIblNS6_9null_typeES8_S8_S8_S8_S8_S8_S8_EEEEZNS1_11reduce_implILb1ES3_NS6_12zip_iteratorINS7_INS6_11hip_rocprim26transform_input_iterator_tIbNSD_35transform_pair_of_input_iterators_tIbNS6_6detail15normal_iteratorINS6_10device_ptrIKyEEEESL_NS6_8equal_toIyEEEENSG_9not_fun_tINSD_8identityEEEEENSD_19counting_iterator_tIlEES8_S8_S8_S8_S8_S8_S8_S8_EEEEPS9_S9_NSD_9__find_if7functorIS9_EEEE10hipError_tPvRmT1_T2_T3_mT4_P12ihipStream_tbEUlT_E0_NS1_11comp_targetILNS1_3genE10ELNS1_11target_archE1200ELNS1_3gpuE4ELNS1_3repE0EEENS1_30default_config_static_selectorELNS0_4arch9wavefront6targetE1EEEvS14_.uses_vcc, 0
	.set _ZN7rocprim17ROCPRIM_400000_NS6detail17trampoline_kernelINS0_14default_configENS1_22reduce_config_selectorIN6thrust23THRUST_200600_302600_NS5tupleIblNS6_9null_typeES8_S8_S8_S8_S8_S8_S8_EEEEZNS1_11reduce_implILb1ES3_NS6_12zip_iteratorINS7_INS6_11hip_rocprim26transform_input_iterator_tIbNSD_35transform_pair_of_input_iterators_tIbNS6_6detail15normal_iteratorINS6_10device_ptrIKyEEEESL_NS6_8equal_toIyEEEENSG_9not_fun_tINSD_8identityEEEEENSD_19counting_iterator_tIlEES8_S8_S8_S8_S8_S8_S8_S8_EEEEPS9_S9_NSD_9__find_if7functorIS9_EEEE10hipError_tPvRmT1_T2_T3_mT4_P12ihipStream_tbEUlT_E0_NS1_11comp_targetILNS1_3genE10ELNS1_11target_archE1200ELNS1_3gpuE4ELNS1_3repE0EEENS1_30default_config_static_selectorELNS0_4arch9wavefront6targetE1EEEvS14_.uses_flat_scratch, 0
	.set _ZN7rocprim17ROCPRIM_400000_NS6detail17trampoline_kernelINS0_14default_configENS1_22reduce_config_selectorIN6thrust23THRUST_200600_302600_NS5tupleIblNS6_9null_typeES8_S8_S8_S8_S8_S8_S8_EEEEZNS1_11reduce_implILb1ES3_NS6_12zip_iteratorINS7_INS6_11hip_rocprim26transform_input_iterator_tIbNSD_35transform_pair_of_input_iterators_tIbNS6_6detail15normal_iteratorINS6_10device_ptrIKyEEEESL_NS6_8equal_toIyEEEENSG_9not_fun_tINSD_8identityEEEEENSD_19counting_iterator_tIlEES8_S8_S8_S8_S8_S8_S8_S8_EEEEPS9_S9_NSD_9__find_if7functorIS9_EEEE10hipError_tPvRmT1_T2_T3_mT4_P12ihipStream_tbEUlT_E0_NS1_11comp_targetILNS1_3genE10ELNS1_11target_archE1200ELNS1_3gpuE4ELNS1_3repE0EEENS1_30default_config_static_selectorELNS0_4arch9wavefront6targetE1EEEvS14_.has_dyn_sized_stack, 0
	.set _ZN7rocprim17ROCPRIM_400000_NS6detail17trampoline_kernelINS0_14default_configENS1_22reduce_config_selectorIN6thrust23THRUST_200600_302600_NS5tupleIblNS6_9null_typeES8_S8_S8_S8_S8_S8_S8_EEEEZNS1_11reduce_implILb1ES3_NS6_12zip_iteratorINS7_INS6_11hip_rocprim26transform_input_iterator_tIbNSD_35transform_pair_of_input_iterators_tIbNS6_6detail15normal_iteratorINS6_10device_ptrIKyEEEESL_NS6_8equal_toIyEEEENSG_9not_fun_tINSD_8identityEEEEENSD_19counting_iterator_tIlEES8_S8_S8_S8_S8_S8_S8_S8_EEEEPS9_S9_NSD_9__find_if7functorIS9_EEEE10hipError_tPvRmT1_T2_T3_mT4_P12ihipStream_tbEUlT_E0_NS1_11comp_targetILNS1_3genE10ELNS1_11target_archE1200ELNS1_3gpuE4ELNS1_3repE0EEENS1_30default_config_static_selectorELNS0_4arch9wavefront6targetE1EEEvS14_.has_recursion, 0
	.set _ZN7rocprim17ROCPRIM_400000_NS6detail17trampoline_kernelINS0_14default_configENS1_22reduce_config_selectorIN6thrust23THRUST_200600_302600_NS5tupleIblNS6_9null_typeES8_S8_S8_S8_S8_S8_S8_EEEEZNS1_11reduce_implILb1ES3_NS6_12zip_iteratorINS7_INS6_11hip_rocprim26transform_input_iterator_tIbNSD_35transform_pair_of_input_iterators_tIbNS6_6detail15normal_iteratorINS6_10device_ptrIKyEEEESL_NS6_8equal_toIyEEEENSG_9not_fun_tINSD_8identityEEEEENSD_19counting_iterator_tIlEES8_S8_S8_S8_S8_S8_S8_S8_EEEEPS9_S9_NSD_9__find_if7functorIS9_EEEE10hipError_tPvRmT1_T2_T3_mT4_P12ihipStream_tbEUlT_E0_NS1_11comp_targetILNS1_3genE10ELNS1_11target_archE1200ELNS1_3gpuE4ELNS1_3repE0EEENS1_30default_config_static_selectorELNS0_4arch9wavefront6targetE1EEEvS14_.has_indirect_call, 0
	.section	.AMDGPU.csdata,"",@progbits
; Kernel info:
; codeLenInByte = 0
; TotalNumSgprs: 6
; NumVgprs: 0
; NumAgprs: 0
; TotalNumVgprs: 0
; ScratchSize: 0
; MemoryBound: 0
; FloatMode: 240
; IeeeMode: 1
; LDSByteSize: 0 bytes/workgroup (compile time only)
; SGPRBlocks: 0
; VGPRBlocks: 0
; NumSGPRsForWavesPerEU: 6
; NumVGPRsForWavesPerEU: 1
; AccumOffset: 4
; Occupancy: 8
; WaveLimiterHint : 0
; COMPUTE_PGM_RSRC2:SCRATCH_EN: 0
; COMPUTE_PGM_RSRC2:USER_SGPR: 2
; COMPUTE_PGM_RSRC2:TRAP_HANDLER: 0
; COMPUTE_PGM_RSRC2:TGID_X_EN: 1
; COMPUTE_PGM_RSRC2:TGID_Y_EN: 0
; COMPUTE_PGM_RSRC2:TGID_Z_EN: 0
; COMPUTE_PGM_RSRC2:TIDIG_COMP_CNT: 0
; COMPUTE_PGM_RSRC3_GFX90A:ACCUM_OFFSET: 0
; COMPUTE_PGM_RSRC3_GFX90A:TG_SPLIT: 0
	.section	.text._ZN7rocprim17ROCPRIM_400000_NS6detail17trampoline_kernelINS0_14default_configENS1_22reduce_config_selectorIN6thrust23THRUST_200600_302600_NS5tupleIblNS6_9null_typeES8_S8_S8_S8_S8_S8_S8_EEEEZNS1_11reduce_implILb1ES3_NS6_12zip_iteratorINS7_INS6_11hip_rocprim26transform_input_iterator_tIbNSD_35transform_pair_of_input_iterators_tIbNS6_6detail15normal_iteratorINS6_10device_ptrIKyEEEESL_NS6_8equal_toIyEEEENSG_9not_fun_tINSD_8identityEEEEENSD_19counting_iterator_tIlEES8_S8_S8_S8_S8_S8_S8_S8_EEEEPS9_S9_NSD_9__find_if7functorIS9_EEEE10hipError_tPvRmT1_T2_T3_mT4_P12ihipStream_tbEUlT_E0_NS1_11comp_targetILNS1_3genE9ELNS1_11target_archE1100ELNS1_3gpuE3ELNS1_3repE0EEENS1_30default_config_static_selectorELNS0_4arch9wavefront6targetE1EEEvS14_,"axG",@progbits,_ZN7rocprim17ROCPRIM_400000_NS6detail17trampoline_kernelINS0_14default_configENS1_22reduce_config_selectorIN6thrust23THRUST_200600_302600_NS5tupleIblNS6_9null_typeES8_S8_S8_S8_S8_S8_S8_EEEEZNS1_11reduce_implILb1ES3_NS6_12zip_iteratorINS7_INS6_11hip_rocprim26transform_input_iterator_tIbNSD_35transform_pair_of_input_iterators_tIbNS6_6detail15normal_iteratorINS6_10device_ptrIKyEEEESL_NS6_8equal_toIyEEEENSG_9not_fun_tINSD_8identityEEEEENSD_19counting_iterator_tIlEES8_S8_S8_S8_S8_S8_S8_S8_EEEEPS9_S9_NSD_9__find_if7functorIS9_EEEE10hipError_tPvRmT1_T2_T3_mT4_P12ihipStream_tbEUlT_E0_NS1_11comp_targetILNS1_3genE9ELNS1_11target_archE1100ELNS1_3gpuE3ELNS1_3repE0EEENS1_30default_config_static_selectorELNS0_4arch9wavefront6targetE1EEEvS14_,comdat
	.protected	_ZN7rocprim17ROCPRIM_400000_NS6detail17trampoline_kernelINS0_14default_configENS1_22reduce_config_selectorIN6thrust23THRUST_200600_302600_NS5tupleIblNS6_9null_typeES8_S8_S8_S8_S8_S8_S8_EEEEZNS1_11reduce_implILb1ES3_NS6_12zip_iteratorINS7_INS6_11hip_rocprim26transform_input_iterator_tIbNSD_35transform_pair_of_input_iterators_tIbNS6_6detail15normal_iteratorINS6_10device_ptrIKyEEEESL_NS6_8equal_toIyEEEENSG_9not_fun_tINSD_8identityEEEEENSD_19counting_iterator_tIlEES8_S8_S8_S8_S8_S8_S8_S8_EEEEPS9_S9_NSD_9__find_if7functorIS9_EEEE10hipError_tPvRmT1_T2_T3_mT4_P12ihipStream_tbEUlT_E0_NS1_11comp_targetILNS1_3genE9ELNS1_11target_archE1100ELNS1_3gpuE3ELNS1_3repE0EEENS1_30default_config_static_selectorELNS0_4arch9wavefront6targetE1EEEvS14_ ; -- Begin function _ZN7rocprim17ROCPRIM_400000_NS6detail17trampoline_kernelINS0_14default_configENS1_22reduce_config_selectorIN6thrust23THRUST_200600_302600_NS5tupleIblNS6_9null_typeES8_S8_S8_S8_S8_S8_S8_EEEEZNS1_11reduce_implILb1ES3_NS6_12zip_iteratorINS7_INS6_11hip_rocprim26transform_input_iterator_tIbNSD_35transform_pair_of_input_iterators_tIbNS6_6detail15normal_iteratorINS6_10device_ptrIKyEEEESL_NS6_8equal_toIyEEEENSG_9not_fun_tINSD_8identityEEEEENSD_19counting_iterator_tIlEES8_S8_S8_S8_S8_S8_S8_S8_EEEEPS9_S9_NSD_9__find_if7functorIS9_EEEE10hipError_tPvRmT1_T2_T3_mT4_P12ihipStream_tbEUlT_E0_NS1_11comp_targetILNS1_3genE9ELNS1_11target_archE1100ELNS1_3gpuE3ELNS1_3repE0EEENS1_30default_config_static_selectorELNS0_4arch9wavefront6targetE1EEEvS14_
	.globl	_ZN7rocprim17ROCPRIM_400000_NS6detail17trampoline_kernelINS0_14default_configENS1_22reduce_config_selectorIN6thrust23THRUST_200600_302600_NS5tupleIblNS6_9null_typeES8_S8_S8_S8_S8_S8_S8_EEEEZNS1_11reduce_implILb1ES3_NS6_12zip_iteratorINS7_INS6_11hip_rocprim26transform_input_iterator_tIbNSD_35transform_pair_of_input_iterators_tIbNS6_6detail15normal_iteratorINS6_10device_ptrIKyEEEESL_NS6_8equal_toIyEEEENSG_9not_fun_tINSD_8identityEEEEENSD_19counting_iterator_tIlEES8_S8_S8_S8_S8_S8_S8_S8_EEEEPS9_S9_NSD_9__find_if7functorIS9_EEEE10hipError_tPvRmT1_T2_T3_mT4_P12ihipStream_tbEUlT_E0_NS1_11comp_targetILNS1_3genE9ELNS1_11target_archE1100ELNS1_3gpuE3ELNS1_3repE0EEENS1_30default_config_static_selectorELNS0_4arch9wavefront6targetE1EEEvS14_
	.p2align	8
	.type	_ZN7rocprim17ROCPRIM_400000_NS6detail17trampoline_kernelINS0_14default_configENS1_22reduce_config_selectorIN6thrust23THRUST_200600_302600_NS5tupleIblNS6_9null_typeES8_S8_S8_S8_S8_S8_S8_EEEEZNS1_11reduce_implILb1ES3_NS6_12zip_iteratorINS7_INS6_11hip_rocprim26transform_input_iterator_tIbNSD_35transform_pair_of_input_iterators_tIbNS6_6detail15normal_iteratorINS6_10device_ptrIKyEEEESL_NS6_8equal_toIyEEEENSG_9not_fun_tINSD_8identityEEEEENSD_19counting_iterator_tIlEES8_S8_S8_S8_S8_S8_S8_S8_EEEEPS9_S9_NSD_9__find_if7functorIS9_EEEE10hipError_tPvRmT1_T2_T3_mT4_P12ihipStream_tbEUlT_E0_NS1_11comp_targetILNS1_3genE9ELNS1_11target_archE1100ELNS1_3gpuE3ELNS1_3repE0EEENS1_30default_config_static_selectorELNS0_4arch9wavefront6targetE1EEEvS14_,@function
_ZN7rocprim17ROCPRIM_400000_NS6detail17trampoline_kernelINS0_14default_configENS1_22reduce_config_selectorIN6thrust23THRUST_200600_302600_NS5tupleIblNS6_9null_typeES8_S8_S8_S8_S8_S8_S8_EEEEZNS1_11reduce_implILb1ES3_NS6_12zip_iteratorINS7_INS6_11hip_rocprim26transform_input_iterator_tIbNSD_35transform_pair_of_input_iterators_tIbNS6_6detail15normal_iteratorINS6_10device_ptrIKyEEEESL_NS6_8equal_toIyEEEENSG_9not_fun_tINSD_8identityEEEEENSD_19counting_iterator_tIlEES8_S8_S8_S8_S8_S8_S8_S8_EEEEPS9_S9_NSD_9__find_if7functorIS9_EEEE10hipError_tPvRmT1_T2_T3_mT4_P12ihipStream_tbEUlT_E0_NS1_11comp_targetILNS1_3genE9ELNS1_11target_archE1100ELNS1_3gpuE3ELNS1_3repE0EEENS1_30default_config_static_selectorELNS0_4arch9wavefront6targetE1EEEvS14_: ; @_ZN7rocprim17ROCPRIM_400000_NS6detail17trampoline_kernelINS0_14default_configENS1_22reduce_config_selectorIN6thrust23THRUST_200600_302600_NS5tupleIblNS6_9null_typeES8_S8_S8_S8_S8_S8_S8_EEEEZNS1_11reduce_implILb1ES3_NS6_12zip_iteratorINS7_INS6_11hip_rocprim26transform_input_iterator_tIbNSD_35transform_pair_of_input_iterators_tIbNS6_6detail15normal_iteratorINS6_10device_ptrIKyEEEESL_NS6_8equal_toIyEEEENSG_9not_fun_tINSD_8identityEEEEENSD_19counting_iterator_tIlEES8_S8_S8_S8_S8_S8_S8_S8_EEEEPS9_S9_NSD_9__find_if7functorIS9_EEEE10hipError_tPvRmT1_T2_T3_mT4_P12ihipStream_tbEUlT_E0_NS1_11comp_targetILNS1_3genE9ELNS1_11target_archE1100ELNS1_3gpuE3ELNS1_3repE0EEENS1_30default_config_static_selectorELNS0_4arch9wavefront6targetE1EEEvS14_
; %bb.0:
	.section	.rodata,"a",@progbits
	.p2align	6, 0x0
	.amdhsa_kernel _ZN7rocprim17ROCPRIM_400000_NS6detail17trampoline_kernelINS0_14default_configENS1_22reduce_config_selectorIN6thrust23THRUST_200600_302600_NS5tupleIblNS6_9null_typeES8_S8_S8_S8_S8_S8_S8_EEEEZNS1_11reduce_implILb1ES3_NS6_12zip_iteratorINS7_INS6_11hip_rocprim26transform_input_iterator_tIbNSD_35transform_pair_of_input_iterators_tIbNS6_6detail15normal_iteratorINS6_10device_ptrIKyEEEESL_NS6_8equal_toIyEEEENSG_9not_fun_tINSD_8identityEEEEENSD_19counting_iterator_tIlEES8_S8_S8_S8_S8_S8_S8_S8_EEEEPS9_S9_NSD_9__find_if7functorIS9_EEEE10hipError_tPvRmT1_T2_T3_mT4_P12ihipStream_tbEUlT_E0_NS1_11comp_targetILNS1_3genE9ELNS1_11target_archE1100ELNS1_3gpuE3ELNS1_3repE0EEENS1_30default_config_static_selectorELNS0_4arch9wavefront6targetE1EEEvS14_
		.amdhsa_group_segment_fixed_size 0
		.amdhsa_private_segment_fixed_size 0
		.amdhsa_kernarg_size 104
		.amdhsa_user_sgpr_count 2
		.amdhsa_user_sgpr_dispatch_ptr 0
		.amdhsa_user_sgpr_queue_ptr 0
		.amdhsa_user_sgpr_kernarg_segment_ptr 1
		.amdhsa_user_sgpr_dispatch_id 0
		.amdhsa_user_sgpr_kernarg_preload_length 0
		.amdhsa_user_sgpr_kernarg_preload_offset 0
		.amdhsa_user_sgpr_private_segment_size 0
		.amdhsa_uses_dynamic_stack 0
		.amdhsa_enable_private_segment 0
		.amdhsa_system_sgpr_workgroup_id_x 1
		.amdhsa_system_sgpr_workgroup_id_y 0
		.amdhsa_system_sgpr_workgroup_id_z 0
		.amdhsa_system_sgpr_workgroup_info 0
		.amdhsa_system_vgpr_workitem_id 0
		.amdhsa_next_free_vgpr 1
		.amdhsa_next_free_sgpr 0
		.amdhsa_accum_offset 4
		.amdhsa_reserve_vcc 0
		.amdhsa_float_round_mode_32 0
		.amdhsa_float_round_mode_16_64 0
		.amdhsa_float_denorm_mode_32 3
		.amdhsa_float_denorm_mode_16_64 3
		.amdhsa_dx10_clamp 1
		.amdhsa_ieee_mode 1
		.amdhsa_fp16_overflow 0
		.amdhsa_tg_split 0
		.amdhsa_exception_fp_ieee_invalid_op 0
		.amdhsa_exception_fp_denorm_src 0
		.amdhsa_exception_fp_ieee_div_zero 0
		.amdhsa_exception_fp_ieee_overflow 0
		.amdhsa_exception_fp_ieee_underflow 0
		.amdhsa_exception_fp_ieee_inexact 0
		.amdhsa_exception_int_div_zero 0
	.end_amdhsa_kernel
	.section	.text._ZN7rocprim17ROCPRIM_400000_NS6detail17trampoline_kernelINS0_14default_configENS1_22reduce_config_selectorIN6thrust23THRUST_200600_302600_NS5tupleIblNS6_9null_typeES8_S8_S8_S8_S8_S8_S8_EEEEZNS1_11reduce_implILb1ES3_NS6_12zip_iteratorINS7_INS6_11hip_rocprim26transform_input_iterator_tIbNSD_35transform_pair_of_input_iterators_tIbNS6_6detail15normal_iteratorINS6_10device_ptrIKyEEEESL_NS6_8equal_toIyEEEENSG_9not_fun_tINSD_8identityEEEEENSD_19counting_iterator_tIlEES8_S8_S8_S8_S8_S8_S8_S8_EEEEPS9_S9_NSD_9__find_if7functorIS9_EEEE10hipError_tPvRmT1_T2_T3_mT4_P12ihipStream_tbEUlT_E0_NS1_11comp_targetILNS1_3genE9ELNS1_11target_archE1100ELNS1_3gpuE3ELNS1_3repE0EEENS1_30default_config_static_selectorELNS0_4arch9wavefront6targetE1EEEvS14_,"axG",@progbits,_ZN7rocprim17ROCPRIM_400000_NS6detail17trampoline_kernelINS0_14default_configENS1_22reduce_config_selectorIN6thrust23THRUST_200600_302600_NS5tupleIblNS6_9null_typeES8_S8_S8_S8_S8_S8_S8_EEEEZNS1_11reduce_implILb1ES3_NS6_12zip_iteratorINS7_INS6_11hip_rocprim26transform_input_iterator_tIbNSD_35transform_pair_of_input_iterators_tIbNS6_6detail15normal_iteratorINS6_10device_ptrIKyEEEESL_NS6_8equal_toIyEEEENSG_9not_fun_tINSD_8identityEEEEENSD_19counting_iterator_tIlEES8_S8_S8_S8_S8_S8_S8_S8_EEEEPS9_S9_NSD_9__find_if7functorIS9_EEEE10hipError_tPvRmT1_T2_T3_mT4_P12ihipStream_tbEUlT_E0_NS1_11comp_targetILNS1_3genE9ELNS1_11target_archE1100ELNS1_3gpuE3ELNS1_3repE0EEENS1_30default_config_static_selectorELNS0_4arch9wavefront6targetE1EEEvS14_,comdat
.Lfunc_end589:
	.size	_ZN7rocprim17ROCPRIM_400000_NS6detail17trampoline_kernelINS0_14default_configENS1_22reduce_config_selectorIN6thrust23THRUST_200600_302600_NS5tupleIblNS6_9null_typeES8_S8_S8_S8_S8_S8_S8_EEEEZNS1_11reduce_implILb1ES3_NS6_12zip_iteratorINS7_INS6_11hip_rocprim26transform_input_iterator_tIbNSD_35transform_pair_of_input_iterators_tIbNS6_6detail15normal_iteratorINS6_10device_ptrIKyEEEESL_NS6_8equal_toIyEEEENSG_9not_fun_tINSD_8identityEEEEENSD_19counting_iterator_tIlEES8_S8_S8_S8_S8_S8_S8_S8_EEEEPS9_S9_NSD_9__find_if7functorIS9_EEEE10hipError_tPvRmT1_T2_T3_mT4_P12ihipStream_tbEUlT_E0_NS1_11comp_targetILNS1_3genE9ELNS1_11target_archE1100ELNS1_3gpuE3ELNS1_3repE0EEENS1_30default_config_static_selectorELNS0_4arch9wavefront6targetE1EEEvS14_, .Lfunc_end589-_ZN7rocprim17ROCPRIM_400000_NS6detail17trampoline_kernelINS0_14default_configENS1_22reduce_config_selectorIN6thrust23THRUST_200600_302600_NS5tupleIblNS6_9null_typeES8_S8_S8_S8_S8_S8_S8_EEEEZNS1_11reduce_implILb1ES3_NS6_12zip_iteratorINS7_INS6_11hip_rocprim26transform_input_iterator_tIbNSD_35transform_pair_of_input_iterators_tIbNS6_6detail15normal_iteratorINS6_10device_ptrIKyEEEESL_NS6_8equal_toIyEEEENSG_9not_fun_tINSD_8identityEEEEENSD_19counting_iterator_tIlEES8_S8_S8_S8_S8_S8_S8_S8_EEEEPS9_S9_NSD_9__find_if7functorIS9_EEEE10hipError_tPvRmT1_T2_T3_mT4_P12ihipStream_tbEUlT_E0_NS1_11comp_targetILNS1_3genE9ELNS1_11target_archE1100ELNS1_3gpuE3ELNS1_3repE0EEENS1_30default_config_static_selectorELNS0_4arch9wavefront6targetE1EEEvS14_
                                        ; -- End function
	.set _ZN7rocprim17ROCPRIM_400000_NS6detail17trampoline_kernelINS0_14default_configENS1_22reduce_config_selectorIN6thrust23THRUST_200600_302600_NS5tupleIblNS6_9null_typeES8_S8_S8_S8_S8_S8_S8_EEEEZNS1_11reduce_implILb1ES3_NS6_12zip_iteratorINS7_INS6_11hip_rocprim26transform_input_iterator_tIbNSD_35transform_pair_of_input_iterators_tIbNS6_6detail15normal_iteratorINS6_10device_ptrIKyEEEESL_NS6_8equal_toIyEEEENSG_9not_fun_tINSD_8identityEEEEENSD_19counting_iterator_tIlEES8_S8_S8_S8_S8_S8_S8_S8_EEEEPS9_S9_NSD_9__find_if7functorIS9_EEEE10hipError_tPvRmT1_T2_T3_mT4_P12ihipStream_tbEUlT_E0_NS1_11comp_targetILNS1_3genE9ELNS1_11target_archE1100ELNS1_3gpuE3ELNS1_3repE0EEENS1_30default_config_static_selectorELNS0_4arch9wavefront6targetE1EEEvS14_.num_vgpr, 0
	.set _ZN7rocprim17ROCPRIM_400000_NS6detail17trampoline_kernelINS0_14default_configENS1_22reduce_config_selectorIN6thrust23THRUST_200600_302600_NS5tupleIblNS6_9null_typeES8_S8_S8_S8_S8_S8_S8_EEEEZNS1_11reduce_implILb1ES3_NS6_12zip_iteratorINS7_INS6_11hip_rocprim26transform_input_iterator_tIbNSD_35transform_pair_of_input_iterators_tIbNS6_6detail15normal_iteratorINS6_10device_ptrIKyEEEESL_NS6_8equal_toIyEEEENSG_9not_fun_tINSD_8identityEEEEENSD_19counting_iterator_tIlEES8_S8_S8_S8_S8_S8_S8_S8_EEEEPS9_S9_NSD_9__find_if7functorIS9_EEEE10hipError_tPvRmT1_T2_T3_mT4_P12ihipStream_tbEUlT_E0_NS1_11comp_targetILNS1_3genE9ELNS1_11target_archE1100ELNS1_3gpuE3ELNS1_3repE0EEENS1_30default_config_static_selectorELNS0_4arch9wavefront6targetE1EEEvS14_.num_agpr, 0
	.set _ZN7rocprim17ROCPRIM_400000_NS6detail17trampoline_kernelINS0_14default_configENS1_22reduce_config_selectorIN6thrust23THRUST_200600_302600_NS5tupleIblNS6_9null_typeES8_S8_S8_S8_S8_S8_S8_EEEEZNS1_11reduce_implILb1ES3_NS6_12zip_iteratorINS7_INS6_11hip_rocprim26transform_input_iterator_tIbNSD_35transform_pair_of_input_iterators_tIbNS6_6detail15normal_iteratorINS6_10device_ptrIKyEEEESL_NS6_8equal_toIyEEEENSG_9not_fun_tINSD_8identityEEEEENSD_19counting_iterator_tIlEES8_S8_S8_S8_S8_S8_S8_S8_EEEEPS9_S9_NSD_9__find_if7functorIS9_EEEE10hipError_tPvRmT1_T2_T3_mT4_P12ihipStream_tbEUlT_E0_NS1_11comp_targetILNS1_3genE9ELNS1_11target_archE1100ELNS1_3gpuE3ELNS1_3repE0EEENS1_30default_config_static_selectorELNS0_4arch9wavefront6targetE1EEEvS14_.numbered_sgpr, 0
	.set _ZN7rocprim17ROCPRIM_400000_NS6detail17trampoline_kernelINS0_14default_configENS1_22reduce_config_selectorIN6thrust23THRUST_200600_302600_NS5tupleIblNS6_9null_typeES8_S8_S8_S8_S8_S8_S8_EEEEZNS1_11reduce_implILb1ES3_NS6_12zip_iteratorINS7_INS6_11hip_rocprim26transform_input_iterator_tIbNSD_35transform_pair_of_input_iterators_tIbNS6_6detail15normal_iteratorINS6_10device_ptrIKyEEEESL_NS6_8equal_toIyEEEENSG_9not_fun_tINSD_8identityEEEEENSD_19counting_iterator_tIlEES8_S8_S8_S8_S8_S8_S8_S8_EEEEPS9_S9_NSD_9__find_if7functorIS9_EEEE10hipError_tPvRmT1_T2_T3_mT4_P12ihipStream_tbEUlT_E0_NS1_11comp_targetILNS1_3genE9ELNS1_11target_archE1100ELNS1_3gpuE3ELNS1_3repE0EEENS1_30default_config_static_selectorELNS0_4arch9wavefront6targetE1EEEvS14_.num_named_barrier, 0
	.set _ZN7rocprim17ROCPRIM_400000_NS6detail17trampoline_kernelINS0_14default_configENS1_22reduce_config_selectorIN6thrust23THRUST_200600_302600_NS5tupleIblNS6_9null_typeES8_S8_S8_S8_S8_S8_S8_EEEEZNS1_11reduce_implILb1ES3_NS6_12zip_iteratorINS7_INS6_11hip_rocprim26transform_input_iterator_tIbNSD_35transform_pair_of_input_iterators_tIbNS6_6detail15normal_iteratorINS6_10device_ptrIKyEEEESL_NS6_8equal_toIyEEEENSG_9not_fun_tINSD_8identityEEEEENSD_19counting_iterator_tIlEES8_S8_S8_S8_S8_S8_S8_S8_EEEEPS9_S9_NSD_9__find_if7functorIS9_EEEE10hipError_tPvRmT1_T2_T3_mT4_P12ihipStream_tbEUlT_E0_NS1_11comp_targetILNS1_3genE9ELNS1_11target_archE1100ELNS1_3gpuE3ELNS1_3repE0EEENS1_30default_config_static_selectorELNS0_4arch9wavefront6targetE1EEEvS14_.private_seg_size, 0
	.set _ZN7rocprim17ROCPRIM_400000_NS6detail17trampoline_kernelINS0_14default_configENS1_22reduce_config_selectorIN6thrust23THRUST_200600_302600_NS5tupleIblNS6_9null_typeES8_S8_S8_S8_S8_S8_S8_EEEEZNS1_11reduce_implILb1ES3_NS6_12zip_iteratorINS7_INS6_11hip_rocprim26transform_input_iterator_tIbNSD_35transform_pair_of_input_iterators_tIbNS6_6detail15normal_iteratorINS6_10device_ptrIKyEEEESL_NS6_8equal_toIyEEEENSG_9not_fun_tINSD_8identityEEEEENSD_19counting_iterator_tIlEES8_S8_S8_S8_S8_S8_S8_S8_EEEEPS9_S9_NSD_9__find_if7functorIS9_EEEE10hipError_tPvRmT1_T2_T3_mT4_P12ihipStream_tbEUlT_E0_NS1_11comp_targetILNS1_3genE9ELNS1_11target_archE1100ELNS1_3gpuE3ELNS1_3repE0EEENS1_30default_config_static_selectorELNS0_4arch9wavefront6targetE1EEEvS14_.uses_vcc, 0
	.set _ZN7rocprim17ROCPRIM_400000_NS6detail17trampoline_kernelINS0_14default_configENS1_22reduce_config_selectorIN6thrust23THRUST_200600_302600_NS5tupleIblNS6_9null_typeES8_S8_S8_S8_S8_S8_S8_EEEEZNS1_11reduce_implILb1ES3_NS6_12zip_iteratorINS7_INS6_11hip_rocprim26transform_input_iterator_tIbNSD_35transform_pair_of_input_iterators_tIbNS6_6detail15normal_iteratorINS6_10device_ptrIKyEEEESL_NS6_8equal_toIyEEEENSG_9not_fun_tINSD_8identityEEEEENSD_19counting_iterator_tIlEES8_S8_S8_S8_S8_S8_S8_S8_EEEEPS9_S9_NSD_9__find_if7functorIS9_EEEE10hipError_tPvRmT1_T2_T3_mT4_P12ihipStream_tbEUlT_E0_NS1_11comp_targetILNS1_3genE9ELNS1_11target_archE1100ELNS1_3gpuE3ELNS1_3repE0EEENS1_30default_config_static_selectorELNS0_4arch9wavefront6targetE1EEEvS14_.uses_flat_scratch, 0
	.set _ZN7rocprim17ROCPRIM_400000_NS6detail17trampoline_kernelINS0_14default_configENS1_22reduce_config_selectorIN6thrust23THRUST_200600_302600_NS5tupleIblNS6_9null_typeES8_S8_S8_S8_S8_S8_S8_EEEEZNS1_11reduce_implILb1ES3_NS6_12zip_iteratorINS7_INS6_11hip_rocprim26transform_input_iterator_tIbNSD_35transform_pair_of_input_iterators_tIbNS6_6detail15normal_iteratorINS6_10device_ptrIKyEEEESL_NS6_8equal_toIyEEEENSG_9not_fun_tINSD_8identityEEEEENSD_19counting_iterator_tIlEES8_S8_S8_S8_S8_S8_S8_S8_EEEEPS9_S9_NSD_9__find_if7functorIS9_EEEE10hipError_tPvRmT1_T2_T3_mT4_P12ihipStream_tbEUlT_E0_NS1_11comp_targetILNS1_3genE9ELNS1_11target_archE1100ELNS1_3gpuE3ELNS1_3repE0EEENS1_30default_config_static_selectorELNS0_4arch9wavefront6targetE1EEEvS14_.has_dyn_sized_stack, 0
	.set _ZN7rocprim17ROCPRIM_400000_NS6detail17trampoline_kernelINS0_14default_configENS1_22reduce_config_selectorIN6thrust23THRUST_200600_302600_NS5tupleIblNS6_9null_typeES8_S8_S8_S8_S8_S8_S8_EEEEZNS1_11reduce_implILb1ES3_NS6_12zip_iteratorINS7_INS6_11hip_rocprim26transform_input_iterator_tIbNSD_35transform_pair_of_input_iterators_tIbNS6_6detail15normal_iteratorINS6_10device_ptrIKyEEEESL_NS6_8equal_toIyEEEENSG_9not_fun_tINSD_8identityEEEEENSD_19counting_iterator_tIlEES8_S8_S8_S8_S8_S8_S8_S8_EEEEPS9_S9_NSD_9__find_if7functorIS9_EEEE10hipError_tPvRmT1_T2_T3_mT4_P12ihipStream_tbEUlT_E0_NS1_11comp_targetILNS1_3genE9ELNS1_11target_archE1100ELNS1_3gpuE3ELNS1_3repE0EEENS1_30default_config_static_selectorELNS0_4arch9wavefront6targetE1EEEvS14_.has_recursion, 0
	.set _ZN7rocprim17ROCPRIM_400000_NS6detail17trampoline_kernelINS0_14default_configENS1_22reduce_config_selectorIN6thrust23THRUST_200600_302600_NS5tupleIblNS6_9null_typeES8_S8_S8_S8_S8_S8_S8_EEEEZNS1_11reduce_implILb1ES3_NS6_12zip_iteratorINS7_INS6_11hip_rocprim26transform_input_iterator_tIbNSD_35transform_pair_of_input_iterators_tIbNS6_6detail15normal_iteratorINS6_10device_ptrIKyEEEESL_NS6_8equal_toIyEEEENSG_9not_fun_tINSD_8identityEEEEENSD_19counting_iterator_tIlEES8_S8_S8_S8_S8_S8_S8_S8_EEEEPS9_S9_NSD_9__find_if7functorIS9_EEEE10hipError_tPvRmT1_T2_T3_mT4_P12ihipStream_tbEUlT_E0_NS1_11comp_targetILNS1_3genE9ELNS1_11target_archE1100ELNS1_3gpuE3ELNS1_3repE0EEENS1_30default_config_static_selectorELNS0_4arch9wavefront6targetE1EEEvS14_.has_indirect_call, 0
	.section	.AMDGPU.csdata,"",@progbits
; Kernel info:
; codeLenInByte = 0
; TotalNumSgprs: 6
; NumVgprs: 0
; NumAgprs: 0
; TotalNumVgprs: 0
; ScratchSize: 0
; MemoryBound: 0
; FloatMode: 240
; IeeeMode: 1
; LDSByteSize: 0 bytes/workgroup (compile time only)
; SGPRBlocks: 0
; VGPRBlocks: 0
; NumSGPRsForWavesPerEU: 6
; NumVGPRsForWavesPerEU: 1
; AccumOffset: 4
; Occupancy: 8
; WaveLimiterHint : 0
; COMPUTE_PGM_RSRC2:SCRATCH_EN: 0
; COMPUTE_PGM_RSRC2:USER_SGPR: 2
; COMPUTE_PGM_RSRC2:TRAP_HANDLER: 0
; COMPUTE_PGM_RSRC2:TGID_X_EN: 1
; COMPUTE_PGM_RSRC2:TGID_Y_EN: 0
; COMPUTE_PGM_RSRC2:TGID_Z_EN: 0
; COMPUTE_PGM_RSRC2:TIDIG_COMP_CNT: 0
; COMPUTE_PGM_RSRC3_GFX90A:ACCUM_OFFSET: 0
; COMPUTE_PGM_RSRC3_GFX90A:TG_SPLIT: 0
	.section	.text._ZN7rocprim17ROCPRIM_400000_NS6detail17trampoline_kernelINS0_14default_configENS1_22reduce_config_selectorIN6thrust23THRUST_200600_302600_NS5tupleIblNS6_9null_typeES8_S8_S8_S8_S8_S8_S8_EEEEZNS1_11reduce_implILb1ES3_NS6_12zip_iteratorINS7_INS6_11hip_rocprim26transform_input_iterator_tIbNSD_35transform_pair_of_input_iterators_tIbNS6_6detail15normal_iteratorINS6_10device_ptrIKyEEEESL_NS6_8equal_toIyEEEENSG_9not_fun_tINSD_8identityEEEEENSD_19counting_iterator_tIlEES8_S8_S8_S8_S8_S8_S8_S8_EEEEPS9_S9_NSD_9__find_if7functorIS9_EEEE10hipError_tPvRmT1_T2_T3_mT4_P12ihipStream_tbEUlT_E0_NS1_11comp_targetILNS1_3genE8ELNS1_11target_archE1030ELNS1_3gpuE2ELNS1_3repE0EEENS1_30default_config_static_selectorELNS0_4arch9wavefront6targetE1EEEvS14_,"axG",@progbits,_ZN7rocprim17ROCPRIM_400000_NS6detail17trampoline_kernelINS0_14default_configENS1_22reduce_config_selectorIN6thrust23THRUST_200600_302600_NS5tupleIblNS6_9null_typeES8_S8_S8_S8_S8_S8_S8_EEEEZNS1_11reduce_implILb1ES3_NS6_12zip_iteratorINS7_INS6_11hip_rocprim26transform_input_iterator_tIbNSD_35transform_pair_of_input_iterators_tIbNS6_6detail15normal_iteratorINS6_10device_ptrIKyEEEESL_NS6_8equal_toIyEEEENSG_9not_fun_tINSD_8identityEEEEENSD_19counting_iterator_tIlEES8_S8_S8_S8_S8_S8_S8_S8_EEEEPS9_S9_NSD_9__find_if7functorIS9_EEEE10hipError_tPvRmT1_T2_T3_mT4_P12ihipStream_tbEUlT_E0_NS1_11comp_targetILNS1_3genE8ELNS1_11target_archE1030ELNS1_3gpuE2ELNS1_3repE0EEENS1_30default_config_static_selectorELNS0_4arch9wavefront6targetE1EEEvS14_,comdat
	.protected	_ZN7rocprim17ROCPRIM_400000_NS6detail17trampoline_kernelINS0_14default_configENS1_22reduce_config_selectorIN6thrust23THRUST_200600_302600_NS5tupleIblNS6_9null_typeES8_S8_S8_S8_S8_S8_S8_EEEEZNS1_11reduce_implILb1ES3_NS6_12zip_iteratorINS7_INS6_11hip_rocprim26transform_input_iterator_tIbNSD_35transform_pair_of_input_iterators_tIbNS6_6detail15normal_iteratorINS6_10device_ptrIKyEEEESL_NS6_8equal_toIyEEEENSG_9not_fun_tINSD_8identityEEEEENSD_19counting_iterator_tIlEES8_S8_S8_S8_S8_S8_S8_S8_EEEEPS9_S9_NSD_9__find_if7functorIS9_EEEE10hipError_tPvRmT1_T2_T3_mT4_P12ihipStream_tbEUlT_E0_NS1_11comp_targetILNS1_3genE8ELNS1_11target_archE1030ELNS1_3gpuE2ELNS1_3repE0EEENS1_30default_config_static_selectorELNS0_4arch9wavefront6targetE1EEEvS14_ ; -- Begin function _ZN7rocprim17ROCPRIM_400000_NS6detail17trampoline_kernelINS0_14default_configENS1_22reduce_config_selectorIN6thrust23THRUST_200600_302600_NS5tupleIblNS6_9null_typeES8_S8_S8_S8_S8_S8_S8_EEEEZNS1_11reduce_implILb1ES3_NS6_12zip_iteratorINS7_INS6_11hip_rocprim26transform_input_iterator_tIbNSD_35transform_pair_of_input_iterators_tIbNS6_6detail15normal_iteratorINS6_10device_ptrIKyEEEESL_NS6_8equal_toIyEEEENSG_9not_fun_tINSD_8identityEEEEENSD_19counting_iterator_tIlEES8_S8_S8_S8_S8_S8_S8_S8_EEEEPS9_S9_NSD_9__find_if7functorIS9_EEEE10hipError_tPvRmT1_T2_T3_mT4_P12ihipStream_tbEUlT_E0_NS1_11comp_targetILNS1_3genE8ELNS1_11target_archE1030ELNS1_3gpuE2ELNS1_3repE0EEENS1_30default_config_static_selectorELNS0_4arch9wavefront6targetE1EEEvS14_
	.globl	_ZN7rocprim17ROCPRIM_400000_NS6detail17trampoline_kernelINS0_14default_configENS1_22reduce_config_selectorIN6thrust23THRUST_200600_302600_NS5tupleIblNS6_9null_typeES8_S8_S8_S8_S8_S8_S8_EEEEZNS1_11reduce_implILb1ES3_NS6_12zip_iteratorINS7_INS6_11hip_rocprim26transform_input_iterator_tIbNSD_35transform_pair_of_input_iterators_tIbNS6_6detail15normal_iteratorINS6_10device_ptrIKyEEEESL_NS6_8equal_toIyEEEENSG_9not_fun_tINSD_8identityEEEEENSD_19counting_iterator_tIlEES8_S8_S8_S8_S8_S8_S8_S8_EEEEPS9_S9_NSD_9__find_if7functorIS9_EEEE10hipError_tPvRmT1_T2_T3_mT4_P12ihipStream_tbEUlT_E0_NS1_11comp_targetILNS1_3genE8ELNS1_11target_archE1030ELNS1_3gpuE2ELNS1_3repE0EEENS1_30default_config_static_selectorELNS0_4arch9wavefront6targetE1EEEvS14_
	.p2align	8
	.type	_ZN7rocprim17ROCPRIM_400000_NS6detail17trampoline_kernelINS0_14default_configENS1_22reduce_config_selectorIN6thrust23THRUST_200600_302600_NS5tupleIblNS6_9null_typeES8_S8_S8_S8_S8_S8_S8_EEEEZNS1_11reduce_implILb1ES3_NS6_12zip_iteratorINS7_INS6_11hip_rocprim26transform_input_iterator_tIbNSD_35transform_pair_of_input_iterators_tIbNS6_6detail15normal_iteratorINS6_10device_ptrIKyEEEESL_NS6_8equal_toIyEEEENSG_9not_fun_tINSD_8identityEEEEENSD_19counting_iterator_tIlEES8_S8_S8_S8_S8_S8_S8_S8_EEEEPS9_S9_NSD_9__find_if7functorIS9_EEEE10hipError_tPvRmT1_T2_T3_mT4_P12ihipStream_tbEUlT_E0_NS1_11comp_targetILNS1_3genE8ELNS1_11target_archE1030ELNS1_3gpuE2ELNS1_3repE0EEENS1_30default_config_static_selectorELNS0_4arch9wavefront6targetE1EEEvS14_,@function
_ZN7rocprim17ROCPRIM_400000_NS6detail17trampoline_kernelINS0_14default_configENS1_22reduce_config_selectorIN6thrust23THRUST_200600_302600_NS5tupleIblNS6_9null_typeES8_S8_S8_S8_S8_S8_S8_EEEEZNS1_11reduce_implILb1ES3_NS6_12zip_iteratorINS7_INS6_11hip_rocprim26transform_input_iterator_tIbNSD_35transform_pair_of_input_iterators_tIbNS6_6detail15normal_iteratorINS6_10device_ptrIKyEEEESL_NS6_8equal_toIyEEEENSG_9not_fun_tINSD_8identityEEEEENSD_19counting_iterator_tIlEES8_S8_S8_S8_S8_S8_S8_S8_EEEEPS9_S9_NSD_9__find_if7functorIS9_EEEE10hipError_tPvRmT1_T2_T3_mT4_P12ihipStream_tbEUlT_E0_NS1_11comp_targetILNS1_3genE8ELNS1_11target_archE1030ELNS1_3gpuE2ELNS1_3repE0EEENS1_30default_config_static_selectorELNS0_4arch9wavefront6targetE1EEEvS14_: ; @_ZN7rocprim17ROCPRIM_400000_NS6detail17trampoline_kernelINS0_14default_configENS1_22reduce_config_selectorIN6thrust23THRUST_200600_302600_NS5tupleIblNS6_9null_typeES8_S8_S8_S8_S8_S8_S8_EEEEZNS1_11reduce_implILb1ES3_NS6_12zip_iteratorINS7_INS6_11hip_rocprim26transform_input_iterator_tIbNSD_35transform_pair_of_input_iterators_tIbNS6_6detail15normal_iteratorINS6_10device_ptrIKyEEEESL_NS6_8equal_toIyEEEENSG_9not_fun_tINSD_8identityEEEEENSD_19counting_iterator_tIlEES8_S8_S8_S8_S8_S8_S8_S8_EEEEPS9_S9_NSD_9__find_if7functorIS9_EEEE10hipError_tPvRmT1_T2_T3_mT4_P12ihipStream_tbEUlT_E0_NS1_11comp_targetILNS1_3genE8ELNS1_11target_archE1030ELNS1_3gpuE2ELNS1_3repE0EEENS1_30default_config_static_selectorELNS0_4arch9wavefront6targetE1EEEvS14_
; %bb.0:
	.section	.rodata,"a",@progbits
	.p2align	6, 0x0
	.amdhsa_kernel _ZN7rocprim17ROCPRIM_400000_NS6detail17trampoline_kernelINS0_14default_configENS1_22reduce_config_selectorIN6thrust23THRUST_200600_302600_NS5tupleIblNS6_9null_typeES8_S8_S8_S8_S8_S8_S8_EEEEZNS1_11reduce_implILb1ES3_NS6_12zip_iteratorINS7_INS6_11hip_rocprim26transform_input_iterator_tIbNSD_35transform_pair_of_input_iterators_tIbNS6_6detail15normal_iteratorINS6_10device_ptrIKyEEEESL_NS6_8equal_toIyEEEENSG_9not_fun_tINSD_8identityEEEEENSD_19counting_iterator_tIlEES8_S8_S8_S8_S8_S8_S8_S8_EEEEPS9_S9_NSD_9__find_if7functorIS9_EEEE10hipError_tPvRmT1_T2_T3_mT4_P12ihipStream_tbEUlT_E0_NS1_11comp_targetILNS1_3genE8ELNS1_11target_archE1030ELNS1_3gpuE2ELNS1_3repE0EEENS1_30default_config_static_selectorELNS0_4arch9wavefront6targetE1EEEvS14_
		.amdhsa_group_segment_fixed_size 0
		.amdhsa_private_segment_fixed_size 0
		.amdhsa_kernarg_size 104
		.amdhsa_user_sgpr_count 2
		.amdhsa_user_sgpr_dispatch_ptr 0
		.amdhsa_user_sgpr_queue_ptr 0
		.amdhsa_user_sgpr_kernarg_segment_ptr 1
		.amdhsa_user_sgpr_dispatch_id 0
		.amdhsa_user_sgpr_kernarg_preload_length 0
		.amdhsa_user_sgpr_kernarg_preload_offset 0
		.amdhsa_user_sgpr_private_segment_size 0
		.amdhsa_uses_dynamic_stack 0
		.amdhsa_enable_private_segment 0
		.amdhsa_system_sgpr_workgroup_id_x 1
		.amdhsa_system_sgpr_workgroup_id_y 0
		.amdhsa_system_sgpr_workgroup_id_z 0
		.amdhsa_system_sgpr_workgroup_info 0
		.amdhsa_system_vgpr_workitem_id 0
		.amdhsa_next_free_vgpr 1
		.amdhsa_next_free_sgpr 0
		.amdhsa_accum_offset 4
		.amdhsa_reserve_vcc 0
		.amdhsa_float_round_mode_32 0
		.amdhsa_float_round_mode_16_64 0
		.amdhsa_float_denorm_mode_32 3
		.amdhsa_float_denorm_mode_16_64 3
		.amdhsa_dx10_clamp 1
		.amdhsa_ieee_mode 1
		.amdhsa_fp16_overflow 0
		.amdhsa_tg_split 0
		.amdhsa_exception_fp_ieee_invalid_op 0
		.amdhsa_exception_fp_denorm_src 0
		.amdhsa_exception_fp_ieee_div_zero 0
		.amdhsa_exception_fp_ieee_overflow 0
		.amdhsa_exception_fp_ieee_underflow 0
		.amdhsa_exception_fp_ieee_inexact 0
		.amdhsa_exception_int_div_zero 0
	.end_amdhsa_kernel
	.section	.text._ZN7rocprim17ROCPRIM_400000_NS6detail17trampoline_kernelINS0_14default_configENS1_22reduce_config_selectorIN6thrust23THRUST_200600_302600_NS5tupleIblNS6_9null_typeES8_S8_S8_S8_S8_S8_S8_EEEEZNS1_11reduce_implILb1ES3_NS6_12zip_iteratorINS7_INS6_11hip_rocprim26transform_input_iterator_tIbNSD_35transform_pair_of_input_iterators_tIbNS6_6detail15normal_iteratorINS6_10device_ptrIKyEEEESL_NS6_8equal_toIyEEEENSG_9not_fun_tINSD_8identityEEEEENSD_19counting_iterator_tIlEES8_S8_S8_S8_S8_S8_S8_S8_EEEEPS9_S9_NSD_9__find_if7functorIS9_EEEE10hipError_tPvRmT1_T2_T3_mT4_P12ihipStream_tbEUlT_E0_NS1_11comp_targetILNS1_3genE8ELNS1_11target_archE1030ELNS1_3gpuE2ELNS1_3repE0EEENS1_30default_config_static_selectorELNS0_4arch9wavefront6targetE1EEEvS14_,"axG",@progbits,_ZN7rocprim17ROCPRIM_400000_NS6detail17trampoline_kernelINS0_14default_configENS1_22reduce_config_selectorIN6thrust23THRUST_200600_302600_NS5tupleIblNS6_9null_typeES8_S8_S8_S8_S8_S8_S8_EEEEZNS1_11reduce_implILb1ES3_NS6_12zip_iteratorINS7_INS6_11hip_rocprim26transform_input_iterator_tIbNSD_35transform_pair_of_input_iterators_tIbNS6_6detail15normal_iteratorINS6_10device_ptrIKyEEEESL_NS6_8equal_toIyEEEENSG_9not_fun_tINSD_8identityEEEEENSD_19counting_iterator_tIlEES8_S8_S8_S8_S8_S8_S8_S8_EEEEPS9_S9_NSD_9__find_if7functorIS9_EEEE10hipError_tPvRmT1_T2_T3_mT4_P12ihipStream_tbEUlT_E0_NS1_11comp_targetILNS1_3genE8ELNS1_11target_archE1030ELNS1_3gpuE2ELNS1_3repE0EEENS1_30default_config_static_selectorELNS0_4arch9wavefront6targetE1EEEvS14_,comdat
.Lfunc_end590:
	.size	_ZN7rocprim17ROCPRIM_400000_NS6detail17trampoline_kernelINS0_14default_configENS1_22reduce_config_selectorIN6thrust23THRUST_200600_302600_NS5tupleIblNS6_9null_typeES8_S8_S8_S8_S8_S8_S8_EEEEZNS1_11reduce_implILb1ES3_NS6_12zip_iteratorINS7_INS6_11hip_rocprim26transform_input_iterator_tIbNSD_35transform_pair_of_input_iterators_tIbNS6_6detail15normal_iteratorINS6_10device_ptrIKyEEEESL_NS6_8equal_toIyEEEENSG_9not_fun_tINSD_8identityEEEEENSD_19counting_iterator_tIlEES8_S8_S8_S8_S8_S8_S8_S8_EEEEPS9_S9_NSD_9__find_if7functorIS9_EEEE10hipError_tPvRmT1_T2_T3_mT4_P12ihipStream_tbEUlT_E0_NS1_11comp_targetILNS1_3genE8ELNS1_11target_archE1030ELNS1_3gpuE2ELNS1_3repE0EEENS1_30default_config_static_selectorELNS0_4arch9wavefront6targetE1EEEvS14_, .Lfunc_end590-_ZN7rocprim17ROCPRIM_400000_NS6detail17trampoline_kernelINS0_14default_configENS1_22reduce_config_selectorIN6thrust23THRUST_200600_302600_NS5tupleIblNS6_9null_typeES8_S8_S8_S8_S8_S8_S8_EEEEZNS1_11reduce_implILb1ES3_NS6_12zip_iteratorINS7_INS6_11hip_rocprim26transform_input_iterator_tIbNSD_35transform_pair_of_input_iterators_tIbNS6_6detail15normal_iteratorINS6_10device_ptrIKyEEEESL_NS6_8equal_toIyEEEENSG_9not_fun_tINSD_8identityEEEEENSD_19counting_iterator_tIlEES8_S8_S8_S8_S8_S8_S8_S8_EEEEPS9_S9_NSD_9__find_if7functorIS9_EEEE10hipError_tPvRmT1_T2_T3_mT4_P12ihipStream_tbEUlT_E0_NS1_11comp_targetILNS1_3genE8ELNS1_11target_archE1030ELNS1_3gpuE2ELNS1_3repE0EEENS1_30default_config_static_selectorELNS0_4arch9wavefront6targetE1EEEvS14_
                                        ; -- End function
	.set _ZN7rocprim17ROCPRIM_400000_NS6detail17trampoline_kernelINS0_14default_configENS1_22reduce_config_selectorIN6thrust23THRUST_200600_302600_NS5tupleIblNS6_9null_typeES8_S8_S8_S8_S8_S8_S8_EEEEZNS1_11reduce_implILb1ES3_NS6_12zip_iteratorINS7_INS6_11hip_rocprim26transform_input_iterator_tIbNSD_35transform_pair_of_input_iterators_tIbNS6_6detail15normal_iteratorINS6_10device_ptrIKyEEEESL_NS6_8equal_toIyEEEENSG_9not_fun_tINSD_8identityEEEEENSD_19counting_iterator_tIlEES8_S8_S8_S8_S8_S8_S8_S8_EEEEPS9_S9_NSD_9__find_if7functorIS9_EEEE10hipError_tPvRmT1_T2_T3_mT4_P12ihipStream_tbEUlT_E0_NS1_11comp_targetILNS1_3genE8ELNS1_11target_archE1030ELNS1_3gpuE2ELNS1_3repE0EEENS1_30default_config_static_selectorELNS0_4arch9wavefront6targetE1EEEvS14_.num_vgpr, 0
	.set _ZN7rocprim17ROCPRIM_400000_NS6detail17trampoline_kernelINS0_14default_configENS1_22reduce_config_selectorIN6thrust23THRUST_200600_302600_NS5tupleIblNS6_9null_typeES8_S8_S8_S8_S8_S8_S8_EEEEZNS1_11reduce_implILb1ES3_NS6_12zip_iteratorINS7_INS6_11hip_rocprim26transform_input_iterator_tIbNSD_35transform_pair_of_input_iterators_tIbNS6_6detail15normal_iteratorINS6_10device_ptrIKyEEEESL_NS6_8equal_toIyEEEENSG_9not_fun_tINSD_8identityEEEEENSD_19counting_iterator_tIlEES8_S8_S8_S8_S8_S8_S8_S8_EEEEPS9_S9_NSD_9__find_if7functorIS9_EEEE10hipError_tPvRmT1_T2_T3_mT4_P12ihipStream_tbEUlT_E0_NS1_11comp_targetILNS1_3genE8ELNS1_11target_archE1030ELNS1_3gpuE2ELNS1_3repE0EEENS1_30default_config_static_selectorELNS0_4arch9wavefront6targetE1EEEvS14_.num_agpr, 0
	.set _ZN7rocprim17ROCPRIM_400000_NS6detail17trampoline_kernelINS0_14default_configENS1_22reduce_config_selectorIN6thrust23THRUST_200600_302600_NS5tupleIblNS6_9null_typeES8_S8_S8_S8_S8_S8_S8_EEEEZNS1_11reduce_implILb1ES3_NS6_12zip_iteratorINS7_INS6_11hip_rocprim26transform_input_iterator_tIbNSD_35transform_pair_of_input_iterators_tIbNS6_6detail15normal_iteratorINS6_10device_ptrIKyEEEESL_NS6_8equal_toIyEEEENSG_9not_fun_tINSD_8identityEEEEENSD_19counting_iterator_tIlEES8_S8_S8_S8_S8_S8_S8_S8_EEEEPS9_S9_NSD_9__find_if7functorIS9_EEEE10hipError_tPvRmT1_T2_T3_mT4_P12ihipStream_tbEUlT_E0_NS1_11comp_targetILNS1_3genE8ELNS1_11target_archE1030ELNS1_3gpuE2ELNS1_3repE0EEENS1_30default_config_static_selectorELNS0_4arch9wavefront6targetE1EEEvS14_.numbered_sgpr, 0
	.set _ZN7rocprim17ROCPRIM_400000_NS6detail17trampoline_kernelINS0_14default_configENS1_22reduce_config_selectorIN6thrust23THRUST_200600_302600_NS5tupleIblNS6_9null_typeES8_S8_S8_S8_S8_S8_S8_EEEEZNS1_11reduce_implILb1ES3_NS6_12zip_iteratorINS7_INS6_11hip_rocprim26transform_input_iterator_tIbNSD_35transform_pair_of_input_iterators_tIbNS6_6detail15normal_iteratorINS6_10device_ptrIKyEEEESL_NS6_8equal_toIyEEEENSG_9not_fun_tINSD_8identityEEEEENSD_19counting_iterator_tIlEES8_S8_S8_S8_S8_S8_S8_S8_EEEEPS9_S9_NSD_9__find_if7functorIS9_EEEE10hipError_tPvRmT1_T2_T3_mT4_P12ihipStream_tbEUlT_E0_NS1_11comp_targetILNS1_3genE8ELNS1_11target_archE1030ELNS1_3gpuE2ELNS1_3repE0EEENS1_30default_config_static_selectorELNS0_4arch9wavefront6targetE1EEEvS14_.num_named_barrier, 0
	.set _ZN7rocprim17ROCPRIM_400000_NS6detail17trampoline_kernelINS0_14default_configENS1_22reduce_config_selectorIN6thrust23THRUST_200600_302600_NS5tupleIblNS6_9null_typeES8_S8_S8_S8_S8_S8_S8_EEEEZNS1_11reduce_implILb1ES3_NS6_12zip_iteratorINS7_INS6_11hip_rocprim26transform_input_iterator_tIbNSD_35transform_pair_of_input_iterators_tIbNS6_6detail15normal_iteratorINS6_10device_ptrIKyEEEESL_NS6_8equal_toIyEEEENSG_9not_fun_tINSD_8identityEEEEENSD_19counting_iterator_tIlEES8_S8_S8_S8_S8_S8_S8_S8_EEEEPS9_S9_NSD_9__find_if7functorIS9_EEEE10hipError_tPvRmT1_T2_T3_mT4_P12ihipStream_tbEUlT_E0_NS1_11comp_targetILNS1_3genE8ELNS1_11target_archE1030ELNS1_3gpuE2ELNS1_3repE0EEENS1_30default_config_static_selectorELNS0_4arch9wavefront6targetE1EEEvS14_.private_seg_size, 0
	.set _ZN7rocprim17ROCPRIM_400000_NS6detail17trampoline_kernelINS0_14default_configENS1_22reduce_config_selectorIN6thrust23THRUST_200600_302600_NS5tupleIblNS6_9null_typeES8_S8_S8_S8_S8_S8_S8_EEEEZNS1_11reduce_implILb1ES3_NS6_12zip_iteratorINS7_INS6_11hip_rocprim26transform_input_iterator_tIbNSD_35transform_pair_of_input_iterators_tIbNS6_6detail15normal_iteratorINS6_10device_ptrIKyEEEESL_NS6_8equal_toIyEEEENSG_9not_fun_tINSD_8identityEEEEENSD_19counting_iterator_tIlEES8_S8_S8_S8_S8_S8_S8_S8_EEEEPS9_S9_NSD_9__find_if7functorIS9_EEEE10hipError_tPvRmT1_T2_T3_mT4_P12ihipStream_tbEUlT_E0_NS1_11comp_targetILNS1_3genE8ELNS1_11target_archE1030ELNS1_3gpuE2ELNS1_3repE0EEENS1_30default_config_static_selectorELNS0_4arch9wavefront6targetE1EEEvS14_.uses_vcc, 0
	.set _ZN7rocprim17ROCPRIM_400000_NS6detail17trampoline_kernelINS0_14default_configENS1_22reduce_config_selectorIN6thrust23THRUST_200600_302600_NS5tupleIblNS6_9null_typeES8_S8_S8_S8_S8_S8_S8_EEEEZNS1_11reduce_implILb1ES3_NS6_12zip_iteratorINS7_INS6_11hip_rocprim26transform_input_iterator_tIbNSD_35transform_pair_of_input_iterators_tIbNS6_6detail15normal_iteratorINS6_10device_ptrIKyEEEESL_NS6_8equal_toIyEEEENSG_9not_fun_tINSD_8identityEEEEENSD_19counting_iterator_tIlEES8_S8_S8_S8_S8_S8_S8_S8_EEEEPS9_S9_NSD_9__find_if7functorIS9_EEEE10hipError_tPvRmT1_T2_T3_mT4_P12ihipStream_tbEUlT_E0_NS1_11comp_targetILNS1_3genE8ELNS1_11target_archE1030ELNS1_3gpuE2ELNS1_3repE0EEENS1_30default_config_static_selectorELNS0_4arch9wavefront6targetE1EEEvS14_.uses_flat_scratch, 0
	.set _ZN7rocprim17ROCPRIM_400000_NS6detail17trampoline_kernelINS0_14default_configENS1_22reduce_config_selectorIN6thrust23THRUST_200600_302600_NS5tupleIblNS6_9null_typeES8_S8_S8_S8_S8_S8_S8_EEEEZNS1_11reduce_implILb1ES3_NS6_12zip_iteratorINS7_INS6_11hip_rocprim26transform_input_iterator_tIbNSD_35transform_pair_of_input_iterators_tIbNS6_6detail15normal_iteratorINS6_10device_ptrIKyEEEESL_NS6_8equal_toIyEEEENSG_9not_fun_tINSD_8identityEEEEENSD_19counting_iterator_tIlEES8_S8_S8_S8_S8_S8_S8_S8_EEEEPS9_S9_NSD_9__find_if7functorIS9_EEEE10hipError_tPvRmT1_T2_T3_mT4_P12ihipStream_tbEUlT_E0_NS1_11comp_targetILNS1_3genE8ELNS1_11target_archE1030ELNS1_3gpuE2ELNS1_3repE0EEENS1_30default_config_static_selectorELNS0_4arch9wavefront6targetE1EEEvS14_.has_dyn_sized_stack, 0
	.set _ZN7rocprim17ROCPRIM_400000_NS6detail17trampoline_kernelINS0_14default_configENS1_22reduce_config_selectorIN6thrust23THRUST_200600_302600_NS5tupleIblNS6_9null_typeES8_S8_S8_S8_S8_S8_S8_EEEEZNS1_11reduce_implILb1ES3_NS6_12zip_iteratorINS7_INS6_11hip_rocprim26transform_input_iterator_tIbNSD_35transform_pair_of_input_iterators_tIbNS6_6detail15normal_iteratorINS6_10device_ptrIKyEEEESL_NS6_8equal_toIyEEEENSG_9not_fun_tINSD_8identityEEEEENSD_19counting_iterator_tIlEES8_S8_S8_S8_S8_S8_S8_S8_EEEEPS9_S9_NSD_9__find_if7functorIS9_EEEE10hipError_tPvRmT1_T2_T3_mT4_P12ihipStream_tbEUlT_E0_NS1_11comp_targetILNS1_3genE8ELNS1_11target_archE1030ELNS1_3gpuE2ELNS1_3repE0EEENS1_30default_config_static_selectorELNS0_4arch9wavefront6targetE1EEEvS14_.has_recursion, 0
	.set _ZN7rocprim17ROCPRIM_400000_NS6detail17trampoline_kernelINS0_14default_configENS1_22reduce_config_selectorIN6thrust23THRUST_200600_302600_NS5tupleIblNS6_9null_typeES8_S8_S8_S8_S8_S8_S8_EEEEZNS1_11reduce_implILb1ES3_NS6_12zip_iteratorINS7_INS6_11hip_rocprim26transform_input_iterator_tIbNSD_35transform_pair_of_input_iterators_tIbNS6_6detail15normal_iteratorINS6_10device_ptrIKyEEEESL_NS6_8equal_toIyEEEENSG_9not_fun_tINSD_8identityEEEEENSD_19counting_iterator_tIlEES8_S8_S8_S8_S8_S8_S8_S8_EEEEPS9_S9_NSD_9__find_if7functorIS9_EEEE10hipError_tPvRmT1_T2_T3_mT4_P12ihipStream_tbEUlT_E0_NS1_11comp_targetILNS1_3genE8ELNS1_11target_archE1030ELNS1_3gpuE2ELNS1_3repE0EEENS1_30default_config_static_selectorELNS0_4arch9wavefront6targetE1EEEvS14_.has_indirect_call, 0
	.section	.AMDGPU.csdata,"",@progbits
; Kernel info:
; codeLenInByte = 0
; TotalNumSgprs: 6
; NumVgprs: 0
; NumAgprs: 0
; TotalNumVgprs: 0
; ScratchSize: 0
; MemoryBound: 0
; FloatMode: 240
; IeeeMode: 1
; LDSByteSize: 0 bytes/workgroup (compile time only)
; SGPRBlocks: 0
; VGPRBlocks: 0
; NumSGPRsForWavesPerEU: 6
; NumVGPRsForWavesPerEU: 1
; AccumOffset: 4
; Occupancy: 8
; WaveLimiterHint : 0
; COMPUTE_PGM_RSRC2:SCRATCH_EN: 0
; COMPUTE_PGM_RSRC2:USER_SGPR: 2
; COMPUTE_PGM_RSRC2:TRAP_HANDLER: 0
; COMPUTE_PGM_RSRC2:TGID_X_EN: 1
; COMPUTE_PGM_RSRC2:TGID_Y_EN: 0
; COMPUTE_PGM_RSRC2:TGID_Z_EN: 0
; COMPUTE_PGM_RSRC2:TIDIG_COMP_CNT: 0
; COMPUTE_PGM_RSRC3_GFX90A:ACCUM_OFFSET: 0
; COMPUTE_PGM_RSRC3_GFX90A:TG_SPLIT: 0
	.section	.text._ZN7rocprim17ROCPRIM_400000_NS6detail17trampoline_kernelINS0_14default_configENS1_22reduce_config_selectorIN6thrust23THRUST_200600_302600_NS5tupleIblNS6_9null_typeES8_S8_S8_S8_S8_S8_S8_EEEEZNS1_11reduce_implILb1ES3_NS6_12zip_iteratorINS7_INS6_11hip_rocprim26transform_input_iterator_tIbNSD_35transform_pair_of_input_iterators_tIbNS6_6detail15normal_iteratorINS6_10device_ptrIKyEEEESL_NS6_8equal_toIyEEEENSG_9not_fun_tINSD_8identityEEEEENSD_19counting_iterator_tIlEES8_S8_S8_S8_S8_S8_S8_S8_EEEEPS9_S9_NSD_9__find_if7functorIS9_EEEE10hipError_tPvRmT1_T2_T3_mT4_P12ihipStream_tbEUlT_E1_NS1_11comp_targetILNS1_3genE0ELNS1_11target_archE4294967295ELNS1_3gpuE0ELNS1_3repE0EEENS1_30default_config_static_selectorELNS0_4arch9wavefront6targetE1EEEvS14_,"axG",@progbits,_ZN7rocprim17ROCPRIM_400000_NS6detail17trampoline_kernelINS0_14default_configENS1_22reduce_config_selectorIN6thrust23THRUST_200600_302600_NS5tupleIblNS6_9null_typeES8_S8_S8_S8_S8_S8_S8_EEEEZNS1_11reduce_implILb1ES3_NS6_12zip_iteratorINS7_INS6_11hip_rocprim26transform_input_iterator_tIbNSD_35transform_pair_of_input_iterators_tIbNS6_6detail15normal_iteratorINS6_10device_ptrIKyEEEESL_NS6_8equal_toIyEEEENSG_9not_fun_tINSD_8identityEEEEENSD_19counting_iterator_tIlEES8_S8_S8_S8_S8_S8_S8_S8_EEEEPS9_S9_NSD_9__find_if7functorIS9_EEEE10hipError_tPvRmT1_T2_T3_mT4_P12ihipStream_tbEUlT_E1_NS1_11comp_targetILNS1_3genE0ELNS1_11target_archE4294967295ELNS1_3gpuE0ELNS1_3repE0EEENS1_30default_config_static_selectorELNS0_4arch9wavefront6targetE1EEEvS14_,comdat
	.protected	_ZN7rocprim17ROCPRIM_400000_NS6detail17trampoline_kernelINS0_14default_configENS1_22reduce_config_selectorIN6thrust23THRUST_200600_302600_NS5tupleIblNS6_9null_typeES8_S8_S8_S8_S8_S8_S8_EEEEZNS1_11reduce_implILb1ES3_NS6_12zip_iteratorINS7_INS6_11hip_rocprim26transform_input_iterator_tIbNSD_35transform_pair_of_input_iterators_tIbNS6_6detail15normal_iteratorINS6_10device_ptrIKyEEEESL_NS6_8equal_toIyEEEENSG_9not_fun_tINSD_8identityEEEEENSD_19counting_iterator_tIlEES8_S8_S8_S8_S8_S8_S8_S8_EEEEPS9_S9_NSD_9__find_if7functorIS9_EEEE10hipError_tPvRmT1_T2_T3_mT4_P12ihipStream_tbEUlT_E1_NS1_11comp_targetILNS1_3genE0ELNS1_11target_archE4294967295ELNS1_3gpuE0ELNS1_3repE0EEENS1_30default_config_static_selectorELNS0_4arch9wavefront6targetE1EEEvS14_ ; -- Begin function _ZN7rocprim17ROCPRIM_400000_NS6detail17trampoline_kernelINS0_14default_configENS1_22reduce_config_selectorIN6thrust23THRUST_200600_302600_NS5tupleIblNS6_9null_typeES8_S8_S8_S8_S8_S8_S8_EEEEZNS1_11reduce_implILb1ES3_NS6_12zip_iteratorINS7_INS6_11hip_rocprim26transform_input_iterator_tIbNSD_35transform_pair_of_input_iterators_tIbNS6_6detail15normal_iteratorINS6_10device_ptrIKyEEEESL_NS6_8equal_toIyEEEENSG_9not_fun_tINSD_8identityEEEEENSD_19counting_iterator_tIlEES8_S8_S8_S8_S8_S8_S8_S8_EEEEPS9_S9_NSD_9__find_if7functorIS9_EEEE10hipError_tPvRmT1_T2_T3_mT4_P12ihipStream_tbEUlT_E1_NS1_11comp_targetILNS1_3genE0ELNS1_11target_archE4294967295ELNS1_3gpuE0ELNS1_3repE0EEENS1_30default_config_static_selectorELNS0_4arch9wavefront6targetE1EEEvS14_
	.globl	_ZN7rocprim17ROCPRIM_400000_NS6detail17trampoline_kernelINS0_14default_configENS1_22reduce_config_selectorIN6thrust23THRUST_200600_302600_NS5tupleIblNS6_9null_typeES8_S8_S8_S8_S8_S8_S8_EEEEZNS1_11reduce_implILb1ES3_NS6_12zip_iteratorINS7_INS6_11hip_rocprim26transform_input_iterator_tIbNSD_35transform_pair_of_input_iterators_tIbNS6_6detail15normal_iteratorINS6_10device_ptrIKyEEEESL_NS6_8equal_toIyEEEENSG_9not_fun_tINSD_8identityEEEEENSD_19counting_iterator_tIlEES8_S8_S8_S8_S8_S8_S8_S8_EEEEPS9_S9_NSD_9__find_if7functorIS9_EEEE10hipError_tPvRmT1_T2_T3_mT4_P12ihipStream_tbEUlT_E1_NS1_11comp_targetILNS1_3genE0ELNS1_11target_archE4294967295ELNS1_3gpuE0ELNS1_3repE0EEENS1_30default_config_static_selectorELNS0_4arch9wavefront6targetE1EEEvS14_
	.p2align	8
	.type	_ZN7rocprim17ROCPRIM_400000_NS6detail17trampoline_kernelINS0_14default_configENS1_22reduce_config_selectorIN6thrust23THRUST_200600_302600_NS5tupleIblNS6_9null_typeES8_S8_S8_S8_S8_S8_S8_EEEEZNS1_11reduce_implILb1ES3_NS6_12zip_iteratorINS7_INS6_11hip_rocprim26transform_input_iterator_tIbNSD_35transform_pair_of_input_iterators_tIbNS6_6detail15normal_iteratorINS6_10device_ptrIKyEEEESL_NS6_8equal_toIyEEEENSG_9not_fun_tINSD_8identityEEEEENSD_19counting_iterator_tIlEES8_S8_S8_S8_S8_S8_S8_S8_EEEEPS9_S9_NSD_9__find_if7functorIS9_EEEE10hipError_tPvRmT1_T2_T3_mT4_P12ihipStream_tbEUlT_E1_NS1_11comp_targetILNS1_3genE0ELNS1_11target_archE4294967295ELNS1_3gpuE0ELNS1_3repE0EEENS1_30default_config_static_selectorELNS0_4arch9wavefront6targetE1EEEvS14_,@function
_ZN7rocprim17ROCPRIM_400000_NS6detail17trampoline_kernelINS0_14default_configENS1_22reduce_config_selectorIN6thrust23THRUST_200600_302600_NS5tupleIblNS6_9null_typeES8_S8_S8_S8_S8_S8_S8_EEEEZNS1_11reduce_implILb1ES3_NS6_12zip_iteratorINS7_INS6_11hip_rocprim26transform_input_iterator_tIbNSD_35transform_pair_of_input_iterators_tIbNS6_6detail15normal_iteratorINS6_10device_ptrIKyEEEESL_NS6_8equal_toIyEEEENSG_9not_fun_tINSD_8identityEEEEENSD_19counting_iterator_tIlEES8_S8_S8_S8_S8_S8_S8_S8_EEEEPS9_S9_NSD_9__find_if7functorIS9_EEEE10hipError_tPvRmT1_T2_T3_mT4_P12ihipStream_tbEUlT_E1_NS1_11comp_targetILNS1_3genE0ELNS1_11target_archE4294967295ELNS1_3gpuE0ELNS1_3repE0EEENS1_30default_config_static_selectorELNS0_4arch9wavefront6targetE1EEEvS14_: ; @_ZN7rocprim17ROCPRIM_400000_NS6detail17trampoline_kernelINS0_14default_configENS1_22reduce_config_selectorIN6thrust23THRUST_200600_302600_NS5tupleIblNS6_9null_typeES8_S8_S8_S8_S8_S8_S8_EEEEZNS1_11reduce_implILb1ES3_NS6_12zip_iteratorINS7_INS6_11hip_rocprim26transform_input_iterator_tIbNSD_35transform_pair_of_input_iterators_tIbNS6_6detail15normal_iteratorINS6_10device_ptrIKyEEEESL_NS6_8equal_toIyEEEENSG_9not_fun_tINSD_8identityEEEEENSD_19counting_iterator_tIlEES8_S8_S8_S8_S8_S8_S8_S8_EEEEPS9_S9_NSD_9__find_if7functorIS9_EEEE10hipError_tPvRmT1_T2_T3_mT4_P12ihipStream_tbEUlT_E1_NS1_11comp_targetILNS1_3genE0ELNS1_11target_archE4294967295ELNS1_3gpuE0ELNS1_3repE0EEENS1_30default_config_static_selectorELNS0_4arch9wavefront6targetE1EEEvS14_
; %bb.0:
	s_load_dword s38, s[0:1], 0x4
	s_load_dwordx4 s[24:27], s[0:1], 0x8
	s_load_dwordx4 s[20:23], s[0:1], 0x28
	s_load_dword s33, s[0:1], 0x40
	s_load_dwordx2 s[18:19], s[0:1], 0x48
	s_waitcnt lgkmcnt(0)
	s_cmp_lt_i32 s38, 4
	s_cbranch_scc1 .LBB591_13
; %bb.1:
	s_cmp_gt_i32 s38, 7
	s_cbranch_scc0 .LBB591_14
; %bb.2:
	s_cmp_eq_u32 s38, 8
	s_mov_b64 s[28:29], 0
	s_cbranch_scc0 .LBB591_15
; %bb.3:
	s_mov_b32 s3, 0
	s_lshl_b32 s12, s2, 10
	s_mov_b32 s13, s3
	s_lshr_b64 s[4:5], s[22:23], 10
	s_lshl_b64 s[6:7], s[12:13], 3
	s_add_u32 s16, s24, s6
	s_addc_u32 s17, s25, s7
	s_add_u32 s30, s26, s6
	s_addc_u32 s31, s27, s7
	;; [unrolled: 2-line block ×3, first 2 shown]
	s_cmp_lg_u64 s[4:5], s[2:3]
	s_cbranch_scc0 .LBB591_28
; %bb.4:
	v_mov_b32_e32 v1, 0
	v_lshlrev_b32_e32 v2, 3, v0
	v_mov_b32_e32 v3, v1
	v_lshl_add_u64 v[4:5], s[16:17], 0, v[2:3]
	s_movk_i32 s4, 0x1000
	v_lshl_add_u64 v[6:7], s[30:31], 0, v[2:3]
	global_load_dwordx2 v[8:9], v2, s[16:17]
	global_load_dwordx2 v[10:11], v2, s[16:17] offset:1024
	global_load_dwordx2 v[12:13], v2, s[16:17] offset:2048
	;; [unrolled: 1-line block ×3, first 2 shown]
	global_load_dwordx2 v[16:17], v2, s[30:31]
	global_load_dwordx2 v[18:19], v2, s[30:31] offset:1024
	global_load_dwordx2 v[20:21], v2, s[30:31] offset:2048
	;; [unrolled: 1-line block ×3, first 2 shown]
	v_add_co_u32_e32 v2, vcc, s4, v4
	v_mov_b32_e32 v38, 0x80
	s_nop 0
	v_addc_co_u32_e32 v3, vcc, 0, v5, vcc
	v_add_co_u32_e32 v4, vcc, s4, v6
	v_mov_b32_e32 v40, 0x200
	s_nop 0
	v_addc_co_u32_e32 v5, vcc, 0, v7, vcc
	global_load_dwordx2 v[6:7], v[4:5], off
	global_load_dwordx2 v[24:25], v[4:5], off offset:2048
	global_load_dwordx2 v[26:27], v[4:5], off offset:3072
	global_load_dwordx2 v[28:29], v[2:3], off
	global_load_dwordx2 v[30:31], v[2:3], off offset:2048
	global_load_dwordx2 v[32:33], v[2:3], off offset:3072
	;; [unrolled: 1-line block ×4, first 2 shown]
	v_mov_b32_e32 v5, 0x100
	v_mov_b32_e32 v41, 0x180
	v_lshl_add_u64 v[2:3], s[34:35], 0, v[0:1]
	v_mov_b32_e32 v39, v1
	v_mov_b32_e32 v42, 0x300
	;; [unrolled: 1-line block ×4, first 2 shown]
	v_mbcnt_lo_u32_b32 v4, -1, 0
	v_mbcnt_hi_u32_b32 v4, -1, v4
	s_waitcnt vmcnt(11)
	v_cmp_ne_u64_e64 s[8:9], v[8:9], v[16:17]
	s_waitcnt vmcnt(10)
	v_cmp_ne_u64_e64 s[4:5], v[10:11], v[18:19]
	s_waitcnt vmcnt(9)
	v_cmp_ne_u64_e32 vcc, v[12:13], v[20:21]
	s_waitcnt vmcnt(8)
	v_cmp_ne_u64_e64 s[6:7], v[14:15], v[22:23]
	v_cndmask_b32_e64 v1, v5, v38, s[4:5]
	s_or_b64 s[4:5], s[8:9], s[4:5]
	v_cndmask_b32_e64 v5, v40, v41, s[6:7]
	v_cndmask_b32_e64 v1, v1, 0, s[8:9]
	s_or_b64 vcc, s[4:5], vcc
	v_cndmask_b32_e32 v1, v5, v1, vcc
	s_waitcnt vmcnt(4)
	v_cmp_ne_u64_e64 s[4:5], v[28:29], v[6:7]
	s_or_b64 s[6:7], vcc, s[6:7]
	s_or_b64 s[4:5], s[6:7], s[4:5]
	s_waitcnt vmcnt(3)
	v_cmp_ne_u64_e64 s[8:9], v[30:31], v[24:25]
	s_waitcnt vmcnt(0)
	v_cmp_ne_u64_e32 vcc, v[34:35], v[36:37]
	v_cmp_ne_u64_e64 s[10:11], v[32:33], v[26:27]
	s_nop 0
	v_cndmask_b32_e32 v5, v42, v43, vcc
	v_cndmask_b32_e64 v1, v5, v1, s[4:5]
	s_or_b64 s[4:5], s[4:5], vcc
	s_or_b64 vcc, s[4:5], s[8:9]
	v_cndmask_b32_e32 v38, v44, v1, vcc
	v_lshl_add_u64 v[2:3], v[2:3], 0, v[38:39]
	s_or_b64 s[4:5], vcc, s[10:11]
	v_cndmask_b32_e64 v1, 0, 1, s[4:5]
	v_mov_b32_dpp v6, v2 quad_perm:[1,0,3,2] row_mask:0xf bank_mask:0xf bound_ctrl:1
	v_mov_b32_dpp v7, v3 quad_perm:[1,0,3,2] row_mask:0xf bank_mask:0xf bound_ctrl:1
	;; [unrolled: 1-line block ×3, first 2 shown]
	v_cmp_lt_i64_e32 vcc, v[2:3], v[6:7]
	v_and_b32_e32 v5, 1, v5
	s_and_b64 vcc, s[4:5], vcc
	v_cndmask_b32_e32 v6, v6, v2, vcc
	v_cndmask_b32_e32 v7, v7, v3, vcc
	v_cmp_eq_u32_e32 vcc, 1, v5
	s_nop 1
	v_cndmask_b32_e32 v3, v3, v7, vcc
	v_cndmask_b32_e32 v2, v2, v6, vcc
	v_cndmask_b32_e64 v1, v1, 1, vcc
	v_mov_b32_dpp v7, v3 quad_perm:[2,3,0,1] row_mask:0xf bank_mask:0xf bound_ctrl:1
	v_mov_b32_dpp v6, v2 quad_perm:[2,3,0,1] row_mask:0xf bank_mask:0xf bound_ctrl:1
	;; [unrolled: 1-line block ×3, first 2 shown]
	v_and_b32_e32 v8, 1, v1
	v_and_b32_e32 v5, 1, v5
	v_cmp_eq_u32_e32 vcc, 1, v8
	v_cmp_lt_i64_e64 s[4:5], v[2:3], v[6:7]
	v_cmp_eq_u32_e64 s[6:7], 1, v5
	s_and_b64 vcc, vcc, s[4:5]
	v_cndmask_b32_e32 v5, v6, v2, vcc
	v_cndmask_b32_e64 v1, v1, 1, s[6:7]
	v_cndmask_b32_e32 v6, v7, v3, vcc
	v_cndmask_b32_e64 v2, v2, v5, s[6:7]
	v_and_b32_e32 v7, 1, v1
	v_cndmask_b32_e64 v3, v3, v6, s[6:7]
	v_mov_b32_dpp v6, v2 row_ror:4 row_mask:0xf bank_mask:0xf bound_ctrl:1
	v_cmp_eq_u32_e32 vcc, 1, v7
	v_mov_b32_dpp v7, v3 row_ror:4 row_mask:0xf bank_mask:0xf bound_ctrl:1
	v_mov_b32_dpp v5, v1 row_ror:4 row_mask:0xf bank_mask:0xf bound_ctrl:1
	v_cmp_lt_i64_e64 s[6:7], v[2:3], v[6:7]
	v_and_b32_e32 v5, 1, v5
	s_and_b64 vcc, vcc, s[6:7]
	v_cmp_eq_u32_e64 s[4:5], 1, v5
	v_cndmask_b32_e32 v5, v6, v2, vcc
	v_cndmask_b32_e32 v6, v7, v3, vcc
	v_cndmask_b32_e64 v1, v1, 1, s[4:5]
	v_cndmask_b32_e64 v3, v3, v6, s[4:5]
	;; [unrolled: 1-line block ×3, first 2 shown]
	v_and_b32_e32 v8, 1, v1
	v_mov_b32_dpp v7, v3 row_ror:8 row_mask:0xf bank_mask:0xf bound_ctrl:1
	v_mov_b32_dpp v6, v2 row_ror:8 row_mask:0xf bank_mask:0xf bound_ctrl:1
	;; [unrolled: 1-line block ×3, first 2 shown]
	v_cmp_eq_u32_e32 vcc, 1, v8
	v_cmp_lt_i64_e64 s[4:5], v[2:3], v[6:7]
	v_and_b32_e32 v5, 1, v5
	s_and_b64 vcc, vcc, s[4:5]
	v_cmp_eq_u32_e64 s[6:7], 1, v5
	v_cndmask_b32_e32 v5, v6, v2, vcc
	v_cndmask_b32_e32 v6, v7, v3, vcc
	v_cndmask_b32_e64 v1, v1, 1, s[6:7]
	v_cndmask_b32_e64 v3, v3, v6, s[6:7]
	;; [unrolled: 1-line block ×3, first 2 shown]
	v_and_b32_e32 v8, 1, v1
	v_mov_b32_dpp v7, v3 row_bcast:15 row_mask:0xf bank_mask:0xf bound_ctrl:1
	v_mov_b32_dpp v6, v2 row_bcast:15 row_mask:0xf bank_mask:0xf bound_ctrl:1
	;; [unrolled: 1-line block ×3, first 2 shown]
	v_cmp_eq_u32_e32 vcc, 1, v8
	v_cmp_lt_i64_e64 s[4:5], v[2:3], v[6:7]
	v_and_b32_e32 v5, 1, v5
	s_and_b64 vcc, vcc, s[4:5]
	v_cmp_eq_u32_e64 s[6:7], 1, v5
	v_cndmask_b32_e32 v5, v6, v2, vcc
	v_cndmask_b32_e32 v6, v7, v3, vcc
	v_cndmask_b32_e64 v1, v1, 1, s[6:7]
	v_cndmask_b32_e64 v3, v3, v6, s[6:7]
	;; [unrolled: 1-line block ×3, first 2 shown]
	v_and_b32_e32 v8, 1, v1
	v_mov_b32_dpp v7, v3 row_bcast:31 row_mask:0xf bank_mask:0xf bound_ctrl:1
	v_mov_b32_dpp v6, v2 row_bcast:31 row_mask:0xf bank_mask:0xf bound_ctrl:1
	;; [unrolled: 1-line block ×3, first 2 shown]
	v_cmp_eq_u32_e32 vcc, 1, v8
	v_cmp_lt_i64_e64 s[4:5], v[2:3], v[6:7]
	v_and_b32_e32 v5, 1, v5
	s_and_b64 vcc, vcc, s[4:5]
	v_cmp_eq_u32_e64 s[6:7], 1, v5
	v_cndmask_b32_e32 v5, v6, v2, vcc
	v_cndmask_b32_e32 v6, v7, v3, vcc
	v_cndmask_b32_e64 v3, v3, v6, s[6:7]
	v_lshlrev_b32_e32 v6, 2, v4
	v_cndmask_b32_e64 v1, v1, 1, s[6:7]
	v_cndmask_b32_e64 v2, v2, v5, s[6:7]
	v_or_b32_e32 v5, 0xfc, v6
	ds_bpermute_b32 v1, v5, v1
	ds_bpermute_b32 v2, v5, v2
	;; [unrolled: 1-line block ×3, first 2 shown]
	v_cmp_eq_u32_e32 vcc, 0, v4
	s_and_saveexec_b64 s[4:5], vcc
	s_cbranch_execz .LBB591_6
; %bb.5:
	v_lshrrev_b32_e32 v5, 2, v0
	v_and_b32_e32 v5, 16, v5
	s_waitcnt lgkmcnt(2)
	ds_write_b8 v5, v1 offset:96
	s_waitcnt lgkmcnt(1)
	ds_write_b64 v5, v[2:3] offset:104
.LBB591_6:
	s_or_b64 exec, exec, s[4:5]
	v_cmp_gt_u32_e32 vcc, 64, v0
	s_waitcnt lgkmcnt(0)
	s_barrier
	s_and_saveexec_b64 s[4:5], vcc
	s_cbranch_execz .LBB591_12
; %bb.7:
	v_and_b32_e32 v1, 1, v4
	v_lshlrev_b32_e32 v1, 4, v1
	ds_read_u8 v8, v1 offset:96
	ds_read_b64 v[4:5], v1 offset:104
	v_or_b32_e32 v2, 4, v6
	s_waitcnt lgkmcnt(1)
	v_and_b32_e32 v1, 0xff, v8
	ds_bpermute_b32 v9, v2, v1
	s_waitcnt lgkmcnt(1)
	ds_bpermute_b32 v6, v2, v4
	ds_bpermute_b32 v7, v2, v5
                                        ; implicit-def: $vgpr2_vgpr3
	s_waitcnt lgkmcnt(2)
	v_and_b32_e32 v1, v8, v9
	v_and_b32_e32 v1, 1, v1
	v_cmp_eq_u32_e32 vcc, 1, v1
	s_and_saveexec_b64 s[6:7], vcc
	s_xor_b64 s[6:7], exec, s[6:7]
	s_cbranch_execz .LBB591_9
; %bb.8:
	s_waitcnt lgkmcnt(0)
	v_cmp_lt_i64_e32 vcc, v[6:7], v[4:5]
                                        ; implicit-def: $vgpr8
                                        ; implicit-def: $vgpr9
	s_nop 1
	v_cndmask_b32_e32 v3, v5, v7, vcc
	v_cndmask_b32_e32 v2, v4, v6, vcc
                                        ; implicit-def: $vgpr6_vgpr7
                                        ; implicit-def: $vgpr4_vgpr5
.LBB591_9:
	s_or_saveexec_b64 s[6:7], s[6:7]
	v_mov_b32_e32 v1, 1
	s_xor_b64 exec, exec, s[6:7]
	s_cbranch_execz .LBB591_11
; %bb.10:
	v_and_b32_e32 v1, 1, v8
	v_cmp_eq_u32_e32 vcc, 1, v1
	s_waitcnt lgkmcnt(0)
	s_nop 0
	v_cndmask_b32_e32 v3, v7, v5, vcc
	v_cndmask_b32_e32 v2, v6, v4, vcc
	v_cndmask_b32_e64 v1, v9, 1, vcc
.LBB591_11:
	s_or_b64 exec, exec, s[6:7]
.LBB591_12:
	s_or_b64 exec, exec, s[4:5]
	s_branch .LBB591_145
.LBB591_13:
	s_mov_b64 s[12:13], 0
                                        ; implicit-def: $vgpr4_vgpr5
                                        ; implicit-def: $vgpr6
                                        ; implicit-def: $vgpr2_vgpr3
	s_cbranch_execnz .LBB591_219
	s_branch .LBB591_306
.LBB591_14:
	s_mov_b64 s[28:29], -1
.LBB591_15:
	s_mov_b64 s[12:13], 0
                                        ; implicit-def: $vgpr4_vgpr5
                                        ; implicit-def: $vgpr6
                                        ; implicit-def: $vgpr2_vgpr3
	s_and_b64 vcc, exec, s[28:29]
	s_cbranch_vccz .LBB591_150
.LBB591_16:
	s_cmp_eq_u32 s38, 4
	s_cbranch_scc0 .LBB591_27
; %bb.17:
	s_mov_b32 s3, 0
	s_lshl_b32 s30, s2, 9
	s_mov_b32 s31, s3
	s_lshr_b64 s[4:5], s[22:23], 9
	s_lshl_b64 s[6:7], s[30:31], 3
	s_add_u32 s14, s24, s6
	s_addc_u32 s15, s25, s7
	s_add_u32 s16, s26, s6
	s_addc_u32 s17, s27, s7
	;; [unrolled: 2-line block ×3, first 2 shown]
	s_cmp_lg_u64 s[4:5], s[2:3]
	s_cbranch_scc0 .LBB591_51
; %bb.18:
	v_lshlrev_b32_e32 v1, 3, v0
	global_load_dwordx2 v[2:3], v1, s[16:17] offset:1024
	s_waitcnt lgkmcnt(1)
	global_load_dwordx2 v[8:9], v1, s[16:17] offset:2048
	global_load_dwordx2 v[10:11], v1, s[16:17] offset:3072
	;; [unrolled: 1-line block ×5, first 2 shown]
	global_load_dwordx2 v[18:19], v1, s[14:15]
	global_load_dwordx2 v[20:21], v1, s[16:17]
	v_mov_b32_e32 v1, 0
	s_waitcnt lgkmcnt(0)
	v_mov_b32_e32 v5, 0x100
	v_mov_b32_e32 v7, 0x80
	v_lshl_add_u64 v[22:23], s[28:29], 0, v[0:1]
	v_mov_b32_e32 v25, v1
	v_mov_b32_e32 v24, 0x180
	v_mbcnt_lo_u32_b32 v4, -1, 0
	v_mbcnt_hi_u32_b32 v4, -1, v4
	v_lshlrev_b32_e32 v6, 2, v4
	v_or_b32_e32 v26, 0xfc, v6
	s_waitcnt vmcnt(4)
	v_cmp_ne_u64_e32 vcc, v[12:13], v[8:9]
	s_waitcnt vmcnt(3)
	v_cmp_ne_u64_e64 s[4:5], v[14:15], v[10:11]
	s_waitcnt vmcnt(2)
	v_cmp_ne_u64_e64 s[6:7], v[16:17], v[2:3]
	;; [unrolled: 2-line block ×3, first 2 shown]
	v_cndmask_b32_e64 v1, v5, v7, s[6:7]
	s_or_b64 s[6:7], s[8:9], s[6:7]
	v_cndmask_b32_e64 v1, v1, 0, s[8:9]
	s_or_b64 vcc, s[6:7], vcc
	v_cndmask_b32_e32 v24, v24, v1, vcc
	v_lshl_add_u64 v[2:3], v[22:23], 0, v[24:25]
	s_or_b64 s[4:5], vcc, s[4:5]
	v_cndmask_b32_e64 v1, 0, 1, s[4:5]
	v_mov_b32_dpp v8, v2 quad_perm:[1,0,3,2] row_mask:0xf bank_mask:0xf bound_ctrl:1
	v_mov_b32_dpp v9, v3 quad_perm:[1,0,3,2] row_mask:0xf bank_mask:0xf bound_ctrl:1
	;; [unrolled: 1-line block ×3, first 2 shown]
	v_cmp_lt_i64_e32 vcc, v[2:3], v[8:9]
	v_and_b32_e32 v5, 1, v5
	s_and_b64 vcc, s[4:5], vcc
	v_cndmask_b32_e32 v7, v8, v2, vcc
	v_cndmask_b32_e32 v8, v9, v3, vcc
	v_cmp_eq_u32_e32 vcc, 1, v5
	s_nop 1
	v_cndmask_b32_e32 v3, v3, v8, vcc
	v_cndmask_b32_e32 v2, v2, v7, vcc
	v_cndmask_b32_e64 v1, v1, 1, vcc
	v_mov_b32_dpp v9, v3 quad_perm:[2,3,0,1] row_mask:0xf bank_mask:0xf bound_ctrl:1
	v_mov_b32_dpp v8, v2 quad_perm:[2,3,0,1] row_mask:0xf bank_mask:0xf bound_ctrl:1
	;; [unrolled: 1-line block ×3, first 2 shown]
	v_and_b32_e32 v7, 1, v1
	v_and_b32_e32 v5, 1, v5
	v_cmp_eq_u32_e32 vcc, 1, v7
	v_cmp_lt_i64_e64 s[4:5], v[2:3], v[8:9]
	v_cmp_eq_u32_e64 s[6:7], 1, v5
	s_and_b64 vcc, vcc, s[4:5]
	v_cndmask_b32_e32 v5, v8, v2, vcc
	v_cndmask_b32_e64 v1, v1, 1, s[6:7]
	v_cndmask_b32_e64 v2, v2, v5, s[6:7]
	v_cndmask_b32_e32 v7, v9, v3, vcc
	v_mov_b32_dpp v5, v1 row_ror:4 row_mask:0xf bank_mask:0xf bound_ctrl:1
	v_and_b32_e32 v5, 1, v5
	v_and_b32_e32 v9, 1, v1
	v_cndmask_b32_e64 v3, v3, v7, s[6:7]
	v_cmp_eq_u32_e64 s[4:5], 1, v5
	v_mov_b32_dpp v8, v2 row_ror:4 row_mask:0xf bank_mask:0xf bound_ctrl:1
	v_cmp_eq_u32_e32 vcc, 1, v9
	v_mov_b32_dpp v9, v3 row_ror:4 row_mask:0xf bank_mask:0xf bound_ctrl:1
	v_cndmask_b32_e64 v1, v1, 1, s[4:5]
	v_cmp_lt_i64_e64 s[6:7], v[2:3], v[8:9]
	v_and_b32_e32 v7, 1, v1
	v_mov_b32_dpp v5, v1 row_ror:8 row_mask:0xf bank_mask:0xf bound_ctrl:1
	s_and_b64 vcc, vcc, s[6:7]
	v_and_b32_e32 v5, 1, v5
	v_cndmask_b32_e32 v8, v8, v2, vcc
	v_cmp_eq_u32_e64 s[6:7], 1, v7
	v_cndmask_b32_e32 v7, v9, v3, vcc
	v_cmp_eq_u32_e32 vcc, 1, v5
	v_cndmask_b32_e64 v2, v2, v8, s[4:5]
	v_cndmask_b32_e64 v3, v3, v7, s[4:5]
	v_cndmask_b32_e64 v1, v1, 1, vcc
	v_mov_b32_dpp v8, v2 row_ror:8 row_mask:0xf bank_mask:0xf bound_ctrl:1
	v_mov_b32_dpp v9, v3 row_ror:8 row_mask:0xf bank_mask:0xf bound_ctrl:1
	v_mov_b32_dpp v5, v1 row_bcast:15 row_mask:0xf bank_mask:0xf bound_ctrl:1
	v_and_b32_e32 v5, 1, v5
	v_cmp_lt_i64_e64 s[8:9], v[2:3], v[8:9]
	v_cmp_eq_u32_e64 s[10:11], 1, v5
	s_and_b64 s[6:7], s[6:7], s[8:9]
	v_and_b32_e32 v7, 1, v1
	v_cndmask_b32_e64 v1, v1, 1, s[10:11]
	v_cndmask_b32_e64 v5, v8, v2, s[6:7]
	;; [unrolled: 1-line block ×3, first 2 shown]
	v_and_b32_e32 v8, 1, v1
	v_cndmask_b32_e32 v2, v2, v5, vcc
	v_cndmask_b32_e32 v3, v3, v9, vcc
	v_cmp_eq_u32_e64 s[6:7], 1, v8
	v_mov_b32_dpp v8, v2 row_bcast:15 row_mask:0xf bank_mask:0xf bound_ctrl:1
	v_mov_b32_dpp v9, v3 row_bcast:15 row_mask:0xf bank_mask:0xf bound_ctrl:1
	v_cmp_eq_u32_e64 s[4:5], 1, v7
	v_mov_b32_dpp v7, v1 row_bcast:31 row_mask:0xf bank_mask:0xf bound_ctrl:1
	v_cmp_lt_i64_e64 s[8:9], v[2:3], v[8:9]
	v_and_b32_e32 v5, 1, v7
	s_and_b64 s[4:5], s[4:5], s[8:9]
	v_cmp_eq_u32_e32 vcc, 1, v5
	v_cndmask_b32_e64 v5, v8, v2, s[4:5]
	v_cndmask_b32_e64 v7, v9, v3, s[4:5]
	;; [unrolled: 1-line block ×4, first 2 shown]
	v_cndmask_b32_e64 v1, v1, 1, vcc
	v_mov_b32_dpp v8, v2 row_bcast:31 row_mask:0xf bank_mask:0xf bound_ctrl:1
	v_mov_b32_dpp v9, v3 row_bcast:31 row_mask:0xf bank_mask:0xf bound_ctrl:1
	v_cmp_lt_i64_e64 s[4:5], v[2:3], v[8:9]
	s_and_b64 s[4:5], s[6:7], s[4:5]
	ds_bpermute_b32 v1, v26, v1
	v_cndmask_b32_e64 v5, v8, v2, s[4:5]
	v_cndmask_b32_e64 v7, v9, v3, s[4:5]
	v_cndmask_b32_e32 v2, v2, v5, vcc
	v_cndmask_b32_e32 v3, v3, v7, vcc
	ds_bpermute_b32 v2, v26, v2
	ds_bpermute_b32 v3, v26, v3
	v_cmp_eq_u32_e32 vcc, 0, v4
	s_and_saveexec_b64 s[4:5], vcc
	s_cbranch_execz .LBB591_20
; %bb.19:
	v_lshrrev_b32_e32 v5, 2, v0
	v_and_b32_e32 v5, 16, v5
	s_waitcnt lgkmcnt(2)
	ds_write_b8 v5, v1 offset:64
	s_waitcnt lgkmcnt(1)
	ds_write_b64 v5, v[2:3] offset:72
.LBB591_20:
	s_or_b64 exec, exec, s[4:5]
	v_cmp_gt_u32_e32 vcc, 64, v0
	s_waitcnt lgkmcnt(0)
	s_barrier
	s_and_saveexec_b64 s[4:5], vcc
	s_cbranch_execz .LBB591_26
; %bb.21:
	v_and_b32_e32 v1, 1, v4
	v_lshlrev_b32_e32 v1, 4, v1
	ds_read_u8 v8, v1 offset:64
	ds_read_b64 v[4:5], v1 offset:72
	v_or_b32_e32 v2, 4, v6
	s_waitcnt lgkmcnt(1)
	v_and_b32_e32 v1, 0xff, v8
	ds_bpermute_b32 v9, v2, v1
	s_waitcnt lgkmcnt(1)
	ds_bpermute_b32 v6, v2, v4
	ds_bpermute_b32 v7, v2, v5
                                        ; implicit-def: $vgpr2_vgpr3
	s_waitcnt lgkmcnt(2)
	v_and_b32_e32 v1, v8, v9
	v_and_b32_e32 v1, 1, v1
	v_cmp_eq_u32_e32 vcc, 1, v1
	s_and_saveexec_b64 s[6:7], vcc
	s_xor_b64 s[6:7], exec, s[6:7]
	s_cbranch_execz .LBB591_23
; %bb.22:
	s_waitcnt lgkmcnt(0)
	v_cmp_lt_i64_e32 vcc, v[6:7], v[4:5]
                                        ; implicit-def: $vgpr8
                                        ; implicit-def: $vgpr9
	s_nop 1
	v_cndmask_b32_e32 v3, v5, v7, vcc
	v_cndmask_b32_e32 v2, v4, v6, vcc
                                        ; implicit-def: $vgpr6_vgpr7
                                        ; implicit-def: $vgpr4_vgpr5
.LBB591_23:
	s_or_saveexec_b64 s[6:7], s[6:7]
	v_mov_b32_e32 v1, 1
	s_xor_b64 exec, exec, s[6:7]
	s_cbranch_execz .LBB591_25
; %bb.24:
	v_and_b32_e32 v1, 1, v8
	v_cmp_eq_u32_e32 vcc, 1, v1
	s_waitcnt lgkmcnt(0)
	s_nop 0
	v_cndmask_b32_e32 v3, v7, v5, vcc
	v_cndmask_b32_e32 v2, v6, v4, vcc
	v_cndmask_b32_e64 v1, v9, 1, vcc
.LBB591_25:
	s_or_b64 exec, exec, s[6:7]
.LBB591_26:
	s_or_b64 exec, exec, s[4:5]
	s_branch .LBB591_214
.LBB591_27:
                                        ; implicit-def: $vgpr4_vgpr5
                                        ; implicit-def: $vgpr6
                                        ; implicit-def: $vgpr2_vgpr3
	s_branch .LBB591_306
.LBB591_28:
                                        ; implicit-def: $vgpr2_vgpr3
                                        ; implicit-def: $vgpr1
	s_cbranch_execz .LBB591_145
; %bb.29:
	s_sub_i32 s39, s22, s12
	v_cmp_gt_u32_e32 vcc, s39, v0
	v_mov_b32_e32 v26, 0
	v_mov_b64_e32 v[16:17], 0
	v_mov_b64_e32 v[2:3], 0
	v_mov_b32_e32 v1, 0
	s_and_saveexec_b64 s[4:5], vcc
	s_cbranch_execz .LBB591_31
; %bb.30:
	v_lshlrev_b32_e32 v1, 3, v0
	global_load_dwordx2 v[4:5], v1, s[16:17]
	s_waitcnt lgkmcnt(0)
	global_load_dwordx2 v[6:7], v1, s[30:31]
	v_mov_b32_e32 v1, 0
	v_lshl_add_u64 v[2:3], s[34:35], 0, v[0:1]
	s_waitcnt vmcnt(0)
	v_cmp_ne_u64_e32 vcc, v[4:5], v[6:7]
	s_nop 1
	v_cndmask_b32_e64 v1, 0, 1, vcc
.LBB591_31:
	s_or_b64 exec, exec, s[4:5]
	v_or_b32_e32 v4, 0x80, v0
	v_cmp_gt_u32_e64 s[14:15], s39, v4
	s_and_saveexec_b64 s[4:5], s[14:15]
	s_cbranch_execz .LBB591_33
; %bb.32:
	v_lshlrev_b32_e32 v5, 3, v0
	s_waitcnt lgkmcnt(0)
	global_load_dwordx2 v[6:7], v5, s[16:17] offset:1024
	global_load_dwordx2 v[8:9], v5, s[30:31] offset:1024
	v_mov_b32_e32 v5, 0
	v_lshl_add_u64 v[16:17], s[34:35], 0, v[4:5]
	s_waitcnt vmcnt(0)
	v_cmp_ne_u64_e32 vcc, v[6:7], v[8:9]
	s_nop 1
	v_cndmask_b32_e64 v26, 0, 1, vcc
.LBB591_33:
	s_or_b64 exec, exec, s[4:5]
	v_or_b32_e32 v4, 0x100, v0
	v_cmp_gt_u32_e64 s[12:13], s39, v4
	v_mov_b32_e32 v24, 0
	v_mov_b64_e32 v[12:13], 0
	v_mov_b64_e32 v[14:15], 0
	v_mov_b32_e32 v25, 0
	s_and_saveexec_b64 s[4:5], s[12:13]
	s_cbranch_execz .LBB591_35
; %bb.34:
	v_lshlrev_b32_e32 v5, 3, v0
	s_waitcnt lgkmcnt(0)
	global_load_dwordx2 v[6:7], v5, s[16:17] offset:2048
	global_load_dwordx2 v[8:9], v5, s[30:31] offset:2048
	v_mov_b32_e32 v5, 0
	v_lshl_add_u64 v[14:15], s[34:35], 0, v[4:5]
	s_waitcnt vmcnt(0)
	v_cmp_ne_u64_e32 vcc, v[6:7], v[8:9]
	s_nop 1
	v_cndmask_b32_e64 v25, 0, 1, vcc
.LBB591_35:
	s_or_b64 exec, exec, s[4:5]
	v_or_b32_e32 v4, 0x180, v0
	v_cmp_gt_u32_e64 s[10:11], s39, v4
	s_and_saveexec_b64 s[4:5], s[10:11]
	s_cbranch_execz .LBB591_37
; %bb.36:
	v_lshlrev_b32_e32 v5, 3, v0
	s_waitcnt lgkmcnt(0)
	global_load_dwordx2 v[6:7], v5, s[16:17] offset:3072
	global_load_dwordx2 v[8:9], v5, s[30:31] offset:3072
	v_mov_b32_e32 v5, 0
	v_lshl_add_u64 v[12:13], s[34:35], 0, v[4:5]
	s_waitcnt vmcnt(0)
	v_cmp_ne_u64_e32 vcc, v[6:7], v[8:9]
	s_nop 1
	v_cndmask_b32_e64 v24, 0, 1, vcc
.LBB591_37:
	s_or_b64 exec, exec, s[4:5]
	v_or_b32_e32 v4, 0x200, v0
	v_cmp_gt_u32_e64 s[8:9], s39, v4
	v_mov_b32_e32 v22, 0
	v_mov_b64_e32 v[8:9], 0
	v_mov_b64_e32 v[10:11], 0
	v_mov_b32_e32 v23, 0
	s_and_saveexec_b64 s[4:5], s[8:9]
	s_cbranch_execz .LBB591_39
; %bb.38:
	v_lshlrev_b32_e32 v5, 3, v4
	s_waitcnt lgkmcnt(0)
	global_load_dwordx2 v[6:7], v5, s[16:17]
	global_load_dwordx2 v[18:19], v5, s[30:31]
	v_mov_b32_e32 v5, 0
	v_lshl_add_u64 v[10:11], s[34:35], 0, v[4:5]
	s_waitcnt vmcnt(0)
	v_cmp_ne_u64_e32 vcc, v[6:7], v[18:19]
	s_nop 1
	v_cndmask_b32_e64 v23, 0, 1, vcc
.LBB591_39:
	s_or_b64 exec, exec, s[4:5]
	v_or_b32_e32 v4, 0x280, v0
	v_cmp_gt_u32_e64 s[6:7], s39, v4
	s_and_saveexec_b64 s[4:5], s[6:7]
	s_cbranch_execz .LBB591_41
; %bb.40:
	v_lshlrev_b32_e32 v5, 3, v4
	s_waitcnt lgkmcnt(0)
	global_load_dwordx2 v[6:7], v5, s[16:17]
	global_load_dwordx2 v[18:19], v5, s[30:31]
	v_mov_b32_e32 v5, 0
	v_lshl_add_u64 v[8:9], s[34:35], 0, v[4:5]
	s_waitcnt vmcnt(0)
	v_cmp_ne_u64_e32 vcc, v[6:7], v[18:19]
	s_nop 1
	v_cndmask_b32_e64 v22, 0, 1, vcc
.LBB591_41:
	s_or_b64 exec, exec, s[4:5]
	v_or_b32_e32 v18, 0x300, v0
	v_cmp_gt_u32_e64 s[4:5], s39, v18
	v_mov_b64_e32 v[4:5], 0
	v_mov_b32_e32 v20, 0
	v_mov_b32_e32 v21, 0
	s_waitcnt lgkmcnt(0)
	v_mov_b64_e32 v[6:7], 0
	s_and_saveexec_b64 s[36:37], s[4:5]
	s_cbranch_execz .LBB591_43
; %bb.42:
	v_lshlrev_b32_e32 v6, 3, v18
	global_load_dwordx2 v[28:29], v6, s[16:17]
	global_load_dwordx2 v[30:31], v6, s[30:31]
	v_mov_b32_e32 v19, 0
	v_lshl_add_u64 v[6:7], s[34:35], 0, v[18:19]
	s_waitcnt vmcnt(0)
	v_cmp_ne_u64_e32 vcc, v[28:29], v[30:31]
	s_nop 1
	v_cndmask_b32_e64 v21, 0, 1, vcc
.LBB591_43:
	s_or_b64 exec, exec, s[36:37]
	v_or_b32_e32 v18, 0x380, v0
	v_cmp_gt_u32_e32 vcc, s39, v18
	s_and_saveexec_b64 s[36:37], vcc
	s_cbranch_execnz .LBB591_62
; %bb.44:
	s_or_b64 exec, exec, s[36:37]
	s_and_saveexec_b64 s[30:31], s[14:15]
	s_cbranch_execnz .LBB591_63
.LBB591_45:
	s_or_b64 exec, exec, s[30:31]
	s_and_saveexec_b64 s[16:17], s[12:13]
	s_cbranch_execnz .LBB591_68
.LBB591_46:
	s_or_b64 exec, exec, s[16:17]
	s_and_saveexec_b64 s[14:15], s[10:11]
	s_cbranch_execnz .LBB591_73
.LBB591_47:
	s_or_b64 exec, exec, s[14:15]
	s_and_saveexec_b64 s[12:13], s[8:9]
	s_cbranch_execnz .LBB591_78
.LBB591_48:
	s_or_b64 exec, exec, s[12:13]
	s_and_saveexec_b64 s[10:11], s[6:7]
	s_cbranch_execnz .LBB591_83
.LBB591_49:
	s_or_b64 exec, exec, s[10:11]
	s_and_saveexec_b64 s[8:9], s[4:5]
	s_cbranch_execnz .LBB591_88
.LBB591_50:
	s_or_b64 exec, exec, s[8:9]
	s_and_saveexec_b64 s[6:7], vcc
	s_cbranch_execnz .LBB591_93
	s_branch .LBB591_98
.LBB591_51:
                                        ; implicit-def: $vgpr2_vgpr3
                                        ; implicit-def: $vgpr1
	s_cbranch_execz .LBB591_214
; %bb.52:
	s_sub_i32 s30, s22, s30
	v_cmp_gt_u32_e32 vcc, s30, v0
	v_mov_b32_e32 v14, 0
	s_waitcnt lgkmcnt(1)
	v_mov_b64_e32 v[8:9], 0
	v_mov_b64_e32 v[2:3], 0
	v_mov_b32_e32 v1, 0
	s_and_saveexec_b64 s[4:5], vcc
	s_cbranch_execz .LBB591_54
; %bb.53:
	v_lshlrev_b32_e32 v1, 3, v0
	s_waitcnt lgkmcnt(0)
	global_load_dwordx2 v[4:5], v1, s[14:15]
	global_load_dwordx2 v[6:7], v1, s[16:17]
	v_mov_b32_e32 v1, 0
	v_lshl_add_u64 v[2:3], s[28:29], 0, v[0:1]
	s_waitcnt vmcnt(0)
	v_cmp_ne_u64_e32 vcc, v[4:5], v[6:7]
	s_nop 1
	v_cndmask_b32_e64 v1, 0, 1, vcc
.LBB591_54:
	s_or_b64 exec, exec, s[4:5]
	v_or_b32_e32 v4, 0x80, v0
	v_cmp_gt_u32_e64 s[6:7], s30, v4
	s_and_saveexec_b64 s[4:5], s[6:7]
	s_cbranch_execz .LBB591_56
; %bb.55:
	s_waitcnt lgkmcnt(0)
	v_lshlrev_b32_e32 v5, 3, v0
	global_load_dwordx2 v[6:7], v5, s[14:15] offset:1024
	global_load_dwordx2 v[10:11], v5, s[16:17] offset:1024
	v_mov_b32_e32 v5, 0
	v_lshl_add_u64 v[8:9], s[28:29], 0, v[4:5]
	s_waitcnt vmcnt(0)
	v_cmp_ne_u64_e32 vcc, v[6:7], v[10:11]
	s_nop 1
	v_cndmask_b32_e64 v14, 0, 1, vcc
.LBB591_56:
	s_or_b64 exec, exec, s[4:5]
	v_or_b32_e32 v10, 0x100, v0
	v_cmp_gt_u32_e64 s[4:5], s30, v10
	v_mov_b32_e32 v12, 0
	s_waitcnt lgkmcnt(0)
	v_mov_b64_e32 v[4:5], 0
	v_mov_b64_e32 v[6:7], 0
	v_mov_b32_e32 v13, 0
	s_and_saveexec_b64 s[8:9], s[4:5]
	s_cbranch_execz .LBB591_58
; %bb.57:
	v_lshlrev_b32_e32 v6, 3, v0
	global_load_dwordx2 v[16:17], v6, s[14:15] offset:2048
	global_load_dwordx2 v[18:19], v6, s[16:17] offset:2048
	v_mov_b32_e32 v11, 0
	v_lshl_add_u64 v[6:7], s[28:29], 0, v[10:11]
	s_waitcnt vmcnt(0)
	v_cmp_ne_u64_e32 vcc, v[16:17], v[18:19]
	s_nop 1
	v_cndmask_b32_e64 v13, 0, 1, vcc
.LBB591_58:
	s_or_b64 exec, exec, s[8:9]
	v_or_b32_e32 v10, 0x180, v0
	v_cmp_gt_u32_e32 vcc, s30, v10
	s_and_saveexec_b64 s[10:11], vcc
	s_cbranch_execnz .LBB591_151
; %bb.59:
	s_or_b64 exec, exec, s[10:11]
	s_and_saveexec_b64 s[10:11], s[6:7]
	s_cbranch_execnz .LBB591_152
.LBB591_60:
	s_or_b64 exec, exec, s[10:11]
	s_and_saveexec_b64 s[8:9], s[4:5]
	s_cbranch_execnz .LBB591_157
.LBB591_61:
	s_or_b64 exec, exec, s[8:9]
	s_and_saveexec_b64 s[6:7], vcc
	s_cbranch_execnz .LBB591_162
	s_branch .LBB591_167
.LBB591_62:
	v_lshlrev_b32_e32 v4, 3, v18
	global_load_dwordx2 v[28:29], v4, s[16:17]
	global_load_dwordx2 v[30:31], v4, s[30:31]
	v_mov_b32_e32 v19, 0
	v_lshl_add_u64 v[4:5], s[34:35], 0, v[18:19]
	s_waitcnt vmcnt(0)
	v_cmp_ne_u64_e64 s[16:17], v[28:29], v[30:31]
	s_nop 1
	v_cndmask_b32_e64 v20, 0, 1, s[16:17]
	s_or_b64 exec, exec, s[36:37]
	s_and_saveexec_b64 s[30:31], s[14:15]
	s_cbranch_execz .LBB591_45
.LBB591_63:
	v_and_b32_e32 v1, 1, v1
	v_cmp_eq_u32_e64 s[14:15], 1, v1
	v_and_b32_e32 v1, 1, v26
	v_cmp_eq_u32_e64 s[16:17], 1, v1
	s_and_b64 s[16:17], s[14:15], s[16:17]
	s_xor_b64 s[16:17], s[16:17], -1
                                        ; implicit-def: $vgpr1
	s_and_saveexec_b64 s[34:35], s[16:17]
	s_xor_b64 s[16:17], exec, s[34:35]
; %bb.64:
	v_and_b32_e32 v1, 0xffff, v26
	v_cndmask_b32_e64 v1, v1, 1, s[14:15]
	v_cndmask_b32_e64 v3, v17, v3, s[14:15]
	;; [unrolled: 1-line block ×3, first 2 shown]
                                        ; implicit-def: $vgpr16_vgpr17
; %bb.65:
	s_andn2_saveexec_b64 s[16:17], s[16:17]
; %bb.66:
	v_cmp_lt_i64_e64 s[14:15], v[16:17], v[2:3]
	v_mov_b32_e32 v1, 1
	s_nop 0
	v_cndmask_b32_e64 v3, v3, v17, s[14:15]
	v_cndmask_b32_e64 v2, v2, v16, s[14:15]
; %bb.67:
	s_or_b64 exec, exec, s[16:17]
	s_or_b64 exec, exec, s[30:31]
	s_and_saveexec_b64 s[16:17], s[12:13]
	s_cbranch_execz .LBB591_46
.LBB591_68:
	v_and_b32_e32 v1, 1, v1
	v_cmp_eq_u32_e64 s[12:13], 1, v1
	v_and_b32_e32 v1, 1, v25
	v_cmp_eq_u32_e64 s[14:15], 1, v1
	s_and_b64 s[14:15], s[12:13], s[14:15]
	s_xor_b64 s[14:15], s[14:15], -1
                                        ; implicit-def: $vgpr1
	s_and_saveexec_b64 s[30:31], s[14:15]
	s_xor_b64 s[14:15], exec, s[30:31]
; %bb.69:
	v_and_b32_e32 v1, 0xffff, v25
	v_cndmask_b32_e64 v1, v1, 1, s[12:13]
	v_cndmask_b32_e64 v3, v15, v3, s[12:13]
	;; [unrolled: 1-line block ×3, first 2 shown]
                                        ; implicit-def: $vgpr14_vgpr15
; %bb.70:
	s_andn2_saveexec_b64 s[14:15], s[14:15]
; %bb.71:
	v_cmp_lt_i64_e64 s[12:13], v[14:15], v[2:3]
	v_mov_b32_e32 v1, 1
	s_nop 0
	v_cndmask_b32_e64 v3, v3, v15, s[12:13]
	v_cndmask_b32_e64 v2, v2, v14, s[12:13]
; %bb.72:
	s_or_b64 exec, exec, s[14:15]
	s_or_b64 exec, exec, s[16:17]
	s_and_saveexec_b64 s[14:15], s[10:11]
	s_cbranch_execz .LBB591_47
.LBB591_73:
	v_and_b32_e32 v1, 1, v1
	v_cmp_eq_u32_e64 s[10:11], 1, v1
	v_and_b32_e32 v1, 1, v24
	v_cmp_eq_u32_e64 s[12:13], 1, v1
	s_and_b64 s[12:13], s[10:11], s[12:13]
	s_xor_b64 s[12:13], s[12:13], -1
                                        ; implicit-def: $vgpr1
	s_and_saveexec_b64 s[16:17], s[12:13]
	s_xor_b64 s[12:13], exec, s[16:17]
; %bb.74:
	v_and_b32_e32 v1, 0xffff, v24
	v_cndmask_b32_e64 v1, v1, 1, s[10:11]
	v_cndmask_b32_e64 v3, v13, v3, s[10:11]
	;; [unrolled: 1-line block ×3, first 2 shown]
                                        ; implicit-def: $vgpr12_vgpr13
; %bb.75:
	s_andn2_saveexec_b64 s[12:13], s[12:13]
; %bb.76:
	v_cmp_lt_i64_e64 s[10:11], v[12:13], v[2:3]
	v_mov_b32_e32 v1, 1
	s_nop 0
	v_cndmask_b32_e64 v3, v3, v13, s[10:11]
	v_cndmask_b32_e64 v2, v2, v12, s[10:11]
; %bb.77:
	s_or_b64 exec, exec, s[12:13]
	s_or_b64 exec, exec, s[14:15]
	s_and_saveexec_b64 s[12:13], s[8:9]
	s_cbranch_execz .LBB591_48
.LBB591_78:
	v_and_b32_e32 v1, 1, v1
	v_cmp_eq_u32_e64 s[8:9], 1, v1
	v_and_b32_e32 v1, 1, v23
	v_cmp_eq_u32_e64 s[10:11], 1, v1
	s_and_b64 s[10:11], s[8:9], s[10:11]
	s_xor_b64 s[10:11], s[10:11], -1
                                        ; implicit-def: $vgpr1
	s_and_saveexec_b64 s[14:15], s[10:11]
	s_xor_b64 s[10:11], exec, s[14:15]
; %bb.79:
	v_and_b32_e32 v1, 0xffff, v23
	v_cndmask_b32_e64 v1, v1, 1, s[8:9]
	v_cndmask_b32_e64 v3, v11, v3, s[8:9]
	;; [unrolled: 1-line block ×3, first 2 shown]
                                        ; implicit-def: $vgpr10_vgpr11
; %bb.80:
	s_andn2_saveexec_b64 s[10:11], s[10:11]
; %bb.81:
	v_cmp_lt_i64_e64 s[8:9], v[10:11], v[2:3]
	v_mov_b32_e32 v1, 1
	s_nop 0
	v_cndmask_b32_e64 v3, v3, v11, s[8:9]
	v_cndmask_b32_e64 v2, v2, v10, s[8:9]
; %bb.82:
	s_or_b64 exec, exec, s[10:11]
	s_or_b64 exec, exec, s[12:13]
	s_and_saveexec_b64 s[10:11], s[6:7]
	s_cbranch_execz .LBB591_49
.LBB591_83:
	v_and_b32_e32 v1, 1, v1
	v_cmp_eq_u32_e64 s[6:7], 1, v1
	v_and_b32_e32 v1, 1, v22
	v_cmp_eq_u32_e64 s[8:9], 1, v1
	s_and_b64 s[8:9], s[6:7], s[8:9]
	s_xor_b64 s[8:9], s[8:9], -1
                                        ; implicit-def: $vgpr1
	s_and_saveexec_b64 s[12:13], s[8:9]
	s_xor_b64 s[8:9], exec, s[12:13]
; %bb.84:
	v_and_b32_e32 v1, 0xffff, v22
	v_cndmask_b32_e64 v1, v1, 1, s[6:7]
	v_cndmask_b32_e64 v3, v9, v3, s[6:7]
	;; [unrolled: 1-line block ×3, first 2 shown]
                                        ; implicit-def: $vgpr8_vgpr9
; %bb.85:
	s_andn2_saveexec_b64 s[8:9], s[8:9]
; %bb.86:
	v_cmp_lt_i64_e64 s[6:7], v[8:9], v[2:3]
	v_mov_b32_e32 v1, 1
	s_nop 0
	v_cndmask_b32_e64 v3, v3, v9, s[6:7]
	v_cndmask_b32_e64 v2, v2, v8, s[6:7]
; %bb.87:
	s_or_b64 exec, exec, s[8:9]
	s_or_b64 exec, exec, s[10:11]
	s_and_saveexec_b64 s[8:9], s[4:5]
	s_cbranch_execz .LBB591_50
.LBB591_88:
	v_and_b32_e32 v1, 1, v1
	v_cmp_eq_u32_e64 s[4:5], 1, v1
	v_and_b32_e32 v1, 1, v21
	v_cmp_eq_u32_e64 s[6:7], 1, v1
	s_and_b64 s[6:7], s[4:5], s[6:7]
	s_xor_b64 s[6:7], s[6:7], -1
                                        ; implicit-def: $vgpr1
	s_and_saveexec_b64 s[10:11], s[6:7]
	s_xor_b64 s[6:7], exec, s[10:11]
; %bb.89:
	v_and_b32_e32 v1, 0xffff, v21
	v_cndmask_b32_e64 v1, v1, 1, s[4:5]
	v_cndmask_b32_e64 v3, v7, v3, s[4:5]
	;; [unrolled: 1-line block ×3, first 2 shown]
                                        ; implicit-def: $vgpr6_vgpr7
; %bb.90:
	s_andn2_saveexec_b64 s[6:7], s[6:7]
; %bb.91:
	v_cmp_lt_i64_e64 s[4:5], v[6:7], v[2:3]
	v_mov_b32_e32 v1, 1
	s_nop 0
	v_cndmask_b32_e64 v3, v3, v7, s[4:5]
	v_cndmask_b32_e64 v2, v2, v6, s[4:5]
; %bb.92:
	s_or_b64 exec, exec, s[6:7]
	s_or_b64 exec, exec, s[8:9]
	s_and_saveexec_b64 s[6:7], vcc
	s_cbranch_execz .LBB591_98
.LBB591_93:
	v_and_b32_e32 v1, 1, v1
	v_cmp_eq_u32_e32 vcc, 1, v1
	v_and_b32_e32 v1, 1, v20
	v_cmp_eq_u32_e64 s[4:5], 1, v1
	s_and_b64 s[4:5], vcc, s[4:5]
	s_xor_b64 s[4:5], s[4:5], -1
                                        ; implicit-def: $vgpr1
	s_and_saveexec_b64 s[8:9], s[4:5]
	s_xor_b64 s[4:5], exec, s[8:9]
; %bb.94:
	v_and_b32_e32 v1, 0xffff, v20
	v_cndmask_b32_e64 v1, v1, 1, vcc
	v_cndmask_b32_e32 v3, v5, v3, vcc
	v_cndmask_b32_e32 v2, v4, v2, vcc
                                        ; implicit-def: $vgpr4_vgpr5
; %bb.95:
	s_andn2_saveexec_b64 s[4:5], s[4:5]
; %bb.96:
	v_cmp_lt_i64_e32 vcc, v[4:5], v[2:3]
	v_mov_b32_e32 v1, 1
	s_nop 0
	v_cndmask_b32_e32 v3, v3, v5, vcc
	v_cndmask_b32_e32 v2, v2, v4, vcc
; %bb.97:
	s_or_b64 exec, exec, s[4:5]
.LBB591_98:
	s_or_b64 exec, exec, s[6:7]
	v_mbcnt_lo_u32_b32 v4, -1, 0
	v_mbcnt_hi_u32_b32 v6, -1, v4
	v_and_b32_e32 v7, 63, v6
	v_cmp_ne_u32_e32 vcc, 63, v7
	s_min_u32 s8, s39, 0x80
	v_and_b32_e32 v8, 64, v0
	v_addc_co_u32_e32 v4, vcc, 0, v6, vcc
	v_lshlrev_b32_e32 v5, 2, v4
	ds_bpermute_b32 v9, v5, v1
	ds_bpermute_b32 v4, v5, v2
	;; [unrolled: 1-line block ×3, first 2 shown]
	v_sub_u32_e64 v8, s8, v8 clamp
	v_add_u32_e32 v10, 1, v7
	v_cmp_lt_u32_e32 vcc, v10, v8
	s_and_saveexec_b64 s[4:5], vcc
	s_xor_b64 s[4:5], exec, s[4:5]
	s_cbranch_execz .LBB591_104
; %bb.99:
	s_waitcnt lgkmcnt(2)
	v_and_b32_e32 v10, v9, v1
	v_cmp_ne_u32_e32 vcc, 0, v10
	s_and_saveexec_b64 s[6:7], vcc
	s_xor_b64 s[6:7], exec, s[6:7]
	s_cbranch_execz .LBB591_101
; %bb.100:
	s_waitcnt lgkmcnt(0)
	v_cmp_lt_i64_e32 vcc, v[4:5], v[2:3]
                                        ; implicit-def: $vgpr1
                                        ; implicit-def: $vgpr9
	s_nop 1
	v_cndmask_b32_e32 v3, v3, v5, vcc
	v_cndmask_b32_e32 v2, v2, v4, vcc
                                        ; implicit-def: $vgpr4_vgpr5
.LBB591_101:
	s_or_saveexec_b64 s[6:7], s[6:7]
	v_mov_b32_e32 v10, 1
	s_xor_b64 exec, exec, s[6:7]
	s_cbranch_execz .LBB591_103
; %bb.102:
	v_and_b32_e32 v1, 1, v1
	v_cmp_eq_u32_e32 vcc, 1, v1
	v_and_b32_e32 v1, 0xff, v9
	s_waitcnt lgkmcnt(0)
	v_cndmask_b32_e32 v3, v5, v3, vcc
	v_cndmask_b32_e32 v2, v4, v2, vcc
	v_cndmask_b32_e64 v10, v1, 1, vcc
.LBB591_103:
	s_or_b64 exec, exec, s[6:7]
	v_mov_b32_e32 v1, v10
.LBB591_104:
	s_or_b64 exec, exec, s[4:5]
	v_cmp_gt_u32_e32 vcc, 62, v7
	v_add_u32_e32 v10, 2, v7
	s_waitcnt lgkmcnt(1)
	v_cndmask_b32_e64 v4, 0, 2, vcc
	s_waitcnt lgkmcnt(0)
	v_add_lshl_u32 v5, v4, v6, 2
	ds_bpermute_b32 v9, v5, v1
	ds_bpermute_b32 v4, v5, v2
	ds_bpermute_b32 v5, v5, v3
	v_cmp_lt_u32_e32 vcc, v10, v8
	s_and_saveexec_b64 s[4:5], vcc
	s_cbranch_execz .LBB591_110
; %bb.105:
	s_waitcnt lgkmcnt(2)
	v_and_b32_e32 v10, v1, v9
	v_and_b32_e32 v10, 1, v10
	v_cmp_eq_u32_e32 vcc, 1, v10
	s_and_saveexec_b64 s[6:7], vcc
	s_xor_b64 s[6:7], exec, s[6:7]
	s_cbranch_execz .LBB591_107
; %bb.106:
	s_waitcnt lgkmcnt(0)
	v_cmp_lt_i64_e32 vcc, v[4:5], v[2:3]
                                        ; implicit-def: $vgpr1
                                        ; implicit-def: $vgpr9
	s_nop 1
	v_cndmask_b32_e32 v3, v3, v5, vcc
	v_cndmask_b32_e32 v2, v2, v4, vcc
                                        ; implicit-def: $vgpr4_vgpr5
.LBB591_107:
	s_or_saveexec_b64 s[6:7], s[6:7]
	v_mov_b32_e32 v10, 1
	s_xor_b64 exec, exec, s[6:7]
	s_cbranch_execz .LBB591_109
; %bb.108:
	v_and_b32_e32 v1, 1, v1
	v_cmp_eq_u32_e32 vcc, 1, v1
	v_and_b32_e32 v1, 0xff, v9
	s_waitcnt lgkmcnt(0)
	v_cndmask_b32_e32 v3, v5, v3, vcc
	v_cndmask_b32_e32 v2, v4, v2, vcc
	v_cndmask_b32_e64 v10, v1, 1, vcc
.LBB591_109:
	s_or_b64 exec, exec, s[6:7]
	v_mov_b32_e32 v1, v10
.LBB591_110:
	s_or_b64 exec, exec, s[4:5]
	v_cmp_gt_u32_e32 vcc, 60, v7
	v_add_u32_e32 v10, 4, v7
	s_waitcnt lgkmcnt(1)
	v_cndmask_b32_e64 v4, 0, 4, vcc
	s_waitcnt lgkmcnt(0)
	v_add_lshl_u32 v5, v4, v6, 2
	ds_bpermute_b32 v9, v5, v1
	ds_bpermute_b32 v4, v5, v2
	ds_bpermute_b32 v5, v5, v3
	v_cmp_lt_u32_e32 vcc, v10, v8
	s_and_saveexec_b64 s[4:5], vcc
	s_cbranch_execz .LBB591_116
; %bb.111:
	s_waitcnt lgkmcnt(2)
	v_and_b32_e32 v10, v1, v9
	v_and_b32_e32 v10, 1, v10
	v_cmp_eq_u32_e32 vcc, 1, v10
	s_and_saveexec_b64 s[6:7], vcc
	s_xor_b64 s[6:7], exec, s[6:7]
	s_cbranch_execz .LBB591_113
; %bb.112:
	s_waitcnt lgkmcnt(0)
	v_cmp_lt_i64_e32 vcc, v[4:5], v[2:3]
                                        ; implicit-def: $vgpr1
                                        ; implicit-def: $vgpr9
	s_nop 1
	v_cndmask_b32_e32 v3, v3, v5, vcc
	v_cndmask_b32_e32 v2, v2, v4, vcc
                                        ; implicit-def: $vgpr4_vgpr5
.LBB591_113:
	s_or_saveexec_b64 s[6:7], s[6:7]
	v_mov_b32_e32 v10, 1
	s_xor_b64 exec, exec, s[6:7]
	s_cbranch_execz .LBB591_115
; %bb.114:
	v_and_b32_e32 v1, 1, v1
	v_cmp_eq_u32_e32 vcc, 1, v1
	v_and_b32_e32 v1, 0xff, v9
	s_waitcnt lgkmcnt(0)
	v_cndmask_b32_e32 v3, v5, v3, vcc
	v_cndmask_b32_e32 v2, v4, v2, vcc
	v_cndmask_b32_e64 v10, v1, 1, vcc
.LBB591_115:
	s_or_b64 exec, exec, s[6:7]
	v_mov_b32_e32 v1, v10
.LBB591_116:
	;; [unrolled: 47-line block ×4, first 2 shown]
	s_or_b64 exec, exec, s[4:5]
	s_waitcnt lgkmcnt(2)
	v_lshlrev_b32_e32 v9, 2, v6
	s_waitcnt lgkmcnt(0)
	v_or_b32_e32 v5, 0x80, v9
	ds_bpermute_b32 v10, v5, v1
	ds_bpermute_b32 v4, v5, v2
	;; [unrolled: 1-line block ×3, first 2 shown]
	v_add_u32_e32 v7, 32, v7
	v_cmp_lt_u32_e32 vcc, v7, v8
	v_mov_b32_e32 v7, v1
	s_and_saveexec_b64 s[4:5], vcc
	s_cbranch_execz .LBB591_134
; %bb.129:
	s_waitcnt lgkmcnt(2)
	v_and_b32_e32 v7, v1, v10
	v_and_b32_e32 v7, 1, v7
	v_cmp_eq_u32_e32 vcc, 1, v7
	s_and_saveexec_b64 s[6:7], vcc
	s_xor_b64 s[6:7], exec, s[6:7]
	s_cbranch_execz .LBB591_131
; %bb.130:
	s_waitcnt lgkmcnt(0)
	v_cmp_lt_i64_e32 vcc, v[4:5], v[2:3]
                                        ; implicit-def: $vgpr1
                                        ; implicit-def: $vgpr10
	s_nop 1
	v_cndmask_b32_e32 v3, v3, v5, vcc
	v_cndmask_b32_e32 v2, v2, v4, vcc
                                        ; implicit-def: $vgpr4_vgpr5
.LBB591_131:
	s_or_saveexec_b64 s[6:7], s[6:7]
	v_mov_b32_e32 v7, 1
	s_xor_b64 exec, exec, s[6:7]
	s_cbranch_execz .LBB591_133
; %bb.132:
	v_and_b32_e32 v1, 1, v1
	v_cmp_eq_u32_e32 vcc, 1, v1
	s_nop 1
	v_cndmask_b32_e64 v7, v10, 1, vcc
	s_waitcnt lgkmcnt(0)
	v_cndmask_b32_e32 v3, v5, v3, vcc
	v_cndmask_b32_e32 v2, v4, v2, vcc
.LBB591_133:
	s_or_b64 exec, exec, s[6:7]
	v_and_b32_e32 v1, 0xff, v7
.LBB591_134:
	s_or_b64 exec, exec, s[4:5]
	v_cmp_eq_u32_e32 vcc, 0, v6
	s_and_saveexec_b64 s[4:5], vcc
	s_cbranch_execz .LBB591_136
; %bb.135:
	s_waitcnt lgkmcnt(1)
	v_lshrrev_b32_e32 v4, 2, v0
	v_and_b32_e32 v4, 16, v4
	ds_write_b8 v4, v7 offset:128
	ds_write_b64 v4, v[2:3] offset:136
.LBB591_136:
	s_or_b64 exec, exec, s[4:5]
	v_cmp_gt_u32_e32 vcc, 2, v0
	s_waitcnt lgkmcnt(0)
	s_barrier
	s_and_saveexec_b64 s[4:5], vcc
	s_cbranch_execz .LBB591_144
; %bb.137:
	v_lshlrev_b32_e32 v1, 4, v6
	ds_read_u8 v7, v1 offset:128
	ds_read_b64 v[2:3], v1 offset:136
	v_or_b32_e32 v5, 4, v9
	s_add_i32 s8, s8, 63
	v_and_b32_e32 v6, 1, v6
	s_waitcnt lgkmcnt(1)
	v_and_b32_e32 v1, 0xff, v7
	s_waitcnt lgkmcnt(0)
	ds_bpermute_b32 v4, v5, v2
	ds_bpermute_b32 v8, v5, v1
	;; [unrolled: 1-line block ×3, first 2 shown]
	s_lshr_b32 s6, s8, 6
	v_add_u32_e32 v6, 1, v6
	v_cmp_gt_u32_e32 vcc, s6, v6
	s_and_saveexec_b64 s[6:7], vcc
	s_cbranch_execz .LBB591_143
; %bb.138:
	s_waitcnt lgkmcnt(1)
	v_and_b32_e32 v1, v1, v8
	v_and_b32_e32 v1, 1, v1
	v_cmp_eq_u32_e32 vcc, 1, v1
	s_and_saveexec_b64 s[8:9], vcc
	s_xor_b64 s[8:9], exec, s[8:9]
	s_cbranch_execz .LBB591_140
; %bb.139:
	s_waitcnt lgkmcnt(0)
	v_cmp_lt_i64_e32 vcc, v[4:5], v[2:3]
                                        ; implicit-def: $vgpr7
                                        ; implicit-def: $vgpr8
	s_nop 1
	v_cndmask_b32_e32 v3, v3, v5, vcc
	v_cndmask_b32_e32 v2, v2, v4, vcc
                                        ; implicit-def: $vgpr4_vgpr5
.LBB591_140:
	s_or_saveexec_b64 s[8:9], s[8:9]
	v_mov_b32_e32 v1, 1
	s_xor_b64 exec, exec, s[8:9]
	s_cbranch_execz .LBB591_142
; %bb.141:
	v_and_b32_e32 v1, 1, v7
	v_cmp_eq_u32_e32 vcc, 1, v1
	s_waitcnt lgkmcnt(0)
	s_nop 0
	v_cndmask_b32_e32 v3, v5, v3, vcc
	v_cndmask_b32_e32 v2, v4, v2, vcc
	v_cndmask_b32_e64 v1, v8, 1, vcc
.LBB591_142:
	s_or_b64 exec, exec, s[8:9]
.LBB591_143:
	s_or_b64 exec, exec, s[6:7]
.LBB591_144:
	s_or_b64 exec, exec, s[4:5]
.LBB591_145:
	v_cmp_eq_u32_e32 vcc, 0, v0
	s_mov_b64 s[12:13], 0
                                        ; implicit-def: $vgpr4_vgpr5
                                        ; implicit-def: $vgpr6
	s_and_saveexec_b64 s[4:5], vcc
	s_xor_b64 s[8:9], exec, s[4:5]
	s_cbranch_execz .LBB591_149
; %bb.146:
	s_cmp_eq_u64 s[22:23], 0
	s_waitcnt lgkmcnt(0)
	v_mov_b64_e32 v[4:5], s[18:19]
	v_mov_b32_e32 v6, s33
	s_cbranch_scc1 .LBB591_148
; %bb.147:
	s_bitcmp1_b32 s33, 0
	v_and_b32_e32 v4, 1, v1
	v_cmp_eq_u32_e32 vcc, 1, v4
	v_cmp_gt_i64_e64 s[4:5], s[18:19], v[2:3]
	s_cselect_b64 s[6:7], -1, 0
	v_cndmask_b32_e64 v6, v1, 1, s[6:7]
	v_mov_b32_e32 v1, s18
	s_and_b64 vcc, vcc, s[4:5]
	v_mov_b32_e32 v4, s19
	v_cndmask_b32_e32 v1, v1, v2, vcc
	v_cndmask_b32_e32 v4, v4, v3, vcc
	v_cndmask_b32_e64 v5, v3, v4, s[6:7]
	v_cndmask_b32_e64 v4, v2, v1, s[6:7]
.LBB591_148:
	s_mov_b64 s[12:13], exec
.LBB591_149:
	s_or_b64 exec, exec, s[8:9]
	v_mov_b64_e32 v[2:3], s[2:3]
	s_and_b64 vcc, exec, s[28:29]
	s_cbranch_vccnz .LBB591_16
.LBB591_150:
	s_branch .LBB591_306
.LBB591_151:
	v_lshlrev_b32_e32 v4, 3, v0
	global_load_dwordx2 v[16:17], v4, s[14:15] offset:3072
	global_load_dwordx2 v[18:19], v4, s[16:17] offset:3072
	v_mov_b32_e32 v11, 0
	v_lshl_add_u64 v[4:5], s[28:29], 0, v[10:11]
	s_waitcnt vmcnt(0)
	v_cmp_ne_u64_e64 s[8:9], v[16:17], v[18:19]
	s_nop 1
	v_cndmask_b32_e64 v12, 0, 1, s[8:9]
	s_or_b64 exec, exec, s[10:11]
	s_and_saveexec_b64 s[10:11], s[6:7]
	s_cbranch_execz .LBB591_60
.LBB591_152:
	v_and_b32_e32 v1, 1, v1
	v_cmp_eq_u32_e64 s[6:7], 1, v1
	v_and_b32_e32 v1, 1, v14
	v_cmp_eq_u32_e64 s[8:9], 1, v1
	s_and_b64 s[8:9], s[6:7], s[8:9]
	s_xor_b64 s[8:9], s[8:9], -1
                                        ; implicit-def: $vgpr1
	s_and_saveexec_b64 s[14:15], s[8:9]
	s_xor_b64 s[8:9], exec, s[14:15]
; %bb.153:
	v_and_b32_e32 v1, 0xffff, v14
	v_cndmask_b32_e64 v1, v1, 1, s[6:7]
	v_cndmask_b32_e64 v3, v9, v3, s[6:7]
	;; [unrolled: 1-line block ×3, first 2 shown]
                                        ; implicit-def: $vgpr8_vgpr9
; %bb.154:
	s_andn2_saveexec_b64 s[8:9], s[8:9]
; %bb.155:
	v_cmp_lt_i64_e64 s[6:7], v[8:9], v[2:3]
	v_mov_b32_e32 v1, 1
	s_nop 0
	v_cndmask_b32_e64 v3, v3, v9, s[6:7]
	v_cndmask_b32_e64 v2, v2, v8, s[6:7]
; %bb.156:
	s_or_b64 exec, exec, s[8:9]
	s_or_b64 exec, exec, s[10:11]
	s_and_saveexec_b64 s[8:9], s[4:5]
	s_cbranch_execz .LBB591_61
.LBB591_157:
	v_and_b32_e32 v1, 1, v1
	v_cmp_eq_u32_e64 s[4:5], 1, v1
	v_and_b32_e32 v1, 1, v13
	v_cmp_eq_u32_e64 s[6:7], 1, v1
	s_and_b64 s[6:7], s[4:5], s[6:7]
	s_xor_b64 s[6:7], s[6:7], -1
                                        ; implicit-def: $vgpr1
	s_and_saveexec_b64 s[10:11], s[6:7]
	s_xor_b64 s[6:7], exec, s[10:11]
; %bb.158:
	v_and_b32_e32 v1, 0xffff, v13
	v_cndmask_b32_e64 v1, v1, 1, s[4:5]
	v_cndmask_b32_e64 v3, v7, v3, s[4:5]
	;; [unrolled: 1-line block ×3, first 2 shown]
                                        ; implicit-def: $vgpr6_vgpr7
; %bb.159:
	s_andn2_saveexec_b64 s[6:7], s[6:7]
; %bb.160:
	v_cmp_lt_i64_e64 s[4:5], v[6:7], v[2:3]
	v_mov_b32_e32 v1, 1
	s_nop 0
	v_cndmask_b32_e64 v3, v3, v7, s[4:5]
	v_cndmask_b32_e64 v2, v2, v6, s[4:5]
; %bb.161:
	s_or_b64 exec, exec, s[6:7]
	s_or_b64 exec, exec, s[8:9]
	s_and_saveexec_b64 s[6:7], vcc
	s_cbranch_execz .LBB591_167
.LBB591_162:
	v_and_b32_e32 v1, 1, v1
	v_cmp_eq_u32_e32 vcc, 1, v1
	v_and_b32_e32 v1, 1, v12
	v_cmp_eq_u32_e64 s[4:5], 1, v1
	s_and_b64 s[4:5], vcc, s[4:5]
	s_xor_b64 s[4:5], s[4:5], -1
                                        ; implicit-def: $vgpr1
	s_and_saveexec_b64 s[8:9], s[4:5]
	s_xor_b64 s[4:5], exec, s[8:9]
; %bb.163:
	v_and_b32_e32 v1, 0xffff, v12
	v_cndmask_b32_e64 v1, v1, 1, vcc
	v_cndmask_b32_e32 v3, v5, v3, vcc
	v_cndmask_b32_e32 v2, v4, v2, vcc
                                        ; implicit-def: $vgpr4_vgpr5
; %bb.164:
	s_andn2_saveexec_b64 s[4:5], s[4:5]
; %bb.165:
	v_cmp_lt_i64_e32 vcc, v[4:5], v[2:3]
	v_mov_b32_e32 v1, 1
	s_nop 0
	v_cndmask_b32_e32 v3, v3, v5, vcc
	v_cndmask_b32_e32 v2, v2, v4, vcc
; %bb.166:
	s_or_b64 exec, exec, s[4:5]
.LBB591_167:
	s_or_b64 exec, exec, s[6:7]
	v_mbcnt_lo_u32_b32 v4, -1, 0
	v_mbcnt_hi_u32_b32 v6, -1, v4
	v_and_b32_e32 v7, 63, v6
	v_cmp_ne_u32_e32 vcc, 63, v7
	s_min_u32 s8, s30, 0x80
	v_and_b32_e32 v8, 64, v0
	v_addc_co_u32_e32 v4, vcc, 0, v6, vcc
	v_lshlrev_b32_e32 v5, 2, v4
	ds_bpermute_b32 v9, v5, v1
	ds_bpermute_b32 v4, v5, v2
	;; [unrolled: 1-line block ×3, first 2 shown]
	v_sub_u32_e64 v8, s8, v8 clamp
	v_add_u32_e32 v10, 1, v7
	v_cmp_lt_u32_e32 vcc, v10, v8
	s_and_saveexec_b64 s[4:5], vcc
	s_xor_b64 s[4:5], exec, s[4:5]
	s_cbranch_execz .LBB591_173
; %bb.168:
	s_waitcnt lgkmcnt(2)
	v_and_b32_e32 v10, v9, v1
	v_cmp_ne_u32_e32 vcc, 0, v10
	s_and_saveexec_b64 s[6:7], vcc
	s_xor_b64 s[6:7], exec, s[6:7]
	s_cbranch_execz .LBB591_170
; %bb.169:
	s_waitcnt lgkmcnt(0)
	v_cmp_lt_i64_e32 vcc, v[4:5], v[2:3]
                                        ; implicit-def: $vgpr1
                                        ; implicit-def: $vgpr9
	s_nop 1
	v_cndmask_b32_e32 v3, v3, v5, vcc
	v_cndmask_b32_e32 v2, v2, v4, vcc
                                        ; implicit-def: $vgpr4_vgpr5
.LBB591_170:
	s_or_saveexec_b64 s[6:7], s[6:7]
	v_mov_b32_e32 v10, 1
	s_xor_b64 exec, exec, s[6:7]
	s_cbranch_execz .LBB591_172
; %bb.171:
	v_and_b32_e32 v1, 1, v1
	v_cmp_eq_u32_e32 vcc, 1, v1
	v_and_b32_e32 v1, 0xff, v9
	s_waitcnt lgkmcnt(0)
	v_cndmask_b32_e32 v3, v5, v3, vcc
	v_cndmask_b32_e32 v2, v4, v2, vcc
	v_cndmask_b32_e64 v10, v1, 1, vcc
.LBB591_172:
	s_or_b64 exec, exec, s[6:7]
	v_mov_b32_e32 v1, v10
.LBB591_173:
	s_or_b64 exec, exec, s[4:5]
	v_cmp_gt_u32_e32 vcc, 62, v7
	v_add_u32_e32 v10, 2, v7
	s_waitcnt lgkmcnt(1)
	v_cndmask_b32_e64 v4, 0, 2, vcc
	s_waitcnt lgkmcnt(0)
	v_add_lshl_u32 v5, v4, v6, 2
	ds_bpermute_b32 v9, v5, v1
	ds_bpermute_b32 v4, v5, v2
	ds_bpermute_b32 v5, v5, v3
	v_cmp_lt_u32_e32 vcc, v10, v8
	s_and_saveexec_b64 s[4:5], vcc
	s_cbranch_execz .LBB591_179
; %bb.174:
	s_waitcnt lgkmcnt(2)
	v_and_b32_e32 v10, v1, v9
	v_and_b32_e32 v10, 1, v10
	v_cmp_eq_u32_e32 vcc, 1, v10
	s_and_saveexec_b64 s[6:7], vcc
	s_xor_b64 s[6:7], exec, s[6:7]
	s_cbranch_execz .LBB591_176
; %bb.175:
	s_waitcnt lgkmcnt(0)
	v_cmp_lt_i64_e32 vcc, v[4:5], v[2:3]
                                        ; implicit-def: $vgpr1
                                        ; implicit-def: $vgpr9
	s_nop 1
	v_cndmask_b32_e32 v3, v3, v5, vcc
	v_cndmask_b32_e32 v2, v2, v4, vcc
                                        ; implicit-def: $vgpr4_vgpr5
.LBB591_176:
	s_or_saveexec_b64 s[6:7], s[6:7]
	v_mov_b32_e32 v10, 1
	s_xor_b64 exec, exec, s[6:7]
	s_cbranch_execz .LBB591_178
; %bb.177:
	v_and_b32_e32 v1, 1, v1
	v_cmp_eq_u32_e32 vcc, 1, v1
	v_and_b32_e32 v1, 0xff, v9
	s_waitcnt lgkmcnt(0)
	v_cndmask_b32_e32 v3, v5, v3, vcc
	v_cndmask_b32_e32 v2, v4, v2, vcc
	v_cndmask_b32_e64 v10, v1, 1, vcc
.LBB591_178:
	s_or_b64 exec, exec, s[6:7]
	v_mov_b32_e32 v1, v10
.LBB591_179:
	s_or_b64 exec, exec, s[4:5]
	v_cmp_gt_u32_e32 vcc, 60, v7
	v_add_u32_e32 v10, 4, v7
	s_waitcnt lgkmcnt(1)
	v_cndmask_b32_e64 v4, 0, 4, vcc
	s_waitcnt lgkmcnt(0)
	v_add_lshl_u32 v5, v4, v6, 2
	ds_bpermute_b32 v9, v5, v1
	ds_bpermute_b32 v4, v5, v2
	ds_bpermute_b32 v5, v5, v3
	v_cmp_lt_u32_e32 vcc, v10, v8
	s_and_saveexec_b64 s[4:5], vcc
	s_cbranch_execz .LBB591_185
; %bb.180:
	s_waitcnt lgkmcnt(2)
	v_and_b32_e32 v10, v1, v9
	v_and_b32_e32 v10, 1, v10
	v_cmp_eq_u32_e32 vcc, 1, v10
	s_and_saveexec_b64 s[6:7], vcc
	s_xor_b64 s[6:7], exec, s[6:7]
	s_cbranch_execz .LBB591_182
; %bb.181:
	s_waitcnt lgkmcnt(0)
	v_cmp_lt_i64_e32 vcc, v[4:5], v[2:3]
                                        ; implicit-def: $vgpr1
                                        ; implicit-def: $vgpr9
	s_nop 1
	v_cndmask_b32_e32 v3, v3, v5, vcc
	v_cndmask_b32_e32 v2, v2, v4, vcc
                                        ; implicit-def: $vgpr4_vgpr5
.LBB591_182:
	s_or_saveexec_b64 s[6:7], s[6:7]
	v_mov_b32_e32 v10, 1
	s_xor_b64 exec, exec, s[6:7]
	s_cbranch_execz .LBB591_184
; %bb.183:
	v_and_b32_e32 v1, 1, v1
	v_cmp_eq_u32_e32 vcc, 1, v1
	v_and_b32_e32 v1, 0xff, v9
	s_waitcnt lgkmcnt(0)
	v_cndmask_b32_e32 v3, v5, v3, vcc
	v_cndmask_b32_e32 v2, v4, v2, vcc
	v_cndmask_b32_e64 v10, v1, 1, vcc
.LBB591_184:
	s_or_b64 exec, exec, s[6:7]
	v_mov_b32_e32 v1, v10
.LBB591_185:
	;; [unrolled: 47-line block ×4, first 2 shown]
	s_or_b64 exec, exec, s[4:5]
	s_waitcnt lgkmcnt(2)
	v_lshlrev_b32_e32 v9, 2, v6
	s_waitcnt lgkmcnt(0)
	v_or_b32_e32 v5, 0x80, v9
	ds_bpermute_b32 v10, v5, v1
	ds_bpermute_b32 v4, v5, v2
	;; [unrolled: 1-line block ×3, first 2 shown]
	v_add_u32_e32 v7, 32, v7
	v_cmp_lt_u32_e32 vcc, v7, v8
	v_mov_b32_e32 v7, v1
	s_and_saveexec_b64 s[4:5], vcc
	s_cbranch_execz .LBB591_203
; %bb.198:
	s_waitcnt lgkmcnt(2)
	v_and_b32_e32 v7, v1, v10
	v_and_b32_e32 v7, 1, v7
	v_cmp_eq_u32_e32 vcc, 1, v7
	s_and_saveexec_b64 s[6:7], vcc
	s_xor_b64 s[6:7], exec, s[6:7]
	s_cbranch_execz .LBB591_200
; %bb.199:
	s_waitcnt lgkmcnt(0)
	v_cmp_lt_i64_e32 vcc, v[4:5], v[2:3]
                                        ; implicit-def: $vgpr1
                                        ; implicit-def: $vgpr10
	s_nop 1
	v_cndmask_b32_e32 v3, v3, v5, vcc
	v_cndmask_b32_e32 v2, v2, v4, vcc
                                        ; implicit-def: $vgpr4_vgpr5
.LBB591_200:
	s_or_saveexec_b64 s[6:7], s[6:7]
	v_mov_b32_e32 v7, 1
	s_xor_b64 exec, exec, s[6:7]
	s_cbranch_execz .LBB591_202
; %bb.201:
	v_and_b32_e32 v1, 1, v1
	v_cmp_eq_u32_e32 vcc, 1, v1
	s_nop 1
	v_cndmask_b32_e64 v7, v10, 1, vcc
	s_waitcnt lgkmcnt(0)
	v_cndmask_b32_e32 v3, v5, v3, vcc
	v_cndmask_b32_e32 v2, v4, v2, vcc
.LBB591_202:
	s_or_b64 exec, exec, s[6:7]
	v_and_b32_e32 v1, 0xff, v7
.LBB591_203:
	s_or_b64 exec, exec, s[4:5]
	v_cmp_eq_u32_e32 vcc, 0, v6
	s_and_saveexec_b64 s[4:5], vcc
	s_cbranch_execz .LBB591_205
; %bb.204:
	s_waitcnt lgkmcnt(1)
	v_lshrrev_b32_e32 v4, 2, v0
	v_and_b32_e32 v4, 16, v4
	ds_write_b8 v4, v7 offset:128
	ds_write_b64 v4, v[2:3] offset:136
.LBB591_205:
	s_or_b64 exec, exec, s[4:5]
	v_cmp_gt_u32_e32 vcc, 2, v0
	s_waitcnt lgkmcnt(0)
	s_barrier
	s_and_saveexec_b64 s[4:5], vcc
	s_cbranch_execz .LBB591_213
; %bb.206:
	v_lshlrev_b32_e32 v1, 4, v6
	ds_read_u8 v7, v1 offset:128
	ds_read_b64 v[2:3], v1 offset:136
	v_or_b32_e32 v5, 4, v9
	s_add_i32 s8, s8, 63
	v_and_b32_e32 v6, 1, v6
	s_waitcnt lgkmcnt(1)
	v_and_b32_e32 v1, 0xff, v7
	s_waitcnt lgkmcnt(0)
	ds_bpermute_b32 v4, v5, v2
	ds_bpermute_b32 v8, v5, v1
	;; [unrolled: 1-line block ×3, first 2 shown]
	s_lshr_b32 s6, s8, 6
	v_add_u32_e32 v6, 1, v6
	v_cmp_gt_u32_e32 vcc, s6, v6
	s_and_saveexec_b64 s[6:7], vcc
	s_cbranch_execz .LBB591_212
; %bb.207:
	s_waitcnt lgkmcnt(1)
	v_and_b32_e32 v1, v1, v8
	v_and_b32_e32 v1, 1, v1
	v_cmp_eq_u32_e32 vcc, 1, v1
	s_and_saveexec_b64 s[8:9], vcc
	s_xor_b64 s[8:9], exec, s[8:9]
	s_cbranch_execz .LBB591_209
; %bb.208:
	s_waitcnt lgkmcnt(0)
	v_cmp_lt_i64_e32 vcc, v[4:5], v[2:3]
                                        ; implicit-def: $vgpr7
                                        ; implicit-def: $vgpr8
	s_nop 1
	v_cndmask_b32_e32 v3, v3, v5, vcc
	v_cndmask_b32_e32 v2, v2, v4, vcc
                                        ; implicit-def: $vgpr4_vgpr5
.LBB591_209:
	s_or_saveexec_b64 s[8:9], s[8:9]
	v_mov_b32_e32 v1, 1
	s_xor_b64 exec, exec, s[8:9]
	s_cbranch_execz .LBB591_211
; %bb.210:
	v_and_b32_e32 v1, 1, v7
	v_cmp_eq_u32_e32 vcc, 1, v1
	s_waitcnt lgkmcnt(0)
	s_nop 0
	v_cndmask_b32_e32 v3, v5, v3, vcc
	v_cndmask_b32_e32 v2, v4, v2, vcc
	v_cndmask_b32_e64 v1, v8, 1, vcc
.LBB591_211:
	s_or_b64 exec, exec, s[8:9]
.LBB591_212:
	s_or_b64 exec, exec, s[6:7]
.LBB591_213:
	s_or_b64 exec, exec, s[4:5]
.LBB591_214:
	v_cmp_eq_u32_e32 vcc, 0, v0
                                        ; implicit-def: $vgpr4_vgpr5
                                        ; implicit-def: $vgpr6
	s_and_saveexec_b64 s[4:5], vcc
	s_xor_b64 s[8:9], exec, s[4:5]
	s_cbranch_execz .LBB591_218
; %bb.215:
	s_cmp_eq_u64 s[22:23], 0
	s_waitcnt lgkmcnt(0)
	v_mov_b64_e32 v[4:5], s[18:19]
	v_mov_b32_e32 v6, s33
	s_cbranch_scc1 .LBB591_217
; %bb.216:
	s_bitcmp1_b32 s33, 0
	v_and_b32_e32 v4, 1, v1
	v_cmp_eq_u32_e32 vcc, 1, v4
	v_cmp_gt_i64_e64 s[4:5], s[18:19], v[2:3]
	s_cselect_b64 s[6:7], -1, 0
	v_cndmask_b32_e64 v6, v1, 1, s[6:7]
	v_mov_b32_e32 v1, s18
	s_and_b64 vcc, vcc, s[4:5]
	v_mov_b32_e32 v4, s19
	v_cndmask_b32_e32 v1, v1, v2, vcc
	v_cndmask_b32_e32 v4, v4, v3, vcc
	v_cndmask_b32_e64 v5, v3, v4, s[6:7]
	v_cndmask_b32_e64 v4, v2, v1, s[6:7]
.LBB591_217:
	s_or_b64 s[12:13], s[12:13], exec
.LBB591_218:
	s_or_b64 exec, exec, s[8:9]
	v_mov_b64_e32 v[2:3], s[2:3]
	s_branch .LBB591_306
.LBB591_219:
	s_cmp_gt_i32 s38, 1
	s_cbranch_scc0 .LBB591_231
; %bb.220:
	s_cmp_eq_u32 s38, 2
	s_cbranch_scc0 .LBB591_232
; %bb.221:
	s_mov_b32 s3, 0
	s_lshl_b32 s30, s2, 8
	s_mov_b32 s31, s3
	s_lshr_b64 s[4:5], s[22:23], 8
	s_lshl_b64 s[6:7], s[30:31], 3
	s_add_u32 s14, s24, s6
	s_addc_u32 s15, s25, s7
	s_add_u32 s16, s26, s6
	s_addc_u32 s17, s27, s7
	;; [unrolled: 2-line block ×3, first 2 shown]
	s_cmp_lg_u64 s[4:5], s[2:3]
	s_cbranch_scc0 .LBB591_233
; %bb.222:
	v_lshlrev_b32_e32 v1, 3, v0
	global_load_dwordx2 v[2:3], v1, s[16:17]
	s_waitcnt lgkmcnt(0)
	global_load_dwordx2 v[4:5], v1, s[16:17] offset:1024
	global_load_dwordx2 v[8:9], v1, s[14:15] offset:1024
	global_load_dwordx2 v[10:11], v1, s[14:15]
	v_mov_b32_e32 v1, 0
	s_mov_b64 s[4:5], 0x80
	v_lshl_add_u64 v[12:13], s[28:29], 0, v[0:1]
	v_lshl_add_u64 v[14:15], v[12:13], 0, s[4:5]
	v_mbcnt_lo_u32_b32 v6, -1, 0
	v_mbcnt_hi_u32_b32 v1, -1, v6
	v_lshlrev_b32_e32 v6, 2, v1
	v_or_b32_e32 v7, 0xfc, v6
	s_waitcnt vmcnt(1)
	v_cmp_ne_u64_e32 vcc, v[8:9], v[4:5]
	s_waitcnt vmcnt(0)
	v_cmp_ne_u64_e64 s[4:5], v[10:11], v[2:3]
	s_nop 1
	v_cndmask_b32_e64 v3, v15, v13, s[4:5]
	v_cndmask_b32_e64 v2, v14, v12, s[4:5]
	s_or_b64 s[4:5], s[4:5], vcc
	v_cndmask_b32_e64 v8, 0, 1, s[4:5]
	v_mov_b32_dpp v5, v3 quad_perm:[1,0,3,2] row_mask:0xf bank_mask:0xf bound_ctrl:1
	v_mov_b32_dpp v4, v2 quad_perm:[1,0,3,2] row_mask:0xf bank_mask:0xf bound_ctrl:1
	;; [unrolled: 1-line block ×3, first 2 shown]
	v_cmp_lt_i64_e32 vcc, v[2:3], v[4:5]
	v_and_b32_e32 v9, 1, v9
	s_and_b64 vcc, s[4:5], vcc
	v_cndmask_b32_e32 v4, v4, v2, vcc
	v_cndmask_b32_e32 v5, v5, v3, vcc
	v_cmp_eq_u32_e32 vcc, 1, v9
	s_nop 1
	v_cndmask_b32_e32 v3, v3, v5, vcc
	v_cndmask_b32_e32 v2, v2, v4, vcc
	v_cndmask_b32_e64 v8, v8, 1, vcc
	v_mov_b32_dpp v5, v3 quad_perm:[2,3,0,1] row_mask:0xf bank_mask:0xf bound_ctrl:1
	v_mov_b32_dpp v4, v2 quad_perm:[2,3,0,1] row_mask:0xf bank_mask:0xf bound_ctrl:1
	v_and_b32_e32 v10, 1, v8
	v_mov_b32_dpp v9, v8 quad_perm:[2,3,0,1] row_mask:0xf bank_mask:0xf bound_ctrl:1
	v_cmp_eq_u32_e32 vcc, 1, v10
	v_cmp_lt_i64_e64 s[4:5], v[2:3], v[4:5]
	v_and_b32_e32 v9, 1, v9
	s_and_b64 vcc, vcc, s[4:5]
	v_cmp_eq_u32_e64 s[6:7], 1, v9
	v_cndmask_b32_e32 v4, v4, v2, vcc
	v_cndmask_b32_e32 v5, v5, v3, vcc
	v_cndmask_b32_e64 v8, v8, 1, s[6:7]
	v_cndmask_b32_e64 v2, v2, v4, s[6:7]
	;; [unrolled: 1-line block ×3, first 2 shown]
	v_and_b32_e32 v10, 1, v8
	v_mov_b32_dpp v4, v2 row_ror:4 row_mask:0xf bank_mask:0xf bound_ctrl:1
	v_mov_b32_dpp v5, v3 row_ror:4 row_mask:0xf bank_mask:0xf bound_ctrl:1
	;; [unrolled: 1-line block ×3, first 2 shown]
	v_cmp_eq_u32_e32 vcc, 1, v10
	v_cmp_lt_i64_e64 s[6:7], v[2:3], v[4:5]
	v_and_b32_e32 v9, 1, v9
	s_and_b64 vcc, vcc, s[6:7]
	v_cmp_eq_u32_e64 s[4:5], 1, v9
	v_cndmask_b32_e32 v4, v4, v2, vcc
	v_cndmask_b32_e32 v5, v5, v3, vcc
	v_cndmask_b32_e64 v8, v8, 1, s[4:5]
	v_cndmask_b32_e64 v2, v2, v4, s[4:5]
	;; [unrolled: 1-line block ×3, first 2 shown]
	v_and_b32_e32 v10, 1, v8
	v_mov_b32_dpp v4, v2 row_ror:8 row_mask:0xf bank_mask:0xf bound_ctrl:1
	v_mov_b32_dpp v5, v3 row_ror:8 row_mask:0xf bank_mask:0xf bound_ctrl:1
	;; [unrolled: 1-line block ×3, first 2 shown]
	v_cmp_eq_u32_e64 s[6:7], 1, v10
	v_cmp_lt_i64_e64 s[8:9], v[2:3], v[4:5]
	v_and_b32_e32 v9, 1, v9
	s_and_b64 s[6:7], s[6:7], s[8:9]
	v_cmp_eq_u32_e32 vcc, 1, v9
	v_cndmask_b32_e64 v4, v4, v2, s[6:7]
	v_cndmask_b32_e64 v5, v5, v3, s[6:7]
	v_cndmask_b32_e64 v8, v8, 1, vcc
	v_cndmask_b32_e32 v2, v2, v4, vcc
	v_cndmask_b32_e32 v3, v3, v5, vcc
	v_and_b32_e32 v10, 1, v8
	v_mov_b32_dpp v4, v2 row_bcast:15 row_mask:0xf bank_mask:0xf bound_ctrl:1
	v_mov_b32_dpp v5, v3 row_bcast:15 row_mask:0xf bank_mask:0xf bound_ctrl:1
	;; [unrolled: 1-line block ×3, first 2 shown]
	v_cmp_eq_u32_e64 s[4:5], 1, v10
	v_cmp_lt_i64_e64 s[8:9], v[2:3], v[4:5]
	v_and_b32_e32 v9, 1, v9
	s_and_b64 s[4:5], s[4:5], s[8:9]
	v_cmp_eq_u32_e64 s[10:11], 1, v9
	v_cndmask_b32_e64 v4, v4, v2, s[4:5]
	v_cndmask_b32_e64 v5, v5, v3, s[4:5]
	;; [unrolled: 1-line block ×5, first 2 shown]
	v_and_b32_e32 v10, 1, v8
	v_mov_b32_dpp v4, v2 row_bcast:31 row_mask:0xf bank_mask:0xf bound_ctrl:1
	v_mov_b32_dpp v5, v3 row_bcast:31 row_mask:0xf bank_mask:0xf bound_ctrl:1
	;; [unrolled: 1-line block ×3, first 2 shown]
	v_cmp_eq_u32_e64 s[6:7], 1, v10
	v_cmp_lt_i64_e64 s[4:5], v[2:3], v[4:5]
	v_and_b32_e32 v9, 1, v9
	s_and_b64 s[4:5], s[6:7], s[4:5]
	v_cmp_eq_u32_e32 vcc, 1, v9
	v_cndmask_b32_e64 v4, v4, v2, s[4:5]
	v_cndmask_b32_e64 v5, v5, v3, s[4:5]
	v_cndmask_b32_e64 v8, v8, 1, vcc
	v_cndmask_b32_e32 v2, v2, v4, vcc
	v_cndmask_b32_e32 v3, v3, v5, vcc
	ds_bpermute_b32 v8, v7, v8
	ds_bpermute_b32 v2, v7, v2
	;; [unrolled: 1-line block ×3, first 2 shown]
	v_cmp_eq_u32_e32 vcc, 0, v1
	s_and_saveexec_b64 s[4:5], vcc
	s_cbranch_execz .LBB591_224
; %bb.223:
	v_lshrrev_b32_e32 v4, 2, v0
	v_and_b32_e32 v4, 16, v4
	s_waitcnt lgkmcnt(2)
	ds_write_b8 v4, v8 offset:32
	s_waitcnt lgkmcnt(1)
	ds_write_b64 v4, v[2:3] offset:40
.LBB591_224:
	s_or_b64 exec, exec, s[4:5]
	v_cmp_gt_u32_e32 vcc, 64, v0
	s_waitcnt lgkmcnt(0)
	s_barrier
	s_and_saveexec_b64 s[4:5], vcc
	s_cbranch_execz .LBB591_230
; %bb.225:
	v_and_b32_e32 v1, 1, v1
	v_lshlrev_b32_e32 v2, 4, v1
	ds_read_u8 v1, v2 offset:32
	ds_read_b64 v[4:5], v2 offset:40
	v_or_b32_e32 v3, 4, v6
	s_waitcnt lgkmcnt(1)
	v_and_b32_e32 v2, 0xff, v1
	ds_bpermute_b32 v9, v3, v2
	s_waitcnt lgkmcnt(1)
	ds_bpermute_b32 v6, v3, v4
	ds_bpermute_b32 v7, v3, v5
	s_waitcnt lgkmcnt(2)
	v_and_b32_e32 v2, v1, v9
	v_and_b32_e32 v2, 1, v2
	v_cmp_eq_u32_e32 vcc, 1, v2
                                        ; implicit-def: $vgpr2_vgpr3
	s_and_saveexec_b64 s[6:7], vcc
	s_xor_b64 s[6:7], exec, s[6:7]
	s_cbranch_execz .LBB591_227
; %bb.226:
	s_waitcnt lgkmcnt(0)
	v_cmp_lt_i64_e32 vcc, v[6:7], v[4:5]
                                        ; implicit-def: $vgpr1
                                        ; implicit-def: $vgpr9
	s_nop 1
	v_cndmask_b32_e32 v3, v5, v7, vcc
	v_cndmask_b32_e32 v2, v4, v6, vcc
                                        ; implicit-def: $vgpr6_vgpr7
                                        ; implicit-def: $vgpr4_vgpr5
.LBB591_227:
	s_or_saveexec_b64 s[6:7], s[6:7]
	v_mov_b32_e32 v8, 1
	s_xor_b64 exec, exec, s[6:7]
	s_cbranch_execz .LBB591_229
; %bb.228:
	v_and_b32_e32 v1, 1, v1
	v_cmp_eq_u32_e32 vcc, 1, v1
	s_waitcnt lgkmcnt(0)
	s_nop 0
	v_cndmask_b32_e32 v3, v7, v5, vcc
	v_cndmask_b32_e32 v2, v6, v4, vcc
	v_cndmask_b32_e64 v8, v9, 1, vcc
.LBB591_229:
	s_or_b64 exec, exec, s[6:7]
.LBB591_230:
	s_or_b64 exec, exec, s[4:5]
	s_branch .LBB591_285
.LBB591_231:
                                        ; implicit-def: $vgpr4_vgpr5
                                        ; implicit-def: $vgpr6
                                        ; implicit-def: $vgpr2_vgpr3
	s_cbranch_execnz .LBB591_290
	s_branch .LBB591_306
.LBB591_232:
                                        ; implicit-def: $vgpr4_vgpr5
                                        ; implicit-def: $vgpr6
                                        ; implicit-def: $vgpr2_vgpr3
	s_branch .LBB591_306
.LBB591_233:
                                        ; implicit-def: $vgpr2_vgpr3
                                        ; implicit-def: $vgpr8
	s_cbranch_execz .LBB591_285
; %bb.234:
	s_sub_i32 s10, s22, s30
	v_cmp_gt_u32_e32 vcc, s10, v0
	s_waitcnt lgkmcnt(0)
	v_mov_b32_e32 v7, 0
	v_mov_b64_e32 v[4:5], 0
	v_mov_b64_e32 v[2:3], 0
	v_mov_b32_e32 v1, 0
	s_and_saveexec_b64 s[4:5], vcc
	s_cbranch_execz .LBB591_236
; %bb.235:
	v_lshlrev_b32_e32 v1, 3, v0
	global_load_dwordx2 v[8:9], v1, s[14:15]
	global_load_dwordx2 v[10:11], v1, s[16:17]
	v_mov_b32_e32 v1, 0
	v_lshl_add_u64 v[2:3], s[28:29], 0, v[0:1]
	s_waitcnt vmcnt(0)
	v_cmp_ne_u64_e32 vcc, v[8:9], v[10:11]
	s_nop 1
	v_cndmask_b32_e64 v1, 0, 1, vcc
.LBB591_236:
	s_or_b64 exec, exec, s[4:5]
	v_or_b32_e32 v6, 0x80, v0
	v_cmp_gt_u32_e32 vcc, s10, v6
	s_and_saveexec_b64 s[6:7], vcc
	s_cbranch_execz .LBB591_238
; %bb.237:
	v_lshlrev_b32_e32 v4, 3, v0
	global_load_dwordx2 v[8:9], v4, s[14:15] offset:1024
	global_load_dwordx2 v[10:11], v4, s[16:17] offset:1024
	v_mov_b32_e32 v7, 0
	v_lshl_add_u64 v[4:5], s[28:29], 0, v[6:7]
	s_waitcnt vmcnt(0)
	v_cmp_ne_u64_e64 s[4:5], v[8:9], v[10:11]
	s_nop 1
	v_cndmask_b32_e64 v7, 0, 1, s[4:5]
.LBB591_238:
	s_or_b64 exec, exec, s[6:7]
	v_and_b32_e32 v8, 0xffff, v7
	v_and_b32_e32 v7, 1, v7
	;; [unrolled: 1-line block ×3, first 2 shown]
	v_cmp_eq_u32_e64 s[4:5], 1, v7
	v_and_b32_e32 v1, 1, v1
	v_cmp_lt_i64_e64 s[6:7], v[4:5], v[2:3]
	v_cmp_eq_u32_e64 s[8:9], 1, v1
	s_and_b64 s[4:5], s[4:5], s[6:7]
	v_cndmask_b32_e64 v7, v3, v5, s[4:5]
	v_cndmask_b32_e64 v1, v8, 1, s[8:9]
	;; [unrolled: 1-line block ×4, first 2 shown]
	v_cndmask_b32_e32 v8, v6, v1, vcc
	v_mbcnt_lo_u32_b32 v1, -1, 0
	v_mbcnt_hi_u32_b32 v1, -1, v1
	v_cndmask_b32_e64 v5, v5, v7, s[8:9]
	v_and_b32_e32 v6, 63, v1
	v_cndmask_b32_e32 v3, v3, v5, vcc
	v_cndmask_b32_e32 v2, v2, v4, vcc
	v_cmp_ne_u32_e32 vcc, 63, v6
	s_min_u32 s8, s10, 0x80
	v_and_b32_e32 v7, 64, v0
	v_addc_co_u32_e32 v4, vcc, 0, v1, vcc
	v_lshlrev_b32_e32 v5, 2, v4
	ds_bpermute_b32 v9, v5, v8
	ds_bpermute_b32 v4, v5, v2
	;; [unrolled: 1-line block ×3, first 2 shown]
	v_sub_u32_e64 v7, s8, v7 clamp
	v_add_u32_e32 v10, 1, v6
	v_cmp_lt_u32_e32 vcc, v10, v7
	s_and_saveexec_b64 s[4:5], vcc
	s_cbranch_execz .LBB591_244
; %bb.239:
	s_waitcnt lgkmcnt(2)
	v_and_b32_e32 v10, v9, v8
	v_cmp_ne_u32_e32 vcc, 0, v10
	s_and_saveexec_b64 s[6:7], vcc
	s_xor_b64 s[6:7], exec, s[6:7]
	s_cbranch_execz .LBB591_241
; %bb.240:
	s_waitcnt lgkmcnt(0)
	v_cmp_lt_i64_e32 vcc, v[4:5], v[2:3]
                                        ; implicit-def: $vgpr8
                                        ; implicit-def: $vgpr9
	s_nop 1
	v_cndmask_b32_e32 v3, v3, v5, vcc
	v_cndmask_b32_e32 v2, v2, v4, vcc
                                        ; implicit-def: $vgpr4_vgpr5
.LBB591_241:
	s_or_saveexec_b64 s[6:7], s[6:7]
	v_mov_b32_e32 v10, 1
	s_xor_b64 exec, exec, s[6:7]
	s_cbranch_execz .LBB591_243
; %bb.242:
	v_and_b32_e32 v8, 1, v8
	v_cmp_eq_u32_e32 vcc, 1, v8
	s_waitcnt lgkmcnt(1)
	s_nop 0
	v_cndmask_b32_e32 v2, v4, v2, vcc
	v_and_b32_e32 v4, 0xff, v9
	s_waitcnt lgkmcnt(0)
	v_cndmask_b32_e32 v3, v5, v3, vcc
	v_cndmask_b32_e64 v10, v4, 1, vcc
.LBB591_243:
	s_or_b64 exec, exec, s[6:7]
	v_mov_b32_e32 v8, v10
.LBB591_244:
	s_or_b64 exec, exec, s[4:5]
	v_cmp_gt_u32_e32 vcc, 62, v6
	v_add_u32_e32 v10, 2, v6
	s_waitcnt lgkmcnt(1)
	v_cndmask_b32_e64 v4, 0, 2, vcc
	s_waitcnt lgkmcnt(0)
	v_add_lshl_u32 v5, v4, v1, 2
	ds_bpermute_b32 v9, v5, v8
	ds_bpermute_b32 v4, v5, v2
	ds_bpermute_b32 v5, v5, v3
	v_cmp_lt_u32_e32 vcc, v10, v7
	s_and_saveexec_b64 s[4:5], vcc
	s_cbranch_execz .LBB591_250
; %bb.245:
	s_waitcnt lgkmcnt(2)
	v_and_b32_e32 v10, v8, v9
	v_and_b32_e32 v10, 1, v10
	v_cmp_eq_u32_e32 vcc, 1, v10
	s_and_saveexec_b64 s[6:7], vcc
	s_xor_b64 s[6:7], exec, s[6:7]
	s_cbranch_execz .LBB591_247
; %bb.246:
	s_waitcnt lgkmcnt(0)
	v_cmp_lt_i64_e32 vcc, v[4:5], v[2:3]
                                        ; implicit-def: $vgpr8
                                        ; implicit-def: $vgpr9
	s_nop 1
	v_cndmask_b32_e32 v3, v3, v5, vcc
	v_cndmask_b32_e32 v2, v2, v4, vcc
                                        ; implicit-def: $vgpr4_vgpr5
.LBB591_247:
	s_or_saveexec_b64 s[6:7], s[6:7]
	v_mov_b32_e32 v10, 1
	s_xor_b64 exec, exec, s[6:7]
	s_cbranch_execz .LBB591_249
; %bb.248:
	v_and_b32_e32 v8, 1, v8
	v_cmp_eq_u32_e32 vcc, 1, v8
	s_waitcnt lgkmcnt(1)
	s_nop 0
	v_cndmask_b32_e32 v2, v4, v2, vcc
	v_and_b32_e32 v4, 0xff, v9
	s_waitcnt lgkmcnt(0)
	v_cndmask_b32_e32 v3, v5, v3, vcc
	v_cndmask_b32_e64 v10, v4, 1, vcc
.LBB591_249:
	s_or_b64 exec, exec, s[6:7]
	v_mov_b32_e32 v8, v10
.LBB591_250:
	s_or_b64 exec, exec, s[4:5]
	v_cmp_gt_u32_e32 vcc, 60, v6
	v_add_u32_e32 v10, 4, v6
	s_waitcnt lgkmcnt(1)
	v_cndmask_b32_e64 v4, 0, 4, vcc
	s_waitcnt lgkmcnt(0)
	v_add_lshl_u32 v5, v4, v1, 2
	ds_bpermute_b32 v9, v5, v8
	ds_bpermute_b32 v4, v5, v2
	ds_bpermute_b32 v5, v5, v3
	v_cmp_lt_u32_e32 vcc, v10, v7
	s_and_saveexec_b64 s[4:5], vcc
	s_cbranch_execz .LBB591_256
; %bb.251:
	s_waitcnt lgkmcnt(2)
	v_and_b32_e32 v10, v8, v9
	v_and_b32_e32 v10, 1, v10
	v_cmp_eq_u32_e32 vcc, 1, v10
	s_and_saveexec_b64 s[6:7], vcc
	s_xor_b64 s[6:7], exec, s[6:7]
	s_cbranch_execz .LBB591_253
; %bb.252:
	s_waitcnt lgkmcnt(0)
	v_cmp_lt_i64_e32 vcc, v[4:5], v[2:3]
                                        ; implicit-def: $vgpr8
                                        ; implicit-def: $vgpr9
	s_nop 1
	v_cndmask_b32_e32 v3, v3, v5, vcc
	v_cndmask_b32_e32 v2, v2, v4, vcc
                                        ; implicit-def: $vgpr4_vgpr5
.LBB591_253:
	s_or_saveexec_b64 s[6:7], s[6:7]
	v_mov_b32_e32 v10, 1
	s_xor_b64 exec, exec, s[6:7]
	s_cbranch_execz .LBB591_255
; %bb.254:
	v_and_b32_e32 v8, 1, v8
	v_cmp_eq_u32_e32 vcc, 1, v8
	s_waitcnt lgkmcnt(1)
	s_nop 0
	v_cndmask_b32_e32 v2, v4, v2, vcc
	v_and_b32_e32 v4, 0xff, v9
	s_waitcnt lgkmcnt(0)
	v_cndmask_b32_e32 v3, v5, v3, vcc
	v_cndmask_b32_e64 v10, v4, 1, vcc
.LBB591_255:
	s_or_b64 exec, exec, s[6:7]
	v_mov_b32_e32 v8, v10
.LBB591_256:
	;; [unrolled: 49-line block ×4, first 2 shown]
	s_or_b64 exec, exec, s[4:5]
	s_waitcnt lgkmcnt(2)
	v_lshlrev_b32_e32 v9, 2, v1
	s_waitcnt lgkmcnt(0)
	v_or_b32_e32 v5, 0x80, v9
	ds_bpermute_b32 v10, v5, v8
	ds_bpermute_b32 v4, v5, v2
	;; [unrolled: 1-line block ×3, first 2 shown]
	v_add_u32_e32 v6, 32, v6
	v_cmp_lt_u32_e32 vcc, v6, v7
	v_mov_b32_e32 v6, v8
	s_and_saveexec_b64 s[4:5], vcc
	s_cbranch_execz .LBB591_274
; %bb.269:
	s_waitcnt lgkmcnt(2)
	v_and_b32_e32 v6, v8, v10
	v_and_b32_e32 v6, 1, v6
	v_cmp_eq_u32_e32 vcc, 1, v6
	s_and_saveexec_b64 s[6:7], vcc
	s_xor_b64 s[6:7], exec, s[6:7]
	s_cbranch_execz .LBB591_271
; %bb.270:
	s_waitcnt lgkmcnt(0)
	v_cmp_lt_i64_e32 vcc, v[4:5], v[2:3]
                                        ; implicit-def: $vgpr8
                                        ; implicit-def: $vgpr10
	s_nop 1
	v_cndmask_b32_e32 v3, v3, v5, vcc
	v_cndmask_b32_e32 v2, v2, v4, vcc
                                        ; implicit-def: $vgpr4_vgpr5
.LBB591_271:
	s_or_saveexec_b64 s[6:7], s[6:7]
	v_mov_b32_e32 v6, 1
	s_xor_b64 exec, exec, s[6:7]
	s_cbranch_execz .LBB591_273
; %bb.272:
	v_and_b32_e32 v6, 1, v8
	v_cmp_eq_u32_e32 vcc, 1, v6
	s_nop 1
	v_cndmask_b32_e64 v6, v10, 1, vcc
	s_waitcnt lgkmcnt(0)
	v_cndmask_b32_e32 v3, v5, v3, vcc
	v_cndmask_b32_e32 v2, v4, v2, vcc
.LBB591_273:
	s_or_b64 exec, exec, s[6:7]
	v_and_b32_e32 v8, 0xff, v6
.LBB591_274:
	s_or_b64 exec, exec, s[4:5]
	v_cmp_eq_u32_e32 vcc, 0, v1
	s_and_saveexec_b64 s[4:5], vcc
	s_cbranch_execz .LBB591_276
; %bb.275:
	s_waitcnt lgkmcnt(1)
	v_lshrrev_b32_e32 v4, 2, v0
	v_and_b32_e32 v4, 16, v4
	ds_write_b8 v4, v6 offset:128
	ds_write_b64 v4, v[2:3] offset:136
.LBB591_276:
	s_or_b64 exec, exec, s[4:5]
	v_cmp_gt_u32_e32 vcc, 2, v0
	s_waitcnt lgkmcnt(0)
	s_barrier
	s_and_saveexec_b64 s[4:5], vcc
	s_cbranch_execz .LBB591_284
; %bb.277:
	v_lshlrev_b32_e32 v2, 4, v1
	ds_read_u8 v6, v2 offset:128
	ds_read_b64 v[2:3], v2 offset:136
	v_or_b32_e32 v5, 4, v9
	s_add_i32 s8, s8, 63
	v_and_b32_e32 v1, 1, v1
	s_waitcnt lgkmcnt(1)
	v_and_b32_e32 v8, 0xff, v6
	s_waitcnt lgkmcnt(0)
	ds_bpermute_b32 v4, v5, v2
	ds_bpermute_b32 v7, v5, v8
	;; [unrolled: 1-line block ×3, first 2 shown]
	s_lshr_b32 s6, s8, 6
	v_add_u32_e32 v1, 1, v1
	v_cmp_gt_u32_e32 vcc, s6, v1
	s_and_saveexec_b64 s[6:7], vcc
	s_cbranch_execz .LBB591_283
; %bb.278:
	s_waitcnt lgkmcnt(1)
	v_and_b32_e32 v1, v8, v7
	v_and_b32_e32 v1, 1, v1
	v_cmp_eq_u32_e32 vcc, 1, v1
	s_and_saveexec_b64 s[8:9], vcc
	s_xor_b64 s[8:9], exec, s[8:9]
	s_cbranch_execz .LBB591_280
; %bb.279:
	s_waitcnt lgkmcnt(0)
	v_cmp_lt_i64_e32 vcc, v[4:5], v[2:3]
                                        ; implicit-def: $vgpr6
                                        ; implicit-def: $vgpr7
	s_nop 1
	v_cndmask_b32_e32 v3, v3, v5, vcc
	v_cndmask_b32_e32 v2, v2, v4, vcc
                                        ; implicit-def: $vgpr4_vgpr5
.LBB591_280:
	s_or_saveexec_b64 s[8:9], s[8:9]
	v_mov_b32_e32 v8, 1
	s_xor_b64 exec, exec, s[8:9]
	s_cbranch_execz .LBB591_282
; %bb.281:
	v_and_b32_e32 v1, 1, v6
	v_cmp_eq_u32_e32 vcc, 1, v1
	s_waitcnt lgkmcnt(0)
	s_nop 0
	v_cndmask_b32_e32 v3, v5, v3, vcc
	v_cndmask_b32_e32 v2, v4, v2, vcc
	v_cndmask_b32_e64 v8, v7, 1, vcc
.LBB591_282:
	s_or_b64 exec, exec, s[8:9]
.LBB591_283:
	s_or_b64 exec, exec, s[6:7]
.LBB591_284:
	s_or_b64 exec, exec, s[4:5]
.LBB591_285:
	v_cmp_eq_u32_e32 vcc, 0, v0
                                        ; implicit-def: $vgpr4_vgpr5
                                        ; implicit-def: $vgpr6
	s_and_saveexec_b64 s[4:5], vcc
	s_xor_b64 s[8:9], exec, s[4:5]
	s_cbranch_execz .LBB591_289
; %bb.286:
	s_cmp_eq_u64 s[22:23], 0
	s_waitcnt lgkmcnt(0)
	v_mov_b64_e32 v[4:5], s[18:19]
	v_mov_b32_e32 v6, s33
	s_cbranch_scc1 .LBB591_288
; %bb.287:
	v_and_b32_e32 v1, 1, v8
	s_bitcmp1_b32 s33, 0
	v_cmp_eq_u32_e32 vcc, 1, v1
	v_cmp_gt_i64_e64 s[4:5], s[18:19], v[2:3]
	s_cselect_b64 s[6:7], -1, 0
	v_mov_b32_e32 v1, s18
	s_and_b64 vcc, vcc, s[4:5]
	v_mov_b32_e32 v4, s19
	v_cndmask_b32_e32 v1, v1, v2, vcc
	v_cndmask_b32_e32 v4, v4, v3, vcc
	v_cndmask_b32_e64 v6, v8, 1, s[6:7]
	v_cndmask_b32_e64 v5, v3, v4, s[6:7]
	;; [unrolled: 1-line block ×3, first 2 shown]
.LBB591_288:
	s_or_b64 s[12:13], s[12:13], exec
.LBB591_289:
	s_or_b64 exec, exec, s[8:9]
	v_mov_b64_e32 v[2:3], s[2:3]
	s_branch .LBB591_306
.LBB591_290:
	s_cmp_eq_u32 s38, 1
	s_cbranch_scc0 .LBB591_305
; %bb.291:
	s_mov_b32 s9, 0
	s_lshl_b32 s8, s2, 7
	s_mov_b32 s3, s9
	s_lshr_b64 s[4:5], s[22:23], 7
	s_cmp_lg_u64 s[4:5], s[2:3]
	s_cbranch_scc0 .LBB591_309
; %bb.292:
	s_lshl_b64 s[4:5], s[8:9], 3
	s_add_u32 s6, s24, s4
	s_addc_u32 s7, s25, s5
	s_add_u32 s4, s26, s4
	v_lshlrev_b32_e32 v1, 3, v0
	s_addc_u32 s5, s27, s5
	global_load_dwordx2 v[2:3], v1, s[6:7]
	s_waitcnt lgkmcnt(0)
	global_load_dwordx2 v[4:5], v1, s[4:5]
	s_add_u32 s4, s20, s8
	v_mov_b32_e32 v1, 0
	s_addc_u32 s5, s21, 0
	v_lshl_add_u64 v[6:7], s[4:5], 0, v[0:1]
	s_waitcnt vmcnt(0)
	v_cmp_ne_u64_e64 s[4:5], v[2:3], v[4:5]
	v_mov_b32_dpp v8, v6 quad_perm:[1,0,3,2] row_mask:0xf bank_mask:0xf bound_ctrl:1
	v_mov_b32_dpp v9, v7 quad_perm:[1,0,3,2] row_mask:0xf bank_mask:0xf bound_ctrl:1
	v_cndmask_b32_e64 v1, 0, 1, s[4:5]
	v_cmp_lt_i64_e32 vcc, v[6:7], v[8:9]
	s_and_b64 vcc, s[4:5], vcc
	v_mov_b32_dpp v1, v1 quad_perm:[1,0,3,2] row_mask:0xf bank_mask:0xf bound_ctrl:1
	v_and_b32_e32 v1, 1, v1
	v_cndmask_b32_e32 v2, v8, v6, vcc
	v_cndmask_b32_e32 v3, v9, v7, vcc
	v_cmp_eq_u32_e32 vcc, 1, v1
	s_or_b64 s[4:5], vcc, s[4:5]
	v_cndmask_b32_e64 v1, 0, 1, s[4:5]
	v_cndmask_b32_e32 v5, v7, v3, vcc
	v_cndmask_b32_e32 v4, v6, v2, vcc
	v_mov_b32_dpp v1, v1 quad_perm:[2,3,0,1] row_mask:0xf bank_mask:0xf bound_ctrl:1
	v_and_b32_e32 v1, 1, v1
	v_cmp_eq_u32_e32 vcc, 1, v1
	s_and_b64 s[6:7], vcc, s[4:5]
	v_mov_b32_dpp v6, v4 quad_perm:[2,3,0,1] row_mask:0xf bank_mask:0xf bound_ctrl:1
	v_mov_b32_dpp v7, v5 quad_perm:[2,3,0,1] row_mask:0xf bank_mask:0xf bound_ctrl:1
	s_xor_b64 s[6:7], s[6:7], -1
                                        ; implicit-def: $vgpr2_vgpr3
                                        ; implicit-def: $vgpr8
	s_and_saveexec_b64 s[10:11], s[6:7]
	s_xor_b64 s[6:7], exec, s[10:11]
; %bb.293:
	s_or_b64 s[4:5], vcc, s[4:5]
	v_cndmask_b32_e32 v3, v5, v7, vcc
	v_cndmask_b32_e32 v2, v4, v6, vcc
	v_cndmask_b32_e64 v8, 0, 1, s[4:5]
                                        ; implicit-def: $vgpr4_vgpr5
                                        ; implicit-def: $vgpr6_vgpr7
; %bb.294:
	s_andn2_saveexec_b64 s[4:5], s[6:7]
; %bb.295:
	v_cmp_lt_i64_e32 vcc, v[4:5], v[6:7]
	v_mov_b32_e32 v8, 1
	s_nop 0
	v_cndmask_b32_e32 v3, v7, v5, vcc
	v_cndmask_b32_e32 v2, v6, v4, vcc
; %bb.296:
	s_or_b64 exec, exec, s[4:5]
	s_nop 0
	v_mov_b32_dpp v4, v2 row_ror:4 row_mask:0xf bank_mask:0xf bound_ctrl:1
	v_mov_b32_dpp v5, v3 row_ror:4 row_mask:0xf bank_mask:0xf bound_ctrl:1
	v_and_b32_e32 v7, 1, v8
	v_mov_b32_dpp v6, v8 row_ror:4 row_mask:0xf bank_mask:0xf bound_ctrl:1
	v_cmp_eq_u32_e32 vcc, 1, v7
	v_cmp_lt_i64_e64 s[4:5], v[2:3], v[4:5]
	v_and_b32_e32 v6, 1, v6
	s_and_b64 vcc, vcc, s[4:5]
	v_cmp_eq_u32_e64 s[6:7], 1, v6
	v_cndmask_b32_e32 v4, v4, v2, vcc
	v_cndmask_b32_e32 v5, v5, v3, vcc
	v_cndmask_b32_e64 v6, v8, 1, s[6:7]
	v_cndmask_b32_e64 v3, v3, v5, s[6:7]
	;; [unrolled: 1-line block ×3, first 2 shown]
	v_and_b32_e32 v8, 1, v6
	v_mov_b32_dpp v5, v3 row_ror:8 row_mask:0xf bank_mask:0xf bound_ctrl:1
	v_mov_b32_dpp v4, v2 row_ror:8 row_mask:0xf bank_mask:0xf bound_ctrl:1
	;; [unrolled: 1-line block ×3, first 2 shown]
	v_cmp_eq_u32_e32 vcc, 1, v8
	v_cmp_lt_i64_e64 s[4:5], v[2:3], v[4:5]
	v_and_b32_e32 v7, 1, v7
	s_and_b64 vcc, vcc, s[4:5]
	v_cmp_eq_u32_e64 s[6:7], 1, v7
	v_cndmask_b32_e32 v4, v4, v2, vcc
	v_cndmask_b32_e32 v5, v5, v3, vcc
	v_cndmask_b32_e64 v6, v6, 1, s[6:7]
	v_cndmask_b32_e64 v3, v3, v5, s[6:7]
	;; [unrolled: 1-line block ×3, first 2 shown]
	v_and_b32_e32 v8, 1, v6
	v_mov_b32_dpp v5, v3 row_bcast:15 row_mask:0xf bank_mask:0xf bound_ctrl:1
	v_mov_b32_dpp v4, v2 row_bcast:15 row_mask:0xf bank_mask:0xf bound_ctrl:1
	;; [unrolled: 1-line block ×3, first 2 shown]
	v_cmp_eq_u32_e32 vcc, 1, v8
	v_cmp_lt_i64_e64 s[4:5], v[2:3], v[4:5]
	v_and_b32_e32 v7, 1, v7
	s_and_b64 vcc, vcc, s[4:5]
	v_cmp_eq_u32_e64 s[6:7], 1, v7
	v_cndmask_b32_e32 v4, v4, v2, vcc
	v_cndmask_b32_e32 v5, v5, v3, vcc
	v_cndmask_b32_e64 v6, v6, 1, s[6:7]
	v_cndmask_b32_e64 v3, v3, v5, s[6:7]
	;; [unrolled: 1-line block ×3, first 2 shown]
	v_mov_b32_dpp v7, v6 row_bcast:31 row_mask:0xf bank_mask:0xf bound_ctrl:1
	v_mov_b32_dpp v5, v3 row_bcast:31 row_mask:0xf bank_mask:0xf bound_ctrl:1
	;; [unrolled: 1-line block ×3, first 2 shown]
	v_and_b32_e32 v8, 1, v6
	v_mbcnt_lo_u32_b32 v1, -1, 0
	v_and_b32_e32 v7, 1, v7
	v_cmp_eq_u32_e32 vcc, 1, v8
	v_cmp_lt_i64_e64 s[4:5], v[2:3], v[4:5]
	v_mbcnt_hi_u32_b32 v1, -1, v1
	v_cmp_eq_u32_e64 s[6:7], 1, v7
	s_and_b64 vcc, vcc, s[4:5]
	v_cndmask_b32_e32 v4, v4, v2, vcc
	v_cndmask_b32_e64 v7, v6, 1, s[6:7]
	v_cndmask_b32_e32 v5, v5, v3, vcc
	v_lshlrev_b32_e32 v6, 2, v1
	v_cndmask_b32_e64 v3, v3, v5, s[6:7]
	v_cndmask_b32_e64 v2, v2, v4, s[6:7]
	v_or_b32_e32 v4, 0xfc, v6
	ds_bpermute_b32 v8, v4, v7
	ds_bpermute_b32 v2, v4, v2
	;; [unrolled: 1-line block ×3, first 2 shown]
	v_cmp_eq_u32_e32 vcc, 0, v1
	s_and_saveexec_b64 s[4:5], vcc
	s_cbranch_execz .LBB591_298
; %bb.297:
	v_lshrrev_b32_e32 v4, 2, v0
	v_and_b32_e32 v4, 16, v4
	s_waitcnt lgkmcnt(2)
	ds_write_b8 v4, v8
	s_waitcnt lgkmcnt(1)
	ds_write_b64 v4, v[2:3] offset:8
.LBB591_298:
	s_or_b64 exec, exec, s[4:5]
	v_cmp_gt_u32_e32 vcc, 64, v0
	s_waitcnt lgkmcnt(0)
	s_barrier
	s_and_saveexec_b64 s[4:5], vcc
	s_cbranch_execz .LBB591_304
; %bb.299:
	v_and_b32_e32 v1, 1, v1
	v_lshlrev_b32_e32 v2, 4, v1
	ds_read_u8 v1, v2
	ds_read_b64 v[4:5], v2 offset:8
	v_or_b32_e32 v3, 4, v6
	s_waitcnt lgkmcnt(1)
	v_and_b32_e32 v2, 0xff, v1
	ds_bpermute_b32 v9, v3, v2
	s_waitcnt lgkmcnt(1)
	ds_bpermute_b32 v6, v3, v4
	ds_bpermute_b32 v7, v3, v5
	s_waitcnt lgkmcnt(2)
	v_and_b32_e32 v2, v1, v9
	v_and_b32_e32 v2, 1, v2
	v_cmp_eq_u32_e32 vcc, 1, v2
                                        ; implicit-def: $vgpr2_vgpr3
	s_and_saveexec_b64 s[6:7], vcc
	s_xor_b64 s[6:7], exec, s[6:7]
	s_cbranch_execz .LBB591_301
; %bb.300:
	s_waitcnt lgkmcnt(0)
	v_cmp_lt_i64_e32 vcc, v[6:7], v[4:5]
                                        ; implicit-def: $vgpr1
                                        ; implicit-def: $vgpr9
	s_nop 1
	v_cndmask_b32_e32 v3, v5, v7, vcc
	v_cndmask_b32_e32 v2, v4, v6, vcc
                                        ; implicit-def: $vgpr6_vgpr7
                                        ; implicit-def: $vgpr4_vgpr5
.LBB591_301:
	s_or_saveexec_b64 s[6:7], s[6:7]
	v_mov_b32_e32 v8, 1
	s_xor_b64 exec, exec, s[6:7]
	s_cbranch_execz .LBB591_303
; %bb.302:
	v_and_b32_e32 v1, 1, v1
	v_cmp_eq_u32_e32 vcc, 1, v1
	s_waitcnt lgkmcnt(0)
	s_nop 0
	v_cndmask_b32_e32 v3, v7, v5, vcc
	v_cndmask_b32_e32 v2, v6, v4, vcc
	v_cndmask_b32_e64 v8, v9, 1, vcc
.LBB591_303:
	s_or_b64 exec, exec, s[6:7]
.LBB591_304:
	s_or_b64 exec, exec, s[4:5]
	s_branch .LBB591_359
.LBB591_305:
                                        ; implicit-def: $vgpr4_vgpr5
                                        ; implicit-def: $vgpr6
                                        ; implicit-def: $vgpr2_vgpr3
.LBB591_306:
	s_and_saveexec_b64 s[2:3], s[12:13]
	s_cbranch_execz .LBB591_308
.LBB591_307:
	s_load_dwordx2 s[0:1], s[0:1], 0x38
	v_lshlrev_b64 v[0:1], 4, v[2:3]
	s_waitcnt lgkmcnt(0)
	v_lshl_add_u64 v[0:1], s[0:1], 0, v[0:1]
	global_store_byte v[0:1], v6, off
	global_store_dwordx2 v[0:1], v[4:5], off offset:8
.LBB591_308:
	s_endpgm
.LBB591_309:
                                        ; implicit-def: $vgpr2_vgpr3
                                        ; implicit-def: $vgpr8
	s_cbranch_execz .LBB591_359
; %bb.310:
	s_sub_i32 s6, s22, s8
	v_cmp_gt_u32_e32 vcc, s6, v0
	v_mov_b32_e32 v9, 0
	v_mov_b64_e32 v[2:3], 0
	s_and_saveexec_b64 s[4:5], vcc
	s_cbranch_execz .LBB591_312
; %bb.311:
	s_lshl_b64 s[10:11], s[8:9], 3
	s_add_u32 s14, s26, s10
	s_addc_u32 s15, s27, s11
	s_add_u32 s10, s24, s10
	s_addc_u32 s11, s25, s11
	v_lshlrev_b32_e32 v1, 3, v0
	s_waitcnt lgkmcnt(0)
	global_load_dwordx2 v[4:5], v1, s[10:11]
	global_load_dwordx2 v[6:7], v1, s[14:15]
	s_add_u32 s8, s20, s8
	v_mov_b32_e32 v1, 0
	s_addc_u32 s9, s21, 0
	v_lshl_add_u64 v[2:3], s[8:9], 0, v[0:1]
	s_waitcnt vmcnt(0)
	v_cmp_ne_u64_e32 vcc, v[4:5], v[6:7]
	s_nop 1
	v_cndmask_b32_e64 v9, 0, 1, vcc
.LBB591_312:
	s_or_b64 exec, exec, s[4:5]
	v_mbcnt_lo_u32_b32 v1, -1, 0
	v_mbcnt_hi_u32_b32 v1, -1, v1
	s_waitcnt lgkmcnt(1)
	v_and_b32_e32 v6, 63, v1
	v_cmp_ne_u32_e32 vcc, 63, v6
	v_and_b32_e32 v8, 0xffff, v9
	s_min_u32 s8, s6, 0x80
	v_addc_co_u32_e32 v4, vcc, 0, v1, vcc
	s_waitcnt lgkmcnt(0)
	v_lshlrev_b32_e32 v5, 2, v4
	ds_bpermute_b32 v10, v5, v8
	ds_bpermute_b32 v4, v5, v2
	;; [unrolled: 1-line block ×3, first 2 shown]
	v_and_b32_e32 v7, 64, v0
	v_sub_u32_e64 v7, s8, v7 clamp
	v_add_u32_e32 v11, 1, v6
	v_cmp_lt_u32_e32 vcc, v11, v7
	s_and_saveexec_b64 s[4:5], vcc
	s_cbranch_execz .LBB591_318
; %bb.313:
	s_waitcnt lgkmcnt(2)
	v_and_b32_e32 v8, v10, v8
	v_and_b32_e32 v8, 1, v8
	v_cmp_eq_u32_e32 vcc, 1, v8
	s_and_saveexec_b64 s[6:7], vcc
	s_xor_b64 s[6:7], exec, s[6:7]
	s_cbranch_execz .LBB591_315
; %bb.314:
	s_waitcnt lgkmcnt(0)
	v_cmp_lt_i64_e32 vcc, v[4:5], v[2:3]
                                        ; implicit-def: $vgpr9
                                        ; implicit-def: $vgpr10
	s_nop 1
	v_cndmask_b32_e32 v3, v3, v5, vcc
	v_cndmask_b32_e32 v2, v2, v4, vcc
                                        ; implicit-def: $vgpr4_vgpr5
.LBB591_315:
	s_or_saveexec_b64 s[6:7], s[6:7]
	v_mov_b32_e32 v8, 1
	s_xor_b64 exec, exec, s[6:7]
	s_cbranch_execz .LBB591_317
; %bb.316:
	v_and_b32_e32 v8, 1, v9
	v_cmp_eq_u32_e32 vcc, 1, v8
	s_waitcnt lgkmcnt(1)
	s_nop 0
	v_cndmask_b32_e32 v2, v4, v2, vcc
	v_and_b32_e32 v4, 0xff, v10
	s_waitcnt lgkmcnt(0)
	v_cndmask_b32_e32 v3, v5, v3, vcc
	v_cndmask_b32_e64 v8, v4, 1, vcc
.LBB591_317:
	s_or_b64 exec, exec, s[6:7]
.LBB591_318:
	s_or_b64 exec, exec, s[4:5]
	v_cmp_gt_u32_e32 vcc, 62, v6
	s_waitcnt lgkmcnt(2)
	v_add_u32_e32 v10, 2, v6
	s_waitcnt lgkmcnt(1)
	v_cndmask_b32_e64 v4, 0, 2, vcc
	s_waitcnt lgkmcnt(0)
	v_add_lshl_u32 v5, v4, v1, 2
	ds_bpermute_b32 v9, v5, v8
	ds_bpermute_b32 v4, v5, v2
	ds_bpermute_b32 v5, v5, v3
	v_cmp_lt_u32_e32 vcc, v10, v7
	s_and_saveexec_b64 s[4:5], vcc
	s_cbranch_execz .LBB591_324
; %bb.319:
	s_waitcnt lgkmcnt(2)
	v_and_b32_e32 v10, v8, v9
	v_and_b32_e32 v10, 1, v10
	v_cmp_eq_u32_e32 vcc, 1, v10
	s_and_saveexec_b64 s[6:7], vcc
	s_xor_b64 s[6:7], exec, s[6:7]
	s_cbranch_execz .LBB591_321
; %bb.320:
	s_waitcnt lgkmcnt(0)
	v_cmp_lt_i64_e32 vcc, v[4:5], v[2:3]
                                        ; implicit-def: $vgpr8
                                        ; implicit-def: $vgpr9
	s_nop 1
	v_cndmask_b32_e32 v3, v3, v5, vcc
	v_cndmask_b32_e32 v2, v2, v4, vcc
                                        ; implicit-def: $vgpr4_vgpr5
.LBB591_321:
	s_or_saveexec_b64 s[6:7], s[6:7]
	v_mov_b32_e32 v10, 1
	s_xor_b64 exec, exec, s[6:7]
	s_cbranch_execz .LBB591_323
; %bb.322:
	v_and_b32_e32 v8, 1, v8
	v_cmp_eq_u32_e32 vcc, 1, v8
	s_waitcnt lgkmcnt(1)
	s_nop 0
	v_cndmask_b32_e32 v2, v4, v2, vcc
	v_and_b32_e32 v4, 0xff, v9
	s_waitcnt lgkmcnt(0)
	v_cndmask_b32_e32 v3, v5, v3, vcc
	v_cndmask_b32_e64 v10, v4, 1, vcc
.LBB591_323:
	s_or_b64 exec, exec, s[6:7]
	v_mov_b32_e32 v8, v10
.LBB591_324:
	s_or_b64 exec, exec, s[4:5]
	v_cmp_gt_u32_e32 vcc, 60, v6
	v_add_u32_e32 v10, 4, v6
	s_waitcnt lgkmcnt(1)
	v_cndmask_b32_e64 v4, 0, 4, vcc
	s_waitcnt lgkmcnt(0)
	v_add_lshl_u32 v5, v4, v1, 2
	ds_bpermute_b32 v9, v5, v8
	ds_bpermute_b32 v4, v5, v2
	ds_bpermute_b32 v5, v5, v3
	v_cmp_lt_u32_e32 vcc, v10, v7
	s_and_saveexec_b64 s[4:5], vcc
	s_cbranch_execz .LBB591_330
; %bb.325:
	s_waitcnt lgkmcnt(2)
	v_and_b32_e32 v10, v8, v9
	v_and_b32_e32 v10, 1, v10
	v_cmp_eq_u32_e32 vcc, 1, v10
	s_and_saveexec_b64 s[6:7], vcc
	s_xor_b64 s[6:7], exec, s[6:7]
	s_cbranch_execz .LBB591_327
; %bb.326:
	s_waitcnt lgkmcnt(0)
	v_cmp_lt_i64_e32 vcc, v[4:5], v[2:3]
                                        ; implicit-def: $vgpr8
                                        ; implicit-def: $vgpr9
	s_nop 1
	v_cndmask_b32_e32 v3, v3, v5, vcc
	v_cndmask_b32_e32 v2, v2, v4, vcc
                                        ; implicit-def: $vgpr4_vgpr5
.LBB591_327:
	s_or_saveexec_b64 s[6:7], s[6:7]
	v_mov_b32_e32 v10, 1
	s_xor_b64 exec, exec, s[6:7]
	s_cbranch_execz .LBB591_329
; %bb.328:
	v_and_b32_e32 v8, 1, v8
	v_cmp_eq_u32_e32 vcc, 1, v8
	s_waitcnt lgkmcnt(1)
	s_nop 0
	v_cndmask_b32_e32 v2, v4, v2, vcc
	v_and_b32_e32 v4, 0xff, v9
	s_waitcnt lgkmcnt(0)
	v_cndmask_b32_e32 v3, v5, v3, vcc
	v_cndmask_b32_e64 v10, v4, 1, vcc
.LBB591_329:
	s_or_b64 exec, exec, s[6:7]
	v_mov_b32_e32 v8, v10
.LBB591_330:
	s_or_b64 exec, exec, s[4:5]
	v_cmp_gt_u32_e32 vcc, 56, v6
	;; [unrolled: 49-line block ×3, first 2 shown]
	v_add_u32_e32 v10, 16, v6
	s_waitcnt lgkmcnt(1)
	v_cndmask_b32_e64 v4, 0, 16, vcc
	s_waitcnt lgkmcnt(0)
	v_add_lshl_u32 v5, v4, v1, 2
	ds_bpermute_b32 v9, v5, v8
	ds_bpermute_b32 v4, v5, v2
	;; [unrolled: 1-line block ×3, first 2 shown]
	v_cmp_lt_u32_e32 vcc, v10, v7
	s_and_saveexec_b64 s[4:5], vcc
	s_cbranch_execz .LBB591_342
; %bb.337:
	s_waitcnt lgkmcnt(2)
	v_and_b32_e32 v10, v8, v9
	v_and_b32_e32 v10, 1, v10
	v_cmp_eq_u32_e32 vcc, 1, v10
	s_and_saveexec_b64 s[6:7], vcc
	s_xor_b64 s[6:7], exec, s[6:7]
	s_cbranch_execz .LBB591_339
; %bb.338:
	s_waitcnt lgkmcnt(0)
	v_cmp_lt_i64_e32 vcc, v[4:5], v[2:3]
                                        ; implicit-def: $vgpr8
                                        ; implicit-def: $vgpr9
	s_nop 1
	v_cndmask_b32_e32 v3, v3, v5, vcc
	v_cndmask_b32_e32 v2, v2, v4, vcc
                                        ; implicit-def: $vgpr4_vgpr5
.LBB591_339:
	s_or_saveexec_b64 s[6:7], s[6:7]
	v_mov_b32_e32 v10, 1
	s_xor_b64 exec, exec, s[6:7]
	s_cbranch_execz .LBB591_341
; %bb.340:
	v_and_b32_e32 v8, 1, v8
	v_cmp_eq_u32_e32 vcc, 1, v8
	s_waitcnt lgkmcnt(1)
	s_nop 0
	v_cndmask_b32_e32 v2, v4, v2, vcc
	v_and_b32_e32 v4, 0xff, v9
	s_waitcnt lgkmcnt(0)
	v_cndmask_b32_e32 v3, v5, v3, vcc
	v_cndmask_b32_e64 v10, v4, 1, vcc
.LBB591_341:
	s_or_b64 exec, exec, s[6:7]
	v_mov_b32_e32 v8, v10
.LBB591_342:
	s_or_b64 exec, exec, s[4:5]
	s_waitcnt lgkmcnt(2)
	v_lshlrev_b32_e32 v9, 2, v1
	s_waitcnt lgkmcnt(0)
	v_or_b32_e32 v5, 0x80, v9
	ds_bpermute_b32 v10, v5, v8
	ds_bpermute_b32 v4, v5, v2
	;; [unrolled: 1-line block ×3, first 2 shown]
	v_add_u32_e32 v6, 32, v6
	v_cmp_lt_u32_e32 vcc, v6, v7
	v_mov_b32_e32 v6, v8
	s_and_saveexec_b64 s[4:5], vcc
	s_cbranch_execz .LBB591_348
; %bb.343:
	s_waitcnt lgkmcnt(2)
	v_and_b32_e32 v6, v8, v10
	v_and_b32_e32 v6, 1, v6
	v_cmp_eq_u32_e32 vcc, 1, v6
	s_and_saveexec_b64 s[6:7], vcc
	s_xor_b64 s[6:7], exec, s[6:7]
	s_cbranch_execz .LBB591_345
; %bb.344:
	s_waitcnt lgkmcnt(0)
	v_cmp_lt_i64_e32 vcc, v[4:5], v[2:3]
                                        ; implicit-def: $vgpr8
                                        ; implicit-def: $vgpr10
	s_nop 1
	v_cndmask_b32_e32 v3, v3, v5, vcc
	v_cndmask_b32_e32 v2, v2, v4, vcc
                                        ; implicit-def: $vgpr4_vgpr5
.LBB591_345:
	s_or_saveexec_b64 s[6:7], s[6:7]
	v_mov_b32_e32 v6, 1
	s_xor_b64 exec, exec, s[6:7]
	s_cbranch_execz .LBB591_347
; %bb.346:
	v_and_b32_e32 v6, 1, v8
	v_cmp_eq_u32_e32 vcc, 1, v6
	s_nop 1
	v_cndmask_b32_e64 v6, v10, 1, vcc
	s_waitcnt lgkmcnt(0)
	v_cndmask_b32_e32 v3, v5, v3, vcc
	v_cndmask_b32_e32 v2, v4, v2, vcc
.LBB591_347:
	s_or_b64 exec, exec, s[6:7]
	v_and_b32_e32 v8, 0xff, v6
.LBB591_348:
	s_or_b64 exec, exec, s[4:5]
	v_cmp_eq_u32_e32 vcc, 0, v1
	s_and_saveexec_b64 s[4:5], vcc
	s_cbranch_execz .LBB591_350
; %bb.349:
	s_waitcnt lgkmcnt(1)
	v_lshrrev_b32_e32 v4, 2, v0
	v_and_b32_e32 v4, 16, v4
	ds_write_b8 v4, v6 offset:128
	ds_write_b64 v4, v[2:3] offset:136
.LBB591_350:
	s_or_b64 exec, exec, s[4:5]
	v_cmp_gt_u32_e32 vcc, 2, v0
	s_waitcnt lgkmcnt(0)
	s_barrier
	s_and_saveexec_b64 s[4:5], vcc
	s_cbranch_execz .LBB591_358
; %bb.351:
	v_lshlrev_b32_e32 v2, 4, v1
	ds_read_u8 v6, v2 offset:128
	ds_read_b64 v[2:3], v2 offset:136
	v_or_b32_e32 v5, 4, v9
	s_add_i32 s8, s8, 63
	v_and_b32_e32 v1, 1, v1
	s_waitcnt lgkmcnt(1)
	v_and_b32_e32 v8, 0xff, v6
	s_waitcnt lgkmcnt(0)
	ds_bpermute_b32 v4, v5, v2
	ds_bpermute_b32 v7, v5, v8
	;; [unrolled: 1-line block ×3, first 2 shown]
	s_lshr_b32 s6, s8, 6
	v_add_u32_e32 v1, 1, v1
	v_cmp_gt_u32_e32 vcc, s6, v1
	s_and_saveexec_b64 s[6:7], vcc
	s_cbranch_execz .LBB591_357
; %bb.352:
	s_waitcnt lgkmcnt(1)
	v_and_b32_e32 v1, v8, v7
	v_and_b32_e32 v1, 1, v1
	v_cmp_eq_u32_e32 vcc, 1, v1
	s_and_saveexec_b64 s[8:9], vcc
	s_xor_b64 s[8:9], exec, s[8:9]
	s_cbranch_execz .LBB591_354
; %bb.353:
	s_waitcnt lgkmcnt(0)
	v_cmp_lt_i64_e32 vcc, v[4:5], v[2:3]
                                        ; implicit-def: $vgpr6
                                        ; implicit-def: $vgpr7
	s_nop 1
	v_cndmask_b32_e32 v3, v3, v5, vcc
	v_cndmask_b32_e32 v2, v2, v4, vcc
                                        ; implicit-def: $vgpr4_vgpr5
.LBB591_354:
	s_or_saveexec_b64 s[8:9], s[8:9]
	v_mov_b32_e32 v8, 1
	s_xor_b64 exec, exec, s[8:9]
	s_cbranch_execz .LBB591_356
; %bb.355:
	v_and_b32_e32 v1, 1, v6
	v_cmp_eq_u32_e32 vcc, 1, v1
	s_waitcnt lgkmcnt(0)
	s_nop 0
	v_cndmask_b32_e32 v3, v5, v3, vcc
	v_cndmask_b32_e32 v2, v4, v2, vcc
	v_cndmask_b32_e64 v8, v7, 1, vcc
.LBB591_356:
	s_or_b64 exec, exec, s[8:9]
.LBB591_357:
	s_or_b64 exec, exec, s[6:7]
.LBB591_358:
	s_or_b64 exec, exec, s[4:5]
.LBB591_359:
	v_cmp_eq_u32_e32 vcc, 0, v0
                                        ; implicit-def: $vgpr4_vgpr5
                                        ; implicit-def: $vgpr6
	s_and_saveexec_b64 s[8:9], vcc
	s_cbranch_execz .LBB591_363
; %bb.360:
	s_cmp_eq_u64 s[22:23], 0
	s_waitcnt lgkmcnt(0)
	v_mov_b64_e32 v[4:5], s[18:19]
	v_mov_b32_e32 v6, s33
	s_cbranch_scc1 .LBB591_362
; %bb.361:
	v_and_b32_e32 v0, 1, v8
	s_bitcmp1_b32 s33, 0
	v_cmp_eq_u32_e32 vcc, 1, v0
	v_cmp_gt_i64_e64 s[4:5], s[18:19], v[2:3]
	s_cselect_b64 s[6:7], -1, 0
	v_mov_b32_e32 v0, s18
	s_and_b64 vcc, vcc, s[4:5]
	v_mov_b32_e32 v1, s19
	v_cndmask_b32_e32 v0, v0, v2, vcc
	v_cndmask_b32_e32 v1, v1, v3, vcc
	v_cndmask_b32_e64 v6, v8, 1, s[6:7]
	v_cndmask_b32_e64 v5, v3, v1, s[6:7]
	;; [unrolled: 1-line block ×3, first 2 shown]
.LBB591_362:
	s_or_b64 s[12:13], s[12:13], exec
.LBB591_363:
	s_or_b64 exec, exec, s[8:9]
	v_mov_b64_e32 v[2:3], s[2:3]
	s_and_saveexec_b64 s[2:3], s[12:13]
	s_cbranch_execnz .LBB591_307
	s_branch .LBB591_308
	.section	.rodata,"a",@progbits
	.p2align	6, 0x0
	.amdhsa_kernel _ZN7rocprim17ROCPRIM_400000_NS6detail17trampoline_kernelINS0_14default_configENS1_22reduce_config_selectorIN6thrust23THRUST_200600_302600_NS5tupleIblNS6_9null_typeES8_S8_S8_S8_S8_S8_S8_EEEEZNS1_11reduce_implILb1ES3_NS6_12zip_iteratorINS7_INS6_11hip_rocprim26transform_input_iterator_tIbNSD_35transform_pair_of_input_iterators_tIbNS6_6detail15normal_iteratorINS6_10device_ptrIKyEEEESL_NS6_8equal_toIyEEEENSG_9not_fun_tINSD_8identityEEEEENSD_19counting_iterator_tIlEES8_S8_S8_S8_S8_S8_S8_S8_EEEEPS9_S9_NSD_9__find_if7functorIS9_EEEE10hipError_tPvRmT1_T2_T3_mT4_P12ihipStream_tbEUlT_E1_NS1_11comp_targetILNS1_3genE0ELNS1_11target_archE4294967295ELNS1_3gpuE0ELNS1_3repE0EEENS1_30default_config_static_selectorELNS0_4arch9wavefront6targetE1EEEvS14_
		.amdhsa_group_segment_fixed_size 160
		.amdhsa_private_segment_fixed_size 0
		.amdhsa_kernarg_size 88
		.amdhsa_user_sgpr_count 2
		.amdhsa_user_sgpr_dispatch_ptr 0
		.amdhsa_user_sgpr_queue_ptr 0
		.amdhsa_user_sgpr_kernarg_segment_ptr 1
		.amdhsa_user_sgpr_dispatch_id 0
		.amdhsa_user_sgpr_kernarg_preload_length 0
		.amdhsa_user_sgpr_kernarg_preload_offset 0
		.amdhsa_user_sgpr_private_segment_size 0
		.amdhsa_uses_dynamic_stack 0
		.amdhsa_enable_private_segment 0
		.amdhsa_system_sgpr_workgroup_id_x 1
		.amdhsa_system_sgpr_workgroup_id_y 0
		.amdhsa_system_sgpr_workgroup_id_z 0
		.amdhsa_system_sgpr_workgroup_info 0
		.amdhsa_system_vgpr_workitem_id 0
		.amdhsa_next_free_vgpr 45
		.amdhsa_next_free_sgpr 40
		.amdhsa_accum_offset 48
		.amdhsa_reserve_vcc 1
		.amdhsa_float_round_mode_32 0
		.amdhsa_float_round_mode_16_64 0
		.amdhsa_float_denorm_mode_32 3
		.amdhsa_float_denorm_mode_16_64 3
		.amdhsa_dx10_clamp 1
		.amdhsa_ieee_mode 1
		.amdhsa_fp16_overflow 0
		.amdhsa_tg_split 0
		.amdhsa_exception_fp_ieee_invalid_op 0
		.amdhsa_exception_fp_denorm_src 0
		.amdhsa_exception_fp_ieee_div_zero 0
		.amdhsa_exception_fp_ieee_overflow 0
		.amdhsa_exception_fp_ieee_underflow 0
		.amdhsa_exception_fp_ieee_inexact 0
		.amdhsa_exception_int_div_zero 0
	.end_amdhsa_kernel
	.section	.text._ZN7rocprim17ROCPRIM_400000_NS6detail17trampoline_kernelINS0_14default_configENS1_22reduce_config_selectorIN6thrust23THRUST_200600_302600_NS5tupleIblNS6_9null_typeES8_S8_S8_S8_S8_S8_S8_EEEEZNS1_11reduce_implILb1ES3_NS6_12zip_iteratorINS7_INS6_11hip_rocprim26transform_input_iterator_tIbNSD_35transform_pair_of_input_iterators_tIbNS6_6detail15normal_iteratorINS6_10device_ptrIKyEEEESL_NS6_8equal_toIyEEEENSG_9not_fun_tINSD_8identityEEEEENSD_19counting_iterator_tIlEES8_S8_S8_S8_S8_S8_S8_S8_EEEEPS9_S9_NSD_9__find_if7functorIS9_EEEE10hipError_tPvRmT1_T2_T3_mT4_P12ihipStream_tbEUlT_E1_NS1_11comp_targetILNS1_3genE0ELNS1_11target_archE4294967295ELNS1_3gpuE0ELNS1_3repE0EEENS1_30default_config_static_selectorELNS0_4arch9wavefront6targetE1EEEvS14_,"axG",@progbits,_ZN7rocprim17ROCPRIM_400000_NS6detail17trampoline_kernelINS0_14default_configENS1_22reduce_config_selectorIN6thrust23THRUST_200600_302600_NS5tupleIblNS6_9null_typeES8_S8_S8_S8_S8_S8_S8_EEEEZNS1_11reduce_implILb1ES3_NS6_12zip_iteratorINS7_INS6_11hip_rocprim26transform_input_iterator_tIbNSD_35transform_pair_of_input_iterators_tIbNS6_6detail15normal_iteratorINS6_10device_ptrIKyEEEESL_NS6_8equal_toIyEEEENSG_9not_fun_tINSD_8identityEEEEENSD_19counting_iterator_tIlEES8_S8_S8_S8_S8_S8_S8_S8_EEEEPS9_S9_NSD_9__find_if7functorIS9_EEEE10hipError_tPvRmT1_T2_T3_mT4_P12ihipStream_tbEUlT_E1_NS1_11comp_targetILNS1_3genE0ELNS1_11target_archE4294967295ELNS1_3gpuE0ELNS1_3repE0EEENS1_30default_config_static_selectorELNS0_4arch9wavefront6targetE1EEEvS14_,comdat
.Lfunc_end591:
	.size	_ZN7rocprim17ROCPRIM_400000_NS6detail17trampoline_kernelINS0_14default_configENS1_22reduce_config_selectorIN6thrust23THRUST_200600_302600_NS5tupleIblNS6_9null_typeES8_S8_S8_S8_S8_S8_S8_EEEEZNS1_11reduce_implILb1ES3_NS6_12zip_iteratorINS7_INS6_11hip_rocprim26transform_input_iterator_tIbNSD_35transform_pair_of_input_iterators_tIbNS6_6detail15normal_iteratorINS6_10device_ptrIKyEEEESL_NS6_8equal_toIyEEEENSG_9not_fun_tINSD_8identityEEEEENSD_19counting_iterator_tIlEES8_S8_S8_S8_S8_S8_S8_S8_EEEEPS9_S9_NSD_9__find_if7functorIS9_EEEE10hipError_tPvRmT1_T2_T3_mT4_P12ihipStream_tbEUlT_E1_NS1_11comp_targetILNS1_3genE0ELNS1_11target_archE4294967295ELNS1_3gpuE0ELNS1_3repE0EEENS1_30default_config_static_selectorELNS0_4arch9wavefront6targetE1EEEvS14_, .Lfunc_end591-_ZN7rocprim17ROCPRIM_400000_NS6detail17trampoline_kernelINS0_14default_configENS1_22reduce_config_selectorIN6thrust23THRUST_200600_302600_NS5tupleIblNS6_9null_typeES8_S8_S8_S8_S8_S8_S8_EEEEZNS1_11reduce_implILb1ES3_NS6_12zip_iteratorINS7_INS6_11hip_rocprim26transform_input_iterator_tIbNSD_35transform_pair_of_input_iterators_tIbNS6_6detail15normal_iteratorINS6_10device_ptrIKyEEEESL_NS6_8equal_toIyEEEENSG_9not_fun_tINSD_8identityEEEEENSD_19counting_iterator_tIlEES8_S8_S8_S8_S8_S8_S8_S8_EEEEPS9_S9_NSD_9__find_if7functorIS9_EEEE10hipError_tPvRmT1_T2_T3_mT4_P12ihipStream_tbEUlT_E1_NS1_11comp_targetILNS1_3genE0ELNS1_11target_archE4294967295ELNS1_3gpuE0ELNS1_3repE0EEENS1_30default_config_static_selectorELNS0_4arch9wavefront6targetE1EEEvS14_
                                        ; -- End function
	.set _ZN7rocprim17ROCPRIM_400000_NS6detail17trampoline_kernelINS0_14default_configENS1_22reduce_config_selectorIN6thrust23THRUST_200600_302600_NS5tupleIblNS6_9null_typeES8_S8_S8_S8_S8_S8_S8_EEEEZNS1_11reduce_implILb1ES3_NS6_12zip_iteratorINS7_INS6_11hip_rocprim26transform_input_iterator_tIbNSD_35transform_pair_of_input_iterators_tIbNS6_6detail15normal_iteratorINS6_10device_ptrIKyEEEESL_NS6_8equal_toIyEEEENSG_9not_fun_tINSD_8identityEEEEENSD_19counting_iterator_tIlEES8_S8_S8_S8_S8_S8_S8_S8_EEEEPS9_S9_NSD_9__find_if7functorIS9_EEEE10hipError_tPvRmT1_T2_T3_mT4_P12ihipStream_tbEUlT_E1_NS1_11comp_targetILNS1_3genE0ELNS1_11target_archE4294967295ELNS1_3gpuE0ELNS1_3repE0EEENS1_30default_config_static_selectorELNS0_4arch9wavefront6targetE1EEEvS14_.num_vgpr, 45
	.set _ZN7rocprim17ROCPRIM_400000_NS6detail17trampoline_kernelINS0_14default_configENS1_22reduce_config_selectorIN6thrust23THRUST_200600_302600_NS5tupleIblNS6_9null_typeES8_S8_S8_S8_S8_S8_S8_EEEEZNS1_11reduce_implILb1ES3_NS6_12zip_iteratorINS7_INS6_11hip_rocprim26transform_input_iterator_tIbNSD_35transform_pair_of_input_iterators_tIbNS6_6detail15normal_iteratorINS6_10device_ptrIKyEEEESL_NS6_8equal_toIyEEEENSG_9not_fun_tINSD_8identityEEEEENSD_19counting_iterator_tIlEES8_S8_S8_S8_S8_S8_S8_S8_EEEEPS9_S9_NSD_9__find_if7functorIS9_EEEE10hipError_tPvRmT1_T2_T3_mT4_P12ihipStream_tbEUlT_E1_NS1_11comp_targetILNS1_3genE0ELNS1_11target_archE4294967295ELNS1_3gpuE0ELNS1_3repE0EEENS1_30default_config_static_selectorELNS0_4arch9wavefront6targetE1EEEvS14_.num_agpr, 0
	.set _ZN7rocprim17ROCPRIM_400000_NS6detail17trampoline_kernelINS0_14default_configENS1_22reduce_config_selectorIN6thrust23THRUST_200600_302600_NS5tupleIblNS6_9null_typeES8_S8_S8_S8_S8_S8_S8_EEEEZNS1_11reduce_implILb1ES3_NS6_12zip_iteratorINS7_INS6_11hip_rocprim26transform_input_iterator_tIbNSD_35transform_pair_of_input_iterators_tIbNS6_6detail15normal_iteratorINS6_10device_ptrIKyEEEESL_NS6_8equal_toIyEEEENSG_9not_fun_tINSD_8identityEEEEENSD_19counting_iterator_tIlEES8_S8_S8_S8_S8_S8_S8_S8_EEEEPS9_S9_NSD_9__find_if7functorIS9_EEEE10hipError_tPvRmT1_T2_T3_mT4_P12ihipStream_tbEUlT_E1_NS1_11comp_targetILNS1_3genE0ELNS1_11target_archE4294967295ELNS1_3gpuE0ELNS1_3repE0EEENS1_30default_config_static_selectorELNS0_4arch9wavefront6targetE1EEEvS14_.numbered_sgpr, 40
	.set _ZN7rocprim17ROCPRIM_400000_NS6detail17trampoline_kernelINS0_14default_configENS1_22reduce_config_selectorIN6thrust23THRUST_200600_302600_NS5tupleIblNS6_9null_typeES8_S8_S8_S8_S8_S8_S8_EEEEZNS1_11reduce_implILb1ES3_NS6_12zip_iteratorINS7_INS6_11hip_rocprim26transform_input_iterator_tIbNSD_35transform_pair_of_input_iterators_tIbNS6_6detail15normal_iteratorINS6_10device_ptrIKyEEEESL_NS6_8equal_toIyEEEENSG_9not_fun_tINSD_8identityEEEEENSD_19counting_iterator_tIlEES8_S8_S8_S8_S8_S8_S8_S8_EEEEPS9_S9_NSD_9__find_if7functorIS9_EEEE10hipError_tPvRmT1_T2_T3_mT4_P12ihipStream_tbEUlT_E1_NS1_11comp_targetILNS1_3genE0ELNS1_11target_archE4294967295ELNS1_3gpuE0ELNS1_3repE0EEENS1_30default_config_static_selectorELNS0_4arch9wavefront6targetE1EEEvS14_.num_named_barrier, 0
	.set _ZN7rocprim17ROCPRIM_400000_NS6detail17trampoline_kernelINS0_14default_configENS1_22reduce_config_selectorIN6thrust23THRUST_200600_302600_NS5tupleIblNS6_9null_typeES8_S8_S8_S8_S8_S8_S8_EEEEZNS1_11reduce_implILb1ES3_NS6_12zip_iteratorINS7_INS6_11hip_rocprim26transform_input_iterator_tIbNSD_35transform_pair_of_input_iterators_tIbNS6_6detail15normal_iteratorINS6_10device_ptrIKyEEEESL_NS6_8equal_toIyEEEENSG_9not_fun_tINSD_8identityEEEEENSD_19counting_iterator_tIlEES8_S8_S8_S8_S8_S8_S8_S8_EEEEPS9_S9_NSD_9__find_if7functorIS9_EEEE10hipError_tPvRmT1_T2_T3_mT4_P12ihipStream_tbEUlT_E1_NS1_11comp_targetILNS1_3genE0ELNS1_11target_archE4294967295ELNS1_3gpuE0ELNS1_3repE0EEENS1_30default_config_static_selectorELNS0_4arch9wavefront6targetE1EEEvS14_.private_seg_size, 0
	.set _ZN7rocprim17ROCPRIM_400000_NS6detail17trampoline_kernelINS0_14default_configENS1_22reduce_config_selectorIN6thrust23THRUST_200600_302600_NS5tupleIblNS6_9null_typeES8_S8_S8_S8_S8_S8_S8_EEEEZNS1_11reduce_implILb1ES3_NS6_12zip_iteratorINS7_INS6_11hip_rocprim26transform_input_iterator_tIbNSD_35transform_pair_of_input_iterators_tIbNS6_6detail15normal_iteratorINS6_10device_ptrIKyEEEESL_NS6_8equal_toIyEEEENSG_9not_fun_tINSD_8identityEEEEENSD_19counting_iterator_tIlEES8_S8_S8_S8_S8_S8_S8_S8_EEEEPS9_S9_NSD_9__find_if7functorIS9_EEEE10hipError_tPvRmT1_T2_T3_mT4_P12ihipStream_tbEUlT_E1_NS1_11comp_targetILNS1_3genE0ELNS1_11target_archE4294967295ELNS1_3gpuE0ELNS1_3repE0EEENS1_30default_config_static_selectorELNS0_4arch9wavefront6targetE1EEEvS14_.uses_vcc, 1
	.set _ZN7rocprim17ROCPRIM_400000_NS6detail17trampoline_kernelINS0_14default_configENS1_22reduce_config_selectorIN6thrust23THRUST_200600_302600_NS5tupleIblNS6_9null_typeES8_S8_S8_S8_S8_S8_S8_EEEEZNS1_11reduce_implILb1ES3_NS6_12zip_iteratorINS7_INS6_11hip_rocprim26transform_input_iterator_tIbNSD_35transform_pair_of_input_iterators_tIbNS6_6detail15normal_iteratorINS6_10device_ptrIKyEEEESL_NS6_8equal_toIyEEEENSG_9not_fun_tINSD_8identityEEEEENSD_19counting_iterator_tIlEES8_S8_S8_S8_S8_S8_S8_S8_EEEEPS9_S9_NSD_9__find_if7functorIS9_EEEE10hipError_tPvRmT1_T2_T3_mT4_P12ihipStream_tbEUlT_E1_NS1_11comp_targetILNS1_3genE0ELNS1_11target_archE4294967295ELNS1_3gpuE0ELNS1_3repE0EEENS1_30default_config_static_selectorELNS0_4arch9wavefront6targetE1EEEvS14_.uses_flat_scratch, 0
	.set _ZN7rocprim17ROCPRIM_400000_NS6detail17trampoline_kernelINS0_14default_configENS1_22reduce_config_selectorIN6thrust23THRUST_200600_302600_NS5tupleIblNS6_9null_typeES8_S8_S8_S8_S8_S8_S8_EEEEZNS1_11reduce_implILb1ES3_NS6_12zip_iteratorINS7_INS6_11hip_rocprim26transform_input_iterator_tIbNSD_35transform_pair_of_input_iterators_tIbNS6_6detail15normal_iteratorINS6_10device_ptrIKyEEEESL_NS6_8equal_toIyEEEENSG_9not_fun_tINSD_8identityEEEEENSD_19counting_iterator_tIlEES8_S8_S8_S8_S8_S8_S8_S8_EEEEPS9_S9_NSD_9__find_if7functorIS9_EEEE10hipError_tPvRmT1_T2_T3_mT4_P12ihipStream_tbEUlT_E1_NS1_11comp_targetILNS1_3genE0ELNS1_11target_archE4294967295ELNS1_3gpuE0ELNS1_3repE0EEENS1_30default_config_static_selectorELNS0_4arch9wavefront6targetE1EEEvS14_.has_dyn_sized_stack, 0
	.set _ZN7rocprim17ROCPRIM_400000_NS6detail17trampoline_kernelINS0_14default_configENS1_22reduce_config_selectorIN6thrust23THRUST_200600_302600_NS5tupleIblNS6_9null_typeES8_S8_S8_S8_S8_S8_S8_EEEEZNS1_11reduce_implILb1ES3_NS6_12zip_iteratorINS7_INS6_11hip_rocprim26transform_input_iterator_tIbNSD_35transform_pair_of_input_iterators_tIbNS6_6detail15normal_iteratorINS6_10device_ptrIKyEEEESL_NS6_8equal_toIyEEEENSG_9not_fun_tINSD_8identityEEEEENSD_19counting_iterator_tIlEES8_S8_S8_S8_S8_S8_S8_S8_EEEEPS9_S9_NSD_9__find_if7functorIS9_EEEE10hipError_tPvRmT1_T2_T3_mT4_P12ihipStream_tbEUlT_E1_NS1_11comp_targetILNS1_3genE0ELNS1_11target_archE4294967295ELNS1_3gpuE0ELNS1_3repE0EEENS1_30default_config_static_selectorELNS0_4arch9wavefront6targetE1EEEvS14_.has_recursion, 0
	.set _ZN7rocprim17ROCPRIM_400000_NS6detail17trampoline_kernelINS0_14default_configENS1_22reduce_config_selectorIN6thrust23THRUST_200600_302600_NS5tupleIblNS6_9null_typeES8_S8_S8_S8_S8_S8_S8_EEEEZNS1_11reduce_implILb1ES3_NS6_12zip_iteratorINS7_INS6_11hip_rocprim26transform_input_iterator_tIbNSD_35transform_pair_of_input_iterators_tIbNS6_6detail15normal_iteratorINS6_10device_ptrIKyEEEESL_NS6_8equal_toIyEEEENSG_9not_fun_tINSD_8identityEEEEENSD_19counting_iterator_tIlEES8_S8_S8_S8_S8_S8_S8_S8_EEEEPS9_S9_NSD_9__find_if7functorIS9_EEEE10hipError_tPvRmT1_T2_T3_mT4_P12ihipStream_tbEUlT_E1_NS1_11comp_targetILNS1_3genE0ELNS1_11target_archE4294967295ELNS1_3gpuE0ELNS1_3repE0EEENS1_30default_config_static_selectorELNS0_4arch9wavefront6targetE1EEEvS14_.has_indirect_call, 0
	.section	.AMDGPU.csdata,"",@progbits
; Kernel info:
; codeLenInByte = 13328
; TotalNumSgprs: 46
; NumVgprs: 45
; NumAgprs: 0
; TotalNumVgprs: 45
; ScratchSize: 0
; MemoryBound: 0
; FloatMode: 240
; IeeeMode: 1
; LDSByteSize: 160 bytes/workgroup (compile time only)
; SGPRBlocks: 5
; VGPRBlocks: 5
; NumSGPRsForWavesPerEU: 46
; NumVGPRsForWavesPerEU: 45
; AccumOffset: 48
; Occupancy: 8
; WaveLimiterHint : 0
; COMPUTE_PGM_RSRC2:SCRATCH_EN: 0
; COMPUTE_PGM_RSRC2:USER_SGPR: 2
; COMPUTE_PGM_RSRC2:TRAP_HANDLER: 0
; COMPUTE_PGM_RSRC2:TGID_X_EN: 1
; COMPUTE_PGM_RSRC2:TGID_Y_EN: 0
; COMPUTE_PGM_RSRC2:TGID_Z_EN: 0
; COMPUTE_PGM_RSRC2:TIDIG_COMP_CNT: 0
; COMPUTE_PGM_RSRC3_GFX90A:ACCUM_OFFSET: 11
; COMPUTE_PGM_RSRC3_GFX90A:TG_SPLIT: 0
	.section	.text._ZN7rocprim17ROCPRIM_400000_NS6detail17trampoline_kernelINS0_14default_configENS1_22reduce_config_selectorIN6thrust23THRUST_200600_302600_NS5tupleIblNS6_9null_typeES8_S8_S8_S8_S8_S8_S8_EEEEZNS1_11reduce_implILb1ES3_NS6_12zip_iteratorINS7_INS6_11hip_rocprim26transform_input_iterator_tIbNSD_35transform_pair_of_input_iterators_tIbNS6_6detail15normal_iteratorINS6_10device_ptrIKyEEEESL_NS6_8equal_toIyEEEENSG_9not_fun_tINSD_8identityEEEEENSD_19counting_iterator_tIlEES8_S8_S8_S8_S8_S8_S8_S8_EEEEPS9_S9_NSD_9__find_if7functorIS9_EEEE10hipError_tPvRmT1_T2_T3_mT4_P12ihipStream_tbEUlT_E1_NS1_11comp_targetILNS1_3genE5ELNS1_11target_archE942ELNS1_3gpuE9ELNS1_3repE0EEENS1_30default_config_static_selectorELNS0_4arch9wavefront6targetE1EEEvS14_,"axG",@progbits,_ZN7rocprim17ROCPRIM_400000_NS6detail17trampoline_kernelINS0_14default_configENS1_22reduce_config_selectorIN6thrust23THRUST_200600_302600_NS5tupleIblNS6_9null_typeES8_S8_S8_S8_S8_S8_S8_EEEEZNS1_11reduce_implILb1ES3_NS6_12zip_iteratorINS7_INS6_11hip_rocprim26transform_input_iterator_tIbNSD_35transform_pair_of_input_iterators_tIbNS6_6detail15normal_iteratorINS6_10device_ptrIKyEEEESL_NS6_8equal_toIyEEEENSG_9not_fun_tINSD_8identityEEEEENSD_19counting_iterator_tIlEES8_S8_S8_S8_S8_S8_S8_S8_EEEEPS9_S9_NSD_9__find_if7functorIS9_EEEE10hipError_tPvRmT1_T2_T3_mT4_P12ihipStream_tbEUlT_E1_NS1_11comp_targetILNS1_3genE5ELNS1_11target_archE942ELNS1_3gpuE9ELNS1_3repE0EEENS1_30default_config_static_selectorELNS0_4arch9wavefront6targetE1EEEvS14_,comdat
	.protected	_ZN7rocprim17ROCPRIM_400000_NS6detail17trampoline_kernelINS0_14default_configENS1_22reduce_config_selectorIN6thrust23THRUST_200600_302600_NS5tupleIblNS6_9null_typeES8_S8_S8_S8_S8_S8_S8_EEEEZNS1_11reduce_implILb1ES3_NS6_12zip_iteratorINS7_INS6_11hip_rocprim26transform_input_iterator_tIbNSD_35transform_pair_of_input_iterators_tIbNS6_6detail15normal_iteratorINS6_10device_ptrIKyEEEESL_NS6_8equal_toIyEEEENSG_9not_fun_tINSD_8identityEEEEENSD_19counting_iterator_tIlEES8_S8_S8_S8_S8_S8_S8_S8_EEEEPS9_S9_NSD_9__find_if7functorIS9_EEEE10hipError_tPvRmT1_T2_T3_mT4_P12ihipStream_tbEUlT_E1_NS1_11comp_targetILNS1_3genE5ELNS1_11target_archE942ELNS1_3gpuE9ELNS1_3repE0EEENS1_30default_config_static_selectorELNS0_4arch9wavefront6targetE1EEEvS14_ ; -- Begin function _ZN7rocprim17ROCPRIM_400000_NS6detail17trampoline_kernelINS0_14default_configENS1_22reduce_config_selectorIN6thrust23THRUST_200600_302600_NS5tupleIblNS6_9null_typeES8_S8_S8_S8_S8_S8_S8_EEEEZNS1_11reduce_implILb1ES3_NS6_12zip_iteratorINS7_INS6_11hip_rocprim26transform_input_iterator_tIbNSD_35transform_pair_of_input_iterators_tIbNS6_6detail15normal_iteratorINS6_10device_ptrIKyEEEESL_NS6_8equal_toIyEEEENSG_9not_fun_tINSD_8identityEEEEENSD_19counting_iterator_tIlEES8_S8_S8_S8_S8_S8_S8_S8_EEEEPS9_S9_NSD_9__find_if7functorIS9_EEEE10hipError_tPvRmT1_T2_T3_mT4_P12ihipStream_tbEUlT_E1_NS1_11comp_targetILNS1_3genE5ELNS1_11target_archE942ELNS1_3gpuE9ELNS1_3repE0EEENS1_30default_config_static_selectorELNS0_4arch9wavefront6targetE1EEEvS14_
	.globl	_ZN7rocprim17ROCPRIM_400000_NS6detail17trampoline_kernelINS0_14default_configENS1_22reduce_config_selectorIN6thrust23THRUST_200600_302600_NS5tupleIblNS6_9null_typeES8_S8_S8_S8_S8_S8_S8_EEEEZNS1_11reduce_implILb1ES3_NS6_12zip_iteratorINS7_INS6_11hip_rocprim26transform_input_iterator_tIbNSD_35transform_pair_of_input_iterators_tIbNS6_6detail15normal_iteratorINS6_10device_ptrIKyEEEESL_NS6_8equal_toIyEEEENSG_9not_fun_tINSD_8identityEEEEENSD_19counting_iterator_tIlEES8_S8_S8_S8_S8_S8_S8_S8_EEEEPS9_S9_NSD_9__find_if7functorIS9_EEEE10hipError_tPvRmT1_T2_T3_mT4_P12ihipStream_tbEUlT_E1_NS1_11comp_targetILNS1_3genE5ELNS1_11target_archE942ELNS1_3gpuE9ELNS1_3repE0EEENS1_30default_config_static_selectorELNS0_4arch9wavefront6targetE1EEEvS14_
	.p2align	8
	.type	_ZN7rocprim17ROCPRIM_400000_NS6detail17trampoline_kernelINS0_14default_configENS1_22reduce_config_selectorIN6thrust23THRUST_200600_302600_NS5tupleIblNS6_9null_typeES8_S8_S8_S8_S8_S8_S8_EEEEZNS1_11reduce_implILb1ES3_NS6_12zip_iteratorINS7_INS6_11hip_rocprim26transform_input_iterator_tIbNSD_35transform_pair_of_input_iterators_tIbNS6_6detail15normal_iteratorINS6_10device_ptrIKyEEEESL_NS6_8equal_toIyEEEENSG_9not_fun_tINSD_8identityEEEEENSD_19counting_iterator_tIlEES8_S8_S8_S8_S8_S8_S8_S8_EEEEPS9_S9_NSD_9__find_if7functorIS9_EEEE10hipError_tPvRmT1_T2_T3_mT4_P12ihipStream_tbEUlT_E1_NS1_11comp_targetILNS1_3genE5ELNS1_11target_archE942ELNS1_3gpuE9ELNS1_3repE0EEENS1_30default_config_static_selectorELNS0_4arch9wavefront6targetE1EEEvS14_,@function
_ZN7rocprim17ROCPRIM_400000_NS6detail17trampoline_kernelINS0_14default_configENS1_22reduce_config_selectorIN6thrust23THRUST_200600_302600_NS5tupleIblNS6_9null_typeES8_S8_S8_S8_S8_S8_S8_EEEEZNS1_11reduce_implILb1ES3_NS6_12zip_iteratorINS7_INS6_11hip_rocprim26transform_input_iterator_tIbNSD_35transform_pair_of_input_iterators_tIbNS6_6detail15normal_iteratorINS6_10device_ptrIKyEEEESL_NS6_8equal_toIyEEEENSG_9not_fun_tINSD_8identityEEEEENSD_19counting_iterator_tIlEES8_S8_S8_S8_S8_S8_S8_S8_EEEEPS9_S9_NSD_9__find_if7functorIS9_EEEE10hipError_tPvRmT1_T2_T3_mT4_P12ihipStream_tbEUlT_E1_NS1_11comp_targetILNS1_3genE5ELNS1_11target_archE942ELNS1_3gpuE9ELNS1_3repE0EEENS1_30default_config_static_selectorELNS0_4arch9wavefront6targetE1EEEvS14_: ; @_ZN7rocprim17ROCPRIM_400000_NS6detail17trampoline_kernelINS0_14default_configENS1_22reduce_config_selectorIN6thrust23THRUST_200600_302600_NS5tupleIblNS6_9null_typeES8_S8_S8_S8_S8_S8_S8_EEEEZNS1_11reduce_implILb1ES3_NS6_12zip_iteratorINS7_INS6_11hip_rocprim26transform_input_iterator_tIbNSD_35transform_pair_of_input_iterators_tIbNS6_6detail15normal_iteratorINS6_10device_ptrIKyEEEESL_NS6_8equal_toIyEEEENSG_9not_fun_tINSD_8identityEEEEENSD_19counting_iterator_tIlEES8_S8_S8_S8_S8_S8_S8_S8_EEEEPS9_S9_NSD_9__find_if7functorIS9_EEEE10hipError_tPvRmT1_T2_T3_mT4_P12ihipStream_tbEUlT_E1_NS1_11comp_targetILNS1_3genE5ELNS1_11target_archE942ELNS1_3gpuE9ELNS1_3repE0EEENS1_30default_config_static_selectorELNS0_4arch9wavefront6targetE1EEEvS14_
; %bb.0:
	.section	.rodata,"a",@progbits
	.p2align	6, 0x0
	.amdhsa_kernel _ZN7rocprim17ROCPRIM_400000_NS6detail17trampoline_kernelINS0_14default_configENS1_22reduce_config_selectorIN6thrust23THRUST_200600_302600_NS5tupleIblNS6_9null_typeES8_S8_S8_S8_S8_S8_S8_EEEEZNS1_11reduce_implILb1ES3_NS6_12zip_iteratorINS7_INS6_11hip_rocprim26transform_input_iterator_tIbNSD_35transform_pair_of_input_iterators_tIbNS6_6detail15normal_iteratorINS6_10device_ptrIKyEEEESL_NS6_8equal_toIyEEEENSG_9not_fun_tINSD_8identityEEEEENSD_19counting_iterator_tIlEES8_S8_S8_S8_S8_S8_S8_S8_EEEEPS9_S9_NSD_9__find_if7functorIS9_EEEE10hipError_tPvRmT1_T2_T3_mT4_P12ihipStream_tbEUlT_E1_NS1_11comp_targetILNS1_3genE5ELNS1_11target_archE942ELNS1_3gpuE9ELNS1_3repE0EEENS1_30default_config_static_selectorELNS0_4arch9wavefront6targetE1EEEvS14_
		.amdhsa_group_segment_fixed_size 0
		.amdhsa_private_segment_fixed_size 0
		.amdhsa_kernarg_size 88
		.amdhsa_user_sgpr_count 2
		.amdhsa_user_sgpr_dispatch_ptr 0
		.amdhsa_user_sgpr_queue_ptr 0
		.amdhsa_user_sgpr_kernarg_segment_ptr 1
		.amdhsa_user_sgpr_dispatch_id 0
		.amdhsa_user_sgpr_kernarg_preload_length 0
		.amdhsa_user_sgpr_kernarg_preload_offset 0
		.amdhsa_user_sgpr_private_segment_size 0
		.amdhsa_uses_dynamic_stack 0
		.amdhsa_enable_private_segment 0
		.amdhsa_system_sgpr_workgroup_id_x 1
		.amdhsa_system_sgpr_workgroup_id_y 0
		.amdhsa_system_sgpr_workgroup_id_z 0
		.amdhsa_system_sgpr_workgroup_info 0
		.amdhsa_system_vgpr_workitem_id 0
		.amdhsa_next_free_vgpr 1
		.amdhsa_next_free_sgpr 0
		.amdhsa_accum_offset 4
		.amdhsa_reserve_vcc 0
		.amdhsa_float_round_mode_32 0
		.amdhsa_float_round_mode_16_64 0
		.amdhsa_float_denorm_mode_32 3
		.amdhsa_float_denorm_mode_16_64 3
		.amdhsa_dx10_clamp 1
		.amdhsa_ieee_mode 1
		.amdhsa_fp16_overflow 0
		.amdhsa_tg_split 0
		.amdhsa_exception_fp_ieee_invalid_op 0
		.amdhsa_exception_fp_denorm_src 0
		.amdhsa_exception_fp_ieee_div_zero 0
		.amdhsa_exception_fp_ieee_overflow 0
		.amdhsa_exception_fp_ieee_underflow 0
		.amdhsa_exception_fp_ieee_inexact 0
		.amdhsa_exception_int_div_zero 0
	.end_amdhsa_kernel
	.section	.text._ZN7rocprim17ROCPRIM_400000_NS6detail17trampoline_kernelINS0_14default_configENS1_22reduce_config_selectorIN6thrust23THRUST_200600_302600_NS5tupleIblNS6_9null_typeES8_S8_S8_S8_S8_S8_S8_EEEEZNS1_11reduce_implILb1ES3_NS6_12zip_iteratorINS7_INS6_11hip_rocprim26transform_input_iterator_tIbNSD_35transform_pair_of_input_iterators_tIbNS6_6detail15normal_iteratorINS6_10device_ptrIKyEEEESL_NS6_8equal_toIyEEEENSG_9not_fun_tINSD_8identityEEEEENSD_19counting_iterator_tIlEES8_S8_S8_S8_S8_S8_S8_S8_EEEEPS9_S9_NSD_9__find_if7functorIS9_EEEE10hipError_tPvRmT1_T2_T3_mT4_P12ihipStream_tbEUlT_E1_NS1_11comp_targetILNS1_3genE5ELNS1_11target_archE942ELNS1_3gpuE9ELNS1_3repE0EEENS1_30default_config_static_selectorELNS0_4arch9wavefront6targetE1EEEvS14_,"axG",@progbits,_ZN7rocprim17ROCPRIM_400000_NS6detail17trampoline_kernelINS0_14default_configENS1_22reduce_config_selectorIN6thrust23THRUST_200600_302600_NS5tupleIblNS6_9null_typeES8_S8_S8_S8_S8_S8_S8_EEEEZNS1_11reduce_implILb1ES3_NS6_12zip_iteratorINS7_INS6_11hip_rocprim26transform_input_iterator_tIbNSD_35transform_pair_of_input_iterators_tIbNS6_6detail15normal_iteratorINS6_10device_ptrIKyEEEESL_NS6_8equal_toIyEEEENSG_9not_fun_tINSD_8identityEEEEENSD_19counting_iterator_tIlEES8_S8_S8_S8_S8_S8_S8_S8_EEEEPS9_S9_NSD_9__find_if7functorIS9_EEEE10hipError_tPvRmT1_T2_T3_mT4_P12ihipStream_tbEUlT_E1_NS1_11comp_targetILNS1_3genE5ELNS1_11target_archE942ELNS1_3gpuE9ELNS1_3repE0EEENS1_30default_config_static_selectorELNS0_4arch9wavefront6targetE1EEEvS14_,comdat
.Lfunc_end592:
	.size	_ZN7rocprim17ROCPRIM_400000_NS6detail17trampoline_kernelINS0_14default_configENS1_22reduce_config_selectorIN6thrust23THRUST_200600_302600_NS5tupleIblNS6_9null_typeES8_S8_S8_S8_S8_S8_S8_EEEEZNS1_11reduce_implILb1ES3_NS6_12zip_iteratorINS7_INS6_11hip_rocprim26transform_input_iterator_tIbNSD_35transform_pair_of_input_iterators_tIbNS6_6detail15normal_iteratorINS6_10device_ptrIKyEEEESL_NS6_8equal_toIyEEEENSG_9not_fun_tINSD_8identityEEEEENSD_19counting_iterator_tIlEES8_S8_S8_S8_S8_S8_S8_S8_EEEEPS9_S9_NSD_9__find_if7functorIS9_EEEE10hipError_tPvRmT1_T2_T3_mT4_P12ihipStream_tbEUlT_E1_NS1_11comp_targetILNS1_3genE5ELNS1_11target_archE942ELNS1_3gpuE9ELNS1_3repE0EEENS1_30default_config_static_selectorELNS0_4arch9wavefront6targetE1EEEvS14_, .Lfunc_end592-_ZN7rocprim17ROCPRIM_400000_NS6detail17trampoline_kernelINS0_14default_configENS1_22reduce_config_selectorIN6thrust23THRUST_200600_302600_NS5tupleIblNS6_9null_typeES8_S8_S8_S8_S8_S8_S8_EEEEZNS1_11reduce_implILb1ES3_NS6_12zip_iteratorINS7_INS6_11hip_rocprim26transform_input_iterator_tIbNSD_35transform_pair_of_input_iterators_tIbNS6_6detail15normal_iteratorINS6_10device_ptrIKyEEEESL_NS6_8equal_toIyEEEENSG_9not_fun_tINSD_8identityEEEEENSD_19counting_iterator_tIlEES8_S8_S8_S8_S8_S8_S8_S8_EEEEPS9_S9_NSD_9__find_if7functorIS9_EEEE10hipError_tPvRmT1_T2_T3_mT4_P12ihipStream_tbEUlT_E1_NS1_11comp_targetILNS1_3genE5ELNS1_11target_archE942ELNS1_3gpuE9ELNS1_3repE0EEENS1_30default_config_static_selectorELNS0_4arch9wavefront6targetE1EEEvS14_
                                        ; -- End function
	.set _ZN7rocprim17ROCPRIM_400000_NS6detail17trampoline_kernelINS0_14default_configENS1_22reduce_config_selectorIN6thrust23THRUST_200600_302600_NS5tupleIblNS6_9null_typeES8_S8_S8_S8_S8_S8_S8_EEEEZNS1_11reduce_implILb1ES3_NS6_12zip_iteratorINS7_INS6_11hip_rocprim26transform_input_iterator_tIbNSD_35transform_pair_of_input_iterators_tIbNS6_6detail15normal_iteratorINS6_10device_ptrIKyEEEESL_NS6_8equal_toIyEEEENSG_9not_fun_tINSD_8identityEEEEENSD_19counting_iterator_tIlEES8_S8_S8_S8_S8_S8_S8_S8_EEEEPS9_S9_NSD_9__find_if7functorIS9_EEEE10hipError_tPvRmT1_T2_T3_mT4_P12ihipStream_tbEUlT_E1_NS1_11comp_targetILNS1_3genE5ELNS1_11target_archE942ELNS1_3gpuE9ELNS1_3repE0EEENS1_30default_config_static_selectorELNS0_4arch9wavefront6targetE1EEEvS14_.num_vgpr, 0
	.set _ZN7rocprim17ROCPRIM_400000_NS6detail17trampoline_kernelINS0_14default_configENS1_22reduce_config_selectorIN6thrust23THRUST_200600_302600_NS5tupleIblNS6_9null_typeES8_S8_S8_S8_S8_S8_S8_EEEEZNS1_11reduce_implILb1ES3_NS6_12zip_iteratorINS7_INS6_11hip_rocprim26transform_input_iterator_tIbNSD_35transform_pair_of_input_iterators_tIbNS6_6detail15normal_iteratorINS6_10device_ptrIKyEEEESL_NS6_8equal_toIyEEEENSG_9not_fun_tINSD_8identityEEEEENSD_19counting_iterator_tIlEES8_S8_S8_S8_S8_S8_S8_S8_EEEEPS9_S9_NSD_9__find_if7functorIS9_EEEE10hipError_tPvRmT1_T2_T3_mT4_P12ihipStream_tbEUlT_E1_NS1_11comp_targetILNS1_3genE5ELNS1_11target_archE942ELNS1_3gpuE9ELNS1_3repE0EEENS1_30default_config_static_selectorELNS0_4arch9wavefront6targetE1EEEvS14_.num_agpr, 0
	.set _ZN7rocprim17ROCPRIM_400000_NS6detail17trampoline_kernelINS0_14default_configENS1_22reduce_config_selectorIN6thrust23THRUST_200600_302600_NS5tupleIblNS6_9null_typeES8_S8_S8_S8_S8_S8_S8_EEEEZNS1_11reduce_implILb1ES3_NS6_12zip_iteratorINS7_INS6_11hip_rocprim26transform_input_iterator_tIbNSD_35transform_pair_of_input_iterators_tIbNS6_6detail15normal_iteratorINS6_10device_ptrIKyEEEESL_NS6_8equal_toIyEEEENSG_9not_fun_tINSD_8identityEEEEENSD_19counting_iterator_tIlEES8_S8_S8_S8_S8_S8_S8_S8_EEEEPS9_S9_NSD_9__find_if7functorIS9_EEEE10hipError_tPvRmT1_T2_T3_mT4_P12ihipStream_tbEUlT_E1_NS1_11comp_targetILNS1_3genE5ELNS1_11target_archE942ELNS1_3gpuE9ELNS1_3repE0EEENS1_30default_config_static_selectorELNS0_4arch9wavefront6targetE1EEEvS14_.numbered_sgpr, 0
	.set _ZN7rocprim17ROCPRIM_400000_NS6detail17trampoline_kernelINS0_14default_configENS1_22reduce_config_selectorIN6thrust23THRUST_200600_302600_NS5tupleIblNS6_9null_typeES8_S8_S8_S8_S8_S8_S8_EEEEZNS1_11reduce_implILb1ES3_NS6_12zip_iteratorINS7_INS6_11hip_rocprim26transform_input_iterator_tIbNSD_35transform_pair_of_input_iterators_tIbNS6_6detail15normal_iteratorINS6_10device_ptrIKyEEEESL_NS6_8equal_toIyEEEENSG_9not_fun_tINSD_8identityEEEEENSD_19counting_iterator_tIlEES8_S8_S8_S8_S8_S8_S8_S8_EEEEPS9_S9_NSD_9__find_if7functorIS9_EEEE10hipError_tPvRmT1_T2_T3_mT4_P12ihipStream_tbEUlT_E1_NS1_11comp_targetILNS1_3genE5ELNS1_11target_archE942ELNS1_3gpuE9ELNS1_3repE0EEENS1_30default_config_static_selectorELNS0_4arch9wavefront6targetE1EEEvS14_.num_named_barrier, 0
	.set _ZN7rocprim17ROCPRIM_400000_NS6detail17trampoline_kernelINS0_14default_configENS1_22reduce_config_selectorIN6thrust23THRUST_200600_302600_NS5tupleIblNS6_9null_typeES8_S8_S8_S8_S8_S8_S8_EEEEZNS1_11reduce_implILb1ES3_NS6_12zip_iteratorINS7_INS6_11hip_rocprim26transform_input_iterator_tIbNSD_35transform_pair_of_input_iterators_tIbNS6_6detail15normal_iteratorINS6_10device_ptrIKyEEEESL_NS6_8equal_toIyEEEENSG_9not_fun_tINSD_8identityEEEEENSD_19counting_iterator_tIlEES8_S8_S8_S8_S8_S8_S8_S8_EEEEPS9_S9_NSD_9__find_if7functorIS9_EEEE10hipError_tPvRmT1_T2_T3_mT4_P12ihipStream_tbEUlT_E1_NS1_11comp_targetILNS1_3genE5ELNS1_11target_archE942ELNS1_3gpuE9ELNS1_3repE0EEENS1_30default_config_static_selectorELNS0_4arch9wavefront6targetE1EEEvS14_.private_seg_size, 0
	.set _ZN7rocprim17ROCPRIM_400000_NS6detail17trampoline_kernelINS0_14default_configENS1_22reduce_config_selectorIN6thrust23THRUST_200600_302600_NS5tupleIblNS6_9null_typeES8_S8_S8_S8_S8_S8_S8_EEEEZNS1_11reduce_implILb1ES3_NS6_12zip_iteratorINS7_INS6_11hip_rocprim26transform_input_iterator_tIbNSD_35transform_pair_of_input_iterators_tIbNS6_6detail15normal_iteratorINS6_10device_ptrIKyEEEESL_NS6_8equal_toIyEEEENSG_9not_fun_tINSD_8identityEEEEENSD_19counting_iterator_tIlEES8_S8_S8_S8_S8_S8_S8_S8_EEEEPS9_S9_NSD_9__find_if7functorIS9_EEEE10hipError_tPvRmT1_T2_T3_mT4_P12ihipStream_tbEUlT_E1_NS1_11comp_targetILNS1_3genE5ELNS1_11target_archE942ELNS1_3gpuE9ELNS1_3repE0EEENS1_30default_config_static_selectorELNS0_4arch9wavefront6targetE1EEEvS14_.uses_vcc, 0
	.set _ZN7rocprim17ROCPRIM_400000_NS6detail17trampoline_kernelINS0_14default_configENS1_22reduce_config_selectorIN6thrust23THRUST_200600_302600_NS5tupleIblNS6_9null_typeES8_S8_S8_S8_S8_S8_S8_EEEEZNS1_11reduce_implILb1ES3_NS6_12zip_iteratorINS7_INS6_11hip_rocprim26transform_input_iterator_tIbNSD_35transform_pair_of_input_iterators_tIbNS6_6detail15normal_iteratorINS6_10device_ptrIKyEEEESL_NS6_8equal_toIyEEEENSG_9not_fun_tINSD_8identityEEEEENSD_19counting_iterator_tIlEES8_S8_S8_S8_S8_S8_S8_S8_EEEEPS9_S9_NSD_9__find_if7functorIS9_EEEE10hipError_tPvRmT1_T2_T3_mT4_P12ihipStream_tbEUlT_E1_NS1_11comp_targetILNS1_3genE5ELNS1_11target_archE942ELNS1_3gpuE9ELNS1_3repE0EEENS1_30default_config_static_selectorELNS0_4arch9wavefront6targetE1EEEvS14_.uses_flat_scratch, 0
	.set _ZN7rocprim17ROCPRIM_400000_NS6detail17trampoline_kernelINS0_14default_configENS1_22reduce_config_selectorIN6thrust23THRUST_200600_302600_NS5tupleIblNS6_9null_typeES8_S8_S8_S8_S8_S8_S8_EEEEZNS1_11reduce_implILb1ES3_NS6_12zip_iteratorINS7_INS6_11hip_rocprim26transform_input_iterator_tIbNSD_35transform_pair_of_input_iterators_tIbNS6_6detail15normal_iteratorINS6_10device_ptrIKyEEEESL_NS6_8equal_toIyEEEENSG_9not_fun_tINSD_8identityEEEEENSD_19counting_iterator_tIlEES8_S8_S8_S8_S8_S8_S8_S8_EEEEPS9_S9_NSD_9__find_if7functorIS9_EEEE10hipError_tPvRmT1_T2_T3_mT4_P12ihipStream_tbEUlT_E1_NS1_11comp_targetILNS1_3genE5ELNS1_11target_archE942ELNS1_3gpuE9ELNS1_3repE0EEENS1_30default_config_static_selectorELNS0_4arch9wavefront6targetE1EEEvS14_.has_dyn_sized_stack, 0
	.set _ZN7rocprim17ROCPRIM_400000_NS6detail17trampoline_kernelINS0_14default_configENS1_22reduce_config_selectorIN6thrust23THRUST_200600_302600_NS5tupleIblNS6_9null_typeES8_S8_S8_S8_S8_S8_S8_EEEEZNS1_11reduce_implILb1ES3_NS6_12zip_iteratorINS7_INS6_11hip_rocprim26transform_input_iterator_tIbNSD_35transform_pair_of_input_iterators_tIbNS6_6detail15normal_iteratorINS6_10device_ptrIKyEEEESL_NS6_8equal_toIyEEEENSG_9not_fun_tINSD_8identityEEEEENSD_19counting_iterator_tIlEES8_S8_S8_S8_S8_S8_S8_S8_EEEEPS9_S9_NSD_9__find_if7functorIS9_EEEE10hipError_tPvRmT1_T2_T3_mT4_P12ihipStream_tbEUlT_E1_NS1_11comp_targetILNS1_3genE5ELNS1_11target_archE942ELNS1_3gpuE9ELNS1_3repE0EEENS1_30default_config_static_selectorELNS0_4arch9wavefront6targetE1EEEvS14_.has_recursion, 0
	.set _ZN7rocprim17ROCPRIM_400000_NS6detail17trampoline_kernelINS0_14default_configENS1_22reduce_config_selectorIN6thrust23THRUST_200600_302600_NS5tupleIblNS6_9null_typeES8_S8_S8_S8_S8_S8_S8_EEEEZNS1_11reduce_implILb1ES3_NS6_12zip_iteratorINS7_INS6_11hip_rocprim26transform_input_iterator_tIbNSD_35transform_pair_of_input_iterators_tIbNS6_6detail15normal_iteratorINS6_10device_ptrIKyEEEESL_NS6_8equal_toIyEEEENSG_9not_fun_tINSD_8identityEEEEENSD_19counting_iterator_tIlEES8_S8_S8_S8_S8_S8_S8_S8_EEEEPS9_S9_NSD_9__find_if7functorIS9_EEEE10hipError_tPvRmT1_T2_T3_mT4_P12ihipStream_tbEUlT_E1_NS1_11comp_targetILNS1_3genE5ELNS1_11target_archE942ELNS1_3gpuE9ELNS1_3repE0EEENS1_30default_config_static_selectorELNS0_4arch9wavefront6targetE1EEEvS14_.has_indirect_call, 0
	.section	.AMDGPU.csdata,"",@progbits
; Kernel info:
; codeLenInByte = 0
; TotalNumSgprs: 6
; NumVgprs: 0
; NumAgprs: 0
; TotalNumVgprs: 0
; ScratchSize: 0
; MemoryBound: 0
; FloatMode: 240
; IeeeMode: 1
; LDSByteSize: 0 bytes/workgroup (compile time only)
; SGPRBlocks: 0
; VGPRBlocks: 0
; NumSGPRsForWavesPerEU: 6
; NumVGPRsForWavesPerEU: 1
; AccumOffset: 4
; Occupancy: 8
; WaveLimiterHint : 0
; COMPUTE_PGM_RSRC2:SCRATCH_EN: 0
; COMPUTE_PGM_RSRC2:USER_SGPR: 2
; COMPUTE_PGM_RSRC2:TRAP_HANDLER: 0
; COMPUTE_PGM_RSRC2:TGID_X_EN: 1
; COMPUTE_PGM_RSRC2:TGID_Y_EN: 0
; COMPUTE_PGM_RSRC2:TGID_Z_EN: 0
; COMPUTE_PGM_RSRC2:TIDIG_COMP_CNT: 0
; COMPUTE_PGM_RSRC3_GFX90A:ACCUM_OFFSET: 0
; COMPUTE_PGM_RSRC3_GFX90A:TG_SPLIT: 0
	.section	.text._ZN7rocprim17ROCPRIM_400000_NS6detail17trampoline_kernelINS0_14default_configENS1_22reduce_config_selectorIN6thrust23THRUST_200600_302600_NS5tupleIblNS6_9null_typeES8_S8_S8_S8_S8_S8_S8_EEEEZNS1_11reduce_implILb1ES3_NS6_12zip_iteratorINS7_INS6_11hip_rocprim26transform_input_iterator_tIbNSD_35transform_pair_of_input_iterators_tIbNS6_6detail15normal_iteratorINS6_10device_ptrIKyEEEESL_NS6_8equal_toIyEEEENSG_9not_fun_tINSD_8identityEEEEENSD_19counting_iterator_tIlEES8_S8_S8_S8_S8_S8_S8_S8_EEEEPS9_S9_NSD_9__find_if7functorIS9_EEEE10hipError_tPvRmT1_T2_T3_mT4_P12ihipStream_tbEUlT_E1_NS1_11comp_targetILNS1_3genE4ELNS1_11target_archE910ELNS1_3gpuE8ELNS1_3repE0EEENS1_30default_config_static_selectorELNS0_4arch9wavefront6targetE1EEEvS14_,"axG",@progbits,_ZN7rocprim17ROCPRIM_400000_NS6detail17trampoline_kernelINS0_14default_configENS1_22reduce_config_selectorIN6thrust23THRUST_200600_302600_NS5tupleIblNS6_9null_typeES8_S8_S8_S8_S8_S8_S8_EEEEZNS1_11reduce_implILb1ES3_NS6_12zip_iteratorINS7_INS6_11hip_rocprim26transform_input_iterator_tIbNSD_35transform_pair_of_input_iterators_tIbNS6_6detail15normal_iteratorINS6_10device_ptrIKyEEEESL_NS6_8equal_toIyEEEENSG_9not_fun_tINSD_8identityEEEEENSD_19counting_iterator_tIlEES8_S8_S8_S8_S8_S8_S8_S8_EEEEPS9_S9_NSD_9__find_if7functorIS9_EEEE10hipError_tPvRmT1_T2_T3_mT4_P12ihipStream_tbEUlT_E1_NS1_11comp_targetILNS1_3genE4ELNS1_11target_archE910ELNS1_3gpuE8ELNS1_3repE0EEENS1_30default_config_static_selectorELNS0_4arch9wavefront6targetE1EEEvS14_,comdat
	.protected	_ZN7rocprim17ROCPRIM_400000_NS6detail17trampoline_kernelINS0_14default_configENS1_22reduce_config_selectorIN6thrust23THRUST_200600_302600_NS5tupleIblNS6_9null_typeES8_S8_S8_S8_S8_S8_S8_EEEEZNS1_11reduce_implILb1ES3_NS6_12zip_iteratorINS7_INS6_11hip_rocprim26transform_input_iterator_tIbNSD_35transform_pair_of_input_iterators_tIbNS6_6detail15normal_iteratorINS6_10device_ptrIKyEEEESL_NS6_8equal_toIyEEEENSG_9not_fun_tINSD_8identityEEEEENSD_19counting_iterator_tIlEES8_S8_S8_S8_S8_S8_S8_S8_EEEEPS9_S9_NSD_9__find_if7functorIS9_EEEE10hipError_tPvRmT1_T2_T3_mT4_P12ihipStream_tbEUlT_E1_NS1_11comp_targetILNS1_3genE4ELNS1_11target_archE910ELNS1_3gpuE8ELNS1_3repE0EEENS1_30default_config_static_selectorELNS0_4arch9wavefront6targetE1EEEvS14_ ; -- Begin function _ZN7rocprim17ROCPRIM_400000_NS6detail17trampoline_kernelINS0_14default_configENS1_22reduce_config_selectorIN6thrust23THRUST_200600_302600_NS5tupleIblNS6_9null_typeES8_S8_S8_S8_S8_S8_S8_EEEEZNS1_11reduce_implILb1ES3_NS6_12zip_iteratorINS7_INS6_11hip_rocprim26transform_input_iterator_tIbNSD_35transform_pair_of_input_iterators_tIbNS6_6detail15normal_iteratorINS6_10device_ptrIKyEEEESL_NS6_8equal_toIyEEEENSG_9not_fun_tINSD_8identityEEEEENSD_19counting_iterator_tIlEES8_S8_S8_S8_S8_S8_S8_S8_EEEEPS9_S9_NSD_9__find_if7functorIS9_EEEE10hipError_tPvRmT1_T2_T3_mT4_P12ihipStream_tbEUlT_E1_NS1_11comp_targetILNS1_3genE4ELNS1_11target_archE910ELNS1_3gpuE8ELNS1_3repE0EEENS1_30default_config_static_selectorELNS0_4arch9wavefront6targetE1EEEvS14_
	.globl	_ZN7rocprim17ROCPRIM_400000_NS6detail17trampoline_kernelINS0_14default_configENS1_22reduce_config_selectorIN6thrust23THRUST_200600_302600_NS5tupleIblNS6_9null_typeES8_S8_S8_S8_S8_S8_S8_EEEEZNS1_11reduce_implILb1ES3_NS6_12zip_iteratorINS7_INS6_11hip_rocprim26transform_input_iterator_tIbNSD_35transform_pair_of_input_iterators_tIbNS6_6detail15normal_iteratorINS6_10device_ptrIKyEEEESL_NS6_8equal_toIyEEEENSG_9not_fun_tINSD_8identityEEEEENSD_19counting_iterator_tIlEES8_S8_S8_S8_S8_S8_S8_S8_EEEEPS9_S9_NSD_9__find_if7functorIS9_EEEE10hipError_tPvRmT1_T2_T3_mT4_P12ihipStream_tbEUlT_E1_NS1_11comp_targetILNS1_3genE4ELNS1_11target_archE910ELNS1_3gpuE8ELNS1_3repE0EEENS1_30default_config_static_selectorELNS0_4arch9wavefront6targetE1EEEvS14_
	.p2align	8
	.type	_ZN7rocprim17ROCPRIM_400000_NS6detail17trampoline_kernelINS0_14default_configENS1_22reduce_config_selectorIN6thrust23THRUST_200600_302600_NS5tupleIblNS6_9null_typeES8_S8_S8_S8_S8_S8_S8_EEEEZNS1_11reduce_implILb1ES3_NS6_12zip_iteratorINS7_INS6_11hip_rocprim26transform_input_iterator_tIbNSD_35transform_pair_of_input_iterators_tIbNS6_6detail15normal_iteratorINS6_10device_ptrIKyEEEESL_NS6_8equal_toIyEEEENSG_9not_fun_tINSD_8identityEEEEENSD_19counting_iterator_tIlEES8_S8_S8_S8_S8_S8_S8_S8_EEEEPS9_S9_NSD_9__find_if7functorIS9_EEEE10hipError_tPvRmT1_T2_T3_mT4_P12ihipStream_tbEUlT_E1_NS1_11comp_targetILNS1_3genE4ELNS1_11target_archE910ELNS1_3gpuE8ELNS1_3repE0EEENS1_30default_config_static_selectorELNS0_4arch9wavefront6targetE1EEEvS14_,@function
_ZN7rocprim17ROCPRIM_400000_NS6detail17trampoline_kernelINS0_14default_configENS1_22reduce_config_selectorIN6thrust23THRUST_200600_302600_NS5tupleIblNS6_9null_typeES8_S8_S8_S8_S8_S8_S8_EEEEZNS1_11reduce_implILb1ES3_NS6_12zip_iteratorINS7_INS6_11hip_rocprim26transform_input_iterator_tIbNSD_35transform_pair_of_input_iterators_tIbNS6_6detail15normal_iteratorINS6_10device_ptrIKyEEEESL_NS6_8equal_toIyEEEENSG_9not_fun_tINSD_8identityEEEEENSD_19counting_iterator_tIlEES8_S8_S8_S8_S8_S8_S8_S8_EEEEPS9_S9_NSD_9__find_if7functorIS9_EEEE10hipError_tPvRmT1_T2_T3_mT4_P12ihipStream_tbEUlT_E1_NS1_11comp_targetILNS1_3genE4ELNS1_11target_archE910ELNS1_3gpuE8ELNS1_3repE0EEENS1_30default_config_static_selectorELNS0_4arch9wavefront6targetE1EEEvS14_: ; @_ZN7rocprim17ROCPRIM_400000_NS6detail17trampoline_kernelINS0_14default_configENS1_22reduce_config_selectorIN6thrust23THRUST_200600_302600_NS5tupleIblNS6_9null_typeES8_S8_S8_S8_S8_S8_S8_EEEEZNS1_11reduce_implILb1ES3_NS6_12zip_iteratorINS7_INS6_11hip_rocprim26transform_input_iterator_tIbNSD_35transform_pair_of_input_iterators_tIbNS6_6detail15normal_iteratorINS6_10device_ptrIKyEEEESL_NS6_8equal_toIyEEEENSG_9not_fun_tINSD_8identityEEEEENSD_19counting_iterator_tIlEES8_S8_S8_S8_S8_S8_S8_S8_EEEEPS9_S9_NSD_9__find_if7functorIS9_EEEE10hipError_tPvRmT1_T2_T3_mT4_P12ihipStream_tbEUlT_E1_NS1_11comp_targetILNS1_3genE4ELNS1_11target_archE910ELNS1_3gpuE8ELNS1_3repE0EEENS1_30default_config_static_selectorELNS0_4arch9wavefront6targetE1EEEvS14_
; %bb.0:
	.section	.rodata,"a",@progbits
	.p2align	6, 0x0
	.amdhsa_kernel _ZN7rocprim17ROCPRIM_400000_NS6detail17trampoline_kernelINS0_14default_configENS1_22reduce_config_selectorIN6thrust23THRUST_200600_302600_NS5tupleIblNS6_9null_typeES8_S8_S8_S8_S8_S8_S8_EEEEZNS1_11reduce_implILb1ES3_NS6_12zip_iteratorINS7_INS6_11hip_rocprim26transform_input_iterator_tIbNSD_35transform_pair_of_input_iterators_tIbNS6_6detail15normal_iteratorINS6_10device_ptrIKyEEEESL_NS6_8equal_toIyEEEENSG_9not_fun_tINSD_8identityEEEEENSD_19counting_iterator_tIlEES8_S8_S8_S8_S8_S8_S8_S8_EEEEPS9_S9_NSD_9__find_if7functorIS9_EEEE10hipError_tPvRmT1_T2_T3_mT4_P12ihipStream_tbEUlT_E1_NS1_11comp_targetILNS1_3genE4ELNS1_11target_archE910ELNS1_3gpuE8ELNS1_3repE0EEENS1_30default_config_static_selectorELNS0_4arch9wavefront6targetE1EEEvS14_
		.amdhsa_group_segment_fixed_size 0
		.amdhsa_private_segment_fixed_size 0
		.amdhsa_kernarg_size 88
		.amdhsa_user_sgpr_count 2
		.amdhsa_user_sgpr_dispatch_ptr 0
		.amdhsa_user_sgpr_queue_ptr 0
		.amdhsa_user_sgpr_kernarg_segment_ptr 1
		.amdhsa_user_sgpr_dispatch_id 0
		.amdhsa_user_sgpr_kernarg_preload_length 0
		.amdhsa_user_sgpr_kernarg_preload_offset 0
		.amdhsa_user_sgpr_private_segment_size 0
		.amdhsa_uses_dynamic_stack 0
		.amdhsa_enable_private_segment 0
		.amdhsa_system_sgpr_workgroup_id_x 1
		.amdhsa_system_sgpr_workgroup_id_y 0
		.amdhsa_system_sgpr_workgroup_id_z 0
		.amdhsa_system_sgpr_workgroup_info 0
		.amdhsa_system_vgpr_workitem_id 0
		.amdhsa_next_free_vgpr 1
		.amdhsa_next_free_sgpr 0
		.amdhsa_accum_offset 4
		.amdhsa_reserve_vcc 0
		.amdhsa_float_round_mode_32 0
		.amdhsa_float_round_mode_16_64 0
		.amdhsa_float_denorm_mode_32 3
		.amdhsa_float_denorm_mode_16_64 3
		.amdhsa_dx10_clamp 1
		.amdhsa_ieee_mode 1
		.amdhsa_fp16_overflow 0
		.amdhsa_tg_split 0
		.amdhsa_exception_fp_ieee_invalid_op 0
		.amdhsa_exception_fp_denorm_src 0
		.amdhsa_exception_fp_ieee_div_zero 0
		.amdhsa_exception_fp_ieee_overflow 0
		.amdhsa_exception_fp_ieee_underflow 0
		.amdhsa_exception_fp_ieee_inexact 0
		.amdhsa_exception_int_div_zero 0
	.end_amdhsa_kernel
	.section	.text._ZN7rocprim17ROCPRIM_400000_NS6detail17trampoline_kernelINS0_14default_configENS1_22reduce_config_selectorIN6thrust23THRUST_200600_302600_NS5tupleIblNS6_9null_typeES8_S8_S8_S8_S8_S8_S8_EEEEZNS1_11reduce_implILb1ES3_NS6_12zip_iteratorINS7_INS6_11hip_rocprim26transform_input_iterator_tIbNSD_35transform_pair_of_input_iterators_tIbNS6_6detail15normal_iteratorINS6_10device_ptrIKyEEEESL_NS6_8equal_toIyEEEENSG_9not_fun_tINSD_8identityEEEEENSD_19counting_iterator_tIlEES8_S8_S8_S8_S8_S8_S8_S8_EEEEPS9_S9_NSD_9__find_if7functorIS9_EEEE10hipError_tPvRmT1_T2_T3_mT4_P12ihipStream_tbEUlT_E1_NS1_11comp_targetILNS1_3genE4ELNS1_11target_archE910ELNS1_3gpuE8ELNS1_3repE0EEENS1_30default_config_static_selectorELNS0_4arch9wavefront6targetE1EEEvS14_,"axG",@progbits,_ZN7rocprim17ROCPRIM_400000_NS6detail17trampoline_kernelINS0_14default_configENS1_22reduce_config_selectorIN6thrust23THRUST_200600_302600_NS5tupleIblNS6_9null_typeES8_S8_S8_S8_S8_S8_S8_EEEEZNS1_11reduce_implILb1ES3_NS6_12zip_iteratorINS7_INS6_11hip_rocprim26transform_input_iterator_tIbNSD_35transform_pair_of_input_iterators_tIbNS6_6detail15normal_iteratorINS6_10device_ptrIKyEEEESL_NS6_8equal_toIyEEEENSG_9not_fun_tINSD_8identityEEEEENSD_19counting_iterator_tIlEES8_S8_S8_S8_S8_S8_S8_S8_EEEEPS9_S9_NSD_9__find_if7functorIS9_EEEE10hipError_tPvRmT1_T2_T3_mT4_P12ihipStream_tbEUlT_E1_NS1_11comp_targetILNS1_3genE4ELNS1_11target_archE910ELNS1_3gpuE8ELNS1_3repE0EEENS1_30default_config_static_selectorELNS0_4arch9wavefront6targetE1EEEvS14_,comdat
.Lfunc_end593:
	.size	_ZN7rocprim17ROCPRIM_400000_NS6detail17trampoline_kernelINS0_14default_configENS1_22reduce_config_selectorIN6thrust23THRUST_200600_302600_NS5tupleIblNS6_9null_typeES8_S8_S8_S8_S8_S8_S8_EEEEZNS1_11reduce_implILb1ES3_NS6_12zip_iteratorINS7_INS6_11hip_rocprim26transform_input_iterator_tIbNSD_35transform_pair_of_input_iterators_tIbNS6_6detail15normal_iteratorINS6_10device_ptrIKyEEEESL_NS6_8equal_toIyEEEENSG_9not_fun_tINSD_8identityEEEEENSD_19counting_iterator_tIlEES8_S8_S8_S8_S8_S8_S8_S8_EEEEPS9_S9_NSD_9__find_if7functorIS9_EEEE10hipError_tPvRmT1_T2_T3_mT4_P12ihipStream_tbEUlT_E1_NS1_11comp_targetILNS1_3genE4ELNS1_11target_archE910ELNS1_3gpuE8ELNS1_3repE0EEENS1_30default_config_static_selectorELNS0_4arch9wavefront6targetE1EEEvS14_, .Lfunc_end593-_ZN7rocprim17ROCPRIM_400000_NS6detail17trampoline_kernelINS0_14default_configENS1_22reduce_config_selectorIN6thrust23THRUST_200600_302600_NS5tupleIblNS6_9null_typeES8_S8_S8_S8_S8_S8_S8_EEEEZNS1_11reduce_implILb1ES3_NS6_12zip_iteratorINS7_INS6_11hip_rocprim26transform_input_iterator_tIbNSD_35transform_pair_of_input_iterators_tIbNS6_6detail15normal_iteratorINS6_10device_ptrIKyEEEESL_NS6_8equal_toIyEEEENSG_9not_fun_tINSD_8identityEEEEENSD_19counting_iterator_tIlEES8_S8_S8_S8_S8_S8_S8_S8_EEEEPS9_S9_NSD_9__find_if7functorIS9_EEEE10hipError_tPvRmT1_T2_T3_mT4_P12ihipStream_tbEUlT_E1_NS1_11comp_targetILNS1_3genE4ELNS1_11target_archE910ELNS1_3gpuE8ELNS1_3repE0EEENS1_30default_config_static_selectorELNS0_4arch9wavefront6targetE1EEEvS14_
                                        ; -- End function
	.set _ZN7rocprim17ROCPRIM_400000_NS6detail17trampoline_kernelINS0_14default_configENS1_22reduce_config_selectorIN6thrust23THRUST_200600_302600_NS5tupleIblNS6_9null_typeES8_S8_S8_S8_S8_S8_S8_EEEEZNS1_11reduce_implILb1ES3_NS6_12zip_iteratorINS7_INS6_11hip_rocprim26transform_input_iterator_tIbNSD_35transform_pair_of_input_iterators_tIbNS6_6detail15normal_iteratorINS6_10device_ptrIKyEEEESL_NS6_8equal_toIyEEEENSG_9not_fun_tINSD_8identityEEEEENSD_19counting_iterator_tIlEES8_S8_S8_S8_S8_S8_S8_S8_EEEEPS9_S9_NSD_9__find_if7functorIS9_EEEE10hipError_tPvRmT1_T2_T3_mT4_P12ihipStream_tbEUlT_E1_NS1_11comp_targetILNS1_3genE4ELNS1_11target_archE910ELNS1_3gpuE8ELNS1_3repE0EEENS1_30default_config_static_selectorELNS0_4arch9wavefront6targetE1EEEvS14_.num_vgpr, 0
	.set _ZN7rocprim17ROCPRIM_400000_NS6detail17trampoline_kernelINS0_14default_configENS1_22reduce_config_selectorIN6thrust23THRUST_200600_302600_NS5tupleIblNS6_9null_typeES8_S8_S8_S8_S8_S8_S8_EEEEZNS1_11reduce_implILb1ES3_NS6_12zip_iteratorINS7_INS6_11hip_rocprim26transform_input_iterator_tIbNSD_35transform_pair_of_input_iterators_tIbNS6_6detail15normal_iteratorINS6_10device_ptrIKyEEEESL_NS6_8equal_toIyEEEENSG_9not_fun_tINSD_8identityEEEEENSD_19counting_iterator_tIlEES8_S8_S8_S8_S8_S8_S8_S8_EEEEPS9_S9_NSD_9__find_if7functorIS9_EEEE10hipError_tPvRmT1_T2_T3_mT4_P12ihipStream_tbEUlT_E1_NS1_11comp_targetILNS1_3genE4ELNS1_11target_archE910ELNS1_3gpuE8ELNS1_3repE0EEENS1_30default_config_static_selectorELNS0_4arch9wavefront6targetE1EEEvS14_.num_agpr, 0
	.set _ZN7rocprim17ROCPRIM_400000_NS6detail17trampoline_kernelINS0_14default_configENS1_22reduce_config_selectorIN6thrust23THRUST_200600_302600_NS5tupleIblNS6_9null_typeES8_S8_S8_S8_S8_S8_S8_EEEEZNS1_11reduce_implILb1ES3_NS6_12zip_iteratorINS7_INS6_11hip_rocprim26transform_input_iterator_tIbNSD_35transform_pair_of_input_iterators_tIbNS6_6detail15normal_iteratorINS6_10device_ptrIKyEEEESL_NS6_8equal_toIyEEEENSG_9not_fun_tINSD_8identityEEEEENSD_19counting_iterator_tIlEES8_S8_S8_S8_S8_S8_S8_S8_EEEEPS9_S9_NSD_9__find_if7functorIS9_EEEE10hipError_tPvRmT1_T2_T3_mT4_P12ihipStream_tbEUlT_E1_NS1_11comp_targetILNS1_3genE4ELNS1_11target_archE910ELNS1_3gpuE8ELNS1_3repE0EEENS1_30default_config_static_selectorELNS0_4arch9wavefront6targetE1EEEvS14_.numbered_sgpr, 0
	.set _ZN7rocprim17ROCPRIM_400000_NS6detail17trampoline_kernelINS0_14default_configENS1_22reduce_config_selectorIN6thrust23THRUST_200600_302600_NS5tupleIblNS6_9null_typeES8_S8_S8_S8_S8_S8_S8_EEEEZNS1_11reduce_implILb1ES3_NS6_12zip_iteratorINS7_INS6_11hip_rocprim26transform_input_iterator_tIbNSD_35transform_pair_of_input_iterators_tIbNS6_6detail15normal_iteratorINS6_10device_ptrIKyEEEESL_NS6_8equal_toIyEEEENSG_9not_fun_tINSD_8identityEEEEENSD_19counting_iterator_tIlEES8_S8_S8_S8_S8_S8_S8_S8_EEEEPS9_S9_NSD_9__find_if7functorIS9_EEEE10hipError_tPvRmT1_T2_T3_mT4_P12ihipStream_tbEUlT_E1_NS1_11comp_targetILNS1_3genE4ELNS1_11target_archE910ELNS1_3gpuE8ELNS1_3repE0EEENS1_30default_config_static_selectorELNS0_4arch9wavefront6targetE1EEEvS14_.num_named_barrier, 0
	.set _ZN7rocprim17ROCPRIM_400000_NS6detail17trampoline_kernelINS0_14default_configENS1_22reduce_config_selectorIN6thrust23THRUST_200600_302600_NS5tupleIblNS6_9null_typeES8_S8_S8_S8_S8_S8_S8_EEEEZNS1_11reduce_implILb1ES3_NS6_12zip_iteratorINS7_INS6_11hip_rocprim26transform_input_iterator_tIbNSD_35transform_pair_of_input_iterators_tIbNS6_6detail15normal_iteratorINS6_10device_ptrIKyEEEESL_NS6_8equal_toIyEEEENSG_9not_fun_tINSD_8identityEEEEENSD_19counting_iterator_tIlEES8_S8_S8_S8_S8_S8_S8_S8_EEEEPS9_S9_NSD_9__find_if7functorIS9_EEEE10hipError_tPvRmT1_T2_T3_mT4_P12ihipStream_tbEUlT_E1_NS1_11comp_targetILNS1_3genE4ELNS1_11target_archE910ELNS1_3gpuE8ELNS1_3repE0EEENS1_30default_config_static_selectorELNS0_4arch9wavefront6targetE1EEEvS14_.private_seg_size, 0
	.set _ZN7rocprim17ROCPRIM_400000_NS6detail17trampoline_kernelINS0_14default_configENS1_22reduce_config_selectorIN6thrust23THRUST_200600_302600_NS5tupleIblNS6_9null_typeES8_S8_S8_S8_S8_S8_S8_EEEEZNS1_11reduce_implILb1ES3_NS6_12zip_iteratorINS7_INS6_11hip_rocprim26transform_input_iterator_tIbNSD_35transform_pair_of_input_iterators_tIbNS6_6detail15normal_iteratorINS6_10device_ptrIKyEEEESL_NS6_8equal_toIyEEEENSG_9not_fun_tINSD_8identityEEEEENSD_19counting_iterator_tIlEES8_S8_S8_S8_S8_S8_S8_S8_EEEEPS9_S9_NSD_9__find_if7functorIS9_EEEE10hipError_tPvRmT1_T2_T3_mT4_P12ihipStream_tbEUlT_E1_NS1_11comp_targetILNS1_3genE4ELNS1_11target_archE910ELNS1_3gpuE8ELNS1_3repE0EEENS1_30default_config_static_selectorELNS0_4arch9wavefront6targetE1EEEvS14_.uses_vcc, 0
	.set _ZN7rocprim17ROCPRIM_400000_NS6detail17trampoline_kernelINS0_14default_configENS1_22reduce_config_selectorIN6thrust23THRUST_200600_302600_NS5tupleIblNS6_9null_typeES8_S8_S8_S8_S8_S8_S8_EEEEZNS1_11reduce_implILb1ES3_NS6_12zip_iteratorINS7_INS6_11hip_rocprim26transform_input_iterator_tIbNSD_35transform_pair_of_input_iterators_tIbNS6_6detail15normal_iteratorINS6_10device_ptrIKyEEEESL_NS6_8equal_toIyEEEENSG_9not_fun_tINSD_8identityEEEEENSD_19counting_iterator_tIlEES8_S8_S8_S8_S8_S8_S8_S8_EEEEPS9_S9_NSD_9__find_if7functorIS9_EEEE10hipError_tPvRmT1_T2_T3_mT4_P12ihipStream_tbEUlT_E1_NS1_11comp_targetILNS1_3genE4ELNS1_11target_archE910ELNS1_3gpuE8ELNS1_3repE0EEENS1_30default_config_static_selectorELNS0_4arch9wavefront6targetE1EEEvS14_.uses_flat_scratch, 0
	.set _ZN7rocprim17ROCPRIM_400000_NS6detail17trampoline_kernelINS0_14default_configENS1_22reduce_config_selectorIN6thrust23THRUST_200600_302600_NS5tupleIblNS6_9null_typeES8_S8_S8_S8_S8_S8_S8_EEEEZNS1_11reduce_implILb1ES3_NS6_12zip_iteratorINS7_INS6_11hip_rocprim26transform_input_iterator_tIbNSD_35transform_pair_of_input_iterators_tIbNS6_6detail15normal_iteratorINS6_10device_ptrIKyEEEESL_NS6_8equal_toIyEEEENSG_9not_fun_tINSD_8identityEEEEENSD_19counting_iterator_tIlEES8_S8_S8_S8_S8_S8_S8_S8_EEEEPS9_S9_NSD_9__find_if7functorIS9_EEEE10hipError_tPvRmT1_T2_T3_mT4_P12ihipStream_tbEUlT_E1_NS1_11comp_targetILNS1_3genE4ELNS1_11target_archE910ELNS1_3gpuE8ELNS1_3repE0EEENS1_30default_config_static_selectorELNS0_4arch9wavefront6targetE1EEEvS14_.has_dyn_sized_stack, 0
	.set _ZN7rocprim17ROCPRIM_400000_NS6detail17trampoline_kernelINS0_14default_configENS1_22reduce_config_selectorIN6thrust23THRUST_200600_302600_NS5tupleIblNS6_9null_typeES8_S8_S8_S8_S8_S8_S8_EEEEZNS1_11reduce_implILb1ES3_NS6_12zip_iteratorINS7_INS6_11hip_rocprim26transform_input_iterator_tIbNSD_35transform_pair_of_input_iterators_tIbNS6_6detail15normal_iteratorINS6_10device_ptrIKyEEEESL_NS6_8equal_toIyEEEENSG_9not_fun_tINSD_8identityEEEEENSD_19counting_iterator_tIlEES8_S8_S8_S8_S8_S8_S8_S8_EEEEPS9_S9_NSD_9__find_if7functorIS9_EEEE10hipError_tPvRmT1_T2_T3_mT4_P12ihipStream_tbEUlT_E1_NS1_11comp_targetILNS1_3genE4ELNS1_11target_archE910ELNS1_3gpuE8ELNS1_3repE0EEENS1_30default_config_static_selectorELNS0_4arch9wavefront6targetE1EEEvS14_.has_recursion, 0
	.set _ZN7rocprim17ROCPRIM_400000_NS6detail17trampoline_kernelINS0_14default_configENS1_22reduce_config_selectorIN6thrust23THRUST_200600_302600_NS5tupleIblNS6_9null_typeES8_S8_S8_S8_S8_S8_S8_EEEEZNS1_11reduce_implILb1ES3_NS6_12zip_iteratorINS7_INS6_11hip_rocprim26transform_input_iterator_tIbNSD_35transform_pair_of_input_iterators_tIbNS6_6detail15normal_iteratorINS6_10device_ptrIKyEEEESL_NS6_8equal_toIyEEEENSG_9not_fun_tINSD_8identityEEEEENSD_19counting_iterator_tIlEES8_S8_S8_S8_S8_S8_S8_S8_EEEEPS9_S9_NSD_9__find_if7functorIS9_EEEE10hipError_tPvRmT1_T2_T3_mT4_P12ihipStream_tbEUlT_E1_NS1_11comp_targetILNS1_3genE4ELNS1_11target_archE910ELNS1_3gpuE8ELNS1_3repE0EEENS1_30default_config_static_selectorELNS0_4arch9wavefront6targetE1EEEvS14_.has_indirect_call, 0
	.section	.AMDGPU.csdata,"",@progbits
; Kernel info:
; codeLenInByte = 0
; TotalNumSgprs: 6
; NumVgprs: 0
; NumAgprs: 0
; TotalNumVgprs: 0
; ScratchSize: 0
; MemoryBound: 0
; FloatMode: 240
; IeeeMode: 1
; LDSByteSize: 0 bytes/workgroup (compile time only)
; SGPRBlocks: 0
; VGPRBlocks: 0
; NumSGPRsForWavesPerEU: 6
; NumVGPRsForWavesPerEU: 1
; AccumOffset: 4
; Occupancy: 8
; WaveLimiterHint : 0
; COMPUTE_PGM_RSRC2:SCRATCH_EN: 0
; COMPUTE_PGM_RSRC2:USER_SGPR: 2
; COMPUTE_PGM_RSRC2:TRAP_HANDLER: 0
; COMPUTE_PGM_RSRC2:TGID_X_EN: 1
; COMPUTE_PGM_RSRC2:TGID_Y_EN: 0
; COMPUTE_PGM_RSRC2:TGID_Z_EN: 0
; COMPUTE_PGM_RSRC2:TIDIG_COMP_CNT: 0
; COMPUTE_PGM_RSRC3_GFX90A:ACCUM_OFFSET: 0
; COMPUTE_PGM_RSRC3_GFX90A:TG_SPLIT: 0
	.section	.text._ZN7rocprim17ROCPRIM_400000_NS6detail17trampoline_kernelINS0_14default_configENS1_22reduce_config_selectorIN6thrust23THRUST_200600_302600_NS5tupleIblNS6_9null_typeES8_S8_S8_S8_S8_S8_S8_EEEEZNS1_11reduce_implILb1ES3_NS6_12zip_iteratorINS7_INS6_11hip_rocprim26transform_input_iterator_tIbNSD_35transform_pair_of_input_iterators_tIbNS6_6detail15normal_iteratorINS6_10device_ptrIKyEEEESL_NS6_8equal_toIyEEEENSG_9not_fun_tINSD_8identityEEEEENSD_19counting_iterator_tIlEES8_S8_S8_S8_S8_S8_S8_S8_EEEEPS9_S9_NSD_9__find_if7functorIS9_EEEE10hipError_tPvRmT1_T2_T3_mT4_P12ihipStream_tbEUlT_E1_NS1_11comp_targetILNS1_3genE3ELNS1_11target_archE908ELNS1_3gpuE7ELNS1_3repE0EEENS1_30default_config_static_selectorELNS0_4arch9wavefront6targetE1EEEvS14_,"axG",@progbits,_ZN7rocprim17ROCPRIM_400000_NS6detail17trampoline_kernelINS0_14default_configENS1_22reduce_config_selectorIN6thrust23THRUST_200600_302600_NS5tupleIblNS6_9null_typeES8_S8_S8_S8_S8_S8_S8_EEEEZNS1_11reduce_implILb1ES3_NS6_12zip_iteratorINS7_INS6_11hip_rocprim26transform_input_iterator_tIbNSD_35transform_pair_of_input_iterators_tIbNS6_6detail15normal_iteratorINS6_10device_ptrIKyEEEESL_NS6_8equal_toIyEEEENSG_9not_fun_tINSD_8identityEEEEENSD_19counting_iterator_tIlEES8_S8_S8_S8_S8_S8_S8_S8_EEEEPS9_S9_NSD_9__find_if7functorIS9_EEEE10hipError_tPvRmT1_T2_T3_mT4_P12ihipStream_tbEUlT_E1_NS1_11comp_targetILNS1_3genE3ELNS1_11target_archE908ELNS1_3gpuE7ELNS1_3repE0EEENS1_30default_config_static_selectorELNS0_4arch9wavefront6targetE1EEEvS14_,comdat
	.protected	_ZN7rocprim17ROCPRIM_400000_NS6detail17trampoline_kernelINS0_14default_configENS1_22reduce_config_selectorIN6thrust23THRUST_200600_302600_NS5tupleIblNS6_9null_typeES8_S8_S8_S8_S8_S8_S8_EEEEZNS1_11reduce_implILb1ES3_NS6_12zip_iteratorINS7_INS6_11hip_rocprim26transform_input_iterator_tIbNSD_35transform_pair_of_input_iterators_tIbNS6_6detail15normal_iteratorINS6_10device_ptrIKyEEEESL_NS6_8equal_toIyEEEENSG_9not_fun_tINSD_8identityEEEEENSD_19counting_iterator_tIlEES8_S8_S8_S8_S8_S8_S8_S8_EEEEPS9_S9_NSD_9__find_if7functorIS9_EEEE10hipError_tPvRmT1_T2_T3_mT4_P12ihipStream_tbEUlT_E1_NS1_11comp_targetILNS1_3genE3ELNS1_11target_archE908ELNS1_3gpuE7ELNS1_3repE0EEENS1_30default_config_static_selectorELNS0_4arch9wavefront6targetE1EEEvS14_ ; -- Begin function _ZN7rocprim17ROCPRIM_400000_NS6detail17trampoline_kernelINS0_14default_configENS1_22reduce_config_selectorIN6thrust23THRUST_200600_302600_NS5tupleIblNS6_9null_typeES8_S8_S8_S8_S8_S8_S8_EEEEZNS1_11reduce_implILb1ES3_NS6_12zip_iteratorINS7_INS6_11hip_rocprim26transform_input_iterator_tIbNSD_35transform_pair_of_input_iterators_tIbNS6_6detail15normal_iteratorINS6_10device_ptrIKyEEEESL_NS6_8equal_toIyEEEENSG_9not_fun_tINSD_8identityEEEEENSD_19counting_iterator_tIlEES8_S8_S8_S8_S8_S8_S8_S8_EEEEPS9_S9_NSD_9__find_if7functorIS9_EEEE10hipError_tPvRmT1_T2_T3_mT4_P12ihipStream_tbEUlT_E1_NS1_11comp_targetILNS1_3genE3ELNS1_11target_archE908ELNS1_3gpuE7ELNS1_3repE0EEENS1_30default_config_static_selectorELNS0_4arch9wavefront6targetE1EEEvS14_
	.globl	_ZN7rocprim17ROCPRIM_400000_NS6detail17trampoline_kernelINS0_14default_configENS1_22reduce_config_selectorIN6thrust23THRUST_200600_302600_NS5tupleIblNS6_9null_typeES8_S8_S8_S8_S8_S8_S8_EEEEZNS1_11reduce_implILb1ES3_NS6_12zip_iteratorINS7_INS6_11hip_rocprim26transform_input_iterator_tIbNSD_35transform_pair_of_input_iterators_tIbNS6_6detail15normal_iteratorINS6_10device_ptrIKyEEEESL_NS6_8equal_toIyEEEENSG_9not_fun_tINSD_8identityEEEEENSD_19counting_iterator_tIlEES8_S8_S8_S8_S8_S8_S8_S8_EEEEPS9_S9_NSD_9__find_if7functorIS9_EEEE10hipError_tPvRmT1_T2_T3_mT4_P12ihipStream_tbEUlT_E1_NS1_11comp_targetILNS1_3genE3ELNS1_11target_archE908ELNS1_3gpuE7ELNS1_3repE0EEENS1_30default_config_static_selectorELNS0_4arch9wavefront6targetE1EEEvS14_
	.p2align	8
	.type	_ZN7rocprim17ROCPRIM_400000_NS6detail17trampoline_kernelINS0_14default_configENS1_22reduce_config_selectorIN6thrust23THRUST_200600_302600_NS5tupleIblNS6_9null_typeES8_S8_S8_S8_S8_S8_S8_EEEEZNS1_11reduce_implILb1ES3_NS6_12zip_iteratorINS7_INS6_11hip_rocprim26transform_input_iterator_tIbNSD_35transform_pair_of_input_iterators_tIbNS6_6detail15normal_iteratorINS6_10device_ptrIKyEEEESL_NS6_8equal_toIyEEEENSG_9not_fun_tINSD_8identityEEEEENSD_19counting_iterator_tIlEES8_S8_S8_S8_S8_S8_S8_S8_EEEEPS9_S9_NSD_9__find_if7functorIS9_EEEE10hipError_tPvRmT1_T2_T3_mT4_P12ihipStream_tbEUlT_E1_NS1_11comp_targetILNS1_3genE3ELNS1_11target_archE908ELNS1_3gpuE7ELNS1_3repE0EEENS1_30default_config_static_selectorELNS0_4arch9wavefront6targetE1EEEvS14_,@function
_ZN7rocprim17ROCPRIM_400000_NS6detail17trampoline_kernelINS0_14default_configENS1_22reduce_config_selectorIN6thrust23THRUST_200600_302600_NS5tupleIblNS6_9null_typeES8_S8_S8_S8_S8_S8_S8_EEEEZNS1_11reduce_implILb1ES3_NS6_12zip_iteratorINS7_INS6_11hip_rocprim26transform_input_iterator_tIbNSD_35transform_pair_of_input_iterators_tIbNS6_6detail15normal_iteratorINS6_10device_ptrIKyEEEESL_NS6_8equal_toIyEEEENSG_9not_fun_tINSD_8identityEEEEENSD_19counting_iterator_tIlEES8_S8_S8_S8_S8_S8_S8_S8_EEEEPS9_S9_NSD_9__find_if7functorIS9_EEEE10hipError_tPvRmT1_T2_T3_mT4_P12ihipStream_tbEUlT_E1_NS1_11comp_targetILNS1_3genE3ELNS1_11target_archE908ELNS1_3gpuE7ELNS1_3repE0EEENS1_30default_config_static_selectorELNS0_4arch9wavefront6targetE1EEEvS14_: ; @_ZN7rocprim17ROCPRIM_400000_NS6detail17trampoline_kernelINS0_14default_configENS1_22reduce_config_selectorIN6thrust23THRUST_200600_302600_NS5tupleIblNS6_9null_typeES8_S8_S8_S8_S8_S8_S8_EEEEZNS1_11reduce_implILb1ES3_NS6_12zip_iteratorINS7_INS6_11hip_rocprim26transform_input_iterator_tIbNSD_35transform_pair_of_input_iterators_tIbNS6_6detail15normal_iteratorINS6_10device_ptrIKyEEEESL_NS6_8equal_toIyEEEENSG_9not_fun_tINSD_8identityEEEEENSD_19counting_iterator_tIlEES8_S8_S8_S8_S8_S8_S8_S8_EEEEPS9_S9_NSD_9__find_if7functorIS9_EEEE10hipError_tPvRmT1_T2_T3_mT4_P12ihipStream_tbEUlT_E1_NS1_11comp_targetILNS1_3genE3ELNS1_11target_archE908ELNS1_3gpuE7ELNS1_3repE0EEENS1_30default_config_static_selectorELNS0_4arch9wavefront6targetE1EEEvS14_
; %bb.0:
	.section	.rodata,"a",@progbits
	.p2align	6, 0x0
	.amdhsa_kernel _ZN7rocprim17ROCPRIM_400000_NS6detail17trampoline_kernelINS0_14default_configENS1_22reduce_config_selectorIN6thrust23THRUST_200600_302600_NS5tupleIblNS6_9null_typeES8_S8_S8_S8_S8_S8_S8_EEEEZNS1_11reduce_implILb1ES3_NS6_12zip_iteratorINS7_INS6_11hip_rocprim26transform_input_iterator_tIbNSD_35transform_pair_of_input_iterators_tIbNS6_6detail15normal_iteratorINS6_10device_ptrIKyEEEESL_NS6_8equal_toIyEEEENSG_9not_fun_tINSD_8identityEEEEENSD_19counting_iterator_tIlEES8_S8_S8_S8_S8_S8_S8_S8_EEEEPS9_S9_NSD_9__find_if7functorIS9_EEEE10hipError_tPvRmT1_T2_T3_mT4_P12ihipStream_tbEUlT_E1_NS1_11comp_targetILNS1_3genE3ELNS1_11target_archE908ELNS1_3gpuE7ELNS1_3repE0EEENS1_30default_config_static_selectorELNS0_4arch9wavefront6targetE1EEEvS14_
		.amdhsa_group_segment_fixed_size 0
		.amdhsa_private_segment_fixed_size 0
		.amdhsa_kernarg_size 88
		.amdhsa_user_sgpr_count 2
		.amdhsa_user_sgpr_dispatch_ptr 0
		.amdhsa_user_sgpr_queue_ptr 0
		.amdhsa_user_sgpr_kernarg_segment_ptr 1
		.amdhsa_user_sgpr_dispatch_id 0
		.amdhsa_user_sgpr_kernarg_preload_length 0
		.amdhsa_user_sgpr_kernarg_preload_offset 0
		.amdhsa_user_sgpr_private_segment_size 0
		.amdhsa_uses_dynamic_stack 0
		.amdhsa_enable_private_segment 0
		.amdhsa_system_sgpr_workgroup_id_x 1
		.amdhsa_system_sgpr_workgroup_id_y 0
		.amdhsa_system_sgpr_workgroup_id_z 0
		.amdhsa_system_sgpr_workgroup_info 0
		.amdhsa_system_vgpr_workitem_id 0
		.amdhsa_next_free_vgpr 1
		.amdhsa_next_free_sgpr 0
		.amdhsa_accum_offset 4
		.amdhsa_reserve_vcc 0
		.amdhsa_float_round_mode_32 0
		.amdhsa_float_round_mode_16_64 0
		.amdhsa_float_denorm_mode_32 3
		.amdhsa_float_denorm_mode_16_64 3
		.amdhsa_dx10_clamp 1
		.amdhsa_ieee_mode 1
		.amdhsa_fp16_overflow 0
		.amdhsa_tg_split 0
		.amdhsa_exception_fp_ieee_invalid_op 0
		.amdhsa_exception_fp_denorm_src 0
		.amdhsa_exception_fp_ieee_div_zero 0
		.amdhsa_exception_fp_ieee_overflow 0
		.amdhsa_exception_fp_ieee_underflow 0
		.amdhsa_exception_fp_ieee_inexact 0
		.amdhsa_exception_int_div_zero 0
	.end_amdhsa_kernel
	.section	.text._ZN7rocprim17ROCPRIM_400000_NS6detail17trampoline_kernelINS0_14default_configENS1_22reduce_config_selectorIN6thrust23THRUST_200600_302600_NS5tupleIblNS6_9null_typeES8_S8_S8_S8_S8_S8_S8_EEEEZNS1_11reduce_implILb1ES3_NS6_12zip_iteratorINS7_INS6_11hip_rocprim26transform_input_iterator_tIbNSD_35transform_pair_of_input_iterators_tIbNS6_6detail15normal_iteratorINS6_10device_ptrIKyEEEESL_NS6_8equal_toIyEEEENSG_9not_fun_tINSD_8identityEEEEENSD_19counting_iterator_tIlEES8_S8_S8_S8_S8_S8_S8_S8_EEEEPS9_S9_NSD_9__find_if7functorIS9_EEEE10hipError_tPvRmT1_T2_T3_mT4_P12ihipStream_tbEUlT_E1_NS1_11comp_targetILNS1_3genE3ELNS1_11target_archE908ELNS1_3gpuE7ELNS1_3repE0EEENS1_30default_config_static_selectorELNS0_4arch9wavefront6targetE1EEEvS14_,"axG",@progbits,_ZN7rocprim17ROCPRIM_400000_NS6detail17trampoline_kernelINS0_14default_configENS1_22reduce_config_selectorIN6thrust23THRUST_200600_302600_NS5tupleIblNS6_9null_typeES8_S8_S8_S8_S8_S8_S8_EEEEZNS1_11reduce_implILb1ES3_NS6_12zip_iteratorINS7_INS6_11hip_rocprim26transform_input_iterator_tIbNSD_35transform_pair_of_input_iterators_tIbNS6_6detail15normal_iteratorINS6_10device_ptrIKyEEEESL_NS6_8equal_toIyEEEENSG_9not_fun_tINSD_8identityEEEEENSD_19counting_iterator_tIlEES8_S8_S8_S8_S8_S8_S8_S8_EEEEPS9_S9_NSD_9__find_if7functorIS9_EEEE10hipError_tPvRmT1_T2_T3_mT4_P12ihipStream_tbEUlT_E1_NS1_11comp_targetILNS1_3genE3ELNS1_11target_archE908ELNS1_3gpuE7ELNS1_3repE0EEENS1_30default_config_static_selectorELNS0_4arch9wavefront6targetE1EEEvS14_,comdat
.Lfunc_end594:
	.size	_ZN7rocprim17ROCPRIM_400000_NS6detail17trampoline_kernelINS0_14default_configENS1_22reduce_config_selectorIN6thrust23THRUST_200600_302600_NS5tupleIblNS6_9null_typeES8_S8_S8_S8_S8_S8_S8_EEEEZNS1_11reduce_implILb1ES3_NS6_12zip_iteratorINS7_INS6_11hip_rocprim26transform_input_iterator_tIbNSD_35transform_pair_of_input_iterators_tIbNS6_6detail15normal_iteratorINS6_10device_ptrIKyEEEESL_NS6_8equal_toIyEEEENSG_9not_fun_tINSD_8identityEEEEENSD_19counting_iterator_tIlEES8_S8_S8_S8_S8_S8_S8_S8_EEEEPS9_S9_NSD_9__find_if7functorIS9_EEEE10hipError_tPvRmT1_T2_T3_mT4_P12ihipStream_tbEUlT_E1_NS1_11comp_targetILNS1_3genE3ELNS1_11target_archE908ELNS1_3gpuE7ELNS1_3repE0EEENS1_30default_config_static_selectorELNS0_4arch9wavefront6targetE1EEEvS14_, .Lfunc_end594-_ZN7rocprim17ROCPRIM_400000_NS6detail17trampoline_kernelINS0_14default_configENS1_22reduce_config_selectorIN6thrust23THRUST_200600_302600_NS5tupleIblNS6_9null_typeES8_S8_S8_S8_S8_S8_S8_EEEEZNS1_11reduce_implILb1ES3_NS6_12zip_iteratorINS7_INS6_11hip_rocprim26transform_input_iterator_tIbNSD_35transform_pair_of_input_iterators_tIbNS6_6detail15normal_iteratorINS6_10device_ptrIKyEEEESL_NS6_8equal_toIyEEEENSG_9not_fun_tINSD_8identityEEEEENSD_19counting_iterator_tIlEES8_S8_S8_S8_S8_S8_S8_S8_EEEEPS9_S9_NSD_9__find_if7functorIS9_EEEE10hipError_tPvRmT1_T2_T3_mT4_P12ihipStream_tbEUlT_E1_NS1_11comp_targetILNS1_3genE3ELNS1_11target_archE908ELNS1_3gpuE7ELNS1_3repE0EEENS1_30default_config_static_selectorELNS0_4arch9wavefront6targetE1EEEvS14_
                                        ; -- End function
	.set _ZN7rocprim17ROCPRIM_400000_NS6detail17trampoline_kernelINS0_14default_configENS1_22reduce_config_selectorIN6thrust23THRUST_200600_302600_NS5tupleIblNS6_9null_typeES8_S8_S8_S8_S8_S8_S8_EEEEZNS1_11reduce_implILb1ES3_NS6_12zip_iteratorINS7_INS6_11hip_rocprim26transform_input_iterator_tIbNSD_35transform_pair_of_input_iterators_tIbNS6_6detail15normal_iteratorINS6_10device_ptrIKyEEEESL_NS6_8equal_toIyEEEENSG_9not_fun_tINSD_8identityEEEEENSD_19counting_iterator_tIlEES8_S8_S8_S8_S8_S8_S8_S8_EEEEPS9_S9_NSD_9__find_if7functorIS9_EEEE10hipError_tPvRmT1_T2_T3_mT4_P12ihipStream_tbEUlT_E1_NS1_11comp_targetILNS1_3genE3ELNS1_11target_archE908ELNS1_3gpuE7ELNS1_3repE0EEENS1_30default_config_static_selectorELNS0_4arch9wavefront6targetE1EEEvS14_.num_vgpr, 0
	.set _ZN7rocprim17ROCPRIM_400000_NS6detail17trampoline_kernelINS0_14default_configENS1_22reduce_config_selectorIN6thrust23THRUST_200600_302600_NS5tupleIblNS6_9null_typeES8_S8_S8_S8_S8_S8_S8_EEEEZNS1_11reduce_implILb1ES3_NS6_12zip_iteratorINS7_INS6_11hip_rocprim26transform_input_iterator_tIbNSD_35transform_pair_of_input_iterators_tIbNS6_6detail15normal_iteratorINS6_10device_ptrIKyEEEESL_NS6_8equal_toIyEEEENSG_9not_fun_tINSD_8identityEEEEENSD_19counting_iterator_tIlEES8_S8_S8_S8_S8_S8_S8_S8_EEEEPS9_S9_NSD_9__find_if7functorIS9_EEEE10hipError_tPvRmT1_T2_T3_mT4_P12ihipStream_tbEUlT_E1_NS1_11comp_targetILNS1_3genE3ELNS1_11target_archE908ELNS1_3gpuE7ELNS1_3repE0EEENS1_30default_config_static_selectorELNS0_4arch9wavefront6targetE1EEEvS14_.num_agpr, 0
	.set _ZN7rocprim17ROCPRIM_400000_NS6detail17trampoline_kernelINS0_14default_configENS1_22reduce_config_selectorIN6thrust23THRUST_200600_302600_NS5tupleIblNS6_9null_typeES8_S8_S8_S8_S8_S8_S8_EEEEZNS1_11reduce_implILb1ES3_NS6_12zip_iteratorINS7_INS6_11hip_rocprim26transform_input_iterator_tIbNSD_35transform_pair_of_input_iterators_tIbNS6_6detail15normal_iteratorINS6_10device_ptrIKyEEEESL_NS6_8equal_toIyEEEENSG_9not_fun_tINSD_8identityEEEEENSD_19counting_iterator_tIlEES8_S8_S8_S8_S8_S8_S8_S8_EEEEPS9_S9_NSD_9__find_if7functorIS9_EEEE10hipError_tPvRmT1_T2_T3_mT4_P12ihipStream_tbEUlT_E1_NS1_11comp_targetILNS1_3genE3ELNS1_11target_archE908ELNS1_3gpuE7ELNS1_3repE0EEENS1_30default_config_static_selectorELNS0_4arch9wavefront6targetE1EEEvS14_.numbered_sgpr, 0
	.set _ZN7rocprim17ROCPRIM_400000_NS6detail17trampoline_kernelINS0_14default_configENS1_22reduce_config_selectorIN6thrust23THRUST_200600_302600_NS5tupleIblNS6_9null_typeES8_S8_S8_S8_S8_S8_S8_EEEEZNS1_11reduce_implILb1ES3_NS6_12zip_iteratorINS7_INS6_11hip_rocprim26transform_input_iterator_tIbNSD_35transform_pair_of_input_iterators_tIbNS6_6detail15normal_iteratorINS6_10device_ptrIKyEEEESL_NS6_8equal_toIyEEEENSG_9not_fun_tINSD_8identityEEEEENSD_19counting_iterator_tIlEES8_S8_S8_S8_S8_S8_S8_S8_EEEEPS9_S9_NSD_9__find_if7functorIS9_EEEE10hipError_tPvRmT1_T2_T3_mT4_P12ihipStream_tbEUlT_E1_NS1_11comp_targetILNS1_3genE3ELNS1_11target_archE908ELNS1_3gpuE7ELNS1_3repE0EEENS1_30default_config_static_selectorELNS0_4arch9wavefront6targetE1EEEvS14_.num_named_barrier, 0
	.set _ZN7rocprim17ROCPRIM_400000_NS6detail17trampoline_kernelINS0_14default_configENS1_22reduce_config_selectorIN6thrust23THRUST_200600_302600_NS5tupleIblNS6_9null_typeES8_S8_S8_S8_S8_S8_S8_EEEEZNS1_11reduce_implILb1ES3_NS6_12zip_iteratorINS7_INS6_11hip_rocprim26transform_input_iterator_tIbNSD_35transform_pair_of_input_iterators_tIbNS6_6detail15normal_iteratorINS6_10device_ptrIKyEEEESL_NS6_8equal_toIyEEEENSG_9not_fun_tINSD_8identityEEEEENSD_19counting_iterator_tIlEES8_S8_S8_S8_S8_S8_S8_S8_EEEEPS9_S9_NSD_9__find_if7functorIS9_EEEE10hipError_tPvRmT1_T2_T3_mT4_P12ihipStream_tbEUlT_E1_NS1_11comp_targetILNS1_3genE3ELNS1_11target_archE908ELNS1_3gpuE7ELNS1_3repE0EEENS1_30default_config_static_selectorELNS0_4arch9wavefront6targetE1EEEvS14_.private_seg_size, 0
	.set _ZN7rocprim17ROCPRIM_400000_NS6detail17trampoline_kernelINS0_14default_configENS1_22reduce_config_selectorIN6thrust23THRUST_200600_302600_NS5tupleIblNS6_9null_typeES8_S8_S8_S8_S8_S8_S8_EEEEZNS1_11reduce_implILb1ES3_NS6_12zip_iteratorINS7_INS6_11hip_rocprim26transform_input_iterator_tIbNSD_35transform_pair_of_input_iterators_tIbNS6_6detail15normal_iteratorINS6_10device_ptrIKyEEEESL_NS6_8equal_toIyEEEENSG_9not_fun_tINSD_8identityEEEEENSD_19counting_iterator_tIlEES8_S8_S8_S8_S8_S8_S8_S8_EEEEPS9_S9_NSD_9__find_if7functorIS9_EEEE10hipError_tPvRmT1_T2_T3_mT4_P12ihipStream_tbEUlT_E1_NS1_11comp_targetILNS1_3genE3ELNS1_11target_archE908ELNS1_3gpuE7ELNS1_3repE0EEENS1_30default_config_static_selectorELNS0_4arch9wavefront6targetE1EEEvS14_.uses_vcc, 0
	.set _ZN7rocprim17ROCPRIM_400000_NS6detail17trampoline_kernelINS0_14default_configENS1_22reduce_config_selectorIN6thrust23THRUST_200600_302600_NS5tupleIblNS6_9null_typeES8_S8_S8_S8_S8_S8_S8_EEEEZNS1_11reduce_implILb1ES3_NS6_12zip_iteratorINS7_INS6_11hip_rocprim26transform_input_iterator_tIbNSD_35transform_pair_of_input_iterators_tIbNS6_6detail15normal_iteratorINS6_10device_ptrIKyEEEESL_NS6_8equal_toIyEEEENSG_9not_fun_tINSD_8identityEEEEENSD_19counting_iterator_tIlEES8_S8_S8_S8_S8_S8_S8_S8_EEEEPS9_S9_NSD_9__find_if7functorIS9_EEEE10hipError_tPvRmT1_T2_T3_mT4_P12ihipStream_tbEUlT_E1_NS1_11comp_targetILNS1_3genE3ELNS1_11target_archE908ELNS1_3gpuE7ELNS1_3repE0EEENS1_30default_config_static_selectorELNS0_4arch9wavefront6targetE1EEEvS14_.uses_flat_scratch, 0
	.set _ZN7rocprim17ROCPRIM_400000_NS6detail17trampoline_kernelINS0_14default_configENS1_22reduce_config_selectorIN6thrust23THRUST_200600_302600_NS5tupleIblNS6_9null_typeES8_S8_S8_S8_S8_S8_S8_EEEEZNS1_11reduce_implILb1ES3_NS6_12zip_iteratorINS7_INS6_11hip_rocprim26transform_input_iterator_tIbNSD_35transform_pair_of_input_iterators_tIbNS6_6detail15normal_iteratorINS6_10device_ptrIKyEEEESL_NS6_8equal_toIyEEEENSG_9not_fun_tINSD_8identityEEEEENSD_19counting_iterator_tIlEES8_S8_S8_S8_S8_S8_S8_S8_EEEEPS9_S9_NSD_9__find_if7functorIS9_EEEE10hipError_tPvRmT1_T2_T3_mT4_P12ihipStream_tbEUlT_E1_NS1_11comp_targetILNS1_3genE3ELNS1_11target_archE908ELNS1_3gpuE7ELNS1_3repE0EEENS1_30default_config_static_selectorELNS0_4arch9wavefront6targetE1EEEvS14_.has_dyn_sized_stack, 0
	.set _ZN7rocprim17ROCPRIM_400000_NS6detail17trampoline_kernelINS0_14default_configENS1_22reduce_config_selectorIN6thrust23THRUST_200600_302600_NS5tupleIblNS6_9null_typeES8_S8_S8_S8_S8_S8_S8_EEEEZNS1_11reduce_implILb1ES3_NS6_12zip_iteratorINS7_INS6_11hip_rocprim26transform_input_iterator_tIbNSD_35transform_pair_of_input_iterators_tIbNS6_6detail15normal_iteratorINS6_10device_ptrIKyEEEESL_NS6_8equal_toIyEEEENSG_9not_fun_tINSD_8identityEEEEENSD_19counting_iterator_tIlEES8_S8_S8_S8_S8_S8_S8_S8_EEEEPS9_S9_NSD_9__find_if7functorIS9_EEEE10hipError_tPvRmT1_T2_T3_mT4_P12ihipStream_tbEUlT_E1_NS1_11comp_targetILNS1_3genE3ELNS1_11target_archE908ELNS1_3gpuE7ELNS1_3repE0EEENS1_30default_config_static_selectorELNS0_4arch9wavefront6targetE1EEEvS14_.has_recursion, 0
	.set _ZN7rocprim17ROCPRIM_400000_NS6detail17trampoline_kernelINS0_14default_configENS1_22reduce_config_selectorIN6thrust23THRUST_200600_302600_NS5tupleIblNS6_9null_typeES8_S8_S8_S8_S8_S8_S8_EEEEZNS1_11reduce_implILb1ES3_NS6_12zip_iteratorINS7_INS6_11hip_rocprim26transform_input_iterator_tIbNSD_35transform_pair_of_input_iterators_tIbNS6_6detail15normal_iteratorINS6_10device_ptrIKyEEEESL_NS6_8equal_toIyEEEENSG_9not_fun_tINSD_8identityEEEEENSD_19counting_iterator_tIlEES8_S8_S8_S8_S8_S8_S8_S8_EEEEPS9_S9_NSD_9__find_if7functorIS9_EEEE10hipError_tPvRmT1_T2_T3_mT4_P12ihipStream_tbEUlT_E1_NS1_11comp_targetILNS1_3genE3ELNS1_11target_archE908ELNS1_3gpuE7ELNS1_3repE0EEENS1_30default_config_static_selectorELNS0_4arch9wavefront6targetE1EEEvS14_.has_indirect_call, 0
	.section	.AMDGPU.csdata,"",@progbits
; Kernel info:
; codeLenInByte = 0
; TotalNumSgprs: 6
; NumVgprs: 0
; NumAgprs: 0
; TotalNumVgprs: 0
; ScratchSize: 0
; MemoryBound: 0
; FloatMode: 240
; IeeeMode: 1
; LDSByteSize: 0 bytes/workgroup (compile time only)
; SGPRBlocks: 0
; VGPRBlocks: 0
; NumSGPRsForWavesPerEU: 6
; NumVGPRsForWavesPerEU: 1
; AccumOffset: 4
; Occupancy: 8
; WaveLimiterHint : 0
; COMPUTE_PGM_RSRC2:SCRATCH_EN: 0
; COMPUTE_PGM_RSRC2:USER_SGPR: 2
; COMPUTE_PGM_RSRC2:TRAP_HANDLER: 0
; COMPUTE_PGM_RSRC2:TGID_X_EN: 1
; COMPUTE_PGM_RSRC2:TGID_Y_EN: 0
; COMPUTE_PGM_RSRC2:TGID_Z_EN: 0
; COMPUTE_PGM_RSRC2:TIDIG_COMP_CNT: 0
; COMPUTE_PGM_RSRC3_GFX90A:ACCUM_OFFSET: 0
; COMPUTE_PGM_RSRC3_GFX90A:TG_SPLIT: 0
	.section	.text._ZN7rocprim17ROCPRIM_400000_NS6detail17trampoline_kernelINS0_14default_configENS1_22reduce_config_selectorIN6thrust23THRUST_200600_302600_NS5tupleIblNS6_9null_typeES8_S8_S8_S8_S8_S8_S8_EEEEZNS1_11reduce_implILb1ES3_NS6_12zip_iteratorINS7_INS6_11hip_rocprim26transform_input_iterator_tIbNSD_35transform_pair_of_input_iterators_tIbNS6_6detail15normal_iteratorINS6_10device_ptrIKyEEEESL_NS6_8equal_toIyEEEENSG_9not_fun_tINSD_8identityEEEEENSD_19counting_iterator_tIlEES8_S8_S8_S8_S8_S8_S8_S8_EEEEPS9_S9_NSD_9__find_if7functorIS9_EEEE10hipError_tPvRmT1_T2_T3_mT4_P12ihipStream_tbEUlT_E1_NS1_11comp_targetILNS1_3genE2ELNS1_11target_archE906ELNS1_3gpuE6ELNS1_3repE0EEENS1_30default_config_static_selectorELNS0_4arch9wavefront6targetE1EEEvS14_,"axG",@progbits,_ZN7rocprim17ROCPRIM_400000_NS6detail17trampoline_kernelINS0_14default_configENS1_22reduce_config_selectorIN6thrust23THRUST_200600_302600_NS5tupleIblNS6_9null_typeES8_S8_S8_S8_S8_S8_S8_EEEEZNS1_11reduce_implILb1ES3_NS6_12zip_iteratorINS7_INS6_11hip_rocprim26transform_input_iterator_tIbNSD_35transform_pair_of_input_iterators_tIbNS6_6detail15normal_iteratorINS6_10device_ptrIKyEEEESL_NS6_8equal_toIyEEEENSG_9not_fun_tINSD_8identityEEEEENSD_19counting_iterator_tIlEES8_S8_S8_S8_S8_S8_S8_S8_EEEEPS9_S9_NSD_9__find_if7functorIS9_EEEE10hipError_tPvRmT1_T2_T3_mT4_P12ihipStream_tbEUlT_E1_NS1_11comp_targetILNS1_3genE2ELNS1_11target_archE906ELNS1_3gpuE6ELNS1_3repE0EEENS1_30default_config_static_selectorELNS0_4arch9wavefront6targetE1EEEvS14_,comdat
	.protected	_ZN7rocprim17ROCPRIM_400000_NS6detail17trampoline_kernelINS0_14default_configENS1_22reduce_config_selectorIN6thrust23THRUST_200600_302600_NS5tupleIblNS6_9null_typeES8_S8_S8_S8_S8_S8_S8_EEEEZNS1_11reduce_implILb1ES3_NS6_12zip_iteratorINS7_INS6_11hip_rocprim26transform_input_iterator_tIbNSD_35transform_pair_of_input_iterators_tIbNS6_6detail15normal_iteratorINS6_10device_ptrIKyEEEESL_NS6_8equal_toIyEEEENSG_9not_fun_tINSD_8identityEEEEENSD_19counting_iterator_tIlEES8_S8_S8_S8_S8_S8_S8_S8_EEEEPS9_S9_NSD_9__find_if7functorIS9_EEEE10hipError_tPvRmT1_T2_T3_mT4_P12ihipStream_tbEUlT_E1_NS1_11comp_targetILNS1_3genE2ELNS1_11target_archE906ELNS1_3gpuE6ELNS1_3repE0EEENS1_30default_config_static_selectorELNS0_4arch9wavefront6targetE1EEEvS14_ ; -- Begin function _ZN7rocprim17ROCPRIM_400000_NS6detail17trampoline_kernelINS0_14default_configENS1_22reduce_config_selectorIN6thrust23THRUST_200600_302600_NS5tupleIblNS6_9null_typeES8_S8_S8_S8_S8_S8_S8_EEEEZNS1_11reduce_implILb1ES3_NS6_12zip_iteratorINS7_INS6_11hip_rocprim26transform_input_iterator_tIbNSD_35transform_pair_of_input_iterators_tIbNS6_6detail15normal_iteratorINS6_10device_ptrIKyEEEESL_NS6_8equal_toIyEEEENSG_9not_fun_tINSD_8identityEEEEENSD_19counting_iterator_tIlEES8_S8_S8_S8_S8_S8_S8_S8_EEEEPS9_S9_NSD_9__find_if7functorIS9_EEEE10hipError_tPvRmT1_T2_T3_mT4_P12ihipStream_tbEUlT_E1_NS1_11comp_targetILNS1_3genE2ELNS1_11target_archE906ELNS1_3gpuE6ELNS1_3repE0EEENS1_30default_config_static_selectorELNS0_4arch9wavefront6targetE1EEEvS14_
	.globl	_ZN7rocprim17ROCPRIM_400000_NS6detail17trampoline_kernelINS0_14default_configENS1_22reduce_config_selectorIN6thrust23THRUST_200600_302600_NS5tupleIblNS6_9null_typeES8_S8_S8_S8_S8_S8_S8_EEEEZNS1_11reduce_implILb1ES3_NS6_12zip_iteratorINS7_INS6_11hip_rocprim26transform_input_iterator_tIbNSD_35transform_pair_of_input_iterators_tIbNS6_6detail15normal_iteratorINS6_10device_ptrIKyEEEESL_NS6_8equal_toIyEEEENSG_9not_fun_tINSD_8identityEEEEENSD_19counting_iterator_tIlEES8_S8_S8_S8_S8_S8_S8_S8_EEEEPS9_S9_NSD_9__find_if7functorIS9_EEEE10hipError_tPvRmT1_T2_T3_mT4_P12ihipStream_tbEUlT_E1_NS1_11comp_targetILNS1_3genE2ELNS1_11target_archE906ELNS1_3gpuE6ELNS1_3repE0EEENS1_30default_config_static_selectorELNS0_4arch9wavefront6targetE1EEEvS14_
	.p2align	8
	.type	_ZN7rocprim17ROCPRIM_400000_NS6detail17trampoline_kernelINS0_14default_configENS1_22reduce_config_selectorIN6thrust23THRUST_200600_302600_NS5tupleIblNS6_9null_typeES8_S8_S8_S8_S8_S8_S8_EEEEZNS1_11reduce_implILb1ES3_NS6_12zip_iteratorINS7_INS6_11hip_rocprim26transform_input_iterator_tIbNSD_35transform_pair_of_input_iterators_tIbNS6_6detail15normal_iteratorINS6_10device_ptrIKyEEEESL_NS6_8equal_toIyEEEENSG_9not_fun_tINSD_8identityEEEEENSD_19counting_iterator_tIlEES8_S8_S8_S8_S8_S8_S8_S8_EEEEPS9_S9_NSD_9__find_if7functorIS9_EEEE10hipError_tPvRmT1_T2_T3_mT4_P12ihipStream_tbEUlT_E1_NS1_11comp_targetILNS1_3genE2ELNS1_11target_archE906ELNS1_3gpuE6ELNS1_3repE0EEENS1_30default_config_static_selectorELNS0_4arch9wavefront6targetE1EEEvS14_,@function
_ZN7rocprim17ROCPRIM_400000_NS6detail17trampoline_kernelINS0_14default_configENS1_22reduce_config_selectorIN6thrust23THRUST_200600_302600_NS5tupleIblNS6_9null_typeES8_S8_S8_S8_S8_S8_S8_EEEEZNS1_11reduce_implILb1ES3_NS6_12zip_iteratorINS7_INS6_11hip_rocprim26transform_input_iterator_tIbNSD_35transform_pair_of_input_iterators_tIbNS6_6detail15normal_iteratorINS6_10device_ptrIKyEEEESL_NS6_8equal_toIyEEEENSG_9not_fun_tINSD_8identityEEEEENSD_19counting_iterator_tIlEES8_S8_S8_S8_S8_S8_S8_S8_EEEEPS9_S9_NSD_9__find_if7functorIS9_EEEE10hipError_tPvRmT1_T2_T3_mT4_P12ihipStream_tbEUlT_E1_NS1_11comp_targetILNS1_3genE2ELNS1_11target_archE906ELNS1_3gpuE6ELNS1_3repE0EEENS1_30default_config_static_selectorELNS0_4arch9wavefront6targetE1EEEvS14_: ; @_ZN7rocprim17ROCPRIM_400000_NS6detail17trampoline_kernelINS0_14default_configENS1_22reduce_config_selectorIN6thrust23THRUST_200600_302600_NS5tupleIblNS6_9null_typeES8_S8_S8_S8_S8_S8_S8_EEEEZNS1_11reduce_implILb1ES3_NS6_12zip_iteratorINS7_INS6_11hip_rocprim26transform_input_iterator_tIbNSD_35transform_pair_of_input_iterators_tIbNS6_6detail15normal_iteratorINS6_10device_ptrIKyEEEESL_NS6_8equal_toIyEEEENSG_9not_fun_tINSD_8identityEEEEENSD_19counting_iterator_tIlEES8_S8_S8_S8_S8_S8_S8_S8_EEEEPS9_S9_NSD_9__find_if7functorIS9_EEEE10hipError_tPvRmT1_T2_T3_mT4_P12ihipStream_tbEUlT_E1_NS1_11comp_targetILNS1_3genE2ELNS1_11target_archE906ELNS1_3gpuE6ELNS1_3repE0EEENS1_30default_config_static_selectorELNS0_4arch9wavefront6targetE1EEEvS14_
; %bb.0:
	.section	.rodata,"a",@progbits
	.p2align	6, 0x0
	.amdhsa_kernel _ZN7rocprim17ROCPRIM_400000_NS6detail17trampoline_kernelINS0_14default_configENS1_22reduce_config_selectorIN6thrust23THRUST_200600_302600_NS5tupleIblNS6_9null_typeES8_S8_S8_S8_S8_S8_S8_EEEEZNS1_11reduce_implILb1ES3_NS6_12zip_iteratorINS7_INS6_11hip_rocprim26transform_input_iterator_tIbNSD_35transform_pair_of_input_iterators_tIbNS6_6detail15normal_iteratorINS6_10device_ptrIKyEEEESL_NS6_8equal_toIyEEEENSG_9not_fun_tINSD_8identityEEEEENSD_19counting_iterator_tIlEES8_S8_S8_S8_S8_S8_S8_S8_EEEEPS9_S9_NSD_9__find_if7functorIS9_EEEE10hipError_tPvRmT1_T2_T3_mT4_P12ihipStream_tbEUlT_E1_NS1_11comp_targetILNS1_3genE2ELNS1_11target_archE906ELNS1_3gpuE6ELNS1_3repE0EEENS1_30default_config_static_selectorELNS0_4arch9wavefront6targetE1EEEvS14_
		.amdhsa_group_segment_fixed_size 0
		.amdhsa_private_segment_fixed_size 0
		.amdhsa_kernarg_size 88
		.amdhsa_user_sgpr_count 2
		.amdhsa_user_sgpr_dispatch_ptr 0
		.amdhsa_user_sgpr_queue_ptr 0
		.amdhsa_user_sgpr_kernarg_segment_ptr 1
		.amdhsa_user_sgpr_dispatch_id 0
		.amdhsa_user_sgpr_kernarg_preload_length 0
		.amdhsa_user_sgpr_kernarg_preload_offset 0
		.amdhsa_user_sgpr_private_segment_size 0
		.amdhsa_uses_dynamic_stack 0
		.amdhsa_enable_private_segment 0
		.amdhsa_system_sgpr_workgroup_id_x 1
		.amdhsa_system_sgpr_workgroup_id_y 0
		.amdhsa_system_sgpr_workgroup_id_z 0
		.amdhsa_system_sgpr_workgroup_info 0
		.amdhsa_system_vgpr_workitem_id 0
		.amdhsa_next_free_vgpr 1
		.amdhsa_next_free_sgpr 0
		.amdhsa_accum_offset 4
		.amdhsa_reserve_vcc 0
		.amdhsa_float_round_mode_32 0
		.amdhsa_float_round_mode_16_64 0
		.amdhsa_float_denorm_mode_32 3
		.amdhsa_float_denorm_mode_16_64 3
		.amdhsa_dx10_clamp 1
		.amdhsa_ieee_mode 1
		.amdhsa_fp16_overflow 0
		.amdhsa_tg_split 0
		.amdhsa_exception_fp_ieee_invalid_op 0
		.amdhsa_exception_fp_denorm_src 0
		.amdhsa_exception_fp_ieee_div_zero 0
		.amdhsa_exception_fp_ieee_overflow 0
		.amdhsa_exception_fp_ieee_underflow 0
		.amdhsa_exception_fp_ieee_inexact 0
		.amdhsa_exception_int_div_zero 0
	.end_amdhsa_kernel
	.section	.text._ZN7rocprim17ROCPRIM_400000_NS6detail17trampoline_kernelINS0_14default_configENS1_22reduce_config_selectorIN6thrust23THRUST_200600_302600_NS5tupleIblNS6_9null_typeES8_S8_S8_S8_S8_S8_S8_EEEEZNS1_11reduce_implILb1ES3_NS6_12zip_iteratorINS7_INS6_11hip_rocprim26transform_input_iterator_tIbNSD_35transform_pair_of_input_iterators_tIbNS6_6detail15normal_iteratorINS6_10device_ptrIKyEEEESL_NS6_8equal_toIyEEEENSG_9not_fun_tINSD_8identityEEEEENSD_19counting_iterator_tIlEES8_S8_S8_S8_S8_S8_S8_S8_EEEEPS9_S9_NSD_9__find_if7functorIS9_EEEE10hipError_tPvRmT1_T2_T3_mT4_P12ihipStream_tbEUlT_E1_NS1_11comp_targetILNS1_3genE2ELNS1_11target_archE906ELNS1_3gpuE6ELNS1_3repE0EEENS1_30default_config_static_selectorELNS0_4arch9wavefront6targetE1EEEvS14_,"axG",@progbits,_ZN7rocprim17ROCPRIM_400000_NS6detail17trampoline_kernelINS0_14default_configENS1_22reduce_config_selectorIN6thrust23THRUST_200600_302600_NS5tupleIblNS6_9null_typeES8_S8_S8_S8_S8_S8_S8_EEEEZNS1_11reduce_implILb1ES3_NS6_12zip_iteratorINS7_INS6_11hip_rocprim26transform_input_iterator_tIbNSD_35transform_pair_of_input_iterators_tIbNS6_6detail15normal_iteratorINS6_10device_ptrIKyEEEESL_NS6_8equal_toIyEEEENSG_9not_fun_tINSD_8identityEEEEENSD_19counting_iterator_tIlEES8_S8_S8_S8_S8_S8_S8_S8_EEEEPS9_S9_NSD_9__find_if7functorIS9_EEEE10hipError_tPvRmT1_T2_T3_mT4_P12ihipStream_tbEUlT_E1_NS1_11comp_targetILNS1_3genE2ELNS1_11target_archE906ELNS1_3gpuE6ELNS1_3repE0EEENS1_30default_config_static_selectorELNS0_4arch9wavefront6targetE1EEEvS14_,comdat
.Lfunc_end595:
	.size	_ZN7rocprim17ROCPRIM_400000_NS6detail17trampoline_kernelINS0_14default_configENS1_22reduce_config_selectorIN6thrust23THRUST_200600_302600_NS5tupleIblNS6_9null_typeES8_S8_S8_S8_S8_S8_S8_EEEEZNS1_11reduce_implILb1ES3_NS6_12zip_iteratorINS7_INS6_11hip_rocprim26transform_input_iterator_tIbNSD_35transform_pair_of_input_iterators_tIbNS6_6detail15normal_iteratorINS6_10device_ptrIKyEEEESL_NS6_8equal_toIyEEEENSG_9not_fun_tINSD_8identityEEEEENSD_19counting_iterator_tIlEES8_S8_S8_S8_S8_S8_S8_S8_EEEEPS9_S9_NSD_9__find_if7functorIS9_EEEE10hipError_tPvRmT1_T2_T3_mT4_P12ihipStream_tbEUlT_E1_NS1_11comp_targetILNS1_3genE2ELNS1_11target_archE906ELNS1_3gpuE6ELNS1_3repE0EEENS1_30default_config_static_selectorELNS0_4arch9wavefront6targetE1EEEvS14_, .Lfunc_end595-_ZN7rocprim17ROCPRIM_400000_NS6detail17trampoline_kernelINS0_14default_configENS1_22reduce_config_selectorIN6thrust23THRUST_200600_302600_NS5tupleIblNS6_9null_typeES8_S8_S8_S8_S8_S8_S8_EEEEZNS1_11reduce_implILb1ES3_NS6_12zip_iteratorINS7_INS6_11hip_rocprim26transform_input_iterator_tIbNSD_35transform_pair_of_input_iterators_tIbNS6_6detail15normal_iteratorINS6_10device_ptrIKyEEEESL_NS6_8equal_toIyEEEENSG_9not_fun_tINSD_8identityEEEEENSD_19counting_iterator_tIlEES8_S8_S8_S8_S8_S8_S8_S8_EEEEPS9_S9_NSD_9__find_if7functorIS9_EEEE10hipError_tPvRmT1_T2_T3_mT4_P12ihipStream_tbEUlT_E1_NS1_11comp_targetILNS1_3genE2ELNS1_11target_archE906ELNS1_3gpuE6ELNS1_3repE0EEENS1_30default_config_static_selectorELNS0_4arch9wavefront6targetE1EEEvS14_
                                        ; -- End function
	.set _ZN7rocprim17ROCPRIM_400000_NS6detail17trampoline_kernelINS0_14default_configENS1_22reduce_config_selectorIN6thrust23THRUST_200600_302600_NS5tupleIblNS6_9null_typeES8_S8_S8_S8_S8_S8_S8_EEEEZNS1_11reduce_implILb1ES3_NS6_12zip_iteratorINS7_INS6_11hip_rocprim26transform_input_iterator_tIbNSD_35transform_pair_of_input_iterators_tIbNS6_6detail15normal_iteratorINS6_10device_ptrIKyEEEESL_NS6_8equal_toIyEEEENSG_9not_fun_tINSD_8identityEEEEENSD_19counting_iterator_tIlEES8_S8_S8_S8_S8_S8_S8_S8_EEEEPS9_S9_NSD_9__find_if7functorIS9_EEEE10hipError_tPvRmT1_T2_T3_mT4_P12ihipStream_tbEUlT_E1_NS1_11comp_targetILNS1_3genE2ELNS1_11target_archE906ELNS1_3gpuE6ELNS1_3repE0EEENS1_30default_config_static_selectorELNS0_4arch9wavefront6targetE1EEEvS14_.num_vgpr, 0
	.set _ZN7rocprim17ROCPRIM_400000_NS6detail17trampoline_kernelINS0_14default_configENS1_22reduce_config_selectorIN6thrust23THRUST_200600_302600_NS5tupleIblNS6_9null_typeES8_S8_S8_S8_S8_S8_S8_EEEEZNS1_11reduce_implILb1ES3_NS6_12zip_iteratorINS7_INS6_11hip_rocprim26transform_input_iterator_tIbNSD_35transform_pair_of_input_iterators_tIbNS6_6detail15normal_iteratorINS6_10device_ptrIKyEEEESL_NS6_8equal_toIyEEEENSG_9not_fun_tINSD_8identityEEEEENSD_19counting_iterator_tIlEES8_S8_S8_S8_S8_S8_S8_S8_EEEEPS9_S9_NSD_9__find_if7functorIS9_EEEE10hipError_tPvRmT1_T2_T3_mT4_P12ihipStream_tbEUlT_E1_NS1_11comp_targetILNS1_3genE2ELNS1_11target_archE906ELNS1_3gpuE6ELNS1_3repE0EEENS1_30default_config_static_selectorELNS0_4arch9wavefront6targetE1EEEvS14_.num_agpr, 0
	.set _ZN7rocprim17ROCPRIM_400000_NS6detail17trampoline_kernelINS0_14default_configENS1_22reduce_config_selectorIN6thrust23THRUST_200600_302600_NS5tupleIblNS6_9null_typeES8_S8_S8_S8_S8_S8_S8_EEEEZNS1_11reduce_implILb1ES3_NS6_12zip_iteratorINS7_INS6_11hip_rocprim26transform_input_iterator_tIbNSD_35transform_pair_of_input_iterators_tIbNS6_6detail15normal_iteratorINS6_10device_ptrIKyEEEESL_NS6_8equal_toIyEEEENSG_9not_fun_tINSD_8identityEEEEENSD_19counting_iterator_tIlEES8_S8_S8_S8_S8_S8_S8_S8_EEEEPS9_S9_NSD_9__find_if7functorIS9_EEEE10hipError_tPvRmT1_T2_T3_mT4_P12ihipStream_tbEUlT_E1_NS1_11comp_targetILNS1_3genE2ELNS1_11target_archE906ELNS1_3gpuE6ELNS1_3repE0EEENS1_30default_config_static_selectorELNS0_4arch9wavefront6targetE1EEEvS14_.numbered_sgpr, 0
	.set _ZN7rocprim17ROCPRIM_400000_NS6detail17trampoline_kernelINS0_14default_configENS1_22reduce_config_selectorIN6thrust23THRUST_200600_302600_NS5tupleIblNS6_9null_typeES8_S8_S8_S8_S8_S8_S8_EEEEZNS1_11reduce_implILb1ES3_NS6_12zip_iteratorINS7_INS6_11hip_rocprim26transform_input_iterator_tIbNSD_35transform_pair_of_input_iterators_tIbNS6_6detail15normal_iteratorINS6_10device_ptrIKyEEEESL_NS6_8equal_toIyEEEENSG_9not_fun_tINSD_8identityEEEEENSD_19counting_iterator_tIlEES8_S8_S8_S8_S8_S8_S8_S8_EEEEPS9_S9_NSD_9__find_if7functorIS9_EEEE10hipError_tPvRmT1_T2_T3_mT4_P12ihipStream_tbEUlT_E1_NS1_11comp_targetILNS1_3genE2ELNS1_11target_archE906ELNS1_3gpuE6ELNS1_3repE0EEENS1_30default_config_static_selectorELNS0_4arch9wavefront6targetE1EEEvS14_.num_named_barrier, 0
	.set _ZN7rocprim17ROCPRIM_400000_NS6detail17trampoline_kernelINS0_14default_configENS1_22reduce_config_selectorIN6thrust23THRUST_200600_302600_NS5tupleIblNS6_9null_typeES8_S8_S8_S8_S8_S8_S8_EEEEZNS1_11reduce_implILb1ES3_NS6_12zip_iteratorINS7_INS6_11hip_rocprim26transform_input_iterator_tIbNSD_35transform_pair_of_input_iterators_tIbNS6_6detail15normal_iteratorINS6_10device_ptrIKyEEEESL_NS6_8equal_toIyEEEENSG_9not_fun_tINSD_8identityEEEEENSD_19counting_iterator_tIlEES8_S8_S8_S8_S8_S8_S8_S8_EEEEPS9_S9_NSD_9__find_if7functorIS9_EEEE10hipError_tPvRmT1_T2_T3_mT4_P12ihipStream_tbEUlT_E1_NS1_11comp_targetILNS1_3genE2ELNS1_11target_archE906ELNS1_3gpuE6ELNS1_3repE0EEENS1_30default_config_static_selectorELNS0_4arch9wavefront6targetE1EEEvS14_.private_seg_size, 0
	.set _ZN7rocprim17ROCPRIM_400000_NS6detail17trampoline_kernelINS0_14default_configENS1_22reduce_config_selectorIN6thrust23THRUST_200600_302600_NS5tupleIblNS6_9null_typeES8_S8_S8_S8_S8_S8_S8_EEEEZNS1_11reduce_implILb1ES3_NS6_12zip_iteratorINS7_INS6_11hip_rocprim26transform_input_iterator_tIbNSD_35transform_pair_of_input_iterators_tIbNS6_6detail15normal_iteratorINS6_10device_ptrIKyEEEESL_NS6_8equal_toIyEEEENSG_9not_fun_tINSD_8identityEEEEENSD_19counting_iterator_tIlEES8_S8_S8_S8_S8_S8_S8_S8_EEEEPS9_S9_NSD_9__find_if7functorIS9_EEEE10hipError_tPvRmT1_T2_T3_mT4_P12ihipStream_tbEUlT_E1_NS1_11comp_targetILNS1_3genE2ELNS1_11target_archE906ELNS1_3gpuE6ELNS1_3repE0EEENS1_30default_config_static_selectorELNS0_4arch9wavefront6targetE1EEEvS14_.uses_vcc, 0
	.set _ZN7rocprim17ROCPRIM_400000_NS6detail17trampoline_kernelINS0_14default_configENS1_22reduce_config_selectorIN6thrust23THRUST_200600_302600_NS5tupleIblNS6_9null_typeES8_S8_S8_S8_S8_S8_S8_EEEEZNS1_11reduce_implILb1ES3_NS6_12zip_iteratorINS7_INS6_11hip_rocprim26transform_input_iterator_tIbNSD_35transform_pair_of_input_iterators_tIbNS6_6detail15normal_iteratorINS6_10device_ptrIKyEEEESL_NS6_8equal_toIyEEEENSG_9not_fun_tINSD_8identityEEEEENSD_19counting_iterator_tIlEES8_S8_S8_S8_S8_S8_S8_S8_EEEEPS9_S9_NSD_9__find_if7functorIS9_EEEE10hipError_tPvRmT1_T2_T3_mT4_P12ihipStream_tbEUlT_E1_NS1_11comp_targetILNS1_3genE2ELNS1_11target_archE906ELNS1_3gpuE6ELNS1_3repE0EEENS1_30default_config_static_selectorELNS0_4arch9wavefront6targetE1EEEvS14_.uses_flat_scratch, 0
	.set _ZN7rocprim17ROCPRIM_400000_NS6detail17trampoline_kernelINS0_14default_configENS1_22reduce_config_selectorIN6thrust23THRUST_200600_302600_NS5tupleIblNS6_9null_typeES8_S8_S8_S8_S8_S8_S8_EEEEZNS1_11reduce_implILb1ES3_NS6_12zip_iteratorINS7_INS6_11hip_rocprim26transform_input_iterator_tIbNSD_35transform_pair_of_input_iterators_tIbNS6_6detail15normal_iteratorINS6_10device_ptrIKyEEEESL_NS6_8equal_toIyEEEENSG_9not_fun_tINSD_8identityEEEEENSD_19counting_iterator_tIlEES8_S8_S8_S8_S8_S8_S8_S8_EEEEPS9_S9_NSD_9__find_if7functorIS9_EEEE10hipError_tPvRmT1_T2_T3_mT4_P12ihipStream_tbEUlT_E1_NS1_11comp_targetILNS1_3genE2ELNS1_11target_archE906ELNS1_3gpuE6ELNS1_3repE0EEENS1_30default_config_static_selectorELNS0_4arch9wavefront6targetE1EEEvS14_.has_dyn_sized_stack, 0
	.set _ZN7rocprim17ROCPRIM_400000_NS6detail17trampoline_kernelINS0_14default_configENS1_22reduce_config_selectorIN6thrust23THRUST_200600_302600_NS5tupleIblNS6_9null_typeES8_S8_S8_S8_S8_S8_S8_EEEEZNS1_11reduce_implILb1ES3_NS6_12zip_iteratorINS7_INS6_11hip_rocprim26transform_input_iterator_tIbNSD_35transform_pair_of_input_iterators_tIbNS6_6detail15normal_iteratorINS6_10device_ptrIKyEEEESL_NS6_8equal_toIyEEEENSG_9not_fun_tINSD_8identityEEEEENSD_19counting_iterator_tIlEES8_S8_S8_S8_S8_S8_S8_S8_EEEEPS9_S9_NSD_9__find_if7functorIS9_EEEE10hipError_tPvRmT1_T2_T3_mT4_P12ihipStream_tbEUlT_E1_NS1_11comp_targetILNS1_3genE2ELNS1_11target_archE906ELNS1_3gpuE6ELNS1_3repE0EEENS1_30default_config_static_selectorELNS0_4arch9wavefront6targetE1EEEvS14_.has_recursion, 0
	.set _ZN7rocprim17ROCPRIM_400000_NS6detail17trampoline_kernelINS0_14default_configENS1_22reduce_config_selectorIN6thrust23THRUST_200600_302600_NS5tupleIblNS6_9null_typeES8_S8_S8_S8_S8_S8_S8_EEEEZNS1_11reduce_implILb1ES3_NS6_12zip_iteratorINS7_INS6_11hip_rocprim26transform_input_iterator_tIbNSD_35transform_pair_of_input_iterators_tIbNS6_6detail15normal_iteratorINS6_10device_ptrIKyEEEESL_NS6_8equal_toIyEEEENSG_9not_fun_tINSD_8identityEEEEENSD_19counting_iterator_tIlEES8_S8_S8_S8_S8_S8_S8_S8_EEEEPS9_S9_NSD_9__find_if7functorIS9_EEEE10hipError_tPvRmT1_T2_T3_mT4_P12ihipStream_tbEUlT_E1_NS1_11comp_targetILNS1_3genE2ELNS1_11target_archE906ELNS1_3gpuE6ELNS1_3repE0EEENS1_30default_config_static_selectorELNS0_4arch9wavefront6targetE1EEEvS14_.has_indirect_call, 0
	.section	.AMDGPU.csdata,"",@progbits
; Kernel info:
; codeLenInByte = 0
; TotalNumSgprs: 6
; NumVgprs: 0
; NumAgprs: 0
; TotalNumVgprs: 0
; ScratchSize: 0
; MemoryBound: 0
; FloatMode: 240
; IeeeMode: 1
; LDSByteSize: 0 bytes/workgroup (compile time only)
; SGPRBlocks: 0
; VGPRBlocks: 0
; NumSGPRsForWavesPerEU: 6
; NumVGPRsForWavesPerEU: 1
; AccumOffset: 4
; Occupancy: 8
; WaveLimiterHint : 0
; COMPUTE_PGM_RSRC2:SCRATCH_EN: 0
; COMPUTE_PGM_RSRC2:USER_SGPR: 2
; COMPUTE_PGM_RSRC2:TRAP_HANDLER: 0
; COMPUTE_PGM_RSRC2:TGID_X_EN: 1
; COMPUTE_PGM_RSRC2:TGID_Y_EN: 0
; COMPUTE_PGM_RSRC2:TGID_Z_EN: 0
; COMPUTE_PGM_RSRC2:TIDIG_COMP_CNT: 0
; COMPUTE_PGM_RSRC3_GFX90A:ACCUM_OFFSET: 0
; COMPUTE_PGM_RSRC3_GFX90A:TG_SPLIT: 0
	.section	.text._ZN7rocprim17ROCPRIM_400000_NS6detail17trampoline_kernelINS0_14default_configENS1_22reduce_config_selectorIN6thrust23THRUST_200600_302600_NS5tupleIblNS6_9null_typeES8_S8_S8_S8_S8_S8_S8_EEEEZNS1_11reduce_implILb1ES3_NS6_12zip_iteratorINS7_INS6_11hip_rocprim26transform_input_iterator_tIbNSD_35transform_pair_of_input_iterators_tIbNS6_6detail15normal_iteratorINS6_10device_ptrIKyEEEESL_NS6_8equal_toIyEEEENSG_9not_fun_tINSD_8identityEEEEENSD_19counting_iterator_tIlEES8_S8_S8_S8_S8_S8_S8_S8_EEEEPS9_S9_NSD_9__find_if7functorIS9_EEEE10hipError_tPvRmT1_T2_T3_mT4_P12ihipStream_tbEUlT_E1_NS1_11comp_targetILNS1_3genE10ELNS1_11target_archE1201ELNS1_3gpuE5ELNS1_3repE0EEENS1_30default_config_static_selectorELNS0_4arch9wavefront6targetE1EEEvS14_,"axG",@progbits,_ZN7rocprim17ROCPRIM_400000_NS6detail17trampoline_kernelINS0_14default_configENS1_22reduce_config_selectorIN6thrust23THRUST_200600_302600_NS5tupleIblNS6_9null_typeES8_S8_S8_S8_S8_S8_S8_EEEEZNS1_11reduce_implILb1ES3_NS6_12zip_iteratorINS7_INS6_11hip_rocprim26transform_input_iterator_tIbNSD_35transform_pair_of_input_iterators_tIbNS6_6detail15normal_iteratorINS6_10device_ptrIKyEEEESL_NS6_8equal_toIyEEEENSG_9not_fun_tINSD_8identityEEEEENSD_19counting_iterator_tIlEES8_S8_S8_S8_S8_S8_S8_S8_EEEEPS9_S9_NSD_9__find_if7functorIS9_EEEE10hipError_tPvRmT1_T2_T3_mT4_P12ihipStream_tbEUlT_E1_NS1_11comp_targetILNS1_3genE10ELNS1_11target_archE1201ELNS1_3gpuE5ELNS1_3repE0EEENS1_30default_config_static_selectorELNS0_4arch9wavefront6targetE1EEEvS14_,comdat
	.protected	_ZN7rocprim17ROCPRIM_400000_NS6detail17trampoline_kernelINS0_14default_configENS1_22reduce_config_selectorIN6thrust23THRUST_200600_302600_NS5tupleIblNS6_9null_typeES8_S8_S8_S8_S8_S8_S8_EEEEZNS1_11reduce_implILb1ES3_NS6_12zip_iteratorINS7_INS6_11hip_rocprim26transform_input_iterator_tIbNSD_35transform_pair_of_input_iterators_tIbNS6_6detail15normal_iteratorINS6_10device_ptrIKyEEEESL_NS6_8equal_toIyEEEENSG_9not_fun_tINSD_8identityEEEEENSD_19counting_iterator_tIlEES8_S8_S8_S8_S8_S8_S8_S8_EEEEPS9_S9_NSD_9__find_if7functorIS9_EEEE10hipError_tPvRmT1_T2_T3_mT4_P12ihipStream_tbEUlT_E1_NS1_11comp_targetILNS1_3genE10ELNS1_11target_archE1201ELNS1_3gpuE5ELNS1_3repE0EEENS1_30default_config_static_selectorELNS0_4arch9wavefront6targetE1EEEvS14_ ; -- Begin function _ZN7rocprim17ROCPRIM_400000_NS6detail17trampoline_kernelINS0_14default_configENS1_22reduce_config_selectorIN6thrust23THRUST_200600_302600_NS5tupleIblNS6_9null_typeES8_S8_S8_S8_S8_S8_S8_EEEEZNS1_11reduce_implILb1ES3_NS6_12zip_iteratorINS7_INS6_11hip_rocprim26transform_input_iterator_tIbNSD_35transform_pair_of_input_iterators_tIbNS6_6detail15normal_iteratorINS6_10device_ptrIKyEEEESL_NS6_8equal_toIyEEEENSG_9not_fun_tINSD_8identityEEEEENSD_19counting_iterator_tIlEES8_S8_S8_S8_S8_S8_S8_S8_EEEEPS9_S9_NSD_9__find_if7functorIS9_EEEE10hipError_tPvRmT1_T2_T3_mT4_P12ihipStream_tbEUlT_E1_NS1_11comp_targetILNS1_3genE10ELNS1_11target_archE1201ELNS1_3gpuE5ELNS1_3repE0EEENS1_30default_config_static_selectorELNS0_4arch9wavefront6targetE1EEEvS14_
	.globl	_ZN7rocprim17ROCPRIM_400000_NS6detail17trampoline_kernelINS0_14default_configENS1_22reduce_config_selectorIN6thrust23THRUST_200600_302600_NS5tupleIblNS6_9null_typeES8_S8_S8_S8_S8_S8_S8_EEEEZNS1_11reduce_implILb1ES3_NS6_12zip_iteratorINS7_INS6_11hip_rocprim26transform_input_iterator_tIbNSD_35transform_pair_of_input_iterators_tIbNS6_6detail15normal_iteratorINS6_10device_ptrIKyEEEESL_NS6_8equal_toIyEEEENSG_9not_fun_tINSD_8identityEEEEENSD_19counting_iterator_tIlEES8_S8_S8_S8_S8_S8_S8_S8_EEEEPS9_S9_NSD_9__find_if7functorIS9_EEEE10hipError_tPvRmT1_T2_T3_mT4_P12ihipStream_tbEUlT_E1_NS1_11comp_targetILNS1_3genE10ELNS1_11target_archE1201ELNS1_3gpuE5ELNS1_3repE0EEENS1_30default_config_static_selectorELNS0_4arch9wavefront6targetE1EEEvS14_
	.p2align	8
	.type	_ZN7rocprim17ROCPRIM_400000_NS6detail17trampoline_kernelINS0_14default_configENS1_22reduce_config_selectorIN6thrust23THRUST_200600_302600_NS5tupleIblNS6_9null_typeES8_S8_S8_S8_S8_S8_S8_EEEEZNS1_11reduce_implILb1ES3_NS6_12zip_iteratorINS7_INS6_11hip_rocprim26transform_input_iterator_tIbNSD_35transform_pair_of_input_iterators_tIbNS6_6detail15normal_iteratorINS6_10device_ptrIKyEEEESL_NS6_8equal_toIyEEEENSG_9not_fun_tINSD_8identityEEEEENSD_19counting_iterator_tIlEES8_S8_S8_S8_S8_S8_S8_S8_EEEEPS9_S9_NSD_9__find_if7functorIS9_EEEE10hipError_tPvRmT1_T2_T3_mT4_P12ihipStream_tbEUlT_E1_NS1_11comp_targetILNS1_3genE10ELNS1_11target_archE1201ELNS1_3gpuE5ELNS1_3repE0EEENS1_30default_config_static_selectorELNS0_4arch9wavefront6targetE1EEEvS14_,@function
_ZN7rocprim17ROCPRIM_400000_NS6detail17trampoline_kernelINS0_14default_configENS1_22reduce_config_selectorIN6thrust23THRUST_200600_302600_NS5tupleIblNS6_9null_typeES8_S8_S8_S8_S8_S8_S8_EEEEZNS1_11reduce_implILb1ES3_NS6_12zip_iteratorINS7_INS6_11hip_rocprim26transform_input_iterator_tIbNSD_35transform_pair_of_input_iterators_tIbNS6_6detail15normal_iteratorINS6_10device_ptrIKyEEEESL_NS6_8equal_toIyEEEENSG_9not_fun_tINSD_8identityEEEEENSD_19counting_iterator_tIlEES8_S8_S8_S8_S8_S8_S8_S8_EEEEPS9_S9_NSD_9__find_if7functorIS9_EEEE10hipError_tPvRmT1_T2_T3_mT4_P12ihipStream_tbEUlT_E1_NS1_11comp_targetILNS1_3genE10ELNS1_11target_archE1201ELNS1_3gpuE5ELNS1_3repE0EEENS1_30default_config_static_selectorELNS0_4arch9wavefront6targetE1EEEvS14_: ; @_ZN7rocprim17ROCPRIM_400000_NS6detail17trampoline_kernelINS0_14default_configENS1_22reduce_config_selectorIN6thrust23THRUST_200600_302600_NS5tupleIblNS6_9null_typeES8_S8_S8_S8_S8_S8_S8_EEEEZNS1_11reduce_implILb1ES3_NS6_12zip_iteratorINS7_INS6_11hip_rocprim26transform_input_iterator_tIbNSD_35transform_pair_of_input_iterators_tIbNS6_6detail15normal_iteratorINS6_10device_ptrIKyEEEESL_NS6_8equal_toIyEEEENSG_9not_fun_tINSD_8identityEEEEENSD_19counting_iterator_tIlEES8_S8_S8_S8_S8_S8_S8_S8_EEEEPS9_S9_NSD_9__find_if7functorIS9_EEEE10hipError_tPvRmT1_T2_T3_mT4_P12ihipStream_tbEUlT_E1_NS1_11comp_targetILNS1_3genE10ELNS1_11target_archE1201ELNS1_3gpuE5ELNS1_3repE0EEENS1_30default_config_static_selectorELNS0_4arch9wavefront6targetE1EEEvS14_
; %bb.0:
	.section	.rodata,"a",@progbits
	.p2align	6, 0x0
	.amdhsa_kernel _ZN7rocprim17ROCPRIM_400000_NS6detail17trampoline_kernelINS0_14default_configENS1_22reduce_config_selectorIN6thrust23THRUST_200600_302600_NS5tupleIblNS6_9null_typeES8_S8_S8_S8_S8_S8_S8_EEEEZNS1_11reduce_implILb1ES3_NS6_12zip_iteratorINS7_INS6_11hip_rocprim26transform_input_iterator_tIbNSD_35transform_pair_of_input_iterators_tIbNS6_6detail15normal_iteratorINS6_10device_ptrIKyEEEESL_NS6_8equal_toIyEEEENSG_9not_fun_tINSD_8identityEEEEENSD_19counting_iterator_tIlEES8_S8_S8_S8_S8_S8_S8_S8_EEEEPS9_S9_NSD_9__find_if7functorIS9_EEEE10hipError_tPvRmT1_T2_T3_mT4_P12ihipStream_tbEUlT_E1_NS1_11comp_targetILNS1_3genE10ELNS1_11target_archE1201ELNS1_3gpuE5ELNS1_3repE0EEENS1_30default_config_static_selectorELNS0_4arch9wavefront6targetE1EEEvS14_
		.amdhsa_group_segment_fixed_size 0
		.amdhsa_private_segment_fixed_size 0
		.amdhsa_kernarg_size 88
		.amdhsa_user_sgpr_count 2
		.amdhsa_user_sgpr_dispatch_ptr 0
		.amdhsa_user_sgpr_queue_ptr 0
		.amdhsa_user_sgpr_kernarg_segment_ptr 1
		.amdhsa_user_sgpr_dispatch_id 0
		.amdhsa_user_sgpr_kernarg_preload_length 0
		.amdhsa_user_sgpr_kernarg_preload_offset 0
		.amdhsa_user_sgpr_private_segment_size 0
		.amdhsa_uses_dynamic_stack 0
		.amdhsa_enable_private_segment 0
		.amdhsa_system_sgpr_workgroup_id_x 1
		.amdhsa_system_sgpr_workgroup_id_y 0
		.amdhsa_system_sgpr_workgroup_id_z 0
		.amdhsa_system_sgpr_workgroup_info 0
		.amdhsa_system_vgpr_workitem_id 0
		.amdhsa_next_free_vgpr 1
		.amdhsa_next_free_sgpr 0
		.amdhsa_accum_offset 4
		.amdhsa_reserve_vcc 0
		.amdhsa_float_round_mode_32 0
		.amdhsa_float_round_mode_16_64 0
		.amdhsa_float_denorm_mode_32 3
		.amdhsa_float_denorm_mode_16_64 3
		.amdhsa_dx10_clamp 1
		.amdhsa_ieee_mode 1
		.amdhsa_fp16_overflow 0
		.amdhsa_tg_split 0
		.amdhsa_exception_fp_ieee_invalid_op 0
		.amdhsa_exception_fp_denorm_src 0
		.amdhsa_exception_fp_ieee_div_zero 0
		.amdhsa_exception_fp_ieee_overflow 0
		.amdhsa_exception_fp_ieee_underflow 0
		.amdhsa_exception_fp_ieee_inexact 0
		.amdhsa_exception_int_div_zero 0
	.end_amdhsa_kernel
	.section	.text._ZN7rocprim17ROCPRIM_400000_NS6detail17trampoline_kernelINS0_14default_configENS1_22reduce_config_selectorIN6thrust23THRUST_200600_302600_NS5tupleIblNS6_9null_typeES8_S8_S8_S8_S8_S8_S8_EEEEZNS1_11reduce_implILb1ES3_NS6_12zip_iteratorINS7_INS6_11hip_rocprim26transform_input_iterator_tIbNSD_35transform_pair_of_input_iterators_tIbNS6_6detail15normal_iteratorINS6_10device_ptrIKyEEEESL_NS6_8equal_toIyEEEENSG_9not_fun_tINSD_8identityEEEEENSD_19counting_iterator_tIlEES8_S8_S8_S8_S8_S8_S8_S8_EEEEPS9_S9_NSD_9__find_if7functorIS9_EEEE10hipError_tPvRmT1_T2_T3_mT4_P12ihipStream_tbEUlT_E1_NS1_11comp_targetILNS1_3genE10ELNS1_11target_archE1201ELNS1_3gpuE5ELNS1_3repE0EEENS1_30default_config_static_selectorELNS0_4arch9wavefront6targetE1EEEvS14_,"axG",@progbits,_ZN7rocprim17ROCPRIM_400000_NS6detail17trampoline_kernelINS0_14default_configENS1_22reduce_config_selectorIN6thrust23THRUST_200600_302600_NS5tupleIblNS6_9null_typeES8_S8_S8_S8_S8_S8_S8_EEEEZNS1_11reduce_implILb1ES3_NS6_12zip_iteratorINS7_INS6_11hip_rocprim26transform_input_iterator_tIbNSD_35transform_pair_of_input_iterators_tIbNS6_6detail15normal_iteratorINS6_10device_ptrIKyEEEESL_NS6_8equal_toIyEEEENSG_9not_fun_tINSD_8identityEEEEENSD_19counting_iterator_tIlEES8_S8_S8_S8_S8_S8_S8_S8_EEEEPS9_S9_NSD_9__find_if7functorIS9_EEEE10hipError_tPvRmT1_T2_T3_mT4_P12ihipStream_tbEUlT_E1_NS1_11comp_targetILNS1_3genE10ELNS1_11target_archE1201ELNS1_3gpuE5ELNS1_3repE0EEENS1_30default_config_static_selectorELNS0_4arch9wavefront6targetE1EEEvS14_,comdat
.Lfunc_end596:
	.size	_ZN7rocprim17ROCPRIM_400000_NS6detail17trampoline_kernelINS0_14default_configENS1_22reduce_config_selectorIN6thrust23THRUST_200600_302600_NS5tupleIblNS6_9null_typeES8_S8_S8_S8_S8_S8_S8_EEEEZNS1_11reduce_implILb1ES3_NS6_12zip_iteratorINS7_INS6_11hip_rocprim26transform_input_iterator_tIbNSD_35transform_pair_of_input_iterators_tIbNS6_6detail15normal_iteratorINS6_10device_ptrIKyEEEESL_NS6_8equal_toIyEEEENSG_9not_fun_tINSD_8identityEEEEENSD_19counting_iterator_tIlEES8_S8_S8_S8_S8_S8_S8_S8_EEEEPS9_S9_NSD_9__find_if7functorIS9_EEEE10hipError_tPvRmT1_T2_T3_mT4_P12ihipStream_tbEUlT_E1_NS1_11comp_targetILNS1_3genE10ELNS1_11target_archE1201ELNS1_3gpuE5ELNS1_3repE0EEENS1_30default_config_static_selectorELNS0_4arch9wavefront6targetE1EEEvS14_, .Lfunc_end596-_ZN7rocprim17ROCPRIM_400000_NS6detail17trampoline_kernelINS0_14default_configENS1_22reduce_config_selectorIN6thrust23THRUST_200600_302600_NS5tupleIblNS6_9null_typeES8_S8_S8_S8_S8_S8_S8_EEEEZNS1_11reduce_implILb1ES3_NS6_12zip_iteratorINS7_INS6_11hip_rocprim26transform_input_iterator_tIbNSD_35transform_pair_of_input_iterators_tIbNS6_6detail15normal_iteratorINS6_10device_ptrIKyEEEESL_NS6_8equal_toIyEEEENSG_9not_fun_tINSD_8identityEEEEENSD_19counting_iterator_tIlEES8_S8_S8_S8_S8_S8_S8_S8_EEEEPS9_S9_NSD_9__find_if7functorIS9_EEEE10hipError_tPvRmT1_T2_T3_mT4_P12ihipStream_tbEUlT_E1_NS1_11comp_targetILNS1_3genE10ELNS1_11target_archE1201ELNS1_3gpuE5ELNS1_3repE0EEENS1_30default_config_static_selectorELNS0_4arch9wavefront6targetE1EEEvS14_
                                        ; -- End function
	.set _ZN7rocprim17ROCPRIM_400000_NS6detail17trampoline_kernelINS0_14default_configENS1_22reduce_config_selectorIN6thrust23THRUST_200600_302600_NS5tupleIblNS6_9null_typeES8_S8_S8_S8_S8_S8_S8_EEEEZNS1_11reduce_implILb1ES3_NS6_12zip_iteratorINS7_INS6_11hip_rocprim26transform_input_iterator_tIbNSD_35transform_pair_of_input_iterators_tIbNS6_6detail15normal_iteratorINS6_10device_ptrIKyEEEESL_NS6_8equal_toIyEEEENSG_9not_fun_tINSD_8identityEEEEENSD_19counting_iterator_tIlEES8_S8_S8_S8_S8_S8_S8_S8_EEEEPS9_S9_NSD_9__find_if7functorIS9_EEEE10hipError_tPvRmT1_T2_T3_mT4_P12ihipStream_tbEUlT_E1_NS1_11comp_targetILNS1_3genE10ELNS1_11target_archE1201ELNS1_3gpuE5ELNS1_3repE0EEENS1_30default_config_static_selectorELNS0_4arch9wavefront6targetE1EEEvS14_.num_vgpr, 0
	.set _ZN7rocprim17ROCPRIM_400000_NS6detail17trampoline_kernelINS0_14default_configENS1_22reduce_config_selectorIN6thrust23THRUST_200600_302600_NS5tupleIblNS6_9null_typeES8_S8_S8_S8_S8_S8_S8_EEEEZNS1_11reduce_implILb1ES3_NS6_12zip_iteratorINS7_INS6_11hip_rocprim26transform_input_iterator_tIbNSD_35transform_pair_of_input_iterators_tIbNS6_6detail15normal_iteratorINS6_10device_ptrIKyEEEESL_NS6_8equal_toIyEEEENSG_9not_fun_tINSD_8identityEEEEENSD_19counting_iterator_tIlEES8_S8_S8_S8_S8_S8_S8_S8_EEEEPS9_S9_NSD_9__find_if7functorIS9_EEEE10hipError_tPvRmT1_T2_T3_mT4_P12ihipStream_tbEUlT_E1_NS1_11comp_targetILNS1_3genE10ELNS1_11target_archE1201ELNS1_3gpuE5ELNS1_3repE0EEENS1_30default_config_static_selectorELNS0_4arch9wavefront6targetE1EEEvS14_.num_agpr, 0
	.set _ZN7rocprim17ROCPRIM_400000_NS6detail17trampoline_kernelINS0_14default_configENS1_22reduce_config_selectorIN6thrust23THRUST_200600_302600_NS5tupleIblNS6_9null_typeES8_S8_S8_S8_S8_S8_S8_EEEEZNS1_11reduce_implILb1ES3_NS6_12zip_iteratorINS7_INS6_11hip_rocprim26transform_input_iterator_tIbNSD_35transform_pair_of_input_iterators_tIbNS6_6detail15normal_iteratorINS6_10device_ptrIKyEEEESL_NS6_8equal_toIyEEEENSG_9not_fun_tINSD_8identityEEEEENSD_19counting_iterator_tIlEES8_S8_S8_S8_S8_S8_S8_S8_EEEEPS9_S9_NSD_9__find_if7functorIS9_EEEE10hipError_tPvRmT1_T2_T3_mT4_P12ihipStream_tbEUlT_E1_NS1_11comp_targetILNS1_3genE10ELNS1_11target_archE1201ELNS1_3gpuE5ELNS1_3repE0EEENS1_30default_config_static_selectorELNS0_4arch9wavefront6targetE1EEEvS14_.numbered_sgpr, 0
	.set _ZN7rocprim17ROCPRIM_400000_NS6detail17trampoline_kernelINS0_14default_configENS1_22reduce_config_selectorIN6thrust23THRUST_200600_302600_NS5tupleIblNS6_9null_typeES8_S8_S8_S8_S8_S8_S8_EEEEZNS1_11reduce_implILb1ES3_NS6_12zip_iteratorINS7_INS6_11hip_rocprim26transform_input_iterator_tIbNSD_35transform_pair_of_input_iterators_tIbNS6_6detail15normal_iteratorINS6_10device_ptrIKyEEEESL_NS6_8equal_toIyEEEENSG_9not_fun_tINSD_8identityEEEEENSD_19counting_iterator_tIlEES8_S8_S8_S8_S8_S8_S8_S8_EEEEPS9_S9_NSD_9__find_if7functorIS9_EEEE10hipError_tPvRmT1_T2_T3_mT4_P12ihipStream_tbEUlT_E1_NS1_11comp_targetILNS1_3genE10ELNS1_11target_archE1201ELNS1_3gpuE5ELNS1_3repE0EEENS1_30default_config_static_selectorELNS0_4arch9wavefront6targetE1EEEvS14_.num_named_barrier, 0
	.set _ZN7rocprim17ROCPRIM_400000_NS6detail17trampoline_kernelINS0_14default_configENS1_22reduce_config_selectorIN6thrust23THRUST_200600_302600_NS5tupleIblNS6_9null_typeES8_S8_S8_S8_S8_S8_S8_EEEEZNS1_11reduce_implILb1ES3_NS6_12zip_iteratorINS7_INS6_11hip_rocprim26transform_input_iterator_tIbNSD_35transform_pair_of_input_iterators_tIbNS6_6detail15normal_iteratorINS6_10device_ptrIKyEEEESL_NS6_8equal_toIyEEEENSG_9not_fun_tINSD_8identityEEEEENSD_19counting_iterator_tIlEES8_S8_S8_S8_S8_S8_S8_S8_EEEEPS9_S9_NSD_9__find_if7functorIS9_EEEE10hipError_tPvRmT1_T2_T3_mT4_P12ihipStream_tbEUlT_E1_NS1_11comp_targetILNS1_3genE10ELNS1_11target_archE1201ELNS1_3gpuE5ELNS1_3repE0EEENS1_30default_config_static_selectorELNS0_4arch9wavefront6targetE1EEEvS14_.private_seg_size, 0
	.set _ZN7rocprim17ROCPRIM_400000_NS6detail17trampoline_kernelINS0_14default_configENS1_22reduce_config_selectorIN6thrust23THRUST_200600_302600_NS5tupleIblNS6_9null_typeES8_S8_S8_S8_S8_S8_S8_EEEEZNS1_11reduce_implILb1ES3_NS6_12zip_iteratorINS7_INS6_11hip_rocprim26transform_input_iterator_tIbNSD_35transform_pair_of_input_iterators_tIbNS6_6detail15normal_iteratorINS6_10device_ptrIKyEEEESL_NS6_8equal_toIyEEEENSG_9not_fun_tINSD_8identityEEEEENSD_19counting_iterator_tIlEES8_S8_S8_S8_S8_S8_S8_S8_EEEEPS9_S9_NSD_9__find_if7functorIS9_EEEE10hipError_tPvRmT1_T2_T3_mT4_P12ihipStream_tbEUlT_E1_NS1_11comp_targetILNS1_3genE10ELNS1_11target_archE1201ELNS1_3gpuE5ELNS1_3repE0EEENS1_30default_config_static_selectorELNS0_4arch9wavefront6targetE1EEEvS14_.uses_vcc, 0
	.set _ZN7rocprim17ROCPRIM_400000_NS6detail17trampoline_kernelINS0_14default_configENS1_22reduce_config_selectorIN6thrust23THRUST_200600_302600_NS5tupleIblNS6_9null_typeES8_S8_S8_S8_S8_S8_S8_EEEEZNS1_11reduce_implILb1ES3_NS6_12zip_iteratorINS7_INS6_11hip_rocprim26transform_input_iterator_tIbNSD_35transform_pair_of_input_iterators_tIbNS6_6detail15normal_iteratorINS6_10device_ptrIKyEEEESL_NS6_8equal_toIyEEEENSG_9not_fun_tINSD_8identityEEEEENSD_19counting_iterator_tIlEES8_S8_S8_S8_S8_S8_S8_S8_EEEEPS9_S9_NSD_9__find_if7functorIS9_EEEE10hipError_tPvRmT1_T2_T3_mT4_P12ihipStream_tbEUlT_E1_NS1_11comp_targetILNS1_3genE10ELNS1_11target_archE1201ELNS1_3gpuE5ELNS1_3repE0EEENS1_30default_config_static_selectorELNS0_4arch9wavefront6targetE1EEEvS14_.uses_flat_scratch, 0
	.set _ZN7rocprim17ROCPRIM_400000_NS6detail17trampoline_kernelINS0_14default_configENS1_22reduce_config_selectorIN6thrust23THRUST_200600_302600_NS5tupleIblNS6_9null_typeES8_S8_S8_S8_S8_S8_S8_EEEEZNS1_11reduce_implILb1ES3_NS6_12zip_iteratorINS7_INS6_11hip_rocprim26transform_input_iterator_tIbNSD_35transform_pair_of_input_iterators_tIbNS6_6detail15normal_iteratorINS6_10device_ptrIKyEEEESL_NS6_8equal_toIyEEEENSG_9not_fun_tINSD_8identityEEEEENSD_19counting_iterator_tIlEES8_S8_S8_S8_S8_S8_S8_S8_EEEEPS9_S9_NSD_9__find_if7functorIS9_EEEE10hipError_tPvRmT1_T2_T3_mT4_P12ihipStream_tbEUlT_E1_NS1_11comp_targetILNS1_3genE10ELNS1_11target_archE1201ELNS1_3gpuE5ELNS1_3repE0EEENS1_30default_config_static_selectorELNS0_4arch9wavefront6targetE1EEEvS14_.has_dyn_sized_stack, 0
	.set _ZN7rocprim17ROCPRIM_400000_NS6detail17trampoline_kernelINS0_14default_configENS1_22reduce_config_selectorIN6thrust23THRUST_200600_302600_NS5tupleIblNS6_9null_typeES8_S8_S8_S8_S8_S8_S8_EEEEZNS1_11reduce_implILb1ES3_NS6_12zip_iteratorINS7_INS6_11hip_rocprim26transform_input_iterator_tIbNSD_35transform_pair_of_input_iterators_tIbNS6_6detail15normal_iteratorINS6_10device_ptrIKyEEEESL_NS6_8equal_toIyEEEENSG_9not_fun_tINSD_8identityEEEEENSD_19counting_iterator_tIlEES8_S8_S8_S8_S8_S8_S8_S8_EEEEPS9_S9_NSD_9__find_if7functorIS9_EEEE10hipError_tPvRmT1_T2_T3_mT4_P12ihipStream_tbEUlT_E1_NS1_11comp_targetILNS1_3genE10ELNS1_11target_archE1201ELNS1_3gpuE5ELNS1_3repE0EEENS1_30default_config_static_selectorELNS0_4arch9wavefront6targetE1EEEvS14_.has_recursion, 0
	.set _ZN7rocprim17ROCPRIM_400000_NS6detail17trampoline_kernelINS0_14default_configENS1_22reduce_config_selectorIN6thrust23THRUST_200600_302600_NS5tupleIblNS6_9null_typeES8_S8_S8_S8_S8_S8_S8_EEEEZNS1_11reduce_implILb1ES3_NS6_12zip_iteratorINS7_INS6_11hip_rocprim26transform_input_iterator_tIbNSD_35transform_pair_of_input_iterators_tIbNS6_6detail15normal_iteratorINS6_10device_ptrIKyEEEESL_NS6_8equal_toIyEEEENSG_9not_fun_tINSD_8identityEEEEENSD_19counting_iterator_tIlEES8_S8_S8_S8_S8_S8_S8_S8_EEEEPS9_S9_NSD_9__find_if7functorIS9_EEEE10hipError_tPvRmT1_T2_T3_mT4_P12ihipStream_tbEUlT_E1_NS1_11comp_targetILNS1_3genE10ELNS1_11target_archE1201ELNS1_3gpuE5ELNS1_3repE0EEENS1_30default_config_static_selectorELNS0_4arch9wavefront6targetE1EEEvS14_.has_indirect_call, 0
	.section	.AMDGPU.csdata,"",@progbits
; Kernel info:
; codeLenInByte = 0
; TotalNumSgprs: 6
; NumVgprs: 0
; NumAgprs: 0
; TotalNumVgprs: 0
; ScratchSize: 0
; MemoryBound: 0
; FloatMode: 240
; IeeeMode: 1
; LDSByteSize: 0 bytes/workgroup (compile time only)
; SGPRBlocks: 0
; VGPRBlocks: 0
; NumSGPRsForWavesPerEU: 6
; NumVGPRsForWavesPerEU: 1
; AccumOffset: 4
; Occupancy: 8
; WaveLimiterHint : 0
; COMPUTE_PGM_RSRC2:SCRATCH_EN: 0
; COMPUTE_PGM_RSRC2:USER_SGPR: 2
; COMPUTE_PGM_RSRC2:TRAP_HANDLER: 0
; COMPUTE_PGM_RSRC2:TGID_X_EN: 1
; COMPUTE_PGM_RSRC2:TGID_Y_EN: 0
; COMPUTE_PGM_RSRC2:TGID_Z_EN: 0
; COMPUTE_PGM_RSRC2:TIDIG_COMP_CNT: 0
; COMPUTE_PGM_RSRC3_GFX90A:ACCUM_OFFSET: 0
; COMPUTE_PGM_RSRC3_GFX90A:TG_SPLIT: 0
	.section	.text._ZN7rocprim17ROCPRIM_400000_NS6detail17trampoline_kernelINS0_14default_configENS1_22reduce_config_selectorIN6thrust23THRUST_200600_302600_NS5tupleIblNS6_9null_typeES8_S8_S8_S8_S8_S8_S8_EEEEZNS1_11reduce_implILb1ES3_NS6_12zip_iteratorINS7_INS6_11hip_rocprim26transform_input_iterator_tIbNSD_35transform_pair_of_input_iterators_tIbNS6_6detail15normal_iteratorINS6_10device_ptrIKyEEEESL_NS6_8equal_toIyEEEENSG_9not_fun_tINSD_8identityEEEEENSD_19counting_iterator_tIlEES8_S8_S8_S8_S8_S8_S8_S8_EEEEPS9_S9_NSD_9__find_if7functorIS9_EEEE10hipError_tPvRmT1_T2_T3_mT4_P12ihipStream_tbEUlT_E1_NS1_11comp_targetILNS1_3genE10ELNS1_11target_archE1200ELNS1_3gpuE4ELNS1_3repE0EEENS1_30default_config_static_selectorELNS0_4arch9wavefront6targetE1EEEvS14_,"axG",@progbits,_ZN7rocprim17ROCPRIM_400000_NS6detail17trampoline_kernelINS0_14default_configENS1_22reduce_config_selectorIN6thrust23THRUST_200600_302600_NS5tupleIblNS6_9null_typeES8_S8_S8_S8_S8_S8_S8_EEEEZNS1_11reduce_implILb1ES3_NS6_12zip_iteratorINS7_INS6_11hip_rocprim26transform_input_iterator_tIbNSD_35transform_pair_of_input_iterators_tIbNS6_6detail15normal_iteratorINS6_10device_ptrIKyEEEESL_NS6_8equal_toIyEEEENSG_9not_fun_tINSD_8identityEEEEENSD_19counting_iterator_tIlEES8_S8_S8_S8_S8_S8_S8_S8_EEEEPS9_S9_NSD_9__find_if7functorIS9_EEEE10hipError_tPvRmT1_T2_T3_mT4_P12ihipStream_tbEUlT_E1_NS1_11comp_targetILNS1_3genE10ELNS1_11target_archE1200ELNS1_3gpuE4ELNS1_3repE0EEENS1_30default_config_static_selectorELNS0_4arch9wavefront6targetE1EEEvS14_,comdat
	.protected	_ZN7rocprim17ROCPRIM_400000_NS6detail17trampoline_kernelINS0_14default_configENS1_22reduce_config_selectorIN6thrust23THRUST_200600_302600_NS5tupleIblNS6_9null_typeES8_S8_S8_S8_S8_S8_S8_EEEEZNS1_11reduce_implILb1ES3_NS6_12zip_iteratorINS7_INS6_11hip_rocprim26transform_input_iterator_tIbNSD_35transform_pair_of_input_iterators_tIbNS6_6detail15normal_iteratorINS6_10device_ptrIKyEEEESL_NS6_8equal_toIyEEEENSG_9not_fun_tINSD_8identityEEEEENSD_19counting_iterator_tIlEES8_S8_S8_S8_S8_S8_S8_S8_EEEEPS9_S9_NSD_9__find_if7functorIS9_EEEE10hipError_tPvRmT1_T2_T3_mT4_P12ihipStream_tbEUlT_E1_NS1_11comp_targetILNS1_3genE10ELNS1_11target_archE1200ELNS1_3gpuE4ELNS1_3repE0EEENS1_30default_config_static_selectorELNS0_4arch9wavefront6targetE1EEEvS14_ ; -- Begin function _ZN7rocprim17ROCPRIM_400000_NS6detail17trampoline_kernelINS0_14default_configENS1_22reduce_config_selectorIN6thrust23THRUST_200600_302600_NS5tupleIblNS6_9null_typeES8_S8_S8_S8_S8_S8_S8_EEEEZNS1_11reduce_implILb1ES3_NS6_12zip_iteratorINS7_INS6_11hip_rocprim26transform_input_iterator_tIbNSD_35transform_pair_of_input_iterators_tIbNS6_6detail15normal_iteratorINS6_10device_ptrIKyEEEESL_NS6_8equal_toIyEEEENSG_9not_fun_tINSD_8identityEEEEENSD_19counting_iterator_tIlEES8_S8_S8_S8_S8_S8_S8_S8_EEEEPS9_S9_NSD_9__find_if7functorIS9_EEEE10hipError_tPvRmT1_T2_T3_mT4_P12ihipStream_tbEUlT_E1_NS1_11comp_targetILNS1_3genE10ELNS1_11target_archE1200ELNS1_3gpuE4ELNS1_3repE0EEENS1_30default_config_static_selectorELNS0_4arch9wavefront6targetE1EEEvS14_
	.globl	_ZN7rocprim17ROCPRIM_400000_NS6detail17trampoline_kernelINS0_14default_configENS1_22reduce_config_selectorIN6thrust23THRUST_200600_302600_NS5tupleIblNS6_9null_typeES8_S8_S8_S8_S8_S8_S8_EEEEZNS1_11reduce_implILb1ES3_NS6_12zip_iteratorINS7_INS6_11hip_rocprim26transform_input_iterator_tIbNSD_35transform_pair_of_input_iterators_tIbNS6_6detail15normal_iteratorINS6_10device_ptrIKyEEEESL_NS6_8equal_toIyEEEENSG_9not_fun_tINSD_8identityEEEEENSD_19counting_iterator_tIlEES8_S8_S8_S8_S8_S8_S8_S8_EEEEPS9_S9_NSD_9__find_if7functorIS9_EEEE10hipError_tPvRmT1_T2_T3_mT4_P12ihipStream_tbEUlT_E1_NS1_11comp_targetILNS1_3genE10ELNS1_11target_archE1200ELNS1_3gpuE4ELNS1_3repE0EEENS1_30default_config_static_selectorELNS0_4arch9wavefront6targetE1EEEvS14_
	.p2align	8
	.type	_ZN7rocprim17ROCPRIM_400000_NS6detail17trampoline_kernelINS0_14default_configENS1_22reduce_config_selectorIN6thrust23THRUST_200600_302600_NS5tupleIblNS6_9null_typeES8_S8_S8_S8_S8_S8_S8_EEEEZNS1_11reduce_implILb1ES3_NS6_12zip_iteratorINS7_INS6_11hip_rocprim26transform_input_iterator_tIbNSD_35transform_pair_of_input_iterators_tIbNS6_6detail15normal_iteratorINS6_10device_ptrIKyEEEESL_NS6_8equal_toIyEEEENSG_9not_fun_tINSD_8identityEEEEENSD_19counting_iterator_tIlEES8_S8_S8_S8_S8_S8_S8_S8_EEEEPS9_S9_NSD_9__find_if7functorIS9_EEEE10hipError_tPvRmT1_T2_T3_mT4_P12ihipStream_tbEUlT_E1_NS1_11comp_targetILNS1_3genE10ELNS1_11target_archE1200ELNS1_3gpuE4ELNS1_3repE0EEENS1_30default_config_static_selectorELNS0_4arch9wavefront6targetE1EEEvS14_,@function
_ZN7rocprim17ROCPRIM_400000_NS6detail17trampoline_kernelINS0_14default_configENS1_22reduce_config_selectorIN6thrust23THRUST_200600_302600_NS5tupleIblNS6_9null_typeES8_S8_S8_S8_S8_S8_S8_EEEEZNS1_11reduce_implILb1ES3_NS6_12zip_iteratorINS7_INS6_11hip_rocprim26transform_input_iterator_tIbNSD_35transform_pair_of_input_iterators_tIbNS6_6detail15normal_iteratorINS6_10device_ptrIKyEEEESL_NS6_8equal_toIyEEEENSG_9not_fun_tINSD_8identityEEEEENSD_19counting_iterator_tIlEES8_S8_S8_S8_S8_S8_S8_S8_EEEEPS9_S9_NSD_9__find_if7functorIS9_EEEE10hipError_tPvRmT1_T2_T3_mT4_P12ihipStream_tbEUlT_E1_NS1_11comp_targetILNS1_3genE10ELNS1_11target_archE1200ELNS1_3gpuE4ELNS1_3repE0EEENS1_30default_config_static_selectorELNS0_4arch9wavefront6targetE1EEEvS14_: ; @_ZN7rocprim17ROCPRIM_400000_NS6detail17trampoline_kernelINS0_14default_configENS1_22reduce_config_selectorIN6thrust23THRUST_200600_302600_NS5tupleIblNS6_9null_typeES8_S8_S8_S8_S8_S8_S8_EEEEZNS1_11reduce_implILb1ES3_NS6_12zip_iteratorINS7_INS6_11hip_rocprim26transform_input_iterator_tIbNSD_35transform_pair_of_input_iterators_tIbNS6_6detail15normal_iteratorINS6_10device_ptrIKyEEEESL_NS6_8equal_toIyEEEENSG_9not_fun_tINSD_8identityEEEEENSD_19counting_iterator_tIlEES8_S8_S8_S8_S8_S8_S8_S8_EEEEPS9_S9_NSD_9__find_if7functorIS9_EEEE10hipError_tPvRmT1_T2_T3_mT4_P12ihipStream_tbEUlT_E1_NS1_11comp_targetILNS1_3genE10ELNS1_11target_archE1200ELNS1_3gpuE4ELNS1_3repE0EEENS1_30default_config_static_selectorELNS0_4arch9wavefront6targetE1EEEvS14_
; %bb.0:
	.section	.rodata,"a",@progbits
	.p2align	6, 0x0
	.amdhsa_kernel _ZN7rocprim17ROCPRIM_400000_NS6detail17trampoline_kernelINS0_14default_configENS1_22reduce_config_selectorIN6thrust23THRUST_200600_302600_NS5tupleIblNS6_9null_typeES8_S8_S8_S8_S8_S8_S8_EEEEZNS1_11reduce_implILb1ES3_NS6_12zip_iteratorINS7_INS6_11hip_rocprim26transform_input_iterator_tIbNSD_35transform_pair_of_input_iterators_tIbNS6_6detail15normal_iteratorINS6_10device_ptrIKyEEEESL_NS6_8equal_toIyEEEENSG_9not_fun_tINSD_8identityEEEEENSD_19counting_iterator_tIlEES8_S8_S8_S8_S8_S8_S8_S8_EEEEPS9_S9_NSD_9__find_if7functorIS9_EEEE10hipError_tPvRmT1_T2_T3_mT4_P12ihipStream_tbEUlT_E1_NS1_11comp_targetILNS1_3genE10ELNS1_11target_archE1200ELNS1_3gpuE4ELNS1_3repE0EEENS1_30default_config_static_selectorELNS0_4arch9wavefront6targetE1EEEvS14_
		.amdhsa_group_segment_fixed_size 0
		.amdhsa_private_segment_fixed_size 0
		.amdhsa_kernarg_size 88
		.amdhsa_user_sgpr_count 2
		.amdhsa_user_sgpr_dispatch_ptr 0
		.amdhsa_user_sgpr_queue_ptr 0
		.amdhsa_user_sgpr_kernarg_segment_ptr 1
		.amdhsa_user_sgpr_dispatch_id 0
		.amdhsa_user_sgpr_kernarg_preload_length 0
		.amdhsa_user_sgpr_kernarg_preload_offset 0
		.amdhsa_user_sgpr_private_segment_size 0
		.amdhsa_uses_dynamic_stack 0
		.amdhsa_enable_private_segment 0
		.amdhsa_system_sgpr_workgroup_id_x 1
		.amdhsa_system_sgpr_workgroup_id_y 0
		.amdhsa_system_sgpr_workgroup_id_z 0
		.amdhsa_system_sgpr_workgroup_info 0
		.amdhsa_system_vgpr_workitem_id 0
		.amdhsa_next_free_vgpr 1
		.amdhsa_next_free_sgpr 0
		.amdhsa_accum_offset 4
		.amdhsa_reserve_vcc 0
		.amdhsa_float_round_mode_32 0
		.amdhsa_float_round_mode_16_64 0
		.amdhsa_float_denorm_mode_32 3
		.amdhsa_float_denorm_mode_16_64 3
		.amdhsa_dx10_clamp 1
		.amdhsa_ieee_mode 1
		.amdhsa_fp16_overflow 0
		.amdhsa_tg_split 0
		.amdhsa_exception_fp_ieee_invalid_op 0
		.amdhsa_exception_fp_denorm_src 0
		.amdhsa_exception_fp_ieee_div_zero 0
		.amdhsa_exception_fp_ieee_overflow 0
		.amdhsa_exception_fp_ieee_underflow 0
		.amdhsa_exception_fp_ieee_inexact 0
		.amdhsa_exception_int_div_zero 0
	.end_amdhsa_kernel
	.section	.text._ZN7rocprim17ROCPRIM_400000_NS6detail17trampoline_kernelINS0_14default_configENS1_22reduce_config_selectorIN6thrust23THRUST_200600_302600_NS5tupleIblNS6_9null_typeES8_S8_S8_S8_S8_S8_S8_EEEEZNS1_11reduce_implILb1ES3_NS6_12zip_iteratorINS7_INS6_11hip_rocprim26transform_input_iterator_tIbNSD_35transform_pair_of_input_iterators_tIbNS6_6detail15normal_iteratorINS6_10device_ptrIKyEEEESL_NS6_8equal_toIyEEEENSG_9not_fun_tINSD_8identityEEEEENSD_19counting_iterator_tIlEES8_S8_S8_S8_S8_S8_S8_S8_EEEEPS9_S9_NSD_9__find_if7functorIS9_EEEE10hipError_tPvRmT1_T2_T3_mT4_P12ihipStream_tbEUlT_E1_NS1_11comp_targetILNS1_3genE10ELNS1_11target_archE1200ELNS1_3gpuE4ELNS1_3repE0EEENS1_30default_config_static_selectorELNS0_4arch9wavefront6targetE1EEEvS14_,"axG",@progbits,_ZN7rocprim17ROCPRIM_400000_NS6detail17trampoline_kernelINS0_14default_configENS1_22reduce_config_selectorIN6thrust23THRUST_200600_302600_NS5tupleIblNS6_9null_typeES8_S8_S8_S8_S8_S8_S8_EEEEZNS1_11reduce_implILb1ES3_NS6_12zip_iteratorINS7_INS6_11hip_rocprim26transform_input_iterator_tIbNSD_35transform_pair_of_input_iterators_tIbNS6_6detail15normal_iteratorINS6_10device_ptrIKyEEEESL_NS6_8equal_toIyEEEENSG_9not_fun_tINSD_8identityEEEEENSD_19counting_iterator_tIlEES8_S8_S8_S8_S8_S8_S8_S8_EEEEPS9_S9_NSD_9__find_if7functorIS9_EEEE10hipError_tPvRmT1_T2_T3_mT4_P12ihipStream_tbEUlT_E1_NS1_11comp_targetILNS1_3genE10ELNS1_11target_archE1200ELNS1_3gpuE4ELNS1_3repE0EEENS1_30default_config_static_selectorELNS0_4arch9wavefront6targetE1EEEvS14_,comdat
.Lfunc_end597:
	.size	_ZN7rocprim17ROCPRIM_400000_NS6detail17trampoline_kernelINS0_14default_configENS1_22reduce_config_selectorIN6thrust23THRUST_200600_302600_NS5tupleIblNS6_9null_typeES8_S8_S8_S8_S8_S8_S8_EEEEZNS1_11reduce_implILb1ES3_NS6_12zip_iteratorINS7_INS6_11hip_rocprim26transform_input_iterator_tIbNSD_35transform_pair_of_input_iterators_tIbNS6_6detail15normal_iteratorINS6_10device_ptrIKyEEEESL_NS6_8equal_toIyEEEENSG_9not_fun_tINSD_8identityEEEEENSD_19counting_iterator_tIlEES8_S8_S8_S8_S8_S8_S8_S8_EEEEPS9_S9_NSD_9__find_if7functorIS9_EEEE10hipError_tPvRmT1_T2_T3_mT4_P12ihipStream_tbEUlT_E1_NS1_11comp_targetILNS1_3genE10ELNS1_11target_archE1200ELNS1_3gpuE4ELNS1_3repE0EEENS1_30default_config_static_selectorELNS0_4arch9wavefront6targetE1EEEvS14_, .Lfunc_end597-_ZN7rocprim17ROCPRIM_400000_NS6detail17trampoline_kernelINS0_14default_configENS1_22reduce_config_selectorIN6thrust23THRUST_200600_302600_NS5tupleIblNS6_9null_typeES8_S8_S8_S8_S8_S8_S8_EEEEZNS1_11reduce_implILb1ES3_NS6_12zip_iteratorINS7_INS6_11hip_rocprim26transform_input_iterator_tIbNSD_35transform_pair_of_input_iterators_tIbNS6_6detail15normal_iteratorINS6_10device_ptrIKyEEEESL_NS6_8equal_toIyEEEENSG_9not_fun_tINSD_8identityEEEEENSD_19counting_iterator_tIlEES8_S8_S8_S8_S8_S8_S8_S8_EEEEPS9_S9_NSD_9__find_if7functorIS9_EEEE10hipError_tPvRmT1_T2_T3_mT4_P12ihipStream_tbEUlT_E1_NS1_11comp_targetILNS1_3genE10ELNS1_11target_archE1200ELNS1_3gpuE4ELNS1_3repE0EEENS1_30default_config_static_selectorELNS0_4arch9wavefront6targetE1EEEvS14_
                                        ; -- End function
	.set _ZN7rocprim17ROCPRIM_400000_NS6detail17trampoline_kernelINS0_14default_configENS1_22reduce_config_selectorIN6thrust23THRUST_200600_302600_NS5tupleIblNS6_9null_typeES8_S8_S8_S8_S8_S8_S8_EEEEZNS1_11reduce_implILb1ES3_NS6_12zip_iteratorINS7_INS6_11hip_rocprim26transform_input_iterator_tIbNSD_35transform_pair_of_input_iterators_tIbNS6_6detail15normal_iteratorINS6_10device_ptrIKyEEEESL_NS6_8equal_toIyEEEENSG_9not_fun_tINSD_8identityEEEEENSD_19counting_iterator_tIlEES8_S8_S8_S8_S8_S8_S8_S8_EEEEPS9_S9_NSD_9__find_if7functorIS9_EEEE10hipError_tPvRmT1_T2_T3_mT4_P12ihipStream_tbEUlT_E1_NS1_11comp_targetILNS1_3genE10ELNS1_11target_archE1200ELNS1_3gpuE4ELNS1_3repE0EEENS1_30default_config_static_selectorELNS0_4arch9wavefront6targetE1EEEvS14_.num_vgpr, 0
	.set _ZN7rocprim17ROCPRIM_400000_NS6detail17trampoline_kernelINS0_14default_configENS1_22reduce_config_selectorIN6thrust23THRUST_200600_302600_NS5tupleIblNS6_9null_typeES8_S8_S8_S8_S8_S8_S8_EEEEZNS1_11reduce_implILb1ES3_NS6_12zip_iteratorINS7_INS6_11hip_rocprim26transform_input_iterator_tIbNSD_35transform_pair_of_input_iterators_tIbNS6_6detail15normal_iteratorINS6_10device_ptrIKyEEEESL_NS6_8equal_toIyEEEENSG_9not_fun_tINSD_8identityEEEEENSD_19counting_iterator_tIlEES8_S8_S8_S8_S8_S8_S8_S8_EEEEPS9_S9_NSD_9__find_if7functorIS9_EEEE10hipError_tPvRmT1_T2_T3_mT4_P12ihipStream_tbEUlT_E1_NS1_11comp_targetILNS1_3genE10ELNS1_11target_archE1200ELNS1_3gpuE4ELNS1_3repE0EEENS1_30default_config_static_selectorELNS0_4arch9wavefront6targetE1EEEvS14_.num_agpr, 0
	.set _ZN7rocprim17ROCPRIM_400000_NS6detail17trampoline_kernelINS0_14default_configENS1_22reduce_config_selectorIN6thrust23THRUST_200600_302600_NS5tupleIblNS6_9null_typeES8_S8_S8_S8_S8_S8_S8_EEEEZNS1_11reduce_implILb1ES3_NS6_12zip_iteratorINS7_INS6_11hip_rocprim26transform_input_iterator_tIbNSD_35transform_pair_of_input_iterators_tIbNS6_6detail15normal_iteratorINS6_10device_ptrIKyEEEESL_NS6_8equal_toIyEEEENSG_9not_fun_tINSD_8identityEEEEENSD_19counting_iterator_tIlEES8_S8_S8_S8_S8_S8_S8_S8_EEEEPS9_S9_NSD_9__find_if7functorIS9_EEEE10hipError_tPvRmT1_T2_T3_mT4_P12ihipStream_tbEUlT_E1_NS1_11comp_targetILNS1_3genE10ELNS1_11target_archE1200ELNS1_3gpuE4ELNS1_3repE0EEENS1_30default_config_static_selectorELNS0_4arch9wavefront6targetE1EEEvS14_.numbered_sgpr, 0
	.set _ZN7rocprim17ROCPRIM_400000_NS6detail17trampoline_kernelINS0_14default_configENS1_22reduce_config_selectorIN6thrust23THRUST_200600_302600_NS5tupleIblNS6_9null_typeES8_S8_S8_S8_S8_S8_S8_EEEEZNS1_11reduce_implILb1ES3_NS6_12zip_iteratorINS7_INS6_11hip_rocprim26transform_input_iterator_tIbNSD_35transform_pair_of_input_iterators_tIbNS6_6detail15normal_iteratorINS6_10device_ptrIKyEEEESL_NS6_8equal_toIyEEEENSG_9not_fun_tINSD_8identityEEEEENSD_19counting_iterator_tIlEES8_S8_S8_S8_S8_S8_S8_S8_EEEEPS9_S9_NSD_9__find_if7functorIS9_EEEE10hipError_tPvRmT1_T2_T3_mT4_P12ihipStream_tbEUlT_E1_NS1_11comp_targetILNS1_3genE10ELNS1_11target_archE1200ELNS1_3gpuE4ELNS1_3repE0EEENS1_30default_config_static_selectorELNS0_4arch9wavefront6targetE1EEEvS14_.num_named_barrier, 0
	.set _ZN7rocprim17ROCPRIM_400000_NS6detail17trampoline_kernelINS0_14default_configENS1_22reduce_config_selectorIN6thrust23THRUST_200600_302600_NS5tupleIblNS6_9null_typeES8_S8_S8_S8_S8_S8_S8_EEEEZNS1_11reduce_implILb1ES3_NS6_12zip_iteratorINS7_INS6_11hip_rocprim26transform_input_iterator_tIbNSD_35transform_pair_of_input_iterators_tIbNS6_6detail15normal_iteratorINS6_10device_ptrIKyEEEESL_NS6_8equal_toIyEEEENSG_9not_fun_tINSD_8identityEEEEENSD_19counting_iterator_tIlEES8_S8_S8_S8_S8_S8_S8_S8_EEEEPS9_S9_NSD_9__find_if7functorIS9_EEEE10hipError_tPvRmT1_T2_T3_mT4_P12ihipStream_tbEUlT_E1_NS1_11comp_targetILNS1_3genE10ELNS1_11target_archE1200ELNS1_3gpuE4ELNS1_3repE0EEENS1_30default_config_static_selectorELNS0_4arch9wavefront6targetE1EEEvS14_.private_seg_size, 0
	.set _ZN7rocprim17ROCPRIM_400000_NS6detail17trampoline_kernelINS0_14default_configENS1_22reduce_config_selectorIN6thrust23THRUST_200600_302600_NS5tupleIblNS6_9null_typeES8_S8_S8_S8_S8_S8_S8_EEEEZNS1_11reduce_implILb1ES3_NS6_12zip_iteratorINS7_INS6_11hip_rocprim26transform_input_iterator_tIbNSD_35transform_pair_of_input_iterators_tIbNS6_6detail15normal_iteratorINS6_10device_ptrIKyEEEESL_NS6_8equal_toIyEEEENSG_9not_fun_tINSD_8identityEEEEENSD_19counting_iterator_tIlEES8_S8_S8_S8_S8_S8_S8_S8_EEEEPS9_S9_NSD_9__find_if7functorIS9_EEEE10hipError_tPvRmT1_T2_T3_mT4_P12ihipStream_tbEUlT_E1_NS1_11comp_targetILNS1_3genE10ELNS1_11target_archE1200ELNS1_3gpuE4ELNS1_3repE0EEENS1_30default_config_static_selectorELNS0_4arch9wavefront6targetE1EEEvS14_.uses_vcc, 0
	.set _ZN7rocprim17ROCPRIM_400000_NS6detail17trampoline_kernelINS0_14default_configENS1_22reduce_config_selectorIN6thrust23THRUST_200600_302600_NS5tupleIblNS6_9null_typeES8_S8_S8_S8_S8_S8_S8_EEEEZNS1_11reduce_implILb1ES3_NS6_12zip_iteratorINS7_INS6_11hip_rocprim26transform_input_iterator_tIbNSD_35transform_pair_of_input_iterators_tIbNS6_6detail15normal_iteratorINS6_10device_ptrIKyEEEESL_NS6_8equal_toIyEEEENSG_9not_fun_tINSD_8identityEEEEENSD_19counting_iterator_tIlEES8_S8_S8_S8_S8_S8_S8_S8_EEEEPS9_S9_NSD_9__find_if7functorIS9_EEEE10hipError_tPvRmT1_T2_T3_mT4_P12ihipStream_tbEUlT_E1_NS1_11comp_targetILNS1_3genE10ELNS1_11target_archE1200ELNS1_3gpuE4ELNS1_3repE0EEENS1_30default_config_static_selectorELNS0_4arch9wavefront6targetE1EEEvS14_.uses_flat_scratch, 0
	.set _ZN7rocprim17ROCPRIM_400000_NS6detail17trampoline_kernelINS0_14default_configENS1_22reduce_config_selectorIN6thrust23THRUST_200600_302600_NS5tupleIblNS6_9null_typeES8_S8_S8_S8_S8_S8_S8_EEEEZNS1_11reduce_implILb1ES3_NS6_12zip_iteratorINS7_INS6_11hip_rocprim26transform_input_iterator_tIbNSD_35transform_pair_of_input_iterators_tIbNS6_6detail15normal_iteratorINS6_10device_ptrIKyEEEESL_NS6_8equal_toIyEEEENSG_9not_fun_tINSD_8identityEEEEENSD_19counting_iterator_tIlEES8_S8_S8_S8_S8_S8_S8_S8_EEEEPS9_S9_NSD_9__find_if7functorIS9_EEEE10hipError_tPvRmT1_T2_T3_mT4_P12ihipStream_tbEUlT_E1_NS1_11comp_targetILNS1_3genE10ELNS1_11target_archE1200ELNS1_3gpuE4ELNS1_3repE0EEENS1_30default_config_static_selectorELNS0_4arch9wavefront6targetE1EEEvS14_.has_dyn_sized_stack, 0
	.set _ZN7rocprim17ROCPRIM_400000_NS6detail17trampoline_kernelINS0_14default_configENS1_22reduce_config_selectorIN6thrust23THRUST_200600_302600_NS5tupleIblNS6_9null_typeES8_S8_S8_S8_S8_S8_S8_EEEEZNS1_11reduce_implILb1ES3_NS6_12zip_iteratorINS7_INS6_11hip_rocprim26transform_input_iterator_tIbNSD_35transform_pair_of_input_iterators_tIbNS6_6detail15normal_iteratorINS6_10device_ptrIKyEEEESL_NS6_8equal_toIyEEEENSG_9not_fun_tINSD_8identityEEEEENSD_19counting_iterator_tIlEES8_S8_S8_S8_S8_S8_S8_S8_EEEEPS9_S9_NSD_9__find_if7functorIS9_EEEE10hipError_tPvRmT1_T2_T3_mT4_P12ihipStream_tbEUlT_E1_NS1_11comp_targetILNS1_3genE10ELNS1_11target_archE1200ELNS1_3gpuE4ELNS1_3repE0EEENS1_30default_config_static_selectorELNS0_4arch9wavefront6targetE1EEEvS14_.has_recursion, 0
	.set _ZN7rocprim17ROCPRIM_400000_NS6detail17trampoline_kernelINS0_14default_configENS1_22reduce_config_selectorIN6thrust23THRUST_200600_302600_NS5tupleIblNS6_9null_typeES8_S8_S8_S8_S8_S8_S8_EEEEZNS1_11reduce_implILb1ES3_NS6_12zip_iteratorINS7_INS6_11hip_rocprim26transform_input_iterator_tIbNSD_35transform_pair_of_input_iterators_tIbNS6_6detail15normal_iteratorINS6_10device_ptrIKyEEEESL_NS6_8equal_toIyEEEENSG_9not_fun_tINSD_8identityEEEEENSD_19counting_iterator_tIlEES8_S8_S8_S8_S8_S8_S8_S8_EEEEPS9_S9_NSD_9__find_if7functorIS9_EEEE10hipError_tPvRmT1_T2_T3_mT4_P12ihipStream_tbEUlT_E1_NS1_11comp_targetILNS1_3genE10ELNS1_11target_archE1200ELNS1_3gpuE4ELNS1_3repE0EEENS1_30default_config_static_selectorELNS0_4arch9wavefront6targetE1EEEvS14_.has_indirect_call, 0
	.section	.AMDGPU.csdata,"",@progbits
; Kernel info:
; codeLenInByte = 0
; TotalNumSgprs: 6
; NumVgprs: 0
; NumAgprs: 0
; TotalNumVgprs: 0
; ScratchSize: 0
; MemoryBound: 0
; FloatMode: 240
; IeeeMode: 1
; LDSByteSize: 0 bytes/workgroup (compile time only)
; SGPRBlocks: 0
; VGPRBlocks: 0
; NumSGPRsForWavesPerEU: 6
; NumVGPRsForWavesPerEU: 1
; AccumOffset: 4
; Occupancy: 8
; WaveLimiterHint : 0
; COMPUTE_PGM_RSRC2:SCRATCH_EN: 0
; COMPUTE_PGM_RSRC2:USER_SGPR: 2
; COMPUTE_PGM_RSRC2:TRAP_HANDLER: 0
; COMPUTE_PGM_RSRC2:TGID_X_EN: 1
; COMPUTE_PGM_RSRC2:TGID_Y_EN: 0
; COMPUTE_PGM_RSRC2:TGID_Z_EN: 0
; COMPUTE_PGM_RSRC2:TIDIG_COMP_CNT: 0
; COMPUTE_PGM_RSRC3_GFX90A:ACCUM_OFFSET: 0
; COMPUTE_PGM_RSRC3_GFX90A:TG_SPLIT: 0
	.section	.text._ZN7rocprim17ROCPRIM_400000_NS6detail17trampoline_kernelINS0_14default_configENS1_22reduce_config_selectorIN6thrust23THRUST_200600_302600_NS5tupleIblNS6_9null_typeES8_S8_S8_S8_S8_S8_S8_EEEEZNS1_11reduce_implILb1ES3_NS6_12zip_iteratorINS7_INS6_11hip_rocprim26transform_input_iterator_tIbNSD_35transform_pair_of_input_iterators_tIbNS6_6detail15normal_iteratorINS6_10device_ptrIKyEEEESL_NS6_8equal_toIyEEEENSG_9not_fun_tINSD_8identityEEEEENSD_19counting_iterator_tIlEES8_S8_S8_S8_S8_S8_S8_S8_EEEEPS9_S9_NSD_9__find_if7functorIS9_EEEE10hipError_tPvRmT1_T2_T3_mT4_P12ihipStream_tbEUlT_E1_NS1_11comp_targetILNS1_3genE9ELNS1_11target_archE1100ELNS1_3gpuE3ELNS1_3repE0EEENS1_30default_config_static_selectorELNS0_4arch9wavefront6targetE1EEEvS14_,"axG",@progbits,_ZN7rocprim17ROCPRIM_400000_NS6detail17trampoline_kernelINS0_14default_configENS1_22reduce_config_selectorIN6thrust23THRUST_200600_302600_NS5tupleIblNS6_9null_typeES8_S8_S8_S8_S8_S8_S8_EEEEZNS1_11reduce_implILb1ES3_NS6_12zip_iteratorINS7_INS6_11hip_rocprim26transform_input_iterator_tIbNSD_35transform_pair_of_input_iterators_tIbNS6_6detail15normal_iteratorINS6_10device_ptrIKyEEEESL_NS6_8equal_toIyEEEENSG_9not_fun_tINSD_8identityEEEEENSD_19counting_iterator_tIlEES8_S8_S8_S8_S8_S8_S8_S8_EEEEPS9_S9_NSD_9__find_if7functorIS9_EEEE10hipError_tPvRmT1_T2_T3_mT4_P12ihipStream_tbEUlT_E1_NS1_11comp_targetILNS1_3genE9ELNS1_11target_archE1100ELNS1_3gpuE3ELNS1_3repE0EEENS1_30default_config_static_selectorELNS0_4arch9wavefront6targetE1EEEvS14_,comdat
	.protected	_ZN7rocprim17ROCPRIM_400000_NS6detail17trampoline_kernelINS0_14default_configENS1_22reduce_config_selectorIN6thrust23THRUST_200600_302600_NS5tupleIblNS6_9null_typeES8_S8_S8_S8_S8_S8_S8_EEEEZNS1_11reduce_implILb1ES3_NS6_12zip_iteratorINS7_INS6_11hip_rocprim26transform_input_iterator_tIbNSD_35transform_pair_of_input_iterators_tIbNS6_6detail15normal_iteratorINS6_10device_ptrIKyEEEESL_NS6_8equal_toIyEEEENSG_9not_fun_tINSD_8identityEEEEENSD_19counting_iterator_tIlEES8_S8_S8_S8_S8_S8_S8_S8_EEEEPS9_S9_NSD_9__find_if7functorIS9_EEEE10hipError_tPvRmT1_T2_T3_mT4_P12ihipStream_tbEUlT_E1_NS1_11comp_targetILNS1_3genE9ELNS1_11target_archE1100ELNS1_3gpuE3ELNS1_3repE0EEENS1_30default_config_static_selectorELNS0_4arch9wavefront6targetE1EEEvS14_ ; -- Begin function _ZN7rocprim17ROCPRIM_400000_NS6detail17trampoline_kernelINS0_14default_configENS1_22reduce_config_selectorIN6thrust23THRUST_200600_302600_NS5tupleIblNS6_9null_typeES8_S8_S8_S8_S8_S8_S8_EEEEZNS1_11reduce_implILb1ES3_NS6_12zip_iteratorINS7_INS6_11hip_rocprim26transform_input_iterator_tIbNSD_35transform_pair_of_input_iterators_tIbNS6_6detail15normal_iteratorINS6_10device_ptrIKyEEEESL_NS6_8equal_toIyEEEENSG_9not_fun_tINSD_8identityEEEEENSD_19counting_iterator_tIlEES8_S8_S8_S8_S8_S8_S8_S8_EEEEPS9_S9_NSD_9__find_if7functorIS9_EEEE10hipError_tPvRmT1_T2_T3_mT4_P12ihipStream_tbEUlT_E1_NS1_11comp_targetILNS1_3genE9ELNS1_11target_archE1100ELNS1_3gpuE3ELNS1_3repE0EEENS1_30default_config_static_selectorELNS0_4arch9wavefront6targetE1EEEvS14_
	.globl	_ZN7rocprim17ROCPRIM_400000_NS6detail17trampoline_kernelINS0_14default_configENS1_22reduce_config_selectorIN6thrust23THRUST_200600_302600_NS5tupleIblNS6_9null_typeES8_S8_S8_S8_S8_S8_S8_EEEEZNS1_11reduce_implILb1ES3_NS6_12zip_iteratorINS7_INS6_11hip_rocprim26transform_input_iterator_tIbNSD_35transform_pair_of_input_iterators_tIbNS6_6detail15normal_iteratorINS6_10device_ptrIKyEEEESL_NS6_8equal_toIyEEEENSG_9not_fun_tINSD_8identityEEEEENSD_19counting_iterator_tIlEES8_S8_S8_S8_S8_S8_S8_S8_EEEEPS9_S9_NSD_9__find_if7functorIS9_EEEE10hipError_tPvRmT1_T2_T3_mT4_P12ihipStream_tbEUlT_E1_NS1_11comp_targetILNS1_3genE9ELNS1_11target_archE1100ELNS1_3gpuE3ELNS1_3repE0EEENS1_30default_config_static_selectorELNS0_4arch9wavefront6targetE1EEEvS14_
	.p2align	8
	.type	_ZN7rocprim17ROCPRIM_400000_NS6detail17trampoline_kernelINS0_14default_configENS1_22reduce_config_selectorIN6thrust23THRUST_200600_302600_NS5tupleIblNS6_9null_typeES8_S8_S8_S8_S8_S8_S8_EEEEZNS1_11reduce_implILb1ES3_NS6_12zip_iteratorINS7_INS6_11hip_rocprim26transform_input_iterator_tIbNSD_35transform_pair_of_input_iterators_tIbNS6_6detail15normal_iteratorINS6_10device_ptrIKyEEEESL_NS6_8equal_toIyEEEENSG_9not_fun_tINSD_8identityEEEEENSD_19counting_iterator_tIlEES8_S8_S8_S8_S8_S8_S8_S8_EEEEPS9_S9_NSD_9__find_if7functorIS9_EEEE10hipError_tPvRmT1_T2_T3_mT4_P12ihipStream_tbEUlT_E1_NS1_11comp_targetILNS1_3genE9ELNS1_11target_archE1100ELNS1_3gpuE3ELNS1_3repE0EEENS1_30default_config_static_selectorELNS0_4arch9wavefront6targetE1EEEvS14_,@function
_ZN7rocprim17ROCPRIM_400000_NS6detail17trampoline_kernelINS0_14default_configENS1_22reduce_config_selectorIN6thrust23THRUST_200600_302600_NS5tupleIblNS6_9null_typeES8_S8_S8_S8_S8_S8_S8_EEEEZNS1_11reduce_implILb1ES3_NS6_12zip_iteratorINS7_INS6_11hip_rocprim26transform_input_iterator_tIbNSD_35transform_pair_of_input_iterators_tIbNS6_6detail15normal_iteratorINS6_10device_ptrIKyEEEESL_NS6_8equal_toIyEEEENSG_9not_fun_tINSD_8identityEEEEENSD_19counting_iterator_tIlEES8_S8_S8_S8_S8_S8_S8_S8_EEEEPS9_S9_NSD_9__find_if7functorIS9_EEEE10hipError_tPvRmT1_T2_T3_mT4_P12ihipStream_tbEUlT_E1_NS1_11comp_targetILNS1_3genE9ELNS1_11target_archE1100ELNS1_3gpuE3ELNS1_3repE0EEENS1_30default_config_static_selectorELNS0_4arch9wavefront6targetE1EEEvS14_: ; @_ZN7rocprim17ROCPRIM_400000_NS6detail17trampoline_kernelINS0_14default_configENS1_22reduce_config_selectorIN6thrust23THRUST_200600_302600_NS5tupleIblNS6_9null_typeES8_S8_S8_S8_S8_S8_S8_EEEEZNS1_11reduce_implILb1ES3_NS6_12zip_iteratorINS7_INS6_11hip_rocprim26transform_input_iterator_tIbNSD_35transform_pair_of_input_iterators_tIbNS6_6detail15normal_iteratorINS6_10device_ptrIKyEEEESL_NS6_8equal_toIyEEEENSG_9not_fun_tINSD_8identityEEEEENSD_19counting_iterator_tIlEES8_S8_S8_S8_S8_S8_S8_S8_EEEEPS9_S9_NSD_9__find_if7functorIS9_EEEE10hipError_tPvRmT1_T2_T3_mT4_P12ihipStream_tbEUlT_E1_NS1_11comp_targetILNS1_3genE9ELNS1_11target_archE1100ELNS1_3gpuE3ELNS1_3repE0EEENS1_30default_config_static_selectorELNS0_4arch9wavefront6targetE1EEEvS14_
; %bb.0:
	.section	.rodata,"a",@progbits
	.p2align	6, 0x0
	.amdhsa_kernel _ZN7rocprim17ROCPRIM_400000_NS6detail17trampoline_kernelINS0_14default_configENS1_22reduce_config_selectorIN6thrust23THRUST_200600_302600_NS5tupleIblNS6_9null_typeES8_S8_S8_S8_S8_S8_S8_EEEEZNS1_11reduce_implILb1ES3_NS6_12zip_iteratorINS7_INS6_11hip_rocprim26transform_input_iterator_tIbNSD_35transform_pair_of_input_iterators_tIbNS6_6detail15normal_iteratorINS6_10device_ptrIKyEEEESL_NS6_8equal_toIyEEEENSG_9not_fun_tINSD_8identityEEEEENSD_19counting_iterator_tIlEES8_S8_S8_S8_S8_S8_S8_S8_EEEEPS9_S9_NSD_9__find_if7functorIS9_EEEE10hipError_tPvRmT1_T2_T3_mT4_P12ihipStream_tbEUlT_E1_NS1_11comp_targetILNS1_3genE9ELNS1_11target_archE1100ELNS1_3gpuE3ELNS1_3repE0EEENS1_30default_config_static_selectorELNS0_4arch9wavefront6targetE1EEEvS14_
		.amdhsa_group_segment_fixed_size 0
		.amdhsa_private_segment_fixed_size 0
		.amdhsa_kernarg_size 88
		.amdhsa_user_sgpr_count 2
		.amdhsa_user_sgpr_dispatch_ptr 0
		.amdhsa_user_sgpr_queue_ptr 0
		.amdhsa_user_sgpr_kernarg_segment_ptr 1
		.amdhsa_user_sgpr_dispatch_id 0
		.amdhsa_user_sgpr_kernarg_preload_length 0
		.amdhsa_user_sgpr_kernarg_preload_offset 0
		.amdhsa_user_sgpr_private_segment_size 0
		.amdhsa_uses_dynamic_stack 0
		.amdhsa_enable_private_segment 0
		.amdhsa_system_sgpr_workgroup_id_x 1
		.amdhsa_system_sgpr_workgroup_id_y 0
		.amdhsa_system_sgpr_workgroup_id_z 0
		.amdhsa_system_sgpr_workgroup_info 0
		.amdhsa_system_vgpr_workitem_id 0
		.amdhsa_next_free_vgpr 1
		.amdhsa_next_free_sgpr 0
		.amdhsa_accum_offset 4
		.amdhsa_reserve_vcc 0
		.amdhsa_float_round_mode_32 0
		.amdhsa_float_round_mode_16_64 0
		.amdhsa_float_denorm_mode_32 3
		.amdhsa_float_denorm_mode_16_64 3
		.amdhsa_dx10_clamp 1
		.amdhsa_ieee_mode 1
		.amdhsa_fp16_overflow 0
		.amdhsa_tg_split 0
		.amdhsa_exception_fp_ieee_invalid_op 0
		.amdhsa_exception_fp_denorm_src 0
		.amdhsa_exception_fp_ieee_div_zero 0
		.amdhsa_exception_fp_ieee_overflow 0
		.amdhsa_exception_fp_ieee_underflow 0
		.amdhsa_exception_fp_ieee_inexact 0
		.amdhsa_exception_int_div_zero 0
	.end_amdhsa_kernel
	.section	.text._ZN7rocprim17ROCPRIM_400000_NS6detail17trampoline_kernelINS0_14default_configENS1_22reduce_config_selectorIN6thrust23THRUST_200600_302600_NS5tupleIblNS6_9null_typeES8_S8_S8_S8_S8_S8_S8_EEEEZNS1_11reduce_implILb1ES3_NS6_12zip_iteratorINS7_INS6_11hip_rocprim26transform_input_iterator_tIbNSD_35transform_pair_of_input_iterators_tIbNS6_6detail15normal_iteratorINS6_10device_ptrIKyEEEESL_NS6_8equal_toIyEEEENSG_9not_fun_tINSD_8identityEEEEENSD_19counting_iterator_tIlEES8_S8_S8_S8_S8_S8_S8_S8_EEEEPS9_S9_NSD_9__find_if7functorIS9_EEEE10hipError_tPvRmT1_T2_T3_mT4_P12ihipStream_tbEUlT_E1_NS1_11comp_targetILNS1_3genE9ELNS1_11target_archE1100ELNS1_3gpuE3ELNS1_3repE0EEENS1_30default_config_static_selectorELNS0_4arch9wavefront6targetE1EEEvS14_,"axG",@progbits,_ZN7rocprim17ROCPRIM_400000_NS6detail17trampoline_kernelINS0_14default_configENS1_22reduce_config_selectorIN6thrust23THRUST_200600_302600_NS5tupleIblNS6_9null_typeES8_S8_S8_S8_S8_S8_S8_EEEEZNS1_11reduce_implILb1ES3_NS6_12zip_iteratorINS7_INS6_11hip_rocprim26transform_input_iterator_tIbNSD_35transform_pair_of_input_iterators_tIbNS6_6detail15normal_iteratorINS6_10device_ptrIKyEEEESL_NS6_8equal_toIyEEEENSG_9not_fun_tINSD_8identityEEEEENSD_19counting_iterator_tIlEES8_S8_S8_S8_S8_S8_S8_S8_EEEEPS9_S9_NSD_9__find_if7functorIS9_EEEE10hipError_tPvRmT1_T2_T3_mT4_P12ihipStream_tbEUlT_E1_NS1_11comp_targetILNS1_3genE9ELNS1_11target_archE1100ELNS1_3gpuE3ELNS1_3repE0EEENS1_30default_config_static_selectorELNS0_4arch9wavefront6targetE1EEEvS14_,comdat
.Lfunc_end598:
	.size	_ZN7rocprim17ROCPRIM_400000_NS6detail17trampoline_kernelINS0_14default_configENS1_22reduce_config_selectorIN6thrust23THRUST_200600_302600_NS5tupleIblNS6_9null_typeES8_S8_S8_S8_S8_S8_S8_EEEEZNS1_11reduce_implILb1ES3_NS6_12zip_iteratorINS7_INS6_11hip_rocprim26transform_input_iterator_tIbNSD_35transform_pair_of_input_iterators_tIbNS6_6detail15normal_iteratorINS6_10device_ptrIKyEEEESL_NS6_8equal_toIyEEEENSG_9not_fun_tINSD_8identityEEEEENSD_19counting_iterator_tIlEES8_S8_S8_S8_S8_S8_S8_S8_EEEEPS9_S9_NSD_9__find_if7functorIS9_EEEE10hipError_tPvRmT1_T2_T3_mT4_P12ihipStream_tbEUlT_E1_NS1_11comp_targetILNS1_3genE9ELNS1_11target_archE1100ELNS1_3gpuE3ELNS1_3repE0EEENS1_30default_config_static_selectorELNS0_4arch9wavefront6targetE1EEEvS14_, .Lfunc_end598-_ZN7rocprim17ROCPRIM_400000_NS6detail17trampoline_kernelINS0_14default_configENS1_22reduce_config_selectorIN6thrust23THRUST_200600_302600_NS5tupleIblNS6_9null_typeES8_S8_S8_S8_S8_S8_S8_EEEEZNS1_11reduce_implILb1ES3_NS6_12zip_iteratorINS7_INS6_11hip_rocprim26transform_input_iterator_tIbNSD_35transform_pair_of_input_iterators_tIbNS6_6detail15normal_iteratorINS6_10device_ptrIKyEEEESL_NS6_8equal_toIyEEEENSG_9not_fun_tINSD_8identityEEEEENSD_19counting_iterator_tIlEES8_S8_S8_S8_S8_S8_S8_S8_EEEEPS9_S9_NSD_9__find_if7functorIS9_EEEE10hipError_tPvRmT1_T2_T3_mT4_P12ihipStream_tbEUlT_E1_NS1_11comp_targetILNS1_3genE9ELNS1_11target_archE1100ELNS1_3gpuE3ELNS1_3repE0EEENS1_30default_config_static_selectorELNS0_4arch9wavefront6targetE1EEEvS14_
                                        ; -- End function
	.set _ZN7rocprim17ROCPRIM_400000_NS6detail17trampoline_kernelINS0_14default_configENS1_22reduce_config_selectorIN6thrust23THRUST_200600_302600_NS5tupleIblNS6_9null_typeES8_S8_S8_S8_S8_S8_S8_EEEEZNS1_11reduce_implILb1ES3_NS6_12zip_iteratorINS7_INS6_11hip_rocprim26transform_input_iterator_tIbNSD_35transform_pair_of_input_iterators_tIbNS6_6detail15normal_iteratorINS6_10device_ptrIKyEEEESL_NS6_8equal_toIyEEEENSG_9not_fun_tINSD_8identityEEEEENSD_19counting_iterator_tIlEES8_S8_S8_S8_S8_S8_S8_S8_EEEEPS9_S9_NSD_9__find_if7functorIS9_EEEE10hipError_tPvRmT1_T2_T3_mT4_P12ihipStream_tbEUlT_E1_NS1_11comp_targetILNS1_3genE9ELNS1_11target_archE1100ELNS1_3gpuE3ELNS1_3repE0EEENS1_30default_config_static_selectorELNS0_4arch9wavefront6targetE1EEEvS14_.num_vgpr, 0
	.set _ZN7rocprim17ROCPRIM_400000_NS6detail17trampoline_kernelINS0_14default_configENS1_22reduce_config_selectorIN6thrust23THRUST_200600_302600_NS5tupleIblNS6_9null_typeES8_S8_S8_S8_S8_S8_S8_EEEEZNS1_11reduce_implILb1ES3_NS6_12zip_iteratorINS7_INS6_11hip_rocprim26transform_input_iterator_tIbNSD_35transform_pair_of_input_iterators_tIbNS6_6detail15normal_iteratorINS6_10device_ptrIKyEEEESL_NS6_8equal_toIyEEEENSG_9not_fun_tINSD_8identityEEEEENSD_19counting_iterator_tIlEES8_S8_S8_S8_S8_S8_S8_S8_EEEEPS9_S9_NSD_9__find_if7functorIS9_EEEE10hipError_tPvRmT1_T2_T3_mT4_P12ihipStream_tbEUlT_E1_NS1_11comp_targetILNS1_3genE9ELNS1_11target_archE1100ELNS1_3gpuE3ELNS1_3repE0EEENS1_30default_config_static_selectorELNS0_4arch9wavefront6targetE1EEEvS14_.num_agpr, 0
	.set _ZN7rocprim17ROCPRIM_400000_NS6detail17trampoline_kernelINS0_14default_configENS1_22reduce_config_selectorIN6thrust23THRUST_200600_302600_NS5tupleIblNS6_9null_typeES8_S8_S8_S8_S8_S8_S8_EEEEZNS1_11reduce_implILb1ES3_NS6_12zip_iteratorINS7_INS6_11hip_rocprim26transform_input_iterator_tIbNSD_35transform_pair_of_input_iterators_tIbNS6_6detail15normal_iteratorINS6_10device_ptrIKyEEEESL_NS6_8equal_toIyEEEENSG_9not_fun_tINSD_8identityEEEEENSD_19counting_iterator_tIlEES8_S8_S8_S8_S8_S8_S8_S8_EEEEPS9_S9_NSD_9__find_if7functorIS9_EEEE10hipError_tPvRmT1_T2_T3_mT4_P12ihipStream_tbEUlT_E1_NS1_11comp_targetILNS1_3genE9ELNS1_11target_archE1100ELNS1_3gpuE3ELNS1_3repE0EEENS1_30default_config_static_selectorELNS0_4arch9wavefront6targetE1EEEvS14_.numbered_sgpr, 0
	.set _ZN7rocprim17ROCPRIM_400000_NS6detail17trampoline_kernelINS0_14default_configENS1_22reduce_config_selectorIN6thrust23THRUST_200600_302600_NS5tupleIblNS6_9null_typeES8_S8_S8_S8_S8_S8_S8_EEEEZNS1_11reduce_implILb1ES3_NS6_12zip_iteratorINS7_INS6_11hip_rocprim26transform_input_iterator_tIbNSD_35transform_pair_of_input_iterators_tIbNS6_6detail15normal_iteratorINS6_10device_ptrIKyEEEESL_NS6_8equal_toIyEEEENSG_9not_fun_tINSD_8identityEEEEENSD_19counting_iterator_tIlEES8_S8_S8_S8_S8_S8_S8_S8_EEEEPS9_S9_NSD_9__find_if7functorIS9_EEEE10hipError_tPvRmT1_T2_T3_mT4_P12ihipStream_tbEUlT_E1_NS1_11comp_targetILNS1_3genE9ELNS1_11target_archE1100ELNS1_3gpuE3ELNS1_3repE0EEENS1_30default_config_static_selectorELNS0_4arch9wavefront6targetE1EEEvS14_.num_named_barrier, 0
	.set _ZN7rocprim17ROCPRIM_400000_NS6detail17trampoline_kernelINS0_14default_configENS1_22reduce_config_selectorIN6thrust23THRUST_200600_302600_NS5tupleIblNS6_9null_typeES8_S8_S8_S8_S8_S8_S8_EEEEZNS1_11reduce_implILb1ES3_NS6_12zip_iteratorINS7_INS6_11hip_rocprim26transform_input_iterator_tIbNSD_35transform_pair_of_input_iterators_tIbNS6_6detail15normal_iteratorINS6_10device_ptrIKyEEEESL_NS6_8equal_toIyEEEENSG_9not_fun_tINSD_8identityEEEEENSD_19counting_iterator_tIlEES8_S8_S8_S8_S8_S8_S8_S8_EEEEPS9_S9_NSD_9__find_if7functorIS9_EEEE10hipError_tPvRmT1_T2_T3_mT4_P12ihipStream_tbEUlT_E1_NS1_11comp_targetILNS1_3genE9ELNS1_11target_archE1100ELNS1_3gpuE3ELNS1_3repE0EEENS1_30default_config_static_selectorELNS0_4arch9wavefront6targetE1EEEvS14_.private_seg_size, 0
	.set _ZN7rocprim17ROCPRIM_400000_NS6detail17trampoline_kernelINS0_14default_configENS1_22reduce_config_selectorIN6thrust23THRUST_200600_302600_NS5tupleIblNS6_9null_typeES8_S8_S8_S8_S8_S8_S8_EEEEZNS1_11reduce_implILb1ES3_NS6_12zip_iteratorINS7_INS6_11hip_rocprim26transform_input_iterator_tIbNSD_35transform_pair_of_input_iterators_tIbNS6_6detail15normal_iteratorINS6_10device_ptrIKyEEEESL_NS6_8equal_toIyEEEENSG_9not_fun_tINSD_8identityEEEEENSD_19counting_iterator_tIlEES8_S8_S8_S8_S8_S8_S8_S8_EEEEPS9_S9_NSD_9__find_if7functorIS9_EEEE10hipError_tPvRmT1_T2_T3_mT4_P12ihipStream_tbEUlT_E1_NS1_11comp_targetILNS1_3genE9ELNS1_11target_archE1100ELNS1_3gpuE3ELNS1_3repE0EEENS1_30default_config_static_selectorELNS0_4arch9wavefront6targetE1EEEvS14_.uses_vcc, 0
	.set _ZN7rocprim17ROCPRIM_400000_NS6detail17trampoline_kernelINS0_14default_configENS1_22reduce_config_selectorIN6thrust23THRUST_200600_302600_NS5tupleIblNS6_9null_typeES8_S8_S8_S8_S8_S8_S8_EEEEZNS1_11reduce_implILb1ES3_NS6_12zip_iteratorINS7_INS6_11hip_rocprim26transform_input_iterator_tIbNSD_35transform_pair_of_input_iterators_tIbNS6_6detail15normal_iteratorINS6_10device_ptrIKyEEEESL_NS6_8equal_toIyEEEENSG_9not_fun_tINSD_8identityEEEEENSD_19counting_iterator_tIlEES8_S8_S8_S8_S8_S8_S8_S8_EEEEPS9_S9_NSD_9__find_if7functorIS9_EEEE10hipError_tPvRmT1_T2_T3_mT4_P12ihipStream_tbEUlT_E1_NS1_11comp_targetILNS1_3genE9ELNS1_11target_archE1100ELNS1_3gpuE3ELNS1_3repE0EEENS1_30default_config_static_selectorELNS0_4arch9wavefront6targetE1EEEvS14_.uses_flat_scratch, 0
	.set _ZN7rocprim17ROCPRIM_400000_NS6detail17trampoline_kernelINS0_14default_configENS1_22reduce_config_selectorIN6thrust23THRUST_200600_302600_NS5tupleIblNS6_9null_typeES8_S8_S8_S8_S8_S8_S8_EEEEZNS1_11reduce_implILb1ES3_NS6_12zip_iteratorINS7_INS6_11hip_rocprim26transform_input_iterator_tIbNSD_35transform_pair_of_input_iterators_tIbNS6_6detail15normal_iteratorINS6_10device_ptrIKyEEEESL_NS6_8equal_toIyEEEENSG_9not_fun_tINSD_8identityEEEEENSD_19counting_iterator_tIlEES8_S8_S8_S8_S8_S8_S8_S8_EEEEPS9_S9_NSD_9__find_if7functorIS9_EEEE10hipError_tPvRmT1_T2_T3_mT4_P12ihipStream_tbEUlT_E1_NS1_11comp_targetILNS1_3genE9ELNS1_11target_archE1100ELNS1_3gpuE3ELNS1_3repE0EEENS1_30default_config_static_selectorELNS0_4arch9wavefront6targetE1EEEvS14_.has_dyn_sized_stack, 0
	.set _ZN7rocprim17ROCPRIM_400000_NS6detail17trampoline_kernelINS0_14default_configENS1_22reduce_config_selectorIN6thrust23THRUST_200600_302600_NS5tupleIblNS6_9null_typeES8_S8_S8_S8_S8_S8_S8_EEEEZNS1_11reduce_implILb1ES3_NS6_12zip_iteratorINS7_INS6_11hip_rocprim26transform_input_iterator_tIbNSD_35transform_pair_of_input_iterators_tIbNS6_6detail15normal_iteratorINS6_10device_ptrIKyEEEESL_NS6_8equal_toIyEEEENSG_9not_fun_tINSD_8identityEEEEENSD_19counting_iterator_tIlEES8_S8_S8_S8_S8_S8_S8_S8_EEEEPS9_S9_NSD_9__find_if7functorIS9_EEEE10hipError_tPvRmT1_T2_T3_mT4_P12ihipStream_tbEUlT_E1_NS1_11comp_targetILNS1_3genE9ELNS1_11target_archE1100ELNS1_3gpuE3ELNS1_3repE0EEENS1_30default_config_static_selectorELNS0_4arch9wavefront6targetE1EEEvS14_.has_recursion, 0
	.set _ZN7rocprim17ROCPRIM_400000_NS6detail17trampoline_kernelINS0_14default_configENS1_22reduce_config_selectorIN6thrust23THRUST_200600_302600_NS5tupleIblNS6_9null_typeES8_S8_S8_S8_S8_S8_S8_EEEEZNS1_11reduce_implILb1ES3_NS6_12zip_iteratorINS7_INS6_11hip_rocprim26transform_input_iterator_tIbNSD_35transform_pair_of_input_iterators_tIbNS6_6detail15normal_iteratorINS6_10device_ptrIKyEEEESL_NS6_8equal_toIyEEEENSG_9not_fun_tINSD_8identityEEEEENSD_19counting_iterator_tIlEES8_S8_S8_S8_S8_S8_S8_S8_EEEEPS9_S9_NSD_9__find_if7functorIS9_EEEE10hipError_tPvRmT1_T2_T3_mT4_P12ihipStream_tbEUlT_E1_NS1_11comp_targetILNS1_3genE9ELNS1_11target_archE1100ELNS1_3gpuE3ELNS1_3repE0EEENS1_30default_config_static_selectorELNS0_4arch9wavefront6targetE1EEEvS14_.has_indirect_call, 0
	.section	.AMDGPU.csdata,"",@progbits
; Kernel info:
; codeLenInByte = 0
; TotalNumSgprs: 6
; NumVgprs: 0
; NumAgprs: 0
; TotalNumVgprs: 0
; ScratchSize: 0
; MemoryBound: 0
; FloatMode: 240
; IeeeMode: 1
; LDSByteSize: 0 bytes/workgroup (compile time only)
; SGPRBlocks: 0
; VGPRBlocks: 0
; NumSGPRsForWavesPerEU: 6
; NumVGPRsForWavesPerEU: 1
; AccumOffset: 4
; Occupancy: 8
; WaveLimiterHint : 0
; COMPUTE_PGM_RSRC2:SCRATCH_EN: 0
; COMPUTE_PGM_RSRC2:USER_SGPR: 2
; COMPUTE_PGM_RSRC2:TRAP_HANDLER: 0
; COMPUTE_PGM_RSRC2:TGID_X_EN: 1
; COMPUTE_PGM_RSRC2:TGID_Y_EN: 0
; COMPUTE_PGM_RSRC2:TGID_Z_EN: 0
; COMPUTE_PGM_RSRC2:TIDIG_COMP_CNT: 0
; COMPUTE_PGM_RSRC3_GFX90A:ACCUM_OFFSET: 0
; COMPUTE_PGM_RSRC3_GFX90A:TG_SPLIT: 0
	.section	.text._ZN7rocprim17ROCPRIM_400000_NS6detail17trampoline_kernelINS0_14default_configENS1_22reduce_config_selectorIN6thrust23THRUST_200600_302600_NS5tupleIblNS6_9null_typeES8_S8_S8_S8_S8_S8_S8_EEEEZNS1_11reduce_implILb1ES3_NS6_12zip_iteratorINS7_INS6_11hip_rocprim26transform_input_iterator_tIbNSD_35transform_pair_of_input_iterators_tIbNS6_6detail15normal_iteratorINS6_10device_ptrIKyEEEESL_NS6_8equal_toIyEEEENSG_9not_fun_tINSD_8identityEEEEENSD_19counting_iterator_tIlEES8_S8_S8_S8_S8_S8_S8_S8_EEEEPS9_S9_NSD_9__find_if7functorIS9_EEEE10hipError_tPvRmT1_T2_T3_mT4_P12ihipStream_tbEUlT_E1_NS1_11comp_targetILNS1_3genE8ELNS1_11target_archE1030ELNS1_3gpuE2ELNS1_3repE0EEENS1_30default_config_static_selectorELNS0_4arch9wavefront6targetE1EEEvS14_,"axG",@progbits,_ZN7rocprim17ROCPRIM_400000_NS6detail17trampoline_kernelINS0_14default_configENS1_22reduce_config_selectorIN6thrust23THRUST_200600_302600_NS5tupleIblNS6_9null_typeES8_S8_S8_S8_S8_S8_S8_EEEEZNS1_11reduce_implILb1ES3_NS6_12zip_iteratorINS7_INS6_11hip_rocprim26transform_input_iterator_tIbNSD_35transform_pair_of_input_iterators_tIbNS6_6detail15normal_iteratorINS6_10device_ptrIKyEEEESL_NS6_8equal_toIyEEEENSG_9not_fun_tINSD_8identityEEEEENSD_19counting_iterator_tIlEES8_S8_S8_S8_S8_S8_S8_S8_EEEEPS9_S9_NSD_9__find_if7functorIS9_EEEE10hipError_tPvRmT1_T2_T3_mT4_P12ihipStream_tbEUlT_E1_NS1_11comp_targetILNS1_3genE8ELNS1_11target_archE1030ELNS1_3gpuE2ELNS1_3repE0EEENS1_30default_config_static_selectorELNS0_4arch9wavefront6targetE1EEEvS14_,comdat
	.protected	_ZN7rocprim17ROCPRIM_400000_NS6detail17trampoline_kernelINS0_14default_configENS1_22reduce_config_selectorIN6thrust23THRUST_200600_302600_NS5tupleIblNS6_9null_typeES8_S8_S8_S8_S8_S8_S8_EEEEZNS1_11reduce_implILb1ES3_NS6_12zip_iteratorINS7_INS6_11hip_rocprim26transform_input_iterator_tIbNSD_35transform_pair_of_input_iterators_tIbNS6_6detail15normal_iteratorINS6_10device_ptrIKyEEEESL_NS6_8equal_toIyEEEENSG_9not_fun_tINSD_8identityEEEEENSD_19counting_iterator_tIlEES8_S8_S8_S8_S8_S8_S8_S8_EEEEPS9_S9_NSD_9__find_if7functorIS9_EEEE10hipError_tPvRmT1_T2_T3_mT4_P12ihipStream_tbEUlT_E1_NS1_11comp_targetILNS1_3genE8ELNS1_11target_archE1030ELNS1_3gpuE2ELNS1_3repE0EEENS1_30default_config_static_selectorELNS0_4arch9wavefront6targetE1EEEvS14_ ; -- Begin function _ZN7rocprim17ROCPRIM_400000_NS6detail17trampoline_kernelINS0_14default_configENS1_22reduce_config_selectorIN6thrust23THRUST_200600_302600_NS5tupleIblNS6_9null_typeES8_S8_S8_S8_S8_S8_S8_EEEEZNS1_11reduce_implILb1ES3_NS6_12zip_iteratorINS7_INS6_11hip_rocprim26transform_input_iterator_tIbNSD_35transform_pair_of_input_iterators_tIbNS6_6detail15normal_iteratorINS6_10device_ptrIKyEEEESL_NS6_8equal_toIyEEEENSG_9not_fun_tINSD_8identityEEEEENSD_19counting_iterator_tIlEES8_S8_S8_S8_S8_S8_S8_S8_EEEEPS9_S9_NSD_9__find_if7functorIS9_EEEE10hipError_tPvRmT1_T2_T3_mT4_P12ihipStream_tbEUlT_E1_NS1_11comp_targetILNS1_3genE8ELNS1_11target_archE1030ELNS1_3gpuE2ELNS1_3repE0EEENS1_30default_config_static_selectorELNS0_4arch9wavefront6targetE1EEEvS14_
	.globl	_ZN7rocprim17ROCPRIM_400000_NS6detail17trampoline_kernelINS0_14default_configENS1_22reduce_config_selectorIN6thrust23THRUST_200600_302600_NS5tupleIblNS6_9null_typeES8_S8_S8_S8_S8_S8_S8_EEEEZNS1_11reduce_implILb1ES3_NS6_12zip_iteratorINS7_INS6_11hip_rocprim26transform_input_iterator_tIbNSD_35transform_pair_of_input_iterators_tIbNS6_6detail15normal_iteratorINS6_10device_ptrIKyEEEESL_NS6_8equal_toIyEEEENSG_9not_fun_tINSD_8identityEEEEENSD_19counting_iterator_tIlEES8_S8_S8_S8_S8_S8_S8_S8_EEEEPS9_S9_NSD_9__find_if7functorIS9_EEEE10hipError_tPvRmT1_T2_T3_mT4_P12ihipStream_tbEUlT_E1_NS1_11comp_targetILNS1_3genE8ELNS1_11target_archE1030ELNS1_3gpuE2ELNS1_3repE0EEENS1_30default_config_static_selectorELNS0_4arch9wavefront6targetE1EEEvS14_
	.p2align	8
	.type	_ZN7rocprim17ROCPRIM_400000_NS6detail17trampoline_kernelINS0_14default_configENS1_22reduce_config_selectorIN6thrust23THRUST_200600_302600_NS5tupleIblNS6_9null_typeES8_S8_S8_S8_S8_S8_S8_EEEEZNS1_11reduce_implILb1ES3_NS6_12zip_iteratorINS7_INS6_11hip_rocprim26transform_input_iterator_tIbNSD_35transform_pair_of_input_iterators_tIbNS6_6detail15normal_iteratorINS6_10device_ptrIKyEEEESL_NS6_8equal_toIyEEEENSG_9not_fun_tINSD_8identityEEEEENSD_19counting_iterator_tIlEES8_S8_S8_S8_S8_S8_S8_S8_EEEEPS9_S9_NSD_9__find_if7functorIS9_EEEE10hipError_tPvRmT1_T2_T3_mT4_P12ihipStream_tbEUlT_E1_NS1_11comp_targetILNS1_3genE8ELNS1_11target_archE1030ELNS1_3gpuE2ELNS1_3repE0EEENS1_30default_config_static_selectorELNS0_4arch9wavefront6targetE1EEEvS14_,@function
_ZN7rocprim17ROCPRIM_400000_NS6detail17trampoline_kernelINS0_14default_configENS1_22reduce_config_selectorIN6thrust23THRUST_200600_302600_NS5tupleIblNS6_9null_typeES8_S8_S8_S8_S8_S8_S8_EEEEZNS1_11reduce_implILb1ES3_NS6_12zip_iteratorINS7_INS6_11hip_rocprim26transform_input_iterator_tIbNSD_35transform_pair_of_input_iterators_tIbNS6_6detail15normal_iteratorINS6_10device_ptrIKyEEEESL_NS6_8equal_toIyEEEENSG_9not_fun_tINSD_8identityEEEEENSD_19counting_iterator_tIlEES8_S8_S8_S8_S8_S8_S8_S8_EEEEPS9_S9_NSD_9__find_if7functorIS9_EEEE10hipError_tPvRmT1_T2_T3_mT4_P12ihipStream_tbEUlT_E1_NS1_11comp_targetILNS1_3genE8ELNS1_11target_archE1030ELNS1_3gpuE2ELNS1_3repE0EEENS1_30default_config_static_selectorELNS0_4arch9wavefront6targetE1EEEvS14_: ; @_ZN7rocprim17ROCPRIM_400000_NS6detail17trampoline_kernelINS0_14default_configENS1_22reduce_config_selectorIN6thrust23THRUST_200600_302600_NS5tupleIblNS6_9null_typeES8_S8_S8_S8_S8_S8_S8_EEEEZNS1_11reduce_implILb1ES3_NS6_12zip_iteratorINS7_INS6_11hip_rocprim26transform_input_iterator_tIbNSD_35transform_pair_of_input_iterators_tIbNS6_6detail15normal_iteratorINS6_10device_ptrIKyEEEESL_NS6_8equal_toIyEEEENSG_9not_fun_tINSD_8identityEEEEENSD_19counting_iterator_tIlEES8_S8_S8_S8_S8_S8_S8_S8_EEEEPS9_S9_NSD_9__find_if7functorIS9_EEEE10hipError_tPvRmT1_T2_T3_mT4_P12ihipStream_tbEUlT_E1_NS1_11comp_targetILNS1_3genE8ELNS1_11target_archE1030ELNS1_3gpuE2ELNS1_3repE0EEENS1_30default_config_static_selectorELNS0_4arch9wavefront6targetE1EEEvS14_
; %bb.0:
	.section	.rodata,"a",@progbits
	.p2align	6, 0x0
	.amdhsa_kernel _ZN7rocprim17ROCPRIM_400000_NS6detail17trampoline_kernelINS0_14default_configENS1_22reduce_config_selectorIN6thrust23THRUST_200600_302600_NS5tupleIblNS6_9null_typeES8_S8_S8_S8_S8_S8_S8_EEEEZNS1_11reduce_implILb1ES3_NS6_12zip_iteratorINS7_INS6_11hip_rocprim26transform_input_iterator_tIbNSD_35transform_pair_of_input_iterators_tIbNS6_6detail15normal_iteratorINS6_10device_ptrIKyEEEESL_NS6_8equal_toIyEEEENSG_9not_fun_tINSD_8identityEEEEENSD_19counting_iterator_tIlEES8_S8_S8_S8_S8_S8_S8_S8_EEEEPS9_S9_NSD_9__find_if7functorIS9_EEEE10hipError_tPvRmT1_T2_T3_mT4_P12ihipStream_tbEUlT_E1_NS1_11comp_targetILNS1_3genE8ELNS1_11target_archE1030ELNS1_3gpuE2ELNS1_3repE0EEENS1_30default_config_static_selectorELNS0_4arch9wavefront6targetE1EEEvS14_
		.amdhsa_group_segment_fixed_size 0
		.amdhsa_private_segment_fixed_size 0
		.amdhsa_kernarg_size 88
		.amdhsa_user_sgpr_count 2
		.amdhsa_user_sgpr_dispatch_ptr 0
		.amdhsa_user_sgpr_queue_ptr 0
		.amdhsa_user_sgpr_kernarg_segment_ptr 1
		.amdhsa_user_sgpr_dispatch_id 0
		.amdhsa_user_sgpr_kernarg_preload_length 0
		.amdhsa_user_sgpr_kernarg_preload_offset 0
		.amdhsa_user_sgpr_private_segment_size 0
		.amdhsa_uses_dynamic_stack 0
		.amdhsa_enable_private_segment 0
		.amdhsa_system_sgpr_workgroup_id_x 1
		.amdhsa_system_sgpr_workgroup_id_y 0
		.amdhsa_system_sgpr_workgroup_id_z 0
		.amdhsa_system_sgpr_workgroup_info 0
		.amdhsa_system_vgpr_workitem_id 0
		.amdhsa_next_free_vgpr 1
		.amdhsa_next_free_sgpr 0
		.amdhsa_accum_offset 4
		.amdhsa_reserve_vcc 0
		.amdhsa_float_round_mode_32 0
		.amdhsa_float_round_mode_16_64 0
		.amdhsa_float_denorm_mode_32 3
		.amdhsa_float_denorm_mode_16_64 3
		.amdhsa_dx10_clamp 1
		.amdhsa_ieee_mode 1
		.amdhsa_fp16_overflow 0
		.amdhsa_tg_split 0
		.amdhsa_exception_fp_ieee_invalid_op 0
		.amdhsa_exception_fp_denorm_src 0
		.amdhsa_exception_fp_ieee_div_zero 0
		.amdhsa_exception_fp_ieee_overflow 0
		.amdhsa_exception_fp_ieee_underflow 0
		.amdhsa_exception_fp_ieee_inexact 0
		.amdhsa_exception_int_div_zero 0
	.end_amdhsa_kernel
	.section	.text._ZN7rocprim17ROCPRIM_400000_NS6detail17trampoline_kernelINS0_14default_configENS1_22reduce_config_selectorIN6thrust23THRUST_200600_302600_NS5tupleIblNS6_9null_typeES8_S8_S8_S8_S8_S8_S8_EEEEZNS1_11reduce_implILb1ES3_NS6_12zip_iteratorINS7_INS6_11hip_rocprim26transform_input_iterator_tIbNSD_35transform_pair_of_input_iterators_tIbNS6_6detail15normal_iteratorINS6_10device_ptrIKyEEEESL_NS6_8equal_toIyEEEENSG_9not_fun_tINSD_8identityEEEEENSD_19counting_iterator_tIlEES8_S8_S8_S8_S8_S8_S8_S8_EEEEPS9_S9_NSD_9__find_if7functorIS9_EEEE10hipError_tPvRmT1_T2_T3_mT4_P12ihipStream_tbEUlT_E1_NS1_11comp_targetILNS1_3genE8ELNS1_11target_archE1030ELNS1_3gpuE2ELNS1_3repE0EEENS1_30default_config_static_selectorELNS0_4arch9wavefront6targetE1EEEvS14_,"axG",@progbits,_ZN7rocprim17ROCPRIM_400000_NS6detail17trampoline_kernelINS0_14default_configENS1_22reduce_config_selectorIN6thrust23THRUST_200600_302600_NS5tupleIblNS6_9null_typeES8_S8_S8_S8_S8_S8_S8_EEEEZNS1_11reduce_implILb1ES3_NS6_12zip_iteratorINS7_INS6_11hip_rocprim26transform_input_iterator_tIbNSD_35transform_pair_of_input_iterators_tIbNS6_6detail15normal_iteratorINS6_10device_ptrIKyEEEESL_NS6_8equal_toIyEEEENSG_9not_fun_tINSD_8identityEEEEENSD_19counting_iterator_tIlEES8_S8_S8_S8_S8_S8_S8_S8_EEEEPS9_S9_NSD_9__find_if7functorIS9_EEEE10hipError_tPvRmT1_T2_T3_mT4_P12ihipStream_tbEUlT_E1_NS1_11comp_targetILNS1_3genE8ELNS1_11target_archE1030ELNS1_3gpuE2ELNS1_3repE0EEENS1_30default_config_static_selectorELNS0_4arch9wavefront6targetE1EEEvS14_,comdat
.Lfunc_end599:
	.size	_ZN7rocprim17ROCPRIM_400000_NS6detail17trampoline_kernelINS0_14default_configENS1_22reduce_config_selectorIN6thrust23THRUST_200600_302600_NS5tupleIblNS6_9null_typeES8_S8_S8_S8_S8_S8_S8_EEEEZNS1_11reduce_implILb1ES3_NS6_12zip_iteratorINS7_INS6_11hip_rocprim26transform_input_iterator_tIbNSD_35transform_pair_of_input_iterators_tIbNS6_6detail15normal_iteratorINS6_10device_ptrIKyEEEESL_NS6_8equal_toIyEEEENSG_9not_fun_tINSD_8identityEEEEENSD_19counting_iterator_tIlEES8_S8_S8_S8_S8_S8_S8_S8_EEEEPS9_S9_NSD_9__find_if7functorIS9_EEEE10hipError_tPvRmT1_T2_T3_mT4_P12ihipStream_tbEUlT_E1_NS1_11comp_targetILNS1_3genE8ELNS1_11target_archE1030ELNS1_3gpuE2ELNS1_3repE0EEENS1_30default_config_static_selectorELNS0_4arch9wavefront6targetE1EEEvS14_, .Lfunc_end599-_ZN7rocprim17ROCPRIM_400000_NS6detail17trampoline_kernelINS0_14default_configENS1_22reduce_config_selectorIN6thrust23THRUST_200600_302600_NS5tupleIblNS6_9null_typeES8_S8_S8_S8_S8_S8_S8_EEEEZNS1_11reduce_implILb1ES3_NS6_12zip_iteratorINS7_INS6_11hip_rocprim26transform_input_iterator_tIbNSD_35transform_pair_of_input_iterators_tIbNS6_6detail15normal_iteratorINS6_10device_ptrIKyEEEESL_NS6_8equal_toIyEEEENSG_9not_fun_tINSD_8identityEEEEENSD_19counting_iterator_tIlEES8_S8_S8_S8_S8_S8_S8_S8_EEEEPS9_S9_NSD_9__find_if7functorIS9_EEEE10hipError_tPvRmT1_T2_T3_mT4_P12ihipStream_tbEUlT_E1_NS1_11comp_targetILNS1_3genE8ELNS1_11target_archE1030ELNS1_3gpuE2ELNS1_3repE0EEENS1_30default_config_static_selectorELNS0_4arch9wavefront6targetE1EEEvS14_
                                        ; -- End function
	.set _ZN7rocprim17ROCPRIM_400000_NS6detail17trampoline_kernelINS0_14default_configENS1_22reduce_config_selectorIN6thrust23THRUST_200600_302600_NS5tupleIblNS6_9null_typeES8_S8_S8_S8_S8_S8_S8_EEEEZNS1_11reduce_implILb1ES3_NS6_12zip_iteratorINS7_INS6_11hip_rocprim26transform_input_iterator_tIbNSD_35transform_pair_of_input_iterators_tIbNS6_6detail15normal_iteratorINS6_10device_ptrIKyEEEESL_NS6_8equal_toIyEEEENSG_9not_fun_tINSD_8identityEEEEENSD_19counting_iterator_tIlEES8_S8_S8_S8_S8_S8_S8_S8_EEEEPS9_S9_NSD_9__find_if7functorIS9_EEEE10hipError_tPvRmT1_T2_T3_mT4_P12ihipStream_tbEUlT_E1_NS1_11comp_targetILNS1_3genE8ELNS1_11target_archE1030ELNS1_3gpuE2ELNS1_3repE0EEENS1_30default_config_static_selectorELNS0_4arch9wavefront6targetE1EEEvS14_.num_vgpr, 0
	.set _ZN7rocprim17ROCPRIM_400000_NS6detail17trampoline_kernelINS0_14default_configENS1_22reduce_config_selectorIN6thrust23THRUST_200600_302600_NS5tupleIblNS6_9null_typeES8_S8_S8_S8_S8_S8_S8_EEEEZNS1_11reduce_implILb1ES3_NS6_12zip_iteratorINS7_INS6_11hip_rocprim26transform_input_iterator_tIbNSD_35transform_pair_of_input_iterators_tIbNS6_6detail15normal_iteratorINS6_10device_ptrIKyEEEESL_NS6_8equal_toIyEEEENSG_9not_fun_tINSD_8identityEEEEENSD_19counting_iterator_tIlEES8_S8_S8_S8_S8_S8_S8_S8_EEEEPS9_S9_NSD_9__find_if7functorIS9_EEEE10hipError_tPvRmT1_T2_T3_mT4_P12ihipStream_tbEUlT_E1_NS1_11comp_targetILNS1_3genE8ELNS1_11target_archE1030ELNS1_3gpuE2ELNS1_3repE0EEENS1_30default_config_static_selectorELNS0_4arch9wavefront6targetE1EEEvS14_.num_agpr, 0
	.set _ZN7rocprim17ROCPRIM_400000_NS6detail17trampoline_kernelINS0_14default_configENS1_22reduce_config_selectorIN6thrust23THRUST_200600_302600_NS5tupleIblNS6_9null_typeES8_S8_S8_S8_S8_S8_S8_EEEEZNS1_11reduce_implILb1ES3_NS6_12zip_iteratorINS7_INS6_11hip_rocprim26transform_input_iterator_tIbNSD_35transform_pair_of_input_iterators_tIbNS6_6detail15normal_iteratorINS6_10device_ptrIKyEEEESL_NS6_8equal_toIyEEEENSG_9not_fun_tINSD_8identityEEEEENSD_19counting_iterator_tIlEES8_S8_S8_S8_S8_S8_S8_S8_EEEEPS9_S9_NSD_9__find_if7functorIS9_EEEE10hipError_tPvRmT1_T2_T3_mT4_P12ihipStream_tbEUlT_E1_NS1_11comp_targetILNS1_3genE8ELNS1_11target_archE1030ELNS1_3gpuE2ELNS1_3repE0EEENS1_30default_config_static_selectorELNS0_4arch9wavefront6targetE1EEEvS14_.numbered_sgpr, 0
	.set _ZN7rocprim17ROCPRIM_400000_NS6detail17trampoline_kernelINS0_14default_configENS1_22reduce_config_selectorIN6thrust23THRUST_200600_302600_NS5tupleIblNS6_9null_typeES8_S8_S8_S8_S8_S8_S8_EEEEZNS1_11reduce_implILb1ES3_NS6_12zip_iteratorINS7_INS6_11hip_rocprim26transform_input_iterator_tIbNSD_35transform_pair_of_input_iterators_tIbNS6_6detail15normal_iteratorINS6_10device_ptrIKyEEEESL_NS6_8equal_toIyEEEENSG_9not_fun_tINSD_8identityEEEEENSD_19counting_iterator_tIlEES8_S8_S8_S8_S8_S8_S8_S8_EEEEPS9_S9_NSD_9__find_if7functorIS9_EEEE10hipError_tPvRmT1_T2_T3_mT4_P12ihipStream_tbEUlT_E1_NS1_11comp_targetILNS1_3genE8ELNS1_11target_archE1030ELNS1_3gpuE2ELNS1_3repE0EEENS1_30default_config_static_selectorELNS0_4arch9wavefront6targetE1EEEvS14_.num_named_barrier, 0
	.set _ZN7rocprim17ROCPRIM_400000_NS6detail17trampoline_kernelINS0_14default_configENS1_22reduce_config_selectorIN6thrust23THRUST_200600_302600_NS5tupleIblNS6_9null_typeES8_S8_S8_S8_S8_S8_S8_EEEEZNS1_11reduce_implILb1ES3_NS6_12zip_iteratorINS7_INS6_11hip_rocprim26transform_input_iterator_tIbNSD_35transform_pair_of_input_iterators_tIbNS6_6detail15normal_iteratorINS6_10device_ptrIKyEEEESL_NS6_8equal_toIyEEEENSG_9not_fun_tINSD_8identityEEEEENSD_19counting_iterator_tIlEES8_S8_S8_S8_S8_S8_S8_S8_EEEEPS9_S9_NSD_9__find_if7functorIS9_EEEE10hipError_tPvRmT1_T2_T3_mT4_P12ihipStream_tbEUlT_E1_NS1_11comp_targetILNS1_3genE8ELNS1_11target_archE1030ELNS1_3gpuE2ELNS1_3repE0EEENS1_30default_config_static_selectorELNS0_4arch9wavefront6targetE1EEEvS14_.private_seg_size, 0
	.set _ZN7rocprim17ROCPRIM_400000_NS6detail17trampoline_kernelINS0_14default_configENS1_22reduce_config_selectorIN6thrust23THRUST_200600_302600_NS5tupleIblNS6_9null_typeES8_S8_S8_S8_S8_S8_S8_EEEEZNS1_11reduce_implILb1ES3_NS6_12zip_iteratorINS7_INS6_11hip_rocprim26transform_input_iterator_tIbNSD_35transform_pair_of_input_iterators_tIbNS6_6detail15normal_iteratorINS6_10device_ptrIKyEEEESL_NS6_8equal_toIyEEEENSG_9not_fun_tINSD_8identityEEEEENSD_19counting_iterator_tIlEES8_S8_S8_S8_S8_S8_S8_S8_EEEEPS9_S9_NSD_9__find_if7functorIS9_EEEE10hipError_tPvRmT1_T2_T3_mT4_P12ihipStream_tbEUlT_E1_NS1_11comp_targetILNS1_3genE8ELNS1_11target_archE1030ELNS1_3gpuE2ELNS1_3repE0EEENS1_30default_config_static_selectorELNS0_4arch9wavefront6targetE1EEEvS14_.uses_vcc, 0
	.set _ZN7rocprim17ROCPRIM_400000_NS6detail17trampoline_kernelINS0_14default_configENS1_22reduce_config_selectorIN6thrust23THRUST_200600_302600_NS5tupleIblNS6_9null_typeES8_S8_S8_S8_S8_S8_S8_EEEEZNS1_11reduce_implILb1ES3_NS6_12zip_iteratorINS7_INS6_11hip_rocprim26transform_input_iterator_tIbNSD_35transform_pair_of_input_iterators_tIbNS6_6detail15normal_iteratorINS6_10device_ptrIKyEEEESL_NS6_8equal_toIyEEEENSG_9not_fun_tINSD_8identityEEEEENSD_19counting_iterator_tIlEES8_S8_S8_S8_S8_S8_S8_S8_EEEEPS9_S9_NSD_9__find_if7functorIS9_EEEE10hipError_tPvRmT1_T2_T3_mT4_P12ihipStream_tbEUlT_E1_NS1_11comp_targetILNS1_3genE8ELNS1_11target_archE1030ELNS1_3gpuE2ELNS1_3repE0EEENS1_30default_config_static_selectorELNS0_4arch9wavefront6targetE1EEEvS14_.uses_flat_scratch, 0
	.set _ZN7rocprim17ROCPRIM_400000_NS6detail17trampoline_kernelINS0_14default_configENS1_22reduce_config_selectorIN6thrust23THRUST_200600_302600_NS5tupleIblNS6_9null_typeES8_S8_S8_S8_S8_S8_S8_EEEEZNS1_11reduce_implILb1ES3_NS6_12zip_iteratorINS7_INS6_11hip_rocprim26transform_input_iterator_tIbNSD_35transform_pair_of_input_iterators_tIbNS6_6detail15normal_iteratorINS6_10device_ptrIKyEEEESL_NS6_8equal_toIyEEEENSG_9not_fun_tINSD_8identityEEEEENSD_19counting_iterator_tIlEES8_S8_S8_S8_S8_S8_S8_S8_EEEEPS9_S9_NSD_9__find_if7functorIS9_EEEE10hipError_tPvRmT1_T2_T3_mT4_P12ihipStream_tbEUlT_E1_NS1_11comp_targetILNS1_3genE8ELNS1_11target_archE1030ELNS1_3gpuE2ELNS1_3repE0EEENS1_30default_config_static_selectorELNS0_4arch9wavefront6targetE1EEEvS14_.has_dyn_sized_stack, 0
	.set _ZN7rocprim17ROCPRIM_400000_NS6detail17trampoline_kernelINS0_14default_configENS1_22reduce_config_selectorIN6thrust23THRUST_200600_302600_NS5tupleIblNS6_9null_typeES8_S8_S8_S8_S8_S8_S8_EEEEZNS1_11reduce_implILb1ES3_NS6_12zip_iteratorINS7_INS6_11hip_rocprim26transform_input_iterator_tIbNSD_35transform_pair_of_input_iterators_tIbNS6_6detail15normal_iteratorINS6_10device_ptrIKyEEEESL_NS6_8equal_toIyEEEENSG_9not_fun_tINSD_8identityEEEEENSD_19counting_iterator_tIlEES8_S8_S8_S8_S8_S8_S8_S8_EEEEPS9_S9_NSD_9__find_if7functorIS9_EEEE10hipError_tPvRmT1_T2_T3_mT4_P12ihipStream_tbEUlT_E1_NS1_11comp_targetILNS1_3genE8ELNS1_11target_archE1030ELNS1_3gpuE2ELNS1_3repE0EEENS1_30default_config_static_selectorELNS0_4arch9wavefront6targetE1EEEvS14_.has_recursion, 0
	.set _ZN7rocprim17ROCPRIM_400000_NS6detail17trampoline_kernelINS0_14default_configENS1_22reduce_config_selectorIN6thrust23THRUST_200600_302600_NS5tupleIblNS6_9null_typeES8_S8_S8_S8_S8_S8_S8_EEEEZNS1_11reduce_implILb1ES3_NS6_12zip_iteratorINS7_INS6_11hip_rocprim26transform_input_iterator_tIbNSD_35transform_pair_of_input_iterators_tIbNS6_6detail15normal_iteratorINS6_10device_ptrIKyEEEESL_NS6_8equal_toIyEEEENSG_9not_fun_tINSD_8identityEEEEENSD_19counting_iterator_tIlEES8_S8_S8_S8_S8_S8_S8_S8_EEEEPS9_S9_NSD_9__find_if7functorIS9_EEEE10hipError_tPvRmT1_T2_T3_mT4_P12ihipStream_tbEUlT_E1_NS1_11comp_targetILNS1_3genE8ELNS1_11target_archE1030ELNS1_3gpuE2ELNS1_3repE0EEENS1_30default_config_static_selectorELNS0_4arch9wavefront6targetE1EEEvS14_.has_indirect_call, 0
	.section	.AMDGPU.csdata,"",@progbits
; Kernel info:
; codeLenInByte = 0
; TotalNumSgprs: 6
; NumVgprs: 0
; NumAgprs: 0
; TotalNumVgprs: 0
; ScratchSize: 0
; MemoryBound: 0
; FloatMode: 240
; IeeeMode: 1
; LDSByteSize: 0 bytes/workgroup (compile time only)
; SGPRBlocks: 0
; VGPRBlocks: 0
; NumSGPRsForWavesPerEU: 6
; NumVGPRsForWavesPerEU: 1
; AccumOffset: 4
; Occupancy: 8
; WaveLimiterHint : 0
; COMPUTE_PGM_RSRC2:SCRATCH_EN: 0
; COMPUTE_PGM_RSRC2:USER_SGPR: 2
; COMPUTE_PGM_RSRC2:TRAP_HANDLER: 0
; COMPUTE_PGM_RSRC2:TGID_X_EN: 1
; COMPUTE_PGM_RSRC2:TGID_Y_EN: 0
; COMPUTE_PGM_RSRC2:TGID_Z_EN: 0
; COMPUTE_PGM_RSRC2:TIDIG_COMP_CNT: 0
; COMPUTE_PGM_RSRC3_GFX90A:ACCUM_OFFSET: 0
; COMPUTE_PGM_RSRC3_GFX90A:TG_SPLIT: 0
	.section	.text._ZN6thrust23THRUST_200600_302600_NS11hip_rocprim14__parallel_for6kernelILj256ENS1_20__uninitialized_fill7functorINS0_10device_ptrIjEEjEEmLj1EEEvT0_T1_SA_,"axG",@progbits,_ZN6thrust23THRUST_200600_302600_NS11hip_rocprim14__parallel_for6kernelILj256ENS1_20__uninitialized_fill7functorINS0_10device_ptrIjEEjEEmLj1EEEvT0_T1_SA_,comdat
	.protected	_ZN6thrust23THRUST_200600_302600_NS11hip_rocprim14__parallel_for6kernelILj256ENS1_20__uninitialized_fill7functorINS0_10device_ptrIjEEjEEmLj1EEEvT0_T1_SA_ ; -- Begin function _ZN6thrust23THRUST_200600_302600_NS11hip_rocprim14__parallel_for6kernelILj256ENS1_20__uninitialized_fill7functorINS0_10device_ptrIjEEjEEmLj1EEEvT0_T1_SA_
	.globl	_ZN6thrust23THRUST_200600_302600_NS11hip_rocprim14__parallel_for6kernelILj256ENS1_20__uninitialized_fill7functorINS0_10device_ptrIjEEjEEmLj1EEEvT0_T1_SA_
	.p2align	8
	.type	_ZN6thrust23THRUST_200600_302600_NS11hip_rocprim14__parallel_for6kernelILj256ENS1_20__uninitialized_fill7functorINS0_10device_ptrIjEEjEEmLj1EEEvT0_T1_SA_,@function
_ZN6thrust23THRUST_200600_302600_NS11hip_rocprim14__parallel_for6kernelILj256ENS1_20__uninitialized_fill7functorINS0_10device_ptrIjEEjEEmLj1EEEvT0_T1_SA_: ; @_ZN6thrust23THRUST_200600_302600_NS11hip_rocprim14__parallel_for6kernelILj256ENS1_20__uninitialized_fill7functorINS0_10device_ptrIjEEjEEmLj1EEEvT0_T1_SA_
; %bb.0:
	s_load_dwordx4 s[12:15], s[0:1], 0x10
	s_load_dwordx2 s[4:5], s[0:1], 0x0
	s_load_dword s8, s[0:1], 0x8
	s_lshl_b32 s0, s2, 8
	v_mov_b64_e32 v[2:3], 0xff
	s_waitcnt lgkmcnt(0)
	s_add_u32 s0, s14, s0
	s_addc_u32 s1, s15, 0
	s_sub_u32 s2, s12, s0
	s_subb_u32 s3, s13, s1
	v_cmp_gt_u64_e32 vcc, s[2:3], v[2:3]
	s_mov_b64 s[6:7], -1
	s_cbranch_vccz .LBB600_3
; %bb.1:
	s_andn2_b64 vcc, exec, s[6:7]
	s_cbranch_vccz .LBB600_6
.LBB600_2:
	s_endpgm
.LBB600_3:
	v_cmp_gt_u32_e32 vcc, s2, v0
	s_and_saveexec_b64 s[2:3], vcc
	s_cbranch_execz .LBB600_5
; %bb.4:
	s_lshl_b64 s[6:7], s[0:1], 2
	s_add_u32 s6, s4, s6
	s_addc_u32 s7, s5, s7
	v_lshlrev_b32_e32 v2, 2, v0
	v_mov_b32_e32 v3, 0
	v_lshl_add_u64 v[2:3], s[6:7], 0, v[2:3]
	v_mov_b32_e32 v1, s8
	flat_store_dword v[2:3], v1
.LBB600_5:
	s_or_b64 exec, exec, s[2:3]
	s_cbranch_execnz .LBB600_2
.LBB600_6:
	s_lshl_b64 s[0:1], s[0:1], 2
	s_add_u32 s0, s4, s0
	s_addc_u32 s1, s5, s1
	v_lshlrev_b32_e32 v0, 2, v0
	v_mov_b32_e32 v1, 0
	v_lshl_add_u64 v[0:1], s[0:1], 0, v[0:1]
	v_mov_b32_e32 v2, s8
	flat_store_dword v[0:1], v2
	s_endpgm
	.section	.rodata,"a",@progbits
	.p2align	6, 0x0
	.amdhsa_kernel _ZN6thrust23THRUST_200600_302600_NS11hip_rocprim14__parallel_for6kernelILj256ENS1_20__uninitialized_fill7functorINS0_10device_ptrIjEEjEEmLj1EEEvT0_T1_SA_
		.amdhsa_group_segment_fixed_size 0
		.amdhsa_private_segment_fixed_size 0
		.amdhsa_kernarg_size 32
		.amdhsa_user_sgpr_count 2
		.amdhsa_user_sgpr_dispatch_ptr 0
		.amdhsa_user_sgpr_queue_ptr 0
		.amdhsa_user_sgpr_kernarg_segment_ptr 1
		.amdhsa_user_sgpr_dispatch_id 0
		.amdhsa_user_sgpr_kernarg_preload_length 0
		.amdhsa_user_sgpr_kernarg_preload_offset 0
		.amdhsa_user_sgpr_private_segment_size 0
		.amdhsa_uses_dynamic_stack 0
		.amdhsa_enable_private_segment 0
		.amdhsa_system_sgpr_workgroup_id_x 1
		.amdhsa_system_sgpr_workgroup_id_y 0
		.amdhsa_system_sgpr_workgroup_id_z 0
		.amdhsa_system_sgpr_workgroup_info 0
		.amdhsa_system_vgpr_workitem_id 0
		.amdhsa_next_free_vgpr 4
		.amdhsa_next_free_sgpr 16
		.amdhsa_accum_offset 4
		.amdhsa_reserve_vcc 1
		.amdhsa_float_round_mode_32 0
		.amdhsa_float_round_mode_16_64 0
		.amdhsa_float_denorm_mode_32 3
		.amdhsa_float_denorm_mode_16_64 3
		.amdhsa_dx10_clamp 1
		.amdhsa_ieee_mode 1
		.amdhsa_fp16_overflow 0
		.amdhsa_tg_split 0
		.amdhsa_exception_fp_ieee_invalid_op 0
		.amdhsa_exception_fp_denorm_src 0
		.amdhsa_exception_fp_ieee_div_zero 0
		.amdhsa_exception_fp_ieee_overflow 0
		.amdhsa_exception_fp_ieee_underflow 0
		.amdhsa_exception_fp_ieee_inexact 0
		.amdhsa_exception_int_div_zero 0
	.end_amdhsa_kernel
	.section	.text._ZN6thrust23THRUST_200600_302600_NS11hip_rocprim14__parallel_for6kernelILj256ENS1_20__uninitialized_fill7functorINS0_10device_ptrIjEEjEEmLj1EEEvT0_T1_SA_,"axG",@progbits,_ZN6thrust23THRUST_200600_302600_NS11hip_rocprim14__parallel_for6kernelILj256ENS1_20__uninitialized_fill7functorINS0_10device_ptrIjEEjEEmLj1EEEvT0_T1_SA_,comdat
.Lfunc_end600:
	.size	_ZN6thrust23THRUST_200600_302600_NS11hip_rocprim14__parallel_for6kernelILj256ENS1_20__uninitialized_fill7functorINS0_10device_ptrIjEEjEEmLj1EEEvT0_T1_SA_, .Lfunc_end600-_ZN6thrust23THRUST_200600_302600_NS11hip_rocprim14__parallel_for6kernelILj256ENS1_20__uninitialized_fill7functorINS0_10device_ptrIjEEjEEmLj1EEEvT0_T1_SA_
                                        ; -- End function
	.set _ZN6thrust23THRUST_200600_302600_NS11hip_rocprim14__parallel_for6kernelILj256ENS1_20__uninitialized_fill7functorINS0_10device_ptrIjEEjEEmLj1EEEvT0_T1_SA_.num_vgpr, 4
	.set _ZN6thrust23THRUST_200600_302600_NS11hip_rocprim14__parallel_for6kernelILj256ENS1_20__uninitialized_fill7functorINS0_10device_ptrIjEEjEEmLj1EEEvT0_T1_SA_.num_agpr, 0
	.set _ZN6thrust23THRUST_200600_302600_NS11hip_rocprim14__parallel_for6kernelILj256ENS1_20__uninitialized_fill7functorINS0_10device_ptrIjEEjEEmLj1EEEvT0_T1_SA_.numbered_sgpr, 16
	.set _ZN6thrust23THRUST_200600_302600_NS11hip_rocprim14__parallel_for6kernelILj256ENS1_20__uninitialized_fill7functorINS0_10device_ptrIjEEjEEmLj1EEEvT0_T1_SA_.num_named_barrier, 0
	.set _ZN6thrust23THRUST_200600_302600_NS11hip_rocprim14__parallel_for6kernelILj256ENS1_20__uninitialized_fill7functorINS0_10device_ptrIjEEjEEmLj1EEEvT0_T1_SA_.private_seg_size, 0
	.set _ZN6thrust23THRUST_200600_302600_NS11hip_rocprim14__parallel_for6kernelILj256ENS1_20__uninitialized_fill7functorINS0_10device_ptrIjEEjEEmLj1EEEvT0_T1_SA_.uses_vcc, 1
	.set _ZN6thrust23THRUST_200600_302600_NS11hip_rocprim14__parallel_for6kernelILj256ENS1_20__uninitialized_fill7functorINS0_10device_ptrIjEEjEEmLj1EEEvT0_T1_SA_.uses_flat_scratch, 0
	.set _ZN6thrust23THRUST_200600_302600_NS11hip_rocprim14__parallel_for6kernelILj256ENS1_20__uninitialized_fill7functorINS0_10device_ptrIjEEjEEmLj1EEEvT0_T1_SA_.has_dyn_sized_stack, 0
	.set _ZN6thrust23THRUST_200600_302600_NS11hip_rocprim14__parallel_for6kernelILj256ENS1_20__uninitialized_fill7functorINS0_10device_ptrIjEEjEEmLj1EEEvT0_T1_SA_.has_recursion, 0
	.set _ZN6thrust23THRUST_200600_302600_NS11hip_rocprim14__parallel_for6kernelILj256ENS1_20__uninitialized_fill7functorINS0_10device_ptrIjEEjEEmLj1EEEvT0_T1_SA_.has_indirect_call, 0
	.section	.AMDGPU.csdata,"",@progbits
; Kernel info:
; codeLenInByte = 184
; TotalNumSgprs: 22
; NumVgprs: 4
; NumAgprs: 0
; TotalNumVgprs: 4
; ScratchSize: 0
; MemoryBound: 0
; FloatMode: 240
; IeeeMode: 1
; LDSByteSize: 0 bytes/workgroup (compile time only)
; SGPRBlocks: 2
; VGPRBlocks: 0
; NumSGPRsForWavesPerEU: 22
; NumVGPRsForWavesPerEU: 4
; AccumOffset: 4
; Occupancy: 8
; WaveLimiterHint : 0
; COMPUTE_PGM_RSRC2:SCRATCH_EN: 0
; COMPUTE_PGM_RSRC2:USER_SGPR: 2
; COMPUTE_PGM_RSRC2:TRAP_HANDLER: 0
; COMPUTE_PGM_RSRC2:TGID_X_EN: 1
; COMPUTE_PGM_RSRC2:TGID_Y_EN: 0
; COMPUTE_PGM_RSRC2:TGID_Z_EN: 0
; COMPUTE_PGM_RSRC2:TIDIG_COMP_CNT: 0
; COMPUTE_PGM_RSRC3_GFX90A:ACCUM_OFFSET: 0
; COMPUTE_PGM_RSRC3_GFX90A:TG_SPLIT: 0
	.section	.text._ZN7rocprim17ROCPRIM_400000_NS6detail17trampoline_kernelINS0_13kernel_configILj256ELj4ELj4294967295EEENS1_37radix_sort_block_sort_config_selectorIjjEEZNS1_21radix_sort_block_sortIS4_Lb0EN6thrust23THRUST_200600_302600_NS6detail15normal_iteratorINS9_10device_ptrIjEEEESE_SE_SE_NS0_19identity_decomposerEEE10hipError_tT1_T2_T3_T4_jRjT5_jjP12ihipStream_tbEUlT_E_NS1_11comp_targetILNS1_3genE0ELNS1_11target_archE4294967295ELNS1_3gpuE0ELNS1_3repE0EEENS1_44radix_sort_block_sort_config_static_selectorELNS0_4arch9wavefront6targetE1EEEvSH_,"axG",@progbits,_ZN7rocprim17ROCPRIM_400000_NS6detail17trampoline_kernelINS0_13kernel_configILj256ELj4ELj4294967295EEENS1_37radix_sort_block_sort_config_selectorIjjEEZNS1_21radix_sort_block_sortIS4_Lb0EN6thrust23THRUST_200600_302600_NS6detail15normal_iteratorINS9_10device_ptrIjEEEESE_SE_SE_NS0_19identity_decomposerEEE10hipError_tT1_T2_T3_T4_jRjT5_jjP12ihipStream_tbEUlT_E_NS1_11comp_targetILNS1_3genE0ELNS1_11target_archE4294967295ELNS1_3gpuE0ELNS1_3repE0EEENS1_44radix_sort_block_sort_config_static_selectorELNS0_4arch9wavefront6targetE1EEEvSH_,comdat
	.protected	_ZN7rocprim17ROCPRIM_400000_NS6detail17trampoline_kernelINS0_13kernel_configILj256ELj4ELj4294967295EEENS1_37radix_sort_block_sort_config_selectorIjjEEZNS1_21radix_sort_block_sortIS4_Lb0EN6thrust23THRUST_200600_302600_NS6detail15normal_iteratorINS9_10device_ptrIjEEEESE_SE_SE_NS0_19identity_decomposerEEE10hipError_tT1_T2_T3_T4_jRjT5_jjP12ihipStream_tbEUlT_E_NS1_11comp_targetILNS1_3genE0ELNS1_11target_archE4294967295ELNS1_3gpuE0ELNS1_3repE0EEENS1_44radix_sort_block_sort_config_static_selectorELNS0_4arch9wavefront6targetE1EEEvSH_ ; -- Begin function _ZN7rocprim17ROCPRIM_400000_NS6detail17trampoline_kernelINS0_13kernel_configILj256ELj4ELj4294967295EEENS1_37radix_sort_block_sort_config_selectorIjjEEZNS1_21radix_sort_block_sortIS4_Lb0EN6thrust23THRUST_200600_302600_NS6detail15normal_iteratorINS9_10device_ptrIjEEEESE_SE_SE_NS0_19identity_decomposerEEE10hipError_tT1_T2_T3_T4_jRjT5_jjP12ihipStream_tbEUlT_E_NS1_11comp_targetILNS1_3genE0ELNS1_11target_archE4294967295ELNS1_3gpuE0ELNS1_3repE0EEENS1_44radix_sort_block_sort_config_static_selectorELNS0_4arch9wavefront6targetE1EEEvSH_
	.globl	_ZN7rocprim17ROCPRIM_400000_NS6detail17trampoline_kernelINS0_13kernel_configILj256ELj4ELj4294967295EEENS1_37radix_sort_block_sort_config_selectorIjjEEZNS1_21radix_sort_block_sortIS4_Lb0EN6thrust23THRUST_200600_302600_NS6detail15normal_iteratorINS9_10device_ptrIjEEEESE_SE_SE_NS0_19identity_decomposerEEE10hipError_tT1_T2_T3_T4_jRjT5_jjP12ihipStream_tbEUlT_E_NS1_11comp_targetILNS1_3genE0ELNS1_11target_archE4294967295ELNS1_3gpuE0ELNS1_3repE0EEENS1_44radix_sort_block_sort_config_static_selectorELNS0_4arch9wavefront6targetE1EEEvSH_
	.p2align	8
	.type	_ZN7rocprim17ROCPRIM_400000_NS6detail17trampoline_kernelINS0_13kernel_configILj256ELj4ELj4294967295EEENS1_37radix_sort_block_sort_config_selectorIjjEEZNS1_21radix_sort_block_sortIS4_Lb0EN6thrust23THRUST_200600_302600_NS6detail15normal_iteratorINS9_10device_ptrIjEEEESE_SE_SE_NS0_19identity_decomposerEEE10hipError_tT1_T2_T3_T4_jRjT5_jjP12ihipStream_tbEUlT_E_NS1_11comp_targetILNS1_3genE0ELNS1_11target_archE4294967295ELNS1_3gpuE0ELNS1_3repE0EEENS1_44radix_sort_block_sort_config_static_selectorELNS0_4arch9wavefront6targetE1EEEvSH_,@function
_ZN7rocprim17ROCPRIM_400000_NS6detail17trampoline_kernelINS0_13kernel_configILj256ELj4ELj4294967295EEENS1_37radix_sort_block_sort_config_selectorIjjEEZNS1_21radix_sort_block_sortIS4_Lb0EN6thrust23THRUST_200600_302600_NS6detail15normal_iteratorINS9_10device_ptrIjEEEESE_SE_SE_NS0_19identity_decomposerEEE10hipError_tT1_T2_T3_T4_jRjT5_jjP12ihipStream_tbEUlT_E_NS1_11comp_targetILNS1_3genE0ELNS1_11target_archE4294967295ELNS1_3gpuE0ELNS1_3repE0EEENS1_44radix_sort_block_sort_config_static_selectorELNS0_4arch9wavefront6targetE1EEEvSH_: ; @_ZN7rocprim17ROCPRIM_400000_NS6detail17trampoline_kernelINS0_13kernel_configILj256ELj4ELj4294967295EEENS1_37radix_sort_block_sort_config_selectorIjjEEZNS1_21radix_sort_block_sortIS4_Lb0EN6thrust23THRUST_200600_302600_NS6detail15normal_iteratorINS9_10device_ptrIjEEEESE_SE_SE_NS0_19identity_decomposerEEE10hipError_tT1_T2_T3_T4_jRjT5_jjP12ihipStream_tbEUlT_E_NS1_11comp_targetILNS1_3genE0ELNS1_11target_archE4294967295ELNS1_3gpuE0ELNS1_3repE0EEENS1_44radix_sort_block_sort_config_static_selectorELNS0_4arch9wavefront6targetE1EEEvSH_
; %bb.0:
	s_load_dword s8, s[0:1], 0x20
	s_load_dwordx8 s[36:43], s[0:1], 0x0
	s_lshl_b32 s4, s2, 10
	s_mov_b32 s5, 0
	v_mbcnt_lo_u32_b32 v1, -1, 0
	s_waitcnt lgkmcnt(0)
	s_lshr_b32 s3, s8, 10
	s_cmp_lg_u32 s2, s3
	v_and_b32_e32 v14, 0x3ff, v0
	s_cselect_b64 s[30:31], -1, 0
	s_lshl_b64 s[28:29], s[4:5], 2
	v_mbcnt_hi_u32_b32 v8, -1, v1
	s_add_u32 s6, s36, s28
	v_and_b32_e32 v1, 63, v8
	v_lshlrev_b32_e32 v12, 2, v14
	s_addc_u32 s7, s37, s29
	v_and_b32_e32 v9, 0x300, v12
	v_mov_b32_e32 v5, 0
	v_lshlrev_b32_e32 v4, 2, v1
	v_lshl_add_u64 v[6:7], s[6:7], 0, v[4:5]
	v_lshlrev_b32_e32 v2, 2, v9
	v_mov_b32_e32 v3, v5
	s_cmp_eq_u32 s2, s3
	v_lshl_add_u64 v[6:7], v[6:7], 0, v[2:3]
	s_cbranch_scc1 .LBB601_2
; %bb.1:
	s_add_u32 s2, s40, s28
	s_addc_u32 s3, s41, s29
	v_lshl_add_u64 v[10:11], s[2:3], 0, v[4:5]
	global_load_dword v28, v[6:7], off
	global_load_dword v29, v[6:7], off offset:256
	global_load_dword v30, v[6:7], off offset:512
	;; [unrolled: 1-line block ×3, first 2 shown]
	v_lshl_add_u64 v[10:11], v[10:11], 0, v[2:3]
	global_load_dword v32, v[10:11], off
	global_load_dword v33, v[10:11], off offset:256
	global_load_dword v34, v[10:11], off offset:512
	s_mov_b64 s[6:7], -1
	s_load_dwordx2 s[34:35], s[0:1], 0x28
	s_sub_i32 s33, s8, s4
	s_cbranch_execz .LBB601_3
	s_branch .LBB601_16
.LBB601_2:
	s_mov_b64 s[6:7], 0
                                        ; implicit-def: $vgpr28_vgpr29_vgpr30_vgpr31
                                        ; implicit-def: $vgpr32_vgpr33_vgpr34_vgpr35
	s_load_dwordx2 s[34:35], s[0:1], 0x28
	s_sub_i32 s33, s8, s4
.LBB601_3:
	v_or_b32_e32 v3, v1, v9
	s_waitcnt vmcnt(6)
	v_mov_b32_e32 v28, -1
	v_cmp_gt_u32_e32 vcc, s33, v3
	s_waitcnt vmcnt(5)
	v_mov_b32_e32 v29, v28
	s_waitcnt vmcnt(4)
	v_mov_b32_e32 v30, v28
	;; [unrolled: 2-line block ×3, first 2 shown]
	s_and_saveexec_b64 s[2:3], vcc
	s_cbranch_execz .LBB601_5
; %bb.4:
	global_load_dword v16, v[6:7], off
	v_mov_b32_e32 v18, v28
	v_mov_b32_e32 v19, v28
	;; [unrolled: 1-line block ×3, first 2 shown]
	s_waitcnt vmcnt(0)
	v_mov_b64_e32 v[30:31], v[18:19]
	v_mov_b64_e32 v[28:29], v[16:17]
.LBB601_5:
	s_or_b64 exec, exec, s[2:3]
	v_or_b32_e32 v5, 64, v3
	v_cmp_gt_u32_e64 s[2:3], s33, v5
	s_and_saveexec_b64 s[4:5], s[2:3]
	s_cbranch_execz .LBB601_7
; %bb.6:
	global_load_dword v29, v[6:7], off offset:256
.LBB601_7:
	s_or_b64 exec, exec, s[4:5]
	v_or_b32_e32 v5, 0x80, v3
	v_cmp_gt_u32_e64 s[4:5], s33, v5
	s_and_saveexec_b64 s[6:7], s[4:5]
	s_cbranch_execz .LBB601_9
; %bb.8:
	global_load_dword v30, v[6:7], off offset:512
.LBB601_9:
	;; [unrolled: 8-line block ×3, first 2 shown]
	s_or_b64 exec, exec, s[8:9]
	s_add_u32 s8, s40, s28
	s_addc_u32 s9, s41, s29
	v_mov_b32_e32 v5, 0
	v_lshl_add_u64 v[6:7], s[8:9], 0, v[4:5]
	v_mov_b32_e32 v3, v5
	v_lshl_add_u64 v[6:7], v[6:7], 0, v[2:3]
	s_waitcnt vmcnt(2)
	v_mov_b32_e32 v32, v5
	s_waitcnt vmcnt(1)
	v_mov_b32_e32 v33, v5
	;; [unrolled: 2-line block ×3, first 2 shown]
	v_mov_b32_e32 v35, v5
	s_and_saveexec_b64 s[8:9], vcc
	s_cbranch_execnz .LBB601_55
; %bb.12:
	s_or_b64 exec, exec, s[8:9]
	s_and_saveexec_b64 s[8:9], s[2:3]
	s_cbranch_execnz .LBB601_56
.LBB601_13:
	s_or_b64 exec, exec, s[8:9]
	s_and_saveexec_b64 s[2:3], s[4:5]
	s_cbranch_execz .LBB601_15
.LBB601_14:
	global_load_dword v34, v[6:7], off offset:512
.LBB601_15:
	s_or_b64 exec, exec, s[2:3]
.LBB601_16:
	s_and_saveexec_b64 s[2:3], s[6:7]
	s_cbranch_execz .LBB601_18
; %bb.17:
	s_add_u32 s4, s40, s28
	s_addc_u32 s5, s41, s29
	v_mov_b32_e32 v5, 0
	v_lshl_add_u64 v[6:7], s[4:5], 0, v[4:5]
	v_mov_b32_e32 v3, v5
	v_lshl_add_u64 v[4:5], v[6:7], 0, v[2:3]
	global_load_dword v35, v[4:5], off offset:768
.LBB601_18:
	s_or_b64 exec, exec, s[2:3]
	s_load_dword s2, s[0:1], 0x3c
	s_waitcnt lgkmcnt(0)
	s_add_i32 s36, s35, s34
	s_getpc_b64 s[0:1]
	s_add_u32 s0, s0, _ZN7rocprim17ROCPRIM_400000_NS16block_radix_sortIjLj256ELj4EjLj1ELj1ELj0ELNS0_26block_radix_rank_algorithmE1ELNS0_18block_padding_hintE2ELNS0_4arch9wavefront6targetE1EE19radix_bits_per_passE@rel32@lo+4
	s_addc_u32 s1, s1, _ZN7rocprim17ROCPRIM_400000_NS16block_radix_sortIjLj256ELj4EjLj1ELj1ELj0ELNS0_26block_radix_rank_algorithmE1ELNS0_18block_padding_hintE2ELNS0_4arch9wavefront6targetE1EE19radix_bits_per_passE@rel32@hi+12
	s_load_dword s37, s[0:1], 0x0
	v_bfe_u32 v3, v0, 10, 10
	s_lshr_b32 s0, s2, 16
	v_bfe_u32 v0, v0, 20, 10
	s_and_b32 s1, s2, 0xffff
	v_mad_u32_u24 v0, v0, s0, v3
	v_mad_u64_u32 v[4:5], s[0:1], v0, s1, v[14:15]
	v_lshrrev_b32_e32 v0, 4, v4
	v_and_b32_e32 v15, 0xffffffc, v0
	v_and_b32_e32 v0, 15, v8
	v_cmp_eq_u32_e64 s[0:1], 0, v0
	v_cmp_lt_u32_e64 s[2:3], 1, v0
	v_cmp_lt_u32_e64 s[4:5], 3, v0
	v_cmp_lt_u32_e64 s[6:7], 7, v0
	v_and_b32_e32 v0, 16, v8
	v_cmp_eq_u32_e64 s[8:9], 0, v0
	v_and_b32_e32 v0, 0x3c0, v14
	v_min_u32_e32 v0, 0xc0, v0
	v_or_b32_e32 v0, 63, v0
	v_cmp_eq_u32_e64 s[12:13], v14, v0
	v_subrev_co_u32_e64 v0, s[18:19], 1, v8
	v_and_b32_e32 v3, 64, v8
	v_cmp_lt_i32_e32 vcc, v0, v3
	s_mov_b32 s26, 0
	s_mov_b32 s27, s26
	v_cndmask_b32_e32 v0, v0, v8, vcc
	v_lshlrev_b32_e32 v23, 2, v0
	v_lshrrev_b32_e32 v0, 4, v14
	v_and_b32_e32 v24, 60, v0
	v_and_b32_e32 v0, 3, v8
	s_mov_b32 s40, s26
	s_mov_b32 s41, s26
	v_lshlrev_b32_e32 v13, 4, v14
	v_cmp_lt_u32_e64 s[10:11], 31, v8
	v_cmp_gt_u32_e64 s[14:15], 4, v14
	v_cmp_lt_u32_e64 s[16:17], 63, v14
	v_cmp_eq_u32_e64 s[20:21], 0, v14
	v_mul_i32_i24_e32 v22, -12, v14
	v_cmp_eq_u32_e64 s[22:23], 0, v0
	v_cmp_lt_u32_e64 s[24:25], 1, v0
	v_add_u32_e32 v25, -4, v24
	v_lshl_add_u32 v26, v1, 2, v2
	v_mov_b64_e32 v[16:17], s[26:27]
	v_mov_b64_e32 v[18:19], s[40:41]
	v_mov_b32_e32 v21, 0
	s_branch .LBB601_20
.LBB601_19:                             ;   in Loop: Header=BB601_20 Depth=1
	s_andn2_b64 vcc, exec, s[26:27]
	s_cbranch_vccz .LBB601_36
.LBB601_20:                             ; =>This Inner Loop Header: Depth=1
	s_waitcnt vmcnt(3)
	v_mov_b64_e32 v[4:5], v[28:29]
	s_waitcnt lgkmcnt(0)
	s_min_u32 s26, s37, s35
	s_lshl_b32 s40, -1, s26
	v_lshrrev_b32_e32 v8, s34, v4
	v_bitop3_b32 v10, v8, s40, v8 bitop3:0x30
	v_and_b32_e32 v20, 1, v10
	v_lshl_add_u64 v[8:9], v[20:21], 0, -1
	v_cmp_ne_u32_e32 vcc, 0, v20
	v_lshlrev_b32_e32 v11, 4, v10
	s_waitcnt vmcnt(0)
	v_mov_b64_e32 v[0:1], v[32:33]
	v_xor_b32_e32 v9, vcc_hi, v9
	v_xor_b32_e32 v8, vcc_lo, v8
	v_and_b32_e32 v20, exec_hi, v9
	v_and_b32_e32 v27, exec_lo, v8
	v_lshlrev_b32_e32 v9, 30, v10
	v_mov_b32_e32 v8, v21
	v_cmp_gt_i64_e32 vcc, 0, v[8:9]
	v_not_b32_e32 v8, v9
	v_ashrrev_i32_e32 v8, 31, v8
	v_xor_b32_e32 v9, vcc_hi, v8
	v_xor_b32_e32 v8, vcc_lo, v8
	v_and_b32_e32 v20, v20, v9
	v_and_b32_e32 v27, v27, v8
	v_lshlrev_b32_e32 v9, 29, v10
	v_mov_b32_e32 v8, v21
	v_cmp_gt_i64_e32 vcc, 0, v[8:9]
	v_not_b32_e32 v8, v9
	v_ashrrev_i32_e32 v8, 31, v8
	v_xor_b32_e32 v9, vcc_hi, v8
	v_xor_b32_e32 v8, vcc_lo, v8
	v_and_b32_e32 v20, v20, v9
	v_and_b32_e32 v27, v27, v8
	;; [unrolled: 9-line block ×7, first 2 shown]
	v_mbcnt_lo_u32_b32 v10, v8, 0
	v_mbcnt_hi_u32_b32 v27, v9, v10
	v_cmp_eq_u32_e32 vcc, 0, v27
	v_cmp_ne_u64_e64 s[26:27], 0, v[8:9]
	v_mov_b64_e32 v[6:7], v[30:31]
	v_mov_b64_e32 v[2:3], v[34:35]
	s_and_b64 s[44:45], s[26:27], vcc
	v_add_u32_e32 v28, v15, v11
	ds_write2_b64 v13, v[16:17], v[18:19] offset0:2 offset1:3
	s_waitcnt lgkmcnt(0)
	s_barrier
	; wave barrier
	s_and_saveexec_b64 s[26:27], s[44:45]
; %bb.21:                               ;   in Loop: Header=BB601_20 Depth=1
	v_bcnt_u32_b32 v8, v8, 0
	v_bcnt_u32_b32 v8, v9, v8
	ds_write_b32 v28, v8 offset:16
; %bb.22:                               ;   in Loop: Header=BB601_20 Depth=1
	s_or_b64 exec, exec, s[26:27]
	s_not_b32 s40, s40
	v_lshrrev_b32_e32 v8, s34, v5
	v_and_b32_e32 v10, s40, v8
	v_lshlrev_b32_e32 v8, 4, v10
	v_and_b32_e32 v20, 1, v10
	v_add_u32_e32 v30, v15, v8
	v_lshl_add_u64 v[8:9], v[20:21], 0, -1
	v_cmp_ne_u32_e32 vcc, 0, v20
	; wave barrier
	s_nop 1
	v_xor_b32_e32 v9, vcc_hi, v9
	v_xor_b32_e32 v8, vcc_lo, v8
	v_and_b32_e32 v11, exec_hi, v9
	v_and_b32_e32 v20, exec_lo, v8
	v_lshlrev_b32_e32 v9, 30, v10
	v_mov_b32_e32 v8, v21
	v_cmp_gt_i64_e32 vcc, 0, v[8:9]
	v_not_b32_e32 v8, v9
	v_ashrrev_i32_e32 v8, 31, v8
	v_xor_b32_e32 v9, vcc_hi, v8
	v_xor_b32_e32 v8, vcc_lo, v8
	v_and_b32_e32 v11, v11, v9
	v_and_b32_e32 v20, v20, v8
	v_lshlrev_b32_e32 v9, 29, v10
	v_mov_b32_e32 v8, v21
	v_cmp_gt_i64_e32 vcc, 0, v[8:9]
	v_not_b32_e32 v8, v9
	v_ashrrev_i32_e32 v8, 31, v8
	v_xor_b32_e32 v9, vcc_hi, v8
	v_xor_b32_e32 v8, vcc_lo, v8
	v_and_b32_e32 v11, v11, v9
	v_and_b32_e32 v20, v20, v8
	;; [unrolled: 9-line block ×6, first 2 shown]
	v_lshlrev_b32_e32 v9, 24, v10
	v_mov_b32_e32 v8, v21
	v_cmp_gt_i64_e32 vcc, 0, v[8:9]
	v_not_b32_e32 v8, v9
	v_ashrrev_i32_e32 v8, 31, v8
	v_xor_b32_e32 v9, vcc_hi, v8
	v_xor_b32_e32 v8, vcc_lo, v8
	ds_read_b32 v29, v30 offset:16
	v_and_b32_e32 v8, v20, v8
	v_and_b32_e32 v9, v11, v9
	v_mbcnt_lo_u32_b32 v10, v8, 0
	v_mbcnt_hi_u32_b32 v31, v9, v10
	v_cmp_eq_u32_e32 vcc, 0, v31
	v_cmp_ne_u64_e64 s[26:27], 0, v[8:9]
	s_and_b64 s[44:45], s[26:27], vcc
	; wave barrier
	s_and_saveexec_b64 s[26:27], s[44:45]
	s_cbranch_execz .LBB601_24
; %bb.23:                               ;   in Loop: Header=BB601_20 Depth=1
	v_bcnt_u32_b32 v8, v8, 0
	v_bcnt_u32_b32 v8, v9, v8
	s_waitcnt lgkmcnt(0)
	v_add_u32_e32 v8, v29, v8
	ds_write_b32 v30, v8 offset:16
.LBB601_24:                             ;   in Loop: Header=BB601_20 Depth=1
	s_or_b64 exec, exec, s[26:27]
	v_lshrrev_b32_e32 v8, s34, v6
	v_and_b32_e32 v10, s40, v8
	v_lshlrev_b32_e32 v8, 4, v10
	v_and_b32_e32 v20, 1, v10
	v_add_u32_e32 v33, v15, v8
	v_lshl_add_u64 v[8:9], v[20:21], 0, -1
	v_cmp_ne_u32_e32 vcc, 0, v20
	; wave barrier
	s_nop 1
	v_xor_b32_e32 v9, vcc_hi, v9
	v_xor_b32_e32 v8, vcc_lo, v8
	v_and_b32_e32 v11, exec_hi, v9
	v_and_b32_e32 v20, exec_lo, v8
	v_lshlrev_b32_e32 v9, 30, v10
	v_mov_b32_e32 v8, v21
	v_cmp_gt_i64_e32 vcc, 0, v[8:9]
	v_not_b32_e32 v8, v9
	v_ashrrev_i32_e32 v8, 31, v8
	v_xor_b32_e32 v9, vcc_hi, v8
	v_xor_b32_e32 v8, vcc_lo, v8
	v_and_b32_e32 v11, v11, v9
	v_and_b32_e32 v20, v20, v8
	v_lshlrev_b32_e32 v9, 29, v10
	v_mov_b32_e32 v8, v21
	v_cmp_gt_i64_e32 vcc, 0, v[8:9]
	v_not_b32_e32 v8, v9
	v_ashrrev_i32_e32 v8, 31, v8
	v_xor_b32_e32 v9, vcc_hi, v8
	v_xor_b32_e32 v8, vcc_lo, v8
	v_and_b32_e32 v11, v11, v9
	v_and_b32_e32 v20, v20, v8
	v_lshlrev_b32_e32 v9, 28, v10
	v_mov_b32_e32 v8, v21
	v_cmp_gt_i64_e32 vcc, 0, v[8:9]
	v_not_b32_e32 v8, v9
	v_ashrrev_i32_e32 v8, 31, v8
	v_xor_b32_e32 v9, vcc_hi, v8
	v_xor_b32_e32 v8, vcc_lo, v8
	v_and_b32_e32 v11, v11, v9
	v_and_b32_e32 v20, v20, v8
	v_lshlrev_b32_e32 v9, 27, v10
	v_mov_b32_e32 v8, v21
	v_cmp_gt_i64_e32 vcc, 0, v[8:9]
	v_not_b32_e32 v8, v9
	v_ashrrev_i32_e32 v8, 31, v8
	v_xor_b32_e32 v9, vcc_hi, v8
	v_xor_b32_e32 v8, vcc_lo, v8
	v_and_b32_e32 v11, v11, v9
	v_and_b32_e32 v20, v20, v8
	v_lshlrev_b32_e32 v9, 26, v10
	v_mov_b32_e32 v8, v21
	v_cmp_gt_i64_e32 vcc, 0, v[8:9]
	v_not_b32_e32 v8, v9
	v_ashrrev_i32_e32 v8, 31, v8
	v_xor_b32_e32 v9, vcc_hi, v8
	v_xor_b32_e32 v8, vcc_lo, v8
	v_and_b32_e32 v11, v11, v9
	v_and_b32_e32 v20, v20, v8
	v_lshlrev_b32_e32 v9, 25, v10
	v_mov_b32_e32 v8, v21
	v_cmp_gt_i64_e32 vcc, 0, v[8:9]
	v_not_b32_e32 v8, v9
	v_ashrrev_i32_e32 v8, 31, v8
	v_xor_b32_e32 v9, vcc_hi, v8
	v_xor_b32_e32 v8, vcc_lo, v8
	v_and_b32_e32 v11, v11, v9
	v_and_b32_e32 v20, v20, v8
	v_lshlrev_b32_e32 v9, 24, v10
	v_mov_b32_e32 v8, v21
	v_cmp_gt_i64_e32 vcc, 0, v[8:9]
	v_not_b32_e32 v8, v9
	v_ashrrev_i32_e32 v8, 31, v8
	v_xor_b32_e32 v9, vcc_hi, v8
	v_xor_b32_e32 v8, vcc_lo, v8
	ds_read_b32 v32, v33 offset:16
	v_and_b32_e32 v8, v20, v8
	v_and_b32_e32 v9, v11, v9
	v_mbcnt_lo_u32_b32 v10, v8, 0
	v_mbcnt_hi_u32_b32 v34, v9, v10
	v_cmp_eq_u32_e32 vcc, 0, v34
	v_cmp_ne_u64_e64 s[26:27], 0, v[8:9]
	s_and_b64 s[44:45], s[26:27], vcc
	; wave barrier
	s_and_saveexec_b64 s[26:27], s[44:45]
	s_cbranch_execz .LBB601_26
; %bb.25:                               ;   in Loop: Header=BB601_20 Depth=1
	v_bcnt_u32_b32 v8, v8, 0
	v_bcnt_u32_b32 v8, v9, v8
	s_waitcnt lgkmcnt(0)
	v_add_u32_e32 v8, v32, v8
	ds_write_b32 v33, v8 offset:16
.LBB601_26:                             ;   in Loop: Header=BB601_20 Depth=1
	s_or_b64 exec, exec, s[26:27]
	v_lshrrev_b32_e32 v8, s34, v7
	v_and_b32_e32 v10, s40, v8
	v_lshlrev_b32_e32 v8, 4, v10
	v_and_b32_e32 v20, 1, v10
	v_add_u32_e32 v36, v15, v8
	v_lshl_add_u64 v[8:9], v[20:21], 0, -1
	v_cmp_ne_u32_e32 vcc, 0, v20
	; wave barrier
	s_nop 1
	v_xor_b32_e32 v9, vcc_hi, v9
	v_xor_b32_e32 v8, vcc_lo, v8
	v_and_b32_e32 v11, exec_hi, v9
	v_and_b32_e32 v20, exec_lo, v8
	v_lshlrev_b32_e32 v9, 30, v10
	v_mov_b32_e32 v8, v21
	v_cmp_gt_i64_e32 vcc, 0, v[8:9]
	v_not_b32_e32 v8, v9
	v_ashrrev_i32_e32 v8, 31, v8
	v_xor_b32_e32 v9, vcc_hi, v8
	v_xor_b32_e32 v8, vcc_lo, v8
	v_and_b32_e32 v11, v11, v9
	v_and_b32_e32 v20, v20, v8
	v_lshlrev_b32_e32 v9, 29, v10
	v_mov_b32_e32 v8, v21
	v_cmp_gt_i64_e32 vcc, 0, v[8:9]
	v_not_b32_e32 v8, v9
	v_ashrrev_i32_e32 v8, 31, v8
	v_xor_b32_e32 v9, vcc_hi, v8
	v_xor_b32_e32 v8, vcc_lo, v8
	v_and_b32_e32 v11, v11, v9
	v_and_b32_e32 v20, v20, v8
	;; [unrolled: 9-line block ×6, first 2 shown]
	v_lshlrev_b32_e32 v9, 24, v10
	v_mov_b32_e32 v8, v21
	v_cmp_gt_i64_e32 vcc, 0, v[8:9]
	v_not_b32_e32 v8, v9
	v_ashrrev_i32_e32 v8, 31, v8
	v_xor_b32_e32 v9, vcc_hi, v8
	v_xor_b32_e32 v8, vcc_lo, v8
	ds_read_b32 v35, v36 offset:16
	v_and_b32_e32 v8, v20, v8
	v_and_b32_e32 v9, v11, v9
	v_mbcnt_lo_u32_b32 v10, v8, 0
	v_mbcnt_hi_u32_b32 v20, v9, v10
	v_cmp_eq_u32_e32 vcc, 0, v20
	v_cmp_ne_u64_e64 s[26:27], 0, v[8:9]
	s_and_b64 s[40:41], s[26:27], vcc
	; wave barrier
	s_and_saveexec_b64 s[26:27], s[40:41]
	s_cbranch_execz .LBB601_28
; %bb.27:                               ;   in Loop: Header=BB601_20 Depth=1
	v_bcnt_u32_b32 v8, v8, 0
	v_bcnt_u32_b32 v8, v9, v8
	s_waitcnt lgkmcnt(0)
	v_add_u32_e32 v8, v35, v8
	ds_write_b32 v36, v8 offset:16
.LBB601_28:                             ;   in Loop: Header=BB601_20 Depth=1
	s_or_b64 exec, exec, s[26:27]
	; wave barrier
	s_waitcnt lgkmcnt(0)
	s_barrier
	ds_read2_b64 v[8:11], v13 offset0:2 offset1:3
	s_waitcnt lgkmcnt(0)
	v_add_u32_e32 v37, v9, v8
	v_add3_u32 v11, v37, v10, v11
	s_nop 1
	v_mov_b32_dpp v37, v11 row_shr:1 row_mask:0xf bank_mask:0xf
	v_cndmask_b32_e64 v37, v37, 0, s[0:1]
	v_add_u32_e32 v11, v37, v11
	s_nop 1
	v_mov_b32_dpp v37, v11 row_shr:2 row_mask:0xf bank_mask:0xf
	v_cndmask_b32_e64 v37, 0, v37, s[2:3]
	v_add_u32_e32 v11, v11, v37
	;; [unrolled: 4-line block ×4, first 2 shown]
	s_nop 1
	v_mov_b32_dpp v37, v11 row_bcast:15 row_mask:0xf bank_mask:0xf
	v_cndmask_b32_e64 v37, v37, 0, s[8:9]
	v_add_u32_e32 v11, v11, v37
	s_nop 1
	v_mov_b32_dpp v37, v11 row_bcast:31 row_mask:0xf bank_mask:0xf
	v_cndmask_b32_e64 v37, 0, v37, s[10:11]
	v_add_u32_e32 v11, v11, v37
	s_and_saveexec_b64 s[26:27], s[12:13]
; %bb.29:                               ;   in Loop: Header=BB601_20 Depth=1
	ds_write_b32 v24, v11
; %bb.30:                               ;   in Loop: Header=BB601_20 Depth=1
	s_or_b64 exec, exec, s[26:27]
	s_waitcnt lgkmcnt(0)
	s_barrier
	s_and_saveexec_b64 s[26:27], s[14:15]
	s_cbranch_execz .LBB601_32
; %bb.31:                               ;   in Loop: Header=BB601_20 Depth=1
	v_add_u32_e32 v37, v13, v22
	ds_read_b32 v38, v37
	s_waitcnt lgkmcnt(0)
	s_nop 0
	v_mov_b32_dpp v39, v38 row_shr:1 row_mask:0xf bank_mask:0xf
	v_cndmask_b32_e64 v39, v39, 0, s[22:23]
	v_add_u32_e32 v38, v39, v38
	s_nop 1
	v_mov_b32_dpp v39, v38 row_shr:2 row_mask:0xf bank_mask:0xf
	v_cndmask_b32_e64 v39, 0, v39, s[24:25]
	v_add_u32_e32 v38, v38, v39
	ds_write_b32 v37, v38
.LBB601_32:                             ;   in Loop: Header=BB601_20 Depth=1
	s_or_b64 exec, exec, s[26:27]
	v_mov_b32_e32 v37, 0
	s_waitcnt lgkmcnt(0)
	s_barrier
	s_and_saveexec_b64 s[26:27], s[16:17]
; %bb.33:                               ;   in Loop: Header=BB601_20 Depth=1
	ds_read_b32 v37, v25
; %bb.34:                               ;   in Loop: Header=BB601_20 Depth=1
	s_or_b64 exec, exec, s[26:27]
	s_waitcnt lgkmcnt(0)
	v_add_u32_e32 v11, v37, v11
	ds_bpermute_b32 v11, v23, v11
	v_lshlrev_b32_e32 v27, 2, v27
	s_add_i32 s34, s34, 8
	v_lshlrev_b32_e32 v20, 2, v20
	s_cmp_ge_u32 s34, s36
	s_waitcnt lgkmcnt(0)
	v_cndmask_b32_e64 v11, v11, v37, s[18:19]
	v_cndmask_b32_e64 v38, v11, 0, s[20:21]
	v_add_u32_e32 v39, v38, v8
	v_add_u32_e32 v8, v39, v9
	;; [unrolled: 1-line block ×3, first 2 shown]
	ds_write2_b64 v13, v[38:39], v[8:9] offset0:2 offset1:3
	s_waitcnt lgkmcnt(0)
	s_barrier
	ds_read_b32 v8, v28 offset:16
	ds_read_b32 v9, v30 offset:16
	;; [unrolled: 1-line block ×4, first 2 shown]
	v_lshlrev_b32_e32 v28, 2, v29
	s_waitcnt lgkmcnt(3)
	v_lshl_add_u32 v8, v8, 2, v27
	v_lshlrev_b32_e32 v27, 2, v31
	s_waitcnt lgkmcnt(2)
	v_lshlrev_b32_e32 v9, 2, v9
	v_add3_u32 v9, v27, v28, v9
	v_lshlrev_b32_e32 v27, 2, v34
	v_lshlrev_b32_e32 v28, 2, v32
	s_waitcnt lgkmcnt(1)
	v_lshlrev_b32_e32 v10, 2, v10
	v_add3_u32 v10, v27, v28, v10
	v_lshlrev_b32_e32 v27, 2, v35
	s_waitcnt lgkmcnt(0)
	v_lshlrev_b32_e32 v11, 2, v11
	v_add3_u32 v11, v20, v27, v11
	s_mov_b64 s[26:27], -1
                                        ; implicit-def: $vgpr28_vgpr29_vgpr30_vgpr31
                                        ; implicit-def: $vgpr32_vgpr33_vgpr34_vgpr35
	s_cbranch_scc1 .LBB601_19
; %bb.35:                               ;   in Loop: Header=BB601_20 Depth=1
	s_barrier
	ds_write_b32 v8, v4
	ds_write_b32 v9, v5
	ds_write_b32 v10, v6
	ds_write_b32 v11, v7
	s_waitcnt lgkmcnt(0)
	s_barrier
	ds_read2st64_b32 v[28:29], v26 offset1:1
	ds_read2st64_b32 v[30:31], v26 offset0:2 offset1:3
	s_waitcnt lgkmcnt(0)
	s_barrier
	ds_write_b32 v8, v0
	ds_write_b32 v9, v1
	;; [unrolled: 1-line block ×4, first 2 shown]
	s_waitcnt lgkmcnt(0)
	s_barrier
	ds_read2st64_b32 v[32:33], v26 offset1:1
	ds_read2st64_b32 v[34:35], v26 offset0:2 offset1:3
	s_add_i32 s35, s35, -8
	s_mov_b64 s[26:27], 0
	s_waitcnt lgkmcnt(0)
	s_barrier
	s_branch .LBB601_19
.LBB601_36:
	v_add_u32_e32 v13, v13, v22
	s_barrier
	ds_write_b32 v8, v4
	ds_write_b32 v9, v5
	ds_write_b32 v10, v6
	ds_write_b32 v11, v7
	s_waitcnt lgkmcnt(0)
	s_barrier
	ds_read2st64_b32 v[6:7], v13 offset1:4
	ds_read2st64_b32 v[4:5], v13 offset0:8 offset1:12
	s_waitcnt lgkmcnt(0)
	s_barrier
	ds_write_b32 v8, v0
	ds_write_b32 v9, v1
	ds_write_b32 v10, v2
	ds_write_b32 v11, v3
	s_waitcnt lgkmcnt(0)
	s_barrier
	ds_read2st64_b32 v[2:3], v13 offset1:4
	ds_read2st64_b32 v[0:1], v13 offset0:8 offset1:12
	s_add_u32 s0, s38, s28
	s_addc_u32 s1, s39, s29
	v_mov_b32_e32 v13, 0
	s_andn2_b64 vcc, exec, s[30:31]
	v_lshl_add_u64 v[8:9], s[0:1], 0, v[12:13]
	s_cbranch_vccnz .LBB601_38
; %bb.37:
	s_add_u32 s0, s42, s28
	s_addc_u32 s1, s43, s29
	global_store_dword v[8:9], v6, off
	global_store_dword v[8:9], v7, off offset:1024
	global_store_dword v[8:9], v4, off offset:2048
	;; [unrolled: 1-line block ×3, first 2 shown]
	s_waitcnt lgkmcnt(1)
	global_store_dword v12, v2, s[0:1]
	global_store_dword v12, v3, s[0:1] offset:1024
	s_waitcnt lgkmcnt(0)
	global_store_dword v12, v0, s[0:1] offset:2048
	s_mov_b64 s[4:5], -1
	s_cbranch_execz .LBB601_39
	s_branch .LBB601_52
.LBB601_38:
	s_mov_b64 s[4:5], 0
.LBB601_39:
	v_cmp_gt_u32_e32 vcc, s33, v14
	s_and_saveexec_b64 s[0:1], vcc
	s_cbranch_execz .LBB601_41
; %bb.40:
	global_store_dword v[8:9], v6, off
.LBB601_41:
	s_or_b64 exec, exec, s[0:1]
	v_add_u32_e32 v6, 0x100, v14
	v_cmp_gt_u32_e64 s[0:1], s33, v6
	s_and_saveexec_b64 s[2:3], s[0:1]
	s_cbranch_execz .LBB601_43
; %bb.42:
	global_store_dword v[8:9], v7, off offset:1024
.LBB601_43:
	s_or_b64 exec, exec, s[2:3]
	v_add_u32_e32 v6, 0x200, v14
	v_cmp_gt_u32_e64 s[2:3], s33, v6
	s_and_saveexec_b64 s[4:5], s[2:3]
	s_cbranch_execz .LBB601_45
; %bb.44:
	global_store_dword v[8:9], v4, off offset:2048
.LBB601_45:
	;; [unrolled: 8-line block ×3, first 2 shown]
	s_or_b64 exec, exec, s[6:7]
	s_add_u32 s6, s42, s28
	s_addc_u32 s7, s43, s29
	v_mov_b32_e32 v13, 0
	v_lshl_add_u64 v[4:5], s[6:7], 0, v[12:13]
	s_and_saveexec_b64 s[6:7], vcc
	s_cbranch_execnz .LBB601_57
; %bb.48:
	s_or_b64 exec, exec, s[6:7]
	s_and_saveexec_b64 s[6:7], s[0:1]
	s_cbranch_execnz .LBB601_58
.LBB601_49:
	s_or_b64 exec, exec, s[6:7]
	s_and_saveexec_b64 s[0:1], s[2:3]
	s_cbranch_execz .LBB601_51
.LBB601_50:
	s_waitcnt lgkmcnt(0)
	global_store_dword v[4:5], v0, off offset:2048
.LBB601_51:
	s_or_b64 exec, exec, s[0:1]
.LBB601_52:
	s_and_saveexec_b64 s[0:1], s[4:5]
	s_cbranch_execnz .LBB601_54
; %bb.53:
	s_endpgm
.LBB601_54:
	s_add_u32 s0, s42, s28
	s_addc_u32 s1, s43, s29
	s_waitcnt lgkmcnt(0)
	global_store_dword v12, v1, s[0:1] offset:3072
	s_endpgm
.LBB601_55:
	global_load_dword v32, v[6:7], off
	v_mov_b32_e32 v33, v5
	v_mov_b32_e32 v34, v5
	;; [unrolled: 1-line block ×3, first 2 shown]
	s_or_b64 exec, exec, s[8:9]
	s_and_saveexec_b64 s[8:9], s[2:3]
	s_cbranch_execz .LBB601_13
.LBB601_56:
	global_load_dword v33, v[6:7], off offset:256
	s_or_b64 exec, exec, s[8:9]
	s_and_saveexec_b64 s[2:3], s[4:5]
	s_cbranch_execnz .LBB601_14
	s_branch .LBB601_15
.LBB601_57:
	s_waitcnt lgkmcnt(1)
	global_store_dword v[4:5], v2, off
	s_or_b64 exec, exec, s[6:7]
	s_and_saveexec_b64 s[6:7], s[0:1]
	s_cbranch_execz .LBB601_49
.LBB601_58:
	s_waitcnt lgkmcnt(1)
	global_store_dword v[4:5], v3, off offset:1024
	s_or_b64 exec, exec, s[6:7]
	s_and_saveexec_b64 s[0:1], s[2:3]
	s_cbranch_execnz .LBB601_50
	s_branch .LBB601_51
	.section	.rodata,"a",@progbits
	.p2align	6, 0x0
	.amdhsa_kernel _ZN7rocprim17ROCPRIM_400000_NS6detail17trampoline_kernelINS0_13kernel_configILj256ELj4ELj4294967295EEENS1_37radix_sort_block_sort_config_selectorIjjEEZNS1_21radix_sort_block_sortIS4_Lb0EN6thrust23THRUST_200600_302600_NS6detail15normal_iteratorINS9_10device_ptrIjEEEESE_SE_SE_NS0_19identity_decomposerEEE10hipError_tT1_T2_T3_T4_jRjT5_jjP12ihipStream_tbEUlT_E_NS1_11comp_targetILNS1_3genE0ELNS1_11target_archE4294967295ELNS1_3gpuE0ELNS1_3repE0EEENS1_44radix_sort_block_sort_config_static_selectorELNS0_4arch9wavefront6targetE1EEEvSH_
		.amdhsa_group_segment_fixed_size 4112
		.amdhsa_private_segment_fixed_size 0
		.amdhsa_kernarg_size 304
		.amdhsa_user_sgpr_count 2
		.amdhsa_user_sgpr_dispatch_ptr 0
		.amdhsa_user_sgpr_queue_ptr 0
		.amdhsa_user_sgpr_kernarg_segment_ptr 1
		.amdhsa_user_sgpr_dispatch_id 0
		.amdhsa_user_sgpr_kernarg_preload_length 0
		.amdhsa_user_sgpr_kernarg_preload_offset 0
		.amdhsa_user_sgpr_private_segment_size 0
		.amdhsa_uses_dynamic_stack 0
		.amdhsa_enable_private_segment 0
		.amdhsa_system_sgpr_workgroup_id_x 1
		.amdhsa_system_sgpr_workgroup_id_y 0
		.amdhsa_system_sgpr_workgroup_id_z 0
		.amdhsa_system_sgpr_workgroup_info 0
		.amdhsa_system_vgpr_workitem_id 2
		.amdhsa_next_free_vgpr 40
		.amdhsa_next_free_sgpr 46
		.amdhsa_accum_offset 40
		.amdhsa_reserve_vcc 1
		.amdhsa_float_round_mode_32 0
		.amdhsa_float_round_mode_16_64 0
		.amdhsa_float_denorm_mode_32 3
		.amdhsa_float_denorm_mode_16_64 3
		.amdhsa_dx10_clamp 1
		.amdhsa_ieee_mode 1
		.amdhsa_fp16_overflow 0
		.amdhsa_tg_split 0
		.amdhsa_exception_fp_ieee_invalid_op 0
		.amdhsa_exception_fp_denorm_src 0
		.amdhsa_exception_fp_ieee_div_zero 0
		.amdhsa_exception_fp_ieee_overflow 0
		.amdhsa_exception_fp_ieee_underflow 0
		.amdhsa_exception_fp_ieee_inexact 0
		.amdhsa_exception_int_div_zero 0
	.end_amdhsa_kernel
	.section	.text._ZN7rocprim17ROCPRIM_400000_NS6detail17trampoline_kernelINS0_13kernel_configILj256ELj4ELj4294967295EEENS1_37radix_sort_block_sort_config_selectorIjjEEZNS1_21radix_sort_block_sortIS4_Lb0EN6thrust23THRUST_200600_302600_NS6detail15normal_iteratorINS9_10device_ptrIjEEEESE_SE_SE_NS0_19identity_decomposerEEE10hipError_tT1_T2_T3_T4_jRjT5_jjP12ihipStream_tbEUlT_E_NS1_11comp_targetILNS1_3genE0ELNS1_11target_archE4294967295ELNS1_3gpuE0ELNS1_3repE0EEENS1_44radix_sort_block_sort_config_static_selectorELNS0_4arch9wavefront6targetE1EEEvSH_,"axG",@progbits,_ZN7rocprim17ROCPRIM_400000_NS6detail17trampoline_kernelINS0_13kernel_configILj256ELj4ELj4294967295EEENS1_37radix_sort_block_sort_config_selectorIjjEEZNS1_21radix_sort_block_sortIS4_Lb0EN6thrust23THRUST_200600_302600_NS6detail15normal_iteratorINS9_10device_ptrIjEEEESE_SE_SE_NS0_19identity_decomposerEEE10hipError_tT1_T2_T3_T4_jRjT5_jjP12ihipStream_tbEUlT_E_NS1_11comp_targetILNS1_3genE0ELNS1_11target_archE4294967295ELNS1_3gpuE0ELNS1_3repE0EEENS1_44radix_sort_block_sort_config_static_selectorELNS0_4arch9wavefront6targetE1EEEvSH_,comdat
.Lfunc_end601:
	.size	_ZN7rocprim17ROCPRIM_400000_NS6detail17trampoline_kernelINS0_13kernel_configILj256ELj4ELj4294967295EEENS1_37radix_sort_block_sort_config_selectorIjjEEZNS1_21radix_sort_block_sortIS4_Lb0EN6thrust23THRUST_200600_302600_NS6detail15normal_iteratorINS9_10device_ptrIjEEEESE_SE_SE_NS0_19identity_decomposerEEE10hipError_tT1_T2_T3_T4_jRjT5_jjP12ihipStream_tbEUlT_E_NS1_11comp_targetILNS1_3genE0ELNS1_11target_archE4294967295ELNS1_3gpuE0ELNS1_3repE0EEENS1_44radix_sort_block_sort_config_static_selectorELNS0_4arch9wavefront6targetE1EEEvSH_, .Lfunc_end601-_ZN7rocprim17ROCPRIM_400000_NS6detail17trampoline_kernelINS0_13kernel_configILj256ELj4ELj4294967295EEENS1_37radix_sort_block_sort_config_selectorIjjEEZNS1_21radix_sort_block_sortIS4_Lb0EN6thrust23THRUST_200600_302600_NS6detail15normal_iteratorINS9_10device_ptrIjEEEESE_SE_SE_NS0_19identity_decomposerEEE10hipError_tT1_T2_T3_T4_jRjT5_jjP12ihipStream_tbEUlT_E_NS1_11comp_targetILNS1_3genE0ELNS1_11target_archE4294967295ELNS1_3gpuE0ELNS1_3repE0EEENS1_44radix_sort_block_sort_config_static_selectorELNS0_4arch9wavefront6targetE1EEEvSH_
                                        ; -- End function
	.set _ZN7rocprim17ROCPRIM_400000_NS6detail17trampoline_kernelINS0_13kernel_configILj256ELj4ELj4294967295EEENS1_37radix_sort_block_sort_config_selectorIjjEEZNS1_21radix_sort_block_sortIS4_Lb0EN6thrust23THRUST_200600_302600_NS6detail15normal_iteratorINS9_10device_ptrIjEEEESE_SE_SE_NS0_19identity_decomposerEEE10hipError_tT1_T2_T3_T4_jRjT5_jjP12ihipStream_tbEUlT_E_NS1_11comp_targetILNS1_3genE0ELNS1_11target_archE4294967295ELNS1_3gpuE0ELNS1_3repE0EEENS1_44radix_sort_block_sort_config_static_selectorELNS0_4arch9wavefront6targetE1EEEvSH_.num_vgpr, 40
	.set _ZN7rocprim17ROCPRIM_400000_NS6detail17trampoline_kernelINS0_13kernel_configILj256ELj4ELj4294967295EEENS1_37radix_sort_block_sort_config_selectorIjjEEZNS1_21radix_sort_block_sortIS4_Lb0EN6thrust23THRUST_200600_302600_NS6detail15normal_iteratorINS9_10device_ptrIjEEEESE_SE_SE_NS0_19identity_decomposerEEE10hipError_tT1_T2_T3_T4_jRjT5_jjP12ihipStream_tbEUlT_E_NS1_11comp_targetILNS1_3genE0ELNS1_11target_archE4294967295ELNS1_3gpuE0ELNS1_3repE0EEENS1_44radix_sort_block_sort_config_static_selectorELNS0_4arch9wavefront6targetE1EEEvSH_.num_agpr, 0
	.set _ZN7rocprim17ROCPRIM_400000_NS6detail17trampoline_kernelINS0_13kernel_configILj256ELj4ELj4294967295EEENS1_37radix_sort_block_sort_config_selectorIjjEEZNS1_21radix_sort_block_sortIS4_Lb0EN6thrust23THRUST_200600_302600_NS6detail15normal_iteratorINS9_10device_ptrIjEEEESE_SE_SE_NS0_19identity_decomposerEEE10hipError_tT1_T2_T3_T4_jRjT5_jjP12ihipStream_tbEUlT_E_NS1_11comp_targetILNS1_3genE0ELNS1_11target_archE4294967295ELNS1_3gpuE0ELNS1_3repE0EEENS1_44radix_sort_block_sort_config_static_selectorELNS0_4arch9wavefront6targetE1EEEvSH_.numbered_sgpr, 46
	.set _ZN7rocprim17ROCPRIM_400000_NS6detail17trampoline_kernelINS0_13kernel_configILj256ELj4ELj4294967295EEENS1_37radix_sort_block_sort_config_selectorIjjEEZNS1_21radix_sort_block_sortIS4_Lb0EN6thrust23THRUST_200600_302600_NS6detail15normal_iteratorINS9_10device_ptrIjEEEESE_SE_SE_NS0_19identity_decomposerEEE10hipError_tT1_T2_T3_T4_jRjT5_jjP12ihipStream_tbEUlT_E_NS1_11comp_targetILNS1_3genE0ELNS1_11target_archE4294967295ELNS1_3gpuE0ELNS1_3repE0EEENS1_44radix_sort_block_sort_config_static_selectorELNS0_4arch9wavefront6targetE1EEEvSH_.num_named_barrier, 0
	.set _ZN7rocprim17ROCPRIM_400000_NS6detail17trampoline_kernelINS0_13kernel_configILj256ELj4ELj4294967295EEENS1_37radix_sort_block_sort_config_selectorIjjEEZNS1_21radix_sort_block_sortIS4_Lb0EN6thrust23THRUST_200600_302600_NS6detail15normal_iteratorINS9_10device_ptrIjEEEESE_SE_SE_NS0_19identity_decomposerEEE10hipError_tT1_T2_T3_T4_jRjT5_jjP12ihipStream_tbEUlT_E_NS1_11comp_targetILNS1_3genE0ELNS1_11target_archE4294967295ELNS1_3gpuE0ELNS1_3repE0EEENS1_44radix_sort_block_sort_config_static_selectorELNS0_4arch9wavefront6targetE1EEEvSH_.private_seg_size, 0
	.set _ZN7rocprim17ROCPRIM_400000_NS6detail17trampoline_kernelINS0_13kernel_configILj256ELj4ELj4294967295EEENS1_37radix_sort_block_sort_config_selectorIjjEEZNS1_21radix_sort_block_sortIS4_Lb0EN6thrust23THRUST_200600_302600_NS6detail15normal_iteratorINS9_10device_ptrIjEEEESE_SE_SE_NS0_19identity_decomposerEEE10hipError_tT1_T2_T3_T4_jRjT5_jjP12ihipStream_tbEUlT_E_NS1_11comp_targetILNS1_3genE0ELNS1_11target_archE4294967295ELNS1_3gpuE0ELNS1_3repE0EEENS1_44radix_sort_block_sort_config_static_selectorELNS0_4arch9wavefront6targetE1EEEvSH_.uses_vcc, 1
	.set _ZN7rocprim17ROCPRIM_400000_NS6detail17trampoline_kernelINS0_13kernel_configILj256ELj4ELj4294967295EEENS1_37radix_sort_block_sort_config_selectorIjjEEZNS1_21radix_sort_block_sortIS4_Lb0EN6thrust23THRUST_200600_302600_NS6detail15normal_iteratorINS9_10device_ptrIjEEEESE_SE_SE_NS0_19identity_decomposerEEE10hipError_tT1_T2_T3_T4_jRjT5_jjP12ihipStream_tbEUlT_E_NS1_11comp_targetILNS1_3genE0ELNS1_11target_archE4294967295ELNS1_3gpuE0ELNS1_3repE0EEENS1_44radix_sort_block_sort_config_static_selectorELNS0_4arch9wavefront6targetE1EEEvSH_.uses_flat_scratch, 0
	.set _ZN7rocprim17ROCPRIM_400000_NS6detail17trampoline_kernelINS0_13kernel_configILj256ELj4ELj4294967295EEENS1_37radix_sort_block_sort_config_selectorIjjEEZNS1_21radix_sort_block_sortIS4_Lb0EN6thrust23THRUST_200600_302600_NS6detail15normal_iteratorINS9_10device_ptrIjEEEESE_SE_SE_NS0_19identity_decomposerEEE10hipError_tT1_T2_T3_T4_jRjT5_jjP12ihipStream_tbEUlT_E_NS1_11comp_targetILNS1_3genE0ELNS1_11target_archE4294967295ELNS1_3gpuE0ELNS1_3repE0EEENS1_44radix_sort_block_sort_config_static_selectorELNS0_4arch9wavefront6targetE1EEEvSH_.has_dyn_sized_stack, 0
	.set _ZN7rocprim17ROCPRIM_400000_NS6detail17trampoline_kernelINS0_13kernel_configILj256ELj4ELj4294967295EEENS1_37radix_sort_block_sort_config_selectorIjjEEZNS1_21radix_sort_block_sortIS4_Lb0EN6thrust23THRUST_200600_302600_NS6detail15normal_iteratorINS9_10device_ptrIjEEEESE_SE_SE_NS0_19identity_decomposerEEE10hipError_tT1_T2_T3_T4_jRjT5_jjP12ihipStream_tbEUlT_E_NS1_11comp_targetILNS1_3genE0ELNS1_11target_archE4294967295ELNS1_3gpuE0ELNS1_3repE0EEENS1_44radix_sort_block_sort_config_static_selectorELNS0_4arch9wavefront6targetE1EEEvSH_.has_recursion, 0
	.set _ZN7rocprim17ROCPRIM_400000_NS6detail17trampoline_kernelINS0_13kernel_configILj256ELj4ELj4294967295EEENS1_37radix_sort_block_sort_config_selectorIjjEEZNS1_21radix_sort_block_sortIS4_Lb0EN6thrust23THRUST_200600_302600_NS6detail15normal_iteratorINS9_10device_ptrIjEEEESE_SE_SE_NS0_19identity_decomposerEEE10hipError_tT1_T2_T3_T4_jRjT5_jjP12ihipStream_tbEUlT_E_NS1_11comp_targetILNS1_3genE0ELNS1_11target_archE4294967295ELNS1_3gpuE0ELNS1_3repE0EEENS1_44radix_sort_block_sort_config_static_selectorELNS0_4arch9wavefront6targetE1EEEvSH_.has_indirect_call, 0
	.section	.AMDGPU.csdata,"",@progbits
; Kernel info:
; codeLenInByte = 3748
; TotalNumSgprs: 52
; NumVgprs: 40
; NumAgprs: 0
; TotalNumVgprs: 40
; ScratchSize: 0
; MemoryBound: 0
; FloatMode: 240
; IeeeMode: 1
; LDSByteSize: 4112 bytes/workgroup (compile time only)
; SGPRBlocks: 6
; VGPRBlocks: 4
; NumSGPRsForWavesPerEU: 52
; NumVGPRsForWavesPerEU: 40
; AccumOffset: 40
; Occupancy: 8
; WaveLimiterHint : 1
; COMPUTE_PGM_RSRC2:SCRATCH_EN: 0
; COMPUTE_PGM_RSRC2:USER_SGPR: 2
; COMPUTE_PGM_RSRC2:TRAP_HANDLER: 0
; COMPUTE_PGM_RSRC2:TGID_X_EN: 1
; COMPUTE_PGM_RSRC2:TGID_Y_EN: 0
; COMPUTE_PGM_RSRC2:TGID_Z_EN: 0
; COMPUTE_PGM_RSRC2:TIDIG_COMP_CNT: 2
; COMPUTE_PGM_RSRC3_GFX90A:ACCUM_OFFSET: 9
; COMPUTE_PGM_RSRC3_GFX90A:TG_SPLIT: 0
	.section	.text._ZN7rocprim17ROCPRIM_400000_NS6detail17trampoline_kernelINS0_13kernel_configILj256ELj4ELj4294967295EEENS1_37radix_sort_block_sort_config_selectorIjjEEZNS1_21radix_sort_block_sortIS4_Lb0EN6thrust23THRUST_200600_302600_NS6detail15normal_iteratorINS9_10device_ptrIjEEEESE_SE_SE_NS0_19identity_decomposerEEE10hipError_tT1_T2_T3_T4_jRjT5_jjP12ihipStream_tbEUlT_E_NS1_11comp_targetILNS1_3genE5ELNS1_11target_archE942ELNS1_3gpuE9ELNS1_3repE0EEENS1_44radix_sort_block_sort_config_static_selectorELNS0_4arch9wavefront6targetE1EEEvSH_,"axG",@progbits,_ZN7rocprim17ROCPRIM_400000_NS6detail17trampoline_kernelINS0_13kernel_configILj256ELj4ELj4294967295EEENS1_37radix_sort_block_sort_config_selectorIjjEEZNS1_21radix_sort_block_sortIS4_Lb0EN6thrust23THRUST_200600_302600_NS6detail15normal_iteratorINS9_10device_ptrIjEEEESE_SE_SE_NS0_19identity_decomposerEEE10hipError_tT1_T2_T3_T4_jRjT5_jjP12ihipStream_tbEUlT_E_NS1_11comp_targetILNS1_3genE5ELNS1_11target_archE942ELNS1_3gpuE9ELNS1_3repE0EEENS1_44radix_sort_block_sort_config_static_selectorELNS0_4arch9wavefront6targetE1EEEvSH_,comdat
	.protected	_ZN7rocprim17ROCPRIM_400000_NS6detail17trampoline_kernelINS0_13kernel_configILj256ELj4ELj4294967295EEENS1_37radix_sort_block_sort_config_selectorIjjEEZNS1_21radix_sort_block_sortIS4_Lb0EN6thrust23THRUST_200600_302600_NS6detail15normal_iteratorINS9_10device_ptrIjEEEESE_SE_SE_NS0_19identity_decomposerEEE10hipError_tT1_T2_T3_T4_jRjT5_jjP12ihipStream_tbEUlT_E_NS1_11comp_targetILNS1_3genE5ELNS1_11target_archE942ELNS1_3gpuE9ELNS1_3repE0EEENS1_44radix_sort_block_sort_config_static_selectorELNS0_4arch9wavefront6targetE1EEEvSH_ ; -- Begin function _ZN7rocprim17ROCPRIM_400000_NS6detail17trampoline_kernelINS0_13kernel_configILj256ELj4ELj4294967295EEENS1_37radix_sort_block_sort_config_selectorIjjEEZNS1_21radix_sort_block_sortIS4_Lb0EN6thrust23THRUST_200600_302600_NS6detail15normal_iteratorINS9_10device_ptrIjEEEESE_SE_SE_NS0_19identity_decomposerEEE10hipError_tT1_T2_T3_T4_jRjT5_jjP12ihipStream_tbEUlT_E_NS1_11comp_targetILNS1_3genE5ELNS1_11target_archE942ELNS1_3gpuE9ELNS1_3repE0EEENS1_44radix_sort_block_sort_config_static_selectorELNS0_4arch9wavefront6targetE1EEEvSH_
	.globl	_ZN7rocprim17ROCPRIM_400000_NS6detail17trampoline_kernelINS0_13kernel_configILj256ELj4ELj4294967295EEENS1_37radix_sort_block_sort_config_selectorIjjEEZNS1_21radix_sort_block_sortIS4_Lb0EN6thrust23THRUST_200600_302600_NS6detail15normal_iteratorINS9_10device_ptrIjEEEESE_SE_SE_NS0_19identity_decomposerEEE10hipError_tT1_T2_T3_T4_jRjT5_jjP12ihipStream_tbEUlT_E_NS1_11comp_targetILNS1_3genE5ELNS1_11target_archE942ELNS1_3gpuE9ELNS1_3repE0EEENS1_44radix_sort_block_sort_config_static_selectorELNS0_4arch9wavefront6targetE1EEEvSH_
	.p2align	8
	.type	_ZN7rocprim17ROCPRIM_400000_NS6detail17trampoline_kernelINS0_13kernel_configILj256ELj4ELj4294967295EEENS1_37radix_sort_block_sort_config_selectorIjjEEZNS1_21radix_sort_block_sortIS4_Lb0EN6thrust23THRUST_200600_302600_NS6detail15normal_iteratorINS9_10device_ptrIjEEEESE_SE_SE_NS0_19identity_decomposerEEE10hipError_tT1_T2_T3_T4_jRjT5_jjP12ihipStream_tbEUlT_E_NS1_11comp_targetILNS1_3genE5ELNS1_11target_archE942ELNS1_3gpuE9ELNS1_3repE0EEENS1_44radix_sort_block_sort_config_static_selectorELNS0_4arch9wavefront6targetE1EEEvSH_,@function
_ZN7rocprim17ROCPRIM_400000_NS6detail17trampoline_kernelINS0_13kernel_configILj256ELj4ELj4294967295EEENS1_37radix_sort_block_sort_config_selectorIjjEEZNS1_21radix_sort_block_sortIS4_Lb0EN6thrust23THRUST_200600_302600_NS6detail15normal_iteratorINS9_10device_ptrIjEEEESE_SE_SE_NS0_19identity_decomposerEEE10hipError_tT1_T2_T3_T4_jRjT5_jjP12ihipStream_tbEUlT_E_NS1_11comp_targetILNS1_3genE5ELNS1_11target_archE942ELNS1_3gpuE9ELNS1_3repE0EEENS1_44radix_sort_block_sort_config_static_selectorELNS0_4arch9wavefront6targetE1EEEvSH_: ; @_ZN7rocprim17ROCPRIM_400000_NS6detail17trampoline_kernelINS0_13kernel_configILj256ELj4ELj4294967295EEENS1_37radix_sort_block_sort_config_selectorIjjEEZNS1_21radix_sort_block_sortIS4_Lb0EN6thrust23THRUST_200600_302600_NS6detail15normal_iteratorINS9_10device_ptrIjEEEESE_SE_SE_NS0_19identity_decomposerEEE10hipError_tT1_T2_T3_T4_jRjT5_jjP12ihipStream_tbEUlT_E_NS1_11comp_targetILNS1_3genE5ELNS1_11target_archE942ELNS1_3gpuE9ELNS1_3repE0EEENS1_44radix_sort_block_sort_config_static_selectorELNS0_4arch9wavefront6targetE1EEEvSH_
; %bb.0:
	.section	.rodata,"a",@progbits
	.p2align	6, 0x0
	.amdhsa_kernel _ZN7rocprim17ROCPRIM_400000_NS6detail17trampoline_kernelINS0_13kernel_configILj256ELj4ELj4294967295EEENS1_37radix_sort_block_sort_config_selectorIjjEEZNS1_21radix_sort_block_sortIS4_Lb0EN6thrust23THRUST_200600_302600_NS6detail15normal_iteratorINS9_10device_ptrIjEEEESE_SE_SE_NS0_19identity_decomposerEEE10hipError_tT1_T2_T3_T4_jRjT5_jjP12ihipStream_tbEUlT_E_NS1_11comp_targetILNS1_3genE5ELNS1_11target_archE942ELNS1_3gpuE9ELNS1_3repE0EEENS1_44radix_sort_block_sort_config_static_selectorELNS0_4arch9wavefront6targetE1EEEvSH_
		.amdhsa_group_segment_fixed_size 0
		.amdhsa_private_segment_fixed_size 0
		.amdhsa_kernarg_size 48
		.amdhsa_user_sgpr_count 2
		.amdhsa_user_sgpr_dispatch_ptr 0
		.amdhsa_user_sgpr_queue_ptr 0
		.amdhsa_user_sgpr_kernarg_segment_ptr 1
		.amdhsa_user_sgpr_dispatch_id 0
		.amdhsa_user_sgpr_kernarg_preload_length 0
		.amdhsa_user_sgpr_kernarg_preload_offset 0
		.amdhsa_user_sgpr_private_segment_size 0
		.amdhsa_uses_dynamic_stack 0
		.amdhsa_enable_private_segment 0
		.amdhsa_system_sgpr_workgroup_id_x 1
		.amdhsa_system_sgpr_workgroup_id_y 0
		.amdhsa_system_sgpr_workgroup_id_z 0
		.amdhsa_system_sgpr_workgroup_info 0
		.amdhsa_system_vgpr_workitem_id 0
		.amdhsa_next_free_vgpr 1
		.amdhsa_next_free_sgpr 0
		.amdhsa_accum_offset 4
		.amdhsa_reserve_vcc 0
		.amdhsa_float_round_mode_32 0
		.amdhsa_float_round_mode_16_64 0
		.amdhsa_float_denorm_mode_32 3
		.amdhsa_float_denorm_mode_16_64 3
		.amdhsa_dx10_clamp 1
		.amdhsa_ieee_mode 1
		.amdhsa_fp16_overflow 0
		.amdhsa_tg_split 0
		.amdhsa_exception_fp_ieee_invalid_op 0
		.amdhsa_exception_fp_denorm_src 0
		.amdhsa_exception_fp_ieee_div_zero 0
		.amdhsa_exception_fp_ieee_overflow 0
		.amdhsa_exception_fp_ieee_underflow 0
		.amdhsa_exception_fp_ieee_inexact 0
		.amdhsa_exception_int_div_zero 0
	.end_amdhsa_kernel
	.section	.text._ZN7rocprim17ROCPRIM_400000_NS6detail17trampoline_kernelINS0_13kernel_configILj256ELj4ELj4294967295EEENS1_37radix_sort_block_sort_config_selectorIjjEEZNS1_21radix_sort_block_sortIS4_Lb0EN6thrust23THRUST_200600_302600_NS6detail15normal_iteratorINS9_10device_ptrIjEEEESE_SE_SE_NS0_19identity_decomposerEEE10hipError_tT1_T2_T3_T4_jRjT5_jjP12ihipStream_tbEUlT_E_NS1_11comp_targetILNS1_3genE5ELNS1_11target_archE942ELNS1_3gpuE9ELNS1_3repE0EEENS1_44radix_sort_block_sort_config_static_selectorELNS0_4arch9wavefront6targetE1EEEvSH_,"axG",@progbits,_ZN7rocprim17ROCPRIM_400000_NS6detail17trampoline_kernelINS0_13kernel_configILj256ELj4ELj4294967295EEENS1_37radix_sort_block_sort_config_selectorIjjEEZNS1_21radix_sort_block_sortIS4_Lb0EN6thrust23THRUST_200600_302600_NS6detail15normal_iteratorINS9_10device_ptrIjEEEESE_SE_SE_NS0_19identity_decomposerEEE10hipError_tT1_T2_T3_T4_jRjT5_jjP12ihipStream_tbEUlT_E_NS1_11comp_targetILNS1_3genE5ELNS1_11target_archE942ELNS1_3gpuE9ELNS1_3repE0EEENS1_44radix_sort_block_sort_config_static_selectorELNS0_4arch9wavefront6targetE1EEEvSH_,comdat
.Lfunc_end602:
	.size	_ZN7rocprim17ROCPRIM_400000_NS6detail17trampoline_kernelINS0_13kernel_configILj256ELj4ELj4294967295EEENS1_37radix_sort_block_sort_config_selectorIjjEEZNS1_21radix_sort_block_sortIS4_Lb0EN6thrust23THRUST_200600_302600_NS6detail15normal_iteratorINS9_10device_ptrIjEEEESE_SE_SE_NS0_19identity_decomposerEEE10hipError_tT1_T2_T3_T4_jRjT5_jjP12ihipStream_tbEUlT_E_NS1_11comp_targetILNS1_3genE5ELNS1_11target_archE942ELNS1_3gpuE9ELNS1_3repE0EEENS1_44radix_sort_block_sort_config_static_selectorELNS0_4arch9wavefront6targetE1EEEvSH_, .Lfunc_end602-_ZN7rocprim17ROCPRIM_400000_NS6detail17trampoline_kernelINS0_13kernel_configILj256ELj4ELj4294967295EEENS1_37radix_sort_block_sort_config_selectorIjjEEZNS1_21radix_sort_block_sortIS4_Lb0EN6thrust23THRUST_200600_302600_NS6detail15normal_iteratorINS9_10device_ptrIjEEEESE_SE_SE_NS0_19identity_decomposerEEE10hipError_tT1_T2_T3_T4_jRjT5_jjP12ihipStream_tbEUlT_E_NS1_11comp_targetILNS1_3genE5ELNS1_11target_archE942ELNS1_3gpuE9ELNS1_3repE0EEENS1_44radix_sort_block_sort_config_static_selectorELNS0_4arch9wavefront6targetE1EEEvSH_
                                        ; -- End function
	.set _ZN7rocprim17ROCPRIM_400000_NS6detail17trampoline_kernelINS0_13kernel_configILj256ELj4ELj4294967295EEENS1_37radix_sort_block_sort_config_selectorIjjEEZNS1_21radix_sort_block_sortIS4_Lb0EN6thrust23THRUST_200600_302600_NS6detail15normal_iteratorINS9_10device_ptrIjEEEESE_SE_SE_NS0_19identity_decomposerEEE10hipError_tT1_T2_T3_T4_jRjT5_jjP12ihipStream_tbEUlT_E_NS1_11comp_targetILNS1_3genE5ELNS1_11target_archE942ELNS1_3gpuE9ELNS1_3repE0EEENS1_44radix_sort_block_sort_config_static_selectorELNS0_4arch9wavefront6targetE1EEEvSH_.num_vgpr, 0
	.set _ZN7rocprim17ROCPRIM_400000_NS6detail17trampoline_kernelINS0_13kernel_configILj256ELj4ELj4294967295EEENS1_37radix_sort_block_sort_config_selectorIjjEEZNS1_21radix_sort_block_sortIS4_Lb0EN6thrust23THRUST_200600_302600_NS6detail15normal_iteratorINS9_10device_ptrIjEEEESE_SE_SE_NS0_19identity_decomposerEEE10hipError_tT1_T2_T3_T4_jRjT5_jjP12ihipStream_tbEUlT_E_NS1_11comp_targetILNS1_3genE5ELNS1_11target_archE942ELNS1_3gpuE9ELNS1_3repE0EEENS1_44radix_sort_block_sort_config_static_selectorELNS0_4arch9wavefront6targetE1EEEvSH_.num_agpr, 0
	.set _ZN7rocprim17ROCPRIM_400000_NS6detail17trampoline_kernelINS0_13kernel_configILj256ELj4ELj4294967295EEENS1_37radix_sort_block_sort_config_selectorIjjEEZNS1_21radix_sort_block_sortIS4_Lb0EN6thrust23THRUST_200600_302600_NS6detail15normal_iteratorINS9_10device_ptrIjEEEESE_SE_SE_NS0_19identity_decomposerEEE10hipError_tT1_T2_T3_T4_jRjT5_jjP12ihipStream_tbEUlT_E_NS1_11comp_targetILNS1_3genE5ELNS1_11target_archE942ELNS1_3gpuE9ELNS1_3repE0EEENS1_44radix_sort_block_sort_config_static_selectorELNS0_4arch9wavefront6targetE1EEEvSH_.numbered_sgpr, 0
	.set _ZN7rocprim17ROCPRIM_400000_NS6detail17trampoline_kernelINS0_13kernel_configILj256ELj4ELj4294967295EEENS1_37radix_sort_block_sort_config_selectorIjjEEZNS1_21radix_sort_block_sortIS4_Lb0EN6thrust23THRUST_200600_302600_NS6detail15normal_iteratorINS9_10device_ptrIjEEEESE_SE_SE_NS0_19identity_decomposerEEE10hipError_tT1_T2_T3_T4_jRjT5_jjP12ihipStream_tbEUlT_E_NS1_11comp_targetILNS1_3genE5ELNS1_11target_archE942ELNS1_3gpuE9ELNS1_3repE0EEENS1_44radix_sort_block_sort_config_static_selectorELNS0_4arch9wavefront6targetE1EEEvSH_.num_named_barrier, 0
	.set _ZN7rocprim17ROCPRIM_400000_NS6detail17trampoline_kernelINS0_13kernel_configILj256ELj4ELj4294967295EEENS1_37radix_sort_block_sort_config_selectorIjjEEZNS1_21radix_sort_block_sortIS4_Lb0EN6thrust23THRUST_200600_302600_NS6detail15normal_iteratorINS9_10device_ptrIjEEEESE_SE_SE_NS0_19identity_decomposerEEE10hipError_tT1_T2_T3_T4_jRjT5_jjP12ihipStream_tbEUlT_E_NS1_11comp_targetILNS1_3genE5ELNS1_11target_archE942ELNS1_3gpuE9ELNS1_3repE0EEENS1_44radix_sort_block_sort_config_static_selectorELNS0_4arch9wavefront6targetE1EEEvSH_.private_seg_size, 0
	.set _ZN7rocprim17ROCPRIM_400000_NS6detail17trampoline_kernelINS0_13kernel_configILj256ELj4ELj4294967295EEENS1_37radix_sort_block_sort_config_selectorIjjEEZNS1_21radix_sort_block_sortIS4_Lb0EN6thrust23THRUST_200600_302600_NS6detail15normal_iteratorINS9_10device_ptrIjEEEESE_SE_SE_NS0_19identity_decomposerEEE10hipError_tT1_T2_T3_T4_jRjT5_jjP12ihipStream_tbEUlT_E_NS1_11comp_targetILNS1_3genE5ELNS1_11target_archE942ELNS1_3gpuE9ELNS1_3repE0EEENS1_44radix_sort_block_sort_config_static_selectorELNS0_4arch9wavefront6targetE1EEEvSH_.uses_vcc, 0
	.set _ZN7rocprim17ROCPRIM_400000_NS6detail17trampoline_kernelINS0_13kernel_configILj256ELj4ELj4294967295EEENS1_37radix_sort_block_sort_config_selectorIjjEEZNS1_21radix_sort_block_sortIS4_Lb0EN6thrust23THRUST_200600_302600_NS6detail15normal_iteratorINS9_10device_ptrIjEEEESE_SE_SE_NS0_19identity_decomposerEEE10hipError_tT1_T2_T3_T4_jRjT5_jjP12ihipStream_tbEUlT_E_NS1_11comp_targetILNS1_3genE5ELNS1_11target_archE942ELNS1_3gpuE9ELNS1_3repE0EEENS1_44radix_sort_block_sort_config_static_selectorELNS0_4arch9wavefront6targetE1EEEvSH_.uses_flat_scratch, 0
	.set _ZN7rocprim17ROCPRIM_400000_NS6detail17trampoline_kernelINS0_13kernel_configILj256ELj4ELj4294967295EEENS1_37radix_sort_block_sort_config_selectorIjjEEZNS1_21radix_sort_block_sortIS4_Lb0EN6thrust23THRUST_200600_302600_NS6detail15normal_iteratorINS9_10device_ptrIjEEEESE_SE_SE_NS0_19identity_decomposerEEE10hipError_tT1_T2_T3_T4_jRjT5_jjP12ihipStream_tbEUlT_E_NS1_11comp_targetILNS1_3genE5ELNS1_11target_archE942ELNS1_3gpuE9ELNS1_3repE0EEENS1_44radix_sort_block_sort_config_static_selectorELNS0_4arch9wavefront6targetE1EEEvSH_.has_dyn_sized_stack, 0
	.set _ZN7rocprim17ROCPRIM_400000_NS6detail17trampoline_kernelINS0_13kernel_configILj256ELj4ELj4294967295EEENS1_37radix_sort_block_sort_config_selectorIjjEEZNS1_21radix_sort_block_sortIS4_Lb0EN6thrust23THRUST_200600_302600_NS6detail15normal_iteratorINS9_10device_ptrIjEEEESE_SE_SE_NS0_19identity_decomposerEEE10hipError_tT1_T2_T3_T4_jRjT5_jjP12ihipStream_tbEUlT_E_NS1_11comp_targetILNS1_3genE5ELNS1_11target_archE942ELNS1_3gpuE9ELNS1_3repE0EEENS1_44radix_sort_block_sort_config_static_selectorELNS0_4arch9wavefront6targetE1EEEvSH_.has_recursion, 0
	.set _ZN7rocprim17ROCPRIM_400000_NS6detail17trampoline_kernelINS0_13kernel_configILj256ELj4ELj4294967295EEENS1_37radix_sort_block_sort_config_selectorIjjEEZNS1_21radix_sort_block_sortIS4_Lb0EN6thrust23THRUST_200600_302600_NS6detail15normal_iteratorINS9_10device_ptrIjEEEESE_SE_SE_NS0_19identity_decomposerEEE10hipError_tT1_T2_T3_T4_jRjT5_jjP12ihipStream_tbEUlT_E_NS1_11comp_targetILNS1_3genE5ELNS1_11target_archE942ELNS1_3gpuE9ELNS1_3repE0EEENS1_44radix_sort_block_sort_config_static_selectorELNS0_4arch9wavefront6targetE1EEEvSH_.has_indirect_call, 0
	.section	.AMDGPU.csdata,"",@progbits
; Kernel info:
; codeLenInByte = 0
; TotalNumSgprs: 6
; NumVgprs: 0
; NumAgprs: 0
; TotalNumVgprs: 0
; ScratchSize: 0
; MemoryBound: 0
; FloatMode: 240
; IeeeMode: 1
; LDSByteSize: 0 bytes/workgroup (compile time only)
; SGPRBlocks: 0
; VGPRBlocks: 0
; NumSGPRsForWavesPerEU: 6
; NumVGPRsForWavesPerEU: 1
; AccumOffset: 4
; Occupancy: 8
; WaveLimiterHint : 0
; COMPUTE_PGM_RSRC2:SCRATCH_EN: 0
; COMPUTE_PGM_RSRC2:USER_SGPR: 2
; COMPUTE_PGM_RSRC2:TRAP_HANDLER: 0
; COMPUTE_PGM_RSRC2:TGID_X_EN: 1
; COMPUTE_PGM_RSRC2:TGID_Y_EN: 0
; COMPUTE_PGM_RSRC2:TGID_Z_EN: 0
; COMPUTE_PGM_RSRC2:TIDIG_COMP_CNT: 0
; COMPUTE_PGM_RSRC3_GFX90A:ACCUM_OFFSET: 0
; COMPUTE_PGM_RSRC3_GFX90A:TG_SPLIT: 0
	.section	.text._ZN7rocprim17ROCPRIM_400000_NS6detail17trampoline_kernelINS0_13kernel_configILj256ELj4ELj4294967295EEENS1_37radix_sort_block_sort_config_selectorIjjEEZNS1_21radix_sort_block_sortIS4_Lb0EN6thrust23THRUST_200600_302600_NS6detail15normal_iteratorINS9_10device_ptrIjEEEESE_SE_SE_NS0_19identity_decomposerEEE10hipError_tT1_T2_T3_T4_jRjT5_jjP12ihipStream_tbEUlT_E_NS1_11comp_targetILNS1_3genE4ELNS1_11target_archE910ELNS1_3gpuE8ELNS1_3repE0EEENS1_44radix_sort_block_sort_config_static_selectorELNS0_4arch9wavefront6targetE1EEEvSH_,"axG",@progbits,_ZN7rocprim17ROCPRIM_400000_NS6detail17trampoline_kernelINS0_13kernel_configILj256ELj4ELj4294967295EEENS1_37radix_sort_block_sort_config_selectorIjjEEZNS1_21radix_sort_block_sortIS4_Lb0EN6thrust23THRUST_200600_302600_NS6detail15normal_iteratorINS9_10device_ptrIjEEEESE_SE_SE_NS0_19identity_decomposerEEE10hipError_tT1_T2_T3_T4_jRjT5_jjP12ihipStream_tbEUlT_E_NS1_11comp_targetILNS1_3genE4ELNS1_11target_archE910ELNS1_3gpuE8ELNS1_3repE0EEENS1_44radix_sort_block_sort_config_static_selectorELNS0_4arch9wavefront6targetE1EEEvSH_,comdat
	.protected	_ZN7rocprim17ROCPRIM_400000_NS6detail17trampoline_kernelINS0_13kernel_configILj256ELj4ELj4294967295EEENS1_37radix_sort_block_sort_config_selectorIjjEEZNS1_21radix_sort_block_sortIS4_Lb0EN6thrust23THRUST_200600_302600_NS6detail15normal_iteratorINS9_10device_ptrIjEEEESE_SE_SE_NS0_19identity_decomposerEEE10hipError_tT1_T2_T3_T4_jRjT5_jjP12ihipStream_tbEUlT_E_NS1_11comp_targetILNS1_3genE4ELNS1_11target_archE910ELNS1_3gpuE8ELNS1_3repE0EEENS1_44radix_sort_block_sort_config_static_selectorELNS0_4arch9wavefront6targetE1EEEvSH_ ; -- Begin function _ZN7rocprim17ROCPRIM_400000_NS6detail17trampoline_kernelINS0_13kernel_configILj256ELj4ELj4294967295EEENS1_37radix_sort_block_sort_config_selectorIjjEEZNS1_21radix_sort_block_sortIS4_Lb0EN6thrust23THRUST_200600_302600_NS6detail15normal_iteratorINS9_10device_ptrIjEEEESE_SE_SE_NS0_19identity_decomposerEEE10hipError_tT1_T2_T3_T4_jRjT5_jjP12ihipStream_tbEUlT_E_NS1_11comp_targetILNS1_3genE4ELNS1_11target_archE910ELNS1_3gpuE8ELNS1_3repE0EEENS1_44radix_sort_block_sort_config_static_selectorELNS0_4arch9wavefront6targetE1EEEvSH_
	.globl	_ZN7rocprim17ROCPRIM_400000_NS6detail17trampoline_kernelINS0_13kernel_configILj256ELj4ELj4294967295EEENS1_37radix_sort_block_sort_config_selectorIjjEEZNS1_21radix_sort_block_sortIS4_Lb0EN6thrust23THRUST_200600_302600_NS6detail15normal_iteratorINS9_10device_ptrIjEEEESE_SE_SE_NS0_19identity_decomposerEEE10hipError_tT1_T2_T3_T4_jRjT5_jjP12ihipStream_tbEUlT_E_NS1_11comp_targetILNS1_3genE4ELNS1_11target_archE910ELNS1_3gpuE8ELNS1_3repE0EEENS1_44radix_sort_block_sort_config_static_selectorELNS0_4arch9wavefront6targetE1EEEvSH_
	.p2align	8
	.type	_ZN7rocprim17ROCPRIM_400000_NS6detail17trampoline_kernelINS0_13kernel_configILj256ELj4ELj4294967295EEENS1_37radix_sort_block_sort_config_selectorIjjEEZNS1_21radix_sort_block_sortIS4_Lb0EN6thrust23THRUST_200600_302600_NS6detail15normal_iteratorINS9_10device_ptrIjEEEESE_SE_SE_NS0_19identity_decomposerEEE10hipError_tT1_T2_T3_T4_jRjT5_jjP12ihipStream_tbEUlT_E_NS1_11comp_targetILNS1_3genE4ELNS1_11target_archE910ELNS1_3gpuE8ELNS1_3repE0EEENS1_44radix_sort_block_sort_config_static_selectorELNS0_4arch9wavefront6targetE1EEEvSH_,@function
_ZN7rocprim17ROCPRIM_400000_NS6detail17trampoline_kernelINS0_13kernel_configILj256ELj4ELj4294967295EEENS1_37radix_sort_block_sort_config_selectorIjjEEZNS1_21radix_sort_block_sortIS4_Lb0EN6thrust23THRUST_200600_302600_NS6detail15normal_iteratorINS9_10device_ptrIjEEEESE_SE_SE_NS0_19identity_decomposerEEE10hipError_tT1_T2_T3_T4_jRjT5_jjP12ihipStream_tbEUlT_E_NS1_11comp_targetILNS1_3genE4ELNS1_11target_archE910ELNS1_3gpuE8ELNS1_3repE0EEENS1_44radix_sort_block_sort_config_static_selectorELNS0_4arch9wavefront6targetE1EEEvSH_: ; @_ZN7rocprim17ROCPRIM_400000_NS6detail17trampoline_kernelINS0_13kernel_configILj256ELj4ELj4294967295EEENS1_37radix_sort_block_sort_config_selectorIjjEEZNS1_21radix_sort_block_sortIS4_Lb0EN6thrust23THRUST_200600_302600_NS6detail15normal_iteratorINS9_10device_ptrIjEEEESE_SE_SE_NS0_19identity_decomposerEEE10hipError_tT1_T2_T3_T4_jRjT5_jjP12ihipStream_tbEUlT_E_NS1_11comp_targetILNS1_3genE4ELNS1_11target_archE910ELNS1_3gpuE8ELNS1_3repE0EEENS1_44radix_sort_block_sort_config_static_selectorELNS0_4arch9wavefront6targetE1EEEvSH_
; %bb.0:
	.section	.rodata,"a",@progbits
	.p2align	6, 0x0
	.amdhsa_kernel _ZN7rocprim17ROCPRIM_400000_NS6detail17trampoline_kernelINS0_13kernel_configILj256ELj4ELj4294967295EEENS1_37radix_sort_block_sort_config_selectorIjjEEZNS1_21radix_sort_block_sortIS4_Lb0EN6thrust23THRUST_200600_302600_NS6detail15normal_iteratorINS9_10device_ptrIjEEEESE_SE_SE_NS0_19identity_decomposerEEE10hipError_tT1_T2_T3_T4_jRjT5_jjP12ihipStream_tbEUlT_E_NS1_11comp_targetILNS1_3genE4ELNS1_11target_archE910ELNS1_3gpuE8ELNS1_3repE0EEENS1_44radix_sort_block_sort_config_static_selectorELNS0_4arch9wavefront6targetE1EEEvSH_
		.amdhsa_group_segment_fixed_size 0
		.amdhsa_private_segment_fixed_size 0
		.amdhsa_kernarg_size 48
		.amdhsa_user_sgpr_count 2
		.amdhsa_user_sgpr_dispatch_ptr 0
		.amdhsa_user_sgpr_queue_ptr 0
		.amdhsa_user_sgpr_kernarg_segment_ptr 1
		.amdhsa_user_sgpr_dispatch_id 0
		.amdhsa_user_sgpr_kernarg_preload_length 0
		.amdhsa_user_sgpr_kernarg_preload_offset 0
		.amdhsa_user_sgpr_private_segment_size 0
		.amdhsa_uses_dynamic_stack 0
		.amdhsa_enable_private_segment 0
		.amdhsa_system_sgpr_workgroup_id_x 1
		.amdhsa_system_sgpr_workgroup_id_y 0
		.amdhsa_system_sgpr_workgroup_id_z 0
		.amdhsa_system_sgpr_workgroup_info 0
		.amdhsa_system_vgpr_workitem_id 0
		.amdhsa_next_free_vgpr 1
		.amdhsa_next_free_sgpr 0
		.amdhsa_accum_offset 4
		.amdhsa_reserve_vcc 0
		.amdhsa_float_round_mode_32 0
		.amdhsa_float_round_mode_16_64 0
		.amdhsa_float_denorm_mode_32 3
		.amdhsa_float_denorm_mode_16_64 3
		.amdhsa_dx10_clamp 1
		.amdhsa_ieee_mode 1
		.amdhsa_fp16_overflow 0
		.amdhsa_tg_split 0
		.amdhsa_exception_fp_ieee_invalid_op 0
		.amdhsa_exception_fp_denorm_src 0
		.amdhsa_exception_fp_ieee_div_zero 0
		.amdhsa_exception_fp_ieee_overflow 0
		.amdhsa_exception_fp_ieee_underflow 0
		.amdhsa_exception_fp_ieee_inexact 0
		.amdhsa_exception_int_div_zero 0
	.end_amdhsa_kernel
	.section	.text._ZN7rocprim17ROCPRIM_400000_NS6detail17trampoline_kernelINS0_13kernel_configILj256ELj4ELj4294967295EEENS1_37radix_sort_block_sort_config_selectorIjjEEZNS1_21radix_sort_block_sortIS4_Lb0EN6thrust23THRUST_200600_302600_NS6detail15normal_iteratorINS9_10device_ptrIjEEEESE_SE_SE_NS0_19identity_decomposerEEE10hipError_tT1_T2_T3_T4_jRjT5_jjP12ihipStream_tbEUlT_E_NS1_11comp_targetILNS1_3genE4ELNS1_11target_archE910ELNS1_3gpuE8ELNS1_3repE0EEENS1_44radix_sort_block_sort_config_static_selectorELNS0_4arch9wavefront6targetE1EEEvSH_,"axG",@progbits,_ZN7rocprim17ROCPRIM_400000_NS6detail17trampoline_kernelINS0_13kernel_configILj256ELj4ELj4294967295EEENS1_37radix_sort_block_sort_config_selectorIjjEEZNS1_21radix_sort_block_sortIS4_Lb0EN6thrust23THRUST_200600_302600_NS6detail15normal_iteratorINS9_10device_ptrIjEEEESE_SE_SE_NS0_19identity_decomposerEEE10hipError_tT1_T2_T3_T4_jRjT5_jjP12ihipStream_tbEUlT_E_NS1_11comp_targetILNS1_3genE4ELNS1_11target_archE910ELNS1_3gpuE8ELNS1_3repE0EEENS1_44radix_sort_block_sort_config_static_selectorELNS0_4arch9wavefront6targetE1EEEvSH_,comdat
.Lfunc_end603:
	.size	_ZN7rocprim17ROCPRIM_400000_NS6detail17trampoline_kernelINS0_13kernel_configILj256ELj4ELj4294967295EEENS1_37radix_sort_block_sort_config_selectorIjjEEZNS1_21radix_sort_block_sortIS4_Lb0EN6thrust23THRUST_200600_302600_NS6detail15normal_iteratorINS9_10device_ptrIjEEEESE_SE_SE_NS0_19identity_decomposerEEE10hipError_tT1_T2_T3_T4_jRjT5_jjP12ihipStream_tbEUlT_E_NS1_11comp_targetILNS1_3genE4ELNS1_11target_archE910ELNS1_3gpuE8ELNS1_3repE0EEENS1_44radix_sort_block_sort_config_static_selectorELNS0_4arch9wavefront6targetE1EEEvSH_, .Lfunc_end603-_ZN7rocprim17ROCPRIM_400000_NS6detail17trampoline_kernelINS0_13kernel_configILj256ELj4ELj4294967295EEENS1_37radix_sort_block_sort_config_selectorIjjEEZNS1_21radix_sort_block_sortIS4_Lb0EN6thrust23THRUST_200600_302600_NS6detail15normal_iteratorINS9_10device_ptrIjEEEESE_SE_SE_NS0_19identity_decomposerEEE10hipError_tT1_T2_T3_T4_jRjT5_jjP12ihipStream_tbEUlT_E_NS1_11comp_targetILNS1_3genE4ELNS1_11target_archE910ELNS1_3gpuE8ELNS1_3repE0EEENS1_44radix_sort_block_sort_config_static_selectorELNS0_4arch9wavefront6targetE1EEEvSH_
                                        ; -- End function
	.set _ZN7rocprim17ROCPRIM_400000_NS6detail17trampoline_kernelINS0_13kernel_configILj256ELj4ELj4294967295EEENS1_37radix_sort_block_sort_config_selectorIjjEEZNS1_21radix_sort_block_sortIS4_Lb0EN6thrust23THRUST_200600_302600_NS6detail15normal_iteratorINS9_10device_ptrIjEEEESE_SE_SE_NS0_19identity_decomposerEEE10hipError_tT1_T2_T3_T4_jRjT5_jjP12ihipStream_tbEUlT_E_NS1_11comp_targetILNS1_3genE4ELNS1_11target_archE910ELNS1_3gpuE8ELNS1_3repE0EEENS1_44radix_sort_block_sort_config_static_selectorELNS0_4arch9wavefront6targetE1EEEvSH_.num_vgpr, 0
	.set _ZN7rocprim17ROCPRIM_400000_NS6detail17trampoline_kernelINS0_13kernel_configILj256ELj4ELj4294967295EEENS1_37radix_sort_block_sort_config_selectorIjjEEZNS1_21radix_sort_block_sortIS4_Lb0EN6thrust23THRUST_200600_302600_NS6detail15normal_iteratorINS9_10device_ptrIjEEEESE_SE_SE_NS0_19identity_decomposerEEE10hipError_tT1_T2_T3_T4_jRjT5_jjP12ihipStream_tbEUlT_E_NS1_11comp_targetILNS1_3genE4ELNS1_11target_archE910ELNS1_3gpuE8ELNS1_3repE0EEENS1_44radix_sort_block_sort_config_static_selectorELNS0_4arch9wavefront6targetE1EEEvSH_.num_agpr, 0
	.set _ZN7rocprim17ROCPRIM_400000_NS6detail17trampoline_kernelINS0_13kernel_configILj256ELj4ELj4294967295EEENS1_37radix_sort_block_sort_config_selectorIjjEEZNS1_21radix_sort_block_sortIS4_Lb0EN6thrust23THRUST_200600_302600_NS6detail15normal_iteratorINS9_10device_ptrIjEEEESE_SE_SE_NS0_19identity_decomposerEEE10hipError_tT1_T2_T3_T4_jRjT5_jjP12ihipStream_tbEUlT_E_NS1_11comp_targetILNS1_3genE4ELNS1_11target_archE910ELNS1_3gpuE8ELNS1_3repE0EEENS1_44radix_sort_block_sort_config_static_selectorELNS0_4arch9wavefront6targetE1EEEvSH_.numbered_sgpr, 0
	.set _ZN7rocprim17ROCPRIM_400000_NS6detail17trampoline_kernelINS0_13kernel_configILj256ELj4ELj4294967295EEENS1_37radix_sort_block_sort_config_selectorIjjEEZNS1_21radix_sort_block_sortIS4_Lb0EN6thrust23THRUST_200600_302600_NS6detail15normal_iteratorINS9_10device_ptrIjEEEESE_SE_SE_NS0_19identity_decomposerEEE10hipError_tT1_T2_T3_T4_jRjT5_jjP12ihipStream_tbEUlT_E_NS1_11comp_targetILNS1_3genE4ELNS1_11target_archE910ELNS1_3gpuE8ELNS1_3repE0EEENS1_44radix_sort_block_sort_config_static_selectorELNS0_4arch9wavefront6targetE1EEEvSH_.num_named_barrier, 0
	.set _ZN7rocprim17ROCPRIM_400000_NS6detail17trampoline_kernelINS0_13kernel_configILj256ELj4ELj4294967295EEENS1_37radix_sort_block_sort_config_selectorIjjEEZNS1_21radix_sort_block_sortIS4_Lb0EN6thrust23THRUST_200600_302600_NS6detail15normal_iteratorINS9_10device_ptrIjEEEESE_SE_SE_NS0_19identity_decomposerEEE10hipError_tT1_T2_T3_T4_jRjT5_jjP12ihipStream_tbEUlT_E_NS1_11comp_targetILNS1_3genE4ELNS1_11target_archE910ELNS1_3gpuE8ELNS1_3repE0EEENS1_44radix_sort_block_sort_config_static_selectorELNS0_4arch9wavefront6targetE1EEEvSH_.private_seg_size, 0
	.set _ZN7rocprim17ROCPRIM_400000_NS6detail17trampoline_kernelINS0_13kernel_configILj256ELj4ELj4294967295EEENS1_37radix_sort_block_sort_config_selectorIjjEEZNS1_21radix_sort_block_sortIS4_Lb0EN6thrust23THRUST_200600_302600_NS6detail15normal_iteratorINS9_10device_ptrIjEEEESE_SE_SE_NS0_19identity_decomposerEEE10hipError_tT1_T2_T3_T4_jRjT5_jjP12ihipStream_tbEUlT_E_NS1_11comp_targetILNS1_3genE4ELNS1_11target_archE910ELNS1_3gpuE8ELNS1_3repE0EEENS1_44radix_sort_block_sort_config_static_selectorELNS0_4arch9wavefront6targetE1EEEvSH_.uses_vcc, 0
	.set _ZN7rocprim17ROCPRIM_400000_NS6detail17trampoline_kernelINS0_13kernel_configILj256ELj4ELj4294967295EEENS1_37radix_sort_block_sort_config_selectorIjjEEZNS1_21radix_sort_block_sortIS4_Lb0EN6thrust23THRUST_200600_302600_NS6detail15normal_iteratorINS9_10device_ptrIjEEEESE_SE_SE_NS0_19identity_decomposerEEE10hipError_tT1_T2_T3_T4_jRjT5_jjP12ihipStream_tbEUlT_E_NS1_11comp_targetILNS1_3genE4ELNS1_11target_archE910ELNS1_3gpuE8ELNS1_3repE0EEENS1_44radix_sort_block_sort_config_static_selectorELNS0_4arch9wavefront6targetE1EEEvSH_.uses_flat_scratch, 0
	.set _ZN7rocprim17ROCPRIM_400000_NS6detail17trampoline_kernelINS0_13kernel_configILj256ELj4ELj4294967295EEENS1_37radix_sort_block_sort_config_selectorIjjEEZNS1_21radix_sort_block_sortIS4_Lb0EN6thrust23THRUST_200600_302600_NS6detail15normal_iteratorINS9_10device_ptrIjEEEESE_SE_SE_NS0_19identity_decomposerEEE10hipError_tT1_T2_T3_T4_jRjT5_jjP12ihipStream_tbEUlT_E_NS1_11comp_targetILNS1_3genE4ELNS1_11target_archE910ELNS1_3gpuE8ELNS1_3repE0EEENS1_44radix_sort_block_sort_config_static_selectorELNS0_4arch9wavefront6targetE1EEEvSH_.has_dyn_sized_stack, 0
	.set _ZN7rocprim17ROCPRIM_400000_NS6detail17trampoline_kernelINS0_13kernel_configILj256ELj4ELj4294967295EEENS1_37radix_sort_block_sort_config_selectorIjjEEZNS1_21radix_sort_block_sortIS4_Lb0EN6thrust23THRUST_200600_302600_NS6detail15normal_iteratorINS9_10device_ptrIjEEEESE_SE_SE_NS0_19identity_decomposerEEE10hipError_tT1_T2_T3_T4_jRjT5_jjP12ihipStream_tbEUlT_E_NS1_11comp_targetILNS1_3genE4ELNS1_11target_archE910ELNS1_3gpuE8ELNS1_3repE0EEENS1_44radix_sort_block_sort_config_static_selectorELNS0_4arch9wavefront6targetE1EEEvSH_.has_recursion, 0
	.set _ZN7rocprim17ROCPRIM_400000_NS6detail17trampoline_kernelINS0_13kernel_configILj256ELj4ELj4294967295EEENS1_37radix_sort_block_sort_config_selectorIjjEEZNS1_21radix_sort_block_sortIS4_Lb0EN6thrust23THRUST_200600_302600_NS6detail15normal_iteratorINS9_10device_ptrIjEEEESE_SE_SE_NS0_19identity_decomposerEEE10hipError_tT1_T2_T3_T4_jRjT5_jjP12ihipStream_tbEUlT_E_NS1_11comp_targetILNS1_3genE4ELNS1_11target_archE910ELNS1_3gpuE8ELNS1_3repE0EEENS1_44radix_sort_block_sort_config_static_selectorELNS0_4arch9wavefront6targetE1EEEvSH_.has_indirect_call, 0
	.section	.AMDGPU.csdata,"",@progbits
; Kernel info:
; codeLenInByte = 0
; TotalNumSgprs: 6
; NumVgprs: 0
; NumAgprs: 0
; TotalNumVgprs: 0
; ScratchSize: 0
; MemoryBound: 0
; FloatMode: 240
; IeeeMode: 1
; LDSByteSize: 0 bytes/workgroup (compile time only)
; SGPRBlocks: 0
; VGPRBlocks: 0
; NumSGPRsForWavesPerEU: 6
; NumVGPRsForWavesPerEU: 1
; AccumOffset: 4
; Occupancy: 8
; WaveLimiterHint : 0
; COMPUTE_PGM_RSRC2:SCRATCH_EN: 0
; COMPUTE_PGM_RSRC2:USER_SGPR: 2
; COMPUTE_PGM_RSRC2:TRAP_HANDLER: 0
; COMPUTE_PGM_RSRC2:TGID_X_EN: 1
; COMPUTE_PGM_RSRC2:TGID_Y_EN: 0
; COMPUTE_PGM_RSRC2:TGID_Z_EN: 0
; COMPUTE_PGM_RSRC2:TIDIG_COMP_CNT: 0
; COMPUTE_PGM_RSRC3_GFX90A:ACCUM_OFFSET: 0
; COMPUTE_PGM_RSRC3_GFX90A:TG_SPLIT: 0
	.section	.text._ZN7rocprim17ROCPRIM_400000_NS6detail17trampoline_kernelINS0_13kernel_configILj256ELj4ELj4294967295EEENS1_37radix_sort_block_sort_config_selectorIjjEEZNS1_21radix_sort_block_sortIS4_Lb0EN6thrust23THRUST_200600_302600_NS6detail15normal_iteratorINS9_10device_ptrIjEEEESE_SE_SE_NS0_19identity_decomposerEEE10hipError_tT1_T2_T3_T4_jRjT5_jjP12ihipStream_tbEUlT_E_NS1_11comp_targetILNS1_3genE3ELNS1_11target_archE908ELNS1_3gpuE7ELNS1_3repE0EEENS1_44radix_sort_block_sort_config_static_selectorELNS0_4arch9wavefront6targetE1EEEvSH_,"axG",@progbits,_ZN7rocprim17ROCPRIM_400000_NS6detail17trampoline_kernelINS0_13kernel_configILj256ELj4ELj4294967295EEENS1_37radix_sort_block_sort_config_selectorIjjEEZNS1_21radix_sort_block_sortIS4_Lb0EN6thrust23THRUST_200600_302600_NS6detail15normal_iteratorINS9_10device_ptrIjEEEESE_SE_SE_NS0_19identity_decomposerEEE10hipError_tT1_T2_T3_T4_jRjT5_jjP12ihipStream_tbEUlT_E_NS1_11comp_targetILNS1_3genE3ELNS1_11target_archE908ELNS1_3gpuE7ELNS1_3repE0EEENS1_44radix_sort_block_sort_config_static_selectorELNS0_4arch9wavefront6targetE1EEEvSH_,comdat
	.protected	_ZN7rocprim17ROCPRIM_400000_NS6detail17trampoline_kernelINS0_13kernel_configILj256ELj4ELj4294967295EEENS1_37radix_sort_block_sort_config_selectorIjjEEZNS1_21radix_sort_block_sortIS4_Lb0EN6thrust23THRUST_200600_302600_NS6detail15normal_iteratorINS9_10device_ptrIjEEEESE_SE_SE_NS0_19identity_decomposerEEE10hipError_tT1_T2_T3_T4_jRjT5_jjP12ihipStream_tbEUlT_E_NS1_11comp_targetILNS1_3genE3ELNS1_11target_archE908ELNS1_3gpuE7ELNS1_3repE0EEENS1_44radix_sort_block_sort_config_static_selectorELNS0_4arch9wavefront6targetE1EEEvSH_ ; -- Begin function _ZN7rocprim17ROCPRIM_400000_NS6detail17trampoline_kernelINS0_13kernel_configILj256ELj4ELj4294967295EEENS1_37radix_sort_block_sort_config_selectorIjjEEZNS1_21radix_sort_block_sortIS4_Lb0EN6thrust23THRUST_200600_302600_NS6detail15normal_iteratorINS9_10device_ptrIjEEEESE_SE_SE_NS0_19identity_decomposerEEE10hipError_tT1_T2_T3_T4_jRjT5_jjP12ihipStream_tbEUlT_E_NS1_11comp_targetILNS1_3genE3ELNS1_11target_archE908ELNS1_3gpuE7ELNS1_3repE0EEENS1_44radix_sort_block_sort_config_static_selectorELNS0_4arch9wavefront6targetE1EEEvSH_
	.globl	_ZN7rocprim17ROCPRIM_400000_NS6detail17trampoline_kernelINS0_13kernel_configILj256ELj4ELj4294967295EEENS1_37radix_sort_block_sort_config_selectorIjjEEZNS1_21radix_sort_block_sortIS4_Lb0EN6thrust23THRUST_200600_302600_NS6detail15normal_iteratorINS9_10device_ptrIjEEEESE_SE_SE_NS0_19identity_decomposerEEE10hipError_tT1_T2_T3_T4_jRjT5_jjP12ihipStream_tbEUlT_E_NS1_11comp_targetILNS1_3genE3ELNS1_11target_archE908ELNS1_3gpuE7ELNS1_3repE0EEENS1_44radix_sort_block_sort_config_static_selectorELNS0_4arch9wavefront6targetE1EEEvSH_
	.p2align	8
	.type	_ZN7rocprim17ROCPRIM_400000_NS6detail17trampoline_kernelINS0_13kernel_configILj256ELj4ELj4294967295EEENS1_37radix_sort_block_sort_config_selectorIjjEEZNS1_21radix_sort_block_sortIS4_Lb0EN6thrust23THRUST_200600_302600_NS6detail15normal_iteratorINS9_10device_ptrIjEEEESE_SE_SE_NS0_19identity_decomposerEEE10hipError_tT1_T2_T3_T4_jRjT5_jjP12ihipStream_tbEUlT_E_NS1_11comp_targetILNS1_3genE3ELNS1_11target_archE908ELNS1_3gpuE7ELNS1_3repE0EEENS1_44radix_sort_block_sort_config_static_selectorELNS0_4arch9wavefront6targetE1EEEvSH_,@function
_ZN7rocprim17ROCPRIM_400000_NS6detail17trampoline_kernelINS0_13kernel_configILj256ELj4ELj4294967295EEENS1_37radix_sort_block_sort_config_selectorIjjEEZNS1_21radix_sort_block_sortIS4_Lb0EN6thrust23THRUST_200600_302600_NS6detail15normal_iteratorINS9_10device_ptrIjEEEESE_SE_SE_NS0_19identity_decomposerEEE10hipError_tT1_T2_T3_T4_jRjT5_jjP12ihipStream_tbEUlT_E_NS1_11comp_targetILNS1_3genE3ELNS1_11target_archE908ELNS1_3gpuE7ELNS1_3repE0EEENS1_44radix_sort_block_sort_config_static_selectorELNS0_4arch9wavefront6targetE1EEEvSH_: ; @_ZN7rocprim17ROCPRIM_400000_NS6detail17trampoline_kernelINS0_13kernel_configILj256ELj4ELj4294967295EEENS1_37radix_sort_block_sort_config_selectorIjjEEZNS1_21radix_sort_block_sortIS4_Lb0EN6thrust23THRUST_200600_302600_NS6detail15normal_iteratorINS9_10device_ptrIjEEEESE_SE_SE_NS0_19identity_decomposerEEE10hipError_tT1_T2_T3_T4_jRjT5_jjP12ihipStream_tbEUlT_E_NS1_11comp_targetILNS1_3genE3ELNS1_11target_archE908ELNS1_3gpuE7ELNS1_3repE0EEENS1_44radix_sort_block_sort_config_static_selectorELNS0_4arch9wavefront6targetE1EEEvSH_
; %bb.0:
	.section	.rodata,"a",@progbits
	.p2align	6, 0x0
	.amdhsa_kernel _ZN7rocprim17ROCPRIM_400000_NS6detail17trampoline_kernelINS0_13kernel_configILj256ELj4ELj4294967295EEENS1_37radix_sort_block_sort_config_selectorIjjEEZNS1_21radix_sort_block_sortIS4_Lb0EN6thrust23THRUST_200600_302600_NS6detail15normal_iteratorINS9_10device_ptrIjEEEESE_SE_SE_NS0_19identity_decomposerEEE10hipError_tT1_T2_T3_T4_jRjT5_jjP12ihipStream_tbEUlT_E_NS1_11comp_targetILNS1_3genE3ELNS1_11target_archE908ELNS1_3gpuE7ELNS1_3repE0EEENS1_44radix_sort_block_sort_config_static_selectorELNS0_4arch9wavefront6targetE1EEEvSH_
		.amdhsa_group_segment_fixed_size 0
		.amdhsa_private_segment_fixed_size 0
		.amdhsa_kernarg_size 48
		.amdhsa_user_sgpr_count 2
		.amdhsa_user_sgpr_dispatch_ptr 0
		.amdhsa_user_sgpr_queue_ptr 0
		.amdhsa_user_sgpr_kernarg_segment_ptr 1
		.amdhsa_user_sgpr_dispatch_id 0
		.amdhsa_user_sgpr_kernarg_preload_length 0
		.amdhsa_user_sgpr_kernarg_preload_offset 0
		.amdhsa_user_sgpr_private_segment_size 0
		.amdhsa_uses_dynamic_stack 0
		.amdhsa_enable_private_segment 0
		.amdhsa_system_sgpr_workgroup_id_x 1
		.amdhsa_system_sgpr_workgroup_id_y 0
		.amdhsa_system_sgpr_workgroup_id_z 0
		.amdhsa_system_sgpr_workgroup_info 0
		.amdhsa_system_vgpr_workitem_id 0
		.amdhsa_next_free_vgpr 1
		.amdhsa_next_free_sgpr 0
		.amdhsa_accum_offset 4
		.amdhsa_reserve_vcc 0
		.amdhsa_float_round_mode_32 0
		.amdhsa_float_round_mode_16_64 0
		.amdhsa_float_denorm_mode_32 3
		.amdhsa_float_denorm_mode_16_64 3
		.amdhsa_dx10_clamp 1
		.amdhsa_ieee_mode 1
		.amdhsa_fp16_overflow 0
		.amdhsa_tg_split 0
		.amdhsa_exception_fp_ieee_invalid_op 0
		.amdhsa_exception_fp_denorm_src 0
		.amdhsa_exception_fp_ieee_div_zero 0
		.amdhsa_exception_fp_ieee_overflow 0
		.amdhsa_exception_fp_ieee_underflow 0
		.amdhsa_exception_fp_ieee_inexact 0
		.amdhsa_exception_int_div_zero 0
	.end_amdhsa_kernel
	.section	.text._ZN7rocprim17ROCPRIM_400000_NS6detail17trampoline_kernelINS0_13kernel_configILj256ELj4ELj4294967295EEENS1_37radix_sort_block_sort_config_selectorIjjEEZNS1_21radix_sort_block_sortIS4_Lb0EN6thrust23THRUST_200600_302600_NS6detail15normal_iteratorINS9_10device_ptrIjEEEESE_SE_SE_NS0_19identity_decomposerEEE10hipError_tT1_T2_T3_T4_jRjT5_jjP12ihipStream_tbEUlT_E_NS1_11comp_targetILNS1_3genE3ELNS1_11target_archE908ELNS1_3gpuE7ELNS1_3repE0EEENS1_44radix_sort_block_sort_config_static_selectorELNS0_4arch9wavefront6targetE1EEEvSH_,"axG",@progbits,_ZN7rocprim17ROCPRIM_400000_NS6detail17trampoline_kernelINS0_13kernel_configILj256ELj4ELj4294967295EEENS1_37radix_sort_block_sort_config_selectorIjjEEZNS1_21radix_sort_block_sortIS4_Lb0EN6thrust23THRUST_200600_302600_NS6detail15normal_iteratorINS9_10device_ptrIjEEEESE_SE_SE_NS0_19identity_decomposerEEE10hipError_tT1_T2_T3_T4_jRjT5_jjP12ihipStream_tbEUlT_E_NS1_11comp_targetILNS1_3genE3ELNS1_11target_archE908ELNS1_3gpuE7ELNS1_3repE0EEENS1_44radix_sort_block_sort_config_static_selectorELNS0_4arch9wavefront6targetE1EEEvSH_,comdat
.Lfunc_end604:
	.size	_ZN7rocprim17ROCPRIM_400000_NS6detail17trampoline_kernelINS0_13kernel_configILj256ELj4ELj4294967295EEENS1_37radix_sort_block_sort_config_selectorIjjEEZNS1_21radix_sort_block_sortIS4_Lb0EN6thrust23THRUST_200600_302600_NS6detail15normal_iteratorINS9_10device_ptrIjEEEESE_SE_SE_NS0_19identity_decomposerEEE10hipError_tT1_T2_T3_T4_jRjT5_jjP12ihipStream_tbEUlT_E_NS1_11comp_targetILNS1_3genE3ELNS1_11target_archE908ELNS1_3gpuE7ELNS1_3repE0EEENS1_44radix_sort_block_sort_config_static_selectorELNS0_4arch9wavefront6targetE1EEEvSH_, .Lfunc_end604-_ZN7rocprim17ROCPRIM_400000_NS6detail17trampoline_kernelINS0_13kernel_configILj256ELj4ELj4294967295EEENS1_37radix_sort_block_sort_config_selectorIjjEEZNS1_21radix_sort_block_sortIS4_Lb0EN6thrust23THRUST_200600_302600_NS6detail15normal_iteratorINS9_10device_ptrIjEEEESE_SE_SE_NS0_19identity_decomposerEEE10hipError_tT1_T2_T3_T4_jRjT5_jjP12ihipStream_tbEUlT_E_NS1_11comp_targetILNS1_3genE3ELNS1_11target_archE908ELNS1_3gpuE7ELNS1_3repE0EEENS1_44radix_sort_block_sort_config_static_selectorELNS0_4arch9wavefront6targetE1EEEvSH_
                                        ; -- End function
	.set _ZN7rocprim17ROCPRIM_400000_NS6detail17trampoline_kernelINS0_13kernel_configILj256ELj4ELj4294967295EEENS1_37radix_sort_block_sort_config_selectorIjjEEZNS1_21radix_sort_block_sortIS4_Lb0EN6thrust23THRUST_200600_302600_NS6detail15normal_iteratorINS9_10device_ptrIjEEEESE_SE_SE_NS0_19identity_decomposerEEE10hipError_tT1_T2_T3_T4_jRjT5_jjP12ihipStream_tbEUlT_E_NS1_11comp_targetILNS1_3genE3ELNS1_11target_archE908ELNS1_3gpuE7ELNS1_3repE0EEENS1_44radix_sort_block_sort_config_static_selectorELNS0_4arch9wavefront6targetE1EEEvSH_.num_vgpr, 0
	.set _ZN7rocprim17ROCPRIM_400000_NS6detail17trampoline_kernelINS0_13kernel_configILj256ELj4ELj4294967295EEENS1_37radix_sort_block_sort_config_selectorIjjEEZNS1_21radix_sort_block_sortIS4_Lb0EN6thrust23THRUST_200600_302600_NS6detail15normal_iteratorINS9_10device_ptrIjEEEESE_SE_SE_NS0_19identity_decomposerEEE10hipError_tT1_T2_T3_T4_jRjT5_jjP12ihipStream_tbEUlT_E_NS1_11comp_targetILNS1_3genE3ELNS1_11target_archE908ELNS1_3gpuE7ELNS1_3repE0EEENS1_44radix_sort_block_sort_config_static_selectorELNS0_4arch9wavefront6targetE1EEEvSH_.num_agpr, 0
	.set _ZN7rocprim17ROCPRIM_400000_NS6detail17trampoline_kernelINS0_13kernel_configILj256ELj4ELj4294967295EEENS1_37radix_sort_block_sort_config_selectorIjjEEZNS1_21radix_sort_block_sortIS4_Lb0EN6thrust23THRUST_200600_302600_NS6detail15normal_iteratorINS9_10device_ptrIjEEEESE_SE_SE_NS0_19identity_decomposerEEE10hipError_tT1_T2_T3_T4_jRjT5_jjP12ihipStream_tbEUlT_E_NS1_11comp_targetILNS1_3genE3ELNS1_11target_archE908ELNS1_3gpuE7ELNS1_3repE0EEENS1_44radix_sort_block_sort_config_static_selectorELNS0_4arch9wavefront6targetE1EEEvSH_.numbered_sgpr, 0
	.set _ZN7rocprim17ROCPRIM_400000_NS6detail17trampoline_kernelINS0_13kernel_configILj256ELj4ELj4294967295EEENS1_37radix_sort_block_sort_config_selectorIjjEEZNS1_21radix_sort_block_sortIS4_Lb0EN6thrust23THRUST_200600_302600_NS6detail15normal_iteratorINS9_10device_ptrIjEEEESE_SE_SE_NS0_19identity_decomposerEEE10hipError_tT1_T2_T3_T4_jRjT5_jjP12ihipStream_tbEUlT_E_NS1_11comp_targetILNS1_3genE3ELNS1_11target_archE908ELNS1_3gpuE7ELNS1_3repE0EEENS1_44radix_sort_block_sort_config_static_selectorELNS0_4arch9wavefront6targetE1EEEvSH_.num_named_barrier, 0
	.set _ZN7rocprim17ROCPRIM_400000_NS6detail17trampoline_kernelINS0_13kernel_configILj256ELj4ELj4294967295EEENS1_37radix_sort_block_sort_config_selectorIjjEEZNS1_21radix_sort_block_sortIS4_Lb0EN6thrust23THRUST_200600_302600_NS6detail15normal_iteratorINS9_10device_ptrIjEEEESE_SE_SE_NS0_19identity_decomposerEEE10hipError_tT1_T2_T3_T4_jRjT5_jjP12ihipStream_tbEUlT_E_NS1_11comp_targetILNS1_3genE3ELNS1_11target_archE908ELNS1_3gpuE7ELNS1_3repE0EEENS1_44radix_sort_block_sort_config_static_selectorELNS0_4arch9wavefront6targetE1EEEvSH_.private_seg_size, 0
	.set _ZN7rocprim17ROCPRIM_400000_NS6detail17trampoline_kernelINS0_13kernel_configILj256ELj4ELj4294967295EEENS1_37radix_sort_block_sort_config_selectorIjjEEZNS1_21radix_sort_block_sortIS4_Lb0EN6thrust23THRUST_200600_302600_NS6detail15normal_iteratorINS9_10device_ptrIjEEEESE_SE_SE_NS0_19identity_decomposerEEE10hipError_tT1_T2_T3_T4_jRjT5_jjP12ihipStream_tbEUlT_E_NS1_11comp_targetILNS1_3genE3ELNS1_11target_archE908ELNS1_3gpuE7ELNS1_3repE0EEENS1_44radix_sort_block_sort_config_static_selectorELNS0_4arch9wavefront6targetE1EEEvSH_.uses_vcc, 0
	.set _ZN7rocprim17ROCPRIM_400000_NS6detail17trampoline_kernelINS0_13kernel_configILj256ELj4ELj4294967295EEENS1_37radix_sort_block_sort_config_selectorIjjEEZNS1_21radix_sort_block_sortIS4_Lb0EN6thrust23THRUST_200600_302600_NS6detail15normal_iteratorINS9_10device_ptrIjEEEESE_SE_SE_NS0_19identity_decomposerEEE10hipError_tT1_T2_T3_T4_jRjT5_jjP12ihipStream_tbEUlT_E_NS1_11comp_targetILNS1_3genE3ELNS1_11target_archE908ELNS1_3gpuE7ELNS1_3repE0EEENS1_44radix_sort_block_sort_config_static_selectorELNS0_4arch9wavefront6targetE1EEEvSH_.uses_flat_scratch, 0
	.set _ZN7rocprim17ROCPRIM_400000_NS6detail17trampoline_kernelINS0_13kernel_configILj256ELj4ELj4294967295EEENS1_37radix_sort_block_sort_config_selectorIjjEEZNS1_21radix_sort_block_sortIS4_Lb0EN6thrust23THRUST_200600_302600_NS6detail15normal_iteratorINS9_10device_ptrIjEEEESE_SE_SE_NS0_19identity_decomposerEEE10hipError_tT1_T2_T3_T4_jRjT5_jjP12ihipStream_tbEUlT_E_NS1_11comp_targetILNS1_3genE3ELNS1_11target_archE908ELNS1_3gpuE7ELNS1_3repE0EEENS1_44radix_sort_block_sort_config_static_selectorELNS0_4arch9wavefront6targetE1EEEvSH_.has_dyn_sized_stack, 0
	.set _ZN7rocprim17ROCPRIM_400000_NS6detail17trampoline_kernelINS0_13kernel_configILj256ELj4ELj4294967295EEENS1_37radix_sort_block_sort_config_selectorIjjEEZNS1_21radix_sort_block_sortIS4_Lb0EN6thrust23THRUST_200600_302600_NS6detail15normal_iteratorINS9_10device_ptrIjEEEESE_SE_SE_NS0_19identity_decomposerEEE10hipError_tT1_T2_T3_T4_jRjT5_jjP12ihipStream_tbEUlT_E_NS1_11comp_targetILNS1_3genE3ELNS1_11target_archE908ELNS1_3gpuE7ELNS1_3repE0EEENS1_44radix_sort_block_sort_config_static_selectorELNS0_4arch9wavefront6targetE1EEEvSH_.has_recursion, 0
	.set _ZN7rocprim17ROCPRIM_400000_NS6detail17trampoline_kernelINS0_13kernel_configILj256ELj4ELj4294967295EEENS1_37radix_sort_block_sort_config_selectorIjjEEZNS1_21radix_sort_block_sortIS4_Lb0EN6thrust23THRUST_200600_302600_NS6detail15normal_iteratorINS9_10device_ptrIjEEEESE_SE_SE_NS0_19identity_decomposerEEE10hipError_tT1_T2_T3_T4_jRjT5_jjP12ihipStream_tbEUlT_E_NS1_11comp_targetILNS1_3genE3ELNS1_11target_archE908ELNS1_3gpuE7ELNS1_3repE0EEENS1_44radix_sort_block_sort_config_static_selectorELNS0_4arch9wavefront6targetE1EEEvSH_.has_indirect_call, 0
	.section	.AMDGPU.csdata,"",@progbits
; Kernel info:
; codeLenInByte = 0
; TotalNumSgprs: 6
; NumVgprs: 0
; NumAgprs: 0
; TotalNumVgprs: 0
; ScratchSize: 0
; MemoryBound: 0
; FloatMode: 240
; IeeeMode: 1
; LDSByteSize: 0 bytes/workgroup (compile time only)
; SGPRBlocks: 0
; VGPRBlocks: 0
; NumSGPRsForWavesPerEU: 6
; NumVGPRsForWavesPerEU: 1
; AccumOffset: 4
; Occupancy: 8
; WaveLimiterHint : 0
; COMPUTE_PGM_RSRC2:SCRATCH_EN: 0
; COMPUTE_PGM_RSRC2:USER_SGPR: 2
; COMPUTE_PGM_RSRC2:TRAP_HANDLER: 0
; COMPUTE_PGM_RSRC2:TGID_X_EN: 1
; COMPUTE_PGM_RSRC2:TGID_Y_EN: 0
; COMPUTE_PGM_RSRC2:TGID_Z_EN: 0
; COMPUTE_PGM_RSRC2:TIDIG_COMP_CNT: 0
; COMPUTE_PGM_RSRC3_GFX90A:ACCUM_OFFSET: 0
; COMPUTE_PGM_RSRC3_GFX90A:TG_SPLIT: 0
	.section	.text._ZN7rocprim17ROCPRIM_400000_NS6detail17trampoline_kernelINS0_13kernel_configILj256ELj4ELj4294967295EEENS1_37radix_sort_block_sort_config_selectorIjjEEZNS1_21radix_sort_block_sortIS4_Lb0EN6thrust23THRUST_200600_302600_NS6detail15normal_iteratorINS9_10device_ptrIjEEEESE_SE_SE_NS0_19identity_decomposerEEE10hipError_tT1_T2_T3_T4_jRjT5_jjP12ihipStream_tbEUlT_E_NS1_11comp_targetILNS1_3genE2ELNS1_11target_archE906ELNS1_3gpuE6ELNS1_3repE0EEENS1_44radix_sort_block_sort_config_static_selectorELNS0_4arch9wavefront6targetE1EEEvSH_,"axG",@progbits,_ZN7rocprim17ROCPRIM_400000_NS6detail17trampoline_kernelINS0_13kernel_configILj256ELj4ELj4294967295EEENS1_37radix_sort_block_sort_config_selectorIjjEEZNS1_21radix_sort_block_sortIS4_Lb0EN6thrust23THRUST_200600_302600_NS6detail15normal_iteratorINS9_10device_ptrIjEEEESE_SE_SE_NS0_19identity_decomposerEEE10hipError_tT1_T2_T3_T4_jRjT5_jjP12ihipStream_tbEUlT_E_NS1_11comp_targetILNS1_3genE2ELNS1_11target_archE906ELNS1_3gpuE6ELNS1_3repE0EEENS1_44radix_sort_block_sort_config_static_selectorELNS0_4arch9wavefront6targetE1EEEvSH_,comdat
	.protected	_ZN7rocprim17ROCPRIM_400000_NS6detail17trampoline_kernelINS0_13kernel_configILj256ELj4ELj4294967295EEENS1_37radix_sort_block_sort_config_selectorIjjEEZNS1_21radix_sort_block_sortIS4_Lb0EN6thrust23THRUST_200600_302600_NS6detail15normal_iteratorINS9_10device_ptrIjEEEESE_SE_SE_NS0_19identity_decomposerEEE10hipError_tT1_T2_T3_T4_jRjT5_jjP12ihipStream_tbEUlT_E_NS1_11comp_targetILNS1_3genE2ELNS1_11target_archE906ELNS1_3gpuE6ELNS1_3repE0EEENS1_44radix_sort_block_sort_config_static_selectorELNS0_4arch9wavefront6targetE1EEEvSH_ ; -- Begin function _ZN7rocprim17ROCPRIM_400000_NS6detail17trampoline_kernelINS0_13kernel_configILj256ELj4ELj4294967295EEENS1_37radix_sort_block_sort_config_selectorIjjEEZNS1_21radix_sort_block_sortIS4_Lb0EN6thrust23THRUST_200600_302600_NS6detail15normal_iteratorINS9_10device_ptrIjEEEESE_SE_SE_NS0_19identity_decomposerEEE10hipError_tT1_T2_T3_T4_jRjT5_jjP12ihipStream_tbEUlT_E_NS1_11comp_targetILNS1_3genE2ELNS1_11target_archE906ELNS1_3gpuE6ELNS1_3repE0EEENS1_44radix_sort_block_sort_config_static_selectorELNS0_4arch9wavefront6targetE1EEEvSH_
	.globl	_ZN7rocprim17ROCPRIM_400000_NS6detail17trampoline_kernelINS0_13kernel_configILj256ELj4ELj4294967295EEENS1_37radix_sort_block_sort_config_selectorIjjEEZNS1_21radix_sort_block_sortIS4_Lb0EN6thrust23THRUST_200600_302600_NS6detail15normal_iteratorINS9_10device_ptrIjEEEESE_SE_SE_NS0_19identity_decomposerEEE10hipError_tT1_T2_T3_T4_jRjT5_jjP12ihipStream_tbEUlT_E_NS1_11comp_targetILNS1_3genE2ELNS1_11target_archE906ELNS1_3gpuE6ELNS1_3repE0EEENS1_44radix_sort_block_sort_config_static_selectorELNS0_4arch9wavefront6targetE1EEEvSH_
	.p2align	8
	.type	_ZN7rocprim17ROCPRIM_400000_NS6detail17trampoline_kernelINS0_13kernel_configILj256ELj4ELj4294967295EEENS1_37radix_sort_block_sort_config_selectorIjjEEZNS1_21radix_sort_block_sortIS4_Lb0EN6thrust23THRUST_200600_302600_NS6detail15normal_iteratorINS9_10device_ptrIjEEEESE_SE_SE_NS0_19identity_decomposerEEE10hipError_tT1_T2_T3_T4_jRjT5_jjP12ihipStream_tbEUlT_E_NS1_11comp_targetILNS1_3genE2ELNS1_11target_archE906ELNS1_3gpuE6ELNS1_3repE0EEENS1_44radix_sort_block_sort_config_static_selectorELNS0_4arch9wavefront6targetE1EEEvSH_,@function
_ZN7rocprim17ROCPRIM_400000_NS6detail17trampoline_kernelINS0_13kernel_configILj256ELj4ELj4294967295EEENS1_37radix_sort_block_sort_config_selectorIjjEEZNS1_21radix_sort_block_sortIS4_Lb0EN6thrust23THRUST_200600_302600_NS6detail15normal_iteratorINS9_10device_ptrIjEEEESE_SE_SE_NS0_19identity_decomposerEEE10hipError_tT1_T2_T3_T4_jRjT5_jjP12ihipStream_tbEUlT_E_NS1_11comp_targetILNS1_3genE2ELNS1_11target_archE906ELNS1_3gpuE6ELNS1_3repE0EEENS1_44radix_sort_block_sort_config_static_selectorELNS0_4arch9wavefront6targetE1EEEvSH_: ; @_ZN7rocprim17ROCPRIM_400000_NS6detail17trampoline_kernelINS0_13kernel_configILj256ELj4ELj4294967295EEENS1_37radix_sort_block_sort_config_selectorIjjEEZNS1_21radix_sort_block_sortIS4_Lb0EN6thrust23THRUST_200600_302600_NS6detail15normal_iteratorINS9_10device_ptrIjEEEESE_SE_SE_NS0_19identity_decomposerEEE10hipError_tT1_T2_T3_T4_jRjT5_jjP12ihipStream_tbEUlT_E_NS1_11comp_targetILNS1_3genE2ELNS1_11target_archE906ELNS1_3gpuE6ELNS1_3repE0EEENS1_44radix_sort_block_sort_config_static_selectorELNS0_4arch9wavefront6targetE1EEEvSH_
; %bb.0:
	.section	.rodata,"a",@progbits
	.p2align	6, 0x0
	.amdhsa_kernel _ZN7rocprim17ROCPRIM_400000_NS6detail17trampoline_kernelINS0_13kernel_configILj256ELj4ELj4294967295EEENS1_37radix_sort_block_sort_config_selectorIjjEEZNS1_21radix_sort_block_sortIS4_Lb0EN6thrust23THRUST_200600_302600_NS6detail15normal_iteratorINS9_10device_ptrIjEEEESE_SE_SE_NS0_19identity_decomposerEEE10hipError_tT1_T2_T3_T4_jRjT5_jjP12ihipStream_tbEUlT_E_NS1_11comp_targetILNS1_3genE2ELNS1_11target_archE906ELNS1_3gpuE6ELNS1_3repE0EEENS1_44radix_sort_block_sort_config_static_selectorELNS0_4arch9wavefront6targetE1EEEvSH_
		.amdhsa_group_segment_fixed_size 0
		.amdhsa_private_segment_fixed_size 0
		.amdhsa_kernarg_size 48
		.amdhsa_user_sgpr_count 2
		.amdhsa_user_sgpr_dispatch_ptr 0
		.amdhsa_user_sgpr_queue_ptr 0
		.amdhsa_user_sgpr_kernarg_segment_ptr 1
		.amdhsa_user_sgpr_dispatch_id 0
		.amdhsa_user_sgpr_kernarg_preload_length 0
		.amdhsa_user_sgpr_kernarg_preload_offset 0
		.amdhsa_user_sgpr_private_segment_size 0
		.amdhsa_uses_dynamic_stack 0
		.amdhsa_enable_private_segment 0
		.amdhsa_system_sgpr_workgroup_id_x 1
		.amdhsa_system_sgpr_workgroup_id_y 0
		.amdhsa_system_sgpr_workgroup_id_z 0
		.amdhsa_system_sgpr_workgroup_info 0
		.amdhsa_system_vgpr_workitem_id 0
		.amdhsa_next_free_vgpr 1
		.amdhsa_next_free_sgpr 0
		.amdhsa_accum_offset 4
		.amdhsa_reserve_vcc 0
		.amdhsa_float_round_mode_32 0
		.amdhsa_float_round_mode_16_64 0
		.amdhsa_float_denorm_mode_32 3
		.amdhsa_float_denorm_mode_16_64 3
		.amdhsa_dx10_clamp 1
		.amdhsa_ieee_mode 1
		.amdhsa_fp16_overflow 0
		.amdhsa_tg_split 0
		.amdhsa_exception_fp_ieee_invalid_op 0
		.amdhsa_exception_fp_denorm_src 0
		.amdhsa_exception_fp_ieee_div_zero 0
		.amdhsa_exception_fp_ieee_overflow 0
		.amdhsa_exception_fp_ieee_underflow 0
		.amdhsa_exception_fp_ieee_inexact 0
		.amdhsa_exception_int_div_zero 0
	.end_amdhsa_kernel
	.section	.text._ZN7rocprim17ROCPRIM_400000_NS6detail17trampoline_kernelINS0_13kernel_configILj256ELj4ELj4294967295EEENS1_37radix_sort_block_sort_config_selectorIjjEEZNS1_21radix_sort_block_sortIS4_Lb0EN6thrust23THRUST_200600_302600_NS6detail15normal_iteratorINS9_10device_ptrIjEEEESE_SE_SE_NS0_19identity_decomposerEEE10hipError_tT1_T2_T3_T4_jRjT5_jjP12ihipStream_tbEUlT_E_NS1_11comp_targetILNS1_3genE2ELNS1_11target_archE906ELNS1_3gpuE6ELNS1_3repE0EEENS1_44radix_sort_block_sort_config_static_selectorELNS0_4arch9wavefront6targetE1EEEvSH_,"axG",@progbits,_ZN7rocprim17ROCPRIM_400000_NS6detail17trampoline_kernelINS0_13kernel_configILj256ELj4ELj4294967295EEENS1_37radix_sort_block_sort_config_selectorIjjEEZNS1_21radix_sort_block_sortIS4_Lb0EN6thrust23THRUST_200600_302600_NS6detail15normal_iteratorINS9_10device_ptrIjEEEESE_SE_SE_NS0_19identity_decomposerEEE10hipError_tT1_T2_T3_T4_jRjT5_jjP12ihipStream_tbEUlT_E_NS1_11comp_targetILNS1_3genE2ELNS1_11target_archE906ELNS1_3gpuE6ELNS1_3repE0EEENS1_44radix_sort_block_sort_config_static_selectorELNS0_4arch9wavefront6targetE1EEEvSH_,comdat
.Lfunc_end605:
	.size	_ZN7rocprim17ROCPRIM_400000_NS6detail17trampoline_kernelINS0_13kernel_configILj256ELj4ELj4294967295EEENS1_37radix_sort_block_sort_config_selectorIjjEEZNS1_21radix_sort_block_sortIS4_Lb0EN6thrust23THRUST_200600_302600_NS6detail15normal_iteratorINS9_10device_ptrIjEEEESE_SE_SE_NS0_19identity_decomposerEEE10hipError_tT1_T2_T3_T4_jRjT5_jjP12ihipStream_tbEUlT_E_NS1_11comp_targetILNS1_3genE2ELNS1_11target_archE906ELNS1_3gpuE6ELNS1_3repE0EEENS1_44radix_sort_block_sort_config_static_selectorELNS0_4arch9wavefront6targetE1EEEvSH_, .Lfunc_end605-_ZN7rocprim17ROCPRIM_400000_NS6detail17trampoline_kernelINS0_13kernel_configILj256ELj4ELj4294967295EEENS1_37radix_sort_block_sort_config_selectorIjjEEZNS1_21radix_sort_block_sortIS4_Lb0EN6thrust23THRUST_200600_302600_NS6detail15normal_iteratorINS9_10device_ptrIjEEEESE_SE_SE_NS0_19identity_decomposerEEE10hipError_tT1_T2_T3_T4_jRjT5_jjP12ihipStream_tbEUlT_E_NS1_11comp_targetILNS1_3genE2ELNS1_11target_archE906ELNS1_3gpuE6ELNS1_3repE0EEENS1_44radix_sort_block_sort_config_static_selectorELNS0_4arch9wavefront6targetE1EEEvSH_
                                        ; -- End function
	.set _ZN7rocprim17ROCPRIM_400000_NS6detail17trampoline_kernelINS0_13kernel_configILj256ELj4ELj4294967295EEENS1_37radix_sort_block_sort_config_selectorIjjEEZNS1_21radix_sort_block_sortIS4_Lb0EN6thrust23THRUST_200600_302600_NS6detail15normal_iteratorINS9_10device_ptrIjEEEESE_SE_SE_NS0_19identity_decomposerEEE10hipError_tT1_T2_T3_T4_jRjT5_jjP12ihipStream_tbEUlT_E_NS1_11comp_targetILNS1_3genE2ELNS1_11target_archE906ELNS1_3gpuE6ELNS1_3repE0EEENS1_44radix_sort_block_sort_config_static_selectorELNS0_4arch9wavefront6targetE1EEEvSH_.num_vgpr, 0
	.set _ZN7rocprim17ROCPRIM_400000_NS6detail17trampoline_kernelINS0_13kernel_configILj256ELj4ELj4294967295EEENS1_37radix_sort_block_sort_config_selectorIjjEEZNS1_21radix_sort_block_sortIS4_Lb0EN6thrust23THRUST_200600_302600_NS6detail15normal_iteratorINS9_10device_ptrIjEEEESE_SE_SE_NS0_19identity_decomposerEEE10hipError_tT1_T2_T3_T4_jRjT5_jjP12ihipStream_tbEUlT_E_NS1_11comp_targetILNS1_3genE2ELNS1_11target_archE906ELNS1_3gpuE6ELNS1_3repE0EEENS1_44radix_sort_block_sort_config_static_selectorELNS0_4arch9wavefront6targetE1EEEvSH_.num_agpr, 0
	.set _ZN7rocprim17ROCPRIM_400000_NS6detail17trampoline_kernelINS0_13kernel_configILj256ELj4ELj4294967295EEENS1_37radix_sort_block_sort_config_selectorIjjEEZNS1_21radix_sort_block_sortIS4_Lb0EN6thrust23THRUST_200600_302600_NS6detail15normal_iteratorINS9_10device_ptrIjEEEESE_SE_SE_NS0_19identity_decomposerEEE10hipError_tT1_T2_T3_T4_jRjT5_jjP12ihipStream_tbEUlT_E_NS1_11comp_targetILNS1_3genE2ELNS1_11target_archE906ELNS1_3gpuE6ELNS1_3repE0EEENS1_44radix_sort_block_sort_config_static_selectorELNS0_4arch9wavefront6targetE1EEEvSH_.numbered_sgpr, 0
	.set _ZN7rocprim17ROCPRIM_400000_NS6detail17trampoline_kernelINS0_13kernel_configILj256ELj4ELj4294967295EEENS1_37radix_sort_block_sort_config_selectorIjjEEZNS1_21radix_sort_block_sortIS4_Lb0EN6thrust23THRUST_200600_302600_NS6detail15normal_iteratorINS9_10device_ptrIjEEEESE_SE_SE_NS0_19identity_decomposerEEE10hipError_tT1_T2_T3_T4_jRjT5_jjP12ihipStream_tbEUlT_E_NS1_11comp_targetILNS1_3genE2ELNS1_11target_archE906ELNS1_3gpuE6ELNS1_3repE0EEENS1_44radix_sort_block_sort_config_static_selectorELNS0_4arch9wavefront6targetE1EEEvSH_.num_named_barrier, 0
	.set _ZN7rocprim17ROCPRIM_400000_NS6detail17trampoline_kernelINS0_13kernel_configILj256ELj4ELj4294967295EEENS1_37radix_sort_block_sort_config_selectorIjjEEZNS1_21radix_sort_block_sortIS4_Lb0EN6thrust23THRUST_200600_302600_NS6detail15normal_iteratorINS9_10device_ptrIjEEEESE_SE_SE_NS0_19identity_decomposerEEE10hipError_tT1_T2_T3_T4_jRjT5_jjP12ihipStream_tbEUlT_E_NS1_11comp_targetILNS1_3genE2ELNS1_11target_archE906ELNS1_3gpuE6ELNS1_3repE0EEENS1_44radix_sort_block_sort_config_static_selectorELNS0_4arch9wavefront6targetE1EEEvSH_.private_seg_size, 0
	.set _ZN7rocprim17ROCPRIM_400000_NS6detail17trampoline_kernelINS0_13kernel_configILj256ELj4ELj4294967295EEENS1_37radix_sort_block_sort_config_selectorIjjEEZNS1_21radix_sort_block_sortIS4_Lb0EN6thrust23THRUST_200600_302600_NS6detail15normal_iteratorINS9_10device_ptrIjEEEESE_SE_SE_NS0_19identity_decomposerEEE10hipError_tT1_T2_T3_T4_jRjT5_jjP12ihipStream_tbEUlT_E_NS1_11comp_targetILNS1_3genE2ELNS1_11target_archE906ELNS1_3gpuE6ELNS1_3repE0EEENS1_44radix_sort_block_sort_config_static_selectorELNS0_4arch9wavefront6targetE1EEEvSH_.uses_vcc, 0
	.set _ZN7rocprim17ROCPRIM_400000_NS6detail17trampoline_kernelINS0_13kernel_configILj256ELj4ELj4294967295EEENS1_37radix_sort_block_sort_config_selectorIjjEEZNS1_21radix_sort_block_sortIS4_Lb0EN6thrust23THRUST_200600_302600_NS6detail15normal_iteratorINS9_10device_ptrIjEEEESE_SE_SE_NS0_19identity_decomposerEEE10hipError_tT1_T2_T3_T4_jRjT5_jjP12ihipStream_tbEUlT_E_NS1_11comp_targetILNS1_3genE2ELNS1_11target_archE906ELNS1_3gpuE6ELNS1_3repE0EEENS1_44radix_sort_block_sort_config_static_selectorELNS0_4arch9wavefront6targetE1EEEvSH_.uses_flat_scratch, 0
	.set _ZN7rocprim17ROCPRIM_400000_NS6detail17trampoline_kernelINS0_13kernel_configILj256ELj4ELj4294967295EEENS1_37radix_sort_block_sort_config_selectorIjjEEZNS1_21radix_sort_block_sortIS4_Lb0EN6thrust23THRUST_200600_302600_NS6detail15normal_iteratorINS9_10device_ptrIjEEEESE_SE_SE_NS0_19identity_decomposerEEE10hipError_tT1_T2_T3_T4_jRjT5_jjP12ihipStream_tbEUlT_E_NS1_11comp_targetILNS1_3genE2ELNS1_11target_archE906ELNS1_3gpuE6ELNS1_3repE0EEENS1_44radix_sort_block_sort_config_static_selectorELNS0_4arch9wavefront6targetE1EEEvSH_.has_dyn_sized_stack, 0
	.set _ZN7rocprim17ROCPRIM_400000_NS6detail17trampoline_kernelINS0_13kernel_configILj256ELj4ELj4294967295EEENS1_37radix_sort_block_sort_config_selectorIjjEEZNS1_21radix_sort_block_sortIS4_Lb0EN6thrust23THRUST_200600_302600_NS6detail15normal_iteratorINS9_10device_ptrIjEEEESE_SE_SE_NS0_19identity_decomposerEEE10hipError_tT1_T2_T3_T4_jRjT5_jjP12ihipStream_tbEUlT_E_NS1_11comp_targetILNS1_3genE2ELNS1_11target_archE906ELNS1_3gpuE6ELNS1_3repE0EEENS1_44radix_sort_block_sort_config_static_selectorELNS0_4arch9wavefront6targetE1EEEvSH_.has_recursion, 0
	.set _ZN7rocprim17ROCPRIM_400000_NS6detail17trampoline_kernelINS0_13kernel_configILj256ELj4ELj4294967295EEENS1_37radix_sort_block_sort_config_selectorIjjEEZNS1_21radix_sort_block_sortIS4_Lb0EN6thrust23THRUST_200600_302600_NS6detail15normal_iteratorINS9_10device_ptrIjEEEESE_SE_SE_NS0_19identity_decomposerEEE10hipError_tT1_T2_T3_T4_jRjT5_jjP12ihipStream_tbEUlT_E_NS1_11comp_targetILNS1_3genE2ELNS1_11target_archE906ELNS1_3gpuE6ELNS1_3repE0EEENS1_44radix_sort_block_sort_config_static_selectorELNS0_4arch9wavefront6targetE1EEEvSH_.has_indirect_call, 0
	.section	.AMDGPU.csdata,"",@progbits
; Kernel info:
; codeLenInByte = 0
; TotalNumSgprs: 6
; NumVgprs: 0
; NumAgprs: 0
; TotalNumVgprs: 0
; ScratchSize: 0
; MemoryBound: 0
; FloatMode: 240
; IeeeMode: 1
; LDSByteSize: 0 bytes/workgroup (compile time only)
; SGPRBlocks: 0
; VGPRBlocks: 0
; NumSGPRsForWavesPerEU: 6
; NumVGPRsForWavesPerEU: 1
; AccumOffset: 4
; Occupancy: 8
; WaveLimiterHint : 0
; COMPUTE_PGM_RSRC2:SCRATCH_EN: 0
; COMPUTE_PGM_RSRC2:USER_SGPR: 2
; COMPUTE_PGM_RSRC2:TRAP_HANDLER: 0
; COMPUTE_PGM_RSRC2:TGID_X_EN: 1
; COMPUTE_PGM_RSRC2:TGID_Y_EN: 0
; COMPUTE_PGM_RSRC2:TGID_Z_EN: 0
; COMPUTE_PGM_RSRC2:TIDIG_COMP_CNT: 0
; COMPUTE_PGM_RSRC3_GFX90A:ACCUM_OFFSET: 0
; COMPUTE_PGM_RSRC3_GFX90A:TG_SPLIT: 0
	.section	.text._ZN7rocprim17ROCPRIM_400000_NS6detail17trampoline_kernelINS0_13kernel_configILj256ELj4ELj4294967295EEENS1_37radix_sort_block_sort_config_selectorIjjEEZNS1_21radix_sort_block_sortIS4_Lb0EN6thrust23THRUST_200600_302600_NS6detail15normal_iteratorINS9_10device_ptrIjEEEESE_SE_SE_NS0_19identity_decomposerEEE10hipError_tT1_T2_T3_T4_jRjT5_jjP12ihipStream_tbEUlT_E_NS1_11comp_targetILNS1_3genE10ELNS1_11target_archE1201ELNS1_3gpuE5ELNS1_3repE0EEENS1_44radix_sort_block_sort_config_static_selectorELNS0_4arch9wavefront6targetE1EEEvSH_,"axG",@progbits,_ZN7rocprim17ROCPRIM_400000_NS6detail17trampoline_kernelINS0_13kernel_configILj256ELj4ELj4294967295EEENS1_37radix_sort_block_sort_config_selectorIjjEEZNS1_21radix_sort_block_sortIS4_Lb0EN6thrust23THRUST_200600_302600_NS6detail15normal_iteratorINS9_10device_ptrIjEEEESE_SE_SE_NS0_19identity_decomposerEEE10hipError_tT1_T2_T3_T4_jRjT5_jjP12ihipStream_tbEUlT_E_NS1_11comp_targetILNS1_3genE10ELNS1_11target_archE1201ELNS1_3gpuE5ELNS1_3repE0EEENS1_44radix_sort_block_sort_config_static_selectorELNS0_4arch9wavefront6targetE1EEEvSH_,comdat
	.protected	_ZN7rocprim17ROCPRIM_400000_NS6detail17trampoline_kernelINS0_13kernel_configILj256ELj4ELj4294967295EEENS1_37radix_sort_block_sort_config_selectorIjjEEZNS1_21radix_sort_block_sortIS4_Lb0EN6thrust23THRUST_200600_302600_NS6detail15normal_iteratorINS9_10device_ptrIjEEEESE_SE_SE_NS0_19identity_decomposerEEE10hipError_tT1_T2_T3_T4_jRjT5_jjP12ihipStream_tbEUlT_E_NS1_11comp_targetILNS1_3genE10ELNS1_11target_archE1201ELNS1_3gpuE5ELNS1_3repE0EEENS1_44radix_sort_block_sort_config_static_selectorELNS0_4arch9wavefront6targetE1EEEvSH_ ; -- Begin function _ZN7rocprim17ROCPRIM_400000_NS6detail17trampoline_kernelINS0_13kernel_configILj256ELj4ELj4294967295EEENS1_37radix_sort_block_sort_config_selectorIjjEEZNS1_21radix_sort_block_sortIS4_Lb0EN6thrust23THRUST_200600_302600_NS6detail15normal_iteratorINS9_10device_ptrIjEEEESE_SE_SE_NS0_19identity_decomposerEEE10hipError_tT1_T2_T3_T4_jRjT5_jjP12ihipStream_tbEUlT_E_NS1_11comp_targetILNS1_3genE10ELNS1_11target_archE1201ELNS1_3gpuE5ELNS1_3repE0EEENS1_44radix_sort_block_sort_config_static_selectorELNS0_4arch9wavefront6targetE1EEEvSH_
	.globl	_ZN7rocprim17ROCPRIM_400000_NS6detail17trampoline_kernelINS0_13kernel_configILj256ELj4ELj4294967295EEENS1_37radix_sort_block_sort_config_selectorIjjEEZNS1_21radix_sort_block_sortIS4_Lb0EN6thrust23THRUST_200600_302600_NS6detail15normal_iteratorINS9_10device_ptrIjEEEESE_SE_SE_NS0_19identity_decomposerEEE10hipError_tT1_T2_T3_T4_jRjT5_jjP12ihipStream_tbEUlT_E_NS1_11comp_targetILNS1_3genE10ELNS1_11target_archE1201ELNS1_3gpuE5ELNS1_3repE0EEENS1_44radix_sort_block_sort_config_static_selectorELNS0_4arch9wavefront6targetE1EEEvSH_
	.p2align	8
	.type	_ZN7rocprim17ROCPRIM_400000_NS6detail17trampoline_kernelINS0_13kernel_configILj256ELj4ELj4294967295EEENS1_37radix_sort_block_sort_config_selectorIjjEEZNS1_21radix_sort_block_sortIS4_Lb0EN6thrust23THRUST_200600_302600_NS6detail15normal_iteratorINS9_10device_ptrIjEEEESE_SE_SE_NS0_19identity_decomposerEEE10hipError_tT1_T2_T3_T4_jRjT5_jjP12ihipStream_tbEUlT_E_NS1_11comp_targetILNS1_3genE10ELNS1_11target_archE1201ELNS1_3gpuE5ELNS1_3repE0EEENS1_44radix_sort_block_sort_config_static_selectorELNS0_4arch9wavefront6targetE1EEEvSH_,@function
_ZN7rocprim17ROCPRIM_400000_NS6detail17trampoline_kernelINS0_13kernel_configILj256ELj4ELj4294967295EEENS1_37radix_sort_block_sort_config_selectorIjjEEZNS1_21radix_sort_block_sortIS4_Lb0EN6thrust23THRUST_200600_302600_NS6detail15normal_iteratorINS9_10device_ptrIjEEEESE_SE_SE_NS0_19identity_decomposerEEE10hipError_tT1_T2_T3_T4_jRjT5_jjP12ihipStream_tbEUlT_E_NS1_11comp_targetILNS1_3genE10ELNS1_11target_archE1201ELNS1_3gpuE5ELNS1_3repE0EEENS1_44radix_sort_block_sort_config_static_selectorELNS0_4arch9wavefront6targetE1EEEvSH_: ; @_ZN7rocprim17ROCPRIM_400000_NS6detail17trampoline_kernelINS0_13kernel_configILj256ELj4ELj4294967295EEENS1_37radix_sort_block_sort_config_selectorIjjEEZNS1_21radix_sort_block_sortIS4_Lb0EN6thrust23THRUST_200600_302600_NS6detail15normal_iteratorINS9_10device_ptrIjEEEESE_SE_SE_NS0_19identity_decomposerEEE10hipError_tT1_T2_T3_T4_jRjT5_jjP12ihipStream_tbEUlT_E_NS1_11comp_targetILNS1_3genE10ELNS1_11target_archE1201ELNS1_3gpuE5ELNS1_3repE0EEENS1_44radix_sort_block_sort_config_static_selectorELNS0_4arch9wavefront6targetE1EEEvSH_
; %bb.0:
	.section	.rodata,"a",@progbits
	.p2align	6, 0x0
	.amdhsa_kernel _ZN7rocprim17ROCPRIM_400000_NS6detail17trampoline_kernelINS0_13kernel_configILj256ELj4ELj4294967295EEENS1_37radix_sort_block_sort_config_selectorIjjEEZNS1_21radix_sort_block_sortIS4_Lb0EN6thrust23THRUST_200600_302600_NS6detail15normal_iteratorINS9_10device_ptrIjEEEESE_SE_SE_NS0_19identity_decomposerEEE10hipError_tT1_T2_T3_T4_jRjT5_jjP12ihipStream_tbEUlT_E_NS1_11comp_targetILNS1_3genE10ELNS1_11target_archE1201ELNS1_3gpuE5ELNS1_3repE0EEENS1_44radix_sort_block_sort_config_static_selectorELNS0_4arch9wavefront6targetE1EEEvSH_
		.amdhsa_group_segment_fixed_size 0
		.amdhsa_private_segment_fixed_size 0
		.amdhsa_kernarg_size 48
		.amdhsa_user_sgpr_count 2
		.amdhsa_user_sgpr_dispatch_ptr 0
		.amdhsa_user_sgpr_queue_ptr 0
		.amdhsa_user_sgpr_kernarg_segment_ptr 1
		.amdhsa_user_sgpr_dispatch_id 0
		.amdhsa_user_sgpr_kernarg_preload_length 0
		.amdhsa_user_sgpr_kernarg_preload_offset 0
		.amdhsa_user_sgpr_private_segment_size 0
		.amdhsa_uses_dynamic_stack 0
		.amdhsa_enable_private_segment 0
		.amdhsa_system_sgpr_workgroup_id_x 1
		.amdhsa_system_sgpr_workgroup_id_y 0
		.amdhsa_system_sgpr_workgroup_id_z 0
		.amdhsa_system_sgpr_workgroup_info 0
		.amdhsa_system_vgpr_workitem_id 0
		.amdhsa_next_free_vgpr 1
		.amdhsa_next_free_sgpr 0
		.amdhsa_accum_offset 4
		.amdhsa_reserve_vcc 0
		.amdhsa_float_round_mode_32 0
		.amdhsa_float_round_mode_16_64 0
		.amdhsa_float_denorm_mode_32 3
		.amdhsa_float_denorm_mode_16_64 3
		.amdhsa_dx10_clamp 1
		.amdhsa_ieee_mode 1
		.amdhsa_fp16_overflow 0
		.amdhsa_tg_split 0
		.amdhsa_exception_fp_ieee_invalid_op 0
		.amdhsa_exception_fp_denorm_src 0
		.amdhsa_exception_fp_ieee_div_zero 0
		.amdhsa_exception_fp_ieee_overflow 0
		.amdhsa_exception_fp_ieee_underflow 0
		.amdhsa_exception_fp_ieee_inexact 0
		.amdhsa_exception_int_div_zero 0
	.end_amdhsa_kernel
	.section	.text._ZN7rocprim17ROCPRIM_400000_NS6detail17trampoline_kernelINS0_13kernel_configILj256ELj4ELj4294967295EEENS1_37radix_sort_block_sort_config_selectorIjjEEZNS1_21radix_sort_block_sortIS4_Lb0EN6thrust23THRUST_200600_302600_NS6detail15normal_iteratorINS9_10device_ptrIjEEEESE_SE_SE_NS0_19identity_decomposerEEE10hipError_tT1_T2_T3_T4_jRjT5_jjP12ihipStream_tbEUlT_E_NS1_11comp_targetILNS1_3genE10ELNS1_11target_archE1201ELNS1_3gpuE5ELNS1_3repE0EEENS1_44radix_sort_block_sort_config_static_selectorELNS0_4arch9wavefront6targetE1EEEvSH_,"axG",@progbits,_ZN7rocprim17ROCPRIM_400000_NS6detail17trampoline_kernelINS0_13kernel_configILj256ELj4ELj4294967295EEENS1_37radix_sort_block_sort_config_selectorIjjEEZNS1_21radix_sort_block_sortIS4_Lb0EN6thrust23THRUST_200600_302600_NS6detail15normal_iteratorINS9_10device_ptrIjEEEESE_SE_SE_NS0_19identity_decomposerEEE10hipError_tT1_T2_T3_T4_jRjT5_jjP12ihipStream_tbEUlT_E_NS1_11comp_targetILNS1_3genE10ELNS1_11target_archE1201ELNS1_3gpuE5ELNS1_3repE0EEENS1_44radix_sort_block_sort_config_static_selectorELNS0_4arch9wavefront6targetE1EEEvSH_,comdat
.Lfunc_end606:
	.size	_ZN7rocprim17ROCPRIM_400000_NS6detail17trampoline_kernelINS0_13kernel_configILj256ELj4ELj4294967295EEENS1_37radix_sort_block_sort_config_selectorIjjEEZNS1_21radix_sort_block_sortIS4_Lb0EN6thrust23THRUST_200600_302600_NS6detail15normal_iteratorINS9_10device_ptrIjEEEESE_SE_SE_NS0_19identity_decomposerEEE10hipError_tT1_T2_T3_T4_jRjT5_jjP12ihipStream_tbEUlT_E_NS1_11comp_targetILNS1_3genE10ELNS1_11target_archE1201ELNS1_3gpuE5ELNS1_3repE0EEENS1_44radix_sort_block_sort_config_static_selectorELNS0_4arch9wavefront6targetE1EEEvSH_, .Lfunc_end606-_ZN7rocprim17ROCPRIM_400000_NS6detail17trampoline_kernelINS0_13kernel_configILj256ELj4ELj4294967295EEENS1_37radix_sort_block_sort_config_selectorIjjEEZNS1_21radix_sort_block_sortIS4_Lb0EN6thrust23THRUST_200600_302600_NS6detail15normal_iteratorINS9_10device_ptrIjEEEESE_SE_SE_NS0_19identity_decomposerEEE10hipError_tT1_T2_T3_T4_jRjT5_jjP12ihipStream_tbEUlT_E_NS1_11comp_targetILNS1_3genE10ELNS1_11target_archE1201ELNS1_3gpuE5ELNS1_3repE0EEENS1_44radix_sort_block_sort_config_static_selectorELNS0_4arch9wavefront6targetE1EEEvSH_
                                        ; -- End function
	.set _ZN7rocprim17ROCPRIM_400000_NS6detail17trampoline_kernelINS0_13kernel_configILj256ELj4ELj4294967295EEENS1_37radix_sort_block_sort_config_selectorIjjEEZNS1_21radix_sort_block_sortIS4_Lb0EN6thrust23THRUST_200600_302600_NS6detail15normal_iteratorINS9_10device_ptrIjEEEESE_SE_SE_NS0_19identity_decomposerEEE10hipError_tT1_T2_T3_T4_jRjT5_jjP12ihipStream_tbEUlT_E_NS1_11comp_targetILNS1_3genE10ELNS1_11target_archE1201ELNS1_3gpuE5ELNS1_3repE0EEENS1_44radix_sort_block_sort_config_static_selectorELNS0_4arch9wavefront6targetE1EEEvSH_.num_vgpr, 0
	.set _ZN7rocprim17ROCPRIM_400000_NS6detail17trampoline_kernelINS0_13kernel_configILj256ELj4ELj4294967295EEENS1_37radix_sort_block_sort_config_selectorIjjEEZNS1_21radix_sort_block_sortIS4_Lb0EN6thrust23THRUST_200600_302600_NS6detail15normal_iteratorINS9_10device_ptrIjEEEESE_SE_SE_NS0_19identity_decomposerEEE10hipError_tT1_T2_T3_T4_jRjT5_jjP12ihipStream_tbEUlT_E_NS1_11comp_targetILNS1_3genE10ELNS1_11target_archE1201ELNS1_3gpuE5ELNS1_3repE0EEENS1_44radix_sort_block_sort_config_static_selectorELNS0_4arch9wavefront6targetE1EEEvSH_.num_agpr, 0
	.set _ZN7rocprim17ROCPRIM_400000_NS6detail17trampoline_kernelINS0_13kernel_configILj256ELj4ELj4294967295EEENS1_37radix_sort_block_sort_config_selectorIjjEEZNS1_21radix_sort_block_sortIS4_Lb0EN6thrust23THRUST_200600_302600_NS6detail15normal_iteratorINS9_10device_ptrIjEEEESE_SE_SE_NS0_19identity_decomposerEEE10hipError_tT1_T2_T3_T4_jRjT5_jjP12ihipStream_tbEUlT_E_NS1_11comp_targetILNS1_3genE10ELNS1_11target_archE1201ELNS1_3gpuE5ELNS1_3repE0EEENS1_44radix_sort_block_sort_config_static_selectorELNS0_4arch9wavefront6targetE1EEEvSH_.numbered_sgpr, 0
	.set _ZN7rocprim17ROCPRIM_400000_NS6detail17trampoline_kernelINS0_13kernel_configILj256ELj4ELj4294967295EEENS1_37radix_sort_block_sort_config_selectorIjjEEZNS1_21radix_sort_block_sortIS4_Lb0EN6thrust23THRUST_200600_302600_NS6detail15normal_iteratorINS9_10device_ptrIjEEEESE_SE_SE_NS0_19identity_decomposerEEE10hipError_tT1_T2_T3_T4_jRjT5_jjP12ihipStream_tbEUlT_E_NS1_11comp_targetILNS1_3genE10ELNS1_11target_archE1201ELNS1_3gpuE5ELNS1_3repE0EEENS1_44radix_sort_block_sort_config_static_selectorELNS0_4arch9wavefront6targetE1EEEvSH_.num_named_barrier, 0
	.set _ZN7rocprim17ROCPRIM_400000_NS6detail17trampoline_kernelINS0_13kernel_configILj256ELj4ELj4294967295EEENS1_37radix_sort_block_sort_config_selectorIjjEEZNS1_21radix_sort_block_sortIS4_Lb0EN6thrust23THRUST_200600_302600_NS6detail15normal_iteratorINS9_10device_ptrIjEEEESE_SE_SE_NS0_19identity_decomposerEEE10hipError_tT1_T2_T3_T4_jRjT5_jjP12ihipStream_tbEUlT_E_NS1_11comp_targetILNS1_3genE10ELNS1_11target_archE1201ELNS1_3gpuE5ELNS1_3repE0EEENS1_44radix_sort_block_sort_config_static_selectorELNS0_4arch9wavefront6targetE1EEEvSH_.private_seg_size, 0
	.set _ZN7rocprim17ROCPRIM_400000_NS6detail17trampoline_kernelINS0_13kernel_configILj256ELj4ELj4294967295EEENS1_37radix_sort_block_sort_config_selectorIjjEEZNS1_21radix_sort_block_sortIS4_Lb0EN6thrust23THRUST_200600_302600_NS6detail15normal_iteratorINS9_10device_ptrIjEEEESE_SE_SE_NS0_19identity_decomposerEEE10hipError_tT1_T2_T3_T4_jRjT5_jjP12ihipStream_tbEUlT_E_NS1_11comp_targetILNS1_3genE10ELNS1_11target_archE1201ELNS1_3gpuE5ELNS1_3repE0EEENS1_44radix_sort_block_sort_config_static_selectorELNS0_4arch9wavefront6targetE1EEEvSH_.uses_vcc, 0
	.set _ZN7rocprim17ROCPRIM_400000_NS6detail17trampoline_kernelINS0_13kernel_configILj256ELj4ELj4294967295EEENS1_37radix_sort_block_sort_config_selectorIjjEEZNS1_21radix_sort_block_sortIS4_Lb0EN6thrust23THRUST_200600_302600_NS6detail15normal_iteratorINS9_10device_ptrIjEEEESE_SE_SE_NS0_19identity_decomposerEEE10hipError_tT1_T2_T3_T4_jRjT5_jjP12ihipStream_tbEUlT_E_NS1_11comp_targetILNS1_3genE10ELNS1_11target_archE1201ELNS1_3gpuE5ELNS1_3repE0EEENS1_44radix_sort_block_sort_config_static_selectorELNS0_4arch9wavefront6targetE1EEEvSH_.uses_flat_scratch, 0
	.set _ZN7rocprim17ROCPRIM_400000_NS6detail17trampoline_kernelINS0_13kernel_configILj256ELj4ELj4294967295EEENS1_37radix_sort_block_sort_config_selectorIjjEEZNS1_21radix_sort_block_sortIS4_Lb0EN6thrust23THRUST_200600_302600_NS6detail15normal_iteratorINS9_10device_ptrIjEEEESE_SE_SE_NS0_19identity_decomposerEEE10hipError_tT1_T2_T3_T4_jRjT5_jjP12ihipStream_tbEUlT_E_NS1_11comp_targetILNS1_3genE10ELNS1_11target_archE1201ELNS1_3gpuE5ELNS1_3repE0EEENS1_44radix_sort_block_sort_config_static_selectorELNS0_4arch9wavefront6targetE1EEEvSH_.has_dyn_sized_stack, 0
	.set _ZN7rocprim17ROCPRIM_400000_NS6detail17trampoline_kernelINS0_13kernel_configILj256ELj4ELj4294967295EEENS1_37radix_sort_block_sort_config_selectorIjjEEZNS1_21radix_sort_block_sortIS4_Lb0EN6thrust23THRUST_200600_302600_NS6detail15normal_iteratorINS9_10device_ptrIjEEEESE_SE_SE_NS0_19identity_decomposerEEE10hipError_tT1_T2_T3_T4_jRjT5_jjP12ihipStream_tbEUlT_E_NS1_11comp_targetILNS1_3genE10ELNS1_11target_archE1201ELNS1_3gpuE5ELNS1_3repE0EEENS1_44radix_sort_block_sort_config_static_selectorELNS0_4arch9wavefront6targetE1EEEvSH_.has_recursion, 0
	.set _ZN7rocprim17ROCPRIM_400000_NS6detail17trampoline_kernelINS0_13kernel_configILj256ELj4ELj4294967295EEENS1_37radix_sort_block_sort_config_selectorIjjEEZNS1_21radix_sort_block_sortIS4_Lb0EN6thrust23THRUST_200600_302600_NS6detail15normal_iteratorINS9_10device_ptrIjEEEESE_SE_SE_NS0_19identity_decomposerEEE10hipError_tT1_T2_T3_T4_jRjT5_jjP12ihipStream_tbEUlT_E_NS1_11comp_targetILNS1_3genE10ELNS1_11target_archE1201ELNS1_3gpuE5ELNS1_3repE0EEENS1_44radix_sort_block_sort_config_static_selectorELNS0_4arch9wavefront6targetE1EEEvSH_.has_indirect_call, 0
	.section	.AMDGPU.csdata,"",@progbits
; Kernel info:
; codeLenInByte = 0
; TotalNumSgprs: 6
; NumVgprs: 0
; NumAgprs: 0
; TotalNumVgprs: 0
; ScratchSize: 0
; MemoryBound: 0
; FloatMode: 240
; IeeeMode: 1
; LDSByteSize: 0 bytes/workgroup (compile time only)
; SGPRBlocks: 0
; VGPRBlocks: 0
; NumSGPRsForWavesPerEU: 6
; NumVGPRsForWavesPerEU: 1
; AccumOffset: 4
; Occupancy: 8
; WaveLimiterHint : 0
; COMPUTE_PGM_RSRC2:SCRATCH_EN: 0
; COMPUTE_PGM_RSRC2:USER_SGPR: 2
; COMPUTE_PGM_RSRC2:TRAP_HANDLER: 0
; COMPUTE_PGM_RSRC2:TGID_X_EN: 1
; COMPUTE_PGM_RSRC2:TGID_Y_EN: 0
; COMPUTE_PGM_RSRC2:TGID_Z_EN: 0
; COMPUTE_PGM_RSRC2:TIDIG_COMP_CNT: 0
; COMPUTE_PGM_RSRC3_GFX90A:ACCUM_OFFSET: 0
; COMPUTE_PGM_RSRC3_GFX90A:TG_SPLIT: 0
	.section	.text._ZN7rocprim17ROCPRIM_400000_NS6detail17trampoline_kernelINS0_13kernel_configILj256ELj4ELj4294967295EEENS1_37radix_sort_block_sort_config_selectorIjjEEZNS1_21radix_sort_block_sortIS4_Lb0EN6thrust23THRUST_200600_302600_NS6detail15normal_iteratorINS9_10device_ptrIjEEEESE_SE_SE_NS0_19identity_decomposerEEE10hipError_tT1_T2_T3_T4_jRjT5_jjP12ihipStream_tbEUlT_E_NS1_11comp_targetILNS1_3genE10ELNS1_11target_archE1200ELNS1_3gpuE4ELNS1_3repE0EEENS1_44radix_sort_block_sort_config_static_selectorELNS0_4arch9wavefront6targetE1EEEvSH_,"axG",@progbits,_ZN7rocprim17ROCPRIM_400000_NS6detail17trampoline_kernelINS0_13kernel_configILj256ELj4ELj4294967295EEENS1_37radix_sort_block_sort_config_selectorIjjEEZNS1_21radix_sort_block_sortIS4_Lb0EN6thrust23THRUST_200600_302600_NS6detail15normal_iteratorINS9_10device_ptrIjEEEESE_SE_SE_NS0_19identity_decomposerEEE10hipError_tT1_T2_T3_T4_jRjT5_jjP12ihipStream_tbEUlT_E_NS1_11comp_targetILNS1_3genE10ELNS1_11target_archE1200ELNS1_3gpuE4ELNS1_3repE0EEENS1_44radix_sort_block_sort_config_static_selectorELNS0_4arch9wavefront6targetE1EEEvSH_,comdat
	.protected	_ZN7rocprim17ROCPRIM_400000_NS6detail17trampoline_kernelINS0_13kernel_configILj256ELj4ELj4294967295EEENS1_37radix_sort_block_sort_config_selectorIjjEEZNS1_21radix_sort_block_sortIS4_Lb0EN6thrust23THRUST_200600_302600_NS6detail15normal_iteratorINS9_10device_ptrIjEEEESE_SE_SE_NS0_19identity_decomposerEEE10hipError_tT1_T2_T3_T4_jRjT5_jjP12ihipStream_tbEUlT_E_NS1_11comp_targetILNS1_3genE10ELNS1_11target_archE1200ELNS1_3gpuE4ELNS1_3repE0EEENS1_44radix_sort_block_sort_config_static_selectorELNS0_4arch9wavefront6targetE1EEEvSH_ ; -- Begin function _ZN7rocprim17ROCPRIM_400000_NS6detail17trampoline_kernelINS0_13kernel_configILj256ELj4ELj4294967295EEENS1_37radix_sort_block_sort_config_selectorIjjEEZNS1_21radix_sort_block_sortIS4_Lb0EN6thrust23THRUST_200600_302600_NS6detail15normal_iteratorINS9_10device_ptrIjEEEESE_SE_SE_NS0_19identity_decomposerEEE10hipError_tT1_T2_T3_T4_jRjT5_jjP12ihipStream_tbEUlT_E_NS1_11comp_targetILNS1_3genE10ELNS1_11target_archE1200ELNS1_3gpuE4ELNS1_3repE0EEENS1_44radix_sort_block_sort_config_static_selectorELNS0_4arch9wavefront6targetE1EEEvSH_
	.globl	_ZN7rocprim17ROCPRIM_400000_NS6detail17trampoline_kernelINS0_13kernel_configILj256ELj4ELj4294967295EEENS1_37radix_sort_block_sort_config_selectorIjjEEZNS1_21radix_sort_block_sortIS4_Lb0EN6thrust23THRUST_200600_302600_NS6detail15normal_iteratorINS9_10device_ptrIjEEEESE_SE_SE_NS0_19identity_decomposerEEE10hipError_tT1_T2_T3_T4_jRjT5_jjP12ihipStream_tbEUlT_E_NS1_11comp_targetILNS1_3genE10ELNS1_11target_archE1200ELNS1_3gpuE4ELNS1_3repE0EEENS1_44radix_sort_block_sort_config_static_selectorELNS0_4arch9wavefront6targetE1EEEvSH_
	.p2align	8
	.type	_ZN7rocprim17ROCPRIM_400000_NS6detail17trampoline_kernelINS0_13kernel_configILj256ELj4ELj4294967295EEENS1_37radix_sort_block_sort_config_selectorIjjEEZNS1_21radix_sort_block_sortIS4_Lb0EN6thrust23THRUST_200600_302600_NS6detail15normal_iteratorINS9_10device_ptrIjEEEESE_SE_SE_NS0_19identity_decomposerEEE10hipError_tT1_T2_T3_T4_jRjT5_jjP12ihipStream_tbEUlT_E_NS1_11comp_targetILNS1_3genE10ELNS1_11target_archE1200ELNS1_3gpuE4ELNS1_3repE0EEENS1_44radix_sort_block_sort_config_static_selectorELNS0_4arch9wavefront6targetE1EEEvSH_,@function
_ZN7rocprim17ROCPRIM_400000_NS6detail17trampoline_kernelINS0_13kernel_configILj256ELj4ELj4294967295EEENS1_37radix_sort_block_sort_config_selectorIjjEEZNS1_21radix_sort_block_sortIS4_Lb0EN6thrust23THRUST_200600_302600_NS6detail15normal_iteratorINS9_10device_ptrIjEEEESE_SE_SE_NS0_19identity_decomposerEEE10hipError_tT1_T2_T3_T4_jRjT5_jjP12ihipStream_tbEUlT_E_NS1_11comp_targetILNS1_3genE10ELNS1_11target_archE1200ELNS1_3gpuE4ELNS1_3repE0EEENS1_44radix_sort_block_sort_config_static_selectorELNS0_4arch9wavefront6targetE1EEEvSH_: ; @_ZN7rocprim17ROCPRIM_400000_NS6detail17trampoline_kernelINS0_13kernel_configILj256ELj4ELj4294967295EEENS1_37radix_sort_block_sort_config_selectorIjjEEZNS1_21radix_sort_block_sortIS4_Lb0EN6thrust23THRUST_200600_302600_NS6detail15normal_iteratorINS9_10device_ptrIjEEEESE_SE_SE_NS0_19identity_decomposerEEE10hipError_tT1_T2_T3_T4_jRjT5_jjP12ihipStream_tbEUlT_E_NS1_11comp_targetILNS1_3genE10ELNS1_11target_archE1200ELNS1_3gpuE4ELNS1_3repE0EEENS1_44radix_sort_block_sort_config_static_selectorELNS0_4arch9wavefront6targetE1EEEvSH_
; %bb.0:
	.section	.rodata,"a",@progbits
	.p2align	6, 0x0
	.amdhsa_kernel _ZN7rocprim17ROCPRIM_400000_NS6detail17trampoline_kernelINS0_13kernel_configILj256ELj4ELj4294967295EEENS1_37radix_sort_block_sort_config_selectorIjjEEZNS1_21radix_sort_block_sortIS4_Lb0EN6thrust23THRUST_200600_302600_NS6detail15normal_iteratorINS9_10device_ptrIjEEEESE_SE_SE_NS0_19identity_decomposerEEE10hipError_tT1_T2_T3_T4_jRjT5_jjP12ihipStream_tbEUlT_E_NS1_11comp_targetILNS1_3genE10ELNS1_11target_archE1200ELNS1_3gpuE4ELNS1_3repE0EEENS1_44radix_sort_block_sort_config_static_selectorELNS0_4arch9wavefront6targetE1EEEvSH_
		.amdhsa_group_segment_fixed_size 0
		.amdhsa_private_segment_fixed_size 0
		.amdhsa_kernarg_size 48
		.amdhsa_user_sgpr_count 2
		.amdhsa_user_sgpr_dispatch_ptr 0
		.amdhsa_user_sgpr_queue_ptr 0
		.amdhsa_user_sgpr_kernarg_segment_ptr 1
		.amdhsa_user_sgpr_dispatch_id 0
		.amdhsa_user_sgpr_kernarg_preload_length 0
		.amdhsa_user_sgpr_kernarg_preload_offset 0
		.amdhsa_user_sgpr_private_segment_size 0
		.amdhsa_uses_dynamic_stack 0
		.amdhsa_enable_private_segment 0
		.amdhsa_system_sgpr_workgroup_id_x 1
		.amdhsa_system_sgpr_workgroup_id_y 0
		.amdhsa_system_sgpr_workgroup_id_z 0
		.amdhsa_system_sgpr_workgroup_info 0
		.amdhsa_system_vgpr_workitem_id 0
		.amdhsa_next_free_vgpr 1
		.amdhsa_next_free_sgpr 0
		.amdhsa_accum_offset 4
		.amdhsa_reserve_vcc 0
		.amdhsa_float_round_mode_32 0
		.amdhsa_float_round_mode_16_64 0
		.amdhsa_float_denorm_mode_32 3
		.amdhsa_float_denorm_mode_16_64 3
		.amdhsa_dx10_clamp 1
		.amdhsa_ieee_mode 1
		.amdhsa_fp16_overflow 0
		.amdhsa_tg_split 0
		.amdhsa_exception_fp_ieee_invalid_op 0
		.amdhsa_exception_fp_denorm_src 0
		.amdhsa_exception_fp_ieee_div_zero 0
		.amdhsa_exception_fp_ieee_overflow 0
		.amdhsa_exception_fp_ieee_underflow 0
		.amdhsa_exception_fp_ieee_inexact 0
		.amdhsa_exception_int_div_zero 0
	.end_amdhsa_kernel
	.section	.text._ZN7rocprim17ROCPRIM_400000_NS6detail17trampoline_kernelINS0_13kernel_configILj256ELj4ELj4294967295EEENS1_37radix_sort_block_sort_config_selectorIjjEEZNS1_21radix_sort_block_sortIS4_Lb0EN6thrust23THRUST_200600_302600_NS6detail15normal_iteratorINS9_10device_ptrIjEEEESE_SE_SE_NS0_19identity_decomposerEEE10hipError_tT1_T2_T3_T4_jRjT5_jjP12ihipStream_tbEUlT_E_NS1_11comp_targetILNS1_3genE10ELNS1_11target_archE1200ELNS1_3gpuE4ELNS1_3repE0EEENS1_44radix_sort_block_sort_config_static_selectorELNS0_4arch9wavefront6targetE1EEEvSH_,"axG",@progbits,_ZN7rocprim17ROCPRIM_400000_NS6detail17trampoline_kernelINS0_13kernel_configILj256ELj4ELj4294967295EEENS1_37radix_sort_block_sort_config_selectorIjjEEZNS1_21radix_sort_block_sortIS4_Lb0EN6thrust23THRUST_200600_302600_NS6detail15normal_iteratorINS9_10device_ptrIjEEEESE_SE_SE_NS0_19identity_decomposerEEE10hipError_tT1_T2_T3_T4_jRjT5_jjP12ihipStream_tbEUlT_E_NS1_11comp_targetILNS1_3genE10ELNS1_11target_archE1200ELNS1_3gpuE4ELNS1_3repE0EEENS1_44radix_sort_block_sort_config_static_selectorELNS0_4arch9wavefront6targetE1EEEvSH_,comdat
.Lfunc_end607:
	.size	_ZN7rocprim17ROCPRIM_400000_NS6detail17trampoline_kernelINS0_13kernel_configILj256ELj4ELj4294967295EEENS1_37radix_sort_block_sort_config_selectorIjjEEZNS1_21radix_sort_block_sortIS4_Lb0EN6thrust23THRUST_200600_302600_NS6detail15normal_iteratorINS9_10device_ptrIjEEEESE_SE_SE_NS0_19identity_decomposerEEE10hipError_tT1_T2_T3_T4_jRjT5_jjP12ihipStream_tbEUlT_E_NS1_11comp_targetILNS1_3genE10ELNS1_11target_archE1200ELNS1_3gpuE4ELNS1_3repE0EEENS1_44radix_sort_block_sort_config_static_selectorELNS0_4arch9wavefront6targetE1EEEvSH_, .Lfunc_end607-_ZN7rocprim17ROCPRIM_400000_NS6detail17trampoline_kernelINS0_13kernel_configILj256ELj4ELj4294967295EEENS1_37radix_sort_block_sort_config_selectorIjjEEZNS1_21radix_sort_block_sortIS4_Lb0EN6thrust23THRUST_200600_302600_NS6detail15normal_iteratorINS9_10device_ptrIjEEEESE_SE_SE_NS0_19identity_decomposerEEE10hipError_tT1_T2_T3_T4_jRjT5_jjP12ihipStream_tbEUlT_E_NS1_11comp_targetILNS1_3genE10ELNS1_11target_archE1200ELNS1_3gpuE4ELNS1_3repE0EEENS1_44radix_sort_block_sort_config_static_selectorELNS0_4arch9wavefront6targetE1EEEvSH_
                                        ; -- End function
	.set _ZN7rocprim17ROCPRIM_400000_NS6detail17trampoline_kernelINS0_13kernel_configILj256ELj4ELj4294967295EEENS1_37radix_sort_block_sort_config_selectorIjjEEZNS1_21radix_sort_block_sortIS4_Lb0EN6thrust23THRUST_200600_302600_NS6detail15normal_iteratorINS9_10device_ptrIjEEEESE_SE_SE_NS0_19identity_decomposerEEE10hipError_tT1_T2_T3_T4_jRjT5_jjP12ihipStream_tbEUlT_E_NS1_11comp_targetILNS1_3genE10ELNS1_11target_archE1200ELNS1_3gpuE4ELNS1_3repE0EEENS1_44radix_sort_block_sort_config_static_selectorELNS0_4arch9wavefront6targetE1EEEvSH_.num_vgpr, 0
	.set _ZN7rocprim17ROCPRIM_400000_NS6detail17trampoline_kernelINS0_13kernel_configILj256ELj4ELj4294967295EEENS1_37radix_sort_block_sort_config_selectorIjjEEZNS1_21radix_sort_block_sortIS4_Lb0EN6thrust23THRUST_200600_302600_NS6detail15normal_iteratorINS9_10device_ptrIjEEEESE_SE_SE_NS0_19identity_decomposerEEE10hipError_tT1_T2_T3_T4_jRjT5_jjP12ihipStream_tbEUlT_E_NS1_11comp_targetILNS1_3genE10ELNS1_11target_archE1200ELNS1_3gpuE4ELNS1_3repE0EEENS1_44radix_sort_block_sort_config_static_selectorELNS0_4arch9wavefront6targetE1EEEvSH_.num_agpr, 0
	.set _ZN7rocprim17ROCPRIM_400000_NS6detail17trampoline_kernelINS0_13kernel_configILj256ELj4ELj4294967295EEENS1_37radix_sort_block_sort_config_selectorIjjEEZNS1_21radix_sort_block_sortIS4_Lb0EN6thrust23THRUST_200600_302600_NS6detail15normal_iteratorINS9_10device_ptrIjEEEESE_SE_SE_NS0_19identity_decomposerEEE10hipError_tT1_T2_T3_T4_jRjT5_jjP12ihipStream_tbEUlT_E_NS1_11comp_targetILNS1_3genE10ELNS1_11target_archE1200ELNS1_3gpuE4ELNS1_3repE0EEENS1_44radix_sort_block_sort_config_static_selectorELNS0_4arch9wavefront6targetE1EEEvSH_.numbered_sgpr, 0
	.set _ZN7rocprim17ROCPRIM_400000_NS6detail17trampoline_kernelINS0_13kernel_configILj256ELj4ELj4294967295EEENS1_37radix_sort_block_sort_config_selectorIjjEEZNS1_21radix_sort_block_sortIS4_Lb0EN6thrust23THRUST_200600_302600_NS6detail15normal_iteratorINS9_10device_ptrIjEEEESE_SE_SE_NS0_19identity_decomposerEEE10hipError_tT1_T2_T3_T4_jRjT5_jjP12ihipStream_tbEUlT_E_NS1_11comp_targetILNS1_3genE10ELNS1_11target_archE1200ELNS1_3gpuE4ELNS1_3repE0EEENS1_44radix_sort_block_sort_config_static_selectorELNS0_4arch9wavefront6targetE1EEEvSH_.num_named_barrier, 0
	.set _ZN7rocprim17ROCPRIM_400000_NS6detail17trampoline_kernelINS0_13kernel_configILj256ELj4ELj4294967295EEENS1_37radix_sort_block_sort_config_selectorIjjEEZNS1_21radix_sort_block_sortIS4_Lb0EN6thrust23THRUST_200600_302600_NS6detail15normal_iteratorINS9_10device_ptrIjEEEESE_SE_SE_NS0_19identity_decomposerEEE10hipError_tT1_T2_T3_T4_jRjT5_jjP12ihipStream_tbEUlT_E_NS1_11comp_targetILNS1_3genE10ELNS1_11target_archE1200ELNS1_3gpuE4ELNS1_3repE0EEENS1_44radix_sort_block_sort_config_static_selectorELNS0_4arch9wavefront6targetE1EEEvSH_.private_seg_size, 0
	.set _ZN7rocprim17ROCPRIM_400000_NS6detail17trampoline_kernelINS0_13kernel_configILj256ELj4ELj4294967295EEENS1_37radix_sort_block_sort_config_selectorIjjEEZNS1_21radix_sort_block_sortIS4_Lb0EN6thrust23THRUST_200600_302600_NS6detail15normal_iteratorINS9_10device_ptrIjEEEESE_SE_SE_NS0_19identity_decomposerEEE10hipError_tT1_T2_T3_T4_jRjT5_jjP12ihipStream_tbEUlT_E_NS1_11comp_targetILNS1_3genE10ELNS1_11target_archE1200ELNS1_3gpuE4ELNS1_3repE0EEENS1_44radix_sort_block_sort_config_static_selectorELNS0_4arch9wavefront6targetE1EEEvSH_.uses_vcc, 0
	.set _ZN7rocprim17ROCPRIM_400000_NS6detail17trampoline_kernelINS0_13kernel_configILj256ELj4ELj4294967295EEENS1_37radix_sort_block_sort_config_selectorIjjEEZNS1_21radix_sort_block_sortIS4_Lb0EN6thrust23THRUST_200600_302600_NS6detail15normal_iteratorINS9_10device_ptrIjEEEESE_SE_SE_NS0_19identity_decomposerEEE10hipError_tT1_T2_T3_T4_jRjT5_jjP12ihipStream_tbEUlT_E_NS1_11comp_targetILNS1_3genE10ELNS1_11target_archE1200ELNS1_3gpuE4ELNS1_3repE0EEENS1_44radix_sort_block_sort_config_static_selectorELNS0_4arch9wavefront6targetE1EEEvSH_.uses_flat_scratch, 0
	.set _ZN7rocprim17ROCPRIM_400000_NS6detail17trampoline_kernelINS0_13kernel_configILj256ELj4ELj4294967295EEENS1_37radix_sort_block_sort_config_selectorIjjEEZNS1_21radix_sort_block_sortIS4_Lb0EN6thrust23THRUST_200600_302600_NS6detail15normal_iteratorINS9_10device_ptrIjEEEESE_SE_SE_NS0_19identity_decomposerEEE10hipError_tT1_T2_T3_T4_jRjT5_jjP12ihipStream_tbEUlT_E_NS1_11comp_targetILNS1_3genE10ELNS1_11target_archE1200ELNS1_3gpuE4ELNS1_3repE0EEENS1_44radix_sort_block_sort_config_static_selectorELNS0_4arch9wavefront6targetE1EEEvSH_.has_dyn_sized_stack, 0
	.set _ZN7rocprim17ROCPRIM_400000_NS6detail17trampoline_kernelINS0_13kernel_configILj256ELj4ELj4294967295EEENS1_37radix_sort_block_sort_config_selectorIjjEEZNS1_21radix_sort_block_sortIS4_Lb0EN6thrust23THRUST_200600_302600_NS6detail15normal_iteratorINS9_10device_ptrIjEEEESE_SE_SE_NS0_19identity_decomposerEEE10hipError_tT1_T2_T3_T4_jRjT5_jjP12ihipStream_tbEUlT_E_NS1_11comp_targetILNS1_3genE10ELNS1_11target_archE1200ELNS1_3gpuE4ELNS1_3repE0EEENS1_44radix_sort_block_sort_config_static_selectorELNS0_4arch9wavefront6targetE1EEEvSH_.has_recursion, 0
	.set _ZN7rocprim17ROCPRIM_400000_NS6detail17trampoline_kernelINS0_13kernel_configILj256ELj4ELj4294967295EEENS1_37radix_sort_block_sort_config_selectorIjjEEZNS1_21radix_sort_block_sortIS4_Lb0EN6thrust23THRUST_200600_302600_NS6detail15normal_iteratorINS9_10device_ptrIjEEEESE_SE_SE_NS0_19identity_decomposerEEE10hipError_tT1_T2_T3_T4_jRjT5_jjP12ihipStream_tbEUlT_E_NS1_11comp_targetILNS1_3genE10ELNS1_11target_archE1200ELNS1_3gpuE4ELNS1_3repE0EEENS1_44radix_sort_block_sort_config_static_selectorELNS0_4arch9wavefront6targetE1EEEvSH_.has_indirect_call, 0
	.section	.AMDGPU.csdata,"",@progbits
; Kernel info:
; codeLenInByte = 0
; TotalNumSgprs: 6
; NumVgprs: 0
; NumAgprs: 0
; TotalNumVgprs: 0
; ScratchSize: 0
; MemoryBound: 0
; FloatMode: 240
; IeeeMode: 1
; LDSByteSize: 0 bytes/workgroup (compile time only)
; SGPRBlocks: 0
; VGPRBlocks: 0
; NumSGPRsForWavesPerEU: 6
; NumVGPRsForWavesPerEU: 1
; AccumOffset: 4
; Occupancy: 8
; WaveLimiterHint : 0
; COMPUTE_PGM_RSRC2:SCRATCH_EN: 0
; COMPUTE_PGM_RSRC2:USER_SGPR: 2
; COMPUTE_PGM_RSRC2:TRAP_HANDLER: 0
; COMPUTE_PGM_RSRC2:TGID_X_EN: 1
; COMPUTE_PGM_RSRC2:TGID_Y_EN: 0
; COMPUTE_PGM_RSRC2:TGID_Z_EN: 0
; COMPUTE_PGM_RSRC2:TIDIG_COMP_CNT: 0
; COMPUTE_PGM_RSRC3_GFX90A:ACCUM_OFFSET: 0
; COMPUTE_PGM_RSRC3_GFX90A:TG_SPLIT: 0
	.section	.text._ZN7rocprim17ROCPRIM_400000_NS6detail17trampoline_kernelINS0_13kernel_configILj256ELj4ELj4294967295EEENS1_37radix_sort_block_sort_config_selectorIjjEEZNS1_21radix_sort_block_sortIS4_Lb0EN6thrust23THRUST_200600_302600_NS6detail15normal_iteratorINS9_10device_ptrIjEEEESE_SE_SE_NS0_19identity_decomposerEEE10hipError_tT1_T2_T3_T4_jRjT5_jjP12ihipStream_tbEUlT_E_NS1_11comp_targetILNS1_3genE9ELNS1_11target_archE1100ELNS1_3gpuE3ELNS1_3repE0EEENS1_44radix_sort_block_sort_config_static_selectorELNS0_4arch9wavefront6targetE1EEEvSH_,"axG",@progbits,_ZN7rocprim17ROCPRIM_400000_NS6detail17trampoline_kernelINS0_13kernel_configILj256ELj4ELj4294967295EEENS1_37radix_sort_block_sort_config_selectorIjjEEZNS1_21radix_sort_block_sortIS4_Lb0EN6thrust23THRUST_200600_302600_NS6detail15normal_iteratorINS9_10device_ptrIjEEEESE_SE_SE_NS0_19identity_decomposerEEE10hipError_tT1_T2_T3_T4_jRjT5_jjP12ihipStream_tbEUlT_E_NS1_11comp_targetILNS1_3genE9ELNS1_11target_archE1100ELNS1_3gpuE3ELNS1_3repE0EEENS1_44radix_sort_block_sort_config_static_selectorELNS0_4arch9wavefront6targetE1EEEvSH_,comdat
	.protected	_ZN7rocprim17ROCPRIM_400000_NS6detail17trampoline_kernelINS0_13kernel_configILj256ELj4ELj4294967295EEENS1_37radix_sort_block_sort_config_selectorIjjEEZNS1_21radix_sort_block_sortIS4_Lb0EN6thrust23THRUST_200600_302600_NS6detail15normal_iteratorINS9_10device_ptrIjEEEESE_SE_SE_NS0_19identity_decomposerEEE10hipError_tT1_T2_T3_T4_jRjT5_jjP12ihipStream_tbEUlT_E_NS1_11comp_targetILNS1_3genE9ELNS1_11target_archE1100ELNS1_3gpuE3ELNS1_3repE0EEENS1_44radix_sort_block_sort_config_static_selectorELNS0_4arch9wavefront6targetE1EEEvSH_ ; -- Begin function _ZN7rocprim17ROCPRIM_400000_NS6detail17trampoline_kernelINS0_13kernel_configILj256ELj4ELj4294967295EEENS1_37radix_sort_block_sort_config_selectorIjjEEZNS1_21radix_sort_block_sortIS4_Lb0EN6thrust23THRUST_200600_302600_NS6detail15normal_iteratorINS9_10device_ptrIjEEEESE_SE_SE_NS0_19identity_decomposerEEE10hipError_tT1_T2_T3_T4_jRjT5_jjP12ihipStream_tbEUlT_E_NS1_11comp_targetILNS1_3genE9ELNS1_11target_archE1100ELNS1_3gpuE3ELNS1_3repE0EEENS1_44radix_sort_block_sort_config_static_selectorELNS0_4arch9wavefront6targetE1EEEvSH_
	.globl	_ZN7rocprim17ROCPRIM_400000_NS6detail17trampoline_kernelINS0_13kernel_configILj256ELj4ELj4294967295EEENS1_37radix_sort_block_sort_config_selectorIjjEEZNS1_21radix_sort_block_sortIS4_Lb0EN6thrust23THRUST_200600_302600_NS6detail15normal_iteratorINS9_10device_ptrIjEEEESE_SE_SE_NS0_19identity_decomposerEEE10hipError_tT1_T2_T3_T4_jRjT5_jjP12ihipStream_tbEUlT_E_NS1_11comp_targetILNS1_3genE9ELNS1_11target_archE1100ELNS1_3gpuE3ELNS1_3repE0EEENS1_44radix_sort_block_sort_config_static_selectorELNS0_4arch9wavefront6targetE1EEEvSH_
	.p2align	8
	.type	_ZN7rocprim17ROCPRIM_400000_NS6detail17trampoline_kernelINS0_13kernel_configILj256ELj4ELj4294967295EEENS1_37radix_sort_block_sort_config_selectorIjjEEZNS1_21radix_sort_block_sortIS4_Lb0EN6thrust23THRUST_200600_302600_NS6detail15normal_iteratorINS9_10device_ptrIjEEEESE_SE_SE_NS0_19identity_decomposerEEE10hipError_tT1_T2_T3_T4_jRjT5_jjP12ihipStream_tbEUlT_E_NS1_11comp_targetILNS1_3genE9ELNS1_11target_archE1100ELNS1_3gpuE3ELNS1_3repE0EEENS1_44radix_sort_block_sort_config_static_selectorELNS0_4arch9wavefront6targetE1EEEvSH_,@function
_ZN7rocprim17ROCPRIM_400000_NS6detail17trampoline_kernelINS0_13kernel_configILj256ELj4ELj4294967295EEENS1_37radix_sort_block_sort_config_selectorIjjEEZNS1_21radix_sort_block_sortIS4_Lb0EN6thrust23THRUST_200600_302600_NS6detail15normal_iteratorINS9_10device_ptrIjEEEESE_SE_SE_NS0_19identity_decomposerEEE10hipError_tT1_T2_T3_T4_jRjT5_jjP12ihipStream_tbEUlT_E_NS1_11comp_targetILNS1_3genE9ELNS1_11target_archE1100ELNS1_3gpuE3ELNS1_3repE0EEENS1_44radix_sort_block_sort_config_static_selectorELNS0_4arch9wavefront6targetE1EEEvSH_: ; @_ZN7rocprim17ROCPRIM_400000_NS6detail17trampoline_kernelINS0_13kernel_configILj256ELj4ELj4294967295EEENS1_37radix_sort_block_sort_config_selectorIjjEEZNS1_21radix_sort_block_sortIS4_Lb0EN6thrust23THRUST_200600_302600_NS6detail15normal_iteratorINS9_10device_ptrIjEEEESE_SE_SE_NS0_19identity_decomposerEEE10hipError_tT1_T2_T3_T4_jRjT5_jjP12ihipStream_tbEUlT_E_NS1_11comp_targetILNS1_3genE9ELNS1_11target_archE1100ELNS1_3gpuE3ELNS1_3repE0EEENS1_44radix_sort_block_sort_config_static_selectorELNS0_4arch9wavefront6targetE1EEEvSH_
; %bb.0:
	.section	.rodata,"a",@progbits
	.p2align	6, 0x0
	.amdhsa_kernel _ZN7rocprim17ROCPRIM_400000_NS6detail17trampoline_kernelINS0_13kernel_configILj256ELj4ELj4294967295EEENS1_37radix_sort_block_sort_config_selectorIjjEEZNS1_21radix_sort_block_sortIS4_Lb0EN6thrust23THRUST_200600_302600_NS6detail15normal_iteratorINS9_10device_ptrIjEEEESE_SE_SE_NS0_19identity_decomposerEEE10hipError_tT1_T2_T3_T4_jRjT5_jjP12ihipStream_tbEUlT_E_NS1_11comp_targetILNS1_3genE9ELNS1_11target_archE1100ELNS1_3gpuE3ELNS1_3repE0EEENS1_44radix_sort_block_sort_config_static_selectorELNS0_4arch9wavefront6targetE1EEEvSH_
		.amdhsa_group_segment_fixed_size 0
		.amdhsa_private_segment_fixed_size 0
		.amdhsa_kernarg_size 48
		.amdhsa_user_sgpr_count 2
		.amdhsa_user_sgpr_dispatch_ptr 0
		.amdhsa_user_sgpr_queue_ptr 0
		.amdhsa_user_sgpr_kernarg_segment_ptr 1
		.amdhsa_user_sgpr_dispatch_id 0
		.amdhsa_user_sgpr_kernarg_preload_length 0
		.amdhsa_user_sgpr_kernarg_preload_offset 0
		.amdhsa_user_sgpr_private_segment_size 0
		.amdhsa_uses_dynamic_stack 0
		.amdhsa_enable_private_segment 0
		.amdhsa_system_sgpr_workgroup_id_x 1
		.amdhsa_system_sgpr_workgroup_id_y 0
		.amdhsa_system_sgpr_workgroup_id_z 0
		.amdhsa_system_sgpr_workgroup_info 0
		.amdhsa_system_vgpr_workitem_id 0
		.amdhsa_next_free_vgpr 1
		.amdhsa_next_free_sgpr 0
		.amdhsa_accum_offset 4
		.amdhsa_reserve_vcc 0
		.amdhsa_float_round_mode_32 0
		.amdhsa_float_round_mode_16_64 0
		.amdhsa_float_denorm_mode_32 3
		.amdhsa_float_denorm_mode_16_64 3
		.amdhsa_dx10_clamp 1
		.amdhsa_ieee_mode 1
		.amdhsa_fp16_overflow 0
		.amdhsa_tg_split 0
		.amdhsa_exception_fp_ieee_invalid_op 0
		.amdhsa_exception_fp_denorm_src 0
		.amdhsa_exception_fp_ieee_div_zero 0
		.amdhsa_exception_fp_ieee_overflow 0
		.amdhsa_exception_fp_ieee_underflow 0
		.amdhsa_exception_fp_ieee_inexact 0
		.amdhsa_exception_int_div_zero 0
	.end_amdhsa_kernel
	.section	.text._ZN7rocprim17ROCPRIM_400000_NS6detail17trampoline_kernelINS0_13kernel_configILj256ELj4ELj4294967295EEENS1_37radix_sort_block_sort_config_selectorIjjEEZNS1_21radix_sort_block_sortIS4_Lb0EN6thrust23THRUST_200600_302600_NS6detail15normal_iteratorINS9_10device_ptrIjEEEESE_SE_SE_NS0_19identity_decomposerEEE10hipError_tT1_T2_T3_T4_jRjT5_jjP12ihipStream_tbEUlT_E_NS1_11comp_targetILNS1_3genE9ELNS1_11target_archE1100ELNS1_3gpuE3ELNS1_3repE0EEENS1_44radix_sort_block_sort_config_static_selectorELNS0_4arch9wavefront6targetE1EEEvSH_,"axG",@progbits,_ZN7rocprim17ROCPRIM_400000_NS6detail17trampoline_kernelINS0_13kernel_configILj256ELj4ELj4294967295EEENS1_37radix_sort_block_sort_config_selectorIjjEEZNS1_21radix_sort_block_sortIS4_Lb0EN6thrust23THRUST_200600_302600_NS6detail15normal_iteratorINS9_10device_ptrIjEEEESE_SE_SE_NS0_19identity_decomposerEEE10hipError_tT1_T2_T3_T4_jRjT5_jjP12ihipStream_tbEUlT_E_NS1_11comp_targetILNS1_3genE9ELNS1_11target_archE1100ELNS1_3gpuE3ELNS1_3repE0EEENS1_44radix_sort_block_sort_config_static_selectorELNS0_4arch9wavefront6targetE1EEEvSH_,comdat
.Lfunc_end608:
	.size	_ZN7rocprim17ROCPRIM_400000_NS6detail17trampoline_kernelINS0_13kernel_configILj256ELj4ELj4294967295EEENS1_37radix_sort_block_sort_config_selectorIjjEEZNS1_21radix_sort_block_sortIS4_Lb0EN6thrust23THRUST_200600_302600_NS6detail15normal_iteratorINS9_10device_ptrIjEEEESE_SE_SE_NS0_19identity_decomposerEEE10hipError_tT1_T2_T3_T4_jRjT5_jjP12ihipStream_tbEUlT_E_NS1_11comp_targetILNS1_3genE9ELNS1_11target_archE1100ELNS1_3gpuE3ELNS1_3repE0EEENS1_44radix_sort_block_sort_config_static_selectorELNS0_4arch9wavefront6targetE1EEEvSH_, .Lfunc_end608-_ZN7rocprim17ROCPRIM_400000_NS6detail17trampoline_kernelINS0_13kernel_configILj256ELj4ELj4294967295EEENS1_37radix_sort_block_sort_config_selectorIjjEEZNS1_21radix_sort_block_sortIS4_Lb0EN6thrust23THRUST_200600_302600_NS6detail15normal_iteratorINS9_10device_ptrIjEEEESE_SE_SE_NS0_19identity_decomposerEEE10hipError_tT1_T2_T3_T4_jRjT5_jjP12ihipStream_tbEUlT_E_NS1_11comp_targetILNS1_3genE9ELNS1_11target_archE1100ELNS1_3gpuE3ELNS1_3repE0EEENS1_44radix_sort_block_sort_config_static_selectorELNS0_4arch9wavefront6targetE1EEEvSH_
                                        ; -- End function
	.set _ZN7rocprim17ROCPRIM_400000_NS6detail17trampoline_kernelINS0_13kernel_configILj256ELj4ELj4294967295EEENS1_37radix_sort_block_sort_config_selectorIjjEEZNS1_21radix_sort_block_sortIS4_Lb0EN6thrust23THRUST_200600_302600_NS6detail15normal_iteratorINS9_10device_ptrIjEEEESE_SE_SE_NS0_19identity_decomposerEEE10hipError_tT1_T2_T3_T4_jRjT5_jjP12ihipStream_tbEUlT_E_NS1_11comp_targetILNS1_3genE9ELNS1_11target_archE1100ELNS1_3gpuE3ELNS1_3repE0EEENS1_44radix_sort_block_sort_config_static_selectorELNS0_4arch9wavefront6targetE1EEEvSH_.num_vgpr, 0
	.set _ZN7rocprim17ROCPRIM_400000_NS6detail17trampoline_kernelINS0_13kernel_configILj256ELj4ELj4294967295EEENS1_37radix_sort_block_sort_config_selectorIjjEEZNS1_21radix_sort_block_sortIS4_Lb0EN6thrust23THRUST_200600_302600_NS6detail15normal_iteratorINS9_10device_ptrIjEEEESE_SE_SE_NS0_19identity_decomposerEEE10hipError_tT1_T2_T3_T4_jRjT5_jjP12ihipStream_tbEUlT_E_NS1_11comp_targetILNS1_3genE9ELNS1_11target_archE1100ELNS1_3gpuE3ELNS1_3repE0EEENS1_44radix_sort_block_sort_config_static_selectorELNS0_4arch9wavefront6targetE1EEEvSH_.num_agpr, 0
	.set _ZN7rocprim17ROCPRIM_400000_NS6detail17trampoline_kernelINS0_13kernel_configILj256ELj4ELj4294967295EEENS1_37radix_sort_block_sort_config_selectorIjjEEZNS1_21radix_sort_block_sortIS4_Lb0EN6thrust23THRUST_200600_302600_NS6detail15normal_iteratorINS9_10device_ptrIjEEEESE_SE_SE_NS0_19identity_decomposerEEE10hipError_tT1_T2_T3_T4_jRjT5_jjP12ihipStream_tbEUlT_E_NS1_11comp_targetILNS1_3genE9ELNS1_11target_archE1100ELNS1_3gpuE3ELNS1_3repE0EEENS1_44radix_sort_block_sort_config_static_selectorELNS0_4arch9wavefront6targetE1EEEvSH_.numbered_sgpr, 0
	.set _ZN7rocprim17ROCPRIM_400000_NS6detail17trampoline_kernelINS0_13kernel_configILj256ELj4ELj4294967295EEENS1_37radix_sort_block_sort_config_selectorIjjEEZNS1_21radix_sort_block_sortIS4_Lb0EN6thrust23THRUST_200600_302600_NS6detail15normal_iteratorINS9_10device_ptrIjEEEESE_SE_SE_NS0_19identity_decomposerEEE10hipError_tT1_T2_T3_T4_jRjT5_jjP12ihipStream_tbEUlT_E_NS1_11comp_targetILNS1_3genE9ELNS1_11target_archE1100ELNS1_3gpuE3ELNS1_3repE0EEENS1_44radix_sort_block_sort_config_static_selectorELNS0_4arch9wavefront6targetE1EEEvSH_.num_named_barrier, 0
	.set _ZN7rocprim17ROCPRIM_400000_NS6detail17trampoline_kernelINS0_13kernel_configILj256ELj4ELj4294967295EEENS1_37radix_sort_block_sort_config_selectorIjjEEZNS1_21radix_sort_block_sortIS4_Lb0EN6thrust23THRUST_200600_302600_NS6detail15normal_iteratorINS9_10device_ptrIjEEEESE_SE_SE_NS0_19identity_decomposerEEE10hipError_tT1_T2_T3_T4_jRjT5_jjP12ihipStream_tbEUlT_E_NS1_11comp_targetILNS1_3genE9ELNS1_11target_archE1100ELNS1_3gpuE3ELNS1_3repE0EEENS1_44radix_sort_block_sort_config_static_selectorELNS0_4arch9wavefront6targetE1EEEvSH_.private_seg_size, 0
	.set _ZN7rocprim17ROCPRIM_400000_NS6detail17trampoline_kernelINS0_13kernel_configILj256ELj4ELj4294967295EEENS1_37radix_sort_block_sort_config_selectorIjjEEZNS1_21radix_sort_block_sortIS4_Lb0EN6thrust23THRUST_200600_302600_NS6detail15normal_iteratorINS9_10device_ptrIjEEEESE_SE_SE_NS0_19identity_decomposerEEE10hipError_tT1_T2_T3_T4_jRjT5_jjP12ihipStream_tbEUlT_E_NS1_11comp_targetILNS1_3genE9ELNS1_11target_archE1100ELNS1_3gpuE3ELNS1_3repE0EEENS1_44radix_sort_block_sort_config_static_selectorELNS0_4arch9wavefront6targetE1EEEvSH_.uses_vcc, 0
	.set _ZN7rocprim17ROCPRIM_400000_NS6detail17trampoline_kernelINS0_13kernel_configILj256ELj4ELj4294967295EEENS1_37radix_sort_block_sort_config_selectorIjjEEZNS1_21radix_sort_block_sortIS4_Lb0EN6thrust23THRUST_200600_302600_NS6detail15normal_iteratorINS9_10device_ptrIjEEEESE_SE_SE_NS0_19identity_decomposerEEE10hipError_tT1_T2_T3_T4_jRjT5_jjP12ihipStream_tbEUlT_E_NS1_11comp_targetILNS1_3genE9ELNS1_11target_archE1100ELNS1_3gpuE3ELNS1_3repE0EEENS1_44radix_sort_block_sort_config_static_selectorELNS0_4arch9wavefront6targetE1EEEvSH_.uses_flat_scratch, 0
	.set _ZN7rocprim17ROCPRIM_400000_NS6detail17trampoline_kernelINS0_13kernel_configILj256ELj4ELj4294967295EEENS1_37radix_sort_block_sort_config_selectorIjjEEZNS1_21radix_sort_block_sortIS4_Lb0EN6thrust23THRUST_200600_302600_NS6detail15normal_iteratorINS9_10device_ptrIjEEEESE_SE_SE_NS0_19identity_decomposerEEE10hipError_tT1_T2_T3_T4_jRjT5_jjP12ihipStream_tbEUlT_E_NS1_11comp_targetILNS1_3genE9ELNS1_11target_archE1100ELNS1_3gpuE3ELNS1_3repE0EEENS1_44radix_sort_block_sort_config_static_selectorELNS0_4arch9wavefront6targetE1EEEvSH_.has_dyn_sized_stack, 0
	.set _ZN7rocprim17ROCPRIM_400000_NS6detail17trampoline_kernelINS0_13kernel_configILj256ELj4ELj4294967295EEENS1_37radix_sort_block_sort_config_selectorIjjEEZNS1_21radix_sort_block_sortIS4_Lb0EN6thrust23THRUST_200600_302600_NS6detail15normal_iteratorINS9_10device_ptrIjEEEESE_SE_SE_NS0_19identity_decomposerEEE10hipError_tT1_T2_T3_T4_jRjT5_jjP12ihipStream_tbEUlT_E_NS1_11comp_targetILNS1_3genE9ELNS1_11target_archE1100ELNS1_3gpuE3ELNS1_3repE0EEENS1_44radix_sort_block_sort_config_static_selectorELNS0_4arch9wavefront6targetE1EEEvSH_.has_recursion, 0
	.set _ZN7rocprim17ROCPRIM_400000_NS6detail17trampoline_kernelINS0_13kernel_configILj256ELj4ELj4294967295EEENS1_37radix_sort_block_sort_config_selectorIjjEEZNS1_21radix_sort_block_sortIS4_Lb0EN6thrust23THRUST_200600_302600_NS6detail15normal_iteratorINS9_10device_ptrIjEEEESE_SE_SE_NS0_19identity_decomposerEEE10hipError_tT1_T2_T3_T4_jRjT5_jjP12ihipStream_tbEUlT_E_NS1_11comp_targetILNS1_3genE9ELNS1_11target_archE1100ELNS1_3gpuE3ELNS1_3repE0EEENS1_44radix_sort_block_sort_config_static_selectorELNS0_4arch9wavefront6targetE1EEEvSH_.has_indirect_call, 0
	.section	.AMDGPU.csdata,"",@progbits
; Kernel info:
; codeLenInByte = 0
; TotalNumSgprs: 6
; NumVgprs: 0
; NumAgprs: 0
; TotalNumVgprs: 0
; ScratchSize: 0
; MemoryBound: 0
; FloatMode: 240
; IeeeMode: 1
; LDSByteSize: 0 bytes/workgroup (compile time only)
; SGPRBlocks: 0
; VGPRBlocks: 0
; NumSGPRsForWavesPerEU: 6
; NumVGPRsForWavesPerEU: 1
; AccumOffset: 4
; Occupancy: 8
; WaveLimiterHint : 0
; COMPUTE_PGM_RSRC2:SCRATCH_EN: 0
; COMPUTE_PGM_RSRC2:USER_SGPR: 2
; COMPUTE_PGM_RSRC2:TRAP_HANDLER: 0
; COMPUTE_PGM_RSRC2:TGID_X_EN: 1
; COMPUTE_PGM_RSRC2:TGID_Y_EN: 0
; COMPUTE_PGM_RSRC2:TGID_Z_EN: 0
; COMPUTE_PGM_RSRC2:TIDIG_COMP_CNT: 0
; COMPUTE_PGM_RSRC3_GFX90A:ACCUM_OFFSET: 0
; COMPUTE_PGM_RSRC3_GFX90A:TG_SPLIT: 0
	.section	.text._ZN7rocprim17ROCPRIM_400000_NS6detail17trampoline_kernelINS0_13kernel_configILj256ELj4ELj4294967295EEENS1_37radix_sort_block_sort_config_selectorIjjEEZNS1_21radix_sort_block_sortIS4_Lb0EN6thrust23THRUST_200600_302600_NS6detail15normal_iteratorINS9_10device_ptrIjEEEESE_SE_SE_NS0_19identity_decomposerEEE10hipError_tT1_T2_T3_T4_jRjT5_jjP12ihipStream_tbEUlT_E_NS1_11comp_targetILNS1_3genE8ELNS1_11target_archE1030ELNS1_3gpuE2ELNS1_3repE0EEENS1_44radix_sort_block_sort_config_static_selectorELNS0_4arch9wavefront6targetE1EEEvSH_,"axG",@progbits,_ZN7rocprim17ROCPRIM_400000_NS6detail17trampoline_kernelINS0_13kernel_configILj256ELj4ELj4294967295EEENS1_37radix_sort_block_sort_config_selectorIjjEEZNS1_21radix_sort_block_sortIS4_Lb0EN6thrust23THRUST_200600_302600_NS6detail15normal_iteratorINS9_10device_ptrIjEEEESE_SE_SE_NS0_19identity_decomposerEEE10hipError_tT1_T2_T3_T4_jRjT5_jjP12ihipStream_tbEUlT_E_NS1_11comp_targetILNS1_3genE8ELNS1_11target_archE1030ELNS1_3gpuE2ELNS1_3repE0EEENS1_44radix_sort_block_sort_config_static_selectorELNS0_4arch9wavefront6targetE1EEEvSH_,comdat
	.protected	_ZN7rocprim17ROCPRIM_400000_NS6detail17trampoline_kernelINS0_13kernel_configILj256ELj4ELj4294967295EEENS1_37radix_sort_block_sort_config_selectorIjjEEZNS1_21radix_sort_block_sortIS4_Lb0EN6thrust23THRUST_200600_302600_NS6detail15normal_iteratorINS9_10device_ptrIjEEEESE_SE_SE_NS0_19identity_decomposerEEE10hipError_tT1_T2_T3_T4_jRjT5_jjP12ihipStream_tbEUlT_E_NS1_11comp_targetILNS1_3genE8ELNS1_11target_archE1030ELNS1_3gpuE2ELNS1_3repE0EEENS1_44radix_sort_block_sort_config_static_selectorELNS0_4arch9wavefront6targetE1EEEvSH_ ; -- Begin function _ZN7rocprim17ROCPRIM_400000_NS6detail17trampoline_kernelINS0_13kernel_configILj256ELj4ELj4294967295EEENS1_37radix_sort_block_sort_config_selectorIjjEEZNS1_21radix_sort_block_sortIS4_Lb0EN6thrust23THRUST_200600_302600_NS6detail15normal_iteratorINS9_10device_ptrIjEEEESE_SE_SE_NS0_19identity_decomposerEEE10hipError_tT1_T2_T3_T4_jRjT5_jjP12ihipStream_tbEUlT_E_NS1_11comp_targetILNS1_3genE8ELNS1_11target_archE1030ELNS1_3gpuE2ELNS1_3repE0EEENS1_44radix_sort_block_sort_config_static_selectorELNS0_4arch9wavefront6targetE1EEEvSH_
	.globl	_ZN7rocprim17ROCPRIM_400000_NS6detail17trampoline_kernelINS0_13kernel_configILj256ELj4ELj4294967295EEENS1_37radix_sort_block_sort_config_selectorIjjEEZNS1_21radix_sort_block_sortIS4_Lb0EN6thrust23THRUST_200600_302600_NS6detail15normal_iteratorINS9_10device_ptrIjEEEESE_SE_SE_NS0_19identity_decomposerEEE10hipError_tT1_T2_T3_T4_jRjT5_jjP12ihipStream_tbEUlT_E_NS1_11comp_targetILNS1_3genE8ELNS1_11target_archE1030ELNS1_3gpuE2ELNS1_3repE0EEENS1_44radix_sort_block_sort_config_static_selectorELNS0_4arch9wavefront6targetE1EEEvSH_
	.p2align	8
	.type	_ZN7rocprim17ROCPRIM_400000_NS6detail17trampoline_kernelINS0_13kernel_configILj256ELj4ELj4294967295EEENS1_37radix_sort_block_sort_config_selectorIjjEEZNS1_21radix_sort_block_sortIS4_Lb0EN6thrust23THRUST_200600_302600_NS6detail15normal_iteratorINS9_10device_ptrIjEEEESE_SE_SE_NS0_19identity_decomposerEEE10hipError_tT1_T2_T3_T4_jRjT5_jjP12ihipStream_tbEUlT_E_NS1_11comp_targetILNS1_3genE8ELNS1_11target_archE1030ELNS1_3gpuE2ELNS1_3repE0EEENS1_44radix_sort_block_sort_config_static_selectorELNS0_4arch9wavefront6targetE1EEEvSH_,@function
_ZN7rocprim17ROCPRIM_400000_NS6detail17trampoline_kernelINS0_13kernel_configILj256ELj4ELj4294967295EEENS1_37radix_sort_block_sort_config_selectorIjjEEZNS1_21radix_sort_block_sortIS4_Lb0EN6thrust23THRUST_200600_302600_NS6detail15normal_iteratorINS9_10device_ptrIjEEEESE_SE_SE_NS0_19identity_decomposerEEE10hipError_tT1_T2_T3_T4_jRjT5_jjP12ihipStream_tbEUlT_E_NS1_11comp_targetILNS1_3genE8ELNS1_11target_archE1030ELNS1_3gpuE2ELNS1_3repE0EEENS1_44radix_sort_block_sort_config_static_selectorELNS0_4arch9wavefront6targetE1EEEvSH_: ; @_ZN7rocprim17ROCPRIM_400000_NS6detail17trampoline_kernelINS0_13kernel_configILj256ELj4ELj4294967295EEENS1_37radix_sort_block_sort_config_selectorIjjEEZNS1_21radix_sort_block_sortIS4_Lb0EN6thrust23THRUST_200600_302600_NS6detail15normal_iteratorINS9_10device_ptrIjEEEESE_SE_SE_NS0_19identity_decomposerEEE10hipError_tT1_T2_T3_T4_jRjT5_jjP12ihipStream_tbEUlT_E_NS1_11comp_targetILNS1_3genE8ELNS1_11target_archE1030ELNS1_3gpuE2ELNS1_3repE0EEENS1_44radix_sort_block_sort_config_static_selectorELNS0_4arch9wavefront6targetE1EEEvSH_
; %bb.0:
	.section	.rodata,"a",@progbits
	.p2align	6, 0x0
	.amdhsa_kernel _ZN7rocprim17ROCPRIM_400000_NS6detail17trampoline_kernelINS0_13kernel_configILj256ELj4ELj4294967295EEENS1_37radix_sort_block_sort_config_selectorIjjEEZNS1_21radix_sort_block_sortIS4_Lb0EN6thrust23THRUST_200600_302600_NS6detail15normal_iteratorINS9_10device_ptrIjEEEESE_SE_SE_NS0_19identity_decomposerEEE10hipError_tT1_T2_T3_T4_jRjT5_jjP12ihipStream_tbEUlT_E_NS1_11comp_targetILNS1_3genE8ELNS1_11target_archE1030ELNS1_3gpuE2ELNS1_3repE0EEENS1_44radix_sort_block_sort_config_static_selectorELNS0_4arch9wavefront6targetE1EEEvSH_
		.amdhsa_group_segment_fixed_size 0
		.amdhsa_private_segment_fixed_size 0
		.amdhsa_kernarg_size 48
		.amdhsa_user_sgpr_count 2
		.amdhsa_user_sgpr_dispatch_ptr 0
		.amdhsa_user_sgpr_queue_ptr 0
		.amdhsa_user_sgpr_kernarg_segment_ptr 1
		.amdhsa_user_sgpr_dispatch_id 0
		.amdhsa_user_sgpr_kernarg_preload_length 0
		.amdhsa_user_sgpr_kernarg_preload_offset 0
		.amdhsa_user_sgpr_private_segment_size 0
		.amdhsa_uses_dynamic_stack 0
		.amdhsa_enable_private_segment 0
		.amdhsa_system_sgpr_workgroup_id_x 1
		.amdhsa_system_sgpr_workgroup_id_y 0
		.amdhsa_system_sgpr_workgroup_id_z 0
		.amdhsa_system_sgpr_workgroup_info 0
		.amdhsa_system_vgpr_workitem_id 0
		.amdhsa_next_free_vgpr 1
		.amdhsa_next_free_sgpr 0
		.amdhsa_accum_offset 4
		.amdhsa_reserve_vcc 0
		.amdhsa_float_round_mode_32 0
		.amdhsa_float_round_mode_16_64 0
		.amdhsa_float_denorm_mode_32 3
		.amdhsa_float_denorm_mode_16_64 3
		.amdhsa_dx10_clamp 1
		.amdhsa_ieee_mode 1
		.amdhsa_fp16_overflow 0
		.amdhsa_tg_split 0
		.amdhsa_exception_fp_ieee_invalid_op 0
		.amdhsa_exception_fp_denorm_src 0
		.amdhsa_exception_fp_ieee_div_zero 0
		.amdhsa_exception_fp_ieee_overflow 0
		.amdhsa_exception_fp_ieee_underflow 0
		.amdhsa_exception_fp_ieee_inexact 0
		.amdhsa_exception_int_div_zero 0
	.end_amdhsa_kernel
	.section	.text._ZN7rocprim17ROCPRIM_400000_NS6detail17trampoline_kernelINS0_13kernel_configILj256ELj4ELj4294967295EEENS1_37radix_sort_block_sort_config_selectorIjjEEZNS1_21radix_sort_block_sortIS4_Lb0EN6thrust23THRUST_200600_302600_NS6detail15normal_iteratorINS9_10device_ptrIjEEEESE_SE_SE_NS0_19identity_decomposerEEE10hipError_tT1_T2_T3_T4_jRjT5_jjP12ihipStream_tbEUlT_E_NS1_11comp_targetILNS1_3genE8ELNS1_11target_archE1030ELNS1_3gpuE2ELNS1_3repE0EEENS1_44radix_sort_block_sort_config_static_selectorELNS0_4arch9wavefront6targetE1EEEvSH_,"axG",@progbits,_ZN7rocprim17ROCPRIM_400000_NS6detail17trampoline_kernelINS0_13kernel_configILj256ELj4ELj4294967295EEENS1_37radix_sort_block_sort_config_selectorIjjEEZNS1_21radix_sort_block_sortIS4_Lb0EN6thrust23THRUST_200600_302600_NS6detail15normal_iteratorINS9_10device_ptrIjEEEESE_SE_SE_NS0_19identity_decomposerEEE10hipError_tT1_T2_T3_T4_jRjT5_jjP12ihipStream_tbEUlT_E_NS1_11comp_targetILNS1_3genE8ELNS1_11target_archE1030ELNS1_3gpuE2ELNS1_3repE0EEENS1_44radix_sort_block_sort_config_static_selectorELNS0_4arch9wavefront6targetE1EEEvSH_,comdat
.Lfunc_end609:
	.size	_ZN7rocprim17ROCPRIM_400000_NS6detail17trampoline_kernelINS0_13kernel_configILj256ELj4ELj4294967295EEENS1_37radix_sort_block_sort_config_selectorIjjEEZNS1_21radix_sort_block_sortIS4_Lb0EN6thrust23THRUST_200600_302600_NS6detail15normal_iteratorINS9_10device_ptrIjEEEESE_SE_SE_NS0_19identity_decomposerEEE10hipError_tT1_T2_T3_T4_jRjT5_jjP12ihipStream_tbEUlT_E_NS1_11comp_targetILNS1_3genE8ELNS1_11target_archE1030ELNS1_3gpuE2ELNS1_3repE0EEENS1_44radix_sort_block_sort_config_static_selectorELNS0_4arch9wavefront6targetE1EEEvSH_, .Lfunc_end609-_ZN7rocprim17ROCPRIM_400000_NS6detail17trampoline_kernelINS0_13kernel_configILj256ELj4ELj4294967295EEENS1_37radix_sort_block_sort_config_selectorIjjEEZNS1_21radix_sort_block_sortIS4_Lb0EN6thrust23THRUST_200600_302600_NS6detail15normal_iteratorINS9_10device_ptrIjEEEESE_SE_SE_NS0_19identity_decomposerEEE10hipError_tT1_T2_T3_T4_jRjT5_jjP12ihipStream_tbEUlT_E_NS1_11comp_targetILNS1_3genE8ELNS1_11target_archE1030ELNS1_3gpuE2ELNS1_3repE0EEENS1_44radix_sort_block_sort_config_static_selectorELNS0_4arch9wavefront6targetE1EEEvSH_
                                        ; -- End function
	.set _ZN7rocprim17ROCPRIM_400000_NS6detail17trampoline_kernelINS0_13kernel_configILj256ELj4ELj4294967295EEENS1_37radix_sort_block_sort_config_selectorIjjEEZNS1_21radix_sort_block_sortIS4_Lb0EN6thrust23THRUST_200600_302600_NS6detail15normal_iteratorINS9_10device_ptrIjEEEESE_SE_SE_NS0_19identity_decomposerEEE10hipError_tT1_T2_T3_T4_jRjT5_jjP12ihipStream_tbEUlT_E_NS1_11comp_targetILNS1_3genE8ELNS1_11target_archE1030ELNS1_3gpuE2ELNS1_3repE0EEENS1_44radix_sort_block_sort_config_static_selectorELNS0_4arch9wavefront6targetE1EEEvSH_.num_vgpr, 0
	.set _ZN7rocprim17ROCPRIM_400000_NS6detail17trampoline_kernelINS0_13kernel_configILj256ELj4ELj4294967295EEENS1_37radix_sort_block_sort_config_selectorIjjEEZNS1_21radix_sort_block_sortIS4_Lb0EN6thrust23THRUST_200600_302600_NS6detail15normal_iteratorINS9_10device_ptrIjEEEESE_SE_SE_NS0_19identity_decomposerEEE10hipError_tT1_T2_T3_T4_jRjT5_jjP12ihipStream_tbEUlT_E_NS1_11comp_targetILNS1_3genE8ELNS1_11target_archE1030ELNS1_3gpuE2ELNS1_3repE0EEENS1_44radix_sort_block_sort_config_static_selectorELNS0_4arch9wavefront6targetE1EEEvSH_.num_agpr, 0
	.set _ZN7rocprim17ROCPRIM_400000_NS6detail17trampoline_kernelINS0_13kernel_configILj256ELj4ELj4294967295EEENS1_37radix_sort_block_sort_config_selectorIjjEEZNS1_21radix_sort_block_sortIS4_Lb0EN6thrust23THRUST_200600_302600_NS6detail15normal_iteratorINS9_10device_ptrIjEEEESE_SE_SE_NS0_19identity_decomposerEEE10hipError_tT1_T2_T3_T4_jRjT5_jjP12ihipStream_tbEUlT_E_NS1_11comp_targetILNS1_3genE8ELNS1_11target_archE1030ELNS1_3gpuE2ELNS1_3repE0EEENS1_44radix_sort_block_sort_config_static_selectorELNS0_4arch9wavefront6targetE1EEEvSH_.numbered_sgpr, 0
	.set _ZN7rocprim17ROCPRIM_400000_NS6detail17trampoline_kernelINS0_13kernel_configILj256ELj4ELj4294967295EEENS1_37radix_sort_block_sort_config_selectorIjjEEZNS1_21radix_sort_block_sortIS4_Lb0EN6thrust23THRUST_200600_302600_NS6detail15normal_iteratorINS9_10device_ptrIjEEEESE_SE_SE_NS0_19identity_decomposerEEE10hipError_tT1_T2_T3_T4_jRjT5_jjP12ihipStream_tbEUlT_E_NS1_11comp_targetILNS1_3genE8ELNS1_11target_archE1030ELNS1_3gpuE2ELNS1_3repE0EEENS1_44radix_sort_block_sort_config_static_selectorELNS0_4arch9wavefront6targetE1EEEvSH_.num_named_barrier, 0
	.set _ZN7rocprim17ROCPRIM_400000_NS6detail17trampoline_kernelINS0_13kernel_configILj256ELj4ELj4294967295EEENS1_37radix_sort_block_sort_config_selectorIjjEEZNS1_21radix_sort_block_sortIS4_Lb0EN6thrust23THRUST_200600_302600_NS6detail15normal_iteratorINS9_10device_ptrIjEEEESE_SE_SE_NS0_19identity_decomposerEEE10hipError_tT1_T2_T3_T4_jRjT5_jjP12ihipStream_tbEUlT_E_NS1_11comp_targetILNS1_3genE8ELNS1_11target_archE1030ELNS1_3gpuE2ELNS1_3repE0EEENS1_44radix_sort_block_sort_config_static_selectorELNS0_4arch9wavefront6targetE1EEEvSH_.private_seg_size, 0
	.set _ZN7rocprim17ROCPRIM_400000_NS6detail17trampoline_kernelINS0_13kernel_configILj256ELj4ELj4294967295EEENS1_37radix_sort_block_sort_config_selectorIjjEEZNS1_21radix_sort_block_sortIS4_Lb0EN6thrust23THRUST_200600_302600_NS6detail15normal_iteratorINS9_10device_ptrIjEEEESE_SE_SE_NS0_19identity_decomposerEEE10hipError_tT1_T2_T3_T4_jRjT5_jjP12ihipStream_tbEUlT_E_NS1_11comp_targetILNS1_3genE8ELNS1_11target_archE1030ELNS1_3gpuE2ELNS1_3repE0EEENS1_44radix_sort_block_sort_config_static_selectorELNS0_4arch9wavefront6targetE1EEEvSH_.uses_vcc, 0
	.set _ZN7rocprim17ROCPRIM_400000_NS6detail17trampoline_kernelINS0_13kernel_configILj256ELj4ELj4294967295EEENS1_37radix_sort_block_sort_config_selectorIjjEEZNS1_21radix_sort_block_sortIS4_Lb0EN6thrust23THRUST_200600_302600_NS6detail15normal_iteratorINS9_10device_ptrIjEEEESE_SE_SE_NS0_19identity_decomposerEEE10hipError_tT1_T2_T3_T4_jRjT5_jjP12ihipStream_tbEUlT_E_NS1_11comp_targetILNS1_3genE8ELNS1_11target_archE1030ELNS1_3gpuE2ELNS1_3repE0EEENS1_44radix_sort_block_sort_config_static_selectorELNS0_4arch9wavefront6targetE1EEEvSH_.uses_flat_scratch, 0
	.set _ZN7rocprim17ROCPRIM_400000_NS6detail17trampoline_kernelINS0_13kernel_configILj256ELj4ELj4294967295EEENS1_37radix_sort_block_sort_config_selectorIjjEEZNS1_21radix_sort_block_sortIS4_Lb0EN6thrust23THRUST_200600_302600_NS6detail15normal_iteratorINS9_10device_ptrIjEEEESE_SE_SE_NS0_19identity_decomposerEEE10hipError_tT1_T2_T3_T4_jRjT5_jjP12ihipStream_tbEUlT_E_NS1_11comp_targetILNS1_3genE8ELNS1_11target_archE1030ELNS1_3gpuE2ELNS1_3repE0EEENS1_44radix_sort_block_sort_config_static_selectorELNS0_4arch9wavefront6targetE1EEEvSH_.has_dyn_sized_stack, 0
	.set _ZN7rocprim17ROCPRIM_400000_NS6detail17trampoline_kernelINS0_13kernel_configILj256ELj4ELj4294967295EEENS1_37radix_sort_block_sort_config_selectorIjjEEZNS1_21radix_sort_block_sortIS4_Lb0EN6thrust23THRUST_200600_302600_NS6detail15normal_iteratorINS9_10device_ptrIjEEEESE_SE_SE_NS0_19identity_decomposerEEE10hipError_tT1_T2_T3_T4_jRjT5_jjP12ihipStream_tbEUlT_E_NS1_11comp_targetILNS1_3genE8ELNS1_11target_archE1030ELNS1_3gpuE2ELNS1_3repE0EEENS1_44radix_sort_block_sort_config_static_selectorELNS0_4arch9wavefront6targetE1EEEvSH_.has_recursion, 0
	.set _ZN7rocprim17ROCPRIM_400000_NS6detail17trampoline_kernelINS0_13kernel_configILj256ELj4ELj4294967295EEENS1_37radix_sort_block_sort_config_selectorIjjEEZNS1_21radix_sort_block_sortIS4_Lb0EN6thrust23THRUST_200600_302600_NS6detail15normal_iteratorINS9_10device_ptrIjEEEESE_SE_SE_NS0_19identity_decomposerEEE10hipError_tT1_T2_T3_T4_jRjT5_jjP12ihipStream_tbEUlT_E_NS1_11comp_targetILNS1_3genE8ELNS1_11target_archE1030ELNS1_3gpuE2ELNS1_3repE0EEENS1_44radix_sort_block_sort_config_static_selectorELNS0_4arch9wavefront6targetE1EEEvSH_.has_indirect_call, 0
	.section	.AMDGPU.csdata,"",@progbits
; Kernel info:
; codeLenInByte = 0
; TotalNumSgprs: 6
; NumVgprs: 0
; NumAgprs: 0
; TotalNumVgprs: 0
; ScratchSize: 0
; MemoryBound: 0
; FloatMode: 240
; IeeeMode: 1
; LDSByteSize: 0 bytes/workgroup (compile time only)
; SGPRBlocks: 0
; VGPRBlocks: 0
; NumSGPRsForWavesPerEU: 6
; NumVGPRsForWavesPerEU: 1
; AccumOffset: 4
; Occupancy: 8
; WaveLimiterHint : 0
; COMPUTE_PGM_RSRC2:SCRATCH_EN: 0
; COMPUTE_PGM_RSRC2:USER_SGPR: 2
; COMPUTE_PGM_RSRC2:TRAP_HANDLER: 0
; COMPUTE_PGM_RSRC2:TGID_X_EN: 1
; COMPUTE_PGM_RSRC2:TGID_Y_EN: 0
; COMPUTE_PGM_RSRC2:TGID_Z_EN: 0
; COMPUTE_PGM_RSRC2:TIDIG_COMP_CNT: 0
; COMPUTE_PGM_RSRC3_GFX90A:ACCUM_OFFSET: 0
; COMPUTE_PGM_RSRC3_GFX90A:TG_SPLIT: 0
	.section	.text._ZN7rocprim17ROCPRIM_400000_NS6detail44device_merge_sort_compile_time_verifier_archINS1_11comp_targetILNS1_3genE0ELNS1_11target_archE4294967295ELNS1_3gpuE0ELNS1_3repE0EEES8_NS1_28merge_sort_block_sort_configILj256ELj4ELNS0_20block_sort_algorithmE0EEENS0_14default_configENS1_37merge_sort_block_sort_config_selectorIjjEENS1_38merge_sort_block_merge_config_selectorIjjEEEEvv,"axG",@progbits,_ZN7rocprim17ROCPRIM_400000_NS6detail44device_merge_sort_compile_time_verifier_archINS1_11comp_targetILNS1_3genE0ELNS1_11target_archE4294967295ELNS1_3gpuE0ELNS1_3repE0EEES8_NS1_28merge_sort_block_sort_configILj256ELj4ELNS0_20block_sort_algorithmE0EEENS0_14default_configENS1_37merge_sort_block_sort_config_selectorIjjEENS1_38merge_sort_block_merge_config_selectorIjjEEEEvv,comdat
	.protected	_ZN7rocprim17ROCPRIM_400000_NS6detail44device_merge_sort_compile_time_verifier_archINS1_11comp_targetILNS1_3genE0ELNS1_11target_archE4294967295ELNS1_3gpuE0ELNS1_3repE0EEES8_NS1_28merge_sort_block_sort_configILj256ELj4ELNS0_20block_sort_algorithmE0EEENS0_14default_configENS1_37merge_sort_block_sort_config_selectorIjjEENS1_38merge_sort_block_merge_config_selectorIjjEEEEvv ; -- Begin function _ZN7rocprim17ROCPRIM_400000_NS6detail44device_merge_sort_compile_time_verifier_archINS1_11comp_targetILNS1_3genE0ELNS1_11target_archE4294967295ELNS1_3gpuE0ELNS1_3repE0EEES8_NS1_28merge_sort_block_sort_configILj256ELj4ELNS0_20block_sort_algorithmE0EEENS0_14default_configENS1_37merge_sort_block_sort_config_selectorIjjEENS1_38merge_sort_block_merge_config_selectorIjjEEEEvv
	.globl	_ZN7rocprim17ROCPRIM_400000_NS6detail44device_merge_sort_compile_time_verifier_archINS1_11comp_targetILNS1_3genE0ELNS1_11target_archE4294967295ELNS1_3gpuE0ELNS1_3repE0EEES8_NS1_28merge_sort_block_sort_configILj256ELj4ELNS0_20block_sort_algorithmE0EEENS0_14default_configENS1_37merge_sort_block_sort_config_selectorIjjEENS1_38merge_sort_block_merge_config_selectorIjjEEEEvv
	.p2align	8
	.type	_ZN7rocprim17ROCPRIM_400000_NS6detail44device_merge_sort_compile_time_verifier_archINS1_11comp_targetILNS1_3genE0ELNS1_11target_archE4294967295ELNS1_3gpuE0ELNS1_3repE0EEES8_NS1_28merge_sort_block_sort_configILj256ELj4ELNS0_20block_sort_algorithmE0EEENS0_14default_configENS1_37merge_sort_block_sort_config_selectorIjjEENS1_38merge_sort_block_merge_config_selectorIjjEEEEvv,@function
_ZN7rocprim17ROCPRIM_400000_NS6detail44device_merge_sort_compile_time_verifier_archINS1_11comp_targetILNS1_3genE0ELNS1_11target_archE4294967295ELNS1_3gpuE0ELNS1_3repE0EEES8_NS1_28merge_sort_block_sort_configILj256ELj4ELNS0_20block_sort_algorithmE0EEENS0_14default_configENS1_37merge_sort_block_sort_config_selectorIjjEENS1_38merge_sort_block_merge_config_selectorIjjEEEEvv: ; @_ZN7rocprim17ROCPRIM_400000_NS6detail44device_merge_sort_compile_time_verifier_archINS1_11comp_targetILNS1_3genE0ELNS1_11target_archE4294967295ELNS1_3gpuE0ELNS1_3repE0EEES8_NS1_28merge_sort_block_sort_configILj256ELj4ELNS0_20block_sort_algorithmE0EEENS0_14default_configENS1_37merge_sort_block_sort_config_selectorIjjEENS1_38merge_sort_block_merge_config_selectorIjjEEEEvv
; %bb.0:
	s_endpgm
	.section	.rodata,"a",@progbits
	.p2align	6, 0x0
	.amdhsa_kernel _ZN7rocprim17ROCPRIM_400000_NS6detail44device_merge_sort_compile_time_verifier_archINS1_11comp_targetILNS1_3genE0ELNS1_11target_archE4294967295ELNS1_3gpuE0ELNS1_3repE0EEES8_NS1_28merge_sort_block_sort_configILj256ELj4ELNS0_20block_sort_algorithmE0EEENS0_14default_configENS1_37merge_sort_block_sort_config_selectorIjjEENS1_38merge_sort_block_merge_config_selectorIjjEEEEvv
		.amdhsa_group_segment_fixed_size 0
		.amdhsa_private_segment_fixed_size 0
		.amdhsa_kernarg_size 0
		.amdhsa_user_sgpr_count 0
		.amdhsa_user_sgpr_dispatch_ptr 0
		.amdhsa_user_sgpr_queue_ptr 0
		.amdhsa_user_sgpr_kernarg_segment_ptr 0
		.amdhsa_user_sgpr_dispatch_id 0
		.amdhsa_user_sgpr_kernarg_preload_length 0
		.amdhsa_user_sgpr_kernarg_preload_offset 0
		.amdhsa_user_sgpr_private_segment_size 0
		.amdhsa_uses_dynamic_stack 0
		.amdhsa_enable_private_segment 0
		.amdhsa_system_sgpr_workgroup_id_x 1
		.amdhsa_system_sgpr_workgroup_id_y 0
		.amdhsa_system_sgpr_workgroup_id_z 0
		.amdhsa_system_sgpr_workgroup_info 0
		.amdhsa_system_vgpr_workitem_id 0
		.amdhsa_next_free_vgpr 1
		.amdhsa_next_free_sgpr 0
		.amdhsa_accum_offset 4
		.amdhsa_reserve_vcc 0
		.amdhsa_float_round_mode_32 0
		.amdhsa_float_round_mode_16_64 0
		.amdhsa_float_denorm_mode_32 3
		.amdhsa_float_denorm_mode_16_64 3
		.amdhsa_dx10_clamp 1
		.amdhsa_ieee_mode 1
		.amdhsa_fp16_overflow 0
		.amdhsa_tg_split 0
		.amdhsa_exception_fp_ieee_invalid_op 0
		.amdhsa_exception_fp_denorm_src 0
		.amdhsa_exception_fp_ieee_div_zero 0
		.amdhsa_exception_fp_ieee_overflow 0
		.amdhsa_exception_fp_ieee_underflow 0
		.amdhsa_exception_fp_ieee_inexact 0
		.amdhsa_exception_int_div_zero 0
	.end_amdhsa_kernel
	.section	.text._ZN7rocprim17ROCPRIM_400000_NS6detail44device_merge_sort_compile_time_verifier_archINS1_11comp_targetILNS1_3genE0ELNS1_11target_archE4294967295ELNS1_3gpuE0ELNS1_3repE0EEES8_NS1_28merge_sort_block_sort_configILj256ELj4ELNS0_20block_sort_algorithmE0EEENS0_14default_configENS1_37merge_sort_block_sort_config_selectorIjjEENS1_38merge_sort_block_merge_config_selectorIjjEEEEvv,"axG",@progbits,_ZN7rocprim17ROCPRIM_400000_NS6detail44device_merge_sort_compile_time_verifier_archINS1_11comp_targetILNS1_3genE0ELNS1_11target_archE4294967295ELNS1_3gpuE0ELNS1_3repE0EEES8_NS1_28merge_sort_block_sort_configILj256ELj4ELNS0_20block_sort_algorithmE0EEENS0_14default_configENS1_37merge_sort_block_sort_config_selectorIjjEENS1_38merge_sort_block_merge_config_selectorIjjEEEEvv,comdat
.Lfunc_end610:
	.size	_ZN7rocprim17ROCPRIM_400000_NS6detail44device_merge_sort_compile_time_verifier_archINS1_11comp_targetILNS1_3genE0ELNS1_11target_archE4294967295ELNS1_3gpuE0ELNS1_3repE0EEES8_NS1_28merge_sort_block_sort_configILj256ELj4ELNS0_20block_sort_algorithmE0EEENS0_14default_configENS1_37merge_sort_block_sort_config_selectorIjjEENS1_38merge_sort_block_merge_config_selectorIjjEEEEvv, .Lfunc_end610-_ZN7rocprim17ROCPRIM_400000_NS6detail44device_merge_sort_compile_time_verifier_archINS1_11comp_targetILNS1_3genE0ELNS1_11target_archE4294967295ELNS1_3gpuE0ELNS1_3repE0EEES8_NS1_28merge_sort_block_sort_configILj256ELj4ELNS0_20block_sort_algorithmE0EEENS0_14default_configENS1_37merge_sort_block_sort_config_selectorIjjEENS1_38merge_sort_block_merge_config_selectorIjjEEEEvv
                                        ; -- End function
	.set _ZN7rocprim17ROCPRIM_400000_NS6detail44device_merge_sort_compile_time_verifier_archINS1_11comp_targetILNS1_3genE0ELNS1_11target_archE4294967295ELNS1_3gpuE0ELNS1_3repE0EEES8_NS1_28merge_sort_block_sort_configILj256ELj4ELNS0_20block_sort_algorithmE0EEENS0_14default_configENS1_37merge_sort_block_sort_config_selectorIjjEENS1_38merge_sort_block_merge_config_selectorIjjEEEEvv.num_vgpr, 0
	.set _ZN7rocprim17ROCPRIM_400000_NS6detail44device_merge_sort_compile_time_verifier_archINS1_11comp_targetILNS1_3genE0ELNS1_11target_archE4294967295ELNS1_3gpuE0ELNS1_3repE0EEES8_NS1_28merge_sort_block_sort_configILj256ELj4ELNS0_20block_sort_algorithmE0EEENS0_14default_configENS1_37merge_sort_block_sort_config_selectorIjjEENS1_38merge_sort_block_merge_config_selectorIjjEEEEvv.num_agpr, 0
	.set _ZN7rocprim17ROCPRIM_400000_NS6detail44device_merge_sort_compile_time_verifier_archINS1_11comp_targetILNS1_3genE0ELNS1_11target_archE4294967295ELNS1_3gpuE0ELNS1_3repE0EEES8_NS1_28merge_sort_block_sort_configILj256ELj4ELNS0_20block_sort_algorithmE0EEENS0_14default_configENS1_37merge_sort_block_sort_config_selectorIjjEENS1_38merge_sort_block_merge_config_selectorIjjEEEEvv.numbered_sgpr, 0
	.set _ZN7rocprim17ROCPRIM_400000_NS6detail44device_merge_sort_compile_time_verifier_archINS1_11comp_targetILNS1_3genE0ELNS1_11target_archE4294967295ELNS1_3gpuE0ELNS1_3repE0EEES8_NS1_28merge_sort_block_sort_configILj256ELj4ELNS0_20block_sort_algorithmE0EEENS0_14default_configENS1_37merge_sort_block_sort_config_selectorIjjEENS1_38merge_sort_block_merge_config_selectorIjjEEEEvv.num_named_barrier, 0
	.set _ZN7rocprim17ROCPRIM_400000_NS6detail44device_merge_sort_compile_time_verifier_archINS1_11comp_targetILNS1_3genE0ELNS1_11target_archE4294967295ELNS1_3gpuE0ELNS1_3repE0EEES8_NS1_28merge_sort_block_sort_configILj256ELj4ELNS0_20block_sort_algorithmE0EEENS0_14default_configENS1_37merge_sort_block_sort_config_selectorIjjEENS1_38merge_sort_block_merge_config_selectorIjjEEEEvv.private_seg_size, 0
	.set _ZN7rocprim17ROCPRIM_400000_NS6detail44device_merge_sort_compile_time_verifier_archINS1_11comp_targetILNS1_3genE0ELNS1_11target_archE4294967295ELNS1_3gpuE0ELNS1_3repE0EEES8_NS1_28merge_sort_block_sort_configILj256ELj4ELNS0_20block_sort_algorithmE0EEENS0_14default_configENS1_37merge_sort_block_sort_config_selectorIjjEENS1_38merge_sort_block_merge_config_selectorIjjEEEEvv.uses_vcc, 0
	.set _ZN7rocprim17ROCPRIM_400000_NS6detail44device_merge_sort_compile_time_verifier_archINS1_11comp_targetILNS1_3genE0ELNS1_11target_archE4294967295ELNS1_3gpuE0ELNS1_3repE0EEES8_NS1_28merge_sort_block_sort_configILj256ELj4ELNS0_20block_sort_algorithmE0EEENS0_14default_configENS1_37merge_sort_block_sort_config_selectorIjjEENS1_38merge_sort_block_merge_config_selectorIjjEEEEvv.uses_flat_scratch, 0
	.set _ZN7rocprim17ROCPRIM_400000_NS6detail44device_merge_sort_compile_time_verifier_archINS1_11comp_targetILNS1_3genE0ELNS1_11target_archE4294967295ELNS1_3gpuE0ELNS1_3repE0EEES8_NS1_28merge_sort_block_sort_configILj256ELj4ELNS0_20block_sort_algorithmE0EEENS0_14default_configENS1_37merge_sort_block_sort_config_selectorIjjEENS1_38merge_sort_block_merge_config_selectorIjjEEEEvv.has_dyn_sized_stack, 0
	.set _ZN7rocprim17ROCPRIM_400000_NS6detail44device_merge_sort_compile_time_verifier_archINS1_11comp_targetILNS1_3genE0ELNS1_11target_archE4294967295ELNS1_3gpuE0ELNS1_3repE0EEES8_NS1_28merge_sort_block_sort_configILj256ELj4ELNS0_20block_sort_algorithmE0EEENS0_14default_configENS1_37merge_sort_block_sort_config_selectorIjjEENS1_38merge_sort_block_merge_config_selectorIjjEEEEvv.has_recursion, 0
	.set _ZN7rocprim17ROCPRIM_400000_NS6detail44device_merge_sort_compile_time_verifier_archINS1_11comp_targetILNS1_3genE0ELNS1_11target_archE4294967295ELNS1_3gpuE0ELNS1_3repE0EEES8_NS1_28merge_sort_block_sort_configILj256ELj4ELNS0_20block_sort_algorithmE0EEENS0_14default_configENS1_37merge_sort_block_sort_config_selectorIjjEENS1_38merge_sort_block_merge_config_selectorIjjEEEEvv.has_indirect_call, 0
	.section	.AMDGPU.csdata,"",@progbits
; Kernel info:
; codeLenInByte = 4
; TotalNumSgprs: 6
; NumVgprs: 0
; NumAgprs: 0
; TotalNumVgprs: 0
; ScratchSize: 0
; MemoryBound: 0
; FloatMode: 240
; IeeeMode: 1
; LDSByteSize: 0 bytes/workgroup (compile time only)
; SGPRBlocks: 0
; VGPRBlocks: 0
; NumSGPRsForWavesPerEU: 6
; NumVGPRsForWavesPerEU: 1
; AccumOffset: 4
; Occupancy: 8
; WaveLimiterHint : 0
; COMPUTE_PGM_RSRC2:SCRATCH_EN: 0
; COMPUTE_PGM_RSRC2:USER_SGPR: 0
; COMPUTE_PGM_RSRC2:TRAP_HANDLER: 0
; COMPUTE_PGM_RSRC2:TGID_X_EN: 1
; COMPUTE_PGM_RSRC2:TGID_Y_EN: 0
; COMPUTE_PGM_RSRC2:TGID_Z_EN: 0
; COMPUTE_PGM_RSRC2:TIDIG_COMP_CNT: 0
; COMPUTE_PGM_RSRC3_GFX90A:ACCUM_OFFSET: 0
; COMPUTE_PGM_RSRC3_GFX90A:TG_SPLIT: 0
	.section	.text._ZN7rocprim17ROCPRIM_400000_NS6detail44device_merge_sort_compile_time_verifier_archINS1_11comp_targetILNS1_3genE5ELNS1_11target_archE942ELNS1_3gpuE9ELNS1_3repE0EEES8_NS1_28merge_sort_block_sort_configILj256ELj4ELNS0_20block_sort_algorithmE0EEENS0_14default_configENS1_37merge_sort_block_sort_config_selectorIjjEENS1_38merge_sort_block_merge_config_selectorIjjEEEEvv,"axG",@progbits,_ZN7rocprim17ROCPRIM_400000_NS6detail44device_merge_sort_compile_time_verifier_archINS1_11comp_targetILNS1_3genE5ELNS1_11target_archE942ELNS1_3gpuE9ELNS1_3repE0EEES8_NS1_28merge_sort_block_sort_configILj256ELj4ELNS0_20block_sort_algorithmE0EEENS0_14default_configENS1_37merge_sort_block_sort_config_selectorIjjEENS1_38merge_sort_block_merge_config_selectorIjjEEEEvv,comdat
	.protected	_ZN7rocprim17ROCPRIM_400000_NS6detail44device_merge_sort_compile_time_verifier_archINS1_11comp_targetILNS1_3genE5ELNS1_11target_archE942ELNS1_3gpuE9ELNS1_3repE0EEES8_NS1_28merge_sort_block_sort_configILj256ELj4ELNS0_20block_sort_algorithmE0EEENS0_14default_configENS1_37merge_sort_block_sort_config_selectorIjjEENS1_38merge_sort_block_merge_config_selectorIjjEEEEvv ; -- Begin function _ZN7rocprim17ROCPRIM_400000_NS6detail44device_merge_sort_compile_time_verifier_archINS1_11comp_targetILNS1_3genE5ELNS1_11target_archE942ELNS1_3gpuE9ELNS1_3repE0EEES8_NS1_28merge_sort_block_sort_configILj256ELj4ELNS0_20block_sort_algorithmE0EEENS0_14default_configENS1_37merge_sort_block_sort_config_selectorIjjEENS1_38merge_sort_block_merge_config_selectorIjjEEEEvv
	.globl	_ZN7rocprim17ROCPRIM_400000_NS6detail44device_merge_sort_compile_time_verifier_archINS1_11comp_targetILNS1_3genE5ELNS1_11target_archE942ELNS1_3gpuE9ELNS1_3repE0EEES8_NS1_28merge_sort_block_sort_configILj256ELj4ELNS0_20block_sort_algorithmE0EEENS0_14default_configENS1_37merge_sort_block_sort_config_selectorIjjEENS1_38merge_sort_block_merge_config_selectorIjjEEEEvv
	.p2align	8
	.type	_ZN7rocprim17ROCPRIM_400000_NS6detail44device_merge_sort_compile_time_verifier_archINS1_11comp_targetILNS1_3genE5ELNS1_11target_archE942ELNS1_3gpuE9ELNS1_3repE0EEES8_NS1_28merge_sort_block_sort_configILj256ELj4ELNS0_20block_sort_algorithmE0EEENS0_14default_configENS1_37merge_sort_block_sort_config_selectorIjjEENS1_38merge_sort_block_merge_config_selectorIjjEEEEvv,@function
_ZN7rocprim17ROCPRIM_400000_NS6detail44device_merge_sort_compile_time_verifier_archINS1_11comp_targetILNS1_3genE5ELNS1_11target_archE942ELNS1_3gpuE9ELNS1_3repE0EEES8_NS1_28merge_sort_block_sort_configILj256ELj4ELNS0_20block_sort_algorithmE0EEENS0_14default_configENS1_37merge_sort_block_sort_config_selectorIjjEENS1_38merge_sort_block_merge_config_selectorIjjEEEEvv: ; @_ZN7rocprim17ROCPRIM_400000_NS6detail44device_merge_sort_compile_time_verifier_archINS1_11comp_targetILNS1_3genE5ELNS1_11target_archE942ELNS1_3gpuE9ELNS1_3repE0EEES8_NS1_28merge_sort_block_sort_configILj256ELj4ELNS0_20block_sort_algorithmE0EEENS0_14default_configENS1_37merge_sort_block_sort_config_selectorIjjEENS1_38merge_sort_block_merge_config_selectorIjjEEEEvv
; %bb.0:
	s_endpgm
	.section	.rodata,"a",@progbits
	.p2align	6, 0x0
	.amdhsa_kernel _ZN7rocprim17ROCPRIM_400000_NS6detail44device_merge_sort_compile_time_verifier_archINS1_11comp_targetILNS1_3genE5ELNS1_11target_archE942ELNS1_3gpuE9ELNS1_3repE0EEES8_NS1_28merge_sort_block_sort_configILj256ELj4ELNS0_20block_sort_algorithmE0EEENS0_14default_configENS1_37merge_sort_block_sort_config_selectorIjjEENS1_38merge_sort_block_merge_config_selectorIjjEEEEvv
		.amdhsa_group_segment_fixed_size 0
		.amdhsa_private_segment_fixed_size 0
		.amdhsa_kernarg_size 0
		.amdhsa_user_sgpr_count 0
		.amdhsa_user_sgpr_dispatch_ptr 0
		.amdhsa_user_sgpr_queue_ptr 0
		.amdhsa_user_sgpr_kernarg_segment_ptr 0
		.amdhsa_user_sgpr_dispatch_id 0
		.amdhsa_user_sgpr_kernarg_preload_length 0
		.amdhsa_user_sgpr_kernarg_preload_offset 0
		.amdhsa_user_sgpr_private_segment_size 0
		.amdhsa_uses_dynamic_stack 0
		.amdhsa_enable_private_segment 0
		.amdhsa_system_sgpr_workgroup_id_x 1
		.amdhsa_system_sgpr_workgroup_id_y 0
		.amdhsa_system_sgpr_workgroup_id_z 0
		.amdhsa_system_sgpr_workgroup_info 0
		.amdhsa_system_vgpr_workitem_id 0
		.amdhsa_next_free_vgpr 1
		.amdhsa_next_free_sgpr 0
		.amdhsa_accum_offset 4
		.amdhsa_reserve_vcc 0
		.amdhsa_float_round_mode_32 0
		.amdhsa_float_round_mode_16_64 0
		.amdhsa_float_denorm_mode_32 3
		.amdhsa_float_denorm_mode_16_64 3
		.amdhsa_dx10_clamp 1
		.amdhsa_ieee_mode 1
		.amdhsa_fp16_overflow 0
		.amdhsa_tg_split 0
		.amdhsa_exception_fp_ieee_invalid_op 0
		.amdhsa_exception_fp_denorm_src 0
		.amdhsa_exception_fp_ieee_div_zero 0
		.amdhsa_exception_fp_ieee_overflow 0
		.amdhsa_exception_fp_ieee_underflow 0
		.amdhsa_exception_fp_ieee_inexact 0
		.amdhsa_exception_int_div_zero 0
	.end_amdhsa_kernel
	.section	.text._ZN7rocprim17ROCPRIM_400000_NS6detail44device_merge_sort_compile_time_verifier_archINS1_11comp_targetILNS1_3genE5ELNS1_11target_archE942ELNS1_3gpuE9ELNS1_3repE0EEES8_NS1_28merge_sort_block_sort_configILj256ELj4ELNS0_20block_sort_algorithmE0EEENS0_14default_configENS1_37merge_sort_block_sort_config_selectorIjjEENS1_38merge_sort_block_merge_config_selectorIjjEEEEvv,"axG",@progbits,_ZN7rocprim17ROCPRIM_400000_NS6detail44device_merge_sort_compile_time_verifier_archINS1_11comp_targetILNS1_3genE5ELNS1_11target_archE942ELNS1_3gpuE9ELNS1_3repE0EEES8_NS1_28merge_sort_block_sort_configILj256ELj4ELNS0_20block_sort_algorithmE0EEENS0_14default_configENS1_37merge_sort_block_sort_config_selectorIjjEENS1_38merge_sort_block_merge_config_selectorIjjEEEEvv,comdat
.Lfunc_end611:
	.size	_ZN7rocprim17ROCPRIM_400000_NS6detail44device_merge_sort_compile_time_verifier_archINS1_11comp_targetILNS1_3genE5ELNS1_11target_archE942ELNS1_3gpuE9ELNS1_3repE0EEES8_NS1_28merge_sort_block_sort_configILj256ELj4ELNS0_20block_sort_algorithmE0EEENS0_14default_configENS1_37merge_sort_block_sort_config_selectorIjjEENS1_38merge_sort_block_merge_config_selectorIjjEEEEvv, .Lfunc_end611-_ZN7rocprim17ROCPRIM_400000_NS6detail44device_merge_sort_compile_time_verifier_archINS1_11comp_targetILNS1_3genE5ELNS1_11target_archE942ELNS1_3gpuE9ELNS1_3repE0EEES8_NS1_28merge_sort_block_sort_configILj256ELj4ELNS0_20block_sort_algorithmE0EEENS0_14default_configENS1_37merge_sort_block_sort_config_selectorIjjEENS1_38merge_sort_block_merge_config_selectorIjjEEEEvv
                                        ; -- End function
	.set _ZN7rocprim17ROCPRIM_400000_NS6detail44device_merge_sort_compile_time_verifier_archINS1_11comp_targetILNS1_3genE5ELNS1_11target_archE942ELNS1_3gpuE9ELNS1_3repE0EEES8_NS1_28merge_sort_block_sort_configILj256ELj4ELNS0_20block_sort_algorithmE0EEENS0_14default_configENS1_37merge_sort_block_sort_config_selectorIjjEENS1_38merge_sort_block_merge_config_selectorIjjEEEEvv.num_vgpr, 0
	.set _ZN7rocprim17ROCPRIM_400000_NS6detail44device_merge_sort_compile_time_verifier_archINS1_11comp_targetILNS1_3genE5ELNS1_11target_archE942ELNS1_3gpuE9ELNS1_3repE0EEES8_NS1_28merge_sort_block_sort_configILj256ELj4ELNS0_20block_sort_algorithmE0EEENS0_14default_configENS1_37merge_sort_block_sort_config_selectorIjjEENS1_38merge_sort_block_merge_config_selectorIjjEEEEvv.num_agpr, 0
	.set _ZN7rocprim17ROCPRIM_400000_NS6detail44device_merge_sort_compile_time_verifier_archINS1_11comp_targetILNS1_3genE5ELNS1_11target_archE942ELNS1_3gpuE9ELNS1_3repE0EEES8_NS1_28merge_sort_block_sort_configILj256ELj4ELNS0_20block_sort_algorithmE0EEENS0_14default_configENS1_37merge_sort_block_sort_config_selectorIjjEENS1_38merge_sort_block_merge_config_selectorIjjEEEEvv.numbered_sgpr, 0
	.set _ZN7rocprim17ROCPRIM_400000_NS6detail44device_merge_sort_compile_time_verifier_archINS1_11comp_targetILNS1_3genE5ELNS1_11target_archE942ELNS1_3gpuE9ELNS1_3repE0EEES8_NS1_28merge_sort_block_sort_configILj256ELj4ELNS0_20block_sort_algorithmE0EEENS0_14default_configENS1_37merge_sort_block_sort_config_selectorIjjEENS1_38merge_sort_block_merge_config_selectorIjjEEEEvv.num_named_barrier, 0
	.set _ZN7rocprim17ROCPRIM_400000_NS6detail44device_merge_sort_compile_time_verifier_archINS1_11comp_targetILNS1_3genE5ELNS1_11target_archE942ELNS1_3gpuE9ELNS1_3repE0EEES8_NS1_28merge_sort_block_sort_configILj256ELj4ELNS0_20block_sort_algorithmE0EEENS0_14default_configENS1_37merge_sort_block_sort_config_selectorIjjEENS1_38merge_sort_block_merge_config_selectorIjjEEEEvv.private_seg_size, 0
	.set _ZN7rocprim17ROCPRIM_400000_NS6detail44device_merge_sort_compile_time_verifier_archINS1_11comp_targetILNS1_3genE5ELNS1_11target_archE942ELNS1_3gpuE9ELNS1_3repE0EEES8_NS1_28merge_sort_block_sort_configILj256ELj4ELNS0_20block_sort_algorithmE0EEENS0_14default_configENS1_37merge_sort_block_sort_config_selectorIjjEENS1_38merge_sort_block_merge_config_selectorIjjEEEEvv.uses_vcc, 0
	.set _ZN7rocprim17ROCPRIM_400000_NS6detail44device_merge_sort_compile_time_verifier_archINS1_11comp_targetILNS1_3genE5ELNS1_11target_archE942ELNS1_3gpuE9ELNS1_3repE0EEES8_NS1_28merge_sort_block_sort_configILj256ELj4ELNS0_20block_sort_algorithmE0EEENS0_14default_configENS1_37merge_sort_block_sort_config_selectorIjjEENS1_38merge_sort_block_merge_config_selectorIjjEEEEvv.uses_flat_scratch, 0
	.set _ZN7rocprim17ROCPRIM_400000_NS6detail44device_merge_sort_compile_time_verifier_archINS1_11comp_targetILNS1_3genE5ELNS1_11target_archE942ELNS1_3gpuE9ELNS1_3repE0EEES8_NS1_28merge_sort_block_sort_configILj256ELj4ELNS0_20block_sort_algorithmE0EEENS0_14default_configENS1_37merge_sort_block_sort_config_selectorIjjEENS1_38merge_sort_block_merge_config_selectorIjjEEEEvv.has_dyn_sized_stack, 0
	.set _ZN7rocprim17ROCPRIM_400000_NS6detail44device_merge_sort_compile_time_verifier_archINS1_11comp_targetILNS1_3genE5ELNS1_11target_archE942ELNS1_3gpuE9ELNS1_3repE0EEES8_NS1_28merge_sort_block_sort_configILj256ELj4ELNS0_20block_sort_algorithmE0EEENS0_14default_configENS1_37merge_sort_block_sort_config_selectorIjjEENS1_38merge_sort_block_merge_config_selectorIjjEEEEvv.has_recursion, 0
	.set _ZN7rocprim17ROCPRIM_400000_NS6detail44device_merge_sort_compile_time_verifier_archINS1_11comp_targetILNS1_3genE5ELNS1_11target_archE942ELNS1_3gpuE9ELNS1_3repE0EEES8_NS1_28merge_sort_block_sort_configILj256ELj4ELNS0_20block_sort_algorithmE0EEENS0_14default_configENS1_37merge_sort_block_sort_config_selectorIjjEENS1_38merge_sort_block_merge_config_selectorIjjEEEEvv.has_indirect_call, 0
	.section	.AMDGPU.csdata,"",@progbits
; Kernel info:
; codeLenInByte = 4
; TotalNumSgprs: 6
; NumVgprs: 0
; NumAgprs: 0
; TotalNumVgprs: 0
; ScratchSize: 0
; MemoryBound: 0
; FloatMode: 240
; IeeeMode: 1
; LDSByteSize: 0 bytes/workgroup (compile time only)
; SGPRBlocks: 0
; VGPRBlocks: 0
; NumSGPRsForWavesPerEU: 6
; NumVGPRsForWavesPerEU: 1
; AccumOffset: 4
; Occupancy: 8
; WaveLimiterHint : 0
; COMPUTE_PGM_RSRC2:SCRATCH_EN: 0
; COMPUTE_PGM_RSRC2:USER_SGPR: 0
; COMPUTE_PGM_RSRC2:TRAP_HANDLER: 0
; COMPUTE_PGM_RSRC2:TGID_X_EN: 1
; COMPUTE_PGM_RSRC2:TGID_Y_EN: 0
; COMPUTE_PGM_RSRC2:TGID_Z_EN: 0
; COMPUTE_PGM_RSRC2:TIDIG_COMP_CNT: 0
; COMPUTE_PGM_RSRC3_GFX90A:ACCUM_OFFSET: 0
; COMPUTE_PGM_RSRC3_GFX90A:TG_SPLIT: 0
	.section	.text._ZN7rocprim17ROCPRIM_400000_NS6detail44device_merge_sort_compile_time_verifier_archINS1_11comp_targetILNS1_3genE4ELNS1_11target_archE910ELNS1_3gpuE8ELNS1_3repE0EEES8_NS1_28merge_sort_block_sort_configILj256ELj4ELNS0_20block_sort_algorithmE0EEENS0_14default_configENS1_37merge_sort_block_sort_config_selectorIjjEENS1_38merge_sort_block_merge_config_selectorIjjEEEEvv,"axG",@progbits,_ZN7rocprim17ROCPRIM_400000_NS6detail44device_merge_sort_compile_time_verifier_archINS1_11comp_targetILNS1_3genE4ELNS1_11target_archE910ELNS1_3gpuE8ELNS1_3repE0EEES8_NS1_28merge_sort_block_sort_configILj256ELj4ELNS0_20block_sort_algorithmE0EEENS0_14default_configENS1_37merge_sort_block_sort_config_selectorIjjEENS1_38merge_sort_block_merge_config_selectorIjjEEEEvv,comdat
	.protected	_ZN7rocprim17ROCPRIM_400000_NS6detail44device_merge_sort_compile_time_verifier_archINS1_11comp_targetILNS1_3genE4ELNS1_11target_archE910ELNS1_3gpuE8ELNS1_3repE0EEES8_NS1_28merge_sort_block_sort_configILj256ELj4ELNS0_20block_sort_algorithmE0EEENS0_14default_configENS1_37merge_sort_block_sort_config_selectorIjjEENS1_38merge_sort_block_merge_config_selectorIjjEEEEvv ; -- Begin function _ZN7rocprim17ROCPRIM_400000_NS6detail44device_merge_sort_compile_time_verifier_archINS1_11comp_targetILNS1_3genE4ELNS1_11target_archE910ELNS1_3gpuE8ELNS1_3repE0EEES8_NS1_28merge_sort_block_sort_configILj256ELj4ELNS0_20block_sort_algorithmE0EEENS0_14default_configENS1_37merge_sort_block_sort_config_selectorIjjEENS1_38merge_sort_block_merge_config_selectorIjjEEEEvv
	.globl	_ZN7rocprim17ROCPRIM_400000_NS6detail44device_merge_sort_compile_time_verifier_archINS1_11comp_targetILNS1_3genE4ELNS1_11target_archE910ELNS1_3gpuE8ELNS1_3repE0EEES8_NS1_28merge_sort_block_sort_configILj256ELj4ELNS0_20block_sort_algorithmE0EEENS0_14default_configENS1_37merge_sort_block_sort_config_selectorIjjEENS1_38merge_sort_block_merge_config_selectorIjjEEEEvv
	.p2align	8
	.type	_ZN7rocprim17ROCPRIM_400000_NS6detail44device_merge_sort_compile_time_verifier_archINS1_11comp_targetILNS1_3genE4ELNS1_11target_archE910ELNS1_3gpuE8ELNS1_3repE0EEES8_NS1_28merge_sort_block_sort_configILj256ELj4ELNS0_20block_sort_algorithmE0EEENS0_14default_configENS1_37merge_sort_block_sort_config_selectorIjjEENS1_38merge_sort_block_merge_config_selectorIjjEEEEvv,@function
_ZN7rocprim17ROCPRIM_400000_NS6detail44device_merge_sort_compile_time_verifier_archINS1_11comp_targetILNS1_3genE4ELNS1_11target_archE910ELNS1_3gpuE8ELNS1_3repE0EEES8_NS1_28merge_sort_block_sort_configILj256ELj4ELNS0_20block_sort_algorithmE0EEENS0_14default_configENS1_37merge_sort_block_sort_config_selectorIjjEENS1_38merge_sort_block_merge_config_selectorIjjEEEEvv: ; @_ZN7rocprim17ROCPRIM_400000_NS6detail44device_merge_sort_compile_time_verifier_archINS1_11comp_targetILNS1_3genE4ELNS1_11target_archE910ELNS1_3gpuE8ELNS1_3repE0EEES8_NS1_28merge_sort_block_sort_configILj256ELj4ELNS0_20block_sort_algorithmE0EEENS0_14default_configENS1_37merge_sort_block_sort_config_selectorIjjEENS1_38merge_sort_block_merge_config_selectorIjjEEEEvv
; %bb.0:
	s_endpgm
	.section	.rodata,"a",@progbits
	.p2align	6, 0x0
	.amdhsa_kernel _ZN7rocprim17ROCPRIM_400000_NS6detail44device_merge_sort_compile_time_verifier_archINS1_11comp_targetILNS1_3genE4ELNS1_11target_archE910ELNS1_3gpuE8ELNS1_3repE0EEES8_NS1_28merge_sort_block_sort_configILj256ELj4ELNS0_20block_sort_algorithmE0EEENS0_14default_configENS1_37merge_sort_block_sort_config_selectorIjjEENS1_38merge_sort_block_merge_config_selectorIjjEEEEvv
		.amdhsa_group_segment_fixed_size 0
		.amdhsa_private_segment_fixed_size 0
		.amdhsa_kernarg_size 0
		.amdhsa_user_sgpr_count 0
		.amdhsa_user_sgpr_dispatch_ptr 0
		.amdhsa_user_sgpr_queue_ptr 0
		.amdhsa_user_sgpr_kernarg_segment_ptr 0
		.amdhsa_user_sgpr_dispatch_id 0
		.amdhsa_user_sgpr_kernarg_preload_length 0
		.amdhsa_user_sgpr_kernarg_preload_offset 0
		.amdhsa_user_sgpr_private_segment_size 0
		.amdhsa_uses_dynamic_stack 0
		.amdhsa_enable_private_segment 0
		.amdhsa_system_sgpr_workgroup_id_x 1
		.amdhsa_system_sgpr_workgroup_id_y 0
		.amdhsa_system_sgpr_workgroup_id_z 0
		.amdhsa_system_sgpr_workgroup_info 0
		.amdhsa_system_vgpr_workitem_id 0
		.amdhsa_next_free_vgpr 1
		.amdhsa_next_free_sgpr 0
		.amdhsa_accum_offset 4
		.amdhsa_reserve_vcc 0
		.amdhsa_float_round_mode_32 0
		.amdhsa_float_round_mode_16_64 0
		.amdhsa_float_denorm_mode_32 3
		.amdhsa_float_denorm_mode_16_64 3
		.amdhsa_dx10_clamp 1
		.amdhsa_ieee_mode 1
		.amdhsa_fp16_overflow 0
		.amdhsa_tg_split 0
		.amdhsa_exception_fp_ieee_invalid_op 0
		.amdhsa_exception_fp_denorm_src 0
		.amdhsa_exception_fp_ieee_div_zero 0
		.amdhsa_exception_fp_ieee_overflow 0
		.amdhsa_exception_fp_ieee_underflow 0
		.amdhsa_exception_fp_ieee_inexact 0
		.amdhsa_exception_int_div_zero 0
	.end_amdhsa_kernel
	.section	.text._ZN7rocprim17ROCPRIM_400000_NS6detail44device_merge_sort_compile_time_verifier_archINS1_11comp_targetILNS1_3genE4ELNS1_11target_archE910ELNS1_3gpuE8ELNS1_3repE0EEES8_NS1_28merge_sort_block_sort_configILj256ELj4ELNS0_20block_sort_algorithmE0EEENS0_14default_configENS1_37merge_sort_block_sort_config_selectorIjjEENS1_38merge_sort_block_merge_config_selectorIjjEEEEvv,"axG",@progbits,_ZN7rocprim17ROCPRIM_400000_NS6detail44device_merge_sort_compile_time_verifier_archINS1_11comp_targetILNS1_3genE4ELNS1_11target_archE910ELNS1_3gpuE8ELNS1_3repE0EEES8_NS1_28merge_sort_block_sort_configILj256ELj4ELNS0_20block_sort_algorithmE0EEENS0_14default_configENS1_37merge_sort_block_sort_config_selectorIjjEENS1_38merge_sort_block_merge_config_selectorIjjEEEEvv,comdat
.Lfunc_end612:
	.size	_ZN7rocprim17ROCPRIM_400000_NS6detail44device_merge_sort_compile_time_verifier_archINS1_11comp_targetILNS1_3genE4ELNS1_11target_archE910ELNS1_3gpuE8ELNS1_3repE0EEES8_NS1_28merge_sort_block_sort_configILj256ELj4ELNS0_20block_sort_algorithmE0EEENS0_14default_configENS1_37merge_sort_block_sort_config_selectorIjjEENS1_38merge_sort_block_merge_config_selectorIjjEEEEvv, .Lfunc_end612-_ZN7rocprim17ROCPRIM_400000_NS6detail44device_merge_sort_compile_time_verifier_archINS1_11comp_targetILNS1_3genE4ELNS1_11target_archE910ELNS1_3gpuE8ELNS1_3repE0EEES8_NS1_28merge_sort_block_sort_configILj256ELj4ELNS0_20block_sort_algorithmE0EEENS0_14default_configENS1_37merge_sort_block_sort_config_selectorIjjEENS1_38merge_sort_block_merge_config_selectorIjjEEEEvv
                                        ; -- End function
	.set _ZN7rocprim17ROCPRIM_400000_NS6detail44device_merge_sort_compile_time_verifier_archINS1_11comp_targetILNS1_3genE4ELNS1_11target_archE910ELNS1_3gpuE8ELNS1_3repE0EEES8_NS1_28merge_sort_block_sort_configILj256ELj4ELNS0_20block_sort_algorithmE0EEENS0_14default_configENS1_37merge_sort_block_sort_config_selectorIjjEENS1_38merge_sort_block_merge_config_selectorIjjEEEEvv.num_vgpr, 0
	.set _ZN7rocprim17ROCPRIM_400000_NS6detail44device_merge_sort_compile_time_verifier_archINS1_11comp_targetILNS1_3genE4ELNS1_11target_archE910ELNS1_3gpuE8ELNS1_3repE0EEES8_NS1_28merge_sort_block_sort_configILj256ELj4ELNS0_20block_sort_algorithmE0EEENS0_14default_configENS1_37merge_sort_block_sort_config_selectorIjjEENS1_38merge_sort_block_merge_config_selectorIjjEEEEvv.num_agpr, 0
	.set _ZN7rocprim17ROCPRIM_400000_NS6detail44device_merge_sort_compile_time_verifier_archINS1_11comp_targetILNS1_3genE4ELNS1_11target_archE910ELNS1_3gpuE8ELNS1_3repE0EEES8_NS1_28merge_sort_block_sort_configILj256ELj4ELNS0_20block_sort_algorithmE0EEENS0_14default_configENS1_37merge_sort_block_sort_config_selectorIjjEENS1_38merge_sort_block_merge_config_selectorIjjEEEEvv.numbered_sgpr, 0
	.set _ZN7rocprim17ROCPRIM_400000_NS6detail44device_merge_sort_compile_time_verifier_archINS1_11comp_targetILNS1_3genE4ELNS1_11target_archE910ELNS1_3gpuE8ELNS1_3repE0EEES8_NS1_28merge_sort_block_sort_configILj256ELj4ELNS0_20block_sort_algorithmE0EEENS0_14default_configENS1_37merge_sort_block_sort_config_selectorIjjEENS1_38merge_sort_block_merge_config_selectorIjjEEEEvv.num_named_barrier, 0
	.set _ZN7rocprim17ROCPRIM_400000_NS6detail44device_merge_sort_compile_time_verifier_archINS1_11comp_targetILNS1_3genE4ELNS1_11target_archE910ELNS1_3gpuE8ELNS1_3repE0EEES8_NS1_28merge_sort_block_sort_configILj256ELj4ELNS0_20block_sort_algorithmE0EEENS0_14default_configENS1_37merge_sort_block_sort_config_selectorIjjEENS1_38merge_sort_block_merge_config_selectorIjjEEEEvv.private_seg_size, 0
	.set _ZN7rocprim17ROCPRIM_400000_NS6detail44device_merge_sort_compile_time_verifier_archINS1_11comp_targetILNS1_3genE4ELNS1_11target_archE910ELNS1_3gpuE8ELNS1_3repE0EEES8_NS1_28merge_sort_block_sort_configILj256ELj4ELNS0_20block_sort_algorithmE0EEENS0_14default_configENS1_37merge_sort_block_sort_config_selectorIjjEENS1_38merge_sort_block_merge_config_selectorIjjEEEEvv.uses_vcc, 0
	.set _ZN7rocprim17ROCPRIM_400000_NS6detail44device_merge_sort_compile_time_verifier_archINS1_11comp_targetILNS1_3genE4ELNS1_11target_archE910ELNS1_3gpuE8ELNS1_3repE0EEES8_NS1_28merge_sort_block_sort_configILj256ELj4ELNS0_20block_sort_algorithmE0EEENS0_14default_configENS1_37merge_sort_block_sort_config_selectorIjjEENS1_38merge_sort_block_merge_config_selectorIjjEEEEvv.uses_flat_scratch, 0
	.set _ZN7rocprim17ROCPRIM_400000_NS6detail44device_merge_sort_compile_time_verifier_archINS1_11comp_targetILNS1_3genE4ELNS1_11target_archE910ELNS1_3gpuE8ELNS1_3repE0EEES8_NS1_28merge_sort_block_sort_configILj256ELj4ELNS0_20block_sort_algorithmE0EEENS0_14default_configENS1_37merge_sort_block_sort_config_selectorIjjEENS1_38merge_sort_block_merge_config_selectorIjjEEEEvv.has_dyn_sized_stack, 0
	.set _ZN7rocprim17ROCPRIM_400000_NS6detail44device_merge_sort_compile_time_verifier_archINS1_11comp_targetILNS1_3genE4ELNS1_11target_archE910ELNS1_3gpuE8ELNS1_3repE0EEES8_NS1_28merge_sort_block_sort_configILj256ELj4ELNS0_20block_sort_algorithmE0EEENS0_14default_configENS1_37merge_sort_block_sort_config_selectorIjjEENS1_38merge_sort_block_merge_config_selectorIjjEEEEvv.has_recursion, 0
	.set _ZN7rocprim17ROCPRIM_400000_NS6detail44device_merge_sort_compile_time_verifier_archINS1_11comp_targetILNS1_3genE4ELNS1_11target_archE910ELNS1_3gpuE8ELNS1_3repE0EEES8_NS1_28merge_sort_block_sort_configILj256ELj4ELNS0_20block_sort_algorithmE0EEENS0_14default_configENS1_37merge_sort_block_sort_config_selectorIjjEENS1_38merge_sort_block_merge_config_selectorIjjEEEEvv.has_indirect_call, 0
	.section	.AMDGPU.csdata,"",@progbits
; Kernel info:
; codeLenInByte = 4
; TotalNumSgprs: 6
; NumVgprs: 0
; NumAgprs: 0
; TotalNumVgprs: 0
; ScratchSize: 0
; MemoryBound: 0
; FloatMode: 240
; IeeeMode: 1
; LDSByteSize: 0 bytes/workgroup (compile time only)
; SGPRBlocks: 0
; VGPRBlocks: 0
; NumSGPRsForWavesPerEU: 6
; NumVGPRsForWavesPerEU: 1
; AccumOffset: 4
; Occupancy: 8
; WaveLimiterHint : 0
; COMPUTE_PGM_RSRC2:SCRATCH_EN: 0
; COMPUTE_PGM_RSRC2:USER_SGPR: 0
; COMPUTE_PGM_RSRC2:TRAP_HANDLER: 0
; COMPUTE_PGM_RSRC2:TGID_X_EN: 1
; COMPUTE_PGM_RSRC2:TGID_Y_EN: 0
; COMPUTE_PGM_RSRC2:TGID_Z_EN: 0
; COMPUTE_PGM_RSRC2:TIDIG_COMP_CNT: 0
; COMPUTE_PGM_RSRC3_GFX90A:ACCUM_OFFSET: 0
; COMPUTE_PGM_RSRC3_GFX90A:TG_SPLIT: 0
	.section	.text._ZN7rocprim17ROCPRIM_400000_NS6detail44device_merge_sort_compile_time_verifier_archINS1_11comp_targetILNS1_3genE3ELNS1_11target_archE908ELNS1_3gpuE7ELNS1_3repE0EEES8_NS1_28merge_sort_block_sort_configILj256ELj4ELNS0_20block_sort_algorithmE0EEENS0_14default_configENS1_37merge_sort_block_sort_config_selectorIjjEENS1_38merge_sort_block_merge_config_selectorIjjEEEEvv,"axG",@progbits,_ZN7rocprim17ROCPRIM_400000_NS6detail44device_merge_sort_compile_time_verifier_archINS1_11comp_targetILNS1_3genE3ELNS1_11target_archE908ELNS1_3gpuE7ELNS1_3repE0EEES8_NS1_28merge_sort_block_sort_configILj256ELj4ELNS0_20block_sort_algorithmE0EEENS0_14default_configENS1_37merge_sort_block_sort_config_selectorIjjEENS1_38merge_sort_block_merge_config_selectorIjjEEEEvv,comdat
	.protected	_ZN7rocprim17ROCPRIM_400000_NS6detail44device_merge_sort_compile_time_verifier_archINS1_11comp_targetILNS1_3genE3ELNS1_11target_archE908ELNS1_3gpuE7ELNS1_3repE0EEES8_NS1_28merge_sort_block_sort_configILj256ELj4ELNS0_20block_sort_algorithmE0EEENS0_14default_configENS1_37merge_sort_block_sort_config_selectorIjjEENS1_38merge_sort_block_merge_config_selectorIjjEEEEvv ; -- Begin function _ZN7rocprim17ROCPRIM_400000_NS6detail44device_merge_sort_compile_time_verifier_archINS1_11comp_targetILNS1_3genE3ELNS1_11target_archE908ELNS1_3gpuE7ELNS1_3repE0EEES8_NS1_28merge_sort_block_sort_configILj256ELj4ELNS0_20block_sort_algorithmE0EEENS0_14default_configENS1_37merge_sort_block_sort_config_selectorIjjEENS1_38merge_sort_block_merge_config_selectorIjjEEEEvv
	.globl	_ZN7rocprim17ROCPRIM_400000_NS6detail44device_merge_sort_compile_time_verifier_archINS1_11comp_targetILNS1_3genE3ELNS1_11target_archE908ELNS1_3gpuE7ELNS1_3repE0EEES8_NS1_28merge_sort_block_sort_configILj256ELj4ELNS0_20block_sort_algorithmE0EEENS0_14default_configENS1_37merge_sort_block_sort_config_selectorIjjEENS1_38merge_sort_block_merge_config_selectorIjjEEEEvv
	.p2align	8
	.type	_ZN7rocprim17ROCPRIM_400000_NS6detail44device_merge_sort_compile_time_verifier_archINS1_11comp_targetILNS1_3genE3ELNS1_11target_archE908ELNS1_3gpuE7ELNS1_3repE0EEES8_NS1_28merge_sort_block_sort_configILj256ELj4ELNS0_20block_sort_algorithmE0EEENS0_14default_configENS1_37merge_sort_block_sort_config_selectorIjjEENS1_38merge_sort_block_merge_config_selectorIjjEEEEvv,@function
_ZN7rocprim17ROCPRIM_400000_NS6detail44device_merge_sort_compile_time_verifier_archINS1_11comp_targetILNS1_3genE3ELNS1_11target_archE908ELNS1_3gpuE7ELNS1_3repE0EEES8_NS1_28merge_sort_block_sort_configILj256ELj4ELNS0_20block_sort_algorithmE0EEENS0_14default_configENS1_37merge_sort_block_sort_config_selectorIjjEENS1_38merge_sort_block_merge_config_selectorIjjEEEEvv: ; @_ZN7rocprim17ROCPRIM_400000_NS6detail44device_merge_sort_compile_time_verifier_archINS1_11comp_targetILNS1_3genE3ELNS1_11target_archE908ELNS1_3gpuE7ELNS1_3repE0EEES8_NS1_28merge_sort_block_sort_configILj256ELj4ELNS0_20block_sort_algorithmE0EEENS0_14default_configENS1_37merge_sort_block_sort_config_selectorIjjEENS1_38merge_sort_block_merge_config_selectorIjjEEEEvv
; %bb.0:
	s_endpgm
	.section	.rodata,"a",@progbits
	.p2align	6, 0x0
	.amdhsa_kernel _ZN7rocprim17ROCPRIM_400000_NS6detail44device_merge_sort_compile_time_verifier_archINS1_11comp_targetILNS1_3genE3ELNS1_11target_archE908ELNS1_3gpuE7ELNS1_3repE0EEES8_NS1_28merge_sort_block_sort_configILj256ELj4ELNS0_20block_sort_algorithmE0EEENS0_14default_configENS1_37merge_sort_block_sort_config_selectorIjjEENS1_38merge_sort_block_merge_config_selectorIjjEEEEvv
		.amdhsa_group_segment_fixed_size 0
		.amdhsa_private_segment_fixed_size 0
		.amdhsa_kernarg_size 0
		.amdhsa_user_sgpr_count 0
		.amdhsa_user_sgpr_dispatch_ptr 0
		.amdhsa_user_sgpr_queue_ptr 0
		.amdhsa_user_sgpr_kernarg_segment_ptr 0
		.amdhsa_user_sgpr_dispatch_id 0
		.amdhsa_user_sgpr_kernarg_preload_length 0
		.amdhsa_user_sgpr_kernarg_preload_offset 0
		.amdhsa_user_sgpr_private_segment_size 0
		.amdhsa_uses_dynamic_stack 0
		.amdhsa_enable_private_segment 0
		.amdhsa_system_sgpr_workgroup_id_x 1
		.amdhsa_system_sgpr_workgroup_id_y 0
		.amdhsa_system_sgpr_workgroup_id_z 0
		.amdhsa_system_sgpr_workgroup_info 0
		.amdhsa_system_vgpr_workitem_id 0
		.amdhsa_next_free_vgpr 1
		.amdhsa_next_free_sgpr 0
		.amdhsa_accum_offset 4
		.amdhsa_reserve_vcc 0
		.amdhsa_float_round_mode_32 0
		.amdhsa_float_round_mode_16_64 0
		.amdhsa_float_denorm_mode_32 3
		.amdhsa_float_denorm_mode_16_64 3
		.amdhsa_dx10_clamp 1
		.amdhsa_ieee_mode 1
		.amdhsa_fp16_overflow 0
		.amdhsa_tg_split 0
		.amdhsa_exception_fp_ieee_invalid_op 0
		.amdhsa_exception_fp_denorm_src 0
		.amdhsa_exception_fp_ieee_div_zero 0
		.amdhsa_exception_fp_ieee_overflow 0
		.amdhsa_exception_fp_ieee_underflow 0
		.amdhsa_exception_fp_ieee_inexact 0
		.amdhsa_exception_int_div_zero 0
	.end_amdhsa_kernel
	.section	.text._ZN7rocprim17ROCPRIM_400000_NS6detail44device_merge_sort_compile_time_verifier_archINS1_11comp_targetILNS1_3genE3ELNS1_11target_archE908ELNS1_3gpuE7ELNS1_3repE0EEES8_NS1_28merge_sort_block_sort_configILj256ELj4ELNS0_20block_sort_algorithmE0EEENS0_14default_configENS1_37merge_sort_block_sort_config_selectorIjjEENS1_38merge_sort_block_merge_config_selectorIjjEEEEvv,"axG",@progbits,_ZN7rocprim17ROCPRIM_400000_NS6detail44device_merge_sort_compile_time_verifier_archINS1_11comp_targetILNS1_3genE3ELNS1_11target_archE908ELNS1_3gpuE7ELNS1_3repE0EEES8_NS1_28merge_sort_block_sort_configILj256ELj4ELNS0_20block_sort_algorithmE0EEENS0_14default_configENS1_37merge_sort_block_sort_config_selectorIjjEENS1_38merge_sort_block_merge_config_selectorIjjEEEEvv,comdat
.Lfunc_end613:
	.size	_ZN7rocprim17ROCPRIM_400000_NS6detail44device_merge_sort_compile_time_verifier_archINS1_11comp_targetILNS1_3genE3ELNS1_11target_archE908ELNS1_3gpuE7ELNS1_3repE0EEES8_NS1_28merge_sort_block_sort_configILj256ELj4ELNS0_20block_sort_algorithmE0EEENS0_14default_configENS1_37merge_sort_block_sort_config_selectorIjjEENS1_38merge_sort_block_merge_config_selectorIjjEEEEvv, .Lfunc_end613-_ZN7rocprim17ROCPRIM_400000_NS6detail44device_merge_sort_compile_time_verifier_archINS1_11comp_targetILNS1_3genE3ELNS1_11target_archE908ELNS1_3gpuE7ELNS1_3repE0EEES8_NS1_28merge_sort_block_sort_configILj256ELj4ELNS0_20block_sort_algorithmE0EEENS0_14default_configENS1_37merge_sort_block_sort_config_selectorIjjEENS1_38merge_sort_block_merge_config_selectorIjjEEEEvv
                                        ; -- End function
	.set _ZN7rocprim17ROCPRIM_400000_NS6detail44device_merge_sort_compile_time_verifier_archINS1_11comp_targetILNS1_3genE3ELNS1_11target_archE908ELNS1_3gpuE7ELNS1_3repE0EEES8_NS1_28merge_sort_block_sort_configILj256ELj4ELNS0_20block_sort_algorithmE0EEENS0_14default_configENS1_37merge_sort_block_sort_config_selectorIjjEENS1_38merge_sort_block_merge_config_selectorIjjEEEEvv.num_vgpr, 0
	.set _ZN7rocprim17ROCPRIM_400000_NS6detail44device_merge_sort_compile_time_verifier_archINS1_11comp_targetILNS1_3genE3ELNS1_11target_archE908ELNS1_3gpuE7ELNS1_3repE0EEES8_NS1_28merge_sort_block_sort_configILj256ELj4ELNS0_20block_sort_algorithmE0EEENS0_14default_configENS1_37merge_sort_block_sort_config_selectorIjjEENS1_38merge_sort_block_merge_config_selectorIjjEEEEvv.num_agpr, 0
	.set _ZN7rocprim17ROCPRIM_400000_NS6detail44device_merge_sort_compile_time_verifier_archINS1_11comp_targetILNS1_3genE3ELNS1_11target_archE908ELNS1_3gpuE7ELNS1_3repE0EEES8_NS1_28merge_sort_block_sort_configILj256ELj4ELNS0_20block_sort_algorithmE0EEENS0_14default_configENS1_37merge_sort_block_sort_config_selectorIjjEENS1_38merge_sort_block_merge_config_selectorIjjEEEEvv.numbered_sgpr, 0
	.set _ZN7rocprim17ROCPRIM_400000_NS6detail44device_merge_sort_compile_time_verifier_archINS1_11comp_targetILNS1_3genE3ELNS1_11target_archE908ELNS1_3gpuE7ELNS1_3repE0EEES8_NS1_28merge_sort_block_sort_configILj256ELj4ELNS0_20block_sort_algorithmE0EEENS0_14default_configENS1_37merge_sort_block_sort_config_selectorIjjEENS1_38merge_sort_block_merge_config_selectorIjjEEEEvv.num_named_barrier, 0
	.set _ZN7rocprim17ROCPRIM_400000_NS6detail44device_merge_sort_compile_time_verifier_archINS1_11comp_targetILNS1_3genE3ELNS1_11target_archE908ELNS1_3gpuE7ELNS1_3repE0EEES8_NS1_28merge_sort_block_sort_configILj256ELj4ELNS0_20block_sort_algorithmE0EEENS0_14default_configENS1_37merge_sort_block_sort_config_selectorIjjEENS1_38merge_sort_block_merge_config_selectorIjjEEEEvv.private_seg_size, 0
	.set _ZN7rocprim17ROCPRIM_400000_NS6detail44device_merge_sort_compile_time_verifier_archINS1_11comp_targetILNS1_3genE3ELNS1_11target_archE908ELNS1_3gpuE7ELNS1_3repE0EEES8_NS1_28merge_sort_block_sort_configILj256ELj4ELNS0_20block_sort_algorithmE0EEENS0_14default_configENS1_37merge_sort_block_sort_config_selectorIjjEENS1_38merge_sort_block_merge_config_selectorIjjEEEEvv.uses_vcc, 0
	.set _ZN7rocprim17ROCPRIM_400000_NS6detail44device_merge_sort_compile_time_verifier_archINS1_11comp_targetILNS1_3genE3ELNS1_11target_archE908ELNS1_3gpuE7ELNS1_3repE0EEES8_NS1_28merge_sort_block_sort_configILj256ELj4ELNS0_20block_sort_algorithmE0EEENS0_14default_configENS1_37merge_sort_block_sort_config_selectorIjjEENS1_38merge_sort_block_merge_config_selectorIjjEEEEvv.uses_flat_scratch, 0
	.set _ZN7rocprim17ROCPRIM_400000_NS6detail44device_merge_sort_compile_time_verifier_archINS1_11comp_targetILNS1_3genE3ELNS1_11target_archE908ELNS1_3gpuE7ELNS1_3repE0EEES8_NS1_28merge_sort_block_sort_configILj256ELj4ELNS0_20block_sort_algorithmE0EEENS0_14default_configENS1_37merge_sort_block_sort_config_selectorIjjEENS1_38merge_sort_block_merge_config_selectorIjjEEEEvv.has_dyn_sized_stack, 0
	.set _ZN7rocprim17ROCPRIM_400000_NS6detail44device_merge_sort_compile_time_verifier_archINS1_11comp_targetILNS1_3genE3ELNS1_11target_archE908ELNS1_3gpuE7ELNS1_3repE0EEES8_NS1_28merge_sort_block_sort_configILj256ELj4ELNS0_20block_sort_algorithmE0EEENS0_14default_configENS1_37merge_sort_block_sort_config_selectorIjjEENS1_38merge_sort_block_merge_config_selectorIjjEEEEvv.has_recursion, 0
	.set _ZN7rocprim17ROCPRIM_400000_NS6detail44device_merge_sort_compile_time_verifier_archINS1_11comp_targetILNS1_3genE3ELNS1_11target_archE908ELNS1_3gpuE7ELNS1_3repE0EEES8_NS1_28merge_sort_block_sort_configILj256ELj4ELNS0_20block_sort_algorithmE0EEENS0_14default_configENS1_37merge_sort_block_sort_config_selectorIjjEENS1_38merge_sort_block_merge_config_selectorIjjEEEEvv.has_indirect_call, 0
	.section	.AMDGPU.csdata,"",@progbits
; Kernel info:
; codeLenInByte = 4
; TotalNumSgprs: 6
; NumVgprs: 0
; NumAgprs: 0
; TotalNumVgprs: 0
; ScratchSize: 0
; MemoryBound: 0
; FloatMode: 240
; IeeeMode: 1
; LDSByteSize: 0 bytes/workgroup (compile time only)
; SGPRBlocks: 0
; VGPRBlocks: 0
; NumSGPRsForWavesPerEU: 6
; NumVGPRsForWavesPerEU: 1
; AccumOffset: 4
; Occupancy: 8
; WaveLimiterHint : 0
; COMPUTE_PGM_RSRC2:SCRATCH_EN: 0
; COMPUTE_PGM_RSRC2:USER_SGPR: 0
; COMPUTE_PGM_RSRC2:TRAP_HANDLER: 0
; COMPUTE_PGM_RSRC2:TGID_X_EN: 1
; COMPUTE_PGM_RSRC2:TGID_Y_EN: 0
; COMPUTE_PGM_RSRC2:TGID_Z_EN: 0
; COMPUTE_PGM_RSRC2:TIDIG_COMP_CNT: 0
; COMPUTE_PGM_RSRC3_GFX90A:ACCUM_OFFSET: 0
; COMPUTE_PGM_RSRC3_GFX90A:TG_SPLIT: 0
	.section	.text._ZN7rocprim17ROCPRIM_400000_NS6detail44device_merge_sort_compile_time_verifier_archINS1_11comp_targetILNS1_3genE2ELNS1_11target_archE906ELNS1_3gpuE6ELNS1_3repE0EEES8_NS1_28merge_sort_block_sort_configILj256ELj4ELNS0_20block_sort_algorithmE0EEENS0_14default_configENS1_37merge_sort_block_sort_config_selectorIjjEENS1_38merge_sort_block_merge_config_selectorIjjEEEEvv,"axG",@progbits,_ZN7rocprim17ROCPRIM_400000_NS6detail44device_merge_sort_compile_time_verifier_archINS1_11comp_targetILNS1_3genE2ELNS1_11target_archE906ELNS1_3gpuE6ELNS1_3repE0EEES8_NS1_28merge_sort_block_sort_configILj256ELj4ELNS0_20block_sort_algorithmE0EEENS0_14default_configENS1_37merge_sort_block_sort_config_selectorIjjEENS1_38merge_sort_block_merge_config_selectorIjjEEEEvv,comdat
	.protected	_ZN7rocprim17ROCPRIM_400000_NS6detail44device_merge_sort_compile_time_verifier_archINS1_11comp_targetILNS1_3genE2ELNS1_11target_archE906ELNS1_3gpuE6ELNS1_3repE0EEES8_NS1_28merge_sort_block_sort_configILj256ELj4ELNS0_20block_sort_algorithmE0EEENS0_14default_configENS1_37merge_sort_block_sort_config_selectorIjjEENS1_38merge_sort_block_merge_config_selectorIjjEEEEvv ; -- Begin function _ZN7rocprim17ROCPRIM_400000_NS6detail44device_merge_sort_compile_time_verifier_archINS1_11comp_targetILNS1_3genE2ELNS1_11target_archE906ELNS1_3gpuE6ELNS1_3repE0EEES8_NS1_28merge_sort_block_sort_configILj256ELj4ELNS0_20block_sort_algorithmE0EEENS0_14default_configENS1_37merge_sort_block_sort_config_selectorIjjEENS1_38merge_sort_block_merge_config_selectorIjjEEEEvv
	.globl	_ZN7rocprim17ROCPRIM_400000_NS6detail44device_merge_sort_compile_time_verifier_archINS1_11comp_targetILNS1_3genE2ELNS1_11target_archE906ELNS1_3gpuE6ELNS1_3repE0EEES8_NS1_28merge_sort_block_sort_configILj256ELj4ELNS0_20block_sort_algorithmE0EEENS0_14default_configENS1_37merge_sort_block_sort_config_selectorIjjEENS1_38merge_sort_block_merge_config_selectorIjjEEEEvv
	.p2align	8
	.type	_ZN7rocprim17ROCPRIM_400000_NS6detail44device_merge_sort_compile_time_verifier_archINS1_11comp_targetILNS1_3genE2ELNS1_11target_archE906ELNS1_3gpuE6ELNS1_3repE0EEES8_NS1_28merge_sort_block_sort_configILj256ELj4ELNS0_20block_sort_algorithmE0EEENS0_14default_configENS1_37merge_sort_block_sort_config_selectorIjjEENS1_38merge_sort_block_merge_config_selectorIjjEEEEvv,@function
_ZN7rocprim17ROCPRIM_400000_NS6detail44device_merge_sort_compile_time_verifier_archINS1_11comp_targetILNS1_3genE2ELNS1_11target_archE906ELNS1_3gpuE6ELNS1_3repE0EEES8_NS1_28merge_sort_block_sort_configILj256ELj4ELNS0_20block_sort_algorithmE0EEENS0_14default_configENS1_37merge_sort_block_sort_config_selectorIjjEENS1_38merge_sort_block_merge_config_selectorIjjEEEEvv: ; @_ZN7rocprim17ROCPRIM_400000_NS6detail44device_merge_sort_compile_time_verifier_archINS1_11comp_targetILNS1_3genE2ELNS1_11target_archE906ELNS1_3gpuE6ELNS1_3repE0EEES8_NS1_28merge_sort_block_sort_configILj256ELj4ELNS0_20block_sort_algorithmE0EEENS0_14default_configENS1_37merge_sort_block_sort_config_selectorIjjEENS1_38merge_sort_block_merge_config_selectorIjjEEEEvv
; %bb.0:
	s_endpgm
	.section	.rodata,"a",@progbits
	.p2align	6, 0x0
	.amdhsa_kernel _ZN7rocprim17ROCPRIM_400000_NS6detail44device_merge_sort_compile_time_verifier_archINS1_11comp_targetILNS1_3genE2ELNS1_11target_archE906ELNS1_3gpuE6ELNS1_3repE0EEES8_NS1_28merge_sort_block_sort_configILj256ELj4ELNS0_20block_sort_algorithmE0EEENS0_14default_configENS1_37merge_sort_block_sort_config_selectorIjjEENS1_38merge_sort_block_merge_config_selectorIjjEEEEvv
		.amdhsa_group_segment_fixed_size 0
		.amdhsa_private_segment_fixed_size 0
		.amdhsa_kernarg_size 0
		.amdhsa_user_sgpr_count 0
		.amdhsa_user_sgpr_dispatch_ptr 0
		.amdhsa_user_sgpr_queue_ptr 0
		.amdhsa_user_sgpr_kernarg_segment_ptr 0
		.amdhsa_user_sgpr_dispatch_id 0
		.amdhsa_user_sgpr_kernarg_preload_length 0
		.amdhsa_user_sgpr_kernarg_preload_offset 0
		.amdhsa_user_sgpr_private_segment_size 0
		.amdhsa_uses_dynamic_stack 0
		.amdhsa_enable_private_segment 0
		.amdhsa_system_sgpr_workgroup_id_x 1
		.amdhsa_system_sgpr_workgroup_id_y 0
		.amdhsa_system_sgpr_workgroup_id_z 0
		.amdhsa_system_sgpr_workgroup_info 0
		.amdhsa_system_vgpr_workitem_id 0
		.amdhsa_next_free_vgpr 1
		.amdhsa_next_free_sgpr 0
		.amdhsa_accum_offset 4
		.amdhsa_reserve_vcc 0
		.amdhsa_float_round_mode_32 0
		.amdhsa_float_round_mode_16_64 0
		.amdhsa_float_denorm_mode_32 3
		.amdhsa_float_denorm_mode_16_64 3
		.amdhsa_dx10_clamp 1
		.amdhsa_ieee_mode 1
		.amdhsa_fp16_overflow 0
		.amdhsa_tg_split 0
		.amdhsa_exception_fp_ieee_invalid_op 0
		.amdhsa_exception_fp_denorm_src 0
		.amdhsa_exception_fp_ieee_div_zero 0
		.amdhsa_exception_fp_ieee_overflow 0
		.amdhsa_exception_fp_ieee_underflow 0
		.amdhsa_exception_fp_ieee_inexact 0
		.amdhsa_exception_int_div_zero 0
	.end_amdhsa_kernel
	.section	.text._ZN7rocprim17ROCPRIM_400000_NS6detail44device_merge_sort_compile_time_verifier_archINS1_11comp_targetILNS1_3genE2ELNS1_11target_archE906ELNS1_3gpuE6ELNS1_3repE0EEES8_NS1_28merge_sort_block_sort_configILj256ELj4ELNS0_20block_sort_algorithmE0EEENS0_14default_configENS1_37merge_sort_block_sort_config_selectorIjjEENS1_38merge_sort_block_merge_config_selectorIjjEEEEvv,"axG",@progbits,_ZN7rocprim17ROCPRIM_400000_NS6detail44device_merge_sort_compile_time_verifier_archINS1_11comp_targetILNS1_3genE2ELNS1_11target_archE906ELNS1_3gpuE6ELNS1_3repE0EEES8_NS1_28merge_sort_block_sort_configILj256ELj4ELNS0_20block_sort_algorithmE0EEENS0_14default_configENS1_37merge_sort_block_sort_config_selectorIjjEENS1_38merge_sort_block_merge_config_selectorIjjEEEEvv,comdat
.Lfunc_end614:
	.size	_ZN7rocprim17ROCPRIM_400000_NS6detail44device_merge_sort_compile_time_verifier_archINS1_11comp_targetILNS1_3genE2ELNS1_11target_archE906ELNS1_3gpuE6ELNS1_3repE0EEES8_NS1_28merge_sort_block_sort_configILj256ELj4ELNS0_20block_sort_algorithmE0EEENS0_14default_configENS1_37merge_sort_block_sort_config_selectorIjjEENS1_38merge_sort_block_merge_config_selectorIjjEEEEvv, .Lfunc_end614-_ZN7rocprim17ROCPRIM_400000_NS6detail44device_merge_sort_compile_time_verifier_archINS1_11comp_targetILNS1_3genE2ELNS1_11target_archE906ELNS1_3gpuE6ELNS1_3repE0EEES8_NS1_28merge_sort_block_sort_configILj256ELj4ELNS0_20block_sort_algorithmE0EEENS0_14default_configENS1_37merge_sort_block_sort_config_selectorIjjEENS1_38merge_sort_block_merge_config_selectorIjjEEEEvv
                                        ; -- End function
	.set _ZN7rocprim17ROCPRIM_400000_NS6detail44device_merge_sort_compile_time_verifier_archINS1_11comp_targetILNS1_3genE2ELNS1_11target_archE906ELNS1_3gpuE6ELNS1_3repE0EEES8_NS1_28merge_sort_block_sort_configILj256ELj4ELNS0_20block_sort_algorithmE0EEENS0_14default_configENS1_37merge_sort_block_sort_config_selectorIjjEENS1_38merge_sort_block_merge_config_selectorIjjEEEEvv.num_vgpr, 0
	.set _ZN7rocprim17ROCPRIM_400000_NS6detail44device_merge_sort_compile_time_verifier_archINS1_11comp_targetILNS1_3genE2ELNS1_11target_archE906ELNS1_3gpuE6ELNS1_3repE0EEES8_NS1_28merge_sort_block_sort_configILj256ELj4ELNS0_20block_sort_algorithmE0EEENS0_14default_configENS1_37merge_sort_block_sort_config_selectorIjjEENS1_38merge_sort_block_merge_config_selectorIjjEEEEvv.num_agpr, 0
	.set _ZN7rocprim17ROCPRIM_400000_NS6detail44device_merge_sort_compile_time_verifier_archINS1_11comp_targetILNS1_3genE2ELNS1_11target_archE906ELNS1_3gpuE6ELNS1_3repE0EEES8_NS1_28merge_sort_block_sort_configILj256ELj4ELNS0_20block_sort_algorithmE0EEENS0_14default_configENS1_37merge_sort_block_sort_config_selectorIjjEENS1_38merge_sort_block_merge_config_selectorIjjEEEEvv.numbered_sgpr, 0
	.set _ZN7rocprim17ROCPRIM_400000_NS6detail44device_merge_sort_compile_time_verifier_archINS1_11comp_targetILNS1_3genE2ELNS1_11target_archE906ELNS1_3gpuE6ELNS1_3repE0EEES8_NS1_28merge_sort_block_sort_configILj256ELj4ELNS0_20block_sort_algorithmE0EEENS0_14default_configENS1_37merge_sort_block_sort_config_selectorIjjEENS1_38merge_sort_block_merge_config_selectorIjjEEEEvv.num_named_barrier, 0
	.set _ZN7rocprim17ROCPRIM_400000_NS6detail44device_merge_sort_compile_time_verifier_archINS1_11comp_targetILNS1_3genE2ELNS1_11target_archE906ELNS1_3gpuE6ELNS1_3repE0EEES8_NS1_28merge_sort_block_sort_configILj256ELj4ELNS0_20block_sort_algorithmE0EEENS0_14default_configENS1_37merge_sort_block_sort_config_selectorIjjEENS1_38merge_sort_block_merge_config_selectorIjjEEEEvv.private_seg_size, 0
	.set _ZN7rocprim17ROCPRIM_400000_NS6detail44device_merge_sort_compile_time_verifier_archINS1_11comp_targetILNS1_3genE2ELNS1_11target_archE906ELNS1_3gpuE6ELNS1_3repE0EEES8_NS1_28merge_sort_block_sort_configILj256ELj4ELNS0_20block_sort_algorithmE0EEENS0_14default_configENS1_37merge_sort_block_sort_config_selectorIjjEENS1_38merge_sort_block_merge_config_selectorIjjEEEEvv.uses_vcc, 0
	.set _ZN7rocprim17ROCPRIM_400000_NS6detail44device_merge_sort_compile_time_verifier_archINS1_11comp_targetILNS1_3genE2ELNS1_11target_archE906ELNS1_3gpuE6ELNS1_3repE0EEES8_NS1_28merge_sort_block_sort_configILj256ELj4ELNS0_20block_sort_algorithmE0EEENS0_14default_configENS1_37merge_sort_block_sort_config_selectorIjjEENS1_38merge_sort_block_merge_config_selectorIjjEEEEvv.uses_flat_scratch, 0
	.set _ZN7rocprim17ROCPRIM_400000_NS6detail44device_merge_sort_compile_time_verifier_archINS1_11comp_targetILNS1_3genE2ELNS1_11target_archE906ELNS1_3gpuE6ELNS1_3repE0EEES8_NS1_28merge_sort_block_sort_configILj256ELj4ELNS0_20block_sort_algorithmE0EEENS0_14default_configENS1_37merge_sort_block_sort_config_selectorIjjEENS1_38merge_sort_block_merge_config_selectorIjjEEEEvv.has_dyn_sized_stack, 0
	.set _ZN7rocprim17ROCPRIM_400000_NS6detail44device_merge_sort_compile_time_verifier_archINS1_11comp_targetILNS1_3genE2ELNS1_11target_archE906ELNS1_3gpuE6ELNS1_3repE0EEES8_NS1_28merge_sort_block_sort_configILj256ELj4ELNS0_20block_sort_algorithmE0EEENS0_14default_configENS1_37merge_sort_block_sort_config_selectorIjjEENS1_38merge_sort_block_merge_config_selectorIjjEEEEvv.has_recursion, 0
	.set _ZN7rocprim17ROCPRIM_400000_NS6detail44device_merge_sort_compile_time_verifier_archINS1_11comp_targetILNS1_3genE2ELNS1_11target_archE906ELNS1_3gpuE6ELNS1_3repE0EEES8_NS1_28merge_sort_block_sort_configILj256ELj4ELNS0_20block_sort_algorithmE0EEENS0_14default_configENS1_37merge_sort_block_sort_config_selectorIjjEENS1_38merge_sort_block_merge_config_selectorIjjEEEEvv.has_indirect_call, 0
	.section	.AMDGPU.csdata,"",@progbits
; Kernel info:
; codeLenInByte = 4
; TotalNumSgprs: 6
; NumVgprs: 0
; NumAgprs: 0
; TotalNumVgprs: 0
; ScratchSize: 0
; MemoryBound: 0
; FloatMode: 240
; IeeeMode: 1
; LDSByteSize: 0 bytes/workgroup (compile time only)
; SGPRBlocks: 0
; VGPRBlocks: 0
; NumSGPRsForWavesPerEU: 6
; NumVGPRsForWavesPerEU: 1
; AccumOffset: 4
; Occupancy: 8
; WaveLimiterHint : 0
; COMPUTE_PGM_RSRC2:SCRATCH_EN: 0
; COMPUTE_PGM_RSRC2:USER_SGPR: 0
; COMPUTE_PGM_RSRC2:TRAP_HANDLER: 0
; COMPUTE_PGM_RSRC2:TGID_X_EN: 1
; COMPUTE_PGM_RSRC2:TGID_Y_EN: 0
; COMPUTE_PGM_RSRC2:TGID_Z_EN: 0
; COMPUTE_PGM_RSRC2:TIDIG_COMP_CNT: 0
; COMPUTE_PGM_RSRC3_GFX90A:ACCUM_OFFSET: 0
; COMPUTE_PGM_RSRC3_GFX90A:TG_SPLIT: 0
	.section	.text._ZN7rocprim17ROCPRIM_400000_NS6detail44device_merge_sort_compile_time_verifier_archINS1_11comp_targetILNS1_3genE10ELNS1_11target_archE1201ELNS1_3gpuE5ELNS1_3repE0EEES8_NS1_28merge_sort_block_sort_configILj256ELj4ELNS0_20block_sort_algorithmE0EEENS0_14default_configENS1_37merge_sort_block_sort_config_selectorIjjEENS1_38merge_sort_block_merge_config_selectorIjjEEEEvv,"axG",@progbits,_ZN7rocprim17ROCPRIM_400000_NS6detail44device_merge_sort_compile_time_verifier_archINS1_11comp_targetILNS1_3genE10ELNS1_11target_archE1201ELNS1_3gpuE5ELNS1_3repE0EEES8_NS1_28merge_sort_block_sort_configILj256ELj4ELNS0_20block_sort_algorithmE0EEENS0_14default_configENS1_37merge_sort_block_sort_config_selectorIjjEENS1_38merge_sort_block_merge_config_selectorIjjEEEEvv,comdat
	.protected	_ZN7rocprim17ROCPRIM_400000_NS6detail44device_merge_sort_compile_time_verifier_archINS1_11comp_targetILNS1_3genE10ELNS1_11target_archE1201ELNS1_3gpuE5ELNS1_3repE0EEES8_NS1_28merge_sort_block_sort_configILj256ELj4ELNS0_20block_sort_algorithmE0EEENS0_14default_configENS1_37merge_sort_block_sort_config_selectorIjjEENS1_38merge_sort_block_merge_config_selectorIjjEEEEvv ; -- Begin function _ZN7rocprim17ROCPRIM_400000_NS6detail44device_merge_sort_compile_time_verifier_archINS1_11comp_targetILNS1_3genE10ELNS1_11target_archE1201ELNS1_3gpuE5ELNS1_3repE0EEES8_NS1_28merge_sort_block_sort_configILj256ELj4ELNS0_20block_sort_algorithmE0EEENS0_14default_configENS1_37merge_sort_block_sort_config_selectorIjjEENS1_38merge_sort_block_merge_config_selectorIjjEEEEvv
	.globl	_ZN7rocprim17ROCPRIM_400000_NS6detail44device_merge_sort_compile_time_verifier_archINS1_11comp_targetILNS1_3genE10ELNS1_11target_archE1201ELNS1_3gpuE5ELNS1_3repE0EEES8_NS1_28merge_sort_block_sort_configILj256ELj4ELNS0_20block_sort_algorithmE0EEENS0_14default_configENS1_37merge_sort_block_sort_config_selectorIjjEENS1_38merge_sort_block_merge_config_selectorIjjEEEEvv
	.p2align	8
	.type	_ZN7rocprim17ROCPRIM_400000_NS6detail44device_merge_sort_compile_time_verifier_archINS1_11comp_targetILNS1_3genE10ELNS1_11target_archE1201ELNS1_3gpuE5ELNS1_3repE0EEES8_NS1_28merge_sort_block_sort_configILj256ELj4ELNS0_20block_sort_algorithmE0EEENS0_14default_configENS1_37merge_sort_block_sort_config_selectorIjjEENS1_38merge_sort_block_merge_config_selectorIjjEEEEvv,@function
_ZN7rocprim17ROCPRIM_400000_NS6detail44device_merge_sort_compile_time_verifier_archINS1_11comp_targetILNS1_3genE10ELNS1_11target_archE1201ELNS1_3gpuE5ELNS1_3repE0EEES8_NS1_28merge_sort_block_sort_configILj256ELj4ELNS0_20block_sort_algorithmE0EEENS0_14default_configENS1_37merge_sort_block_sort_config_selectorIjjEENS1_38merge_sort_block_merge_config_selectorIjjEEEEvv: ; @_ZN7rocprim17ROCPRIM_400000_NS6detail44device_merge_sort_compile_time_verifier_archINS1_11comp_targetILNS1_3genE10ELNS1_11target_archE1201ELNS1_3gpuE5ELNS1_3repE0EEES8_NS1_28merge_sort_block_sort_configILj256ELj4ELNS0_20block_sort_algorithmE0EEENS0_14default_configENS1_37merge_sort_block_sort_config_selectorIjjEENS1_38merge_sort_block_merge_config_selectorIjjEEEEvv
; %bb.0:
	s_endpgm
	.section	.rodata,"a",@progbits
	.p2align	6, 0x0
	.amdhsa_kernel _ZN7rocprim17ROCPRIM_400000_NS6detail44device_merge_sort_compile_time_verifier_archINS1_11comp_targetILNS1_3genE10ELNS1_11target_archE1201ELNS1_3gpuE5ELNS1_3repE0EEES8_NS1_28merge_sort_block_sort_configILj256ELj4ELNS0_20block_sort_algorithmE0EEENS0_14default_configENS1_37merge_sort_block_sort_config_selectorIjjEENS1_38merge_sort_block_merge_config_selectorIjjEEEEvv
		.amdhsa_group_segment_fixed_size 0
		.amdhsa_private_segment_fixed_size 0
		.amdhsa_kernarg_size 0
		.amdhsa_user_sgpr_count 0
		.amdhsa_user_sgpr_dispatch_ptr 0
		.amdhsa_user_sgpr_queue_ptr 0
		.amdhsa_user_sgpr_kernarg_segment_ptr 0
		.amdhsa_user_sgpr_dispatch_id 0
		.amdhsa_user_sgpr_kernarg_preload_length 0
		.amdhsa_user_sgpr_kernarg_preload_offset 0
		.amdhsa_user_sgpr_private_segment_size 0
		.amdhsa_uses_dynamic_stack 0
		.amdhsa_enable_private_segment 0
		.amdhsa_system_sgpr_workgroup_id_x 1
		.amdhsa_system_sgpr_workgroup_id_y 0
		.amdhsa_system_sgpr_workgroup_id_z 0
		.amdhsa_system_sgpr_workgroup_info 0
		.amdhsa_system_vgpr_workitem_id 0
		.amdhsa_next_free_vgpr 1
		.amdhsa_next_free_sgpr 0
		.amdhsa_accum_offset 4
		.amdhsa_reserve_vcc 0
		.amdhsa_float_round_mode_32 0
		.amdhsa_float_round_mode_16_64 0
		.amdhsa_float_denorm_mode_32 3
		.amdhsa_float_denorm_mode_16_64 3
		.amdhsa_dx10_clamp 1
		.amdhsa_ieee_mode 1
		.amdhsa_fp16_overflow 0
		.amdhsa_tg_split 0
		.amdhsa_exception_fp_ieee_invalid_op 0
		.amdhsa_exception_fp_denorm_src 0
		.amdhsa_exception_fp_ieee_div_zero 0
		.amdhsa_exception_fp_ieee_overflow 0
		.amdhsa_exception_fp_ieee_underflow 0
		.amdhsa_exception_fp_ieee_inexact 0
		.amdhsa_exception_int_div_zero 0
	.end_amdhsa_kernel
	.section	.text._ZN7rocprim17ROCPRIM_400000_NS6detail44device_merge_sort_compile_time_verifier_archINS1_11comp_targetILNS1_3genE10ELNS1_11target_archE1201ELNS1_3gpuE5ELNS1_3repE0EEES8_NS1_28merge_sort_block_sort_configILj256ELj4ELNS0_20block_sort_algorithmE0EEENS0_14default_configENS1_37merge_sort_block_sort_config_selectorIjjEENS1_38merge_sort_block_merge_config_selectorIjjEEEEvv,"axG",@progbits,_ZN7rocprim17ROCPRIM_400000_NS6detail44device_merge_sort_compile_time_verifier_archINS1_11comp_targetILNS1_3genE10ELNS1_11target_archE1201ELNS1_3gpuE5ELNS1_3repE0EEES8_NS1_28merge_sort_block_sort_configILj256ELj4ELNS0_20block_sort_algorithmE0EEENS0_14default_configENS1_37merge_sort_block_sort_config_selectorIjjEENS1_38merge_sort_block_merge_config_selectorIjjEEEEvv,comdat
.Lfunc_end615:
	.size	_ZN7rocprim17ROCPRIM_400000_NS6detail44device_merge_sort_compile_time_verifier_archINS1_11comp_targetILNS1_3genE10ELNS1_11target_archE1201ELNS1_3gpuE5ELNS1_3repE0EEES8_NS1_28merge_sort_block_sort_configILj256ELj4ELNS0_20block_sort_algorithmE0EEENS0_14default_configENS1_37merge_sort_block_sort_config_selectorIjjEENS1_38merge_sort_block_merge_config_selectorIjjEEEEvv, .Lfunc_end615-_ZN7rocprim17ROCPRIM_400000_NS6detail44device_merge_sort_compile_time_verifier_archINS1_11comp_targetILNS1_3genE10ELNS1_11target_archE1201ELNS1_3gpuE5ELNS1_3repE0EEES8_NS1_28merge_sort_block_sort_configILj256ELj4ELNS0_20block_sort_algorithmE0EEENS0_14default_configENS1_37merge_sort_block_sort_config_selectorIjjEENS1_38merge_sort_block_merge_config_selectorIjjEEEEvv
                                        ; -- End function
	.set _ZN7rocprim17ROCPRIM_400000_NS6detail44device_merge_sort_compile_time_verifier_archINS1_11comp_targetILNS1_3genE10ELNS1_11target_archE1201ELNS1_3gpuE5ELNS1_3repE0EEES8_NS1_28merge_sort_block_sort_configILj256ELj4ELNS0_20block_sort_algorithmE0EEENS0_14default_configENS1_37merge_sort_block_sort_config_selectorIjjEENS1_38merge_sort_block_merge_config_selectorIjjEEEEvv.num_vgpr, 0
	.set _ZN7rocprim17ROCPRIM_400000_NS6detail44device_merge_sort_compile_time_verifier_archINS1_11comp_targetILNS1_3genE10ELNS1_11target_archE1201ELNS1_3gpuE5ELNS1_3repE0EEES8_NS1_28merge_sort_block_sort_configILj256ELj4ELNS0_20block_sort_algorithmE0EEENS0_14default_configENS1_37merge_sort_block_sort_config_selectorIjjEENS1_38merge_sort_block_merge_config_selectorIjjEEEEvv.num_agpr, 0
	.set _ZN7rocprim17ROCPRIM_400000_NS6detail44device_merge_sort_compile_time_verifier_archINS1_11comp_targetILNS1_3genE10ELNS1_11target_archE1201ELNS1_3gpuE5ELNS1_3repE0EEES8_NS1_28merge_sort_block_sort_configILj256ELj4ELNS0_20block_sort_algorithmE0EEENS0_14default_configENS1_37merge_sort_block_sort_config_selectorIjjEENS1_38merge_sort_block_merge_config_selectorIjjEEEEvv.numbered_sgpr, 0
	.set _ZN7rocprim17ROCPRIM_400000_NS6detail44device_merge_sort_compile_time_verifier_archINS1_11comp_targetILNS1_3genE10ELNS1_11target_archE1201ELNS1_3gpuE5ELNS1_3repE0EEES8_NS1_28merge_sort_block_sort_configILj256ELj4ELNS0_20block_sort_algorithmE0EEENS0_14default_configENS1_37merge_sort_block_sort_config_selectorIjjEENS1_38merge_sort_block_merge_config_selectorIjjEEEEvv.num_named_barrier, 0
	.set _ZN7rocprim17ROCPRIM_400000_NS6detail44device_merge_sort_compile_time_verifier_archINS1_11comp_targetILNS1_3genE10ELNS1_11target_archE1201ELNS1_3gpuE5ELNS1_3repE0EEES8_NS1_28merge_sort_block_sort_configILj256ELj4ELNS0_20block_sort_algorithmE0EEENS0_14default_configENS1_37merge_sort_block_sort_config_selectorIjjEENS1_38merge_sort_block_merge_config_selectorIjjEEEEvv.private_seg_size, 0
	.set _ZN7rocprim17ROCPRIM_400000_NS6detail44device_merge_sort_compile_time_verifier_archINS1_11comp_targetILNS1_3genE10ELNS1_11target_archE1201ELNS1_3gpuE5ELNS1_3repE0EEES8_NS1_28merge_sort_block_sort_configILj256ELj4ELNS0_20block_sort_algorithmE0EEENS0_14default_configENS1_37merge_sort_block_sort_config_selectorIjjEENS1_38merge_sort_block_merge_config_selectorIjjEEEEvv.uses_vcc, 0
	.set _ZN7rocprim17ROCPRIM_400000_NS6detail44device_merge_sort_compile_time_verifier_archINS1_11comp_targetILNS1_3genE10ELNS1_11target_archE1201ELNS1_3gpuE5ELNS1_3repE0EEES8_NS1_28merge_sort_block_sort_configILj256ELj4ELNS0_20block_sort_algorithmE0EEENS0_14default_configENS1_37merge_sort_block_sort_config_selectorIjjEENS1_38merge_sort_block_merge_config_selectorIjjEEEEvv.uses_flat_scratch, 0
	.set _ZN7rocprim17ROCPRIM_400000_NS6detail44device_merge_sort_compile_time_verifier_archINS1_11comp_targetILNS1_3genE10ELNS1_11target_archE1201ELNS1_3gpuE5ELNS1_3repE0EEES8_NS1_28merge_sort_block_sort_configILj256ELj4ELNS0_20block_sort_algorithmE0EEENS0_14default_configENS1_37merge_sort_block_sort_config_selectorIjjEENS1_38merge_sort_block_merge_config_selectorIjjEEEEvv.has_dyn_sized_stack, 0
	.set _ZN7rocprim17ROCPRIM_400000_NS6detail44device_merge_sort_compile_time_verifier_archINS1_11comp_targetILNS1_3genE10ELNS1_11target_archE1201ELNS1_3gpuE5ELNS1_3repE0EEES8_NS1_28merge_sort_block_sort_configILj256ELj4ELNS0_20block_sort_algorithmE0EEENS0_14default_configENS1_37merge_sort_block_sort_config_selectorIjjEENS1_38merge_sort_block_merge_config_selectorIjjEEEEvv.has_recursion, 0
	.set _ZN7rocprim17ROCPRIM_400000_NS6detail44device_merge_sort_compile_time_verifier_archINS1_11comp_targetILNS1_3genE10ELNS1_11target_archE1201ELNS1_3gpuE5ELNS1_3repE0EEES8_NS1_28merge_sort_block_sort_configILj256ELj4ELNS0_20block_sort_algorithmE0EEENS0_14default_configENS1_37merge_sort_block_sort_config_selectorIjjEENS1_38merge_sort_block_merge_config_selectorIjjEEEEvv.has_indirect_call, 0
	.section	.AMDGPU.csdata,"",@progbits
; Kernel info:
; codeLenInByte = 4
; TotalNumSgprs: 6
; NumVgprs: 0
; NumAgprs: 0
; TotalNumVgprs: 0
; ScratchSize: 0
; MemoryBound: 0
; FloatMode: 240
; IeeeMode: 1
; LDSByteSize: 0 bytes/workgroup (compile time only)
; SGPRBlocks: 0
; VGPRBlocks: 0
; NumSGPRsForWavesPerEU: 6
; NumVGPRsForWavesPerEU: 1
; AccumOffset: 4
; Occupancy: 8
; WaveLimiterHint : 0
; COMPUTE_PGM_RSRC2:SCRATCH_EN: 0
; COMPUTE_PGM_RSRC2:USER_SGPR: 0
; COMPUTE_PGM_RSRC2:TRAP_HANDLER: 0
; COMPUTE_PGM_RSRC2:TGID_X_EN: 1
; COMPUTE_PGM_RSRC2:TGID_Y_EN: 0
; COMPUTE_PGM_RSRC2:TGID_Z_EN: 0
; COMPUTE_PGM_RSRC2:TIDIG_COMP_CNT: 0
; COMPUTE_PGM_RSRC3_GFX90A:ACCUM_OFFSET: 0
; COMPUTE_PGM_RSRC3_GFX90A:TG_SPLIT: 0
	.section	.text._ZN7rocprim17ROCPRIM_400000_NS6detail44device_merge_sort_compile_time_verifier_archINS1_11comp_targetILNS1_3genE10ELNS1_11target_archE1200ELNS1_3gpuE4ELNS1_3repE0EEENS3_ILS4_10ELS5_1201ELS6_5ELS7_0EEENS1_28merge_sort_block_sort_configILj256ELj4ELNS0_20block_sort_algorithmE0EEENS0_14default_configENS1_37merge_sort_block_sort_config_selectorIjjEENS1_38merge_sort_block_merge_config_selectorIjjEEEEvv,"axG",@progbits,_ZN7rocprim17ROCPRIM_400000_NS6detail44device_merge_sort_compile_time_verifier_archINS1_11comp_targetILNS1_3genE10ELNS1_11target_archE1200ELNS1_3gpuE4ELNS1_3repE0EEENS3_ILS4_10ELS5_1201ELS6_5ELS7_0EEENS1_28merge_sort_block_sort_configILj256ELj4ELNS0_20block_sort_algorithmE0EEENS0_14default_configENS1_37merge_sort_block_sort_config_selectorIjjEENS1_38merge_sort_block_merge_config_selectorIjjEEEEvv,comdat
	.protected	_ZN7rocprim17ROCPRIM_400000_NS6detail44device_merge_sort_compile_time_verifier_archINS1_11comp_targetILNS1_3genE10ELNS1_11target_archE1200ELNS1_3gpuE4ELNS1_3repE0EEENS3_ILS4_10ELS5_1201ELS6_5ELS7_0EEENS1_28merge_sort_block_sort_configILj256ELj4ELNS0_20block_sort_algorithmE0EEENS0_14default_configENS1_37merge_sort_block_sort_config_selectorIjjEENS1_38merge_sort_block_merge_config_selectorIjjEEEEvv ; -- Begin function _ZN7rocprim17ROCPRIM_400000_NS6detail44device_merge_sort_compile_time_verifier_archINS1_11comp_targetILNS1_3genE10ELNS1_11target_archE1200ELNS1_3gpuE4ELNS1_3repE0EEENS3_ILS4_10ELS5_1201ELS6_5ELS7_0EEENS1_28merge_sort_block_sort_configILj256ELj4ELNS0_20block_sort_algorithmE0EEENS0_14default_configENS1_37merge_sort_block_sort_config_selectorIjjEENS1_38merge_sort_block_merge_config_selectorIjjEEEEvv
	.globl	_ZN7rocprim17ROCPRIM_400000_NS6detail44device_merge_sort_compile_time_verifier_archINS1_11comp_targetILNS1_3genE10ELNS1_11target_archE1200ELNS1_3gpuE4ELNS1_3repE0EEENS3_ILS4_10ELS5_1201ELS6_5ELS7_0EEENS1_28merge_sort_block_sort_configILj256ELj4ELNS0_20block_sort_algorithmE0EEENS0_14default_configENS1_37merge_sort_block_sort_config_selectorIjjEENS1_38merge_sort_block_merge_config_selectorIjjEEEEvv
	.p2align	8
	.type	_ZN7rocprim17ROCPRIM_400000_NS6detail44device_merge_sort_compile_time_verifier_archINS1_11comp_targetILNS1_3genE10ELNS1_11target_archE1200ELNS1_3gpuE4ELNS1_3repE0EEENS3_ILS4_10ELS5_1201ELS6_5ELS7_0EEENS1_28merge_sort_block_sort_configILj256ELj4ELNS0_20block_sort_algorithmE0EEENS0_14default_configENS1_37merge_sort_block_sort_config_selectorIjjEENS1_38merge_sort_block_merge_config_selectorIjjEEEEvv,@function
_ZN7rocprim17ROCPRIM_400000_NS6detail44device_merge_sort_compile_time_verifier_archINS1_11comp_targetILNS1_3genE10ELNS1_11target_archE1200ELNS1_3gpuE4ELNS1_3repE0EEENS3_ILS4_10ELS5_1201ELS6_5ELS7_0EEENS1_28merge_sort_block_sort_configILj256ELj4ELNS0_20block_sort_algorithmE0EEENS0_14default_configENS1_37merge_sort_block_sort_config_selectorIjjEENS1_38merge_sort_block_merge_config_selectorIjjEEEEvv: ; @_ZN7rocprim17ROCPRIM_400000_NS6detail44device_merge_sort_compile_time_verifier_archINS1_11comp_targetILNS1_3genE10ELNS1_11target_archE1200ELNS1_3gpuE4ELNS1_3repE0EEENS3_ILS4_10ELS5_1201ELS6_5ELS7_0EEENS1_28merge_sort_block_sort_configILj256ELj4ELNS0_20block_sort_algorithmE0EEENS0_14default_configENS1_37merge_sort_block_sort_config_selectorIjjEENS1_38merge_sort_block_merge_config_selectorIjjEEEEvv
; %bb.0:
	s_endpgm
	.section	.rodata,"a",@progbits
	.p2align	6, 0x0
	.amdhsa_kernel _ZN7rocprim17ROCPRIM_400000_NS6detail44device_merge_sort_compile_time_verifier_archINS1_11comp_targetILNS1_3genE10ELNS1_11target_archE1200ELNS1_3gpuE4ELNS1_3repE0EEENS3_ILS4_10ELS5_1201ELS6_5ELS7_0EEENS1_28merge_sort_block_sort_configILj256ELj4ELNS0_20block_sort_algorithmE0EEENS0_14default_configENS1_37merge_sort_block_sort_config_selectorIjjEENS1_38merge_sort_block_merge_config_selectorIjjEEEEvv
		.amdhsa_group_segment_fixed_size 0
		.amdhsa_private_segment_fixed_size 0
		.amdhsa_kernarg_size 0
		.amdhsa_user_sgpr_count 0
		.amdhsa_user_sgpr_dispatch_ptr 0
		.amdhsa_user_sgpr_queue_ptr 0
		.amdhsa_user_sgpr_kernarg_segment_ptr 0
		.amdhsa_user_sgpr_dispatch_id 0
		.amdhsa_user_sgpr_kernarg_preload_length 0
		.amdhsa_user_sgpr_kernarg_preload_offset 0
		.amdhsa_user_sgpr_private_segment_size 0
		.amdhsa_uses_dynamic_stack 0
		.amdhsa_enable_private_segment 0
		.amdhsa_system_sgpr_workgroup_id_x 1
		.amdhsa_system_sgpr_workgroup_id_y 0
		.amdhsa_system_sgpr_workgroup_id_z 0
		.amdhsa_system_sgpr_workgroup_info 0
		.amdhsa_system_vgpr_workitem_id 0
		.amdhsa_next_free_vgpr 1
		.amdhsa_next_free_sgpr 0
		.amdhsa_accum_offset 4
		.amdhsa_reserve_vcc 0
		.amdhsa_float_round_mode_32 0
		.amdhsa_float_round_mode_16_64 0
		.amdhsa_float_denorm_mode_32 3
		.amdhsa_float_denorm_mode_16_64 3
		.amdhsa_dx10_clamp 1
		.amdhsa_ieee_mode 1
		.amdhsa_fp16_overflow 0
		.amdhsa_tg_split 0
		.amdhsa_exception_fp_ieee_invalid_op 0
		.amdhsa_exception_fp_denorm_src 0
		.amdhsa_exception_fp_ieee_div_zero 0
		.amdhsa_exception_fp_ieee_overflow 0
		.amdhsa_exception_fp_ieee_underflow 0
		.amdhsa_exception_fp_ieee_inexact 0
		.amdhsa_exception_int_div_zero 0
	.end_amdhsa_kernel
	.section	.text._ZN7rocprim17ROCPRIM_400000_NS6detail44device_merge_sort_compile_time_verifier_archINS1_11comp_targetILNS1_3genE10ELNS1_11target_archE1200ELNS1_3gpuE4ELNS1_3repE0EEENS3_ILS4_10ELS5_1201ELS6_5ELS7_0EEENS1_28merge_sort_block_sort_configILj256ELj4ELNS0_20block_sort_algorithmE0EEENS0_14default_configENS1_37merge_sort_block_sort_config_selectorIjjEENS1_38merge_sort_block_merge_config_selectorIjjEEEEvv,"axG",@progbits,_ZN7rocprim17ROCPRIM_400000_NS6detail44device_merge_sort_compile_time_verifier_archINS1_11comp_targetILNS1_3genE10ELNS1_11target_archE1200ELNS1_3gpuE4ELNS1_3repE0EEENS3_ILS4_10ELS5_1201ELS6_5ELS7_0EEENS1_28merge_sort_block_sort_configILj256ELj4ELNS0_20block_sort_algorithmE0EEENS0_14default_configENS1_37merge_sort_block_sort_config_selectorIjjEENS1_38merge_sort_block_merge_config_selectorIjjEEEEvv,comdat
.Lfunc_end616:
	.size	_ZN7rocprim17ROCPRIM_400000_NS6detail44device_merge_sort_compile_time_verifier_archINS1_11comp_targetILNS1_3genE10ELNS1_11target_archE1200ELNS1_3gpuE4ELNS1_3repE0EEENS3_ILS4_10ELS5_1201ELS6_5ELS7_0EEENS1_28merge_sort_block_sort_configILj256ELj4ELNS0_20block_sort_algorithmE0EEENS0_14default_configENS1_37merge_sort_block_sort_config_selectorIjjEENS1_38merge_sort_block_merge_config_selectorIjjEEEEvv, .Lfunc_end616-_ZN7rocprim17ROCPRIM_400000_NS6detail44device_merge_sort_compile_time_verifier_archINS1_11comp_targetILNS1_3genE10ELNS1_11target_archE1200ELNS1_3gpuE4ELNS1_3repE0EEENS3_ILS4_10ELS5_1201ELS6_5ELS7_0EEENS1_28merge_sort_block_sort_configILj256ELj4ELNS0_20block_sort_algorithmE0EEENS0_14default_configENS1_37merge_sort_block_sort_config_selectorIjjEENS1_38merge_sort_block_merge_config_selectorIjjEEEEvv
                                        ; -- End function
	.set _ZN7rocprim17ROCPRIM_400000_NS6detail44device_merge_sort_compile_time_verifier_archINS1_11comp_targetILNS1_3genE10ELNS1_11target_archE1200ELNS1_3gpuE4ELNS1_3repE0EEENS3_ILS4_10ELS5_1201ELS6_5ELS7_0EEENS1_28merge_sort_block_sort_configILj256ELj4ELNS0_20block_sort_algorithmE0EEENS0_14default_configENS1_37merge_sort_block_sort_config_selectorIjjEENS1_38merge_sort_block_merge_config_selectorIjjEEEEvv.num_vgpr, 0
	.set _ZN7rocprim17ROCPRIM_400000_NS6detail44device_merge_sort_compile_time_verifier_archINS1_11comp_targetILNS1_3genE10ELNS1_11target_archE1200ELNS1_3gpuE4ELNS1_3repE0EEENS3_ILS4_10ELS5_1201ELS6_5ELS7_0EEENS1_28merge_sort_block_sort_configILj256ELj4ELNS0_20block_sort_algorithmE0EEENS0_14default_configENS1_37merge_sort_block_sort_config_selectorIjjEENS1_38merge_sort_block_merge_config_selectorIjjEEEEvv.num_agpr, 0
	.set _ZN7rocprim17ROCPRIM_400000_NS6detail44device_merge_sort_compile_time_verifier_archINS1_11comp_targetILNS1_3genE10ELNS1_11target_archE1200ELNS1_3gpuE4ELNS1_3repE0EEENS3_ILS4_10ELS5_1201ELS6_5ELS7_0EEENS1_28merge_sort_block_sort_configILj256ELj4ELNS0_20block_sort_algorithmE0EEENS0_14default_configENS1_37merge_sort_block_sort_config_selectorIjjEENS1_38merge_sort_block_merge_config_selectorIjjEEEEvv.numbered_sgpr, 0
	.set _ZN7rocprim17ROCPRIM_400000_NS6detail44device_merge_sort_compile_time_verifier_archINS1_11comp_targetILNS1_3genE10ELNS1_11target_archE1200ELNS1_3gpuE4ELNS1_3repE0EEENS3_ILS4_10ELS5_1201ELS6_5ELS7_0EEENS1_28merge_sort_block_sort_configILj256ELj4ELNS0_20block_sort_algorithmE0EEENS0_14default_configENS1_37merge_sort_block_sort_config_selectorIjjEENS1_38merge_sort_block_merge_config_selectorIjjEEEEvv.num_named_barrier, 0
	.set _ZN7rocprim17ROCPRIM_400000_NS6detail44device_merge_sort_compile_time_verifier_archINS1_11comp_targetILNS1_3genE10ELNS1_11target_archE1200ELNS1_3gpuE4ELNS1_3repE0EEENS3_ILS4_10ELS5_1201ELS6_5ELS7_0EEENS1_28merge_sort_block_sort_configILj256ELj4ELNS0_20block_sort_algorithmE0EEENS0_14default_configENS1_37merge_sort_block_sort_config_selectorIjjEENS1_38merge_sort_block_merge_config_selectorIjjEEEEvv.private_seg_size, 0
	.set _ZN7rocprim17ROCPRIM_400000_NS6detail44device_merge_sort_compile_time_verifier_archINS1_11comp_targetILNS1_3genE10ELNS1_11target_archE1200ELNS1_3gpuE4ELNS1_3repE0EEENS3_ILS4_10ELS5_1201ELS6_5ELS7_0EEENS1_28merge_sort_block_sort_configILj256ELj4ELNS0_20block_sort_algorithmE0EEENS0_14default_configENS1_37merge_sort_block_sort_config_selectorIjjEENS1_38merge_sort_block_merge_config_selectorIjjEEEEvv.uses_vcc, 0
	.set _ZN7rocprim17ROCPRIM_400000_NS6detail44device_merge_sort_compile_time_verifier_archINS1_11comp_targetILNS1_3genE10ELNS1_11target_archE1200ELNS1_3gpuE4ELNS1_3repE0EEENS3_ILS4_10ELS5_1201ELS6_5ELS7_0EEENS1_28merge_sort_block_sort_configILj256ELj4ELNS0_20block_sort_algorithmE0EEENS0_14default_configENS1_37merge_sort_block_sort_config_selectorIjjEENS1_38merge_sort_block_merge_config_selectorIjjEEEEvv.uses_flat_scratch, 0
	.set _ZN7rocprim17ROCPRIM_400000_NS6detail44device_merge_sort_compile_time_verifier_archINS1_11comp_targetILNS1_3genE10ELNS1_11target_archE1200ELNS1_3gpuE4ELNS1_3repE0EEENS3_ILS4_10ELS5_1201ELS6_5ELS7_0EEENS1_28merge_sort_block_sort_configILj256ELj4ELNS0_20block_sort_algorithmE0EEENS0_14default_configENS1_37merge_sort_block_sort_config_selectorIjjEENS1_38merge_sort_block_merge_config_selectorIjjEEEEvv.has_dyn_sized_stack, 0
	.set _ZN7rocprim17ROCPRIM_400000_NS6detail44device_merge_sort_compile_time_verifier_archINS1_11comp_targetILNS1_3genE10ELNS1_11target_archE1200ELNS1_3gpuE4ELNS1_3repE0EEENS3_ILS4_10ELS5_1201ELS6_5ELS7_0EEENS1_28merge_sort_block_sort_configILj256ELj4ELNS0_20block_sort_algorithmE0EEENS0_14default_configENS1_37merge_sort_block_sort_config_selectorIjjEENS1_38merge_sort_block_merge_config_selectorIjjEEEEvv.has_recursion, 0
	.set _ZN7rocprim17ROCPRIM_400000_NS6detail44device_merge_sort_compile_time_verifier_archINS1_11comp_targetILNS1_3genE10ELNS1_11target_archE1200ELNS1_3gpuE4ELNS1_3repE0EEENS3_ILS4_10ELS5_1201ELS6_5ELS7_0EEENS1_28merge_sort_block_sort_configILj256ELj4ELNS0_20block_sort_algorithmE0EEENS0_14default_configENS1_37merge_sort_block_sort_config_selectorIjjEENS1_38merge_sort_block_merge_config_selectorIjjEEEEvv.has_indirect_call, 0
	.section	.AMDGPU.csdata,"",@progbits
; Kernel info:
; codeLenInByte = 4
; TotalNumSgprs: 6
; NumVgprs: 0
; NumAgprs: 0
; TotalNumVgprs: 0
; ScratchSize: 0
; MemoryBound: 0
; FloatMode: 240
; IeeeMode: 1
; LDSByteSize: 0 bytes/workgroup (compile time only)
; SGPRBlocks: 0
; VGPRBlocks: 0
; NumSGPRsForWavesPerEU: 6
; NumVGPRsForWavesPerEU: 1
; AccumOffset: 4
; Occupancy: 8
; WaveLimiterHint : 0
; COMPUTE_PGM_RSRC2:SCRATCH_EN: 0
; COMPUTE_PGM_RSRC2:USER_SGPR: 0
; COMPUTE_PGM_RSRC2:TRAP_HANDLER: 0
; COMPUTE_PGM_RSRC2:TGID_X_EN: 1
; COMPUTE_PGM_RSRC2:TGID_Y_EN: 0
; COMPUTE_PGM_RSRC2:TGID_Z_EN: 0
; COMPUTE_PGM_RSRC2:TIDIG_COMP_CNT: 0
; COMPUTE_PGM_RSRC3_GFX90A:ACCUM_OFFSET: 0
; COMPUTE_PGM_RSRC3_GFX90A:TG_SPLIT: 0
	.section	.text._ZN7rocprim17ROCPRIM_400000_NS6detail44device_merge_sort_compile_time_verifier_archINS1_11comp_targetILNS1_3genE9ELNS1_11target_archE1100ELNS1_3gpuE3ELNS1_3repE0EEES8_NS1_28merge_sort_block_sort_configILj256ELj4ELNS0_20block_sort_algorithmE0EEENS0_14default_configENS1_37merge_sort_block_sort_config_selectorIjjEENS1_38merge_sort_block_merge_config_selectorIjjEEEEvv,"axG",@progbits,_ZN7rocprim17ROCPRIM_400000_NS6detail44device_merge_sort_compile_time_verifier_archINS1_11comp_targetILNS1_3genE9ELNS1_11target_archE1100ELNS1_3gpuE3ELNS1_3repE0EEES8_NS1_28merge_sort_block_sort_configILj256ELj4ELNS0_20block_sort_algorithmE0EEENS0_14default_configENS1_37merge_sort_block_sort_config_selectorIjjEENS1_38merge_sort_block_merge_config_selectorIjjEEEEvv,comdat
	.protected	_ZN7rocprim17ROCPRIM_400000_NS6detail44device_merge_sort_compile_time_verifier_archINS1_11comp_targetILNS1_3genE9ELNS1_11target_archE1100ELNS1_3gpuE3ELNS1_3repE0EEES8_NS1_28merge_sort_block_sort_configILj256ELj4ELNS0_20block_sort_algorithmE0EEENS0_14default_configENS1_37merge_sort_block_sort_config_selectorIjjEENS1_38merge_sort_block_merge_config_selectorIjjEEEEvv ; -- Begin function _ZN7rocprim17ROCPRIM_400000_NS6detail44device_merge_sort_compile_time_verifier_archINS1_11comp_targetILNS1_3genE9ELNS1_11target_archE1100ELNS1_3gpuE3ELNS1_3repE0EEES8_NS1_28merge_sort_block_sort_configILj256ELj4ELNS0_20block_sort_algorithmE0EEENS0_14default_configENS1_37merge_sort_block_sort_config_selectorIjjEENS1_38merge_sort_block_merge_config_selectorIjjEEEEvv
	.globl	_ZN7rocprim17ROCPRIM_400000_NS6detail44device_merge_sort_compile_time_verifier_archINS1_11comp_targetILNS1_3genE9ELNS1_11target_archE1100ELNS1_3gpuE3ELNS1_3repE0EEES8_NS1_28merge_sort_block_sort_configILj256ELj4ELNS0_20block_sort_algorithmE0EEENS0_14default_configENS1_37merge_sort_block_sort_config_selectorIjjEENS1_38merge_sort_block_merge_config_selectorIjjEEEEvv
	.p2align	8
	.type	_ZN7rocprim17ROCPRIM_400000_NS6detail44device_merge_sort_compile_time_verifier_archINS1_11comp_targetILNS1_3genE9ELNS1_11target_archE1100ELNS1_3gpuE3ELNS1_3repE0EEES8_NS1_28merge_sort_block_sort_configILj256ELj4ELNS0_20block_sort_algorithmE0EEENS0_14default_configENS1_37merge_sort_block_sort_config_selectorIjjEENS1_38merge_sort_block_merge_config_selectorIjjEEEEvv,@function
_ZN7rocprim17ROCPRIM_400000_NS6detail44device_merge_sort_compile_time_verifier_archINS1_11comp_targetILNS1_3genE9ELNS1_11target_archE1100ELNS1_3gpuE3ELNS1_3repE0EEES8_NS1_28merge_sort_block_sort_configILj256ELj4ELNS0_20block_sort_algorithmE0EEENS0_14default_configENS1_37merge_sort_block_sort_config_selectorIjjEENS1_38merge_sort_block_merge_config_selectorIjjEEEEvv: ; @_ZN7rocprim17ROCPRIM_400000_NS6detail44device_merge_sort_compile_time_verifier_archINS1_11comp_targetILNS1_3genE9ELNS1_11target_archE1100ELNS1_3gpuE3ELNS1_3repE0EEES8_NS1_28merge_sort_block_sort_configILj256ELj4ELNS0_20block_sort_algorithmE0EEENS0_14default_configENS1_37merge_sort_block_sort_config_selectorIjjEENS1_38merge_sort_block_merge_config_selectorIjjEEEEvv
; %bb.0:
	s_endpgm
	.section	.rodata,"a",@progbits
	.p2align	6, 0x0
	.amdhsa_kernel _ZN7rocprim17ROCPRIM_400000_NS6detail44device_merge_sort_compile_time_verifier_archINS1_11comp_targetILNS1_3genE9ELNS1_11target_archE1100ELNS1_3gpuE3ELNS1_3repE0EEES8_NS1_28merge_sort_block_sort_configILj256ELj4ELNS0_20block_sort_algorithmE0EEENS0_14default_configENS1_37merge_sort_block_sort_config_selectorIjjEENS1_38merge_sort_block_merge_config_selectorIjjEEEEvv
		.amdhsa_group_segment_fixed_size 0
		.amdhsa_private_segment_fixed_size 0
		.amdhsa_kernarg_size 0
		.amdhsa_user_sgpr_count 0
		.amdhsa_user_sgpr_dispatch_ptr 0
		.amdhsa_user_sgpr_queue_ptr 0
		.amdhsa_user_sgpr_kernarg_segment_ptr 0
		.amdhsa_user_sgpr_dispatch_id 0
		.amdhsa_user_sgpr_kernarg_preload_length 0
		.amdhsa_user_sgpr_kernarg_preload_offset 0
		.amdhsa_user_sgpr_private_segment_size 0
		.amdhsa_uses_dynamic_stack 0
		.amdhsa_enable_private_segment 0
		.amdhsa_system_sgpr_workgroup_id_x 1
		.amdhsa_system_sgpr_workgroup_id_y 0
		.amdhsa_system_sgpr_workgroup_id_z 0
		.amdhsa_system_sgpr_workgroup_info 0
		.amdhsa_system_vgpr_workitem_id 0
		.amdhsa_next_free_vgpr 1
		.amdhsa_next_free_sgpr 0
		.amdhsa_accum_offset 4
		.amdhsa_reserve_vcc 0
		.amdhsa_float_round_mode_32 0
		.amdhsa_float_round_mode_16_64 0
		.amdhsa_float_denorm_mode_32 3
		.amdhsa_float_denorm_mode_16_64 3
		.amdhsa_dx10_clamp 1
		.amdhsa_ieee_mode 1
		.amdhsa_fp16_overflow 0
		.amdhsa_tg_split 0
		.amdhsa_exception_fp_ieee_invalid_op 0
		.amdhsa_exception_fp_denorm_src 0
		.amdhsa_exception_fp_ieee_div_zero 0
		.amdhsa_exception_fp_ieee_overflow 0
		.amdhsa_exception_fp_ieee_underflow 0
		.amdhsa_exception_fp_ieee_inexact 0
		.amdhsa_exception_int_div_zero 0
	.end_amdhsa_kernel
	.section	.text._ZN7rocprim17ROCPRIM_400000_NS6detail44device_merge_sort_compile_time_verifier_archINS1_11comp_targetILNS1_3genE9ELNS1_11target_archE1100ELNS1_3gpuE3ELNS1_3repE0EEES8_NS1_28merge_sort_block_sort_configILj256ELj4ELNS0_20block_sort_algorithmE0EEENS0_14default_configENS1_37merge_sort_block_sort_config_selectorIjjEENS1_38merge_sort_block_merge_config_selectorIjjEEEEvv,"axG",@progbits,_ZN7rocprim17ROCPRIM_400000_NS6detail44device_merge_sort_compile_time_verifier_archINS1_11comp_targetILNS1_3genE9ELNS1_11target_archE1100ELNS1_3gpuE3ELNS1_3repE0EEES8_NS1_28merge_sort_block_sort_configILj256ELj4ELNS0_20block_sort_algorithmE0EEENS0_14default_configENS1_37merge_sort_block_sort_config_selectorIjjEENS1_38merge_sort_block_merge_config_selectorIjjEEEEvv,comdat
.Lfunc_end617:
	.size	_ZN7rocprim17ROCPRIM_400000_NS6detail44device_merge_sort_compile_time_verifier_archINS1_11comp_targetILNS1_3genE9ELNS1_11target_archE1100ELNS1_3gpuE3ELNS1_3repE0EEES8_NS1_28merge_sort_block_sort_configILj256ELj4ELNS0_20block_sort_algorithmE0EEENS0_14default_configENS1_37merge_sort_block_sort_config_selectorIjjEENS1_38merge_sort_block_merge_config_selectorIjjEEEEvv, .Lfunc_end617-_ZN7rocprim17ROCPRIM_400000_NS6detail44device_merge_sort_compile_time_verifier_archINS1_11comp_targetILNS1_3genE9ELNS1_11target_archE1100ELNS1_3gpuE3ELNS1_3repE0EEES8_NS1_28merge_sort_block_sort_configILj256ELj4ELNS0_20block_sort_algorithmE0EEENS0_14default_configENS1_37merge_sort_block_sort_config_selectorIjjEENS1_38merge_sort_block_merge_config_selectorIjjEEEEvv
                                        ; -- End function
	.set _ZN7rocprim17ROCPRIM_400000_NS6detail44device_merge_sort_compile_time_verifier_archINS1_11comp_targetILNS1_3genE9ELNS1_11target_archE1100ELNS1_3gpuE3ELNS1_3repE0EEES8_NS1_28merge_sort_block_sort_configILj256ELj4ELNS0_20block_sort_algorithmE0EEENS0_14default_configENS1_37merge_sort_block_sort_config_selectorIjjEENS1_38merge_sort_block_merge_config_selectorIjjEEEEvv.num_vgpr, 0
	.set _ZN7rocprim17ROCPRIM_400000_NS6detail44device_merge_sort_compile_time_verifier_archINS1_11comp_targetILNS1_3genE9ELNS1_11target_archE1100ELNS1_3gpuE3ELNS1_3repE0EEES8_NS1_28merge_sort_block_sort_configILj256ELj4ELNS0_20block_sort_algorithmE0EEENS0_14default_configENS1_37merge_sort_block_sort_config_selectorIjjEENS1_38merge_sort_block_merge_config_selectorIjjEEEEvv.num_agpr, 0
	.set _ZN7rocprim17ROCPRIM_400000_NS6detail44device_merge_sort_compile_time_verifier_archINS1_11comp_targetILNS1_3genE9ELNS1_11target_archE1100ELNS1_3gpuE3ELNS1_3repE0EEES8_NS1_28merge_sort_block_sort_configILj256ELj4ELNS0_20block_sort_algorithmE0EEENS0_14default_configENS1_37merge_sort_block_sort_config_selectorIjjEENS1_38merge_sort_block_merge_config_selectorIjjEEEEvv.numbered_sgpr, 0
	.set _ZN7rocprim17ROCPRIM_400000_NS6detail44device_merge_sort_compile_time_verifier_archINS1_11comp_targetILNS1_3genE9ELNS1_11target_archE1100ELNS1_3gpuE3ELNS1_3repE0EEES8_NS1_28merge_sort_block_sort_configILj256ELj4ELNS0_20block_sort_algorithmE0EEENS0_14default_configENS1_37merge_sort_block_sort_config_selectorIjjEENS1_38merge_sort_block_merge_config_selectorIjjEEEEvv.num_named_barrier, 0
	.set _ZN7rocprim17ROCPRIM_400000_NS6detail44device_merge_sort_compile_time_verifier_archINS1_11comp_targetILNS1_3genE9ELNS1_11target_archE1100ELNS1_3gpuE3ELNS1_3repE0EEES8_NS1_28merge_sort_block_sort_configILj256ELj4ELNS0_20block_sort_algorithmE0EEENS0_14default_configENS1_37merge_sort_block_sort_config_selectorIjjEENS1_38merge_sort_block_merge_config_selectorIjjEEEEvv.private_seg_size, 0
	.set _ZN7rocprim17ROCPRIM_400000_NS6detail44device_merge_sort_compile_time_verifier_archINS1_11comp_targetILNS1_3genE9ELNS1_11target_archE1100ELNS1_3gpuE3ELNS1_3repE0EEES8_NS1_28merge_sort_block_sort_configILj256ELj4ELNS0_20block_sort_algorithmE0EEENS0_14default_configENS1_37merge_sort_block_sort_config_selectorIjjEENS1_38merge_sort_block_merge_config_selectorIjjEEEEvv.uses_vcc, 0
	.set _ZN7rocprim17ROCPRIM_400000_NS6detail44device_merge_sort_compile_time_verifier_archINS1_11comp_targetILNS1_3genE9ELNS1_11target_archE1100ELNS1_3gpuE3ELNS1_3repE0EEES8_NS1_28merge_sort_block_sort_configILj256ELj4ELNS0_20block_sort_algorithmE0EEENS0_14default_configENS1_37merge_sort_block_sort_config_selectorIjjEENS1_38merge_sort_block_merge_config_selectorIjjEEEEvv.uses_flat_scratch, 0
	.set _ZN7rocprim17ROCPRIM_400000_NS6detail44device_merge_sort_compile_time_verifier_archINS1_11comp_targetILNS1_3genE9ELNS1_11target_archE1100ELNS1_3gpuE3ELNS1_3repE0EEES8_NS1_28merge_sort_block_sort_configILj256ELj4ELNS0_20block_sort_algorithmE0EEENS0_14default_configENS1_37merge_sort_block_sort_config_selectorIjjEENS1_38merge_sort_block_merge_config_selectorIjjEEEEvv.has_dyn_sized_stack, 0
	.set _ZN7rocprim17ROCPRIM_400000_NS6detail44device_merge_sort_compile_time_verifier_archINS1_11comp_targetILNS1_3genE9ELNS1_11target_archE1100ELNS1_3gpuE3ELNS1_3repE0EEES8_NS1_28merge_sort_block_sort_configILj256ELj4ELNS0_20block_sort_algorithmE0EEENS0_14default_configENS1_37merge_sort_block_sort_config_selectorIjjEENS1_38merge_sort_block_merge_config_selectorIjjEEEEvv.has_recursion, 0
	.set _ZN7rocprim17ROCPRIM_400000_NS6detail44device_merge_sort_compile_time_verifier_archINS1_11comp_targetILNS1_3genE9ELNS1_11target_archE1100ELNS1_3gpuE3ELNS1_3repE0EEES8_NS1_28merge_sort_block_sort_configILj256ELj4ELNS0_20block_sort_algorithmE0EEENS0_14default_configENS1_37merge_sort_block_sort_config_selectorIjjEENS1_38merge_sort_block_merge_config_selectorIjjEEEEvv.has_indirect_call, 0
	.section	.AMDGPU.csdata,"",@progbits
; Kernel info:
; codeLenInByte = 4
; TotalNumSgprs: 6
; NumVgprs: 0
; NumAgprs: 0
; TotalNumVgprs: 0
; ScratchSize: 0
; MemoryBound: 0
; FloatMode: 240
; IeeeMode: 1
; LDSByteSize: 0 bytes/workgroup (compile time only)
; SGPRBlocks: 0
; VGPRBlocks: 0
; NumSGPRsForWavesPerEU: 6
; NumVGPRsForWavesPerEU: 1
; AccumOffset: 4
; Occupancy: 8
; WaveLimiterHint : 0
; COMPUTE_PGM_RSRC2:SCRATCH_EN: 0
; COMPUTE_PGM_RSRC2:USER_SGPR: 0
; COMPUTE_PGM_RSRC2:TRAP_HANDLER: 0
; COMPUTE_PGM_RSRC2:TGID_X_EN: 1
; COMPUTE_PGM_RSRC2:TGID_Y_EN: 0
; COMPUTE_PGM_RSRC2:TGID_Z_EN: 0
; COMPUTE_PGM_RSRC2:TIDIG_COMP_CNT: 0
; COMPUTE_PGM_RSRC3_GFX90A:ACCUM_OFFSET: 0
; COMPUTE_PGM_RSRC3_GFX90A:TG_SPLIT: 0
	.section	.text._ZN7rocprim17ROCPRIM_400000_NS6detail44device_merge_sort_compile_time_verifier_archINS1_11comp_targetILNS1_3genE8ELNS1_11target_archE1030ELNS1_3gpuE2ELNS1_3repE0EEES8_NS1_28merge_sort_block_sort_configILj256ELj4ELNS0_20block_sort_algorithmE0EEENS0_14default_configENS1_37merge_sort_block_sort_config_selectorIjjEENS1_38merge_sort_block_merge_config_selectorIjjEEEEvv,"axG",@progbits,_ZN7rocprim17ROCPRIM_400000_NS6detail44device_merge_sort_compile_time_verifier_archINS1_11comp_targetILNS1_3genE8ELNS1_11target_archE1030ELNS1_3gpuE2ELNS1_3repE0EEES8_NS1_28merge_sort_block_sort_configILj256ELj4ELNS0_20block_sort_algorithmE0EEENS0_14default_configENS1_37merge_sort_block_sort_config_selectorIjjEENS1_38merge_sort_block_merge_config_selectorIjjEEEEvv,comdat
	.protected	_ZN7rocprim17ROCPRIM_400000_NS6detail44device_merge_sort_compile_time_verifier_archINS1_11comp_targetILNS1_3genE8ELNS1_11target_archE1030ELNS1_3gpuE2ELNS1_3repE0EEES8_NS1_28merge_sort_block_sort_configILj256ELj4ELNS0_20block_sort_algorithmE0EEENS0_14default_configENS1_37merge_sort_block_sort_config_selectorIjjEENS1_38merge_sort_block_merge_config_selectorIjjEEEEvv ; -- Begin function _ZN7rocprim17ROCPRIM_400000_NS6detail44device_merge_sort_compile_time_verifier_archINS1_11comp_targetILNS1_3genE8ELNS1_11target_archE1030ELNS1_3gpuE2ELNS1_3repE0EEES8_NS1_28merge_sort_block_sort_configILj256ELj4ELNS0_20block_sort_algorithmE0EEENS0_14default_configENS1_37merge_sort_block_sort_config_selectorIjjEENS1_38merge_sort_block_merge_config_selectorIjjEEEEvv
	.globl	_ZN7rocprim17ROCPRIM_400000_NS6detail44device_merge_sort_compile_time_verifier_archINS1_11comp_targetILNS1_3genE8ELNS1_11target_archE1030ELNS1_3gpuE2ELNS1_3repE0EEES8_NS1_28merge_sort_block_sort_configILj256ELj4ELNS0_20block_sort_algorithmE0EEENS0_14default_configENS1_37merge_sort_block_sort_config_selectorIjjEENS1_38merge_sort_block_merge_config_selectorIjjEEEEvv
	.p2align	8
	.type	_ZN7rocprim17ROCPRIM_400000_NS6detail44device_merge_sort_compile_time_verifier_archINS1_11comp_targetILNS1_3genE8ELNS1_11target_archE1030ELNS1_3gpuE2ELNS1_3repE0EEES8_NS1_28merge_sort_block_sort_configILj256ELj4ELNS0_20block_sort_algorithmE0EEENS0_14default_configENS1_37merge_sort_block_sort_config_selectorIjjEENS1_38merge_sort_block_merge_config_selectorIjjEEEEvv,@function
_ZN7rocprim17ROCPRIM_400000_NS6detail44device_merge_sort_compile_time_verifier_archINS1_11comp_targetILNS1_3genE8ELNS1_11target_archE1030ELNS1_3gpuE2ELNS1_3repE0EEES8_NS1_28merge_sort_block_sort_configILj256ELj4ELNS0_20block_sort_algorithmE0EEENS0_14default_configENS1_37merge_sort_block_sort_config_selectorIjjEENS1_38merge_sort_block_merge_config_selectorIjjEEEEvv: ; @_ZN7rocprim17ROCPRIM_400000_NS6detail44device_merge_sort_compile_time_verifier_archINS1_11comp_targetILNS1_3genE8ELNS1_11target_archE1030ELNS1_3gpuE2ELNS1_3repE0EEES8_NS1_28merge_sort_block_sort_configILj256ELj4ELNS0_20block_sort_algorithmE0EEENS0_14default_configENS1_37merge_sort_block_sort_config_selectorIjjEENS1_38merge_sort_block_merge_config_selectorIjjEEEEvv
; %bb.0:
	s_endpgm
	.section	.rodata,"a",@progbits
	.p2align	6, 0x0
	.amdhsa_kernel _ZN7rocprim17ROCPRIM_400000_NS6detail44device_merge_sort_compile_time_verifier_archINS1_11comp_targetILNS1_3genE8ELNS1_11target_archE1030ELNS1_3gpuE2ELNS1_3repE0EEES8_NS1_28merge_sort_block_sort_configILj256ELj4ELNS0_20block_sort_algorithmE0EEENS0_14default_configENS1_37merge_sort_block_sort_config_selectorIjjEENS1_38merge_sort_block_merge_config_selectorIjjEEEEvv
		.amdhsa_group_segment_fixed_size 0
		.amdhsa_private_segment_fixed_size 0
		.amdhsa_kernarg_size 0
		.amdhsa_user_sgpr_count 0
		.amdhsa_user_sgpr_dispatch_ptr 0
		.amdhsa_user_sgpr_queue_ptr 0
		.amdhsa_user_sgpr_kernarg_segment_ptr 0
		.amdhsa_user_sgpr_dispatch_id 0
		.amdhsa_user_sgpr_kernarg_preload_length 0
		.amdhsa_user_sgpr_kernarg_preload_offset 0
		.amdhsa_user_sgpr_private_segment_size 0
		.amdhsa_uses_dynamic_stack 0
		.amdhsa_enable_private_segment 0
		.amdhsa_system_sgpr_workgroup_id_x 1
		.amdhsa_system_sgpr_workgroup_id_y 0
		.amdhsa_system_sgpr_workgroup_id_z 0
		.amdhsa_system_sgpr_workgroup_info 0
		.amdhsa_system_vgpr_workitem_id 0
		.amdhsa_next_free_vgpr 1
		.amdhsa_next_free_sgpr 0
		.amdhsa_accum_offset 4
		.amdhsa_reserve_vcc 0
		.amdhsa_float_round_mode_32 0
		.amdhsa_float_round_mode_16_64 0
		.amdhsa_float_denorm_mode_32 3
		.amdhsa_float_denorm_mode_16_64 3
		.amdhsa_dx10_clamp 1
		.amdhsa_ieee_mode 1
		.amdhsa_fp16_overflow 0
		.amdhsa_tg_split 0
		.amdhsa_exception_fp_ieee_invalid_op 0
		.amdhsa_exception_fp_denorm_src 0
		.amdhsa_exception_fp_ieee_div_zero 0
		.amdhsa_exception_fp_ieee_overflow 0
		.amdhsa_exception_fp_ieee_underflow 0
		.amdhsa_exception_fp_ieee_inexact 0
		.amdhsa_exception_int_div_zero 0
	.end_amdhsa_kernel
	.section	.text._ZN7rocprim17ROCPRIM_400000_NS6detail44device_merge_sort_compile_time_verifier_archINS1_11comp_targetILNS1_3genE8ELNS1_11target_archE1030ELNS1_3gpuE2ELNS1_3repE0EEES8_NS1_28merge_sort_block_sort_configILj256ELj4ELNS0_20block_sort_algorithmE0EEENS0_14default_configENS1_37merge_sort_block_sort_config_selectorIjjEENS1_38merge_sort_block_merge_config_selectorIjjEEEEvv,"axG",@progbits,_ZN7rocprim17ROCPRIM_400000_NS6detail44device_merge_sort_compile_time_verifier_archINS1_11comp_targetILNS1_3genE8ELNS1_11target_archE1030ELNS1_3gpuE2ELNS1_3repE0EEES8_NS1_28merge_sort_block_sort_configILj256ELj4ELNS0_20block_sort_algorithmE0EEENS0_14default_configENS1_37merge_sort_block_sort_config_selectorIjjEENS1_38merge_sort_block_merge_config_selectorIjjEEEEvv,comdat
.Lfunc_end618:
	.size	_ZN7rocprim17ROCPRIM_400000_NS6detail44device_merge_sort_compile_time_verifier_archINS1_11comp_targetILNS1_3genE8ELNS1_11target_archE1030ELNS1_3gpuE2ELNS1_3repE0EEES8_NS1_28merge_sort_block_sort_configILj256ELj4ELNS0_20block_sort_algorithmE0EEENS0_14default_configENS1_37merge_sort_block_sort_config_selectorIjjEENS1_38merge_sort_block_merge_config_selectorIjjEEEEvv, .Lfunc_end618-_ZN7rocprim17ROCPRIM_400000_NS6detail44device_merge_sort_compile_time_verifier_archINS1_11comp_targetILNS1_3genE8ELNS1_11target_archE1030ELNS1_3gpuE2ELNS1_3repE0EEES8_NS1_28merge_sort_block_sort_configILj256ELj4ELNS0_20block_sort_algorithmE0EEENS0_14default_configENS1_37merge_sort_block_sort_config_selectorIjjEENS1_38merge_sort_block_merge_config_selectorIjjEEEEvv
                                        ; -- End function
	.set _ZN7rocprim17ROCPRIM_400000_NS6detail44device_merge_sort_compile_time_verifier_archINS1_11comp_targetILNS1_3genE8ELNS1_11target_archE1030ELNS1_3gpuE2ELNS1_3repE0EEES8_NS1_28merge_sort_block_sort_configILj256ELj4ELNS0_20block_sort_algorithmE0EEENS0_14default_configENS1_37merge_sort_block_sort_config_selectorIjjEENS1_38merge_sort_block_merge_config_selectorIjjEEEEvv.num_vgpr, 0
	.set _ZN7rocprim17ROCPRIM_400000_NS6detail44device_merge_sort_compile_time_verifier_archINS1_11comp_targetILNS1_3genE8ELNS1_11target_archE1030ELNS1_3gpuE2ELNS1_3repE0EEES8_NS1_28merge_sort_block_sort_configILj256ELj4ELNS0_20block_sort_algorithmE0EEENS0_14default_configENS1_37merge_sort_block_sort_config_selectorIjjEENS1_38merge_sort_block_merge_config_selectorIjjEEEEvv.num_agpr, 0
	.set _ZN7rocprim17ROCPRIM_400000_NS6detail44device_merge_sort_compile_time_verifier_archINS1_11comp_targetILNS1_3genE8ELNS1_11target_archE1030ELNS1_3gpuE2ELNS1_3repE0EEES8_NS1_28merge_sort_block_sort_configILj256ELj4ELNS0_20block_sort_algorithmE0EEENS0_14default_configENS1_37merge_sort_block_sort_config_selectorIjjEENS1_38merge_sort_block_merge_config_selectorIjjEEEEvv.numbered_sgpr, 0
	.set _ZN7rocprim17ROCPRIM_400000_NS6detail44device_merge_sort_compile_time_verifier_archINS1_11comp_targetILNS1_3genE8ELNS1_11target_archE1030ELNS1_3gpuE2ELNS1_3repE0EEES8_NS1_28merge_sort_block_sort_configILj256ELj4ELNS0_20block_sort_algorithmE0EEENS0_14default_configENS1_37merge_sort_block_sort_config_selectorIjjEENS1_38merge_sort_block_merge_config_selectorIjjEEEEvv.num_named_barrier, 0
	.set _ZN7rocprim17ROCPRIM_400000_NS6detail44device_merge_sort_compile_time_verifier_archINS1_11comp_targetILNS1_3genE8ELNS1_11target_archE1030ELNS1_3gpuE2ELNS1_3repE0EEES8_NS1_28merge_sort_block_sort_configILj256ELj4ELNS0_20block_sort_algorithmE0EEENS0_14default_configENS1_37merge_sort_block_sort_config_selectorIjjEENS1_38merge_sort_block_merge_config_selectorIjjEEEEvv.private_seg_size, 0
	.set _ZN7rocprim17ROCPRIM_400000_NS6detail44device_merge_sort_compile_time_verifier_archINS1_11comp_targetILNS1_3genE8ELNS1_11target_archE1030ELNS1_3gpuE2ELNS1_3repE0EEES8_NS1_28merge_sort_block_sort_configILj256ELj4ELNS0_20block_sort_algorithmE0EEENS0_14default_configENS1_37merge_sort_block_sort_config_selectorIjjEENS1_38merge_sort_block_merge_config_selectorIjjEEEEvv.uses_vcc, 0
	.set _ZN7rocprim17ROCPRIM_400000_NS6detail44device_merge_sort_compile_time_verifier_archINS1_11comp_targetILNS1_3genE8ELNS1_11target_archE1030ELNS1_3gpuE2ELNS1_3repE0EEES8_NS1_28merge_sort_block_sort_configILj256ELj4ELNS0_20block_sort_algorithmE0EEENS0_14default_configENS1_37merge_sort_block_sort_config_selectorIjjEENS1_38merge_sort_block_merge_config_selectorIjjEEEEvv.uses_flat_scratch, 0
	.set _ZN7rocprim17ROCPRIM_400000_NS6detail44device_merge_sort_compile_time_verifier_archINS1_11comp_targetILNS1_3genE8ELNS1_11target_archE1030ELNS1_3gpuE2ELNS1_3repE0EEES8_NS1_28merge_sort_block_sort_configILj256ELj4ELNS0_20block_sort_algorithmE0EEENS0_14default_configENS1_37merge_sort_block_sort_config_selectorIjjEENS1_38merge_sort_block_merge_config_selectorIjjEEEEvv.has_dyn_sized_stack, 0
	.set _ZN7rocprim17ROCPRIM_400000_NS6detail44device_merge_sort_compile_time_verifier_archINS1_11comp_targetILNS1_3genE8ELNS1_11target_archE1030ELNS1_3gpuE2ELNS1_3repE0EEES8_NS1_28merge_sort_block_sort_configILj256ELj4ELNS0_20block_sort_algorithmE0EEENS0_14default_configENS1_37merge_sort_block_sort_config_selectorIjjEENS1_38merge_sort_block_merge_config_selectorIjjEEEEvv.has_recursion, 0
	.set _ZN7rocprim17ROCPRIM_400000_NS6detail44device_merge_sort_compile_time_verifier_archINS1_11comp_targetILNS1_3genE8ELNS1_11target_archE1030ELNS1_3gpuE2ELNS1_3repE0EEES8_NS1_28merge_sort_block_sort_configILj256ELj4ELNS0_20block_sort_algorithmE0EEENS0_14default_configENS1_37merge_sort_block_sort_config_selectorIjjEENS1_38merge_sort_block_merge_config_selectorIjjEEEEvv.has_indirect_call, 0
	.section	.AMDGPU.csdata,"",@progbits
; Kernel info:
; codeLenInByte = 4
; TotalNumSgprs: 6
; NumVgprs: 0
; NumAgprs: 0
; TotalNumVgprs: 0
; ScratchSize: 0
; MemoryBound: 0
; FloatMode: 240
; IeeeMode: 1
; LDSByteSize: 0 bytes/workgroup (compile time only)
; SGPRBlocks: 0
; VGPRBlocks: 0
; NumSGPRsForWavesPerEU: 6
; NumVGPRsForWavesPerEU: 1
; AccumOffset: 4
; Occupancy: 8
; WaveLimiterHint : 0
; COMPUTE_PGM_RSRC2:SCRATCH_EN: 0
; COMPUTE_PGM_RSRC2:USER_SGPR: 0
; COMPUTE_PGM_RSRC2:TRAP_HANDLER: 0
; COMPUTE_PGM_RSRC2:TGID_X_EN: 1
; COMPUTE_PGM_RSRC2:TGID_Y_EN: 0
; COMPUTE_PGM_RSRC2:TGID_Z_EN: 0
; COMPUTE_PGM_RSRC2:TIDIG_COMP_CNT: 0
; COMPUTE_PGM_RSRC3_GFX90A:ACCUM_OFFSET: 0
; COMPUTE_PGM_RSRC3_GFX90A:TG_SPLIT: 0
	.section	.text._ZN7rocprim17ROCPRIM_400000_NS6detail17trampoline_kernelINS0_14default_configENS1_38merge_sort_block_merge_config_selectorIjjEEZZNS1_27merge_sort_block_merge_implIS3_N6thrust23THRUST_200600_302600_NS6detail15normal_iteratorINS8_10device_ptrIjEEEESD_jNS1_19radix_merge_compareILb0ELb0EjNS0_19identity_decomposerEEEEE10hipError_tT0_T1_T2_jT3_P12ihipStream_tbPNSt15iterator_traitsISI_E10value_typeEPNSO_ISJ_E10value_typeEPSK_NS1_7vsmem_tEENKUlT_SI_SJ_SK_E_clIPjSD_S10_SD_EESH_SX_SI_SJ_SK_EUlSX_E_NS1_11comp_targetILNS1_3genE0ELNS1_11target_archE4294967295ELNS1_3gpuE0ELNS1_3repE0EEENS1_48merge_mergepath_partition_config_static_selectorELNS0_4arch9wavefront6targetE1EEEvSJ_,"axG",@progbits,_ZN7rocprim17ROCPRIM_400000_NS6detail17trampoline_kernelINS0_14default_configENS1_38merge_sort_block_merge_config_selectorIjjEEZZNS1_27merge_sort_block_merge_implIS3_N6thrust23THRUST_200600_302600_NS6detail15normal_iteratorINS8_10device_ptrIjEEEESD_jNS1_19radix_merge_compareILb0ELb0EjNS0_19identity_decomposerEEEEE10hipError_tT0_T1_T2_jT3_P12ihipStream_tbPNSt15iterator_traitsISI_E10value_typeEPNSO_ISJ_E10value_typeEPSK_NS1_7vsmem_tEENKUlT_SI_SJ_SK_E_clIPjSD_S10_SD_EESH_SX_SI_SJ_SK_EUlSX_E_NS1_11comp_targetILNS1_3genE0ELNS1_11target_archE4294967295ELNS1_3gpuE0ELNS1_3repE0EEENS1_48merge_mergepath_partition_config_static_selectorELNS0_4arch9wavefront6targetE1EEEvSJ_,comdat
	.protected	_ZN7rocprim17ROCPRIM_400000_NS6detail17trampoline_kernelINS0_14default_configENS1_38merge_sort_block_merge_config_selectorIjjEEZZNS1_27merge_sort_block_merge_implIS3_N6thrust23THRUST_200600_302600_NS6detail15normal_iteratorINS8_10device_ptrIjEEEESD_jNS1_19radix_merge_compareILb0ELb0EjNS0_19identity_decomposerEEEEE10hipError_tT0_T1_T2_jT3_P12ihipStream_tbPNSt15iterator_traitsISI_E10value_typeEPNSO_ISJ_E10value_typeEPSK_NS1_7vsmem_tEENKUlT_SI_SJ_SK_E_clIPjSD_S10_SD_EESH_SX_SI_SJ_SK_EUlSX_E_NS1_11comp_targetILNS1_3genE0ELNS1_11target_archE4294967295ELNS1_3gpuE0ELNS1_3repE0EEENS1_48merge_mergepath_partition_config_static_selectorELNS0_4arch9wavefront6targetE1EEEvSJ_ ; -- Begin function _ZN7rocprim17ROCPRIM_400000_NS6detail17trampoline_kernelINS0_14default_configENS1_38merge_sort_block_merge_config_selectorIjjEEZZNS1_27merge_sort_block_merge_implIS3_N6thrust23THRUST_200600_302600_NS6detail15normal_iteratorINS8_10device_ptrIjEEEESD_jNS1_19radix_merge_compareILb0ELb0EjNS0_19identity_decomposerEEEEE10hipError_tT0_T1_T2_jT3_P12ihipStream_tbPNSt15iterator_traitsISI_E10value_typeEPNSO_ISJ_E10value_typeEPSK_NS1_7vsmem_tEENKUlT_SI_SJ_SK_E_clIPjSD_S10_SD_EESH_SX_SI_SJ_SK_EUlSX_E_NS1_11comp_targetILNS1_3genE0ELNS1_11target_archE4294967295ELNS1_3gpuE0ELNS1_3repE0EEENS1_48merge_mergepath_partition_config_static_selectorELNS0_4arch9wavefront6targetE1EEEvSJ_
	.globl	_ZN7rocprim17ROCPRIM_400000_NS6detail17trampoline_kernelINS0_14default_configENS1_38merge_sort_block_merge_config_selectorIjjEEZZNS1_27merge_sort_block_merge_implIS3_N6thrust23THRUST_200600_302600_NS6detail15normal_iteratorINS8_10device_ptrIjEEEESD_jNS1_19radix_merge_compareILb0ELb0EjNS0_19identity_decomposerEEEEE10hipError_tT0_T1_T2_jT3_P12ihipStream_tbPNSt15iterator_traitsISI_E10value_typeEPNSO_ISJ_E10value_typeEPSK_NS1_7vsmem_tEENKUlT_SI_SJ_SK_E_clIPjSD_S10_SD_EESH_SX_SI_SJ_SK_EUlSX_E_NS1_11comp_targetILNS1_3genE0ELNS1_11target_archE4294967295ELNS1_3gpuE0ELNS1_3repE0EEENS1_48merge_mergepath_partition_config_static_selectorELNS0_4arch9wavefront6targetE1EEEvSJ_
	.p2align	8
	.type	_ZN7rocprim17ROCPRIM_400000_NS6detail17trampoline_kernelINS0_14default_configENS1_38merge_sort_block_merge_config_selectorIjjEEZZNS1_27merge_sort_block_merge_implIS3_N6thrust23THRUST_200600_302600_NS6detail15normal_iteratorINS8_10device_ptrIjEEEESD_jNS1_19radix_merge_compareILb0ELb0EjNS0_19identity_decomposerEEEEE10hipError_tT0_T1_T2_jT3_P12ihipStream_tbPNSt15iterator_traitsISI_E10value_typeEPNSO_ISJ_E10value_typeEPSK_NS1_7vsmem_tEENKUlT_SI_SJ_SK_E_clIPjSD_S10_SD_EESH_SX_SI_SJ_SK_EUlSX_E_NS1_11comp_targetILNS1_3genE0ELNS1_11target_archE4294967295ELNS1_3gpuE0ELNS1_3repE0EEENS1_48merge_mergepath_partition_config_static_selectorELNS0_4arch9wavefront6targetE1EEEvSJ_,@function
_ZN7rocprim17ROCPRIM_400000_NS6detail17trampoline_kernelINS0_14default_configENS1_38merge_sort_block_merge_config_selectorIjjEEZZNS1_27merge_sort_block_merge_implIS3_N6thrust23THRUST_200600_302600_NS6detail15normal_iteratorINS8_10device_ptrIjEEEESD_jNS1_19radix_merge_compareILb0ELb0EjNS0_19identity_decomposerEEEEE10hipError_tT0_T1_T2_jT3_P12ihipStream_tbPNSt15iterator_traitsISI_E10value_typeEPNSO_ISJ_E10value_typeEPSK_NS1_7vsmem_tEENKUlT_SI_SJ_SK_E_clIPjSD_S10_SD_EESH_SX_SI_SJ_SK_EUlSX_E_NS1_11comp_targetILNS1_3genE0ELNS1_11target_archE4294967295ELNS1_3gpuE0ELNS1_3repE0EEENS1_48merge_mergepath_partition_config_static_selectorELNS0_4arch9wavefront6targetE1EEEvSJ_: ; @_ZN7rocprim17ROCPRIM_400000_NS6detail17trampoline_kernelINS0_14default_configENS1_38merge_sort_block_merge_config_selectorIjjEEZZNS1_27merge_sort_block_merge_implIS3_N6thrust23THRUST_200600_302600_NS6detail15normal_iteratorINS8_10device_ptrIjEEEESD_jNS1_19radix_merge_compareILb0ELb0EjNS0_19identity_decomposerEEEEE10hipError_tT0_T1_T2_jT3_P12ihipStream_tbPNSt15iterator_traitsISI_E10value_typeEPNSO_ISJ_E10value_typeEPSK_NS1_7vsmem_tEENKUlT_SI_SJ_SK_E_clIPjSD_S10_SD_EESH_SX_SI_SJ_SK_EUlSX_E_NS1_11comp_targetILNS1_3genE0ELNS1_11target_archE4294967295ELNS1_3gpuE0ELNS1_3repE0EEENS1_48merge_mergepath_partition_config_static_selectorELNS0_4arch9wavefront6targetE1EEEvSJ_
; %bb.0:
	s_load_dword s3, s[0:1], 0x0
	v_lshl_or_b32 v0, s2, 7, v0
	s_waitcnt lgkmcnt(0)
	v_cmp_gt_u32_e32 vcc, s3, v0
	s_and_saveexec_b64 s[2:3], vcc
	s_cbranch_execz .LBB619_6
; %bb.1:
	s_load_dwordx2 s[4:5], s[0:1], 0x4
	s_load_dwordx2 s[2:3], s[0:1], 0x20
	s_waitcnt lgkmcnt(0)
	s_lshr_b32 s6, s4, 9
	s_and_b32 s6, s6, 0x7ffffe
	s_add_i32 s7, s6, -1
	s_sub_i32 s6, 0, s6
	v_and_b32_e32 v1, s6, v0
	v_lshlrev_b32_e32 v1, 10, v1
	v_min_u32_e32 v2, s5, v1
	v_add_u32_e32 v1, s4, v1
	v_min_u32_e32 v4, s5, v1
	v_add_u32_e32 v1, s4, v4
	v_and_b32_e32 v3, s7, v0
	v_min_u32_e32 v1, s5, v1
	v_sub_u32_e32 v5, v1, v2
	v_lshlrev_b32_e32 v3, 10, v3
	v_min_u32_e32 v10, v5, v3
	v_sub_u32_e32 v3, v4, v2
	v_sub_u32_e32 v1, v1, v4
	v_sub_u32_e64 v1, v10, v1 clamp
	v_min_u32_e32 v11, v10, v3
	v_cmp_lt_u32_e32 vcc, v1, v11
	s_and_saveexec_b64 s[4:5], vcc
	s_cbranch_execz .LBB619_5
; %bb.2:
	s_load_dwordx2 s[0:1], s[0:1], 0x10
	v_mov_b32_e32 v5, 0
	v_mov_b32_e32 v3, v5
	s_waitcnt lgkmcnt(0)
	v_lshl_add_u64 v[6:7], v[2:3], 2, s[0:1]
	v_lshl_add_u64 v[8:9], v[4:5], 2, s[0:1]
	s_mov_b64 s[0:1], 0
.LBB619_3:                              ; =>This Inner Loop Header: Depth=1
	v_add_u32_e32 v3, v11, v1
	v_lshrrev_b32_e32 v4, 1, v3
	v_mov_b32_e32 v13, v5
	v_xad_u32 v12, v4, -1, v10
	v_lshl_add_u64 v[14:15], v[4:5], 2, v[6:7]
	v_lshl_add_u64 v[12:13], v[12:13], 2, v[8:9]
	global_load_dword v3, v[14:15], off
	global_load_dword v16, v[12:13], off
	v_add_u32_e32 v12, 1, v4
	s_waitcnt vmcnt(0)
	v_cmp_gt_u32_e32 vcc, v3, v16
	s_nop 1
	v_cndmask_b32_e32 v11, v11, v4, vcc
	v_cndmask_b32_e32 v1, v12, v1, vcc
	v_cmp_ge_u32_e32 vcc, v1, v11
	s_or_b64 s[0:1], vcc, s[0:1]
	s_andn2_b64 exec, exec, s[0:1]
	s_cbranch_execnz .LBB619_3
; %bb.4:
	s_or_b64 exec, exec, s[0:1]
.LBB619_5:
	s_or_b64 exec, exec, s[4:5]
	v_add_u32_e32 v2, v1, v2
	v_mov_b32_e32 v1, 0
	v_lshl_add_u64 v[0:1], v[0:1], 2, s[2:3]
	global_store_dword v[0:1], v2, off
.LBB619_6:
	s_endpgm
	.section	.rodata,"a",@progbits
	.p2align	6, 0x0
	.amdhsa_kernel _ZN7rocprim17ROCPRIM_400000_NS6detail17trampoline_kernelINS0_14default_configENS1_38merge_sort_block_merge_config_selectorIjjEEZZNS1_27merge_sort_block_merge_implIS3_N6thrust23THRUST_200600_302600_NS6detail15normal_iteratorINS8_10device_ptrIjEEEESD_jNS1_19radix_merge_compareILb0ELb0EjNS0_19identity_decomposerEEEEE10hipError_tT0_T1_T2_jT3_P12ihipStream_tbPNSt15iterator_traitsISI_E10value_typeEPNSO_ISJ_E10value_typeEPSK_NS1_7vsmem_tEENKUlT_SI_SJ_SK_E_clIPjSD_S10_SD_EESH_SX_SI_SJ_SK_EUlSX_E_NS1_11comp_targetILNS1_3genE0ELNS1_11target_archE4294967295ELNS1_3gpuE0ELNS1_3repE0EEENS1_48merge_mergepath_partition_config_static_selectorELNS0_4arch9wavefront6targetE1EEEvSJ_
		.amdhsa_group_segment_fixed_size 0
		.amdhsa_private_segment_fixed_size 0
		.amdhsa_kernarg_size 40
		.amdhsa_user_sgpr_count 2
		.amdhsa_user_sgpr_dispatch_ptr 0
		.amdhsa_user_sgpr_queue_ptr 0
		.amdhsa_user_sgpr_kernarg_segment_ptr 1
		.amdhsa_user_sgpr_dispatch_id 0
		.amdhsa_user_sgpr_kernarg_preload_length 0
		.amdhsa_user_sgpr_kernarg_preload_offset 0
		.amdhsa_user_sgpr_private_segment_size 0
		.amdhsa_uses_dynamic_stack 0
		.amdhsa_enable_private_segment 0
		.amdhsa_system_sgpr_workgroup_id_x 1
		.amdhsa_system_sgpr_workgroup_id_y 0
		.amdhsa_system_sgpr_workgroup_id_z 0
		.amdhsa_system_sgpr_workgroup_info 0
		.amdhsa_system_vgpr_workitem_id 0
		.amdhsa_next_free_vgpr 17
		.amdhsa_next_free_sgpr 8
		.amdhsa_accum_offset 20
		.amdhsa_reserve_vcc 1
		.amdhsa_float_round_mode_32 0
		.amdhsa_float_round_mode_16_64 0
		.amdhsa_float_denorm_mode_32 3
		.amdhsa_float_denorm_mode_16_64 3
		.amdhsa_dx10_clamp 1
		.amdhsa_ieee_mode 1
		.amdhsa_fp16_overflow 0
		.amdhsa_tg_split 0
		.amdhsa_exception_fp_ieee_invalid_op 0
		.amdhsa_exception_fp_denorm_src 0
		.amdhsa_exception_fp_ieee_div_zero 0
		.amdhsa_exception_fp_ieee_overflow 0
		.amdhsa_exception_fp_ieee_underflow 0
		.amdhsa_exception_fp_ieee_inexact 0
		.amdhsa_exception_int_div_zero 0
	.end_amdhsa_kernel
	.section	.text._ZN7rocprim17ROCPRIM_400000_NS6detail17trampoline_kernelINS0_14default_configENS1_38merge_sort_block_merge_config_selectorIjjEEZZNS1_27merge_sort_block_merge_implIS3_N6thrust23THRUST_200600_302600_NS6detail15normal_iteratorINS8_10device_ptrIjEEEESD_jNS1_19radix_merge_compareILb0ELb0EjNS0_19identity_decomposerEEEEE10hipError_tT0_T1_T2_jT3_P12ihipStream_tbPNSt15iterator_traitsISI_E10value_typeEPNSO_ISJ_E10value_typeEPSK_NS1_7vsmem_tEENKUlT_SI_SJ_SK_E_clIPjSD_S10_SD_EESH_SX_SI_SJ_SK_EUlSX_E_NS1_11comp_targetILNS1_3genE0ELNS1_11target_archE4294967295ELNS1_3gpuE0ELNS1_3repE0EEENS1_48merge_mergepath_partition_config_static_selectorELNS0_4arch9wavefront6targetE1EEEvSJ_,"axG",@progbits,_ZN7rocprim17ROCPRIM_400000_NS6detail17trampoline_kernelINS0_14default_configENS1_38merge_sort_block_merge_config_selectorIjjEEZZNS1_27merge_sort_block_merge_implIS3_N6thrust23THRUST_200600_302600_NS6detail15normal_iteratorINS8_10device_ptrIjEEEESD_jNS1_19radix_merge_compareILb0ELb0EjNS0_19identity_decomposerEEEEE10hipError_tT0_T1_T2_jT3_P12ihipStream_tbPNSt15iterator_traitsISI_E10value_typeEPNSO_ISJ_E10value_typeEPSK_NS1_7vsmem_tEENKUlT_SI_SJ_SK_E_clIPjSD_S10_SD_EESH_SX_SI_SJ_SK_EUlSX_E_NS1_11comp_targetILNS1_3genE0ELNS1_11target_archE4294967295ELNS1_3gpuE0ELNS1_3repE0EEENS1_48merge_mergepath_partition_config_static_selectorELNS0_4arch9wavefront6targetE1EEEvSJ_,comdat
.Lfunc_end619:
	.size	_ZN7rocprim17ROCPRIM_400000_NS6detail17trampoline_kernelINS0_14default_configENS1_38merge_sort_block_merge_config_selectorIjjEEZZNS1_27merge_sort_block_merge_implIS3_N6thrust23THRUST_200600_302600_NS6detail15normal_iteratorINS8_10device_ptrIjEEEESD_jNS1_19radix_merge_compareILb0ELb0EjNS0_19identity_decomposerEEEEE10hipError_tT0_T1_T2_jT3_P12ihipStream_tbPNSt15iterator_traitsISI_E10value_typeEPNSO_ISJ_E10value_typeEPSK_NS1_7vsmem_tEENKUlT_SI_SJ_SK_E_clIPjSD_S10_SD_EESH_SX_SI_SJ_SK_EUlSX_E_NS1_11comp_targetILNS1_3genE0ELNS1_11target_archE4294967295ELNS1_3gpuE0ELNS1_3repE0EEENS1_48merge_mergepath_partition_config_static_selectorELNS0_4arch9wavefront6targetE1EEEvSJ_, .Lfunc_end619-_ZN7rocprim17ROCPRIM_400000_NS6detail17trampoline_kernelINS0_14default_configENS1_38merge_sort_block_merge_config_selectorIjjEEZZNS1_27merge_sort_block_merge_implIS3_N6thrust23THRUST_200600_302600_NS6detail15normal_iteratorINS8_10device_ptrIjEEEESD_jNS1_19radix_merge_compareILb0ELb0EjNS0_19identity_decomposerEEEEE10hipError_tT0_T1_T2_jT3_P12ihipStream_tbPNSt15iterator_traitsISI_E10value_typeEPNSO_ISJ_E10value_typeEPSK_NS1_7vsmem_tEENKUlT_SI_SJ_SK_E_clIPjSD_S10_SD_EESH_SX_SI_SJ_SK_EUlSX_E_NS1_11comp_targetILNS1_3genE0ELNS1_11target_archE4294967295ELNS1_3gpuE0ELNS1_3repE0EEENS1_48merge_mergepath_partition_config_static_selectorELNS0_4arch9wavefront6targetE1EEEvSJ_
                                        ; -- End function
	.set _ZN7rocprim17ROCPRIM_400000_NS6detail17trampoline_kernelINS0_14default_configENS1_38merge_sort_block_merge_config_selectorIjjEEZZNS1_27merge_sort_block_merge_implIS3_N6thrust23THRUST_200600_302600_NS6detail15normal_iteratorINS8_10device_ptrIjEEEESD_jNS1_19radix_merge_compareILb0ELb0EjNS0_19identity_decomposerEEEEE10hipError_tT0_T1_T2_jT3_P12ihipStream_tbPNSt15iterator_traitsISI_E10value_typeEPNSO_ISJ_E10value_typeEPSK_NS1_7vsmem_tEENKUlT_SI_SJ_SK_E_clIPjSD_S10_SD_EESH_SX_SI_SJ_SK_EUlSX_E_NS1_11comp_targetILNS1_3genE0ELNS1_11target_archE4294967295ELNS1_3gpuE0ELNS1_3repE0EEENS1_48merge_mergepath_partition_config_static_selectorELNS0_4arch9wavefront6targetE1EEEvSJ_.num_vgpr, 17
	.set _ZN7rocprim17ROCPRIM_400000_NS6detail17trampoline_kernelINS0_14default_configENS1_38merge_sort_block_merge_config_selectorIjjEEZZNS1_27merge_sort_block_merge_implIS3_N6thrust23THRUST_200600_302600_NS6detail15normal_iteratorINS8_10device_ptrIjEEEESD_jNS1_19radix_merge_compareILb0ELb0EjNS0_19identity_decomposerEEEEE10hipError_tT0_T1_T2_jT3_P12ihipStream_tbPNSt15iterator_traitsISI_E10value_typeEPNSO_ISJ_E10value_typeEPSK_NS1_7vsmem_tEENKUlT_SI_SJ_SK_E_clIPjSD_S10_SD_EESH_SX_SI_SJ_SK_EUlSX_E_NS1_11comp_targetILNS1_3genE0ELNS1_11target_archE4294967295ELNS1_3gpuE0ELNS1_3repE0EEENS1_48merge_mergepath_partition_config_static_selectorELNS0_4arch9wavefront6targetE1EEEvSJ_.num_agpr, 0
	.set _ZN7rocprim17ROCPRIM_400000_NS6detail17trampoline_kernelINS0_14default_configENS1_38merge_sort_block_merge_config_selectorIjjEEZZNS1_27merge_sort_block_merge_implIS3_N6thrust23THRUST_200600_302600_NS6detail15normal_iteratorINS8_10device_ptrIjEEEESD_jNS1_19radix_merge_compareILb0ELb0EjNS0_19identity_decomposerEEEEE10hipError_tT0_T1_T2_jT3_P12ihipStream_tbPNSt15iterator_traitsISI_E10value_typeEPNSO_ISJ_E10value_typeEPSK_NS1_7vsmem_tEENKUlT_SI_SJ_SK_E_clIPjSD_S10_SD_EESH_SX_SI_SJ_SK_EUlSX_E_NS1_11comp_targetILNS1_3genE0ELNS1_11target_archE4294967295ELNS1_3gpuE0ELNS1_3repE0EEENS1_48merge_mergepath_partition_config_static_selectorELNS0_4arch9wavefront6targetE1EEEvSJ_.numbered_sgpr, 8
	.set _ZN7rocprim17ROCPRIM_400000_NS6detail17trampoline_kernelINS0_14default_configENS1_38merge_sort_block_merge_config_selectorIjjEEZZNS1_27merge_sort_block_merge_implIS3_N6thrust23THRUST_200600_302600_NS6detail15normal_iteratorINS8_10device_ptrIjEEEESD_jNS1_19radix_merge_compareILb0ELb0EjNS0_19identity_decomposerEEEEE10hipError_tT0_T1_T2_jT3_P12ihipStream_tbPNSt15iterator_traitsISI_E10value_typeEPNSO_ISJ_E10value_typeEPSK_NS1_7vsmem_tEENKUlT_SI_SJ_SK_E_clIPjSD_S10_SD_EESH_SX_SI_SJ_SK_EUlSX_E_NS1_11comp_targetILNS1_3genE0ELNS1_11target_archE4294967295ELNS1_3gpuE0ELNS1_3repE0EEENS1_48merge_mergepath_partition_config_static_selectorELNS0_4arch9wavefront6targetE1EEEvSJ_.num_named_barrier, 0
	.set _ZN7rocprim17ROCPRIM_400000_NS6detail17trampoline_kernelINS0_14default_configENS1_38merge_sort_block_merge_config_selectorIjjEEZZNS1_27merge_sort_block_merge_implIS3_N6thrust23THRUST_200600_302600_NS6detail15normal_iteratorINS8_10device_ptrIjEEEESD_jNS1_19radix_merge_compareILb0ELb0EjNS0_19identity_decomposerEEEEE10hipError_tT0_T1_T2_jT3_P12ihipStream_tbPNSt15iterator_traitsISI_E10value_typeEPNSO_ISJ_E10value_typeEPSK_NS1_7vsmem_tEENKUlT_SI_SJ_SK_E_clIPjSD_S10_SD_EESH_SX_SI_SJ_SK_EUlSX_E_NS1_11comp_targetILNS1_3genE0ELNS1_11target_archE4294967295ELNS1_3gpuE0ELNS1_3repE0EEENS1_48merge_mergepath_partition_config_static_selectorELNS0_4arch9wavefront6targetE1EEEvSJ_.private_seg_size, 0
	.set _ZN7rocprim17ROCPRIM_400000_NS6detail17trampoline_kernelINS0_14default_configENS1_38merge_sort_block_merge_config_selectorIjjEEZZNS1_27merge_sort_block_merge_implIS3_N6thrust23THRUST_200600_302600_NS6detail15normal_iteratorINS8_10device_ptrIjEEEESD_jNS1_19radix_merge_compareILb0ELb0EjNS0_19identity_decomposerEEEEE10hipError_tT0_T1_T2_jT3_P12ihipStream_tbPNSt15iterator_traitsISI_E10value_typeEPNSO_ISJ_E10value_typeEPSK_NS1_7vsmem_tEENKUlT_SI_SJ_SK_E_clIPjSD_S10_SD_EESH_SX_SI_SJ_SK_EUlSX_E_NS1_11comp_targetILNS1_3genE0ELNS1_11target_archE4294967295ELNS1_3gpuE0ELNS1_3repE0EEENS1_48merge_mergepath_partition_config_static_selectorELNS0_4arch9wavefront6targetE1EEEvSJ_.uses_vcc, 1
	.set _ZN7rocprim17ROCPRIM_400000_NS6detail17trampoline_kernelINS0_14default_configENS1_38merge_sort_block_merge_config_selectorIjjEEZZNS1_27merge_sort_block_merge_implIS3_N6thrust23THRUST_200600_302600_NS6detail15normal_iteratorINS8_10device_ptrIjEEEESD_jNS1_19radix_merge_compareILb0ELb0EjNS0_19identity_decomposerEEEEE10hipError_tT0_T1_T2_jT3_P12ihipStream_tbPNSt15iterator_traitsISI_E10value_typeEPNSO_ISJ_E10value_typeEPSK_NS1_7vsmem_tEENKUlT_SI_SJ_SK_E_clIPjSD_S10_SD_EESH_SX_SI_SJ_SK_EUlSX_E_NS1_11comp_targetILNS1_3genE0ELNS1_11target_archE4294967295ELNS1_3gpuE0ELNS1_3repE0EEENS1_48merge_mergepath_partition_config_static_selectorELNS0_4arch9wavefront6targetE1EEEvSJ_.uses_flat_scratch, 0
	.set _ZN7rocprim17ROCPRIM_400000_NS6detail17trampoline_kernelINS0_14default_configENS1_38merge_sort_block_merge_config_selectorIjjEEZZNS1_27merge_sort_block_merge_implIS3_N6thrust23THRUST_200600_302600_NS6detail15normal_iteratorINS8_10device_ptrIjEEEESD_jNS1_19radix_merge_compareILb0ELb0EjNS0_19identity_decomposerEEEEE10hipError_tT0_T1_T2_jT3_P12ihipStream_tbPNSt15iterator_traitsISI_E10value_typeEPNSO_ISJ_E10value_typeEPSK_NS1_7vsmem_tEENKUlT_SI_SJ_SK_E_clIPjSD_S10_SD_EESH_SX_SI_SJ_SK_EUlSX_E_NS1_11comp_targetILNS1_3genE0ELNS1_11target_archE4294967295ELNS1_3gpuE0ELNS1_3repE0EEENS1_48merge_mergepath_partition_config_static_selectorELNS0_4arch9wavefront6targetE1EEEvSJ_.has_dyn_sized_stack, 0
	.set _ZN7rocprim17ROCPRIM_400000_NS6detail17trampoline_kernelINS0_14default_configENS1_38merge_sort_block_merge_config_selectorIjjEEZZNS1_27merge_sort_block_merge_implIS3_N6thrust23THRUST_200600_302600_NS6detail15normal_iteratorINS8_10device_ptrIjEEEESD_jNS1_19radix_merge_compareILb0ELb0EjNS0_19identity_decomposerEEEEE10hipError_tT0_T1_T2_jT3_P12ihipStream_tbPNSt15iterator_traitsISI_E10value_typeEPNSO_ISJ_E10value_typeEPSK_NS1_7vsmem_tEENKUlT_SI_SJ_SK_E_clIPjSD_S10_SD_EESH_SX_SI_SJ_SK_EUlSX_E_NS1_11comp_targetILNS1_3genE0ELNS1_11target_archE4294967295ELNS1_3gpuE0ELNS1_3repE0EEENS1_48merge_mergepath_partition_config_static_selectorELNS0_4arch9wavefront6targetE1EEEvSJ_.has_recursion, 0
	.set _ZN7rocprim17ROCPRIM_400000_NS6detail17trampoline_kernelINS0_14default_configENS1_38merge_sort_block_merge_config_selectorIjjEEZZNS1_27merge_sort_block_merge_implIS3_N6thrust23THRUST_200600_302600_NS6detail15normal_iteratorINS8_10device_ptrIjEEEESD_jNS1_19radix_merge_compareILb0ELb0EjNS0_19identity_decomposerEEEEE10hipError_tT0_T1_T2_jT3_P12ihipStream_tbPNSt15iterator_traitsISI_E10value_typeEPNSO_ISJ_E10value_typeEPSK_NS1_7vsmem_tEENKUlT_SI_SJ_SK_E_clIPjSD_S10_SD_EESH_SX_SI_SJ_SK_EUlSX_E_NS1_11comp_targetILNS1_3genE0ELNS1_11target_archE4294967295ELNS1_3gpuE0ELNS1_3repE0EEENS1_48merge_mergepath_partition_config_static_selectorELNS0_4arch9wavefront6targetE1EEEvSJ_.has_indirect_call, 0
	.section	.AMDGPU.csdata,"",@progbits
; Kernel info:
; codeLenInByte = 316
; TotalNumSgprs: 14
; NumVgprs: 17
; NumAgprs: 0
; TotalNumVgprs: 17
; ScratchSize: 0
; MemoryBound: 0
; FloatMode: 240
; IeeeMode: 1
; LDSByteSize: 0 bytes/workgroup (compile time only)
; SGPRBlocks: 1
; VGPRBlocks: 2
; NumSGPRsForWavesPerEU: 14
; NumVGPRsForWavesPerEU: 17
; AccumOffset: 20
; Occupancy: 8
; WaveLimiterHint : 0
; COMPUTE_PGM_RSRC2:SCRATCH_EN: 0
; COMPUTE_PGM_RSRC2:USER_SGPR: 2
; COMPUTE_PGM_RSRC2:TRAP_HANDLER: 0
; COMPUTE_PGM_RSRC2:TGID_X_EN: 1
; COMPUTE_PGM_RSRC2:TGID_Y_EN: 0
; COMPUTE_PGM_RSRC2:TGID_Z_EN: 0
; COMPUTE_PGM_RSRC2:TIDIG_COMP_CNT: 0
; COMPUTE_PGM_RSRC3_GFX90A:ACCUM_OFFSET: 4
; COMPUTE_PGM_RSRC3_GFX90A:TG_SPLIT: 0
	.section	.text._ZN7rocprim17ROCPRIM_400000_NS6detail17trampoline_kernelINS0_14default_configENS1_38merge_sort_block_merge_config_selectorIjjEEZZNS1_27merge_sort_block_merge_implIS3_N6thrust23THRUST_200600_302600_NS6detail15normal_iteratorINS8_10device_ptrIjEEEESD_jNS1_19radix_merge_compareILb0ELb0EjNS0_19identity_decomposerEEEEE10hipError_tT0_T1_T2_jT3_P12ihipStream_tbPNSt15iterator_traitsISI_E10value_typeEPNSO_ISJ_E10value_typeEPSK_NS1_7vsmem_tEENKUlT_SI_SJ_SK_E_clIPjSD_S10_SD_EESH_SX_SI_SJ_SK_EUlSX_E_NS1_11comp_targetILNS1_3genE10ELNS1_11target_archE1201ELNS1_3gpuE5ELNS1_3repE0EEENS1_48merge_mergepath_partition_config_static_selectorELNS0_4arch9wavefront6targetE1EEEvSJ_,"axG",@progbits,_ZN7rocprim17ROCPRIM_400000_NS6detail17trampoline_kernelINS0_14default_configENS1_38merge_sort_block_merge_config_selectorIjjEEZZNS1_27merge_sort_block_merge_implIS3_N6thrust23THRUST_200600_302600_NS6detail15normal_iteratorINS8_10device_ptrIjEEEESD_jNS1_19radix_merge_compareILb0ELb0EjNS0_19identity_decomposerEEEEE10hipError_tT0_T1_T2_jT3_P12ihipStream_tbPNSt15iterator_traitsISI_E10value_typeEPNSO_ISJ_E10value_typeEPSK_NS1_7vsmem_tEENKUlT_SI_SJ_SK_E_clIPjSD_S10_SD_EESH_SX_SI_SJ_SK_EUlSX_E_NS1_11comp_targetILNS1_3genE10ELNS1_11target_archE1201ELNS1_3gpuE5ELNS1_3repE0EEENS1_48merge_mergepath_partition_config_static_selectorELNS0_4arch9wavefront6targetE1EEEvSJ_,comdat
	.protected	_ZN7rocprim17ROCPRIM_400000_NS6detail17trampoline_kernelINS0_14default_configENS1_38merge_sort_block_merge_config_selectorIjjEEZZNS1_27merge_sort_block_merge_implIS3_N6thrust23THRUST_200600_302600_NS6detail15normal_iteratorINS8_10device_ptrIjEEEESD_jNS1_19radix_merge_compareILb0ELb0EjNS0_19identity_decomposerEEEEE10hipError_tT0_T1_T2_jT3_P12ihipStream_tbPNSt15iterator_traitsISI_E10value_typeEPNSO_ISJ_E10value_typeEPSK_NS1_7vsmem_tEENKUlT_SI_SJ_SK_E_clIPjSD_S10_SD_EESH_SX_SI_SJ_SK_EUlSX_E_NS1_11comp_targetILNS1_3genE10ELNS1_11target_archE1201ELNS1_3gpuE5ELNS1_3repE0EEENS1_48merge_mergepath_partition_config_static_selectorELNS0_4arch9wavefront6targetE1EEEvSJ_ ; -- Begin function _ZN7rocprim17ROCPRIM_400000_NS6detail17trampoline_kernelINS0_14default_configENS1_38merge_sort_block_merge_config_selectorIjjEEZZNS1_27merge_sort_block_merge_implIS3_N6thrust23THRUST_200600_302600_NS6detail15normal_iteratorINS8_10device_ptrIjEEEESD_jNS1_19radix_merge_compareILb0ELb0EjNS0_19identity_decomposerEEEEE10hipError_tT0_T1_T2_jT3_P12ihipStream_tbPNSt15iterator_traitsISI_E10value_typeEPNSO_ISJ_E10value_typeEPSK_NS1_7vsmem_tEENKUlT_SI_SJ_SK_E_clIPjSD_S10_SD_EESH_SX_SI_SJ_SK_EUlSX_E_NS1_11comp_targetILNS1_3genE10ELNS1_11target_archE1201ELNS1_3gpuE5ELNS1_3repE0EEENS1_48merge_mergepath_partition_config_static_selectorELNS0_4arch9wavefront6targetE1EEEvSJ_
	.globl	_ZN7rocprim17ROCPRIM_400000_NS6detail17trampoline_kernelINS0_14default_configENS1_38merge_sort_block_merge_config_selectorIjjEEZZNS1_27merge_sort_block_merge_implIS3_N6thrust23THRUST_200600_302600_NS6detail15normal_iteratorINS8_10device_ptrIjEEEESD_jNS1_19radix_merge_compareILb0ELb0EjNS0_19identity_decomposerEEEEE10hipError_tT0_T1_T2_jT3_P12ihipStream_tbPNSt15iterator_traitsISI_E10value_typeEPNSO_ISJ_E10value_typeEPSK_NS1_7vsmem_tEENKUlT_SI_SJ_SK_E_clIPjSD_S10_SD_EESH_SX_SI_SJ_SK_EUlSX_E_NS1_11comp_targetILNS1_3genE10ELNS1_11target_archE1201ELNS1_3gpuE5ELNS1_3repE0EEENS1_48merge_mergepath_partition_config_static_selectorELNS0_4arch9wavefront6targetE1EEEvSJ_
	.p2align	8
	.type	_ZN7rocprim17ROCPRIM_400000_NS6detail17trampoline_kernelINS0_14default_configENS1_38merge_sort_block_merge_config_selectorIjjEEZZNS1_27merge_sort_block_merge_implIS3_N6thrust23THRUST_200600_302600_NS6detail15normal_iteratorINS8_10device_ptrIjEEEESD_jNS1_19radix_merge_compareILb0ELb0EjNS0_19identity_decomposerEEEEE10hipError_tT0_T1_T2_jT3_P12ihipStream_tbPNSt15iterator_traitsISI_E10value_typeEPNSO_ISJ_E10value_typeEPSK_NS1_7vsmem_tEENKUlT_SI_SJ_SK_E_clIPjSD_S10_SD_EESH_SX_SI_SJ_SK_EUlSX_E_NS1_11comp_targetILNS1_3genE10ELNS1_11target_archE1201ELNS1_3gpuE5ELNS1_3repE0EEENS1_48merge_mergepath_partition_config_static_selectorELNS0_4arch9wavefront6targetE1EEEvSJ_,@function
_ZN7rocprim17ROCPRIM_400000_NS6detail17trampoline_kernelINS0_14default_configENS1_38merge_sort_block_merge_config_selectorIjjEEZZNS1_27merge_sort_block_merge_implIS3_N6thrust23THRUST_200600_302600_NS6detail15normal_iteratorINS8_10device_ptrIjEEEESD_jNS1_19radix_merge_compareILb0ELb0EjNS0_19identity_decomposerEEEEE10hipError_tT0_T1_T2_jT3_P12ihipStream_tbPNSt15iterator_traitsISI_E10value_typeEPNSO_ISJ_E10value_typeEPSK_NS1_7vsmem_tEENKUlT_SI_SJ_SK_E_clIPjSD_S10_SD_EESH_SX_SI_SJ_SK_EUlSX_E_NS1_11comp_targetILNS1_3genE10ELNS1_11target_archE1201ELNS1_3gpuE5ELNS1_3repE0EEENS1_48merge_mergepath_partition_config_static_selectorELNS0_4arch9wavefront6targetE1EEEvSJ_: ; @_ZN7rocprim17ROCPRIM_400000_NS6detail17trampoline_kernelINS0_14default_configENS1_38merge_sort_block_merge_config_selectorIjjEEZZNS1_27merge_sort_block_merge_implIS3_N6thrust23THRUST_200600_302600_NS6detail15normal_iteratorINS8_10device_ptrIjEEEESD_jNS1_19radix_merge_compareILb0ELb0EjNS0_19identity_decomposerEEEEE10hipError_tT0_T1_T2_jT3_P12ihipStream_tbPNSt15iterator_traitsISI_E10value_typeEPNSO_ISJ_E10value_typeEPSK_NS1_7vsmem_tEENKUlT_SI_SJ_SK_E_clIPjSD_S10_SD_EESH_SX_SI_SJ_SK_EUlSX_E_NS1_11comp_targetILNS1_3genE10ELNS1_11target_archE1201ELNS1_3gpuE5ELNS1_3repE0EEENS1_48merge_mergepath_partition_config_static_selectorELNS0_4arch9wavefront6targetE1EEEvSJ_
; %bb.0:
	.section	.rodata,"a",@progbits
	.p2align	6, 0x0
	.amdhsa_kernel _ZN7rocprim17ROCPRIM_400000_NS6detail17trampoline_kernelINS0_14default_configENS1_38merge_sort_block_merge_config_selectorIjjEEZZNS1_27merge_sort_block_merge_implIS3_N6thrust23THRUST_200600_302600_NS6detail15normal_iteratorINS8_10device_ptrIjEEEESD_jNS1_19radix_merge_compareILb0ELb0EjNS0_19identity_decomposerEEEEE10hipError_tT0_T1_T2_jT3_P12ihipStream_tbPNSt15iterator_traitsISI_E10value_typeEPNSO_ISJ_E10value_typeEPSK_NS1_7vsmem_tEENKUlT_SI_SJ_SK_E_clIPjSD_S10_SD_EESH_SX_SI_SJ_SK_EUlSX_E_NS1_11comp_targetILNS1_3genE10ELNS1_11target_archE1201ELNS1_3gpuE5ELNS1_3repE0EEENS1_48merge_mergepath_partition_config_static_selectorELNS0_4arch9wavefront6targetE1EEEvSJ_
		.amdhsa_group_segment_fixed_size 0
		.amdhsa_private_segment_fixed_size 0
		.amdhsa_kernarg_size 40
		.amdhsa_user_sgpr_count 2
		.amdhsa_user_sgpr_dispatch_ptr 0
		.amdhsa_user_sgpr_queue_ptr 0
		.amdhsa_user_sgpr_kernarg_segment_ptr 1
		.amdhsa_user_sgpr_dispatch_id 0
		.amdhsa_user_sgpr_kernarg_preload_length 0
		.amdhsa_user_sgpr_kernarg_preload_offset 0
		.amdhsa_user_sgpr_private_segment_size 0
		.amdhsa_uses_dynamic_stack 0
		.amdhsa_enable_private_segment 0
		.amdhsa_system_sgpr_workgroup_id_x 1
		.amdhsa_system_sgpr_workgroup_id_y 0
		.amdhsa_system_sgpr_workgroup_id_z 0
		.amdhsa_system_sgpr_workgroup_info 0
		.amdhsa_system_vgpr_workitem_id 0
		.amdhsa_next_free_vgpr 1
		.amdhsa_next_free_sgpr 0
		.amdhsa_accum_offset 4
		.amdhsa_reserve_vcc 0
		.amdhsa_float_round_mode_32 0
		.amdhsa_float_round_mode_16_64 0
		.amdhsa_float_denorm_mode_32 3
		.amdhsa_float_denorm_mode_16_64 3
		.amdhsa_dx10_clamp 1
		.amdhsa_ieee_mode 1
		.amdhsa_fp16_overflow 0
		.amdhsa_tg_split 0
		.amdhsa_exception_fp_ieee_invalid_op 0
		.amdhsa_exception_fp_denorm_src 0
		.amdhsa_exception_fp_ieee_div_zero 0
		.amdhsa_exception_fp_ieee_overflow 0
		.amdhsa_exception_fp_ieee_underflow 0
		.amdhsa_exception_fp_ieee_inexact 0
		.amdhsa_exception_int_div_zero 0
	.end_amdhsa_kernel
	.section	.text._ZN7rocprim17ROCPRIM_400000_NS6detail17trampoline_kernelINS0_14default_configENS1_38merge_sort_block_merge_config_selectorIjjEEZZNS1_27merge_sort_block_merge_implIS3_N6thrust23THRUST_200600_302600_NS6detail15normal_iteratorINS8_10device_ptrIjEEEESD_jNS1_19radix_merge_compareILb0ELb0EjNS0_19identity_decomposerEEEEE10hipError_tT0_T1_T2_jT3_P12ihipStream_tbPNSt15iterator_traitsISI_E10value_typeEPNSO_ISJ_E10value_typeEPSK_NS1_7vsmem_tEENKUlT_SI_SJ_SK_E_clIPjSD_S10_SD_EESH_SX_SI_SJ_SK_EUlSX_E_NS1_11comp_targetILNS1_3genE10ELNS1_11target_archE1201ELNS1_3gpuE5ELNS1_3repE0EEENS1_48merge_mergepath_partition_config_static_selectorELNS0_4arch9wavefront6targetE1EEEvSJ_,"axG",@progbits,_ZN7rocprim17ROCPRIM_400000_NS6detail17trampoline_kernelINS0_14default_configENS1_38merge_sort_block_merge_config_selectorIjjEEZZNS1_27merge_sort_block_merge_implIS3_N6thrust23THRUST_200600_302600_NS6detail15normal_iteratorINS8_10device_ptrIjEEEESD_jNS1_19radix_merge_compareILb0ELb0EjNS0_19identity_decomposerEEEEE10hipError_tT0_T1_T2_jT3_P12ihipStream_tbPNSt15iterator_traitsISI_E10value_typeEPNSO_ISJ_E10value_typeEPSK_NS1_7vsmem_tEENKUlT_SI_SJ_SK_E_clIPjSD_S10_SD_EESH_SX_SI_SJ_SK_EUlSX_E_NS1_11comp_targetILNS1_3genE10ELNS1_11target_archE1201ELNS1_3gpuE5ELNS1_3repE0EEENS1_48merge_mergepath_partition_config_static_selectorELNS0_4arch9wavefront6targetE1EEEvSJ_,comdat
.Lfunc_end620:
	.size	_ZN7rocprim17ROCPRIM_400000_NS6detail17trampoline_kernelINS0_14default_configENS1_38merge_sort_block_merge_config_selectorIjjEEZZNS1_27merge_sort_block_merge_implIS3_N6thrust23THRUST_200600_302600_NS6detail15normal_iteratorINS8_10device_ptrIjEEEESD_jNS1_19radix_merge_compareILb0ELb0EjNS0_19identity_decomposerEEEEE10hipError_tT0_T1_T2_jT3_P12ihipStream_tbPNSt15iterator_traitsISI_E10value_typeEPNSO_ISJ_E10value_typeEPSK_NS1_7vsmem_tEENKUlT_SI_SJ_SK_E_clIPjSD_S10_SD_EESH_SX_SI_SJ_SK_EUlSX_E_NS1_11comp_targetILNS1_3genE10ELNS1_11target_archE1201ELNS1_3gpuE5ELNS1_3repE0EEENS1_48merge_mergepath_partition_config_static_selectorELNS0_4arch9wavefront6targetE1EEEvSJ_, .Lfunc_end620-_ZN7rocprim17ROCPRIM_400000_NS6detail17trampoline_kernelINS0_14default_configENS1_38merge_sort_block_merge_config_selectorIjjEEZZNS1_27merge_sort_block_merge_implIS3_N6thrust23THRUST_200600_302600_NS6detail15normal_iteratorINS8_10device_ptrIjEEEESD_jNS1_19radix_merge_compareILb0ELb0EjNS0_19identity_decomposerEEEEE10hipError_tT0_T1_T2_jT3_P12ihipStream_tbPNSt15iterator_traitsISI_E10value_typeEPNSO_ISJ_E10value_typeEPSK_NS1_7vsmem_tEENKUlT_SI_SJ_SK_E_clIPjSD_S10_SD_EESH_SX_SI_SJ_SK_EUlSX_E_NS1_11comp_targetILNS1_3genE10ELNS1_11target_archE1201ELNS1_3gpuE5ELNS1_3repE0EEENS1_48merge_mergepath_partition_config_static_selectorELNS0_4arch9wavefront6targetE1EEEvSJ_
                                        ; -- End function
	.set _ZN7rocprim17ROCPRIM_400000_NS6detail17trampoline_kernelINS0_14default_configENS1_38merge_sort_block_merge_config_selectorIjjEEZZNS1_27merge_sort_block_merge_implIS3_N6thrust23THRUST_200600_302600_NS6detail15normal_iteratorINS8_10device_ptrIjEEEESD_jNS1_19radix_merge_compareILb0ELb0EjNS0_19identity_decomposerEEEEE10hipError_tT0_T1_T2_jT3_P12ihipStream_tbPNSt15iterator_traitsISI_E10value_typeEPNSO_ISJ_E10value_typeEPSK_NS1_7vsmem_tEENKUlT_SI_SJ_SK_E_clIPjSD_S10_SD_EESH_SX_SI_SJ_SK_EUlSX_E_NS1_11comp_targetILNS1_3genE10ELNS1_11target_archE1201ELNS1_3gpuE5ELNS1_3repE0EEENS1_48merge_mergepath_partition_config_static_selectorELNS0_4arch9wavefront6targetE1EEEvSJ_.num_vgpr, 0
	.set _ZN7rocprim17ROCPRIM_400000_NS6detail17trampoline_kernelINS0_14default_configENS1_38merge_sort_block_merge_config_selectorIjjEEZZNS1_27merge_sort_block_merge_implIS3_N6thrust23THRUST_200600_302600_NS6detail15normal_iteratorINS8_10device_ptrIjEEEESD_jNS1_19radix_merge_compareILb0ELb0EjNS0_19identity_decomposerEEEEE10hipError_tT0_T1_T2_jT3_P12ihipStream_tbPNSt15iterator_traitsISI_E10value_typeEPNSO_ISJ_E10value_typeEPSK_NS1_7vsmem_tEENKUlT_SI_SJ_SK_E_clIPjSD_S10_SD_EESH_SX_SI_SJ_SK_EUlSX_E_NS1_11comp_targetILNS1_3genE10ELNS1_11target_archE1201ELNS1_3gpuE5ELNS1_3repE0EEENS1_48merge_mergepath_partition_config_static_selectorELNS0_4arch9wavefront6targetE1EEEvSJ_.num_agpr, 0
	.set _ZN7rocprim17ROCPRIM_400000_NS6detail17trampoline_kernelINS0_14default_configENS1_38merge_sort_block_merge_config_selectorIjjEEZZNS1_27merge_sort_block_merge_implIS3_N6thrust23THRUST_200600_302600_NS6detail15normal_iteratorINS8_10device_ptrIjEEEESD_jNS1_19radix_merge_compareILb0ELb0EjNS0_19identity_decomposerEEEEE10hipError_tT0_T1_T2_jT3_P12ihipStream_tbPNSt15iterator_traitsISI_E10value_typeEPNSO_ISJ_E10value_typeEPSK_NS1_7vsmem_tEENKUlT_SI_SJ_SK_E_clIPjSD_S10_SD_EESH_SX_SI_SJ_SK_EUlSX_E_NS1_11comp_targetILNS1_3genE10ELNS1_11target_archE1201ELNS1_3gpuE5ELNS1_3repE0EEENS1_48merge_mergepath_partition_config_static_selectorELNS0_4arch9wavefront6targetE1EEEvSJ_.numbered_sgpr, 0
	.set _ZN7rocprim17ROCPRIM_400000_NS6detail17trampoline_kernelINS0_14default_configENS1_38merge_sort_block_merge_config_selectorIjjEEZZNS1_27merge_sort_block_merge_implIS3_N6thrust23THRUST_200600_302600_NS6detail15normal_iteratorINS8_10device_ptrIjEEEESD_jNS1_19radix_merge_compareILb0ELb0EjNS0_19identity_decomposerEEEEE10hipError_tT0_T1_T2_jT3_P12ihipStream_tbPNSt15iterator_traitsISI_E10value_typeEPNSO_ISJ_E10value_typeEPSK_NS1_7vsmem_tEENKUlT_SI_SJ_SK_E_clIPjSD_S10_SD_EESH_SX_SI_SJ_SK_EUlSX_E_NS1_11comp_targetILNS1_3genE10ELNS1_11target_archE1201ELNS1_3gpuE5ELNS1_3repE0EEENS1_48merge_mergepath_partition_config_static_selectorELNS0_4arch9wavefront6targetE1EEEvSJ_.num_named_barrier, 0
	.set _ZN7rocprim17ROCPRIM_400000_NS6detail17trampoline_kernelINS0_14default_configENS1_38merge_sort_block_merge_config_selectorIjjEEZZNS1_27merge_sort_block_merge_implIS3_N6thrust23THRUST_200600_302600_NS6detail15normal_iteratorINS8_10device_ptrIjEEEESD_jNS1_19radix_merge_compareILb0ELb0EjNS0_19identity_decomposerEEEEE10hipError_tT0_T1_T2_jT3_P12ihipStream_tbPNSt15iterator_traitsISI_E10value_typeEPNSO_ISJ_E10value_typeEPSK_NS1_7vsmem_tEENKUlT_SI_SJ_SK_E_clIPjSD_S10_SD_EESH_SX_SI_SJ_SK_EUlSX_E_NS1_11comp_targetILNS1_3genE10ELNS1_11target_archE1201ELNS1_3gpuE5ELNS1_3repE0EEENS1_48merge_mergepath_partition_config_static_selectorELNS0_4arch9wavefront6targetE1EEEvSJ_.private_seg_size, 0
	.set _ZN7rocprim17ROCPRIM_400000_NS6detail17trampoline_kernelINS0_14default_configENS1_38merge_sort_block_merge_config_selectorIjjEEZZNS1_27merge_sort_block_merge_implIS3_N6thrust23THRUST_200600_302600_NS6detail15normal_iteratorINS8_10device_ptrIjEEEESD_jNS1_19radix_merge_compareILb0ELb0EjNS0_19identity_decomposerEEEEE10hipError_tT0_T1_T2_jT3_P12ihipStream_tbPNSt15iterator_traitsISI_E10value_typeEPNSO_ISJ_E10value_typeEPSK_NS1_7vsmem_tEENKUlT_SI_SJ_SK_E_clIPjSD_S10_SD_EESH_SX_SI_SJ_SK_EUlSX_E_NS1_11comp_targetILNS1_3genE10ELNS1_11target_archE1201ELNS1_3gpuE5ELNS1_3repE0EEENS1_48merge_mergepath_partition_config_static_selectorELNS0_4arch9wavefront6targetE1EEEvSJ_.uses_vcc, 0
	.set _ZN7rocprim17ROCPRIM_400000_NS6detail17trampoline_kernelINS0_14default_configENS1_38merge_sort_block_merge_config_selectorIjjEEZZNS1_27merge_sort_block_merge_implIS3_N6thrust23THRUST_200600_302600_NS6detail15normal_iteratorINS8_10device_ptrIjEEEESD_jNS1_19radix_merge_compareILb0ELb0EjNS0_19identity_decomposerEEEEE10hipError_tT0_T1_T2_jT3_P12ihipStream_tbPNSt15iterator_traitsISI_E10value_typeEPNSO_ISJ_E10value_typeEPSK_NS1_7vsmem_tEENKUlT_SI_SJ_SK_E_clIPjSD_S10_SD_EESH_SX_SI_SJ_SK_EUlSX_E_NS1_11comp_targetILNS1_3genE10ELNS1_11target_archE1201ELNS1_3gpuE5ELNS1_3repE0EEENS1_48merge_mergepath_partition_config_static_selectorELNS0_4arch9wavefront6targetE1EEEvSJ_.uses_flat_scratch, 0
	.set _ZN7rocprim17ROCPRIM_400000_NS6detail17trampoline_kernelINS0_14default_configENS1_38merge_sort_block_merge_config_selectorIjjEEZZNS1_27merge_sort_block_merge_implIS3_N6thrust23THRUST_200600_302600_NS6detail15normal_iteratorINS8_10device_ptrIjEEEESD_jNS1_19radix_merge_compareILb0ELb0EjNS0_19identity_decomposerEEEEE10hipError_tT0_T1_T2_jT3_P12ihipStream_tbPNSt15iterator_traitsISI_E10value_typeEPNSO_ISJ_E10value_typeEPSK_NS1_7vsmem_tEENKUlT_SI_SJ_SK_E_clIPjSD_S10_SD_EESH_SX_SI_SJ_SK_EUlSX_E_NS1_11comp_targetILNS1_3genE10ELNS1_11target_archE1201ELNS1_3gpuE5ELNS1_3repE0EEENS1_48merge_mergepath_partition_config_static_selectorELNS0_4arch9wavefront6targetE1EEEvSJ_.has_dyn_sized_stack, 0
	.set _ZN7rocprim17ROCPRIM_400000_NS6detail17trampoline_kernelINS0_14default_configENS1_38merge_sort_block_merge_config_selectorIjjEEZZNS1_27merge_sort_block_merge_implIS3_N6thrust23THRUST_200600_302600_NS6detail15normal_iteratorINS8_10device_ptrIjEEEESD_jNS1_19radix_merge_compareILb0ELb0EjNS0_19identity_decomposerEEEEE10hipError_tT0_T1_T2_jT3_P12ihipStream_tbPNSt15iterator_traitsISI_E10value_typeEPNSO_ISJ_E10value_typeEPSK_NS1_7vsmem_tEENKUlT_SI_SJ_SK_E_clIPjSD_S10_SD_EESH_SX_SI_SJ_SK_EUlSX_E_NS1_11comp_targetILNS1_3genE10ELNS1_11target_archE1201ELNS1_3gpuE5ELNS1_3repE0EEENS1_48merge_mergepath_partition_config_static_selectorELNS0_4arch9wavefront6targetE1EEEvSJ_.has_recursion, 0
	.set _ZN7rocprim17ROCPRIM_400000_NS6detail17trampoline_kernelINS0_14default_configENS1_38merge_sort_block_merge_config_selectorIjjEEZZNS1_27merge_sort_block_merge_implIS3_N6thrust23THRUST_200600_302600_NS6detail15normal_iteratorINS8_10device_ptrIjEEEESD_jNS1_19radix_merge_compareILb0ELb0EjNS0_19identity_decomposerEEEEE10hipError_tT0_T1_T2_jT3_P12ihipStream_tbPNSt15iterator_traitsISI_E10value_typeEPNSO_ISJ_E10value_typeEPSK_NS1_7vsmem_tEENKUlT_SI_SJ_SK_E_clIPjSD_S10_SD_EESH_SX_SI_SJ_SK_EUlSX_E_NS1_11comp_targetILNS1_3genE10ELNS1_11target_archE1201ELNS1_3gpuE5ELNS1_3repE0EEENS1_48merge_mergepath_partition_config_static_selectorELNS0_4arch9wavefront6targetE1EEEvSJ_.has_indirect_call, 0
	.section	.AMDGPU.csdata,"",@progbits
; Kernel info:
; codeLenInByte = 0
; TotalNumSgprs: 6
; NumVgprs: 0
; NumAgprs: 0
; TotalNumVgprs: 0
; ScratchSize: 0
; MemoryBound: 0
; FloatMode: 240
; IeeeMode: 1
; LDSByteSize: 0 bytes/workgroup (compile time only)
; SGPRBlocks: 0
; VGPRBlocks: 0
; NumSGPRsForWavesPerEU: 6
; NumVGPRsForWavesPerEU: 1
; AccumOffset: 4
; Occupancy: 8
; WaveLimiterHint : 0
; COMPUTE_PGM_RSRC2:SCRATCH_EN: 0
; COMPUTE_PGM_RSRC2:USER_SGPR: 2
; COMPUTE_PGM_RSRC2:TRAP_HANDLER: 0
; COMPUTE_PGM_RSRC2:TGID_X_EN: 1
; COMPUTE_PGM_RSRC2:TGID_Y_EN: 0
; COMPUTE_PGM_RSRC2:TGID_Z_EN: 0
; COMPUTE_PGM_RSRC2:TIDIG_COMP_CNT: 0
; COMPUTE_PGM_RSRC3_GFX90A:ACCUM_OFFSET: 0
; COMPUTE_PGM_RSRC3_GFX90A:TG_SPLIT: 0
	.section	.text._ZN7rocprim17ROCPRIM_400000_NS6detail17trampoline_kernelINS0_14default_configENS1_38merge_sort_block_merge_config_selectorIjjEEZZNS1_27merge_sort_block_merge_implIS3_N6thrust23THRUST_200600_302600_NS6detail15normal_iteratorINS8_10device_ptrIjEEEESD_jNS1_19radix_merge_compareILb0ELb0EjNS0_19identity_decomposerEEEEE10hipError_tT0_T1_T2_jT3_P12ihipStream_tbPNSt15iterator_traitsISI_E10value_typeEPNSO_ISJ_E10value_typeEPSK_NS1_7vsmem_tEENKUlT_SI_SJ_SK_E_clIPjSD_S10_SD_EESH_SX_SI_SJ_SK_EUlSX_E_NS1_11comp_targetILNS1_3genE5ELNS1_11target_archE942ELNS1_3gpuE9ELNS1_3repE0EEENS1_48merge_mergepath_partition_config_static_selectorELNS0_4arch9wavefront6targetE1EEEvSJ_,"axG",@progbits,_ZN7rocprim17ROCPRIM_400000_NS6detail17trampoline_kernelINS0_14default_configENS1_38merge_sort_block_merge_config_selectorIjjEEZZNS1_27merge_sort_block_merge_implIS3_N6thrust23THRUST_200600_302600_NS6detail15normal_iteratorINS8_10device_ptrIjEEEESD_jNS1_19radix_merge_compareILb0ELb0EjNS0_19identity_decomposerEEEEE10hipError_tT0_T1_T2_jT3_P12ihipStream_tbPNSt15iterator_traitsISI_E10value_typeEPNSO_ISJ_E10value_typeEPSK_NS1_7vsmem_tEENKUlT_SI_SJ_SK_E_clIPjSD_S10_SD_EESH_SX_SI_SJ_SK_EUlSX_E_NS1_11comp_targetILNS1_3genE5ELNS1_11target_archE942ELNS1_3gpuE9ELNS1_3repE0EEENS1_48merge_mergepath_partition_config_static_selectorELNS0_4arch9wavefront6targetE1EEEvSJ_,comdat
	.protected	_ZN7rocprim17ROCPRIM_400000_NS6detail17trampoline_kernelINS0_14default_configENS1_38merge_sort_block_merge_config_selectorIjjEEZZNS1_27merge_sort_block_merge_implIS3_N6thrust23THRUST_200600_302600_NS6detail15normal_iteratorINS8_10device_ptrIjEEEESD_jNS1_19radix_merge_compareILb0ELb0EjNS0_19identity_decomposerEEEEE10hipError_tT0_T1_T2_jT3_P12ihipStream_tbPNSt15iterator_traitsISI_E10value_typeEPNSO_ISJ_E10value_typeEPSK_NS1_7vsmem_tEENKUlT_SI_SJ_SK_E_clIPjSD_S10_SD_EESH_SX_SI_SJ_SK_EUlSX_E_NS1_11comp_targetILNS1_3genE5ELNS1_11target_archE942ELNS1_3gpuE9ELNS1_3repE0EEENS1_48merge_mergepath_partition_config_static_selectorELNS0_4arch9wavefront6targetE1EEEvSJ_ ; -- Begin function _ZN7rocprim17ROCPRIM_400000_NS6detail17trampoline_kernelINS0_14default_configENS1_38merge_sort_block_merge_config_selectorIjjEEZZNS1_27merge_sort_block_merge_implIS3_N6thrust23THRUST_200600_302600_NS6detail15normal_iteratorINS8_10device_ptrIjEEEESD_jNS1_19radix_merge_compareILb0ELb0EjNS0_19identity_decomposerEEEEE10hipError_tT0_T1_T2_jT3_P12ihipStream_tbPNSt15iterator_traitsISI_E10value_typeEPNSO_ISJ_E10value_typeEPSK_NS1_7vsmem_tEENKUlT_SI_SJ_SK_E_clIPjSD_S10_SD_EESH_SX_SI_SJ_SK_EUlSX_E_NS1_11comp_targetILNS1_3genE5ELNS1_11target_archE942ELNS1_3gpuE9ELNS1_3repE0EEENS1_48merge_mergepath_partition_config_static_selectorELNS0_4arch9wavefront6targetE1EEEvSJ_
	.globl	_ZN7rocprim17ROCPRIM_400000_NS6detail17trampoline_kernelINS0_14default_configENS1_38merge_sort_block_merge_config_selectorIjjEEZZNS1_27merge_sort_block_merge_implIS3_N6thrust23THRUST_200600_302600_NS6detail15normal_iteratorINS8_10device_ptrIjEEEESD_jNS1_19radix_merge_compareILb0ELb0EjNS0_19identity_decomposerEEEEE10hipError_tT0_T1_T2_jT3_P12ihipStream_tbPNSt15iterator_traitsISI_E10value_typeEPNSO_ISJ_E10value_typeEPSK_NS1_7vsmem_tEENKUlT_SI_SJ_SK_E_clIPjSD_S10_SD_EESH_SX_SI_SJ_SK_EUlSX_E_NS1_11comp_targetILNS1_3genE5ELNS1_11target_archE942ELNS1_3gpuE9ELNS1_3repE0EEENS1_48merge_mergepath_partition_config_static_selectorELNS0_4arch9wavefront6targetE1EEEvSJ_
	.p2align	8
	.type	_ZN7rocprim17ROCPRIM_400000_NS6detail17trampoline_kernelINS0_14default_configENS1_38merge_sort_block_merge_config_selectorIjjEEZZNS1_27merge_sort_block_merge_implIS3_N6thrust23THRUST_200600_302600_NS6detail15normal_iteratorINS8_10device_ptrIjEEEESD_jNS1_19radix_merge_compareILb0ELb0EjNS0_19identity_decomposerEEEEE10hipError_tT0_T1_T2_jT3_P12ihipStream_tbPNSt15iterator_traitsISI_E10value_typeEPNSO_ISJ_E10value_typeEPSK_NS1_7vsmem_tEENKUlT_SI_SJ_SK_E_clIPjSD_S10_SD_EESH_SX_SI_SJ_SK_EUlSX_E_NS1_11comp_targetILNS1_3genE5ELNS1_11target_archE942ELNS1_3gpuE9ELNS1_3repE0EEENS1_48merge_mergepath_partition_config_static_selectorELNS0_4arch9wavefront6targetE1EEEvSJ_,@function
_ZN7rocprim17ROCPRIM_400000_NS6detail17trampoline_kernelINS0_14default_configENS1_38merge_sort_block_merge_config_selectorIjjEEZZNS1_27merge_sort_block_merge_implIS3_N6thrust23THRUST_200600_302600_NS6detail15normal_iteratorINS8_10device_ptrIjEEEESD_jNS1_19radix_merge_compareILb0ELb0EjNS0_19identity_decomposerEEEEE10hipError_tT0_T1_T2_jT3_P12ihipStream_tbPNSt15iterator_traitsISI_E10value_typeEPNSO_ISJ_E10value_typeEPSK_NS1_7vsmem_tEENKUlT_SI_SJ_SK_E_clIPjSD_S10_SD_EESH_SX_SI_SJ_SK_EUlSX_E_NS1_11comp_targetILNS1_3genE5ELNS1_11target_archE942ELNS1_3gpuE9ELNS1_3repE0EEENS1_48merge_mergepath_partition_config_static_selectorELNS0_4arch9wavefront6targetE1EEEvSJ_: ; @_ZN7rocprim17ROCPRIM_400000_NS6detail17trampoline_kernelINS0_14default_configENS1_38merge_sort_block_merge_config_selectorIjjEEZZNS1_27merge_sort_block_merge_implIS3_N6thrust23THRUST_200600_302600_NS6detail15normal_iteratorINS8_10device_ptrIjEEEESD_jNS1_19radix_merge_compareILb0ELb0EjNS0_19identity_decomposerEEEEE10hipError_tT0_T1_T2_jT3_P12ihipStream_tbPNSt15iterator_traitsISI_E10value_typeEPNSO_ISJ_E10value_typeEPSK_NS1_7vsmem_tEENKUlT_SI_SJ_SK_E_clIPjSD_S10_SD_EESH_SX_SI_SJ_SK_EUlSX_E_NS1_11comp_targetILNS1_3genE5ELNS1_11target_archE942ELNS1_3gpuE9ELNS1_3repE0EEENS1_48merge_mergepath_partition_config_static_selectorELNS0_4arch9wavefront6targetE1EEEvSJ_
; %bb.0:
	.section	.rodata,"a",@progbits
	.p2align	6, 0x0
	.amdhsa_kernel _ZN7rocprim17ROCPRIM_400000_NS6detail17trampoline_kernelINS0_14default_configENS1_38merge_sort_block_merge_config_selectorIjjEEZZNS1_27merge_sort_block_merge_implIS3_N6thrust23THRUST_200600_302600_NS6detail15normal_iteratorINS8_10device_ptrIjEEEESD_jNS1_19radix_merge_compareILb0ELb0EjNS0_19identity_decomposerEEEEE10hipError_tT0_T1_T2_jT3_P12ihipStream_tbPNSt15iterator_traitsISI_E10value_typeEPNSO_ISJ_E10value_typeEPSK_NS1_7vsmem_tEENKUlT_SI_SJ_SK_E_clIPjSD_S10_SD_EESH_SX_SI_SJ_SK_EUlSX_E_NS1_11comp_targetILNS1_3genE5ELNS1_11target_archE942ELNS1_3gpuE9ELNS1_3repE0EEENS1_48merge_mergepath_partition_config_static_selectorELNS0_4arch9wavefront6targetE1EEEvSJ_
		.amdhsa_group_segment_fixed_size 0
		.amdhsa_private_segment_fixed_size 0
		.amdhsa_kernarg_size 40
		.amdhsa_user_sgpr_count 2
		.amdhsa_user_sgpr_dispatch_ptr 0
		.amdhsa_user_sgpr_queue_ptr 0
		.amdhsa_user_sgpr_kernarg_segment_ptr 1
		.amdhsa_user_sgpr_dispatch_id 0
		.amdhsa_user_sgpr_kernarg_preload_length 0
		.amdhsa_user_sgpr_kernarg_preload_offset 0
		.amdhsa_user_sgpr_private_segment_size 0
		.amdhsa_uses_dynamic_stack 0
		.amdhsa_enable_private_segment 0
		.amdhsa_system_sgpr_workgroup_id_x 1
		.amdhsa_system_sgpr_workgroup_id_y 0
		.amdhsa_system_sgpr_workgroup_id_z 0
		.amdhsa_system_sgpr_workgroup_info 0
		.amdhsa_system_vgpr_workitem_id 0
		.amdhsa_next_free_vgpr 1
		.amdhsa_next_free_sgpr 0
		.amdhsa_accum_offset 4
		.amdhsa_reserve_vcc 0
		.amdhsa_float_round_mode_32 0
		.amdhsa_float_round_mode_16_64 0
		.amdhsa_float_denorm_mode_32 3
		.amdhsa_float_denorm_mode_16_64 3
		.amdhsa_dx10_clamp 1
		.amdhsa_ieee_mode 1
		.amdhsa_fp16_overflow 0
		.amdhsa_tg_split 0
		.amdhsa_exception_fp_ieee_invalid_op 0
		.amdhsa_exception_fp_denorm_src 0
		.amdhsa_exception_fp_ieee_div_zero 0
		.amdhsa_exception_fp_ieee_overflow 0
		.amdhsa_exception_fp_ieee_underflow 0
		.amdhsa_exception_fp_ieee_inexact 0
		.amdhsa_exception_int_div_zero 0
	.end_amdhsa_kernel
	.section	.text._ZN7rocprim17ROCPRIM_400000_NS6detail17trampoline_kernelINS0_14default_configENS1_38merge_sort_block_merge_config_selectorIjjEEZZNS1_27merge_sort_block_merge_implIS3_N6thrust23THRUST_200600_302600_NS6detail15normal_iteratorINS8_10device_ptrIjEEEESD_jNS1_19radix_merge_compareILb0ELb0EjNS0_19identity_decomposerEEEEE10hipError_tT0_T1_T2_jT3_P12ihipStream_tbPNSt15iterator_traitsISI_E10value_typeEPNSO_ISJ_E10value_typeEPSK_NS1_7vsmem_tEENKUlT_SI_SJ_SK_E_clIPjSD_S10_SD_EESH_SX_SI_SJ_SK_EUlSX_E_NS1_11comp_targetILNS1_3genE5ELNS1_11target_archE942ELNS1_3gpuE9ELNS1_3repE0EEENS1_48merge_mergepath_partition_config_static_selectorELNS0_4arch9wavefront6targetE1EEEvSJ_,"axG",@progbits,_ZN7rocprim17ROCPRIM_400000_NS6detail17trampoline_kernelINS0_14default_configENS1_38merge_sort_block_merge_config_selectorIjjEEZZNS1_27merge_sort_block_merge_implIS3_N6thrust23THRUST_200600_302600_NS6detail15normal_iteratorINS8_10device_ptrIjEEEESD_jNS1_19radix_merge_compareILb0ELb0EjNS0_19identity_decomposerEEEEE10hipError_tT0_T1_T2_jT3_P12ihipStream_tbPNSt15iterator_traitsISI_E10value_typeEPNSO_ISJ_E10value_typeEPSK_NS1_7vsmem_tEENKUlT_SI_SJ_SK_E_clIPjSD_S10_SD_EESH_SX_SI_SJ_SK_EUlSX_E_NS1_11comp_targetILNS1_3genE5ELNS1_11target_archE942ELNS1_3gpuE9ELNS1_3repE0EEENS1_48merge_mergepath_partition_config_static_selectorELNS0_4arch9wavefront6targetE1EEEvSJ_,comdat
.Lfunc_end621:
	.size	_ZN7rocprim17ROCPRIM_400000_NS6detail17trampoline_kernelINS0_14default_configENS1_38merge_sort_block_merge_config_selectorIjjEEZZNS1_27merge_sort_block_merge_implIS3_N6thrust23THRUST_200600_302600_NS6detail15normal_iteratorINS8_10device_ptrIjEEEESD_jNS1_19radix_merge_compareILb0ELb0EjNS0_19identity_decomposerEEEEE10hipError_tT0_T1_T2_jT3_P12ihipStream_tbPNSt15iterator_traitsISI_E10value_typeEPNSO_ISJ_E10value_typeEPSK_NS1_7vsmem_tEENKUlT_SI_SJ_SK_E_clIPjSD_S10_SD_EESH_SX_SI_SJ_SK_EUlSX_E_NS1_11comp_targetILNS1_3genE5ELNS1_11target_archE942ELNS1_3gpuE9ELNS1_3repE0EEENS1_48merge_mergepath_partition_config_static_selectorELNS0_4arch9wavefront6targetE1EEEvSJ_, .Lfunc_end621-_ZN7rocprim17ROCPRIM_400000_NS6detail17trampoline_kernelINS0_14default_configENS1_38merge_sort_block_merge_config_selectorIjjEEZZNS1_27merge_sort_block_merge_implIS3_N6thrust23THRUST_200600_302600_NS6detail15normal_iteratorINS8_10device_ptrIjEEEESD_jNS1_19radix_merge_compareILb0ELb0EjNS0_19identity_decomposerEEEEE10hipError_tT0_T1_T2_jT3_P12ihipStream_tbPNSt15iterator_traitsISI_E10value_typeEPNSO_ISJ_E10value_typeEPSK_NS1_7vsmem_tEENKUlT_SI_SJ_SK_E_clIPjSD_S10_SD_EESH_SX_SI_SJ_SK_EUlSX_E_NS1_11comp_targetILNS1_3genE5ELNS1_11target_archE942ELNS1_3gpuE9ELNS1_3repE0EEENS1_48merge_mergepath_partition_config_static_selectorELNS0_4arch9wavefront6targetE1EEEvSJ_
                                        ; -- End function
	.set _ZN7rocprim17ROCPRIM_400000_NS6detail17trampoline_kernelINS0_14default_configENS1_38merge_sort_block_merge_config_selectorIjjEEZZNS1_27merge_sort_block_merge_implIS3_N6thrust23THRUST_200600_302600_NS6detail15normal_iteratorINS8_10device_ptrIjEEEESD_jNS1_19radix_merge_compareILb0ELb0EjNS0_19identity_decomposerEEEEE10hipError_tT0_T1_T2_jT3_P12ihipStream_tbPNSt15iterator_traitsISI_E10value_typeEPNSO_ISJ_E10value_typeEPSK_NS1_7vsmem_tEENKUlT_SI_SJ_SK_E_clIPjSD_S10_SD_EESH_SX_SI_SJ_SK_EUlSX_E_NS1_11comp_targetILNS1_3genE5ELNS1_11target_archE942ELNS1_3gpuE9ELNS1_3repE0EEENS1_48merge_mergepath_partition_config_static_selectorELNS0_4arch9wavefront6targetE1EEEvSJ_.num_vgpr, 0
	.set _ZN7rocprim17ROCPRIM_400000_NS6detail17trampoline_kernelINS0_14default_configENS1_38merge_sort_block_merge_config_selectorIjjEEZZNS1_27merge_sort_block_merge_implIS3_N6thrust23THRUST_200600_302600_NS6detail15normal_iteratorINS8_10device_ptrIjEEEESD_jNS1_19radix_merge_compareILb0ELb0EjNS0_19identity_decomposerEEEEE10hipError_tT0_T1_T2_jT3_P12ihipStream_tbPNSt15iterator_traitsISI_E10value_typeEPNSO_ISJ_E10value_typeEPSK_NS1_7vsmem_tEENKUlT_SI_SJ_SK_E_clIPjSD_S10_SD_EESH_SX_SI_SJ_SK_EUlSX_E_NS1_11comp_targetILNS1_3genE5ELNS1_11target_archE942ELNS1_3gpuE9ELNS1_3repE0EEENS1_48merge_mergepath_partition_config_static_selectorELNS0_4arch9wavefront6targetE1EEEvSJ_.num_agpr, 0
	.set _ZN7rocprim17ROCPRIM_400000_NS6detail17trampoline_kernelINS0_14default_configENS1_38merge_sort_block_merge_config_selectorIjjEEZZNS1_27merge_sort_block_merge_implIS3_N6thrust23THRUST_200600_302600_NS6detail15normal_iteratorINS8_10device_ptrIjEEEESD_jNS1_19radix_merge_compareILb0ELb0EjNS0_19identity_decomposerEEEEE10hipError_tT0_T1_T2_jT3_P12ihipStream_tbPNSt15iterator_traitsISI_E10value_typeEPNSO_ISJ_E10value_typeEPSK_NS1_7vsmem_tEENKUlT_SI_SJ_SK_E_clIPjSD_S10_SD_EESH_SX_SI_SJ_SK_EUlSX_E_NS1_11comp_targetILNS1_3genE5ELNS1_11target_archE942ELNS1_3gpuE9ELNS1_3repE0EEENS1_48merge_mergepath_partition_config_static_selectorELNS0_4arch9wavefront6targetE1EEEvSJ_.numbered_sgpr, 0
	.set _ZN7rocprim17ROCPRIM_400000_NS6detail17trampoline_kernelINS0_14default_configENS1_38merge_sort_block_merge_config_selectorIjjEEZZNS1_27merge_sort_block_merge_implIS3_N6thrust23THRUST_200600_302600_NS6detail15normal_iteratorINS8_10device_ptrIjEEEESD_jNS1_19radix_merge_compareILb0ELb0EjNS0_19identity_decomposerEEEEE10hipError_tT0_T1_T2_jT3_P12ihipStream_tbPNSt15iterator_traitsISI_E10value_typeEPNSO_ISJ_E10value_typeEPSK_NS1_7vsmem_tEENKUlT_SI_SJ_SK_E_clIPjSD_S10_SD_EESH_SX_SI_SJ_SK_EUlSX_E_NS1_11comp_targetILNS1_3genE5ELNS1_11target_archE942ELNS1_3gpuE9ELNS1_3repE0EEENS1_48merge_mergepath_partition_config_static_selectorELNS0_4arch9wavefront6targetE1EEEvSJ_.num_named_barrier, 0
	.set _ZN7rocprim17ROCPRIM_400000_NS6detail17trampoline_kernelINS0_14default_configENS1_38merge_sort_block_merge_config_selectorIjjEEZZNS1_27merge_sort_block_merge_implIS3_N6thrust23THRUST_200600_302600_NS6detail15normal_iteratorINS8_10device_ptrIjEEEESD_jNS1_19radix_merge_compareILb0ELb0EjNS0_19identity_decomposerEEEEE10hipError_tT0_T1_T2_jT3_P12ihipStream_tbPNSt15iterator_traitsISI_E10value_typeEPNSO_ISJ_E10value_typeEPSK_NS1_7vsmem_tEENKUlT_SI_SJ_SK_E_clIPjSD_S10_SD_EESH_SX_SI_SJ_SK_EUlSX_E_NS1_11comp_targetILNS1_3genE5ELNS1_11target_archE942ELNS1_3gpuE9ELNS1_3repE0EEENS1_48merge_mergepath_partition_config_static_selectorELNS0_4arch9wavefront6targetE1EEEvSJ_.private_seg_size, 0
	.set _ZN7rocprim17ROCPRIM_400000_NS6detail17trampoline_kernelINS0_14default_configENS1_38merge_sort_block_merge_config_selectorIjjEEZZNS1_27merge_sort_block_merge_implIS3_N6thrust23THRUST_200600_302600_NS6detail15normal_iteratorINS8_10device_ptrIjEEEESD_jNS1_19radix_merge_compareILb0ELb0EjNS0_19identity_decomposerEEEEE10hipError_tT0_T1_T2_jT3_P12ihipStream_tbPNSt15iterator_traitsISI_E10value_typeEPNSO_ISJ_E10value_typeEPSK_NS1_7vsmem_tEENKUlT_SI_SJ_SK_E_clIPjSD_S10_SD_EESH_SX_SI_SJ_SK_EUlSX_E_NS1_11comp_targetILNS1_3genE5ELNS1_11target_archE942ELNS1_3gpuE9ELNS1_3repE0EEENS1_48merge_mergepath_partition_config_static_selectorELNS0_4arch9wavefront6targetE1EEEvSJ_.uses_vcc, 0
	.set _ZN7rocprim17ROCPRIM_400000_NS6detail17trampoline_kernelINS0_14default_configENS1_38merge_sort_block_merge_config_selectorIjjEEZZNS1_27merge_sort_block_merge_implIS3_N6thrust23THRUST_200600_302600_NS6detail15normal_iteratorINS8_10device_ptrIjEEEESD_jNS1_19radix_merge_compareILb0ELb0EjNS0_19identity_decomposerEEEEE10hipError_tT0_T1_T2_jT3_P12ihipStream_tbPNSt15iterator_traitsISI_E10value_typeEPNSO_ISJ_E10value_typeEPSK_NS1_7vsmem_tEENKUlT_SI_SJ_SK_E_clIPjSD_S10_SD_EESH_SX_SI_SJ_SK_EUlSX_E_NS1_11comp_targetILNS1_3genE5ELNS1_11target_archE942ELNS1_3gpuE9ELNS1_3repE0EEENS1_48merge_mergepath_partition_config_static_selectorELNS0_4arch9wavefront6targetE1EEEvSJ_.uses_flat_scratch, 0
	.set _ZN7rocprim17ROCPRIM_400000_NS6detail17trampoline_kernelINS0_14default_configENS1_38merge_sort_block_merge_config_selectorIjjEEZZNS1_27merge_sort_block_merge_implIS3_N6thrust23THRUST_200600_302600_NS6detail15normal_iteratorINS8_10device_ptrIjEEEESD_jNS1_19radix_merge_compareILb0ELb0EjNS0_19identity_decomposerEEEEE10hipError_tT0_T1_T2_jT3_P12ihipStream_tbPNSt15iterator_traitsISI_E10value_typeEPNSO_ISJ_E10value_typeEPSK_NS1_7vsmem_tEENKUlT_SI_SJ_SK_E_clIPjSD_S10_SD_EESH_SX_SI_SJ_SK_EUlSX_E_NS1_11comp_targetILNS1_3genE5ELNS1_11target_archE942ELNS1_3gpuE9ELNS1_3repE0EEENS1_48merge_mergepath_partition_config_static_selectorELNS0_4arch9wavefront6targetE1EEEvSJ_.has_dyn_sized_stack, 0
	.set _ZN7rocprim17ROCPRIM_400000_NS6detail17trampoline_kernelINS0_14default_configENS1_38merge_sort_block_merge_config_selectorIjjEEZZNS1_27merge_sort_block_merge_implIS3_N6thrust23THRUST_200600_302600_NS6detail15normal_iteratorINS8_10device_ptrIjEEEESD_jNS1_19radix_merge_compareILb0ELb0EjNS0_19identity_decomposerEEEEE10hipError_tT0_T1_T2_jT3_P12ihipStream_tbPNSt15iterator_traitsISI_E10value_typeEPNSO_ISJ_E10value_typeEPSK_NS1_7vsmem_tEENKUlT_SI_SJ_SK_E_clIPjSD_S10_SD_EESH_SX_SI_SJ_SK_EUlSX_E_NS1_11comp_targetILNS1_3genE5ELNS1_11target_archE942ELNS1_3gpuE9ELNS1_3repE0EEENS1_48merge_mergepath_partition_config_static_selectorELNS0_4arch9wavefront6targetE1EEEvSJ_.has_recursion, 0
	.set _ZN7rocprim17ROCPRIM_400000_NS6detail17trampoline_kernelINS0_14default_configENS1_38merge_sort_block_merge_config_selectorIjjEEZZNS1_27merge_sort_block_merge_implIS3_N6thrust23THRUST_200600_302600_NS6detail15normal_iteratorINS8_10device_ptrIjEEEESD_jNS1_19radix_merge_compareILb0ELb0EjNS0_19identity_decomposerEEEEE10hipError_tT0_T1_T2_jT3_P12ihipStream_tbPNSt15iterator_traitsISI_E10value_typeEPNSO_ISJ_E10value_typeEPSK_NS1_7vsmem_tEENKUlT_SI_SJ_SK_E_clIPjSD_S10_SD_EESH_SX_SI_SJ_SK_EUlSX_E_NS1_11comp_targetILNS1_3genE5ELNS1_11target_archE942ELNS1_3gpuE9ELNS1_3repE0EEENS1_48merge_mergepath_partition_config_static_selectorELNS0_4arch9wavefront6targetE1EEEvSJ_.has_indirect_call, 0
	.section	.AMDGPU.csdata,"",@progbits
; Kernel info:
; codeLenInByte = 0
; TotalNumSgprs: 6
; NumVgprs: 0
; NumAgprs: 0
; TotalNumVgprs: 0
; ScratchSize: 0
; MemoryBound: 0
; FloatMode: 240
; IeeeMode: 1
; LDSByteSize: 0 bytes/workgroup (compile time only)
; SGPRBlocks: 0
; VGPRBlocks: 0
; NumSGPRsForWavesPerEU: 6
; NumVGPRsForWavesPerEU: 1
; AccumOffset: 4
; Occupancy: 8
; WaveLimiterHint : 0
; COMPUTE_PGM_RSRC2:SCRATCH_EN: 0
; COMPUTE_PGM_RSRC2:USER_SGPR: 2
; COMPUTE_PGM_RSRC2:TRAP_HANDLER: 0
; COMPUTE_PGM_RSRC2:TGID_X_EN: 1
; COMPUTE_PGM_RSRC2:TGID_Y_EN: 0
; COMPUTE_PGM_RSRC2:TGID_Z_EN: 0
; COMPUTE_PGM_RSRC2:TIDIG_COMP_CNT: 0
; COMPUTE_PGM_RSRC3_GFX90A:ACCUM_OFFSET: 0
; COMPUTE_PGM_RSRC3_GFX90A:TG_SPLIT: 0
	.section	.text._ZN7rocprim17ROCPRIM_400000_NS6detail17trampoline_kernelINS0_14default_configENS1_38merge_sort_block_merge_config_selectorIjjEEZZNS1_27merge_sort_block_merge_implIS3_N6thrust23THRUST_200600_302600_NS6detail15normal_iteratorINS8_10device_ptrIjEEEESD_jNS1_19radix_merge_compareILb0ELb0EjNS0_19identity_decomposerEEEEE10hipError_tT0_T1_T2_jT3_P12ihipStream_tbPNSt15iterator_traitsISI_E10value_typeEPNSO_ISJ_E10value_typeEPSK_NS1_7vsmem_tEENKUlT_SI_SJ_SK_E_clIPjSD_S10_SD_EESH_SX_SI_SJ_SK_EUlSX_E_NS1_11comp_targetILNS1_3genE4ELNS1_11target_archE910ELNS1_3gpuE8ELNS1_3repE0EEENS1_48merge_mergepath_partition_config_static_selectorELNS0_4arch9wavefront6targetE1EEEvSJ_,"axG",@progbits,_ZN7rocprim17ROCPRIM_400000_NS6detail17trampoline_kernelINS0_14default_configENS1_38merge_sort_block_merge_config_selectorIjjEEZZNS1_27merge_sort_block_merge_implIS3_N6thrust23THRUST_200600_302600_NS6detail15normal_iteratorINS8_10device_ptrIjEEEESD_jNS1_19radix_merge_compareILb0ELb0EjNS0_19identity_decomposerEEEEE10hipError_tT0_T1_T2_jT3_P12ihipStream_tbPNSt15iterator_traitsISI_E10value_typeEPNSO_ISJ_E10value_typeEPSK_NS1_7vsmem_tEENKUlT_SI_SJ_SK_E_clIPjSD_S10_SD_EESH_SX_SI_SJ_SK_EUlSX_E_NS1_11comp_targetILNS1_3genE4ELNS1_11target_archE910ELNS1_3gpuE8ELNS1_3repE0EEENS1_48merge_mergepath_partition_config_static_selectorELNS0_4arch9wavefront6targetE1EEEvSJ_,comdat
	.protected	_ZN7rocprim17ROCPRIM_400000_NS6detail17trampoline_kernelINS0_14default_configENS1_38merge_sort_block_merge_config_selectorIjjEEZZNS1_27merge_sort_block_merge_implIS3_N6thrust23THRUST_200600_302600_NS6detail15normal_iteratorINS8_10device_ptrIjEEEESD_jNS1_19radix_merge_compareILb0ELb0EjNS0_19identity_decomposerEEEEE10hipError_tT0_T1_T2_jT3_P12ihipStream_tbPNSt15iterator_traitsISI_E10value_typeEPNSO_ISJ_E10value_typeEPSK_NS1_7vsmem_tEENKUlT_SI_SJ_SK_E_clIPjSD_S10_SD_EESH_SX_SI_SJ_SK_EUlSX_E_NS1_11comp_targetILNS1_3genE4ELNS1_11target_archE910ELNS1_3gpuE8ELNS1_3repE0EEENS1_48merge_mergepath_partition_config_static_selectorELNS0_4arch9wavefront6targetE1EEEvSJ_ ; -- Begin function _ZN7rocprim17ROCPRIM_400000_NS6detail17trampoline_kernelINS0_14default_configENS1_38merge_sort_block_merge_config_selectorIjjEEZZNS1_27merge_sort_block_merge_implIS3_N6thrust23THRUST_200600_302600_NS6detail15normal_iteratorINS8_10device_ptrIjEEEESD_jNS1_19radix_merge_compareILb0ELb0EjNS0_19identity_decomposerEEEEE10hipError_tT0_T1_T2_jT3_P12ihipStream_tbPNSt15iterator_traitsISI_E10value_typeEPNSO_ISJ_E10value_typeEPSK_NS1_7vsmem_tEENKUlT_SI_SJ_SK_E_clIPjSD_S10_SD_EESH_SX_SI_SJ_SK_EUlSX_E_NS1_11comp_targetILNS1_3genE4ELNS1_11target_archE910ELNS1_3gpuE8ELNS1_3repE0EEENS1_48merge_mergepath_partition_config_static_selectorELNS0_4arch9wavefront6targetE1EEEvSJ_
	.globl	_ZN7rocprim17ROCPRIM_400000_NS6detail17trampoline_kernelINS0_14default_configENS1_38merge_sort_block_merge_config_selectorIjjEEZZNS1_27merge_sort_block_merge_implIS3_N6thrust23THRUST_200600_302600_NS6detail15normal_iteratorINS8_10device_ptrIjEEEESD_jNS1_19radix_merge_compareILb0ELb0EjNS0_19identity_decomposerEEEEE10hipError_tT0_T1_T2_jT3_P12ihipStream_tbPNSt15iterator_traitsISI_E10value_typeEPNSO_ISJ_E10value_typeEPSK_NS1_7vsmem_tEENKUlT_SI_SJ_SK_E_clIPjSD_S10_SD_EESH_SX_SI_SJ_SK_EUlSX_E_NS1_11comp_targetILNS1_3genE4ELNS1_11target_archE910ELNS1_3gpuE8ELNS1_3repE0EEENS1_48merge_mergepath_partition_config_static_selectorELNS0_4arch9wavefront6targetE1EEEvSJ_
	.p2align	8
	.type	_ZN7rocprim17ROCPRIM_400000_NS6detail17trampoline_kernelINS0_14default_configENS1_38merge_sort_block_merge_config_selectorIjjEEZZNS1_27merge_sort_block_merge_implIS3_N6thrust23THRUST_200600_302600_NS6detail15normal_iteratorINS8_10device_ptrIjEEEESD_jNS1_19radix_merge_compareILb0ELb0EjNS0_19identity_decomposerEEEEE10hipError_tT0_T1_T2_jT3_P12ihipStream_tbPNSt15iterator_traitsISI_E10value_typeEPNSO_ISJ_E10value_typeEPSK_NS1_7vsmem_tEENKUlT_SI_SJ_SK_E_clIPjSD_S10_SD_EESH_SX_SI_SJ_SK_EUlSX_E_NS1_11comp_targetILNS1_3genE4ELNS1_11target_archE910ELNS1_3gpuE8ELNS1_3repE0EEENS1_48merge_mergepath_partition_config_static_selectorELNS0_4arch9wavefront6targetE1EEEvSJ_,@function
_ZN7rocprim17ROCPRIM_400000_NS6detail17trampoline_kernelINS0_14default_configENS1_38merge_sort_block_merge_config_selectorIjjEEZZNS1_27merge_sort_block_merge_implIS3_N6thrust23THRUST_200600_302600_NS6detail15normal_iteratorINS8_10device_ptrIjEEEESD_jNS1_19radix_merge_compareILb0ELb0EjNS0_19identity_decomposerEEEEE10hipError_tT0_T1_T2_jT3_P12ihipStream_tbPNSt15iterator_traitsISI_E10value_typeEPNSO_ISJ_E10value_typeEPSK_NS1_7vsmem_tEENKUlT_SI_SJ_SK_E_clIPjSD_S10_SD_EESH_SX_SI_SJ_SK_EUlSX_E_NS1_11comp_targetILNS1_3genE4ELNS1_11target_archE910ELNS1_3gpuE8ELNS1_3repE0EEENS1_48merge_mergepath_partition_config_static_selectorELNS0_4arch9wavefront6targetE1EEEvSJ_: ; @_ZN7rocprim17ROCPRIM_400000_NS6detail17trampoline_kernelINS0_14default_configENS1_38merge_sort_block_merge_config_selectorIjjEEZZNS1_27merge_sort_block_merge_implIS3_N6thrust23THRUST_200600_302600_NS6detail15normal_iteratorINS8_10device_ptrIjEEEESD_jNS1_19radix_merge_compareILb0ELb0EjNS0_19identity_decomposerEEEEE10hipError_tT0_T1_T2_jT3_P12ihipStream_tbPNSt15iterator_traitsISI_E10value_typeEPNSO_ISJ_E10value_typeEPSK_NS1_7vsmem_tEENKUlT_SI_SJ_SK_E_clIPjSD_S10_SD_EESH_SX_SI_SJ_SK_EUlSX_E_NS1_11comp_targetILNS1_3genE4ELNS1_11target_archE910ELNS1_3gpuE8ELNS1_3repE0EEENS1_48merge_mergepath_partition_config_static_selectorELNS0_4arch9wavefront6targetE1EEEvSJ_
; %bb.0:
	.section	.rodata,"a",@progbits
	.p2align	6, 0x0
	.amdhsa_kernel _ZN7rocprim17ROCPRIM_400000_NS6detail17trampoline_kernelINS0_14default_configENS1_38merge_sort_block_merge_config_selectorIjjEEZZNS1_27merge_sort_block_merge_implIS3_N6thrust23THRUST_200600_302600_NS6detail15normal_iteratorINS8_10device_ptrIjEEEESD_jNS1_19radix_merge_compareILb0ELb0EjNS0_19identity_decomposerEEEEE10hipError_tT0_T1_T2_jT3_P12ihipStream_tbPNSt15iterator_traitsISI_E10value_typeEPNSO_ISJ_E10value_typeEPSK_NS1_7vsmem_tEENKUlT_SI_SJ_SK_E_clIPjSD_S10_SD_EESH_SX_SI_SJ_SK_EUlSX_E_NS1_11comp_targetILNS1_3genE4ELNS1_11target_archE910ELNS1_3gpuE8ELNS1_3repE0EEENS1_48merge_mergepath_partition_config_static_selectorELNS0_4arch9wavefront6targetE1EEEvSJ_
		.amdhsa_group_segment_fixed_size 0
		.amdhsa_private_segment_fixed_size 0
		.amdhsa_kernarg_size 40
		.amdhsa_user_sgpr_count 2
		.amdhsa_user_sgpr_dispatch_ptr 0
		.amdhsa_user_sgpr_queue_ptr 0
		.amdhsa_user_sgpr_kernarg_segment_ptr 1
		.amdhsa_user_sgpr_dispatch_id 0
		.amdhsa_user_sgpr_kernarg_preload_length 0
		.amdhsa_user_sgpr_kernarg_preload_offset 0
		.amdhsa_user_sgpr_private_segment_size 0
		.amdhsa_uses_dynamic_stack 0
		.amdhsa_enable_private_segment 0
		.amdhsa_system_sgpr_workgroup_id_x 1
		.amdhsa_system_sgpr_workgroup_id_y 0
		.amdhsa_system_sgpr_workgroup_id_z 0
		.amdhsa_system_sgpr_workgroup_info 0
		.amdhsa_system_vgpr_workitem_id 0
		.amdhsa_next_free_vgpr 1
		.amdhsa_next_free_sgpr 0
		.amdhsa_accum_offset 4
		.amdhsa_reserve_vcc 0
		.amdhsa_float_round_mode_32 0
		.amdhsa_float_round_mode_16_64 0
		.amdhsa_float_denorm_mode_32 3
		.amdhsa_float_denorm_mode_16_64 3
		.amdhsa_dx10_clamp 1
		.amdhsa_ieee_mode 1
		.amdhsa_fp16_overflow 0
		.amdhsa_tg_split 0
		.amdhsa_exception_fp_ieee_invalid_op 0
		.amdhsa_exception_fp_denorm_src 0
		.amdhsa_exception_fp_ieee_div_zero 0
		.amdhsa_exception_fp_ieee_overflow 0
		.amdhsa_exception_fp_ieee_underflow 0
		.amdhsa_exception_fp_ieee_inexact 0
		.amdhsa_exception_int_div_zero 0
	.end_amdhsa_kernel
	.section	.text._ZN7rocprim17ROCPRIM_400000_NS6detail17trampoline_kernelINS0_14default_configENS1_38merge_sort_block_merge_config_selectorIjjEEZZNS1_27merge_sort_block_merge_implIS3_N6thrust23THRUST_200600_302600_NS6detail15normal_iteratorINS8_10device_ptrIjEEEESD_jNS1_19radix_merge_compareILb0ELb0EjNS0_19identity_decomposerEEEEE10hipError_tT0_T1_T2_jT3_P12ihipStream_tbPNSt15iterator_traitsISI_E10value_typeEPNSO_ISJ_E10value_typeEPSK_NS1_7vsmem_tEENKUlT_SI_SJ_SK_E_clIPjSD_S10_SD_EESH_SX_SI_SJ_SK_EUlSX_E_NS1_11comp_targetILNS1_3genE4ELNS1_11target_archE910ELNS1_3gpuE8ELNS1_3repE0EEENS1_48merge_mergepath_partition_config_static_selectorELNS0_4arch9wavefront6targetE1EEEvSJ_,"axG",@progbits,_ZN7rocprim17ROCPRIM_400000_NS6detail17trampoline_kernelINS0_14default_configENS1_38merge_sort_block_merge_config_selectorIjjEEZZNS1_27merge_sort_block_merge_implIS3_N6thrust23THRUST_200600_302600_NS6detail15normal_iteratorINS8_10device_ptrIjEEEESD_jNS1_19radix_merge_compareILb0ELb0EjNS0_19identity_decomposerEEEEE10hipError_tT0_T1_T2_jT3_P12ihipStream_tbPNSt15iterator_traitsISI_E10value_typeEPNSO_ISJ_E10value_typeEPSK_NS1_7vsmem_tEENKUlT_SI_SJ_SK_E_clIPjSD_S10_SD_EESH_SX_SI_SJ_SK_EUlSX_E_NS1_11comp_targetILNS1_3genE4ELNS1_11target_archE910ELNS1_3gpuE8ELNS1_3repE0EEENS1_48merge_mergepath_partition_config_static_selectorELNS0_4arch9wavefront6targetE1EEEvSJ_,comdat
.Lfunc_end622:
	.size	_ZN7rocprim17ROCPRIM_400000_NS6detail17trampoline_kernelINS0_14default_configENS1_38merge_sort_block_merge_config_selectorIjjEEZZNS1_27merge_sort_block_merge_implIS3_N6thrust23THRUST_200600_302600_NS6detail15normal_iteratorINS8_10device_ptrIjEEEESD_jNS1_19radix_merge_compareILb0ELb0EjNS0_19identity_decomposerEEEEE10hipError_tT0_T1_T2_jT3_P12ihipStream_tbPNSt15iterator_traitsISI_E10value_typeEPNSO_ISJ_E10value_typeEPSK_NS1_7vsmem_tEENKUlT_SI_SJ_SK_E_clIPjSD_S10_SD_EESH_SX_SI_SJ_SK_EUlSX_E_NS1_11comp_targetILNS1_3genE4ELNS1_11target_archE910ELNS1_3gpuE8ELNS1_3repE0EEENS1_48merge_mergepath_partition_config_static_selectorELNS0_4arch9wavefront6targetE1EEEvSJ_, .Lfunc_end622-_ZN7rocprim17ROCPRIM_400000_NS6detail17trampoline_kernelINS0_14default_configENS1_38merge_sort_block_merge_config_selectorIjjEEZZNS1_27merge_sort_block_merge_implIS3_N6thrust23THRUST_200600_302600_NS6detail15normal_iteratorINS8_10device_ptrIjEEEESD_jNS1_19radix_merge_compareILb0ELb0EjNS0_19identity_decomposerEEEEE10hipError_tT0_T1_T2_jT3_P12ihipStream_tbPNSt15iterator_traitsISI_E10value_typeEPNSO_ISJ_E10value_typeEPSK_NS1_7vsmem_tEENKUlT_SI_SJ_SK_E_clIPjSD_S10_SD_EESH_SX_SI_SJ_SK_EUlSX_E_NS1_11comp_targetILNS1_3genE4ELNS1_11target_archE910ELNS1_3gpuE8ELNS1_3repE0EEENS1_48merge_mergepath_partition_config_static_selectorELNS0_4arch9wavefront6targetE1EEEvSJ_
                                        ; -- End function
	.set _ZN7rocprim17ROCPRIM_400000_NS6detail17trampoline_kernelINS0_14default_configENS1_38merge_sort_block_merge_config_selectorIjjEEZZNS1_27merge_sort_block_merge_implIS3_N6thrust23THRUST_200600_302600_NS6detail15normal_iteratorINS8_10device_ptrIjEEEESD_jNS1_19radix_merge_compareILb0ELb0EjNS0_19identity_decomposerEEEEE10hipError_tT0_T1_T2_jT3_P12ihipStream_tbPNSt15iterator_traitsISI_E10value_typeEPNSO_ISJ_E10value_typeEPSK_NS1_7vsmem_tEENKUlT_SI_SJ_SK_E_clIPjSD_S10_SD_EESH_SX_SI_SJ_SK_EUlSX_E_NS1_11comp_targetILNS1_3genE4ELNS1_11target_archE910ELNS1_3gpuE8ELNS1_3repE0EEENS1_48merge_mergepath_partition_config_static_selectorELNS0_4arch9wavefront6targetE1EEEvSJ_.num_vgpr, 0
	.set _ZN7rocprim17ROCPRIM_400000_NS6detail17trampoline_kernelINS0_14default_configENS1_38merge_sort_block_merge_config_selectorIjjEEZZNS1_27merge_sort_block_merge_implIS3_N6thrust23THRUST_200600_302600_NS6detail15normal_iteratorINS8_10device_ptrIjEEEESD_jNS1_19radix_merge_compareILb0ELb0EjNS0_19identity_decomposerEEEEE10hipError_tT0_T1_T2_jT3_P12ihipStream_tbPNSt15iterator_traitsISI_E10value_typeEPNSO_ISJ_E10value_typeEPSK_NS1_7vsmem_tEENKUlT_SI_SJ_SK_E_clIPjSD_S10_SD_EESH_SX_SI_SJ_SK_EUlSX_E_NS1_11comp_targetILNS1_3genE4ELNS1_11target_archE910ELNS1_3gpuE8ELNS1_3repE0EEENS1_48merge_mergepath_partition_config_static_selectorELNS0_4arch9wavefront6targetE1EEEvSJ_.num_agpr, 0
	.set _ZN7rocprim17ROCPRIM_400000_NS6detail17trampoline_kernelINS0_14default_configENS1_38merge_sort_block_merge_config_selectorIjjEEZZNS1_27merge_sort_block_merge_implIS3_N6thrust23THRUST_200600_302600_NS6detail15normal_iteratorINS8_10device_ptrIjEEEESD_jNS1_19radix_merge_compareILb0ELb0EjNS0_19identity_decomposerEEEEE10hipError_tT0_T1_T2_jT3_P12ihipStream_tbPNSt15iterator_traitsISI_E10value_typeEPNSO_ISJ_E10value_typeEPSK_NS1_7vsmem_tEENKUlT_SI_SJ_SK_E_clIPjSD_S10_SD_EESH_SX_SI_SJ_SK_EUlSX_E_NS1_11comp_targetILNS1_3genE4ELNS1_11target_archE910ELNS1_3gpuE8ELNS1_3repE0EEENS1_48merge_mergepath_partition_config_static_selectorELNS0_4arch9wavefront6targetE1EEEvSJ_.numbered_sgpr, 0
	.set _ZN7rocprim17ROCPRIM_400000_NS6detail17trampoline_kernelINS0_14default_configENS1_38merge_sort_block_merge_config_selectorIjjEEZZNS1_27merge_sort_block_merge_implIS3_N6thrust23THRUST_200600_302600_NS6detail15normal_iteratorINS8_10device_ptrIjEEEESD_jNS1_19radix_merge_compareILb0ELb0EjNS0_19identity_decomposerEEEEE10hipError_tT0_T1_T2_jT3_P12ihipStream_tbPNSt15iterator_traitsISI_E10value_typeEPNSO_ISJ_E10value_typeEPSK_NS1_7vsmem_tEENKUlT_SI_SJ_SK_E_clIPjSD_S10_SD_EESH_SX_SI_SJ_SK_EUlSX_E_NS1_11comp_targetILNS1_3genE4ELNS1_11target_archE910ELNS1_3gpuE8ELNS1_3repE0EEENS1_48merge_mergepath_partition_config_static_selectorELNS0_4arch9wavefront6targetE1EEEvSJ_.num_named_barrier, 0
	.set _ZN7rocprim17ROCPRIM_400000_NS6detail17trampoline_kernelINS0_14default_configENS1_38merge_sort_block_merge_config_selectorIjjEEZZNS1_27merge_sort_block_merge_implIS3_N6thrust23THRUST_200600_302600_NS6detail15normal_iteratorINS8_10device_ptrIjEEEESD_jNS1_19radix_merge_compareILb0ELb0EjNS0_19identity_decomposerEEEEE10hipError_tT0_T1_T2_jT3_P12ihipStream_tbPNSt15iterator_traitsISI_E10value_typeEPNSO_ISJ_E10value_typeEPSK_NS1_7vsmem_tEENKUlT_SI_SJ_SK_E_clIPjSD_S10_SD_EESH_SX_SI_SJ_SK_EUlSX_E_NS1_11comp_targetILNS1_3genE4ELNS1_11target_archE910ELNS1_3gpuE8ELNS1_3repE0EEENS1_48merge_mergepath_partition_config_static_selectorELNS0_4arch9wavefront6targetE1EEEvSJ_.private_seg_size, 0
	.set _ZN7rocprim17ROCPRIM_400000_NS6detail17trampoline_kernelINS0_14default_configENS1_38merge_sort_block_merge_config_selectorIjjEEZZNS1_27merge_sort_block_merge_implIS3_N6thrust23THRUST_200600_302600_NS6detail15normal_iteratorINS8_10device_ptrIjEEEESD_jNS1_19radix_merge_compareILb0ELb0EjNS0_19identity_decomposerEEEEE10hipError_tT0_T1_T2_jT3_P12ihipStream_tbPNSt15iterator_traitsISI_E10value_typeEPNSO_ISJ_E10value_typeEPSK_NS1_7vsmem_tEENKUlT_SI_SJ_SK_E_clIPjSD_S10_SD_EESH_SX_SI_SJ_SK_EUlSX_E_NS1_11comp_targetILNS1_3genE4ELNS1_11target_archE910ELNS1_3gpuE8ELNS1_3repE0EEENS1_48merge_mergepath_partition_config_static_selectorELNS0_4arch9wavefront6targetE1EEEvSJ_.uses_vcc, 0
	.set _ZN7rocprim17ROCPRIM_400000_NS6detail17trampoline_kernelINS0_14default_configENS1_38merge_sort_block_merge_config_selectorIjjEEZZNS1_27merge_sort_block_merge_implIS3_N6thrust23THRUST_200600_302600_NS6detail15normal_iteratorINS8_10device_ptrIjEEEESD_jNS1_19radix_merge_compareILb0ELb0EjNS0_19identity_decomposerEEEEE10hipError_tT0_T1_T2_jT3_P12ihipStream_tbPNSt15iterator_traitsISI_E10value_typeEPNSO_ISJ_E10value_typeEPSK_NS1_7vsmem_tEENKUlT_SI_SJ_SK_E_clIPjSD_S10_SD_EESH_SX_SI_SJ_SK_EUlSX_E_NS1_11comp_targetILNS1_3genE4ELNS1_11target_archE910ELNS1_3gpuE8ELNS1_3repE0EEENS1_48merge_mergepath_partition_config_static_selectorELNS0_4arch9wavefront6targetE1EEEvSJ_.uses_flat_scratch, 0
	.set _ZN7rocprim17ROCPRIM_400000_NS6detail17trampoline_kernelINS0_14default_configENS1_38merge_sort_block_merge_config_selectorIjjEEZZNS1_27merge_sort_block_merge_implIS3_N6thrust23THRUST_200600_302600_NS6detail15normal_iteratorINS8_10device_ptrIjEEEESD_jNS1_19radix_merge_compareILb0ELb0EjNS0_19identity_decomposerEEEEE10hipError_tT0_T1_T2_jT3_P12ihipStream_tbPNSt15iterator_traitsISI_E10value_typeEPNSO_ISJ_E10value_typeEPSK_NS1_7vsmem_tEENKUlT_SI_SJ_SK_E_clIPjSD_S10_SD_EESH_SX_SI_SJ_SK_EUlSX_E_NS1_11comp_targetILNS1_3genE4ELNS1_11target_archE910ELNS1_3gpuE8ELNS1_3repE0EEENS1_48merge_mergepath_partition_config_static_selectorELNS0_4arch9wavefront6targetE1EEEvSJ_.has_dyn_sized_stack, 0
	.set _ZN7rocprim17ROCPRIM_400000_NS6detail17trampoline_kernelINS0_14default_configENS1_38merge_sort_block_merge_config_selectorIjjEEZZNS1_27merge_sort_block_merge_implIS3_N6thrust23THRUST_200600_302600_NS6detail15normal_iteratorINS8_10device_ptrIjEEEESD_jNS1_19radix_merge_compareILb0ELb0EjNS0_19identity_decomposerEEEEE10hipError_tT0_T1_T2_jT3_P12ihipStream_tbPNSt15iterator_traitsISI_E10value_typeEPNSO_ISJ_E10value_typeEPSK_NS1_7vsmem_tEENKUlT_SI_SJ_SK_E_clIPjSD_S10_SD_EESH_SX_SI_SJ_SK_EUlSX_E_NS1_11comp_targetILNS1_3genE4ELNS1_11target_archE910ELNS1_3gpuE8ELNS1_3repE0EEENS1_48merge_mergepath_partition_config_static_selectorELNS0_4arch9wavefront6targetE1EEEvSJ_.has_recursion, 0
	.set _ZN7rocprim17ROCPRIM_400000_NS6detail17trampoline_kernelINS0_14default_configENS1_38merge_sort_block_merge_config_selectorIjjEEZZNS1_27merge_sort_block_merge_implIS3_N6thrust23THRUST_200600_302600_NS6detail15normal_iteratorINS8_10device_ptrIjEEEESD_jNS1_19radix_merge_compareILb0ELb0EjNS0_19identity_decomposerEEEEE10hipError_tT0_T1_T2_jT3_P12ihipStream_tbPNSt15iterator_traitsISI_E10value_typeEPNSO_ISJ_E10value_typeEPSK_NS1_7vsmem_tEENKUlT_SI_SJ_SK_E_clIPjSD_S10_SD_EESH_SX_SI_SJ_SK_EUlSX_E_NS1_11comp_targetILNS1_3genE4ELNS1_11target_archE910ELNS1_3gpuE8ELNS1_3repE0EEENS1_48merge_mergepath_partition_config_static_selectorELNS0_4arch9wavefront6targetE1EEEvSJ_.has_indirect_call, 0
	.section	.AMDGPU.csdata,"",@progbits
; Kernel info:
; codeLenInByte = 0
; TotalNumSgprs: 6
; NumVgprs: 0
; NumAgprs: 0
; TotalNumVgprs: 0
; ScratchSize: 0
; MemoryBound: 0
; FloatMode: 240
; IeeeMode: 1
; LDSByteSize: 0 bytes/workgroup (compile time only)
; SGPRBlocks: 0
; VGPRBlocks: 0
; NumSGPRsForWavesPerEU: 6
; NumVGPRsForWavesPerEU: 1
; AccumOffset: 4
; Occupancy: 8
; WaveLimiterHint : 0
; COMPUTE_PGM_RSRC2:SCRATCH_EN: 0
; COMPUTE_PGM_RSRC2:USER_SGPR: 2
; COMPUTE_PGM_RSRC2:TRAP_HANDLER: 0
; COMPUTE_PGM_RSRC2:TGID_X_EN: 1
; COMPUTE_PGM_RSRC2:TGID_Y_EN: 0
; COMPUTE_PGM_RSRC2:TGID_Z_EN: 0
; COMPUTE_PGM_RSRC2:TIDIG_COMP_CNT: 0
; COMPUTE_PGM_RSRC3_GFX90A:ACCUM_OFFSET: 0
; COMPUTE_PGM_RSRC3_GFX90A:TG_SPLIT: 0
	.section	.text._ZN7rocprim17ROCPRIM_400000_NS6detail17trampoline_kernelINS0_14default_configENS1_38merge_sort_block_merge_config_selectorIjjEEZZNS1_27merge_sort_block_merge_implIS3_N6thrust23THRUST_200600_302600_NS6detail15normal_iteratorINS8_10device_ptrIjEEEESD_jNS1_19radix_merge_compareILb0ELb0EjNS0_19identity_decomposerEEEEE10hipError_tT0_T1_T2_jT3_P12ihipStream_tbPNSt15iterator_traitsISI_E10value_typeEPNSO_ISJ_E10value_typeEPSK_NS1_7vsmem_tEENKUlT_SI_SJ_SK_E_clIPjSD_S10_SD_EESH_SX_SI_SJ_SK_EUlSX_E_NS1_11comp_targetILNS1_3genE3ELNS1_11target_archE908ELNS1_3gpuE7ELNS1_3repE0EEENS1_48merge_mergepath_partition_config_static_selectorELNS0_4arch9wavefront6targetE1EEEvSJ_,"axG",@progbits,_ZN7rocprim17ROCPRIM_400000_NS6detail17trampoline_kernelINS0_14default_configENS1_38merge_sort_block_merge_config_selectorIjjEEZZNS1_27merge_sort_block_merge_implIS3_N6thrust23THRUST_200600_302600_NS6detail15normal_iteratorINS8_10device_ptrIjEEEESD_jNS1_19radix_merge_compareILb0ELb0EjNS0_19identity_decomposerEEEEE10hipError_tT0_T1_T2_jT3_P12ihipStream_tbPNSt15iterator_traitsISI_E10value_typeEPNSO_ISJ_E10value_typeEPSK_NS1_7vsmem_tEENKUlT_SI_SJ_SK_E_clIPjSD_S10_SD_EESH_SX_SI_SJ_SK_EUlSX_E_NS1_11comp_targetILNS1_3genE3ELNS1_11target_archE908ELNS1_3gpuE7ELNS1_3repE0EEENS1_48merge_mergepath_partition_config_static_selectorELNS0_4arch9wavefront6targetE1EEEvSJ_,comdat
	.protected	_ZN7rocprim17ROCPRIM_400000_NS6detail17trampoline_kernelINS0_14default_configENS1_38merge_sort_block_merge_config_selectorIjjEEZZNS1_27merge_sort_block_merge_implIS3_N6thrust23THRUST_200600_302600_NS6detail15normal_iteratorINS8_10device_ptrIjEEEESD_jNS1_19radix_merge_compareILb0ELb0EjNS0_19identity_decomposerEEEEE10hipError_tT0_T1_T2_jT3_P12ihipStream_tbPNSt15iterator_traitsISI_E10value_typeEPNSO_ISJ_E10value_typeEPSK_NS1_7vsmem_tEENKUlT_SI_SJ_SK_E_clIPjSD_S10_SD_EESH_SX_SI_SJ_SK_EUlSX_E_NS1_11comp_targetILNS1_3genE3ELNS1_11target_archE908ELNS1_3gpuE7ELNS1_3repE0EEENS1_48merge_mergepath_partition_config_static_selectorELNS0_4arch9wavefront6targetE1EEEvSJ_ ; -- Begin function _ZN7rocprim17ROCPRIM_400000_NS6detail17trampoline_kernelINS0_14default_configENS1_38merge_sort_block_merge_config_selectorIjjEEZZNS1_27merge_sort_block_merge_implIS3_N6thrust23THRUST_200600_302600_NS6detail15normal_iteratorINS8_10device_ptrIjEEEESD_jNS1_19radix_merge_compareILb0ELb0EjNS0_19identity_decomposerEEEEE10hipError_tT0_T1_T2_jT3_P12ihipStream_tbPNSt15iterator_traitsISI_E10value_typeEPNSO_ISJ_E10value_typeEPSK_NS1_7vsmem_tEENKUlT_SI_SJ_SK_E_clIPjSD_S10_SD_EESH_SX_SI_SJ_SK_EUlSX_E_NS1_11comp_targetILNS1_3genE3ELNS1_11target_archE908ELNS1_3gpuE7ELNS1_3repE0EEENS1_48merge_mergepath_partition_config_static_selectorELNS0_4arch9wavefront6targetE1EEEvSJ_
	.globl	_ZN7rocprim17ROCPRIM_400000_NS6detail17trampoline_kernelINS0_14default_configENS1_38merge_sort_block_merge_config_selectorIjjEEZZNS1_27merge_sort_block_merge_implIS3_N6thrust23THRUST_200600_302600_NS6detail15normal_iteratorINS8_10device_ptrIjEEEESD_jNS1_19radix_merge_compareILb0ELb0EjNS0_19identity_decomposerEEEEE10hipError_tT0_T1_T2_jT3_P12ihipStream_tbPNSt15iterator_traitsISI_E10value_typeEPNSO_ISJ_E10value_typeEPSK_NS1_7vsmem_tEENKUlT_SI_SJ_SK_E_clIPjSD_S10_SD_EESH_SX_SI_SJ_SK_EUlSX_E_NS1_11comp_targetILNS1_3genE3ELNS1_11target_archE908ELNS1_3gpuE7ELNS1_3repE0EEENS1_48merge_mergepath_partition_config_static_selectorELNS0_4arch9wavefront6targetE1EEEvSJ_
	.p2align	8
	.type	_ZN7rocprim17ROCPRIM_400000_NS6detail17trampoline_kernelINS0_14default_configENS1_38merge_sort_block_merge_config_selectorIjjEEZZNS1_27merge_sort_block_merge_implIS3_N6thrust23THRUST_200600_302600_NS6detail15normal_iteratorINS8_10device_ptrIjEEEESD_jNS1_19radix_merge_compareILb0ELb0EjNS0_19identity_decomposerEEEEE10hipError_tT0_T1_T2_jT3_P12ihipStream_tbPNSt15iterator_traitsISI_E10value_typeEPNSO_ISJ_E10value_typeEPSK_NS1_7vsmem_tEENKUlT_SI_SJ_SK_E_clIPjSD_S10_SD_EESH_SX_SI_SJ_SK_EUlSX_E_NS1_11comp_targetILNS1_3genE3ELNS1_11target_archE908ELNS1_3gpuE7ELNS1_3repE0EEENS1_48merge_mergepath_partition_config_static_selectorELNS0_4arch9wavefront6targetE1EEEvSJ_,@function
_ZN7rocprim17ROCPRIM_400000_NS6detail17trampoline_kernelINS0_14default_configENS1_38merge_sort_block_merge_config_selectorIjjEEZZNS1_27merge_sort_block_merge_implIS3_N6thrust23THRUST_200600_302600_NS6detail15normal_iteratorINS8_10device_ptrIjEEEESD_jNS1_19radix_merge_compareILb0ELb0EjNS0_19identity_decomposerEEEEE10hipError_tT0_T1_T2_jT3_P12ihipStream_tbPNSt15iterator_traitsISI_E10value_typeEPNSO_ISJ_E10value_typeEPSK_NS1_7vsmem_tEENKUlT_SI_SJ_SK_E_clIPjSD_S10_SD_EESH_SX_SI_SJ_SK_EUlSX_E_NS1_11comp_targetILNS1_3genE3ELNS1_11target_archE908ELNS1_3gpuE7ELNS1_3repE0EEENS1_48merge_mergepath_partition_config_static_selectorELNS0_4arch9wavefront6targetE1EEEvSJ_: ; @_ZN7rocprim17ROCPRIM_400000_NS6detail17trampoline_kernelINS0_14default_configENS1_38merge_sort_block_merge_config_selectorIjjEEZZNS1_27merge_sort_block_merge_implIS3_N6thrust23THRUST_200600_302600_NS6detail15normal_iteratorINS8_10device_ptrIjEEEESD_jNS1_19radix_merge_compareILb0ELb0EjNS0_19identity_decomposerEEEEE10hipError_tT0_T1_T2_jT3_P12ihipStream_tbPNSt15iterator_traitsISI_E10value_typeEPNSO_ISJ_E10value_typeEPSK_NS1_7vsmem_tEENKUlT_SI_SJ_SK_E_clIPjSD_S10_SD_EESH_SX_SI_SJ_SK_EUlSX_E_NS1_11comp_targetILNS1_3genE3ELNS1_11target_archE908ELNS1_3gpuE7ELNS1_3repE0EEENS1_48merge_mergepath_partition_config_static_selectorELNS0_4arch9wavefront6targetE1EEEvSJ_
; %bb.0:
	.section	.rodata,"a",@progbits
	.p2align	6, 0x0
	.amdhsa_kernel _ZN7rocprim17ROCPRIM_400000_NS6detail17trampoline_kernelINS0_14default_configENS1_38merge_sort_block_merge_config_selectorIjjEEZZNS1_27merge_sort_block_merge_implIS3_N6thrust23THRUST_200600_302600_NS6detail15normal_iteratorINS8_10device_ptrIjEEEESD_jNS1_19radix_merge_compareILb0ELb0EjNS0_19identity_decomposerEEEEE10hipError_tT0_T1_T2_jT3_P12ihipStream_tbPNSt15iterator_traitsISI_E10value_typeEPNSO_ISJ_E10value_typeEPSK_NS1_7vsmem_tEENKUlT_SI_SJ_SK_E_clIPjSD_S10_SD_EESH_SX_SI_SJ_SK_EUlSX_E_NS1_11comp_targetILNS1_3genE3ELNS1_11target_archE908ELNS1_3gpuE7ELNS1_3repE0EEENS1_48merge_mergepath_partition_config_static_selectorELNS0_4arch9wavefront6targetE1EEEvSJ_
		.amdhsa_group_segment_fixed_size 0
		.amdhsa_private_segment_fixed_size 0
		.amdhsa_kernarg_size 40
		.amdhsa_user_sgpr_count 2
		.amdhsa_user_sgpr_dispatch_ptr 0
		.amdhsa_user_sgpr_queue_ptr 0
		.amdhsa_user_sgpr_kernarg_segment_ptr 1
		.amdhsa_user_sgpr_dispatch_id 0
		.amdhsa_user_sgpr_kernarg_preload_length 0
		.amdhsa_user_sgpr_kernarg_preload_offset 0
		.amdhsa_user_sgpr_private_segment_size 0
		.amdhsa_uses_dynamic_stack 0
		.amdhsa_enable_private_segment 0
		.amdhsa_system_sgpr_workgroup_id_x 1
		.amdhsa_system_sgpr_workgroup_id_y 0
		.amdhsa_system_sgpr_workgroup_id_z 0
		.amdhsa_system_sgpr_workgroup_info 0
		.amdhsa_system_vgpr_workitem_id 0
		.amdhsa_next_free_vgpr 1
		.amdhsa_next_free_sgpr 0
		.amdhsa_accum_offset 4
		.amdhsa_reserve_vcc 0
		.amdhsa_float_round_mode_32 0
		.amdhsa_float_round_mode_16_64 0
		.amdhsa_float_denorm_mode_32 3
		.amdhsa_float_denorm_mode_16_64 3
		.amdhsa_dx10_clamp 1
		.amdhsa_ieee_mode 1
		.amdhsa_fp16_overflow 0
		.amdhsa_tg_split 0
		.amdhsa_exception_fp_ieee_invalid_op 0
		.amdhsa_exception_fp_denorm_src 0
		.amdhsa_exception_fp_ieee_div_zero 0
		.amdhsa_exception_fp_ieee_overflow 0
		.amdhsa_exception_fp_ieee_underflow 0
		.amdhsa_exception_fp_ieee_inexact 0
		.amdhsa_exception_int_div_zero 0
	.end_amdhsa_kernel
	.section	.text._ZN7rocprim17ROCPRIM_400000_NS6detail17trampoline_kernelINS0_14default_configENS1_38merge_sort_block_merge_config_selectorIjjEEZZNS1_27merge_sort_block_merge_implIS3_N6thrust23THRUST_200600_302600_NS6detail15normal_iteratorINS8_10device_ptrIjEEEESD_jNS1_19radix_merge_compareILb0ELb0EjNS0_19identity_decomposerEEEEE10hipError_tT0_T1_T2_jT3_P12ihipStream_tbPNSt15iterator_traitsISI_E10value_typeEPNSO_ISJ_E10value_typeEPSK_NS1_7vsmem_tEENKUlT_SI_SJ_SK_E_clIPjSD_S10_SD_EESH_SX_SI_SJ_SK_EUlSX_E_NS1_11comp_targetILNS1_3genE3ELNS1_11target_archE908ELNS1_3gpuE7ELNS1_3repE0EEENS1_48merge_mergepath_partition_config_static_selectorELNS0_4arch9wavefront6targetE1EEEvSJ_,"axG",@progbits,_ZN7rocprim17ROCPRIM_400000_NS6detail17trampoline_kernelINS0_14default_configENS1_38merge_sort_block_merge_config_selectorIjjEEZZNS1_27merge_sort_block_merge_implIS3_N6thrust23THRUST_200600_302600_NS6detail15normal_iteratorINS8_10device_ptrIjEEEESD_jNS1_19radix_merge_compareILb0ELb0EjNS0_19identity_decomposerEEEEE10hipError_tT0_T1_T2_jT3_P12ihipStream_tbPNSt15iterator_traitsISI_E10value_typeEPNSO_ISJ_E10value_typeEPSK_NS1_7vsmem_tEENKUlT_SI_SJ_SK_E_clIPjSD_S10_SD_EESH_SX_SI_SJ_SK_EUlSX_E_NS1_11comp_targetILNS1_3genE3ELNS1_11target_archE908ELNS1_3gpuE7ELNS1_3repE0EEENS1_48merge_mergepath_partition_config_static_selectorELNS0_4arch9wavefront6targetE1EEEvSJ_,comdat
.Lfunc_end623:
	.size	_ZN7rocprim17ROCPRIM_400000_NS6detail17trampoline_kernelINS0_14default_configENS1_38merge_sort_block_merge_config_selectorIjjEEZZNS1_27merge_sort_block_merge_implIS3_N6thrust23THRUST_200600_302600_NS6detail15normal_iteratorINS8_10device_ptrIjEEEESD_jNS1_19radix_merge_compareILb0ELb0EjNS0_19identity_decomposerEEEEE10hipError_tT0_T1_T2_jT3_P12ihipStream_tbPNSt15iterator_traitsISI_E10value_typeEPNSO_ISJ_E10value_typeEPSK_NS1_7vsmem_tEENKUlT_SI_SJ_SK_E_clIPjSD_S10_SD_EESH_SX_SI_SJ_SK_EUlSX_E_NS1_11comp_targetILNS1_3genE3ELNS1_11target_archE908ELNS1_3gpuE7ELNS1_3repE0EEENS1_48merge_mergepath_partition_config_static_selectorELNS0_4arch9wavefront6targetE1EEEvSJ_, .Lfunc_end623-_ZN7rocprim17ROCPRIM_400000_NS6detail17trampoline_kernelINS0_14default_configENS1_38merge_sort_block_merge_config_selectorIjjEEZZNS1_27merge_sort_block_merge_implIS3_N6thrust23THRUST_200600_302600_NS6detail15normal_iteratorINS8_10device_ptrIjEEEESD_jNS1_19radix_merge_compareILb0ELb0EjNS0_19identity_decomposerEEEEE10hipError_tT0_T1_T2_jT3_P12ihipStream_tbPNSt15iterator_traitsISI_E10value_typeEPNSO_ISJ_E10value_typeEPSK_NS1_7vsmem_tEENKUlT_SI_SJ_SK_E_clIPjSD_S10_SD_EESH_SX_SI_SJ_SK_EUlSX_E_NS1_11comp_targetILNS1_3genE3ELNS1_11target_archE908ELNS1_3gpuE7ELNS1_3repE0EEENS1_48merge_mergepath_partition_config_static_selectorELNS0_4arch9wavefront6targetE1EEEvSJ_
                                        ; -- End function
	.set _ZN7rocprim17ROCPRIM_400000_NS6detail17trampoline_kernelINS0_14default_configENS1_38merge_sort_block_merge_config_selectorIjjEEZZNS1_27merge_sort_block_merge_implIS3_N6thrust23THRUST_200600_302600_NS6detail15normal_iteratorINS8_10device_ptrIjEEEESD_jNS1_19radix_merge_compareILb0ELb0EjNS0_19identity_decomposerEEEEE10hipError_tT0_T1_T2_jT3_P12ihipStream_tbPNSt15iterator_traitsISI_E10value_typeEPNSO_ISJ_E10value_typeEPSK_NS1_7vsmem_tEENKUlT_SI_SJ_SK_E_clIPjSD_S10_SD_EESH_SX_SI_SJ_SK_EUlSX_E_NS1_11comp_targetILNS1_3genE3ELNS1_11target_archE908ELNS1_3gpuE7ELNS1_3repE0EEENS1_48merge_mergepath_partition_config_static_selectorELNS0_4arch9wavefront6targetE1EEEvSJ_.num_vgpr, 0
	.set _ZN7rocprim17ROCPRIM_400000_NS6detail17trampoline_kernelINS0_14default_configENS1_38merge_sort_block_merge_config_selectorIjjEEZZNS1_27merge_sort_block_merge_implIS3_N6thrust23THRUST_200600_302600_NS6detail15normal_iteratorINS8_10device_ptrIjEEEESD_jNS1_19radix_merge_compareILb0ELb0EjNS0_19identity_decomposerEEEEE10hipError_tT0_T1_T2_jT3_P12ihipStream_tbPNSt15iterator_traitsISI_E10value_typeEPNSO_ISJ_E10value_typeEPSK_NS1_7vsmem_tEENKUlT_SI_SJ_SK_E_clIPjSD_S10_SD_EESH_SX_SI_SJ_SK_EUlSX_E_NS1_11comp_targetILNS1_3genE3ELNS1_11target_archE908ELNS1_3gpuE7ELNS1_3repE0EEENS1_48merge_mergepath_partition_config_static_selectorELNS0_4arch9wavefront6targetE1EEEvSJ_.num_agpr, 0
	.set _ZN7rocprim17ROCPRIM_400000_NS6detail17trampoline_kernelINS0_14default_configENS1_38merge_sort_block_merge_config_selectorIjjEEZZNS1_27merge_sort_block_merge_implIS3_N6thrust23THRUST_200600_302600_NS6detail15normal_iteratorINS8_10device_ptrIjEEEESD_jNS1_19radix_merge_compareILb0ELb0EjNS0_19identity_decomposerEEEEE10hipError_tT0_T1_T2_jT3_P12ihipStream_tbPNSt15iterator_traitsISI_E10value_typeEPNSO_ISJ_E10value_typeEPSK_NS1_7vsmem_tEENKUlT_SI_SJ_SK_E_clIPjSD_S10_SD_EESH_SX_SI_SJ_SK_EUlSX_E_NS1_11comp_targetILNS1_3genE3ELNS1_11target_archE908ELNS1_3gpuE7ELNS1_3repE0EEENS1_48merge_mergepath_partition_config_static_selectorELNS0_4arch9wavefront6targetE1EEEvSJ_.numbered_sgpr, 0
	.set _ZN7rocprim17ROCPRIM_400000_NS6detail17trampoline_kernelINS0_14default_configENS1_38merge_sort_block_merge_config_selectorIjjEEZZNS1_27merge_sort_block_merge_implIS3_N6thrust23THRUST_200600_302600_NS6detail15normal_iteratorINS8_10device_ptrIjEEEESD_jNS1_19radix_merge_compareILb0ELb0EjNS0_19identity_decomposerEEEEE10hipError_tT0_T1_T2_jT3_P12ihipStream_tbPNSt15iterator_traitsISI_E10value_typeEPNSO_ISJ_E10value_typeEPSK_NS1_7vsmem_tEENKUlT_SI_SJ_SK_E_clIPjSD_S10_SD_EESH_SX_SI_SJ_SK_EUlSX_E_NS1_11comp_targetILNS1_3genE3ELNS1_11target_archE908ELNS1_3gpuE7ELNS1_3repE0EEENS1_48merge_mergepath_partition_config_static_selectorELNS0_4arch9wavefront6targetE1EEEvSJ_.num_named_barrier, 0
	.set _ZN7rocprim17ROCPRIM_400000_NS6detail17trampoline_kernelINS0_14default_configENS1_38merge_sort_block_merge_config_selectorIjjEEZZNS1_27merge_sort_block_merge_implIS3_N6thrust23THRUST_200600_302600_NS6detail15normal_iteratorINS8_10device_ptrIjEEEESD_jNS1_19radix_merge_compareILb0ELb0EjNS0_19identity_decomposerEEEEE10hipError_tT0_T1_T2_jT3_P12ihipStream_tbPNSt15iterator_traitsISI_E10value_typeEPNSO_ISJ_E10value_typeEPSK_NS1_7vsmem_tEENKUlT_SI_SJ_SK_E_clIPjSD_S10_SD_EESH_SX_SI_SJ_SK_EUlSX_E_NS1_11comp_targetILNS1_3genE3ELNS1_11target_archE908ELNS1_3gpuE7ELNS1_3repE0EEENS1_48merge_mergepath_partition_config_static_selectorELNS0_4arch9wavefront6targetE1EEEvSJ_.private_seg_size, 0
	.set _ZN7rocprim17ROCPRIM_400000_NS6detail17trampoline_kernelINS0_14default_configENS1_38merge_sort_block_merge_config_selectorIjjEEZZNS1_27merge_sort_block_merge_implIS3_N6thrust23THRUST_200600_302600_NS6detail15normal_iteratorINS8_10device_ptrIjEEEESD_jNS1_19radix_merge_compareILb0ELb0EjNS0_19identity_decomposerEEEEE10hipError_tT0_T1_T2_jT3_P12ihipStream_tbPNSt15iterator_traitsISI_E10value_typeEPNSO_ISJ_E10value_typeEPSK_NS1_7vsmem_tEENKUlT_SI_SJ_SK_E_clIPjSD_S10_SD_EESH_SX_SI_SJ_SK_EUlSX_E_NS1_11comp_targetILNS1_3genE3ELNS1_11target_archE908ELNS1_3gpuE7ELNS1_3repE0EEENS1_48merge_mergepath_partition_config_static_selectorELNS0_4arch9wavefront6targetE1EEEvSJ_.uses_vcc, 0
	.set _ZN7rocprim17ROCPRIM_400000_NS6detail17trampoline_kernelINS0_14default_configENS1_38merge_sort_block_merge_config_selectorIjjEEZZNS1_27merge_sort_block_merge_implIS3_N6thrust23THRUST_200600_302600_NS6detail15normal_iteratorINS8_10device_ptrIjEEEESD_jNS1_19radix_merge_compareILb0ELb0EjNS0_19identity_decomposerEEEEE10hipError_tT0_T1_T2_jT3_P12ihipStream_tbPNSt15iterator_traitsISI_E10value_typeEPNSO_ISJ_E10value_typeEPSK_NS1_7vsmem_tEENKUlT_SI_SJ_SK_E_clIPjSD_S10_SD_EESH_SX_SI_SJ_SK_EUlSX_E_NS1_11comp_targetILNS1_3genE3ELNS1_11target_archE908ELNS1_3gpuE7ELNS1_3repE0EEENS1_48merge_mergepath_partition_config_static_selectorELNS0_4arch9wavefront6targetE1EEEvSJ_.uses_flat_scratch, 0
	.set _ZN7rocprim17ROCPRIM_400000_NS6detail17trampoline_kernelINS0_14default_configENS1_38merge_sort_block_merge_config_selectorIjjEEZZNS1_27merge_sort_block_merge_implIS3_N6thrust23THRUST_200600_302600_NS6detail15normal_iteratorINS8_10device_ptrIjEEEESD_jNS1_19radix_merge_compareILb0ELb0EjNS0_19identity_decomposerEEEEE10hipError_tT0_T1_T2_jT3_P12ihipStream_tbPNSt15iterator_traitsISI_E10value_typeEPNSO_ISJ_E10value_typeEPSK_NS1_7vsmem_tEENKUlT_SI_SJ_SK_E_clIPjSD_S10_SD_EESH_SX_SI_SJ_SK_EUlSX_E_NS1_11comp_targetILNS1_3genE3ELNS1_11target_archE908ELNS1_3gpuE7ELNS1_3repE0EEENS1_48merge_mergepath_partition_config_static_selectorELNS0_4arch9wavefront6targetE1EEEvSJ_.has_dyn_sized_stack, 0
	.set _ZN7rocprim17ROCPRIM_400000_NS6detail17trampoline_kernelINS0_14default_configENS1_38merge_sort_block_merge_config_selectorIjjEEZZNS1_27merge_sort_block_merge_implIS3_N6thrust23THRUST_200600_302600_NS6detail15normal_iteratorINS8_10device_ptrIjEEEESD_jNS1_19radix_merge_compareILb0ELb0EjNS0_19identity_decomposerEEEEE10hipError_tT0_T1_T2_jT3_P12ihipStream_tbPNSt15iterator_traitsISI_E10value_typeEPNSO_ISJ_E10value_typeEPSK_NS1_7vsmem_tEENKUlT_SI_SJ_SK_E_clIPjSD_S10_SD_EESH_SX_SI_SJ_SK_EUlSX_E_NS1_11comp_targetILNS1_3genE3ELNS1_11target_archE908ELNS1_3gpuE7ELNS1_3repE0EEENS1_48merge_mergepath_partition_config_static_selectorELNS0_4arch9wavefront6targetE1EEEvSJ_.has_recursion, 0
	.set _ZN7rocprim17ROCPRIM_400000_NS6detail17trampoline_kernelINS0_14default_configENS1_38merge_sort_block_merge_config_selectorIjjEEZZNS1_27merge_sort_block_merge_implIS3_N6thrust23THRUST_200600_302600_NS6detail15normal_iteratorINS8_10device_ptrIjEEEESD_jNS1_19radix_merge_compareILb0ELb0EjNS0_19identity_decomposerEEEEE10hipError_tT0_T1_T2_jT3_P12ihipStream_tbPNSt15iterator_traitsISI_E10value_typeEPNSO_ISJ_E10value_typeEPSK_NS1_7vsmem_tEENKUlT_SI_SJ_SK_E_clIPjSD_S10_SD_EESH_SX_SI_SJ_SK_EUlSX_E_NS1_11comp_targetILNS1_3genE3ELNS1_11target_archE908ELNS1_3gpuE7ELNS1_3repE0EEENS1_48merge_mergepath_partition_config_static_selectorELNS0_4arch9wavefront6targetE1EEEvSJ_.has_indirect_call, 0
	.section	.AMDGPU.csdata,"",@progbits
; Kernel info:
; codeLenInByte = 0
; TotalNumSgprs: 6
; NumVgprs: 0
; NumAgprs: 0
; TotalNumVgprs: 0
; ScratchSize: 0
; MemoryBound: 0
; FloatMode: 240
; IeeeMode: 1
; LDSByteSize: 0 bytes/workgroup (compile time only)
; SGPRBlocks: 0
; VGPRBlocks: 0
; NumSGPRsForWavesPerEU: 6
; NumVGPRsForWavesPerEU: 1
; AccumOffset: 4
; Occupancy: 8
; WaveLimiterHint : 0
; COMPUTE_PGM_RSRC2:SCRATCH_EN: 0
; COMPUTE_PGM_RSRC2:USER_SGPR: 2
; COMPUTE_PGM_RSRC2:TRAP_HANDLER: 0
; COMPUTE_PGM_RSRC2:TGID_X_EN: 1
; COMPUTE_PGM_RSRC2:TGID_Y_EN: 0
; COMPUTE_PGM_RSRC2:TGID_Z_EN: 0
; COMPUTE_PGM_RSRC2:TIDIG_COMP_CNT: 0
; COMPUTE_PGM_RSRC3_GFX90A:ACCUM_OFFSET: 0
; COMPUTE_PGM_RSRC3_GFX90A:TG_SPLIT: 0
	.section	.text._ZN7rocprim17ROCPRIM_400000_NS6detail17trampoline_kernelINS0_14default_configENS1_38merge_sort_block_merge_config_selectorIjjEEZZNS1_27merge_sort_block_merge_implIS3_N6thrust23THRUST_200600_302600_NS6detail15normal_iteratorINS8_10device_ptrIjEEEESD_jNS1_19radix_merge_compareILb0ELb0EjNS0_19identity_decomposerEEEEE10hipError_tT0_T1_T2_jT3_P12ihipStream_tbPNSt15iterator_traitsISI_E10value_typeEPNSO_ISJ_E10value_typeEPSK_NS1_7vsmem_tEENKUlT_SI_SJ_SK_E_clIPjSD_S10_SD_EESH_SX_SI_SJ_SK_EUlSX_E_NS1_11comp_targetILNS1_3genE2ELNS1_11target_archE906ELNS1_3gpuE6ELNS1_3repE0EEENS1_48merge_mergepath_partition_config_static_selectorELNS0_4arch9wavefront6targetE1EEEvSJ_,"axG",@progbits,_ZN7rocprim17ROCPRIM_400000_NS6detail17trampoline_kernelINS0_14default_configENS1_38merge_sort_block_merge_config_selectorIjjEEZZNS1_27merge_sort_block_merge_implIS3_N6thrust23THRUST_200600_302600_NS6detail15normal_iteratorINS8_10device_ptrIjEEEESD_jNS1_19radix_merge_compareILb0ELb0EjNS0_19identity_decomposerEEEEE10hipError_tT0_T1_T2_jT3_P12ihipStream_tbPNSt15iterator_traitsISI_E10value_typeEPNSO_ISJ_E10value_typeEPSK_NS1_7vsmem_tEENKUlT_SI_SJ_SK_E_clIPjSD_S10_SD_EESH_SX_SI_SJ_SK_EUlSX_E_NS1_11comp_targetILNS1_3genE2ELNS1_11target_archE906ELNS1_3gpuE6ELNS1_3repE0EEENS1_48merge_mergepath_partition_config_static_selectorELNS0_4arch9wavefront6targetE1EEEvSJ_,comdat
	.protected	_ZN7rocprim17ROCPRIM_400000_NS6detail17trampoline_kernelINS0_14default_configENS1_38merge_sort_block_merge_config_selectorIjjEEZZNS1_27merge_sort_block_merge_implIS3_N6thrust23THRUST_200600_302600_NS6detail15normal_iteratorINS8_10device_ptrIjEEEESD_jNS1_19radix_merge_compareILb0ELb0EjNS0_19identity_decomposerEEEEE10hipError_tT0_T1_T2_jT3_P12ihipStream_tbPNSt15iterator_traitsISI_E10value_typeEPNSO_ISJ_E10value_typeEPSK_NS1_7vsmem_tEENKUlT_SI_SJ_SK_E_clIPjSD_S10_SD_EESH_SX_SI_SJ_SK_EUlSX_E_NS1_11comp_targetILNS1_3genE2ELNS1_11target_archE906ELNS1_3gpuE6ELNS1_3repE0EEENS1_48merge_mergepath_partition_config_static_selectorELNS0_4arch9wavefront6targetE1EEEvSJ_ ; -- Begin function _ZN7rocprim17ROCPRIM_400000_NS6detail17trampoline_kernelINS0_14default_configENS1_38merge_sort_block_merge_config_selectorIjjEEZZNS1_27merge_sort_block_merge_implIS3_N6thrust23THRUST_200600_302600_NS6detail15normal_iteratorINS8_10device_ptrIjEEEESD_jNS1_19radix_merge_compareILb0ELb0EjNS0_19identity_decomposerEEEEE10hipError_tT0_T1_T2_jT3_P12ihipStream_tbPNSt15iterator_traitsISI_E10value_typeEPNSO_ISJ_E10value_typeEPSK_NS1_7vsmem_tEENKUlT_SI_SJ_SK_E_clIPjSD_S10_SD_EESH_SX_SI_SJ_SK_EUlSX_E_NS1_11comp_targetILNS1_3genE2ELNS1_11target_archE906ELNS1_3gpuE6ELNS1_3repE0EEENS1_48merge_mergepath_partition_config_static_selectorELNS0_4arch9wavefront6targetE1EEEvSJ_
	.globl	_ZN7rocprim17ROCPRIM_400000_NS6detail17trampoline_kernelINS0_14default_configENS1_38merge_sort_block_merge_config_selectorIjjEEZZNS1_27merge_sort_block_merge_implIS3_N6thrust23THRUST_200600_302600_NS6detail15normal_iteratorINS8_10device_ptrIjEEEESD_jNS1_19radix_merge_compareILb0ELb0EjNS0_19identity_decomposerEEEEE10hipError_tT0_T1_T2_jT3_P12ihipStream_tbPNSt15iterator_traitsISI_E10value_typeEPNSO_ISJ_E10value_typeEPSK_NS1_7vsmem_tEENKUlT_SI_SJ_SK_E_clIPjSD_S10_SD_EESH_SX_SI_SJ_SK_EUlSX_E_NS1_11comp_targetILNS1_3genE2ELNS1_11target_archE906ELNS1_3gpuE6ELNS1_3repE0EEENS1_48merge_mergepath_partition_config_static_selectorELNS0_4arch9wavefront6targetE1EEEvSJ_
	.p2align	8
	.type	_ZN7rocprim17ROCPRIM_400000_NS6detail17trampoline_kernelINS0_14default_configENS1_38merge_sort_block_merge_config_selectorIjjEEZZNS1_27merge_sort_block_merge_implIS3_N6thrust23THRUST_200600_302600_NS6detail15normal_iteratorINS8_10device_ptrIjEEEESD_jNS1_19radix_merge_compareILb0ELb0EjNS0_19identity_decomposerEEEEE10hipError_tT0_T1_T2_jT3_P12ihipStream_tbPNSt15iterator_traitsISI_E10value_typeEPNSO_ISJ_E10value_typeEPSK_NS1_7vsmem_tEENKUlT_SI_SJ_SK_E_clIPjSD_S10_SD_EESH_SX_SI_SJ_SK_EUlSX_E_NS1_11comp_targetILNS1_3genE2ELNS1_11target_archE906ELNS1_3gpuE6ELNS1_3repE0EEENS1_48merge_mergepath_partition_config_static_selectorELNS0_4arch9wavefront6targetE1EEEvSJ_,@function
_ZN7rocprim17ROCPRIM_400000_NS6detail17trampoline_kernelINS0_14default_configENS1_38merge_sort_block_merge_config_selectorIjjEEZZNS1_27merge_sort_block_merge_implIS3_N6thrust23THRUST_200600_302600_NS6detail15normal_iteratorINS8_10device_ptrIjEEEESD_jNS1_19radix_merge_compareILb0ELb0EjNS0_19identity_decomposerEEEEE10hipError_tT0_T1_T2_jT3_P12ihipStream_tbPNSt15iterator_traitsISI_E10value_typeEPNSO_ISJ_E10value_typeEPSK_NS1_7vsmem_tEENKUlT_SI_SJ_SK_E_clIPjSD_S10_SD_EESH_SX_SI_SJ_SK_EUlSX_E_NS1_11comp_targetILNS1_3genE2ELNS1_11target_archE906ELNS1_3gpuE6ELNS1_3repE0EEENS1_48merge_mergepath_partition_config_static_selectorELNS0_4arch9wavefront6targetE1EEEvSJ_: ; @_ZN7rocprim17ROCPRIM_400000_NS6detail17trampoline_kernelINS0_14default_configENS1_38merge_sort_block_merge_config_selectorIjjEEZZNS1_27merge_sort_block_merge_implIS3_N6thrust23THRUST_200600_302600_NS6detail15normal_iteratorINS8_10device_ptrIjEEEESD_jNS1_19radix_merge_compareILb0ELb0EjNS0_19identity_decomposerEEEEE10hipError_tT0_T1_T2_jT3_P12ihipStream_tbPNSt15iterator_traitsISI_E10value_typeEPNSO_ISJ_E10value_typeEPSK_NS1_7vsmem_tEENKUlT_SI_SJ_SK_E_clIPjSD_S10_SD_EESH_SX_SI_SJ_SK_EUlSX_E_NS1_11comp_targetILNS1_3genE2ELNS1_11target_archE906ELNS1_3gpuE6ELNS1_3repE0EEENS1_48merge_mergepath_partition_config_static_selectorELNS0_4arch9wavefront6targetE1EEEvSJ_
; %bb.0:
	.section	.rodata,"a",@progbits
	.p2align	6, 0x0
	.amdhsa_kernel _ZN7rocprim17ROCPRIM_400000_NS6detail17trampoline_kernelINS0_14default_configENS1_38merge_sort_block_merge_config_selectorIjjEEZZNS1_27merge_sort_block_merge_implIS3_N6thrust23THRUST_200600_302600_NS6detail15normal_iteratorINS8_10device_ptrIjEEEESD_jNS1_19radix_merge_compareILb0ELb0EjNS0_19identity_decomposerEEEEE10hipError_tT0_T1_T2_jT3_P12ihipStream_tbPNSt15iterator_traitsISI_E10value_typeEPNSO_ISJ_E10value_typeEPSK_NS1_7vsmem_tEENKUlT_SI_SJ_SK_E_clIPjSD_S10_SD_EESH_SX_SI_SJ_SK_EUlSX_E_NS1_11comp_targetILNS1_3genE2ELNS1_11target_archE906ELNS1_3gpuE6ELNS1_3repE0EEENS1_48merge_mergepath_partition_config_static_selectorELNS0_4arch9wavefront6targetE1EEEvSJ_
		.amdhsa_group_segment_fixed_size 0
		.amdhsa_private_segment_fixed_size 0
		.amdhsa_kernarg_size 40
		.amdhsa_user_sgpr_count 2
		.amdhsa_user_sgpr_dispatch_ptr 0
		.amdhsa_user_sgpr_queue_ptr 0
		.amdhsa_user_sgpr_kernarg_segment_ptr 1
		.amdhsa_user_sgpr_dispatch_id 0
		.amdhsa_user_sgpr_kernarg_preload_length 0
		.amdhsa_user_sgpr_kernarg_preload_offset 0
		.amdhsa_user_sgpr_private_segment_size 0
		.amdhsa_uses_dynamic_stack 0
		.amdhsa_enable_private_segment 0
		.amdhsa_system_sgpr_workgroup_id_x 1
		.amdhsa_system_sgpr_workgroup_id_y 0
		.amdhsa_system_sgpr_workgroup_id_z 0
		.amdhsa_system_sgpr_workgroup_info 0
		.amdhsa_system_vgpr_workitem_id 0
		.amdhsa_next_free_vgpr 1
		.amdhsa_next_free_sgpr 0
		.amdhsa_accum_offset 4
		.amdhsa_reserve_vcc 0
		.amdhsa_float_round_mode_32 0
		.amdhsa_float_round_mode_16_64 0
		.amdhsa_float_denorm_mode_32 3
		.amdhsa_float_denorm_mode_16_64 3
		.amdhsa_dx10_clamp 1
		.amdhsa_ieee_mode 1
		.amdhsa_fp16_overflow 0
		.amdhsa_tg_split 0
		.amdhsa_exception_fp_ieee_invalid_op 0
		.amdhsa_exception_fp_denorm_src 0
		.amdhsa_exception_fp_ieee_div_zero 0
		.amdhsa_exception_fp_ieee_overflow 0
		.amdhsa_exception_fp_ieee_underflow 0
		.amdhsa_exception_fp_ieee_inexact 0
		.amdhsa_exception_int_div_zero 0
	.end_amdhsa_kernel
	.section	.text._ZN7rocprim17ROCPRIM_400000_NS6detail17trampoline_kernelINS0_14default_configENS1_38merge_sort_block_merge_config_selectorIjjEEZZNS1_27merge_sort_block_merge_implIS3_N6thrust23THRUST_200600_302600_NS6detail15normal_iteratorINS8_10device_ptrIjEEEESD_jNS1_19radix_merge_compareILb0ELb0EjNS0_19identity_decomposerEEEEE10hipError_tT0_T1_T2_jT3_P12ihipStream_tbPNSt15iterator_traitsISI_E10value_typeEPNSO_ISJ_E10value_typeEPSK_NS1_7vsmem_tEENKUlT_SI_SJ_SK_E_clIPjSD_S10_SD_EESH_SX_SI_SJ_SK_EUlSX_E_NS1_11comp_targetILNS1_3genE2ELNS1_11target_archE906ELNS1_3gpuE6ELNS1_3repE0EEENS1_48merge_mergepath_partition_config_static_selectorELNS0_4arch9wavefront6targetE1EEEvSJ_,"axG",@progbits,_ZN7rocprim17ROCPRIM_400000_NS6detail17trampoline_kernelINS0_14default_configENS1_38merge_sort_block_merge_config_selectorIjjEEZZNS1_27merge_sort_block_merge_implIS3_N6thrust23THRUST_200600_302600_NS6detail15normal_iteratorINS8_10device_ptrIjEEEESD_jNS1_19radix_merge_compareILb0ELb0EjNS0_19identity_decomposerEEEEE10hipError_tT0_T1_T2_jT3_P12ihipStream_tbPNSt15iterator_traitsISI_E10value_typeEPNSO_ISJ_E10value_typeEPSK_NS1_7vsmem_tEENKUlT_SI_SJ_SK_E_clIPjSD_S10_SD_EESH_SX_SI_SJ_SK_EUlSX_E_NS1_11comp_targetILNS1_3genE2ELNS1_11target_archE906ELNS1_3gpuE6ELNS1_3repE0EEENS1_48merge_mergepath_partition_config_static_selectorELNS0_4arch9wavefront6targetE1EEEvSJ_,comdat
.Lfunc_end624:
	.size	_ZN7rocprim17ROCPRIM_400000_NS6detail17trampoline_kernelINS0_14default_configENS1_38merge_sort_block_merge_config_selectorIjjEEZZNS1_27merge_sort_block_merge_implIS3_N6thrust23THRUST_200600_302600_NS6detail15normal_iteratorINS8_10device_ptrIjEEEESD_jNS1_19radix_merge_compareILb0ELb0EjNS0_19identity_decomposerEEEEE10hipError_tT0_T1_T2_jT3_P12ihipStream_tbPNSt15iterator_traitsISI_E10value_typeEPNSO_ISJ_E10value_typeEPSK_NS1_7vsmem_tEENKUlT_SI_SJ_SK_E_clIPjSD_S10_SD_EESH_SX_SI_SJ_SK_EUlSX_E_NS1_11comp_targetILNS1_3genE2ELNS1_11target_archE906ELNS1_3gpuE6ELNS1_3repE0EEENS1_48merge_mergepath_partition_config_static_selectorELNS0_4arch9wavefront6targetE1EEEvSJ_, .Lfunc_end624-_ZN7rocprim17ROCPRIM_400000_NS6detail17trampoline_kernelINS0_14default_configENS1_38merge_sort_block_merge_config_selectorIjjEEZZNS1_27merge_sort_block_merge_implIS3_N6thrust23THRUST_200600_302600_NS6detail15normal_iteratorINS8_10device_ptrIjEEEESD_jNS1_19radix_merge_compareILb0ELb0EjNS0_19identity_decomposerEEEEE10hipError_tT0_T1_T2_jT3_P12ihipStream_tbPNSt15iterator_traitsISI_E10value_typeEPNSO_ISJ_E10value_typeEPSK_NS1_7vsmem_tEENKUlT_SI_SJ_SK_E_clIPjSD_S10_SD_EESH_SX_SI_SJ_SK_EUlSX_E_NS1_11comp_targetILNS1_3genE2ELNS1_11target_archE906ELNS1_3gpuE6ELNS1_3repE0EEENS1_48merge_mergepath_partition_config_static_selectorELNS0_4arch9wavefront6targetE1EEEvSJ_
                                        ; -- End function
	.set _ZN7rocprim17ROCPRIM_400000_NS6detail17trampoline_kernelINS0_14default_configENS1_38merge_sort_block_merge_config_selectorIjjEEZZNS1_27merge_sort_block_merge_implIS3_N6thrust23THRUST_200600_302600_NS6detail15normal_iteratorINS8_10device_ptrIjEEEESD_jNS1_19radix_merge_compareILb0ELb0EjNS0_19identity_decomposerEEEEE10hipError_tT0_T1_T2_jT3_P12ihipStream_tbPNSt15iterator_traitsISI_E10value_typeEPNSO_ISJ_E10value_typeEPSK_NS1_7vsmem_tEENKUlT_SI_SJ_SK_E_clIPjSD_S10_SD_EESH_SX_SI_SJ_SK_EUlSX_E_NS1_11comp_targetILNS1_3genE2ELNS1_11target_archE906ELNS1_3gpuE6ELNS1_3repE0EEENS1_48merge_mergepath_partition_config_static_selectorELNS0_4arch9wavefront6targetE1EEEvSJ_.num_vgpr, 0
	.set _ZN7rocprim17ROCPRIM_400000_NS6detail17trampoline_kernelINS0_14default_configENS1_38merge_sort_block_merge_config_selectorIjjEEZZNS1_27merge_sort_block_merge_implIS3_N6thrust23THRUST_200600_302600_NS6detail15normal_iteratorINS8_10device_ptrIjEEEESD_jNS1_19radix_merge_compareILb0ELb0EjNS0_19identity_decomposerEEEEE10hipError_tT0_T1_T2_jT3_P12ihipStream_tbPNSt15iterator_traitsISI_E10value_typeEPNSO_ISJ_E10value_typeEPSK_NS1_7vsmem_tEENKUlT_SI_SJ_SK_E_clIPjSD_S10_SD_EESH_SX_SI_SJ_SK_EUlSX_E_NS1_11comp_targetILNS1_3genE2ELNS1_11target_archE906ELNS1_3gpuE6ELNS1_3repE0EEENS1_48merge_mergepath_partition_config_static_selectorELNS0_4arch9wavefront6targetE1EEEvSJ_.num_agpr, 0
	.set _ZN7rocprim17ROCPRIM_400000_NS6detail17trampoline_kernelINS0_14default_configENS1_38merge_sort_block_merge_config_selectorIjjEEZZNS1_27merge_sort_block_merge_implIS3_N6thrust23THRUST_200600_302600_NS6detail15normal_iteratorINS8_10device_ptrIjEEEESD_jNS1_19radix_merge_compareILb0ELb0EjNS0_19identity_decomposerEEEEE10hipError_tT0_T1_T2_jT3_P12ihipStream_tbPNSt15iterator_traitsISI_E10value_typeEPNSO_ISJ_E10value_typeEPSK_NS1_7vsmem_tEENKUlT_SI_SJ_SK_E_clIPjSD_S10_SD_EESH_SX_SI_SJ_SK_EUlSX_E_NS1_11comp_targetILNS1_3genE2ELNS1_11target_archE906ELNS1_3gpuE6ELNS1_3repE0EEENS1_48merge_mergepath_partition_config_static_selectorELNS0_4arch9wavefront6targetE1EEEvSJ_.numbered_sgpr, 0
	.set _ZN7rocprim17ROCPRIM_400000_NS6detail17trampoline_kernelINS0_14default_configENS1_38merge_sort_block_merge_config_selectorIjjEEZZNS1_27merge_sort_block_merge_implIS3_N6thrust23THRUST_200600_302600_NS6detail15normal_iteratorINS8_10device_ptrIjEEEESD_jNS1_19radix_merge_compareILb0ELb0EjNS0_19identity_decomposerEEEEE10hipError_tT0_T1_T2_jT3_P12ihipStream_tbPNSt15iterator_traitsISI_E10value_typeEPNSO_ISJ_E10value_typeEPSK_NS1_7vsmem_tEENKUlT_SI_SJ_SK_E_clIPjSD_S10_SD_EESH_SX_SI_SJ_SK_EUlSX_E_NS1_11comp_targetILNS1_3genE2ELNS1_11target_archE906ELNS1_3gpuE6ELNS1_3repE0EEENS1_48merge_mergepath_partition_config_static_selectorELNS0_4arch9wavefront6targetE1EEEvSJ_.num_named_barrier, 0
	.set _ZN7rocprim17ROCPRIM_400000_NS6detail17trampoline_kernelINS0_14default_configENS1_38merge_sort_block_merge_config_selectorIjjEEZZNS1_27merge_sort_block_merge_implIS3_N6thrust23THRUST_200600_302600_NS6detail15normal_iteratorINS8_10device_ptrIjEEEESD_jNS1_19radix_merge_compareILb0ELb0EjNS0_19identity_decomposerEEEEE10hipError_tT0_T1_T2_jT3_P12ihipStream_tbPNSt15iterator_traitsISI_E10value_typeEPNSO_ISJ_E10value_typeEPSK_NS1_7vsmem_tEENKUlT_SI_SJ_SK_E_clIPjSD_S10_SD_EESH_SX_SI_SJ_SK_EUlSX_E_NS1_11comp_targetILNS1_3genE2ELNS1_11target_archE906ELNS1_3gpuE6ELNS1_3repE0EEENS1_48merge_mergepath_partition_config_static_selectorELNS0_4arch9wavefront6targetE1EEEvSJ_.private_seg_size, 0
	.set _ZN7rocprim17ROCPRIM_400000_NS6detail17trampoline_kernelINS0_14default_configENS1_38merge_sort_block_merge_config_selectorIjjEEZZNS1_27merge_sort_block_merge_implIS3_N6thrust23THRUST_200600_302600_NS6detail15normal_iteratorINS8_10device_ptrIjEEEESD_jNS1_19radix_merge_compareILb0ELb0EjNS0_19identity_decomposerEEEEE10hipError_tT0_T1_T2_jT3_P12ihipStream_tbPNSt15iterator_traitsISI_E10value_typeEPNSO_ISJ_E10value_typeEPSK_NS1_7vsmem_tEENKUlT_SI_SJ_SK_E_clIPjSD_S10_SD_EESH_SX_SI_SJ_SK_EUlSX_E_NS1_11comp_targetILNS1_3genE2ELNS1_11target_archE906ELNS1_3gpuE6ELNS1_3repE0EEENS1_48merge_mergepath_partition_config_static_selectorELNS0_4arch9wavefront6targetE1EEEvSJ_.uses_vcc, 0
	.set _ZN7rocprim17ROCPRIM_400000_NS6detail17trampoline_kernelINS0_14default_configENS1_38merge_sort_block_merge_config_selectorIjjEEZZNS1_27merge_sort_block_merge_implIS3_N6thrust23THRUST_200600_302600_NS6detail15normal_iteratorINS8_10device_ptrIjEEEESD_jNS1_19radix_merge_compareILb0ELb0EjNS0_19identity_decomposerEEEEE10hipError_tT0_T1_T2_jT3_P12ihipStream_tbPNSt15iterator_traitsISI_E10value_typeEPNSO_ISJ_E10value_typeEPSK_NS1_7vsmem_tEENKUlT_SI_SJ_SK_E_clIPjSD_S10_SD_EESH_SX_SI_SJ_SK_EUlSX_E_NS1_11comp_targetILNS1_3genE2ELNS1_11target_archE906ELNS1_3gpuE6ELNS1_3repE0EEENS1_48merge_mergepath_partition_config_static_selectorELNS0_4arch9wavefront6targetE1EEEvSJ_.uses_flat_scratch, 0
	.set _ZN7rocprim17ROCPRIM_400000_NS6detail17trampoline_kernelINS0_14default_configENS1_38merge_sort_block_merge_config_selectorIjjEEZZNS1_27merge_sort_block_merge_implIS3_N6thrust23THRUST_200600_302600_NS6detail15normal_iteratorINS8_10device_ptrIjEEEESD_jNS1_19radix_merge_compareILb0ELb0EjNS0_19identity_decomposerEEEEE10hipError_tT0_T1_T2_jT3_P12ihipStream_tbPNSt15iterator_traitsISI_E10value_typeEPNSO_ISJ_E10value_typeEPSK_NS1_7vsmem_tEENKUlT_SI_SJ_SK_E_clIPjSD_S10_SD_EESH_SX_SI_SJ_SK_EUlSX_E_NS1_11comp_targetILNS1_3genE2ELNS1_11target_archE906ELNS1_3gpuE6ELNS1_3repE0EEENS1_48merge_mergepath_partition_config_static_selectorELNS0_4arch9wavefront6targetE1EEEvSJ_.has_dyn_sized_stack, 0
	.set _ZN7rocprim17ROCPRIM_400000_NS6detail17trampoline_kernelINS0_14default_configENS1_38merge_sort_block_merge_config_selectorIjjEEZZNS1_27merge_sort_block_merge_implIS3_N6thrust23THRUST_200600_302600_NS6detail15normal_iteratorINS8_10device_ptrIjEEEESD_jNS1_19radix_merge_compareILb0ELb0EjNS0_19identity_decomposerEEEEE10hipError_tT0_T1_T2_jT3_P12ihipStream_tbPNSt15iterator_traitsISI_E10value_typeEPNSO_ISJ_E10value_typeEPSK_NS1_7vsmem_tEENKUlT_SI_SJ_SK_E_clIPjSD_S10_SD_EESH_SX_SI_SJ_SK_EUlSX_E_NS1_11comp_targetILNS1_3genE2ELNS1_11target_archE906ELNS1_3gpuE6ELNS1_3repE0EEENS1_48merge_mergepath_partition_config_static_selectorELNS0_4arch9wavefront6targetE1EEEvSJ_.has_recursion, 0
	.set _ZN7rocprim17ROCPRIM_400000_NS6detail17trampoline_kernelINS0_14default_configENS1_38merge_sort_block_merge_config_selectorIjjEEZZNS1_27merge_sort_block_merge_implIS3_N6thrust23THRUST_200600_302600_NS6detail15normal_iteratorINS8_10device_ptrIjEEEESD_jNS1_19radix_merge_compareILb0ELb0EjNS0_19identity_decomposerEEEEE10hipError_tT0_T1_T2_jT3_P12ihipStream_tbPNSt15iterator_traitsISI_E10value_typeEPNSO_ISJ_E10value_typeEPSK_NS1_7vsmem_tEENKUlT_SI_SJ_SK_E_clIPjSD_S10_SD_EESH_SX_SI_SJ_SK_EUlSX_E_NS1_11comp_targetILNS1_3genE2ELNS1_11target_archE906ELNS1_3gpuE6ELNS1_3repE0EEENS1_48merge_mergepath_partition_config_static_selectorELNS0_4arch9wavefront6targetE1EEEvSJ_.has_indirect_call, 0
	.section	.AMDGPU.csdata,"",@progbits
; Kernel info:
; codeLenInByte = 0
; TotalNumSgprs: 6
; NumVgprs: 0
; NumAgprs: 0
; TotalNumVgprs: 0
; ScratchSize: 0
; MemoryBound: 0
; FloatMode: 240
; IeeeMode: 1
; LDSByteSize: 0 bytes/workgroup (compile time only)
; SGPRBlocks: 0
; VGPRBlocks: 0
; NumSGPRsForWavesPerEU: 6
; NumVGPRsForWavesPerEU: 1
; AccumOffset: 4
; Occupancy: 8
; WaveLimiterHint : 0
; COMPUTE_PGM_RSRC2:SCRATCH_EN: 0
; COMPUTE_PGM_RSRC2:USER_SGPR: 2
; COMPUTE_PGM_RSRC2:TRAP_HANDLER: 0
; COMPUTE_PGM_RSRC2:TGID_X_EN: 1
; COMPUTE_PGM_RSRC2:TGID_Y_EN: 0
; COMPUTE_PGM_RSRC2:TGID_Z_EN: 0
; COMPUTE_PGM_RSRC2:TIDIG_COMP_CNT: 0
; COMPUTE_PGM_RSRC3_GFX90A:ACCUM_OFFSET: 0
; COMPUTE_PGM_RSRC3_GFX90A:TG_SPLIT: 0
	.section	.text._ZN7rocprim17ROCPRIM_400000_NS6detail17trampoline_kernelINS0_14default_configENS1_38merge_sort_block_merge_config_selectorIjjEEZZNS1_27merge_sort_block_merge_implIS3_N6thrust23THRUST_200600_302600_NS6detail15normal_iteratorINS8_10device_ptrIjEEEESD_jNS1_19radix_merge_compareILb0ELb0EjNS0_19identity_decomposerEEEEE10hipError_tT0_T1_T2_jT3_P12ihipStream_tbPNSt15iterator_traitsISI_E10value_typeEPNSO_ISJ_E10value_typeEPSK_NS1_7vsmem_tEENKUlT_SI_SJ_SK_E_clIPjSD_S10_SD_EESH_SX_SI_SJ_SK_EUlSX_E_NS1_11comp_targetILNS1_3genE9ELNS1_11target_archE1100ELNS1_3gpuE3ELNS1_3repE0EEENS1_48merge_mergepath_partition_config_static_selectorELNS0_4arch9wavefront6targetE1EEEvSJ_,"axG",@progbits,_ZN7rocprim17ROCPRIM_400000_NS6detail17trampoline_kernelINS0_14default_configENS1_38merge_sort_block_merge_config_selectorIjjEEZZNS1_27merge_sort_block_merge_implIS3_N6thrust23THRUST_200600_302600_NS6detail15normal_iteratorINS8_10device_ptrIjEEEESD_jNS1_19radix_merge_compareILb0ELb0EjNS0_19identity_decomposerEEEEE10hipError_tT0_T1_T2_jT3_P12ihipStream_tbPNSt15iterator_traitsISI_E10value_typeEPNSO_ISJ_E10value_typeEPSK_NS1_7vsmem_tEENKUlT_SI_SJ_SK_E_clIPjSD_S10_SD_EESH_SX_SI_SJ_SK_EUlSX_E_NS1_11comp_targetILNS1_3genE9ELNS1_11target_archE1100ELNS1_3gpuE3ELNS1_3repE0EEENS1_48merge_mergepath_partition_config_static_selectorELNS0_4arch9wavefront6targetE1EEEvSJ_,comdat
	.protected	_ZN7rocprim17ROCPRIM_400000_NS6detail17trampoline_kernelINS0_14default_configENS1_38merge_sort_block_merge_config_selectorIjjEEZZNS1_27merge_sort_block_merge_implIS3_N6thrust23THRUST_200600_302600_NS6detail15normal_iteratorINS8_10device_ptrIjEEEESD_jNS1_19radix_merge_compareILb0ELb0EjNS0_19identity_decomposerEEEEE10hipError_tT0_T1_T2_jT3_P12ihipStream_tbPNSt15iterator_traitsISI_E10value_typeEPNSO_ISJ_E10value_typeEPSK_NS1_7vsmem_tEENKUlT_SI_SJ_SK_E_clIPjSD_S10_SD_EESH_SX_SI_SJ_SK_EUlSX_E_NS1_11comp_targetILNS1_3genE9ELNS1_11target_archE1100ELNS1_3gpuE3ELNS1_3repE0EEENS1_48merge_mergepath_partition_config_static_selectorELNS0_4arch9wavefront6targetE1EEEvSJ_ ; -- Begin function _ZN7rocprim17ROCPRIM_400000_NS6detail17trampoline_kernelINS0_14default_configENS1_38merge_sort_block_merge_config_selectorIjjEEZZNS1_27merge_sort_block_merge_implIS3_N6thrust23THRUST_200600_302600_NS6detail15normal_iteratorINS8_10device_ptrIjEEEESD_jNS1_19radix_merge_compareILb0ELb0EjNS0_19identity_decomposerEEEEE10hipError_tT0_T1_T2_jT3_P12ihipStream_tbPNSt15iterator_traitsISI_E10value_typeEPNSO_ISJ_E10value_typeEPSK_NS1_7vsmem_tEENKUlT_SI_SJ_SK_E_clIPjSD_S10_SD_EESH_SX_SI_SJ_SK_EUlSX_E_NS1_11comp_targetILNS1_3genE9ELNS1_11target_archE1100ELNS1_3gpuE3ELNS1_3repE0EEENS1_48merge_mergepath_partition_config_static_selectorELNS0_4arch9wavefront6targetE1EEEvSJ_
	.globl	_ZN7rocprim17ROCPRIM_400000_NS6detail17trampoline_kernelINS0_14default_configENS1_38merge_sort_block_merge_config_selectorIjjEEZZNS1_27merge_sort_block_merge_implIS3_N6thrust23THRUST_200600_302600_NS6detail15normal_iteratorINS8_10device_ptrIjEEEESD_jNS1_19radix_merge_compareILb0ELb0EjNS0_19identity_decomposerEEEEE10hipError_tT0_T1_T2_jT3_P12ihipStream_tbPNSt15iterator_traitsISI_E10value_typeEPNSO_ISJ_E10value_typeEPSK_NS1_7vsmem_tEENKUlT_SI_SJ_SK_E_clIPjSD_S10_SD_EESH_SX_SI_SJ_SK_EUlSX_E_NS1_11comp_targetILNS1_3genE9ELNS1_11target_archE1100ELNS1_3gpuE3ELNS1_3repE0EEENS1_48merge_mergepath_partition_config_static_selectorELNS0_4arch9wavefront6targetE1EEEvSJ_
	.p2align	8
	.type	_ZN7rocprim17ROCPRIM_400000_NS6detail17trampoline_kernelINS0_14default_configENS1_38merge_sort_block_merge_config_selectorIjjEEZZNS1_27merge_sort_block_merge_implIS3_N6thrust23THRUST_200600_302600_NS6detail15normal_iteratorINS8_10device_ptrIjEEEESD_jNS1_19radix_merge_compareILb0ELb0EjNS0_19identity_decomposerEEEEE10hipError_tT0_T1_T2_jT3_P12ihipStream_tbPNSt15iterator_traitsISI_E10value_typeEPNSO_ISJ_E10value_typeEPSK_NS1_7vsmem_tEENKUlT_SI_SJ_SK_E_clIPjSD_S10_SD_EESH_SX_SI_SJ_SK_EUlSX_E_NS1_11comp_targetILNS1_3genE9ELNS1_11target_archE1100ELNS1_3gpuE3ELNS1_3repE0EEENS1_48merge_mergepath_partition_config_static_selectorELNS0_4arch9wavefront6targetE1EEEvSJ_,@function
_ZN7rocprim17ROCPRIM_400000_NS6detail17trampoline_kernelINS0_14default_configENS1_38merge_sort_block_merge_config_selectorIjjEEZZNS1_27merge_sort_block_merge_implIS3_N6thrust23THRUST_200600_302600_NS6detail15normal_iteratorINS8_10device_ptrIjEEEESD_jNS1_19radix_merge_compareILb0ELb0EjNS0_19identity_decomposerEEEEE10hipError_tT0_T1_T2_jT3_P12ihipStream_tbPNSt15iterator_traitsISI_E10value_typeEPNSO_ISJ_E10value_typeEPSK_NS1_7vsmem_tEENKUlT_SI_SJ_SK_E_clIPjSD_S10_SD_EESH_SX_SI_SJ_SK_EUlSX_E_NS1_11comp_targetILNS1_3genE9ELNS1_11target_archE1100ELNS1_3gpuE3ELNS1_3repE0EEENS1_48merge_mergepath_partition_config_static_selectorELNS0_4arch9wavefront6targetE1EEEvSJ_: ; @_ZN7rocprim17ROCPRIM_400000_NS6detail17trampoline_kernelINS0_14default_configENS1_38merge_sort_block_merge_config_selectorIjjEEZZNS1_27merge_sort_block_merge_implIS3_N6thrust23THRUST_200600_302600_NS6detail15normal_iteratorINS8_10device_ptrIjEEEESD_jNS1_19radix_merge_compareILb0ELb0EjNS0_19identity_decomposerEEEEE10hipError_tT0_T1_T2_jT3_P12ihipStream_tbPNSt15iterator_traitsISI_E10value_typeEPNSO_ISJ_E10value_typeEPSK_NS1_7vsmem_tEENKUlT_SI_SJ_SK_E_clIPjSD_S10_SD_EESH_SX_SI_SJ_SK_EUlSX_E_NS1_11comp_targetILNS1_3genE9ELNS1_11target_archE1100ELNS1_3gpuE3ELNS1_3repE0EEENS1_48merge_mergepath_partition_config_static_selectorELNS0_4arch9wavefront6targetE1EEEvSJ_
; %bb.0:
	.section	.rodata,"a",@progbits
	.p2align	6, 0x0
	.amdhsa_kernel _ZN7rocprim17ROCPRIM_400000_NS6detail17trampoline_kernelINS0_14default_configENS1_38merge_sort_block_merge_config_selectorIjjEEZZNS1_27merge_sort_block_merge_implIS3_N6thrust23THRUST_200600_302600_NS6detail15normal_iteratorINS8_10device_ptrIjEEEESD_jNS1_19radix_merge_compareILb0ELb0EjNS0_19identity_decomposerEEEEE10hipError_tT0_T1_T2_jT3_P12ihipStream_tbPNSt15iterator_traitsISI_E10value_typeEPNSO_ISJ_E10value_typeEPSK_NS1_7vsmem_tEENKUlT_SI_SJ_SK_E_clIPjSD_S10_SD_EESH_SX_SI_SJ_SK_EUlSX_E_NS1_11comp_targetILNS1_3genE9ELNS1_11target_archE1100ELNS1_3gpuE3ELNS1_3repE0EEENS1_48merge_mergepath_partition_config_static_selectorELNS0_4arch9wavefront6targetE1EEEvSJ_
		.amdhsa_group_segment_fixed_size 0
		.amdhsa_private_segment_fixed_size 0
		.amdhsa_kernarg_size 40
		.amdhsa_user_sgpr_count 2
		.amdhsa_user_sgpr_dispatch_ptr 0
		.amdhsa_user_sgpr_queue_ptr 0
		.amdhsa_user_sgpr_kernarg_segment_ptr 1
		.amdhsa_user_sgpr_dispatch_id 0
		.amdhsa_user_sgpr_kernarg_preload_length 0
		.amdhsa_user_sgpr_kernarg_preload_offset 0
		.amdhsa_user_sgpr_private_segment_size 0
		.amdhsa_uses_dynamic_stack 0
		.amdhsa_enable_private_segment 0
		.amdhsa_system_sgpr_workgroup_id_x 1
		.amdhsa_system_sgpr_workgroup_id_y 0
		.amdhsa_system_sgpr_workgroup_id_z 0
		.amdhsa_system_sgpr_workgroup_info 0
		.amdhsa_system_vgpr_workitem_id 0
		.amdhsa_next_free_vgpr 1
		.amdhsa_next_free_sgpr 0
		.amdhsa_accum_offset 4
		.amdhsa_reserve_vcc 0
		.amdhsa_float_round_mode_32 0
		.amdhsa_float_round_mode_16_64 0
		.amdhsa_float_denorm_mode_32 3
		.amdhsa_float_denorm_mode_16_64 3
		.amdhsa_dx10_clamp 1
		.amdhsa_ieee_mode 1
		.amdhsa_fp16_overflow 0
		.amdhsa_tg_split 0
		.amdhsa_exception_fp_ieee_invalid_op 0
		.amdhsa_exception_fp_denorm_src 0
		.amdhsa_exception_fp_ieee_div_zero 0
		.amdhsa_exception_fp_ieee_overflow 0
		.amdhsa_exception_fp_ieee_underflow 0
		.amdhsa_exception_fp_ieee_inexact 0
		.amdhsa_exception_int_div_zero 0
	.end_amdhsa_kernel
	.section	.text._ZN7rocprim17ROCPRIM_400000_NS6detail17trampoline_kernelINS0_14default_configENS1_38merge_sort_block_merge_config_selectorIjjEEZZNS1_27merge_sort_block_merge_implIS3_N6thrust23THRUST_200600_302600_NS6detail15normal_iteratorINS8_10device_ptrIjEEEESD_jNS1_19radix_merge_compareILb0ELb0EjNS0_19identity_decomposerEEEEE10hipError_tT0_T1_T2_jT3_P12ihipStream_tbPNSt15iterator_traitsISI_E10value_typeEPNSO_ISJ_E10value_typeEPSK_NS1_7vsmem_tEENKUlT_SI_SJ_SK_E_clIPjSD_S10_SD_EESH_SX_SI_SJ_SK_EUlSX_E_NS1_11comp_targetILNS1_3genE9ELNS1_11target_archE1100ELNS1_3gpuE3ELNS1_3repE0EEENS1_48merge_mergepath_partition_config_static_selectorELNS0_4arch9wavefront6targetE1EEEvSJ_,"axG",@progbits,_ZN7rocprim17ROCPRIM_400000_NS6detail17trampoline_kernelINS0_14default_configENS1_38merge_sort_block_merge_config_selectorIjjEEZZNS1_27merge_sort_block_merge_implIS3_N6thrust23THRUST_200600_302600_NS6detail15normal_iteratorINS8_10device_ptrIjEEEESD_jNS1_19radix_merge_compareILb0ELb0EjNS0_19identity_decomposerEEEEE10hipError_tT0_T1_T2_jT3_P12ihipStream_tbPNSt15iterator_traitsISI_E10value_typeEPNSO_ISJ_E10value_typeEPSK_NS1_7vsmem_tEENKUlT_SI_SJ_SK_E_clIPjSD_S10_SD_EESH_SX_SI_SJ_SK_EUlSX_E_NS1_11comp_targetILNS1_3genE9ELNS1_11target_archE1100ELNS1_3gpuE3ELNS1_3repE0EEENS1_48merge_mergepath_partition_config_static_selectorELNS0_4arch9wavefront6targetE1EEEvSJ_,comdat
.Lfunc_end625:
	.size	_ZN7rocprim17ROCPRIM_400000_NS6detail17trampoline_kernelINS0_14default_configENS1_38merge_sort_block_merge_config_selectorIjjEEZZNS1_27merge_sort_block_merge_implIS3_N6thrust23THRUST_200600_302600_NS6detail15normal_iteratorINS8_10device_ptrIjEEEESD_jNS1_19radix_merge_compareILb0ELb0EjNS0_19identity_decomposerEEEEE10hipError_tT0_T1_T2_jT3_P12ihipStream_tbPNSt15iterator_traitsISI_E10value_typeEPNSO_ISJ_E10value_typeEPSK_NS1_7vsmem_tEENKUlT_SI_SJ_SK_E_clIPjSD_S10_SD_EESH_SX_SI_SJ_SK_EUlSX_E_NS1_11comp_targetILNS1_3genE9ELNS1_11target_archE1100ELNS1_3gpuE3ELNS1_3repE0EEENS1_48merge_mergepath_partition_config_static_selectorELNS0_4arch9wavefront6targetE1EEEvSJ_, .Lfunc_end625-_ZN7rocprim17ROCPRIM_400000_NS6detail17trampoline_kernelINS0_14default_configENS1_38merge_sort_block_merge_config_selectorIjjEEZZNS1_27merge_sort_block_merge_implIS3_N6thrust23THRUST_200600_302600_NS6detail15normal_iteratorINS8_10device_ptrIjEEEESD_jNS1_19radix_merge_compareILb0ELb0EjNS0_19identity_decomposerEEEEE10hipError_tT0_T1_T2_jT3_P12ihipStream_tbPNSt15iterator_traitsISI_E10value_typeEPNSO_ISJ_E10value_typeEPSK_NS1_7vsmem_tEENKUlT_SI_SJ_SK_E_clIPjSD_S10_SD_EESH_SX_SI_SJ_SK_EUlSX_E_NS1_11comp_targetILNS1_3genE9ELNS1_11target_archE1100ELNS1_3gpuE3ELNS1_3repE0EEENS1_48merge_mergepath_partition_config_static_selectorELNS0_4arch9wavefront6targetE1EEEvSJ_
                                        ; -- End function
	.set _ZN7rocprim17ROCPRIM_400000_NS6detail17trampoline_kernelINS0_14default_configENS1_38merge_sort_block_merge_config_selectorIjjEEZZNS1_27merge_sort_block_merge_implIS3_N6thrust23THRUST_200600_302600_NS6detail15normal_iteratorINS8_10device_ptrIjEEEESD_jNS1_19radix_merge_compareILb0ELb0EjNS0_19identity_decomposerEEEEE10hipError_tT0_T1_T2_jT3_P12ihipStream_tbPNSt15iterator_traitsISI_E10value_typeEPNSO_ISJ_E10value_typeEPSK_NS1_7vsmem_tEENKUlT_SI_SJ_SK_E_clIPjSD_S10_SD_EESH_SX_SI_SJ_SK_EUlSX_E_NS1_11comp_targetILNS1_3genE9ELNS1_11target_archE1100ELNS1_3gpuE3ELNS1_3repE0EEENS1_48merge_mergepath_partition_config_static_selectorELNS0_4arch9wavefront6targetE1EEEvSJ_.num_vgpr, 0
	.set _ZN7rocprim17ROCPRIM_400000_NS6detail17trampoline_kernelINS0_14default_configENS1_38merge_sort_block_merge_config_selectorIjjEEZZNS1_27merge_sort_block_merge_implIS3_N6thrust23THRUST_200600_302600_NS6detail15normal_iteratorINS8_10device_ptrIjEEEESD_jNS1_19radix_merge_compareILb0ELb0EjNS0_19identity_decomposerEEEEE10hipError_tT0_T1_T2_jT3_P12ihipStream_tbPNSt15iterator_traitsISI_E10value_typeEPNSO_ISJ_E10value_typeEPSK_NS1_7vsmem_tEENKUlT_SI_SJ_SK_E_clIPjSD_S10_SD_EESH_SX_SI_SJ_SK_EUlSX_E_NS1_11comp_targetILNS1_3genE9ELNS1_11target_archE1100ELNS1_3gpuE3ELNS1_3repE0EEENS1_48merge_mergepath_partition_config_static_selectorELNS0_4arch9wavefront6targetE1EEEvSJ_.num_agpr, 0
	.set _ZN7rocprim17ROCPRIM_400000_NS6detail17trampoline_kernelINS0_14default_configENS1_38merge_sort_block_merge_config_selectorIjjEEZZNS1_27merge_sort_block_merge_implIS3_N6thrust23THRUST_200600_302600_NS6detail15normal_iteratorINS8_10device_ptrIjEEEESD_jNS1_19radix_merge_compareILb0ELb0EjNS0_19identity_decomposerEEEEE10hipError_tT0_T1_T2_jT3_P12ihipStream_tbPNSt15iterator_traitsISI_E10value_typeEPNSO_ISJ_E10value_typeEPSK_NS1_7vsmem_tEENKUlT_SI_SJ_SK_E_clIPjSD_S10_SD_EESH_SX_SI_SJ_SK_EUlSX_E_NS1_11comp_targetILNS1_3genE9ELNS1_11target_archE1100ELNS1_3gpuE3ELNS1_3repE0EEENS1_48merge_mergepath_partition_config_static_selectorELNS0_4arch9wavefront6targetE1EEEvSJ_.numbered_sgpr, 0
	.set _ZN7rocprim17ROCPRIM_400000_NS6detail17trampoline_kernelINS0_14default_configENS1_38merge_sort_block_merge_config_selectorIjjEEZZNS1_27merge_sort_block_merge_implIS3_N6thrust23THRUST_200600_302600_NS6detail15normal_iteratorINS8_10device_ptrIjEEEESD_jNS1_19radix_merge_compareILb0ELb0EjNS0_19identity_decomposerEEEEE10hipError_tT0_T1_T2_jT3_P12ihipStream_tbPNSt15iterator_traitsISI_E10value_typeEPNSO_ISJ_E10value_typeEPSK_NS1_7vsmem_tEENKUlT_SI_SJ_SK_E_clIPjSD_S10_SD_EESH_SX_SI_SJ_SK_EUlSX_E_NS1_11comp_targetILNS1_3genE9ELNS1_11target_archE1100ELNS1_3gpuE3ELNS1_3repE0EEENS1_48merge_mergepath_partition_config_static_selectorELNS0_4arch9wavefront6targetE1EEEvSJ_.num_named_barrier, 0
	.set _ZN7rocprim17ROCPRIM_400000_NS6detail17trampoline_kernelINS0_14default_configENS1_38merge_sort_block_merge_config_selectorIjjEEZZNS1_27merge_sort_block_merge_implIS3_N6thrust23THRUST_200600_302600_NS6detail15normal_iteratorINS8_10device_ptrIjEEEESD_jNS1_19radix_merge_compareILb0ELb0EjNS0_19identity_decomposerEEEEE10hipError_tT0_T1_T2_jT3_P12ihipStream_tbPNSt15iterator_traitsISI_E10value_typeEPNSO_ISJ_E10value_typeEPSK_NS1_7vsmem_tEENKUlT_SI_SJ_SK_E_clIPjSD_S10_SD_EESH_SX_SI_SJ_SK_EUlSX_E_NS1_11comp_targetILNS1_3genE9ELNS1_11target_archE1100ELNS1_3gpuE3ELNS1_3repE0EEENS1_48merge_mergepath_partition_config_static_selectorELNS0_4arch9wavefront6targetE1EEEvSJ_.private_seg_size, 0
	.set _ZN7rocprim17ROCPRIM_400000_NS6detail17trampoline_kernelINS0_14default_configENS1_38merge_sort_block_merge_config_selectorIjjEEZZNS1_27merge_sort_block_merge_implIS3_N6thrust23THRUST_200600_302600_NS6detail15normal_iteratorINS8_10device_ptrIjEEEESD_jNS1_19radix_merge_compareILb0ELb0EjNS0_19identity_decomposerEEEEE10hipError_tT0_T1_T2_jT3_P12ihipStream_tbPNSt15iterator_traitsISI_E10value_typeEPNSO_ISJ_E10value_typeEPSK_NS1_7vsmem_tEENKUlT_SI_SJ_SK_E_clIPjSD_S10_SD_EESH_SX_SI_SJ_SK_EUlSX_E_NS1_11comp_targetILNS1_3genE9ELNS1_11target_archE1100ELNS1_3gpuE3ELNS1_3repE0EEENS1_48merge_mergepath_partition_config_static_selectorELNS0_4arch9wavefront6targetE1EEEvSJ_.uses_vcc, 0
	.set _ZN7rocprim17ROCPRIM_400000_NS6detail17trampoline_kernelINS0_14default_configENS1_38merge_sort_block_merge_config_selectorIjjEEZZNS1_27merge_sort_block_merge_implIS3_N6thrust23THRUST_200600_302600_NS6detail15normal_iteratorINS8_10device_ptrIjEEEESD_jNS1_19radix_merge_compareILb0ELb0EjNS0_19identity_decomposerEEEEE10hipError_tT0_T1_T2_jT3_P12ihipStream_tbPNSt15iterator_traitsISI_E10value_typeEPNSO_ISJ_E10value_typeEPSK_NS1_7vsmem_tEENKUlT_SI_SJ_SK_E_clIPjSD_S10_SD_EESH_SX_SI_SJ_SK_EUlSX_E_NS1_11comp_targetILNS1_3genE9ELNS1_11target_archE1100ELNS1_3gpuE3ELNS1_3repE0EEENS1_48merge_mergepath_partition_config_static_selectorELNS0_4arch9wavefront6targetE1EEEvSJ_.uses_flat_scratch, 0
	.set _ZN7rocprim17ROCPRIM_400000_NS6detail17trampoline_kernelINS0_14default_configENS1_38merge_sort_block_merge_config_selectorIjjEEZZNS1_27merge_sort_block_merge_implIS3_N6thrust23THRUST_200600_302600_NS6detail15normal_iteratorINS8_10device_ptrIjEEEESD_jNS1_19radix_merge_compareILb0ELb0EjNS0_19identity_decomposerEEEEE10hipError_tT0_T1_T2_jT3_P12ihipStream_tbPNSt15iterator_traitsISI_E10value_typeEPNSO_ISJ_E10value_typeEPSK_NS1_7vsmem_tEENKUlT_SI_SJ_SK_E_clIPjSD_S10_SD_EESH_SX_SI_SJ_SK_EUlSX_E_NS1_11comp_targetILNS1_3genE9ELNS1_11target_archE1100ELNS1_3gpuE3ELNS1_3repE0EEENS1_48merge_mergepath_partition_config_static_selectorELNS0_4arch9wavefront6targetE1EEEvSJ_.has_dyn_sized_stack, 0
	.set _ZN7rocprim17ROCPRIM_400000_NS6detail17trampoline_kernelINS0_14default_configENS1_38merge_sort_block_merge_config_selectorIjjEEZZNS1_27merge_sort_block_merge_implIS3_N6thrust23THRUST_200600_302600_NS6detail15normal_iteratorINS8_10device_ptrIjEEEESD_jNS1_19radix_merge_compareILb0ELb0EjNS0_19identity_decomposerEEEEE10hipError_tT0_T1_T2_jT3_P12ihipStream_tbPNSt15iterator_traitsISI_E10value_typeEPNSO_ISJ_E10value_typeEPSK_NS1_7vsmem_tEENKUlT_SI_SJ_SK_E_clIPjSD_S10_SD_EESH_SX_SI_SJ_SK_EUlSX_E_NS1_11comp_targetILNS1_3genE9ELNS1_11target_archE1100ELNS1_3gpuE3ELNS1_3repE0EEENS1_48merge_mergepath_partition_config_static_selectorELNS0_4arch9wavefront6targetE1EEEvSJ_.has_recursion, 0
	.set _ZN7rocprim17ROCPRIM_400000_NS6detail17trampoline_kernelINS0_14default_configENS1_38merge_sort_block_merge_config_selectorIjjEEZZNS1_27merge_sort_block_merge_implIS3_N6thrust23THRUST_200600_302600_NS6detail15normal_iteratorINS8_10device_ptrIjEEEESD_jNS1_19radix_merge_compareILb0ELb0EjNS0_19identity_decomposerEEEEE10hipError_tT0_T1_T2_jT3_P12ihipStream_tbPNSt15iterator_traitsISI_E10value_typeEPNSO_ISJ_E10value_typeEPSK_NS1_7vsmem_tEENKUlT_SI_SJ_SK_E_clIPjSD_S10_SD_EESH_SX_SI_SJ_SK_EUlSX_E_NS1_11comp_targetILNS1_3genE9ELNS1_11target_archE1100ELNS1_3gpuE3ELNS1_3repE0EEENS1_48merge_mergepath_partition_config_static_selectorELNS0_4arch9wavefront6targetE1EEEvSJ_.has_indirect_call, 0
	.section	.AMDGPU.csdata,"",@progbits
; Kernel info:
; codeLenInByte = 0
; TotalNumSgprs: 6
; NumVgprs: 0
; NumAgprs: 0
; TotalNumVgprs: 0
; ScratchSize: 0
; MemoryBound: 0
; FloatMode: 240
; IeeeMode: 1
; LDSByteSize: 0 bytes/workgroup (compile time only)
; SGPRBlocks: 0
; VGPRBlocks: 0
; NumSGPRsForWavesPerEU: 6
; NumVGPRsForWavesPerEU: 1
; AccumOffset: 4
; Occupancy: 8
; WaveLimiterHint : 0
; COMPUTE_PGM_RSRC2:SCRATCH_EN: 0
; COMPUTE_PGM_RSRC2:USER_SGPR: 2
; COMPUTE_PGM_RSRC2:TRAP_HANDLER: 0
; COMPUTE_PGM_RSRC2:TGID_X_EN: 1
; COMPUTE_PGM_RSRC2:TGID_Y_EN: 0
; COMPUTE_PGM_RSRC2:TGID_Z_EN: 0
; COMPUTE_PGM_RSRC2:TIDIG_COMP_CNT: 0
; COMPUTE_PGM_RSRC3_GFX90A:ACCUM_OFFSET: 0
; COMPUTE_PGM_RSRC3_GFX90A:TG_SPLIT: 0
	.section	.text._ZN7rocprim17ROCPRIM_400000_NS6detail17trampoline_kernelINS0_14default_configENS1_38merge_sort_block_merge_config_selectorIjjEEZZNS1_27merge_sort_block_merge_implIS3_N6thrust23THRUST_200600_302600_NS6detail15normal_iteratorINS8_10device_ptrIjEEEESD_jNS1_19radix_merge_compareILb0ELb0EjNS0_19identity_decomposerEEEEE10hipError_tT0_T1_T2_jT3_P12ihipStream_tbPNSt15iterator_traitsISI_E10value_typeEPNSO_ISJ_E10value_typeEPSK_NS1_7vsmem_tEENKUlT_SI_SJ_SK_E_clIPjSD_S10_SD_EESH_SX_SI_SJ_SK_EUlSX_E_NS1_11comp_targetILNS1_3genE8ELNS1_11target_archE1030ELNS1_3gpuE2ELNS1_3repE0EEENS1_48merge_mergepath_partition_config_static_selectorELNS0_4arch9wavefront6targetE1EEEvSJ_,"axG",@progbits,_ZN7rocprim17ROCPRIM_400000_NS6detail17trampoline_kernelINS0_14default_configENS1_38merge_sort_block_merge_config_selectorIjjEEZZNS1_27merge_sort_block_merge_implIS3_N6thrust23THRUST_200600_302600_NS6detail15normal_iteratorINS8_10device_ptrIjEEEESD_jNS1_19radix_merge_compareILb0ELb0EjNS0_19identity_decomposerEEEEE10hipError_tT0_T1_T2_jT3_P12ihipStream_tbPNSt15iterator_traitsISI_E10value_typeEPNSO_ISJ_E10value_typeEPSK_NS1_7vsmem_tEENKUlT_SI_SJ_SK_E_clIPjSD_S10_SD_EESH_SX_SI_SJ_SK_EUlSX_E_NS1_11comp_targetILNS1_3genE8ELNS1_11target_archE1030ELNS1_3gpuE2ELNS1_3repE0EEENS1_48merge_mergepath_partition_config_static_selectorELNS0_4arch9wavefront6targetE1EEEvSJ_,comdat
	.protected	_ZN7rocprim17ROCPRIM_400000_NS6detail17trampoline_kernelINS0_14default_configENS1_38merge_sort_block_merge_config_selectorIjjEEZZNS1_27merge_sort_block_merge_implIS3_N6thrust23THRUST_200600_302600_NS6detail15normal_iteratorINS8_10device_ptrIjEEEESD_jNS1_19radix_merge_compareILb0ELb0EjNS0_19identity_decomposerEEEEE10hipError_tT0_T1_T2_jT3_P12ihipStream_tbPNSt15iterator_traitsISI_E10value_typeEPNSO_ISJ_E10value_typeEPSK_NS1_7vsmem_tEENKUlT_SI_SJ_SK_E_clIPjSD_S10_SD_EESH_SX_SI_SJ_SK_EUlSX_E_NS1_11comp_targetILNS1_3genE8ELNS1_11target_archE1030ELNS1_3gpuE2ELNS1_3repE0EEENS1_48merge_mergepath_partition_config_static_selectorELNS0_4arch9wavefront6targetE1EEEvSJ_ ; -- Begin function _ZN7rocprim17ROCPRIM_400000_NS6detail17trampoline_kernelINS0_14default_configENS1_38merge_sort_block_merge_config_selectorIjjEEZZNS1_27merge_sort_block_merge_implIS3_N6thrust23THRUST_200600_302600_NS6detail15normal_iteratorINS8_10device_ptrIjEEEESD_jNS1_19radix_merge_compareILb0ELb0EjNS0_19identity_decomposerEEEEE10hipError_tT0_T1_T2_jT3_P12ihipStream_tbPNSt15iterator_traitsISI_E10value_typeEPNSO_ISJ_E10value_typeEPSK_NS1_7vsmem_tEENKUlT_SI_SJ_SK_E_clIPjSD_S10_SD_EESH_SX_SI_SJ_SK_EUlSX_E_NS1_11comp_targetILNS1_3genE8ELNS1_11target_archE1030ELNS1_3gpuE2ELNS1_3repE0EEENS1_48merge_mergepath_partition_config_static_selectorELNS0_4arch9wavefront6targetE1EEEvSJ_
	.globl	_ZN7rocprim17ROCPRIM_400000_NS6detail17trampoline_kernelINS0_14default_configENS1_38merge_sort_block_merge_config_selectorIjjEEZZNS1_27merge_sort_block_merge_implIS3_N6thrust23THRUST_200600_302600_NS6detail15normal_iteratorINS8_10device_ptrIjEEEESD_jNS1_19radix_merge_compareILb0ELb0EjNS0_19identity_decomposerEEEEE10hipError_tT0_T1_T2_jT3_P12ihipStream_tbPNSt15iterator_traitsISI_E10value_typeEPNSO_ISJ_E10value_typeEPSK_NS1_7vsmem_tEENKUlT_SI_SJ_SK_E_clIPjSD_S10_SD_EESH_SX_SI_SJ_SK_EUlSX_E_NS1_11comp_targetILNS1_3genE8ELNS1_11target_archE1030ELNS1_3gpuE2ELNS1_3repE0EEENS1_48merge_mergepath_partition_config_static_selectorELNS0_4arch9wavefront6targetE1EEEvSJ_
	.p2align	8
	.type	_ZN7rocprim17ROCPRIM_400000_NS6detail17trampoline_kernelINS0_14default_configENS1_38merge_sort_block_merge_config_selectorIjjEEZZNS1_27merge_sort_block_merge_implIS3_N6thrust23THRUST_200600_302600_NS6detail15normal_iteratorINS8_10device_ptrIjEEEESD_jNS1_19radix_merge_compareILb0ELb0EjNS0_19identity_decomposerEEEEE10hipError_tT0_T1_T2_jT3_P12ihipStream_tbPNSt15iterator_traitsISI_E10value_typeEPNSO_ISJ_E10value_typeEPSK_NS1_7vsmem_tEENKUlT_SI_SJ_SK_E_clIPjSD_S10_SD_EESH_SX_SI_SJ_SK_EUlSX_E_NS1_11comp_targetILNS1_3genE8ELNS1_11target_archE1030ELNS1_3gpuE2ELNS1_3repE0EEENS1_48merge_mergepath_partition_config_static_selectorELNS0_4arch9wavefront6targetE1EEEvSJ_,@function
_ZN7rocprim17ROCPRIM_400000_NS6detail17trampoline_kernelINS0_14default_configENS1_38merge_sort_block_merge_config_selectorIjjEEZZNS1_27merge_sort_block_merge_implIS3_N6thrust23THRUST_200600_302600_NS6detail15normal_iteratorINS8_10device_ptrIjEEEESD_jNS1_19radix_merge_compareILb0ELb0EjNS0_19identity_decomposerEEEEE10hipError_tT0_T1_T2_jT3_P12ihipStream_tbPNSt15iterator_traitsISI_E10value_typeEPNSO_ISJ_E10value_typeEPSK_NS1_7vsmem_tEENKUlT_SI_SJ_SK_E_clIPjSD_S10_SD_EESH_SX_SI_SJ_SK_EUlSX_E_NS1_11comp_targetILNS1_3genE8ELNS1_11target_archE1030ELNS1_3gpuE2ELNS1_3repE0EEENS1_48merge_mergepath_partition_config_static_selectorELNS0_4arch9wavefront6targetE1EEEvSJ_: ; @_ZN7rocprim17ROCPRIM_400000_NS6detail17trampoline_kernelINS0_14default_configENS1_38merge_sort_block_merge_config_selectorIjjEEZZNS1_27merge_sort_block_merge_implIS3_N6thrust23THRUST_200600_302600_NS6detail15normal_iteratorINS8_10device_ptrIjEEEESD_jNS1_19radix_merge_compareILb0ELb0EjNS0_19identity_decomposerEEEEE10hipError_tT0_T1_T2_jT3_P12ihipStream_tbPNSt15iterator_traitsISI_E10value_typeEPNSO_ISJ_E10value_typeEPSK_NS1_7vsmem_tEENKUlT_SI_SJ_SK_E_clIPjSD_S10_SD_EESH_SX_SI_SJ_SK_EUlSX_E_NS1_11comp_targetILNS1_3genE8ELNS1_11target_archE1030ELNS1_3gpuE2ELNS1_3repE0EEENS1_48merge_mergepath_partition_config_static_selectorELNS0_4arch9wavefront6targetE1EEEvSJ_
; %bb.0:
	.section	.rodata,"a",@progbits
	.p2align	6, 0x0
	.amdhsa_kernel _ZN7rocprim17ROCPRIM_400000_NS6detail17trampoline_kernelINS0_14default_configENS1_38merge_sort_block_merge_config_selectorIjjEEZZNS1_27merge_sort_block_merge_implIS3_N6thrust23THRUST_200600_302600_NS6detail15normal_iteratorINS8_10device_ptrIjEEEESD_jNS1_19radix_merge_compareILb0ELb0EjNS0_19identity_decomposerEEEEE10hipError_tT0_T1_T2_jT3_P12ihipStream_tbPNSt15iterator_traitsISI_E10value_typeEPNSO_ISJ_E10value_typeEPSK_NS1_7vsmem_tEENKUlT_SI_SJ_SK_E_clIPjSD_S10_SD_EESH_SX_SI_SJ_SK_EUlSX_E_NS1_11comp_targetILNS1_3genE8ELNS1_11target_archE1030ELNS1_3gpuE2ELNS1_3repE0EEENS1_48merge_mergepath_partition_config_static_selectorELNS0_4arch9wavefront6targetE1EEEvSJ_
		.amdhsa_group_segment_fixed_size 0
		.amdhsa_private_segment_fixed_size 0
		.amdhsa_kernarg_size 40
		.amdhsa_user_sgpr_count 2
		.amdhsa_user_sgpr_dispatch_ptr 0
		.amdhsa_user_sgpr_queue_ptr 0
		.amdhsa_user_sgpr_kernarg_segment_ptr 1
		.amdhsa_user_sgpr_dispatch_id 0
		.amdhsa_user_sgpr_kernarg_preload_length 0
		.amdhsa_user_sgpr_kernarg_preload_offset 0
		.amdhsa_user_sgpr_private_segment_size 0
		.amdhsa_uses_dynamic_stack 0
		.amdhsa_enable_private_segment 0
		.amdhsa_system_sgpr_workgroup_id_x 1
		.amdhsa_system_sgpr_workgroup_id_y 0
		.amdhsa_system_sgpr_workgroup_id_z 0
		.amdhsa_system_sgpr_workgroup_info 0
		.amdhsa_system_vgpr_workitem_id 0
		.amdhsa_next_free_vgpr 1
		.amdhsa_next_free_sgpr 0
		.amdhsa_accum_offset 4
		.amdhsa_reserve_vcc 0
		.amdhsa_float_round_mode_32 0
		.amdhsa_float_round_mode_16_64 0
		.amdhsa_float_denorm_mode_32 3
		.amdhsa_float_denorm_mode_16_64 3
		.amdhsa_dx10_clamp 1
		.amdhsa_ieee_mode 1
		.amdhsa_fp16_overflow 0
		.amdhsa_tg_split 0
		.amdhsa_exception_fp_ieee_invalid_op 0
		.amdhsa_exception_fp_denorm_src 0
		.amdhsa_exception_fp_ieee_div_zero 0
		.amdhsa_exception_fp_ieee_overflow 0
		.amdhsa_exception_fp_ieee_underflow 0
		.amdhsa_exception_fp_ieee_inexact 0
		.amdhsa_exception_int_div_zero 0
	.end_amdhsa_kernel
	.section	.text._ZN7rocprim17ROCPRIM_400000_NS6detail17trampoline_kernelINS0_14default_configENS1_38merge_sort_block_merge_config_selectorIjjEEZZNS1_27merge_sort_block_merge_implIS3_N6thrust23THRUST_200600_302600_NS6detail15normal_iteratorINS8_10device_ptrIjEEEESD_jNS1_19radix_merge_compareILb0ELb0EjNS0_19identity_decomposerEEEEE10hipError_tT0_T1_T2_jT3_P12ihipStream_tbPNSt15iterator_traitsISI_E10value_typeEPNSO_ISJ_E10value_typeEPSK_NS1_7vsmem_tEENKUlT_SI_SJ_SK_E_clIPjSD_S10_SD_EESH_SX_SI_SJ_SK_EUlSX_E_NS1_11comp_targetILNS1_3genE8ELNS1_11target_archE1030ELNS1_3gpuE2ELNS1_3repE0EEENS1_48merge_mergepath_partition_config_static_selectorELNS0_4arch9wavefront6targetE1EEEvSJ_,"axG",@progbits,_ZN7rocprim17ROCPRIM_400000_NS6detail17trampoline_kernelINS0_14default_configENS1_38merge_sort_block_merge_config_selectorIjjEEZZNS1_27merge_sort_block_merge_implIS3_N6thrust23THRUST_200600_302600_NS6detail15normal_iteratorINS8_10device_ptrIjEEEESD_jNS1_19radix_merge_compareILb0ELb0EjNS0_19identity_decomposerEEEEE10hipError_tT0_T1_T2_jT3_P12ihipStream_tbPNSt15iterator_traitsISI_E10value_typeEPNSO_ISJ_E10value_typeEPSK_NS1_7vsmem_tEENKUlT_SI_SJ_SK_E_clIPjSD_S10_SD_EESH_SX_SI_SJ_SK_EUlSX_E_NS1_11comp_targetILNS1_3genE8ELNS1_11target_archE1030ELNS1_3gpuE2ELNS1_3repE0EEENS1_48merge_mergepath_partition_config_static_selectorELNS0_4arch9wavefront6targetE1EEEvSJ_,comdat
.Lfunc_end626:
	.size	_ZN7rocprim17ROCPRIM_400000_NS6detail17trampoline_kernelINS0_14default_configENS1_38merge_sort_block_merge_config_selectorIjjEEZZNS1_27merge_sort_block_merge_implIS3_N6thrust23THRUST_200600_302600_NS6detail15normal_iteratorINS8_10device_ptrIjEEEESD_jNS1_19radix_merge_compareILb0ELb0EjNS0_19identity_decomposerEEEEE10hipError_tT0_T1_T2_jT3_P12ihipStream_tbPNSt15iterator_traitsISI_E10value_typeEPNSO_ISJ_E10value_typeEPSK_NS1_7vsmem_tEENKUlT_SI_SJ_SK_E_clIPjSD_S10_SD_EESH_SX_SI_SJ_SK_EUlSX_E_NS1_11comp_targetILNS1_3genE8ELNS1_11target_archE1030ELNS1_3gpuE2ELNS1_3repE0EEENS1_48merge_mergepath_partition_config_static_selectorELNS0_4arch9wavefront6targetE1EEEvSJ_, .Lfunc_end626-_ZN7rocprim17ROCPRIM_400000_NS6detail17trampoline_kernelINS0_14default_configENS1_38merge_sort_block_merge_config_selectorIjjEEZZNS1_27merge_sort_block_merge_implIS3_N6thrust23THRUST_200600_302600_NS6detail15normal_iteratorINS8_10device_ptrIjEEEESD_jNS1_19radix_merge_compareILb0ELb0EjNS0_19identity_decomposerEEEEE10hipError_tT0_T1_T2_jT3_P12ihipStream_tbPNSt15iterator_traitsISI_E10value_typeEPNSO_ISJ_E10value_typeEPSK_NS1_7vsmem_tEENKUlT_SI_SJ_SK_E_clIPjSD_S10_SD_EESH_SX_SI_SJ_SK_EUlSX_E_NS1_11comp_targetILNS1_3genE8ELNS1_11target_archE1030ELNS1_3gpuE2ELNS1_3repE0EEENS1_48merge_mergepath_partition_config_static_selectorELNS0_4arch9wavefront6targetE1EEEvSJ_
                                        ; -- End function
	.set _ZN7rocprim17ROCPRIM_400000_NS6detail17trampoline_kernelINS0_14default_configENS1_38merge_sort_block_merge_config_selectorIjjEEZZNS1_27merge_sort_block_merge_implIS3_N6thrust23THRUST_200600_302600_NS6detail15normal_iteratorINS8_10device_ptrIjEEEESD_jNS1_19radix_merge_compareILb0ELb0EjNS0_19identity_decomposerEEEEE10hipError_tT0_T1_T2_jT3_P12ihipStream_tbPNSt15iterator_traitsISI_E10value_typeEPNSO_ISJ_E10value_typeEPSK_NS1_7vsmem_tEENKUlT_SI_SJ_SK_E_clIPjSD_S10_SD_EESH_SX_SI_SJ_SK_EUlSX_E_NS1_11comp_targetILNS1_3genE8ELNS1_11target_archE1030ELNS1_3gpuE2ELNS1_3repE0EEENS1_48merge_mergepath_partition_config_static_selectorELNS0_4arch9wavefront6targetE1EEEvSJ_.num_vgpr, 0
	.set _ZN7rocprim17ROCPRIM_400000_NS6detail17trampoline_kernelINS0_14default_configENS1_38merge_sort_block_merge_config_selectorIjjEEZZNS1_27merge_sort_block_merge_implIS3_N6thrust23THRUST_200600_302600_NS6detail15normal_iteratorINS8_10device_ptrIjEEEESD_jNS1_19radix_merge_compareILb0ELb0EjNS0_19identity_decomposerEEEEE10hipError_tT0_T1_T2_jT3_P12ihipStream_tbPNSt15iterator_traitsISI_E10value_typeEPNSO_ISJ_E10value_typeEPSK_NS1_7vsmem_tEENKUlT_SI_SJ_SK_E_clIPjSD_S10_SD_EESH_SX_SI_SJ_SK_EUlSX_E_NS1_11comp_targetILNS1_3genE8ELNS1_11target_archE1030ELNS1_3gpuE2ELNS1_3repE0EEENS1_48merge_mergepath_partition_config_static_selectorELNS0_4arch9wavefront6targetE1EEEvSJ_.num_agpr, 0
	.set _ZN7rocprim17ROCPRIM_400000_NS6detail17trampoline_kernelINS0_14default_configENS1_38merge_sort_block_merge_config_selectorIjjEEZZNS1_27merge_sort_block_merge_implIS3_N6thrust23THRUST_200600_302600_NS6detail15normal_iteratorINS8_10device_ptrIjEEEESD_jNS1_19radix_merge_compareILb0ELb0EjNS0_19identity_decomposerEEEEE10hipError_tT0_T1_T2_jT3_P12ihipStream_tbPNSt15iterator_traitsISI_E10value_typeEPNSO_ISJ_E10value_typeEPSK_NS1_7vsmem_tEENKUlT_SI_SJ_SK_E_clIPjSD_S10_SD_EESH_SX_SI_SJ_SK_EUlSX_E_NS1_11comp_targetILNS1_3genE8ELNS1_11target_archE1030ELNS1_3gpuE2ELNS1_3repE0EEENS1_48merge_mergepath_partition_config_static_selectorELNS0_4arch9wavefront6targetE1EEEvSJ_.numbered_sgpr, 0
	.set _ZN7rocprim17ROCPRIM_400000_NS6detail17trampoline_kernelINS0_14default_configENS1_38merge_sort_block_merge_config_selectorIjjEEZZNS1_27merge_sort_block_merge_implIS3_N6thrust23THRUST_200600_302600_NS6detail15normal_iteratorINS8_10device_ptrIjEEEESD_jNS1_19radix_merge_compareILb0ELb0EjNS0_19identity_decomposerEEEEE10hipError_tT0_T1_T2_jT3_P12ihipStream_tbPNSt15iterator_traitsISI_E10value_typeEPNSO_ISJ_E10value_typeEPSK_NS1_7vsmem_tEENKUlT_SI_SJ_SK_E_clIPjSD_S10_SD_EESH_SX_SI_SJ_SK_EUlSX_E_NS1_11comp_targetILNS1_3genE8ELNS1_11target_archE1030ELNS1_3gpuE2ELNS1_3repE0EEENS1_48merge_mergepath_partition_config_static_selectorELNS0_4arch9wavefront6targetE1EEEvSJ_.num_named_barrier, 0
	.set _ZN7rocprim17ROCPRIM_400000_NS6detail17trampoline_kernelINS0_14default_configENS1_38merge_sort_block_merge_config_selectorIjjEEZZNS1_27merge_sort_block_merge_implIS3_N6thrust23THRUST_200600_302600_NS6detail15normal_iteratorINS8_10device_ptrIjEEEESD_jNS1_19radix_merge_compareILb0ELb0EjNS0_19identity_decomposerEEEEE10hipError_tT0_T1_T2_jT3_P12ihipStream_tbPNSt15iterator_traitsISI_E10value_typeEPNSO_ISJ_E10value_typeEPSK_NS1_7vsmem_tEENKUlT_SI_SJ_SK_E_clIPjSD_S10_SD_EESH_SX_SI_SJ_SK_EUlSX_E_NS1_11comp_targetILNS1_3genE8ELNS1_11target_archE1030ELNS1_3gpuE2ELNS1_3repE0EEENS1_48merge_mergepath_partition_config_static_selectorELNS0_4arch9wavefront6targetE1EEEvSJ_.private_seg_size, 0
	.set _ZN7rocprim17ROCPRIM_400000_NS6detail17trampoline_kernelINS0_14default_configENS1_38merge_sort_block_merge_config_selectorIjjEEZZNS1_27merge_sort_block_merge_implIS3_N6thrust23THRUST_200600_302600_NS6detail15normal_iteratorINS8_10device_ptrIjEEEESD_jNS1_19radix_merge_compareILb0ELb0EjNS0_19identity_decomposerEEEEE10hipError_tT0_T1_T2_jT3_P12ihipStream_tbPNSt15iterator_traitsISI_E10value_typeEPNSO_ISJ_E10value_typeEPSK_NS1_7vsmem_tEENKUlT_SI_SJ_SK_E_clIPjSD_S10_SD_EESH_SX_SI_SJ_SK_EUlSX_E_NS1_11comp_targetILNS1_3genE8ELNS1_11target_archE1030ELNS1_3gpuE2ELNS1_3repE0EEENS1_48merge_mergepath_partition_config_static_selectorELNS0_4arch9wavefront6targetE1EEEvSJ_.uses_vcc, 0
	.set _ZN7rocprim17ROCPRIM_400000_NS6detail17trampoline_kernelINS0_14default_configENS1_38merge_sort_block_merge_config_selectorIjjEEZZNS1_27merge_sort_block_merge_implIS3_N6thrust23THRUST_200600_302600_NS6detail15normal_iteratorINS8_10device_ptrIjEEEESD_jNS1_19radix_merge_compareILb0ELb0EjNS0_19identity_decomposerEEEEE10hipError_tT0_T1_T2_jT3_P12ihipStream_tbPNSt15iterator_traitsISI_E10value_typeEPNSO_ISJ_E10value_typeEPSK_NS1_7vsmem_tEENKUlT_SI_SJ_SK_E_clIPjSD_S10_SD_EESH_SX_SI_SJ_SK_EUlSX_E_NS1_11comp_targetILNS1_3genE8ELNS1_11target_archE1030ELNS1_3gpuE2ELNS1_3repE0EEENS1_48merge_mergepath_partition_config_static_selectorELNS0_4arch9wavefront6targetE1EEEvSJ_.uses_flat_scratch, 0
	.set _ZN7rocprim17ROCPRIM_400000_NS6detail17trampoline_kernelINS0_14default_configENS1_38merge_sort_block_merge_config_selectorIjjEEZZNS1_27merge_sort_block_merge_implIS3_N6thrust23THRUST_200600_302600_NS6detail15normal_iteratorINS8_10device_ptrIjEEEESD_jNS1_19radix_merge_compareILb0ELb0EjNS0_19identity_decomposerEEEEE10hipError_tT0_T1_T2_jT3_P12ihipStream_tbPNSt15iterator_traitsISI_E10value_typeEPNSO_ISJ_E10value_typeEPSK_NS1_7vsmem_tEENKUlT_SI_SJ_SK_E_clIPjSD_S10_SD_EESH_SX_SI_SJ_SK_EUlSX_E_NS1_11comp_targetILNS1_3genE8ELNS1_11target_archE1030ELNS1_3gpuE2ELNS1_3repE0EEENS1_48merge_mergepath_partition_config_static_selectorELNS0_4arch9wavefront6targetE1EEEvSJ_.has_dyn_sized_stack, 0
	.set _ZN7rocprim17ROCPRIM_400000_NS6detail17trampoline_kernelINS0_14default_configENS1_38merge_sort_block_merge_config_selectorIjjEEZZNS1_27merge_sort_block_merge_implIS3_N6thrust23THRUST_200600_302600_NS6detail15normal_iteratorINS8_10device_ptrIjEEEESD_jNS1_19radix_merge_compareILb0ELb0EjNS0_19identity_decomposerEEEEE10hipError_tT0_T1_T2_jT3_P12ihipStream_tbPNSt15iterator_traitsISI_E10value_typeEPNSO_ISJ_E10value_typeEPSK_NS1_7vsmem_tEENKUlT_SI_SJ_SK_E_clIPjSD_S10_SD_EESH_SX_SI_SJ_SK_EUlSX_E_NS1_11comp_targetILNS1_3genE8ELNS1_11target_archE1030ELNS1_3gpuE2ELNS1_3repE0EEENS1_48merge_mergepath_partition_config_static_selectorELNS0_4arch9wavefront6targetE1EEEvSJ_.has_recursion, 0
	.set _ZN7rocprim17ROCPRIM_400000_NS6detail17trampoline_kernelINS0_14default_configENS1_38merge_sort_block_merge_config_selectorIjjEEZZNS1_27merge_sort_block_merge_implIS3_N6thrust23THRUST_200600_302600_NS6detail15normal_iteratorINS8_10device_ptrIjEEEESD_jNS1_19radix_merge_compareILb0ELb0EjNS0_19identity_decomposerEEEEE10hipError_tT0_T1_T2_jT3_P12ihipStream_tbPNSt15iterator_traitsISI_E10value_typeEPNSO_ISJ_E10value_typeEPSK_NS1_7vsmem_tEENKUlT_SI_SJ_SK_E_clIPjSD_S10_SD_EESH_SX_SI_SJ_SK_EUlSX_E_NS1_11comp_targetILNS1_3genE8ELNS1_11target_archE1030ELNS1_3gpuE2ELNS1_3repE0EEENS1_48merge_mergepath_partition_config_static_selectorELNS0_4arch9wavefront6targetE1EEEvSJ_.has_indirect_call, 0
	.section	.AMDGPU.csdata,"",@progbits
; Kernel info:
; codeLenInByte = 0
; TotalNumSgprs: 6
; NumVgprs: 0
; NumAgprs: 0
; TotalNumVgprs: 0
; ScratchSize: 0
; MemoryBound: 0
; FloatMode: 240
; IeeeMode: 1
; LDSByteSize: 0 bytes/workgroup (compile time only)
; SGPRBlocks: 0
; VGPRBlocks: 0
; NumSGPRsForWavesPerEU: 6
; NumVGPRsForWavesPerEU: 1
; AccumOffset: 4
; Occupancy: 8
; WaveLimiterHint : 0
; COMPUTE_PGM_RSRC2:SCRATCH_EN: 0
; COMPUTE_PGM_RSRC2:USER_SGPR: 2
; COMPUTE_PGM_RSRC2:TRAP_HANDLER: 0
; COMPUTE_PGM_RSRC2:TGID_X_EN: 1
; COMPUTE_PGM_RSRC2:TGID_Y_EN: 0
; COMPUTE_PGM_RSRC2:TGID_Z_EN: 0
; COMPUTE_PGM_RSRC2:TIDIG_COMP_CNT: 0
; COMPUTE_PGM_RSRC3_GFX90A:ACCUM_OFFSET: 0
; COMPUTE_PGM_RSRC3_GFX90A:TG_SPLIT: 0
	.section	.text._ZN7rocprim17ROCPRIM_400000_NS6detail17trampoline_kernelINS0_14default_configENS1_38merge_sort_block_merge_config_selectorIjjEEZZNS1_27merge_sort_block_merge_implIS3_N6thrust23THRUST_200600_302600_NS6detail15normal_iteratorINS8_10device_ptrIjEEEESD_jNS1_19radix_merge_compareILb0ELb0EjNS0_19identity_decomposerEEEEE10hipError_tT0_T1_T2_jT3_P12ihipStream_tbPNSt15iterator_traitsISI_E10value_typeEPNSO_ISJ_E10value_typeEPSK_NS1_7vsmem_tEENKUlT_SI_SJ_SK_E_clIPjSD_S10_SD_EESH_SX_SI_SJ_SK_EUlSX_E0_NS1_11comp_targetILNS1_3genE0ELNS1_11target_archE4294967295ELNS1_3gpuE0ELNS1_3repE0EEENS1_38merge_mergepath_config_static_selectorELNS0_4arch9wavefront6targetE1EEEvSJ_,"axG",@progbits,_ZN7rocprim17ROCPRIM_400000_NS6detail17trampoline_kernelINS0_14default_configENS1_38merge_sort_block_merge_config_selectorIjjEEZZNS1_27merge_sort_block_merge_implIS3_N6thrust23THRUST_200600_302600_NS6detail15normal_iteratorINS8_10device_ptrIjEEEESD_jNS1_19radix_merge_compareILb0ELb0EjNS0_19identity_decomposerEEEEE10hipError_tT0_T1_T2_jT3_P12ihipStream_tbPNSt15iterator_traitsISI_E10value_typeEPNSO_ISJ_E10value_typeEPSK_NS1_7vsmem_tEENKUlT_SI_SJ_SK_E_clIPjSD_S10_SD_EESH_SX_SI_SJ_SK_EUlSX_E0_NS1_11comp_targetILNS1_3genE0ELNS1_11target_archE4294967295ELNS1_3gpuE0ELNS1_3repE0EEENS1_38merge_mergepath_config_static_selectorELNS0_4arch9wavefront6targetE1EEEvSJ_,comdat
	.protected	_ZN7rocprim17ROCPRIM_400000_NS6detail17trampoline_kernelINS0_14default_configENS1_38merge_sort_block_merge_config_selectorIjjEEZZNS1_27merge_sort_block_merge_implIS3_N6thrust23THRUST_200600_302600_NS6detail15normal_iteratorINS8_10device_ptrIjEEEESD_jNS1_19radix_merge_compareILb0ELb0EjNS0_19identity_decomposerEEEEE10hipError_tT0_T1_T2_jT3_P12ihipStream_tbPNSt15iterator_traitsISI_E10value_typeEPNSO_ISJ_E10value_typeEPSK_NS1_7vsmem_tEENKUlT_SI_SJ_SK_E_clIPjSD_S10_SD_EESH_SX_SI_SJ_SK_EUlSX_E0_NS1_11comp_targetILNS1_3genE0ELNS1_11target_archE4294967295ELNS1_3gpuE0ELNS1_3repE0EEENS1_38merge_mergepath_config_static_selectorELNS0_4arch9wavefront6targetE1EEEvSJ_ ; -- Begin function _ZN7rocprim17ROCPRIM_400000_NS6detail17trampoline_kernelINS0_14default_configENS1_38merge_sort_block_merge_config_selectorIjjEEZZNS1_27merge_sort_block_merge_implIS3_N6thrust23THRUST_200600_302600_NS6detail15normal_iteratorINS8_10device_ptrIjEEEESD_jNS1_19radix_merge_compareILb0ELb0EjNS0_19identity_decomposerEEEEE10hipError_tT0_T1_T2_jT3_P12ihipStream_tbPNSt15iterator_traitsISI_E10value_typeEPNSO_ISJ_E10value_typeEPSK_NS1_7vsmem_tEENKUlT_SI_SJ_SK_E_clIPjSD_S10_SD_EESH_SX_SI_SJ_SK_EUlSX_E0_NS1_11comp_targetILNS1_3genE0ELNS1_11target_archE4294967295ELNS1_3gpuE0ELNS1_3repE0EEENS1_38merge_mergepath_config_static_selectorELNS0_4arch9wavefront6targetE1EEEvSJ_
	.globl	_ZN7rocprim17ROCPRIM_400000_NS6detail17trampoline_kernelINS0_14default_configENS1_38merge_sort_block_merge_config_selectorIjjEEZZNS1_27merge_sort_block_merge_implIS3_N6thrust23THRUST_200600_302600_NS6detail15normal_iteratorINS8_10device_ptrIjEEEESD_jNS1_19radix_merge_compareILb0ELb0EjNS0_19identity_decomposerEEEEE10hipError_tT0_T1_T2_jT3_P12ihipStream_tbPNSt15iterator_traitsISI_E10value_typeEPNSO_ISJ_E10value_typeEPSK_NS1_7vsmem_tEENKUlT_SI_SJ_SK_E_clIPjSD_S10_SD_EESH_SX_SI_SJ_SK_EUlSX_E0_NS1_11comp_targetILNS1_3genE0ELNS1_11target_archE4294967295ELNS1_3gpuE0ELNS1_3repE0EEENS1_38merge_mergepath_config_static_selectorELNS0_4arch9wavefront6targetE1EEEvSJ_
	.p2align	8
	.type	_ZN7rocprim17ROCPRIM_400000_NS6detail17trampoline_kernelINS0_14default_configENS1_38merge_sort_block_merge_config_selectorIjjEEZZNS1_27merge_sort_block_merge_implIS3_N6thrust23THRUST_200600_302600_NS6detail15normal_iteratorINS8_10device_ptrIjEEEESD_jNS1_19radix_merge_compareILb0ELb0EjNS0_19identity_decomposerEEEEE10hipError_tT0_T1_T2_jT3_P12ihipStream_tbPNSt15iterator_traitsISI_E10value_typeEPNSO_ISJ_E10value_typeEPSK_NS1_7vsmem_tEENKUlT_SI_SJ_SK_E_clIPjSD_S10_SD_EESH_SX_SI_SJ_SK_EUlSX_E0_NS1_11comp_targetILNS1_3genE0ELNS1_11target_archE4294967295ELNS1_3gpuE0ELNS1_3repE0EEENS1_38merge_mergepath_config_static_selectorELNS0_4arch9wavefront6targetE1EEEvSJ_,@function
_ZN7rocprim17ROCPRIM_400000_NS6detail17trampoline_kernelINS0_14default_configENS1_38merge_sort_block_merge_config_selectorIjjEEZZNS1_27merge_sort_block_merge_implIS3_N6thrust23THRUST_200600_302600_NS6detail15normal_iteratorINS8_10device_ptrIjEEEESD_jNS1_19radix_merge_compareILb0ELb0EjNS0_19identity_decomposerEEEEE10hipError_tT0_T1_T2_jT3_P12ihipStream_tbPNSt15iterator_traitsISI_E10value_typeEPNSO_ISJ_E10value_typeEPSK_NS1_7vsmem_tEENKUlT_SI_SJ_SK_E_clIPjSD_S10_SD_EESH_SX_SI_SJ_SK_EUlSX_E0_NS1_11comp_targetILNS1_3genE0ELNS1_11target_archE4294967295ELNS1_3gpuE0ELNS1_3repE0EEENS1_38merge_mergepath_config_static_selectorELNS0_4arch9wavefront6targetE1EEEvSJ_: ; @_ZN7rocprim17ROCPRIM_400000_NS6detail17trampoline_kernelINS0_14default_configENS1_38merge_sort_block_merge_config_selectorIjjEEZZNS1_27merge_sort_block_merge_implIS3_N6thrust23THRUST_200600_302600_NS6detail15normal_iteratorINS8_10device_ptrIjEEEESD_jNS1_19radix_merge_compareILb0ELb0EjNS0_19identity_decomposerEEEEE10hipError_tT0_T1_T2_jT3_P12ihipStream_tbPNSt15iterator_traitsISI_E10value_typeEPNSO_ISJ_E10value_typeEPSK_NS1_7vsmem_tEENKUlT_SI_SJ_SK_E_clIPjSD_S10_SD_EESH_SX_SI_SJ_SK_EUlSX_E0_NS1_11comp_targetILNS1_3genE0ELNS1_11target_archE4294967295ELNS1_3gpuE0ELNS1_3repE0EEENS1_38merge_mergepath_config_static_selectorELNS0_4arch9wavefront6targetE1EEEvSJ_
; %bb.0:
	s_load_dwordx2 s[28:29], s[0:1], 0x40
	s_load_dword s5, s[0:1], 0x30
	s_add_u32 s24, s0, 64
	s_addc_u32 s25, s1, 0
	s_waitcnt lgkmcnt(0)
	s_mul_i32 s4, s29, s4
	s_add_i32 s3, s4, s3
	s_mul_i32 s3, s3, s28
	s_add_i32 s26, s3, s2
	s_cmp_ge_u32 s26, s5
	s_cbranch_scc1 .LBB627_46
; %bb.1:
	s_load_dwordx8 s[8:15], s[0:1], 0x10
	s_load_dwordx2 s[20:21], s[0:1], 0x8
	s_load_dwordx2 s[4:5], s[0:1], 0x38
	s_mov_b32 s27, 0
	s_mov_b32 s23, s27
	s_waitcnt lgkmcnt(0)
	s_lshr_b32 s29, s14, 10
	s_cmp_lg_u32 s26, s29
	s_cselect_b64 s[18:19], -1, 0
	s_lshl_b64 s[0:1], s[26:27], 2
	s_add_u32 s0, s4, s0
	s_addc_u32 s1, s5, s1
	s_load_dwordx2 s[4:5], s[0:1], 0x0
	s_lshr_b32 s0, s15, 9
	s_and_b32 s0, s0, 0x7ffffe
	s_sub_i32 s0, 0, s0
	s_and_b32 s1, s26, s0
	s_lshl_b32 s3, s1, 10
	s_lshl_b32 s16, s26, 10
	;; [unrolled: 1-line block ×3, first 2 shown]
	s_sub_i32 s6, s16, s3
	s_add_i32 s1, s1, s15
	s_add_i32 s6, s1, s6
	s_waitcnt lgkmcnt(0)
	s_sub_i32 s7, s6, s4
	s_sub_i32 s6, s6, s5
	;; [unrolled: 1-line block ×3, first 2 shown]
	s_min_u32 s22, s14, s7
	s_addk_i32 s6, 0x400
	s_or_b32 s0, s26, s0
	s_min_u32 s3, s14, s1
	s_add_i32 s1, s1, s15
	s_cmp_eq_u32 s0, -1
	s_cselect_b32 s0, s1, s6
	s_cselect_b32 s1, s3, s5
	s_mov_b32 s5, s27
	s_min_u32 s17, s0, s14
	s_sub_i32 s15, s1, s4
	s_lshl_b64 s[0:1], s[4:5], 2
	s_add_u32 s6, s20, s0
	s_addc_u32 s7, s21, s1
	s_lshl_b64 s[4:5], s[22:23], 2
	s_add_u32 s20, s20, s4
	s_addc_u32 s21, s21, s5
	s_cmp_lt_u32 s2, s28
	v_mov_b32_e32 v11, 0
	s_cselect_b32 s2, 12, 18
	global_load_dword v1, v11, s[24:25] offset:14
	s_add_u32 s2, s24, s2
	s_addc_u32 s3, s25, 0
	global_load_ushort v2, v11, s[2:3]
	s_cmp_eq_u32 s26, s29
	v_lshlrev_b32_e32 v10, 2, v0
	s_waitcnt vmcnt(1)
	v_lshrrev_b32_e32 v3, 16, v1
	v_and_b32_e32 v1, 0xffff, v1
	v_mul_lo_u32 v1, v1, v3
	s_waitcnt vmcnt(0)
	v_mul_lo_u32 v1, v1, v2
	v_add_u32_e32 v14, v1, v0
	v_add_u32_e32 v12, v14, v1
	s_cbranch_scc1 .LBB627_3
; %bb.2:
	v_subrev_co_u32_e32 v4, vcc, s15, v0
	v_mov_b32_e32 v5, v11
	v_lshl_add_u64 v[2:3], s[6:7], 0, v[10:11]
	v_lshl_add_u64 v[4:5], v[4:5], 2, s[20:21]
	v_cndmask_b32_e32 v3, v5, v3, vcc
	v_cndmask_b32_e32 v2, v4, v2, vcc
	global_load_dword v2, v[2:3], off
	v_mov_b32_e32 v15, v11
	v_subrev_co_u32_e32 v6, vcc, s15, v14
	v_mov_b32_e32 v7, v11
	v_lshl_add_u64 v[4:5], v[14:15], 2, s[6:7]
	v_lshl_add_u64 v[6:7], v[6:7], 2, s[20:21]
	v_cndmask_b32_e32 v5, v7, v5, vcc
	v_cndmask_b32_e32 v4, v6, v4, vcc
	v_mov_b32_e32 v13, v11
	v_subrev_co_u32_e32 v6, vcc, s15, v12
	v_mov_b32_e32 v7, v11
	global_load_dword v3, v[4:5], off
	v_lshl_add_u64 v[4:5], v[12:13], 2, s[6:7]
	v_lshl_add_u64 v[6:7], v[6:7], 2, s[20:21]
	v_cndmask_b32_e32 v5, v7, v5, vcc
	v_cndmask_b32_e32 v4, v6, v4, vcc
	global_load_dword v4, v[4:5], off
	v_add_u32_e32 v6, v12, v1
	s_mov_b64 s[2:3], -1
	s_sub_i32 s17, s17, s22
	s_cbranch_execz .LBB627_4
	s_branch .LBB627_9
.LBB627_3:
	s_mov_b64 s[2:3], 0
                                        ; implicit-def: $vgpr6
                                        ; implicit-def: $vgpr2_vgpr3_vgpr4_vgpr5
	s_sub_i32 s17, s17, s22
.LBB627_4:
	s_add_i32 s22, s17, s15
	s_waitcnt vmcnt(2)
	v_mov_b32_e32 v2, 0
	v_cmp_gt_u32_e32 vcc, s22, v0
	s_waitcnt vmcnt(1)
	v_mov_b32_e32 v3, v2
	s_waitcnt vmcnt(0)
	v_mov_b32_e32 v4, v2
	v_mov_b32_e32 v5, v2
	s_and_saveexec_b64 s[2:3], vcc
	s_cbranch_execnz .LBB627_47
; %bb.5:
	s_or_b64 exec, exec, s[2:3]
	v_cmp_gt_u32_e32 vcc, s22, v14
	s_and_saveexec_b64 s[2:3], vcc
	s_cbranch_execnz .LBB627_48
.LBB627_6:
	s_or_b64 exec, exec, s[2:3]
	v_cmp_gt_u32_e32 vcc, s22, v12
	s_and_saveexec_b64 s[2:3], vcc
	s_cbranch_execz .LBB627_8
.LBB627_7:
	v_mov_b32_e32 v13, 0
	v_subrev_co_u32_e32 v8, vcc, s15, v12
	v_mov_b32_e32 v9, v13
	v_lshl_add_u64 v[6:7], v[12:13], 2, s[6:7]
	v_lshl_add_u64 v[8:9], v[8:9], 2, s[20:21]
	v_cndmask_b32_e32 v7, v9, v7, vcc
	v_cndmask_b32_e32 v6, v8, v6, vcc
	global_load_dword v4, v[6:7], off
.LBB627_8:
	s_or_b64 exec, exec, s[2:3]
	v_add_u32_e32 v6, v12, v1
	v_cmp_gt_u32_e64 s[2:3], s22, v6
.LBB627_9:
	s_and_saveexec_b64 s[22:23], s[2:3]
	s_cbranch_execz .LBB627_11
; %bb.10:
	v_mov_b32_e32 v7, 0
	v_lshl_add_u64 v[8:9], v[6:7], 2, s[6:7]
	v_subrev_co_u32_e32 v6, vcc, s15, v6
	v_lshl_add_u64 v[6:7], v[6:7], 2, s[20:21]
	s_nop 0
	v_cndmask_b32_e32 v7, v7, v9, vcc
	v_cndmask_b32_e32 v6, v6, v8, vcc
	global_load_dword v5, v[6:7], off
.LBB627_11:
	s_or_b64 exec, exec, s[22:23]
	s_add_u32 s0, s10, s0
	s_addc_u32 s1, s11, s1
	s_add_u32 s2, s10, s4
	v_mov_b32_e32 v11, 0
	s_addc_u32 s3, s11, s5
	s_andn2_b64 vcc, exec, s[18:19]
	s_waitcnt vmcnt(0)
	ds_write2st64_b32 v10, v2, v3 offset1:4
	ds_write2st64_b32 v10, v4, v5 offset0:8 offset1:12
	s_cbranch_vccnz .LBB627_13
; %bb.12:
	v_subrev_co_u32_e32 v8, vcc, s15, v0
	v_mov_b32_e32 v9, v11
	v_lshl_add_u64 v[6:7], s[0:1], 0, v[10:11]
	v_lshl_add_u64 v[8:9], v[8:9], 2, s[2:3]
	v_cndmask_b32_e32 v7, v9, v7, vcc
	v_cndmask_b32_e32 v6, v8, v6, vcc
	v_mov_b32_e32 v15, v11
	v_subrev_co_u32_e32 v16, vcc, s15, v14
	v_mov_b32_e32 v17, v11
	v_lshl_add_u64 v[8:9], v[14:15], 2, s[0:1]
	v_lshl_add_u64 v[16:17], v[16:17], 2, s[2:3]
	v_cndmask_b32_e32 v9, v17, v9, vcc
	v_cndmask_b32_e32 v8, v16, v8, vcc
	v_mov_b32_e32 v13, v11
	v_subrev_co_u32_e32 v16, vcc, s15, v12
	v_mov_b32_e32 v17, v11
	global_load_dword v6, v[6:7], off
	v_lshl_add_u64 v[16:17], v[16:17], 2, s[2:3]
	global_load_dword v7, v[8:9], off
	v_lshl_add_u64 v[8:9], v[12:13], 2, s[0:1]
	v_cndmask_b32_e32 v9, v17, v9, vcc
	v_cndmask_b32_e32 v8, v16, v8, vcc
	v_add_u32_e32 v16, v12, v1
	v_mov_b32_e32 v17, v11
	v_lshl_add_u64 v[18:19], v[16:17], 2, s[0:1]
	v_subrev_co_u32_e32 v16, vcc, s15, v16
	v_lshl_add_u64 v[16:17], v[16:17], 2, s[2:3]
	s_nop 0
	v_cndmask_b32_e32 v17, v17, v19, vcc
	v_cndmask_b32_e32 v16, v16, v18, vcc
	global_load_dword v8, v[8:9], off
	s_add_i32 s20, s17, s15
	global_load_dword v9, v[16:17], off
	s_cbranch_execz .LBB627_14
	s_branch .LBB627_21
.LBB627_13:
                                        ; implicit-def: $vgpr6_vgpr7_vgpr8_vgpr9
                                        ; implicit-def: $sgpr20
.LBB627_14:
	s_add_i32 s20, s17, s15
	s_waitcnt vmcnt(3)
	v_mov_b32_e32 v6, 0
	v_cmp_gt_u32_e32 vcc, s20, v0
	s_waitcnt vmcnt(2)
	v_mov_b32_e32 v7, v6
	s_waitcnt vmcnt(1)
	v_mov_b32_e32 v8, v6
	;; [unrolled: 2-line block ×3, first 2 shown]
	s_and_saveexec_b64 s[4:5], vcc
	s_cbranch_execnz .LBB627_49
; %bb.15:
	s_or_b64 exec, exec, s[4:5]
	v_cmp_gt_u32_e32 vcc, s20, v14
	s_and_saveexec_b64 s[4:5], vcc
	s_cbranch_execnz .LBB627_50
.LBB627_16:
	s_or_b64 exec, exec, s[4:5]
	v_cmp_gt_u32_e32 vcc, s20, v12
	s_and_saveexec_b64 s[4:5], vcc
	s_cbranch_execz .LBB627_18
.LBB627_17:
	v_mov_b32_e32 v13, 0
	v_subrev_co_u32_e32 v16, vcc, s15, v12
	v_mov_b32_e32 v17, v13
	v_lshl_add_u64 v[14:15], v[12:13], 2, s[0:1]
	v_lshl_add_u64 v[16:17], v[16:17], 2, s[2:3]
	v_cndmask_b32_e32 v15, v17, v15, vcc
	v_cndmask_b32_e32 v14, v16, v14, vcc
	global_load_dword v8, v[14:15], off
.LBB627_18:
	s_or_b64 exec, exec, s[4:5]
	v_add_u32_e32 v12, v12, v1
	v_cmp_gt_u32_e32 vcc, s20, v12
	s_and_saveexec_b64 s[4:5], vcc
	s_cbranch_execz .LBB627_20
; %bb.19:
	v_mov_b32_e32 v13, 0
	v_lshl_add_u64 v[14:15], v[12:13], 2, s[0:1]
	v_subrev_co_u32_e32 v12, vcc, s15, v12
	v_lshl_add_u64 v[12:13], v[12:13], 2, s[2:3]
	s_nop 0
	v_cndmask_b32_e32 v13, v13, v15, vcc
	v_cndmask_b32_e32 v12, v12, v14, vcc
	global_load_dword v9, v[12:13], off
.LBB627_20:
	s_or_b64 exec, exec, s[4:5]
.LBB627_21:
	v_min_u32_e32 v11, s20, v10
	v_sub_u32_e64 v1, v11, s17 clamp
	v_min_u32_e32 v12, s15, v11
	v_cmp_lt_u32_e32 vcc, v1, v12
	s_waitcnt lgkmcnt(0)
	s_barrier
	s_and_saveexec_b64 s[0:1], vcc
	s_cbranch_execz .LBB627_25
; %bb.22:
	v_lshlrev_b32_e32 v13, 2, v11
	v_lshl_add_u32 v13, s15, 2, v13
	s_mov_b64 s[2:3], 0
.LBB627_23:                             ; =>This Inner Loop Header: Depth=1
	v_add_u32_e32 v14, v12, v1
	v_lshrrev_b32_e32 v14, 1, v14
	v_not_b32_e32 v15, v14
	v_lshlrev_b32_e32 v16, 2, v14
	v_lshl_add_u32 v15, v15, 2, v13
	ds_read_b32 v16, v16
	ds_read_b32 v15, v15
	v_add_u32_e32 v17, 1, v14
	s_waitcnt lgkmcnt(0)
	v_cmp_gt_u32_e32 vcc, v16, v15
	s_nop 1
	v_cndmask_b32_e32 v12, v12, v14, vcc
	v_cndmask_b32_e32 v1, v17, v1, vcc
	v_cmp_ge_u32_e32 vcc, v1, v12
	s_or_b64 s[2:3], vcc, s[2:3]
	s_andn2_b64 exec, exec, s[2:3]
	s_cbranch_execnz .LBB627_23
; %bb.24:
	s_or_b64 exec, exec, s[2:3]
.LBB627_25:
	s_or_b64 exec, exec, s[0:1]
	v_sub_u32_e32 v11, v11, v1
	v_add_u32_e32 v14, s15, v11
	v_cmp_ge_u32_e32 vcc, s15, v1
	v_cmp_ge_u32_e64 s[0:1], s20, v14
	s_or_b64 s[0:1], vcc, s[0:1]
	v_mov_b32_e32 v15, 0
	v_mov_b32_e32 v13, 0
	;; [unrolled: 1-line block ×4, first 2 shown]
	s_and_saveexec_b64 s[10:11], s[0:1]
	s_cbranch_execz .LBB627_31
; %bb.26:
	v_cmp_gt_u32_e32 vcc, s15, v1
                                        ; implicit-def: $vgpr2
	s_and_saveexec_b64 s[0:1], vcc
; %bb.27:
	v_lshlrev_b32_e32 v2, 2, v1
	ds_read_b32 v2, v2
; %bb.28:
	s_or_b64 exec, exec, s[0:1]
	v_cmp_le_u32_e64 s[0:1], s20, v14
	v_cmp_gt_u32_e64 s[2:3], s20, v14
                                        ; implicit-def: $vgpr3
	s_and_saveexec_b64 s[4:5], s[2:3]
; %bb.29:
	v_lshlrev_b32_e32 v3, 2, v14
	ds_read_b32 v3, v3
; %bb.30:
	s_or_b64 exec, exec, s[4:5]
	s_waitcnt lgkmcnt(0)
	v_cmp_le_u32_e64 s[2:3], v2, v3
	s_and_b64 s[2:3], vcc, s[2:3]
	s_or_b64 vcc, s[0:1], s[2:3]
	v_mov_b32_e32 v4, s20
	v_mov_b32_e32 v5, s15
	v_cndmask_b32_e32 v11, v14, v1, vcc
	v_cndmask_b32_e32 v12, v4, v5, vcc
	v_add_u32_e32 v13, 1, v11
	v_add_u32_e32 v12, -1, v12
	v_min_u32_e32 v12, v13, v12
	v_lshlrev_b32_e32 v12, 2, v12
	ds_read_b32 v12, v12
	v_cndmask_b32_e32 v1, v1, v13, vcc
	v_cndmask_b32_e32 v14, v13, v14, vcc
	v_cmp_gt_u32_e64 s[2:3], s15, v1
	v_cmp_le_u32_e64 s[0:1], s20, v14
	s_waitcnt lgkmcnt(0)
	v_cndmask_b32_e32 v15, v12, v3, vcc
	v_cndmask_b32_e32 v16, v2, v12, vcc
	v_cmp_le_u32_e64 s[4:5], v16, v15
	s_and_b64 s[2:3], s[2:3], s[4:5]
	s_or_b64 s[0:1], s[0:1], s[2:3]
	v_cndmask_b32_e64 v12, v14, v1, s[0:1]
	v_cndmask_b32_e64 v13, v4, v5, s[0:1]
	v_add_u32_e32 v17, 1, v12
	v_add_u32_e32 v13, -1, v13
	v_min_u32_e32 v13, v17, v13
	v_lshlrev_b32_e32 v13, 2, v13
	ds_read_b32 v13, v13
	v_cndmask_b32_e64 v1, v1, v17, s[0:1]
	v_cndmask_b32_e64 v14, v17, v14, s[0:1]
	v_cmp_gt_u32_e64 s[4:5], s15, v1
	v_cmp_le_u32_e64 s[2:3], s20, v14
	s_waitcnt lgkmcnt(0)
	v_cndmask_b32_e64 v18, v13, v15, s[0:1]
	v_cndmask_b32_e64 v19, v16, v13, s[0:1]
	v_cmp_le_u32_e64 s[6:7], v19, v18
	s_and_b64 s[4:5], s[4:5], s[6:7]
	s_or_b64 s[2:3], s[2:3], s[4:5]
	v_cndmask_b32_e64 v13, v14, v1, s[2:3]
	v_cndmask_b32_e64 v4, v4, v5, s[2:3]
	v_add_u32_e32 v5, 1, v13
	v_add_u32_e32 v4, -1, v4
	v_min_u32_e32 v4, v5, v4
	v_lshlrev_b32_e32 v4, 2, v4
	ds_read_b32 v17, v4
	v_cndmask_b32_e32 v2, v3, v2, vcc
	v_cndmask_b32_e64 v3, v15, v16, s[0:1]
	v_cndmask_b32_e64 v1, v1, v5, s[2:3]
	;; [unrolled: 1-line block ×3, first 2 shown]
	s_waitcnt lgkmcnt(0)
	v_cndmask_b32_e64 v16, v17, v18, s[2:3]
	v_cndmask_b32_e64 v17, v19, v17, s[2:3]
	;; [unrolled: 1-line block ×3, first 2 shown]
	v_cmp_gt_u32_e64 s[0:1], s15, v1
	v_cmp_le_u32_e64 s[2:3], v17, v16
	v_cmp_le_u32_e32 vcc, s20, v14
	s_and_b64 s[0:1], s[0:1], s[2:3]
	s_or_b64 vcc, vcc, s[0:1]
	v_cndmask_b32_e32 v15, v14, v1, vcc
	v_cndmask_b32_e32 v5, v16, v17, vcc
.LBB627_31:
	s_or_b64 exec, exec, s[10:11]
	s_barrier
	s_waitcnt vmcnt(0)
	ds_write2st64_b32 v10, v6, v7 offset1:4
	ds_write2st64_b32 v10, v8, v9 offset0:8 offset1:12
	v_lshlrev_b32_e32 v1, 2, v11
	v_lshrrev_b32_e32 v11, 3, v0
	v_lshlrev_b32_e32 v9, 2, v10
	v_lshlrev_b32_e32 v6, 2, v12
	;; [unrolled: 1-line block ×4, first 2 shown]
	v_lshl_add_u32 v9, v11, 2, v9
	s_waitcnt lgkmcnt(0)
	s_barrier
	ds_read_b32 v1, v1
	ds_read_b32 v6, v6
	ds_read_b32 v7, v7
	ds_read_b32 v8, v8
	s_waitcnt lgkmcnt(0)
	s_barrier
	s_barrier
	ds_write2_b32 v9, v2, v3 offset1:1
	ds_write2_b32 v9, v4, v5 offset0:2 offset1:3
	v_and_b32_e32 v2, 28, v11
	v_or_b32_e32 v16, 0x100, v0
	v_add_u32_e32 v4, v2, v10
	v_lshrrev_b32_e32 v2, 3, v16
	v_and_b32_e32 v2, 60, v2
	v_or_b32_e32 v15, 0x200, v0
	s_mov_b32 s17, 0
	v_add_u32_e32 v5, v2, v10
	v_lshrrev_b32_e32 v2, 3, v15
	s_lshl_b64 s[4:5], s[16:17], 2
	v_and_b32_e32 v2, 0x5c, v2
	v_or_b32_e32 v14, 0x300, v0
	s_add_u32 s0, s8, s4
	v_add_u32_e32 v12, v2, v10
	v_lshrrev_b32_e32 v2, 3, v14
	s_addc_u32 s1, s9, s5
	v_and_b32_e32 v2, 0x7c, v2
	v_mov_b32_e32 v11, 0
	v_add_u32_e32 v13, v2, v10
	v_lshl_add_u64 v[2:3], s[0:1], 0, v[10:11]
	s_and_b64 vcc, exec, s[18:19]
	s_waitcnt lgkmcnt(0)
	s_cbranch_vccz .LBB627_33
; %bb.32:
	s_barrier
	ds_read_b32 v11, v4
	ds_read_b32 v17, v5 offset:1024
	ds_read_b32 v18, v12 offset:2048
	;; [unrolled: 1-line block ×3, first 2 shown]
	s_add_u32 s0, s12, s4
	s_addc_u32 s1, s13, s5
	s_waitcnt lgkmcnt(3)
	global_store_dword v[2:3], v11, off
	s_waitcnt lgkmcnt(2)
	global_store_dword v[2:3], v17, off offset:1024
	s_waitcnt lgkmcnt(1)
	global_store_dword v[2:3], v18, off offset:2048
	;; [unrolled: 2-line block ×3, first 2 shown]
	s_barrier
	ds_write2_b32 v9, v1, v6 offset1:1
	ds_write2_b32 v9, v7, v8 offset0:2 offset1:3
	s_waitcnt lgkmcnt(0)
	s_barrier
	ds_read_b32 v11, v4
	ds_read_b32 v18, v5 offset:1024
	ds_read_b32 v19, v12 offset:2048
	;; [unrolled: 1-line block ×3, first 2 shown]
	s_waitcnt lgkmcnt(3)
	global_store_dword v10, v11, s[0:1]
	s_waitcnt lgkmcnt(2)
	global_store_dword v10, v18, s[0:1] offset:1024
	s_waitcnt lgkmcnt(1)
	global_store_dword v10, v19, s[0:1] offset:2048
	s_mov_b64 s[6:7], -1
	s_cbranch_execz .LBB627_34
	s_branch .LBB627_44
.LBB627_33:
	s_mov_b64 s[6:7], 0
                                        ; implicit-def: $vgpr17
.LBB627_34:
	s_barrier
	s_waitcnt lgkmcnt(0)
	ds_read_b32 v18, v5 offset:1024
	ds_read_b32 v17, v12 offset:2048
	;; [unrolled: 1-line block ×3, first 2 shown]
	s_sub_i32 s8, s14, s16
	v_cmp_gt_u32_e32 vcc, s8, v0
	s_and_saveexec_b64 s[0:1], vcc
	s_cbranch_execnz .LBB627_51
; %bb.35:
	s_or_b64 exec, exec, s[0:1]
	v_cmp_gt_u32_e64 s[0:1], s8, v16
	s_and_saveexec_b64 s[2:3], s[0:1]
	s_cbranch_execnz .LBB627_52
.LBB627_36:
	s_or_b64 exec, exec, s[2:3]
	v_cmp_gt_u32_e64 s[2:3], s8, v15
	s_and_saveexec_b64 s[6:7], s[2:3]
	s_cbranch_execnz .LBB627_53
.LBB627_37:
	s_or_b64 exec, exec, s[6:7]
	v_cmp_gt_u32_e64 s[6:7], s8, v14
	s_and_saveexec_b64 s[8:9], s[6:7]
	s_cbranch_execz .LBB627_39
.LBB627_38:
	s_waitcnt lgkmcnt(0)
	global_store_dword v[2:3], v11, off offset:3072
.LBB627_39:
	s_or_b64 exec, exec, s[8:9]
	s_waitcnt lgkmcnt(0)
	s_barrier
	ds_write2_b32 v9, v1, v6 offset1:1
	ds_write2_b32 v9, v7, v8 offset0:2 offset1:3
	s_waitcnt lgkmcnt(0)
	s_barrier
	ds_read_b32 v3, v5 offset:1024
	ds_read_b32 v2, v12 offset:2048
	;; [unrolled: 1-line block ×3, first 2 shown]
	s_add_u32 s8, s12, s4
	s_addc_u32 s9, s13, s5
	v_mov_b32_e32 v11, 0
	v_lshl_add_u64 v[0:1], s[8:9], 0, v[10:11]
	s_and_saveexec_b64 s[8:9], vcc
	s_cbranch_execnz .LBB627_54
; %bb.40:
	s_or_b64 exec, exec, s[8:9]
	s_and_saveexec_b64 s[8:9], s[0:1]
	s_cbranch_execnz .LBB627_55
.LBB627_41:
	s_or_b64 exec, exec, s[8:9]
	s_and_saveexec_b64 s[0:1], s[2:3]
	s_cbranch_execz .LBB627_43
.LBB627_42:
	s_waitcnt lgkmcnt(1)
	global_store_dword v[0:1], v2, off offset:2048
.LBB627_43:
	s_or_b64 exec, exec, s[0:1]
.LBB627_44:
	s_and_saveexec_b64 s[0:1], s[6:7]
	s_cbranch_execz .LBB627_46
; %bb.45:
	s_add_u32 s0, s12, s4
	s_addc_u32 s1, s13, s5
	s_waitcnt lgkmcnt(0)
	global_store_dword v10, v17, s[0:1] offset:3072
.LBB627_46:
	s_endpgm
.LBB627_47:
	v_mov_b32_e32 v11, v2
	v_subrev_co_u32_e32 v6, vcc, s15, v0
	v_mov_b32_e32 v7, v2
	v_lshl_add_u64 v[4:5], s[6:7], 0, v[10:11]
	v_lshl_add_u64 v[6:7], v[6:7], 2, s[20:21]
	v_cndmask_b32_e32 v5, v7, v5, vcc
	v_cndmask_b32_e32 v4, v6, v4, vcc
	global_load_dword v4, v[4:5], off
	v_mov_b32_e32 v5, v2
	v_mov_b32_e32 v6, v2
	;; [unrolled: 1-line block ×3, first 2 shown]
	s_waitcnt vmcnt(0)
	v_mov_b64_e32 v[2:3], v[4:5]
	v_mov_b64_e32 v[4:5], v[6:7]
	s_or_b64 exec, exec, s[2:3]
	v_cmp_gt_u32_e32 vcc, s22, v14
	s_and_saveexec_b64 s[2:3], vcc
	s_cbranch_execz .LBB627_6
.LBB627_48:
	v_mov_b32_e32 v15, 0
	v_subrev_co_u32_e32 v8, vcc, s15, v14
	v_mov_b32_e32 v9, v15
	v_lshl_add_u64 v[6:7], v[14:15], 2, s[6:7]
	v_lshl_add_u64 v[8:9], v[8:9], 2, s[20:21]
	v_cndmask_b32_e32 v7, v9, v7, vcc
	v_cndmask_b32_e32 v6, v8, v6, vcc
	global_load_dword v3, v[6:7], off
	s_or_b64 exec, exec, s[2:3]
	v_cmp_gt_u32_e32 vcc, s22, v12
	s_and_saveexec_b64 s[2:3], vcc
	s_cbranch_execnz .LBB627_7
	s_branch .LBB627_8
.LBB627_49:
	v_mov_b32_e32 v11, v6
	v_subrev_co_u32_e32 v16, vcc, s15, v0
	v_mov_b32_e32 v17, v6
	v_lshl_add_u64 v[8:9], s[0:1], 0, v[10:11]
	v_lshl_add_u64 v[16:17], v[16:17], 2, s[2:3]
	v_cndmask_b32_e32 v9, v17, v9, vcc
	v_cndmask_b32_e32 v8, v16, v8, vcc
	global_load_dword v16, v[8:9], off
	v_mov_b32_e32 v17, v6
	v_mov_b32_e32 v18, v6
	v_mov_b32_e32 v19, v6
	s_waitcnt vmcnt(0)
	v_mov_b64_e32 v[6:7], v[16:17]
	v_mov_b64_e32 v[8:9], v[18:19]
	s_or_b64 exec, exec, s[4:5]
	v_cmp_gt_u32_e32 vcc, s20, v14
	s_and_saveexec_b64 s[4:5], vcc
	s_cbranch_execz .LBB627_16
.LBB627_50:
	v_mov_b32_e32 v15, 0
	v_lshl_add_u64 v[16:17], v[14:15], 2, s[0:1]
	v_subrev_co_u32_e32 v14, vcc, s15, v14
	v_lshl_add_u64 v[14:15], v[14:15], 2, s[2:3]
	s_nop 0
	v_cndmask_b32_e32 v15, v15, v17, vcc
	v_cndmask_b32_e32 v14, v14, v16, vcc
	global_load_dword v7, v[14:15], off
	s_or_b64 exec, exec, s[4:5]
	v_cmp_gt_u32_e32 vcc, s20, v12
	s_and_saveexec_b64 s[4:5], vcc
	s_cbranch_execnz .LBB627_17
	s_branch .LBB627_18
.LBB627_51:
	ds_read_b32 v0, v4
	s_waitcnt lgkmcnt(0)
	global_store_dword v[2:3], v0, off
	s_or_b64 exec, exec, s[0:1]
	v_cmp_gt_u32_e64 s[0:1], s8, v16
	s_and_saveexec_b64 s[2:3], s[0:1]
	s_cbranch_execz .LBB627_36
.LBB627_52:
	s_waitcnt lgkmcnt(2)
	global_store_dword v[2:3], v18, off offset:1024
	s_or_b64 exec, exec, s[2:3]
	v_cmp_gt_u32_e64 s[2:3], s8, v15
	s_and_saveexec_b64 s[6:7], s[2:3]
	s_cbranch_execz .LBB627_37
.LBB627_53:
	s_waitcnt lgkmcnt(1)
	global_store_dword v[2:3], v17, off offset:2048
	s_or_b64 exec, exec, s[6:7]
	v_cmp_gt_u32_e64 s[6:7], s8, v14
	s_and_saveexec_b64 s[8:9], s[6:7]
	s_cbranch_execnz .LBB627_38
	s_branch .LBB627_39
.LBB627_54:
	ds_read_b32 v4, v4
	s_waitcnt lgkmcnt(0)
	global_store_dword v[0:1], v4, off
	s_or_b64 exec, exec, s[8:9]
	s_and_saveexec_b64 s[8:9], s[0:1]
	s_cbranch_execz .LBB627_41
.LBB627_55:
	s_waitcnt lgkmcnt(2)
	global_store_dword v[0:1], v3, off offset:1024
	s_or_b64 exec, exec, s[8:9]
	s_and_saveexec_b64 s[0:1], s[2:3]
	s_cbranch_execnz .LBB627_42
	s_branch .LBB627_43
	.section	.rodata,"a",@progbits
	.p2align	6, 0x0
	.amdhsa_kernel _ZN7rocprim17ROCPRIM_400000_NS6detail17trampoline_kernelINS0_14default_configENS1_38merge_sort_block_merge_config_selectorIjjEEZZNS1_27merge_sort_block_merge_implIS3_N6thrust23THRUST_200600_302600_NS6detail15normal_iteratorINS8_10device_ptrIjEEEESD_jNS1_19radix_merge_compareILb0ELb0EjNS0_19identity_decomposerEEEEE10hipError_tT0_T1_T2_jT3_P12ihipStream_tbPNSt15iterator_traitsISI_E10value_typeEPNSO_ISJ_E10value_typeEPSK_NS1_7vsmem_tEENKUlT_SI_SJ_SK_E_clIPjSD_S10_SD_EESH_SX_SI_SJ_SK_EUlSX_E0_NS1_11comp_targetILNS1_3genE0ELNS1_11target_archE4294967295ELNS1_3gpuE0ELNS1_3repE0EEENS1_38merge_mergepath_config_static_selectorELNS0_4arch9wavefront6targetE1EEEvSJ_
		.amdhsa_group_segment_fixed_size 4224
		.amdhsa_private_segment_fixed_size 0
		.amdhsa_kernarg_size 320
		.amdhsa_user_sgpr_count 2
		.amdhsa_user_sgpr_dispatch_ptr 0
		.amdhsa_user_sgpr_queue_ptr 0
		.amdhsa_user_sgpr_kernarg_segment_ptr 1
		.amdhsa_user_sgpr_dispatch_id 0
		.amdhsa_user_sgpr_kernarg_preload_length 0
		.amdhsa_user_sgpr_kernarg_preload_offset 0
		.amdhsa_user_sgpr_private_segment_size 0
		.amdhsa_uses_dynamic_stack 0
		.amdhsa_enable_private_segment 0
		.amdhsa_system_sgpr_workgroup_id_x 1
		.amdhsa_system_sgpr_workgroup_id_y 1
		.amdhsa_system_sgpr_workgroup_id_z 1
		.amdhsa_system_sgpr_workgroup_info 0
		.amdhsa_system_vgpr_workitem_id 0
		.amdhsa_next_free_vgpr 20
		.amdhsa_next_free_sgpr 30
		.amdhsa_accum_offset 20
		.amdhsa_reserve_vcc 1
		.amdhsa_float_round_mode_32 0
		.amdhsa_float_round_mode_16_64 0
		.amdhsa_float_denorm_mode_32 3
		.amdhsa_float_denorm_mode_16_64 3
		.amdhsa_dx10_clamp 1
		.amdhsa_ieee_mode 1
		.amdhsa_fp16_overflow 0
		.amdhsa_tg_split 0
		.amdhsa_exception_fp_ieee_invalid_op 0
		.amdhsa_exception_fp_denorm_src 0
		.amdhsa_exception_fp_ieee_div_zero 0
		.amdhsa_exception_fp_ieee_overflow 0
		.amdhsa_exception_fp_ieee_underflow 0
		.amdhsa_exception_fp_ieee_inexact 0
		.amdhsa_exception_int_div_zero 0
	.end_amdhsa_kernel
	.section	.text._ZN7rocprim17ROCPRIM_400000_NS6detail17trampoline_kernelINS0_14default_configENS1_38merge_sort_block_merge_config_selectorIjjEEZZNS1_27merge_sort_block_merge_implIS3_N6thrust23THRUST_200600_302600_NS6detail15normal_iteratorINS8_10device_ptrIjEEEESD_jNS1_19radix_merge_compareILb0ELb0EjNS0_19identity_decomposerEEEEE10hipError_tT0_T1_T2_jT3_P12ihipStream_tbPNSt15iterator_traitsISI_E10value_typeEPNSO_ISJ_E10value_typeEPSK_NS1_7vsmem_tEENKUlT_SI_SJ_SK_E_clIPjSD_S10_SD_EESH_SX_SI_SJ_SK_EUlSX_E0_NS1_11comp_targetILNS1_3genE0ELNS1_11target_archE4294967295ELNS1_3gpuE0ELNS1_3repE0EEENS1_38merge_mergepath_config_static_selectorELNS0_4arch9wavefront6targetE1EEEvSJ_,"axG",@progbits,_ZN7rocprim17ROCPRIM_400000_NS6detail17trampoline_kernelINS0_14default_configENS1_38merge_sort_block_merge_config_selectorIjjEEZZNS1_27merge_sort_block_merge_implIS3_N6thrust23THRUST_200600_302600_NS6detail15normal_iteratorINS8_10device_ptrIjEEEESD_jNS1_19radix_merge_compareILb0ELb0EjNS0_19identity_decomposerEEEEE10hipError_tT0_T1_T2_jT3_P12ihipStream_tbPNSt15iterator_traitsISI_E10value_typeEPNSO_ISJ_E10value_typeEPSK_NS1_7vsmem_tEENKUlT_SI_SJ_SK_E_clIPjSD_S10_SD_EESH_SX_SI_SJ_SK_EUlSX_E0_NS1_11comp_targetILNS1_3genE0ELNS1_11target_archE4294967295ELNS1_3gpuE0ELNS1_3repE0EEENS1_38merge_mergepath_config_static_selectorELNS0_4arch9wavefront6targetE1EEEvSJ_,comdat
.Lfunc_end627:
	.size	_ZN7rocprim17ROCPRIM_400000_NS6detail17trampoline_kernelINS0_14default_configENS1_38merge_sort_block_merge_config_selectorIjjEEZZNS1_27merge_sort_block_merge_implIS3_N6thrust23THRUST_200600_302600_NS6detail15normal_iteratorINS8_10device_ptrIjEEEESD_jNS1_19radix_merge_compareILb0ELb0EjNS0_19identity_decomposerEEEEE10hipError_tT0_T1_T2_jT3_P12ihipStream_tbPNSt15iterator_traitsISI_E10value_typeEPNSO_ISJ_E10value_typeEPSK_NS1_7vsmem_tEENKUlT_SI_SJ_SK_E_clIPjSD_S10_SD_EESH_SX_SI_SJ_SK_EUlSX_E0_NS1_11comp_targetILNS1_3genE0ELNS1_11target_archE4294967295ELNS1_3gpuE0ELNS1_3repE0EEENS1_38merge_mergepath_config_static_selectorELNS0_4arch9wavefront6targetE1EEEvSJ_, .Lfunc_end627-_ZN7rocprim17ROCPRIM_400000_NS6detail17trampoline_kernelINS0_14default_configENS1_38merge_sort_block_merge_config_selectorIjjEEZZNS1_27merge_sort_block_merge_implIS3_N6thrust23THRUST_200600_302600_NS6detail15normal_iteratorINS8_10device_ptrIjEEEESD_jNS1_19radix_merge_compareILb0ELb0EjNS0_19identity_decomposerEEEEE10hipError_tT0_T1_T2_jT3_P12ihipStream_tbPNSt15iterator_traitsISI_E10value_typeEPNSO_ISJ_E10value_typeEPSK_NS1_7vsmem_tEENKUlT_SI_SJ_SK_E_clIPjSD_S10_SD_EESH_SX_SI_SJ_SK_EUlSX_E0_NS1_11comp_targetILNS1_3genE0ELNS1_11target_archE4294967295ELNS1_3gpuE0ELNS1_3repE0EEENS1_38merge_mergepath_config_static_selectorELNS0_4arch9wavefront6targetE1EEEvSJ_
                                        ; -- End function
	.set _ZN7rocprim17ROCPRIM_400000_NS6detail17trampoline_kernelINS0_14default_configENS1_38merge_sort_block_merge_config_selectorIjjEEZZNS1_27merge_sort_block_merge_implIS3_N6thrust23THRUST_200600_302600_NS6detail15normal_iteratorINS8_10device_ptrIjEEEESD_jNS1_19radix_merge_compareILb0ELb0EjNS0_19identity_decomposerEEEEE10hipError_tT0_T1_T2_jT3_P12ihipStream_tbPNSt15iterator_traitsISI_E10value_typeEPNSO_ISJ_E10value_typeEPSK_NS1_7vsmem_tEENKUlT_SI_SJ_SK_E_clIPjSD_S10_SD_EESH_SX_SI_SJ_SK_EUlSX_E0_NS1_11comp_targetILNS1_3genE0ELNS1_11target_archE4294967295ELNS1_3gpuE0ELNS1_3repE0EEENS1_38merge_mergepath_config_static_selectorELNS0_4arch9wavefront6targetE1EEEvSJ_.num_vgpr, 20
	.set _ZN7rocprim17ROCPRIM_400000_NS6detail17trampoline_kernelINS0_14default_configENS1_38merge_sort_block_merge_config_selectorIjjEEZZNS1_27merge_sort_block_merge_implIS3_N6thrust23THRUST_200600_302600_NS6detail15normal_iteratorINS8_10device_ptrIjEEEESD_jNS1_19radix_merge_compareILb0ELb0EjNS0_19identity_decomposerEEEEE10hipError_tT0_T1_T2_jT3_P12ihipStream_tbPNSt15iterator_traitsISI_E10value_typeEPNSO_ISJ_E10value_typeEPSK_NS1_7vsmem_tEENKUlT_SI_SJ_SK_E_clIPjSD_S10_SD_EESH_SX_SI_SJ_SK_EUlSX_E0_NS1_11comp_targetILNS1_3genE0ELNS1_11target_archE4294967295ELNS1_3gpuE0ELNS1_3repE0EEENS1_38merge_mergepath_config_static_selectorELNS0_4arch9wavefront6targetE1EEEvSJ_.num_agpr, 0
	.set _ZN7rocprim17ROCPRIM_400000_NS6detail17trampoline_kernelINS0_14default_configENS1_38merge_sort_block_merge_config_selectorIjjEEZZNS1_27merge_sort_block_merge_implIS3_N6thrust23THRUST_200600_302600_NS6detail15normal_iteratorINS8_10device_ptrIjEEEESD_jNS1_19radix_merge_compareILb0ELb0EjNS0_19identity_decomposerEEEEE10hipError_tT0_T1_T2_jT3_P12ihipStream_tbPNSt15iterator_traitsISI_E10value_typeEPNSO_ISJ_E10value_typeEPSK_NS1_7vsmem_tEENKUlT_SI_SJ_SK_E_clIPjSD_S10_SD_EESH_SX_SI_SJ_SK_EUlSX_E0_NS1_11comp_targetILNS1_3genE0ELNS1_11target_archE4294967295ELNS1_3gpuE0ELNS1_3repE0EEENS1_38merge_mergepath_config_static_selectorELNS0_4arch9wavefront6targetE1EEEvSJ_.numbered_sgpr, 30
	.set _ZN7rocprim17ROCPRIM_400000_NS6detail17trampoline_kernelINS0_14default_configENS1_38merge_sort_block_merge_config_selectorIjjEEZZNS1_27merge_sort_block_merge_implIS3_N6thrust23THRUST_200600_302600_NS6detail15normal_iteratorINS8_10device_ptrIjEEEESD_jNS1_19radix_merge_compareILb0ELb0EjNS0_19identity_decomposerEEEEE10hipError_tT0_T1_T2_jT3_P12ihipStream_tbPNSt15iterator_traitsISI_E10value_typeEPNSO_ISJ_E10value_typeEPSK_NS1_7vsmem_tEENKUlT_SI_SJ_SK_E_clIPjSD_S10_SD_EESH_SX_SI_SJ_SK_EUlSX_E0_NS1_11comp_targetILNS1_3genE0ELNS1_11target_archE4294967295ELNS1_3gpuE0ELNS1_3repE0EEENS1_38merge_mergepath_config_static_selectorELNS0_4arch9wavefront6targetE1EEEvSJ_.num_named_barrier, 0
	.set _ZN7rocprim17ROCPRIM_400000_NS6detail17trampoline_kernelINS0_14default_configENS1_38merge_sort_block_merge_config_selectorIjjEEZZNS1_27merge_sort_block_merge_implIS3_N6thrust23THRUST_200600_302600_NS6detail15normal_iteratorINS8_10device_ptrIjEEEESD_jNS1_19radix_merge_compareILb0ELb0EjNS0_19identity_decomposerEEEEE10hipError_tT0_T1_T2_jT3_P12ihipStream_tbPNSt15iterator_traitsISI_E10value_typeEPNSO_ISJ_E10value_typeEPSK_NS1_7vsmem_tEENKUlT_SI_SJ_SK_E_clIPjSD_S10_SD_EESH_SX_SI_SJ_SK_EUlSX_E0_NS1_11comp_targetILNS1_3genE0ELNS1_11target_archE4294967295ELNS1_3gpuE0ELNS1_3repE0EEENS1_38merge_mergepath_config_static_selectorELNS0_4arch9wavefront6targetE1EEEvSJ_.private_seg_size, 0
	.set _ZN7rocprim17ROCPRIM_400000_NS6detail17trampoline_kernelINS0_14default_configENS1_38merge_sort_block_merge_config_selectorIjjEEZZNS1_27merge_sort_block_merge_implIS3_N6thrust23THRUST_200600_302600_NS6detail15normal_iteratorINS8_10device_ptrIjEEEESD_jNS1_19radix_merge_compareILb0ELb0EjNS0_19identity_decomposerEEEEE10hipError_tT0_T1_T2_jT3_P12ihipStream_tbPNSt15iterator_traitsISI_E10value_typeEPNSO_ISJ_E10value_typeEPSK_NS1_7vsmem_tEENKUlT_SI_SJ_SK_E_clIPjSD_S10_SD_EESH_SX_SI_SJ_SK_EUlSX_E0_NS1_11comp_targetILNS1_3genE0ELNS1_11target_archE4294967295ELNS1_3gpuE0ELNS1_3repE0EEENS1_38merge_mergepath_config_static_selectorELNS0_4arch9wavefront6targetE1EEEvSJ_.uses_vcc, 1
	.set _ZN7rocprim17ROCPRIM_400000_NS6detail17trampoline_kernelINS0_14default_configENS1_38merge_sort_block_merge_config_selectorIjjEEZZNS1_27merge_sort_block_merge_implIS3_N6thrust23THRUST_200600_302600_NS6detail15normal_iteratorINS8_10device_ptrIjEEEESD_jNS1_19radix_merge_compareILb0ELb0EjNS0_19identity_decomposerEEEEE10hipError_tT0_T1_T2_jT3_P12ihipStream_tbPNSt15iterator_traitsISI_E10value_typeEPNSO_ISJ_E10value_typeEPSK_NS1_7vsmem_tEENKUlT_SI_SJ_SK_E_clIPjSD_S10_SD_EESH_SX_SI_SJ_SK_EUlSX_E0_NS1_11comp_targetILNS1_3genE0ELNS1_11target_archE4294967295ELNS1_3gpuE0ELNS1_3repE0EEENS1_38merge_mergepath_config_static_selectorELNS0_4arch9wavefront6targetE1EEEvSJ_.uses_flat_scratch, 0
	.set _ZN7rocprim17ROCPRIM_400000_NS6detail17trampoline_kernelINS0_14default_configENS1_38merge_sort_block_merge_config_selectorIjjEEZZNS1_27merge_sort_block_merge_implIS3_N6thrust23THRUST_200600_302600_NS6detail15normal_iteratorINS8_10device_ptrIjEEEESD_jNS1_19radix_merge_compareILb0ELb0EjNS0_19identity_decomposerEEEEE10hipError_tT0_T1_T2_jT3_P12ihipStream_tbPNSt15iterator_traitsISI_E10value_typeEPNSO_ISJ_E10value_typeEPSK_NS1_7vsmem_tEENKUlT_SI_SJ_SK_E_clIPjSD_S10_SD_EESH_SX_SI_SJ_SK_EUlSX_E0_NS1_11comp_targetILNS1_3genE0ELNS1_11target_archE4294967295ELNS1_3gpuE0ELNS1_3repE0EEENS1_38merge_mergepath_config_static_selectorELNS0_4arch9wavefront6targetE1EEEvSJ_.has_dyn_sized_stack, 0
	.set _ZN7rocprim17ROCPRIM_400000_NS6detail17trampoline_kernelINS0_14default_configENS1_38merge_sort_block_merge_config_selectorIjjEEZZNS1_27merge_sort_block_merge_implIS3_N6thrust23THRUST_200600_302600_NS6detail15normal_iteratorINS8_10device_ptrIjEEEESD_jNS1_19radix_merge_compareILb0ELb0EjNS0_19identity_decomposerEEEEE10hipError_tT0_T1_T2_jT3_P12ihipStream_tbPNSt15iterator_traitsISI_E10value_typeEPNSO_ISJ_E10value_typeEPSK_NS1_7vsmem_tEENKUlT_SI_SJ_SK_E_clIPjSD_S10_SD_EESH_SX_SI_SJ_SK_EUlSX_E0_NS1_11comp_targetILNS1_3genE0ELNS1_11target_archE4294967295ELNS1_3gpuE0ELNS1_3repE0EEENS1_38merge_mergepath_config_static_selectorELNS0_4arch9wavefront6targetE1EEEvSJ_.has_recursion, 0
	.set _ZN7rocprim17ROCPRIM_400000_NS6detail17trampoline_kernelINS0_14default_configENS1_38merge_sort_block_merge_config_selectorIjjEEZZNS1_27merge_sort_block_merge_implIS3_N6thrust23THRUST_200600_302600_NS6detail15normal_iteratorINS8_10device_ptrIjEEEESD_jNS1_19radix_merge_compareILb0ELb0EjNS0_19identity_decomposerEEEEE10hipError_tT0_T1_T2_jT3_P12ihipStream_tbPNSt15iterator_traitsISI_E10value_typeEPNSO_ISJ_E10value_typeEPSK_NS1_7vsmem_tEENKUlT_SI_SJ_SK_E_clIPjSD_S10_SD_EESH_SX_SI_SJ_SK_EUlSX_E0_NS1_11comp_targetILNS1_3genE0ELNS1_11target_archE4294967295ELNS1_3gpuE0ELNS1_3repE0EEENS1_38merge_mergepath_config_static_selectorELNS0_4arch9wavefront6targetE1EEEvSJ_.has_indirect_call, 0
	.section	.AMDGPU.csdata,"",@progbits
; Kernel info:
; codeLenInByte = 2908
; TotalNumSgprs: 36
; NumVgprs: 20
; NumAgprs: 0
; TotalNumVgprs: 20
; ScratchSize: 0
; MemoryBound: 0
; FloatMode: 240
; IeeeMode: 1
; LDSByteSize: 4224 bytes/workgroup (compile time only)
; SGPRBlocks: 4
; VGPRBlocks: 2
; NumSGPRsForWavesPerEU: 36
; NumVGPRsForWavesPerEU: 20
; AccumOffset: 20
; Occupancy: 8
; WaveLimiterHint : 1
; COMPUTE_PGM_RSRC2:SCRATCH_EN: 0
; COMPUTE_PGM_RSRC2:USER_SGPR: 2
; COMPUTE_PGM_RSRC2:TRAP_HANDLER: 0
; COMPUTE_PGM_RSRC2:TGID_X_EN: 1
; COMPUTE_PGM_RSRC2:TGID_Y_EN: 1
; COMPUTE_PGM_RSRC2:TGID_Z_EN: 1
; COMPUTE_PGM_RSRC2:TIDIG_COMP_CNT: 0
; COMPUTE_PGM_RSRC3_GFX90A:ACCUM_OFFSET: 4
; COMPUTE_PGM_RSRC3_GFX90A:TG_SPLIT: 0
	.section	.text._ZN7rocprim17ROCPRIM_400000_NS6detail17trampoline_kernelINS0_14default_configENS1_38merge_sort_block_merge_config_selectorIjjEEZZNS1_27merge_sort_block_merge_implIS3_N6thrust23THRUST_200600_302600_NS6detail15normal_iteratorINS8_10device_ptrIjEEEESD_jNS1_19radix_merge_compareILb0ELb0EjNS0_19identity_decomposerEEEEE10hipError_tT0_T1_T2_jT3_P12ihipStream_tbPNSt15iterator_traitsISI_E10value_typeEPNSO_ISJ_E10value_typeEPSK_NS1_7vsmem_tEENKUlT_SI_SJ_SK_E_clIPjSD_S10_SD_EESH_SX_SI_SJ_SK_EUlSX_E0_NS1_11comp_targetILNS1_3genE10ELNS1_11target_archE1201ELNS1_3gpuE5ELNS1_3repE0EEENS1_38merge_mergepath_config_static_selectorELNS0_4arch9wavefront6targetE1EEEvSJ_,"axG",@progbits,_ZN7rocprim17ROCPRIM_400000_NS6detail17trampoline_kernelINS0_14default_configENS1_38merge_sort_block_merge_config_selectorIjjEEZZNS1_27merge_sort_block_merge_implIS3_N6thrust23THRUST_200600_302600_NS6detail15normal_iteratorINS8_10device_ptrIjEEEESD_jNS1_19radix_merge_compareILb0ELb0EjNS0_19identity_decomposerEEEEE10hipError_tT0_T1_T2_jT3_P12ihipStream_tbPNSt15iterator_traitsISI_E10value_typeEPNSO_ISJ_E10value_typeEPSK_NS1_7vsmem_tEENKUlT_SI_SJ_SK_E_clIPjSD_S10_SD_EESH_SX_SI_SJ_SK_EUlSX_E0_NS1_11comp_targetILNS1_3genE10ELNS1_11target_archE1201ELNS1_3gpuE5ELNS1_3repE0EEENS1_38merge_mergepath_config_static_selectorELNS0_4arch9wavefront6targetE1EEEvSJ_,comdat
	.protected	_ZN7rocprim17ROCPRIM_400000_NS6detail17trampoline_kernelINS0_14default_configENS1_38merge_sort_block_merge_config_selectorIjjEEZZNS1_27merge_sort_block_merge_implIS3_N6thrust23THRUST_200600_302600_NS6detail15normal_iteratorINS8_10device_ptrIjEEEESD_jNS1_19radix_merge_compareILb0ELb0EjNS0_19identity_decomposerEEEEE10hipError_tT0_T1_T2_jT3_P12ihipStream_tbPNSt15iterator_traitsISI_E10value_typeEPNSO_ISJ_E10value_typeEPSK_NS1_7vsmem_tEENKUlT_SI_SJ_SK_E_clIPjSD_S10_SD_EESH_SX_SI_SJ_SK_EUlSX_E0_NS1_11comp_targetILNS1_3genE10ELNS1_11target_archE1201ELNS1_3gpuE5ELNS1_3repE0EEENS1_38merge_mergepath_config_static_selectorELNS0_4arch9wavefront6targetE1EEEvSJ_ ; -- Begin function _ZN7rocprim17ROCPRIM_400000_NS6detail17trampoline_kernelINS0_14default_configENS1_38merge_sort_block_merge_config_selectorIjjEEZZNS1_27merge_sort_block_merge_implIS3_N6thrust23THRUST_200600_302600_NS6detail15normal_iteratorINS8_10device_ptrIjEEEESD_jNS1_19radix_merge_compareILb0ELb0EjNS0_19identity_decomposerEEEEE10hipError_tT0_T1_T2_jT3_P12ihipStream_tbPNSt15iterator_traitsISI_E10value_typeEPNSO_ISJ_E10value_typeEPSK_NS1_7vsmem_tEENKUlT_SI_SJ_SK_E_clIPjSD_S10_SD_EESH_SX_SI_SJ_SK_EUlSX_E0_NS1_11comp_targetILNS1_3genE10ELNS1_11target_archE1201ELNS1_3gpuE5ELNS1_3repE0EEENS1_38merge_mergepath_config_static_selectorELNS0_4arch9wavefront6targetE1EEEvSJ_
	.globl	_ZN7rocprim17ROCPRIM_400000_NS6detail17trampoline_kernelINS0_14default_configENS1_38merge_sort_block_merge_config_selectorIjjEEZZNS1_27merge_sort_block_merge_implIS3_N6thrust23THRUST_200600_302600_NS6detail15normal_iteratorINS8_10device_ptrIjEEEESD_jNS1_19radix_merge_compareILb0ELb0EjNS0_19identity_decomposerEEEEE10hipError_tT0_T1_T2_jT3_P12ihipStream_tbPNSt15iterator_traitsISI_E10value_typeEPNSO_ISJ_E10value_typeEPSK_NS1_7vsmem_tEENKUlT_SI_SJ_SK_E_clIPjSD_S10_SD_EESH_SX_SI_SJ_SK_EUlSX_E0_NS1_11comp_targetILNS1_3genE10ELNS1_11target_archE1201ELNS1_3gpuE5ELNS1_3repE0EEENS1_38merge_mergepath_config_static_selectorELNS0_4arch9wavefront6targetE1EEEvSJ_
	.p2align	8
	.type	_ZN7rocprim17ROCPRIM_400000_NS6detail17trampoline_kernelINS0_14default_configENS1_38merge_sort_block_merge_config_selectorIjjEEZZNS1_27merge_sort_block_merge_implIS3_N6thrust23THRUST_200600_302600_NS6detail15normal_iteratorINS8_10device_ptrIjEEEESD_jNS1_19radix_merge_compareILb0ELb0EjNS0_19identity_decomposerEEEEE10hipError_tT0_T1_T2_jT3_P12ihipStream_tbPNSt15iterator_traitsISI_E10value_typeEPNSO_ISJ_E10value_typeEPSK_NS1_7vsmem_tEENKUlT_SI_SJ_SK_E_clIPjSD_S10_SD_EESH_SX_SI_SJ_SK_EUlSX_E0_NS1_11comp_targetILNS1_3genE10ELNS1_11target_archE1201ELNS1_3gpuE5ELNS1_3repE0EEENS1_38merge_mergepath_config_static_selectorELNS0_4arch9wavefront6targetE1EEEvSJ_,@function
_ZN7rocprim17ROCPRIM_400000_NS6detail17trampoline_kernelINS0_14default_configENS1_38merge_sort_block_merge_config_selectorIjjEEZZNS1_27merge_sort_block_merge_implIS3_N6thrust23THRUST_200600_302600_NS6detail15normal_iteratorINS8_10device_ptrIjEEEESD_jNS1_19radix_merge_compareILb0ELb0EjNS0_19identity_decomposerEEEEE10hipError_tT0_T1_T2_jT3_P12ihipStream_tbPNSt15iterator_traitsISI_E10value_typeEPNSO_ISJ_E10value_typeEPSK_NS1_7vsmem_tEENKUlT_SI_SJ_SK_E_clIPjSD_S10_SD_EESH_SX_SI_SJ_SK_EUlSX_E0_NS1_11comp_targetILNS1_3genE10ELNS1_11target_archE1201ELNS1_3gpuE5ELNS1_3repE0EEENS1_38merge_mergepath_config_static_selectorELNS0_4arch9wavefront6targetE1EEEvSJ_: ; @_ZN7rocprim17ROCPRIM_400000_NS6detail17trampoline_kernelINS0_14default_configENS1_38merge_sort_block_merge_config_selectorIjjEEZZNS1_27merge_sort_block_merge_implIS3_N6thrust23THRUST_200600_302600_NS6detail15normal_iteratorINS8_10device_ptrIjEEEESD_jNS1_19radix_merge_compareILb0ELb0EjNS0_19identity_decomposerEEEEE10hipError_tT0_T1_T2_jT3_P12ihipStream_tbPNSt15iterator_traitsISI_E10value_typeEPNSO_ISJ_E10value_typeEPSK_NS1_7vsmem_tEENKUlT_SI_SJ_SK_E_clIPjSD_S10_SD_EESH_SX_SI_SJ_SK_EUlSX_E0_NS1_11comp_targetILNS1_3genE10ELNS1_11target_archE1201ELNS1_3gpuE5ELNS1_3repE0EEENS1_38merge_mergepath_config_static_selectorELNS0_4arch9wavefront6targetE1EEEvSJ_
; %bb.0:
	.section	.rodata,"a",@progbits
	.p2align	6, 0x0
	.amdhsa_kernel _ZN7rocprim17ROCPRIM_400000_NS6detail17trampoline_kernelINS0_14default_configENS1_38merge_sort_block_merge_config_selectorIjjEEZZNS1_27merge_sort_block_merge_implIS3_N6thrust23THRUST_200600_302600_NS6detail15normal_iteratorINS8_10device_ptrIjEEEESD_jNS1_19radix_merge_compareILb0ELb0EjNS0_19identity_decomposerEEEEE10hipError_tT0_T1_T2_jT3_P12ihipStream_tbPNSt15iterator_traitsISI_E10value_typeEPNSO_ISJ_E10value_typeEPSK_NS1_7vsmem_tEENKUlT_SI_SJ_SK_E_clIPjSD_S10_SD_EESH_SX_SI_SJ_SK_EUlSX_E0_NS1_11comp_targetILNS1_3genE10ELNS1_11target_archE1201ELNS1_3gpuE5ELNS1_3repE0EEENS1_38merge_mergepath_config_static_selectorELNS0_4arch9wavefront6targetE1EEEvSJ_
		.amdhsa_group_segment_fixed_size 0
		.amdhsa_private_segment_fixed_size 0
		.amdhsa_kernarg_size 64
		.amdhsa_user_sgpr_count 2
		.amdhsa_user_sgpr_dispatch_ptr 0
		.amdhsa_user_sgpr_queue_ptr 0
		.amdhsa_user_sgpr_kernarg_segment_ptr 1
		.amdhsa_user_sgpr_dispatch_id 0
		.amdhsa_user_sgpr_kernarg_preload_length 0
		.amdhsa_user_sgpr_kernarg_preload_offset 0
		.amdhsa_user_sgpr_private_segment_size 0
		.amdhsa_uses_dynamic_stack 0
		.amdhsa_enable_private_segment 0
		.amdhsa_system_sgpr_workgroup_id_x 1
		.amdhsa_system_sgpr_workgroup_id_y 0
		.amdhsa_system_sgpr_workgroup_id_z 0
		.amdhsa_system_sgpr_workgroup_info 0
		.amdhsa_system_vgpr_workitem_id 0
		.amdhsa_next_free_vgpr 1
		.amdhsa_next_free_sgpr 0
		.amdhsa_accum_offset 4
		.amdhsa_reserve_vcc 0
		.amdhsa_float_round_mode_32 0
		.amdhsa_float_round_mode_16_64 0
		.amdhsa_float_denorm_mode_32 3
		.amdhsa_float_denorm_mode_16_64 3
		.amdhsa_dx10_clamp 1
		.amdhsa_ieee_mode 1
		.amdhsa_fp16_overflow 0
		.amdhsa_tg_split 0
		.amdhsa_exception_fp_ieee_invalid_op 0
		.amdhsa_exception_fp_denorm_src 0
		.amdhsa_exception_fp_ieee_div_zero 0
		.amdhsa_exception_fp_ieee_overflow 0
		.amdhsa_exception_fp_ieee_underflow 0
		.amdhsa_exception_fp_ieee_inexact 0
		.amdhsa_exception_int_div_zero 0
	.end_amdhsa_kernel
	.section	.text._ZN7rocprim17ROCPRIM_400000_NS6detail17trampoline_kernelINS0_14default_configENS1_38merge_sort_block_merge_config_selectorIjjEEZZNS1_27merge_sort_block_merge_implIS3_N6thrust23THRUST_200600_302600_NS6detail15normal_iteratorINS8_10device_ptrIjEEEESD_jNS1_19radix_merge_compareILb0ELb0EjNS0_19identity_decomposerEEEEE10hipError_tT0_T1_T2_jT3_P12ihipStream_tbPNSt15iterator_traitsISI_E10value_typeEPNSO_ISJ_E10value_typeEPSK_NS1_7vsmem_tEENKUlT_SI_SJ_SK_E_clIPjSD_S10_SD_EESH_SX_SI_SJ_SK_EUlSX_E0_NS1_11comp_targetILNS1_3genE10ELNS1_11target_archE1201ELNS1_3gpuE5ELNS1_3repE0EEENS1_38merge_mergepath_config_static_selectorELNS0_4arch9wavefront6targetE1EEEvSJ_,"axG",@progbits,_ZN7rocprim17ROCPRIM_400000_NS6detail17trampoline_kernelINS0_14default_configENS1_38merge_sort_block_merge_config_selectorIjjEEZZNS1_27merge_sort_block_merge_implIS3_N6thrust23THRUST_200600_302600_NS6detail15normal_iteratorINS8_10device_ptrIjEEEESD_jNS1_19radix_merge_compareILb0ELb0EjNS0_19identity_decomposerEEEEE10hipError_tT0_T1_T2_jT3_P12ihipStream_tbPNSt15iterator_traitsISI_E10value_typeEPNSO_ISJ_E10value_typeEPSK_NS1_7vsmem_tEENKUlT_SI_SJ_SK_E_clIPjSD_S10_SD_EESH_SX_SI_SJ_SK_EUlSX_E0_NS1_11comp_targetILNS1_3genE10ELNS1_11target_archE1201ELNS1_3gpuE5ELNS1_3repE0EEENS1_38merge_mergepath_config_static_selectorELNS0_4arch9wavefront6targetE1EEEvSJ_,comdat
.Lfunc_end628:
	.size	_ZN7rocprim17ROCPRIM_400000_NS6detail17trampoline_kernelINS0_14default_configENS1_38merge_sort_block_merge_config_selectorIjjEEZZNS1_27merge_sort_block_merge_implIS3_N6thrust23THRUST_200600_302600_NS6detail15normal_iteratorINS8_10device_ptrIjEEEESD_jNS1_19radix_merge_compareILb0ELb0EjNS0_19identity_decomposerEEEEE10hipError_tT0_T1_T2_jT3_P12ihipStream_tbPNSt15iterator_traitsISI_E10value_typeEPNSO_ISJ_E10value_typeEPSK_NS1_7vsmem_tEENKUlT_SI_SJ_SK_E_clIPjSD_S10_SD_EESH_SX_SI_SJ_SK_EUlSX_E0_NS1_11comp_targetILNS1_3genE10ELNS1_11target_archE1201ELNS1_3gpuE5ELNS1_3repE0EEENS1_38merge_mergepath_config_static_selectorELNS0_4arch9wavefront6targetE1EEEvSJ_, .Lfunc_end628-_ZN7rocprim17ROCPRIM_400000_NS6detail17trampoline_kernelINS0_14default_configENS1_38merge_sort_block_merge_config_selectorIjjEEZZNS1_27merge_sort_block_merge_implIS3_N6thrust23THRUST_200600_302600_NS6detail15normal_iteratorINS8_10device_ptrIjEEEESD_jNS1_19radix_merge_compareILb0ELb0EjNS0_19identity_decomposerEEEEE10hipError_tT0_T1_T2_jT3_P12ihipStream_tbPNSt15iterator_traitsISI_E10value_typeEPNSO_ISJ_E10value_typeEPSK_NS1_7vsmem_tEENKUlT_SI_SJ_SK_E_clIPjSD_S10_SD_EESH_SX_SI_SJ_SK_EUlSX_E0_NS1_11comp_targetILNS1_3genE10ELNS1_11target_archE1201ELNS1_3gpuE5ELNS1_3repE0EEENS1_38merge_mergepath_config_static_selectorELNS0_4arch9wavefront6targetE1EEEvSJ_
                                        ; -- End function
	.set _ZN7rocprim17ROCPRIM_400000_NS6detail17trampoline_kernelINS0_14default_configENS1_38merge_sort_block_merge_config_selectorIjjEEZZNS1_27merge_sort_block_merge_implIS3_N6thrust23THRUST_200600_302600_NS6detail15normal_iteratorINS8_10device_ptrIjEEEESD_jNS1_19radix_merge_compareILb0ELb0EjNS0_19identity_decomposerEEEEE10hipError_tT0_T1_T2_jT3_P12ihipStream_tbPNSt15iterator_traitsISI_E10value_typeEPNSO_ISJ_E10value_typeEPSK_NS1_7vsmem_tEENKUlT_SI_SJ_SK_E_clIPjSD_S10_SD_EESH_SX_SI_SJ_SK_EUlSX_E0_NS1_11comp_targetILNS1_3genE10ELNS1_11target_archE1201ELNS1_3gpuE5ELNS1_3repE0EEENS1_38merge_mergepath_config_static_selectorELNS0_4arch9wavefront6targetE1EEEvSJ_.num_vgpr, 0
	.set _ZN7rocprim17ROCPRIM_400000_NS6detail17trampoline_kernelINS0_14default_configENS1_38merge_sort_block_merge_config_selectorIjjEEZZNS1_27merge_sort_block_merge_implIS3_N6thrust23THRUST_200600_302600_NS6detail15normal_iteratorINS8_10device_ptrIjEEEESD_jNS1_19radix_merge_compareILb0ELb0EjNS0_19identity_decomposerEEEEE10hipError_tT0_T1_T2_jT3_P12ihipStream_tbPNSt15iterator_traitsISI_E10value_typeEPNSO_ISJ_E10value_typeEPSK_NS1_7vsmem_tEENKUlT_SI_SJ_SK_E_clIPjSD_S10_SD_EESH_SX_SI_SJ_SK_EUlSX_E0_NS1_11comp_targetILNS1_3genE10ELNS1_11target_archE1201ELNS1_3gpuE5ELNS1_3repE0EEENS1_38merge_mergepath_config_static_selectorELNS0_4arch9wavefront6targetE1EEEvSJ_.num_agpr, 0
	.set _ZN7rocprim17ROCPRIM_400000_NS6detail17trampoline_kernelINS0_14default_configENS1_38merge_sort_block_merge_config_selectorIjjEEZZNS1_27merge_sort_block_merge_implIS3_N6thrust23THRUST_200600_302600_NS6detail15normal_iteratorINS8_10device_ptrIjEEEESD_jNS1_19radix_merge_compareILb0ELb0EjNS0_19identity_decomposerEEEEE10hipError_tT0_T1_T2_jT3_P12ihipStream_tbPNSt15iterator_traitsISI_E10value_typeEPNSO_ISJ_E10value_typeEPSK_NS1_7vsmem_tEENKUlT_SI_SJ_SK_E_clIPjSD_S10_SD_EESH_SX_SI_SJ_SK_EUlSX_E0_NS1_11comp_targetILNS1_3genE10ELNS1_11target_archE1201ELNS1_3gpuE5ELNS1_3repE0EEENS1_38merge_mergepath_config_static_selectorELNS0_4arch9wavefront6targetE1EEEvSJ_.numbered_sgpr, 0
	.set _ZN7rocprim17ROCPRIM_400000_NS6detail17trampoline_kernelINS0_14default_configENS1_38merge_sort_block_merge_config_selectorIjjEEZZNS1_27merge_sort_block_merge_implIS3_N6thrust23THRUST_200600_302600_NS6detail15normal_iteratorINS8_10device_ptrIjEEEESD_jNS1_19radix_merge_compareILb0ELb0EjNS0_19identity_decomposerEEEEE10hipError_tT0_T1_T2_jT3_P12ihipStream_tbPNSt15iterator_traitsISI_E10value_typeEPNSO_ISJ_E10value_typeEPSK_NS1_7vsmem_tEENKUlT_SI_SJ_SK_E_clIPjSD_S10_SD_EESH_SX_SI_SJ_SK_EUlSX_E0_NS1_11comp_targetILNS1_3genE10ELNS1_11target_archE1201ELNS1_3gpuE5ELNS1_3repE0EEENS1_38merge_mergepath_config_static_selectorELNS0_4arch9wavefront6targetE1EEEvSJ_.num_named_barrier, 0
	.set _ZN7rocprim17ROCPRIM_400000_NS6detail17trampoline_kernelINS0_14default_configENS1_38merge_sort_block_merge_config_selectorIjjEEZZNS1_27merge_sort_block_merge_implIS3_N6thrust23THRUST_200600_302600_NS6detail15normal_iteratorINS8_10device_ptrIjEEEESD_jNS1_19radix_merge_compareILb0ELb0EjNS0_19identity_decomposerEEEEE10hipError_tT0_T1_T2_jT3_P12ihipStream_tbPNSt15iterator_traitsISI_E10value_typeEPNSO_ISJ_E10value_typeEPSK_NS1_7vsmem_tEENKUlT_SI_SJ_SK_E_clIPjSD_S10_SD_EESH_SX_SI_SJ_SK_EUlSX_E0_NS1_11comp_targetILNS1_3genE10ELNS1_11target_archE1201ELNS1_3gpuE5ELNS1_3repE0EEENS1_38merge_mergepath_config_static_selectorELNS0_4arch9wavefront6targetE1EEEvSJ_.private_seg_size, 0
	.set _ZN7rocprim17ROCPRIM_400000_NS6detail17trampoline_kernelINS0_14default_configENS1_38merge_sort_block_merge_config_selectorIjjEEZZNS1_27merge_sort_block_merge_implIS3_N6thrust23THRUST_200600_302600_NS6detail15normal_iteratorINS8_10device_ptrIjEEEESD_jNS1_19radix_merge_compareILb0ELb0EjNS0_19identity_decomposerEEEEE10hipError_tT0_T1_T2_jT3_P12ihipStream_tbPNSt15iterator_traitsISI_E10value_typeEPNSO_ISJ_E10value_typeEPSK_NS1_7vsmem_tEENKUlT_SI_SJ_SK_E_clIPjSD_S10_SD_EESH_SX_SI_SJ_SK_EUlSX_E0_NS1_11comp_targetILNS1_3genE10ELNS1_11target_archE1201ELNS1_3gpuE5ELNS1_3repE0EEENS1_38merge_mergepath_config_static_selectorELNS0_4arch9wavefront6targetE1EEEvSJ_.uses_vcc, 0
	.set _ZN7rocprim17ROCPRIM_400000_NS6detail17trampoline_kernelINS0_14default_configENS1_38merge_sort_block_merge_config_selectorIjjEEZZNS1_27merge_sort_block_merge_implIS3_N6thrust23THRUST_200600_302600_NS6detail15normal_iteratorINS8_10device_ptrIjEEEESD_jNS1_19radix_merge_compareILb0ELb0EjNS0_19identity_decomposerEEEEE10hipError_tT0_T1_T2_jT3_P12ihipStream_tbPNSt15iterator_traitsISI_E10value_typeEPNSO_ISJ_E10value_typeEPSK_NS1_7vsmem_tEENKUlT_SI_SJ_SK_E_clIPjSD_S10_SD_EESH_SX_SI_SJ_SK_EUlSX_E0_NS1_11comp_targetILNS1_3genE10ELNS1_11target_archE1201ELNS1_3gpuE5ELNS1_3repE0EEENS1_38merge_mergepath_config_static_selectorELNS0_4arch9wavefront6targetE1EEEvSJ_.uses_flat_scratch, 0
	.set _ZN7rocprim17ROCPRIM_400000_NS6detail17trampoline_kernelINS0_14default_configENS1_38merge_sort_block_merge_config_selectorIjjEEZZNS1_27merge_sort_block_merge_implIS3_N6thrust23THRUST_200600_302600_NS6detail15normal_iteratorINS8_10device_ptrIjEEEESD_jNS1_19radix_merge_compareILb0ELb0EjNS0_19identity_decomposerEEEEE10hipError_tT0_T1_T2_jT3_P12ihipStream_tbPNSt15iterator_traitsISI_E10value_typeEPNSO_ISJ_E10value_typeEPSK_NS1_7vsmem_tEENKUlT_SI_SJ_SK_E_clIPjSD_S10_SD_EESH_SX_SI_SJ_SK_EUlSX_E0_NS1_11comp_targetILNS1_3genE10ELNS1_11target_archE1201ELNS1_3gpuE5ELNS1_3repE0EEENS1_38merge_mergepath_config_static_selectorELNS0_4arch9wavefront6targetE1EEEvSJ_.has_dyn_sized_stack, 0
	.set _ZN7rocprim17ROCPRIM_400000_NS6detail17trampoline_kernelINS0_14default_configENS1_38merge_sort_block_merge_config_selectorIjjEEZZNS1_27merge_sort_block_merge_implIS3_N6thrust23THRUST_200600_302600_NS6detail15normal_iteratorINS8_10device_ptrIjEEEESD_jNS1_19radix_merge_compareILb0ELb0EjNS0_19identity_decomposerEEEEE10hipError_tT0_T1_T2_jT3_P12ihipStream_tbPNSt15iterator_traitsISI_E10value_typeEPNSO_ISJ_E10value_typeEPSK_NS1_7vsmem_tEENKUlT_SI_SJ_SK_E_clIPjSD_S10_SD_EESH_SX_SI_SJ_SK_EUlSX_E0_NS1_11comp_targetILNS1_3genE10ELNS1_11target_archE1201ELNS1_3gpuE5ELNS1_3repE0EEENS1_38merge_mergepath_config_static_selectorELNS0_4arch9wavefront6targetE1EEEvSJ_.has_recursion, 0
	.set _ZN7rocprim17ROCPRIM_400000_NS6detail17trampoline_kernelINS0_14default_configENS1_38merge_sort_block_merge_config_selectorIjjEEZZNS1_27merge_sort_block_merge_implIS3_N6thrust23THRUST_200600_302600_NS6detail15normal_iteratorINS8_10device_ptrIjEEEESD_jNS1_19radix_merge_compareILb0ELb0EjNS0_19identity_decomposerEEEEE10hipError_tT0_T1_T2_jT3_P12ihipStream_tbPNSt15iterator_traitsISI_E10value_typeEPNSO_ISJ_E10value_typeEPSK_NS1_7vsmem_tEENKUlT_SI_SJ_SK_E_clIPjSD_S10_SD_EESH_SX_SI_SJ_SK_EUlSX_E0_NS1_11comp_targetILNS1_3genE10ELNS1_11target_archE1201ELNS1_3gpuE5ELNS1_3repE0EEENS1_38merge_mergepath_config_static_selectorELNS0_4arch9wavefront6targetE1EEEvSJ_.has_indirect_call, 0
	.section	.AMDGPU.csdata,"",@progbits
; Kernel info:
; codeLenInByte = 0
; TotalNumSgprs: 6
; NumVgprs: 0
; NumAgprs: 0
; TotalNumVgprs: 0
; ScratchSize: 0
; MemoryBound: 0
; FloatMode: 240
; IeeeMode: 1
; LDSByteSize: 0 bytes/workgroup (compile time only)
; SGPRBlocks: 0
; VGPRBlocks: 0
; NumSGPRsForWavesPerEU: 6
; NumVGPRsForWavesPerEU: 1
; AccumOffset: 4
; Occupancy: 8
; WaveLimiterHint : 0
; COMPUTE_PGM_RSRC2:SCRATCH_EN: 0
; COMPUTE_PGM_RSRC2:USER_SGPR: 2
; COMPUTE_PGM_RSRC2:TRAP_HANDLER: 0
; COMPUTE_PGM_RSRC2:TGID_X_EN: 1
; COMPUTE_PGM_RSRC2:TGID_Y_EN: 0
; COMPUTE_PGM_RSRC2:TGID_Z_EN: 0
; COMPUTE_PGM_RSRC2:TIDIG_COMP_CNT: 0
; COMPUTE_PGM_RSRC3_GFX90A:ACCUM_OFFSET: 0
; COMPUTE_PGM_RSRC3_GFX90A:TG_SPLIT: 0
	.section	.text._ZN7rocprim17ROCPRIM_400000_NS6detail17trampoline_kernelINS0_14default_configENS1_38merge_sort_block_merge_config_selectorIjjEEZZNS1_27merge_sort_block_merge_implIS3_N6thrust23THRUST_200600_302600_NS6detail15normal_iteratorINS8_10device_ptrIjEEEESD_jNS1_19radix_merge_compareILb0ELb0EjNS0_19identity_decomposerEEEEE10hipError_tT0_T1_T2_jT3_P12ihipStream_tbPNSt15iterator_traitsISI_E10value_typeEPNSO_ISJ_E10value_typeEPSK_NS1_7vsmem_tEENKUlT_SI_SJ_SK_E_clIPjSD_S10_SD_EESH_SX_SI_SJ_SK_EUlSX_E0_NS1_11comp_targetILNS1_3genE5ELNS1_11target_archE942ELNS1_3gpuE9ELNS1_3repE0EEENS1_38merge_mergepath_config_static_selectorELNS0_4arch9wavefront6targetE1EEEvSJ_,"axG",@progbits,_ZN7rocprim17ROCPRIM_400000_NS6detail17trampoline_kernelINS0_14default_configENS1_38merge_sort_block_merge_config_selectorIjjEEZZNS1_27merge_sort_block_merge_implIS3_N6thrust23THRUST_200600_302600_NS6detail15normal_iteratorINS8_10device_ptrIjEEEESD_jNS1_19radix_merge_compareILb0ELb0EjNS0_19identity_decomposerEEEEE10hipError_tT0_T1_T2_jT3_P12ihipStream_tbPNSt15iterator_traitsISI_E10value_typeEPNSO_ISJ_E10value_typeEPSK_NS1_7vsmem_tEENKUlT_SI_SJ_SK_E_clIPjSD_S10_SD_EESH_SX_SI_SJ_SK_EUlSX_E0_NS1_11comp_targetILNS1_3genE5ELNS1_11target_archE942ELNS1_3gpuE9ELNS1_3repE0EEENS1_38merge_mergepath_config_static_selectorELNS0_4arch9wavefront6targetE1EEEvSJ_,comdat
	.protected	_ZN7rocprim17ROCPRIM_400000_NS6detail17trampoline_kernelINS0_14default_configENS1_38merge_sort_block_merge_config_selectorIjjEEZZNS1_27merge_sort_block_merge_implIS3_N6thrust23THRUST_200600_302600_NS6detail15normal_iteratorINS8_10device_ptrIjEEEESD_jNS1_19radix_merge_compareILb0ELb0EjNS0_19identity_decomposerEEEEE10hipError_tT0_T1_T2_jT3_P12ihipStream_tbPNSt15iterator_traitsISI_E10value_typeEPNSO_ISJ_E10value_typeEPSK_NS1_7vsmem_tEENKUlT_SI_SJ_SK_E_clIPjSD_S10_SD_EESH_SX_SI_SJ_SK_EUlSX_E0_NS1_11comp_targetILNS1_3genE5ELNS1_11target_archE942ELNS1_3gpuE9ELNS1_3repE0EEENS1_38merge_mergepath_config_static_selectorELNS0_4arch9wavefront6targetE1EEEvSJ_ ; -- Begin function _ZN7rocprim17ROCPRIM_400000_NS6detail17trampoline_kernelINS0_14default_configENS1_38merge_sort_block_merge_config_selectorIjjEEZZNS1_27merge_sort_block_merge_implIS3_N6thrust23THRUST_200600_302600_NS6detail15normal_iteratorINS8_10device_ptrIjEEEESD_jNS1_19radix_merge_compareILb0ELb0EjNS0_19identity_decomposerEEEEE10hipError_tT0_T1_T2_jT3_P12ihipStream_tbPNSt15iterator_traitsISI_E10value_typeEPNSO_ISJ_E10value_typeEPSK_NS1_7vsmem_tEENKUlT_SI_SJ_SK_E_clIPjSD_S10_SD_EESH_SX_SI_SJ_SK_EUlSX_E0_NS1_11comp_targetILNS1_3genE5ELNS1_11target_archE942ELNS1_3gpuE9ELNS1_3repE0EEENS1_38merge_mergepath_config_static_selectorELNS0_4arch9wavefront6targetE1EEEvSJ_
	.globl	_ZN7rocprim17ROCPRIM_400000_NS6detail17trampoline_kernelINS0_14default_configENS1_38merge_sort_block_merge_config_selectorIjjEEZZNS1_27merge_sort_block_merge_implIS3_N6thrust23THRUST_200600_302600_NS6detail15normal_iteratorINS8_10device_ptrIjEEEESD_jNS1_19radix_merge_compareILb0ELb0EjNS0_19identity_decomposerEEEEE10hipError_tT0_T1_T2_jT3_P12ihipStream_tbPNSt15iterator_traitsISI_E10value_typeEPNSO_ISJ_E10value_typeEPSK_NS1_7vsmem_tEENKUlT_SI_SJ_SK_E_clIPjSD_S10_SD_EESH_SX_SI_SJ_SK_EUlSX_E0_NS1_11comp_targetILNS1_3genE5ELNS1_11target_archE942ELNS1_3gpuE9ELNS1_3repE0EEENS1_38merge_mergepath_config_static_selectorELNS0_4arch9wavefront6targetE1EEEvSJ_
	.p2align	8
	.type	_ZN7rocprim17ROCPRIM_400000_NS6detail17trampoline_kernelINS0_14default_configENS1_38merge_sort_block_merge_config_selectorIjjEEZZNS1_27merge_sort_block_merge_implIS3_N6thrust23THRUST_200600_302600_NS6detail15normal_iteratorINS8_10device_ptrIjEEEESD_jNS1_19radix_merge_compareILb0ELb0EjNS0_19identity_decomposerEEEEE10hipError_tT0_T1_T2_jT3_P12ihipStream_tbPNSt15iterator_traitsISI_E10value_typeEPNSO_ISJ_E10value_typeEPSK_NS1_7vsmem_tEENKUlT_SI_SJ_SK_E_clIPjSD_S10_SD_EESH_SX_SI_SJ_SK_EUlSX_E0_NS1_11comp_targetILNS1_3genE5ELNS1_11target_archE942ELNS1_3gpuE9ELNS1_3repE0EEENS1_38merge_mergepath_config_static_selectorELNS0_4arch9wavefront6targetE1EEEvSJ_,@function
_ZN7rocprim17ROCPRIM_400000_NS6detail17trampoline_kernelINS0_14default_configENS1_38merge_sort_block_merge_config_selectorIjjEEZZNS1_27merge_sort_block_merge_implIS3_N6thrust23THRUST_200600_302600_NS6detail15normal_iteratorINS8_10device_ptrIjEEEESD_jNS1_19radix_merge_compareILb0ELb0EjNS0_19identity_decomposerEEEEE10hipError_tT0_T1_T2_jT3_P12ihipStream_tbPNSt15iterator_traitsISI_E10value_typeEPNSO_ISJ_E10value_typeEPSK_NS1_7vsmem_tEENKUlT_SI_SJ_SK_E_clIPjSD_S10_SD_EESH_SX_SI_SJ_SK_EUlSX_E0_NS1_11comp_targetILNS1_3genE5ELNS1_11target_archE942ELNS1_3gpuE9ELNS1_3repE0EEENS1_38merge_mergepath_config_static_selectorELNS0_4arch9wavefront6targetE1EEEvSJ_: ; @_ZN7rocprim17ROCPRIM_400000_NS6detail17trampoline_kernelINS0_14default_configENS1_38merge_sort_block_merge_config_selectorIjjEEZZNS1_27merge_sort_block_merge_implIS3_N6thrust23THRUST_200600_302600_NS6detail15normal_iteratorINS8_10device_ptrIjEEEESD_jNS1_19radix_merge_compareILb0ELb0EjNS0_19identity_decomposerEEEEE10hipError_tT0_T1_T2_jT3_P12ihipStream_tbPNSt15iterator_traitsISI_E10value_typeEPNSO_ISJ_E10value_typeEPSK_NS1_7vsmem_tEENKUlT_SI_SJ_SK_E_clIPjSD_S10_SD_EESH_SX_SI_SJ_SK_EUlSX_E0_NS1_11comp_targetILNS1_3genE5ELNS1_11target_archE942ELNS1_3gpuE9ELNS1_3repE0EEENS1_38merge_mergepath_config_static_selectorELNS0_4arch9wavefront6targetE1EEEvSJ_
; %bb.0:
	.section	.rodata,"a",@progbits
	.p2align	6, 0x0
	.amdhsa_kernel _ZN7rocprim17ROCPRIM_400000_NS6detail17trampoline_kernelINS0_14default_configENS1_38merge_sort_block_merge_config_selectorIjjEEZZNS1_27merge_sort_block_merge_implIS3_N6thrust23THRUST_200600_302600_NS6detail15normal_iteratorINS8_10device_ptrIjEEEESD_jNS1_19radix_merge_compareILb0ELb0EjNS0_19identity_decomposerEEEEE10hipError_tT0_T1_T2_jT3_P12ihipStream_tbPNSt15iterator_traitsISI_E10value_typeEPNSO_ISJ_E10value_typeEPSK_NS1_7vsmem_tEENKUlT_SI_SJ_SK_E_clIPjSD_S10_SD_EESH_SX_SI_SJ_SK_EUlSX_E0_NS1_11comp_targetILNS1_3genE5ELNS1_11target_archE942ELNS1_3gpuE9ELNS1_3repE0EEENS1_38merge_mergepath_config_static_selectorELNS0_4arch9wavefront6targetE1EEEvSJ_
		.amdhsa_group_segment_fixed_size 0
		.amdhsa_private_segment_fixed_size 0
		.amdhsa_kernarg_size 64
		.amdhsa_user_sgpr_count 2
		.amdhsa_user_sgpr_dispatch_ptr 0
		.amdhsa_user_sgpr_queue_ptr 0
		.amdhsa_user_sgpr_kernarg_segment_ptr 1
		.amdhsa_user_sgpr_dispatch_id 0
		.amdhsa_user_sgpr_kernarg_preload_length 0
		.amdhsa_user_sgpr_kernarg_preload_offset 0
		.amdhsa_user_sgpr_private_segment_size 0
		.amdhsa_uses_dynamic_stack 0
		.amdhsa_enable_private_segment 0
		.amdhsa_system_sgpr_workgroup_id_x 1
		.amdhsa_system_sgpr_workgroup_id_y 0
		.amdhsa_system_sgpr_workgroup_id_z 0
		.amdhsa_system_sgpr_workgroup_info 0
		.amdhsa_system_vgpr_workitem_id 0
		.amdhsa_next_free_vgpr 1
		.amdhsa_next_free_sgpr 0
		.amdhsa_accum_offset 4
		.amdhsa_reserve_vcc 0
		.amdhsa_float_round_mode_32 0
		.amdhsa_float_round_mode_16_64 0
		.amdhsa_float_denorm_mode_32 3
		.amdhsa_float_denorm_mode_16_64 3
		.amdhsa_dx10_clamp 1
		.amdhsa_ieee_mode 1
		.amdhsa_fp16_overflow 0
		.amdhsa_tg_split 0
		.amdhsa_exception_fp_ieee_invalid_op 0
		.amdhsa_exception_fp_denorm_src 0
		.amdhsa_exception_fp_ieee_div_zero 0
		.amdhsa_exception_fp_ieee_overflow 0
		.amdhsa_exception_fp_ieee_underflow 0
		.amdhsa_exception_fp_ieee_inexact 0
		.amdhsa_exception_int_div_zero 0
	.end_amdhsa_kernel
	.section	.text._ZN7rocprim17ROCPRIM_400000_NS6detail17trampoline_kernelINS0_14default_configENS1_38merge_sort_block_merge_config_selectorIjjEEZZNS1_27merge_sort_block_merge_implIS3_N6thrust23THRUST_200600_302600_NS6detail15normal_iteratorINS8_10device_ptrIjEEEESD_jNS1_19radix_merge_compareILb0ELb0EjNS0_19identity_decomposerEEEEE10hipError_tT0_T1_T2_jT3_P12ihipStream_tbPNSt15iterator_traitsISI_E10value_typeEPNSO_ISJ_E10value_typeEPSK_NS1_7vsmem_tEENKUlT_SI_SJ_SK_E_clIPjSD_S10_SD_EESH_SX_SI_SJ_SK_EUlSX_E0_NS1_11comp_targetILNS1_3genE5ELNS1_11target_archE942ELNS1_3gpuE9ELNS1_3repE0EEENS1_38merge_mergepath_config_static_selectorELNS0_4arch9wavefront6targetE1EEEvSJ_,"axG",@progbits,_ZN7rocprim17ROCPRIM_400000_NS6detail17trampoline_kernelINS0_14default_configENS1_38merge_sort_block_merge_config_selectorIjjEEZZNS1_27merge_sort_block_merge_implIS3_N6thrust23THRUST_200600_302600_NS6detail15normal_iteratorINS8_10device_ptrIjEEEESD_jNS1_19radix_merge_compareILb0ELb0EjNS0_19identity_decomposerEEEEE10hipError_tT0_T1_T2_jT3_P12ihipStream_tbPNSt15iterator_traitsISI_E10value_typeEPNSO_ISJ_E10value_typeEPSK_NS1_7vsmem_tEENKUlT_SI_SJ_SK_E_clIPjSD_S10_SD_EESH_SX_SI_SJ_SK_EUlSX_E0_NS1_11comp_targetILNS1_3genE5ELNS1_11target_archE942ELNS1_3gpuE9ELNS1_3repE0EEENS1_38merge_mergepath_config_static_selectorELNS0_4arch9wavefront6targetE1EEEvSJ_,comdat
.Lfunc_end629:
	.size	_ZN7rocprim17ROCPRIM_400000_NS6detail17trampoline_kernelINS0_14default_configENS1_38merge_sort_block_merge_config_selectorIjjEEZZNS1_27merge_sort_block_merge_implIS3_N6thrust23THRUST_200600_302600_NS6detail15normal_iteratorINS8_10device_ptrIjEEEESD_jNS1_19radix_merge_compareILb0ELb0EjNS0_19identity_decomposerEEEEE10hipError_tT0_T1_T2_jT3_P12ihipStream_tbPNSt15iterator_traitsISI_E10value_typeEPNSO_ISJ_E10value_typeEPSK_NS1_7vsmem_tEENKUlT_SI_SJ_SK_E_clIPjSD_S10_SD_EESH_SX_SI_SJ_SK_EUlSX_E0_NS1_11comp_targetILNS1_3genE5ELNS1_11target_archE942ELNS1_3gpuE9ELNS1_3repE0EEENS1_38merge_mergepath_config_static_selectorELNS0_4arch9wavefront6targetE1EEEvSJ_, .Lfunc_end629-_ZN7rocprim17ROCPRIM_400000_NS6detail17trampoline_kernelINS0_14default_configENS1_38merge_sort_block_merge_config_selectorIjjEEZZNS1_27merge_sort_block_merge_implIS3_N6thrust23THRUST_200600_302600_NS6detail15normal_iteratorINS8_10device_ptrIjEEEESD_jNS1_19radix_merge_compareILb0ELb0EjNS0_19identity_decomposerEEEEE10hipError_tT0_T1_T2_jT3_P12ihipStream_tbPNSt15iterator_traitsISI_E10value_typeEPNSO_ISJ_E10value_typeEPSK_NS1_7vsmem_tEENKUlT_SI_SJ_SK_E_clIPjSD_S10_SD_EESH_SX_SI_SJ_SK_EUlSX_E0_NS1_11comp_targetILNS1_3genE5ELNS1_11target_archE942ELNS1_3gpuE9ELNS1_3repE0EEENS1_38merge_mergepath_config_static_selectorELNS0_4arch9wavefront6targetE1EEEvSJ_
                                        ; -- End function
	.set _ZN7rocprim17ROCPRIM_400000_NS6detail17trampoline_kernelINS0_14default_configENS1_38merge_sort_block_merge_config_selectorIjjEEZZNS1_27merge_sort_block_merge_implIS3_N6thrust23THRUST_200600_302600_NS6detail15normal_iteratorINS8_10device_ptrIjEEEESD_jNS1_19radix_merge_compareILb0ELb0EjNS0_19identity_decomposerEEEEE10hipError_tT0_T1_T2_jT3_P12ihipStream_tbPNSt15iterator_traitsISI_E10value_typeEPNSO_ISJ_E10value_typeEPSK_NS1_7vsmem_tEENKUlT_SI_SJ_SK_E_clIPjSD_S10_SD_EESH_SX_SI_SJ_SK_EUlSX_E0_NS1_11comp_targetILNS1_3genE5ELNS1_11target_archE942ELNS1_3gpuE9ELNS1_3repE0EEENS1_38merge_mergepath_config_static_selectorELNS0_4arch9wavefront6targetE1EEEvSJ_.num_vgpr, 0
	.set _ZN7rocprim17ROCPRIM_400000_NS6detail17trampoline_kernelINS0_14default_configENS1_38merge_sort_block_merge_config_selectorIjjEEZZNS1_27merge_sort_block_merge_implIS3_N6thrust23THRUST_200600_302600_NS6detail15normal_iteratorINS8_10device_ptrIjEEEESD_jNS1_19radix_merge_compareILb0ELb0EjNS0_19identity_decomposerEEEEE10hipError_tT0_T1_T2_jT3_P12ihipStream_tbPNSt15iterator_traitsISI_E10value_typeEPNSO_ISJ_E10value_typeEPSK_NS1_7vsmem_tEENKUlT_SI_SJ_SK_E_clIPjSD_S10_SD_EESH_SX_SI_SJ_SK_EUlSX_E0_NS1_11comp_targetILNS1_3genE5ELNS1_11target_archE942ELNS1_3gpuE9ELNS1_3repE0EEENS1_38merge_mergepath_config_static_selectorELNS0_4arch9wavefront6targetE1EEEvSJ_.num_agpr, 0
	.set _ZN7rocprim17ROCPRIM_400000_NS6detail17trampoline_kernelINS0_14default_configENS1_38merge_sort_block_merge_config_selectorIjjEEZZNS1_27merge_sort_block_merge_implIS3_N6thrust23THRUST_200600_302600_NS6detail15normal_iteratorINS8_10device_ptrIjEEEESD_jNS1_19radix_merge_compareILb0ELb0EjNS0_19identity_decomposerEEEEE10hipError_tT0_T1_T2_jT3_P12ihipStream_tbPNSt15iterator_traitsISI_E10value_typeEPNSO_ISJ_E10value_typeEPSK_NS1_7vsmem_tEENKUlT_SI_SJ_SK_E_clIPjSD_S10_SD_EESH_SX_SI_SJ_SK_EUlSX_E0_NS1_11comp_targetILNS1_3genE5ELNS1_11target_archE942ELNS1_3gpuE9ELNS1_3repE0EEENS1_38merge_mergepath_config_static_selectorELNS0_4arch9wavefront6targetE1EEEvSJ_.numbered_sgpr, 0
	.set _ZN7rocprim17ROCPRIM_400000_NS6detail17trampoline_kernelINS0_14default_configENS1_38merge_sort_block_merge_config_selectorIjjEEZZNS1_27merge_sort_block_merge_implIS3_N6thrust23THRUST_200600_302600_NS6detail15normal_iteratorINS8_10device_ptrIjEEEESD_jNS1_19radix_merge_compareILb0ELb0EjNS0_19identity_decomposerEEEEE10hipError_tT0_T1_T2_jT3_P12ihipStream_tbPNSt15iterator_traitsISI_E10value_typeEPNSO_ISJ_E10value_typeEPSK_NS1_7vsmem_tEENKUlT_SI_SJ_SK_E_clIPjSD_S10_SD_EESH_SX_SI_SJ_SK_EUlSX_E0_NS1_11comp_targetILNS1_3genE5ELNS1_11target_archE942ELNS1_3gpuE9ELNS1_3repE0EEENS1_38merge_mergepath_config_static_selectorELNS0_4arch9wavefront6targetE1EEEvSJ_.num_named_barrier, 0
	.set _ZN7rocprim17ROCPRIM_400000_NS6detail17trampoline_kernelINS0_14default_configENS1_38merge_sort_block_merge_config_selectorIjjEEZZNS1_27merge_sort_block_merge_implIS3_N6thrust23THRUST_200600_302600_NS6detail15normal_iteratorINS8_10device_ptrIjEEEESD_jNS1_19radix_merge_compareILb0ELb0EjNS0_19identity_decomposerEEEEE10hipError_tT0_T1_T2_jT3_P12ihipStream_tbPNSt15iterator_traitsISI_E10value_typeEPNSO_ISJ_E10value_typeEPSK_NS1_7vsmem_tEENKUlT_SI_SJ_SK_E_clIPjSD_S10_SD_EESH_SX_SI_SJ_SK_EUlSX_E0_NS1_11comp_targetILNS1_3genE5ELNS1_11target_archE942ELNS1_3gpuE9ELNS1_3repE0EEENS1_38merge_mergepath_config_static_selectorELNS0_4arch9wavefront6targetE1EEEvSJ_.private_seg_size, 0
	.set _ZN7rocprim17ROCPRIM_400000_NS6detail17trampoline_kernelINS0_14default_configENS1_38merge_sort_block_merge_config_selectorIjjEEZZNS1_27merge_sort_block_merge_implIS3_N6thrust23THRUST_200600_302600_NS6detail15normal_iteratorINS8_10device_ptrIjEEEESD_jNS1_19radix_merge_compareILb0ELb0EjNS0_19identity_decomposerEEEEE10hipError_tT0_T1_T2_jT3_P12ihipStream_tbPNSt15iterator_traitsISI_E10value_typeEPNSO_ISJ_E10value_typeEPSK_NS1_7vsmem_tEENKUlT_SI_SJ_SK_E_clIPjSD_S10_SD_EESH_SX_SI_SJ_SK_EUlSX_E0_NS1_11comp_targetILNS1_3genE5ELNS1_11target_archE942ELNS1_3gpuE9ELNS1_3repE0EEENS1_38merge_mergepath_config_static_selectorELNS0_4arch9wavefront6targetE1EEEvSJ_.uses_vcc, 0
	.set _ZN7rocprim17ROCPRIM_400000_NS6detail17trampoline_kernelINS0_14default_configENS1_38merge_sort_block_merge_config_selectorIjjEEZZNS1_27merge_sort_block_merge_implIS3_N6thrust23THRUST_200600_302600_NS6detail15normal_iteratorINS8_10device_ptrIjEEEESD_jNS1_19radix_merge_compareILb0ELb0EjNS0_19identity_decomposerEEEEE10hipError_tT0_T1_T2_jT3_P12ihipStream_tbPNSt15iterator_traitsISI_E10value_typeEPNSO_ISJ_E10value_typeEPSK_NS1_7vsmem_tEENKUlT_SI_SJ_SK_E_clIPjSD_S10_SD_EESH_SX_SI_SJ_SK_EUlSX_E0_NS1_11comp_targetILNS1_3genE5ELNS1_11target_archE942ELNS1_3gpuE9ELNS1_3repE0EEENS1_38merge_mergepath_config_static_selectorELNS0_4arch9wavefront6targetE1EEEvSJ_.uses_flat_scratch, 0
	.set _ZN7rocprim17ROCPRIM_400000_NS6detail17trampoline_kernelINS0_14default_configENS1_38merge_sort_block_merge_config_selectorIjjEEZZNS1_27merge_sort_block_merge_implIS3_N6thrust23THRUST_200600_302600_NS6detail15normal_iteratorINS8_10device_ptrIjEEEESD_jNS1_19radix_merge_compareILb0ELb0EjNS0_19identity_decomposerEEEEE10hipError_tT0_T1_T2_jT3_P12ihipStream_tbPNSt15iterator_traitsISI_E10value_typeEPNSO_ISJ_E10value_typeEPSK_NS1_7vsmem_tEENKUlT_SI_SJ_SK_E_clIPjSD_S10_SD_EESH_SX_SI_SJ_SK_EUlSX_E0_NS1_11comp_targetILNS1_3genE5ELNS1_11target_archE942ELNS1_3gpuE9ELNS1_3repE0EEENS1_38merge_mergepath_config_static_selectorELNS0_4arch9wavefront6targetE1EEEvSJ_.has_dyn_sized_stack, 0
	.set _ZN7rocprim17ROCPRIM_400000_NS6detail17trampoline_kernelINS0_14default_configENS1_38merge_sort_block_merge_config_selectorIjjEEZZNS1_27merge_sort_block_merge_implIS3_N6thrust23THRUST_200600_302600_NS6detail15normal_iteratorINS8_10device_ptrIjEEEESD_jNS1_19radix_merge_compareILb0ELb0EjNS0_19identity_decomposerEEEEE10hipError_tT0_T1_T2_jT3_P12ihipStream_tbPNSt15iterator_traitsISI_E10value_typeEPNSO_ISJ_E10value_typeEPSK_NS1_7vsmem_tEENKUlT_SI_SJ_SK_E_clIPjSD_S10_SD_EESH_SX_SI_SJ_SK_EUlSX_E0_NS1_11comp_targetILNS1_3genE5ELNS1_11target_archE942ELNS1_3gpuE9ELNS1_3repE0EEENS1_38merge_mergepath_config_static_selectorELNS0_4arch9wavefront6targetE1EEEvSJ_.has_recursion, 0
	.set _ZN7rocprim17ROCPRIM_400000_NS6detail17trampoline_kernelINS0_14default_configENS1_38merge_sort_block_merge_config_selectorIjjEEZZNS1_27merge_sort_block_merge_implIS3_N6thrust23THRUST_200600_302600_NS6detail15normal_iteratorINS8_10device_ptrIjEEEESD_jNS1_19radix_merge_compareILb0ELb0EjNS0_19identity_decomposerEEEEE10hipError_tT0_T1_T2_jT3_P12ihipStream_tbPNSt15iterator_traitsISI_E10value_typeEPNSO_ISJ_E10value_typeEPSK_NS1_7vsmem_tEENKUlT_SI_SJ_SK_E_clIPjSD_S10_SD_EESH_SX_SI_SJ_SK_EUlSX_E0_NS1_11comp_targetILNS1_3genE5ELNS1_11target_archE942ELNS1_3gpuE9ELNS1_3repE0EEENS1_38merge_mergepath_config_static_selectorELNS0_4arch9wavefront6targetE1EEEvSJ_.has_indirect_call, 0
	.section	.AMDGPU.csdata,"",@progbits
; Kernel info:
; codeLenInByte = 0
; TotalNumSgprs: 6
; NumVgprs: 0
; NumAgprs: 0
; TotalNumVgprs: 0
; ScratchSize: 0
; MemoryBound: 0
; FloatMode: 240
; IeeeMode: 1
; LDSByteSize: 0 bytes/workgroup (compile time only)
; SGPRBlocks: 0
; VGPRBlocks: 0
; NumSGPRsForWavesPerEU: 6
; NumVGPRsForWavesPerEU: 1
; AccumOffset: 4
; Occupancy: 8
; WaveLimiterHint : 0
; COMPUTE_PGM_RSRC2:SCRATCH_EN: 0
; COMPUTE_PGM_RSRC2:USER_SGPR: 2
; COMPUTE_PGM_RSRC2:TRAP_HANDLER: 0
; COMPUTE_PGM_RSRC2:TGID_X_EN: 1
; COMPUTE_PGM_RSRC2:TGID_Y_EN: 0
; COMPUTE_PGM_RSRC2:TGID_Z_EN: 0
; COMPUTE_PGM_RSRC2:TIDIG_COMP_CNT: 0
; COMPUTE_PGM_RSRC3_GFX90A:ACCUM_OFFSET: 0
; COMPUTE_PGM_RSRC3_GFX90A:TG_SPLIT: 0
	.section	.text._ZN7rocprim17ROCPRIM_400000_NS6detail17trampoline_kernelINS0_14default_configENS1_38merge_sort_block_merge_config_selectorIjjEEZZNS1_27merge_sort_block_merge_implIS3_N6thrust23THRUST_200600_302600_NS6detail15normal_iteratorINS8_10device_ptrIjEEEESD_jNS1_19radix_merge_compareILb0ELb0EjNS0_19identity_decomposerEEEEE10hipError_tT0_T1_T2_jT3_P12ihipStream_tbPNSt15iterator_traitsISI_E10value_typeEPNSO_ISJ_E10value_typeEPSK_NS1_7vsmem_tEENKUlT_SI_SJ_SK_E_clIPjSD_S10_SD_EESH_SX_SI_SJ_SK_EUlSX_E0_NS1_11comp_targetILNS1_3genE4ELNS1_11target_archE910ELNS1_3gpuE8ELNS1_3repE0EEENS1_38merge_mergepath_config_static_selectorELNS0_4arch9wavefront6targetE1EEEvSJ_,"axG",@progbits,_ZN7rocprim17ROCPRIM_400000_NS6detail17trampoline_kernelINS0_14default_configENS1_38merge_sort_block_merge_config_selectorIjjEEZZNS1_27merge_sort_block_merge_implIS3_N6thrust23THRUST_200600_302600_NS6detail15normal_iteratorINS8_10device_ptrIjEEEESD_jNS1_19radix_merge_compareILb0ELb0EjNS0_19identity_decomposerEEEEE10hipError_tT0_T1_T2_jT3_P12ihipStream_tbPNSt15iterator_traitsISI_E10value_typeEPNSO_ISJ_E10value_typeEPSK_NS1_7vsmem_tEENKUlT_SI_SJ_SK_E_clIPjSD_S10_SD_EESH_SX_SI_SJ_SK_EUlSX_E0_NS1_11comp_targetILNS1_3genE4ELNS1_11target_archE910ELNS1_3gpuE8ELNS1_3repE0EEENS1_38merge_mergepath_config_static_selectorELNS0_4arch9wavefront6targetE1EEEvSJ_,comdat
	.protected	_ZN7rocprim17ROCPRIM_400000_NS6detail17trampoline_kernelINS0_14default_configENS1_38merge_sort_block_merge_config_selectorIjjEEZZNS1_27merge_sort_block_merge_implIS3_N6thrust23THRUST_200600_302600_NS6detail15normal_iteratorINS8_10device_ptrIjEEEESD_jNS1_19radix_merge_compareILb0ELb0EjNS0_19identity_decomposerEEEEE10hipError_tT0_T1_T2_jT3_P12ihipStream_tbPNSt15iterator_traitsISI_E10value_typeEPNSO_ISJ_E10value_typeEPSK_NS1_7vsmem_tEENKUlT_SI_SJ_SK_E_clIPjSD_S10_SD_EESH_SX_SI_SJ_SK_EUlSX_E0_NS1_11comp_targetILNS1_3genE4ELNS1_11target_archE910ELNS1_3gpuE8ELNS1_3repE0EEENS1_38merge_mergepath_config_static_selectorELNS0_4arch9wavefront6targetE1EEEvSJ_ ; -- Begin function _ZN7rocprim17ROCPRIM_400000_NS6detail17trampoline_kernelINS0_14default_configENS1_38merge_sort_block_merge_config_selectorIjjEEZZNS1_27merge_sort_block_merge_implIS3_N6thrust23THRUST_200600_302600_NS6detail15normal_iteratorINS8_10device_ptrIjEEEESD_jNS1_19radix_merge_compareILb0ELb0EjNS0_19identity_decomposerEEEEE10hipError_tT0_T1_T2_jT3_P12ihipStream_tbPNSt15iterator_traitsISI_E10value_typeEPNSO_ISJ_E10value_typeEPSK_NS1_7vsmem_tEENKUlT_SI_SJ_SK_E_clIPjSD_S10_SD_EESH_SX_SI_SJ_SK_EUlSX_E0_NS1_11comp_targetILNS1_3genE4ELNS1_11target_archE910ELNS1_3gpuE8ELNS1_3repE0EEENS1_38merge_mergepath_config_static_selectorELNS0_4arch9wavefront6targetE1EEEvSJ_
	.globl	_ZN7rocprim17ROCPRIM_400000_NS6detail17trampoline_kernelINS0_14default_configENS1_38merge_sort_block_merge_config_selectorIjjEEZZNS1_27merge_sort_block_merge_implIS3_N6thrust23THRUST_200600_302600_NS6detail15normal_iteratorINS8_10device_ptrIjEEEESD_jNS1_19radix_merge_compareILb0ELb0EjNS0_19identity_decomposerEEEEE10hipError_tT0_T1_T2_jT3_P12ihipStream_tbPNSt15iterator_traitsISI_E10value_typeEPNSO_ISJ_E10value_typeEPSK_NS1_7vsmem_tEENKUlT_SI_SJ_SK_E_clIPjSD_S10_SD_EESH_SX_SI_SJ_SK_EUlSX_E0_NS1_11comp_targetILNS1_3genE4ELNS1_11target_archE910ELNS1_3gpuE8ELNS1_3repE0EEENS1_38merge_mergepath_config_static_selectorELNS0_4arch9wavefront6targetE1EEEvSJ_
	.p2align	8
	.type	_ZN7rocprim17ROCPRIM_400000_NS6detail17trampoline_kernelINS0_14default_configENS1_38merge_sort_block_merge_config_selectorIjjEEZZNS1_27merge_sort_block_merge_implIS3_N6thrust23THRUST_200600_302600_NS6detail15normal_iteratorINS8_10device_ptrIjEEEESD_jNS1_19radix_merge_compareILb0ELb0EjNS0_19identity_decomposerEEEEE10hipError_tT0_T1_T2_jT3_P12ihipStream_tbPNSt15iterator_traitsISI_E10value_typeEPNSO_ISJ_E10value_typeEPSK_NS1_7vsmem_tEENKUlT_SI_SJ_SK_E_clIPjSD_S10_SD_EESH_SX_SI_SJ_SK_EUlSX_E0_NS1_11comp_targetILNS1_3genE4ELNS1_11target_archE910ELNS1_3gpuE8ELNS1_3repE0EEENS1_38merge_mergepath_config_static_selectorELNS0_4arch9wavefront6targetE1EEEvSJ_,@function
_ZN7rocprim17ROCPRIM_400000_NS6detail17trampoline_kernelINS0_14default_configENS1_38merge_sort_block_merge_config_selectorIjjEEZZNS1_27merge_sort_block_merge_implIS3_N6thrust23THRUST_200600_302600_NS6detail15normal_iteratorINS8_10device_ptrIjEEEESD_jNS1_19radix_merge_compareILb0ELb0EjNS0_19identity_decomposerEEEEE10hipError_tT0_T1_T2_jT3_P12ihipStream_tbPNSt15iterator_traitsISI_E10value_typeEPNSO_ISJ_E10value_typeEPSK_NS1_7vsmem_tEENKUlT_SI_SJ_SK_E_clIPjSD_S10_SD_EESH_SX_SI_SJ_SK_EUlSX_E0_NS1_11comp_targetILNS1_3genE4ELNS1_11target_archE910ELNS1_3gpuE8ELNS1_3repE0EEENS1_38merge_mergepath_config_static_selectorELNS0_4arch9wavefront6targetE1EEEvSJ_: ; @_ZN7rocprim17ROCPRIM_400000_NS6detail17trampoline_kernelINS0_14default_configENS1_38merge_sort_block_merge_config_selectorIjjEEZZNS1_27merge_sort_block_merge_implIS3_N6thrust23THRUST_200600_302600_NS6detail15normal_iteratorINS8_10device_ptrIjEEEESD_jNS1_19radix_merge_compareILb0ELb0EjNS0_19identity_decomposerEEEEE10hipError_tT0_T1_T2_jT3_P12ihipStream_tbPNSt15iterator_traitsISI_E10value_typeEPNSO_ISJ_E10value_typeEPSK_NS1_7vsmem_tEENKUlT_SI_SJ_SK_E_clIPjSD_S10_SD_EESH_SX_SI_SJ_SK_EUlSX_E0_NS1_11comp_targetILNS1_3genE4ELNS1_11target_archE910ELNS1_3gpuE8ELNS1_3repE0EEENS1_38merge_mergepath_config_static_selectorELNS0_4arch9wavefront6targetE1EEEvSJ_
; %bb.0:
	.section	.rodata,"a",@progbits
	.p2align	6, 0x0
	.amdhsa_kernel _ZN7rocprim17ROCPRIM_400000_NS6detail17trampoline_kernelINS0_14default_configENS1_38merge_sort_block_merge_config_selectorIjjEEZZNS1_27merge_sort_block_merge_implIS3_N6thrust23THRUST_200600_302600_NS6detail15normal_iteratorINS8_10device_ptrIjEEEESD_jNS1_19radix_merge_compareILb0ELb0EjNS0_19identity_decomposerEEEEE10hipError_tT0_T1_T2_jT3_P12ihipStream_tbPNSt15iterator_traitsISI_E10value_typeEPNSO_ISJ_E10value_typeEPSK_NS1_7vsmem_tEENKUlT_SI_SJ_SK_E_clIPjSD_S10_SD_EESH_SX_SI_SJ_SK_EUlSX_E0_NS1_11comp_targetILNS1_3genE4ELNS1_11target_archE910ELNS1_3gpuE8ELNS1_3repE0EEENS1_38merge_mergepath_config_static_selectorELNS0_4arch9wavefront6targetE1EEEvSJ_
		.amdhsa_group_segment_fixed_size 0
		.amdhsa_private_segment_fixed_size 0
		.amdhsa_kernarg_size 64
		.amdhsa_user_sgpr_count 2
		.amdhsa_user_sgpr_dispatch_ptr 0
		.amdhsa_user_sgpr_queue_ptr 0
		.amdhsa_user_sgpr_kernarg_segment_ptr 1
		.amdhsa_user_sgpr_dispatch_id 0
		.amdhsa_user_sgpr_kernarg_preload_length 0
		.amdhsa_user_sgpr_kernarg_preload_offset 0
		.amdhsa_user_sgpr_private_segment_size 0
		.amdhsa_uses_dynamic_stack 0
		.amdhsa_enable_private_segment 0
		.amdhsa_system_sgpr_workgroup_id_x 1
		.amdhsa_system_sgpr_workgroup_id_y 0
		.amdhsa_system_sgpr_workgroup_id_z 0
		.amdhsa_system_sgpr_workgroup_info 0
		.amdhsa_system_vgpr_workitem_id 0
		.amdhsa_next_free_vgpr 1
		.amdhsa_next_free_sgpr 0
		.amdhsa_accum_offset 4
		.amdhsa_reserve_vcc 0
		.amdhsa_float_round_mode_32 0
		.amdhsa_float_round_mode_16_64 0
		.amdhsa_float_denorm_mode_32 3
		.amdhsa_float_denorm_mode_16_64 3
		.amdhsa_dx10_clamp 1
		.amdhsa_ieee_mode 1
		.amdhsa_fp16_overflow 0
		.amdhsa_tg_split 0
		.amdhsa_exception_fp_ieee_invalid_op 0
		.amdhsa_exception_fp_denorm_src 0
		.amdhsa_exception_fp_ieee_div_zero 0
		.amdhsa_exception_fp_ieee_overflow 0
		.amdhsa_exception_fp_ieee_underflow 0
		.amdhsa_exception_fp_ieee_inexact 0
		.amdhsa_exception_int_div_zero 0
	.end_amdhsa_kernel
	.section	.text._ZN7rocprim17ROCPRIM_400000_NS6detail17trampoline_kernelINS0_14default_configENS1_38merge_sort_block_merge_config_selectorIjjEEZZNS1_27merge_sort_block_merge_implIS3_N6thrust23THRUST_200600_302600_NS6detail15normal_iteratorINS8_10device_ptrIjEEEESD_jNS1_19radix_merge_compareILb0ELb0EjNS0_19identity_decomposerEEEEE10hipError_tT0_T1_T2_jT3_P12ihipStream_tbPNSt15iterator_traitsISI_E10value_typeEPNSO_ISJ_E10value_typeEPSK_NS1_7vsmem_tEENKUlT_SI_SJ_SK_E_clIPjSD_S10_SD_EESH_SX_SI_SJ_SK_EUlSX_E0_NS1_11comp_targetILNS1_3genE4ELNS1_11target_archE910ELNS1_3gpuE8ELNS1_3repE0EEENS1_38merge_mergepath_config_static_selectorELNS0_4arch9wavefront6targetE1EEEvSJ_,"axG",@progbits,_ZN7rocprim17ROCPRIM_400000_NS6detail17trampoline_kernelINS0_14default_configENS1_38merge_sort_block_merge_config_selectorIjjEEZZNS1_27merge_sort_block_merge_implIS3_N6thrust23THRUST_200600_302600_NS6detail15normal_iteratorINS8_10device_ptrIjEEEESD_jNS1_19radix_merge_compareILb0ELb0EjNS0_19identity_decomposerEEEEE10hipError_tT0_T1_T2_jT3_P12ihipStream_tbPNSt15iterator_traitsISI_E10value_typeEPNSO_ISJ_E10value_typeEPSK_NS1_7vsmem_tEENKUlT_SI_SJ_SK_E_clIPjSD_S10_SD_EESH_SX_SI_SJ_SK_EUlSX_E0_NS1_11comp_targetILNS1_3genE4ELNS1_11target_archE910ELNS1_3gpuE8ELNS1_3repE0EEENS1_38merge_mergepath_config_static_selectorELNS0_4arch9wavefront6targetE1EEEvSJ_,comdat
.Lfunc_end630:
	.size	_ZN7rocprim17ROCPRIM_400000_NS6detail17trampoline_kernelINS0_14default_configENS1_38merge_sort_block_merge_config_selectorIjjEEZZNS1_27merge_sort_block_merge_implIS3_N6thrust23THRUST_200600_302600_NS6detail15normal_iteratorINS8_10device_ptrIjEEEESD_jNS1_19radix_merge_compareILb0ELb0EjNS0_19identity_decomposerEEEEE10hipError_tT0_T1_T2_jT3_P12ihipStream_tbPNSt15iterator_traitsISI_E10value_typeEPNSO_ISJ_E10value_typeEPSK_NS1_7vsmem_tEENKUlT_SI_SJ_SK_E_clIPjSD_S10_SD_EESH_SX_SI_SJ_SK_EUlSX_E0_NS1_11comp_targetILNS1_3genE4ELNS1_11target_archE910ELNS1_3gpuE8ELNS1_3repE0EEENS1_38merge_mergepath_config_static_selectorELNS0_4arch9wavefront6targetE1EEEvSJ_, .Lfunc_end630-_ZN7rocprim17ROCPRIM_400000_NS6detail17trampoline_kernelINS0_14default_configENS1_38merge_sort_block_merge_config_selectorIjjEEZZNS1_27merge_sort_block_merge_implIS3_N6thrust23THRUST_200600_302600_NS6detail15normal_iteratorINS8_10device_ptrIjEEEESD_jNS1_19radix_merge_compareILb0ELb0EjNS0_19identity_decomposerEEEEE10hipError_tT0_T1_T2_jT3_P12ihipStream_tbPNSt15iterator_traitsISI_E10value_typeEPNSO_ISJ_E10value_typeEPSK_NS1_7vsmem_tEENKUlT_SI_SJ_SK_E_clIPjSD_S10_SD_EESH_SX_SI_SJ_SK_EUlSX_E0_NS1_11comp_targetILNS1_3genE4ELNS1_11target_archE910ELNS1_3gpuE8ELNS1_3repE0EEENS1_38merge_mergepath_config_static_selectorELNS0_4arch9wavefront6targetE1EEEvSJ_
                                        ; -- End function
	.set _ZN7rocprim17ROCPRIM_400000_NS6detail17trampoline_kernelINS0_14default_configENS1_38merge_sort_block_merge_config_selectorIjjEEZZNS1_27merge_sort_block_merge_implIS3_N6thrust23THRUST_200600_302600_NS6detail15normal_iteratorINS8_10device_ptrIjEEEESD_jNS1_19radix_merge_compareILb0ELb0EjNS0_19identity_decomposerEEEEE10hipError_tT0_T1_T2_jT3_P12ihipStream_tbPNSt15iterator_traitsISI_E10value_typeEPNSO_ISJ_E10value_typeEPSK_NS1_7vsmem_tEENKUlT_SI_SJ_SK_E_clIPjSD_S10_SD_EESH_SX_SI_SJ_SK_EUlSX_E0_NS1_11comp_targetILNS1_3genE4ELNS1_11target_archE910ELNS1_3gpuE8ELNS1_3repE0EEENS1_38merge_mergepath_config_static_selectorELNS0_4arch9wavefront6targetE1EEEvSJ_.num_vgpr, 0
	.set _ZN7rocprim17ROCPRIM_400000_NS6detail17trampoline_kernelINS0_14default_configENS1_38merge_sort_block_merge_config_selectorIjjEEZZNS1_27merge_sort_block_merge_implIS3_N6thrust23THRUST_200600_302600_NS6detail15normal_iteratorINS8_10device_ptrIjEEEESD_jNS1_19radix_merge_compareILb0ELb0EjNS0_19identity_decomposerEEEEE10hipError_tT0_T1_T2_jT3_P12ihipStream_tbPNSt15iterator_traitsISI_E10value_typeEPNSO_ISJ_E10value_typeEPSK_NS1_7vsmem_tEENKUlT_SI_SJ_SK_E_clIPjSD_S10_SD_EESH_SX_SI_SJ_SK_EUlSX_E0_NS1_11comp_targetILNS1_3genE4ELNS1_11target_archE910ELNS1_3gpuE8ELNS1_3repE0EEENS1_38merge_mergepath_config_static_selectorELNS0_4arch9wavefront6targetE1EEEvSJ_.num_agpr, 0
	.set _ZN7rocprim17ROCPRIM_400000_NS6detail17trampoline_kernelINS0_14default_configENS1_38merge_sort_block_merge_config_selectorIjjEEZZNS1_27merge_sort_block_merge_implIS3_N6thrust23THRUST_200600_302600_NS6detail15normal_iteratorINS8_10device_ptrIjEEEESD_jNS1_19radix_merge_compareILb0ELb0EjNS0_19identity_decomposerEEEEE10hipError_tT0_T1_T2_jT3_P12ihipStream_tbPNSt15iterator_traitsISI_E10value_typeEPNSO_ISJ_E10value_typeEPSK_NS1_7vsmem_tEENKUlT_SI_SJ_SK_E_clIPjSD_S10_SD_EESH_SX_SI_SJ_SK_EUlSX_E0_NS1_11comp_targetILNS1_3genE4ELNS1_11target_archE910ELNS1_3gpuE8ELNS1_3repE0EEENS1_38merge_mergepath_config_static_selectorELNS0_4arch9wavefront6targetE1EEEvSJ_.numbered_sgpr, 0
	.set _ZN7rocprim17ROCPRIM_400000_NS6detail17trampoline_kernelINS0_14default_configENS1_38merge_sort_block_merge_config_selectorIjjEEZZNS1_27merge_sort_block_merge_implIS3_N6thrust23THRUST_200600_302600_NS6detail15normal_iteratorINS8_10device_ptrIjEEEESD_jNS1_19radix_merge_compareILb0ELb0EjNS0_19identity_decomposerEEEEE10hipError_tT0_T1_T2_jT3_P12ihipStream_tbPNSt15iterator_traitsISI_E10value_typeEPNSO_ISJ_E10value_typeEPSK_NS1_7vsmem_tEENKUlT_SI_SJ_SK_E_clIPjSD_S10_SD_EESH_SX_SI_SJ_SK_EUlSX_E0_NS1_11comp_targetILNS1_3genE4ELNS1_11target_archE910ELNS1_3gpuE8ELNS1_3repE0EEENS1_38merge_mergepath_config_static_selectorELNS0_4arch9wavefront6targetE1EEEvSJ_.num_named_barrier, 0
	.set _ZN7rocprim17ROCPRIM_400000_NS6detail17trampoline_kernelINS0_14default_configENS1_38merge_sort_block_merge_config_selectorIjjEEZZNS1_27merge_sort_block_merge_implIS3_N6thrust23THRUST_200600_302600_NS6detail15normal_iteratorINS8_10device_ptrIjEEEESD_jNS1_19radix_merge_compareILb0ELb0EjNS0_19identity_decomposerEEEEE10hipError_tT0_T1_T2_jT3_P12ihipStream_tbPNSt15iterator_traitsISI_E10value_typeEPNSO_ISJ_E10value_typeEPSK_NS1_7vsmem_tEENKUlT_SI_SJ_SK_E_clIPjSD_S10_SD_EESH_SX_SI_SJ_SK_EUlSX_E0_NS1_11comp_targetILNS1_3genE4ELNS1_11target_archE910ELNS1_3gpuE8ELNS1_3repE0EEENS1_38merge_mergepath_config_static_selectorELNS0_4arch9wavefront6targetE1EEEvSJ_.private_seg_size, 0
	.set _ZN7rocprim17ROCPRIM_400000_NS6detail17trampoline_kernelINS0_14default_configENS1_38merge_sort_block_merge_config_selectorIjjEEZZNS1_27merge_sort_block_merge_implIS3_N6thrust23THRUST_200600_302600_NS6detail15normal_iteratorINS8_10device_ptrIjEEEESD_jNS1_19radix_merge_compareILb0ELb0EjNS0_19identity_decomposerEEEEE10hipError_tT0_T1_T2_jT3_P12ihipStream_tbPNSt15iterator_traitsISI_E10value_typeEPNSO_ISJ_E10value_typeEPSK_NS1_7vsmem_tEENKUlT_SI_SJ_SK_E_clIPjSD_S10_SD_EESH_SX_SI_SJ_SK_EUlSX_E0_NS1_11comp_targetILNS1_3genE4ELNS1_11target_archE910ELNS1_3gpuE8ELNS1_3repE0EEENS1_38merge_mergepath_config_static_selectorELNS0_4arch9wavefront6targetE1EEEvSJ_.uses_vcc, 0
	.set _ZN7rocprim17ROCPRIM_400000_NS6detail17trampoline_kernelINS0_14default_configENS1_38merge_sort_block_merge_config_selectorIjjEEZZNS1_27merge_sort_block_merge_implIS3_N6thrust23THRUST_200600_302600_NS6detail15normal_iteratorINS8_10device_ptrIjEEEESD_jNS1_19radix_merge_compareILb0ELb0EjNS0_19identity_decomposerEEEEE10hipError_tT0_T1_T2_jT3_P12ihipStream_tbPNSt15iterator_traitsISI_E10value_typeEPNSO_ISJ_E10value_typeEPSK_NS1_7vsmem_tEENKUlT_SI_SJ_SK_E_clIPjSD_S10_SD_EESH_SX_SI_SJ_SK_EUlSX_E0_NS1_11comp_targetILNS1_3genE4ELNS1_11target_archE910ELNS1_3gpuE8ELNS1_3repE0EEENS1_38merge_mergepath_config_static_selectorELNS0_4arch9wavefront6targetE1EEEvSJ_.uses_flat_scratch, 0
	.set _ZN7rocprim17ROCPRIM_400000_NS6detail17trampoline_kernelINS0_14default_configENS1_38merge_sort_block_merge_config_selectorIjjEEZZNS1_27merge_sort_block_merge_implIS3_N6thrust23THRUST_200600_302600_NS6detail15normal_iteratorINS8_10device_ptrIjEEEESD_jNS1_19radix_merge_compareILb0ELb0EjNS0_19identity_decomposerEEEEE10hipError_tT0_T1_T2_jT3_P12ihipStream_tbPNSt15iterator_traitsISI_E10value_typeEPNSO_ISJ_E10value_typeEPSK_NS1_7vsmem_tEENKUlT_SI_SJ_SK_E_clIPjSD_S10_SD_EESH_SX_SI_SJ_SK_EUlSX_E0_NS1_11comp_targetILNS1_3genE4ELNS1_11target_archE910ELNS1_3gpuE8ELNS1_3repE0EEENS1_38merge_mergepath_config_static_selectorELNS0_4arch9wavefront6targetE1EEEvSJ_.has_dyn_sized_stack, 0
	.set _ZN7rocprim17ROCPRIM_400000_NS6detail17trampoline_kernelINS0_14default_configENS1_38merge_sort_block_merge_config_selectorIjjEEZZNS1_27merge_sort_block_merge_implIS3_N6thrust23THRUST_200600_302600_NS6detail15normal_iteratorINS8_10device_ptrIjEEEESD_jNS1_19radix_merge_compareILb0ELb0EjNS0_19identity_decomposerEEEEE10hipError_tT0_T1_T2_jT3_P12ihipStream_tbPNSt15iterator_traitsISI_E10value_typeEPNSO_ISJ_E10value_typeEPSK_NS1_7vsmem_tEENKUlT_SI_SJ_SK_E_clIPjSD_S10_SD_EESH_SX_SI_SJ_SK_EUlSX_E0_NS1_11comp_targetILNS1_3genE4ELNS1_11target_archE910ELNS1_3gpuE8ELNS1_3repE0EEENS1_38merge_mergepath_config_static_selectorELNS0_4arch9wavefront6targetE1EEEvSJ_.has_recursion, 0
	.set _ZN7rocprim17ROCPRIM_400000_NS6detail17trampoline_kernelINS0_14default_configENS1_38merge_sort_block_merge_config_selectorIjjEEZZNS1_27merge_sort_block_merge_implIS3_N6thrust23THRUST_200600_302600_NS6detail15normal_iteratorINS8_10device_ptrIjEEEESD_jNS1_19radix_merge_compareILb0ELb0EjNS0_19identity_decomposerEEEEE10hipError_tT0_T1_T2_jT3_P12ihipStream_tbPNSt15iterator_traitsISI_E10value_typeEPNSO_ISJ_E10value_typeEPSK_NS1_7vsmem_tEENKUlT_SI_SJ_SK_E_clIPjSD_S10_SD_EESH_SX_SI_SJ_SK_EUlSX_E0_NS1_11comp_targetILNS1_3genE4ELNS1_11target_archE910ELNS1_3gpuE8ELNS1_3repE0EEENS1_38merge_mergepath_config_static_selectorELNS0_4arch9wavefront6targetE1EEEvSJ_.has_indirect_call, 0
	.section	.AMDGPU.csdata,"",@progbits
; Kernel info:
; codeLenInByte = 0
; TotalNumSgprs: 6
; NumVgprs: 0
; NumAgprs: 0
; TotalNumVgprs: 0
; ScratchSize: 0
; MemoryBound: 0
; FloatMode: 240
; IeeeMode: 1
; LDSByteSize: 0 bytes/workgroup (compile time only)
; SGPRBlocks: 0
; VGPRBlocks: 0
; NumSGPRsForWavesPerEU: 6
; NumVGPRsForWavesPerEU: 1
; AccumOffset: 4
; Occupancy: 8
; WaveLimiterHint : 0
; COMPUTE_PGM_RSRC2:SCRATCH_EN: 0
; COMPUTE_PGM_RSRC2:USER_SGPR: 2
; COMPUTE_PGM_RSRC2:TRAP_HANDLER: 0
; COMPUTE_PGM_RSRC2:TGID_X_EN: 1
; COMPUTE_PGM_RSRC2:TGID_Y_EN: 0
; COMPUTE_PGM_RSRC2:TGID_Z_EN: 0
; COMPUTE_PGM_RSRC2:TIDIG_COMP_CNT: 0
; COMPUTE_PGM_RSRC3_GFX90A:ACCUM_OFFSET: 0
; COMPUTE_PGM_RSRC3_GFX90A:TG_SPLIT: 0
	.section	.text._ZN7rocprim17ROCPRIM_400000_NS6detail17trampoline_kernelINS0_14default_configENS1_38merge_sort_block_merge_config_selectorIjjEEZZNS1_27merge_sort_block_merge_implIS3_N6thrust23THRUST_200600_302600_NS6detail15normal_iteratorINS8_10device_ptrIjEEEESD_jNS1_19radix_merge_compareILb0ELb0EjNS0_19identity_decomposerEEEEE10hipError_tT0_T1_T2_jT3_P12ihipStream_tbPNSt15iterator_traitsISI_E10value_typeEPNSO_ISJ_E10value_typeEPSK_NS1_7vsmem_tEENKUlT_SI_SJ_SK_E_clIPjSD_S10_SD_EESH_SX_SI_SJ_SK_EUlSX_E0_NS1_11comp_targetILNS1_3genE3ELNS1_11target_archE908ELNS1_3gpuE7ELNS1_3repE0EEENS1_38merge_mergepath_config_static_selectorELNS0_4arch9wavefront6targetE1EEEvSJ_,"axG",@progbits,_ZN7rocprim17ROCPRIM_400000_NS6detail17trampoline_kernelINS0_14default_configENS1_38merge_sort_block_merge_config_selectorIjjEEZZNS1_27merge_sort_block_merge_implIS3_N6thrust23THRUST_200600_302600_NS6detail15normal_iteratorINS8_10device_ptrIjEEEESD_jNS1_19radix_merge_compareILb0ELb0EjNS0_19identity_decomposerEEEEE10hipError_tT0_T1_T2_jT3_P12ihipStream_tbPNSt15iterator_traitsISI_E10value_typeEPNSO_ISJ_E10value_typeEPSK_NS1_7vsmem_tEENKUlT_SI_SJ_SK_E_clIPjSD_S10_SD_EESH_SX_SI_SJ_SK_EUlSX_E0_NS1_11comp_targetILNS1_3genE3ELNS1_11target_archE908ELNS1_3gpuE7ELNS1_3repE0EEENS1_38merge_mergepath_config_static_selectorELNS0_4arch9wavefront6targetE1EEEvSJ_,comdat
	.protected	_ZN7rocprim17ROCPRIM_400000_NS6detail17trampoline_kernelINS0_14default_configENS1_38merge_sort_block_merge_config_selectorIjjEEZZNS1_27merge_sort_block_merge_implIS3_N6thrust23THRUST_200600_302600_NS6detail15normal_iteratorINS8_10device_ptrIjEEEESD_jNS1_19radix_merge_compareILb0ELb0EjNS0_19identity_decomposerEEEEE10hipError_tT0_T1_T2_jT3_P12ihipStream_tbPNSt15iterator_traitsISI_E10value_typeEPNSO_ISJ_E10value_typeEPSK_NS1_7vsmem_tEENKUlT_SI_SJ_SK_E_clIPjSD_S10_SD_EESH_SX_SI_SJ_SK_EUlSX_E0_NS1_11comp_targetILNS1_3genE3ELNS1_11target_archE908ELNS1_3gpuE7ELNS1_3repE0EEENS1_38merge_mergepath_config_static_selectorELNS0_4arch9wavefront6targetE1EEEvSJ_ ; -- Begin function _ZN7rocprim17ROCPRIM_400000_NS6detail17trampoline_kernelINS0_14default_configENS1_38merge_sort_block_merge_config_selectorIjjEEZZNS1_27merge_sort_block_merge_implIS3_N6thrust23THRUST_200600_302600_NS6detail15normal_iteratorINS8_10device_ptrIjEEEESD_jNS1_19radix_merge_compareILb0ELb0EjNS0_19identity_decomposerEEEEE10hipError_tT0_T1_T2_jT3_P12ihipStream_tbPNSt15iterator_traitsISI_E10value_typeEPNSO_ISJ_E10value_typeEPSK_NS1_7vsmem_tEENKUlT_SI_SJ_SK_E_clIPjSD_S10_SD_EESH_SX_SI_SJ_SK_EUlSX_E0_NS1_11comp_targetILNS1_3genE3ELNS1_11target_archE908ELNS1_3gpuE7ELNS1_3repE0EEENS1_38merge_mergepath_config_static_selectorELNS0_4arch9wavefront6targetE1EEEvSJ_
	.globl	_ZN7rocprim17ROCPRIM_400000_NS6detail17trampoline_kernelINS0_14default_configENS1_38merge_sort_block_merge_config_selectorIjjEEZZNS1_27merge_sort_block_merge_implIS3_N6thrust23THRUST_200600_302600_NS6detail15normal_iteratorINS8_10device_ptrIjEEEESD_jNS1_19radix_merge_compareILb0ELb0EjNS0_19identity_decomposerEEEEE10hipError_tT0_T1_T2_jT3_P12ihipStream_tbPNSt15iterator_traitsISI_E10value_typeEPNSO_ISJ_E10value_typeEPSK_NS1_7vsmem_tEENKUlT_SI_SJ_SK_E_clIPjSD_S10_SD_EESH_SX_SI_SJ_SK_EUlSX_E0_NS1_11comp_targetILNS1_3genE3ELNS1_11target_archE908ELNS1_3gpuE7ELNS1_3repE0EEENS1_38merge_mergepath_config_static_selectorELNS0_4arch9wavefront6targetE1EEEvSJ_
	.p2align	8
	.type	_ZN7rocprim17ROCPRIM_400000_NS6detail17trampoline_kernelINS0_14default_configENS1_38merge_sort_block_merge_config_selectorIjjEEZZNS1_27merge_sort_block_merge_implIS3_N6thrust23THRUST_200600_302600_NS6detail15normal_iteratorINS8_10device_ptrIjEEEESD_jNS1_19radix_merge_compareILb0ELb0EjNS0_19identity_decomposerEEEEE10hipError_tT0_T1_T2_jT3_P12ihipStream_tbPNSt15iterator_traitsISI_E10value_typeEPNSO_ISJ_E10value_typeEPSK_NS1_7vsmem_tEENKUlT_SI_SJ_SK_E_clIPjSD_S10_SD_EESH_SX_SI_SJ_SK_EUlSX_E0_NS1_11comp_targetILNS1_3genE3ELNS1_11target_archE908ELNS1_3gpuE7ELNS1_3repE0EEENS1_38merge_mergepath_config_static_selectorELNS0_4arch9wavefront6targetE1EEEvSJ_,@function
_ZN7rocprim17ROCPRIM_400000_NS6detail17trampoline_kernelINS0_14default_configENS1_38merge_sort_block_merge_config_selectorIjjEEZZNS1_27merge_sort_block_merge_implIS3_N6thrust23THRUST_200600_302600_NS6detail15normal_iteratorINS8_10device_ptrIjEEEESD_jNS1_19radix_merge_compareILb0ELb0EjNS0_19identity_decomposerEEEEE10hipError_tT0_T1_T2_jT3_P12ihipStream_tbPNSt15iterator_traitsISI_E10value_typeEPNSO_ISJ_E10value_typeEPSK_NS1_7vsmem_tEENKUlT_SI_SJ_SK_E_clIPjSD_S10_SD_EESH_SX_SI_SJ_SK_EUlSX_E0_NS1_11comp_targetILNS1_3genE3ELNS1_11target_archE908ELNS1_3gpuE7ELNS1_3repE0EEENS1_38merge_mergepath_config_static_selectorELNS0_4arch9wavefront6targetE1EEEvSJ_: ; @_ZN7rocprim17ROCPRIM_400000_NS6detail17trampoline_kernelINS0_14default_configENS1_38merge_sort_block_merge_config_selectorIjjEEZZNS1_27merge_sort_block_merge_implIS3_N6thrust23THRUST_200600_302600_NS6detail15normal_iteratorINS8_10device_ptrIjEEEESD_jNS1_19radix_merge_compareILb0ELb0EjNS0_19identity_decomposerEEEEE10hipError_tT0_T1_T2_jT3_P12ihipStream_tbPNSt15iterator_traitsISI_E10value_typeEPNSO_ISJ_E10value_typeEPSK_NS1_7vsmem_tEENKUlT_SI_SJ_SK_E_clIPjSD_S10_SD_EESH_SX_SI_SJ_SK_EUlSX_E0_NS1_11comp_targetILNS1_3genE3ELNS1_11target_archE908ELNS1_3gpuE7ELNS1_3repE0EEENS1_38merge_mergepath_config_static_selectorELNS0_4arch9wavefront6targetE1EEEvSJ_
; %bb.0:
	.section	.rodata,"a",@progbits
	.p2align	6, 0x0
	.amdhsa_kernel _ZN7rocprim17ROCPRIM_400000_NS6detail17trampoline_kernelINS0_14default_configENS1_38merge_sort_block_merge_config_selectorIjjEEZZNS1_27merge_sort_block_merge_implIS3_N6thrust23THRUST_200600_302600_NS6detail15normal_iteratorINS8_10device_ptrIjEEEESD_jNS1_19radix_merge_compareILb0ELb0EjNS0_19identity_decomposerEEEEE10hipError_tT0_T1_T2_jT3_P12ihipStream_tbPNSt15iterator_traitsISI_E10value_typeEPNSO_ISJ_E10value_typeEPSK_NS1_7vsmem_tEENKUlT_SI_SJ_SK_E_clIPjSD_S10_SD_EESH_SX_SI_SJ_SK_EUlSX_E0_NS1_11comp_targetILNS1_3genE3ELNS1_11target_archE908ELNS1_3gpuE7ELNS1_3repE0EEENS1_38merge_mergepath_config_static_selectorELNS0_4arch9wavefront6targetE1EEEvSJ_
		.amdhsa_group_segment_fixed_size 0
		.amdhsa_private_segment_fixed_size 0
		.amdhsa_kernarg_size 64
		.amdhsa_user_sgpr_count 2
		.amdhsa_user_sgpr_dispatch_ptr 0
		.amdhsa_user_sgpr_queue_ptr 0
		.amdhsa_user_sgpr_kernarg_segment_ptr 1
		.amdhsa_user_sgpr_dispatch_id 0
		.amdhsa_user_sgpr_kernarg_preload_length 0
		.amdhsa_user_sgpr_kernarg_preload_offset 0
		.amdhsa_user_sgpr_private_segment_size 0
		.amdhsa_uses_dynamic_stack 0
		.amdhsa_enable_private_segment 0
		.amdhsa_system_sgpr_workgroup_id_x 1
		.amdhsa_system_sgpr_workgroup_id_y 0
		.amdhsa_system_sgpr_workgroup_id_z 0
		.amdhsa_system_sgpr_workgroup_info 0
		.amdhsa_system_vgpr_workitem_id 0
		.amdhsa_next_free_vgpr 1
		.amdhsa_next_free_sgpr 0
		.amdhsa_accum_offset 4
		.amdhsa_reserve_vcc 0
		.amdhsa_float_round_mode_32 0
		.amdhsa_float_round_mode_16_64 0
		.amdhsa_float_denorm_mode_32 3
		.amdhsa_float_denorm_mode_16_64 3
		.amdhsa_dx10_clamp 1
		.amdhsa_ieee_mode 1
		.amdhsa_fp16_overflow 0
		.amdhsa_tg_split 0
		.amdhsa_exception_fp_ieee_invalid_op 0
		.amdhsa_exception_fp_denorm_src 0
		.amdhsa_exception_fp_ieee_div_zero 0
		.amdhsa_exception_fp_ieee_overflow 0
		.amdhsa_exception_fp_ieee_underflow 0
		.amdhsa_exception_fp_ieee_inexact 0
		.amdhsa_exception_int_div_zero 0
	.end_amdhsa_kernel
	.section	.text._ZN7rocprim17ROCPRIM_400000_NS6detail17trampoline_kernelINS0_14default_configENS1_38merge_sort_block_merge_config_selectorIjjEEZZNS1_27merge_sort_block_merge_implIS3_N6thrust23THRUST_200600_302600_NS6detail15normal_iteratorINS8_10device_ptrIjEEEESD_jNS1_19radix_merge_compareILb0ELb0EjNS0_19identity_decomposerEEEEE10hipError_tT0_T1_T2_jT3_P12ihipStream_tbPNSt15iterator_traitsISI_E10value_typeEPNSO_ISJ_E10value_typeEPSK_NS1_7vsmem_tEENKUlT_SI_SJ_SK_E_clIPjSD_S10_SD_EESH_SX_SI_SJ_SK_EUlSX_E0_NS1_11comp_targetILNS1_3genE3ELNS1_11target_archE908ELNS1_3gpuE7ELNS1_3repE0EEENS1_38merge_mergepath_config_static_selectorELNS0_4arch9wavefront6targetE1EEEvSJ_,"axG",@progbits,_ZN7rocprim17ROCPRIM_400000_NS6detail17trampoline_kernelINS0_14default_configENS1_38merge_sort_block_merge_config_selectorIjjEEZZNS1_27merge_sort_block_merge_implIS3_N6thrust23THRUST_200600_302600_NS6detail15normal_iteratorINS8_10device_ptrIjEEEESD_jNS1_19radix_merge_compareILb0ELb0EjNS0_19identity_decomposerEEEEE10hipError_tT0_T1_T2_jT3_P12ihipStream_tbPNSt15iterator_traitsISI_E10value_typeEPNSO_ISJ_E10value_typeEPSK_NS1_7vsmem_tEENKUlT_SI_SJ_SK_E_clIPjSD_S10_SD_EESH_SX_SI_SJ_SK_EUlSX_E0_NS1_11comp_targetILNS1_3genE3ELNS1_11target_archE908ELNS1_3gpuE7ELNS1_3repE0EEENS1_38merge_mergepath_config_static_selectorELNS0_4arch9wavefront6targetE1EEEvSJ_,comdat
.Lfunc_end631:
	.size	_ZN7rocprim17ROCPRIM_400000_NS6detail17trampoline_kernelINS0_14default_configENS1_38merge_sort_block_merge_config_selectorIjjEEZZNS1_27merge_sort_block_merge_implIS3_N6thrust23THRUST_200600_302600_NS6detail15normal_iteratorINS8_10device_ptrIjEEEESD_jNS1_19radix_merge_compareILb0ELb0EjNS0_19identity_decomposerEEEEE10hipError_tT0_T1_T2_jT3_P12ihipStream_tbPNSt15iterator_traitsISI_E10value_typeEPNSO_ISJ_E10value_typeEPSK_NS1_7vsmem_tEENKUlT_SI_SJ_SK_E_clIPjSD_S10_SD_EESH_SX_SI_SJ_SK_EUlSX_E0_NS1_11comp_targetILNS1_3genE3ELNS1_11target_archE908ELNS1_3gpuE7ELNS1_3repE0EEENS1_38merge_mergepath_config_static_selectorELNS0_4arch9wavefront6targetE1EEEvSJ_, .Lfunc_end631-_ZN7rocprim17ROCPRIM_400000_NS6detail17trampoline_kernelINS0_14default_configENS1_38merge_sort_block_merge_config_selectorIjjEEZZNS1_27merge_sort_block_merge_implIS3_N6thrust23THRUST_200600_302600_NS6detail15normal_iteratorINS8_10device_ptrIjEEEESD_jNS1_19radix_merge_compareILb0ELb0EjNS0_19identity_decomposerEEEEE10hipError_tT0_T1_T2_jT3_P12ihipStream_tbPNSt15iterator_traitsISI_E10value_typeEPNSO_ISJ_E10value_typeEPSK_NS1_7vsmem_tEENKUlT_SI_SJ_SK_E_clIPjSD_S10_SD_EESH_SX_SI_SJ_SK_EUlSX_E0_NS1_11comp_targetILNS1_3genE3ELNS1_11target_archE908ELNS1_3gpuE7ELNS1_3repE0EEENS1_38merge_mergepath_config_static_selectorELNS0_4arch9wavefront6targetE1EEEvSJ_
                                        ; -- End function
	.set _ZN7rocprim17ROCPRIM_400000_NS6detail17trampoline_kernelINS0_14default_configENS1_38merge_sort_block_merge_config_selectorIjjEEZZNS1_27merge_sort_block_merge_implIS3_N6thrust23THRUST_200600_302600_NS6detail15normal_iteratorINS8_10device_ptrIjEEEESD_jNS1_19radix_merge_compareILb0ELb0EjNS0_19identity_decomposerEEEEE10hipError_tT0_T1_T2_jT3_P12ihipStream_tbPNSt15iterator_traitsISI_E10value_typeEPNSO_ISJ_E10value_typeEPSK_NS1_7vsmem_tEENKUlT_SI_SJ_SK_E_clIPjSD_S10_SD_EESH_SX_SI_SJ_SK_EUlSX_E0_NS1_11comp_targetILNS1_3genE3ELNS1_11target_archE908ELNS1_3gpuE7ELNS1_3repE0EEENS1_38merge_mergepath_config_static_selectorELNS0_4arch9wavefront6targetE1EEEvSJ_.num_vgpr, 0
	.set _ZN7rocprim17ROCPRIM_400000_NS6detail17trampoline_kernelINS0_14default_configENS1_38merge_sort_block_merge_config_selectorIjjEEZZNS1_27merge_sort_block_merge_implIS3_N6thrust23THRUST_200600_302600_NS6detail15normal_iteratorINS8_10device_ptrIjEEEESD_jNS1_19radix_merge_compareILb0ELb0EjNS0_19identity_decomposerEEEEE10hipError_tT0_T1_T2_jT3_P12ihipStream_tbPNSt15iterator_traitsISI_E10value_typeEPNSO_ISJ_E10value_typeEPSK_NS1_7vsmem_tEENKUlT_SI_SJ_SK_E_clIPjSD_S10_SD_EESH_SX_SI_SJ_SK_EUlSX_E0_NS1_11comp_targetILNS1_3genE3ELNS1_11target_archE908ELNS1_3gpuE7ELNS1_3repE0EEENS1_38merge_mergepath_config_static_selectorELNS0_4arch9wavefront6targetE1EEEvSJ_.num_agpr, 0
	.set _ZN7rocprim17ROCPRIM_400000_NS6detail17trampoline_kernelINS0_14default_configENS1_38merge_sort_block_merge_config_selectorIjjEEZZNS1_27merge_sort_block_merge_implIS3_N6thrust23THRUST_200600_302600_NS6detail15normal_iteratorINS8_10device_ptrIjEEEESD_jNS1_19radix_merge_compareILb0ELb0EjNS0_19identity_decomposerEEEEE10hipError_tT0_T1_T2_jT3_P12ihipStream_tbPNSt15iterator_traitsISI_E10value_typeEPNSO_ISJ_E10value_typeEPSK_NS1_7vsmem_tEENKUlT_SI_SJ_SK_E_clIPjSD_S10_SD_EESH_SX_SI_SJ_SK_EUlSX_E0_NS1_11comp_targetILNS1_3genE3ELNS1_11target_archE908ELNS1_3gpuE7ELNS1_3repE0EEENS1_38merge_mergepath_config_static_selectorELNS0_4arch9wavefront6targetE1EEEvSJ_.numbered_sgpr, 0
	.set _ZN7rocprim17ROCPRIM_400000_NS6detail17trampoline_kernelINS0_14default_configENS1_38merge_sort_block_merge_config_selectorIjjEEZZNS1_27merge_sort_block_merge_implIS3_N6thrust23THRUST_200600_302600_NS6detail15normal_iteratorINS8_10device_ptrIjEEEESD_jNS1_19radix_merge_compareILb0ELb0EjNS0_19identity_decomposerEEEEE10hipError_tT0_T1_T2_jT3_P12ihipStream_tbPNSt15iterator_traitsISI_E10value_typeEPNSO_ISJ_E10value_typeEPSK_NS1_7vsmem_tEENKUlT_SI_SJ_SK_E_clIPjSD_S10_SD_EESH_SX_SI_SJ_SK_EUlSX_E0_NS1_11comp_targetILNS1_3genE3ELNS1_11target_archE908ELNS1_3gpuE7ELNS1_3repE0EEENS1_38merge_mergepath_config_static_selectorELNS0_4arch9wavefront6targetE1EEEvSJ_.num_named_barrier, 0
	.set _ZN7rocprim17ROCPRIM_400000_NS6detail17trampoline_kernelINS0_14default_configENS1_38merge_sort_block_merge_config_selectorIjjEEZZNS1_27merge_sort_block_merge_implIS3_N6thrust23THRUST_200600_302600_NS6detail15normal_iteratorINS8_10device_ptrIjEEEESD_jNS1_19radix_merge_compareILb0ELb0EjNS0_19identity_decomposerEEEEE10hipError_tT0_T1_T2_jT3_P12ihipStream_tbPNSt15iterator_traitsISI_E10value_typeEPNSO_ISJ_E10value_typeEPSK_NS1_7vsmem_tEENKUlT_SI_SJ_SK_E_clIPjSD_S10_SD_EESH_SX_SI_SJ_SK_EUlSX_E0_NS1_11comp_targetILNS1_3genE3ELNS1_11target_archE908ELNS1_3gpuE7ELNS1_3repE0EEENS1_38merge_mergepath_config_static_selectorELNS0_4arch9wavefront6targetE1EEEvSJ_.private_seg_size, 0
	.set _ZN7rocprim17ROCPRIM_400000_NS6detail17trampoline_kernelINS0_14default_configENS1_38merge_sort_block_merge_config_selectorIjjEEZZNS1_27merge_sort_block_merge_implIS3_N6thrust23THRUST_200600_302600_NS6detail15normal_iteratorINS8_10device_ptrIjEEEESD_jNS1_19radix_merge_compareILb0ELb0EjNS0_19identity_decomposerEEEEE10hipError_tT0_T1_T2_jT3_P12ihipStream_tbPNSt15iterator_traitsISI_E10value_typeEPNSO_ISJ_E10value_typeEPSK_NS1_7vsmem_tEENKUlT_SI_SJ_SK_E_clIPjSD_S10_SD_EESH_SX_SI_SJ_SK_EUlSX_E0_NS1_11comp_targetILNS1_3genE3ELNS1_11target_archE908ELNS1_3gpuE7ELNS1_3repE0EEENS1_38merge_mergepath_config_static_selectorELNS0_4arch9wavefront6targetE1EEEvSJ_.uses_vcc, 0
	.set _ZN7rocprim17ROCPRIM_400000_NS6detail17trampoline_kernelINS0_14default_configENS1_38merge_sort_block_merge_config_selectorIjjEEZZNS1_27merge_sort_block_merge_implIS3_N6thrust23THRUST_200600_302600_NS6detail15normal_iteratorINS8_10device_ptrIjEEEESD_jNS1_19radix_merge_compareILb0ELb0EjNS0_19identity_decomposerEEEEE10hipError_tT0_T1_T2_jT3_P12ihipStream_tbPNSt15iterator_traitsISI_E10value_typeEPNSO_ISJ_E10value_typeEPSK_NS1_7vsmem_tEENKUlT_SI_SJ_SK_E_clIPjSD_S10_SD_EESH_SX_SI_SJ_SK_EUlSX_E0_NS1_11comp_targetILNS1_3genE3ELNS1_11target_archE908ELNS1_3gpuE7ELNS1_3repE0EEENS1_38merge_mergepath_config_static_selectorELNS0_4arch9wavefront6targetE1EEEvSJ_.uses_flat_scratch, 0
	.set _ZN7rocprim17ROCPRIM_400000_NS6detail17trampoline_kernelINS0_14default_configENS1_38merge_sort_block_merge_config_selectorIjjEEZZNS1_27merge_sort_block_merge_implIS3_N6thrust23THRUST_200600_302600_NS6detail15normal_iteratorINS8_10device_ptrIjEEEESD_jNS1_19radix_merge_compareILb0ELb0EjNS0_19identity_decomposerEEEEE10hipError_tT0_T1_T2_jT3_P12ihipStream_tbPNSt15iterator_traitsISI_E10value_typeEPNSO_ISJ_E10value_typeEPSK_NS1_7vsmem_tEENKUlT_SI_SJ_SK_E_clIPjSD_S10_SD_EESH_SX_SI_SJ_SK_EUlSX_E0_NS1_11comp_targetILNS1_3genE3ELNS1_11target_archE908ELNS1_3gpuE7ELNS1_3repE0EEENS1_38merge_mergepath_config_static_selectorELNS0_4arch9wavefront6targetE1EEEvSJ_.has_dyn_sized_stack, 0
	.set _ZN7rocprim17ROCPRIM_400000_NS6detail17trampoline_kernelINS0_14default_configENS1_38merge_sort_block_merge_config_selectorIjjEEZZNS1_27merge_sort_block_merge_implIS3_N6thrust23THRUST_200600_302600_NS6detail15normal_iteratorINS8_10device_ptrIjEEEESD_jNS1_19radix_merge_compareILb0ELb0EjNS0_19identity_decomposerEEEEE10hipError_tT0_T1_T2_jT3_P12ihipStream_tbPNSt15iterator_traitsISI_E10value_typeEPNSO_ISJ_E10value_typeEPSK_NS1_7vsmem_tEENKUlT_SI_SJ_SK_E_clIPjSD_S10_SD_EESH_SX_SI_SJ_SK_EUlSX_E0_NS1_11comp_targetILNS1_3genE3ELNS1_11target_archE908ELNS1_3gpuE7ELNS1_3repE0EEENS1_38merge_mergepath_config_static_selectorELNS0_4arch9wavefront6targetE1EEEvSJ_.has_recursion, 0
	.set _ZN7rocprim17ROCPRIM_400000_NS6detail17trampoline_kernelINS0_14default_configENS1_38merge_sort_block_merge_config_selectorIjjEEZZNS1_27merge_sort_block_merge_implIS3_N6thrust23THRUST_200600_302600_NS6detail15normal_iteratorINS8_10device_ptrIjEEEESD_jNS1_19radix_merge_compareILb0ELb0EjNS0_19identity_decomposerEEEEE10hipError_tT0_T1_T2_jT3_P12ihipStream_tbPNSt15iterator_traitsISI_E10value_typeEPNSO_ISJ_E10value_typeEPSK_NS1_7vsmem_tEENKUlT_SI_SJ_SK_E_clIPjSD_S10_SD_EESH_SX_SI_SJ_SK_EUlSX_E0_NS1_11comp_targetILNS1_3genE3ELNS1_11target_archE908ELNS1_3gpuE7ELNS1_3repE0EEENS1_38merge_mergepath_config_static_selectorELNS0_4arch9wavefront6targetE1EEEvSJ_.has_indirect_call, 0
	.section	.AMDGPU.csdata,"",@progbits
; Kernel info:
; codeLenInByte = 0
; TotalNumSgprs: 6
; NumVgprs: 0
; NumAgprs: 0
; TotalNumVgprs: 0
; ScratchSize: 0
; MemoryBound: 0
; FloatMode: 240
; IeeeMode: 1
; LDSByteSize: 0 bytes/workgroup (compile time only)
; SGPRBlocks: 0
; VGPRBlocks: 0
; NumSGPRsForWavesPerEU: 6
; NumVGPRsForWavesPerEU: 1
; AccumOffset: 4
; Occupancy: 8
; WaveLimiterHint : 0
; COMPUTE_PGM_RSRC2:SCRATCH_EN: 0
; COMPUTE_PGM_RSRC2:USER_SGPR: 2
; COMPUTE_PGM_RSRC2:TRAP_HANDLER: 0
; COMPUTE_PGM_RSRC2:TGID_X_EN: 1
; COMPUTE_PGM_RSRC2:TGID_Y_EN: 0
; COMPUTE_PGM_RSRC2:TGID_Z_EN: 0
; COMPUTE_PGM_RSRC2:TIDIG_COMP_CNT: 0
; COMPUTE_PGM_RSRC3_GFX90A:ACCUM_OFFSET: 0
; COMPUTE_PGM_RSRC3_GFX90A:TG_SPLIT: 0
	.section	.text._ZN7rocprim17ROCPRIM_400000_NS6detail17trampoline_kernelINS0_14default_configENS1_38merge_sort_block_merge_config_selectorIjjEEZZNS1_27merge_sort_block_merge_implIS3_N6thrust23THRUST_200600_302600_NS6detail15normal_iteratorINS8_10device_ptrIjEEEESD_jNS1_19radix_merge_compareILb0ELb0EjNS0_19identity_decomposerEEEEE10hipError_tT0_T1_T2_jT3_P12ihipStream_tbPNSt15iterator_traitsISI_E10value_typeEPNSO_ISJ_E10value_typeEPSK_NS1_7vsmem_tEENKUlT_SI_SJ_SK_E_clIPjSD_S10_SD_EESH_SX_SI_SJ_SK_EUlSX_E0_NS1_11comp_targetILNS1_3genE2ELNS1_11target_archE906ELNS1_3gpuE6ELNS1_3repE0EEENS1_38merge_mergepath_config_static_selectorELNS0_4arch9wavefront6targetE1EEEvSJ_,"axG",@progbits,_ZN7rocprim17ROCPRIM_400000_NS6detail17trampoline_kernelINS0_14default_configENS1_38merge_sort_block_merge_config_selectorIjjEEZZNS1_27merge_sort_block_merge_implIS3_N6thrust23THRUST_200600_302600_NS6detail15normal_iteratorINS8_10device_ptrIjEEEESD_jNS1_19radix_merge_compareILb0ELb0EjNS0_19identity_decomposerEEEEE10hipError_tT0_T1_T2_jT3_P12ihipStream_tbPNSt15iterator_traitsISI_E10value_typeEPNSO_ISJ_E10value_typeEPSK_NS1_7vsmem_tEENKUlT_SI_SJ_SK_E_clIPjSD_S10_SD_EESH_SX_SI_SJ_SK_EUlSX_E0_NS1_11comp_targetILNS1_3genE2ELNS1_11target_archE906ELNS1_3gpuE6ELNS1_3repE0EEENS1_38merge_mergepath_config_static_selectorELNS0_4arch9wavefront6targetE1EEEvSJ_,comdat
	.protected	_ZN7rocprim17ROCPRIM_400000_NS6detail17trampoline_kernelINS0_14default_configENS1_38merge_sort_block_merge_config_selectorIjjEEZZNS1_27merge_sort_block_merge_implIS3_N6thrust23THRUST_200600_302600_NS6detail15normal_iteratorINS8_10device_ptrIjEEEESD_jNS1_19radix_merge_compareILb0ELb0EjNS0_19identity_decomposerEEEEE10hipError_tT0_T1_T2_jT3_P12ihipStream_tbPNSt15iterator_traitsISI_E10value_typeEPNSO_ISJ_E10value_typeEPSK_NS1_7vsmem_tEENKUlT_SI_SJ_SK_E_clIPjSD_S10_SD_EESH_SX_SI_SJ_SK_EUlSX_E0_NS1_11comp_targetILNS1_3genE2ELNS1_11target_archE906ELNS1_3gpuE6ELNS1_3repE0EEENS1_38merge_mergepath_config_static_selectorELNS0_4arch9wavefront6targetE1EEEvSJ_ ; -- Begin function _ZN7rocprim17ROCPRIM_400000_NS6detail17trampoline_kernelINS0_14default_configENS1_38merge_sort_block_merge_config_selectorIjjEEZZNS1_27merge_sort_block_merge_implIS3_N6thrust23THRUST_200600_302600_NS6detail15normal_iteratorINS8_10device_ptrIjEEEESD_jNS1_19radix_merge_compareILb0ELb0EjNS0_19identity_decomposerEEEEE10hipError_tT0_T1_T2_jT3_P12ihipStream_tbPNSt15iterator_traitsISI_E10value_typeEPNSO_ISJ_E10value_typeEPSK_NS1_7vsmem_tEENKUlT_SI_SJ_SK_E_clIPjSD_S10_SD_EESH_SX_SI_SJ_SK_EUlSX_E0_NS1_11comp_targetILNS1_3genE2ELNS1_11target_archE906ELNS1_3gpuE6ELNS1_3repE0EEENS1_38merge_mergepath_config_static_selectorELNS0_4arch9wavefront6targetE1EEEvSJ_
	.globl	_ZN7rocprim17ROCPRIM_400000_NS6detail17trampoline_kernelINS0_14default_configENS1_38merge_sort_block_merge_config_selectorIjjEEZZNS1_27merge_sort_block_merge_implIS3_N6thrust23THRUST_200600_302600_NS6detail15normal_iteratorINS8_10device_ptrIjEEEESD_jNS1_19radix_merge_compareILb0ELb0EjNS0_19identity_decomposerEEEEE10hipError_tT0_T1_T2_jT3_P12ihipStream_tbPNSt15iterator_traitsISI_E10value_typeEPNSO_ISJ_E10value_typeEPSK_NS1_7vsmem_tEENKUlT_SI_SJ_SK_E_clIPjSD_S10_SD_EESH_SX_SI_SJ_SK_EUlSX_E0_NS1_11comp_targetILNS1_3genE2ELNS1_11target_archE906ELNS1_3gpuE6ELNS1_3repE0EEENS1_38merge_mergepath_config_static_selectorELNS0_4arch9wavefront6targetE1EEEvSJ_
	.p2align	8
	.type	_ZN7rocprim17ROCPRIM_400000_NS6detail17trampoline_kernelINS0_14default_configENS1_38merge_sort_block_merge_config_selectorIjjEEZZNS1_27merge_sort_block_merge_implIS3_N6thrust23THRUST_200600_302600_NS6detail15normal_iteratorINS8_10device_ptrIjEEEESD_jNS1_19radix_merge_compareILb0ELb0EjNS0_19identity_decomposerEEEEE10hipError_tT0_T1_T2_jT3_P12ihipStream_tbPNSt15iterator_traitsISI_E10value_typeEPNSO_ISJ_E10value_typeEPSK_NS1_7vsmem_tEENKUlT_SI_SJ_SK_E_clIPjSD_S10_SD_EESH_SX_SI_SJ_SK_EUlSX_E0_NS1_11comp_targetILNS1_3genE2ELNS1_11target_archE906ELNS1_3gpuE6ELNS1_3repE0EEENS1_38merge_mergepath_config_static_selectorELNS0_4arch9wavefront6targetE1EEEvSJ_,@function
_ZN7rocprim17ROCPRIM_400000_NS6detail17trampoline_kernelINS0_14default_configENS1_38merge_sort_block_merge_config_selectorIjjEEZZNS1_27merge_sort_block_merge_implIS3_N6thrust23THRUST_200600_302600_NS6detail15normal_iteratorINS8_10device_ptrIjEEEESD_jNS1_19radix_merge_compareILb0ELb0EjNS0_19identity_decomposerEEEEE10hipError_tT0_T1_T2_jT3_P12ihipStream_tbPNSt15iterator_traitsISI_E10value_typeEPNSO_ISJ_E10value_typeEPSK_NS1_7vsmem_tEENKUlT_SI_SJ_SK_E_clIPjSD_S10_SD_EESH_SX_SI_SJ_SK_EUlSX_E0_NS1_11comp_targetILNS1_3genE2ELNS1_11target_archE906ELNS1_3gpuE6ELNS1_3repE0EEENS1_38merge_mergepath_config_static_selectorELNS0_4arch9wavefront6targetE1EEEvSJ_: ; @_ZN7rocprim17ROCPRIM_400000_NS6detail17trampoline_kernelINS0_14default_configENS1_38merge_sort_block_merge_config_selectorIjjEEZZNS1_27merge_sort_block_merge_implIS3_N6thrust23THRUST_200600_302600_NS6detail15normal_iteratorINS8_10device_ptrIjEEEESD_jNS1_19radix_merge_compareILb0ELb0EjNS0_19identity_decomposerEEEEE10hipError_tT0_T1_T2_jT3_P12ihipStream_tbPNSt15iterator_traitsISI_E10value_typeEPNSO_ISJ_E10value_typeEPSK_NS1_7vsmem_tEENKUlT_SI_SJ_SK_E_clIPjSD_S10_SD_EESH_SX_SI_SJ_SK_EUlSX_E0_NS1_11comp_targetILNS1_3genE2ELNS1_11target_archE906ELNS1_3gpuE6ELNS1_3repE0EEENS1_38merge_mergepath_config_static_selectorELNS0_4arch9wavefront6targetE1EEEvSJ_
; %bb.0:
	.section	.rodata,"a",@progbits
	.p2align	6, 0x0
	.amdhsa_kernel _ZN7rocprim17ROCPRIM_400000_NS6detail17trampoline_kernelINS0_14default_configENS1_38merge_sort_block_merge_config_selectorIjjEEZZNS1_27merge_sort_block_merge_implIS3_N6thrust23THRUST_200600_302600_NS6detail15normal_iteratorINS8_10device_ptrIjEEEESD_jNS1_19radix_merge_compareILb0ELb0EjNS0_19identity_decomposerEEEEE10hipError_tT0_T1_T2_jT3_P12ihipStream_tbPNSt15iterator_traitsISI_E10value_typeEPNSO_ISJ_E10value_typeEPSK_NS1_7vsmem_tEENKUlT_SI_SJ_SK_E_clIPjSD_S10_SD_EESH_SX_SI_SJ_SK_EUlSX_E0_NS1_11comp_targetILNS1_3genE2ELNS1_11target_archE906ELNS1_3gpuE6ELNS1_3repE0EEENS1_38merge_mergepath_config_static_selectorELNS0_4arch9wavefront6targetE1EEEvSJ_
		.amdhsa_group_segment_fixed_size 0
		.amdhsa_private_segment_fixed_size 0
		.amdhsa_kernarg_size 64
		.amdhsa_user_sgpr_count 2
		.amdhsa_user_sgpr_dispatch_ptr 0
		.amdhsa_user_sgpr_queue_ptr 0
		.amdhsa_user_sgpr_kernarg_segment_ptr 1
		.amdhsa_user_sgpr_dispatch_id 0
		.amdhsa_user_sgpr_kernarg_preload_length 0
		.amdhsa_user_sgpr_kernarg_preload_offset 0
		.amdhsa_user_sgpr_private_segment_size 0
		.amdhsa_uses_dynamic_stack 0
		.amdhsa_enable_private_segment 0
		.amdhsa_system_sgpr_workgroup_id_x 1
		.amdhsa_system_sgpr_workgroup_id_y 0
		.amdhsa_system_sgpr_workgroup_id_z 0
		.amdhsa_system_sgpr_workgroup_info 0
		.amdhsa_system_vgpr_workitem_id 0
		.amdhsa_next_free_vgpr 1
		.amdhsa_next_free_sgpr 0
		.amdhsa_accum_offset 4
		.amdhsa_reserve_vcc 0
		.amdhsa_float_round_mode_32 0
		.amdhsa_float_round_mode_16_64 0
		.amdhsa_float_denorm_mode_32 3
		.amdhsa_float_denorm_mode_16_64 3
		.amdhsa_dx10_clamp 1
		.amdhsa_ieee_mode 1
		.amdhsa_fp16_overflow 0
		.amdhsa_tg_split 0
		.amdhsa_exception_fp_ieee_invalid_op 0
		.amdhsa_exception_fp_denorm_src 0
		.amdhsa_exception_fp_ieee_div_zero 0
		.amdhsa_exception_fp_ieee_overflow 0
		.amdhsa_exception_fp_ieee_underflow 0
		.amdhsa_exception_fp_ieee_inexact 0
		.amdhsa_exception_int_div_zero 0
	.end_amdhsa_kernel
	.section	.text._ZN7rocprim17ROCPRIM_400000_NS6detail17trampoline_kernelINS0_14default_configENS1_38merge_sort_block_merge_config_selectorIjjEEZZNS1_27merge_sort_block_merge_implIS3_N6thrust23THRUST_200600_302600_NS6detail15normal_iteratorINS8_10device_ptrIjEEEESD_jNS1_19radix_merge_compareILb0ELb0EjNS0_19identity_decomposerEEEEE10hipError_tT0_T1_T2_jT3_P12ihipStream_tbPNSt15iterator_traitsISI_E10value_typeEPNSO_ISJ_E10value_typeEPSK_NS1_7vsmem_tEENKUlT_SI_SJ_SK_E_clIPjSD_S10_SD_EESH_SX_SI_SJ_SK_EUlSX_E0_NS1_11comp_targetILNS1_3genE2ELNS1_11target_archE906ELNS1_3gpuE6ELNS1_3repE0EEENS1_38merge_mergepath_config_static_selectorELNS0_4arch9wavefront6targetE1EEEvSJ_,"axG",@progbits,_ZN7rocprim17ROCPRIM_400000_NS6detail17trampoline_kernelINS0_14default_configENS1_38merge_sort_block_merge_config_selectorIjjEEZZNS1_27merge_sort_block_merge_implIS3_N6thrust23THRUST_200600_302600_NS6detail15normal_iteratorINS8_10device_ptrIjEEEESD_jNS1_19radix_merge_compareILb0ELb0EjNS0_19identity_decomposerEEEEE10hipError_tT0_T1_T2_jT3_P12ihipStream_tbPNSt15iterator_traitsISI_E10value_typeEPNSO_ISJ_E10value_typeEPSK_NS1_7vsmem_tEENKUlT_SI_SJ_SK_E_clIPjSD_S10_SD_EESH_SX_SI_SJ_SK_EUlSX_E0_NS1_11comp_targetILNS1_3genE2ELNS1_11target_archE906ELNS1_3gpuE6ELNS1_3repE0EEENS1_38merge_mergepath_config_static_selectorELNS0_4arch9wavefront6targetE1EEEvSJ_,comdat
.Lfunc_end632:
	.size	_ZN7rocprim17ROCPRIM_400000_NS6detail17trampoline_kernelINS0_14default_configENS1_38merge_sort_block_merge_config_selectorIjjEEZZNS1_27merge_sort_block_merge_implIS3_N6thrust23THRUST_200600_302600_NS6detail15normal_iteratorINS8_10device_ptrIjEEEESD_jNS1_19radix_merge_compareILb0ELb0EjNS0_19identity_decomposerEEEEE10hipError_tT0_T1_T2_jT3_P12ihipStream_tbPNSt15iterator_traitsISI_E10value_typeEPNSO_ISJ_E10value_typeEPSK_NS1_7vsmem_tEENKUlT_SI_SJ_SK_E_clIPjSD_S10_SD_EESH_SX_SI_SJ_SK_EUlSX_E0_NS1_11comp_targetILNS1_3genE2ELNS1_11target_archE906ELNS1_3gpuE6ELNS1_3repE0EEENS1_38merge_mergepath_config_static_selectorELNS0_4arch9wavefront6targetE1EEEvSJ_, .Lfunc_end632-_ZN7rocprim17ROCPRIM_400000_NS6detail17trampoline_kernelINS0_14default_configENS1_38merge_sort_block_merge_config_selectorIjjEEZZNS1_27merge_sort_block_merge_implIS3_N6thrust23THRUST_200600_302600_NS6detail15normal_iteratorINS8_10device_ptrIjEEEESD_jNS1_19radix_merge_compareILb0ELb0EjNS0_19identity_decomposerEEEEE10hipError_tT0_T1_T2_jT3_P12ihipStream_tbPNSt15iterator_traitsISI_E10value_typeEPNSO_ISJ_E10value_typeEPSK_NS1_7vsmem_tEENKUlT_SI_SJ_SK_E_clIPjSD_S10_SD_EESH_SX_SI_SJ_SK_EUlSX_E0_NS1_11comp_targetILNS1_3genE2ELNS1_11target_archE906ELNS1_3gpuE6ELNS1_3repE0EEENS1_38merge_mergepath_config_static_selectorELNS0_4arch9wavefront6targetE1EEEvSJ_
                                        ; -- End function
	.set _ZN7rocprim17ROCPRIM_400000_NS6detail17trampoline_kernelINS0_14default_configENS1_38merge_sort_block_merge_config_selectorIjjEEZZNS1_27merge_sort_block_merge_implIS3_N6thrust23THRUST_200600_302600_NS6detail15normal_iteratorINS8_10device_ptrIjEEEESD_jNS1_19radix_merge_compareILb0ELb0EjNS0_19identity_decomposerEEEEE10hipError_tT0_T1_T2_jT3_P12ihipStream_tbPNSt15iterator_traitsISI_E10value_typeEPNSO_ISJ_E10value_typeEPSK_NS1_7vsmem_tEENKUlT_SI_SJ_SK_E_clIPjSD_S10_SD_EESH_SX_SI_SJ_SK_EUlSX_E0_NS1_11comp_targetILNS1_3genE2ELNS1_11target_archE906ELNS1_3gpuE6ELNS1_3repE0EEENS1_38merge_mergepath_config_static_selectorELNS0_4arch9wavefront6targetE1EEEvSJ_.num_vgpr, 0
	.set _ZN7rocprim17ROCPRIM_400000_NS6detail17trampoline_kernelINS0_14default_configENS1_38merge_sort_block_merge_config_selectorIjjEEZZNS1_27merge_sort_block_merge_implIS3_N6thrust23THRUST_200600_302600_NS6detail15normal_iteratorINS8_10device_ptrIjEEEESD_jNS1_19radix_merge_compareILb0ELb0EjNS0_19identity_decomposerEEEEE10hipError_tT0_T1_T2_jT3_P12ihipStream_tbPNSt15iterator_traitsISI_E10value_typeEPNSO_ISJ_E10value_typeEPSK_NS1_7vsmem_tEENKUlT_SI_SJ_SK_E_clIPjSD_S10_SD_EESH_SX_SI_SJ_SK_EUlSX_E0_NS1_11comp_targetILNS1_3genE2ELNS1_11target_archE906ELNS1_3gpuE6ELNS1_3repE0EEENS1_38merge_mergepath_config_static_selectorELNS0_4arch9wavefront6targetE1EEEvSJ_.num_agpr, 0
	.set _ZN7rocprim17ROCPRIM_400000_NS6detail17trampoline_kernelINS0_14default_configENS1_38merge_sort_block_merge_config_selectorIjjEEZZNS1_27merge_sort_block_merge_implIS3_N6thrust23THRUST_200600_302600_NS6detail15normal_iteratorINS8_10device_ptrIjEEEESD_jNS1_19radix_merge_compareILb0ELb0EjNS0_19identity_decomposerEEEEE10hipError_tT0_T1_T2_jT3_P12ihipStream_tbPNSt15iterator_traitsISI_E10value_typeEPNSO_ISJ_E10value_typeEPSK_NS1_7vsmem_tEENKUlT_SI_SJ_SK_E_clIPjSD_S10_SD_EESH_SX_SI_SJ_SK_EUlSX_E0_NS1_11comp_targetILNS1_3genE2ELNS1_11target_archE906ELNS1_3gpuE6ELNS1_3repE0EEENS1_38merge_mergepath_config_static_selectorELNS0_4arch9wavefront6targetE1EEEvSJ_.numbered_sgpr, 0
	.set _ZN7rocprim17ROCPRIM_400000_NS6detail17trampoline_kernelINS0_14default_configENS1_38merge_sort_block_merge_config_selectorIjjEEZZNS1_27merge_sort_block_merge_implIS3_N6thrust23THRUST_200600_302600_NS6detail15normal_iteratorINS8_10device_ptrIjEEEESD_jNS1_19radix_merge_compareILb0ELb0EjNS0_19identity_decomposerEEEEE10hipError_tT0_T1_T2_jT3_P12ihipStream_tbPNSt15iterator_traitsISI_E10value_typeEPNSO_ISJ_E10value_typeEPSK_NS1_7vsmem_tEENKUlT_SI_SJ_SK_E_clIPjSD_S10_SD_EESH_SX_SI_SJ_SK_EUlSX_E0_NS1_11comp_targetILNS1_3genE2ELNS1_11target_archE906ELNS1_3gpuE6ELNS1_3repE0EEENS1_38merge_mergepath_config_static_selectorELNS0_4arch9wavefront6targetE1EEEvSJ_.num_named_barrier, 0
	.set _ZN7rocprim17ROCPRIM_400000_NS6detail17trampoline_kernelINS0_14default_configENS1_38merge_sort_block_merge_config_selectorIjjEEZZNS1_27merge_sort_block_merge_implIS3_N6thrust23THRUST_200600_302600_NS6detail15normal_iteratorINS8_10device_ptrIjEEEESD_jNS1_19radix_merge_compareILb0ELb0EjNS0_19identity_decomposerEEEEE10hipError_tT0_T1_T2_jT3_P12ihipStream_tbPNSt15iterator_traitsISI_E10value_typeEPNSO_ISJ_E10value_typeEPSK_NS1_7vsmem_tEENKUlT_SI_SJ_SK_E_clIPjSD_S10_SD_EESH_SX_SI_SJ_SK_EUlSX_E0_NS1_11comp_targetILNS1_3genE2ELNS1_11target_archE906ELNS1_3gpuE6ELNS1_3repE0EEENS1_38merge_mergepath_config_static_selectorELNS0_4arch9wavefront6targetE1EEEvSJ_.private_seg_size, 0
	.set _ZN7rocprim17ROCPRIM_400000_NS6detail17trampoline_kernelINS0_14default_configENS1_38merge_sort_block_merge_config_selectorIjjEEZZNS1_27merge_sort_block_merge_implIS3_N6thrust23THRUST_200600_302600_NS6detail15normal_iteratorINS8_10device_ptrIjEEEESD_jNS1_19radix_merge_compareILb0ELb0EjNS0_19identity_decomposerEEEEE10hipError_tT0_T1_T2_jT3_P12ihipStream_tbPNSt15iterator_traitsISI_E10value_typeEPNSO_ISJ_E10value_typeEPSK_NS1_7vsmem_tEENKUlT_SI_SJ_SK_E_clIPjSD_S10_SD_EESH_SX_SI_SJ_SK_EUlSX_E0_NS1_11comp_targetILNS1_3genE2ELNS1_11target_archE906ELNS1_3gpuE6ELNS1_3repE0EEENS1_38merge_mergepath_config_static_selectorELNS0_4arch9wavefront6targetE1EEEvSJ_.uses_vcc, 0
	.set _ZN7rocprim17ROCPRIM_400000_NS6detail17trampoline_kernelINS0_14default_configENS1_38merge_sort_block_merge_config_selectorIjjEEZZNS1_27merge_sort_block_merge_implIS3_N6thrust23THRUST_200600_302600_NS6detail15normal_iteratorINS8_10device_ptrIjEEEESD_jNS1_19radix_merge_compareILb0ELb0EjNS0_19identity_decomposerEEEEE10hipError_tT0_T1_T2_jT3_P12ihipStream_tbPNSt15iterator_traitsISI_E10value_typeEPNSO_ISJ_E10value_typeEPSK_NS1_7vsmem_tEENKUlT_SI_SJ_SK_E_clIPjSD_S10_SD_EESH_SX_SI_SJ_SK_EUlSX_E0_NS1_11comp_targetILNS1_3genE2ELNS1_11target_archE906ELNS1_3gpuE6ELNS1_3repE0EEENS1_38merge_mergepath_config_static_selectorELNS0_4arch9wavefront6targetE1EEEvSJ_.uses_flat_scratch, 0
	.set _ZN7rocprim17ROCPRIM_400000_NS6detail17trampoline_kernelINS0_14default_configENS1_38merge_sort_block_merge_config_selectorIjjEEZZNS1_27merge_sort_block_merge_implIS3_N6thrust23THRUST_200600_302600_NS6detail15normal_iteratorINS8_10device_ptrIjEEEESD_jNS1_19radix_merge_compareILb0ELb0EjNS0_19identity_decomposerEEEEE10hipError_tT0_T1_T2_jT3_P12ihipStream_tbPNSt15iterator_traitsISI_E10value_typeEPNSO_ISJ_E10value_typeEPSK_NS1_7vsmem_tEENKUlT_SI_SJ_SK_E_clIPjSD_S10_SD_EESH_SX_SI_SJ_SK_EUlSX_E0_NS1_11comp_targetILNS1_3genE2ELNS1_11target_archE906ELNS1_3gpuE6ELNS1_3repE0EEENS1_38merge_mergepath_config_static_selectorELNS0_4arch9wavefront6targetE1EEEvSJ_.has_dyn_sized_stack, 0
	.set _ZN7rocprim17ROCPRIM_400000_NS6detail17trampoline_kernelINS0_14default_configENS1_38merge_sort_block_merge_config_selectorIjjEEZZNS1_27merge_sort_block_merge_implIS3_N6thrust23THRUST_200600_302600_NS6detail15normal_iteratorINS8_10device_ptrIjEEEESD_jNS1_19radix_merge_compareILb0ELb0EjNS0_19identity_decomposerEEEEE10hipError_tT0_T1_T2_jT3_P12ihipStream_tbPNSt15iterator_traitsISI_E10value_typeEPNSO_ISJ_E10value_typeEPSK_NS1_7vsmem_tEENKUlT_SI_SJ_SK_E_clIPjSD_S10_SD_EESH_SX_SI_SJ_SK_EUlSX_E0_NS1_11comp_targetILNS1_3genE2ELNS1_11target_archE906ELNS1_3gpuE6ELNS1_3repE0EEENS1_38merge_mergepath_config_static_selectorELNS0_4arch9wavefront6targetE1EEEvSJ_.has_recursion, 0
	.set _ZN7rocprim17ROCPRIM_400000_NS6detail17trampoline_kernelINS0_14default_configENS1_38merge_sort_block_merge_config_selectorIjjEEZZNS1_27merge_sort_block_merge_implIS3_N6thrust23THRUST_200600_302600_NS6detail15normal_iteratorINS8_10device_ptrIjEEEESD_jNS1_19radix_merge_compareILb0ELb0EjNS0_19identity_decomposerEEEEE10hipError_tT0_T1_T2_jT3_P12ihipStream_tbPNSt15iterator_traitsISI_E10value_typeEPNSO_ISJ_E10value_typeEPSK_NS1_7vsmem_tEENKUlT_SI_SJ_SK_E_clIPjSD_S10_SD_EESH_SX_SI_SJ_SK_EUlSX_E0_NS1_11comp_targetILNS1_3genE2ELNS1_11target_archE906ELNS1_3gpuE6ELNS1_3repE0EEENS1_38merge_mergepath_config_static_selectorELNS0_4arch9wavefront6targetE1EEEvSJ_.has_indirect_call, 0
	.section	.AMDGPU.csdata,"",@progbits
; Kernel info:
; codeLenInByte = 0
; TotalNumSgprs: 6
; NumVgprs: 0
; NumAgprs: 0
; TotalNumVgprs: 0
; ScratchSize: 0
; MemoryBound: 0
; FloatMode: 240
; IeeeMode: 1
; LDSByteSize: 0 bytes/workgroup (compile time only)
; SGPRBlocks: 0
; VGPRBlocks: 0
; NumSGPRsForWavesPerEU: 6
; NumVGPRsForWavesPerEU: 1
; AccumOffset: 4
; Occupancy: 8
; WaveLimiterHint : 0
; COMPUTE_PGM_RSRC2:SCRATCH_EN: 0
; COMPUTE_PGM_RSRC2:USER_SGPR: 2
; COMPUTE_PGM_RSRC2:TRAP_HANDLER: 0
; COMPUTE_PGM_RSRC2:TGID_X_EN: 1
; COMPUTE_PGM_RSRC2:TGID_Y_EN: 0
; COMPUTE_PGM_RSRC2:TGID_Z_EN: 0
; COMPUTE_PGM_RSRC2:TIDIG_COMP_CNT: 0
; COMPUTE_PGM_RSRC3_GFX90A:ACCUM_OFFSET: 0
; COMPUTE_PGM_RSRC3_GFX90A:TG_SPLIT: 0
	.section	.text._ZN7rocprim17ROCPRIM_400000_NS6detail17trampoline_kernelINS0_14default_configENS1_38merge_sort_block_merge_config_selectorIjjEEZZNS1_27merge_sort_block_merge_implIS3_N6thrust23THRUST_200600_302600_NS6detail15normal_iteratorINS8_10device_ptrIjEEEESD_jNS1_19radix_merge_compareILb0ELb0EjNS0_19identity_decomposerEEEEE10hipError_tT0_T1_T2_jT3_P12ihipStream_tbPNSt15iterator_traitsISI_E10value_typeEPNSO_ISJ_E10value_typeEPSK_NS1_7vsmem_tEENKUlT_SI_SJ_SK_E_clIPjSD_S10_SD_EESH_SX_SI_SJ_SK_EUlSX_E0_NS1_11comp_targetILNS1_3genE9ELNS1_11target_archE1100ELNS1_3gpuE3ELNS1_3repE0EEENS1_38merge_mergepath_config_static_selectorELNS0_4arch9wavefront6targetE1EEEvSJ_,"axG",@progbits,_ZN7rocprim17ROCPRIM_400000_NS6detail17trampoline_kernelINS0_14default_configENS1_38merge_sort_block_merge_config_selectorIjjEEZZNS1_27merge_sort_block_merge_implIS3_N6thrust23THRUST_200600_302600_NS6detail15normal_iteratorINS8_10device_ptrIjEEEESD_jNS1_19radix_merge_compareILb0ELb0EjNS0_19identity_decomposerEEEEE10hipError_tT0_T1_T2_jT3_P12ihipStream_tbPNSt15iterator_traitsISI_E10value_typeEPNSO_ISJ_E10value_typeEPSK_NS1_7vsmem_tEENKUlT_SI_SJ_SK_E_clIPjSD_S10_SD_EESH_SX_SI_SJ_SK_EUlSX_E0_NS1_11comp_targetILNS1_3genE9ELNS1_11target_archE1100ELNS1_3gpuE3ELNS1_3repE0EEENS1_38merge_mergepath_config_static_selectorELNS0_4arch9wavefront6targetE1EEEvSJ_,comdat
	.protected	_ZN7rocprim17ROCPRIM_400000_NS6detail17trampoline_kernelINS0_14default_configENS1_38merge_sort_block_merge_config_selectorIjjEEZZNS1_27merge_sort_block_merge_implIS3_N6thrust23THRUST_200600_302600_NS6detail15normal_iteratorINS8_10device_ptrIjEEEESD_jNS1_19radix_merge_compareILb0ELb0EjNS0_19identity_decomposerEEEEE10hipError_tT0_T1_T2_jT3_P12ihipStream_tbPNSt15iterator_traitsISI_E10value_typeEPNSO_ISJ_E10value_typeEPSK_NS1_7vsmem_tEENKUlT_SI_SJ_SK_E_clIPjSD_S10_SD_EESH_SX_SI_SJ_SK_EUlSX_E0_NS1_11comp_targetILNS1_3genE9ELNS1_11target_archE1100ELNS1_3gpuE3ELNS1_3repE0EEENS1_38merge_mergepath_config_static_selectorELNS0_4arch9wavefront6targetE1EEEvSJ_ ; -- Begin function _ZN7rocprim17ROCPRIM_400000_NS6detail17trampoline_kernelINS0_14default_configENS1_38merge_sort_block_merge_config_selectorIjjEEZZNS1_27merge_sort_block_merge_implIS3_N6thrust23THRUST_200600_302600_NS6detail15normal_iteratorINS8_10device_ptrIjEEEESD_jNS1_19radix_merge_compareILb0ELb0EjNS0_19identity_decomposerEEEEE10hipError_tT0_T1_T2_jT3_P12ihipStream_tbPNSt15iterator_traitsISI_E10value_typeEPNSO_ISJ_E10value_typeEPSK_NS1_7vsmem_tEENKUlT_SI_SJ_SK_E_clIPjSD_S10_SD_EESH_SX_SI_SJ_SK_EUlSX_E0_NS1_11comp_targetILNS1_3genE9ELNS1_11target_archE1100ELNS1_3gpuE3ELNS1_3repE0EEENS1_38merge_mergepath_config_static_selectorELNS0_4arch9wavefront6targetE1EEEvSJ_
	.globl	_ZN7rocprim17ROCPRIM_400000_NS6detail17trampoline_kernelINS0_14default_configENS1_38merge_sort_block_merge_config_selectorIjjEEZZNS1_27merge_sort_block_merge_implIS3_N6thrust23THRUST_200600_302600_NS6detail15normal_iteratorINS8_10device_ptrIjEEEESD_jNS1_19radix_merge_compareILb0ELb0EjNS0_19identity_decomposerEEEEE10hipError_tT0_T1_T2_jT3_P12ihipStream_tbPNSt15iterator_traitsISI_E10value_typeEPNSO_ISJ_E10value_typeEPSK_NS1_7vsmem_tEENKUlT_SI_SJ_SK_E_clIPjSD_S10_SD_EESH_SX_SI_SJ_SK_EUlSX_E0_NS1_11comp_targetILNS1_3genE9ELNS1_11target_archE1100ELNS1_3gpuE3ELNS1_3repE0EEENS1_38merge_mergepath_config_static_selectorELNS0_4arch9wavefront6targetE1EEEvSJ_
	.p2align	8
	.type	_ZN7rocprim17ROCPRIM_400000_NS6detail17trampoline_kernelINS0_14default_configENS1_38merge_sort_block_merge_config_selectorIjjEEZZNS1_27merge_sort_block_merge_implIS3_N6thrust23THRUST_200600_302600_NS6detail15normal_iteratorINS8_10device_ptrIjEEEESD_jNS1_19radix_merge_compareILb0ELb0EjNS0_19identity_decomposerEEEEE10hipError_tT0_T1_T2_jT3_P12ihipStream_tbPNSt15iterator_traitsISI_E10value_typeEPNSO_ISJ_E10value_typeEPSK_NS1_7vsmem_tEENKUlT_SI_SJ_SK_E_clIPjSD_S10_SD_EESH_SX_SI_SJ_SK_EUlSX_E0_NS1_11comp_targetILNS1_3genE9ELNS1_11target_archE1100ELNS1_3gpuE3ELNS1_3repE0EEENS1_38merge_mergepath_config_static_selectorELNS0_4arch9wavefront6targetE1EEEvSJ_,@function
_ZN7rocprim17ROCPRIM_400000_NS6detail17trampoline_kernelINS0_14default_configENS1_38merge_sort_block_merge_config_selectorIjjEEZZNS1_27merge_sort_block_merge_implIS3_N6thrust23THRUST_200600_302600_NS6detail15normal_iteratorINS8_10device_ptrIjEEEESD_jNS1_19radix_merge_compareILb0ELb0EjNS0_19identity_decomposerEEEEE10hipError_tT0_T1_T2_jT3_P12ihipStream_tbPNSt15iterator_traitsISI_E10value_typeEPNSO_ISJ_E10value_typeEPSK_NS1_7vsmem_tEENKUlT_SI_SJ_SK_E_clIPjSD_S10_SD_EESH_SX_SI_SJ_SK_EUlSX_E0_NS1_11comp_targetILNS1_3genE9ELNS1_11target_archE1100ELNS1_3gpuE3ELNS1_3repE0EEENS1_38merge_mergepath_config_static_selectorELNS0_4arch9wavefront6targetE1EEEvSJ_: ; @_ZN7rocprim17ROCPRIM_400000_NS6detail17trampoline_kernelINS0_14default_configENS1_38merge_sort_block_merge_config_selectorIjjEEZZNS1_27merge_sort_block_merge_implIS3_N6thrust23THRUST_200600_302600_NS6detail15normal_iteratorINS8_10device_ptrIjEEEESD_jNS1_19radix_merge_compareILb0ELb0EjNS0_19identity_decomposerEEEEE10hipError_tT0_T1_T2_jT3_P12ihipStream_tbPNSt15iterator_traitsISI_E10value_typeEPNSO_ISJ_E10value_typeEPSK_NS1_7vsmem_tEENKUlT_SI_SJ_SK_E_clIPjSD_S10_SD_EESH_SX_SI_SJ_SK_EUlSX_E0_NS1_11comp_targetILNS1_3genE9ELNS1_11target_archE1100ELNS1_3gpuE3ELNS1_3repE0EEENS1_38merge_mergepath_config_static_selectorELNS0_4arch9wavefront6targetE1EEEvSJ_
; %bb.0:
	.section	.rodata,"a",@progbits
	.p2align	6, 0x0
	.amdhsa_kernel _ZN7rocprim17ROCPRIM_400000_NS6detail17trampoline_kernelINS0_14default_configENS1_38merge_sort_block_merge_config_selectorIjjEEZZNS1_27merge_sort_block_merge_implIS3_N6thrust23THRUST_200600_302600_NS6detail15normal_iteratorINS8_10device_ptrIjEEEESD_jNS1_19radix_merge_compareILb0ELb0EjNS0_19identity_decomposerEEEEE10hipError_tT0_T1_T2_jT3_P12ihipStream_tbPNSt15iterator_traitsISI_E10value_typeEPNSO_ISJ_E10value_typeEPSK_NS1_7vsmem_tEENKUlT_SI_SJ_SK_E_clIPjSD_S10_SD_EESH_SX_SI_SJ_SK_EUlSX_E0_NS1_11comp_targetILNS1_3genE9ELNS1_11target_archE1100ELNS1_3gpuE3ELNS1_3repE0EEENS1_38merge_mergepath_config_static_selectorELNS0_4arch9wavefront6targetE1EEEvSJ_
		.amdhsa_group_segment_fixed_size 0
		.amdhsa_private_segment_fixed_size 0
		.amdhsa_kernarg_size 64
		.amdhsa_user_sgpr_count 2
		.amdhsa_user_sgpr_dispatch_ptr 0
		.amdhsa_user_sgpr_queue_ptr 0
		.amdhsa_user_sgpr_kernarg_segment_ptr 1
		.amdhsa_user_sgpr_dispatch_id 0
		.amdhsa_user_sgpr_kernarg_preload_length 0
		.amdhsa_user_sgpr_kernarg_preload_offset 0
		.amdhsa_user_sgpr_private_segment_size 0
		.amdhsa_uses_dynamic_stack 0
		.amdhsa_enable_private_segment 0
		.amdhsa_system_sgpr_workgroup_id_x 1
		.amdhsa_system_sgpr_workgroup_id_y 0
		.amdhsa_system_sgpr_workgroup_id_z 0
		.amdhsa_system_sgpr_workgroup_info 0
		.amdhsa_system_vgpr_workitem_id 0
		.amdhsa_next_free_vgpr 1
		.amdhsa_next_free_sgpr 0
		.amdhsa_accum_offset 4
		.amdhsa_reserve_vcc 0
		.amdhsa_float_round_mode_32 0
		.amdhsa_float_round_mode_16_64 0
		.amdhsa_float_denorm_mode_32 3
		.amdhsa_float_denorm_mode_16_64 3
		.amdhsa_dx10_clamp 1
		.amdhsa_ieee_mode 1
		.amdhsa_fp16_overflow 0
		.amdhsa_tg_split 0
		.amdhsa_exception_fp_ieee_invalid_op 0
		.amdhsa_exception_fp_denorm_src 0
		.amdhsa_exception_fp_ieee_div_zero 0
		.amdhsa_exception_fp_ieee_overflow 0
		.amdhsa_exception_fp_ieee_underflow 0
		.amdhsa_exception_fp_ieee_inexact 0
		.amdhsa_exception_int_div_zero 0
	.end_amdhsa_kernel
	.section	.text._ZN7rocprim17ROCPRIM_400000_NS6detail17trampoline_kernelINS0_14default_configENS1_38merge_sort_block_merge_config_selectorIjjEEZZNS1_27merge_sort_block_merge_implIS3_N6thrust23THRUST_200600_302600_NS6detail15normal_iteratorINS8_10device_ptrIjEEEESD_jNS1_19radix_merge_compareILb0ELb0EjNS0_19identity_decomposerEEEEE10hipError_tT0_T1_T2_jT3_P12ihipStream_tbPNSt15iterator_traitsISI_E10value_typeEPNSO_ISJ_E10value_typeEPSK_NS1_7vsmem_tEENKUlT_SI_SJ_SK_E_clIPjSD_S10_SD_EESH_SX_SI_SJ_SK_EUlSX_E0_NS1_11comp_targetILNS1_3genE9ELNS1_11target_archE1100ELNS1_3gpuE3ELNS1_3repE0EEENS1_38merge_mergepath_config_static_selectorELNS0_4arch9wavefront6targetE1EEEvSJ_,"axG",@progbits,_ZN7rocprim17ROCPRIM_400000_NS6detail17trampoline_kernelINS0_14default_configENS1_38merge_sort_block_merge_config_selectorIjjEEZZNS1_27merge_sort_block_merge_implIS3_N6thrust23THRUST_200600_302600_NS6detail15normal_iteratorINS8_10device_ptrIjEEEESD_jNS1_19radix_merge_compareILb0ELb0EjNS0_19identity_decomposerEEEEE10hipError_tT0_T1_T2_jT3_P12ihipStream_tbPNSt15iterator_traitsISI_E10value_typeEPNSO_ISJ_E10value_typeEPSK_NS1_7vsmem_tEENKUlT_SI_SJ_SK_E_clIPjSD_S10_SD_EESH_SX_SI_SJ_SK_EUlSX_E0_NS1_11comp_targetILNS1_3genE9ELNS1_11target_archE1100ELNS1_3gpuE3ELNS1_3repE0EEENS1_38merge_mergepath_config_static_selectorELNS0_4arch9wavefront6targetE1EEEvSJ_,comdat
.Lfunc_end633:
	.size	_ZN7rocprim17ROCPRIM_400000_NS6detail17trampoline_kernelINS0_14default_configENS1_38merge_sort_block_merge_config_selectorIjjEEZZNS1_27merge_sort_block_merge_implIS3_N6thrust23THRUST_200600_302600_NS6detail15normal_iteratorINS8_10device_ptrIjEEEESD_jNS1_19radix_merge_compareILb0ELb0EjNS0_19identity_decomposerEEEEE10hipError_tT0_T1_T2_jT3_P12ihipStream_tbPNSt15iterator_traitsISI_E10value_typeEPNSO_ISJ_E10value_typeEPSK_NS1_7vsmem_tEENKUlT_SI_SJ_SK_E_clIPjSD_S10_SD_EESH_SX_SI_SJ_SK_EUlSX_E0_NS1_11comp_targetILNS1_3genE9ELNS1_11target_archE1100ELNS1_3gpuE3ELNS1_3repE0EEENS1_38merge_mergepath_config_static_selectorELNS0_4arch9wavefront6targetE1EEEvSJ_, .Lfunc_end633-_ZN7rocprim17ROCPRIM_400000_NS6detail17trampoline_kernelINS0_14default_configENS1_38merge_sort_block_merge_config_selectorIjjEEZZNS1_27merge_sort_block_merge_implIS3_N6thrust23THRUST_200600_302600_NS6detail15normal_iteratorINS8_10device_ptrIjEEEESD_jNS1_19radix_merge_compareILb0ELb0EjNS0_19identity_decomposerEEEEE10hipError_tT0_T1_T2_jT3_P12ihipStream_tbPNSt15iterator_traitsISI_E10value_typeEPNSO_ISJ_E10value_typeEPSK_NS1_7vsmem_tEENKUlT_SI_SJ_SK_E_clIPjSD_S10_SD_EESH_SX_SI_SJ_SK_EUlSX_E0_NS1_11comp_targetILNS1_3genE9ELNS1_11target_archE1100ELNS1_3gpuE3ELNS1_3repE0EEENS1_38merge_mergepath_config_static_selectorELNS0_4arch9wavefront6targetE1EEEvSJ_
                                        ; -- End function
	.set _ZN7rocprim17ROCPRIM_400000_NS6detail17trampoline_kernelINS0_14default_configENS1_38merge_sort_block_merge_config_selectorIjjEEZZNS1_27merge_sort_block_merge_implIS3_N6thrust23THRUST_200600_302600_NS6detail15normal_iteratorINS8_10device_ptrIjEEEESD_jNS1_19radix_merge_compareILb0ELb0EjNS0_19identity_decomposerEEEEE10hipError_tT0_T1_T2_jT3_P12ihipStream_tbPNSt15iterator_traitsISI_E10value_typeEPNSO_ISJ_E10value_typeEPSK_NS1_7vsmem_tEENKUlT_SI_SJ_SK_E_clIPjSD_S10_SD_EESH_SX_SI_SJ_SK_EUlSX_E0_NS1_11comp_targetILNS1_3genE9ELNS1_11target_archE1100ELNS1_3gpuE3ELNS1_3repE0EEENS1_38merge_mergepath_config_static_selectorELNS0_4arch9wavefront6targetE1EEEvSJ_.num_vgpr, 0
	.set _ZN7rocprim17ROCPRIM_400000_NS6detail17trampoline_kernelINS0_14default_configENS1_38merge_sort_block_merge_config_selectorIjjEEZZNS1_27merge_sort_block_merge_implIS3_N6thrust23THRUST_200600_302600_NS6detail15normal_iteratorINS8_10device_ptrIjEEEESD_jNS1_19radix_merge_compareILb0ELb0EjNS0_19identity_decomposerEEEEE10hipError_tT0_T1_T2_jT3_P12ihipStream_tbPNSt15iterator_traitsISI_E10value_typeEPNSO_ISJ_E10value_typeEPSK_NS1_7vsmem_tEENKUlT_SI_SJ_SK_E_clIPjSD_S10_SD_EESH_SX_SI_SJ_SK_EUlSX_E0_NS1_11comp_targetILNS1_3genE9ELNS1_11target_archE1100ELNS1_3gpuE3ELNS1_3repE0EEENS1_38merge_mergepath_config_static_selectorELNS0_4arch9wavefront6targetE1EEEvSJ_.num_agpr, 0
	.set _ZN7rocprim17ROCPRIM_400000_NS6detail17trampoline_kernelINS0_14default_configENS1_38merge_sort_block_merge_config_selectorIjjEEZZNS1_27merge_sort_block_merge_implIS3_N6thrust23THRUST_200600_302600_NS6detail15normal_iteratorINS8_10device_ptrIjEEEESD_jNS1_19radix_merge_compareILb0ELb0EjNS0_19identity_decomposerEEEEE10hipError_tT0_T1_T2_jT3_P12ihipStream_tbPNSt15iterator_traitsISI_E10value_typeEPNSO_ISJ_E10value_typeEPSK_NS1_7vsmem_tEENKUlT_SI_SJ_SK_E_clIPjSD_S10_SD_EESH_SX_SI_SJ_SK_EUlSX_E0_NS1_11comp_targetILNS1_3genE9ELNS1_11target_archE1100ELNS1_3gpuE3ELNS1_3repE0EEENS1_38merge_mergepath_config_static_selectorELNS0_4arch9wavefront6targetE1EEEvSJ_.numbered_sgpr, 0
	.set _ZN7rocprim17ROCPRIM_400000_NS6detail17trampoline_kernelINS0_14default_configENS1_38merge_sort_block_merge_config_selectorIjjEEZZNS1_27merge_sort_block_merge_implIS3_N6thrust23THRUST_200600_302600_NS6detail15normal_iteratorINS8_10device_ptrIjEEEESD_jNS1_19radix_merge_compareILb0ELb0EjNS0_19identity_decomposerEEEEE10hipError_tT0_T1_T2_jT3_P12ihipStream_tbPNSt15iterator_traitsISI_E10value_typeEPNSO_ISJ_E10value_typeEPSK_NS1_7vsmem_tEENKUlT_SI_SJ_SK_E_clIPjSD_S10_SD_EESH_SX_SI_SJ_SK_EUlSX_E0_NS1_11comp_targetILNS1_3genE9ELNS1_11target_archE1100ELNS1_3gpuE3ELNS1_3repE0EEENS1_38merge_mergepath_config_static_selectorELNS0_4arch9wavefront6targetE1EEEvSJ_.num_named_barrier, 0
	.set _ZN7rocprim17ROCPRIM_400000_NS6detail17trampoline_kernelINS0_14default_configENS1_38merge_sort_block_merge_config_selectorIjjEEZZNS1_27merge_sort_block_merge_implIS3_N6thrust23THRUST_200600_302600_NS6detail15normal_iteratorINS8_10device_ptrIjEEEESD_jNS1_19radix_merge_compareILb0ELb0EjNS0_19identity_decomposerEEEEE10hipError_tT0_T1_T2_jT3_P12ihipStream_tbPNSt15iterator_traitsISI_E10value_typeEPNSO_ISJ_E10value_typeEPSK_NS1_7vsmem_tEENKUlT_SI_SJ_SK_E_clIPjSD_S10_SD_EESH_SX_SI_SJ_SK_EUlSX_E0_NS1_11comp_targetILNS1_3genE9ELNS1_11target_archE1100ELNS1_3gpuE3ELNS1_3repE0EEENS1_38merge_mergepath_config_static_selectorELNS0_4arch9wavefront6targetE1EEEvSJ_.private_seg_size, 0
	.set _ZN7rocprim17ROCPRIM_400000_NS6detail17trampoline_kernelINS0_14default_configENS1_38merge_sort_block_merge_config_selectorIjjEEZZNS1_27merge_sort_block_merge_implIS3_N6thrust23THRUST_200600_302600_NS6detail15normal_iteratorINS8_10device_ptrIjEEEESD_jNS1_19radix_merge_compareILb0ELb0EjNS0_19identity_decomposerEEEEE10hipError_tT0_T1_T2_jT3_P12ihipStream_tbPNSt15iterator_traitsISI_E10value_typeEPNSO_ISJ_E10value_typeEPSK_NS1_7vsmem_tEENKUlT_SI_SJ_SK_E_clIPjSD_S10_SD_EESH_SX_SI_SJ_SK_EUlSX_E0_NS1_11comp_targetILNS1_3genE9ELNS1_11target_archE1100ELNS1_3gpuE3ELNS1_3repE0EEENS1_38merge_mergepath_config_static_selectorELNS0_4arch9wavefront6targetE1EEEvSJ_.uses_vcc, 0
	.set _ZN7rocprim17ROCPRIM_400000_NS6detail17trampoline_kernelINS0_14default_configENS1_38merge_sort_block_merge_config_selectorIjjEEZZNS1_27merge_sort_block_merge_implIS3_N6thrust23THRUST_200600_302600_NS6detail15normal_iteratorINS8_10device_ptrIjEEEESD_jNS1_19radix_merge_compareILb0ELb0EjNS0_19identity_decomposerEEEEE10hipError_tT0_T1_T2_jT3_P12ihipStream_tbPNSt15iterator_traitsISI_E10value_typeEPNSO_ISJ_E10value_typeEPSK_NS1_7vsmem_tEENKUlT_SI_SJ_SK_E_clIPjSD_S10_SD_EESH_SX_SI_SJ_SK_EUlSX_E0_NS1_11comp_targetILNS1_3genE9ELNS1_11target_archE1100ELNS1_3gpuE3ELNS1_3repE0EEENS1_38merge_mergepath_config_static_selectorELNS0_4arch9wavefront6targetE1EEEvSJ_.uses_flat_scratch, 0
	.set _ZN7rocprim17ROCPRIM_400000_NS6detail17trampoline_kernelINS0_14default_configENS1_38merge_sort_block_merge_config_selectorIjjEEZZNS1_27merge_sort_block_merge_implIS3_N6thrust23THRUST_200600_302600_NS6detail15normal_iteratorINS8_10device_ptrIjEEEESD_jNS1_19radix_merge_compareILb0ELb0EjNS0_19identity_decomposerEEEEE10hipError_tT0_T1_T2_jT3_P12ihipStream_tbPNSt15iterator_traitsISI_E10value_typeEPNSO_ISJ_E10value_typeEPSK_NS1_7vsmem_tEENKUlT_SI_SJ_SK_E_clIPjSD_S10_SD_EESH_SX_SI_SJ_SK_EUlSX_E0_NS1_11comp_targetILNS1_3genE9ELNS1_11target_archE1100ELNS1_3gpuE3ELNS1_3repE0EEENS1_38merge_mergepath_config_static_selectorELNS0_4arch9wavefront6targetE1EEEvSJ_.has_dyn_sized_stack, 0
	.set _ZN7rocprim17ROCPRIM_400000_NS6detail17trampoline_kernelINS0_14default_configENS1_38merge_sort_block_merge_config_selectorIjjEEZZNS1_27merge_sort_block_merge_implIS3_N6thrust23THRUST_200600_302600_NS6detail15normal_iteratorINS8_10device_ptrIjEEEESD_jNS1_19radix_merge_compareILb0ELb0EjNS0_19identity_decomposerEEEEE10hipError_tT0_T1_T2_jT3_P12ihipStream_tbPNSt15iterator_traitsISI_E10value_typeEPNSO_ISJ_E10value_typeEPSK_NS1_7vsmem_tEENKUlT_SI_SJ_SK_E_clIPjSD_S10_SD_EESH_SX_SI_SJ_SK_EUlSX_E0_NS1_11comp_targetILNS1_3genE9ELNS1_11target_archE1100ELNS1_3gpuE3ELNS1_3repE0EEENS1_38merge_mergepath_config_static_selectorELNS0_4arch9wavefront6targetE1EEEvSJ_.has_recursion, 0
	.set _ZN7rocprim17ROCPRIM_400000_NS6detail17trampoline_kernelINS0_14default_configENS1_38merge_sort_block_merge_config_selectorIjjEEZZNS1_27merge_sort_block_merge_implIS3_N6thrust23THRUST_200600_302600_NS6detail15normal_iteratorINS8_10device_ptrIjEEEESD_jNS1_19radix_merge_compareILb0ELb0EjNS0_19identity_decomposerEEEEE10hipError_tT0_T1_T2_jT3_P12ihipStream_tbPNSt15iterator_traitsISI_E10value_typeEPNSO_ISJ_E10value_typeEPSK_NS1_7vsmem_tEENKUlT_SI_SJ_SK_E_clIPjSD_S10_SD_EESH_SX_SI_SJ_SK_EUlSX_E0_NS1_11comp_targetILNS1_3genE9ELNS1_11target_archE1100ELNS1_3gpuE3ELNS1_3repE0EEENS1_38merge_mergepath_config_static_selectorELNS0_4arch9wavefront6targetE1EEEvSJ_.has_indirect_call, 0
	.section	.AMDGPU.csdata,"",@progbits
; Kernel info:
; codeLenInByte = 0
; TotalNumSgprs: 6
; NumVgprs: 0
; NumAgprs: 0
; TotalNumVgprs: 0
; ScratchSize: 0
; MemoryBound: 0
; FloatMode: 240
; IeeeMode: 1
; LDSByteSize: 0 bytes/workgroup (compile time only)
; SGPRBlocks: 0
; VGPRBlocks: 0
; NumSGPRsForWavesPerEU: 6
; NumVGPRsForWavesPerEU: 1
; AccumOffset: 4
; Occupancy: 8
; WaveLimiterHint : 0
; COMPUTE_PGM_RSRC2:SCRATCH_EN: 0
; COMPUTE_PGM_RSRC2:USER_SGPR: 2
; COMPUTE_PGM_RSRC2:TRAP_HANDLER: 0
; COMPUTE_PGM_RSRC2:TGID_X_EN: 1
; COMPUTE_PGM_RSRC2:TGID_Y_EN: 0
; COMPUTE_PGM_RSRC2:TGID_Z_EN: 0
; COMPUTE_PGM_RSRC2:TIDIG_COMP_CNT: 0
; COMPUTE_PGM_RSRC3_GFX90A:ACCUM_OFFSET: 0
; COMPUTE_PGM_RSRC3_GFX90A:TG_SPLIT: 0
	.section	.text._ZN7rocprim17ROCPRIM_400000_NS6detail17trampoline_kernelINS0_14default_configENS1_38merge_sort_block_merge_config_selectorIjjEEZZNS1_27merge_sort_block_merge_implIS3_N6thrust23THRUST_200600_302600_NS6detail15normal_iteratorINS8_10device_ptrIjEEEESD_jNS1_19radix_merge_compareILb0ELb0EjNS0_19identity_decomposerEEEEE10hipError_tT0_T1_T2_jT3_P12ihipStream_tbPNSt15iterator_traitsISI_E10value_typeEPNSO_ISJ_E10value_typeEPSK_NS1_7vsmem_tEENKUlT_SI_SJ_SK_E_clIPjSD_S10_SD_EESH_SX_SI_SJ_SK_EUlSX_E0_NS1_11comp_targetILNS1_3genE8ELNS1_11target_archE1030ELNS1_3gpuE2ELNS1_3repE0EEENS1_38merge_mergepath_config_static_selectorELNS0_4arch9wavefront6targetE1EEEvSJ_,"axG",@progbits,_ZN7rocprim17ROCPRIM_400000_NS6detail17trampoline_kernelINS0_14default_configENS1_38merge_sort_block_merge_config_selectorIjjEEZZNS1_27merge_sort_block_merge_implIS3_N6thrust23THRUST_200600_302600_NS6detail15normal_iteratorINS8_10device_ptrIjEEEESD_jNS1_19radix_merge_compareILb0ELb0EjNS0_19identity_decomposerEEEEE10hipError_tT0_T1_T2_jT3_P12ihipStream_tbPNSt15iterator_traitsISI_E10value_typeEPNSO_ISJ_E10value_typeEPSK_NS1_7vsmem_tEENKUlT_SI_SJ_SK_E_clIPjSD_S10_SD_EESH_SX_SI_SJ_SK_EUlSX_E0_NS1_11comp_targetILNS1_3genE8ELNS1_11target_archE1030ELNS1_3gpuE2ELNS1_3repE0EEENS1_38merge_mergepath_config_static_selectorELNS0_4arch9wavefront6targetE1EEEvSJ_,comdat
	.protected	_ZN7rocprim17ROCPRIM_400000_NS6detail17trampoline_kernelINS0_14default_configENS1_38merge_sort_block_merge_config_selectorIjjEEZZNS1_27merge_sort_block_merge_implIS3_N6thrust23THRUST_200600_302600_NS6detail15normal_iteratorINS8_10device_ptrIjEEEESD_jNS1_19radix_merge_compareILb0ELb0EjNS0_19identity_decomposerEEEEE10hipError_tT0_T1_T2_jT3_P12ihipStream_tbPNSt15iterator_traitsISI_E10value_typeEPNSO_ISJ_E10value_typeEPSK_NS1_7vsmem_tEENKUlT_SI_SJ_SK_E_clIPjSD_S10_SD_EESH_SX_SI_SJ_SK_EUlSX_E0_NS1_11comp_targetILNS1_3genE8ELNS1_11target_archE1030ELNS1_3gpuE2ELNS1_3repE0EEENS1_38merge_mergepath_config_static_selectorELNS0_4arch9wavefront6targetE1EEEvSJ_ ; -- Begin function _ZN7rocprim17ROCPRIM_400000_NS6detail17trampoline_kernelINS0_14default_configENS1_38merge_sort_block_merge_config_selectorIjjEEZZNS1_27merge_sort_block_merge_implIS3_N6thrust23THRUST_200600_302600_NS6detail15normal_iteratorINS8_10device_ptrIjEEEESD_jNS1_19radix_merge_compareILb0ELb0EjNS0_19identity_decomposerEEEEE10hipError_tT0_T1_T2_jT3_P12ihipStream_tbPNSt15iterator_traitsISI_E10value_typeEPNSO_ISJ_E10value_typeEPSK_NS1_7vsmem_tEENKUlT_SI_SJ_SK_E_clIPjSD_S10_SD_EESH_SX_SI_SJ_SK_EUlSX_E0_NS1_11comp_targetILNS1_3genE8ELNS1_11target_archE1030ELNS1_3gpuE2ELNS1_3repE0EEENS1_38merge_mergepath_config_static_selectorELNS0_4arch9wavefront6targetE1EEEvSJ_
	.globl	_ZN7rocprim17ROCPRIM_400000_NS6detail17trampoline_kernelINS0_14default_configENS1_38merge_sort_block_merge_config_selectorIjjEEZZNS1_27merge_sort_block_merge_implIS3_N6thrust23THRUST_200600_302600_NS6detail15normal_iteratorINS8_10device_ptrIjEEEESD_jNS1_19radix_merge_compareILb0ELb0EjNS0_19identity_decomposerEEEEE10hipError_tT0_T1_T2_jT3_P12ihipStream_tbPNSt15iterator_traitsISI_E10value_typeEPNSO_ISJ_E10value_typeEPSK_NS1_7vsmem_tEENKUlT_SI_SJ_SK_E_clIPjSD_S10_SD_EESH_SX_SI_SJ_SK_EUlSX_E0_NS1_11comp_targetILNS1_3genE8ELNS1_11target_archE1030ELNS1_3gpuE2ELNS1_3repE0EEENS1_38merge_mergepath_config_static_selectorELNS0_4arch9wavefront6targetE1EEEvSJ_
	.p2align	8
	.type	_ZN7rocprim17ROCPRIM_400000_NS6detail17trampoline_kernelINS0_14default_configENS1_38merge_sort_block_merge_config_selectorIjjEEZZNS1_27merge_sort_block_merge_implIS3_N6thrust23THRUST_200600_302600_NS6detail15normal_iteratorINS8_10device_ptrIjEEEESD_jNS1_19radix_merge_compareILb0ELb0EjNS0_19identity_decomposerEEEEE10hipError_tT0_T1_T2_jT3_P12ihipStream_tbPNSt15iterator_traitsISI_E10value_typeEPNSO_ISJ_E10value_typeEPSK_NS1_7vsmem_tEENKUlT_SI_SJ_SK_E_clIPjSD_S10_SD_EESH_SX_SI_SJ_SK_EUlSX_E0_NS1_11comp_targetILNS1_3genE8ELNS1_11target_archE1030ELNS1_3gpuE2ELNS1_3repE0EEENS1_38merge_mergepath_config_static_selectorELNS0_4arch9wavefront6targetE1EEEvSJ_,@function
_ZN7rocprim17ROCPRIM_400000_NS6detail17trampoline_kernelINS0_14default_configENS1_38merge_sort_block_merge_config_selectorIjjEEZZNS1_27merge_sort_block_merge_implIS3_N6thrust23THRUST_200600_302600_NS6detail15normal_iteratorINS8_10device_ptrIjEEEESD_jNS1_19radix_merge_compareILb0ELb0EjNS0_19identity_decomposerEEEEE10hipError_tT0_T1_T2_jT3_P12ihipStream_tbPNSt15iterator_traitsISI_E10value_typeEPNSO_ISJ_E10value_typeEPSK_NS1_7vsmem_tEENKUlT_SI_SJ_SK_E_clIPjSD_S10_SD_EESH_SX_SI_SJ_SK_EUlSX_E0_NS1_11comp_targetILNS1_3genE8ELNS1_11target_archE1030ELNS1_3gpuE2ELNS1_3repE0EEENS1_38merge_mergepath_config_static_selectorELNS0_4arch9wavefront6targetE1EEEvSJ_: ; @_ZN7rocprim17ROCPRIM_400000_NS6detail17trampoline_kernelINS0_14default_configENS1_38merge_sort_block_merge_config_selectorIjjEEZZNS1_27merge_sort_block_merge_implIS3_N6thrust23THRUST_200600_302600_NS6detail15normal_iteratorINS8_10device_ptrIjEEEESD_jNS1_19radix_merge_compareILb0ELb0EjNS0_19identity_decomposerEEEEE10hipError_tT0_T1_T2_jT3_P12ihipStream_tbPNSt15iterator_traitsISI_E10value_typeEPNSO_ISJ_E10value_typeEPSK_NS1_7vsmem_tEENKUlT_SI_SJ_SK_E_clIPjSD_S10_SD_EESH_SX_SI_SJ_SK_EUlSX_E0_NS1_11comp_targetILNS1_3genE8ELNS1_11target_archE1030ELNS1_3gpuE2ELNS1_3repE0EEENS1_38merge_mergepath_config_static_selectorELNS0_4arch9wavefront6targetE1EEEvSJ_
; %bb.0:
	.section	.rodata,"a",@progbits
	.p2align	6, 0x0
	.amdhsa_kernel _ZN7rocprim17ROCPRIM_400000_NS6detail17trampoline_kernelINS0_14default_configENS1_38merge_sort_block_merge_config_selectorIjjEEZZNS1_27merge_sort_block_merge_implIS3_N6thrust23THRUST_200600_302600_NS6detail15normal_iteratorINS8_10device_ptrIjEEEESD_jNS1_19radix_merge_compareILb0ELb0EjNS0_19identity_decomposerEEEEE10hipError_tT0_T1_T2_jT3_P12ihipStream_tbPNSt15iterator_traitsISI_E10value_typeEPNSO_ISJ_E10value_typeEPSK_NS1_7vsmem_tEENKUlT_SI_SJ_SK_E_clIPjSD_S10_SD_EESH_SX_SI_SJ_SK_EUlSX_E0_NS1_11comp_targetILNS1_3genE8ELNS1_11target_archE1030ELNS1_3gpuE2ELNS1_3repE0EEENS1_38merge_mergepath_config_static_selectorELNS0_4arch9wavefront6targetE1EEEvSJ_
		.amdhsa_group_segment_fixed_size 0
		.amdhsa_private_segment_fixed_size 0
		.amdhsa_kernarg_size 64
		.amdhsa_user_sgpr_count 2
		.amdhsa_user_sgpr_dispatch_ptr 0
		.amdhsa_user_sgpr_queue_ptr 0
		.amdhsa_user_sgpr_kernarg_segment_ptr 1
		.amdhsa_user_sgpr_dispatch_id 0
		.amdhsa_user_sgpr_kernarg_preload_length 0
		.amdhsa_user_sgpr_kernarg_preload_offset 0
		.amdhsa_user_sgpr_private_segment_size 0
		.amdhsa_uses_dynamic_stack 0
		.amdhsa_enable_private_segment 0
		.amdhsa_system_sgpr_workgroup_id_x 1
		.amdhsa_system_sgpr_workgroup_id_y 0
		.amdhsa_system_sgpr_workgroup_id_z 0
		.amdhsa_system_sgpr_workgroup_info 0
		.amdhsa_system_vgpr_workitem_id 0
		.amdhsa_next_free_vgpr 1
		.amdhsa_next_free_sgpr 0
		.amdhsa_accum_offset 4
		.amdhsa_reserve_vcc 0
		.amdhsa_float_round_mode_32 0
		.amdhsa_float_round_mode_16_64 0
		.amdhsa_float_denorm_mode_32 3
		.amdhsa_float_denorm_mode_16_64 3
		.amdhsa_dx10_clamp 1
		.amdhsa_ieee_mode 1
		.amdhsa_fp16_overflow 0
		.amdhsa_tg_split 0
		.amdhsa_exception_fp_ieee_invalid_op 0
		.amdhsa_exception_fp_denorm_src 0
		.amdhsa_exception_fp_ieee_div_zero 0
		.amdhsa_exception_fp_ieee_overflow 0
		.amdhsa_exception_fp_ieee_underflow 0
		.amdhsa_exception_fp_ieee_inexact 0
		.amdhsa_exception_int_div_zero 0
	.end_amdhsa_kernel
	.section	.text._ZN7rocprim17ROCPRIM_400000_NS6detail17trampoline_kernelINS0_14default_configENS1_38merge_sort_block_merge_config_selectorIjjEEZZNS1_27merge_sort_block_merge_implIS3_N6thrust23THRUST_200600_302600_NS6detail15normal_iteratorINS8_10device_ptrIjEEEESD_jNS1_19radix_merge_compareILb0ELb0EjNS0_19identity_decomposerEEEEE10hipError_tT0_T1_T2_jT3_P12ihipStream_tbPNSt15iterator_traitsISI_E10value_typeEPNSO_ISJ_E10value_typeEPSK_NS1_7vsmem_tEENKUlT_SI_SJ_SK_E_clIPjSD_S10_SD_EESH_SX_SI_SJ_SK_EUlSX_E0_NS1_11comp_targetILNS1_3genE8ELNS1_11target_archE1030ELNS1_3gpuE2ELNS1_3repE0EEENS1_38merge_mergepath_config_static_selectorELNS0_4arch9wavefront6targetE1EEEvSJ_,"axG",@progbits,_ZN7rocprim17ROCPRIM_400000_NS6detail17trampoline_kernelINS0_14default_configENS1_38merge_sort_block_merge_config_selectorIjjEEZZNS1_27merge_sort_block_merge_implIS3_N6thrust23THRUST_200600_302600_NS6detail15normal_iteratorINS8_10device_ptrIjEEEESD_jNS1_19radix_merge_compareILb0ELb0EjNS0_19identity_decomposerEEEEE10hipError_tT0_T1_T2_jT3_P12ihipStream_tbPNSt15iterator_traitsISI_E10value_typeEPNSO_ISJ_E10value_typeEPSK_NS1_7vsmem_tEENKUlT_SI_SJ_SK_E_clIPjSD_S10_SD_EESH_SX_SI_SJ_SK_EUlSX_E0_NS1_11comp_targetILNS1_3genE8ELNS1_11target_archE1030ELNS1_3gpuE2ELNS1_3repE0EEENS1_38merge_mergepath_config_static_selectorELNS0_4arch9wavefront6targetE1EEEvSJ_,comdat
.Lfunc_end634:
	.size	_ZN7rocprim17ROCPRIM_400000_NS6detail17trampoline_kernelINS0_14default_configENS1_38merge_sort_block_merge_config_selectorIjjEEZZNS1_27merge_sort_block_merge_implIS3_N6thrust23THRUST_200600_302600_NS6detail15normal_iteratorINS8_10device_ptrIjEEEESD_jNS1_19radix_merge_compareILb0ELb0EjNS0_19identity_decomposerEEEEE10hipError_tT0_T1_T2_jT3_P12ihipStream_tbPNSt15iterator_traitsISI_E10value_typeEPNSO_ISJ_E10value_typeEPSK_NS1_7vsmem_tEENKUlT_SI_SJ_SK_E_clIPjSD_S10_SD_EESH_SX_SI_SJ_SK_EUlSX_E0_NS1_11comp_targetILNS1_3genE8ELNS1_11target_archE1030ELNS1_3gpuE2ELNS1_3repE0EEENS1_38merge_mergepath_config_static_selectorELNS0_4arch9wavefront6targetE1EEEvSJ_, .Lfunc_end634-_ZN7rocprim17ROCPRIM_400000_NS6detail17trampoline_kernelINS0_14default_configENS1_38merge_sort_block_merge_config_selectorIjjEEZZNS1_27merge_sort_block_merge_implIS3_N6thrust23THRUST_200600_302600_NS6detail15normal_iteratorINS8_10device_ptrIjEEEESD_jNS1_19radix_merge_compareILb0ELb0EjNS0_19identity_decomposerEEEEE10hipError_tT0_T1_T2_jT3_P12ihipStream_tbPNSt15iterator_traitsISI_E10value_typeEPNSO_ISJ_E10value_typeEPSK_NS1_7vsmem_tEENKUlT_SI_SJ_SK_E_clIPjSD_S10_SD_EESH_SX_SI_SJ_SK_EUlSX_E0_NS1_11comp_targetILNS1_3genE8ELNS1_11target_archE1030ELNS1_3gpuE2ELNS1_3repE0EEENS1_38merge_mergepath_config_static_selectorELNS0_4arch9wavefront6targetE1EEEvSJ_
                                        ; -- End function
	.set _ZN7rocprim17ROCPRIM_400000_NS6detail17trampoline_kernelINS0_14default_configENS1_38merge_sort_block_merge_config_selectorIjjEEZZNS1_27merge_sort_block_merge_implIS3_N6thrust23THRUST_200600_302600_NS6detail15normal_iteratorINS8_10device_ptrIjEEEESD_jNS1_19radix_merge_compareILb0ELb0EjNS0_19identity_decomposerEEEEE10hipError_tT0_T1_T2_jT3_P12ihipStream_tbPNSt15iterator_traitsISI_E10value_typeEPNSO_ISJ_E10value_typeEPSK_NS1_7vsmem_tEENKUlT_SI_SJ_SK_E_clIPjSD_S10_SD_EESH_SX_SI_SJ_SK_EUlSX_E0_NS1_11comp_targetILNS1_3genE8ELNS1_11target_archE1030ELNS1_3gpuE2ELNS1_3repE0EEENS1_38merge_mergepath_config_static_selectorELNS0_4arch9wavefront6targetE1EEEvSJ_.num_vgpr, 0
	.set _ZN7rocprim17ROCPRIM_400000_NS6detail17trampoline_kernelINS0_14default_configENS1_38merge_sort_block_merge_config_selectorIjjEEZZNS1_27merge_sort_block_merge_implIS3_N6thrust23THRUST_200600_302600_NS6detail15normal_iteratorINS8_10device_ptrIjEEEESD_jNS1_19radix_merge_compareILb0ELb0EjNS0_19identity_decomposerEEEEE10hipError_tT0_T1_T2_jT3_P12ihipStream_tbPNSt15iterator_traitsISI_E10value_typeEPNSO_ISJ_E10value_typeEPSK_NS1_7vsmem_tEENKUlT_SI_SJ_SK_E_clIPjSD_S10_SD_EESH_SX_SI_SJ_SK_EUlSX_E0_NS1_11comp_targetILNS1_3genE8ELNS1_11target_archE1030ELNS1_3gpuE2ELNS1_3repE0EEENS1_38merge_mergepath_config_static_selectorELNS0_4arch9wavefront6targetE1EEEvSJ_.num_agpr, 0
	.set _ZN7rocprim17ROCPRIM_400000_NS6detail17trampoline_kernelINS0_14default_configENS1_38merge_sort_block_merge_config_selectorIjjEEZZNS1_27merge_sort_block_merge_implIS3_N6thrust23THRUST_200600_302600_NS6detail15normal_iteratorINS8_10device_ptrIjEEEESD_jNS1_19radix_merge_compareILb0ELb0EjNS0_19identity_decomposerEEEEE10hipError_tT0_T1_T2_jT3_P12ihipStream_tbPNSt15iterator_traitsISI_E10value_typeEPNSO_ISJ_E10value_typeEPSK_NS1_7vsmem_tEENKUlT_SI_SJ_SK_E_clIPjSD_S10_SD_EESH_SX_SI_SJ_SK_EUlSX_E0_NS1_11comp_targetILNS1_3genE8ELNS1_11target_archE1030ELNS1_3gpuE2ELNS1_3repE0EEENS1_38merge_mergepath_config_static_selectorELNS0_4arch9wavefront6targetE1EEEvSJ_.numbered_sgpr, 0
	.set _ZN7rocprim17ROCPRIM_400000_NS6detail17trampoline_kernelINS0_14default_configENS1_38merge_sort_block_merge_config_selectorIjjEEZZNS1_27merge_sort_block_merge_implIS3_N6thrust23THRUST_200600_302600_NS6detail15normal_iteratorINS8_10device_ptrIjEEEESD_jNS1_19radix_merge_compareILb0ELb0EjNS0_19identity_decomposerEEEEE10hipError_tT0_T1_T2_jT3_P12ihipStream_tbPNSt15iterator_traitsISI_E10value_typeEPNSO_ISJ_E10value_typeEPSK_NS1_7vsmem_tEENKUlT_SI_SJ_SK_E_clIPjSD_S10_SD_EESH_SX_SI_SJ_SK_EUlSX_E0_NS1_11comp_targetILNS1_3genE8ELNS1_11target_archE1030ELNS1_3gpuE2ELNS1_3repE0EEENS1_38merge_mergepath_config_static_selectorELNS0_4arch9wavefront6targetE1EEEvSJ_.num_named_barrier, 0
	.set _ZN7rocprim17ROCPRIM_400000_NS6detail17trampoline_kernelINS0_14default_configENS1_38merge_sort_block_merge_config_selectorIjjEEZZNS1_27merge_sort_block_merge_implIS3_N6thrust23THRUST_200600_302600_NS6detail15normal_iteratorINS8_10device_ptrIjEEEESD_jNS1_19radix_merge_compareILb0ELb0EjNS0_19identity_decomposerEEEEE10hipError_tT0_T1_T2_jT3_P12ihipStream_tbPNSt15iterator_traitsISI_E10value_typeEPNSO_ISJ_E10value_typeEPSK_NS1_7vsmem_tEENKUlT_SI_SJ_SK_E_clIPjSD_S10_SD_EESH_SX_SI_SJ_SK_EUlSX_E0_NS1_11comp_targetILNS1_3genE8ELNS1_11target_archE1030ELNS1_3gpuE2ELNS1_3repE0EEENS1_38merge_mergepath_config_static_selectorELNS0_4arch9wavefront6targetE1EEEvSJ_.private_seg_size, 0
	.set _ZN7rocprim17ROCPRIM_400000_NS6detail17trampoline_kernelINS0_14default_configENS1_38merge_sort_block_merge_config_selectorIjjEEZZNS1_27merge_sort_block_merge_implIS3_N6thrust23THRUST_200600_302600_NS6detail15normal_iteratorINS8_10device_ptrIjEEEESD_jNS1_19radix_merge_compareILb0ELb0EjNS0_19identity_decomposerEEEEE10hipError_tT0_T1_T2_jT3_P12ihipStream_tbPNSt15iterator_traitsISI_E10value_typeEPNSO_ISJ_E10value_typeEPSK_NS1_7vsmem_tEENKUlT_SI_SJ_SK_E_clIPjSD_S10_SD_EESH_SX_SI_SJ_SK_EUlSX_E0_NS1_11comp_targetILNS1_3genE8ELNS1_11target_archE1030ELNS1_3gpuE2ELNS1_3repE0EEENS1_38merge_mergepath_config_static_selectorELNS0_4arch9wavefront6targetE1EEEvSJ_.uses_vcc, 0
	.set _ZN7rocprim17ROCPRIM_400000_NS6detail17trampoline_kernelINS0_14default_configENS1_38merge_sort_block_merge_config_selectorIjjEEZZNS1_27merge_sort_block_merge_implIS3_N6thrust23THRUST_200600_302600_NS6detail15normal_iteratorINS8_10device_ptrIjEEEESD_jNS1_19radix_merge_compareILb0ELb0EjNS0_19identity_decomposerEEEEE10hipError_tT0_T1_T2_jT3_P12ihipStream_tbPNSt15iterator_traitsISI_E10value_typeEPNSO_ISJ_E10value_typeEPSK_NS1_7vsmem_tEENKUlT_SI_SJ_SK_E_clIPjSD_S10_SD_EESH_SX_SI_SJ_SK_EUlSX_E0_NS1_11comp_targetILNS1_3genE8ELNS1_11target_archE1030ELNS1_3gpuE2ELNS1_3repE0EEENS1_38merge_mergepath_config_static_selectorELNS0_4arch9wavefront6targetE1EEEvSJ_.uses_flat_scratch, 0
	.set _ZN7rocprim17ROCPRIM_400000_NS6detail17trampoline_kernelINS0_14default_configENS1_38merge_sort_block_merge_config_selectorIjjEEZZNS1_27merge_sort_block_merge_implIS3_N6thrust23THRUST_200600_302600_NS6detail15normal_iteratorINS8_10device_ptrIjEEEESD_jNS1_19radix_merge_compareILb0ELb0EjNS0_19identity_decomposerEEEEE10hipError_tT0_T1_T2_jT3_P12ihipStream_tbPNSt15iterator_traitsISI_E10value_typeEPNSO_ISJ_E10value_typeEPSK_NS1_7vsmem_tEENKUlT_SI_SJ_SK_E_clIPjSD_S10_SD_EESH_SX_SI_SJ_SK_EUlSX_E0_NS1_11comp_targetILNS1_3genE8ELNS1_11target_archE1030ELNS1_3gpuE2ELNS1_3repE0EEENS1_38merge_mergepath_config_static_selectorELNS0_4arch9wavefront6targetE1EEEvSJ_.has_dyn_sized_stack, 0
	.set _ZN7rocprim17ROCPRIM_400000_NS6detail17trampoline_kernelINS0_14default_configENS1_38merge_sort_block_merge_config_selectorIjjEEZZNS1_27merge_sort_block_merge_implIS3_N6thrust23THRUST_200600_302600_NS6detail15normal_iteratorINS8_10device_ptrIjEEEESD_jNS1_19radix_merge_compareILb0ELb0EjNS0_19identity_decomposerEEEEE10hipError_tT0_T1_T2_jT3_P12ihipStream_tbPNSt15iterator_traitsISI_E10value_typeEPNSO_ISJ_E10value_typeEPSK_NS1_7vsmem_tEENKUlT_SI_SJ_SK_E_clIPjSD_S10_SD_EESH_SX_SI_SJ_SK_EUlSX_E0_NS1_11comp_targetILNS1_3genE8ELNS1_11target_archE1030ELNS1_3gpuE2ELNS1_3repE0EEENS1_38merge_mergepath_config_static_selectorELNS0_4arch9wavefront6targetE1EEEvSJ_.has_recursion, 0
	.set _ZN7rocprim17ROCPRIM_400000_NS6detail17trampoline_kernelINS0_14default_configENS1_38merge_sort_block_merge_config_selectorIjjEEZZNS1_27merge_sort_block_merge_implIS3_N6thrust23THRUST_200600_302600_NS6detail15normal_iteratorINS8_10device_ptrIjEEEESD_jNS1_19radix_merge_compareILb0ELb0EjNS0_19identity_decomposerEEEEE10hipError_tT0_T1_T2_jT3_P12ihipStream_tbPNSt15iterator_traitsISI_E10value_typeEPNSO_ISJ_E10value_typeEPSK_NS1_7vsmem_tEENKUlT_SI_SJ_SK_E_clIPjSD_S10_SD_EESH_SX_SI_SJ_SK_EUlSX_E0_NS1_11comp_targetILNS1_3genE8ELNS1_11target_archE1030ELNS1_3gpuE2ELNS1_3repE0EEENS1_38merge_mergepath_config_static_selectorELNS0_4arch9wavefront6targetE1EEEvSJ_.has_indirect_call, 0
	.section	.AMDGPU.csdata,"",@progbits
; Kernel info:
; codeLenInByte = 0
; TotalNumSgprs: 6
; NumVgprs: 0
; NumAgprs: 0
; TotalNumVgprs: 0
; ScratchSize: 0
; MemoryBound: 0
; FloatMode: 240
; IeeeMode: 1
; LDSByteSize: 0 bytes/workgroup (compile time only)
; SGPRBlocks: 0
; VGPRBlocks: 0
; NumSGPRsForWavesPerEU: 6
; NumVGPRsForWavesPerEU: 1
; AccumOffset: 4
; Occupancy: 8
; WaveLimiterHint : 0
; COMPUTE_PGM_RSRC2:SCRATCH_EN: 0
; COMPUTE_PGM_RSRC2:USER_SGPR: 2
; COMPUTE_PGM_RSRC2:TRAP_HANDLER: 0
; COMPUTE_PGM_RSRC2:TGID_X_EN: 1
; COMPUTE_PGM_RSRC2:TGID_Y_EN: 0
; COMPUTE_PGM_RSRC2:TGID_Z_EN: 0
; COMPUTE_PGM_RSRC2:TIDIG_COMP_CNT: 0
; COMPUTE_PGM_RSRC3_GFX90A:ACCUM_OFFSET: 0
; COMPUTE_PGM_RSRC3_GFX90A:TG_SPLIT: 0
	.section	.text._ZN7rocprim17ROCPRIM_400000_NS6detail17trampoline_kernelINS0_14default_configENS1_38merge_sort_block_merge_config_selectorIjjEEZZNS1_27merge_sort_block_merge_implIS3_N6thrust23THRUST_200600_302600_NS6detail15normal_iteratorINS8_10device_ptrIjEEEESD_jNS1_19radix_merge_compareILb0ELb0EjNS0_19identity_decomposerEEEEE10hipError_tT0_T1_T2_jT3_P12ihipStream_tbPNSt15iterator_traitsISI_E10value_typeEPNSO_ISJ_E10value_typeEPSK_NS1_7vsmem_tEENKUlT_SI_SJ_SK_E_clIPjSD_S10_SD_EESH_SX_SI_SJ_SK_EUlSX_E1_NS1_11comp_targetILNS1_3genE0ELNS1_11target_archE4294967295ELNS1_3gpuE0ELNS1_3repE0EEENS1_36merge_oddeven_config_static_selectorELNS0_4arch9wavefront6targetE1EEEvSJ_,"axG",@progbits,_ZN7rocprim17ROCPRIM_400000_NS6detail17trampoline_kernelINS0_14default_configENS1_38merge_sort_block_merge_config_selectorIjjEEZZNS1_27merge_sort_block_merge_implIS3_N6thrust23THRUST_200600_302600_NS6detail15normal_iteratorINS8_10device_ptrIjEEEESD_jNS1_19radix_merge_compareILb0ELb0EjNS0_19identity_decomposerEEEEE10hipError_tT0_T1_T2_jT3_P12ihipStream_tbPNSt15iterator_traitsISI_E10value_typeEPNSO_ISJ_E10value_typeEPSK_NS1_7vsmem_tEENKUlT_SI_SJ_SK_E_clIPjSD_S10_SD_EESH_SX_SI_SJ_SK_EUlSX_E1_NS1_11comp_targetILNS1_3genE0ELNS1_11target_archE4294967295ELNS1_3gpuE0ELNS1_3repE0EEENS1_36merge_oddeven_config_static_selectorELNS0_4arch9wavefront6targetE1EEEvSJ_,comdat
	.protected	_ZN7rocprim17ROCPRIM_400000_NS6detail17trampoline_kernelINS0_14default_configENS1_38merge_sort_block_merge_config_selectorIjjEEZZNS1_27merge_sort_block_merge_implIS3_N6thrust23THRUST_200600_302600_NS6detail15normal_iteratorINS8_10device_ptrIjEEEESD_jNS1_19radix_merge_compareILb0ELb0EjNS0_19identity_decomposerEEEEE10hipError_tT0_T1_T2_jT3_P12ihipStream_tbPNSt15iterator_traitsISI_E10value_typeEPNSO_ISJ_E10value_typeEPSK_NS1_7vsmem_tEENKUlT_SI_SJ_SK_E_clIPjSD_S10_SD_EESH_SX_SI_SJ_SK_EUlSX_E1_NS1_11comp_targetILNS1_3genE0ELNS1_11target_archE4294967295ELNS1_3gpuE0ELNS1_3repE0EEENS1_36merge_oddeven_config_static_selectorELNS0_4arch9wavefront6targetE1EEEvSJ_ ; -- Begin function _ZN7rocprim17ROCPRIM_400000_NS6detail17trampoline_kernelINS0_14default_configENS1_38merge_sort_block_merge_config_selectorIjjEEZZNS1_27merge_sort_block_merge_implIS3_N6thrust23THRUST_200600_302600_NS6detail15normal_iteratorINS8_10device_ptrIjEEEESD_jNS1_19radix_merge_compareILb0ELb0EjNS0_19identity_decomposerEEEEE10hipError_tT0_T1_T2_jT3_P12ihipStream_tbPNSt15iterator_traitsISI_E10value_typeEPNSO_ISJ_E10value_typeEPSK_NS1_7vsmem_tEENKUlT_SI_SJ_SK_E_clIPjSD_S10_SD_EESH_SX_SI_SJ_SK_EUlSX_E1_NS1_11comp_targetILNS1_3genE0ELNS1_11target_archE4294967295ELNS1_3gpuE0ELNS1_3repE0EEENS1_36merge_oddeven_config_static_selectorELNS0_4arch9wavefront6targetE1EEEvSJ_
	.globl	_ZN7rocprim17ROCPRIM_400000_NS6detail17trampoline_kernelINS0_14default_configENS1_38merge_sort_block_merge_config_selectorIjjEEZZNS1_27merge_sort_block_merge_implIS3_N6thrust23THRUST_200600_302600_NS6detail15normal_iteratorINS8_10device_ptrIjEEEESD_jNS1_19radix_merge_compareILb0ELb0EjNS0_19identity_decomposerEEEEE10hipError_tT0_T1_T2_jT3_P12ihipStream_tbPNSt15iterator_traitsISI_E10value_typeEPNSO_ISJ_E10value_typeEPSK_NS1_7vsmem_tEENKUlT_SI_SJ_SK_E_clIPjSD_S10_SD_EESH_SX_SI_SJ_SK_EUlSX_E1_NS1_11comp_targetILNS1_3genE0ELNS1_11target_archE4294967295ELNS1_3gpuE0ELNS1_3repE0EEENS1_36merge_oddeven_config_static_selectorELNS0_4arch9wavefront6targetE1EEEvSJ_
	.p2align	8
	.type	_ZN7rocprim17ROCPRIM_400000_NS6detail17trampoline_kernelINS0_14default_configENS1_38merge_sort_block_merge_config_selectorIjjEEZZNS1_27merge_sort_block_merge_implIS3_N6thrust23THRUST_200600_302600_NS6detail15normal_iteratorINS8_10device_ptrIjEEEESD_jNS1_19radix_merge_compareILb0ELb0EjNS0_19identity_decomposerEEEEE10hipError_tT0_T1_T2_jT3_P12ihipStream_tbPNSt15iterator_traitsISI_E10value_typeEPNSO_ISJ_E10value_typeEPSK_NS1_7vsmem_tEENKUlT_SI_SJ_SK_E_clIPjSD_S10_SD_EESH_SX_SI_SJ_SK_EUlSX_E1_NS1_11comp_targetILNS1_3genE0ELNS1_11target_archE4294967295ELNS1_3gpuE0ELNS1_3repE0EEENS1_36merge_oddeven_config_static_selectorELNS0_4arch9wavefront6targetE1EEEvSJ_,@function
_ZN7rocprim17ROCPRIM_400000_NS6detail17trampoline_kernelINS0_14default_configENS1_38merge_sort_block_merge_config_selectorIjjEEZZNS1_27merge_sort_block_merge_implIS3_N6thrust23THRUST_200600_302600_NS6detail15normal_iteratorINS8_10device_ptrIjEEEESD_jNS1_19radix_merge_compareILb0ELb0EjNS0_19identity_decomposerEEEEE10hipError_tT0_T1_T2_jT3_P12ihipStream_tbPNSt15iterator_traitsISI_E10value_typeEPNSO_ISJ_E10value_typeEPSK_NS1_7vsmem_tEENKUlT_SI_SJ_SK_E_clIPjSD_S10_SD_EESH_SX_SI_SJ_SK_EUlSX_E1_NS1_11comp_targetILNS1_3genE0ELNS1_11target_archE4294967295ELNS1_3gpuE0ELNS1_3repE0EEENS1_36merge_oddeven_config_static_selectorELNS0_4arch9wavefront6targetE1EEEvSJ_: ; @_ZN7rocprim17ROCPRIM_400000_NS6detail17trampoline_kernelINS0_14default_configENS1_38merge_sort_block_merge_config_selectorIjjEEZZNS1_27merge_sort_block_merge_implIS3_N6thrust23THRUST_200600_302600_NS6detail15normal_iteratorINS8_10device_ptrIjEEEESD_jNS1_19radix_merge_compareILb0ELb0EjNS0_19identity_decomposerEEEEE10hipError_tT0_T1_T2_jT3_P12ihipStream_tbPNSt15iterator_traitsISI_E10value_typeEPNSO_ISJ_E10value_typeEPSK_NS1_7vsmem_tEENKUlT_SI_SJ_SK_E_clIPjSD_S10_SD_EESH_SX_SI_SJ_SK_EUlSX_E1_NS1_11comp_targetILNS1_3genE0ELNS1_11target_archE4294967295ELNS1_3gpuE0ELNS1_3repE0EEENS1_36merge_oddeven_config_static_selectorELNS0_4arch9wavefront6targetE1EEEvSJ_
; %bb.0:
	s_load_dword s18, s[0:1], 0x20
	s_waitcnt lgkmcnt(0)
	s_lshr_b32 s3, s18, 8
	s_cmp_eq_u32 s2, s3
	s_cselect_b64 s[6:7], -1, 0
	s_cmp_lg_u32 s2, s3
	s_cselect_b64 s[8:9], -1, 0
	s_lshl_b32 s16, s2, 8
	s_sub_i32 s3, s18, s16
	v_cmp_gt_u32_e64 s[4:5], s3, v0
	s_or_b64 s[8:9], s[8:9], s[4:5]
	s_and_saveexec_b64 s[10:11], s[8:9]
	s_cbranch_execz .LBB635_24
; %bb.1:
	s_load_dwordx8 s[8:15], s[0:1], 0x0
	s_mov_b32 s17, 0
	s_lshl_b64 s[20:21], s[16:17], 2
	v_lshlrev_b32_e32 v1, 2, v0
	s_load_dword s17, s[0:1], 0x24
	s_waitcnt lgkmcnt(0)
	s_add_u32 s22, s8, s20
	s_addc_u32 s23, s9, s21
	s_add_u32 s12, s12, s20
	s_addc_u32 s13, s13, s21
	global_load_dword v2, v1, s[12:13]
	global_load_dword v3, v1, s[22:23]
	s_lshr_b32 s0, s17, 8
	s_sub_i32 s1, 0, s0
	s_and_b32 s1, s2, s1
	s_and_b32 s0, s1, s0
	s_lshl_b32 s19, s1, 8
	s_sub_i32 s12, 0, s17
	s_cmp_eq_u32 s0, 0
	s_cselect_b64 s[0:1], -1, 0
	s_and_b64 s[2:3], s[0:1], exec
	s_cselect_b32 s12, s17, s12
	s_add_i32 s12, s12, s19
	s_mov_b64 s[2:3], -1
	s_cmp_gt_u32 s18, s12
	v_add_u32_e32 v0, s16, v0
	s_cbranch_scc1 .LBB635_9
; %bb.2:
	s_and_b64 vcc, exec, s[6:7]
	s_cbranch_vccz .LBB635_6
; %bb.3:
	v_cmp_gt_u32_e32 vcc, s18, v0
	s_and_saveexec_b64 s[2:3], vcc
	s_cbranch_execz .LBB635_5
; %bb.4:
	v_mov_b32_e32 v1, 0
	v_lshlrev_b64 v[4:5], 2, v[0:1]
	v_lshl_add_u64 v[6:7], s[10:11], 0, v[4:5]
	v_lshl_add_u64 v[4:5], s[14:15], 0, v[4:5]
	s_waitcnt vmcnt(0)
	global_store_dword v[6:7], v3, off
	global_store_dword v[4:5], v2, off
.LBB635_5:
	s_or_b64 exec, exec, s[2:3]
	s_mov_b64 s[2:3], 0
.LBB635_6:
	s_andn2_b64 vcc, exec, s[2:3]
	s_cbranch_vccnz .LBB635_8
; %bb.7:
	v_mov_b32_e32 v1, 0
	v_lshlrev_b64 v[4:5], 2, v[0:1]
	v_lshl_add_u64 v[6:7], s[10:11], 0, v[4:5]
	v_lshl_add_u64 v[4:5], s[14:15], 0, v[4:5]
	s_waitcnt vmcnt(0)
	global_store_dword v[6:7], v3, off
	global_store_dword v[4:5], v2, off
.LBB635_8:
	s_mov_b64 s[2:3], 0
.LBB635_9:
	s_andn2_b64 vcc, exec, s[2:3]
	s_cbranch_vccnz .LBB635_24
; %bb.10:
	s_min_u32 s13, s12, s18
	s_add_i32 s2, s13, s17
	s_min_u32 s16, s2, s18
	s_min_u32 s2, s19, s13
	s_add_i32 s19, s19, s13
	v_subrev_u32_e32 v0, s19, v0
	v_add_u32_e32 v4, s2, v0
	s_andn2_b64 vcc, exec, s[6:7]
	s_mov_b64 s[2:3], -1
	s_cbranch_vccnz .LBB635_18
; %bb.11:
	s_and_saveexec_b64 s[2:3], s[4:5]
	s_cbranch_execz .LBB635_17
; %bb.12:
	s_cmp_ge_u32 s12, s16
	v_mov_b32_e32 v5, s13
	s_cbranch_scc1 .LBB635_16
; %bb.13:
	s_mov_b64 s[4:5], 0
	v_mov_b32_e32 v6, s16
	v_mov_b32_e32 v5, s13
	;; [unrolled: 1-line block ×3, first 2 shown]
.LBB635_14:                             ; =>This Inner Loop Header: Depth=1
	v_add_u32_e32 v0, v5, v6
	v_lshrrev_b32_e32 v0, 1, v0
	v_lshl_add_u64 v[8:9], v[0:1], 2, s[8:9]
	global_load_dword v7, v[8:9], off
	v_add_u32_e32 v8, 1, v0
	s_waitcnt vmcnt(0)
	v_cmp_gt_u32_e32 vcc, v3, v7
	s_nop 1
	v_cndmask_b32_e64 v9, 0, 1, vcc
	v_cmp_le_u32_e32 vcc, v7, v3
	s_nop 1
	v_cndmask_b32_e64 v7, 0, 1, vcc
	v_cndmask_b32_e64 v7, v7, v9, s[0:1]
	v_and_b32_e32 v7, 1, v7
	v_cmp_eq_u32_e32 vcc, 1, v7
	s_nop 1
	v_cndmask_b32_e32 v6, v0, v6, vcc
	v_cndmask_b32_e32 v5, v5, v8, vcc
	v_cmp_ge_u32_e32 vcc, v5, v6
	s_or_b64 s[4:5], vcc, s[4:5]
	s_andn2_b64 exec, exec, s[4:5]
	s_cbranch_execnz .LBB635_14
; %bb.15:
	s_or_b64 exec, exec, s[4:5]
.LBB635_16:
	v_add_u32_e32 v0, v5, v4
	v_mov_b32_e32 v1, 0
	v_lshlrev_b64 v[0:1], 2, v[0:1]
	v_lshl_add_u64 v[6:7], s[10:11], 0, v[0:1]
	v_lshl_add_u64 v[0:1], s[14:15], 0, v[0:1]
	s_waitcnt vmcnt(0)
	global_store_dword v[6:7], v3, off
	global_store_dword v[0:1], v2, off
.LBB635_17:
	s_or_b64 exec, exec, s[2:3]
	s_mov_b64 s[2:3], 0
.LBB635_18:
	s_andn2_b64 vcc, exec, s[2:3]
	s_cbranch_vccnz .LBB635_24
; %bb.19:
	s_cmp_ge_u32 s12, s16
	v_mov_b32_e32 v5, s13
	s_cbranch_scc1 .LBB635_23
; %bb.20:
	s_mov_b64 s[2:3], 0
	v_mov_b32_e32 v6, s16
	v_mov_b32_e32 v5, s13
	;; [unrolled: 1-line block ×3, first 2 shown]
.LBB635_21:                             ; =>This Inner Loop Header: Depth=1
	v_add_u32_e32 v0, v5, v6
	v_lshrrev_b32_e32 v0, 1, v0
	v_lshl_add_u64 v[8:9], v[0:1], 2, s[8:9]
	global_load_dword v7, v[8:9], off
	v_add_u32_e32 v8, 1, v0
	s_waitcnt vmcnt(0)
	v_cmp_gt_u32_e32 vcc, v3, v7
	s_nop 1
	v_cndmask_b32_e64 v9, 0, 1, vcc
	v_cmp_le_u32_e32 vcc, v7, v3
	s_nop 1
	v_cndmask_b32_e64 v7, 0, 1, vcc
	v_cndmask_b32_e64 v7, v7, v9, s[0:1]
	v_and_b32_e32 v7, 1, v7
	v_cmp_eq_u32_e32 vcc, 1, v7
	s_nop 1
	v_cndmask_b32_e32 v6, v0, v6, vcc
	v_cndmask_b32_e32 v5, v5, v8, vcc
	v_cmp_ge_u32_e32 vcc, v5, v6
	s_or_b64 s[2:3], vcc, s[2:3]
	s_andn2_b64 exec, exec, s[2:3]
	s_cbranch_execnz .LBB635_21
; %bb.22:
	s_or_b64 exec, exec, s[2:3]
.LBB635_23:
	v_add_u32_e32 v0, v5, v4
	v_mov_b32_e32 v1, 0
	v_lshlrev_b64 v[0:1], 2, v[0:1]
	v_lshl_add_u64 v[4:5], s[10:11], 0, v[0:1]
	v_lshl_add_u64 v[0:1], s[14:15], 0, v[0:1]
	s_waitcnt vmcnt(0)
	global_store_dword v[4:5], v3, off
	global_store_dword v[0:1], v2, off
.LBB635_24:
	s_endpgm
	.section	.rodata,"a",@progbits
	.p2align	6, 0x0
	.amdhsa_kernel _ZN7rocprim17ROCPRIM_400000_NS6detail17trampoline_kernelINS0_14default_configENS1_38merge_sort_block_merge_config_selectorIjjEEZZNS1_27merge_sort_block_merge_implIS3_N6thrust23THRUST_200600_302600_NS6detail15normal_iteratorINS8_10device_ptrIjEEEESD_jNS1_19radix_merge_compareILb0ELb0EjNS0_19identity_decomposerEEEEE10hipError_tT0_T1_T2_jT3_P12ihipStream_tbPNSt15iterator_traitsISI_E10value_typeEPNSO_ISJ_E10value_typeEPSK_NS1_7vsmem_tEENKUlT_SI_SJ_SK_E_clIPjSD_S10_SD_EESH_SX_SI_SJ_SK_EUlSX_E1_NS1_11comp_targetILNS1_3genE0ELNS1_11target_archE4294967295ELNS1_3gpuE0ELNS1_3repE0EEENS1_36merge_oddeven_config_static_selectorELNS0_4arch9wavefront6targetE1EEEvSJ_
		.amdhsa_group_segment_fixed_size 0
		.amdhsa_private_segment_fixed_size 0
		.amdhsa_kernarg_size 48
		.amdhsa_user_sgpr_count 2
		.amdhsa_user_sgpr_dispatch_ptr 0
		.amdhsa_user_sgpr_queue_ptr 0
		.amdhsa_user_sgpr_kernarg_segment_ptr 1
		.amdhsa_user_sgpr_dispatch_id 0
		.amdhsa_user_sgpr_kernarg_preload_length 0
		.amdhsa_user_sgpr_kernarg_preload_offset 0
		.amdhsa_user_sgpr_private_segment_size 0
		.amdhsa_uses_dynamic_stack 0
		.amdhsa_enable_private_segment 0
		.amdhsa_system_sgpr_workgroup_id_x 1
		.amdhsa_system_sgpr_workgroup_id_y 0
		.amdhsa_system_sgpr_workgroup_id_z 0
		.amdhsa_system_sgpr_workgroup_info 0
		.amdhsa_system_vgpr_workitem_id 0
		.amdhsa_next_free_vgpr 10
		.amdhsa_next_free_sgpr 24
		.amdhsa_accum_offset 12
		.amdhsa_reserve_vcc 1
		.amdhsa_float_round_mode_32 0
		.amdhsa_float_round_mode_16_64 0
		.amdhsa_float_denorm_mode_32 3
		.amdhsa_float_denorm_mode_16_64 3
		.amdhsa_dx10_clamp 1
		.amdhsa_ieee_mode 1
		.amdhsa_fp16_overflow 0
		.amdhsa_tg_split 0
		.amdhsa_exception_fp_ieee_invalid_op 0
		.amdhsa_exception_fp_denorm_src 0
		.amdhsa_exception_fp_ieee_div_zero 0
		.amdhsa_exception_fp_ieee_overflow 0
		.amdhsa_exception_fp_ieee_underflow 0
		.amdhsa_exception_fp_ieee_inexact 0
		.amdhsa_exception_int_div_zero 0
	.end_amdhsa_kernel
	.section	.text._ZN7rocprim17ROCPRIM_400000_NS6detail17trampoline_kernelINS0_14default_configENS1_38merge_sort_block_merge_config_selectorIjjEEZZNS1_27merge_sort_block_merge_implIS3_N6thrust23THRUST_200600_302600_NS6detail15normal_iteratorINS8_10device_ptrIjEEEESD_jNS1_19radix_merge_compareILb0ELb0EjNS0_19identity_decomposerEEEEE10hipError_tT0_T1_T2_jT3_P12ihipStream_tbPNSt15iterator_traitsISI_E10value_typeEPNSO_ISJ_E10value_typeEPSK_NS1_7vsmem_tEENKUlT_SI_SJ_SK_E_clIPjSD_S10_SD_EESH_SX_SI_SJ_SK_EUlSX_E1_NS1_11comp_targetILNS1_3genE0ELNS1_11target_archE4294967295ELNS1_3gpuE0ELNS1_3repE0EEENS1_36merge_oddeven_config_static_selectorELNS0_4arch9wavefront6targetE1EEEvSJ_,"axG",@progbits,_ZN7rocprim17ROCPRIM_400000_NS6detail17trampoline_kernelINS0_14default_configENS1_38merge_sort_block_merge_config_selectorIjjEEZZNS1_27merge_sort_block_merge_implIS3_N6thrust23THRUST_200600_302600_NS6detail15normal_iteratorINS8_10device_ptrIjEEEESD_jNS1_19radix_merge_compareILb0ELb0EjNS0_19identity_decomposerEEEEE10hipError_tT0_T1_T2_jT3_P12ihipStream_tbPNSt15iterator_traitsISI_E10value_typeEPNSO_ISJ_E10value_typeEPSK_NS1_7vsmem_tEENKUlT_SI_SJ_SK_E_clIPjSD_S10_SD_EESH_SX_SI_SJ_SK_EUlSX_E1_NS1_11comp_targetILNS1_3genE0ELNS1_11target_archE4294967295ELNS1_3gpuE0ELNS1_3repE0EEENS1_36merge_oddeven_config_static_selectorELNS0_4arch9wavefront6targetE1EEEvSJ_,comdat
.Lfunc_end635:
	.size	_ZN7rocprim17ROCPRIM_400000_NS6detail17trampoline_kernelINS0_14default_configENS1_38merge_sort_block_merge_config_selectorIjjEEZZNS1_27merge_sort_block_merge_implIS3_N6thrust23THRUST_200600_302600_NS6detail15normal_iteratorINS8_10device_ptrIjEEEESD_jNS1_19radix_merge_compareILb0ELb0EjNS0_19identity_decomposerEEEEE10hipError_tT0_T1_T2_jT3_P12ihipStream_tbPNSt15iterator_traitsISI_E10value_typeEPNSO_ISJ_E10value_typeEPSK_NS1_7vsmem_tEENKUlT_SI_SJ_SK_E_clIPjSD_S10_SD_EESH_SX_SI_SJ_SK_EUlSX_E1_NS1_11comp_targetILNS1_3genE0ELNS1_11target_archE4294967295ELNS1_3gpuE0ELNS1_3repE0EEENS1_36merge_oddeven_config_static_selectorELNS0_4arch9wavefront6targetE1EEEvSJ_, .Lfunc_end635-_ZN7rocprim17ROCPRIM_400000_NS6detail17trampoline_kernelINS0_14default_configENS1_38merge_sort_block_merge_config_selectorIjjEEZZNS1_27merge_sort_block_merge_implIS3_N6thrust23THRUST_200600_302600_NS6detail15normal_iteratorINS8_10device_ptrIjEEEESD_jNS1_19radix_merge_compareILb0ELb0EjNS0_19identity_decomposerEEEEE10hipError_tT0_T1_T2_jT3_P12ihipStream_tbPNSt15iterator_traitsISI_E10value_typeEPNSO_ISJ_E10value_typeEPSK_NS1_7vsmem_tEENKUlT_SI_SJ_SK_E_clIPjSD_S10_SD_EESH_SX_SI_SJ_SK_EUlSX_E1_NS1_11comp_targetILNS1_3genE0ELNS1_11target_archE4294967295ELNS1_3gpuE0ELNS1_3repE0EEENS1_36merge_oddeven_config_static_selectorELNS0_4arch9wavefront6targetE1EEEvSJ_
                                        ; -- End function
	.set _ZN7rocprim17ROCPRIM_400000_NS6detail17trampoline_kernelINS0_14default_configENS1_38merge_sort_block_merge_config_selectorIjjEEZZNS1_27merge_sort_block_merge_implIS3_N6thrust23THRUST_200600_302600_NS6detail15normal_iteratorINS8_10device_ptrIjEEEESD_jNS1_19radix_merge_compareILb0ELb0EjNS0_19identity_decomposerEEEEE10hipError_tT0_T1_T2_jT3_P12ihipStream_tbPNSt15iterator_traitsISI_E10value_typeEPNSO_ISJ_E10value_typeEPSK_NS1_7vsmem_tEENKUlT_SI_SJ_SK_E_clIPjSD_S10_SD_EESH_SX_SI_SJ_SK_EUlSX_E1_NS1_11comp_targetILNS1_3genE0ELNS1_11target_archE4294967295ELNS1_3gpuE0ELNS1_3repE0EEENS1_36merge_oddeven_config_static_selectorELNS0_4arch9wavefront6targetE1EEEvSJ_.num_vgpr, 10
	.set _ZN7rocprim17ROCPRIM_400000_NS6detail17trampoline_kernelINS0_14default_configENS1_38merge_sort_block_merge_config_selectorIjjEEZZNS1_27merge_sort_block_merge_implIS3_N6thrust23THRUST_200600_302600_NS6detail15normal_iteratorINS8_10device_ptrIjEEEESD_jNS1_19radix_merge_compareILb0ELb0EjNS0_19identity_decomposerEEEEE10hipError_tT0_T1_T2_jT3_P12ihipStream_tbPNSt15iterator_traitsISI_E10value_typeEPNSO_ISJ_E10value_typeEPSK_NS1_7vsmem_tEENKUlT_SI_SJ_SK_E_clIPjSD_S10_SD_EESH_SX_SI_SJ_SK_EUlSX_E1_NS1_11comp_targetILNS1_3genE0ELNS1_11target_archE4294967295ELNS1_3gpuE0ELNS1_3repE0EEENS1_36merge_oddeven_config_static_selectorELNS0_4arch9wavefront6targetE1EEEvSJ_.num_agpr, 0
	.set _ZN7rocprim17ROCPRIM_400000_NS6detail17trampoline_kernelINS0_14default_configENS1_38merge_sort_block_merge_config_selectorIjjEEZZNS1_27merge_sort_block_merge_implIS3_N6thrust23THRUST_200600_302600_NS6detail15normal_iteratorINS8_10device_ptrIjEEEESD_jNS1_19radix_merge_compareILb0ELb0EjNS0_19identity_decomposerEEEEE10hipError_tT0_T1_T2_jT3_P12ihipStream_tbPNSt15iterator_traitsISI_E10value_typeEPNSO_ISJ_E10value_typeEPSK_NS1_7vsmem_tEENKUlT_SI_SJ_SK_E_clIPjSD_S10_SD_EESH_SX_SI_SJ_SK_EUlSX_E1_NS1_11comp_targetILNS1_3genE0ELNS1_11target_archE4294967295ELNS1_3gpuE0ELNS1_3repE0EEENS1_36merge_oddeven_config_static_selectorELNS0_4arch9wavefront6targetE1EEEvSJ_.numbered_sgpr, 24
	.set _ZN7rocprim17ROCPRIM_400000_NS6detail17trampoline_kernelINS0_14default_configENS1_38merge_sort_block_merge_config_selectorIjjEEZZNS1_27merge_sort_block_merge_implIS3_N6thrust23THRUST_200600_302600_NS6detail15normal_iteratorINS8_10device_ptrIjEEEESD_jNS1_19radix_merge_compareILb0ELb0EjNS0_19identity_decomposerEEEEE10hipError_tT0_T1_T2_jT3_P12ihipStream_tbPNSt15iterator_traitsISI_E10value_typeEPNSO_ISJ_E10value_typeEPSK_NS1_7vsmem_tEENKUlT_SI_SJ_SK_E_clIPjSD_S10_SD_EESH_SX_SI_SJ_SK_EUlSX_E1_NS1_11comp_targetILNS1_3genE0ELNS1_11target_archE4294967295ELNS1_3gpuE0ELNS1_3repE0EEENS1_36merge_oddeven_config_static_selectorELNS0_4arch9wavefront6targetE1EEEvSJ_.num_named_barrier, 0
	.set _ZN7rocprim17ROCPRIM_400000_NS6detail17trampoline_kernelINS0_14default_configENS1_38merge_sort_block_merge_config_selectorIjjEEZZNS1_27merge_sort_block_merge_implIS3_N6thrust23THRUST_200600_302600_NS6detail15normal_iteratorINS8_10device_ptrIjEEEESD_jNS1_19radix_merge_compareILb0ELb0EjNS0_19identity_decomposerEEEEE10hipError_tT0_T1_T2_jT3_P12ihipStream_tbPNSt15iterator_traitsISI_E10value_typeEPNSO_ISJ_E10value_typeEPSK_NS1_7vsmem_tEENKUlT_SI_SJ_SK_E_clIPjSD_S10_SD_EESH_SX_SI_SJ_SK_EUlSX_E1_NS1_11comp_targetILNS1_3genE0ELNS1_11target_archE4294967295ELNS1_3gpuE0ELNS1_3repE0EEENS1_36merge_oddeven_config_static_selectorELNS0_4arch9wavefront6targetE1EEEvSJ_.private_seg_size, 0
	.set _ZN7rocprim17ROCPRIM_400000_NS6detail17trampoline_kernelINS0_14default_configENS1_38merge_sort_block_merge_config_selectorIjjEEZZNS1_27merge_sort_block_merge_implIS3_N6thrust23THRUST_200600_302600_NS6detail15normal_iteratorINS8_10device_ptrIjEEEESD_jNS1_19radix_merge_compareILb0ELb0EjNS0_19identity_decomposerEEEEE10hipError_tT0_T1_T2_jT3_P12ihipStream_tbPNSt15iterator_traitsISI_E10value_typeEPNSO_ISJ_E10value_typeEPSK_NS1_7vsmem_tEENKUlT_SI_SJ_SK_E_clIPjSD_S10_SD_EESH_SX_SI_SJ_SK_EUlSX_E1_NS1_11comp_targetILNS1_3genE0ELNS1_11target_archE4294967295ELNS1_3gpuE0ELNS1_3repE0EEENS1_36merge_oddeven_config_static_selectorELNS0_4arch9wavefront6targetE1EEEvSJ_.uses_vcc, 1
	.set _ZN7rocprim17ROCPRIM_400000_NS6detail17trampoline_kernelINS0_14default_configENS1_38merge_sort_block_merge_config_selectorIjjEEZZNS1_27merge_sort_block_merge_implIS3_N6thrust23THRUST_200600_302600_NS6detail15normal_iteratorINS8_10device_ptrIjEEEESD_jNS1_19radix_merge_compareILb0ELb0EjNS0_19identity_decomposerEEEEE10hipError_tT0_T1_T2_jT3_P12ihipStream_tbPNSt15iterator_traitsISI_E10value_typeEPNSO_ISJ_E10value_typeEPSK_NS1_7vsmem_tEENKUlT_SI_SJ_SK_E_clIPjSD_S10_SD_EESH_SX_SI_SJ_SK_EUlSX_E1_NS1_11comp_targetILNS1_3genE0ELNS1_11target_archE4294967295ELNS1_3gpuE0ELNS1_3repE0EEENS1_36merge_oddeven_config_static_selectorELNS0_4arch9wavefront6targetE1EEEvSJ_.uses_flat_scratch, 0
	.set _ZN7rocprim17ROCPRIM_400000_NS6detail17trampoline_kernelINS0_14default_configENS1_38merge_sort_block_merge_config_selectorIjjEEZZNS1_27merge_sort_block_merge_implIS3_N6thrust23THRUST_200600_302600_NS6detail15normal_iteratorINS8_10device_ptrIjEEEESD_jNS1_19radix_merge_compareILb0ELb0EjNS0_19identity_decomposerEEEEE10hipError_tT0_T1_T2_jT3_P12ihipStream_tbPNSt15iterator_traitsISI_E10value_typeEPNSO_ISJ_E10value_typeEPSK_NS1_7vsmem_tEENKUlT_SI_SJ_SK_E_clIPjSD_S10_SD_EESH_SX_SI_SJ_SK_EUlSX_E1_NS1_11comp_targetILNS1_3genE0ELNS1_11target_archE4294967295ELNS1_3gpuE0ELNS1_3repE0EEENS1_36merge_oddeven_config_static_selectorELNS0_4arch9wavefront6targetE1EEEvSJ_.has_dyn_sized_stack, 0
	.set _ZN7rocprim17ROCPRIM_400000_NS6detail17trampoline_kernelINS0_14default_configENS1_38merge_sort_block_merge_config_selectorIjjEEZZNS1_27merge_sort_block_merge_implIS3_N6thrust23THRUST_200600_302600_NS6detail15normal_iteratorINS8_10device_ptrIjEEEESD_jNS1_19radix_merge_compareILb0ELb0EjNS0_19identity_decomposerEEEEE10hipError_tT0_T1_T2_jT3_P12ihipStream_tbPNSt15iterator_traitsISI_E10value_typeEPNSO_ISJ_E10value_typeEPSK_NS1_7vsmem_tEENKUlT_SI_SJ_SK_E_clIPjSD_S10_SD_EESH_SX_SI_SJ_SK_EUlSX_E1_NS1_11comp_targetILNS1_3genE0ELNS1_11target_archE4294967295ELNS1_3gpuE0ELNS1_3repE0EEENS1_36merge_oddeven_config_static_selectorELNS0_4arch9wavefront6targetE1EEEvSJ_.has_recursion, 0
	.set _ZN7rocprim17ROCPRIM_400000_NS6detail17trampoline_kernelINS0_14default_configENS1_38merge_sort_block_merge_config_selectorIjjEEZZNS1_27merge_sort_block_merge_implIS3_N6thrust23THRUST_200600_302600_NS6detail15normal_iteratorINS8_10device_ptrIjEEEESD_jNS1_19radix_merge_compareILb0ELb0EjNS0_19identity_decomposerEEEEE10hipError_tT0_T1_T2_jT3_P12ihipStream_tbPNSt15iterator_traitsISI_E10value_typeEPNSO_ISJ_E10value_typeEPSK_NS1_7vsmem_tEENKUlT_SI_SJ_SK_E_clIPjSD_S10_SD_EESH_SX_SI_SJ_SK_EUlSX_E1_NS1_11comp_targetILNS1_3genE0ELNS1_11target_archE4294967295ELNS1_3gpuE0ELNS1_3repE0EEENS1_36merge_oddeven_config_static_selectorELNS0_4arch9wavefront6targetE1EEEvSJ_.has_indirect_call, 0
	.section	.AMDGPU.csdata,"",@progbits
; Kernel info:
; codeLenInByte = 780
; TotalNumSgprs: 30
; NumVgprs: 10
; NumAgprs: 0
; TotalNumVgprs: 10
; ScratchSize: 0
; MemoryBound: 0
; FloatMode: 240
; IeeeMode: 1
; LDSByteSize: 0 bytes/workgroup (compile time only)
; SGPRBlocks: 3
; VGPRBlocks: 1
; NumSGPRsForWavesPerEU: 30
; NumVGPRsForWavesPerEU: 10
; AccumOffset: 12
; Occupancy: 8
; WaveLimiterHint : 0
; COMPUTE_PGM_RSRC2:SCRATCH_EN: 0
; COMPUTE_PGM_RSRC2:USER_SGPR: 2
; COMPUTE_PGM_RSRC2:TRAP_HANDLER: 0
; COMPUTE_PGM_RSRC2:TGID_X_EN: 1
; COMPUTE_PGM_RSRC2:TGID_Y_EN: 0
; COMPUTE_PGM_RSRC2:TGID_Z_EN: 0
; COMPUTE_PGM_RSRC2:TIDIG_COMP_CNT: 0
; COMPUTE_PGM_RSRC3_GFX90A:ACCUM_OFFSET: 2
; COMPUTE_PGM_RSRC3_GFX90A:TG_SPLIT: 0
	.section	.text._ZN7rocprim17ROCPRIM_400000_NS6detail17trampoline_kernelINS0_14default_configENS1_38merge_sort_block_merge_config_selectorIjjEEZZNS1_27merge_sort_block_merge_implIS3_N6thrust23THRUST_200600_302600_NS6detail15normal_iteratorINS8_10device_ptrIjEEEESD_jNS1_19radix_merge_compareILb0ELb0EjNS0_19identity_decomposerEEEEE10hipError_tT0_T1_T2_jT3_P12ihipStream_tbPNSt15iterator_traitsISI_E10value_typeEPNSO_ISJ_E10value_typeEPSK_NS1_7vsmem_tEENKUlT_SI_SJ_SK_E_clIPjSD_S10_SD_EESH_SX_SI_SJ_SK_EUlSX_E1_NS1_11comp_targetILNS1_3genE10ELNS1_11target_archE1201ELNS1_3gpuE5ELNS1_3repE0EEENS1_36merge_oddeven_config_static_selectorELNS0_4arch9wavefront6targetE1EEEvSJ_,"axG",@progbits,_ZN7rocprim17ROCPRIM_400000_NS6detail17trampoline_kernelINS0_14default_configENS1_38merge_sort_block_merge_config_selectorIjjEEZZNS1_27merge_sort_block_merge_implIS3_N6thrust23THRUST_200600_302600_NS6detail15normal_iteratorINS8_10device_ptrIjEEEESD_jNS1_19radix_merge_compareILb0ELb0EjNS0_19identity_decomposerEEEEE10hipError_tT0_T1_T2_jT3_P12ihipStream_tbPNSt15iterator_traitsISI_E10value_typeEPNSO_ISJ_E10value_typeEPSK_NS1_7vsmem_tEENKUlT_SI_SJ_SK_E_clIPjSD_S10_SD_EESH_SX_SI_SJ_SK_EUlSX_E1_NS1_11comp_targetILNS1_3genE10ELNS1_11target_archE1201ELNS1_3gpuE5ELNS1_3repE0EEENS1_36merge_oddeven_config_static_selectorELNS0_4arch9wavefront6targetE1EEEvSJ_,comdat
	.protected	_ZN7rocprim17ROCPRIM_400000_NS6detail17trampoline_kernelINS0_14default_configENS1_38merge_sort_block_merge_config_selectorIjjEEZZNS1_27merge_sort_block_merge_implIS3_N6thrust23THRUST_200600_302600_NS6detail15normal_iteratorINS8_10device_ptrIjEEEESD_jNS1_19radix_merge_compareILb0ELb0EjNS0_19identity_decomposerEEEEE10hipError_tT0_T1_T2_jT3_P12ihipStream_tbPNSt15iterator_traitsISI_E10value_typeEPNSO_ISJ_E10value_typeEPSK_NS1_7vsmem_tEENKUlT_SI_SJ_SK_E_clIPjSD_S10_SD_EESH_SX_SI_SJ_SK_EUlSX_E1_NS1_11comp_targetILNS1_3genE10ELNS1_11target_archE1201ELNS1_3gpuE5ELNS1_3repE0EEENS1_36merge_oddeven_config_static_selectorELNS0_4arch9wavefront6targetE1EEEvSJ_ ; -- Begin function _ZN7rocprim17ROCPRIM_400000_NS6detail17trampoline_kernelINS0_14default_configENS1_38merge_sort_block_merge_config_selectorIjjEEZZNS1_27merge_sort_block_merge_implIS3_N6thrust23THRUST_200600_302600_NS6detail15normal_iteratorINS8_10device_ptrIjEEEESD_jNS1_19radix_merge_compareILb0ELb0EjNS0_19identity_decomposerEEEEE10hipError_tT0_T1_T2_jT3_P12ihipStream_tbPNSt15iterator_traitsISI_E10value_typeEPNSO_ISJ_E10value_typeEPSK_NS1_7vsmem_tEENKUlT_SI_SJ_SK_E_clIPjSD_S10_SD_EESH_SX_SI_SJ_SK_EUlSX_E1_NS1_11comp_targetILNS1_3genE10ELNS1_11target_archE1201ELNS1_3gpuE5ELNS1_3repE0EEENS1_36merge_oddeven_config_static_selectorELNS0_4arch9wavefront6targetE1EEEvSJ_
	.globl	_ZN7rocprim17ROCPRIM_400000_NS6detail17trampoline_kernelINS0_14default_configENS1_38merge_sort_block_merge_config_selectorIjjEEZZNS1_27merge_sort_block_merge_implIS3_N6thrust23THRUST_200600_302600_NS6detail15normal_iteratorINS8_10device_ptrIjEEEESD_jNS1_19radix_merge_compareILb0ELb0EjNS0_19identity_decomposerEEEEE10hipError_tT0_T1_T2_jT3_P12ihipStream_tbPNSt15iterator_traitsISI_E10value_typeEPNSO_ISJ_E10value_typeEPSK_NS1_7vsmem_tEENKUlT_SI_SJ_SK_E_clIPjSD_S10_SD_EESH_SX_SI_SJ_SK_EUlSX_E1_NS1_11comp_targetILNS1_3genE10ELNS1_11target_archE1201ELNS1_3gpuE5ELNS1_3repE0EEENS1_36merge_oddeven_config_static_selectorELNS0_4arch9wavefront6targetE1EEEvSJ_
	.p2align	8
	.type	_ZN7rocprim17ROCPRIM_400000_NS6detail17trampoline_kernelINS0_14default_configENS1_38merge_sort_block_merge_config_selectorIjjEEZZNS1_27merge_sort_block_merge_implIS3_N6thrust23THRUST_200600_302600_NS6detail15normal_iteratorINS8_10device_ptrIjEEEESD_jNS1_19radix_merge_compareILb0ELb0EjNS0_19identity_decomposerEEEEE10hipError_tT0_T1_T2_jT3_P12ihipStream_tbPNSt15iterator_traitsISI_E10value_typeEPNSO_ISJ_E10value_typeEPSK_NS1_7vsmem_tEENKUlT_SI_SJ_SK_E_clIPjSD_S10_SD_EESH_SX_SI_SJ_SK_EUlSX_E1_NS1_11comp_targetILNS1_3genE10ELNS1_11target_archE1201ELNS1_3gpuE5ELNS1_3repE0EEENS1_36merge_oddeven_config_static_selectorELNS0_4arch9wavefront6targetE1EEEvSJ_,@function
_ZN7rocprim17ROCPRIM_400000_NS6detail17trampoline_kernelINS0_14default_configENS1_38merge_sort_block_merge_config_selectorIjjEEZZNS1_27merge_sort_block_merge_implIS3_N6thrust23THRUST_200600_302600_NS6detail15normal_iteratorINS8_10device_ptrIjEEEESD_jNS1_19radix_merge_compareILb0ELb0EjNS0_19identity_decomposerEEEEE10hipError_tT0_T1_T2_jT3_P12ihipStream_tbPNSt15iterator_traitsISI_E10value_typeEPNSO_ISJ_E10value_typeEPSK_NS1_7vsmem_tEENKUlT_SI_SJ_SK_E_clIPjSD_S10_SD_EESH_SX_SI_SJ_SK_EUlSX_E1_NS1_11comp_targetILNS1_3genE10ELNS1_11target_archE1201ELNS1_3gpuE5ELNS1_3repE0EEENS1_36merge_oddeven_config_static_selectorELNS0_4arch9wavefront6targetE1EEEvSJ_: ; @_ZN7rocprim17ROCPRIM_400000_NS6detail17trampoline_kernelINS0_14default_configENS1_38merge_sort_block_merge_config_selectorIjjEEZZNS1_27merge_sort_block_merge_implIS3_N6thrust23THRUST_200600_302600_NS6detail15normal_iteratorINS8_10device_ptrIjEEEESD_jNS1_19radix_merge_compareILb0ELb0EjNS0_19identity_decomposerEEEEE10hipError_tT0_T1_T2_jT3_P12ihipStream_tbPNSt15iterator_traitsISI_E10value_typeEPNSO_ISJ_E10value_typeEPSK_NS1_7vsmem_tEENKUlT_SI_SJ_SK_E_clIPjSD_S10_SD_EESH_SX_SI_SJ_SK_EUlSX_E1_NS1_11comp_targetILNS1_3genE10ELNS1_11target_archE1201ELNS1_3gpuE5ELNS1_3repE0EEENS1_36merge_oddeven_config_static_selectorELNS0_4arch9wavefront6targetE1EEEvSJ_
; %bb.0:
	.section	.rodata,"a",@progbits
	.p2align	6, 0x0
	.amdhsa_kernel _ZN7rocprim17ROCPRIM_400000_NS6detail17trampoline_kernelINS0_14default_configENS1_38merge_sort_block_merge_config_selectorIjjEEZZNS1_27merge_sort_block_merge_implIS3_N6thrust23THRUST_200600_302600_NS6detail15normal_iteratorINS8_10device_ptrIjEEEESD_jNS1_19radix_merge_compareILb0ELb0EjNS0_19identity_decomposerEEEEE10hipError_tT0_T1_T2_jT3_P12ihipStream_tbPNSt15iterator_traitsISI_E10value_typeEPNSO_ISJ_E10value_typeEPSK_NS1_7vsmem_tEENKUlT_SI_SJ_SK_E_clIPjSD_S10_SD_EESH_SX_SI_SJ_SK_EUlSX_E1_NS1_11comp_targetILNS1_3genE10ELNS1_11target_archE1201ELNS1_3gpuE5ELNS1_3repE0EEENS1_36merge_oddeven_config_static_selectorELNS0_4arch9wavefront6targetE1EEEvSJ_
		.amdhsa_group_segment_fixed_size 0
		.amdhsa_private_segment_fixed_size 0
		.amdhsa_kernarg_size 48
		.amdhsa_user_sgpr_count 2
		.amdhsa_user_sgpr_dispatch_ptr 0
		.amdhsa_user_sgpr_queue_ptr 0
		.amdhsa_user_sgpr_kernarg_segment_ptr 1
		.amdhsa_user_sgpr_dispatch_id 0
		.amdhsa_user_sgpr_kernarg_preload_length 0
		.amdhsa_user_sgpr_kernarg_preload_offset 0
		.amdhsa_user_sgpr_private_segment_size 0
		.amdhsa_uses_dynamic_stack 0
		.amdhsa_enable_private_segment 0
		.amdhsa_system_sgpr_workgroup_id_x 1
		.amdhsa_system_sgpr_workgroup_id_y 0
		.amdhsa_system_sgpr_workgroup_id_z 0
		.amdhsa_system_sgpr_workgroup_info 0
		.amdhsa_system_vgpr_workitem_id 0
		.amdhsa_next_free_vgpr 1
		.amdhsa_next_free_sgpr 0
		.amdhsa_accum_offset 4
		.amdhsa_reserve_vcc 0
		.amdhsa_float_round_mode_32 0
		.amdhsa_float_round_mode_16_64 0
		.amdhsa_float_denorm_mode_32 3
		.amdhsa_float_denorm_mode_16_64 3
		.amdhsa_dx10_clamp 1
		.amdhsa_ieee_mode 1
		.amdhsa_fp16_overflow 0
		.amdhsa_tg_split 0
		.amdhsa_exception_fp_ieee_invalid_op 0
		.amdhsa_exception_fp_denorm_src 0
		.amdhsa_exception_fp_ieee_div_zero 0
		.amdhsa_exception_fp_ieee_overflow 0
		.amdhsa_exception_fp_ieee_underflow 0
		.amdhsa_exception_fp_ieee_inexact 0
		.amdhsa_exception_int_div_zero 0
	.end_amdhsa_kernel
	.section	.text._ZN7rocprim17ROCPRIM_400000_NS6detail17trampoline_kernelINS0_14default_configENS1_38merge_sort_block_merge_config_selectorIjjEEZZNS1_27merge_sort_block_merge_implIS3_N6thrust23THRUST_200600_302600_NS6detail15normal_iteratorINS8_10device_ptrIjEEEESD_jNS1_19radix_merge_compareILb0ELb0EjNS0_19identity_decomposerEEEEE10hipError_tT0_T1_T2_jT3_P12ihipStream_tbPNSt15iterator_traitsISI_E10value_typeEPNSO_ISJ_E10value_typeEPSK_NS1_7vsmem_tEENKUlT_SI_SJ_SK_E_clIPjSD_S10_SD_EESH_SX_SI_SJ_SK_EUlSX_E1_NS1_11comp_targetILNS1_3genE10ELNS1_11target_archE1201ELNS1_3gpuE5ELNS1_3repE0EEENS1_36merge_oddeven_config_static_selectorELNS0_4arch9wavefront6targetE1EEEvSJ_,"axG",@progbits,_ZN7rocprim17ROCPRIM_400000_NS6detail17trampoline_kernelINS0_14default_configENS1_38merge_sort_block_merge_config_selectorIjjEEZZNS1_27merge_sort_block_merge_implIS3_N6thrust23THRUST_200600_302600_NS6detail15normal_iteratorINS8_10device_ptrIjEEEESD_jNS1_19radix_merge_compareILb0ELb0EjNS0_19identity_decomposerEEEEE10hipError_tT0_T1_T2_jT3_P12ihipStream_tbPNSt15iterator_traitsISI_E10value_typeEPNSO_ISJ_E10value_typeEPSK_NS1_7vsmem_tEENKUlT_SI_SJ_SK_E_clIPjSD_S10_SD_EESH_SX_SI_SJ_SK_EUlSX_E1_NS1_11comp_targetILNS1_3genE10ELNS1_11target_archE1201ELNS1_3gpuE5ELNS1_3repE0EEENS1_36merge_oddeven_config_static_selectorELNS0_4arch9wavefront6targetE1EEEvSJ_,comdat
.Lfunc_end636:
	.size	_ZN7rocprim17ROCPRIM_400000_NS6detail17trampoline_kernelINS0_14default_configENS1_38merge_sort_block_merge_config_selectorIjjEEZZNS1_27merge_sort_block_merge_implIS3_N6thrust23THRUST_200600_302600_NS6detail15normal_iteratorINS8_10device_ptrIjEEEESD_jNS1_19radix_merge_compareILb0ELb0EjNS0_19identity_decomposerEEEEE10hipError_tT0_T1_T2_jT3_P12ihipStream_tbPNSt15iterator_traitsISI_E10value_typeEPNSO_ISJ_E10value_typeEPSK_NS1_7vsmem_tEENKUlT_SI_SJ_SK_E_clIPjSD_S10_SD_EESH_SX_SI_SJ_SK_EUlSX_E1_NS1_11comp_targetILNS1_3genE10ELNS1_11target_archE1201ELNS1_3gpuE5ELNS1_3repE0EEENS1_36merge_oddeven_config_static_selectorELNS0_4arch9wavefront6targetE1EEEvSJ_, .Lfunc_end636-_ZN7rocprim17ROCPRIM_400000_NS6detail17trampoline_kernelINS0_14default_configENS1_38merge_sort_block_merge_config_selectorIjjEEZZNS1_27merge_sort_block_merge_implIS3_N6thrust23THRUST_200600_302600_NS6detail15normal_iteratorINS8_10device_ptrIjEEEESD_jNS1_19radix_merge_compareILb0ELb0EjNS0_19identity_decomposerEEEEE10hipError_tT0_T1_T2_jT3_P12ihipStream_tbPNSt15iterator_traitsISI_E10value_typeEPNSO_ISJ_E10value_typeEPSK_NS1_7vsmem_tEENKUlT_SI_SJ_SK_E_clIPjSD_S10_SD_EESH_SX_SI_SJ_SK_EUlSX_E1_NS1_11comp_targetILNS1_3genE10ELNS1_11target_archE1201ELNS1_3gpuE5ELNS1_3repE0EEENS1_36merge_oddeven_config_static_selectorELNS0_4arch9wavefront6targetE1EEEvSJ_
                                        ; -- End function
	.set _ZN7rocprim17ROCPRIM_400000_NS6detail17trampoline_kernelINS0_14default_configENS1_38merge_sort_block_merge_config_selectorIjjEEZZNS1_27merge_sort_block_merge_implIS3_N6thrust23THRUST_200600_302600_NS6detail15normal_iteratorINS8_10device_ptrIjEEEESD_jNS1_19radix_merge_compareILb0ELb0EjNS0_19identity_decomposerEEEEE10hipError_tT0_T1_T2_jT3_P12ihipStream_tbPNSt15iterator_traitsISI_E10value_typeEPNSO_ISJ_E10value_typeEPSK_NS1_7vsmem_tEENKUlT_SI_SJ_SK_E_clIPjSD_S10_SD_EESH_SX_SI_SJ_SK_EUlSX_E1_NS1_11comp_targetILNS1_3genE10ELNS1_11target_archE1201ELNS1_3gpuE5ELNS1_3repE0EEENS1_36merge_oddeven_config_static_selectorELNS0_4arch9wavefront6targetE1EEEvSJ_.num_vgpr, 0
	.set _ZN7rocprim17ROCPRIM_400000_NS6detail17trampoline_kernelINS0_14default_configENS1_38merge_sort_block_merge_config_selectorIjjEEZZNS1_27merge_sort_block_merge_implIS3_N6thrust23THRUST_200600_302600_NS6detail15normal_iteratorINS8_10device_ptrIjEEEESD_jNS1_19radix_merge_compareILb0ELb0EjNS0_19identity_decomposerEEEEE10hipError_tT0_T1_T2_jT3_P12ihipStream_tbPNSt15iterator_traitsISI_E10value_typeEPNSO_ISJ_E10value_typeEPSK_NS1_7vsmem_tEENKUlT_SI_SJ_SK_E_clIPjSD_S10_SD_EESH_SX_SI_SJ_SK_EUlSX_E1_NS1_11comp_targetILNS1_3genE10ELNS1_11target_archE1201ELNS1_3gpuE5ELNS1_3repE0EEENS1_36merge_oddeven_config_static_selectorELNS0_4arch9wavefront6targetE1EEEvSJ_.num_agpr, 0
	.set _ZN7rocprim17ROCPRIM_400000_NS6detail17trampoline_kernelINS0_14default_configENS1_38merge_sort_block_merge_config_selectorIjjEEZZNS1_27merge_sort_block_merge_implIS3_N6thrust23THRUST_200600_302600_NS6detail15normal_iteratorINS8_10device_ptrIjEEEESD_jNS1_19radix_merge_compareILb0ELb0EjNS0_19identity_decomposerEEEEE10hipError_tT0_T1_T2_jT3_P12ihipStream_tbPNSt15iterator_traitsISI_E10value_typeEPNSO_ISJ_E10value_typeEPSK_NS1_7vsmem_tEENKUlT_SI_SJ_SK_E_clIPjSD_S10_SD_EESH_SX_SI_SJ_SK_EUlSX_E1_NS1_11comp_targetILNS1_3genE10ELNS1_11target_archE1201ELNS1_3gpuE5ELNS1_3repE0EEENS1_36merge_oddeven_config_static_selectorELNS0_4arch9wavefront6targetE1EEEvSJ_.numbered_sgpr, 0
	.set _ZN7rocprim17ROCPRIM_400000_NS6detail17trampoline_kernelINS0_14default_configENS1_38merge_sort_block_merge_config_selectorIjjEEZZNS1_27merge_sort_block_merge_implIS3_N6thrust23THRUST_200600_302600_NS6detail15normal_iteratorINS8_10device_ptrIjEEEESD_jNS1_19radix_merge_compareILb0ELb0EjNS0_19identity_decomposerEEEEE10hipError_tT0_T1_T2_jT3_P12ihipStream_tbPNSt15iterator_traitsISI_E10value_typeEPNSO_ISJ_E10value_typeEPSK_NS1_7vsmem_tEENKUlT_SI_SJ_SK_E_clIPjSD_S10_SD_EESH_SX_SI_SJ_SK_EUlSX_E1_NS1_11comp_targetILNS1_3genE10ELNS1_11target_archE1201ELNS1_3gpuE5ELNS1_3repE0EEENS1_36merge_oddeven_config_static_selectorELNS0_4arch9wavefront6targetE1EEEvSJ_.num_named_barrier, 0
	.set _ZN7rocprim17ROCPRIM_400000_NS6detail17trampoline_kernelINS0_14default_configENS1_38merge_sort_block_merge_config_selectorIjjEEZZNS1_27merge_sort_block_merge_implIS3_N6thrust23THRUST_200600_302600_NS6detail15normal_iteratorINS8_10device_ptrIjEEEESD_jNS1_19radix_merge_compareILb0ELb0EjNS0_19identity_decomposerEEEEE10hipError_tT0_T1_T2_jT3_P12ihipStream_tbPNSt15iterator_traitsISI_E10value_typeEPNSO_ISJ_E10value_typeEPSK_NS1_7vsmem_tEENKUlT_SI_SJ_SK_E_clIPjSD_S10_SD_EESH_SX_SI_SJ_SK_EUlSX_E1_NS1_11comp_targetILNS1_3genE10ELNS1_11target_archE1201ELNS1_3gpuE5ELNS1_3repE0EEENS1_36merge_oddeven_config_static_selectorELNS0_4arch9wavefront6targetE1EEEvSJ_.private_seg_size, 0
	.set _ZN7rocprim17ROCPRIM_400000_NS6detail17trampoline_kernelINS0_14default_configENS1_38merge_sort_block_merge_config_selectorIjjEEZZNS1_27merge_sort_block_merge_implIS3_N6thrust23THRUST_200600_302600_NS6detail15normal_iteratorINS8_10device_ptrIjEEEESD_jNS1_19radix_merge_compareILb0ELb0EjNS0_19identity_decomposerEEEEE10hipError_tT0_T1_T2_jT3_P12ihipStream_tbPNSt15iterator_traitsISI_E10value_typeEPNSO_ISJ_E10value_typeEPSK_NS1_7vsmem_tEENKUlT_SI_SJ_SK_E_clIPjSD_S10_SD_EESH_SX_SI_SJ_SK_EUlSX_E1_NS1_11comp_targetILNS1_3genE10ELNS1_11target_archE1201ELNS1_3gpuE5ELNS1_3repE0EEENS1_36merge_oddeven_config_static_selectorELNS0_4arch9wavefront6targetE1EEEvSJ_.uses_vcc, 0
	.set _ZN7rocprim17ROCPRIM_400000_NS6detail17trampoline_kernelINS0_14default_configENS1_38merge_sort_block_merge_config_selectorIjjEEZZNS1_27merge_sort_block_merge_implIS3_N6thrust23THRUST_200600_302600_NS6detail15normal_iteratorINS8_10device_ptrIjEEEESD_jNS1_19radix_merge_compareILb0ELb0EjNS0_19identity_decomposerEEEEE10hipError_tT0_T1_T2_jT3_P12ihipStream_tbPNSt15iterator_traitsISI_E10value_typeEPNSO_ISJ_E10value_typeEPSK_NS1_7vsmem_tEENKUlT_SI_SJ_SK_E_clIPjSD_S10_SD_EESH_SX_SI_SJ_SK_EUlSX_E1_NS1_11comp_targetILNS1_3genE10ELNS1_11target_archE1201ELNS1_3gpuE5ELNS1_3repE0EEENS1_36merge_oddeven_config_static_selectorELNS0_4arch9wavefront6targetE1EEEvSJ_.uses_flat_scratch, 0
	.set _ZN7rocprim17ROCPRIM_400000_NS6detail17trampoline_kernelINS0_14default_configENS1_38merge_sort_block_merge_config_selectorIjjEEZZNS1_27merge_sort_block_merge_implIS3_N6thrust23THRUST_200600_302600_NS6detail15normal_iteratorINS8_10device_ptrIjEEEESD_jNS1_19radix_merge_compareILb0ELb0EjNS0_19identity_decomposerEEEEE10hipError_tT0_T1_T2_jT3_P12ihipStream_tbPNSt15iterator_traitsISI_E10value_typeEPNSO_ISJ_E10value_typeEPSK_NS1_7vsmem_tEENKUlT_SI_SJ_SK_E_clIPjSD_S10_SD_EESH_SX_SI_SJ_SK_EUlSX_E1_NS1_11comp_targetILNS1_3genE10ELNS1_11target_archE1201ELNS1_3gpuE5ELNS1_3repE0EEENS1_36merge_oddeven_config_static_selectorELNS0_4arch9wavefront6targetE1EEEvSJ_.has_dyn_sized_stack, 0
	.set _ZN7rocprim17ROCPRIM_400000_NS6detail17trampoline_kernelINS0_14default_configENS1_38merge_sort_block_merge_config_selectorIjjEEZZNS1_27merge_sort_block_merge_implIS3_N6thrust23THRUST_200600_302600_NS6detail15normal_iteratorINS8_10device_ptrIjEEEESD_jNS1_19radix_merge_compareILb0ELb0EjNS0_19identity_decomposerEEEEE10hipError_tT0_T1_T2_jT3_P12ihipStream_tbPNSt15iterator_traitsISI_E10value_typeEPNSO_ISJ_E10value_typeEPSK_NS1_7vsmem_tEENKUlT_SI_SJ_SK_E_clIPjSD_S10_SD_EESH_SX_SI_SJ_SK_EUlSX_E1_NS1_11comp_targetILNS1_3genE10ELNS1_11target_archE1201ELNS1_3gpuE5ELNS1_3repE0EEENS1_36merge_oddeven_config_static_selectorELNS0_4arch9wavefront6targetE1EEEvSJ_.has_recursion, 0
	.set _ZN7rocprim17ROCPRIM_400000_NS6detail17trampoline_kernelINS0_14default_configENS1_38merge_sort_block_merge_config_selectorIjjEEZZNS1_27merge_sort_block_merge_implIS3_N6thrust23THRUST_200600_302600_NS6detail15normal_iteratorINS8_10device_ptrIjEEEESD_jNS1_19radix_merge_compareILb0ELb0EjNS0_19identity_decomposerEEEEE10hipError_tT0_T1_T2_jT3_P12ihipStream_tbPNSt15iterator_traitsISI_E10value_typeEPNSO_ISJ_E10value_typeEPSK_NS1_7vsmem_tEENKUlT_SI_SJ_SK_E_clIPjSD_S10_SD_EESH_SX_SI_SJ_SK_EUlSX_E1_NS1_11comp_targetILNS1_3genE10ELNS1_11target_archE1201ELNS1_3gpuE5ELNS1_3repE0EEENS1_36merge_oddeven_config_static_selectorELNS0_4arch9wavefront6targetE1EEEvSJ_.has_indirect_call, 0
	.section	.AMDGPU.csdata,"",@progbits
; Kernel info:
; codeLenInByte = 0
; TotalNumSgprs: 6
; NumVgprs: 0
; NumAgprs: 0
; TotalNumVgprs: 0
; ScratchSize: 0
; MemoryBound: 0
; FloatMode: 240
; IeeeMode: 1
; LDSByteSize: 0 bytes/workgroup (compile time only)
; SGPRBlocks: 0
; VGPRBlocks: 0
; NumSGPRsForWavesPerEU: 6
; NumVGPRsForWavesPerEU: 1
; AccumOffset: 4
; Occupancy: 8
; WaveLimiterHint : 0
; COMPUTE_PGM_RSRC2:SCRATCH_EN: 0
; COMPUTE_PGM_RSRC2:USER_SGPR: 2
; COMPUTE_PGM_RSRC2:TRAP_HANDLER: 0
; COMPUTE_PGM_RSRC2:TGID_X_EN: 1
; COMPUTE_PGM_RSRC2:TGID_Y_EN: 0
; COMPUTE_PGM_RSRC2:TGID_Z_EN: 0
; COMPUTE_PGM_RSRC2:TIDIG_COMP_CNT: 0
; COMPUTE_PGM_RSRC3_GFX90A:ACCUM_OFFSET: 0
; COMPUTE_PGM_RSRC3_GFX90A:TG_SPLIT: 0
	.section	.text._ZN7rocprim17ROCPRIM_400000_NS6detail17trampoline_kernelINS0_14default_configENS1_38merge_sort_block_merge_config_selectorIjjEEZZNS1_27merge_sort_block_merge_implIS3_N6thrust23THRUST_200600_302600_NS6detail15normal_iteratorINS8_10device_ptrIjEEEESD_jNS1_19radix_merge_compareILb0ELb0EjNS0_19identity_decomposerEEEEE10hipError_tT0_T1_T2_jT3_P12ihipStream_tbPNSt15iterator_traitsISI_E10value_typeEPNSO_ISJ_E10value_typeEPSK_NS1_7vsmem_tEENKUlT_SI_SJ_SK_E_clIPjSD_S10_SD_EESH_SX_SI_SJ_SK_EUlSX_E1_NS1_11comp_targetILNS1_3genE5ELNS1_11target_archE942ELNS1_3gpuE9ELNS1_3repE0EEENS1_36merge_oddeven_config_static_selectorELNS0_4arch9wavefront6targetE1EEEvSJ_,"axG",@progbits,_ZN7rocprim17ROCPRIM_400000_NS6detail17trampoline_kernelINS0_14default_configENS1_38merge_sort_block_merge_config_selectorIjjEEZZNS1_27merge_sort_block_merge_implIS3_N6thrust23THRUST_200600_302600_NS6detail15normal_iteratorINS8_10device_ptrIjEEEESD_jNS1_19radix_merge_compareILb0ELb0EjNS0_19identity_decomposerEEEEE10hipError_tT0_T1_T2_jT3_P12ihipStream_tbPNSt15iterator_traitsISI_E10value_typeEPNSO_ISJ_E10value_typeEPSK_NS1_7vsmem_tEENKUlT_SI_SJ_SK_E_clIPjSD_S10_SD_EESH_SX_SI_SJ_SK_EUlSX_E1_NS1_11comp_targetILNS1_3genE5ELNS1_11target_archE942ELNS1_3gpuE9ELNS1_3repE0EEENS1_36merge_oddeven_config_static_selectorELNS0_4arch9wavefront6targetE1EEEvSJ_,comdat
	.protected	_ZN7rocprim17ROCPRIM_400000_NS6detail17trampoline_kernelINS0_14default_configENS1_38merge_sort_block_merge_config_selectorIjjEEZZNS1_27merge_sort_block_merge_implIS3_N6thrust23THRUST_200600_302600_NS6detail15normal_iteratorINS8_10device_ptrIjEEEESD_jNS1_19radix_merge_compareILb0ELb0EjNS0_19identity_decomposerEEEEE10hipError_tT0_T1_T2_jT3_P12ihipStream_tbPNSt15iterator_traitsISI_E10value_typeEPNSO_ISJ_E10value_typeEPSK_NS1_7vsmem_tEENKUlT_SI_SJ_SK_E_clIPjSD_S10_SD_EESH_SX_SI_SJ_SK_EUlSX_E1_NS1_11comp_targetILNS1_3genE5ELNS1_11target_archE942ELNS1_3gpuE9ELNS1_3repE0EEENS1_36merge_oddeven_config_static_selectorELNS0_4arch9wavefront6targetE1EEEvSJ_ ; -- Begin function _ZN7rocprim17ROCPRIM_400000_NS6detail17trampoline_kernelINS0_14default_configENS1_38merge_sort_block_merge_config_selectorIjjEEZZNS1_27merge_sort_block_merge_implIS3_N6thrust23THRUST_200600_302600_NS6detail15normal_iteratorINS8_10device_ptrIjEEEESD_jNS1_19radix_merge_compareILb0ELb0EjNS0_19identity_decomposerEEEEE10hipError_tT0_T1_T2_jT3_P12ihipStream_tbPNSt15iterator_traitsISI_E10value_typeEPNSO_ISJ_E10value_typeEPSK_NS1_7vsmem_tEENKUlT_SI_SJ_SK_E_clIPjSD_S10_SD_EESH_SX_SI_SJ_SK_EUlSX_E1_NS1_11comp_targetILNS1_3genE5ELNS1_11target_archE942ELNS1_3gpuE9ELNS1_3repE0EEENS1_36merge_oddeven_config_static_selectorELNS0_4arch9wavefront6targetE1EEEvSJ_
	.globl	_ZN7rocprim17ROCPRIM_400000_NS6detail17trampoline_kernelINS0_14default_configENS1_38merge_sort_block_merge_config_selectorIjjEEZZNS1_27merge_sort_block_merge_implIS3_N6thrust23THRUST_200600_302600_NS6detail15normal_iteratorINS8_10device_ptrIjEEEESD_jNS1_19radix_merge_compareILb0ELb0EjNS0_19identity_decomposerEEEEE10hipError_tT0_T1_T2_jT3_P12ihipStream_tbPNSt15iterator_traitsISI_E10value_typeEPNSO_ISJ_E10value_typeEPSK_NS1_7vsmem_tEENKUlT_SI_SJ_SK_E_clIPjSD_S10_SD_EESH_SX_SI_SJ_SK_EUlSX_E1_NS1_11comp_targetILNS1_3genE5ELNS1_11target_archE942ELNS1_3gpuE9ELNS1_3repE0EEENS1_36merge_oddeven_config_static_selectorELNS0_4arch9wavefront6targetE1EEEvSJ_
	.p2align	8
	.type	_ZN7rocprim17ROCPRIM_400000_NS6detail17trampoline_kernelINS0_14default_configENS1_38merge_sort_block_merge_config_selectorIjjEEZZNS1_27merge_sort_block_merge_implIS3_N6thrust23THRUST_200600_302600_NS6detail15normal_iteratorINS8_10device_ptrIjEEEESD_jNS1_19radix_merge_compareILb0ELb0EjNS0_19identity_decomposerEEEEE10hipError_tT0_T1_T2_jT3_P12ihipStream_tbPNSt15iterator_traitsISI_E10value_typeEPNSO_ISJ_E10value_typeEPSK_NS1_7vsmem_tEENKUlT_SI_SJ_SK_E_clIPjSD_S10_SD_EESH_SX_SI_SJ_SK_EUlSX_E1_NS1_11comp_targetILNS1_3genE5ELNS1_11target_archE942ELNS1_3gpuE9ELNS1_3repE0EEENS1_36merge_oddeven_config_static_selectorELNS0_4arch9wavefront6targetE1EEEvSJ_,@function
_ZN7rocprim17ROCPRIM_400000_NS6detail17trampoline_kernelINS0_14default_configENS1_38merge_sort_block_merge_config_selectorIjjEEZZNS1_27merge_sort_block_merge_implIS3_N6thrust23THRUST_200600_302600_NS6detail15normal_iteratorINS8_10device_ptrIjEEEESD_jNS1_19radix_merge_compareILb0ELb0EjNS0_19identity_decomposerEEEEE10hipError_tT0_T1_T2_jT3_P12ihipStream_tbPNSt15iterator_traitsISI_E10value_typeEPNSO_ISJ_E10value_typeEPSK_NS1_7vsmem_tEENKUlT_SI_SJ_SK_E_clIPjSD_S10_SD_EESH_SX_SI_SJ_SK_EUlSX_E1_NS1_11comp_targetILNS1_3genE5ELNS1_11target_archE942ELNS1_3gpuE9ELNS1_3repE0EEENS1_36merge_oddeven_config_static_selectorELNS0_4arch9wavefront6targetE1EEEvSJ_: ; @_ZN7rocprim17ROCPRIM_400000_NS6detail17trampoline_kernelINS0_14default_configENS1_38merge_sort_block_merge_config_selectorIjjEEZZNS1_27merge_sort_block_merge_implIS3_N6thrust23THRUST_200600_302600_NS6detail15normal_iteratorINS8_10device_ptrIjEEEESD_jNS1_19radix_merge_compareILb0ELb0EjNS0_19identity_decomposerEEEEE10hipError_tT0_T1_T2_jT3_P12ihipStream_tbPNSt15iterator_traitsISI_E10value_typeEPNSO_ISJ_E10value_typeEPSK_NS1_7vsmem_tEENKUlT_SI_SJ_SK_E_clIPjSD_S10_SD_EESH_SX_SI_SJ_SK_EUlSX_E1_NS1_11comp_targetILNS1_3genE5ELNS1_11target_archE942ELNS1_3gpuE9ELNS1_3repE0EEENS1_36merge_oddeven_config_static_selectorELNS0_4arch9wavefront6targetE1EEEvSJ_
; %bb.0:
	.section	.rodata,"a",@progbits
	.p2align	6, 0x0
	.amdhsa_kernel _ZN7rocprim17ROCPRIM_400000_NS6detail17trampoline_kernelINS0_14default_configENS1_38merge_sort_block_merge_config_selectorIjjEEZZNS1_27merge_sort_block_merge_implIS3_N6thrust23THRUST_200600_302600_NS6detail15normal_iteratorINS8_10device_ptrIjEEEESD_jNS1_19radix_merge_compareILb0ELb0EjNS0_19identity_decomposerEEEEE10hipError_tT0_T1_T2_jT3_P12ihipStream_tbPNSt15iterator_traitsISI_E10value_typeEPNSO_ISJ_E10value_typeEPSK_NS1_7vsmem_tEENKUlT_SI_SJ_SK_E_clIPjSD_S10_SD_EESH_SX_SI_SJ_SK_EUlSX_E1_NS1_11comp_targetILNS1_3genE5ELNS1_11target_archE942ELNS1_3gpuE9ELNS1_3repE0EEENS1_36merge_oddeven_config_static_selectorELNS0_4arch9wavefront6targetE1EEEvSJ_
		.amdhsa_group_segment_fixed_size 0
		.amdhsa_private_segment_fixed_size 0
		.amdhsa_kernarg_size 48
		.amdhsa_user_sgpr_count 2
		.amdhsa_user_sgpr_dispatch_ptr 0
		.amdhsa_user_sgpr_queue_ptr 0
		.amdhsa_user_sgpr_kernarg_segment_ptr 1
		.amdhsa_user_sgpr_dispatch_id 0
		.amdhsa_user_sgpr_kernarg_preload_length 0
		.amdhsa_user_sgpr_kernarg_preload_offset 0
		.amdhsa_user_sgpr_private_segment_size 0
		.amdhsa_uses_dynamic_stack 0
		.amdhsa_enable_private_segment 0
		.amdhsa_system_sgpr_workgroup_id_x 1
		.amdhsa_system_sgpr_workgroup_id_y 0
		.amdhsa_system_sgpr_workgroup_id_z 0
		.amdhsa_system_sgpr_workgroup_info 0
		.amdhsa_system_vgpr_workitem_id 0
		.amdhsa_next_free_vgpr 1
		.amdhsa_next_free_sgpr 0
		.amdhsa_accum_offset 4
		.amdhsa_reserve_vcc 0
		.amdhsa_float_round_mode_32 0
		.amdhsa_float_round_mode_16_64 0
		.amdhsa_float_denorm_mode_32 3
		.amdhsa_float_denorm_mode_16_64 3
		.amdhsa_dx10_clamp 1
		.amdhsa_ieee_mode 1
		.amdhsa_fp16_overflow 0
		.amdhsa_tg_split 0
		.amdhsa_exception_fp_ieee_invalid_op 0
		.amdhsa_exception_fp_denorm_src 0
		.amdhsa_exception_fp_ieee_div_zero 0
		.amdhsa_exception_fp_ieee_overflow 0
		.amdhsa_exception_fp_ieee_underflow 0
		.amdhsa_exception_fp_ieee_inexact 0
		.amdhsa_exception_int_div_zero 0
	.end_amdhsa_kernel
	.section	.text._ZN7rocprim17ROCPRIM_400000_NS6detail17trampoline_kernelINS0_14default_configENS1_38merge_sort_block_merge_config_selectorIjjEEZZNS1_27merge_sort_block_merge_implIS3_N6thrust23THRUST_200600_302600_NS6detail15normal_iteratorINS8_10device_ptrIjEEEESD_jNS1_19radix_merge_compareILb0ELb0EjNS0_19identity_decomposerEEEEE10hipError_tT0_T1_T2_jT3_P12ihipStream_tbPNSt15iterator_traitsISI_E10value_typeEPNSO_ISJ_E10value_typeEPSK_NS1_7vsmem_tEENKUlT_SI_SJ_SK_E_clIPjSD_S10_SD_EESH_SX_SI_SJ_SK_EUlSX_E1_NS1_11comp_targetILNS1_3genE5ELNS1_11target_archE942ELNS1_3gpuE9ELNS1_3repE0EEENS1_36merge_oddeven_config_static_selectorELNS0_4arch9wavefront6targetE1EEEvSJ_,"axG",@progbits,_ZN7rocprim17ROCPRIM_400000_NS6detail17trampoline_kernelINS0_14default_configENS1_38merge_sort_block_merge_config_selectorIjjEEZZNS1_27merge_sort_block_merge_implIS3_N6thrust23THRUST_200600_302600_NS6detail15normal_iteratorINS8_10device_ptrIjEEEESD_jNS1_19radix_merge_compareILb0ELb0EjNS0_19identity_decomposerEEEEE10hipError_tT0_T1_T2_jT3_P12ihipStream_tbPNSt15iterator_traitsISI_E10value_typeEPNSO_ISJ_E10value_typeEPSK_NS1_7vsmem_tEENKUlT_SI_SJ_SK_E_clIPjSD_S10_SD_EESH_SX_SI_SJ_SK_EUlSX_E1_NS1_11comp_targetILNS1_3genE5ELNS1_11target_archE942ELNS1_3gpuE9ELNS1_3repE0EEENS1_36merge_oddeven_config_static_selectorELNS0_4arch9wavefront6targetE1EEEvSJ_,comdat
.Lfunc_end637:
	.size	_ZN7rocprim17ROCPRIM_400000_NS6detail17trampoline_kernelINS0_14default_configENS1_38merge_sort_block_merge_config_selectorIjjEEZZNS1_27merge_sort_block_merge_implIS3_N6thrust23THRUST_200600_302600_NS6detail15normal_iteratorINS8_10device_ptrIjEEEESD_jNS1_19radix_merge_compareILb0ELb0EjNS0_19identity_decomposerEEEEE10hipError_tT0_T1_T2_jT3_P12ihipStream_tbPNSt15iterator_traitsISI_E10value_typeEPNSO_ISJ_E10value_typeEPSK_NS1_7vsmem_tEENKUlT_SI_SJ_SK_E_clIPjSD_S10_SD_EESH_SX_SI_SJ_SK_EUlSX_E1_NS1_11comp_targetILNS1_3genE5ELNS1_11target_archE942ELNS1_3gpuE9ELNS1_3repE0EEENS1_36merge_oddeven_config_static_selectorELNS0_4arch9wavefront6targetE1EEEvSJ_, .Lfunc_end637-_ZN7rocprim17ROCPRIM_400000_NS6detail17trampoline_kernelINS0_14default_configENS1_38merge_sort_block_merge_config_selectorIjjEEZZNS1_27merge_sort_block_merge_implIS3_N6thrust23THRUST_200600_302600_NS6detail15normal_iteratorINS8_10device_ptrIjEEEESD_jNS1_19radix_merge_compareILb0ELb0EjNS0_19identity_decomposerEEEEE10hipError_tT0_T1_T2_jT3_P12ihipStream_tbPNSt15iterator_traitsISI_E10value_typeEPNSO_ISJ_E10value_typeEPSK_NS1_7vsmem_tEENKUlT_SI_SJ_SK_E_clIPjSD_S10_SD_EESH_SX_SI_SJ_SK_EUlSX_E1_NS1_11comp_targetILNS1_3genE5ELNS1_11target_archE942ELNS1_3gpuE9ELNS1_3repE0EEENS1_36merge_oddeven_config_static_selectorELNS0_4arch9wavefront6targetE1EEEvSJ_
                                        ; -- End function
	.set _ZN7rocprim17ROCPRIM_400000_NS6detail17trampoline_kernelINS0_14default_configENS1_38merge_sort_block_merge_config_selectorIjjEEZZNS1_27merge_sort_block_merge_implIS3_N6thrust23THRUST_200600_302600_NS6detail15normal_iteratorINS8_10device_ptrIjEEEESD_jNS1_19radix_merge_compareILb0ELb0EjNS0_19identity_decomposerEEEEE10hipError_tT0_T1_T2_jT3_P12ihipStream_tbPNSt15iterator_traitsISI_E10value_typeEPNSO_ISJ_E10value_typeEPSK_NS1_7vsmem_tEENKUlT_SI_SJ_SK_E_clIPjSD_S10_SD_EESH_SX_SI_SJ_SK_EUlSX_E1_NS1_11comp_targetILNS1_3genE5ELNS1_11target_archE942ELNS1_3gpuE9ELNS1_3repE0EEENS1_36merge_oddeven_config_static_selectorELNS0_4arch9wavefront6targetE1EEEvSJ_.num_vgpr, 0
	.set _ZN7rocprim17ROCPRIM_400000_NS6detail17trampoline_kernelINS0_14default_configENS1_38merge_sort_block_merge_config_selectorIjjEEZZNS1_27merge_sort_block_merge_implIS3_N6thrust23THRUST_200600_302600_NS6detail15normal_iteratorINS8_10device_ptrIjEEEESD_jNS1_19radix_merge_compareILb0ELb0EjNS0_19identity_decomposerEEEEE10hipError_tT0_T1_T2_jT3_P12ihipStream_tbPNSt15iterator_traitsISI_E10value_typeEPNSO_ISJ_E10value_typeEPSK_NS1_7vsmem_tEENKUlT_SI_SJ_SK_E_clIPjSD_S10_SD_EESH_SX_SI_SJ_SK_EUlSX_E1_NS1_11comp_targetILNS1_3genE5ELNS1_11target_archE942ELNS1_3gpuE9ELNS1_3repE0EEENS1_36merge_oddeven_config_static_selectorELNS0_4arch9wavefront6targetE1EEEvSJ_.num_agpr, 0
	.set _ZN7rocprim17ROCPRIM_400000_NS6detail17trampoline_kernelINS0_14default_configENS1_38merge_sort_block_merge_config_selectorIjjEEZZNS1_27merge_sort_block_merge_implIS3_N6thrust23THRUST_200600_302600_NS6detail15normal_iteratorINS8_10device_ptrIjEEEESD_jNS1_19radix_merge_compareILb0ELb0EjNS0_19identity_decomposerEEEEE10hipError_tT0_T1_T2_jT3_P12ihipStream_tbPNSt15iterator_traitsISI_E10value_typeEPNSO_ISJ_E10value_typeEPSK_NS1_7vsmem_tEENKUlT_SI_SJ_SK_E_clIPjSD_S10_SD_EESH_SX_SI_SJ_SK_EUlSX_E1_NS1_11comp_targetILNS1_3genE5ELNS1_11target_archE942ELNS1_3gpuE9ELNS1_3repE0EEENS1_36merge_oddeven_config_static_selectorELNS0_4arch9wavefront6targetE1EEEvSJ_.numbered_sgpr, 0
	.set _ZN7rocprim17ROCPRIM_400000_NS6detail17trampoline_kernelINS0_14default_configENS1_38merge_sort_block_merge_config_selectorIjjEEZZNS1_27merge_sort_block_merge_implIS3_N6thrust23THRUST_200600_302600_NS6detail15normal_iteratorINS8_10device_ptrIjEEEESD_jNS1_19radix_merge_compareILb0ELb0EjNS0_19identity_decomposerEEEEE10hipError_tT0_T1_T2_jT3_P12ihipStream_tbPNSt15iterator_traitsISI_E10value_typeEPNSO_ISJ_E10value_typeEPSK_NS1_7vsmem_tEENKUlT_SI_SJ_SK_E_clIPjSD_S10_SD_EESH_SX_SI_SJ_SK_EUlSX_E1_NS1_11comp_targetILNS1_3genE5ELNS1_11target_archE942ELNS1_3gpuE9ELNS1_3repE0EEENS1_36merge_oddeven_config_static_selectorELNS0_4arch9wavefront6targetE1EEEvSJ_.num_named_barrier, 0
	.set _ZN7rocprim17ROCPRIM_400000_NS6detail17trampoline_kernelINS0_14default_configENS1_38merge_sort_block_merge_config_selectorIjjEEZZNS1_27merge_sort_block_merge_implIS3_N6thrust23THRUST_200600_302600_NS6detail15normal_iteratorINS8_10device_ptrIjEEEESD_jNS1_19radix_merge_compareILb0ELb0EjNS0_19identity_decomposerEEEEE10hipError_tT0_T1_T2_jT3_P12ihipStream_tbPNSt15iterator_traitsISI_E10value_typeEPNSO_ISJ_E10value_typeEPSK_NS1_7vsmem_tEENKUlT_SI_SJ_SK_E_clIPjSD_S10_SD_EESH_SX_SI_SJ_SK_EUlSX_E1_NS1_11comp_targetILNS1_3genE5ELNS1_11target_archE942ELNS1_3gpuE9ELNS1_3repE0EEENS1_36merge_oddeven_config_static_selectorELNS0_4arch9wavefront6targetE1EEEvSJ_.private_seg_size, 0
	.set _ZN7rocprim17ROCPRIM_400000_NS6detail17trampoline_kernelINS0_14default_configENS1_38merge_sort_block_merge_config_selectorIjjEEZZNS1_27merge_sort_block_merge_implIS3_N6thrust23THRUST_200600_302600_NS6detail15normal_iteratorINS8_10device_ptrIjEEEESD_jNS1_19radix_merge_compareILb0ELb0EjNS0_19identity_decomposerEEEEE10hipError_tT0_T1_T2_jT3_P12ihipStream_tbPNSt15iterator_traitsISI_E10value_typeEPNSO_ISJ_E10value_typeEPSK_NS1_7vsmem_tEENKUlT_SI_SJ_SK_E_clIPjSD_S10_SD_EESH_SX_SI_SJ_SK_EUlSX_E1_NS1_11comp_targetILNS1_3genE5ELNS1_11target_archE942ELNS1_3gpuE9ELNS1_3repE0EEENS1_36merge_oddeven_config_static_selectorELNS0_4arch9wavefront6targetE1EEEvSJ_.uses_vcc, 0
	.set _ZN7rocprim17ROCPRIM_400000_NS6detail17trampoline_kernelINS0_14default_configENS1_38merge_sort_block_merge_config_selectorIjjEEZZNS1_27merge_sort_block_merge_implIS3_N6thrust23THRUST_200600_302600_NS6detail15normal_iteratorINS8_10device_ptrIjEEEESD_jNS1_19radix_merge_compareILb0ELb0EjNS0_19identity_decomposerEEEEE10hipError_tT0_T1_T2_jT3_P12ihipStream_tbPNSt15iterator_traitsISI_E10value_typeEPNSO_ISJ_E10value_typeEPSK_NS1_7vsmem_tEENKUlT_SI_SJ_SK_E_clIPjSD_S10_SD_EESH_SX_SI_SJ_SK_EUlSX_E1_NS1_11comp_targetILNS1_3genE5ELNS1_11target_archE942ELNS1_3gpuE9ELNS1_3repE0EEENS1_36merge_oddeven_config_static_selectorELNS0_4arch9wavefront6targetE1EEEvSJ_.uses_flat_scratch, 0
	.set _ZN7rocprim17ROCPRIM_400000_NS6detail17trampoline_kernelINS0_14default_configENS1_38merge_sort_block_merge_config_selectorIjjEEZZNS1_27merge_sort_block_merge_implIS3_N6thrust23THRUST_200600_302600_NS6detail15normal_iteratorINS8_10device_ptrIjEEEESD_jNS1_19radix_merge_compareILb0ELb0EjNS0_19identity_decomposerEEEEE10hipError_tT0_T1_T2_jT3_P12ihipStream_tbPNSt15iterator_traitsISI_E10value_typeEPNSO_ISJ_E10value_typeEPSK_NS1_7vsmem_tEENKUlT_SI_SJ_SK_E_clIPjSD_S10_SD_EESH_SX_SI_SJ_SK_EUlSX_E1_NS1_11comp_targetILNS1_3genE5ELNS1_11target_archE942ELNS1_3gpuE9ELNS1_3repE0EEENS1_36merge_oddeven_config_static_selectorELNS0_4arch9wavefront6targetE1EEEvSJ_.has_dyn_sized_stack, 0
	.set _ZN7rocprim17ROCPRIM_400000_NS6detail17trampoline_kernelINS0_14default_configENS1_38merge_sort_block_merge_config_selectorIjjEEZZNS1_27merge_sort_block_merge_implIS3_N6thrust23THRUST_200600_302600_NS6detail15normal_iteratorINS8_10device_ptrIjEEEESD_jNS1_19radix_merge_compareILb0ELb0EjNS0_19identity_decomposerEEEEE10hipError_tT0_T1_T2_jT3_P12ihipStream_tbPNSt15iterator_traitsISI_E10value_typeEPNSO_ISJ_E10value_typeEPSK_NS1_7vsmem_tEENKUlT_SI_SJ_SK_E_clIPjSD_S10_SD_EESH_SX_SI_SJ_SK_EUlSX_E1_NS1_11comp_targetILNS1_3genE5ELNS1_11target_archE942ELNS1_3gpuE9ELNS1_3repE0EEENS1_36merge_oddeven_config_static_selectorELNS0_4arch9wavefront6targetE1EEEvSJ_.has_recursion, 0
	.set _ZN7rocprim17ROCPRIM_400000_NS6detail17trampoline_kernelINS0_14default_configENS1_38merge_sort_block_merge_config_selectorIjjEEZZNS1_27merge_sort_block_merge_implIS3_N6thrust23THRUST_200600_302600_NS6detail15normal_iteratorINS8_10device_ptrIjEEEESD_jNS1_19radix_merge_compareILb0ELb0EjNS0_19identity_decomposerEEEEE10hipError_tT0_T1_T2_jT3_P12ihipStream_tbPNSt15iterator_traitsISI_E10value_typeEPNSO_ISJ_E10value_typeEPSK_NS1_7vsmem_tEENKUlT_SI_SJ_SK_E_clIPjSD_S10_SD_EESH_SX_SI_SJ_SK_EUlSX_E1_NS1_11comp_targetILNS1_3genE5ELNS1_11target_archE942ELNS1_3gpuE9ELNS1_3repE0EEENS1_36merge_oddeven_config_static_selectorELNS0_4arch9wavefront6targetE1EEEvSJ_.has_indirect_call, 0
	.section	.AMDGPU.csdata,"",@progbits
; Kernel info:
; codeLenInByte = 0
; TotalNumSgprs: 6
; NumVgprs: 0
; NumAgprs: 0
; TotalNumVgprs: 0
; ScratchSize: 0
; MemoryBound: 0
; FloatMode: 240
; IeeeMode: 1
; LDSByteSize: 0 bytes/workgroup (compile time only)
; SGPRBlocks: 0
; VGPRBlocks: 0
; NumSGPRsForWavesPerEU: 6
; NumVGPRsForWavesPerEU: 1
; AccumOffset: 4
; Occupancy: 8
; WaveLimiterHint : 0
; COMPUTE_PGM_RSRC2:SCRATCH_EN: 0
; COMPUTE_PGM_RSRC2:USER_SGPR: 2
; COMPUTE_PGM_RSRC2:TRAP_HANDLER: 0
; COMPUTE_PGM_RSRC2:TGID_X_EN: 1
; COMPUTE_PGM_RSRC2:TGID_Y_EN: 0
; COMPUTE_PGM_RSRC2:TGID_Z_EN: 0
; COMPUTE_PGM_RSRC2:TIDIG_COMP_CNT: 0
; COMPUTE_PGM_RSRC3_GFX90A:ACCUM_OFFSET: 0
; COMPUTE_PGM_RSRC3_GFX90A:TG_SPLIT: 0
	.section	.text._ZN7rocprim17ROCPRIM_400000_NS6detail17trampoline_kernelINS0_14default_configENS1_38merge_sort_block_merge_config_selectorIjjEEZZNS1_27merge_sort_block_merge_implIS3_N6thrust23THRUST_200600_302600_NS6detail15normal_iteratorINS8_10device_ptrIjEEEESD_jNS1_19radix_merge_compareILb0ELb0EjNS0_19identity_decomposerEEEEE10hipError_tT0_T1_T2_jT3_P12ihipStream_tbPNSt15iterator_traitsISI_E10value_typeEPNSO_ISJ_E10value_typeEPSK_NS1_7vsmem_tEENKUlT_SI_SJ_SK_E_clIPjSD_S10_SD_EESH_SX_SI_SJ_SK_EUlSX_E1_NS1_11comp_targetILNS1_3genE4ELNS1_11target_archE910ELNS1_3gpuE8ELNS1_3repE0EEENS1_36merge_oddeven_config_static_selectorELNS0_4arch9wavefront6targetE1EEEvSJ_,"axG",@progbits,_ZN7rocprim17ROCPRIM_400000_NS6detail17trampoline_kernelINS0_14default_configENS1_38merge_sort_block_merge_config_selectorIjjEEZZNS1_27merge_sort_block_merge_implIS3_N6thrust23THRUST_200600_302600_NS6detail15normal_iteratorINS8_10device_ptrIjEEEESD_jNS1_19radix_merge_compareILb0ELb0EjNS0_19identity_decomposerEEEEE10hipError_tT0_T1_T2_jT3_P12ihipStream_tbPNSt15iterator_traitsISI_E10value_typeEPNSO_ISJ_E10value_typeEPSK_NS1_7vsmem_tEENKUlT_SI_SJ_SK_E_clIPjSD_S10_SD_EESH_SX_SI_SJ_SK_EUlSX_E1_NS1_11comp_targetILNS1_3genE4ELNS1_11target_archE910ELNS1_3gpuE8ELNS1_3repE0EEENS1_36merge_oddeven_config_static_selectorELNS0_4arch9wavefront6targetE1EEEvSJ_,comdat
	.protected	_ZN7rocprim17ROCPRIM_400000_NS6detail17trampoline_kernelINS0_14default_configENS1_38merge_sort_block_merge_config_selectorIjjEEZZNS1_27merge_sort_block_merge_implIS3_N6thrust23THRUST_200600_302600_NS6detail15normal_iteratorINS8_10device_ptrIjEEEESD_jNS1_19radix_merge_compareILb0ELb0EjNS0_19identity_decomposerEEEEE10hipError_tT0_T1_T2_jT3_P12ihipStream_tbPNSt15iterator_traitsISI_E10value_typeEPNSO_ISJ_E10value_typeEPSK_NS1_7vsmem_tEENKUlT_SI_SJ_SK_E_clIPjSD_S10_SD_EESH_SX_SI_SJ_SK_EUlSX_E1_NS1_11comp_targetILNS1_3genE4ELNS1_11target_archE910ELNS1_3gpuE8ELNS1_3repE0EEENS1_36merge_oddeven_config_static_selectorELNS0_4arch9wavefront6targetE1EEEvSJ_ ; -- Begin function _ZN7rocprim17ROCPRIM_400000_NS6detail17trampoline_kernelINS0_14default_configENS1_38merge_sort_block_merge_config_selectorIjjEEZZNS1_27merge_sort_block_merge_implIS3_N6thrust23THRUST_200600_302600_NS6detail15normal_iteratorINS8_10device_ptrIjEEEESD_jNS1_19radix_merge_compareILb0ELb0EjNS0_19identity_decomposerEEEEE10hipError_tT0_T1_T2_jT3_P12ihipStream_tbPNSt15iterator_traitsISI_E10value_typeEPNSO_ISJ_E10value_typeEPSK_NS1_7vsmem_tEENKUlT_SI_SJ_SK_E_clIPjSD_S10_SD_EESH_SX_SI_SJ_SK_EUlSX_E1_NS1_11comp_targetILNS1_3genE4ELNS1_11target_archE910ELNS1_3gpuE8ELNS1_3repE0EEENS1_36merge_oddeven_config_static_selectorELNS0_4arch9wavefront6targetE1EEEvSJ_
	.globl	_ZN7rocprim17ROCPRIM_400000_NS6detail17trampoline_kernelINS0_14default_configENS1_38merge_sort_block_merge_config_selectorIjjEEZZNS1_27merge_sort_block_merge_implIS3_N6thrust23THRUST_200600_302600_NS6detail15normal_iteratorINS8_10device_ptrIjEEEESD_jNS1_19radix_merge_compareILb0ELb0EjNS0_19identity_decomposerEEEEE10hipError_tT0_T1_T2_jT3_P12ihipStream_tbPNSt15iterator_traitsISI_E10value_typeEPNSO_ISJ_E10value_typeEPSK_NS1_7vsmem_tEENKUlT_SI_SJ_SK_E_clIPjSD_S10_SD_EESH_SX_SI_SJ_SK_EUlSX_E1_NS1_11comp_targetILNS1_3genE4ELNS1_11target_archE910ELNS1_3gpuE8ELNS1_3repE0EEENS1_36merge_oddeven_config_static_selectorELNS0_4arch9wavefront6targetE1EEEvSJ_
	.p2align	8
	.type	_ZN7rocprim17ROCPRIM_400000_NS6detail17trampoline_kernelINS0_14default_configENS1_38merge_sort_block_merge_config_selectorIjjEEZZNS1_27merge_sort_block_merge_implIS3_N6thrust23THRUST_200600_302600_NS6detail15normal_iteratorINS8_10device_ptrIjEEEESD_jNS1_19radix_merge_compareILb0ELb0EjNS0_19identity_decomposerEEEEE10hipError_tT0_T1_T2_jT3_P12ihipStream_tbPNSt15iterator_traitsISI_E10value_typeEPNSO_ISJ_E10value_typeEPSK_NS1_7vsmem_tEENKUlT_SI_SJ_SK_E_clIPjSD_S10_SD_EESH_SX_SI_SJ_SK_EUlSX_E1_NS1_11comp_targetILNS1_3genE4ELNS1_11target_archE910ELNS1_3gpuE8ELNS1_3repE0EEENS1_36merge_oddeven_config_static_selectorELNS0_4arch9wavefront6targetE1EEEvSJ_,@function
_ZN7rocprim17ROCPRIM_400000_NS6detail17trampoline_kernelINS0_14default_configENS1_38merge_sort_block_merge_config_selectorIjjEEZZNS1_27merge_sort_block_merge_implIS3_N6thrust23THRUST_200600_302600_NS6detail15normal_iteratorINS8_10device_ptrIjEEEESD_jNS1_19radix_merge_compareILb0ELb0EjNS0_19identity_decomposerEEEEE10hipError_tT0_T1_T2_jT3_P12ihipStream_tbPNSt15iterator_traitsISI_E10value_typeEPNSO_ISJ_E10value_typeEPSK_NS1_7vsmem_tEENKUlT_SI_SJ_SK_E_clIPjSD_S10_SD_EESH_SX_SI_SJ_SK_EUlSX_E1_NS1_11comp_targetILNS1_3genE4ELNS1_11target_archE910ELNS1_3gpuE8ELNS1_3repE0EEENS1_36merge_oddeven_config_static_selectorELNS0_4arch9wavefront6targetE1EEEvSJ_: ; @_ZN7rocprim17ROCPRIM_400000_NS6detail17trampoline_kernelINS0_14default_configENS1_38merge_sort_block_merge_config_selectorIjjEEZZNS1_27merge_sort_block_merge_implIS3_N6thrust23THRUST_200600_302600_NS6detail15normal_iteratorINS8_10device_ptrIjEEEESD_jNS1_19radix_merge_compareILb0ELb0EjNS0_19identity_decomposerEEEEE10hipError_tT0_T1_T2_jT3_P12ihipStream_tbPNSt15iterator_traitsISI_E10value_typeEPNSO_ISJ_E10value_typeEPSK_NS1_7vsmem_tEENKUlT_SI_SJ_SK_E_clIPjSD_S10_SD_EESH_SX_SI_SJ_SK_EUlSX_E1_NS1_11comp_targetILNS1_3genE4ELNS1_11target_archE910ELNS1_3gpuE8ELNS1_3repE0EEENS1_36merge_oddeven_config_static_selectorELNS0_4arch9wavefront6targetE1EEEvSJ_
; %bb.0:
	.section	.rodata,"a",@progbits
	.p2align	6, 0x0
	.amdhsa_kernel _ZN7rocprim17ROCPRIM_400000_NS6detail17trampoline_kernelINS0_14default_configENS1_38merge_sort_block_merge_config_selectorIjjEEZZNS1_27merge_sort_block_merge_implIS3_N6thrust23THRUST_200600_302600_NS6detail15normal_iteratorINS8_10device_ptrIjEEEESD_jNS1_19radix_merge_compareILb0ELb0EjNS0_19identity_decomposerEEEEE10hipError_tT0_T1_T2_jT3_P12ihipStream_tbPNSt15iterator_traitsISI_E10value_typeEPNSO_ISJ_E10value_typeEPSK_NS1_7vsmem_tEENKUlT_SI_SJ_SK_E_clIPjSD_S10_SD_EESH_SX_SI_SJ_SK_EUlSX_E1_NS1_11comp_targetILNS1_3genE4ELNS1_11target_archE910ELNS1_3gpuE8ELNS1_3repE0EEENS1_36merge_oddeven_config_static_selectorELNS0_4arch9wavefront6targetE1EEEvSJ_
		.amdhsa_group_segment_fixed_size 0
		.amdhsa_private_segment_fixed_size 0
		.amdhsa_kernarg_size 48
		.amdhsa_user_sgpr_count 2
		.amdhsa_user_sgpr_dispatch_ptr 0
		.amdhsa_user_sgpr_queue_ptr 0
		.amdhsa_user_sgpr_kernarg_segment_ptr 1
		.amdhsa_user_sgpr_dispatch_id 0
		.amdhsa_user_sgpr_kernarg_preload_length 0
		.amdhsa_user_sgpr_kernarg_preload_offset 0
		.amdhsa_user_sgpr_private_segment_size 0
		.amdhsa_uses_dynamic_stack 0
		.amdhsa_enable_private_segment 0
		.amdhsa_system_sgpr_workgroup_id_x 1
		.amdhsa_system_sgpr_workgroup_id_y 0
		.amdhsa_system_sgpr_workgroup_id_z 0
		.amdhsa_system_sgpr_workgroup_info 0
		.amdhsa_system_vgpr_workitem_id 0
		.amdhsa_next_free_vgpr 1
		.amdhsa_next_free_sgpr 0
		.amdhsa_accum_offset 4
		.amdhsa_reserve_vcc 0
		.amdhsa_float_round_mode_32 0
		.amdhsa_float_round_mode_16_64 0
		.amdhsa_float_denorm_mode_32 3
		.amdhsa_float_denorm_mode_16_64 3
		.amdhsa_dx10_clamp 1
		.amdhsa_ieee_mode 1
		.amdhsa_fp16_overflow 0
		.amdhsa_tg_split 0
		.amdhsa_exception_fp_ieee_invalid_op 0
		.amdhsa_exception_fp_denorm_src 0
		.amdhsa_exception_fp_ieee_div_zero 0
		.amdhsa_exception_fp_ieee_overflow 0
		.amdhsa_exception_fp_ieee_underflow 0
		.amdhsa_exception_fp_ieee_inexact 0
		.amdhsa_exception_int_div_zero 0
	.end_amdhsa_kernel
	.section	.text._ZN7rocprim17ROCPRIM_400000_NS6detail17trampoline_kernelINS0_14default_configENS1_38merge_sort_block_merge_config_selectorIjjEEZZNS1_27merge_sort_block_merge_implIS3_N6thrust23THRUST_200600_302600_NS6detail15normal_iteratorINS8_10device_ptrIjEEEESD_jNS1_19radix_merge_compareILb0ELb0EjNS0_19identity_decomposerEEEEE10hipError_tT0_T1_T2_jT3_P12ihipStream_tbPNSt15iterator_traitsISI_E10value_typeEPNSO_ISJ_E10value_typeEPSK_NS1_7vsmem_tEENKUlT_SI_SJ_SK_E_clIPjSD_S10_SD_EESH_SX_SI_SJ_SK_EUlSX_E1_NS1_11comp_targetILNS1_3genE4ELNS1_11target_archE910ELNS1_3gpuE8ELNS1_3repE0EEENS1_36merge_oddeven_config_static_selectorELNS0_4arch9wavefront6targetE1EEEvSJ_,"axG",@progbits,_ZN7rocprim17ROCPRIM_400000_NS6detail17trampoline_kernelINS0_14default_configENS1_38merge_sort_block_merge_config_selectorIjjEEZZNS1_27merge_sort_block_merge_implIS3_N6thrust23THRUST_200600_302600_NS6detail15normal_iteratorINS8_10device_ptrIjEEEESD_jNS1_19radix_merge_compareILb0ELb0EjNS0_19identity_decomposerEEEEE10hipError_tT0_T1_T2_jT3_P12ihipStream_tbPNSt15iterator_traitsISI_E10value_typeEPNSO_ISJ_E10value_typeEPSK_NS1_7vsmem_tEENKUlT_SI_SJ_SK_E_clIPjSD_S10_SD_EESH_SX_SI_SJ_SK_EUlSX_E1_NS1_11comp_targetILNS1_3genE4ELNS1_11target_archE910ELNS1_3gpuE8ELNS1_3repE0EEENS1_36merge_oddeven_config_static_selectorELNS0_4arch9wavefront6targetE1EEEvSJ_,comdat
.Lfunc_end638:
	.size	_ZN7rocprim17ROCPRIM_400000_NS6detail17trampoline_kernelINS0_14default_configENS1_38merge_sort_block_merge_config_selectorIjjEEZZNS1_27merge_sort_block_merge_implIS3_N6thrust23THRUST_200600_302600_NS6detail15normal_iteratorINS8_10device_ptrIjEEEESD_jNS1_19radix_merge_compareILb0ELb0EjNS0_19identity_decomposerEEEEE10hipError_tT0_T1_T2_jT3_P12ihipStream_tbPNSt15iterator_traitsISI_E10value_typeEPNSO_ISJ_E10value_typeEPSK_NS1_7vsmem_tEENKUlT_SI_SJ_SK_E_clIPjSD_S10_SD_EESH_SX_SI_SJ_SK_EUlSX_E1_NS1_11comp_targetILNS1_3genE4ELNS1_11target_archE910ELNS1_3gpuE8ELNS1_3repE0EEENS1_36merge_oddeven_config_static_selectorELNS0_4arch9wavefront6targetE1EEEvSJ_, .Lfunc_end638-_ZN7rocprim17ROCPRIM_400000_NS6detail17trampoline_kernelINS0_14default_configENS1_38merge_sort_block_merge_config_selectorIjjEEZZNS1_27merge_sort_block_merge_implIS3_N6thrust23THRUST_200600_302600_NS6detail15normal_iteratorINS8_10device_ptrIjEEEESD_jNS1_19radix_merge_compareILb0ELb0EjNS0_19identity_decomposerEEEEE10hipError_tT0_T1_T2_jT3_P12ihipStream_tbPNSt15iterator_traitsISI_E10value_typeEPNSO_ISJ_E10value_typeEPSK_NS1_7vsmem_tEENKUlT_SI_SJ_SK_E_clIPjSD_S10_SD_EESH_SX_SI_SJ_SK_EUlSX_E1_NS1_11comp_targetILNS1_3genE4ELNS1_11target_archE910ELNS1_3gpuE8ELNS1_3repE0EEENS1_36merge_oddeven_config_static_selectorELNS0_4arch9wavefront6targetE1EEEvSJ_
                                        ; -- End function
	.set _ZN7rocprim17ROCPRIM_400000_NS6detail17trampoline_kernelINS0_14default_configENS1_38merge_sort_block_merge_config_selectorIjjEEZZNS1_27merge_sort_block_merge_implIS3_N6thrust23THRUST_200600_302600_NS6detail15normal_iteratorINS8_10device_ptrIjEEEESD_jNS1_19radix_merge_compareILb0ELb0EjNS0_19identity_decomposerEEEEE10hipError_tT0_T1_T2_jT3_P12ihipStream_tbPNSt15iterator_traitsISI_E10value_typeEPNSO_ISJ_E10value_typeEPSK_NS1_7vsmem_tEENKUlT_SI_SJ_SK_E_clIPjSD_S10_SD_EESH_SX_SI_SJ_SK_EUlSX_E1_NS1_11comp_targetILNS1_3genE4ELNS1_11target_archE910ELNS1_3gpuE8ELNS1_3repE0EEENS1_36merge_oddeven_config_static_selectorELNS0_4arch9wavefront6targetE1EEEvSJ_.num_vgpr, 0
	.set _ZN7rocprim17ROCPRIM_400000_NS6detail17trampoline_kernelINS0_14default_configENS1_38merge_sort_block_merge_config_selectorIjjEEZZNS1_27merge_sort_block_merge_implIS3_N6thrust23THRUST_200600_302600_NS6detail15normal_iteratorINS8_10device_ptrIjEEEESD_jNS1_19radix_merge_compareILb0ELb0EjNS0_19identity_decomposerEEEEE10hipError_tT0_T1_T2_jT3_P12ihipStream_tbPNSt15iterator_traitsISI_E10value_typeEPNSO_ISJ_E10value_typeEPSK_NS1_7vsmem_tEENKUlT_SI_SJ_SK_E_clIPjSD_S10_SD_EESH_SX_SI_SJ_SK_EUlSX_E1_NS1_11comp_targetILNS1_3genE4ELNS1_11target_archE910ELNS1_3gpuE8ELNS1_3repE0EEENS1_36merge_oddeven_config_static_selectorELNS0_4arch9wavefront6targetE1EEEvSJ_.num_agpr, 0
	.set _ZN7rocprim17ROCPRIM_400000_NS6detail17trampoline_kernelINS0_14default_configENS1_38merge_sort_block_merge_config_selectorIjjEEZZNS1_27merge_sort_block_merge_implIS3_N6thrust23THRUST_200600_302600_NS6detail15normal_iteratorINS8_10device_ptrIjEEEESD_jNS1_19radix_merge_compareILb0ELb0EjNS0_19identity_decomposerEEEEE10hipError_tT0_T1_T2_jT3_P12ihipStream_tbPNSt15iterator_traitsISI_E10value_typeEPNSO_ISJ_E10value_typeEPSK_NS1_7vsmem_tEENKUlT_SI_SJ_SK_E_clIPjSD_S10_SD_EESH_SX_SI_SJ_SK_EUlSX_E1_NS1_11comp_targetILNS1_3genE4ELNS1_11target_archE910ELNS1_3gpuE8ELNS1_3repE0EEENS1_36merge_oddeven_config_static_selectorELNS0_4arch9wavefront6targetE1EEEvSJ_.numbered_sgpr, 0
	.set _ZN7rocprim17ROCPRIM_400000_NS6detail17trampoline_kernelINS0_14default_configENS1_38merge_sort_block_merge_config_selectorIjjEEZZNS1_27merge_sort_block_merge_implIS3_N6thrust23THRUST_200600_302600_NS6detail15normal_iteratorINS8_10device_ptrIjEEEESD_jNS1_19radix_merge_compareILb0ELb0EjNS0_19identity_decomposerEEEEE10hipError_tT0_T1_T2_jT3_P12ihipStream_tbPNSt15iterator_traitsISI_E10value_typeEPNSO_ISJ_E10value_typeEPSK_NS1_7vsmem_tEENKUlT_SI_SJ_SK_E_clIPjSD_S10_SD_EESH_SX_SI_SJ_SK_EUlSX_E1_NS1_11comp_targetILNS1_3genE4ELNS1_11target_archE910ELNS1_3gpuE8ELNS1_3repE0EEENS1_36merge_oddeven_config_static_selectorELNS0_4arch9wavefront6targetE1EEEvSJ_.num_named_barrier, 0
	.set _ZN7rocprim17ROCPRIM_400000_NS6detail17trampoline_kernelINS0_14default_configENS1_38merge_sort_block_merge_config_selectorIjjEEZZNS1_27merge_sort_block_merge_implIS3_N6thrust23THRUST_200600_302600_NS6detail15normal_iteratorINS8_10device_ptrIjEEEESD_jNS1_19radix_merge_compareILb0ELb0EjNS0_19identity_decomposerEEEEE10hipError_tT0_T1_T2_jT3_P12ihipStream_tbPNSt15iterator_traitsISI_E10value_typeEPNSO_ISJ_E10value_typeEPSK_NS1_7vsmem_tEENKUlT_SI_SJ_SK_E_clIPjSD_S10_SD_EESH_SX_SI_SJ_SK_EUlSX_E1_NS1_11comp_targetILNS1_3genE4ELNS1_11target_archE910ELNS1_3gpuE8ELNS1_3repE0EEENS1_36merge_oddeven_config_static_selectorELNS0_4arch9wavefront6targetE1EEEvSJ_.private_seg_size, 0
	.set _ZN7rocprim17ROCPRIM_400000_NS6detail17trampoline_kernelINS0_14default_configENS1_38merge_sort_block_merge_config_selectorIjjEEZZNS1_27merge_sort_block_merge_implIS3_N6thrust23THRUST_200600_302600_NS6detail15normal_iteratorINS8_10device_ptrIjEEEESD_jNS1_19radix_merge_compareILb0ELb0EjNS0_19identity_decomposerEEEEE10hipError_tT0_T1_T2_jT3_P12ihipStream_tbPNSt15iterator_traitsISI_E10value_typeEPNSO_ISJ_E10value_typeEPSK_NS1_7vsmem_tEENKUlT_SI_SJ_SK_E_clIPjSD_S10_SD_EESH_SX_SI_SJ_SK_EUlSX_E1_NS1_11comp_targetILNS1_3genE4ELNS1_11target_archE910ELNS1_3gpuE8ELNS1_3repE0EEENS1_36merge_oddeven_config_static_selectorELNS0_4arch9wavefront6targetE1EEEvSJ_.uses_vcc, 0
	.set _ZN7rocprim17ROCPRIM_400000_NS6detail17trampoline_kernelINS0_14default_configENS1_38merge_sort_block_merge_config_selectorIjjEEZZNS1_27merge_sort_block_merge_implIS3_N6thrust23THRUST_200600_302600_NS6detail15normal_iteratorINS8_10device_ptrIjEEEESD_jNS1_19radix_merge_compareILb0ELb0EjNS0_19identity_decomposerEEEEE10hipError_tT0_T1_T2_jT3_P12ihipStream_tbPNSt15iterator_traitsISI_E10value_typeEPNSO_ISJ_E10value_typeEPSK_NS1_7vsmem_tEENKUlT_SI_SJ_SK_E_clIPjSD_S10_SD_EESH_SX_SI_SJ_SK_EUlSX_E1_NS1_11comp_targetILNS1_3genE4ELNS1_11target_archE910ELNS1_3gpuE8ELNS1_3repE0EEENS1_36merge_oddeven_config_static_selectorELNS0_4arch9wavefront6targetE1EEEvSJ_.uses_flat_scratch, 0
	.set _ZN7rocprim17ROCPRIM_400000_NS6detail17trampoline_kernelINS0_14default_configENS1_38merge_sort_block_merge_config_selectorIjjEEZZNS1_27merge_sort_block_merge_implIS3_N6thrust23THRUST_200600_302600_NS6detail15normal_iteratorINS8_10device_ptrIjEEEESD_jNS1_19radix_merge_compareILb0ELb0EjNS0_19identity_decomposerEEEEE10hipError_tT0_T1_T2_jT3_P12ihipStream_tbPNSt15iterator_traitsISI_E10value_typeEPNSO_ISJ_E10value_typeEPSK_NS1_7vsmem_tEENKUlT_SI_SJ_SK_E_clIPjSD_S10_SD_EESH_SX_SI_SJ_SK_EUlSX_E1_NS1_11comp_targetILNS1_3genE4ELNS1_11target_archE910ELNS1_3gpuE8ELNS1_3repE0EEENS1_36merge_oddeven_config_static_selectorELNS0_4arch9wavefront6targetE1EEEvSJ_.has_dyn_sized_stack, 0
	.set _ZN7rocprim17ROCPRIM_400000_NS6detail17trampoline_kernelINS0_14default_configENS1_38merge_sort_block_merge_config_selectorIjjEEZZNS1_27merge_sort_block_merge_implIS3_N6thrust23THRUST_200600_302600_NS6detail15normal_iteratorINS8_10device_ptrIjEEEESD_jNS1_19radix_merge_compareILb0ELb0EjNS0_19identity_decomposerEEEEE10hipError_tT0_T1_T2_jT3_P12ihipStream_tbPNSt15iterator_traitsISI_E10value_typeEPNSO_ISJ_E10value_typeEPSK_NS1_7vsmem_tEENKUlT_SI_SJ_SK_E_clIPjSD_S10_SD_EESH_SX_SI_SJ_SK_EUlSX_E1_NS1_11comp_targetILNS1_3genE4ELNS1_11target_archE910ELNS1_3gpuE8ELNS1_3repE0EEENS1_36merge_oddeven_config_static_selectorELNS0_4arch9wavefront6targetE1EEEvSJ_.has_recursion, 0
	.set _ZN7rocprim17ROCPRIM_400000_NS6detail17trampoline_kernelINS0_14default_configENS1_38merge_sort_block_merge_config_selectorIjjEEZZNS1_27merge_sort_block_merge_implIS3_N6thrust23THRUST_200600_302600_NS6detail15normal_iteratorINS8_10device_ptrIjEEEESD_jNS1_19radix_merge_compareILb0ELb0EjNS0_19identity_decomposerEEEEE10hipError_tT0_T1_T2_jT3_P12ihipStream_tbPNSt15iterator_traitsISI_E10value_typeEPNSO_ISJ_E10value_typeEPSK_NS1_7vsmem_tEENKUlT_SI_SJ_SK_E_clIPjSD_S10_SD_EESH_SX_SI_SJ_SK_EUlSX_E1_NS1_11comp_targetILNS1_3genE4ELNS1_11target_archE910ELNS1_3gpuE8ELNS1_3repE0EEENS1_36merge_oddeven_config_static_selectorELNS0_4arch9wavefront6targetE1EEEvSJ_.has_indirect_call, 0
	.section	.AMDGPU.csdata,"",@progbits
; Kernel info:
; codeLenInByte = 0
; TotalNumSgprs: 6
; NumVgprs: 0
; NumAgprs: 0
; TotalNumVgprs: 0
; ScratchSize: 0
; MemoryBound: 0
; FloatMode: 240
; IeeeMode: 1
; LDSByteSize: 0 bytes/workgroup (compile time only)
; SGPRBlocks: 0
; VGPRBlocks: 0
; NumSGPRsForWavesPerEU: 6
; NumVGPRsForWavesPerEU: 1
; AccumOffset: 4
; Occupancy: 8
; WaveLimiterHint : 0
; COMPUTE_PGM_RSRC2:SCRATCH_EN: 0
; COMPUTE_PGM_RSRC2:USER_SGPR: 2
; COMPUTE_PGM_RSRC2:TRAP_HANDLER: 0
; COMPUTE_PGM_RSRC2:TGID_X_EN: 1
; COMPUTE_PGM_RSRC2:TGID_Y_EN: 0
; COMPUTE_PGM_RSRC2:TGID_Z_EN: 0
; COMPUTE_PGM_RSRC2:TIDIG_COMP_CNT: 0
; COMPUTE_PGM_RSRC3_GFX90A:ACCUM_OFFSET: 0
; COMPUTE_PGM_RSRC3_GFX90A:TG_SPLIT: 0
	.section	.text._ZN7rocprim17ROCPRIM_400000_NS6detail17trampoline_kernelINS0_14default_configENS1_38merge_sort_block_merge_config_selectorIjjEEZZNS1_27merge_sort_block_merge_implIS3_N6thrust23THRUST_200600_302600_NS6detail15normal_iteratorINS8_10device_ptrIjEEEESD_jNS1_19radix_merge_compareILb0ELb0EjNS0_19identity_decomposerEEEEE10hipError_tT0_T1_T2_jT3_P12ihipStream_tbPNSt15iterator_traitsISI_E10value_typeEPNSO_ISJ_E10value_typeEPSK_NS1_7vsmem_tEENKUlT_SI_SJ_SK_E_clIPjSD_S10_SD_EESH_SX_SI_SJ_SK_EUlSX_E1_NS1_11comp_targetILNS1_3genE3ELNS1_11target_archE908ELNS1_3gpuE7ELNS1_3repE0EEENS1_36merge_oddeven_config_static_selectorELNS0_4arch9wavefront6targetE1EEEvSJ_,"axG",@progbits,_ZN7rocprim17ROCPRIM_400000_NS6detail17trampoline_kernelINS0_14default_configENS1_38merge_sort_block_merge_config_selectorIjjEEZZNS1_27merge_sort_block_merge_implIS3_N6thrust23THRUST_200600_302600_NS6detail15normal_iteratorINS8_10device_ptrIjEEEESD_jNS1_19radix_merge_compareILb0ELb0EjNS0_19identity_decomposerEEEEE10hipError_tT0_T1_T2_jT3_P12ihipStream_tbPNSt15iterator_traitsISI_E10value_typeEPNSO_ISJ_E10value_typeEPSK_NS1_7vsmem_tEENKUlT_SI_SJ_SK_E_clIPjSD_S10_SD_EESH_SX_SI_SJ_SK_EUlSX_E1_NS1_11comp_targetILNS1_3genE3ELNS1_11target_archE908ELNS1_3gpuE7ELNS1_3repE0EEENS1_36merge_oddeven_config_static_selectorELNS0_4arch9wavefront6targetE1EEEvSJ_,comdat
	.protected	_ZN7rocprim17ROCPRIM_400000_NS6detail17trampoline_kernelINS0_14default_configENS1_38merge_sort_block_merge_config_selectorIjjEEZZNS1_27merge_sort_block_merge_implIS3_N6thrust23THRUST_200600_302600_NS6detail15normal_iteratorINS8_10device_ptrIjEEEESD_jNS1_19radix_merge_compareILb0ELb0EjNS0_19identity_decomposerEEEEE10hipError_tT0_T1_T2_jT3_P12ihipStream_tbPNSt15iterator_traitsISI_E10value_typeEPNSO_ISJ_E10value_typeEPSK_NS1_7vsmem_tEENKUlT_SI_SJ_SK_E_clIPjSD_S10_SD_EESH_SX_SI_SJ_SK_EUlSX_E1_NS1_11comp_targetILNS1_3genE3ELNS1_11target_archE908ELNS1_3gpuE7ELNS1_3repE0EEENS1_36merge_oddeven_config_static_selectorELNS0_4arch9wavefront6targetE1EEEvSJ_ ; -- Begin function _ZN7rocprim17ROCPRIM_400000_NS6detail17trampoline_kernelINS0_14default_configENS1_38merge_sort_block_merge_config_selectorIjjEEZZNS1_27merge_sort_block_merge_implIS3_N6thrust23THRUST_200600_302600_NS6detail15normal_iteratorINS8_10device_ptrIjEEEESD_jNS1_19radix_merge_compareILb0ELb0EjNS0_19identity_decomposerEEEEE10hipError_tT0_T1_T2_jT3_P12ihipStream_tbPNSt15iterator_traitsISI_E10value_typeEPNSO_ISJ_E10value_typeEPSK_NS1_7vsmem_tEENKUlT_SI_SJ_SK_E_clIPjSD_S10_SD_EESH_SX_SI_SJ_SK_EUlSX_E1_NS1_11comp_targetILNS1_3genE3ELNS1_11target_archE908ELNS1_3gpuE7ELNS1_3repE0EEENS1_36merge_oddeven_config_static_selectorELNS0_4arch9wavefront6targetE1EEEvSJ_
	.globl	_ZN7rocprim17ROCPRIM_400000_NS6detail17trampoline_kernelINS0_14default_configENS1_38merge_sort_block_merge_config_selectorIjjEEZZNS1_27merge_sort_block_merge_implIS3_N6thrust23THRUST_200600_302600_NS6detail15normal_iteratorINS8_10device_ptrIjEEEESD_jNS1_19radix_merge_compareILb0ELb0EjNS0_19identity_decomposerEEEEE10hipError_tT0_T1_T2_jT3_P12ihipStream_tbPNSt15iterator_traitsISI_E10value_typeEPNSO_ISJ_E10value_typeEPSK_NS1_7vsmem_tEENKUlT_SI_SJ_SK_E_clIPjSD_S10_SD_EESH_SX_SI_SJ_SK_EUlSX_E1_NS1_11comp_targetILNS1_3genE3ELNS1_11target_archE908ELNS1_3gpuE7ELNS1_3repE0EEENS1_36merge_oddeven_config_static_selectorELNS0_4arch9wavefront6targetE1EEEvSJ_
	.p2align	8
	.type	_ZN7rocprim17ROCPRIM_400000_NS6detail17trampoline_kernelINS0_14default_configENS1_38merge_sort_block_merge_config_selectorIjjEEZZNS1_27merge_sort_block_merge_implIS3_N6thrust23THRUST_200600_302600_NS6detail15normal_iteratorINS8_10device_ptrIjEEEESD_jNS1_19radix_merge_compareILb0ELb0EjNS0_19identity_decomposerEEEEE10hipError_tT0_T1_T2_jT3_P12ihipStream_tbPNSt15iterator_traitsISI_E10value_typeEPNSO_ISJ_E10value_typeEPSK_NS1_7vsmem_tEENKUlT_SI_SJ_SK_E_clIPjSD_S10_SD_EESH_SX_SI_SJ_SK_EUlSX_E1_NS1_11comp_targetILNS1_3genE3ELNS1_11target_archE908ELNS1_3gpuE7ELNS1_3repE0EEENS1_36merge_oddeven_config_static_selectorELNS0_4arch9wavefront6targetE1EEEvSJ_,@function
_ZN7rocprim17ROCPRIM_400000_NS6detail17trampoline_kernelINS0_14default_configENS1_38merge_sort_block_merge_config_selectorIjjEEZZNS1_27merge_sort_block_merge_implIS3_N6thrust23THRUST_200600_302600_NS6detail15normal_iteratorINS8_10device_ptrIjEEEESD_jNS1_19radix_merge_compareILb0ELb0EjNS0_19identity_decomposerEEEEE10hipError_tT0_T1_T2_jT3_P12ihipStream_tbPNSt15iterator_traitsISI_E10value_typeEPNSO_ISJ_E10value_typeEPSK_NS1_7vsmem_tEENKUlT_SI_SJ_SK_E_clIPjSD_S10_SD_EESH_SX_SI_SJ_SK_EUlSX_E1_NS1_11comp_targetILNS1_3genE3ELNS1_11target_archE908ELNS1_3gpuE7ELNS1_3repE0EEENS1_36merge_oddeven_config_static_selectorELNS0_4arch9wavefront6targetE1EEEvSJ_: ; @_ZN7rocprim17ROCPRIM_400000_NS6detail17trampoline_kernelINS0_14default_configENS1_38merge_sort_block_merge_config_selectorIjjEEZZNS1_27merge_sort_block_merge_implIS3_N6thrust23THRUST_200600_302600_NS6detail15normal_iteratorINS8_10device_ptrIjEEEESD_jNS1_19radix_merge_compareILb0ELb0EjNS0_19identity_decomposerEEEEE10hipError_tT0_T1_T2_jT3_P12ihipStream_tbPNSt15iterator_traitsISI_E10value_typeEPNSO_ISJ_E10value_typeEPSK_NS1_7vsmem_tEENKUlT_SI_SJ_SK_E_clIPjSD_S10_SD_EESH_SX_SI_SJ_SK_EUlSX_E1_NS1_11comp_targetILNS1_3genE3ELNS1_11target_archE908ELNS1_3gpuE7ELNS1_3repE0EEENS1_36merge_oddeven_config_static_selectorELNS0_4arch9wavefront6targetE1EEEvSJ_
; %bb.0:
	.section	.rodata,"a",@progbits
	.p2align	6, 0x0
	.amdhsa_kernel _ZN7rocprim17ROCPRIM_400000_NS6detail17trampoline_kernelINS0_14default_configENS1_38merge_sort_block_merge_config_selectorIjjEEZZNS1_27merge_sort_block_merge_implIS3_N6thrust23THRUST_200600_302600_NS6detail15normal_iteratorINS8_10device_ptrIjEEEESD_jNS1_19radix_merge_compareILb0ELb0EjNS0_19identity_decomposerEEEEE10hipError_tT0_T1_T2_jT3_P12ihipStream_tbPNSt15iterator_traitsISI_E10value_typeEPNSO_ISJ_E10value_typeEPSK_NS1_7vsmem_tEENKUlT_SI_SJ_SK_E_clIPjSD_S10_SD_EESH_SX_SI_SJ_SK_EUlSX_E1_NS1_11comp_targetILNS1_3genE3ELNS1_11target_archE908ELNS1_3gpuE7ELNS1_3repE0EEENS1_36merge_oddeven_config_static_selectorELNS0_4arch9wavefront6targetE1EEEvSJ_
		.amdhsa_group_segment_fixed_size 0
		.amdhsa_private_segment_fixed_size 0
		.amdhsa_kernarg_size 48
		.amdhsa_user_sgpr_count 2
		.amdhsa_user_sgpr_dispatch_ptr 0
		.amdhsa_user_sgpr_queue_ptr 0
		.amdhsa_user_sgpr_kernarg_segment_ptr 1
		.amdhsa_user_sgpr_dispatch_id 0
		.amdhsa_user_sgpr_kernarg_preload_length 0
		.amdhsa_user_sgpr_kernarg_preload_offset 0
		.amdhsa_user_sgpr_private_segment_size 0
		.amdhsa_uses_dynamic_stack 0
		.amdhsa_enable_private_segment 0
		.amdhsa_system_sgpr_workgroup_id_x 1
		.amdhsa_system_sgpr_workgroup_id_y 0
		.amdhsa_system_sgpr_workgroup_id_z 0
		.amdhsa_system_sgpr_workgroup_info 0
		.amdhsa_system_vgpr_workitem_id 0
		.amdhsa_next_free_vgpr 1
		.amdhsa_next_free_sgpr 0
		.amdhsa_accum_offset 4
		.amdhsa_reserve_vcc 0
		.amdhsa_float_round_mode_32 0
		.amdhsa_float_round_mode_16_64 0
		.amdhsa_float_denorm_mode_32 3
		.amdhsa_float_denorm_mode_16_64 3
		.amdhsa_dx10_clamp 1
		.amdhsa_ieee_mode 1
		.amdhsa_fp16_overflow 0
		.amdhsa_tg_split 0
		.amdhsa_exception_fp_ieee_invalid_op 0
		.amdhsa_exception_fp_denorm_src 0
		.amdhsa_exception_fp_ieee_div_zero 0
		.amdhsa_exception_fp_ieee_overflow 0
		.amdhsa_exception_fp_ieee_underflow 0
		.amdhsa_exception_fp_ieee_inexact 0
		.amdhsa_exception_int_div_zero 0
	.end_amdhsa_kernel
	.section	.text._ZN7rocprim17ROCPRIM_400000_NS6detail17trampoline_kernelINS0_14default_configENS1_38merge_sort_block_merge_config_selectorIjjEEZZNS1_27merge_sort_block_merge_implIS3_N6thrust23THRUST_200600_302600_NS6detail15normal_iteratorINS8_10device_ptrIjEEEESD_jNS1_19radix_merge_compareILb0ELb0EjNS0_19identity_decomposerEEEEE10hipError_tT0_T1_T2_jT3_P12ihipStream_tbPNSt15iterator_traitsISI_E10value_typeEPNSO_ISJ_E10value_typeEPSK_NS1_7vsmem_tEENKUlT_SI_SJ_SK_E_clIPjSD_S10_SD_EESH_SX_SI_SJ_SK_EUlSX_E1_NS1_11comp_targetILNS1_3genE3ELNS1_11target_archE908ELNS1_3gpuE7ELNS1_3repE0EEENS1_36merge_oddeven_config_static_selectorELNS0_4arch9wavefront6targetE1EEEvSJ_,"axG",@progbits,_ZN7rocprim17ROCPRIM_400000_NS6detail17trampoline_kernelINS0_14default_configENS1_38merge_sort_block_merge_config_selectorIjjEEZZNS1_27merge_sort_block_merge_implIS3_N6thrust23THRUST_200600_302600_NS6detail15normal_iteratorINS8_10device_ptrIjEEEESD_jNS1_19radix_merge_compareILb0ELb0EjNS0_19identity_decomposerEEEEE10hipError_tT0_T1_T2_jT3_P12ihipStream_tbPNSt15iterator_traitsISI_E10value_typeEPNSO_ISJ_E10value_typeEPSK_NS1_7vsmem_tEENKUlT_SI_SJ_SK_E_clIPjSD_S10_SD_EESH_SX_SI_SJ_SK_EUlSX_E1_NS1_11comp_targetILNS1_3genE3ELNS1_11target_archE908ELNS1_3gpuE7ELNS1_3repE0EEENS1_36merge_oddeven_config_static_selectorELNS0_4arch9wavefront6targetE1EEEvSJ_,comdat
.Lfunc_end639:
	.size	_ZN7rocprim17ROCPRIM_400000_NS6detail17trampoline_kernelINS0_14default_configENS1_38merge_sort_block_merge_config_selectorIjjEEZZNS1_27merge_sort_block_merge_implIS3_N6thrust23THRUST_200600_302600_NS6detail15normal_iteratorINS8_10device_ptrIjEEEESD_jNS1_19radix_merge_compareILb0ELb0EjNS0_19identity_decomposerEEEEE10hipError_tT0_T1_T2_jT3_P12ihipStream_tbPNSt15iterator_traitsISI_E10value_typeEPNSO_ISJ_E10value_typeEPSK_NS1_7vsmem_tEENKUlT_SI_SJ_SK_E_clIPjSD_S10_SD_EESH_SX_SI_SJ_SK_EUlSX_E1_NS1_11comp_targetILNS1_3genE3ELNS1_11target_archE908ELNS1_3gpuE7ELNS1_3repE0EEENS1_36merge_oddeven_config_static_selectorELNS0_4arch9wavefront6targetE1EEEvSJ_, .Lfunc_end639-_ZN7rocprim17ROCPRIM_400000_NS6detail17trampoline_kernelINS0_14default_configENS1_38merge_sort_block_merge_config_selectorIjjEEZZNS1_27merge_sort_block_merge_implIS3_N6thrust23THRUST_200600_302600_NS6detail15normal_iteratorINS8_10device_ptrIjEEEESD_jNS1_19radix_merge_compareILb0ELb0EjNS0_19identity_decomposerEEEEE10hipError_tT0_T1_T2_jT3_P12ihipStream_tbPNSt15iterator_traitsISI_E10value_typeEPNSO_ISJ_E10value_typeEPSK_NS1_7vsmem_tEENKUlT_SI_SJ_SK_E_clIPjSD_S10_SD_EESH_SX_SI_SJ_SK_EUlSX_E1_NS1_11comp_targetILNS1_3genE3ELNS1_11target_archE908ELNS1_3gpuE7ELNS1_3repE0EEENS1_36merge_oddeven_config_static_selectorELNS0_4arch9wavefront6targetE1EEEvSJ_
                                        ; -- End function
	.set _ZN7rocprim17ROCPRIM_400000_NS6detail17trampoline_kernelINS0_14default_configENS1_38merge_sort_block_merge_config_selectorIjjEEZZNS1_27merge_sort_block_merge_implIS3_N6thrust23THRUST_200600_302600_NS6detail15normal_iteratorINS8_10device_ptrIjEEEESD_jNS1_19radix_merge_compareILb0ELb0EjNS0_19identity_decomposerEEEEE10hipError_tT0_T1_T2_jT3_P12ihipStream_tbPNSt15iterator_traitsISI_E10value_typeEPNSO_ISJ_E10value_typeEPSK_NS1_7vsmem_tEENKUlT_SI_SJ_SK_E_clIPjSD_S10_SD_EESH_SX_SI_SJ_SK_EUlSX_E1_NS1_11comp_targetILNS1_3genE3ELNS1_11target_archE908ELNS1_3gpuE7ELNS1_3repE0EEENS1_36merge_oddeven_config_static_selectorELNS0_4arch9wavefront6targetE1EEEvSJ_.num_vgpr, 0
	.set _ZN7rocprim17ROCPRIM_400000_NS6detail17trampoline_kernelINS0_14default_configENS1_38merge_sort_block_merge_config_selectorIjjEEZZNS1_27merge_sort_block_merge_implIS3_N6thrust23THRUST_200600_302600_NS6detail15normal_iteratorINS8_10device_ptrIjEEEESD_jNS1_19radix_merge_compareILb0ELb0EjNS0_19identity_decomposerEEEEE10hipError_tT0_T1_T2_jT3_P12ihipStream_tbPNSt15iterator_traitsISI_E10value_typeEPNSO_ISJ_E10value_typeEPSK_NS1_7vsmem_tEENKUlT_SI_SJ_SK_E_clIPjSD_S10_SD_EESH_SX_SI_SJ_SK_EUlSX_E1_NS1_11comp_targetILNS1_3genE3ELNS1_11target_archE908ELNS1_3gpuE7ELNS1_3repE0EEENS1_36merge_oddeven_config_static_selectorELNS0_4arch9wavefront6targetE1EEEvSJ_.num_agpr, 0
	.set _ZN7rocprim17ROCPRIM_400000_NS6detail17trampoline_kernelINS0_14default_configENS1_38merge_sort_block_merge_config_selectorIjjEEZZNS1_27merge_sort_block_merge_implIS3_N6thrust23THRUST_200600_302600_NS6detail15normal_iteratorINS8_10device_ptrIjEEEESD_jNS1_19radix_merge_compareILb0ELb0EjNS0_19identity_decomposerEEEEE10hipError_tT0_T1_T2_jT3_P12ihipStream_tbPNSt15iterator_traitsISI_E10value_typeEPNSO_ISJ_E10value_typeEPSK_NS1_7vsmem_tEENKUlT_SI_SJ_SK_E_clIPjSD_S10_SD_EESH_SX_SI_SJ_SK_EUlSX_E1_NS1_11comp_targetILNS1_3genE3ELNS1_11target_archE908ELNS1_3gpuE7ELNS1_3repE0EEENS1_36merge_oddeven_config_static_selectorELNS0_4arch9wavefront6targetE1EEEvSJ_.numbered_sgpr, 0
	.set _ZN7rocprim17ROCPRIM_400000_NS6detail17trampoline_kernelINS0_14default_configENS1_38merge_sort_block_merge_config_selectorIjjEEZZNS1_27merge_sort_block_merge_implIS3_N6thrust23THRUST_200600_302600_NS6detail15normal_iteratorINS8_10device_ptrIjEEEESD_jNS1_19radix_merge_compareILb0ELb0EjNS0_19identity_decomposerEEEEE10hipError_tT0_T1_T2_jT3_P12ihipStream_tbPNSt15iterator_traitsISI_E10value_typeEPNSO_ISJ_E10value_typeEPSK_NS1_7vsmem_tEENKUlT_SI_SJ_SK_E_clIPjSD_S10_SD_EESH_SX_SI_SJ_SK_EUlSX_E1_NS1_11comp_targetILNS1_3genE3ELNS1_11target_archE908ELNS1_3gpuE7ELNS1_3repE0EEENS1_36merge_oddeven_config_static_selectorELNS0_4arch9wavefront6targetE1EEEvSJ_.num_named_barrier, 0
	.set _ZN7rocprim17ROCPRIM_400000_NS6detail17trampoline_kernelINS0_14default_configENS1_38merge_sort_block_merge_config_selectorIjjEEZZNS1_27merge_sort_block_merge_implIS3_N6thrust23THRUST_200600_302600_NS6detail15normal_iteratorINS8_10device_ptrIjEEEESD_jNS1_19radix_merge_compareILb0ELb0EjNS0_19identity_decomposerEEEEE10hipError_tT0_T1_T2_jT3_P12ihipStream_tbPNSt15iterator_traitsISI_E10value_typeEPNSO_ISJ_E10value_typeEPSK_NS1_7vsmem_tEENKUlT_SI_SJ_SK_E_clIPjSD_S10_SD_EESH_SX_SI_SJ_SK_EUlSX_E1_NS1_11comp_targetILNS1_3genE3ELNS1_11target_archE908ELNS1_3gpuE7ELNS1_3repE0EEENS1_36merge_oddeven_config_static_selectorELNS0_4arch9wavefront6targetE1EEEvSJ_.private_seg_size, 0
	.set _ZN7rocprim17ROCPRIM_400000_NS6detail17trampoline_kernelINS0_14default_configENS1_38merge_sort_block_merge_config_selectorIjjEEZZNS1_27merge_sort_block_merge_implIS3_N6thrust23THRUST_200600_302600_NS6detail15normal_iteratorINS8_10device_ptrIjEEEESD_jNS1_19radix_merge_compareILb0ELb0EjNS0_19identity_decomposerEEEEE10hipError_tT0_T1_T2_jT3_P12ihipStream_tbPNSt15iterator_traitsISI_E10value_typeEPNSO_ISJ_E10value_typeEPSK_NS1_7vsmem_tEENKUlT_SI_SJ_SK_E_clIPjSD_S10_SD_EESH_SX_SI_SJ_SK_EUlSX_E1_NS1_11comp_targetILNS1_3genE3ELNS1_11target_archE908ELNS1_3gpuE7ELNS1_3repE0EEENS1_36merge_oddeven_config_static_selectorELNS0_4arch9wavefront6targetE1EEEvSJ_.uses_vcc, 0
	.set _ZN7rocprim17ROCPRIM_400000_NS6detail17trampoline_kernelINS0_14default_configENS1_38merge_sort_block_merge_config_selectorIjjEEZZNS1_27merge_sort_block_merge_implIS3_N6thrust23THRUST_200600_302600_NS6detail15normal_iteratorINS8_10device_ptrIjEEEESD_jNS1_19radix_merge_compareILb0ELb0EjNS0_19identity_decomposerEEEEE10hipError_tT0_T1_T2_jT3_P12ihipStream_tbPNSt15iterator_traitsISI_E10value_typeEPNSO_ISJ_E10value_typeEPSK_NS1_7vsmem_tEENKUlT_SI_SJ_SK_E_clIPjSD_S10_SD_EESH_SX_SI_SJ_SK_EUlSX_E1_NS1_11comp_targetILNS1_3genE3ELNS1_11target_archE908ELNS1_3gpuE7ELNS1_3repE0EEENS1_36merge_oddeven_config_static_selectorELNS0_4arch9wavefront6targetE1EEEvSJ_.uses_flat_scratch, 0
	.set _ZN7rocprim17ROCPRIM_400000_NS6detail17trampoline_kernelINS0_14default_configENS1_38merge_sort_block_merge_config_selectorIjjEEZZNS1_27merge_sort_block_merge_implIS3_N6thrust23THRUST_200600_302600_NS6detail15normal_iteratorINS8_10device_ptrIjEEEESD_jNS1_19radix_merge_compareILb0ELb0EjNS0_19identity_decomposerEEEEE10hipError_tT0_T1_T2_jT3_P12ihipStream_tbPNSt15iterator_traitsISI_E10value_typeEPNSO_ISJ_E10value_typeEPSK_NS1_7vsmem_tEENKUlT_SI_SJ_SK_E_clIPjSD_S10_SD_EESH_SX_SI_SJ_SK_EUlSX_E1_NS1_11comp_targetILNS1_3genE3ELNS1_11target_archE908ELNS1_3gpuE7ELNS1_3repE0EEENS1_36merge_oddeven_config_static_selectorELNS0_4arch9wavefront6targetE1EEEvSJ_.has_dyn_sized_stack, 0
	.set _ZN7rocprim17ROCPRIM_400000_NS6detail17trampoline_kernelINS0_14default_configENS1_38merge_sort_block_merge_config_selectorIjjEEZZNS1_27merge_sort_block_merge_implIS3_N6thrust23THRUST_200600_302600_NS6detail15normal_iteratorINS8_10device_ptrIjEEEESD_jNS1_19radix_merge_compareILb0ELb0EjNS0_19identity_decomposerEEEEE10hipError_tT0_T1_T2_jT3_P12ihipStream_tbPNSt15iterator_traitsISI_E10value_typeEPNSO_ISJ_E10value_typeEPSK_NS1_7vsmem_tEENKUlT_SI_SJ_SK_E_clIPjSD_S10_SD_EESH_SX_SI_SJ_SK_EUlSX_E1_NS1_11comp_targetILNS1_3genE3ELNS1_11target_archE908ELNS1_3gpuE7ELNS1_3repE0EEENS1_36merge_oddeven_config_static_selectorELNS0_4arch9wavefront6targetE1EEEvSJ_.has_recursion, 0
	.set _ZN7rocprim17ROCPRIM_400000_NS6detail17trampoline_kernelINS0_14default_configENS1_38merge_sort_block_merge_config_selectorIjjEEZZNS1_27merge_sort_block_merge_implIS3_N6thrust23THRUST_200600_302600_NS6detail15normal_iteratorINS8_10device_ptrIjEEEESD_jNS1_19radix_merge_compareILb0ELb0EjNS0_19identity_decomposerEEEEE10hipError_tT0_T1_T2_jT3_P12ihipStream_tbPNSt15iterator_traitsISI_E10value_typeEPNSO_ISJ_E10value_typeEPSK_NS1_7vsmem_tEENKUlT_SI_SJ_SK_E_clIPjSD_S10_SD_EESH_SX_SI_SJ_SK_EUlSX_E1_NS1_11comp_targetILNS1_3genE3ELNS1_11target_archE908ELNS1_3gpuE7ELNS1_3repE0EEENS1_36merge_oddeven_config_static_selectorELNS0_4arch9wavefront6targetE1EEEvSJ_.has_indirect_call, 0
	.section	.AMDGPU.csdata,"",@progbits
; Kernel info:
; codeLenInByte = 0
; TotalNumSgprs: 6
; NumVgprs: 0
; NumAgprs: 0
; TotalNumVgprs: 0
; ScratchSize: 0
; MemoryBound: 0
; FloatMode: 240
; IeeeMode: 1
; LDSByteSize: 0 bytes/workgroup (compile time only)
; SGPRBlocks: 0
; VGPRBlocks: 0
; NumSGPRsForWavesPerEU: 6
; NumVGPRsForWavesPerEU: 1
; AccumOffset: 4
; Occupancy: 8
; WaveLimiterHint : 0
; COMPUTE_PGM_RSRC2:SCRATCH_EN: 0
; COMPUTE_PGM_RSRC2:USER_SGPR: 2
; COMPUTE_PGM_RSRC2:TRAP_HANDLER: 0
; COMPUTE_PGM_RSRC2:TGID_X_EN: 1
; COMPUTE_PGM_RSRC2:TGID_Y_EN: 0
; COMPUTE_PGM_RSRC2:TGID_Z_EN: 0
; COMPUTE_PGM_RSRC2:TIDIG_COMP_CNT: 0
; COMPUTE_PGM_RSRC3_GFX90A:ACCUM_OFFSET: 0
; COMPUTE_PGM_RSRC3_GFX90A:TG_SPLIT: 0
	.section	.text._ZN7rocprim17ROCPRIM_400000_NS6detail17trampoline_kernelINS0_14default_configENS1_38merge_sort_block_merge_config_selectorIjjEEZZNS1_27merge_sort_block_merge_implIS3_N6thrust23THRUST_200600_302600_NS6detail15normal_iteratorINS8_10device_ptrIjEEEESD_jNS1_19radix_merge_compareILb0ELb0EjNS0_19identity_decomposerEEEEE10hipError_tT0_T1_T2_jT3_P12ihipStream_tbPNSt15iterator_traitsISI_E10value_typeEPNSO_ISJ_E10value_typeEPSK_NS1_7vsmem_tEENKUlT_SI_SJ_SK_E_clIPjSD_S10_SD_EESH_SX_SI_SJ_SK_EUlSX_E1_NS1_11comp_targetILNS1_3genE2ELNS1_11target_archE906ELNS1_3gpuE6ELNS1_3repE0EEENS1_36merge_oddeven_config_static_selectorELNS0_4arch9wavefront6targetE1EEEvSJ_,"axG",@progbits,_ZN7rocprim17ROCPRIM_400000_NS6detail17trampoline_kernelINS0_14default_configENS1_38merge_sort_block_merge_config_selectorIjjEEZZNS1_27merge_sort_block_merge_implIS3_N6thrust23THRUST_200600_302600_NS6detail15normal_iteratorINS8_10device_ptrIjEEEESD_jNS1_19radix_merge_compareILb0ELb0EjNS0_19identity_decomposerEEEEE10hipError_tT0_T1_T2_jT3_P12ihipStream_tbPNSt15iterator_traitsISI_E10value_typeEPNSO_ISJ_E10value_typeEPSK_NS1_7vsmem_tEENKUlT_SI_SJ_SK_E_clIPjSD_S10_SD_EESH_SX_SI_SJ_SK_EUlSX_E1_NS1_11comp_targetILNS1_3genE2ELNS1_11target_archE906ELNS1_3gpuE6ELNS1_3repE0EEENS1_36merge_oddeven_config_static_selectorELNS0_4arch9wavefront6targetE1EEEvSJ_,comdat
	.protected	_ZN7rocprim17ROCPRIM_400000_NS6detail17trampoline_kernelINS0_14default_configENS1_38merge_sort_block_merge_config_selectorIjjEEZZNS1_27merge_sort_block_merge_implIS3_N6thrust23THRUST_200600_302600_NS6detail15normal_iteratorINS8_10device_ptrIjEEEESD_jNS1_19radix_merge_compareILb0ELb0EjNS0_19identity_decomposerEEEEE10hipError_tT0_T1_T2_jT3_P12ihipStream_tbPNSt15iterator_traitsISI_E10value_typeEPNSO_ISJ_E10value_typeEPSK_NS1_7vsmem_tEENKUlT_SI_SJ_SK_E_clIPjSD_S10_SD_EESH_SX_SI_SJ_SK_EUlSX_E1_NS1_11comp_targetILNS1_3genE2ELNS1_11target_archE906ELNS1_3gpuE6ELNS1_3repE0EEENS1_36merge_oddeven_config_static_selectorELNS0_4arch9wavefront6targetE1EEEvSJ_ ; -- Begin function _ZN7rocprim17ROCPRIM_400000_NS6detail17trampoline_kernelINS0_14default_configENS1_38merge_sort_block_merge_config_selectorIjjEEZZNS1_27merge_sort_block_merge_implIS3_N6thrust23THRUST_200600_302600_NS6detail15normal_iteratorINS8_10device_ptrIjEEEESD_jNS1_19radix_merge_compareILb0ELb0EjNS0_19identity_decomposerEEEEE10hipError_tT0_T1_T2_jT3_P12ihipStream_tbPNSt15iterator_traitsISI_E10value_typeEPNSO_ISJ_E10value_typeEPSK_NS1_7vsmem_tEENKUlT_SI_SJ_SK_E_clIPjSD_S10_SD_EESH_SX_SI_SJ_SK_EUlSX_E1_NS1_11comp_targetILNS1_3genE2ELNS1_11target_archE906ELNS1_3gpuE6ELNS1_3repE0EEENS1_36merge_oddeven_config_static_selectorELNS0_4arch9wavefront6targetE1EEEvSJ_
	.globl	_ZN7rocprim17ROCPRIM_400000_NS6detail17trampoline_kernelINS0_14default_configENS1_38merge_sort_block_merge_config_selectorIjjEEZZNS1_27merge_sort_block_merge_implIS3_N6thrust23THRUST_200600_302600_NS6detail15normal_iteratorINS8_10device_ptrIjEEEESD_jNS1_19radix_merge_compareILb0ELb0EjNS0_19identity_decomposerEEEEE10hipError_tT0_T1_T2_jT3_P12ihipStream_tbPNSt15iterator_traitsISI_E10value_typeEPNSO_ISJ_E10value_typeEPSK_NS1_7vsmem_tEENKUlT_SI_SJ_SK_E_clIPjSD_S10_SD_EESH_SX_SI_SJ_SK_EUlSX_E1_NS1_11comp_targetILNS1_3genE2ELNS1_11target_archE906ELNS1_3gpuE6ELNS1_3repE0EEENS1_36merge_oddeven_config_static_selectorELNS0_4arch9wavefront6targetE1EEEvSJ_
	.p2align	8
	.type	_ZN7rocprim17ROCPRIM_400000_NS6detail17trampoline_kernelINS0_14default_configENS1_38merge_sort_block_merge_config_selectorIjjEEZZNS1_27merge_sort_block_merge_implIS3_N6thrust23THRUST_200600_302600_NS6detail15normal_iteratorINS8_10device_ptrIjEEEESD_jNS1_19radix_merge_compareILb0ELb0EjNS0_19identity_decomposerEEEEE10hipError_tT0_T1_T2_jT3_P12ihipStream_tbPNSt15iterator_traitsISI_E10value_typeEPNSO_ISJ_E10value_typeEPSK_NS1_7vsmem_tEENKUlT_SI_SJ_SK_E_clIPjSD_S10_SD_EESH_SX_SI_SJ_SK_EUlSX_E1_NS1_11comp_targetILNS1_3genE2ELNS1_11target_archE906ELNS1_3gpuE6ELNS1_3repE0EEENS1_36merge_oddeven_config_static_selectorELNS0_4arch9wavefront6targetE1EEEvSJ_,@function
_ZN7rocprim17ROCPRIM_400000_NS6detail17trampoline_kernelINS0_14default_configENS1_38merge_sort_block_merge_config_selectorIjjEEZZNS1_27merge_sort_block_merge_implIS3_N6thrust23THRUST_200600_302600_NS6detail15normal_iteratorINS8_10device_ptrIjEEEESD_jNS1_19radix_merge_compareILb0ELb0EjNS0_19identity_decomposerEEEEE10hipError_tT0_T1_T2_jT3_P12ihipStream_tbPNSt15iterator_traitsISI_E10value_typeEPNSO_ISJ_E10value_typeEPSK_NS1_7vsmem_tEENKUlT_SI_SJ_SK_E_clIPjSD_S10_SD_EESH_SX_SI_SJ_SK_EUlSX_E1_NS1_11comp_targetILNS1_3genE2ELNS1_11target_archE906ELNS1_3gpuE6ELNS1_3repE0EEENS1_36merge_oddeven_config_static_selectorELNS0_4arch9wavefront6targetE1EEEvSJ_: ; @_ZN7rocprim17ROCPRIM_400000_NS6detail17trampoline_kernelINS0_14default_configENS1_38merge_sort_block_merge_config_selectorIjjEEZZNS1_27merge_sort_block_merge_implIS3_N6thrust23THRUST_200600_302600_NS6detail15normal_iteratorINS8_10device_ptrIjEEEESD_jNS1_19radix_merge_compareILb0ELb0EjNS0_19identity_decomposerEEEEE10hipError_tT0_T1_T2_jT3_P12ihipStream_tbPNSt15iterator_traitsISI_E10value_typeEPNSO_ISJ_E10value_typeEPSK_NS1_7vsmem_tEENKUlT_SI_SJ_SK_E_clIPjSD_S10_SD_EESH_SX_SI_SJ_SK_EUlSX_E1_NS1_11comp_targetILNS1_3genE2ELNS1_11target_archE906ELNS1_3gpuE6ELNS1_3repE0EEENS1_36merge_oddeven_config_static_selectorELNS0_4arch9wavefront6targetE1EEEvSJ_
; %bb.0:
	.section	.rodata,"a",@progbits
	.p2align	6, 0x0
	.amdhsa_kernel _ZN7rocprim17ROCPRIM_400000_NS6detail17trampoline_kernelINS0_14default_configENS1_38merge_sort_block_merge_config_selectorIjjEEZZNS1_27merge_sort_block_merge_implIS3_N6thrust23THRUST_200600_302600_NS6detail15normal_iteratorINS8_10device_ptrIjEEEESD_jNS1_19radix_merge_compareILb0ELb0EjNS0_19identity_decomposerEEEEE10hipError_tT0_T1_T2_jT3_P12ihipStream_tbPNSt15iterator_traitsISI_E10value_typeEPNSO_ISJ_E10value_typeEPSK_NS1_7vsmem_tEENKUlT_SI_SJ_SK_E_clIPjSD_S10_SD_EESH_SX_SI_SJ_SK_EUlSX_E1_NS1_11comp_targetILNS1_3genE2ELNS1_11target_archE906ELNS1_3gpuE6ELNS1_3repE0EEENS1_36merge_oddeven_config_static_selectorELNS0_4arch9wavefront6targetE1EEEvSJ_
		.amdhsa_group_segment_fixed_size 0
		.amdhsa_private_segment_fixed_size 0
		.amdhsa_kernarg_size 48
		.amdhsa_user_sgpr_count 2
		.amdhsa_user_sgpr_dispatch_ptr 0
		.amdhsa_user_sgpr_queue_ptr 0
		.amdhsa_user_sgpr_kernarg_segment_ptr 1
		.amdhsa_user_sgpr_dispatch_id 0
		.amdhsa_user_sgpr_kernarg_preload_length 0
		.amdhsa_user_sgpr_kernarg_preload_offset 0
		.amdhsa_user_sgpr_private_segment_size 0
		.amdhsa_uses_dynamic_stack 0
		.amdhsa_enable_private_segment 0
		.amdhsa_system_sgpr_workgroup_id_x 1
		.amdhsa_system_sgpr_workgroup_id_y 0
		.amdhsa_system_sgpr_workgroup_id_z 0
		.amdhsa_system_sgpr_workgroup_info 0
		.amdhsa_system_vgpr_workitem_id 0
		.amdhsa_next_free_vgpr 1
		.amdhsa_next_free_sgpr 0
		.amdhsa_accum_offset 4
		.amdhsa_reserve_vcc 0
		.amdhsa_float_round_mode_32 0
		.amdhsa_float_round_mode_16_64 0
		.amdhsa_float_denorm_mode_32 3
		.amdhsa_float_denorm_mode_16_64 3
		.amdhsa_dx10_clamp 1
		.amdhsa_ieee_mode 1
		.amdhsa_fp16_overflow 0
		.amdhsa_tg_split 0
		.amdhsa_exception_fp_ieee_invalid_op 0
		.amdhsa_exception_fp_denorm_src 0
		.amdhsa_exception_fp_ieee_div_zero 0
		.amdhsa_exception_fp_ieee_overflow 0
		.amdhsa_exception_fp_ieee_underflow 0
		.amdhsa_exception_fp_ieee_inexact 0
		.amdhsa_exception_int_div_zero 0
	.end_amdhsa_kernel
	.section	.text._ZN7rocprim17ROCPRIM_400000_NS6detail17trampoline_kernelINS0_14default_configENS1_38merge_sort_block_merge_config_selectorIjjEEZZNS1_27merge_sort_block_merge_implIS3_N6thrust23THRUST_200600_302600_NS6detail15normal_iteratorINS8_10device_ptrIjEEEESD_jNS1_19radix_merge_compareILb0ELb0EjNS0_19identity_decomposerEEEEE10hipError_tT0_T1_T2_jT3_P12ihipStream_tbPNSt15iterator_traitsISI_E10value_typeEPNSO_ISJ_E10value_typeEPSK_NS1_7vsmem_tEENKUlT_SI_SJ_SK_E_clIPjSD_S10_SD_EESH_SX_SI_SJ_SK_EUlSX_E1_NS1_11comp_targetILNS1_3genE2ELNS1_11target_archE906ELNS1_3gpuE6ELNS1_3repE0EEENS1_36merge_oddeven_config_static_selectorELNS0_4arch9wavefront6targetE1EEEvSJ_,"axG",@progbits,_ZN7rocprim17ROCPRIM_400000_NS6detail17trampoline_kernelINS0_14default_configENS1_38merge_sort_block_merge_config_selectorIjjEEZZNS1_27merge_sort_block_merge_implIS3_N6thrust23THRUST_200600_302600_NS6detail15normal_iteratorINS8_10device_ptrIjEEEESD_jNS1_19radix_merge_compareILb0ELb0EjNS0_19identity_decomposerEEEEE10hipError_tT0_T1_T2_jT3_P12ihipStream_tbPNSt15iterator_traitsISI_E10value_typeEPNSO_ISJ_E10value_typeEPSK_NS1_7vsmem_tEENKUlT_SI_SJ_SK_E_clIPjSD_S10_SD_EESH_SX_SI_SJ_SK_EUlSX_E1_NS1_11comp_targetILNS1_3genE2ELNS1_11target_archE906ELNS1_3gpuE6ELNS1_3repE0EEENS1_36merge_oddeven_config_static_selectorELNS0_4arch9wavefront6targetE1EEEvSJ_,comdat
.Lfunc_end640:
	.size	_ZN7rocprim17ROCPRIM_400000_NS6detail17trampoline_kernelINS0_14default_configENS1_38merge_sort_block_merge_config_selectorIjjEEZZNS1_27merge_sort_block_merge_implIS3_N6thrust23THRUST_200600_302600_NS6detail15normal_iteratorINS8_10device_ptrIjEEEESD_jNS1_19radix_merge_compareILb0ELb0EjNS0_19identity_decomposerEEEEE10hipError_tT0_T1_T2_jT3_P12ihipStream_tbPNSt15iterator_traitsISI_E10value_typeEPNSO_ISJ_E10value_typeEPSK_NS1_7vsmem_tEENKUlT_SI_SJ_SK_E_clIPjSD_S10_SD_EESH_SX_SI_SJ_SK_EUlSX_E1_NS1_11comp_targetILNS1_3genE2ELNS1_11target_archE906ELNS1_3gpuE6ELNS1_3repE0EEENS1_36merge_oddeven_config_static_selectorELNS0_4arch9wavefront6targetE1EEEvSJ_, .Lfunc_end640-_ZN7rocprim17ROCPRIM_400000_NS6detail17trampoline_kernelINS0_14default_configENS1_38merge_sort_block_merge_config_selectorIjjEEZZNS1_27merge_sort_block_merge_implIS3_N6thrust23THRUST_200600_302600_NS6detail15normal_iteratorINS8_10device_ptrIjEEEESD_jNS1_19radix_merge_compareILb0ELb0EjNS0_19identity_decomposerEEEEE10hipError_tT0_T1_T2_jT3_P12ihipStream_tbPNSt15iterator_traitsISI_E10value_typeEPNSO_ISJ_E10value_typeEPSK_NS1_7vsmem_tEENKUlT_SI_SJ_SK_E_clIPjSD_S10_SD_EESH_SX_SI_SJ_SK_EUlSX_E1_NS1_11comp_targetILNS1_3genE2ELNS1_11target_archE906ELNS1_3gpuE6ELNS1_3repE0EEENS1_36merge_oddeven_config_static_selectorELNS0_4arch9wavefront6targetE1EEEvSJ_
                                        ; -- End function
	.set _ZN7rocprim17ROCPRIM_400000_NS6detail17trampoline_kernelINS0_14default_configENS1_38merge_sort_block_merge_config_selectorIjjEEZZNS1_27merge_sort_block_merge_implIS3_N6thrust23THRUST_200600_302600_NS6detail15normal_iteratorINS8_10device_ptrIjEEEESD_jNS1_19radix_merge_compareILb0ELb0EjNS0_19identity_decomposerEEEEE10hipError_tT0_T1_T2_jT3_P12ihipStream_tbPNSt15iterator_traitsISI_E10value_typeEPNSO_ISJ_E10value_typeEPSK_NS1_7vsmem_tEENKUlT_SI_SJ_SK_E_clIPjSD_S10_SD_EESH_SX_SI_SJ_SK_EUlSX_E1_NS1_11comp_targetILNS1_3genE2ELNS1_11target_archE906ELNS1_3gpuE6ELNS1_3repE0EEENS1_36merge_oddeven_config_static_selectorELNS0_4arch9wavefront6targetE1EEEvSJ_.num_vgpr, 0
	.set _ZN7rocprim17ROCPRIM_400000_NS6detail17trampoline_kernelINS0_14default_configENS1_38merge_sort_block_merge_config_selectorIjjEEZZNS1_27merge_sort_block_merge_implIS3_N6thrust23THRUST_200600_302600_NS6detail15normal_iteratorINS8_10device_ptrIjEEEESD_jNS1_19radix_merge_compareILb0ELb0EjNS0_19identity_decomposerEEEEE10hipError_tT0_T1_T2_jT3_P12ihipStream_tbPNSt15iterator_traitsISI_E10value_typeEPNSO_ISJ_E10value_typeEPSK_NS1_7vsmem_tEENKUlT_SI_SJ_SK_E_clIPjSD_S10_SD_EESH_SX_SI_SJ_SK_EUlSX_E1_NS1_11comp_targetILNS1_3genE2ELNS1_11target_archE906ELNS1_3gpuE6ELNS1_3repE0EEENS1_36merge_oddeven_config_static_selectorELNS0_4arch9wavefront6targetE1EEEvSJ_.num_agpr, 0
	.set _ZN7rocprim17ROCPRIM_400000_NS6detail17trampoline_kernelINS0_14default_configENS1_38merge_sort_block_merge_config_selectorIjjEEZZNS1_27merge_sort_block_merge_implIS3_N6thrust23THRUST_200600_302600_NS6detail15normal_iteratorINS8_10device_ptrIjEEEESD_jNS1_19radix_merge_compareILb0ELb0EjNS0_19identity_decomposerEEEEE10hipError_tT0_T1_T2_jT3_P12ihipStream_tbPNSt15iterator_traitsISI_E10value_typeEPNSO_ISJ_E10value_typeEPSK_NS1_7vsmem_tEENKUlT_SI_SJ_SK_E_clIPjSD_S10_SD_EESH_SX_SI_SJ_SK_EUlSX_E1_NS1_11comp_targetILNS1_3genE2ELNS1_11target_archE906ELNS1_3gpuE6ELNS1_3repE0EEENS1_36merge_oddeven_config_static_selectorELNS0_4arch9wavefront6targetE1EEEvSJ_.numbered_sgpr, 0
	.set _ZN7rocprim17ROCPRIM_400000_NS6detail17trampoline_kernelINS0_14default_configENS1_38merge_sort_block_merge_config_selectorIjjEEZZNS1_27merge_sort_block_merge_implIS3_N6thrust23THRUST_200600_302600_NS6detail15normal_iteratorINS8_10device_ptrIjEEEESD_jNS1_19radix_merge_compareILb0ELb0EjNS0_19identity_decomposerEEEEE10hipError_tT0_T1_T2_jT3_P12ihipStream_tbPNSt15iterator_traitsISI_E10value_typeEPNSO_ISJ_E10value_typeEPSK_NS1_7vsmem_tEENKUlT_SI_SJ_SK_E_clIPjSD_S10_SD_EESH_SX_SI_SJ_SK_EUlSX_E1_NS1_11comp_targetILNS1_3genE2ELNS1_11target_archE906ELNS1_3gpuE6ELNS1_3repE0EEENS1_36merge_oddeven_config_static_selectorELNS0_4arch9wavefront6targetE1EEEvSJ_.num_named_barrier, 0
	.set _ZN7rocprim17ROCPRIM_400000_NS6detail17trampoline_kernelINS0_14default_configENS1_38merge_sort_block_merge_config_selectorIjjEEZZNS1_27merge_sort_block_merge_implIS3_N6thrust23THRUST_200600_302600_NS6detail15normal_iteratorINS8_10device_ptrIjEEEESD_jNS1_19radix_merge_compareILb0ELb0EjNS0_19identity_decomposerEEEEE10hipError_tT0_T1_T2_jT3_P12ihipStream_tbPNSt15iterator_traitsISI_E10value_typeEPNSO_ISJ_E10value_typeEPSK_NS1_7vsmem_tEENKUlT_SI_SJ_SK_E_clIPjSD_S10_SD_EESH_SX_SI_SJ_SK_EUlSX_E1_NS1_11comp_targetILNS1_3genE2ELNS1_11target_archE906ELNS1_3gpuE6ELNS1_3repE0EEENS1_36merge_oddeven_config_static_selectorELNS0_4arch9wavefront6targetE1EEEvSJ_.private_seg_size, 0
	.set _ZN7rocprim17ROCPRIM_400000_NS6detail17trampoline_kernelINS0_14default_configENS1_38merge_sort_block_merge_config_selectorIjjEEZZNS1_27merge_sort_block_merge_implIS3_N6thrust23THRUST_200600_302600_NS6detail15normal_iteratorINS8_10device_ptrIjEEEESD_jNS1_19radix_merge_compareILb0ELb0EjNS0_19identity_decomposerEEEEE10hipError_tT0_T1_T2_jT3_P12ihipStream_tbPNSt15iterator_traitsISI_E10value_typeEPNSO_ISJ_E10value_typeEPSK_NS1_7vsmem_tEENKUlT_SI_SJ_SK_E_clIPjSD_S10_SD_EESH_SX_SI_SJ_SK_EUlSX_E1_NS1_11comp_targetILNS1_3genE2ELNS1_11target_archE906ELNS1_3gpuE6ELNS1_3repE0EEENS1_36merge_oddeven_config_static_selectorELNS0_4arch9wavefront6targetE1EEEvSJ_.uses_vcc, 0
	.set _ZN7rocprim17ROCPRIM_400000_NS6detail17trampoline_kernelINS0_14default_configENS1_38merge_sort_block_merge_config_selectorIjjEEZZNS1_27merge_sort_block_merge_implIS3_N6thrust23THRUST_200600_302600_NS6detail15normal_iteratorINS8_10device_ptrIjEEEESD_jNS1_19radix_merge_compareILb0ELb0EjNS0_19identity_decomposerEEEEE10hipError_tT0_T1_T2_jT3_P12ihipStream_tbPNSt15iterator_traitsISI_E10value_typeEPNSO_ISJ_E10value_typeEPSK_NS1_7vsmem_tEENKUlT_SI_SJ_SK_E_clIPjSD_S10_SD_EESH_SX_SI_SJ_SK_EUlSX_E1_NS1_11comp_targetILNS1_3genE2ELNS1_11target_archE906ELNS1_3gpuE6ELNS1_3repE0EEENS1_36merge_oddeven_config_static_selectorELNS0_4arch9wavefront6targetE1EEEvSJ_.uses_flat_scratch, 0
	.set _ZN7rocprim17ROCPRIM_400000_NS6detail17trampoline_kernelINS0_14default_configENS1_38merge_sort_block_merge_config_selectorIjjEEZZNS1_27merge_sort_block_merge_implIS3_N6thrust23THRUST_200600_302600_NS6detail15normal_iteratorINS8_10device_ptrIjEEEESD_jNS1_19radix_merge_compareILb0ELb0EjNS0_19identity_decomposerEEEEE10hipError_tT0_T1_T2_jT3_P12ihipStream_tbPNSt15iterator_traitsISI_E10value_typeEPNSO_ISJ_E10value_typeEPSK_NS1_7vsmem_tEENKUlT_SI_SJ_SK_E_clIPjSD_S10_SD_EESH_SX_SI_SJ_SK_EUlSX_E1_NS1_11comp_targetILNS1_3genE2ELNS1_11target_archE906ELNS1_3gpuE6ELNS1_3repE0EEENS1_36merge_oddeven_config_static_selectorELNS0_4arch9wavefront6targetE1EEEvSJ_.has_dyn_sized_stack, 0
	.set _ZN7rocprim17ROCPRIM_400000_NS6detail17trampoline_kernelINS0_14default_configENS1_38merge_sort_block_merge_config_selectorIjjEEZZNS1_27merge_sort_block_merge_implIS3_N6thrust23THRUST_200600_302600_NS6detail15normal_iteratorINS8_10device_ptrIjEEEESD_jNS1_19radix_merge_compareILb0ELb0EjNS0_19identity_decomposerEEEEE10hipError_tT0_T1_T2_jT3_P12ihipStream_tbPNSt15iterator_traitsISI_E10value_typeEPNSO_ISJ_E10value_typeEPSK_NS1_7vsmem_tEENKUlT_SI_SJ_SK_E_clIPjSD_S10_SD_EESH_SX_SI_SJ_SK_EUlSX_E1_NS1_11comp_targetILNS1_3genE2ELNS1_11target_archE906ELNS1_3gpuE6ELNS1_3repE0EEENS1_36merge_oddeven_config_static_selectorELNS0_4arch9wavefront6targetE1EEEvSJ_.has_recursion, 0
	.set _ZN7rocprim17ROCPRIM_400000_NS6detail17trampoline_kernelINS0_14default_configENS1_38merge_sort_block_merge_config_selectorIjjEEZZNS1_27merge_sort_block_merge_implIS3_N6thrust23THRUST_200600_302600_NS6detail15normal_iteratorINS8_10device_ptrIjEEEESD_jNS1_19radix_merge_compareILb0ELb0EjNS0_19identity_decomposerEEEEE10hipError_tT0_T1_T2_jT3_P12ihipStream_tbPNSt15iterator_traitsISI_E10value_typeEPNSO_ISJ_E10value_typeEPSK_NS1_7vsmem_tEENKUlT_SI_SJ_SK_E_clIPjSD_S10_SD_EESH_SX_SI_SJ_SK_EUlSX_E1_NS1_11comp_targetILNS1_3genE2ELNS1_11target_archE906ELNS1_3gpuE6ELNS1_3repE0EEENS1_36merge_oddeven_config_static_selectorELNS0_4arch9wavefront6targetE1EEEvSJ_.has_indirect_call, 0
	.section	.AMDGPU.csdata,"",@progbits
; Kernel info:
; codeLenInByte = 0
; TotalNumSgprs: 6
; NumVgprs: 0
; NumAgprs: 0
; TotalNumVgprs: 0
; ScratchSize: 0
; MemoryBound: 0
; FloatMode: 240
; IeeeMode: 1
; LDSByteSize: 0 bytes/workgroup (compile time only)
; SGPRBlocks: 0
; VGPRBlocks: 0
; NumSGPRsForWavesPerEU: 6
; NumVGPRsForWavesPerEU: 1
; AccumOffset: 4
; Occupancy: 8
; WaveLimiterHint : 0
; COMPUTE_PGM_RSRC2:SCRATCH_EN: 0
; COMPUTE_PGM_RSRC2:USER_SGPR: 2
; COMPUTE_PGM_RSRC2:TRAP_HANDLER: 0
; COMPUTE_PGM_RSRC2:TGID_X_EN: 1
; COMPUTE_PGM_RSRC2:TGID_Y_EN: 0
; COMPUTE_PGM_RSRC2:TGID_Z_EN: 0
; COMPUTE_PGM_RSRC2:TIDIG_COMP_CNT: 0
; COMPUTE_PGM_RSRC3_GFX90A:ACCUM_OFFSET: 0
; COMPUTE_PGM_RSRC3_GFX90A:TG_SPLIT: 0
	.section	.text._ZN7rocprim17ROCPRIM_400000_NS6detail17trampoline_kernelINS0_14default_configENS1_38merge_sort_block_merge_config_selectorIjjEEZZNS1_27merge_sort_block_merge_implIS3_N6thrust23THRUST_200600_302600_NS6detail15normal_iteratorINS8_10device_ptrIjEEEESD_jNS1_19radix_merge_compareILb0ELb0EjNS0_19identity_decomposerEEEEE10hipError_tT0_T1_T2_jT3_P12ihipStream_tbPNSt15iterator_traitsISI_E10value_typeEPNSO_ISJ_E10value_typeEPSK_NS1_7vsmem_tEENKUlT_SI_SJ_SK_E_clIPjSD_S10_SD_EESH_SX_SI_SJ_SK_EUlSX_E1_NS1_11comp_targetILNS1_3genE9ELNS1_11target_archE1100ELNS1_3gpuE3ELNS1_3repE0EEENS1_36merge_oddeven_config_static_selectorELNS0_4arch9wavefront6targetE1EEEvSJ_,"axG",@progbits,_ZN7rocprim17ROCPRIM_400000_NS6detail17trampoline_kernelINS0_14default_configENS1_38merge_sort_block_merge_config_selectorIjjEEZZNS1_27merge_sort_block_merge_implIS3_N6thrust23THRUST_200600_302600_NS6detail15normal_iteratorINS8_10device_ptrIjEEEESD_jNS1_19radix_merge_compareILb0ELb0EjNS0_19identity_decomposerEEEEE10hipError_tT0_T1_T2_jT3_P12ihipStream_tbPNSt15iterator_traitsISI_E10value_typeEPNSO_ISJ_E10value_typeEPSK_NS1_7vsmem_tEENKUlT_SI_SJ_SK_E_clIPjSD_S10_SD_EESH_SX_SI_SJ_SK_EUlSX_E1_NS1_11comp_targetILNS1_3genE9ELNS1_11target_archE1100ELNS1_3gpuE3ELNS1_3repE0EEENS1_36merge_oddeven_config_static_selectorELNS0_4arch9wavefront6targetE1EEEvSJ_,comdat
	.protected	_ZN7rocprim17ROCPRIM_400000_NS6detail17trampoline_kernelINS0_14default_configENS1_38merge_sort_block_merge_config_selectorIjjEEZZNS1_27merge_sort_block_merge_implIS3_N6thrust23THRUST_200600_302600_NS6detail15normal_iteratorINS8_10device_ptrIjEEEESD_jNS1_19radix_merge_compareILb0ELb0EjNS0_19identity_decomposerEEEEE10hipError_tT0_T1_T2_jT3_P12ihipStream_tbPNSt15iterator_traitsISI_E10value_typeEPNSO_ISJ_E10value_typeEPSK_NS1_7vsmem_tEENKUlT_SI_SJ_SK_E_clIPjSD_S10_SD_EESH_SX_SI_SJ_SK_EUlSX_E1_NS1_11comp_targetILNS1_3genE9ELNS1_11target_archE1100ELNS1_3gpuE3ELNS1_3repE0EEENS1_36merge_oddeven_config_static_selectorELNS0_4arch9wavefront6targetE1EEEvSJ_ ; -- Begin function _ZN7rocprim17ROCPRIM_400000_NS6detail17trampoline_kernelINS0_14default_configENS1_38merge_sort_block_merge_config_selectorIjjEEZZNS1_27merge_sort_block_merge_implIS3_N6thrust23THRUST_200600_302600_NS6detail15normal_iteratorINS8_10device_ptrIjEEEESD_jNS1_19radix_merge_compareILb0ELb0EjNS0_19identity_decomposerEEEEE10hipError_tT0_T1_T2_jT3_P12ihipStream_tbPNSt15iterator_traitsISI_E10value_typeEPNSO_ISJ_E10value_typeEPSK_NS1_7vsmem_tEENKUlT_SI_SJ_SK_E_clIPjSD_S10_SD_EESH_SX_SI_SJ_SK_EUlSX_E1_NS1_11comp_targetILNS1_3genE9ELNS1_11target_archE1100ELNS1_3gpuE3ELNS1_3repE0EEENS1_36merge_oddeven_config_static_selectorELNS0_4arch9wavefront6targetE1EEEvSJ_
	.globl	_ZN7rocprim17ROCPRIM_400000_NS6detail17trampoline_kernelINS0_14default_configENS1_38merge_sort_block_merge_config_selectorIjjEEZZNS1_27merge_sort_block_merge_implIS3_N6thrust23THRUST_200600_302600_NS6detail15normal_iteratorINS8_10device_ptrIjEEEESD_jNS1_19radix_merge_compareILb0ELb0EjNS0_19identity_decomposerEEEEE10hipError_tT0_T1_T2_jT3_P12ihipStream_tbPNSt15iterator_traitsISI_E10value_typeEPNSO_ISJ_E10value_typeEPSK_NS1_7vsmem_tEENKUlT_SI_SJ_SK_E_clIPjSD_S10_SD_EESH_SX_SI_SJ_SK_EUlSX_E1_NS1_11comp_targetILNS1_3genE9ELNS1_11target_archE1100ELNS1_3gpuE3ELNS1_3repE0EEENS1_36merge_oddeven_config_static_selectorELNS0_4arch9wavefront6targetE1EEEvSJ_
	.p2align	8
	.type	_ZN7rocprim17ROCPRIM_400000_NS6detail17trampoline_kernelINS0_14default_configENS1_38merge_sort_block_merge_config_selectorIjjEEZZNS1_27merge_sort_block_merge_implIS3_N6thrust23THRUST_200600_302600_NS6detail15normal_iteratorINS8_10device_ptrIjEEEESD_jNS1_19radix_merge_compareILb0ELb0EjNS0_19identity_decomposerEEEEE10hipError_tT0_T1_T2_jT3_P12ihipStream_tbPNSt15iterator_traitsISI_E10value_typeEPNSO_ISJ_E10value_typeEPSK_NS1_7vsmem_tEENKUlT_SI_SJ_SK_E_clIPjSD_S10_SD_EESH_SX_SI_SJ_SK_EUlSX_E1_NS1_11comp_targetILNS1_3genE9ELNS1_11target_archE1100ELNS1_3gpuE3ELNS1_3repE0EEENS1_36merge_oddeven_config_static_selectorELNS0_4arch9wavefront6targetE1EEEvSJ_,@function
_ZN7rocprim17ROCPRIM_400000_NS6detail17trampoline_kernelINS0_14default_configENS1_38merge_sort_block_merge_config_selectorIjjEEZZNS1_27merge_sort_block_merge_implIS3_N6thrust23THRUST_200600_302600_NS6detail15normal_iteratorINS8_10device_ptrIjEEEESD_jNS1_19radix_merge_compareILb0ELb0EjNS0_19identity_decomposerEEEEE10hipError_tT0_T1_T2_jT3_P12ihipStream_tbPNSt15iterator_traitsISI_E10value_typeEPNSO_ISJ_E10value_typeEPSK_NS1_7vsmem_tEENKUlT_SI_SJ_SK_E_clIPjSD_S10_SD_EESH_SX_SI_SJ_SK_EUlSX_E1_NS1_11comp_targetILNS1_3genE9ELNS1_11target_archE1100ELNS1_3gpuE3ELNS1_3repE0EEENS1_36merge_oddeven_config_static_selectorELNS0_4arch9wavefront6targetE1EEEvSJ_: ; @_ZN7rocprim17ROCPRIM_400000_NS6detail17trampoline_kernelINS0_14default_configENS1_38merge_sort_block_merge_config_selectorIjjEEZZNS1_27merge_sort_block_merge_implIS3_N6thrust23THRUST_200600_302600_NS6detail15normal_iteratorINS8_10device_ptrIjEEEESD_jNS1_19radix_merge_compareILb0ELb0EjNS0_19identity_decomposerEEEEE10hipError_tT0_T1_T2_jT3_P12ihipStream_tbPNSt15iterator_traitsISI_E10value_typeEPNSO_ISJ_E10value_typeEPSK_NS1_7vsmem_tEENKUlT_SI_SJ_SK_E_clIPjSD_S10_SD_EESH_SX_SI_SJ_SK_EUlSX_E1_NS1_11comp_targetILNS1_3genE9ELNS1_11target_archE1100ELNS1_3gpuE3ELNS1_3repE0EEENS1_36merge_oddeven_config_static_selectorELNS0_4arch9wavefront6targetE1EEEvSJ_
; %bb.0:
	.section	.rodata,"a",@progbits
	.p2align	6, 0x0
	.amdhsa_kernel _ZN7rocprim17ROCPRIM_400000_NS6detail17trampoline_kernelINS0_14default_configENS1_38merge_sort_block_merge_config_selectorIjjEEZZNS1_27merge_sort_block_merge_implIS3_N6thrust23THRUST_200600_302600_NS6detail15normal_iteratorINS8_10device_ptrIjEEEESD_jNS1_19radix_merge_compareILb0ELb0EjNS0_19identity_decomposerEEEEE10hipError_tT0_T1_T2_jT3_P12ihipStream_tbPNSt15iterator_traitsISI_E10value_typeEPNSO_ISJ_E10value_typeEPSK_NS1_7vsmem_tEENKUlT_SI_SJ_SK_E_clIPjSD_S10_SD_EESH_SX_SI_SJ_SK_EUlSX_E1_NS1_11comp_targetILNS1_3genE9ELNS1_11target_archE1100ELNS1_3gpuE3ELNS1_3repE0EEENS1_36merge_oddeven_config_static_selectorELNS0_4arch9wavefront6targetE1EEEvSJ_
		.amdhsa_group_segment_fixed_size 0
		.amdhsa_private_segment_fixed_size 0
		.amdhsa_kernarg_size 48
		.amdhsa_user_sgpr_count 2
		.amdhsa_user_sgpr_dispatch_ptr 0
		.amdhsa_user_sgpr_queue_ptr 0
		.amdhsa_user_sgpr_kernarg_segment_ptr 1
		.amdhsa_user_sgpr_dispatch_id 0
		.amdhsa_user_sgpr_kernarg_preload_length 0
		.amdhsa_user_sgpr_kernarg_preload_offset 0
		.amdhsa_user_sgpr_private_segment_size 0
		.amdhsa_uses_dynamic_stack 0
		.amdhsa_enable_private_segment 0
		.amdhsa_system_sgpr_workgroup_id_x 1
		.amdhsa_system_sgpr_workgroup_id_y 0
		.amdhsa_system_sgpr_workgroup_id_z 0
		.amdhsa_system_sgpr_workgroup_info 0
		.amdhsa_system_vgpr_workitem_id 0
		.amdhsa_next_free_vgpr 1
		.amdhsa_next_free_sgpr 0
		.amdhsa_accum_offset 4
		.amdhsa_reserve_vcc 0
		.amdhsa_float_round_mode_32 0
		.amdhsa_float_round_mode_16_64 0
		.amdhsa_float_denorm_mode_32 3
		.amdhsa_float_denorm_mode_16_64 3
		.amdhsa_dx10_clamp 1
		.amdhsa_ieee_mode 1
		.amdhsa_fp16_overflow 0
		.amdhsa_tg_split 0
		.amdhsa_exception_fp_ieee_invalid_op 0
		.amdhsa_exception_fp_denorm_src 0
		.amdhsa_exception_fp_ieee_div_zero 0
		.amdhsa_exception_fp_ieee_overflow 0
		.amdhsa_exception_fp_ieee_underflow 0
		.amdhsa_exception_fp_ieee_inexact 0
		.amdhsa_exception_int_div_zero 0
	.end_amdhsa_kernel
	.section	.text._ZN7rocprim17ROCPRIM_400000_NS6detail17trampoline_kernelINS0_14default_configENS1_38merge_sort_block_merge_config_selectorIjjEEZZNS1_27merge_sort_block_merge_implIS3_N6thrust23THRUST_200600_302600_NS6detail15normal_iteratorINS8_10device_ptrIjEEEESD_jNS1_19radix_merge_compareILb0ELb0EjNS0_19identity_decomposerEEEEE10hipError_tT0_T1_T2_jT3_P12ihipStream_tbPNSt15iterator_traitsISI_E10value_typeEPNSO_ISJ_E10value_typeEPSK_NS1_7vsmem_tEENKUlT_SI_SJ_SK_E_clIPjSD_S10_SD_EESH_SX_SI_SJ_SK_EUlSX_E1_NS1_11comp_targetILNS1_3genE9ELNS1_11target_archE1100ELNS1_3gpuE3ELNS1_3repE0EEENS1_36merge_oddeven_config_static_selectorELNS0_4arch9wavefront6targetE1EEEvSJ_,"axG",@progbits,_ZN7rocprim17ROCPRIM_400000_NS6detail17trampoline_kernelINS0_14default_configENS1_38merge_sort_block_merge_config_selectorIjjEEZZNS1_27merge_sort_block_merge_implIS3_N6thrust23THRUST_200600_302600_NS6detail15normal_iteratorINS8_10device_ptrIjEEEESD_jNS1_19radix_merge_compareILb0ELb0EjNS0_19identity_decomposerEEEEE10hipError_tT0_T1_T2_jT3_P12ihipStream_tbPNSt15iterator_traitsISI_E10value_typeEPNSO_ISJ_E10value_typeEPSK_NS1_7vsmem_tEENKUlT_SI_SJ_SK_E_clIPjSD_S10_SD_EESH_SX_SI_SJ_SK_EUlSX_E1_NS1_11comp_targetILNS1_3genE9ELNS1_11target_archE1100ELNS1_3gpuE3ELNS1_3repE0EEENS1_36merge_oddeven_config_static_selectorELNS0_4arch9wavefront6targetE1EEEvSJ_,comdat
.Lfunc_end641:
	.size	_ZN7rocprim17ROCPRIM_400000_NS6detail17trampoline_kernelINS0_14default_configENS1_38merge_sort_block_merge_config_selectorIjjEEZZNS1_27merge_sort_block_merge_implIS3_N6thrust23THRUST_200600_302600_NS6detail15normal_iteratorINS8_10device_ptrIjEEEESD_jNS1_19radix_merge_compareILb0ELb0EjNS0_19identity_decomposerEEEEE10hipError_tT0_T1_T2_jT3_P12ihipStream_tbPNSt15iterator_traitsISI_E10value_typeEPNSO_ISJ_E10value_typeEPSK_NS1_7vsmem_tEENKUlT_SI_SJ_SK_E_clIPjSD_S10_SD_EESH_SX_SI_SJ_SK_EUlSX_E1_NS1_11comp_targetILNS1_3genE9ELNS1_11target_archE1100ELNS1_3gpuE3ELNS1_3repE0EEENS1_36merge_oddeven_config_static_selectorELNS0_4arch9wavefront6targetE1EEEvSJ_, .Lfunc_end641-_ZN7rocprim17ROCPRIM_400000_NS6detail17trampoline_kernelINS0_14default_configENS1_38merge_sort_block_merge_config_selectorIjjEEZZNS1_27merge_sort_block_merge_implIS3_N6thrust23THRUST_200600_302600_NS6detail15normal_iteratorINS8_10device_ptrIjEEEESD_jNS1_19radix_merge_compareILb0ELb0EjNS0_19identity_decomposerEEEEE10hipError_tT0_T1_T2_jT3_P12ihipStream_tbPNSt15iterator_traitsISI_E10value_typeEPNSO_ISJ_E10value_typeEPSK_NS1_7vsmem_tEENKUlT_SI_SJ_SK_E_clIPjSD_S10_SD_EESH_SX_SI_SJ_SK_EUlSX_E1_NS1_11comp_targetILNS1_3genE9ELNS1_11target_archE1100ELNS1_3gpuE3ELNS1_3repE0EEENS1_36merge_oddeven_config_static_selectorELNS0_4arch9wavefront6targetE1EEEvSJ_
                                        ; -- End function
	.set _ZN7rocprim17ROCPRIM_400000_NS6detail17trampoline_kernelINS0_14default_configENS1_38merge_sort_block_merge_config_selectorIjjEEZZNS1_27merge_sort_block_merge_implIS3_N6thrust23THRUST_200600_302600_NS6detail15normal_iteratorINS8_10device_ptrIjEEEESD_jNS1_19radix_merge_compareILb0ELb0EjNS0_19identity_decomposerEEEEE10hipError_tT0_T1_T2_jT3_P12ihipStream_tbPNSt15iterator_traitsISI_E10value_typeEPNSO_ISJ_E10value_typeEPSK_NS1_7vsmem_tEENKUlT_SI_SJ_SK_E_clIPjSD_S10_SD_EESH_SX_SI_SJ_SK_EUlSX_E1_NS1_11comp_targetILNS1_3genE9ELNS1_11target_archE1100ELNS1_3gpuE3ELNS1_3repE0EEENS1_36merge_oddeven_config_static_selectorELNS0_4arch9wavefront6targetE1EEEvSJ_.num_vgpr, 0
	.set _ZN7rocprim17ROCPRIM_400000_NS6detail17trampoline_kernelINS0_14default_configENS1_38merge_sort_block_merge_config_selectorIjjEEZZNS1_27merge_sort_block_merge_implIS3_N6thrust23THRUST_200600_302600_NS6detail15normal_iteratorINS8_10device_ptrIjEEEESD_jNS1_19radix_merge_compareILb0ELb0EjNS0_19identity_decomposerEEEEE10hipError_tT0_T1_T2_jT3_P12ihipStream_tbPNSt15iterator_traitsISI_E10value_typeEPNSO_ISJ_E10value_typeEPSK_NS1_7vsmem_tEENKUlT_SI_SJ_SK_E_clIPjSD_S10_SD_EESH_SX_SI_SJ_SK_EUlSX_E1_NS1_11comp_targetILNS1_3genE9ELNS1_11target_archE1100ELNS1_3gpuE3ELNS1_3repE0EEENS1_36merge_oddeven_config_static_selectorELNS0_4arch9wavefront6targetE1EEEvSJ_.num_agpr, 0
	.set _ZN7rocprim17ROCPRIM_400000_NS6detail17trampoline_kernelINS0_14default_configENS1_38merge_sort_block_merge_config_selectorIjjEEZZNS1_27merge_sort_block_merge_implIS3_N6thrust23THRUST_200600_302600_NS6detail15normal_iteratorINS8_10device_ptrIjEEEESD_jNS1_19radix_merge_compareILb0ELb0EjNS0_19identity_decomposerEEEEE10hipError_tT0_T1_T2_jT3_P12ihipStream_tbPNSt15iterator_traitsISI_E10value_typeEPNSO_ISJ_E10value_typeEPSK_NS1_7vsmem_tEENKUlT_SI_SJ_SK_E_clIPjSD_S10_SD_EESH_SX_SI_SJ_SK_EUlSX_E1_NS1_11comp_targetILNS1_3genE9ELNS1_11target_archE1100ELNS1_3gpuE3ELNS1_3repE0EEENS1_36merge_oddeven_config_static_selectorELNS0_4arch9wavefront6targetE1EEEvSJ_.numbered_sgpr, 0
	.set _ZN7rocprim17ROCPRIM_400000_NS6detail17trampoline_kernelINS0_14default_configENS1_38merge_sort_block_merge_config_selectorIjjEEZZNS1_27merge_sort_block_merge_implIS3_N6thrust23THRUST_200600_302600_NS6detail15normal_iteratorINS8_10device_ptrIjEEEESD_jNS1_19radix_merge_compareILb0ELb0EjNS0_19identity_decomposerEEEEE10hipError_tT0_T1_T2_jT3_P12ihipStream_tbPNSt15iterator_traitsISI_E10value_typeEPNSO_ISJ_E10value_typeEPSK_NS1_7vsmem_tEENKUlT_SI_SJ_SK_E_clIPjSD_S10_SD_EESH_SX_SI_SJ_SK_EUlSX_E1_NS1_11comp_targetILNS1_3genE9ELNS1_11target_archE1100ELNS1_3gpuE3ELNS1_3repE0EEENS1_36merge_oddeven_config_static_selectorELNS0_4arch9wavefront6targetE1EEEvSJ_.num_named_barrier, 0
	.set _ZN7rocprim17ROCPRIM_400000_NS6detail17trampoline_kernelINS0_14default_configENS1_38merge_sort_block_merge_config_selectorIjjEEZZNS1_27merge_sort_block_merge_implIS3_N6thrust23THRUST_200600_302600_NS6detail15normal_iteratorINS8_10device_ptrIjEEEESD_jNS1_19radix_merge_compareILb0ELb0EjNS0_19identity_decomposerEEEEE10hipError_tT0_T1_T2_jT3_P12ihipStream_tbPNSt15iterator_traitsISI_E10value_typeEPNSO_ISJ_E10value_typeEPSK_NS1_7vsmem_tEENKUlT_SI_SJ_SK_E_clIPjSD_S10_SD_EESH_SX_SI_SJ_SK_EUlSX_E1_NS1_11comp_targetILNS1_3genE9ELNS1_11target_archE1100ELNS1_3gpuE3ELNS1_3repE0EEENS1_36merge_oddeven_config_static_selectorELNS0_4arch9wavefront6targetE1EEEvSJ_.private_seg_size, 0
	.set _ZN7rocprim17ROCPRIM_400000_NS6detail17trampoline_kernelINS0_14default_configENS1_38merge_sort_block_merge_config_selectorIjjEEZZNS1_27merge_sort_block_merge_implIS3_N6thrust23THRUST_200600_302600_NS6detail15normal_iteratorINS8_10device_ptrIjEEEESD_jNS1_19radix_merge_compareILb0ELb0EjNS0_19identity_decomposerEEEEE10hipError_tT0_T1_T2_jT3_P12ihipStream_tbPNSt15iterator_traitsISI_E10value_typeEPNSO_ISJ_E10value_typeEPSK_NS1_7vsmem_tEENKUlT_SI_SJ_SK_E_clIPjSD_S10_SD_EESH_SX_SI_SJ_SK_EUlSX_E1_NS1_11comp_targetILNS1_3genE9ELNS1_11target_archE1100ELNS1_3gpuE3ELNS1_3repE0EEENS1_36merge_oddeven_config_static_selectorELNS0_4arch9wavefront6targetE1EEEvSJ_.uses_vcc, 0
	.set _ZN7rocprim17ROCPRIM_400000_NS6detail17trampoline_kernelINS0_14default_configENS1_38merge_sort_block_merge_config_selectorIjjEEZZNS1_27merge_sort_block_merge_implIS3_N6thrust23THRUST_200600_302600_NS6detail15normal_iteratorINS8_10device_ptrIjEEEESD_jNS1_19radix_merge_compareILb0ELb0EjNS0_19identity_decomposerEEEEE10hipError_tT0_T1_T2_jT3_P12ihipStream_tbPNSt15iterator_traitsISI_E10value_typeEPNSO_ISJ_E10value_typeEPSK_NS1_7vsmem_tEENKUlT_SI_SJ_SK_E_clIPjSD_S10_SD_EESH_SX_SI_SJ_SK_EUlSX_E1_NS1_11comp_targetILNS1_3genE9ELNS1_11target_archE1100ELNS1_3gpuE3ELNS1_3repE0EEENS1_36merge_oddeven_config_static_selectorELNS0_4arch9wavefront6targetE1EEEvSJ_.uses_flat_scratch, 0
	.set _ZN7rocprim17ROCPRIM_400000_NS6detail17trampoline_kernelINS0_14default_configENS1_38merge_sort_block_merge_config_selectorIjjEEZZNS1_27merge_sort_block_merge_implIS3_N6thrust23THRUST_200600_302600_NS6detail15normal_iteratorINS8_10device_ptrIjEEEESD_jNS1_19radix_merge_compareILb0ELb0EjNS0_19identity_decomposerEEEEE10hipError_tT0_T1_T2_jT3_P12ihipStream_tbPNSt15iterator_traitsISI_E10value_typeEPNSO_ISJ_E10value_typeEPSK_NS1_7vsmem_tEENKUlT_SI_SJ_SK_E_clIPjSD_S10_SD_EESH_SX_SI_SJ_SK_EUlSX_E1_NS1_11comp_targetILNS1_3genE9ELNS1_11target_archE1100ELNS1_3gpuE3ELNS1_3repE0EEENS1_36merge_oddeven_config_static_selectorELNS0_4arch9wavefront6targetE1EEEvSJ_.has_dyn_sized_stack, 0
	.set _ZN7rocprim17ROCPRIM_400000_NS6detail17trampoline_kernelINS0_14default_configENS1_38merge_sort_block_merge_config_selectorIjjEEZZNS1_27merge_sort_block_merge_implIS3_N6thrust23THRUST_200600_302600_NS6detail15normal_iteratorINS8_10device_ptrIjEEEESD_jNS1_19radix_merge_compareILb0ELb0EjNS0_19identity_decomposerEEEEE10hipError_tT0_T1_T2_jT3_P12ihipStream_tbPNSt15iterator_traitsISI_E10value_typeEPNSO_ISJ_E10value_typeEPSK_NS1_7vsmem_tEENKUlT_SI_SJ_SK_E_clIPjSD_S10_SD_EESH_SX_SI_SJ_SK_EUlSX_E1_NS1_11comp_targetILNS1_3genE9ELNS1_11target_archE1100ELNS1_3gpuE3ELNS1_3repE0EEENS1_36merge_oddeven_config_static_selectorELNS0_4arch9wavefront6targetE1EEEvSJ_.has_recursion, 0
	.set _ZN7rocprim17ROCPRIM_400000_NS6detail17trampoline_kernelINS0_14default_configENS1_38merge_sort_block_merge_config_selectorIjjEEZZNS1_27merge_sort_block_merge_implIS3_N6thrust23THRUST_200600_302600_NS6detail15normal_iteratorINS8_10device_ptrIjEEEESD_jNS1_19radix_merge_compareILb0ELb0EjNS0_19identity_decomposerEEEEE10hipError_tT0_T1_T2_jT3_P12ihipStream_tbPNSt15iterator_traitsISI_E10value_typeEPNSO_ISJ_E10value_typeEPSK_NS1_7vsmem_tEENKUlT_SI_SJ_SK_E_clIPjSD_S10_SD_EESH_SX_SI_SJ_SK_EUlSX_E1_NS1_11comp_targetILNS1_3genE9ELNS1_11target_archE1100ELNS1_3gpuE3ELNS1_3repE0EEENS1_36merge_oddeven_config_static_selectorELNS0_4arch9wavefront6targetE1EEEvSJ_.has_indirect_call, 0
	.section	.AMDGPU.csdata,"",@progbits
; Kernel info:
; codeLenInByte = 0
; TotalNumSgprs: 6
; NumVgprs: 0
; NumAgprs: 0
; TotalNumVgprs: 0
; ScratchSize: 0
; MemoryBound: 0
; FloatMode: 240
; IeeeMode: 1
; LDSByteSize: 0 bytes/workgroup (compile time only)
; SGPRBlocks: 0
; VGPRBlocks: 0
; NumSGPRsForWavesPerEU: 6
; NumVGPRsForWavesPerEU: 1
; AccumOffset: 4
; Occupancy: 8
; WaveLimiterHint : 0
; COMPUTE_PGM_RSRC2:SCRATCH_EN: 0
; COMPUTE_PGM_RSRC2:USER_SGPR: 2
; COMPUTE_PGM_RSRC2:TRAP_HANDLER: 0
; COMPUTE_PGM_RSRC2:TGID_X_EN: 1
; COMPUTE_PGM_RSRC2:TGID_Y_EN: 0
; COMPUTE_PGM_RSRC2:TGID_Z_EN: 0
; COMPUTE_PGM_RSRC2:TIDIG_COMP_CNT: 0
; COMPUTE_PGM_RSRC3_GFX90A:ACCUM_OFFSET: 0
; COMPUTE_PGM_RSRC3_GFX90A:TG_SPLIT: 0
	.section	.text._ZN7rocprim17ROCPRIM_400000_NS6detail17trampoline_kernelINS0_14default_configENS1_38merge_sort_block_merge_config_selectorIjjEEZZNS1_27merge_sort_block_merge_implIS3_N6thrust23THRUST_200600_302600_NS6detail15normal_iteratorINS8_10device_ptrIjEEEESD_jNS1_19radix_merge_compareILb0ELb0EjNS0_19identity_decomposerEEEEE10hipError_tT0_T1_T2_jT3_P12ihipStream_tbPNSt15iterator_traitsISI_E10value_typeEPNSO_ISJ_E10value_typeEPSK_NS1_7vsmem_tEENKUlT_SI_SJ_SK_E_clIPjSD_S10_SD_EESH_SX_SI_SJ_SK_EUlSX_E1_NS1_11comp_targetILNS1_3genE8ELNS1_11target_archE1030ELNS1_3gpuE2ELNS1_3repE0EEENS1_36merge_oddeven_config_static_selectorELNS0_4arch9wavefront6targetE1EEEvSJ_,"axG",@progbits,_ZN7rocprim17ROCPRIM_400000_NS6detail17trampoline_kernelINS0_14default_configENS1_38merge_sort_block_merge_config_selectorIjjEEZZNS1_27merge_sort_block_merge_implIS3_N6thrust23THRUST_200600_302600_NS6detail15normal_iteratorINS8_10device_ptrIjEEEESD_jNS1_19radix_merge_compareILb0ELb0EjNS0_19identity_decomposerEEEEE10hipError_tT0_T1_T2_jT3_P12ihipStream_tbPNSt15iterator_traitsISI_E10value_typeEPNSO_ISJ_E10value_typeEPSK_NS1_7vsmem_tEENKUlT_SI_SJ_SK_E_clIPjSD_S10_SD_EESH_SX_SI_SJ_SK_EUlSX_E1_NS1_11comp_targetILNS1_3genE8ELNS1_11target_archE1030ELNS1_3gpuE2ELNS1_3repE0EEENS1_36merge_oddeven_config_static_selectorELNS0_4arch9wavefront6targetE1EEEvSJ_,comdat
	.protected	_ZN7rocprim17ROCPRIM_400000_NS6detail17trampoline_kernelINS0_14default_configENS1_38merge_sort_block_merge_config_selectorIjjEEZZNS1_27merge_sort_block_merge_implIS3_N6thrust23THRUST_200600_302600_NS6detail15normal_iteratorINS8_10device_ptrIjEEEESD_jNS1_19radix_merge_compareILb0ELb0EjNS0_19identity_decomposerEEEEE10hipError_tT0_T1_T2_jT3_P12ihipStream_tbPNSt15iterator_traitsISI_E10value_typeEPNSO_ISJ_E10value_typeEPSK_NS1_7vsmem_tEENKUlT_SI_SJ_SK_E_clIPjSD_S10_SD_EESH_SX_SI_SJ_SK_EUlSX_E1_NS1_11comp_targetILNS1_3genE8ELNS1_11target_archE1030ELNS1_3gpuE2ELNS1_3repE0EEENS1_36merge_oddeven_config_static_selectorELNS0_4arch9wavefront6targetE1EEEvSJ_ ; -- Begin function _ZN7rocprim17ROCPRIM_400000_NS6detail17trampoline_kernelINS0_14default_configENS1_38merge_sort_block_merge_config_selectorIjjEEZZNS1_27merge_sort_block_merge_implIS3_N6thrust23THRUST_200600_302600_NS6detail15normal_iteratorINS8_10device_ptrIjEEEESD_jNS1_19radix_merge_compareILb0ELb0EjNS0_19identity_decomposerEEEEE10hipError_tT0_T1_T2_jT3_P12ihipStream_tbPNSt15iterator_traitsISI_E10value_typeEPNSO_ISJ_E10value_typeEPSK_NS1_7vsmem_tEENKUlT_SI_SJ_SK_E_clIPjSD_S10_SD_EESH_SX_SI_SJ_SK_EUlSX_E1_NS1_11comp_targetILNS1_3genE8ELNS1_11target_archE1030ELNS1_3gpuE2ELNS1_3repE0EEENS1_36merge_oddeven_config_static_selectorELNS0_4arch9wavefront6targetE1EEEvSJ_
	.globl	_ZN7rocprim17ROCPRIM_400000_NS6detail17trampoline_kernelINS0_14default_configENS1_38merge_sort_block_merge_config_selectorIjjEEZZNS1_27merge_sort_block_merge_implIS3_N6thrust23THRUST_200600_302600_NS6detail15normal_iteratorINS8_10device_ptrIjEEEESD_jNS1_19radix_merge_compareILb0ELb0EjNS0_19identity_decomposerEEEEE10hipError_tT0_T1_T2_jT3_P12ihipStream_tbPNSt15iterator_traitsISI_E10value_typeEPNSO_ISJ_E10value_typeEPSK_NS1_7vsmem_tEENKUlT_SI_SJ_SK_E_clIPjSD_S10_SD_EESH_SX_SI_SJ_SK_EUlSX_E1_NS1_11comp_targetILNS1_3genE8ELNS1_11target_archE1030ELNS1_3gpuE2ELNS1_3repE0EEENS1_36merge_oddeven_config_static_selectorELNS0_4arch9wavefront6targetE1EEEvSJ_
	.p2align	8
	.type	_ZN7rocprim17ROCPRIM_400000_NS6detail17trampoline_kernelINS0_14default_configENS1_38merge_sort_block_merge_config_selectorIjjEEZZNS1_27merge_sort_block_merge_implIS3_N6thrust23THRUST_200600_302600_NS6detail15normal_iteratorINS8_10device_ptrIjEEEESD_jNS1_19radix_merge_compareILb0ELb0EjNS0_19identity_decomposerEEEEE10hipError_tT0_T1_T2_jT3_P12ihipStream_tbPNSt15iterator_traitsISI_E10value_typeEPNSO_ISJ_E10value_typeEPSK_NS1_7vsmem_tEENKUlT_SI_SJ_SK_E_clIPjSD_S10_SD_EESH_SX_SI_SJ_SK_EUlSX_E1_NS1_11comp_targetILNS1_3genE8ELNS1_11target_archE1030ELNS1_3gpuE2ELNS1_3repE0EEENS1_36merge_oddeven_config_static_selectorELNS0_4arch9wavefront6targetE1EEEvSJ_,@function
_ZN7rocprim17ROCPRIM_400000_NS6detail17trampoline_kernelINS0_14default_configENS1_38merge_sort_block_merge_config_selectorIjjEEZZNS1_27merge_sort_block_merge_implIS3_N6thrust23THRUST_200600_302600_NS6detail15normal_iteratorINS8_10device_ptrIjEEEESD_jNS1_19radix_merge_compareILb0ELb0EjNS0_19identity_decomposerEEEEE10hipError_tT0_T1_T2_jT3_P12ihipStream_tbPNSt15iterator_traitsISI_E10value_typeEPNSO_ISJ_E10value_typeEPSK_NS1_7vsmem_tEENKUlT_SI_SJ_SK_E_clIPjSD_S10_SD_EESH_SX_SI_SJ_SK_EUlSX_E1_NS1_11comp_targetILNS1_3genE8ELNS1_11target_archE1030ELNS1_3gpuE2ELNS1_3repE0EEENS1_36merge_oddeven_config_static_selectorELNS0_4arch9wavefront6targetE1EEEvSJ_: ; @_ZN7rocprim17ROCPRIM_400000_NS6detail17trampoline_kernelINS0_14default_configENS1_38merge_sort_block_merge_config_selectorIjjEEZZNS1_27merge_sort_block_merge_implIS3_N6thrust23THRUST_200600_302600_NS6detail15normal_iteratorINS8_10device_ptrIjEEEESD_jNS1_19radix_merge_compareILb0ELb0EjNS0_19identity_decomposerEEEEE10hipError_tT0_T1_T2_jT3_P12ihipStream_tbPNSt15iterator_traitsISI_E10value_typeEPNSO_ISJ_E10value_typeEPSK_NS1_7vsmem_tEENKUlT_SI_SJ_SK_E_clIPjSD_S10_SD_EESH_SX_SI_SJ_SK_EUlSX_E1_NS1_11comp_targetILNS1_3genE8ELNS1_11target_archE1030ELNS1_3gpuE2ELNS1_3repE0EEENS1_36merge_oddeven_config_static_selectorELNS0_4arch9wavefront6targetE1EEEvSJ_
; %bb.0:
	.section	.rodata,"a",@progbits
	.p2align	6, 0x0
	.amdhsa_kernel _ZN7rocprim17ROCPRIM_400000_NS6detail17trampoline_kernelINS0_14default_configENS1_38merge_sort_block_merge_config_selectorIjjEEZZNS1_27merge_sort_block_merge_implIS3_N6thrust23THRUST_200600_302600_NS6detail15normal_iteratorINS8_10device_ptrIjEEEESD_jNS1_19radix_merge_compareILb0ELb0EjNS0_19identity_decomposerEEEEE10hipError_tT0_T1_T2_jT3_P12ihipStream_tbPNSt15iterator_traitsISI_E10value_typeEPNSO_ISJ_E10value_typeEPSK_NS1_7vsmem_tEENKUlT_SI_SJ_SK_E_clIPjSD_S10_SD_EESH_SX_SI_SJ_SK_EUlSX_E1_NS1_11comp_targetILNS1_3genE8ELNS1_11target_archE1030ELNS1_3gpuE2ELNS1_3repE0EEENS1_36merge_oddeven_config_static_selectorELNS0_4arch9wavefront6targetE1EEEvSJ_
		.amdhsa_group_segment_fixed_size 0
		.amdhsa_private_segment_fixed_size 0
		.amdhsa_kernarg_size 48
		.amdhsa_user_sgpr_count 2
		.amdhsa_user_sgpr_dispatch_ptr 0
		.amdhsa_user_sgpr_queue_ptr 0
		.amdhsa_user_sgpr_kernarg_segment_ptr 1
		.amdhsa_user_sgpr_dispatch_id 0
		.amdhsa_user_sgpr_kernarg_preload_length 0
		.amdhsa_user_sgpr_kernarg_preload_offset 0
		.amdhsa_user_sgpr_private_segment_size 0
		.amdhsa_uses_dynamic_stack 0
		.amdhsa_enable_private_segment 0
		.amdhsa_system_sgpr_workgroup_id_x 1
		.amdhsa_system_sgpr_workgroup_id_y 0
		.amdhsa_system_sgpr_workgroup_id_z 0
		.amdhsa_system_sgpr_workgroup_info 0
		.amdhsa_system_vgpr_workitem_id 0
		.amdhsa_next_free_vgpr 1
		.amdhsa_next_free_sgpr 0
		.amdhsa_accum_offset 4
		.amdhsa_reserve_vcc 0
		.amdhsa_float_round_mode_32 0
		.amdhsa_float_round_mode_16_64 0
		.amdhsa_float_denorm_mode_32 3
		.amdhsa_float_denorm_mode_16_64 3
		.amdhsa_dx10_clamp 1
		.amdhsa_ieee_mode 1
		.amdhsa_fp16_overflow 0
		.amdhsa_tg_split 0
		.amdhsa_exception_fp_ieee_invalid_op 0
		.amdhsa_exception_fp_denorm_src 0
		.amdhsa_exception_fp_ieee_div_zero 0
		.amdhsa_exception_fp_ieee_overflow 0
		.amdhsa_exception_fp_ieee_underflow 0
		.amdhsa_exception_fp_ieee_inexact 0
		.amdhsa_exception_int_div_zero 0
	.end_amdhsa_kernel
	.section	.text._ZN7rocprim17ROCPRIM_400000_NS6detail17trampoline_kernelINS0_14default_configENS1_38merge_sort_block_merge_config_selectorIjjEEZZNS1_27merge_sort_block_merge_implIS3_N6thrust23THRUST_200600_302600_NS6detail15normal_iteratorINS8_10device_ptrIjEEEESD_jNS1_19radix_merge_compareILb0ELb0EjNS0_19identity_decomposerEEEEE10hipError_tT0_T1_T2_jT3_P12ihipStream_tbPNSt15iterator_traitsISI_E10value_typeEPNSO_ISJ_E10value_typeEPSK_NS1_7vsmem_tEENKUlT_SI_SJ_SK_E_clIPjSD_S10_SD_EESH_SX_SI_SJ_SK_EUlSX_E1_NS1_11comp_targetILNS1_3genE8ELNS1_11target_archE1030ELNS1_3gpuE2ELNS1_3repE0EEENS1_36merge_oddeven_config_static_selectorELNS0_4arch9wavefront6targetE1EEEvSJ_,"axG",@progbits,_ZN7rocprim17ROCPRIM_400000_NS6detail17trampoline_kernelINS0_14default_configENS1_38merge_sort_block_merge_config_selectorIjjEEZZNS1_27merge_sort_block_merge_implIS3_N6thrust23THRUST_200600_302600_NS6detail15normal_iteratorINS8_10device_ptrIjEEEESD_jNS1_19radix_merge_compareILb0ELb0EjNS0_19identity_decomposerEEEEE10hipError_tT0_T1_T2_jT3_P12ihipStream_tbPNSt15iterator_traitsISI_E10value_typeEPNSO_ISJ_E10value_typeEPSK_NS1_7vsmem_tEENKUlT_SI_SJ_SK_E_clIPjSD_S10_SD_EESH_SX_SI_SJ_SK_EUlSX_E1_NS1_11comp_targetILNS1_3genE8ELNS1_11target_archE1030ELNS1_3gpuE2ELNS1_3repE0EEENS1_36merge_oddeven_config_static_selectorELNS0_4arch9wavefront6targetE1EEEvSJ_,comdat
.Lfunc_end642:
	.size	_ZN7rocprim17ROCPRIM_400000_NS6detail17trampoline_kernelINS0_14default_configENS1_38merge_sort_block_merge_config_selectorIjjEEZZNS1_27merge_sort_block_merge_implIS3_N6thrust23THRUST_200600_302600_NS6detail15normal_iteratorINS8_10device_ptrIjEEEESD_jNS1_19radix_merge_compareILb0ELb0EjNS0_19identity_decomposerEEEEE10hipError_tT0_T1_T2_jT3_P12ihipStream_tbPNSt15iterator_traitsISI_E10value_typeEPNSO_ISJ_E10value_typeEPSK_NS1_7vsmem_tEENKUlT_SI_SJ_SK_E_clIPjSD_S10_SD_EESH_SX_SI_SJ_SK_EUlSX_E1_NS1_11comp_targetILNS1_3genE8ELNS1_11target_archE1030ELNS1_3gpuE2ELNS1_3repE0EEENS1_36merge_oddeven_config_static_selectorELNS0_4arch9wavefront6targetE1EEEvSJ_, .Lfunc_end642-_ZN7rocprim17ROCPRIM_400000_NS6detail17trampoline_kernelINS0_14default_configENS1_38merge_sort_block_merge_config_selectorIjjEEZZNS1_27merge_sort_block_merge_implIS3_N6thrust23THRUST_200600_302600_NS6detail15normal_iteratorINS8_10device_ptrIjEEEESD_jNS1_19radix_merge_compareILb0ELb0EjNS0_19identity_decomposerEEEEE10hipError_tT0_T1_T2_jT3_P12ihipStream_tbPNSt15iterator_traitsISI_E10value_typeEPNSO_ISJ_E10value_typeEPSK_NS1_7vsmem_tEENKUlT_SI_SJ_SK_E_clIPjSD_S10_SD_EESH_SX_SI_SJ_SK_EUlSX_E1_NS1_11comp_targetILNS1_3genE8ELNS1_11target_archE1030ELNS1_3gpuE2ELNS1_3repE0EEENS1_36merge_oddeven_config_static_selectorELNS0_4arch9wavefront6targetE1EEEvSJ_
                                        ; -- End function
	.set _ZN7rocprim17ROCPRIM_400000_NS6detail17trampoline_kernelINS0_14default_configENS1_38merge_sort_block_merge_config_selectorIjjEEZZNS1_27merge_sort_block_merge_implIS3_N6thrust23THRUST_200600_302600_NS6detail15normal_iteratorINS8_10device_ptrIjEEEESD_jNS1_19radix_merge_compareILb0ELb0EjNS0_19identity_decomposerEEEEE10hipError_tT0_T1_T2_jT3_P12ihipStream_tbPNSt15iterator_traitsISI_E10value_typeEPNSO_ISJ_E10value_typeEPSK_NS1_7vsmem_tEENKUlT_SI_SJ_SK_E_clIPjSD_S10_SD_EESH_SX_SI_SJ_SK_EUlSX_E1_NS1_11comp_targetILNS1_3genE8ELNS1_11target_archE1030ELNS1_3gpuE2ELNS1_3repE0EEENS1_36merge_oddeven_config_static_selectorELNS0_4arch9wavefront6targetE1EEEvSJ_.num_vgpr, 0
	.set _ZN7rocprim17ROCPRIM_400000_NS6detail17trampoline_kernelINS0_14default_configENS1_38merge_sort_block_merge_config_selectorIjjEEZZNS1_27merge_sort_block_merge_implIS3_N6thrust23THRUST_200600_302600_NS6detail15normal_iteratorINS8_10device_ptrIjEEEESD_jNS1_19radix_merge_compareILb0ELb0EjNS0_19identity_decomposerEEEEE10hipError_tT0_T1_T2_jT3_P12ihipStream_tbPNSt15iterator_traitsISI_E10value_typeEPNSO_ISJ_E10value_typeEPSK_NS1_7vsmem_tEENKUlT_SI_SJ_SK_E_clIPjSD_S10_SD_EESH_SX_SI_SJ_SK_EUlSX_E1_NS1_11comp_targetILNS1_3genE8ELNS1_11target_archE1030ELNS1_3gpuE2ELNS1_3repE0EEENS1_36merge_oddeven_config_static_selectorELNS0_4arch9wavefront6targetE1EEEvSJ_.num_agpr, 0
	.set _ZN7rocprim17ROCPRIM_400000_NS6detail17trampoline_kernelINS0_14default_configENS1_38merge_sort_block_merge_config_selectorIjjEEZZNS1_27merge_sort_block_merge_implIS3_N6thrust23THRUST_200600_302600_NS6detail15normal_iteratorINS8_10device_ptrIjEEEESD_jNS1_19radix_merge_compareILb0ELb0EjNS0_19identity_decomposerEEEEE10hipError_tT0_T1_T2_jT3_P12ihipStream_tbPNSt15iterator_traitsISI_E10value_typeEPNSO_ISJ_E10value_typeEPSK_NS1_7vsmem_tEENKUlT_SI_SJ_SK_E_clIPjSD_S10_SD_EESH_SX_SI_SJ_SK_EUlSX_E1_NS1_11comp_targetILNS1_3genE8ELNS1_11target_archE1030ELNS1_3gpuE2ELNS1_3repE0EEENS1_36merge_oddeven_config_static_selectorELNS0_4arch9wavefront6targetE1EEEvSJ_.numbered_sgpr, 0
	.set _ZN7rocprim17ROCPRIM_400000_NS6detail17trampoline_kernelINS0_14default_configENS1_38merge_sort_block_merge_config_selectorIjjEEZZNS1_27merge_sort_block_merge_implIS3_N6thrust23THRUST_200600_302600_NS6detail15normal_iteratorINS8_10device_ptrIjEEEESD_jNS1_19radix_merge_compareILb0ELb0EjNS0_19identity_decomposerEEEEE10hipError_tT0_T1_T2_jT3_P12ihipStream_tbPNSt15iterator_traitsISI_E10value_typeEPNSO_ISJ_E10value_typeEPSK_NS1_7vsmem_tEENKUlT_SI_SJ_SK_E_clIPjSD_S10_SD_EESH_SX_SI_SJ_SK_EUlSX_E1_NS1_11comp_targetILNS1_3genE8ELNS1_11target_archE1030ELNS1_3gpuE2ELNS1_3repE0EEENS1_36merge_oddeven_config_static_selectorELNS0_4arch9wavefront6targetE1EEEvSJ_.num_named_barrier, 0
	.set _ZN7rocprim17ROCPRIM_400000_NS6detail17trampoline_kernelINS0_14default_configENS1_38merge_sort_block_merge_config_selectorIjjEEZZNS1_27merge_sort_block_merge_implIS3_N6thrust23THRUST_200600_302600_NS6detail15normal_iteratorINS8_10device_ptrIjEEEESD_jNS1_19radix_merge_compareILb0ELb0EjNS0_19identity_decomposerEEEEE10hipError_tT0_T1_T2_jT3_P12ihipStream_tbPNSt15iterator_traitsISI_E10value_typeEPNSO_ISJ_E10value_typeEPSK_NS1_7vsmem_tEENKUlT_SI_SJ_SK_E_clIPjSD_S10_SD_EESH_SX_SI_SJ_SK_EUlSX_E1_NS1_11comp_targetILNS1_3genE8ELNS1_11target_archE1030ELNS1_3gpuE2ELNS1_3repE0EEENS1_36merge_oddeven_config_static_selectorELNS0_4arch9wavefront6targetE1EEEvSJ_.private_seg_size, 0
	.set _ZN7rocprim17ROCPRIM_400000_NS6detail17trampoline_kernelINS0_14default_configENS1_38merge_sort_block_merge_config_selectorIjjEEZZNS1_27merge_sort_block_merge_implIS3_N6thrust23THRUST_200600_302600_NS6detail15normal_iteratorINS8_10device_ptrIjEEEESD_jNS1_19radix_merge_compareILb0ELb0EjNS0_19identity_decomposerEEEEE10hipError_tT0_T1_T2_jT3_P12ihipStream_tbPNSt15iterator_traitsISI_E10value_typeEPNSO_ISJ_E10value_typeEPSK_NS1_7vsmem_tEENKUlT_SI_SJ_SK_E_clIPjSD_S10_SD_EESH_SX_SI_SJ_SK_EUlSX_E1_NS1_11comp_targetILNS1_3genE8ELNS1_11target_archE1030ELNS1_3gpuE2ELNS1_3repE0EEENS1_36merge_oddeven_config_static_selectorELNS0_4arch9wavefront6targetE1EEEvSJ_.uses_vcc, 0
	.set _ZN7rocprim17ROCPRIM_400000_NS6detail17trampoline_kernelINS0_14default_configENS1_38merge_sort_block_merge_config_selectorIjjEEZZNS1_27merge_sort_block_merge_implIS3_N6thrust23THRUST_200600_302600_NS6detail15normal_iteratorINS8_10device_ptrIjEEEESD_jNS1_19radix_merge_compareILb0ELb0EjNS0_19identity_decomposerEEEEE10hipError_tT0_T1_T2_jT3_P12ihipStream_tbPNSt15iterator_traitsISI_E10value_typeEPNSO_ISJ_E10value_typeEPSK_NS1_7vsmem_tEENKUlT_SI_SJ_SK_E_clIPjSD_S10_SD_EESH_SX_SI_SJ_SK_EUlSX_E1_NS1_11comp_targetILNS1_3genE8ELNS1_11target_archE1030ELNS1_3gpuE2ELNS1_3repE0EEENS1_36merge_oddeven_config_static_selectorELNS0_4arch9wavefront6targetE1EEEvSJ_.uses_flat_scratch, 0
	.set _ZN7rocprim17ROCPRIM_400000_NS6detail17trampoline_kernelINS0_14default_configENS1_38merge_sort_block_merge_config_selectorIjjEEZZNS1_27merge_sort_block_merge_implIS3_N6thrust23THRUST_200600_302600_NS6detail15normal_iteratorINS8_10device_ptrIjEEEESD_jNS1_19radix_merge_compareILb0ELb0EjNS0_19identity_decomposerEEEEE10hipError_tT0_T1_T2_jT3_P12ihipStream_tbPNSt15iterator_traitsISI_E10value_typeEPNSO_ISJ_E10value_typeEPSK_NS1_7vsmem_tEENKUlT_SI_SJ_SK_E_clIPjSD_S10_SD_EESH_SX_SI_SJ_SK_EUlSX_E1_NS1_11comp_targetILNS1_3genE8ELNS1_11target_archE1030ELNS1_3gpuE2ELNS1_3repE0EEENS1_36merge_oddeven_config_static_selectorELNS0_4arch9wavefront6targetE1EEEvSJ_.has_dyn_sized_stack, 0
	.set _ZN7rocprim17ROCPRIM_400000_NS6detail17trampoline_kernelINS0_14default_configENS1_38merge_sort_block_merge_config_selectorIjjEEZZNS1_27merge_sort_block_merge_implIS3_N6thrust23THRUST_200600_302600_NS6detail15normal_iteratorINS8_10device_ptrIjEEEESD_jNS1_19radix_merge_compareILb0ELb0EjNS0_19identity_decomposerEEEEE10hipError_tT0_T1_T2_jT3_P12ihipStream_tbPNSt15iterator_traitsISI_E10value_typeEPNSO_ISJ_E10value_typeEPSK_NS1_7vsmem_tEENKUlT_SI_SJ_SK_E_clIPjSD_S10_SD_EESH_SX_SI_SJ_SK_EUlSX_E1_NS1_11comp_targetILNS1_3genE8ELNS1_11target_archE1030ELNS1_3gpuE2ELNS1_3repE0EEENS1_36merge_oddeven_config_static_selectorELNS0_4arch9wavefront6targetE1EEEvSJ_.has_recursion, 0
	.set _ZN7rocprim17ROCPRIM_400000_NS6detail17trampoline_kernelINS0_14default_configENS1_38merge_sort_block_merge_config_selectorIjjEEZZNS1_27merge_sort_block_merge_implIS3_N6thrust23THRUST_200600_302600_NS6detail15normal_iteratorINS8_10device_ptrIjEEEESD_jNS1_19radix_merge_compareILb0ELb0EjNS0_19identity_decomposerEEEEE10hipError_tT0_T1_T2_jT3_P12ihipStream_tbPNSt15iterator_traitsISI_E10value_typeEPNSO_ISJ_E10value_typeEPSK_NS1_7vsmem_tEENKUlT_SI_SJ_SK_E_clIPjSD_S10_SD_EESH_SX_SI_SJ_SK_EUlSX_E1_NS1_11comp_targetILNS1_3genE8ELNS1_11target_archE1030ELNS1_3gpuE2ELNS1_3repE0EEENS1_36merge_oddeven_config_static_selectorELNS0_4arch9wavefront6targetE1EEEvSJ_.has_indirect_call, 0
	.section	.AMDGPU.csdata,"",@progbits
; Kernel info:
; codeLenInByte = 0
; TotalNumSgprs: 6
; NumVgprs: 0
; NumAgprs: 0
; TotalNumVgprs: 0
; ScratchSize: 0
; MemoryBound: 0
; FloatMode: 240
; IeeeMode: 1
; LDSByteSize: 0 bytes/workgroup (compile time only)
; SGPRBlocks: 0
; VGPRBlocks: 0
; NumSGPRsForWavesPerEU: 6
; NumVGPRsForWavesPerEU: 1
; AccumOffset: 4
; Occupancy: 8
; WaveLimiterHint : 0
; COMPUTE_PGM_RSRC2:SCRATCH_EN: 0
; COMPUTE_PGM_RSRC2:USER_SGPR: 2
; COMPUTE_PGM_RSRC2:TRAP_HANDLER: 0
; COMPUTE_PGM_RSRC2:TGID_X_EN: 1
; COMPUTE_PGM_RSRC2:TGID_Y_EN: 0
; COMPUTE_PGM_RSRC2:TGID_Z_EN: 0
; COMPUTE_PGM_RSRC2:TIDIG_COMP_CNT: 0
; COMPUTE_PGM_RSRC3_GFX90A:ACCUM_OFFSET: 0
; COMPUTE_PGM_RSRC3_GFX90A:TG_SPLIT: 0
	.section	.text._ZN7rocprim17ROCPRIM_400000_NS6detail17trampoline_kernelINS0_14default_configENS1_38merge_sort_block_merge_config_selectorIjjEEZZNS1_27merge_sort_block_merge_implIS3_N6thrust23THRUST_200600_302600_NS6detail15normal_iteratorINS8_10device_ptrIjEEEESD_jNS1_19radix_merge_compareILb0ELb0EjNS0_19identity_decomposerEEEEE10hipError_tT0_T1_T2_jT3_P12ihipStream_tbPNSt15iterator_traitsISI_E10value_typeEPNSO_ISJ_E10value_typeEPSK_NS1_7vsmem_tEENKUlT_SI_SJ_SK_E_clISD_PjSD_S10_EESH_SX_SI_SJ_SK_EUlSX_E_NS1_11comp_targetILNS1_3genE0ELNS1_11target_archE4294967295ELNS1_3gpuE0ELNS1_3repE0EEENS1_48merge_mergepath_partition_config_static_selectorELNS0_4arch9wavefront6targetE1EEEvSJ_,"axG",@progbits,_ZN7rocprim17ROCPRIM_400000_NS6detail17trampoline_kernelINS0_14default_configENS1_38merge_sort_block_merge_config_selectorIjjEEZZNS1_27merge_sort_block_merge_implIS3_N6thrust23THRUST_200600_302600_NS6detail15normal_iteratorINS8_10device_ptrIjEEEESD_jNS1_19radix_merge_compareILb0ELb0EjNS0_19identity_decomposerEEEEE10hipError_tT0_T1_T2_jT3_P12ihipStream_tbPNSt15iterator_traitsISI_E10value_typeEPNSO_ISJ_E10value_typeEPSK_NS1_7vsmem_tEENKUlT_SI_SJ_SK_E_clISD_PjSD_S10_EESH_SX_SI_SJ_SK_EUlSX_E_NS1_11comp_targetILNS1_3genE0ELNS1_11target_archE4294967295ELNS1_3gpuE0ELNS1_3repE0EEENS1_48merge_mergepath_partition_config_static_selectorELNS0_4arch9wavefront6targetE1EEEvSJ_,comdat
	.protected	_ZN7rocprim17ROCPRIM_400000_NS6detail17trampoline_kernelINS0_14default_configENS1_38merge_sort_block_merge_config_selectorIjjEEZZNS1_27merge_sort_block_merge_implIS3_N6thrust23THRUST_200600_302600_NS6detail15normal_iteratorINS8_10device_ptrIjEEEESD_jNS1_19radix_merge_compareILb0ELb0EjNS0_19identity_decomposerEEEEE10hipError_tT0_T1_T2_jT3_P12ihipStream_tbPNSt15iterator_traitsISI_E10value_typeEPNSO_ISJ_E10value_typeEPSK_NS1_7vsmem_tEENKUlT_SI_SJ_SK_E_clISD_PjSD_S10_EESH_SX_SI_SJ_SK_EUlSX_E_NS1_11comp_targetILNS1_3genE0ELNS1_11target_archE4294967295ELNS1_3gpuE0ELNS1_3repE0EEENS1_48merge_mergepath_partition_config_static_selectorELNS0_4arch9wavefront6targetE1EEEvSJ_ ; -- Begin function _ZN7rocprim17ROCPRIM_400000_NS6detail17trampoline_kernelINS0_14default_configENS1_38merge_sort_block_merge_config_selectorIjjEEZZNS1_27merge_sort_block_merge_implIS3_N6thrust23THRUST_200600_302600_NS6detail15normal_iteratorINS8_10device_ptrIjEEEESD_jNS1_19radix_merge_compareILb0ELb0EjNS0_19identity_decomposerEEEEE10hipError_tT0_T1_T2_jT3_P12ihipStream_tbPNSt15iterator_traitsISI_E10value_typeEPNSO_ISJ_E10value_typeEPSK_NS1_7vsmem_tEENKUlT_SI_SJ_SK_E_clISD_PjSD_S10_EESH_SX_SI_SJ_SK_EUlSX_E_NS1_11comp_targetILNS1_3genE0ELNS1_11target_archE4294967295ELNS1_3gpuE0ELNS1_3repE0EEENS1_48merge_mergepath_partition_config_static_selectorELNS0_4arch9wavefront6targetE1EEEvSJ_
	.globl	_ZN7rocprim17ROCPRIM_400000_NS6detail17trampoline_kernelINS0_14default_configENS1_38merge_sort_block_merge_config_selectorIjjEEZZNS1_27merge_sort_block_merge_implIS3_N6thrust23THRUST_200600_302600_NS6detail15normal_iteratorINS8_10device_ptrIjEEEESD_jNS1_19radix_merge_compareILb0ELb0EjNS0_19identity_decomposerEEEEE10hipError_tT0_T1_T2_jT3_P12ihipStream_tbPNSt15iterator_traitsISI_E10value_typeEPNSO_ISJ_E10value_typeEPSK_NS1_7vsmem_tEENKUlT_SI_SJ_SK_E_clISD_PjSD_S10_EESH_SX_SI_SJ_SK_EUlSX_E_NS1_11comp_targetILNS1_3genE0ELNS1_11target_archE4294967295ELNS1_3gpuE0ELNS1_3repE0EEENS1_48merge_mergepath_partition_config_static_selectorELNS0_4arch9wavefront6targetE1EEEvSJ_
	.p2align	8
	.type	_ZN7rocprim17ROCPRIM_400000_NS6detail17trampoline_kernelINS0_14default_configENS1_38merge_sort_block_merge_config_selectorIjjEEZZNS1_27merge_sort_block_merge_implIS3_N6thrust23THRUST_200600_302600_NS6detail15normal_iteratorINS8_10device_ptrIjEEEESD_jNS1_19radix_merge_compareILb0ELb0EjNS0_19identity_decomposerEEEEE10hipError_tT0_T1_T2_jT3_P12ihipStream_tbPNSt15iterator_traitsISI_E10value_typeEPNSO_ISJ_E10value_typeEPSK_NS1_7vsmem_tEENKUlT_SI_SJ_SK_E_clISD_PjSD_S10_EESH_SX_SI_SJ_SK_EUlSX_E_NS1_11comp_targetILNS1_3genE0ELNS1_11target_archE4294967295ELNS1_3gpuE0ELNS1_3repE0EEENS1_48merge_mergepath_partition_config_static_selectorELNS0_4arch9wavefront6targetE1EEEvSJ_,@function
_ZN7rocprim17ROCPRIM_400000_NS6detail17trampoline_kernelINS0_14default_configENS1_38merge_sort_block_merge_config_selectorIjjEEZZNS1_27merge_sort_block_merge_implIS3_N6thrust23THRUST_200600_302600_NS6detail15normal_iteratorINS8_10device_ptrIjEEEESD_jNS1_19radix_merge_compareILb0ELb0EjNS0_19identity_decomposerEEEEE10hipError_tT0_T1_T2_jT3_P12ihipStream_tbPNSt15iterator_traitsISI_E10value_typeEPNSO_ISJ_E10value_typeEPSK_NS1_7vsmem_tEENKUlT_SI_SJ_SK_E_clISD_PjSD_S10_EESH_SX_SI_SJ_SK_EUlSX_E_NS1_11comp_targetILNS1_3genE0ELNS1_11target_archE4294967295ELNS1_3gpuE0ELNS1_3repE0EEENS1_48merge_mergepath_partition_config_static_selectorELNS0_4arch9wavefront6targetE1EEEvSJ_: ; @_ZN7rocprim17ROCPRIM_400000_NS6detail17trampoline_kernelINS0_14default_configENS1_38merge_sort_block_merge_config_selectorIjjEEZZNS1_27merge_sort_block_merge_implIS3_N6thrust23THRUST_200600_302600_NS6detail15normal_iteratorINS8_10device_ptrIjEEEESD_jNS1_19radix_merge_compareILb0ELb0EjNS0_19identity_decomposerEEEEE10hipError_tT0_T1_T2_jT3_P12ihipStream_tbPNSt15iterator_traitsISI_E10value_typeEPNSO_ISJ_E10value_typeEPSK_NS1_7vsmem_tEENKUlT_SI_SJ_SK_E_clISD_PjSD_S10_EESH_SX_SI_SJ_SK_EUlSX_E_NS1_11comp_targetILNS1_3genE0ELNS1_11target_archE4294967295ELNS1_3gpuE0ELNS1_3repE0EEENS1_48merge_mergepath_partition_config_static_selectorELNS0_4arch9wavefront6targetE1EEEvSJ_
; %bb.0:
	s_load_dword s3, s[0:1], 0x0
	v_lshl_or_b32 v0, s2, 7, v0
	s_waitcnt lgkmcnt(0)
	v_cmp_gt_u32_e32 vcc, s3, v0
	s_and_saveexec_b64 s[2:3], vcc
	s_cbranch_execz .LBB643_6
; %bb.1:
	s_load_dwordx2 s[4:5], s[0:1], 0x4
	s_load_dwordx2 s[2:3], s[0:1], 0x20
	s_waitcnt lgkmcnt(0)
	s_lshr_b32 s6, s4, 9
	s_and_b32 s6, s6, 0x7ffffe
	s_add_i32 s7, s6, -1
	s_sub_i32 s6, 0, s6
	v_and_b32_e32 v1, s6, v0
	v_lshlrev_b32_e32 v1, 10, v1
	v_min_u32_e32 v2, s5, v1
	v_add_u32_e32 v1, s4, v1
	v_min_u32_e32 v4, s5, v1
	v_add_u32_e32 v1, s4, v4
	v_and_b32_e32 v3, s7, v0
	v_min_u32_e32 v1, s5, v1
	v_sub_u32_e32 v5, v1, v2
	v_lshlrev_b32_e32 v3, 10, v3
	v_min_u32_e32 v10, v5, v3
	v_sub_u32_e32 v3, v4, v2
	v_sub_u32_e32 v1, v1, v4
	v_sub_u32_e64 v1, v10, v1 clamp
	v_min_u32_e32 v11, v10, v3
	v_cmp_lt_u32_e32 vcc, v1, v11
	s_and_saveexec_b64 s[4:5], vcc
	s_cbranch_execz .LBB643_5
; %bb.2:
	s_load_dwordx2 s[0:1], s[0:1], 0x10
	v_mov_b32_e32 v5, 0
	v_mov_b32_e32 v3, v5
	s_waitcnt lgkmcnt(0)
	v_lshl_add_u64 v[6:7], v[2:3], 2, s[0:1]
	v_lshl_add_u64 v[8:9], v[4:5], 2, s[0:1]
	s_mov_b64 s[0:1], 0
.LBB643_3:                              ; =>This Inner Loop Header: Depth=1
	v_add_u32_e32 v3, v11, v1
	v_lshrrev_b32_e32 v4, 1, v3
	v_mov_b32_e32 v13, v5
	v_xad_u32 v12, v4, -1, v10
	v_lshl_add_u64 v[14:15], v[4:5], 2, v[6:7]
	v_lshl_add_u64 v[12:13], v[12:13], 2, v[8:9]
	flat_load_dword v3, v[14:15]
	flat_load_dword v16, v[12:13]
	v_add_u32_e32 v12, 1, v4
	s_waitcnt vmcnt(0) lgkmcnt(0)
	v_cmp_gt_u32_e32 vcc, v3, v16
	s_nop 1
	v_cndmask_b32_e32 v11, v11, v4, vcc
	v_cndmask_b32_e32 v1, v12, v1, vcc
	v_cmp_ge_u32_e32 vcc, v1, v11
	s_or_b64 s[0:1], vcc, s[0:1]
	s_andn2_b64 exec, exec, s[0:1]
	s_cbranch_execnz .LBB643_3
; %bb.4:
	s_or_b64 exec, exec, s[0:1]
.LBB643_5:
	s_or_b64 exec, exec, s[4:5]
	v_add_u32_e32 v2, v1, v2
	v_mov_b32_e32 v1, 0
	v_lshl_add_u64 v[0:1], v[0:1], 2, s[2:3]
	global_store_dword v[0:1], v2, off
.LBB643_6:
	s_endpgm
	.section	.rodata,"a",@progbits
	.p2align	6, 0x0
	.amdhsa_kernel _ZN7rocprim17ROCPRIM_400000_NS6detail17trampoline_kernelINS0_14default_configENS1_38merge_sort_block_merge_config_selectorIjjEEZZNS1_27merge_sort_block_merge_implIS3_N6thrust23THRUST_200600_302600_NS6detail15normal_iteratorINS8_10device_ptrIjEEEESD_jNS1_19radix_merge_compareILb0ELb0EjNS0_19identity_decomposerEEEEE10hipError_tT0_T1_T2_jT3_P12ihipStream_tbPNSt15iterator_traitsISI_E10value_typeEPNSO_ISJ_E10value_typeEPSK_NS1_7vsmem_tEENKUlT_SI_SJ_SK_E_clISD_PjSD_S10_EESH_SX_SI_SJ_SK_EUlSX_E_NS1_11comp_targetILNS1_3genE0ELNS1_11target_archE4294967295ELNS1_3gpuE0ELNS1_3repE0EEENS1_48merge_mergepath_partition_config_static_selectorELNS0_4arch9wavefront6targetE1EEEvSJ_
		.amdhsa_group_segment_fixed_size 0
		.amdhsa_private_segment_fixed_size 0
		.amdhsa_kernarg_size 40
		.amdhsa_user_sgpr_count 2
		.amdhsa_user_sgpr_dispatch_ptr 0
		.amdhsa_user_sgpr_queue_ptr 0
		.amdhsa_user_sgpr_kernarg_segment_ptr 1
		.amdhsa_user_sgpr_dispatch_id 0
		.amdhsa_user_sgpr_kernarg_preload_length 0
		.amdhsa_user_sgpr_kernarg_preload_offset 0
		.amdhsa_user_sgpr_private_segment_size 0
		.amdhsa_uses_dynamic_stack 0
		.amdhsa_enable_private_segment 0
		.amdhsa_system_sgpr_workgroup_id_x 1
		.amdhsa_system_sgpr_workgroup_id_y 0
		.amdhsa_system_sgpr_workgroup_id_z 0
		.amdhsa_system_sgpr_workgroup_info 0
		.amdhsa_system_vgpr_workitem_id 0
		.amdhsa_next_free_vgpr 17
		.amdhsa_next_free_sgpr 8
		.amdhsa_accum_offset 20
		.amdhsa_reserve_vcc 1
		.amdhsa_float_round_mode_32 0
		.amdhsa_float_round_mode_16_64 0
		.amdhsa_float_denorm_mode_32 3
		.amdhsa_float_denorm_mode_16_64 3
		.amdhsa_dx10_clamp 1
		.amdhsa_ieee_mode 1
		.amdhsa_fp16_overflow 0
		.amdhsa_tg_split 0
		.amdhsa_exception_fp_ieee_invalid_op 0
		.amdhsa_exception_fp_denorm_src 0
		.amdhsa_exception_fp_ieee_div_zero 0
		.amdhsa_exception_fp_ieee_overflow 0
		.amdhsa_exception_fp_ieee_underflow 0
		.amdhsa_exception_fp_ieee_inexact 0
		.amdhsa_exception_int_div_zero 0
	.end_amdhsa_kernel
	.section	.text._ZN7rocprim17ROCPRIM_400000_NS6detail17trampoline_kernelINS0_14default_configENS1_38merge_sort_block_merge_config_selectorIjjEEZZNS1_27merge_sort_block_merge_implIS3_N6thrust23THRUST_200600_302600_NS6detail15normal_iteratorINS8_10device_ptrIjEEEESD_jNS1_19radix_merge_compareILb0ELb0EjNS0_19identity_decomposerEEEEE10hipError_tT0_T1_T2_jT3_P12ihipStream_tbPNSt15iterator_traitsISI_E10value_typeEPNSO_ISJ_E10value_typeEPSK_NS1_7vsmem_tEENKUlT_SI_SJ_SK_E_clISD_PjSD_S10_EESH_SX_SI_SJ_SK_EUlSX_E_NS1_11comp_targetILNS1_3genE0ELNS1_11target_archE4294967295ELNS1_3gpuE0ELNS1_3repE0EEENS1_48merge_mergepath_partition_config_static_selectorELNS0_4arch9wavefront6targetE1EEEvSJ_,"axG",@progbits,_ZN7rocprim17ROCPRIM_400000_NS6detail17trampoline_kernelINS0_14default_configENS1_38merge_sort_block_merge_config_selectorIjjEEZZNS1_27merge_sort_block_merge_implIS3_N6thrust23THRUST_200600_302600_NS6detail15normal_iteratorINS8_10device_ptrIjEEEESD_jNS1_19radix_merge_compareILb0ELb0EjNS0_19identity_decomposerEEEEE10hipError_tT0_T1_T2_jT3_P12ihipStream_tbPNSt15iterator_traitsISI_E10value_typeEPNSO_ISJ_E10value_typeEPSK_NS1_7vsmem_tEENKUlT_SI_SJ_SK_E_clISD_PjSD_S10_EESH_SX_SI_SJ_SK_EUlSX_E_NS1_11comp_targetILNS1_3genE0ELNS1_11target_archE4294967295ELNS1_3gpuE0ELNS1_3repE0EEENS1_48merge_mergepath_partition_config_static_selectorELNS0_4arch9wavefront6targetE1EEEvSJ_,comdat
.Lfunc_end643:
	.size	_ZN7rocprim17ROCPRIM_400000_NS6detail17trampoline_kernelINS0_14default_configENS1_38merge_sort_block_merge_config_selectorIjjEEZZNS1_27merge_sort_block_merge_implIS3_N6thrust23THRUST_200600_302600_NS6detail15normal_iteratorINS8_10device_ptrIjEEEESD_jNS1_19radix_merge_compareILb0ELb0EjNS0_19identity_decomposerEEEEE10hipError_tT0_T1_T2_jT3_P12ihipStream_tbPNSt15iterator_traitsISI_E10value_typeEPNSO_ISJ_E10value_typeEPSK_NS1_7vsmem_tEENKUlT_SI_SJ_SK_E_clISD_PjSD_S10_EESH_SX_SI_SJ_SK_EUlSX_E_NS1_11comp_targetILNS1_3genE0ELNS1_11target_archE4294967295ELNS1_3gpuE0ELNS1_3repE0EEENS1_48merge_mergepath_partition_config_static_selectorELNS0_4arch9wavefront6targetE1EEEvSJ_, .Lfunc_end643-_ZN7rocprim17ROCPRIM_400000_NS6detail17trampoline_kernelINS0_14default_configENS1_38merge_sort_block_merge_config_selectorIjjEEZZNS1_27merge_sort_block_merge_implIS3_N6thrust23THRUST_200600_302600_NS6detail15normal_iteratorINS8_10device_ptrIjEEEESD_jNS1_19radix_merge_compareILb0ELb0EjNS0_19identity_decomposerEEEEE10hipError_tT0_T1_T2_jT3_P12ihipStream_tbPNSt15iterator_traitsISI_E10value_typeEPNSO_ISJ_E10value_typeEPSK_NS1_7vsmem_tEENKUlT_SI_SJ_SK_E_clISD_PjSD_S10_EESH_SX_SI_SJ_SK_EUlSX_E_NS1_11comp_targetILNS1_3genE0ELNS1_11target_archE4294967295ELNS1_3gpuE0ELNS1_3repE0EEENS1_48merge_mergepath_partition_config_static_selectorELNS0_4arch9wavefront6targetE1EEEvSJ_
                                        ; -- End function
	.set _ZN7rocprim17ROCPRIM_400000_NS6detail17trampoline_kernelINS0_14default_configENS1_38merge_sort_block_merge_config_selectorIjjEEZZNS1_27merge_sort_block_merge_implIS3_N6thrust23THRUST_200600_302600_NS6detail15normal_iteratorINS8_10device_ptrIjEEEESD_jNS1_19radix_merge_compareILb0ELb0EjNS0_19identity_decomposerEEEEE10hipError_tT0_T1_T2_jT3_P12ihipStream_tbPNSt15iterator_traitsISI_E10value_typeEPNSO_ISJ_E10value_typeEPSK_NS1_7vsmem_tEENKUlT_SI_SJ_SK_E_clISD_PjSD_S10_EESH_SX_SI_SJ_SK_EUlSX_E_NS1_11comp_targetILNS1_3genE0ELNS1_11target_archE4294967295ELNS1_3gpuE0ELNS1_3repE0EEENS1_48merge_mergepath_partition_config_static_selectorELNS0_4arch9wavefront6targetE1EEEvSJ_.num_vgpr, 17
	.set _ZN7rocprim17ROCPRIM_400000_NS6detail17trampoline_kernelINS0_14default_configENS1_38merge_sort_block_merge_config_selectorIjjEEZZNS1_27merge_sort_block_merge_implIS3_N6thrust23THRUST_200600_302600_NS6detail15normal_iteratorINS8_10device_ptrIjEEEESD_jNS1_19radix_merge_compareILb0ELb0EjNS0_19identity_decomposerEEEEE10hipError_tT0_T1_T2_jT3_P12ihipStream_tbPNSt15iterator_traitsISI_E10value_typeEPNSO_ISJ_E10value_typeEPSK_NS1_7vsmem_tEENKUlT_SI_SJ_SK_E_clISD_PjSD_S10_EESH_SX_SI_SJ_SK_EUlSX_E_NS1_11comp_targetILNS1_3genE0ELNS1_11target_archE4294967295ELNS1_3gpuE0ELNS1_3repE0EEENS1_48merge_mergepath_partition_config_static_selectorELNS0_4arch9wavefront6targetE1EEEvSJ_.num_agpr, 0
	.set _ZN7rocprim17ROCPRIM_400000_NS6detail17trampoline_kernelINS0_14default_configENS1_38merge_sort_block_merge_config_selectorIjjEEZZNS1_27merge_sort_block_merge_implIS3_N6thrust23THRUST_200600_302600_NS6detail15normal_iteratorINS8_10device_ptrIjEEEESD_jNS1_19radix_merge_compareILb0ELb0EjNS0_19identity_decomposerEEEEE10hipError_tT0_T1_T2_jT3_P12ihipStream_tbPNSt15iterator_traitsISI_E10value_typeEPNSO_ISJ_E10value_typeEPSK_NS1_7vsmem_tEENKUlT_SI_SJ_SK_E_clISD_PjSD_S10_EESH_SX_SI_SJ_SK_EUlSX_E_NS1_11comp_targetILNS1_3genE0ELNS1_11target_archE4294967295ELNS1_3gpuE0ELNS1_3repE0EEENS1_48merge_mergepath_partition_config_static_selectorELNS0_4arch9wavefront6targetE1EEEvSJ_.numbered_sgpr, 8
	.set _ZN7rocprim17ROCPRIM_400000_NS6detail17trampoline_kernelINS0_14default_configENS1_38merge_sort_block_merge_config_selectorIjjEEZZNS1_27merge_sort_block_merge_implIS3_N6thrust23THRUST_200600_302600_NS6detail15normal_iteratorINS8_10device_ptrIjEEEESD_jNS1_19radix_merge_compareILb0ELb0EjNS0_19identity_decomposerEEEEE10hipError_tT0_T1_T2_jT3_P12ihipStream_tbPNSt15iterator_traitsISI_E10value_typeEPNSO_ISJ_E10value_typeEPSK_NS1_7vsmem_tEENKUlT_SI_SJ_SK_E_clISD_PjSD_S10_EESH_SX_SI_SJ_SK_EUlSX_E_NS1_11comp_targetILNS1_3genE0ELNS1_11target_archE4294967295ELNS1_3gpuE0ELNS1_3repE0EEENS1_48merge_mergepath_partition_config_static_selectorELNS0_4arch9wavefront6targetE1EEEvSJ_.num_named_barrier, 0
	.set _ZN7rocprim17ROCPRIM_400000_NS6detail17trampoline_kernelINS0_14default_configENS1_38merge_sort_block_merge_config_selectorIjjEEZZNS1_27merge_sort_block_merge_implIS3_N6thrust23THRUST_200600_302600_NS6detail15normal_iteratorINS8_10device_ptrIjEEEESD_jNS1_19radix_merge_compareILb0ELb0EjNS0_19identity_decomposerEEEEE10hipError_tT0_T1_T2_jT3_P12ihipStream_tbPNSt15iterator_traitsISI_E10value_typeEPNSO_ISJ_E10value_typeEPSK_NS1_7vsmem_tEENKUlT_SI_SJ_SK_E_clISD_PjSD_S10_EESH_SX_SI_SJ_SK_EUlSX_E_NS1_11comp_targetILNS1_3genE0ELNS1_11target_archE4294967295ELNS1_3gpuE0ELNS1_3repE0EEENS1_48merge_mergepath_partition_config_static_selectorELNS0_4arch9wavefront6targetE1EEEvSJ_.private_seg_size, 0
	.set _ZN7rocprim17ROCPRIM_400000_NS6detail17trampoline_kernelINS0_14default_configENS1_38merge_sort_block_merge_config_selectorIjjEEZZNS1_27merge_sort_block_merge_implIS3_N6thrust23THRUST_200600_302600_NS6detail15normal_iteratorINS8_10device_ptrIjEEEESD_jNS1_19radix_merge_compareILb0ELb0EjNS0_19identity_decomposerEEEEE10hipError_tT0_T1_T2_jT3_P12ihipStream_tbPNSt15iterator_traitsISI_E10value_typeEPNSO_ISJ_E10value_typeEPSK_NS1_7vsmem_tEENKUlT_SI_SJ_SK_E_clISD_PjSD_S10_EESH_SX_SI_SJ_SK_EUlSX_E_NS1_11comp_targetILNS1_3genE0ELNS1_11target_archE4294967295ELNS1_3gpuE0ELNS1_3repE0EEENS1_48merge_mergepath_partition_config_static_selectorELNS0_4arch9wavefront6targetE1EEEvSJ_.uses_vcc, 1
	.set _ZN7rocprim17ROCPRIM_400000_NS6detail17trampoline_kernelINS0_14default_configENS1_38merge_sort_block_merge_config_selectorIjjEEZZNS1_27merge_sort_block_merge_implIS3_N6thrust23THRUST_200600_302600_NS6detail15normal_iteratorINS8_10device_ptrIjEEEESD_jNS1_19radix_merge_compareILb0ELb0EjNS0_19identity_decomposerEEEEE10hipError_tT0_T1_T2_jT3_P12ihipStream_tbPNSt15iterator_traitsISI_E10value_typeEPNSO_ISJ_E10value_typeEPSK_NS1_7vsmem_tEENKUlT_SI_SJ_SK_E_clISD_PjSD_S10_EESH_SX_SI_SJ_SK_EUlSX_E_NS1_11comp_targetILNS1_3genE0ELNS1_11target_archE4294967295ELNS1_3gpuE0ELNS1_3repE0EEENS1_48merge_mergepath_partition_config_static_selectorELNS0_4arch9wavefront6targetE1EEEvSJ_.uses_flat_scratch, 0
	.set _ZN7rocprim17ROCPRIM_400000_NS6detail17trampoline_kernelINS0_14default_configENS1_38merge_sort_block_merge_config_selectorIjjEEZZNS1_27merge_sort_block_merge_implIS3_N6thrust23THRUST_200600_302600_NS6detail15normal_iteratorINS8_10device_ptrIjEEEESD_jNS1_19radix_merge_compareILb0ELb0EjNS0_19identity_decomposerEEEEE10hipError_tT0_T1_T2_jT3_P12ihipStream_tbPNSt15iterator_traitsISI_E10value_typeEPNSO_ISJ_E10value_typeEPSK_NS1_7vsmem_tEENKUlT_SI_SJ_SK_E_clISD_PjSD_S10_EESH_SX_SI_SJ_SK_EUlSX_E_NS1_11comp_targetILNS1_3genE0ELNS1_11target_archE4294967295ELNS1_3gpuE0ELNS1_3repE0EEENS1_48merge_mergepath_partition_config_static_selectorELNS0_4arch9wavefront6targetE1EEEvSJ_.has_dyn_sized_stack, 0
	.set _ZN7rocprim17ROCPRIM_400000_NS6detail17trampoline_kernelINS0_14default_configENS1_38merge_sort_block_merge_config_selectorIjjEEZZNS1_27merge_sort_block_merge_implIS3_N6thrust23THRUST_200600_302600_NS6detail15normal_iteratorINS8_10device_ptrIjEEEESD_jNS1_19radix_merge_compareILb0ELb0EjNS0_19identity_decomposerEEEEE10hipError_tT0_T1_T2_jT3_P12ihipStream_tbPNSt15iterator_traitsISI_E10value_typeEPNSO_ISJ_E10value_typeEPSK_NS1_7vsmem_tEENKUlT_SI_SJ_SK_E_clISD_PjSD_S10_EESH_SX_SI_SJ_SK_EUlSX_E_NS1_11comp_targetILNS1_3genE0ELNS1_11target_archE4294967295ELNS1_3gpuE0ELNS1_3repE0EEENS1_48merge_mergepath_partition_config_static_selectorELNS0_4arch9wavefront6targetE1EEEvSJ_.has_recursion, 0
	.set _ZN7rocprim17ROCPRIM_400000_NS6detail17trampoline_kernelINS0_14default_configENS1_38merge_sort_block_merge_config_selectorIjjEEZZNS1_27merge_sort_block_merge_implIS3_N6thrust23THRUST_200600_302600_NS6detail15normal_iteratorINS8_10device_ptrIjEEEESD_jNS1_19radix_merge_compareILb0ELb0EjNS0_19identity_decomposerEEEEE10hipError_tT0_T1_T2_jT3_P12ihipStream_tbPNSt15iterator_traitsISI_E10value_typeEPNSO_ISJ_E10value_typeEPSK_NS1_7vsmem_tEENKUlT_SI_SJ_SK_E_clISD_PjSD_S10_EESH_SX_SI_SJ_SK_EUlSX_E_NS1_11comp_targetILNS1_3genE0ELNS1_11target_archE4294967295ELNS1_3gpuE0ELNS1_3repE0EEENS1_48merge_mergepath_partition_config_static_selectorELNS0_4arch9wavefront6targetE1EEEvSJ_.has_indirect_call, 0
	.section	.AMDGPU.csdata,"",@progbits
; Kernel info:
; codeLenInByte = 316
; TotalNumSgprs: 14
; NumVgprs: 17
; NumAgprs: 0
; TotalNumVgprs: 17
; ScratchSize: 0
; MemoryBound: 0
; FloatMode: 240
; IeeeMode: 1
; LDSByteSize: 0 bytes/workgroup (compile time only)
; SGPRBlocks: 1
; VGPRBlocks: 2
; NumSGPRsForWavesPerEU: 14
; NumVGPRsForWavesPerEU: 17
; AccumOffset: 20
; Occupancy: 8
; WaveLimiterHint : 0
; COMPUTE_PGM_RSRC2:SCRATCH_EN: 0
; COMPUTE_PGM_RSRC2:USER_SGPR: 2
; COMPUTE_PGM_RSRC2:TRAP_HANDLER: 0
; COMPUTE_PGM_RSRC2:TGID_X_EN: 1
; COMPUTE_PGM_RSRC2:TGID_Y_EN: 0
; COMPUTE_PGM_RSRC2:TGID_Z_EN: 0
; COMPUTE_PGM_RSRC2:TIDIG_COMP_CNT: 0
; COMPUTE_PGM_RSRC3_GFX90A:ACCUM_OFFSET: 4
; COMPUTE_PGM_RSRC3_GFX90A:TG_SPLIT: 0
	.section	.text._ZN7rocprim17ROCPRIM_400000_NS6detail17trampoline_kernelINS0_14default_configENS1_38merge_sort_block_merge_config_selectorIjjEEZZNS1_27merge_sort_block_merge_implIS3_N6thrust23THRUST_200600_302600_NS6detail15normal_iteratorINS8_10device_ptrIjEEEESD_jNS1_19radix_merge_compareILb0ELb0EjNS0_19identity_decomposerEEEEE10hipError_tT0_T1_T2_jT3_P12ihipStream_tbPNSt15iterator_traitsISI_E10value_typeEPNSO_ISJ_E10value_typeEPSK_NS1_7vsmem_tEENKUlT_SI_SJ_SK_E_clISD_PjSD_S10_EESH_SX_SI_SJ_SK_EUlSX_E_NS1_11comp_targetILNS1_3genE10ELNS1_11target_archE1201ELNS1_3gpuE5ELNS1_3repE0EEENS1_48merge_mergepath_partition_config_static_selectorELNS0_4arch9wavefront6targetE1EEEvSJ_,"axG",@progbits,_ZN7rocprim17ROCPRIM_400000_NS6detail17trampoline_kernelINS0_14default_configENS1_38merge_sort_block_merge_config_selectorIjjEEZZNS1_27merge_sort_block_merge_implIS3_N6thrust23THRUST_200600_302600_NS6detail15normal_iteratorINS8_10device_ptrIjEEEESD_jNS1_19radix_merge_compareILb0ELb0EjNS0_19identity_decomposerEEEEE10hipError_tT0_T1_T2_jT3_P12ihipStream_tbPNSt15iterator_traitsISI_E10value_typeEPNSO_ISJ_E10value_typeEPSK_NS1_7vsmem_tEENKUlT_SI_SJ_SK_E_clISD_PjSD_S10_EESH_SX_SI_SJ_SK_EUlSX_E_NS1_11comp_targetILNS1_3genE10ELNS1_11target_archE1201ELNS1_3gpuE5ELNS1_3repE0EEENS1_48merge_mergepath_partition_config_static_selectorELNS0_4arch9wavefront6targetE1EEEvSJ_,comdat
	.protected	_ZN7rocprim17ROCPRIM_400000_NS6detail17trampoline_kernelINS0_14default_configENS1_38merge_sort_block_merge_config_selectorIjjEEZZNS1_27merge_sort_block_merge_implIS3_N6thrust23THRUST_200600_302600_NS6detail15normal_iteratorINS8_10device_ptrIjEEEESD_jNS1_19radix_merge_compareILb0ELb0EjNS0_19identity_decomposerEEEEE10hipError_tT0_T1_T2_jT3_P12ihipStream_tbPNSt15iterator_traitsISI_E10value_typeEPNSO_ISJ_E10value_typeEPSK_NS1_7vsmem_tEENKUlT_SI_SJ_SK_E_clISD_PjSD_S10_EESH_SX_SI_SJ_SK_EUlSX_E_NS1_11comp_targetILNS1_3genE10ELNS1_11target_archE1201ELNS1_3gpuE5ELNS1_3repE0EEENS1_48merge_mergepath_partition_config_static_selectorELNS0_4arch9wavefront6targetE1EEEvSJ_ ; -- Begin function _ZN7rocprim17ROCPRIM_400000_NS6detail17trampoline_kernelINS0_14default_configENS1_38merge_sort_block_merge_config_selectorIjjEEZZNS1_27merge_sort_block_merge_implIS3_N6thrust23THRUST_200600_302600_NS6detail15normal_iteratorINS8_10device_ptrIjEEEESD_jNS1_19radix_merge_compareILb0ELb0EjNS0_19identity_decomposerEEEEE10hipError_tT0_T1_T2_jT3_P12ihipStream_tbPNSt15iterator_traitsISI_E10value_typeEPNSO_ISJ_E10value_typeEPSK_NS1_7vsmem_tEENKUlT_SI_SJ_SK_E_clISD_PjSD_S10_EESH_SX_SI_SJ_SK_EUlSX_E_NS1_11comp_targetILNS1_3genE10ELNS1_11target_archE1201ELNS1_3gpuE5ELNS1_3repE0EEENS1_48merge_mergepath_partition_config_static_selectorELNS0_4arch9wavefront6targetE1EEEvSJ_
	.globl	_ZN7rocprim17ROCPRIM_400000_NS6detail17trampoline_kernelINS0_14default_configENS1_38merge_sort_block_merge_config_selectorIjjEEZZNS1_27merge_sort_block_merge_implIS3_N6thrust23THRUST_200600_302600_NS6detail15normal_iteratorINS8_10device_ptrIjEEEESD_jNS1_19radix_merge_compareILb0ELb0EjNS0_19identity_decomposerEEEEE10hipError_tT0_T1_T2_jT3_P12ihipStream_tbPNSt15iterator_traitsISI_E10value_typeEPNSO_ISJ_E10value_typeEPSK_NS1_7vsmem_tEENKUlT_SI_SJ_SK_E_clISD_PjSD_S10_EESH_SX_SI_SJ_SK_EUlSX_E_NS1_11comp_targetILNS1_3genE10ELNS1_11target_archE1201ELNS1_3gpuE5ELNS1_3repE0EEENS1_48merge_mergepath_partition_config_static_selectorELNS0_4arch9wavefront6targetE1EEEvSJ_
	.p2align	8
	.type	_ZN7rocprim17ROCPRIM_400000_NS6detail17trampoline_kernelINS0_14default_configENS1_38merge_sort_block_merge_config_selectorIjjEEZZNS1_27merge_sort_block_merge_implIS3_N6thrust23THRUST_200600_302600_NS6detail15normal_iteratorINS8_10device_ptrIjEEEESD_jNS1_19radix_merge_compareILb0ELb0EjNS0_19identity_decomposerEEEEE10hipError_tT0_T1_T2_jT3_P12ihipStream_tbPNSt15iterator_traitsISI_E10value_typeEPNSO_ISJ_E10value_typeEPSK_NS1_7vsmem_tEENKUlT_SI_SJ_SK_E_clISD_PjSD_S10_EESH_SX_SI_SJ_SK_EUlSX_E_NS1_11comp_targetILNS1_3genE10ELNS1_11target_archE1201ELNS1_3gpuE5ELNS1_3repE0EEENS1_48merge_mergepath_partition_config_static_selectorELNS0_4arch9wavefront6targetE1EEEvSJ_,@function
_ZN7rocprim17ROCPRIM_400000_NS6detail17trampoline_kernelINS0_14default_configENS1_38merge_sort_block_merge_config_selectorIjjEEZZNS1_27merge_sort_block_merge_implIS3_N6thrust23THRUST_200600_302600_NS6detail15normal_iteratorINS8_10device_ptrIjEEEESD_jNS1_19radix_merge_compareILb0ELb0EjNS0_19identity_decomposerEEEEE10hipError_tT0_T1_T2_jT3_P12ihipStream_tbPNSt15iterator_traitsISI_E10value_typeEPNSO_ISJ_E10value_typeEPSK_NS1_7vsmem_tEENKUlT_SI_SJ_SK_E_clISD_PjSD_S10_EESH_SX_SI_SJ_SK_EUlSX_E_NS1_11comp_targetILNS1_3genE10ELNS1_11target_archE1201ELNS1_3gpuE5ELNS1_3repE0EEENS1_48merge_mergepath_partition_config_static_selectorELNS0_4arch9wavefront6targetE1EEEvSJ_: ; @_ZN7rocprim17ROCPRIM_400000_NS6detail17trampoline_kernelINS0_14default_configENS1_38merge_sort_block_merge_config_selectorIjjEEZZNS1_27merge_sort_block_merge_implIS3_N6thrust23THRUST_200600_302600_NS6detail15normal_iteratorINS8_10device_ptrIjEEEESD_jNS1_19radix_merge_compareILb0ELb0EjNS0_19identity_decomposerEEEEE10hipError_tT0_T1_T2_jT3_P12ihipStream_tbPNSt15iterator_traitsISI_E10value_typeEPNSO_ISJ_E10value_typeEPSK_NS1_7vsmem_tEENKUlT_SI_SJ_SK_E_clISD_PjSD_S10_EESH_SX_SI_SJ_SK_EUlSX_E_NS1_11comp_targetILNS1_3genE10ELNS1_11target_archE1201ELNS1_3gpuE5ELNS1_3repE0EEENS1_48merge_mergepath_partition_config_static_selectorELNS0_4arch9wavefront6targetE1EEEvSJ_
; %bb.0:
	.section	.rodata,"a",@progbits
	.p2align	6, 0x0
	.amdhsa_kernel _ZN7rocprim17ROCPRIM_400000_NS6detail17trampoline_kernelINS0_14default_configENS1_38merge_sort_block_merge_config_selectorIjjEEZZNS1_27merge_sort_block_merge_implIS3_N6thrust23THRUST_200600_302600_NS6detail15normal_iteratorINS8_10device_ptrIjEEEESD_jNS1_19radix_merge_compareILb0ELb0EjNS0_19identity_decomposerEEEEE10hipError_tT0_T1_T2_jT3_P12ihipStream_tbPNSt15iterator_traitsISI_E10value_typeEPNSO_ISJ_E10value_typeEPSK_NS1_7vsmem_tEENKUlT_SI_SJ_SK_E_clISD_PjSD_S10_EESH_SX_SI_SJ_SK_EUlSX_E_NS1_11comp_targetILNS1_3genE10ELNS1_11target_archE1201ELNS1_3gpuE5ELNS1_3repE0EEENS1_48merge_mergepath_partition_config_static_selectorELNS0_4arch9wavefront6targetE1EEEvSJ_
		.amdhsa_group_segment_fixed_size 0
		.amdhsa_private_segment_fixed_size 0
		.amdhsa_kernarg_size 40
		.amdhsa_user_sgpr_count 2
		.amdhsa_user_sgpr_dispatch_ptr 0
		.amdhsa_user_sgpr_queue_ptr 0
		.amdhsa_user_sgpr_kernarg_segment_ptr 1
		.amdhsa_user_sgpr_dispatch_id 0
		.amdhsa_user_sgpr_kernarg_preload_length 0
		.amdhsa_user_sgpr_kernarg_preload_offset 0
		.amdhsa_user_sgpr_private_segment_size 0
		.amdhsa_uses_dynamic_stack 0
		.amdhsa_enable_private_segment 0
		.amdhsa_system_sgpr_workgroup_id_x 1
		.amdhsa_system_sgpr_workgroup_id_y 0
		.amdhsa_system_sgpr_workgroup_id_z 0
		.amdhsa_system_sgpr_workgroup_info 0
		.amdhsa_system_vgpr_workitem_id 0
		.amdhsa_next_free_vgpr 1
		.amdhsa_next_free_sgpr 0
		.amdhsa_accum_offset 4
		.amdhsa_reserve_vcc 0
		.amdhsa_float_round_mode_32 0
		.amdhsa_float_round_mode_16_64 0
		.amdhsa_float_denorm_mode_32 3
		.amdhsa_float_denorm_mode_16_64 3
		.amdhsa_dx10_clamp 1
		.amdhsa_ieee_mode 1
		.amdhsa_fp16_overflow 0
		.amdhsa_tg_split 0
		.amdhsa_exception_fp_ieee_invalid_op 0
		.amdhsa_exception_fp_denorm_src 0
		.amdhsa_exception_fp_ieee_div_zero 0
		.amdhsa_exception_fp_ieee_overflow 0
		.amdhsa_exception_fp_ieee_underflow 0
		.amdhsa_exception_fp_ieee_inexact 0
		.amdhsa_exception_int_div_zero 0
	.end_amdhsa_kernel
	.section	.text._ZN7rocprim17ROCPRIM_400000_NS6detail17trampoline_kernelINS0_14default_configENS1_38merge_sort_block_merge_config_selectorIjjEEZZNS1_27merge_sort_block_merge_implIS3_N6thrust23THRUST_200600_302600_NS6detail15normal_iteratorINS8_10device_ptrIjEEEESD_jNS1_19radix_merge_compareILb0ELb0EjNS0_19identity_decomposerEEEEE10hipError_tT0_T1_T2_jT3_P12ihipStream_tbPNSt15iterator_traitsISI_E10value_typeEPNSO_ISJ_E10value_typeEPSK_NS1_7vsmem_tEENKUlT_SI_SJ_SK_E_clISD_PjSD_S10_EESH_SX_SI_SJ_SK_EUlSX_E_NS1_11comp_targetILNS1_3genE10ELNS1_11target_archE1201ELNS1_3gpuE5ELNS1_3repE0EEENS1_48merge_mergepath_partition_config_static_selectorELNS0_4arch9wavefront6targetE1EEEvSJ_,"axG",@progbits,_ZN7rocprim17ROCPRIM_400000_NS6detail17trampoline_kernelINS0_14default_configENS1_38merge_sort_block_merge_config_selectorIjjEEZZNS1_27merge_sort_block_merge_implIS3_N6thrust23THRUST_200600_302600_NS6detail15normal_iteratorINS8_10device_ptrIjEEEESD_jNS1_19radix_merge_compareILb0ELb0EjNS0_19identity_decomposerEEEEE10hipError_tT0_T1_T2_jT3_P12ihipStream_tbPNSt15iterator_traitsISI_E10value_typeEPNSO_ISJ_E10value_typeEPSK_NS1_7vsmem_tEENKUlT_SI_SJ_SK_E_clISD_PjSD_S10_EESH_SX_SI_SJ_SK_EUlSX_E_NS1_11comp_targetILNS1_3genE10ELNS1_11target_archE1201ELNS1_3gpuE5ELNS1_3repE0EEENS1_48merge_mergepath_partition_config_static_selectorELNS0_4arch9wavefront6targetE1EEEvSJ_,comdat
.Lfunc_end644:
	.size	_ZN7rocprim17ROCPRIM_400000_NS6detail17trampoline_kernelINS0_14default_configENS1_38merge_sort_block_merge_config_selectorIjjEEZZNS1_27merge_sort_block_merge_implIS3_N6thrust23THRUST_200600_302600_NS6detail15normal_iteratorINS8_10device_ptrIjEEEESD_jNS1_19radix_merge_compareILb0ELb0EjNS0_19identity_decomposerEEEEE10hipError_tT0_T1_T2_jT3_P12ihipStream_tbPNSt15iterator_traitsISI_E10value_typeEPNSO_ISJ_E10value_typeEPSK_NS1_7vsmem_tEENKUlT_SI_SJ_SK_E_clISD_PjSD_S10_EESH_SX_SI_SJ_SK_EUlSX_E_NS1_11comp_targetILNS1_3genE10ELNS1_11target_archE1201ELNS1_3gpuE5ELNS1_3repE0EEENS1_48merge_mergepath_partition_config_static_selectorELNS0_4arch9wavefront6targetE1EEEvSJ_, .Lfunc_end644-_ZN7rocprim17ROCPRIM_400000_NS6detail17trampoline_kernelINS0_14default_configENS1_38merge_sort_block_merge_config_selectorIjjEEZZNS1_27merge_sort_block_merge_implIS3_N6thrust23THRUST_200600_302600_NS6detail15normal_iteratorINS8_10device_ptrIjEEEESD_jNS1_19radix_merge_compareILb0ELb0EjNS0_19identity_decomposerEEEEE10hipError_tT0_T1_T2_jT3_P12ihipStream_tbPNSt15iterator_traitsISI_E10value_typeEPNSO_ISJ_E10value_typeEPSK_NS1_7vsmem_tEENKUlT_SI_SJ_SK_E_clISD_PjSD_S10_EESH_SX_SI_SJ_SK_EUlSX_E_NS1_11comp_targetILNS1_3genE10ELNS1_11target_archE1201ELNS1_3gpuE5ELNS1_3repE0EEENS1_48merge_mergepath_partition_config_static_selectorELNS0_4arch9wavefront6targetE1EEEvSJ_
                                        ; -- End function
	.set _ZN7rocprim17ROCPRIM_400000_NS6detail17trampoline_kernelINS0_14default_configENS1_38merge_sort_block_merge_config_selectorIjjEEZZNS1_27merge_sort_block_merge_implIS3_N6thrust23THRUST_200600_302600_NS6detail15normal_iteratorINS8_10device_ptrIjEEEESD_jNS1_19radix_merge_compareILb0ELb0EjNS0_19identity_decomposerEEEEE10hipError_tT0_T1_T2_jT3_P12ihipStream_tbPNSt15iterator_traitsISI_E10value_typeEPNSO_ISJ_E10value_typeEPSK_NS1_7vsmem_tEENKUlT_SI_SJ_SK_E_clISD_PjSD_S10_EESH_SX_SI_SJ_SK_EUlSX_E_NS1_11comp_targetILNS1_3genE10ELNS1_11target_archE1201ELNS1_3gpuE5ELNS1_3repE0EEENS1_48merge_mergepath_partition_config_static_selectorELNS0_4arch9wavefront6targetE1EEEvSJ_.num_vgpr, 0
	.set _ZN7rocprim17ROCPRIM_400000_NS6detail17trampoline_kernelINS0_14default_configENS1_38merge_sort_block_merge_config_selectorIjjEEZZNS1_27merge_sort_block_merge_implIS3_N6thrust23THRUST_200600_302600_NS6detail15normal_iteratorINS8_10device_ptrIjEEEESD_jNS1_19radix_merge_compareILb0ELb0EjNS0_19identity_decomposerEEEEE10hipError_tT0_T1_T2_jT3_P12ihipStream_tbPNSt15iterator_traitsISI_E10value_typeEPNSO_ISJ_E10value_typeEPSK_NS1_7vsmem_tEENKUlT_SI_SJ_SK_E_clISD_PjSD_S10_EESH_SX_SI_SJ_SK_EUlSX_E_NS1_11comp_targetILNS1_3genE10ELNS1_11target_archE1201ELNS1_3gpuE5ELNS1_3repE0EEENS1_48merge_mergepath_partition_config_static_selectorELNS0_4arch9wavefront6targetE1EEEvSJ_.num_agpr, 0
	.set _ZN7rocprim17ROCPRIM_400000_NS6detail17trampoline_kernelINS0_14default_configENS1_38merge_sort_block_merge_config_selectorIjjEEZZNS1_27merge_sort_block_merge_implIS3_N6thrust23THRUST_200600_302600_NS6detail15normal_iteratorINS8_10device_ptrIjEEEESD_jNS1_19radix_merge_compareILb0ELb0EjNS0_19identity_decomposerEEEEE10hipError_tT0_T1_T2_jT3_P12ihipStream_tbPNSt15iterator_traitsISI_E10value_typeEPNSO_ISJ_E10value_typeEPSK_NS1_7vsmem_tEENKUlT_SI_SJ_SK_E_clISD_PjSD_S10_EESH_SX_SI_SJ_SK_EUlSX_E_NS1_11comp_targetILNS1_3genE10ELNS1_11target_archE1201ELNS1_3gpuE5ELNS1_3repE0EEENS1_48merge_mergepath_partition_config_static_selectorELNS0_4arch9wavefront6targetE1EEEvSJ_.numbered_sgpr, 0
	.set _ZN7rocprim17ROCPRIM_400000_NS6detail17trampoline_kernelINS0_14default_configENS1_38merge_sort_block_merge_config_selectorIjjEEZZNS1_27merge_sort_block_merge_implIS3_N6thrust23THRUST_200600_302600_NS6detail15normal_iteratorINS8_10device_ptrIjEEEESD_jNS1_19radix_merge_compareILb0ELb0EjNS0_19identity_decomposerEEEEE10hipError_tT0_T1_T2_jT3_P12ihipStream_tbPNSt15iterator_traitsISI_E10value_typeEPNSO_ISJ_E10value_typeEPSK_NS1_7vsmem_tEENKUlT_SI_SJ_SK_E_clISD_PjSD_S10_EESH_SX_SI_SJ_SK_EUlSX_E_NS1_11comp_targetILNS1_3genE10ELNS1_11target_archE1201ELNS1_3gpuE5ELNS1_3repE0EEENS1_48merge_mergepath_partition_config_static_selectorELNS0_4arch9wavefront6targetE1EEEvSJ_.num_named_barrier, 0
	.set _ZN7rocprim17ROCPRIM_400000_NS6detail17trampoline_kernelINS0_14default_configENS1_38merge_sort_block_merge_config_selectorIjjEEZZNS1_27merge_sort_block_merge_implIS3_N6thrust23THRUST_200600_302600_NS6detail15normal_iteratorINS8_10device_ptrIjEEEESD_jNS1_19radix_merge_compareILb0ELb0EjNS0_19identity_decomposerEEEEE10hipError_tT0_T1_T2_jT3_P12ihipStream_tbPNSt15iterator_traitsISI_E10value_typeEPNSO_ISJ_E10value_typeEPSK_NS1_7vsmem_tEENKUlT_SI_SJ_SK_E_clISD_PjSD_S10_EESH_SX_SI_SJ_SK_EUlSX_E_NS1_11comp_targetILNS1_3genE10ELNS1_11target_archE1201ELNS1_3gpuE5ELNS1_3repE0EEENS1_48merge_mergepath_partition_config_static_selectorELNS0_4arch9wavefront6targetE1EEEvSJ_.private_seg_size, 0
	.set _ZN7rocprim17ROCPRIM_400000_NS6detail17trampoline_kernelINS0_14default_configENS1_38merge_sort_block_merge_config_selectorIjjEEZZNS1_27merge_sort_block_merge_implIS3_N6thrust23THRUST_200600_302600_NS6detail15normal_iteratorINS8_10device_ptrIjEEEESD_jNS1_19radix_merge_compareILb0ELb0EjNS0_19identity_decomposerEEEEE10hipError_tT0_T1_T2_jT3_P12ihipStream_tbPNSt15iterator_traitsISI_E10value_typeEPNSO_ISJ_E10value_typeEPSK_NS1_7vsmem_tEENKUlT_SI_SJ_SK_E_clISD_PjSD_S10_EESH_SX_SI_SJ_SK_EUlSX_E_NS1_11comp_targetILNS1_3genE10ELNS1_11target_archE1201ELNS1_3gpuE5ELNS1_3repE0EEENS1_48merge_mergepath_partition_config_static_selectorELNS0_4arch9wavefront6targetE1EEEvSJ_.uses_vcc, 0
	.set _ZN7rocprim17ROCPRIM_400000_NS6detail17trampoline_kernelINS0_14default_configENS1_38merge_sort_block_merge_config_selectorIjjEEZZNS1_27merge_sort_block_merge_implIS3_N6thrust23THRUST_200600_302600_NS6detail15normal_iteratorINS8_10device_ptrIjEEEESD_jNS1_19radix_merge_compareILb0ELb0EjNS0_19identity_decomposerEEEEE10hipError_tT0_T1_T2_jT3_P12ihipStream_tbPNSt15iterator_traitsISI_E10value_typeEPNSO_ISJ_E10value_typeEPSK_NS1_7vsmem_tEENKUlT_SI_SJ_SK_E_clISD_PjSD_S10_EESH_SX_SI_SJ_SK_EUlSX_E_NS1_11comp_targetILNS1_3genE10ELNS1_11target_archE1201ELNS1_3gpuE5ELNS1_3repE0EEENS1_48merge_mergepath_partition_config_static_selectorELNS0_4arch9wavefront6targetE1EEEvSJ_.uses_flat_scratch, 0
	.set _ZN7rocprim17ROCPRIM_400000_NS6detail17trampoline_kernelINS0_14default_configENS1_38merge_sort_block_merge_config_selectorIjjEEZZNS1_27merge_sort_block_merge_implIS3_N6thrust23THRUST_200600_302600_NS6detail15normal_iteratorINS8_10device_ptrIjEEEESD_jNS1_19radix_merge_compareILb0ELb0EjNS0_19identity_decomposerEEEEE10hipError_tT0_T1_T2_jT3_P12ihipStream_tbPNSt15iterator_traitsISI_E10value_typeEPNSO_ISJ_E10value_typeEPSK_NS1_7vsmem_tEENKUlT_SI_SJ_SK_E_clISD_PjSD_S10_EESH_SX_SI_SJ_SK_EUlSX_E_NS1_11comp_targetILNS1_3genE10ELNS1_11target_archE1201ELNS1_3gpuE5ELNS1_3repE0EEENS1_48merge_mergepath_partition_config_static_selectorELNS0_4arch9wavefront6targetE1EEEvSJ_.has_dyn_sized_stack, 0
	.set _ZN7rocprim17ROCPRIM_400000_NS6detail17trampoline_kernelINS0_14default_configENS1_38merge_sort_block_merge_config_selectorIjjEEZZNS1_27merge_sort_block_merge_implIS3_N6thrust23THRUST_200600_302600_NS6detail15normal_iteratorINS8_10device_ptrIjEEEESD_jNS1_19radix_merge_compareILb0ELb0EjNS0_19identity_decomposerEEEEE10hipError_tT0_T1_T2_jT3_P12ihipStream_tbPNSt15iterator_traitsISI_E10value_typeEPNSO_ISJ_E10value_typeEPSK_NS1_7vsmem_tEENKUlT_SI_SJ_SK_E_clISD_PjSD_S10_EESH_SX_SI_SJ_SK_EUlSX_E_NS1_11comp_targetILNS1_3genE10ELNS1_11target_archE1201ELNS1_3gpuE5ELNS1_3repE0EEENS1_48merge_mergepath_partition_config_static_selectorELNS0_4arch9wavefront6targetE1EEEvSJ_.has_recursion, 0
	.set _ZN7rocprim17ROCPRIM_400000_NS6detail17trampoline_kernelINS0_14default_configENS1_38merge_sort_block_merge_config_selectorIjjEEZZNS1_27merge_sort_block_merge_implIS3_N6thrust23THRUST_200600_302600_NS6detail15normal_iteratorINS8_10device_ptrIjEEEESD_jNS1_19radix_merge_compareILb0ELb0EjNS0_19identity_decomposerEEEEE10hipError_tT0_T1_T2_jT3_P12ihipStream_tbPNSt15iterator_traitsISI_E10value_typeEPNSO_ISJ_E10value_typeEPSK_NS1_7vsmem_tEENKUlT_SI_SJ_SK_E_clISD_PjSD_S10_EESH_SX_SI_SJ_SK_EUlSX_E_NS1_11comp_targetILNS1_3genE10ELNS1_11target_archE1201ELNS1_3gpuE5ELNS1_3repE0EEENS1_48merge_mergepath_partition_config_static_selectorELNS0_4arch9wavefront6targetE1EEEvSJ_.has_indirect_call, 0
	.section	.AMDGPU.csdata,"",@progbits
; Kernel info:
; codeLenInByte = 0
; TotalNumSgprs: 6
; NumVgprs: 0
; NumAgprs: 0
; TotalNumVgprs: 0
; ScratchSize: 0
; MemoryBound: 0
; FloatMode: 240
; IeeeMode: 1
; LDSByteSize: 0 bytes/workgroup (compile time only)
; SGPRBlocks: 0
; VGPRBlocks: 0
; NumSGPRsForWavesPerEU: 6
; NumVGPRsForWavesPerEU: 1
; AccumOffset: 4
; Occupancy: 8
; WaveLimiterHint : 0
; COMPUTE_PGM_RSRC2:SCRATCH_EN: 0
; COMPUTE_PGM_RSRC2:USER_SGPR: 2
; COMPUTE_PGM_RSRC2:TRAP_HANDLER: 0
; COMPUTE_PGM_RSRC2:TGID_X_EN: 1
; COMPUTE_PGM_RSRC2:TGID_Y_EN: 0
; COMPUTE_PGM_RSRC2:TGID_Z_EN: 0
; COMPUTE_PGM_RSRC2:TIDIG_COMP_CNT: 0
; COMPUTE_PGM_RSRC3_GFX90A:ACCUM_OFFSET: 0
; COMPUTE_PGM_RSRC3_GFX90A:TG_SPLIT: 0
	.section	.text._ZN7rocprim17ROCPRIM_400000_NS6detail17trampoline_kernelINS0_14default_configENS1_38merge_sort_block_merge_config_selectorIjjEEZZNS1_27merge_sort_block_merge_implIS3_N6thrust23THRUST_200600_302600_NS6detail15normal_iteratorINS8_10device_ptrIjEEEESD_jNS1_19radix_merge_compareILb0ELb0EjNS0_19identity_decomposerEEEEE10hipError_tT0_T1_T2_jT3_P12ihipStream_tbPNSt15iterator_traitsISI_E10value_typeEPNSO_ISJ_E10value_typeEPSK_NS1_7vsmem_tEENKUlT_SI_SJ_SK_E_clISD_PjSD_S10_EESH_SX_SI_SJ_SK_EUlSX_E_NS1_11comp_targetILNS1_3genE5ELNS1_11target_archE942ELNS1_3gpuE9ELNS1_3repE0EEENS1_48merge_mergepath_partition_config_static_selectorELNS0_4arch9wavefront6targetE1EEEvSJ_,"axG",@progbits,_ZN7rocprim17ROCPRIM_400000_NS6detail17trampoline_kernelINS0_14default_configENS1_38merge_sort_block_merge_config_selectorIjjEEZZNS1_27merge_sort_block_merge_implIS3_N6thrust23THRUST_200600_302600_NS6detail15normal_iteratorINS8_10device_ptrIjEEEESD_jNS1_19radix_merge_compareILb0ELb0EjNS0_19identity_decomposerEEEEE10hipError_tT0_T1_T2_jT3_P12ihipStream_tbPNSt15iterator_traitsISI_E10value_typeEPNSO_ISJ_E10value_typeEPSK_NS1_7vsmem_tEENKUlT_SI_SJ_SK_E_clISD_PjSD_S10_EESH_SX_SI_SJ_SK_EUlSX_E_NS1_11comp_targetILNS1_3genE5ELNS1_11target_archE942ELNS1_3gpuE9ELNS1_3repE0EEENS1_48merge_mergepath_partition_config_static_selectorELNS0_4arch9wavefront6targetE1EEEvSJ_,comdat
	.protected	_ZN7rocprim17ROCPRIM_400000_NS6detail17trampoline_kernelINS0_14default_configENS1_38merge_sort_block_merge_config_selectorIjjEEZZNS1_27merge_sort_block_merge_implIS3_N6thrust23THRUST_200600_302600_NS6detail15normal_iteratorINS8_10device_ptrIjEEEESD_jNS1_19radix_merge_compareILb0ELb0EjNS0_19identity_decomposerEEEEE10hipError_tT0_T1_T2_jT3_P12ihipStream_tbPNSt15iterator_traitsISI_E10value_typeEPNSO_ISJ_E10value_typeEPSK_NS1_7vsmem_tEENKUlT_SI_SJ_SK_E_clISD_PjSD_S10_EESH_SX_SI_SJ_SK_EUlSX_E_NS1_11comp_targetILNS1_3genE5ELNS1_11target_archE942ELNS1_3gpuE9ELNS1_3repE0EEENS1_48merge_mergepath_partition_config_static_selectorELNS0_4arch9wavefront6targetE1EEEvSJ_ ; -- Begin function _ZN7rocprim17ROCPRIM_400000_NS6detail17trampoline_kernelINS0_14default_configENS1_38merge_sort_block_merge_config_selectorIjjEEZZNS1_27merge_sort_block_merge_implIS3_N6thrust23THRUST_200600_302600_NS6detail15normal_iteratorINS8_10device_ptrIjEEEESD_jNS1_19radix_merge_compareILb0ELb0EjNS0_19identity_decomposerEEEEE10hipError_tT0_T1_T2_jT3_P12ihipStream_tbPNSt15iterator_traitsISI_E10value_typeEPNSO_ISJ_E10value_typeEPSK_NS1_7vsmem_tEENKUlT_SI_SJ_SK_E_clISD_PjSD_S10_EESH_SX_SI_SJ_SK_EUlSX_E_NS1_11comp_targetILNS1_3genE5ELNS1_11target_archE942ELNS1_3gpuE9ELNS1_3repE0EEENS1_48merge_mergepath_partition_config_static_selectorELNS0_4arch9wavefront6targetE1EEEvSJ_
	.globl	_ZN7rocprim17ROCPRIM_400000_NS6detail17trampoline_kernelINS0_14default_configENS1_38merge_sort_block_merge_config_selectorIjjEEZZNS1_27merge_sort_block_merge_implIS3_N6thrust23THRUST_200600_302600_NS6detail15normal_iteratorINS8_10device_ptrIjEEEESD_jNS1_19radix_merge_compareILb0ELb0EjNS0_19identity_decomposerEEEEE10hipError_tT0_T1_T2_jT3_P12ihipStream_tbPNSt15iterator_traitsISI_E10value_typeEPNSO_ISJ_E10value_typeEPSK_NS1_7vsmem_tEENKUlT_SI_SJ_SK_E_clISD_PjSD_S10_EESH_SX_SI_SJ_SK_EUlSX_E_NS1_11comp_targetILNS1_3genE5ELNS1_11target_archE942ELNS1_3gpuE9ELNS1_3repE0EEENS1_48merge_mergepath_partition_config_static_selectorELNS0_4arch9wavefront6targetE1EEEvSJ_
	.p2align	8
	.type	_ZN7rocprim17ROCPRIM_400000_NS6detail17trampoline_kernelINS0_14default_configENS1_38merge_sort_block_merge_config_selectorIjjEEZZNS1_27merge_sort_block_merge_implIS3_N6thrust23THRUST_200600_302600_NS6detail15normal_iteratorINS8_10device_ptrIjEEEESD_jNS1_19radix_merge_compareILb0ELb0EjNS0_19identity_decomposerEEEEE10hipError_tT0_T1_T2_jT3_P12ihipStream_tbPNSt15iterator_traitsISI_E10value_typeEPNSO_ISJ_E10value_typeEPSK_NS1_7vsmem_tEENKUlT_SI_SJ_SK_E_clISD_PjSD_S10_EESH_SX_SI_SJ_SK_EUlSX_E_NS1_11comp_targetILNS1_3genE5ELNS1_11target_archE942ELNS1_3gpuE9ELNS1_3repE0EEENS1_48merge_mergepath_partition_config_static_selectorELNS0_4arch9wavefront6targetE1EEEvSJ_,@function
_ZN7rocprim17ROCPRIM_400000_NS6detail17trampoline_kernelINS0_14default_configENS1_38merge_sort_block_merge_config_selectorIjjEEZZNS1_27merge_sort_block_merge_implIS3_N6thrust23THRUST_200600_302600_NS6detail15normal_iteratorINS8_10device_ptrIjEEEESD_jNS1_19radix_merge_compareILb0ELb0EjNS0_19identity_decomposerEEEEE10hipError_tT0_T1_T2_jT3_P12ihipStream_tbPNSt15iterator_traitsISI_E10value_typeEPNSO_ISJ_E10value_typeEPSK_NS1_7vsmem_tEENKUlT_SI_SJ_SK_E_clISD_PjSD_S10_EESH_SX_SI_SJ_SK_EUlSX_E_NS1_11comp_targetILNS1_3genE5ELNS1_11target_archE942ELNS1_3gpuE9ELNS1_3repE0EEENS1_48merge_mergepath_partition_config_static_selectorELNS0_4arch9wavefront6targetE1EEEvSJ_: ; @_ZN7rocprim17ROCPRIM_400000_NS6detail17trampoline_kernelINS0_14default_configENS1_38merge_sort_block_merge_config_selectorIjjEEZZNS1_27merge_sort_block_merge_implIS3_N6thrust23THRUST_200600_302600_NS6detail15normal_iteratorINS8_10device_ptrIjEEEESD_jNS1_19radix_merge_compareILb0ELb0EjNS0_19identity_decomposerEEEEE10hipError_tT0_T1_T2_jT3_P12ihipStream_tbPNSt15iterator_traitsISI_E10value_typeEPNSO_ISJ_E10value_typeEPSK_NS1_7vsmem_tEENKUlT_SI_SJ_SK_E_clISD_PjSD_S10_EESH_SX_SI_SJ_SK_EUlSX_E_NS1_11comp_targetILNS1_3genE5ELNS1_11target_archE942ELNS1_3gpuE9ELNS1_3repE0EEENS1_48merge_mergepath_partition_config_static_selectorELNS0_4arch9wavefront6targetE1EEEvSJ_
; %bb.0:
	.section	.rodata,"a",@progbits
	.p2align	6, 0x0
	.amdhsa_kernel _ZN7rocprim17ROCPRIM_400000_NS6detail17trampoline_kernelINS0_14default_configENS1_38merge_sort_block_merge_config_selectorIjjEEZZNS1_27merge_sort_block_merge_implIS3_N6thrust23THRUST_200600_302600_NS6detail15normal_iteratorINS8_10device_ptrIjEEEESD_jNS1_19radix_merge_compareILb0ELb0EjNS0_19identity_decomposerEEEEE10hipError_tT0_T1_T2_jT3_P12ihipStream_tbPNSt15iterator_traitsISI_E10value_typeEPNSO_ISJ_E10value_typeEPSK_NS1_7vsmem_tEENKUlT_SI_SJ_SK_E_clISD_PjSD_S10_EESH_SX_SI_SJ_SK_EUlSX_E_NS1_11comp_targetILNS1_3genE5ELNS1_11target_archE942ELNS1_3gpuE9ELNS1_3repE0EEENS1_48merge_mergepath_partition_config_static_selectorELNS0_4arch9wavefront6targetE1EEEvSJ_
		.amdhsa_group_segment_fixed_size 0
		.amdhsa_private_segment_fixed_size 0
		.amdhsa_kernarg_size 40
		.amdhsa_user_sgpr_count 2
		.amdhsa_user_sgpr_dispatch_ptr 0
		.amdhsa_user_sgpr_queue_ptr 0
		.amdhsa_user_sgpr_kernarg_segment_ptr 1
		.amdhsa_user_sgpr_dispatch_id 0
		.amdhsa_user_sgpr_kernarg_preload_length 0
		.amdhsa_user_sgpr_kernarg_preload_offset 0
		.amdhsa_user_sgpr_private_segment_size 0
		.amdhsa_uses_dynamic_stack 0
		.amdhsa_enable_private_segment 0
		.amdhsa_system_sgpr_workgroup_id_x 1
		.amdhsa_system_sgpr_workgroup_id_y 0
		.amdhsa_system_sgpr_workgroup_id_z 0
		.amdhsa_system_sgpr_workgroup_info 0
		.amdhsa_system_vgpr_workitem_id 0
		.amdhsa_next_free_vgpr 1
		.amdhsa_next_free_sgpr 0
		.amdhsa_accum_offset 4
		.amdhsa_reserve_vcc 0
		.amdhsa_float_round_mode_32 0
		.amdhsa_float_round_mode_16_64 0
		.amdhsa_float_denorm_mode_32 3
		.amdhsa_float_denorm_mode_16_64 3
		.amdhsa_dx10_clamp 1
		.amdhsa_ieee_mode 1
		.amdhsa_fp16_overflow 0
		.amdhsa_tg_split 0
		.amdhsa_exception_fp_ieee_invalid_op 0
		.amdhsa_exception_fp_denorm_src 0
		.amdhsa_exception_fp_ieee_div_zero 0
		.amdhsa_exception_fp_ieee_overflow 0
		.amdhsa_exception_fp_ieee_underflow 0
		.amdhsa_exception_fp_ieee_inexact 0
		.amdhsa_exception_int_div_zero 0
	.end_amdhsa_kernel
	.section	.text._ZN7rocprim17ROCPRIM_400000_NS6detail17trampoline_kernelINS0_14default_configENS1_38merge_sort_block_merge_config_selectorIjjEEZZNS1_27merge_sort_block_merge_implIS3_N6thrust23THRUST_200600_302600_NS6detail15normal_iteratorINS8_10device_ptrIjEEEESD_jNS1_19radix_merge_compareILb0ELb0EjNS0_19identity_decomposerEEEEE10hipError_tT0_T1_T2_jT3_P12ihipStream_tbPNSt15iterator_traitsISI_E10value_typeEPNSO_ISJ_E10value_typeEPSK_NS1_7vsmem_tEENKUlT_SI_SJ_SK_E_clISD_PjSD_S10_EESH_SX_SI_SJ_SK_EUlSX_E_NS1_11comp_targetILNS1_3genE5ELNS1_11target_archE942ELNS1_3gpuE9ELNS1_3repE0EEENS1_48merge_mergepath_partition_config_static_selectorELNS0_4arch9wavefront6targetE1EEEvSJ_,"axG",@progbits,_ZN7rocprim17ROCPRIM_400000_NS6detail17trampoline_kernelINS0_14default_configENS1_38merge_sort_block_merge_config_selectorIjjEEZZNS1_27merge_sort_block_merge_implIS3_N6thrust23THRUST_200600_302600_NS6detail15normal_iteratorINS8_10device_ptrIjEEEESD_jNS1_19radix_merge_compareILb0ELb0EjNS0_19identity_decomposerEEEEE10hipError_tT0_T1_T2_jT3_P12ihipStream_tbPNSt15iterator_traitsISI_E10value_typeEPNSO_ISJ_E10value_typeEPSK_NS1_7vsmem_tEENKUlT_SI_SJ_SK_E_clISD_PjSD_S10_EESH_SX_SI_SJ_SK_EUlSX_E_NS1_11comp_targetILNS1_3genE5ELNS1_11target_archE942ELNS1_3gpuE9ELNS1_3repE0EEENS1_48merge_mergepath_partition_config_static_selectorELNS0_4arch9wavefront6targetE1EEEvSJ_,comdat
.Lfunc_end645:
	.size	_ZN7rocprim17ROCPRIM_400000_NS6detail17trampoline_kernelINS0_14default_configENS1_38merge_sort_block_merge_config_selectorIjjEEZZNS1_27merge_sort_block_merge_implIS3_N6thrust23THRUST_200600_302600_NS6detail15normal_iteratorINS8_10device_ptrIjEEEESD_jNS1_19radix_merge_compareILb0ELb0EjNS0_19identity_decomposerEEEEE10hipError_tT0_T1_T2_jT3_P12ihipStream_tbPNSt15iterator_traitsISI_E10value_typeEPNSO_ISJ_E10value_typeEPSK_NS1_7vsmem_tEENKUlT_SI_SJ_SK_E_clISD_PjSD_S10_EESH_SX_SI_SJ_SK_EUlSX_E_NS1_11comp_targetILNS1_3genE5ELNS1_11target_archE942ELNS1_3gpuE9ELNS1_3repE0EEENS1_48merge_mergepath_partition_config_static_selectorELNS0_4arch9wavefront6targetE1EEEvSJ_, .Lfunc_end645-_ZN7rocprim17ROCPRIM_400000_NS6detail17trampoline_kernelINS0_14default_configENS1_38merge_sort_block_merge_config_selectorIjjEEZZNS1_27merge_sort_block_merge_implIS3_N6thrust23THRUST_200600_302600_NS6detail15normal_iteratorINS8_10device_ptrIjEEEESD_jNS1_19radix_merge_compareILb0ELb0EjNS0_19identity_decomposerEEEEE10hipError_tT0_T1_T2_jT3_P12ihipStream_tbPNSt15iterator_traitsISI_E10value_typeEPNSO_ISJ_E10value_typeEPSK_NS1_7vsmem_tEENKUlT_SI_SJ_SK_E_clISD_PjSD_S10_EESH_SX_SI_SJ_SK_EUlSX_E_NS1_11comp_targetILNS1_3genE5ELNS1_11target_archE942ELNS1_3gpuE9ELNS1_3repE0EEENS1_48merge_mergepath_partition_config_static_selectorELNS0_4arch9wavefront6targetE1EEEvSJ_
                                        ; -- End function
	.set _ZN7rocprim17ROCPRIM_400000_NS6detail17trampoline_kernelINS0_14default_configENS1_38merge_sort_block_merge_config_selectorIjjEEZZNS1_27merge_sort_block_merge_implIS3_N6thrust23THRUST_200600_302600_NS6detail15normal_iteratorINS8_10device_ptrIjEEEESD_jNS1_19radix_merge_compareILb0ELb0EjNS0_19identity_decomposerEEEEE10hipError_tT0_T1_T2_jT3_P12ihipStream_tbPNSt15iterator_traitsISI_E10value_typeEPNSO_ISJ_E10value_typeEPSK_NS1_7vsmem_tEENKUlT_SI_SJ_SK_E_clISD_PjSD_S10_EESH_SX_SI_SJ_SK_EUlSX_E_NS1_11comp_targetILNS1_3genE5ELNS1_11target_archE942ELNS1_3gpuE9ELNS1_3repE0EEENS1_48merge_mergepath_partition_config_static_selectorELNS0_4arch9wavefront6targetE1EEEvSJ_.num_vgpr, 0
	.set _ZN7rocprim17ROCPRIM_400000_NS6detail17trampoline_kernelINS0_14default_configENS1_38merge_sort_block_merge_config_selectorIjjEEZZNS1_27merge_sort_block_merge_implIS3_N6thrust23THRUST_200600_302600_NS6detail15normal_iteratorINS8_10device_ptrIjEEEESD_jNS1_19radix_merge_compareILb0ELb0EjNS0_19identity_decomposerEEEEE10hipError_tT0_T1_T2_jT3_P12ihipStream_tbPNSt15iterator_traitsISI_E10value_typeEPNSO_ISJ_E10value_typeEPSK_NS1_7vsmem_tEENKUlT_SI_SJ_SK_E_clISD_PjSD_S10_EESH_SX_SI_SJ_SK_EUlSX_E_NS1_11comp_targetILNS1_3genE5ELNS1_11target_archE942ELNS1_3gpuE9ELNS1_3repE0EEENS1_48merge_mergepath_partition_config_static_selectorELNS0_4arch9wavefront6targetE1EEEvSJ_.num_agpr, 0
	.set _ZN7rocprim17ROCPRIM_400000_NS6detail17trampoline_kernelINS0_14default_configENS1_38merge_sort_block_merge_config_selectorIjjEEZZNS1_27merge_sort_block_merge_implIS3_N6thrust23THRUST_200600_302600_NS6detail15normal_iteratorINS8_10device_ptrIjEEEESD_jNS1_19radix_merge_compareILb0ELb0EjNS0_19identity_decomposerEEEEE10hipError_tT0_T1_T2_jT3_P12ihipStream_tbPNSt15iterator_traitsISI_E10value_typeEPNSO_ISJ_E10value_typeEPSK_NS1_7vsmem_tEENKUlT_SI_SJ_SK_E_clISD_PjSD_S10_EESH_SX_SI_SJ_SK_EUlSX_E_NS1_11comp_targetILNS1_3genE5ELNS1_11target_archE942ELNS1_3gpuE9ELNS1_3repE0EEENS1_48merge_mergepath_partition_config_static_selectorELNS0_4arch9wavefront6targetE1EEEvSJ_.numbered_sgpr, 0
	.set _ZN7rocprim17ROCPRIM_400000_NS6detail17trampoline_kernelINS0_14default_configENS1_38merge_sort_block_merge_config_selectorIjjEEZZNS1_27merge_sort_block_merge_implIS3_N6thrust23THRUST_200600_302600_NS6detail15normal_iteratorINS8_10device_ptrIjEEEESD_jNS1_19radix_merge_compareILb0ELb0EjNS0_19identity_decomposerEEEEE10hipError_tT0_T1_T2_jT3_P12ihipStream_tbPNSt15iterator_traitsISI_E10value_typeEPNSO_ISJ_E10value_typeEPSK_NS1_7vsmem_tEENKUlT_SI_SJ_SK_E_clISD_PjSD_S10_EESH_SX_SI_SJ_SK_EUlSX_E_NS1_11comp_targetILNS1_3genE5ELNS1_11target_archE942ELNS1_3gpuE9ELNS1_3repE0EEENS1_48merge_mergepath_partition_config_static_selectorELNS0_4arch9wavefront6targetE1EEEvSJ_.num_named_barrier, 0
	.set _ZN7rocprim17ROCPRIM_400000_NS6detail17trampoline_kernelINS0_14default_configENS1_38merge_sort_block_merge_config_selectorIjjEEZZNS1_27merge_sort_block_merge_implIS3_N6thrust23THRUST_200600_302600_NS6detail15normal_iteratorINS8_10device_ptrIjEEEESD_jNS1_19radix_merge_compareILb0ELb0EjNS0_19identity_decomposerEEEEE10hipError_tT0_T1_T2_jT3_P12ihipStream_tbPNSt15iterator_traitsISI_E10value_typeEPNSO_ISJ_E10value_typeEPSK_NS1_7vsmem_tEENKUlT_SI_SJ_SK_E_clISD_PjSD_S10_EESH_SX_SI_SJ_SK_EUlSX_E_NS1_11comp_targetILNS1_3genE5ELNS1_11target_archE942ELNS1_3gpuE9ELNS1_3repE0EEENS1_48merge_mergepath_partition_config_static_selectorELNS0_4arch9wavefront6targetE1EEEvSJ_.private_seg_size, 0
	.set _ZN7rocprim17ROCPRIM_400000_NS6detail17trampoline_kernelINS0_14default_configENS1_38merge_sort_block_merge_config_selectorIjjEEZZNS1_27merge_sort_block_merge_implIS3_N6thrust23THRUST_200600_302600_NS6detail15normal_iteratorINS8_10device_ptrIjEEEESD_jNS1_19radix_merge_compareILb0ELb0EjNS0_19identity_decomposerEEEEE10hipError_tT0_T1_T2_jT3_P12ihipStream_tbPNSt15iterator_traitsISI_E10value_typeEPNSO_ISJ_E10value_typeEPSK_NS1_7vsmem_tEENKUlT_SI_SJ_SK_E_clISD_PjSD_S10_EESH_SX_SI_SJ_SK_EUlSX_E_NS1_11comp_targetILNS1_3genE5ELNS1_11target_archE942ELNS1_3gpuE9ELNS1_3repE0EEENS1_48merge_mergepath_partition_config_static_selectorELNS0_4arch9wavefront6targetE1EEEvSJ_.uses_vcc, 0
	.set _ZN7rocprim17ROCPRIM_400000_NS6detail17trampoline_kernelINS0_14default_configENS1_38merge_sort_block_merge_config_selectorIjjEEZZNS1_27merge_sort_block_merge_implIS3_N6thrust23THRUST_200600_302600_NS6detail15normal_iteratorINS8_10device_ptrIjEEEESD_jNS1_19radix_merge_compareILb0ELb0EjNS0_19identity_decomposerEEEEE10hipError_tT0_T1_T2_jT3_P12ihipStream_tbPNSt15iterator_traitsISI_E10value_typeEPNSO_ISJ_E10value_typeEPSK_NS1_7vsmem_tEENKUlT_SI_SJ_SK_E_clISD_PjSD_S10_EESH_SX_SI_SJ_SK_EUlSX_E_NS1_11comp_targetILNS1_3genE5ELNS1_11target_archE942ELNS1_3gpuE9ELNS1_3repE0EEENS1_48merge_mergepath_partition_config_static_selectorELNS0_4arch9wavefront6targetE1EEEvSJ_.uses_flat_scratch, 0
	.set _ZN7rocprim17ROCPRIM_400000_NS6detail17trampoline_kernelINS0_14default_configENS1_38merge_sort_block_merge_config_selectorIjjEEZZNS1_27merge_sort_block_merge_implIS3_N6thrust23THRUST_200600_302600_NS6detail15normal_iteratorINS8_10device_ptrIjEEEESD_jNS1_19radix_merge_compareILb0ELb0EjNS0_19identity_decomposerEEEEE10hipError_tT0_T1_T2_jT3_P12ihipStream_tbPNSt15iterator_traitsISI_E10value_typeEPNSO_ISJ_E10value_typeEPSK_NS1_7vsmem_tEENKUlT_SI_SJ_SK_E_clISD_PjSD_S10_EESH_SX_SI_SJ_SK_EUlSX_E_NS1_11comp_targetILNS1_3genE5ELNS1_11target_archE942ELNS1_3gpuE9ELNS1_3repE0EEENS1_48merge_mergepath_partition_config_static_selectorELNS0_4arch9wavefront6targetE1EEEvSJ_.has_dyn_sized_stack, 0
	.set _ZN7rocprim17ROCPRIM_400000_NS6detail17trampoline_kernelINS0_14default_configENS1_38merge_sort_block_merge_config_selectorIjjEEZZNS1_27merge_sort_block_merge_implIS3_N6thrust23THRUST_200600_302600_NS6detail15normal_iteratorINS8_10device_ptrIjEEEESD_jNS1_19radix_merge_compareILb0ELb0EjNS0_19identity_decomposerEEEEE10hipError_tT0_T1_T2_jT3_P12ihipStream_tbPNSt15iterator_traitsISI_E10value_typeEPNSO_ISJ_E10value_typeEPSK_NS1_7vsmem_tEENKUlT_SI_SJ_SK_E_clISD_PjSD_S10_EESH_SX_SI_SJ_SK_EUlSX_E_NS1_11comp_targetILNS1_3genE5ELNS1_11target_archE942ELNS1_3gpuE9ELNS1_3repE0EEENS1_48merge_mergepath_partition_config_static_selectorELNS0_4arch9wavefront6targetE1EEEvSJ_.has_recursion, 0
	.set _ZN7rocprim17ROCPRIM_400000_NS6detail17trampoline_kernelINS0_14default_configENS1_38merge_sort_block_merge_config_selectorIjjEEZZNS1_27merge_sort_block_merge_implIS3_N6thrust23THRUST_200600_302600_NS6detail15normal_iteratorINS8_10device_ptrIjEEEESD_jNS1_19radix_merge_compareILb0ELb0EjNS0_19identity_decomposerEEEEE10hipError_tT0_T1_T2_jT3_P12ihipStream_tbPNSt15iterator_traitsISI_E10value_typeEPNSO_ISJ_E10value_typeEPSK_NS1_7vsmem_tEENKUlT_SI_SJ_SK_E_clISD_PjSD_S10_EESH_SX_SI_SJ_SK_EUlSX_E_NS1_11comp_targetILNS1_3genE5ELNS1_11target_archE942ELNS1_3gpuE9ELNS1_3repE0EEENS1_48merge_mergepath_partition_config_static_selectorELNS0_4arch9wavefront6targetE1EEEvSJ_.has_indirect_call, 0
	.section	.AMDGPU.csdata,"",@progbits
; Kernel info:
; codeLenInByte = 0
; TotalNumSgprs: 6
; NumVgprs: 0
; NumAgprs: 0
; TotalNumVgprs: 0
; ScratchSize: 0
; MemoryBound: 0
; FloatMode: 240
; IeeeMode: 1
; LDSByteSize: 0 bytes/workgroup (compile time only)
; SGPRBlocks: 0
; VGPRBlocks: 0
; NumSGPRsForWavesPerEU: 6
; NumVGPRsForWavesPerEU: 1
; AccumOffset: 4
; Occupancy: 8
; WaveLimiterHint : 0
; COMPUTE_PGM_RSRC2:SCRATCH_EN: 0
; COMPUTE_PGM_RSRC2:USER_SGPR: 2
; COMPUTE_PGM_RSRC2:TRAP_HANDLER: 0
; COMPUTE_PGM_RSRC2:TGID_X_EN: 1
; COMPUTE_PGM_RSRC2:TGID_Y_EN: 0
; COMPUTE_PGM_RSRC2:TGID_Z_EN: 0
; COMPUTE_PGM_RSRC2:TIDIG_COMP_CNT: 0
; COMPUTE_PGM_RSRC3_GFX90A:ACCUM_OFFSET: 0
; COMPUTE_PGM_RSRC3_GFX90A:TG_SPLIT: 0
	.section	.text._ZN7rocprim17ROCPRIM_400000_NS6detail17trampoline_kernelINS0_14default_configENS1_38merge_sort_block_merge_config_selectorIjjEEZZNS1_27merge_sort_block_merge_implIS3_N6thrust23THRUST_200600_302600_NS6detail15normal_iteratorINS8_10device_ptrIjEEEESD_jNS1_19radix_merge_compareILb0ELb0EjNS0_19identity_decomposerEEEEE10hipError_tT0_T1_T2_jT3_P12ihipStream_tbPNSt15iterator_traitsISI_E10value_typeEPNSO_ISJ_E10value_typeEPSK_NS1_7vsmem_tEENKUlT_SI_SJ_SK_E_clISD_PjSD_S10_EESH_SX_SI_SJ_SK_EUlSX_E_NS1_11comp_targetILNS1_3genE4ELNS1_11target_archE910ELNS1_3gpuE8ELNS1_3repE0EEENS1_48merge_mergepath_partition_config_static_selectorELNS0_4arch9wavefront6targetE1EEEvSJ_,"axG",@progbits,_ZN7rocprim17ROCPRIM_400000_NS6detail17trampoline_kernelINS0_14default_configENS1_38merge_sort_block_merge_config_selectorIjjEEZZNS1_27merge_sort_block_merge_implIS3_N6thrust23THRUST_200600_302600_NS6detail15normal_iteratorINS8_10device_ptrIjEEEESD_jNS1_19radix_merge_compareILb0ELb0EjNS0_19identity_decomposerEEEEE10hipError_tT0_T1_T2_jT3_P12ihipStream_tbPNSt15iterator_traitsISI_E10value_typeEPNSO_ISJ_E10value_typeEPSK_NS1_7vsmem_tEENKUlT_SI_SJ_SK_E_clISD_PjSD_S10_EESH_SX_SI_SJ_SK_EUlSX_E_NS1_11comp_targetILNS1_3genE4ELNS1_11target_archE910ELNS1_3gpuE8ELNS1_3repE0EEENS1_48merge_mergepath_partition_config_static_selectorELNS0_4arch9wavefront6targetE1EEEvSJ_,comdat
	.protected	_ZN7rocprim17ROCPRIM_400000_NS6detail17trampoline_kernelINS0_14default_configENS1_38merge_sort_block_merge_config_selectorIjjEEZZNS1_27merge_sort_block_merge_implIS3_N6thrust23THRUST_200600_302600_NS6detail15normal_iteratorINS8_10device_ptrIjEEEESD_jNS1_19radix_merge_compareILb0ELb0EjNS0_19identity_decomposerEEEEE10hipError_tT0_T1_T2_jT3_P12ihipStream_tbPNSt15iterator_traitsISI_E10value_typeEPNSO_ISJ_E10value_typeEPSK_NS1_7vsmem_tEENKUlT_SI_SJ_SK_E_clISD_PjSD_S10_EESH_SX_SI_SJ_SK_EUlSX_E_NS1_11comp_targetILNS1_3genE4ELNS1_11target_archE910ELNS1_3gpuE8ELNS1_3repE0EEENS1_48merge_mergepath_partition_config_static_selectorELNS0_4arch9wavefront6targetE1EEEvSJ_ ; -- Begin function _ZN7rocprim17ROCPRIM_400000_NS6detail17trampoline_kernelINS0_14default_configENS1_38merge_sort_block_merge_config_selectorIjjEEZZNS1_27merge_sort_block_merge_implIS3_N6thrust23THRUST_200600_302600_NS6detail15normal_iteratorINS8_10device_ptrIjEEEESD_jNS1_19radix_merge_compareILb0ELb0EjNS0_19identity_decomposerEEEEE10hipError_tT0_T1_T2_jT3_P12ihipStream_tbPNSt15iterator_traitsISI_E10value_typeEPNSO_ISJ_E10value_typeEPSK_NS1_7vsmem_tEENKUlT_SI_SJ_SK_E_clISD_PjSD_S10_EESH_SX_SI_SJ_SK_EUlSX_E_NS1_11comp_targetILNS1_3genE4ELNS1_11target_archE910ELNS1_3gpuE8ELNS1_3repE0EEENS1_48merge_mergepath_partition_config_static_selectorELNS0_4arch9wavefront6targetE1EEEvSJ_
	.globl	_ZN7rocprim17ROCPRIM_400000_NS6detail17trampoline_kernelINS0_14default_configENS1_38merge_sort_block_merge_config_selectorIjjEEZZNS1_27merge_sort_block_merge_implIS3_N6thrust23THRUST_200600_302600_NS6detail15normal_iteratorINS8_10device_ptrIjEEEESD_jNS1_19radix_merge_compareILb0ELb0EjNS0_19identity_decomposerEEEEE10hipError_tT0_T1_T2_jT3_P12ihipStream_tbPNSt15iterator_traitsISI_E10value_typeEPNSO_ISJ_E10value_typeEPSK_NS1_7vsmem_tEENKUlT_SI_SJ_SK_E_clISD_PjSD_S10_EESH_SX_SI_SJ_SK_EUlSX_E_NS1_11comp_targetILNS1_3genE4ELNS1_11target_archE910ELNS1_3gpuE8ELNS1_3repE0EEENS1_48merge_mergepath_partition_config_static_selectorELNS0_4arch9wavefront6targetE1EEEvSJ_
	.p2align	8
	.type	_ZN7rocprim17ROCPRIM_400000_NS6detail17trampoline_kernelINS0_14default_configENS1_38merge_sort_block_merge_config_selectorIjjEEZZNS1_27merge_sort_block_merge_implIS3_N6thrust23THRUST_200600_302600_NS6detail15normal_iteratorINS8_10device_ptrIjEEEESD_jNS1_19radix_merge_compareILb0ELb0EjNS0_19identity_decomposerEEEEE10hipError_tT0_T1_T2_jT3_P12ihipStream_tbPNSt15iterator_traitsISI_E10value_typeEPNSO_ISJ_E10value_typeEPSK_NS1_7vsmem_tEENKUlT_SI_SJ_SK_E_clISD_PjSD_S10_EESH_SX_SI_SJ_SK_EUlSX_E_NS1_11comp_targetILNS1_3genE4ELNS1_11target_archE910ELNS1_3gpuE8ELNS1_3repE0EEENS1_48merge_mergepath_partition_config_static_selectorELNS0_4arch9wavefront6targetE1EEEvSJ_,@function
_ZN7rocprim17ROCPRIM_400000_NS6detail17trampoline_kernelINS0_14default_configENS1_38merge_sort_block_merge_config_selectorIjjEEZZNS1_27merge_sort_block_merge_implIS3_N6thrust23THRUST_200600_302600_NS6detail15normal_iteratorINS8_10device_ptrIjEEEESD_jNS1_19radix_merge_compareILb0ELb0EjNS0_19identity_decomposerEEEEE10hipError_tT0_T1_T2_jT3_P12ihipStream_tbPNSt15iterator_traitsISI_E10value_typeEPNSO_ISJ_E10value_typeEPSK_NS1_7vsmem_tEENKUlT_SI_SJ_SK_E_clISD_PjSD_S10_EESH_SX_SI_SJ_SK_EUlSX_E_NS1_11comp_targetILNS1_3genE4ELNS1_11target_archE910ELNS1_3gpuE8ELNS1_3repE0EEENS1_48merge_mergepath_partition_config_static_selectorELNS0_4arch9wavefront6targetE1EEEvSJ_: ; @_ZN7rocprim17ROCPRIM_400000_NS6detail17trampoline_kernelINS0_14default_configENS1_38merge_sort_block_merge_config_selectorIjjEEZZNS1_27merge_sort_block_merge_implIS3_N6thrust23THRUST_200600_302600_NS6detail15normal_iteratorINS8_10device_ptrIjEEEESD_jNS1_19radix_merge_compareILb0ELb0EjNS0_19identity_decomposerEEEEE10hipError_tT0_T1_T2_jT3_P12ihipStream_tbPNSt15iterator_traitsISI_E10value_typeEPNSO_ISJ_E10value_typeEPSK_NS1_7vsmem_tEENKUlT_SI_SJ_SK_E_clISD_PjSD_S10_EESH_SX_SI_SJ_SK_EUlSX_E_NS1_11comp_targetILNS1_3genE4ELNS1_11target_archE910ELNS1_3gpuE8ELNS1_3repE0EEENS1_48merge_mergepath_partition_config_static_selectorELNS0_4arch9wavefront6targetE1EEEvSJ_
; %bb.0:
	.section	.rodata,"a",@progbits
	.p2align	6, 0x0
	.amdhsa_kernel _ZN7rocprim17ROCPRIM_400000_NS6detail17trampoline_kernelINS0_14default_configENS1_38merge_sort_block_merge_config_selectorIjjEEZZNS1_27merge_sort_block_merge_implIS3_N6thrust23THRUST_200600_302600_NS6detail15normal_iteratorINS8_10device_ptrIjEEEESD_jNS1_19radix_merge_compareILb0ELb0EjNS0_19identity_decomposerEEEEE10hipError_tT0_T1_T2_jT3_P12ihipStream_tbPNSt15iterator_traitsISI_E10value_typeEPNSO_ISJ_E10value_typeEPSK_NS1_7vsmem_tEENKUlT_SI_SJ_SK_E_clISD_PjSD_S10_EESH_SX_SI_SJ_SK_EUlSX_E_NS1_11comp_targetILNS1_3genE4ELNS1_11target_archE910ELNS1_3gpuE8ELNS1_3repE0EEENS1_48merge_mergepath_partition_config_static_selectorELNS0_4arch9wavefront6targetE1EEEvSJ_
		.amdhsa_group_segment_fixed_size 0
		.amdhsa_private_segment_fixed_size 0
		.amdhsa_kernarg_size 40
		.amdhsa_user_sgpr_count 2
		.amdhsa_user_sgpr_dispatch_ptr 0
		.amdhsa_user_sgpr_queue_ptr 0
		.amdhsa_user_sgpr_kernarg_segment_ptr 1
		.amdhsa_user_sgpr_dispatch_id 0
		.amdhsa_user_sgpr_kernarg_preload_length 0
		.amdhsa_user_sgpr_kernarg_preload_offset 0
		.amdhsa_user_sgpr_private_segment_size 0
		.amdhsa_uses_dynamic_stack 0
		.amdhsa_enable_private_segment 0
		.amdhsa_system_sgpr_workgroup_id_x 1
		.amdhsa_system_sgpr_workgroup_id_y 0
		.amdhsa_system_sgpr_workgroup_id_z 0
		.amdhsa_system_sgpr_workgroup_info 0
		.amdhsa_system_vgpr_workitem_id 0
		.amdhsa_next_free_vgpr 1
		.amdhsa_next_free_sgpr 0
		.amdhsa_accum_offset 4
		.amdhsa_reserve_vcc 0
		.amdhsa_float_round_mode_32 0
		.amdhsa_float_round_mode_16_64 0
		.amdhsa_float_denorm_mode_32 3
		.amdhsa_float_denorm_mode_16_64 3
		.amdhsa_dx10_clamp 1
		.amdhsa_ieee_mode 1
		.amdhsa_fp16_overflow 0
		.amdhsa_tg_split 0
		.amdhsa_exception_fp_ieee_invalid_op 0
		.amdhsa_exception_fp_denorm_src 0
		.amdhsa_exception_fp_ieee_div_zero 0
		.amdhsa_exception_fp_ieee_overflow 0
		.amdhsa_exception_fp_ieee_underflow 0
		.amdhsa_exception_fp_ieee_inexact 0
		.amdhsa_exception_int_div_zero 0
	.end_amdhsa_kernel
	.section	.text._ZN7rocprim17ROCPRIM_400000_NS6detail17trampoline_kernelINS0_14default_configENS1_38merge_sort_block_merge_config_selectorIjjEEZZNS1_27merge_sort_block_merge_implIS3_N6thrust23THRUST_200600_302600_NS6detail15normal_iteratorINS8_10device_ptrIjEEEESD_jNS1_19radix_merge_compareILb0ELb0EjNS0_19identity_decomposerEEEEE10hipError_tT0_T1_T2_jT3_P12ihipStream_tbPNSt15iterator_traitsISI_E10value_typeEPNSO_ISJ_E10value_typeEPSK_NS1_7vsmem_tEENKUlT_SI_SJ_SK_E_clISD_PjSD_S10_EESH_SX_SI_SJ_SK_EUlSX_E_NS1_11comp_targetILNS1_3genE4ELNS1_11target_archE910ELNS1_3gpuE8ELNS1_3repE0EEENS1_48merge_mergepath_partition_config_static_selectorELNS0_4arch9wavefront6targetE1EEEvSJ_,"axG",@progbits,_ZN7rocprim17ROCPRIM_400000_NS6detail17trampoline_kernelINS0_14default_configENS1_38merge_sort_block_merge_config_selectorIjjEEZZNS1_27merge_sort_block_merge_implIS3_N6thrust23THRUST_200600_302600_NS6detail15normal_iteratorINS8_10device_ptrIjEEEESD_jNS1_19radix_merge_compareILb0ELb0EjNS0_19identity_decomposerEEEEE10hipError_tT0_T1_T2_jT3_P12ihipStream_tbPNSt15iterator_traitsISI_E10value_typeEPNSO_ISJ_E10value_typeEPSK_NS1_7vsmem_tEENKUlT_SI_SJ_SK_E_clISD_PjSD_S10_EESH_SX_SI_SJ_SK_EUlSX_E_NS1_11comp_targetILNS1_3genE4ELNS1_11target_archE910ELNS1_3gpuE8ELNS1_3repE0EEENS1_48merge_mergepath_partition_config_static_selectorELNS0_4arch9wavefront6targetE1EEEvSJ_,comdat
.Lfunc_end646:
	.size	_ZN7rocprim17ROCPRIM_400000_NS6detail17trampoline_kernelINS0_14default_configENS1_38merge_sort_block_merge_config_selectorIjjEEZZNS1_27merge_sort_block_merge_implIS3_N6thrust23THRUST_200600_302600_NS6detail15normal_iteratorINS8_10device_ptrIjEEEESD_jNS1_19radix_merge_compareILb0ELb0EjNS0_19identity_decomposerEEEEE10hipError_tT0_T1_T2_jT3_P12ihipStream_tbPNSt15iterator_traitsISI_E10value_typeEPNSO_ISJ_E10value_typeEPSK_NS1_7vsmem_tEENKUlT_SI_SJ_SK_E_clISD_PjSD_S10_EESH_SX_SI_SJ_SK_EUlSX_E_NS1_11comp_targetILNS1_3genE4ELNS1_11target_archE910ELNS1_3gpuE8ELNS1_3repE0EEENS1_48merge_mergepath_partition_config_static_selectorELNS0_4arch9wavefront6targetE1EEEvSJ_, .Lfunc_end646-_ZN7rocprim17ROCPRIM_400000_NS6detail17trampoline_kernelINS0_14default_configENS1_38merge_sort_block_merge_config_selectorIjjEEZZNS1_27merge_sort_block_merge_implIS3_N6thrust23THRUST_200600_302600_NS6detail15normal_iteratorINS8_10device_ptrIjEEEESD_jNS1_19radix_merge_compareILb0ELb0EjNS0_19identity_decomposerEEEEE10hipError_tT0_T1_T2_jT3_P12ihipStream_tbPNSt15iterator_traitsISI_E10value_typeEPNSO_ISJ_E10value_typeEPSK_NS1_7vsmem_tEENKUlT_SI_SJ_SK_E_clISD_PjSD_S10_EESH_SX_SI_SJ_SK_EUlSX_E_NS1_11comp_targetILNS1_3genE4ELNS1_11target_archE910ELNS1_3gpuE8ELNS1_3repE0EEENS1_48merge_mergepath_partition_config_static_selectorELNS0_4arch9wavefront6targetE1EEEvSJ_
                                        ; -- End function
	.set _ZN7rocprim17ROCPRIM_400000_NS6detail17trampoline_kernelINS0_14default_configENS1_38merge_sort_block_merge_config_selectorIjjEEZZNS1_27merge_sort_block_merge_implIS3_N6thrust23THRUST_200600_302600_NS6detail15normal_iteratorINS8_10device_ptrIjEEEESD_jNS1_19radix_merge_compareILb0ELb0EjNS0_19identity_decomposerEEEEE10hipError_tT0_T1_T2_jT3_P12ihipStream_tbPNSt15iterator_traitsISI_E10value_typeEPNSO_ISJ_E10value_typeEPSK_NS1_7vsmem_tEENKUlT_SI_SJ_SK_E_clISD_PjSD_S10_EESH_SX_SI_SJ_SK_EUlSX_E_NS1_11comp_targetILNS1_3genE4ELNS1_11target_archE910ELNS1_3gpuE8ELNS1_3repE0EEENS1_48merge_mergepath_partition_config_static_selectorELNS0_4arch9wavefront6targetE1EEEvSJ_.num_vgpr, 0
	.set _ZN7rocprim17ROCPRIM_400000_NS6detail17trampoline_kernelINS0_14default_configENS1_38merge_sort_block_merge_config_selectorIjjEEZZNS1_27merge_sort_block_merge_implIS3_N6thrust23THRUST_200600_302600_NS6detail15normal_iteratorINS8_10device_ptrIjEEEESD_jNS1_19radix_merge_compareILb0ELb0EjNS0_19identity_decomposerEEEEE10hipError_tT0_T1_T2_jT3_P12ihipStream_tbPNSt15iterator_traitsISI_E10value_typeEPNSO_ISJ_E10value_typeEPSK_NS1_7vsmem_tEENKUlT_SI_SJ_SK_E_clISD_PjSD_S10_EESH_SX_SI_SJ_SK_EUlSX_E_NS1_11comp_targetILNS1_3genE4ELNS1_11target_archE910ELNS1_3gpuE8ELNS1_3repE0EEENS1_48merge_mergepath_partition_config_static_selectorELNS0_4arch9wavefront6targetE1EEEvSJ_.num_agpr, 0
	.set _ZN7rocprim17ROCPRIM_400000_NS6detail17trampoline_kernelINS0_14default_configENS1_38merge_sort_block_merge_config_selectorIjjEEZZNS1_27merge_sort_block_merge_implIS3_N6thrust23THRUST_200600_302600_NS6detail15normal_iteratorINS8_10device_ptrIjEEEESD_jNS1_19radix_merge_compareILb0ELb0EjNS0_19identity_decomposerEEEEE10hipError_tT0_T1_T2_jT3_P12ihipStream_tbPNSt15iterator_traitsISI_E10value_typeEPNSO_ISJ_E10value_typeEPSK_NS1_7vsmem_tEENKUlT_SI_SJ_SK_E_clISD_PjSD_S10_EESH_SX_SI_SJ_SK_EUlSX_E_NS1_11comp_targetILNS1_3genE4ELNS1_11target_archE910ELNS1_3gpuE8ELNS1_3repE0EEENS1_48merge_mergepath_partition_config_static_selectorELNS0_4arch9wavefront6targetE1EEEvSJ_.numbered_sgpr, 0
	.set _ZN7rocprim17ROCPRIM_400000_NS6detail17trampoline_kernelINS0_14default_configENS1_38merge_sort_block_merge_config_selectorIjjEEZZNS1_27merge_sort_block_merge_implIS3_N6thrust23THRUST_200600_302600_NS6detail15normal_iteratorINS8_10device_ptrIjEEEESD_jNS1_19radix_merge_compareILb0ELb0EjNS0_19identity_decomposerEEEEE10hipError_tT0_T1_T2_jT3_P12ihipStream_tbPNSt15iterator_traitsISI_E10value_typeEPNSO_ISJ_E10value_typeEPSK_NS1_7vsmem_tEENKUlT_SI_SJ_SK_E_clISD_PjSD_S10_EESH_SX_SI_SJ_SK_EUlSX_E_NS1_11comp_targetILNS1_3genE4ELNS1_11target_archE910ELNS1_3gpuE8ELNS1_3repE0EEENS1_48merge_mergepath_partition_config_static_selectorELNS0_4arch9wavefront6targetE1EEEvSJ_.num_named_barrier, 0
	.set _ZN7rocprim17ROCPRIM_400000_NS6detail17trampoline_kernelINS0_14default_configENS1_38merge_sort_block_merge_config_selectorIjjEEZZNS1_27merge_sort_block_merge_implIS3_N6thrust23THRUST_200600_302600_NS6detail15normal_iteratorINS8_10device_ptrIjEEEESD_jNS1_19radix_merge_compareILb0ELb0EjNS0_19identity_decomposerEEEEE10hipError_tT0_T1_T2_jT3_P12ihipStream_tbPNSt15iterator_traitsISI_E10value_typeEPNSO_ISJ_E10value_typeEPSK_NS1_7vsmem_tEENKUlT_SI_SJ_SK_E_clISD_PjSD_S10_EESH_SX_SI_SJ_SK_EUlSX_E_NS1_11comp_targetILNS1_3genE4ELNS1_11target_archE910ELNS1_3gpuE8ELNS1_3repE0EEENS1_48merge_mergepath_partition_config_static_selectorELNS0_4arch9wavefront6targetE1EEEvSJ_.private_seg_size, 0
	.set _ZN7rocprim17ROCPRIM_400000_NS6detail17trampoline_kernelINS0_14default_configENS1_38merge_sort_block_merge_config_selectorIjjEEZZNS1_27merge_sort_block_merge_implIS3_N6thrust23THRUST_200600_302600_NS6detail15normal_iteratorINS8_10device_ptrIjEEEESD_jNS1_19radix_merge_compareILb0ELb0EjNS0_19identity_decomposerEEEEE10hipError_tT0_T1_T2_jT3_P12ihipStream_tbPNSt15iterator_traitsISI_E10value_typeEPNSO_ISJ_E10value_typeEPSK_NS1_7vsmem_tEENKUlT_SI_SJ_SK_E_clISD_PjSD_S10_EESH_SX_SI_SJ_SK_EUlSX_E_NS1_11comp_targetILNS1_3genE4ELNS1_11target_archE910ELNS1_3gpuE8ELNS1_3repE0EEENS1_48merge_mergepath_partition_config_static_selectorELNS0_4arch9wavefront6targetE1EEEvSJ_.uses_vcc, 0
	.set _ZN7rocprim17ROCPRIM_400000_NS6detail17trampoline_kernelINS0_14default_configENS1_38merge_sort_block_merge_config_selectorIjjEEZZNS1_27merge_sort_block_merge_implIS3_N6thrust23THRUST_200600_302600_NS6detail15normal_iteratorINS8_10device_ptrIjEEEESD_jNS1_19radix_merge_compareILb0ELb0EjNS0_19identity_decomposerEEEEE10hipError_tT0_T1_T2_jT3_P12ihipStream_tbPNSt15iterator_traitsISI_E10value_typeEPNSO_ISJ_E10value_typeEPSK_NS1_7vsmem_tEENKUlT_SI_SJ_SK_E_clISD_PjSD_S10_EESH_SX_SI_SJ_SK_EUlSX_E_NS1_11comp_targetILNS1_3genE4ELNS1_11target_archE910ELNS1_3gpuE8ELNS1_3repE0EEENS1_48merge_mergepath_partition_config_static_selectorELNS0_4arch9wavefront6targetE1EEEvSJ_.uses_flat_scratch, 0
	.set _ZN7rocprim17ROCPRIM_400000_NS6detail17trampoline_kernelINS0_14default_configENS1_38merge_sort_block_merge_config_selectorIjjEEZZNS1_27merge_sort_block_merge_implIS3_N6thrust23THRUST_200600_302600_NS6detail15normal_iteratorINS8_10device_ptrIjEEEESD_jNS1_19radix_merge_compareILb0ELb0EjNS0_19identity_decomposerEEEEE10hipError_tT0_T1_T2_jT3_P12ihipStream_tbPNSt15iterator_traitsISI_E10value_typeEPNSO_ISJ_E10value_typeEPSK_NS1_7vsmem_tEENKUlT_SI_SJ_SK_E_clISD_PjSD_S10_EESH_SX_SI_SJ_SK_EUlSX_E_NS1_11comp_targetILNS1_3genE4ELNS1_11target_archE910ELNS1_3gpuE8ELNS1_3repE0EEENS1_48merge_mergepath_partition_config_static_selectorELNS0_4arch9wavefront6targetE1EEEvSJ_.has_dyn_sized_stack, 0
	.set _ZN7rocprim17ROCPRIM_400000_NS6detail17trampoline_kernelINS0_14default_configENS1_38merge_sort_block_merge_config_selectorIjjEEZZNS1_27merge_sort_block_merge_implIS3_N6thrust23THRUST_200600_302600_NS6detail15normal_iteratorINS8_10device_ptrIjEEEESD_jNS1_19radix_merge_compareILb0ELb0EjNS0_19identity_decomposerEEEEE10hipError_tT0_T1_T2_jT3_P12ihipStream_tbPNSt15iterator_traitsISI_E10value_typeEPNSO_ISJ_E10value_typeEPSK_NS1_7vsmem_tEENKUlT_SI_SJ_SK_E_clISD_PjSD_S10_EESH_SX_SI_SJ_SK_EUlSX_E_NS1_11comp_targetILNS1_3genE4ELNS1_11target_archE910ELNS1_3gpuE8ELNS1_3repE0EEENS1_48merge_mergepath_partition_config_static_selectorELNS0_4arch9wavefront6targetE1EEEvSJ_.has_recursion, 0
	.set _ZN7rocprim17ROCPRIM_400000_NS6detail17trampoline_kernelINS0_14default_configENS1_38merge_sort_block_merge_config_selectorIjjEEZZNS1_27merge_sort_block_merge_implIS3_N6thrust23THRUST_200600_302600_NS6detail15normal_iteratorINS8_10device_ptrIjEEEESD_jNS1_19radix_merge_compareILb0ELb0EjNS0_19identity_decomposerEEEEE10hipError_tT0_T1_T2_jT3_P12ihipStream_tbPNSt15iterator_traitsISI_E10value_typeEPNSO_ISJ_E10value_typeEPSK_NS1_7vsmem_tEENKUlT_SI_SJ_SK_E_clISD_PjSD_S10_EESH_SX_SI_SJ_SK_EUlSX_E_NS1_11comp_targetILNS1_3genE4ELNS1_11target_archE910ELNS1_3gpuE8ELNS1_3repE0EEENS1_48merge_mergepath_partition_config_static_selectorELNS0_4arch9wavefront6targetE1EEEvSJ_.has_indirect_call, 0
	.section	.AMDGPU.csdata,"",@progbits
; Kernel info:
; codeLenInByte = 0
; TotalNumSgprs: 6
; NumVgprs: 0
; NumAgprs: 0
; TotalNumVgprs: 0
; ScratchSize: 0
; MemoryBound: 0
; FloatMode: 240
; IeeeMode: 1
; LDSByteSize: 0 bytes/workgroup (compile time only)
; SGPRBlocks: 0
; VGPRBlocks: 0
; NumSGPRsForWavesPerEU: 6
; NumVGPRsForWavesPerEU: 1
; AccumOffset: 4
; Occupancy: 8
; WaveLimiterHint : 0
; COMPUTE_PGM_RSRC2:SCRATCH_EN: 0
; COMPUTE_PGM_RSRC2:USER_SGPR: 2
; COMPUTE_PGM_RSRC2:TRAP_HANDLER: 0
; COMPUTE_PGM_RSRC2:TGID_X_EN: 1
; COMPUTE_PGM_RSRC2:TGID_Y_EN: 0
; COMPUTE_PGM_RSRC2:TGID_Z_EN: 0
; COMPUTE_PGM_RSRC2:TIDIG_COMP_CNT: 0
; COMPUTE_PGM_RSRC3_GFX90A:ACCUM_OFFSET: 0
; COMPUTE_PGM_RSRC3_GFX90A:TG_SPLIT: 0
	.section	.text._ZN7rocprim17ROCPRIM_400000_NS6detail17trampoline_kernelINS0_14default_configENS1_38merge_sort_block_merge_config_selectorIjjEEZZNS1_27merge_sort_block_merge_implIS3_N6thrust23THRUST_200600_302600_NS6detail15normal_iteratorINS8_10device_ptrIjEEEESD_jNS1_19radix_merge_compareILb0ELb0EjNS0_19identity_decomposerEEEEE10hipError_tT0_T1_T2_jT3_P12ihipStream_tbPNSt15iterator_traitsISI_E10value_typeEPNSO_ISJ_E10value_typeEPSK_NS1_7vsmem_tEENKUlT_SI_SJ_SK_E_clISD_PjSD_S10_EESH_SX_SI_SJ_SK_EUlSX_E_NS1_11comp_targetILNS1_3genE3ELNS1_11target_archE908ELNS1_3gpuE7ELNS1_3repE0EEENS1_48merge_mergepath_partition_config_static_selectorELNS0_4arch9wavefront6targetE1EEEvSJ_,"axG",@progbits,_ZN7rocprim17ROCPRIM_400000_NS6detail17trampoline_kernelINS0_14default_configENS1_38merge_sort_block_merge_config_selectorIjjEEZZNS1_27merge_sort_block_merge_implIS3_N6thrust23THRUST_200600_302600_NS6detail15normal_iteratorINS8_10device_ptrIjEEEESD_jNS1_19radix_merge_compareILb0ELb0EjNS0_19identity_decomposerEEEEE10hipError_tT0_T1_T2_jT3_P12ihipStream_tbPNSt15iterator_traitsISI_E10value_typeEPNSO_ISJ_E10value_typeEPSK_NS1_7vsmem_tEENKUlT_SI_SJ_SK_E_clISD_PjSD_S10_EESH_SX_SI_SJ_SK_EUlSX_E_NS1_11comp_targetILNS1_3genE3ELNS1_11target_archE908ELNS1_3gpuE7ELNS1_3repE0EEENS1_48merge_mergepath_partition_config_static_selectorELNS0_4arch9wavefront6targetE1EEEvSJ_,comdat
	.protected	_ZN7rocprim17ROCPRIM_400000_NS6detail17trampoline_kernelINS0_14default_configENS1_38merge_sort_block_merge_config_selectorIjjEEZZNS1_27merge_sort_block_merge_implIS3_N6thrust23THRUST_200600_302600_NS6detail15normal_iteratorINS8_10device_ptrIjEEEESD_jNS1_19radix_merge_compareILb0ELb0EjNS0_19identity_decomposerEEEEE10hipError_tT0_T1_T2_jT3_P12ihipStream_tbPNSt15iterator_traitsISI_E10value_typeEPNSO_ISJ_E10value_typeEPSK_NS1_7vsmem_tEENKUlT_SI_SJ_SK_E_clISD_PjSD_S10_EESH_SX_SI_SJ_SK_EUlSX_E_NS1_11comp_targetILNS1_3genE3ELNS1_11target_archE908ELNS1_3gpuE7ELNS1_3repE0EEENS1_48merge_mergepath_partition_config_static_selectorELNS0_4arch9wavefront6targetE1EEEvSJ_ ; -- Begin function _ZN7rocprim17ROCPRIM_400000_NS6detail17trampoline_kernelINS0_14default_configENS1_38merge_sort_block_merge_config_selectorIjjEEZZNS1_27merge_sort_block_merge_implIS3_N6thrust23THRUST_200600_302600_NS6detail15normal_iteratorINS8_10device_ptrIjEEEESD_jNS1_19radix_merge_compareILb0ELb0EjNS0_19identity_decomposerEEEEE10hipError_tT0_T1_T2_jT3_P12ihipStream_tbPNSt15iterator_traitsISI_E10value_typeEPNSO_ISJ_E10value_typeEPSK_NS1_7vsmem_tEENKUlT_SI_SJ_SK_E_clISD_PjSD_S10_EESH_SX_SI_SJ_SK_EUlSX_E_NS1_11comp_targetILNS1_3genE3ELNS1_11target_archE908ELNS1_3gpuE7ELNS1_3repE0EEENS1_48merge_mergepath_partition_config_static_selectorELNS0_4arch9wavefront6targetE1EEEvSJ_
	.globl	_ZN7rocprim17ROCPRIM_400000_NS6detail17trampoline_kernelINS0_14default_configENS1_38merge_sort_block_merge_config_selectorIjjEEZZNS1_27merge_sort_block_merge_implIS3_N6thrust23THRUST_200600_302600_NS6detail15normal_iteratorINS8_10device_ptrIjEEEESD_jNS1_19radix_merge_compareILb0ELb0EjNS0_19identity_decomposerEEEEE10hipError_tT0_T1_T2_jT3_P12ihipStream_tbPNSt15iterator_traitsISI_E10value_typeEPNSO_ISJ_E10value_typeEPSK_NS1_7vsmem_tEENKUlT_SI_SJ_SK_E_clISD_PjSD_S10_EESH_SX_SI_SJ_SK_EUlSX_E_NS1_11comp_targetILNS1_3genE3ELNS1_11target_archE908ELNS1_3gpuE7ELNS1_3repE0EEENS1_48merge_mergepath_partition_config_static_selectorELNS0_4arch9wavefront6targetE1EEEvSJ_
	.p2align	8
	.type	_ZN7rocprim17ROCPRIM_400000_NS6detail17trampoline_kernelINS0_14default_configENS1_38merge_sort_block_merge_config_selectorIjjEEZZNS1_27merge_sort_block_merge_implIS3_N6thrust23THRUST_200600_302600_NS6detail15normal_iteratorINS8_10device_ptrIjEEEESD_jNS1_19radix_merge_compareILb0ELb0EjNS0_19identity_decomposerEEEEE10hipError_tT0_T1_T2_jT3_P12ihipStream_tbPNSt15iterator_traitsISI_E10value_typeEPNSO_ISJ_E10value_typeEPSK_NS1_7vsmem_tEENKUlT_SI_SJ_SK_E_clISD_PjSD_S10_EESH_SX_SI_SJ_SK_EUlSX_E_NS1_11comp_targetILNS1_3genE3ELNS1_11target_archE908ELNS1_3gpuE7ELNS1_3repE0EEENS1_48merge_mergepath_partition_config_static_selectorELNS0_4arch9wavefront6targetE1EEEvSJ_,@function
_ZN7rocprim17ROCPRIM_400000_NS6detail17trampoline_kernelINS0_14default_configENS1_38merge_sort_block_merge_config_selectorIjjEEZZNS1_27merge_sort_block_merge_implIS3_N6thrust23THRUST_200600_302600_NS6detail15normal_iteratorINS8_10device_ptrIjEEEESD_jNS1_19radix_merge_compareILb0ELb0EjNS0_19identity_decomposerEEEEE10hipError_tT0_T1_T2_jT3_P12ihipStream_tbPNSt15iterator_traitsISI_E10value_typeEPNSO_ISJ_E10value_typeEPSK_NS1_7vsmem_tEENKUlT_SI_SJ_SK_E_clISD_PjSD_S10_EESH_SX_SI_SJ_SK_EUlSX_E_NS1_11comp_targetILNS1_3genE3ELNS1_11target_archE908ELNS1_3gpuE7ELNS1_3repE0EEENS1_48merge_mergepath_partition_config_static_selectorELNS0_4arch9wavefront6targetE1EEEvSJ_: ; @_ZN7rocprim17ROCPRIM_400000_NS6detail17trampoline_kernelINS0_14default_configENS1_38merge_sort_block_merge_config_selectorIjjEEZZNS1_27merge_sort_block_merge_implIS3_N6thrust23THRUST_200600_302600_NS6detail15normal_iteratorINS8_10device_ptrIjEEEESD_jNS1_19radix_merge_compareILb0ELb0EjNS0_19identity_decomposerEEEEE10hipError_tT0_T1_T2_jT3_P12ihipStream_tbPNSt15iterator_traitsISI_E10value_typeEPNSO_ISJ_E10value_typeEPSK_NS1_7vsmem_tEENKUlT_SI_SJ_SK_E_clISD_PjSD_S10_EESH_SX_SI_SJ_SK_EUlSX_E_NS1_11comp_targetILNS1_3genE3ELNS1_11target_archE908ELNS1_3gpuE7ELNS1_3repE0EEENS1_48merge_mergepath_partition_config_static_selectorELNS0_4arch9wavefront6targetE1EEEvSJ_
; %bb.0:
	.section	.rodata,"a",@progbits
	.p2align	6, 0x0
	.amdhsa_kernel _ZN7rocprim17ROCPRIM_400000_NS6detail17trampoline_kernelINS0_14default_configENS1_38merge_sort_block_merge_config_selectorIjjEEZZNS1_27merge_sort_block_merge_implIS3_N6thrust23THRUST_200600_302600_NS6detail15normal_iteratorINS8_10device_ptrIjEEEESD_jNS1_19radix_merge_compareILb0ELb0EjNS0_19identity_decomposerEEEEE10hipError_tT0_T1_T2_jT3_P12ihipStream_tbPNSt15iterator_traitsISI_E10value_typeEPNSO_ISJ_E10value_typeEPSK_NS1_7vsmem_tEENKUlT_SI_SJ_SK_E_clISD_PjSD_S10_EESH_SX_SI_SJ_SK_EUlSX_E_NS1_11comp_targetILNS1_3genE3ELNS1_11target_archE908ELNS1_3gpuE7ELNS1_3repE0EEENS1_48merge_mergepath_partition_config_static_selectorELNS0_4arch9wavefront6targetE1EEEvSJ_
		.amdhsa_group_segment_fixed_size 0
		.amdhsa_private_segment_fixed_size 0
		.amdhsa_kernarg_size 40
		.amdhsa_user_sgpr_count 2
		.amdhsa_user_sgpr_dispatch_ptr 0
		.amdhsa_user_sgpr_queue_ptr 0
		.amdhsa_user_sgpr_kernarg_segment_ptr 1
		.amdhsa_user_sgpr_dispatch_id 0
		.amdhsa_user_sgpr_kernarg_preload_length 0
		.amdhsa_user_sgpr_kernarg_preload_offset 0
		.amdhsa_user_sgpr_private_segment_size 0
		.amdhsa_uses_dynamic_stack 0
		.amdhsa_enable_private_segment 0
		.amdhsa_system_sgpr_workgroup_id_x 1
		.amdhsa_system_sgpr_workgroup_id_y 0
		.amdhsa_system_sgpr_workgroup_id_z 0
		.amdhsa_system_sgpr_workgroup_info 0
		.amdhsa_system_vgpr_workitem_id 0
		.amdhsa_next_free_vgpr 1
		.amdhsa_next_free_sgpr 0
		.amdhsa_accum_offset 4
		.amdhsa_reserve_vcc 0
		.amdhsa_float_round_mode_32 0
		.amdhsa_float_round_mode_16_64 0
		.amdhsa_float_denorm_mode_32 3
		.amdhsa_float_denorm_mode_16_64 3
		.amdhsa_dx10_clamp 1
		.amdhsa_ieee_mode 1
		.amdhsa_fp16_overflow 0
		.amdhsa_tg_split 0
		.amdhsa_exception_fp_ieee_invalid_op 0
		.amdhsa_exception_fp_denorm_src 0
		.amdhsa_exception_fp_ieee_div_zero 0
		.amdhsa_exception_fp_ieee_overflow 0
		.amdhsa_exception_fp_ieee_underflow 0
		.amdhsa_exception_fp_ieee_inexact 0
		.amdhsa_exception_int_div_zero 0
	.end_amdhsa_kernel
	.section	.text._ZN7rocprim17ROCPRIM_400000_NS6detail17trampoline_kernelINS0_14default_configENS1_38merge_sort_block_merge_config_selectorIjjEEZZNS1_27merge_sort_block_merge_implIS3_N6thrust23THRUST_200600_302600_NS6detail15normal_iteratorINS8_10device_ptrIjEEEESD_jNS1_19radix_merge_compareILb0ELb0EjNS0_19identity_decomposerEEEEE10hipError_tT0_T1_T2_jT3_P12ihipStream_tbPNSt15iterator_traitsISI_E10value_typeEPNSO_ISJ_E10value_typeEPSK_NS1_7vsmem_tEENKUlT_SI_SJ_SK_E_clISD_PjSD_S10_EESH_SX_SI_SJ_SK_EUlSX_E_NS1_11comp_targetILNS1_3genE3ELNS1_11target_archE908ELNS1_3gpuE7ELNS1_3repE0EEENS1_48merge_mergepath_partition_config_static_selectorELNS0_4arch9wavefront6targetE1EEEvSJ_,"axG",@progbits,_ZN7rocprim17ROCPRIM_400000_NS6detail17trampoline_kernelINS0_14default_configENS1_38merge_sort_block_merge_config_selectorIjjEEZZNS1_27merge_sort_block_merge_implIS3_N6thrust23THRUST_200600_302600_NS6detail15normal_iteratorINS8_10device_ptrIjEEEESD_jNS1_19radix_merge_compareILb0ELb0EjNS0_19identity_decomposerEEEEE10hipError_tT0_T1_T2_jT3_P12ihipStream_tbPNSt15iterator_traitsISI_E10value_typeEPNSO_ISJ_E10value_typeEPSK_NS1_7vsmem_tEENKUlT_SI_SJ_SK_E_clISD_PjSD_S10_EESH_SX_SI_SJ_SK_EUlSX_E_NS1_11comp_targetILNS1_3genE3ELNS1_11target_archE908ELNS1_3gpuE7ELNS1_3repE0EEENS1_48merge_mergepath_partition_config_static_selectorELNS0_4arch9wavefront6targetE1EEEvSJ_,comdat
.Lfunc_end647:
	.size	_ZN7rocprim17ROCPRIM_400000_NS6detail17trampoline_kernelINS0_14default_configENS1_38merge_sort_block_merge_config_selectorIjjEEZZNS1_27merge_sort_block_merge_implIS3_N6thrust23THRUST_200600_302600_NS6detail15normal_iteratorINS8_10device_ptrIjEEEESD_jNS1_19radix_merge_compareILb0ELb0EjNS0_19identity_decomposerEEEEE10hipError_tT0_T1_T2_jT3_P12ihipStream_tbPNSt15iterator_traitsISI_E10value_typeEPNSO_ISJ_E10value_typeEPSK_NS1_7vsmem_tEENKUlT_SI_SJ_SK_E_clISD_PjSD_S10_EESH_SX_SI_SJ_SK_EUlSX_E_NS1_11comp_targetILNS1_3genE3ELNS1_11target_archE908ELNS1_3gpuE7ELNS1_3repE0EEENS1_48merge_mergepath_partition_config_static_selectorELNS0_4arch9wavefront6targetE1EEEvSJ_, .Lfunc_end647-_ZN7rocprim17ROCPRIM_400000_NS6detail17trampoline_kernelINS0_14default_configENS1_38merge_sort_block_merge_config_selectorIjjEEZZNS1_27merge_sort_block_merge_implIS3_N6thrust23THRUST_200600_302600_NS6detail15normal_iteratorINS8_10device_ptrIjEEEESD_jNS1_19radix_merge_compareILb0ELb0EjNS0_19identity_decomposerEEEEE10hipError_tT0_T1_T2_jT3_P12ihipStream_tbPNSt15iterator_traitsISI_E10value_typeEPNSO_ISJ_E10value_typeEPSK_NS1_7vsmem_tEENKUlT_SI_SJ_SK_E_clISD_PjSD_S10_EESH_SX_SI_SJ_SK_EUlSX_E_NS1_11comp_targetILNS1_3genE3ELNS1_11target_archE908ELNS1_3gpuE7ELNS1_3repE0EEENS1_48merge_mergepath_partition_config_static_selectorELNS0_4arch9wavefront6targetE1EEEvSJ_
                                        ; -- End function
	.set _ZN7rocprim17ROCPRIM_400000_NS6detail17trampoline_kernelINS0_14default_configENS1_38merge_sort_block_merge_config_selectorIjjEEZZNS1_27merge_sort_block_merge_implIS3_N6thrust23THRUST_200600_302600_NS6detail15normal_iteratorINS8_10device_ptrIjEEEESD_jNS1_19radix_merge_compareILb0ELb0EjNS0_19identity_decomposerEEEEE10hipError_tT0_T1_T2_jT3_P12ihipStream_tbPNSt15iterator_traitsISI_E10value_typeEPNSO_ISJ_E10value_typeEPSK_NS1_7vsmem_tEENKUlT_SI_SJ_SK_E_clISD_PjSD_S10_EESH_SX_SI_SJ_SK_EUlSX_E_NS1_11comp_targetILNS1_3genE3ELNS1_11target_archE908ELNS1_3gpuE7ELNS1_3repE0EEENS1_48merge_mergepath_partition_config_static_selectorELNS0_4arch9wavefront6targetE1EEEvSJ_.num_vgpr, 0
	.set _ZN7rocprim17ROCPRIM_400000_NS6detail17trampoline_kernelINS0_14default_configENS1_38merge_sort_block_merge_config_selectorIjjEEZZNS1_27merge_sort_block_merge_implIS3_N6thrust23THRUST_200600_302600_NS6detail15normal_iteratorINS8_10device_ptrIjEEEESD_jNS1_19radix_merge_compareILb0ELb0EjNS0_19identity_decomposerEEEEE10hipError_tT0_T1_T2_jT3_P12ihipStream_tbPNSt15iterator_traitsISI_E10value_typeEPNSO_ISJ_E10value_typeEPSK_NS1_7vsmem_tEENKUlT_SI_SJ_SK_E_clISD_PjSD_S10_EESH_SX_SI_SJ_SK_EUlSX_E_NS1_11comp_targetILNS1_3genE3ELNS1_11target_archE908ELNS1_3gpuE7ELNS1_3repE0EEENS1_48merge_mergepath_partition_config_static_selectorELNS0_4arch9wavefront6targetE1EEEvSJ_.num_agpr, 0
	.set _ZN7rocprim17ROCPRIM_400000_NS6detail17trampoline_kernelINS0_14default_configENS1_38merge_sort_block_merge_config_selectorIjjEEZZNS1_27merge_sort_block_merge_implIS3_N6thrust23THRUST_200600_302600_NS6detail15normal_iteratorINS8_10device_ptrIjEEEESD_jNS1_19radix_merge_compareILb0ELb0EjNS0_19identity_decomposerEEEEE10hipError_tT0_T1_T2_jT3_P12ihipStream_tbPNSt15iterator_traitsISI_E10value_typeEPNSO_ISJ_E10value_typeEPSK_NS1_7vsmem_tEENKUlT_SI_SJ_SK_E_clISD_PjSD_S10_EESH_SX_SI_SJ_SK_EUlSX_E_NS1_11comp_targetILNS1_3genE3ELNS1_11target_archE908ELNS1_3gpuE7ELNS1_3repE0EEENS1_48merge_mergepath_partition_config_static_selectorELNS0_4arch9wavefront6targetE1EEEvSJ_.numbered_sgpr, 0
	.set _ZN7rocprim17ROCPRIM_400000_NS6detail17trampoline_kernelINS0_14default_configENS1_38merge_sort_block_merge_config_selectorIjjEEZZNS1_27merge_sort_block_merge_implIS3_N6thrust23THRUST_200600_302600_NS6detail15normal_iteratorINS8_10device_ptrIjEEEESD_jNS1_19radix_merge_compareILb0ELb0EjNS0_19identity_decomposerEEEEE10hipError_tT0_T1_T2_jT3_P12ihipStream_tbPNSt15iterator_traitsISI_E10value_typeEPNSO_ISJ_E10value_typeEPSK_NS1_7vsmem_tEENKUlT_SI_SJ_SK_E_clISD_PjSD_S10_EESH_SX_SI_SJ_SK_EUlSX_E_NS1_11comp_targetILNS1_3genE3ELNS1_11target_archE908ELNS1_3gpuE7ELNS1_3repE0EEENS1_48merge_mergepath_partition_config_static_selectorELNS0_4arch9wavefront6targetE1EEEvSJ_.num_named_barrier, 0
	.set _ZN7rocprim17ROCPRIM_400000_NS6detail17trampoline_kernelINS0_14default_configENS1_38merge_sort_block_merge_config_selectorIjjEEZZNS1_27merge_sort_block_merge_implIS3_N6thrust23THRUST_200600_302600_NS6detail15normal_iteratorINS8_10device_ptrIjEEEESD_jNS1_19radix_merge_compareILb0ELb0EjNS0_19identity_decomposerEEEEE10hipError_tT0_T1_T2_jT3_P12ihipStream_tbPNSt15iterator_traitsISI_E10value_typeEPNSO_ISJ_E10value_typeEPSK_NS1_7vsmem_tEENKUlT_SI_SJ_SK_E_clISD_PjSD_S10_EESH_SX_SI_SJ_SK_EUlSX_E_NS1_11comp_targetILNS1_3genE3ELNS1_11target_archE908ELNS1_3gpuE7ELNS1_3repE0EEENS1_48merge_mergepath_partition_config_static_selectorELNS0_4arch9wavefront6targetE1EEEvSJ_.private_seg_size, 0
	.set _ZN7rocprim17ROCPRIM_400000_NS6detail17trampoline_kernelINS0_14default_configENS1_38merge_sort_block_merge_config_selectorIjjEEZZNS1_27merge_sort_block_merge_implIS3_N6thrust23THRUST_200600_302600_NS6detail15normal_iteratorINS8_10device_ptrIjEEEESD_jNS1_19radix_merge_compareILb0ELb0EjNS0_19identity_decomposerEEEEE10hipError_tT0_T1_T2_jT3_P12ihipStream_tbPNSt15iterator_traitsISI_E10value_typeEPNSO_ISJ_E10value_typeEPSK_NS1_7vsmem_tEENKUlT_SI_SJ_SK_E_clISD_PjSD_S10_EESH_SX_SI_SJ_SK_EUlSX_E_NS1_11comp_targetILNS1_3genE3ELNS1_11target_archE908ELNS1_3gpuE7ELNS1_3repE0EEENS1_48merge_mergepath_partition_config_static_selectorELNS0_4arch9wavefront6targetE1EEEvSJ_.uses_vcc, 0
	.set _ZN7rocprim17ROCPRIM_400000_NS6detail17trampoline_kernelINS0_14default_configENS1_38merge_sort_block_merge_config_selectorIjjEEZZNS1_27merge_sort_block_merge_implIS3_N6thrust23THRUST_200600_302600_NS6detail15normal_iteratorINS8_10device_ptrIjEEEESD_jNS1_19radix_merge_compareILb0ELb0EjNS0_19identity_decomposerEEEEE10hipError_tT0_T1_T2_jT3_P12ihipStream_tbPNSt15iterator_traitsISI_E10value_typeEPNSO_ISJ_E10value_typeEPSK_NS1_7vsmem_tEENKUlT_SI_SJ_SK_E_clISD_PjSD_S10_EESH_SX_SI_SJ_SK_EUlSX_E_NS1_11comp_targetILNS1_3genE3ELNS1_11target_archE908ELNS1_3gpuE7ELNS1_3repE0EEENS1_48merge_mergepath_partition_config_static_selectorELNS0_4arch9wavefront6targetE1EEEvSJ_.uses_flat_scratch, 0
	.set _ZN7rocprim17ROCPRIM_400000_NS6detail17trampoline_kernelINS0_14default_configENS1_38merge_sort_block_merge_config_selectorIjjEEZZNS1_27merge_sort_block_merge_implIS3_N6thrust23THRUST_200600_302600_NS6detail15normal_iteratorINS8_10device_ptrIjEEEESD_jNS1_19radix_merge_compareILb0ELb0EjNS0_19identity_decomposerEEEEE10hipError_tT0_T1_T2_jT3_P12ihipStream_tbPNSt15iterator_traitsISI_E10value_typeEPNSO_ISJ_E10value_typeEPSK_NS1_7vsmem_tEENKUlT_SI_SJ_SK_E_clISD_PjSD_S10_EESH_SX_SI_SJ_SK_EUlSX_E_NS1_11comp_targetILNS1_3genE3ELNS1_11target_archE908ELNS1_3gpuE7ELNS1_3repE0EEENS1_48merge_mergepath_partition_config_static_selectorELNS0_4arch9wavefront6targetE1EEEvSJ_.has_dyn_sized_stack, 0
	.set _ZN7rocprim17ROCPRIM_400000_NS6detail17trampoline_kernelINS0_14default_configENS1_38merge_sort_block_merge_config_selectorIjjEEZZNS1_27merge_sort_block_merge_implIS3_N6thrust23THRUST_200600_302600_NS6detail15normal_iteratorINS8_10device_ptrIjEEEESD_jNS1_19radix_merge_compareILb0ELb0EjNS0_19identity_decomposerEEEEE10hipError_tT0_T1_T2_jT3_P12ihipStream_tbPNSt15iterator_traitsISI_E10value_typeEPNSO_ISJ_E10value_typeEPSK_NS1_7vsmem_tEENKUlT_SI_SJ_SK_E_clISD_PjSD_S10_EESH_SX_SI_SJ_SK_EUlSX_E_NS1_11comp_targetILNS1_3genE3ELNS1_11target_archE908ELNS1_3gpuE7ELNS1_3repE0EEENS1_48merge_mergepath_partition_config_static_selectorELNS0_4arch9wavefront6targetE1EEEvSJ_.has_recursion, 0
	.set _ZN7rocprim17ROCPRIM_400000_NS6detail17trampoline_kernelINS0_14default_configENS1_38merge_sort_block_merge_config_selectorIjjEEZZNS1_27merge_sort_block_merge_implIS3_N6thrust23THRUST_200600_302600_NS6detail15normal_iteratorINS8_10device_ptrIjEEEESD_jNS1_19radix_merge_compareILb0ELb0EjNS0_19identity_decomposerEEEEE10hipError_tT0_T1_T2_jT3_P12ihipStream_tbPNSt15iterator_traitsISI_E10value_typeEPNSO_ISJ_E10value_typeEPSK_NS1_7vsmem_tEENKUlT_SI_SJ_SK_E_clISD_PjSD_S10_EESH_SX_SI_SJ_SK_EUlSX_E_NS1_11comp_targetILNS1_3genE3ELNS1_11target_archE908ELNS1_3gpuE7ELNS1_3repE0EEENS1_48merge_mergepath_partition_config_static_selectorELNS0_4arch9wavefront6targetE1EEEvSJ_.has_indirect_call, 0
	.section	.AMDGPU.csdata,"",@progbits
; Kernel info:
; codeLenInByte = 0
; TotalNumSgprs: 6
; NumVgprs: 0
; NumAgprs: 0
; TotalNumVgprs: 0
; ScratchSize: 0
; MemoryBound: 0
; FloatMode: 240
; IeeeMode: 1
; LDSByteSize: 0 bytes/workgroup (compile time only)
; SGPRBlocks: 0
; VGPRBlocks: 0
; NumSGPRsForWavesPerEU: 6
; NumVGPRsForWavesPerEU: 1
; AccumOffset: 4
; Occupancy: 8
; WaveLimiterHint : 0
; COMPUTE_PGM_RSRC2:SCRATCH_EN: 0
; COMPUTE_PGM_RSRC2:USER_SGPR: 2
; COMPUTE_PGM_RSRC2:TRAP_HANDLER: 0
; COMPUTE_PGM_RSRC2:TGID_X_EN: 1
; COMPUTE_PGM_RSRC2:TGID_Y_EN: 0
; COMPUTE_PGM_RSRC2:TGID_Z_EN: 0
; COMPUTE_PGM_RSRC2:TIDIG_COMP_CNT: 0
; COMPUTE_PGM_RSRC3_GFX90A:ACCUM_OFFSET: 0
; COMPUTE_PGM_RSRC3_GFX90A:TG_SPLIT: 0
	.section	.text._ZN7rocprim17ROCPRIM_400000_NS6detail17trampoline_kernelINS0_14default_configENS1_38merge_sort_block_merge_config_selectorIjjEEZZNS1_27merge_sort_block_merge_implIS3_N6thrust23THRUST_200600_302600_NS6detail15normal_iteratorINS8_10device_ptrIjEEEESD_jNS1_19radix_merge_compareILb0ELb0EjNS0_19identity_decomposerEEEEE10hipError_tT0_T1_T2_jT3_P12ihipStream_tbPNSt15iterator_traitsISI_E10value_typeEPNSO_ISJ_E10value_typeEPSK_NS1_7vsmem_tEENKUlT_SI_SJ_SK_E_clISD_PjSD_S10_EESH_SX_SI_SJ_SK_EUlSX_E_NS1_11comp_targetILNS1_3genE2ELNS1_11target_archE906ELNS1_3gpuE6ELNS1_3repE0EEENS1_48merge_mergepath_partition_config_static_selectorELNS0_4arch9wavefront6targetE1EEEvSJ_,"axG",@progbits,_ZN7rocprim17ROCPRIM_400000_NS6detail17trampoline_kernelINS0_14default_configENS1_38merge_sort_block_merge_config_selectorIjjEEZZNS1_27merge_sort_block_merge_implIS3_N6thrust23THRUST_200600_302600_NS6detail15normal_iteratorINS8_10device_ptrIjEEEESD_jNS1_19radix_merge_compareILb0ELb0EjNS0_19identity_decomposerEEEEE10hipError_tT0_T1_T2_jT3_P12ihipStream_tbPNSt15iterator_traitsISI_E10value_typeEPNSO_ISJ_E10value_typeEPSK_NS1_7vsmem_tEENKUlT_SI_SJ_SK_E_clISD_PjSD_S10_EESH_SX_SI_SJ_SK_EUlSX_E_NS1_11comp_targetILNS1_3genE2ELNS1_11target_archE906ELNS1_3gpuE6ELNS1_3repE0EEENS1_48merge_mergepath_partition_config_static_selectorELNS0_4arch9wavefront6targetE1EEEvSJ_,comdat
	.protected	_ZN7rocprim17ROCPRIM_400000_NS6detail17trampoline_kernelINS0_14default_configENS1_38merge_sort_block_merge_config_selectorIjjEEZZNS1_27merge_sort_block_merge_implIS3_N6thrust23THRUST_200600_302600_NS6detail15normal_iteratorINS8_10device_ptrIjEEEESD_jNS1_19radix_merge_compareILb0ELb0EjNS0_19identity_decomposerEEEEE10hipError_tT0_T1_T2_jT3_P12ihipStream_tbPNSt15iterator_traitsISI_E10value_typeEPNSO_ISJ_E10value_typeEPSK_NS1_7vsmem_tEENKUlT_SI_SJ_SK_E_clISD_PjSD_S10_EESH_SX_SI_SJ_SK_EUlSX_E_NS1_11comp_targetILNS1_3genE2ELNS1_11target_archE906ELNS1_3gpuE6ELNS1_3repE0EEENS1_48merge_mergepath_partition_config_static_selectorELNS0_4arch9wavefront6targetE1EEEvSJ_ ; -- Begin function _ZN7rocprim17ROCPRIM_400000_NS6detail17trampoline_kernelINS0_14default_configENS1_38merge_sort_block_merge_config_selectorIjjEEZZNS1_27merge_sort_block_merge_implIS3_N6thrust23THRUST_200600_302600_NS6detail15normal_iteratorINS8_10device_ptrIjEEEESD_jNS1_19radix_merge_compareILb0ELb0EjNS0_19identity_decomposerEEEEE10hipError_tT0_T1_T2_jT3_P12ihipStream_tbPNSt15iterator_traitsISI_E10value_typeEPNSO_ISJ_E10value_typeEPSK_NS1_7vsmem_tEENKUlT_SI_SJ_SK_E_clISD_PjSD_S10_EESH_SX_SI_SJ_SK_EUlSX_E_NS1_11comp_targetILNS1_3genE2ELNS1_11target_archE906ELNS1_3gpuE6ELNS1_3repE0EEENS1_48merge_mergepath_partition_config_static_selectorELNS0_4arch9wavefront6targetE1EEEvSJ_
	.globl	_ZN7rocprim17ROCPRIM_400000_NS6detail17trampoline_kernelINS0_14default_configENS1_38merge_sort_block_merge_config_selectorIjjEEZZNS1_27merge_sort_block_merge_implIS3_N6thrust23THRUST_200600_302600_NS6detail15normal_iteratorINS8_10device_ptrIjEEEESD_jNS1_19radix_merge_compareILb0ELb0EjNS0_19identity_decomposerEEEEE10hipError_tT0_T1_T2_jT3_P12ihipStream_tbPNSt15iterator_traitsISI_E10value_typeEPNSO_ISJ_E10value_typeEPSK_NS1_7vsmem_tEENKUlT_SI_SJ_SK_E_clISD_PjSD_S10_EESH_SX_SI_SJ_SK_EUlSX_E_NS1_11comp_targetILNS1_3genE2ELNS1_11target_archE906ELNS1_3gpuE6ELNS1_3repE0EEENS1_48merge_mergepath_partition_config_static_selectorELNS0_4arch9wavefront6targetE1EEEvSJ_
	.p2align	8
	.type	_ZN7rocprim17ROCPRIM_400000_NS6detail17trampoline_kernelINS0_14default_configENS1_38merge_sort_block_merge_config_selectorIjjEEZZNS1_27merge_sort_block_merge_implIS3_N6thrust23THRUST_200600_302600_NS6detail15normal_iteratorINS8_10device_ptrIjEEEESD_jNS1_19radix_merge_compareILb0ELb0EjNS0_19identity_decomposerEEEEE10hipError_tT0_T1_T2_jT3_P12ihipStream_tbPNSt15iterator_traitsISI_E10value_typeEPNSO_ISJ_E10value_typeEPSK_NS1_7vsmem_tEENKUlT_SI_SJ_SK_E_clISD_PjSD_S10_EESH_SX_SI_SJ_SK_EUlSX_E_NS1_11comp_targetILNS1_3genE2ELNS1_11target_archE906ELNS1_3gpuE6ELNS1_3repE0EEENS1_48merge_mergepath_partition_config_static_selectorELNS0_4arch9wavefront6targetE1EEEvSJ_,@function
_ZN7rocprim17ROCPRIM_400000_NS6detail17trampoline_kernelINS0_14default_configENS1_38merge_sort_block_merge_config_selectorIjjEEZZNS1_27merge_sort_block_merge_implIS3_N6thrust23THRUST_200600_302600_NS6detail15normal_iteratorINS8_10device_ptrIjEEEESD_jNS1_19radix_merge_compareILb0ELb0EjNS0_19identity_decomposerEEEEE10hipError_tT0_T1_T2_jT3_P12ihipStream_tbPNSt15iterator_traitsISI_E10value_typeEPNSO_ISJ_E10value_typeEPSK_NS1_7vsmem_tEENKUlT_SI_SJ_SK_E_clISD_PjSD_S10_EESH_SX_SI_SJ_SK_EUlSX_E_NS1_11comp_targetILNS1_3genE2ELNS1_11target_archE906ELNS1_3gpuE6ELNS1_3repE0EEENS1_48merge_mergepath_partition_config_static_selectorELNS0_4arch9wavefront6targetE1EEEvSJ_: ; @_ZN7rocprim17ROCPRIM_400000_NS6detail17trampoline_kernelINS0_14default_configENS1_38merge_sort_block_merge_config_selectorIjjEEZZNS1_27merge_sort_block_merge_implIS3_N6thrust23THRUST_200600_302600_NS6detail15normal_iteratorINS8_10device_ptrIjEEEESD_jNS1_19radix_merge_compareILb0ELb0EjNS0_19identity_decomposerEEEEE10hipError_tT0_T1_T2_jT3_P12ihipStream_tbPNSt15iterator_traitsISI_E10value_typeEPNSO_ISJ_E10value_typeEPSK_NS1_7vsmem_tEENKUlT_SI_SJ_SK_E_clISD_PjSD_S10_EESH_SX_SI_SJ_SK_EUlSX_E_NS1_11comp_targetILNS1_3genE2ELNS1_11target_archE906ELNS1_3gpuE6ELNS1_3repE0EEENS1_48merge_mergepath_partition_config_static_selectorELNS0_4arch9wavefront6targetE1EEEvSJ_
; %bb.0:
	.section	.rodata,"a",@progbits
	.p2align	6, 0x0
	.amdhsa_kernel _ZN7rocprim17ROCPRIM_400000_NS6detail17trampoline_kernelINS0_14default_configENS1_38merge_sort_block_merge_config_selectorIjjEEZZNS1_27merge_sort_block_merge_implIS3_N6thrust23THRUST_200600_302600_NS6detail15normal_iteratorINS8_10device_ptrIjEEEESD_jNS1_19radix_merge_compareILb0ELb0EjNS0_19identity_decomposerEEEEE10hipError_tT0_T1_T2_jT3_P12ihipStream_tbPNSt15iterator_traitsISI_E10value_typeEPNSO_ISJ_E10value_typeEPSK_NS1_7vsmem_tEENKUlT_SI_SJ_SK_E_clISD_PjSD_S10_EESH_SX_SI_SJ_SK_EUlSX_E_NS1_11comp_targetILNS1_3genE2ELNS1_11target_archE906ELNS1_3gpuE6ELNS1_3repE0EEENS1_48merge_mergepath_partition_config_static_selectorELNS0_4arch9wavefront6targetE1EEEvSJ_
		.amdhsa_group_segment_fixed_size 0
		.amdhsa_private_segment_fixed_size 0
		.amdhsa_kernarg_size 40
		.amdhsa_user_sgpr_count 2
		.amdhsa_user_sgpr_dispatch_ptr 0
		.amdhsa_user_sgpr_queue_ptr 0
		.amdhsa_user_sgpr_kernarg_segment_ptr 1
		.amdhsa_user_sgpr_dispatch_id 0
		.amdhsa_user_sgpr_kernarg_preload_length 0
		.amdhsa_user_sgpr_kernarg_preload_offset 0
		.amdhsa_user_sgpr_private_segment_size 0
		.amdhsa_uses_dynamic_stack 0
		.amdhsa_enable_private_segment 0
		.amdhsa_system_sgpr_workgroup_id_x 1
		.amdhsa_system_sgpr_workgroup_id_y 0
		.amdhsa_system_sgpr_workgroup_id_z 0
		.amdhsa_system_sgpr_workgroup_info 0
		.amdhsa_system_vgpr_workitem_id 0
		.amdhsa_next_free_vgpr 1
		.amdhsa_next_free_sgpr 0
		.amdhsa_accum_offset 4
		.amdhsa_reserve_vcc 0
		.amdhsa_float_round_mode_32 0
		.amdhsa_float_round_mode_16_64 0
		.amdhsa_float_denorm_mode_32 3
		.amdhsa_float_denorm_mode_16_64 3
		.amdhsa_dx10_clamp 1
		.amdhsa_ieee_mode 1
		.amdhsa_fp16_overflow 0
		.amdhsa_tg_split 0
		.amdhsa_exception_fp_ieee_invalid_op 0
		.amdhsa_exception_fp_denorm_src 0
		.amdhsa_exception_fp_ieee_div_zero 0
		.amdhsa_exception_fp_ieee_overflow 0
		.amdhsa_exception_fp_ieee_underflow 0
		.amdhsa_exception_fp_ieee_inexact 0
		.amdhsa_exception_int_div_zero 0
	.end_amdhsa_kernel
	.section	.text._ZN7rocprim17ROCPRIM_400000_NS6detail17trampoline_kernelINS0_14default_configENS1_38merge_sort_block_merge_config_selectorIjjEEZZNS1_27merge_sort_block_merge_implIS3_N6thrust23THRUST_200600_302600_NS6detail15normal_iteratorINS8_10device_ptrIjEEEESD_jNS1_19radix_merge_compareILb0ELb0EjNS0_19identity_decomposerEEEEE10hipError_tT0_T1_T2_jT3_P12ihipStream_tbPNSt15iterator_traitsISI_E10value_typeEPNSO_ISJ_E10value_typeEPSK_NS1_7vsmem_tEENKUlT_SI_SJ_SK_E_clISD_PjSD_S10_EESH_SX_SI_SJ_SK_EUlSX_E_NS1_11comp_targetILNS1_3genE2ELNS1_11target_archE906ELNS1_3gpuE6ELNS1_3repE0EEENS1_48merge_mergepath_partition_config_static_selectorELNS0_4arch9wavefront6targetE1EEEvSJ_,"axG",@progbits,_ZN7rocprim17ROCPRIM_400000_NS6detail17trampoline_kernelINS0_14default_configENS1_38merge_sort_block_merge_config_selectorIjjEEZZNS1_27merge_sort_block_merge_implIS3_N6thrust23THRUST_200600_302600_NS6detail15normal_iteratorINS8_10device_ptrIjEEEESD_jNS1_19radix_merge_compareILb0ELb0EjNS0_19identity_decomposerEEEEE10hipError_tT0_T1_T2_jT3_P12ihipStream_tbPNSt15iterator_traitsISI_E10value_typeEPNSO_ISJ_E10value_typeEPSK_NS1_7vsmem_tEENKUlT_SI_SJ_SK_E_clISD_PjSD_S10_EESH_SX_SI_SJ_SK_EUlSX_E_NS1_11comp_targetILNS1_3genE2ELNS1_11target_archE906ELNS1_3gpuE6ELNS1_3repE0EEENS1_48merge_mergepath_partition_config_static_selectorELNS0_4arch9wavefront6targetE1EEEvSJ_,comdat
.Lfunc_end648:
	.size	_ZN7rocprim17ROCPRIM_400000_NS6detail17trampoline_kernelINS0_14default_configENS1_38merge_sort_block_merge_config_selectorIjjEEZZNS1_27merge_sort_block_merge_implIS3_N6thrust23THRUST_200600_302600_NS6detail15normal_iteratorINS8_10device_ptrIjEEEESD_jNS1_19radix_merge_compareILb0ELb0EjNS0_19identity_decomposerEEEEE10hipError_tT0_T1_T2_jT3_P12ihipStream_tbPNSt15iterator_traitsISI_E10value_typeEPNSO_ISJ_E10value_typeEPSK_NS1_7vsmem_tEENKUlT_SI_SJ_SK_E_clISD_PjSD_S10_EESH_SX_SI_SJ_SK_EUlSX_E_NS1_11comp_targetILNS1_3genE2ELNS1_11target_archE906ELNS1_3gpuE6ELNS1_3repE0EEENS1_48merge_mergepath_partition_config_static_selectorELNS0_4arch9wavefront6targetE1EEEvSJ_, .Lfunc_end648-_ZN7rocprim17ROCPRIM_400000_NS6detail17trampoline_kernelINS0_14default_configENS1_38merge_sort_block_merge_config_selectorIjjEEZZNS1_27merge_sort_block_merge_implIS3_N6thrust23THRUST_200600_302600_NS6detail15normal_iteratorINS8_10device_ptrIjEEEESD_jNS1_19radix_merge_compareILb0ELb0EjNS0_19identity_decomposerEEEEE10hipError_tT0_T1_T2_jT3_P12ihipStream_tbPNSt15iterator_traitsISI_E10value_typeEPNSO_ISJ_E10value_typeEPSK_NS1_7vsmem_tEENKUlT_SI_SJ_SK_E_clISD_PjSD_S10_EESH_SX_SI_SJ_SK_EUlSX_E_NS1_11comp_targetILNS1_3genE2ELNS1_11target_archE906ELNS1_3gpuE6ELNS1_3repE0EEENS1_48merge_mergepath_partition_config_static_selectorELNS0_4arch9wavefront6targetE1EEEvSJ_
                                        ; -- End function
	.set _ZN7rocprim17ROCPRIM_400000_NS6detail17trampoline_kernelINS0_14default_configENS1_38merge_sort_block_merge_config_selectorIjjEEZZNS1_27merge_sort_block_merge_implIS3_N6thrust23THRUST_200600_302600_NS6detail15normal_iteratorINS8_10device_ptrIjEEEESD_jNS1_19radix_merge_compareILb0ELb0EjNS0_19identity_decomposerEEEEE10hipError_tT0_T1_T2_jT3_P12ihipStream_tbPNSt15iterator_traitsISI_E10value_typeEPNSO_ISJ_E10value_typeEPSK_NS1_7vsmem_tEENKUlT_SI_SJ_SK_E_clISD_PjSD_S10_EESH_SX_SI_SJ_SK_EUlSX_E_NS1_11comp_targetILNS1_3genE2ELNS1_11target_archE906ELNS1_3gpuE6ELNS1_3repE0EEENS1_48merge_mergepath_partition_config_static_selectorELNS0_4arch9wavefront6targetE1EEEvSJ_.num_vgpr, 0
	.set _ZN7rocprim17ROCPRIM_400000_NS6detail17trampoline_kernelINS0_14default_configENS1_38merge_sort_block_merge_config_selectorIjjEEZZNS1_27merge_sort_block_merge_implIS3_N6thrust23THRUST_200600_302600_NS6detail15normal_iteratorINS8_10device_ptrIjEEEESD_jNS1_19radix_merge_compareILb0ELb0EjNS0_19identity_decomposerEEEEE10hipError_tT0_T1_T2_jT3_P12ihipStream_tbPNSt15iterator_traitsISI_E10value_typeEPNSO_ISJ_E10value_typeEPSK_NS1_7vsmem_tEENKUlT_SI_SJ_SK_E_clISD_PjSD_S10_EESH_SX_SI_SJ_SK_EUlSX_E_NS1_11comp_targetILNS1_3genE2ELNS1_11target_archE906ELNS1_3gpuE6ELNS1_3repE0EEENS1_48merge_mergepath_partition_config_static_selectorELNS0_4arch9wavefront6targetE1EEEvSJ_.num_agpr, 0
	.set _ZN7rocprim17ROCPRIM_400000_NS6detail17trampoline_kernelINS0_14default_configENS1_38merge_sort_block_merge_config_selectorIjjEEZZNS1_27merge_sort_block_merge_implIS3_N6thrust23THRUST_200600_302600_NS6detail15normal_iteratorINS8_10device_ptrIjEEEESD_jNS1_19radix_merge_compareILb0ELb0EjNS0_19identity_decomposerEEEEE10hipError_tT0_T1_T2_jT3_P12ihipStream_tbPNSt15iterator_traitsISI_E10value_typeEPNSO_ISJ_E10value_typeEPSK_NS1_7vsmem_tEENKUlT_SI_SJ_SK_E_clISD_PjSD_S10_EESH_SX_SI_SJ_SK_EUlSX_E_NS1_11comp_targetILNS1_3genE2ELNS1_11target_archE906ELNS1_3gpuE6ELNS1_3repE0EEENS1_48merge_mergepath_partition_config_static_selectorELNS0_4arch9wavefront6targetE1EEEvSJ_.numbered_sgpr, 0
	.set _ZN7rocprim17ROCPRIM_400000_NS6detail17trampoline_kernelINS0_14default_configENS1_38merge_sort_block_merge_config_selectorIjjEEZZNS1_27merge_sort_block_merge_implIS3_N6thrust23THRUST_200600_302600_NS6detail15normal_iteratorINS8_10device_ptrIjEEEESD_jNS1_19radix_merge_compareILb0ELb0EjNS0_19identity_decomposerEEEEE10hipError_tT0_T1_T2_jT3_P12ihipStream_tbPNSt15iterator_traitsISI_E10value_typeEPNSO_ISJ_E10value_typeEPSK_NS1_7vsmem_tEENKUlT_SI_SJ_SK_E_clISD_PjSD_S10_EESH_SX_SI_SJ_SK_EUlSX_E_NS1_11comp_targetILNS1_3genE2ELNS1_11target_archE906ELNS1_3gpuE6ELNS1_3repE0EEENS1_48merge_mergepath_partition_config_static_selectorELNS0_4arch9wavefront6targetE1EEEvSJ_.num_named_barrier, 0
	.set _ZN7rocprim17ROCPRIM_400000_NS6detail17trampoline_kernelINS0_14default_configENS1_38merge_sort_block_merge_config_selectorIjjEEZZNS1_27merge_sort_block_merge_implIS3_N6thrust23THRUST_200600_302600_NS6detail15normal_iteratorINS8_10device_ptrIjEEEESD_jNS1_19radix_merge_compareILb0ELb0EjNS0_19identity_decomposerEEEEE10hipError_tT0_T1_T2_jT3_P12ihipStream_tbPNSt15iterator_traitsISI_E10value_typeEPNSO_ISJ_E10value_typeEPSK_NS1_7vsmem_tEENKUlT_SI_SJ_SK_E_clISD_PjSD_S10_EESH_SX_SI_SJ_SK_EUlSX_E_NS1_11comp_targetILNS1_3genE2ELNS1_11target_archE906ELNS1_3gpuE6ELNS1_3repE0EEENS1_48merge_mergepath_partition_config_static_selectorELNS0_4arch9wavefront6targetE1EEEvSJ_.private_seg_size, 0
	.set _ZN7rocprim17ROCPRIM_400000_NS6detail17trampoline_kernelINS0_14default_configENS1_38merge_sort_block_merge_config_selectorIjjEEZZNS1_27merge_sort_block_merge_implIS3_N6thrust23THRUST_200600_302600_NS6detail15normal_iteratorINS8_10device_ptrIjEEEESD_jNS1_19radix_merge_compareILb0ELb0EjNS0_19identity_decomposerEEEEE10hipError_tT0_T1_T2_jT3_P12ihipStream_tbPNSt15iterator_traitsISI_E10value_typeEPNSO_ISJ_E10value_typeEPSK_NS1_7vsmem_tEENKUlT_SI_SJ_SK_E_clISD_PjSD_S10_EESH_SX_SI_SJ_SK_EUlSX_E_NS1_11comp_targetILNS1_3genE2ELNS1_11target_archE906ELNS1_3gpuE6ELNS1_3repE0EEENS1_48merge_mergepath_partition_config_static_selectorELNS0_4arch9wavefront6targetE1EEEvSJ_.uses_vcc, 0
	.set _ZN7rocprim17ROCPRIM_400000_NS6detail17trampoline_kernelINS0_14default_configENS1_38merge_sort_block_merge_config_selectorIjjEEZZNS1_27merge_sort_block_merge_implIS3_N6thrust23THRUST_200600_302600_NS6detail15normal_iteratorINS8_10device_ptrIjEEEESD_jNS1_19radix_merge_compareILb0ELb0EjNS0_19identity_decomposerEEEEE10hipError_tT0_T1_T2_jT3_P12ihipStream_tbPNSt15iterator_traitsISI_E10value_typeEPNSO_ISJ_E10value_typeEPSK_NS1_7vsmem_tEENKUlT_SI_SJ_SK_E_clISD_PjSD_S10_EESH_SX_SI_SJ_SK_EUlSX_E_NS1_11comp_targetILNS1_3genE2ELNS1_11target_archE906ELNS1_3gpuE6ELNS1_3repE0EEENS1_48merge_mergepath_partition_config_static_selectorELNS0_4arch9wavefront6targetE1EEEvSJ_.uses_flat_scratch, 0
	.set _ZN7rocprim17ROCPRIM_400000_NS6detail17trampoline_kernelINS0_14default_configENS1_38merge_sort_block_merge_config_selectorIjjEEZZNS1_27merge_sort_block_merge_implIS3_N6thrust23THRUST_200600_302600_NS6detail15normal_iteratorINS8_10device_ptrIjEEEESD_jNS1_19radix_merge_compareILb0ELb0EjNS0_19identity_decomposerEEEEE10hipError_tT0_T1_T2_jT3_P12ihipStream_tbPNSt15iterator_traitsISI_E10value_typeEPNSO_ISJ_E10value_typeEPSK_NS1_7vsmem_tEENKUlT_SI_SJ_SK_E_clISD_PjSD_S10_EESH_SX_SI_SJ_SK_EUlSX_E_NS1_11comp_targetILNS1_3genE2ELNS1_11target_archE906ELNS1_3gpuE6ELNS1_3repE0EEENS1_48merge_mergepath_partition_config_static_selectorELNS0_4arch9wavefront6targetE1EEEvSJ_.has_dyn_sized_stack, 0
	.set _ZN7rocprim17ROCPRIM_400000_NS6detail17trampoline_kernelINS0_14default_configENS1_38merge_sort_block_merge_config_selectorIjjEEZZNS1_27merge_sort_block_merge_implIS3_N6thrust23THRUST_200600_302600_NS6detail15normal_iteratorINS8_10device_ptrIjEEEESD_jNS1_19radix_merge_compareILb0ELb0EjNS0_19identity_decomposerEEEEE10hipError_tT0_T1_T2_jT3_P12ihipStream_tbPNSt15iterator_traitsISI_E10value_typeEPNSO_ISJ_E10value_typeEPSK_NS1_7vsmem_tEENKUlT_SI_SJ_SK_E_clISD_PjSD_S10_EESH_SX_SI_SJ_SK_EUlSX_E_NS1_11comp_targetILNS1_3genE2ELNS1_11target_archE906ELNS1_3gpuE6ELNS1_3repE0EEENS1_48merge_mergepath_partition_config_static_selectorELNS0_4arch9wavefront6targetE1EEEvSJ_.has_recursion, 0
	.set _ZN7rocprim17ROCPRIM_400000_NS6detail17trampoline_kernelINS0_14default_configENS1_38merge_sort_block_merge_config_selectorIjjEEZZNS1_27merge_sort_block_merge_implIS3_N6thrust23THRUST_200600_302600_NS6detail15normal_iteratorINS8_10device_ptrIjEEEESD_jNS1_19radix_merge_compareILb0ELb0EjNS0_19identity_decomposerEEEEE10hipError_tT0_T1_T2_jT3_P12ihipStream_tbPNSt15iterator_traitsISI_E10value_typeEPNSO_ISJ_E10value_typeEPSK_NS1_7vsmem_tEENKUlT_SI_SJ_SK_E_clISD_PjSD_S10_EESH_SX_SI_SJ_SK_EUlSX_E_NS1_11comp_targetILNS1_3genE2ELNS1_11target_archE906ELNS1_3gpuE6ELNS1_3repE0EEENS1_48merge_mergepath_partition_config_static_selectorELNS0_4arch9wavefront6targetE1EEEvSJ_.has_indirect_call, 0
	.section	.AMDGPU.csdata,"",@progbits
; Kernel info:
; codeLenInByte = 0
; TotalNumSgprs: 6
; NumVgprs: 0
; NumAgprs: 0
; TotalNumVgprs: 0
; ScratchSize: 0
; MemoryBound: 0
; FloatMode: 240
; IeeeMode: 1
; LDSByteSize: 0 bytes/workgroup (compile time only)
; SGPRBlocks: 0
; VGPRBlocks: 0
; NumSGPRsForWavesPerEU: 6
; NumVGPRsForWavesPerEU: 1
; AccumOffset: 4
; Occupancy: 8
; WaveLimiterHint : 0
; COMPUTE_PGM_RSRC2:SCRATCH_EN: 0
; COMPUTE_PGM_RSRC2:USER_SGPR: 2
; COMPUTE_PGM_RSRC2:TRAP_HANDLER: 0
; COMPUTE_PGM_RSRC2:TGID_X_EN: 1
; COMPUTE_PGM_RSRC2:TGID_Y_EN: 0
; COMPUTE_PGM_RSRC2:TGID_Z_EN: 0
; COMPUTE_PGM_RSRC2:TIDIG_COMP_CNT: 0
; COMPUTE_PGM_RSRC3_GFX90A:ACCUM_OFFSET: 0
; COMPUTE_PGM_RSRC3_GFX90A:TG_SPLIT: 0
	.section	.text._ZN7rocprim17ROCPRIM_400000_NS6detail17trampoline_kernelINS0_14default_configENS1_38merge_sort_block_merge_config_selectorIjjEEZZNS1_27merge_sort_block_merge_implIS3_N6thrust23THRUST_200600_302600_NS6detail15normal_iteratorINS8_10device_ptrIjEEEESD_jNS1_19radix_merge_compareILb0ELb0EjNS0_19identity_decomposerEEEEE10hipError_tT0_T1_T2_jT3_P12ihipStream_tbPNSt15iterator_traitsISI_E10value_typeEPNSO_ISJ_E10value_typeEPSK_NS1_7vsmem_tEENKUlT_SI_SJ_SK_E_clISD_PjSD_S10_EESH_SX_SI_SJ_SK_EUlSX_E_NS1_11comp_targetILNS1_3genE9ELNS1_11target_archE1100ELNS1_3gpuE3ELNS1_3repE0EEENS1_48merge_mergepath_partition_config_static_selectorELNS0_4arch9wavefront6targetE1EEEvSJ_,"axG",@progbits,_ZN7rocprim17ROCPRIM_400000_NS6detail17trampoline_kernelINS0_14default_configENS1_38merge_sort_block_merge_config_selectorIjjEEZZNS1_27merge_sort_block_merge_implIS3_N6thrust23THRUST_200600_302600_NS6detail15normal_iteratorINS8_10device_ptrIjEEEESD_jNS1_19radix_merge_compareILb0ELb0EjNS0_19identity_decomposerEEEEE10hipError_tT0_T1_T2_jT3_P12ihipStream_tbPNSt15iterator_traitsISI_E10value_typeEPNSO_ISJ_E10value_typeEPSK_NS1_7vsmem_tEENKUlT_SI_SJ_SK_E_clISD_PjSD_S10_EESH_SX_SI_SJ_SK_EUlSX_E_NS1_11comp_targetILNS1_3genE9ELNS1_11target_archE1100ELNS1_3gpuE3ELNS1_3repE0EEENS1_48merge_mergepath_partition_config_static_selectorELNS0_4arch9wavefront6targetE1EEEvSJ_,comdat
	.protected	_ZN7rocprim17ROCPRIM_400000_NS6detail17trampoline_kernelINS0_14default_configENS1_38merge_sort_block_merge_config_selectorIjjEEZZNS1_27merge_sort_block_merge_implIS3_N6thrust23THRUST_200600_302600_NS6detail15normal_iteratorINS8_10device_ptrIjEEEESD_jNS1_19radix_merge_compareILb0ELb0EjNS0_19identity_decomposerEEEEE10hipError_tT0_T1_T2_jT3_P12ihipStream_tbPNSt15iterator_traitsISI_E10value_typeEPNSO_ISJ_E10value_typeEPSK_NS1_7vsmem_tEENKUlT_SI_SJ_SK_E_clISD_PjSD_S10_EESH_SX_SI_SJ_SK_EUlSX_E_NS1_11comp_targetILNS1_3genE9ELNS1_11target_archE1100ELNS1_3gpuE3ELNS1_3repE0EEENS1_48merge_mergepath_partition_config_static_selectorELNS0_4arch9wavefront6targetE1EEEvSJ_ ; -- Begin function _ZN7rocprim17ROCPRIM_400000_NS6detail17trampoline_kernelINS0_14default_configENS1_38merge_sort_block_merge_config_selectorIjjEEZZNS1_27merge_sort_block_merge_implIS3_N6thrust23THRUST_200600_302600_NS6detail15normal_iteratorINS8_10device_ptrIjEEEESD_jNS1_19radix_merge_compareILb0ELb0EjNS0_19identity_decomposerEEEEE10hipError_tT0_T1_T2_jT3_P12ihipStream_tbPNSt15iterator_traitsISI_E10value_typeEPNSO_ISJ_E10value_typeEPSK_NS1_7vsmem_tEENKUlT_SI_SJ_SK_E_clISD_PjSD_S10_EESH_SX_SI_SJ_SK_EUlSX_E_NS1_11comp_targetILNS1_3genE9ELNS1_11target_archE1100ELNS1_3gpuE3ELNS1_3repE0EEENS1_48merge_mergepath_partition_config_static_selectorELNS0_4arch9wavefront6targetE1EEEvSJ_
	.globl	_ZN7rocprim17ROCPRIM_400000_NS6detail17trampoline_kernelINS0_14default_configENS1_38merge_sort_block_merge_config_selectorIjjEEZZNS1_27merge_sort_block_merge_implIS3_N6thrust23THRUST_200600_302600_NS6detail15normal_iteratorINS8_10device_ptrIjEEEESD_jNS1_19radix_merge_compareILb0ELb0EjNS0_19identity_decomposerEEEEE10hipError_tT0_T1_T2_jT3_P12ihipStream_tbPNSt15iterator_traitsISI_E10value_typeEPNSO_ISJ_E10value_typeEPSK_NS1_7vsmem_tEENKUlT_SI_SJ_SK_E_clISD_PjSD_S10_EESH_SX_SI_SJ_SK_EUlSX_E_NS1_11comp_targetILNS1_3genE9ELNS1_11target_archE1100ELNS1_3gpuE3ELNS1_3repE0EEENS1_48merge_mergepath_partition_config_static_selectorELNS0_4arch9wavefront6targetE1EEEvSJ_
	.p2align	8
	.type	_ZN7rocprim17ROCPRIM_400000_NS6detail17trampoline_kernelINS0_14default_configENS1_38merge_sort_block_merge_config_selectorIjjEEZZNS1_27merge_sort_block_merge_implIS3_N6thrust23THRUST_200600_302600_NS6detail15normal_iteratorINS8_10device_ptrIjEEEESD_jNS1_19radix_merge_compareILb0ELb0EjNS0_19identity_decomposerEEEEE10hipError_tT0_T1_T2_jT3_P12ihipStream_tbPNSt15iterator_traitsISI_E10value_typeEPNSO_ISJ_E10value_typeEPSK_NS1_7vsmem_tEENKUlT_SI_SJ_SK_E_clISD_PjSD_S10_EESH_SX_SI_SJ_SK_EUlSX_E_NS1_11comp_targetILNS1_3genE9ELNS1_11target_archE1100ELNS1_3gpuE3ELNS1_3repE0EEENS1_48merge_mergepath_partition_config_static_selectorELNS0_4arch9wavefront6targetE1EEEvSJ_,@function
_ZN7rocprim17ROCPRIM_400000_NS6detail17trampoline_kernelINS0_14default_configENS1_38merge_sort_block_merge_config_selectorIjjEEZZNS1_27merge_sort_block_merge_implIS3_N6thrust23THRUST_200600_302600_NS6detail15normal_iteratorINS8_10device_ptrIjEEEESD_jNS1_19radix_merge_compareILb0ELb0EjNS0_19identity_decomposerEEEEE10hipError_tT0_T1_T2_jT3_P12ihipStream_tbPNSt15iterator_traitsISI_E10value_typeEPNSO_ISJ_E10value_typeEPSK_NS1_7vsmem_tEENKUlT_SI_SJ_SK_E_clISD_PjSD_S10_EESH_SX_SI_SJ_SK_EUlSX_E_NS1_11comp_targetILNS1_3genE9ELNS1_11target_archE1100ELNS1_3gpuE3ELNS1_3repE0EEENS1_48merge_mergepath_partition_config_static_selectorELNS0_4arch9wavefront6targetE1EEEvSJ_: ; @_ZN7rocprim17ROCPRIM_400000_NS6detail17trampoline_kernelINS0_14default_configENS1_38merge_sort_block_merge_config_selectorIjjEEZZNS1_27merge_sort_block_merge_implIS3_N6thrust23THRUST_200600_302600_NS6detail15normal_iteratorINS8_10device_ptrIjEEEESD_jNS1_19radix_merge_compareILb0ELb0EjNS0_19identity_decomposerEEEEE10hipError_tT0_T1_T2_jT3_P12ihipStream_tbPNSt15iterator_traitsISI_E10value_typeEPNSO_ISJ_E10value_typeEPSK_NS1_7vsmem_tEENKUlT_SI_SJ_SK_E_clISD_PjSD_S10_EESH_SX_SI_SJ_SK_EUlSX_E_NS1_11comp_targetILNS1_3genE9ELNS1_11target_archE1100ELNS1_3gpuE3ELNS1_3repE0EEENS1_48merge_mergepath_partition_config_static_selectorELNS0_4arch9wavefront6targetE1EEEvSJ_
; %bb.0:
	.section	.rodata,"a",@progbits
	.p2align	6, 0x0
	.amdhsa_kernel _ZN7rocprim17ROCPRIM_400000_NS6detail17trampoline_kernelINS0_14default_configENS1_38merge_sort_block_merge_config_selectorIjjEEZZNS1_27merge_sort_block_merge_implIS3_N6thrust23THRUST_200600_302600_NS6detail15normal_iteratorINS8_10device_ptrIjEEEESD_jNS1_19radix_merge_compareILb0ELb0EjNS0_19identity_decomposerEEEEE10hipError_tT0_T1_T2_jT3_P12ihipStream_tbPNSt15iterator_traitsISI_E10value_typeEPNSO_ISJ_E10value_typeEPSK_NS1_7vsmem_tEENKUlT_SI_SJ_SK_E_clISD_PjSD_S10_EESH_SX_SI_SJ_SK_EUlSX_E_NS1_11comp_targetILNS1_3genE9ELNS1_11target_archE1100ELNS1_3gpuE3ELNS1_3repE0EEENS1_48merge_mergepath_partition_config_static_selectorELNS0_4arch9wavefront6targetE1EEEvSJ_
		.amdhsa_group_segment_fixed_size 0
		.amdhsa_private_segment_fixed_size 0
		.amdhsa_kernarg_size 40
		.amdhsa_user_sgpr_count 2
		.amdhsa_user_sgpr_dispatch_ptr 0
		.amdhsa_user_sgpr_queue_ptr 0
		.amdhsa_user_sgpr_kernarg_segment_ptr 1
		.amdhsa_user_sgpr_dispatch_id 0
		.amdhsa_user_sgpr_kernarg_preload_length 0
		.amdhsa_user_sgpr_kernarg_preload_offset 0
		.amdhsa_user_sgpr_private_segment_size 0
		.amdhsa_uses_dynamic_stack 0
		.amdhsa_enable_private_segment 0
		.amdhsa_system_sgpr_workgroup_id_x 1
		.amdhsa_system_sgpr_workgroup_id_y 0
		.amdhsa_system_sgpr_workgroup_id_z 0
		.amdhsa_system_sgpr_workgroup_info 0
		.amdhsa_system_vgpr_workitem_id 0
		.amdhsa_next_free_vgpr 1
		.amdhsa_next_free_sgpr 0
		.amdhsa_accum_offset 4
		.amdhsa_reserve_vcc 0
		.amdhsa_float_round_mode_32 0
		.amdhsa_float_round_mode_16_64 0
		.amdhsa_float_denorm_mode_32 3
		.amdhsa_float_denorm_mode_16_64 3
		.amdhsa_dx10_clamp 1
		.amdhsa_ieee_mode 1
		.amdhsa_fp16_overflow 0
		.amdhsa_tg_split 0
		.amdhsa_exception_fp_ieee_invalid_op 0
		.amdhsa_exception_fp_denorm_src 0
		.amdhsa_exception_fp_ieee_div_zero 0
		.amdhsa_exception_fp_ieee_overflow 0
		.amdhsa_exception_fp_ieee_underflow 0
		.amdhsa_exception_fp_ieee_inexact 0
		.amdhsa_exception_int_div_zero 0
	.end_amdhsa_kernel
	.section	.text._ZN7rocprim17ROCPRIM_400000_NS6detail17trampoline_kernelINS0_14default_configENS1_38merge_sort_block_merge_config_selectorIjjEEZZNS1_27merge_sort_block_merge_implIS3_N6thrust23THRUST_200600_302600_NS6detail15normal_iteratorINS8_10device_ptrIjEEEESD_jNS1_19radix_merge_compareILb0ELb0EjNS0_19identity_decomposerEEEEE10hipError_tT0_T1_T2_jT3_P12ihipStream_tbPNSt15iterator_traitsISI_E10value_typeEPNSO_ISJ_E10value_typeEPSK_NS1_7vsmem_tEENKUlT_SI_SJ_SK_E_clISD_PjSD_S10_EESH_SX_SI_SJ_SK_EUlSX_E_NS1_11comp_targetILNS1_3genE9ELNS1_11target_archE1100ELNS1_3gpuE3ELNS1_3repE0EEENS1_48merge_mergepath_partition_config_static_selectorELNS0_4arch9wavefront6targetE1EEEvSJ_,"axG",@progbits,_ZN7rocprim17ROCPRIM_400000_NS6detail17trampoline_kernelINS0_14default_configENS1_38merge_sort_block_merge_config_selectorIjjEEZZNS1_27merge_sort_block_merge_implIS3_N6thrust23THRUST_200600_302600_NS6detail15normal_iteratorINS8_10device_ptrIjEEEESD_jNS1_19radix_merge_compareILb0ELb0EjNS0_19identity_decomposerEEEEE10hipError_tT0_T1_T2_jT3_P12ihipStream_tbPNSt15iterator_traitsISI_E10value_typeEPNSO_ISJ_E10value_typeEPSK_NS1_7vsmem_tEENKUlT_SI_SJ_SK_E_clISD_PjSD_S10_EESH_SX_SI_SJ_SK_EUlSX_E_NS1_11comp_targetILNS1_3genE9ELNS1_11target_archE1100ELNS1_3gpuE3ELNS1_3repE0EEENS1_48merge_mergepath_partition_config_static_selectorELNS0_4arch9wavefront6targetE1EEEvSJ_,comdat
.Lfunc_end649:
	.size	_ZN7rocprim17ROCPRIM_400000_NS6detail17trampoline_kernelINS0_14default_configENS1_38merge_sort_block_merge_config_selectorIjjEEZZNS1_27merge_sort_block_merge_implIS3_N6thrust23THRUST_200600_302600_NS6detail15normal_iteratorINS8_10device_ptrIjEEEESD_jNS1_19radix_merge_compareILb0ELb0EjNS0_19identity_decomposerEEEEE10hipError_tT0_T1_T2_jT3_P12ihipStream_tbPNSt15iterator_traitsISI_E10value_typeEPNSO_ISJ_E10value_typeEPSK_NS1_7vsmem_tEENKUlT_SI_SJ_SK_E_clISD_PjSD_S10_EESH_SX_SI_SJ_SK_EUlSX_E_NS1_11comp_targetILNS1_3genE9ELNS1_11target_archE1100ELNS1_3gpuE3ELNS1_3repE0EEENS1_48merge_mergepath_partition_config_static_selectorELNS0_4arch9wavefront6targetE1EEEvSJ_, .Lfunc_end649-_ZN7rocprim17ROCPRIM_400000_NS6detail17trampoline_kernelINS0_14default_configENS1_38merge_sort_block_merge_config_selectorIjjEEZZNS1_27merge_sort_block_merge_implIS3_N6thrust23THRUST_200600_302600_NS6detail15normal_iteratorINS8_10device_ptrIjEEEESD_jNS1_19radix_merge_compareILb0ELb0EjNS0_19identity_decomposerEEEEE10hipError_tT0_T1_T2_jT3_P12ihipStream_tbPNSt15iterator_traitsISI_E10value_typeEPNSO_ISJ_E10value_typeEPSK_NS1_7vsmem_tEENKUlT_SI_SJ_SK_E_clISD_PjSD_S10_EESH_SX_SI_SJ_SK_EUlSX_E_NS1_11comp_targetILNS1_3genE9ELNS1_11target_archE1100ELNS1_3gpuE3ELNS1_3repE0EEENS1_48merge_mergepath_partition_config_static_selectorELNS0_4arch9wavefront6targetE1EEEvSJ_
                                        ; -- End function
	.set _ZN7rocprim17ROCPRIM_400000_NS6detail17trampoline_kernelINS0_14default_configENS1_38merge_sort_block_merge_config_selectorIjjEEZZNS1_27merge_sort_block_merge_implIS3_N6thrust23THRUST_200600_302600_NS6detail15normal_iteratorINS8_10device_ptrIjEEEESD_jNS1_19radix_merge_compareILb0ELb0EjNS0_19identity_decomposerEEEEE10hipError_tT0_T1_T2_jT3_P12ihipStream_tbPNSt15iterator_traitsISI_E10value_typeEPNSO_ISJ_E10value_typeEPSK_NS1_7vsmem_tEENKUlT_SI_SJ_SK_E_clISD_PjSD_S10_EESH_SX_SI_SJ_SK_EUlSX_E_NS1_11comp_targetILNS1_3genE9ELNS1_11target_archE1100ELNS1_3gpuE3ELNS1_3repE0EEENS1_48merge_mergepath_partition_config_static_selectorELNS0_4arch9wavefront6targetE1EEEvSJ_.num_vgpr, 0
	.set _ZN7rocprim17ROCPRIM_400000_NS6detail17trampoline_kernelINS0_14default_configENS1_38merge_sort_block_merge_config_selectorIjjEEZZNS1_27merge_sort_block_merge_implIS3_N6thrust23THRUST_200600_302600_NS6detail15normal_iteratorINS8_10device_ptrIjEEEESD_jNS1_19radix_merge_compareILb0ELb0EjNS0_19identity_decomposerEEEEE10hipError_tT0_T1_T2_jT3_P12ihipStream_tbPNSt15iterator_traitsISI_E10value_typeEPNSO_ISJ_E10value_typeEPSK_NS1_7vsmem_tEENKUlT_SI_SJ_SK_E_clISD_PjSD_S10_EESH_SX_SI_SJ_SK_EUlSX_E_NS1_11comp_targetILNS1_3genE9ELNS1_11target_archE1100ELNS1_3gpuE3ELNS1_3repE0EEENS1_48merge_mergepath_partition_config_static_selectorELNS0_4arch9wavefront6targetE1EEEvSJ_.num_agpr, 0
	.set _ZN7rocprim17ROCPRIM_400000_NS6detail17trampoline_kernelINS0_14default_configENS1_38merge_sort_block_merge_config_selectorIjjEEZZNS1_27merge_sort_block_merge_implIS3_N6thrust23THRUST_200600_302600_NS6detail15normal_iteratorINS8_10device_ptrIjEEEESD_jNS1_19radix_merge_compareILb0ELb0EjNS0_19identity_decomposerEEEEE10hipError_tT0_T1_T2_jT3_P12ihipStream_tbPNSt15iterator_traitsISI_E10value_typeEPNSO_ISJ_E10value_typeEPSK_NS1_7vsmem_tEENKUlT_SI_SJ_SK_E_clISD_PjSD_S10_EESH_SX_SI_SJ_SK_EUlSX_E_NS1_11comp_targetILNS1_3genE9ELNS1_11target_archE1100ELNS1_3gpuE3ELNS1_3repE0EEENS1_48merge_mergepath_partition_config_static_selectorELNS0_4arch9wavefront6targetE1EEEvSJ_.numbered_sgpr, 0
	.set _ZN7rocprim17ROCPRIM_400000_NS6detail17trampoline_kernelINS0_14default_configENS1_38merge_sort_block_merge_config_selectorIjjEEZZNS1_27merge_sort_block_merge_implIS3_N6thrust23THRUST_200600_302600_NS6detail15normal_iteratorINS8_10device_ptrIjEEEESD_jNS1_19radix_merge_compareILb0ELb0EjNS0_19identity_decomposerEEEEE10hipError_tT0_T1_T2_jT3_P12ihipStream_tbPNSt15iterator_traitsISI_E10value_typeEPNSO_ISJ_E10value_typeEPSK_NS1_7vsmem_tEENKUlT_SI_SJ_SK_E_clISD_PjSD_S10_EESH_SX_SI_SJ_SK_EUlSX_E_NS1_11comp_targetILNS1_3genE9ELNS1_11target_archE1100ELNS1_3gpuE3ELNS1_3repE0EEENS1_48merge_mergepath_partition_config_static_selectorELNS0_4arch9wavefront6targetE1EEEvSJ_.num_named_barrier, 0
	.set _ZN7rocprim17ROCPRIM_400000_NS6detail17trampoline_kernelINS0_14default_configENS1_38merge_sort_block_merge_config_selectorIjjEEZZNS1_27merge_sort_block_merge_implIS3_N6thrust23THRUST_200600_302600_NS6detail15normal_iteratorINS8_10device_ptrIjEEEESD_jNS1_19radix_merge_compareILb0ELb0EjNS0_19identity_decomposerEEEEE10hipError_tT0_T1_T2_jT3_P12ihipStream_tbPNSt15iterator_traitsISI_E10value_typeEPNSO_ISJ_E10value_typeEPSK_NS1_7vsmem_tEENKUlT_SI_SJ_SK_E_clISD_PjSD_S10_EESH_SX_SI_SJ_SK_EUlSX_E_NS1_11comp_targetILNS1_3genE9ELNS1_11target_archE1100ELNS1_3gpuE3ELNS1_3repE0EEENS1_48merge_mergepath_partition_config_static_selectorELNS0_4arch9wavefront6targetE1EEEvSJ_.private_seg_size, 0
	.set _ZN7rocprim17ROCPRIM_400000_NS6detail17trampoline_kernelINS0_14default_configENS1_38merge_sort_block_merge_config_selectorIjjEEZZNS1_27merge_sort_block_merge_implIS3_N6thrust23THRUST_200600_302600_NS6detail15normal_iteratorINS8_10device_ptrIjEEEESD_jNS1_19radix_merge_compareILb0ELb0EjNS0_19identity_decomposerEEEEE10hipError_tT0_T1_T2_jT3_P12ihipStream_tbPNSt15iterator_traitsISI_E10value_typeEPNSO_ISJ_E10value_typeEPSK_NS1_7vsmem_tEENKUlT_SI_SJ_SK_E_clISD_PjSD_S10_EESH_SX_SI_SJ_SK_EUlSX_E_NS1_11comp_targetILNS1_3genE9ELNS1_11target_archE1100ELNS1_3gpuE3ELNS1_3repE0EEENS1_48merge_mergepath_partition_config_static_selectorELNS0_4arch9wavefront6targetE1EEEvSJ_.uses_vcc, 0
	.set _ZN7rocprim17ROCPRIM_400000_NS6detail17trampoline_kernelINS0_14default_configENS1_38merge_sort_block_merge_config_selectorIjjEEZZNS1_27merge_sort_block_merge_implIS3_N6thrust23THRUST_200600_302600_NS6detail15normal_iteratorINS8_10device_ptrIjEEEESD_jNS1_19radix_merge_compareILb0ELb0EjNS0_19identity_decomposerEEEEE10hipError_tT0_T1_T2_jT3_P12ihipStream_tbPNSt15iterator_traitsISI_E10value_typeEPNSO_ISJ_E10value_typeEPSK_NS1_7vsmem_tEENKUlT_SI_SJ_SK_E_clISD_PjSD_S10_EESH_SX_SI_SJ_SK_EUlSX_E_NS1_11comp_targetILNS1_3genE9ELNS1_11target_archE1100ELNS1_3gpuE3ELNS1_3repE0EEENS1_48merge_mergepath_partition_config_static_selectorELNS0_4arch9wavefront6targetE1EEEvSJ_.uses_flat_scratch, 0
	.set _ZN7rocprim17ROCPRIM_400000_NS6detail17trampoline_kernelINS0_14default_configENS1_38merge_sort_block_merge_config_selectorIjjEEZZNS1_27merge_sort_block_merge_implIS3_N6thrust23THRUST_200600_302600_NS6detail15normal_iteratorINS8_10device_ptrIjEEEESD_jNS1_19radix_merge_compareILb0ELb0EjNS0_19identity_decomposerEEEEE10hipError_tT0_T1_T2_jT3_P12ihipStream_tbPNSt15iterator_traitsISI_E10value_typeEPNSO_ISJ_E10value_typeEPSK_NS1_7vsmem_tEENKUlT_SI_SJ_SK_E_clISD_PjSD_S10_EESH_SX_SI_SJ_SK_EUlSX_E_NS1_11comp_targetILNS1_3genE9ELNS1_11target_archE1100ELNS1_3gpuE3ELNS1_3repE0EEENS1_48merge_mergepath_partition_config_static_selectorELNS0_4arch9wavefront6targetE1EEEvSJ_.has_dyn_sized_stack, 0
	.set _ZN7rocprim17ROCPRIM_400000_NS6detail17trampoline_kernelINS0_14default_configENS1_38merge_sort_block_merge_config_selectorIjjEEZZNS1_27merge_sort_block_merge_implIS3_N6thrust23THRUST_200600_302600_NS6detail15normal_iteratorINS8_10device_ptrIjEEEESD_jNS1_19radix_merge_compareILb0ELb0EjNS0_19identity_decomposerEEEEE10hipError_tT0_T1_T2_jT3_P12ihipStream_tbPNSt15iterator_traitsISI_E10value_typeEPNSO_ISJ_E10value_typeEPSK_NS1_7vsmem_tEENKUlT_SI_SJ_SK_E_clISD_PjSD_S10_EESH_SX_SI_SJ_SK_EUlSX_E_NS1_11comp_targetILNS1_3genE9ELNS1_11target_archE1100ELNS1_3gpuE3ELNS1_3repE0EEENS1_48merge_mergepath_partition_config_static_selectorELNS0_4arch9wavefront6targetE1EEEvSJ_.has_recursion, 0
	.set _ZN7rocprim17ROCPRIM_400000_NS6detail17trampoline_kernelINS0_14default_configENS1_38merge_sort_block_merge_config_selectorIjjEEZZNS1_27merge_sort_block_merge_implIS3_N6thrust23THRUST_200600_302600_NS6detail15normal_iteratorINS8_10device_ptrIjEEEESD_jNS1_19radix_merge_compareILb0ELb0EjNS0_19identity_decomposerEEEEE10hipError_tT0_T1_T2_jT3_P12ihipStream_tbPNSt15iterator_traitsISI_E10value_typeEPNSO_ISJ_E10value_typeEPSK_NS1_7vsmem_tEENKUlT_SI_SJ_SK_E_clISD_PjSD_S10_EESH_SX_SI_SJ_SK_EUlSX_E_NS1_11comp_targetILNS1_3genE9ELNS1_11target_archE1100ELNS1_3gpuE3ELNS1_3repE0EEENS1_48merge_mergepath_partition_config_static_selectorELNS0_4arch9wavefront6targetE1EEEvSJ_.has_indirect_call, 0
	.section	.AMDGPU.csdata,"",@progbits
; Kernel info:
; codeLenInByte = 0
; TotalNumSgprs: 6
; NumVgprs: 0
; NumAgprs: 0
; TotalNumVgprs: 0
; ScratchSize: 0
; MemoryBound: 0
; FloatMode: 240
; IeeeMode: 1
; LDSByteSize: 0 bytes/workgroup (compile time only)
; SGPRBlocks: 0
; VGPRBlocks: 0
; NumSGPRsForWavesPerEU: 6
; NumVGPRsForWavesPerEU: 1
; AccumOffset: 4
; Occupancy: 8
; WaveLimiterHint : 0
; COMPUTE_PGM_RSRC2:SCRATCH_EN: 0
; COMPUTE_PGM_RSRC2:USER_SGPR: 2
; COMPUTE_PGM_RSRC2:TRAP_HANDLER: 0
; COMPUTE_PGM_RSRC2:TGID_X_EN: 1
; COMPUTE_PGM_RSRC2:TGID_Y_EN: 0
; COMPUTE_PGM_RSRC2:TGID_Z_EN: 0
; COMPUTE_PGM_RSRC2:TIDIG_COMP_CNT: 0
; COMPUTE_PGM_RSRC3_GFX90A:ACCUM_OFFSET: 0
; COMPUTE_PGM_RSRC3_GFX90A:TG_SPLIT: 0
	.section	.text._ZN7rocprim17ROCPRIM_400000_NS6detail17trampoline_kernelINS0_14default_configENS1_38merge_sort_block_merge_config_selectorIjjEEZZNS1_27merge_sort_block_merge_implIS3_N6thrust23THRUST_200600_302600_NS6detail15normal_iteratorINS8_10device_ptrIjEEEESD_jNS1_19radix_merge_compareILb0ELb0EjNS0_19identity_decomposerEEEEE10hipError_tT0_T1_T2_jT3_P12ihipStream_tbPNSt15iterator_traitsISI_E10value_typeEPNSO_ISJ_E10value_typeEPSK_NS1_7vsmem_tEENKUlT_SI_SJ_SK_E_clISD_PjSD_S10_EESH_SX_SI_SJ_SK_EUlSX_E_NS1_11comp_targetILNS1_3genE8ELNS1_11target_archE1030ELNS1_3gpuE2ELNS1_3repE0EEENS1_48merge_mergepath_partition_config_static_selectorELNS0_4arch9wavefront6targetE1EEEvSJ_,"axG",@progbits,_ZN7rocprim17ROCPRIM_400000_NS6detail17trampoline_kernelINS0_14default_configENS1_38merge_sort_block_merge_config_selectorIjjEEZZNS1_27merge_sort_block_merge_implIS3_N6thrust23THRUST_200600_302600_NS6detail15normal_iteratorINS8_10device_ptrIjEEEESD_jNS1_19radix_merge_compareILb0ELb0EjNS0_19identity_decomposerEEEEE10hipError_tT0_T1_T2_jT3_P12ihipStream_tbPNSt15iterator_traitsISI_E10value_typeEPNSO_ISJ_E10value_typeEPSK_NS1_7vsmem_tEENKUlT_SI_SJ_SK_E_clISD_PjSD_S10_EESH_SX_SI_SJ_SK_EUlSX_E_NS1_11comp_targetILNS1_3genE8ELNS1_11target_archE1030ELNS1_3gpuE2ELNS1_3repE0EEENS1_48merge_mergepath_partition_config_static_selectorELNS0_4arch9wavefront6targetE1EEEvSJ_,comdat
	.protected	_ZN7rocprim17ROCPRIM_400000_NS6detail17trampoline_kernelINS0_14default_configENS1_38merge_sort_block_merge_config_selectorIjjEEZZNS1_27merge_sort_block_merge_implIS3_N6thrust23THRUST_200600_302600_NS6detail15normal_iteratorINS8_10device_ptrIjEEEESD_jNS1_19radix_merge_compareILb0ELb0EjNS0_19identity_decomposerEEEEE10hipError_tT0_T1_T2_jT3_P12ihipStream_tbPNSt15iterator_traitsISI_E10value_typeEPNSO_ISJ_E10value_typeEPSK_NS1_7vsmem_tEENKUlT_SI_SJ_SK_E_clISD_PjSD_S10_EESH_SX_SI_SJ_SK_EUlSX_E_NS1_11comp_targetILNS1_3genE8ELNS1_11target_archE1030ELNS1_3gpuE2ELNS1_3repE0EEENS1_48merge_mergepath_partition_config_static_selectorELNS0_4arch9wavefront6targetE1EEEvSJ_ ; -- Begin function _ZN7rocprim17ROCPRIM_400000_NS6detail17trampoline_kernelINS0_14default_configENS1_38merge_sort_block_merge_config_selectorIjjEEZZNS1_27merge_sort_block_merge_implIS3_N6thrust23THRUST_200600_302600_NS6detail15normal_iteratorINS8_10device_ptrIjEEEESD_jNS1_19radix_merge_compareILb0ELb0EjNS0_19identity_decomposerEEEEE10hipError_tT0_T1_T2_jT3_P12ihipStream_tbPNSt15iterator_traitsISI_E10value_typeEPNSO_ISJ_E10value_typeEPSK_NS1_7vsmem_tEENKUlT_SI_SJ_SK_E_clISD_PjSD_S10_EESH_SX_SI_SJ_SK_EUlSX_E_NS1_11comp_targetILNS1_3genE8ELNS1_11target_archE1030ELNS1_3gpuE2ELNS1_3repE0EEENS1_48merge_mergepath_partition_config_static_selectorELNS0_4arch9wavefront6targetE1EEEvSJ_
	.globl	_ZN7rocprim17ROCPRIM_400000_NS6detail17trampoline_kernelINS0_14default_configENS1_38merge_sort_block_merge_config_selectorIjjEEZZNS1_27merge_sort_block_merge_implIS3_N6thrust23THRUST_200600_302600_NS6detail15normal_iteratorINS8_10device_ptrIjEEEESD_jNS1_19radix_merge_compareILb0ELb0EjNS0_19identity_decomposerEEEEE10hipError_tT0_T1_T2_jT3_P12ihipStream_tbPNSt15iterator_traitsISI_E10value_typeEPNSO_ISJ_E10value_typeEPSK_NS1_7vsmem_tEENKUlT_SI_SJ_SK_E_clISD_PjSD_S10_EESH_SX_SI_SJ_SK_EUlSX_E_NS1_11comp_targetILNS1_3genE8ELNS1_11target_archE1030ELNS1_3gpuE2ELNS1_3repE0EEENS1_48merge_mergepath_partition_config_static_selectorELNS0_4arch9wavefront6targetE1EEEvSJ_
	.p2align	8
	.type	_ZN7rocprim17ROCPRIM_400000_NS6detail17trampoline_kernelINS0_14default_configENS1_38merge_sort_block_merge_config_selectorIjjEEZZNS1_27merge_sort_block_merge_implIS3_N6thrust23THRUST_200600_302600_NS6detail15normal_iteratorINS8_10device_ptrIjEEEESD_jNS1_19radix_merge_compareILb0ELb0EjNS0_19identity_decomposerEEEEE10hipError_tT0_T1_T2_jT3_P12ihipStream_tbPNSt15iterator_traitsISI_E10value_typeEPNSO_ISJ_E10value_typeEPSK_NS1_7vsmem_tEENKUlT_SI_SJ_SK_E_clISD_PjSD_S10_EESH_SX_SI_SJ_SK_EUlSX_E_NS1_11comp_targetILNS1_3genE8ELNS1_11target_archE1030ELNS1_3gpuE2ELNS1_3repE0EEENS1_48merge_mergepath_partition_config_static_selectorELNS0_4arch9wavefront6targetE1EEEvSJ_,@function
_ZN7rocprim17ROCPRIM_400000_NS6detail17trampoline_kernelINS0_14default_configENS1_38merge_sort_block_merge_config_selectorIjjEEZZNS1_27merge_sort_block_merge_implIS3_N6thrust23THRUST_200600_302600_NS6detail15normal_iteratorINS8_10device_ptrIjEEEESD_jNS1_19radix_merge_compareILb0ELb0EjNS0_19identity_decomposerEEEEE10hipError_tT0_T1_T2_jT3_P12ihipStream_tbPNSt15iterator_traitsISI_E10value_typeEPNSO_ISJ_E10value_typeEPSK_NS1_7vsmem_tEENKUlT_SI_SJ_SK_E_clISD_PjSD_S10_EESH_SX_SI_SJ_SK_EUlSX_E_NS1_11comp_targetILNS1_3genE8ELNS1_11target_archE1030ELNS1_3gpuE2ELNS1_3repE0EEENS1_48merge_mergepath_partition_config_static_selectorELNS0_4arch9wavefront6targetE1EEEvSJ_: ; @_ZN7rocprim17ROCPRIM_400000_NS6detail17trampoline_kernelINS0_14default_configENS1_38merge_sort_block_merge_config_selectorIjjEEZZNS1_27merge_sort_block_merge_implIS3_N6thrust23THRUST_200600_302600_NS6detail15normal_iteratorINS8_10device_ptrIjEEEESD_jNS1_19radix_merge_compareILb0ELb0EjNS0_19identity_decomposerEEEEE10hipError_tT0_T1_T2_jT3_P12ihipStream_tbPNSt15iterator_traitsISI_E10value_typeEPNSO_ISJ_E10value_typeEPSK_NS1_7vsmem_tEENKUlT_SI_SJ_SK_E_clISD_PjSD_S10_EESH_SX_SI_SJ_SK_EUlSX_E_NS1_11comp_targetILNS1_3genE8ELNS1_11target_archE1030ELNS1_3gpuE2ELNS1_3repE0EEENS1_48merge_mergepath_partition_config_static_selectorELNS0_4arch9wavefront6targetE1EEEvSJ_
; %bb.0:
	.section	.rodata,"a",@progbits
	.p2align	6, 0x0
	.amdhsa_kernel _ZN7rocprim17ROCPRIM_400000_NS6detail17trampoline_kernelINS0_14default_configENS1_38merge_sort_block_merge_config_selectorIjjEEZZNS1_27merge_sort_block_merge_implIS3_N6thrust23THRUST_200600_302600_NS6detail15normal_iteratorINS8_10device_ptrIjEEEESD_jNS1_19radix_merge_compareILb0ELb0EjNS0_19identity_decomposerEEEEE10hipError_tT0_T1_T2_jT3_P12ihipStream_tbPNSt15iterator_traitsISI_E10value_typeEPNSO_ISJ_E10value_typeEPSK_NS1_7vsmem_tEENKUlT_SI_SJ_SK_E_clISD_PjSD_S10_EESH_SX_SI_SJ_SK_EUlSX_E_NS1_11comp_targetILNS1_3genE8ELNS1_11target_archE1030ELNS1_3gpuE2ELNS1_3repE0EEENS1_48merge_mergepath_partition_config_static_selectorELNS0_4arch9wavefront6targetE1EEEvSJ_
		.amdhsa_group_segment_fixed_size 0
		.amdhsa_private_segment_fixed_size 0
		.amdhsa_kernarg_size 40
		.amdhsa_user_sgpr_count 2
		.amdhsa_user_sgpr_dispatch_ptr 0
		.amdhsa_user_sgpr_queue_ptr 0
		.amdhsa_user_sgpr_kernarg_segment_ptr 1
		.amdhsa_user_sgpr_dispatch_id 0
		.amdhsa_user_sgpr_kernarg_preload_length 0
		.amdhsa_user_sgpr_kernarg_preload_offset 0
		.amdhsa_user_sgpr_private_segment_size 0
		.amdhsa_uses_dynamic_stack 0
		.amdhsa_enable_private_segment 0
		.amdhsa_system_sgpr_workgroup_id_x 1
		.amdhsa_system_sgpr_workgroup_id_y 0
		.amdhsa_system_sgpr_workgroup_id_z 0
		.amdhsa_system_sgpr_workgroup_info 0
		.amdhsa_system_vgpr_workitem_id 0
		.amdhsa_next_free_vgpr 1
		.amdhsa_next_free_sgpr 0
		.amdhsa_accum_offset 4
		.amdhsa_reserve_vcc 0
		.amdhsa_float_round_mode_32 0
		.amdhsa_float_round_mode_16_64 0
		.amdhsa_float_denorm_mode_32 3
		.amdhsa_float_denorm_mode_16_64 3
		.amdhsa_dx10_clamp 1
		.amdhsa_ieee_mode 1
		.amdhsa_fp16_overflow 0
		.amdhsa_tg_split 0
		.amdhsa_exception_fp_ieee_invalid_op 0
		.amdhsa_exception_fp_denorm_src 0
		.amdhsa_exception_fp_ieee_div_zero 0
		.amdhsa_exception_fp_ieee_overflow 0
		.amdhsa_exception_fp_ieee_underflow 0
		.amdhsa_exception_fp_ieee_inexact 0
		.amdhsa_exception_int_div_zero 0
	.end_amdhsa_kernel
	.section	.text._ZN7rocprim17ROCPRIM_400000_NS6detail17trampoline_kernelINS0_14default_configENS1_38merge_sort_block_merge_config_selectorIjjEEZZNS1_27merge_sort_block_merge_implIS3_N6thrust23THRUST_200600_302600_NS6detail15normal_iteratorINS8_10device_ptrIjEEEESD_jNS1_19radix_merge_compareILb0ELb0EjNS0_19identity_decomposerEEEEE10hipError_tT0_T1_T2_jT3_P12ihipStream_tbPNSt15iterator_traitsISI_E10value_typeEPNSO_ISJ_E10value_typeEPSK_NS1_7vsmem_tEENKUlT_SI_SJ_SK_E_clISD_PjSD_S10_EESH_SX_SI_SJ_SK_EUlSX_E_NS1_11comp_targetILNS1_3genE8ELNS1_11target_archE1030ELNS1_3gpuE2ELNS1_3repE0EEENS1_48merge_mergepath_partition_config_static_selectorELNS0_4arch9wavefront6targetE1EEEvSJ_,"axG",@progbits,_ZN7rocprim17ROCPRIM_400000_NS6detail17trampoline_kernelINS0_14default_configENS1_38merge_sort_block_merge_config_selectorIjjEEZZNS1_27merge_sort_block_merge_implIS3_N6thrust23THRUST_200600_302600_NS6detail15normal_iteratorINS8_10device_ptrIjEEEESD_jNS1_19radix_merge_compareILb0ELb0EjNS0_19identity_decomposerEEEEE10hipError_tT0_T1_T2_jT3_P12ihipStream_tbPNSt15iterator_traitsISI_E10value_typeEPNSO_ISJ_E10value_typeEPSK_NS1_7vsmem_tEENKUlT_SI_SJ_SK_E_clISD_PjSD_S10_EESH_SX_SI_SJ_SK_EUlSX_E_NS1_11comp_targetILNS1_3genE8ELNS1_11target_archE1030ELNS1_3gpuE2ELNS1_3repE0EEENS1_48merge_mergepath_partition_config_static_selectorELNS0_4arch9wavefront6targetE1EEEvSJ_,comdat
.Lfunc_end650:
	.size	_ZN7rocprim17ROCPRIM_400000_NS6detail17trampoline_kernelINS0_14default_configENS1_38merge_sort_block_merge_config_selectorIjjEEZZNS1_27merge_sort_block_merge_implIS3_N6thrust23THRUST_200600_302600_NS6detail15normal_iteratorINS8_10device_ptrIjEEEESD_jNS1_19radix_merge_compareILb0ELb0EjNS0_19identity_decomposerEEEEE10hipError_tT0_T1_T2_jT3_P12ihipStream_tbPNSt15iterator_traitsISI_E10value_typeEPNSO_ISJ_E10value_typeEPSK_NS1_7vsmem_tEENKUlT_SI_SJ_SK_E_clISD_PjSD_S10_EESH_SX_SI_SJ_SK_EUlSX_E_NS1_11comp_targetILNS1_3genE8ELNS1_11target_archE1030ELNS1_3gpuE2ELNS1_3repE0EEENS1_48merge_mergepath_partition_config_static_selectorELNS0_4arch9wavefront6targetE1EEEvSJ_, .Lfunc_end650-_ZN7rocprim17ROCPRIM_400000_NS6detail17trampoline_kernelINS0_14default_configENS1_38merge_sort_block_merge_config_selectorIjjEEZZNS1_27merge_sort_block_merge_implIS3_N6thrust23THRUST_200600_302600_NS6detail15normal_iteratorINS8_10device_ptrIjEEEESD_jNS1_19radix_merge_compareILb0ELb0EjNS0_19identity_decomposerEEEEE10hipError_tT0_T1_T2_jT3_P12ihipStream_tbPNSt15iterator_traitsISI_E10value_typeEPNSO_ISJ_E10value_typeEPSK_NS1_7vsmem_tEENKUlT_SI_SJ_SK_E_clISD_PjSD_S10_EESH_SX_SI_SJ_SK_EUlSX_E_NS1_11comp_targetILNS1_3genE8ELNS1_11target_archE1030ELNS1_3gpuE2ELNS1_3repE0EEENS1_48merge_mergepath_partition_config_static_selectorELNS0_4arch9wavefront6targetE1EEEvSJ_
                                        ; -- End function
	.set _ZN7rocprim17ROCPRIM_400000_NS6detail17trampoline_kernelINS0_14default_configENS1_38merge_sort_block_merge_config_selectorIjjEEZZNS1_27merge_sort_block_merge_implIS3_N6thrust23THRUST_200600_302600_NS6detail15normal_iteratorINS8_10device_ptrIjEEEESD_jNS1_19radix_merge_compareILb0ELb0EjNS0_19identity_decomposerEEEEE10hipError_tT0_T1_T2_jT3_P12ihipStream_tbPNSt15iterator_traitsISI_E10value_typeEPNSO_ISJ_E10value_typeEPSK_NS1_7vsmem_tEENKUlT_SI_SJ_SK_E_clISD_PjSD_S10_EESH_SX_SI_SJ_SK_EUlSX_E_NS1_11comp_targetILNS1_3genE8ELNS1_11target_archE1030ELNS1_3gpuE2ELNS1_3repE0EEENS1_48merge_mergepath_partition_config_static_selectorELNS0_4arch9wavefront6targetE1EEEvSJ_.num_vgpr, 0
	.set _ZN7rocprim17ROCPRIM_400000_NS6detail17trampoline_kernelINS0_14default_configENS1_38merge_sort_block_merge_config_selectorIjjEEZZNS1_27merge_sort_block_merge_implIS3_N6thrust23THRUST_200600_302600_NS6detail15normal_iteratorINS8_10device_ptrIjEEEESD_jNS1_19radix_merge_compareILb0ELb0EjNS0_19identity_decomposerEEEEE10hipError_tT0_T1_T2_jT3_P12ihipStream_tbPNSt15iterator_traitsISI_E10value_typeEPNSO_ISJ_E10value_typeEPSK_NS1_7vsmem_tEENKUlT_SI_SJ_SK_E_clISD_PjSD_S10_EESH_SX_SI_SJ_SK_EUlSX_E_NS1_11comp_targetILNS1_3genE8ELNS1_11target_archE1030ELNS1_3gpuE2ELNS1_3repE0EEENS1_48merge_mergepath_partition_config_static_selectorELNS0_4arch9wavefront6targetE1EEEvSJ_.num_agpr, 0
	.set _ZN7rocprim17ROCPRIM_400000_NS6detail17trampoline_kernelINS0_14default_configENS1_38merge_sort_block_merge_config_selectorIjjEEZZNS1_27merge_sort_block_merge_implIS3_N6thrust23THRUST_200600_302600_NS6detail15normal_iteratorINS8_10device_ptrIjEEEESD_jNS1_19radix_merge_compareILb0ELb0EjNS0_19identity_decomposerEEEEE10hipError_tT0_T1_T2_jT3_P12ihipStream_tbPNSt15iterator_traitsISI_E10value_typeEPNSO_ISJ_E10value_typeEPSK_NS1_7vsmem_tEENKUlT_SI_SJ_SK_E_clISD_PjSD_S10_EESH_SX_SI_SJ_SK_EUlSX_E_NS1_11comp_targetILNS1_3genE8ELNS1_11target_archE1030ELNS1_3gpuE2ELNS1_3repE0EEENS1_48merge_mergepath_partition_config_static_selectorELNS0_4arch9wavefront6targetE1EEEvSJ_.numbered_sgpr, 0
	.set _ZN7rocprim17ROCPRIM_400000_NS6detail17trampoline_kernelINS0_14default_configENS1_38merge_sort_block_merge_config_selectorIjjEEZZNS1_27merge_sort_block_merge_implIS3_N6thrust23THRUST_200600_302600_NS6detail15normal_iteratorINS8_10device_ptrIjEEEESD_jNS1_19radix_merge_compareILb0ELb0EjNS0_19identity_decomposerEEEEE10hipError_tT0_T1_T2_jT3_P12ihipStream_tbPNSt15iterator_traitsISI_E10value_typeEPNSO_ISJ_E10value_typeEPSK_NS1_7vsmem_tEENKUlT_SI_SJ_SK_E_clISD_PjSD_S10_EESH_SX_SI_SJ_SK_EUlSX_E_NS1_11comp_targetILNS1_3genE8ELNS1_11target_archE1030ELNS1_3gpuE2ELNS1_3repE0EEENS1_48merge_mergepath_partition_config_static_selectorELNS0_4arch9wavefront6targetE1EEEvSJ_.num_named_barrier, 0
	.set _ZN7rocprim17ROCPRIM_400000_NS6detail17trampoline_kernelINS0_14default_configENS1_38merge_sort_block_merge_config_selectorIjjEEZZNS1_27merge_sort_block_merge_implIS3_N6thrust23THRUST_200600_302600_NS6detail15normal_iteratorINS8_10device_ptrIjEEEESD_jNS1_19radix_merge_compareILb0ELb0EjNS0_19identity_decomposerEEEEE10hipError_tT0_T1_T2_jT3_P12ihipStream_tbPNSt15iterator_traitsISI_E10value_typeEPNSO_ISJ_E10value_typeEPSK_NS1_7vsmem_tEENKUlT_SI_SJ_SK_E_clISD_PjSD_S10_EESH_SX_SI_SJ_SK_EUlSX_E_NS1_11comp_targetILNS1_3genE8ELNS1_11target_archE1030ELNS1_3gpuE2ELNS1_3repE0EEENS1_48merge_mergepath_partition_config_static_selectorELNS0_4arch9wavefront6targetE1EEEvSJ_.private_seg_size, 0
	.set _ZN7rocprim17ROCPRIM_400000_NS6detail17trampoline_kernelINS0_14default_configENS1_38merge_sort_block_merge_config_selectorIjjEEZZNS1_27merge_sort_block_merge_implIS3_N6thrust23THRUST_200600_302600_NS6detail15normal_iteratorINS8_10device_ptrIjEEEESD_jNS1_19radix_merge_compareILb0ELb0EjNS0_19identity_decomposerEEEEE10hipError_tT0_T1_T2_jT3_P12ihipStream_tbPNSt15iterator_traitsISI_E10value_typeEPNSO_ISJ_E10value_typeEPSK_NS1_7vsmem_tEENKUlT_SI_SJ_SK_E_clISD_PjSD_S10_EESH_SX_SI_SJ_SK_EUlSX_E_NS1_11comp_targetILNS1_3genE8ELNS1_11target_archE1030ELNS1_3gpuE2ELNS1_3repE0EEENS1_48merge_mergepath_partition_config_static_selectorELNS0_4arch9wavefront6targetE1EEEvSJ_.uses_vcc, 0
	.set _ZN7rocprim17ROCPRIM_400000_NS6detail17trampoline_kernelINS0_14default_configENS1_38merge_sort_block_merge_config_selectorIjjEEZZNS1_27merge_sort_block_merge_implIS3_N6thrust23THRUST_200600_302600_NS6detail15normal_iteratorINS8_10device_ptrIjEEEESD_jNS1_19radix_merge_compareILb0ELb0EjNS0_19identity_decomposerEEEEE10hipError_tT0_T1_T2_jT3_P12ihipStream_tbPNSt15iterator_traitsISI_E10value_typeEPNSO_ISJ_E10value_typeEPSK_NS1_7vsmem_tEENKUlT_SI_SJ_SK_E_clISD_PjSD_S10_EESH_SX_SI_SJ_SK_EUlSX_E_NS1_11comp_targetILNS1_3genE8ELNS1_11target_archE1030ELNS1_3gpuE2ELNS1_3repE0EEENS1_48merge_mergepath_partition_config_static_selectorELNS0_4arch9wavefront6targetE1EEEvSJ_.uses_flat_scratch, 0
	.set _ZN7rocprim17ROCPRIM_400000_NS6detail17trampoline_kernelINS0_14default_configENS1_38merge_sort_block_merge_config_selectorIjjEEZZNS1_27merge_sort_block_merge_implIS3_N6thrust23THRUST_200600_302600_NS6detail15normal_iteratorINS8_10device_ptrIjEEEESD_jNS1_19radix_merge_compareILb0ELb0EjNS0_19identity_decomposerEEEEE10hipError_tT0_T1_T2_jT3_P12ihipStream_tbPNSt15iterator_traitsISI_E10value_typeEPNSO_ISJ_E10value_typeEPSK_NS1_7vsmem_tEENKUlT_SI_SJ_SK_E_clISD_PjSD_S10_EESH_SX_SI_SJ_SK_EUlSX_E_NS1_11comp_targetILNS1_3genE8ELNS1_11target_archE1030ELNS1_3gpuE2ELNS1_3repE0EEENS1_48merge_mergepath_partition_config_static_selectorELNS0_4arch9wavefront6targetE1EEEvSJ_.has_dyn_sized_stack, 0
	.set _ZN7rocprim17ROCPRIM_400000_NS6detail17trampoline_kernelINS0_14default_configENS1_38merge_sort_block_merge_config_selectorIjjEEZZNS1_27merge_sort_block_merge_implIS3_N6thrust23THRUST_200600_302600_NS6detail15normal_iteratorINS8_10device_ptrIjEEEESD_jNS1_19radix_merge_compareILb0ELb0EjNS0_19identity_decomposerEEEEE10hipError_tT0_T1_T2_jT3_P12ihipStream_tbPNSt15iterator_traitsISI_E10value_typeEPNSO_ISJ_E10value_typeEPSK_NS1_7vsmem_tEENKUlT_SI_SJ_SK_E_clISD_PjSD_S10_EESH_SX_SI_SJ_SK_EUlSX_E_NS1_11comp_targetILNS1_3genE8ELNS1_11target_archE1030ELNS1_3gpuE2ELNS1_3repE0EEENS1_48merge_mergepath_partition_config_static_selectorELNS0_4arch9wavefront6targetE1EEEvSJ_.has_recursion, 0
	.set _ZN7rocprim17ROCPRIM_400000_NS6detail17trampoline_kernelINS0_14default_configENS1_38merge_sort_block_merge_config_selectorIjjEEZZNS1_27merge_sort_block_merge_implIS3_N6thrust23THRUST_200600_302600_NS6detail15normal_iteratorINS8_10device_ptrIjEEEESD_jNS1_19radix_merge_compareILb0ELb0EjNS0_19identity_decomposerEEEEE10hipError_tT0_T1_T2_jT3_P12ihipStream_tbPNSt15iterator_traitsISI_E10value_typeEPNSO_ISJ_E10value_typeEPSK_NS1_7vsmem_tEENKUlT_SI_SJ_SK_E_clISD_PjSD_S10_EESH_SX_SI_SJ_SK_EUlSX_E_NS1_11comp_targetILNS1_3genE8ELNS1_11target_archE1030ELNS1_3gpuE2ELNS1_3repE0EEENS1_48merge_mergepath_partition_config_static_selectorELNS0_4arch9wavefront6targetE1EEEvSJ_.has_indirect_call, 0
	.section	.AMDGPU.csdata,"",@progbits
; Kernel info:
; codeLenInByte = 0
; TotalNumSgprs: 6
; NumVgprs: 0
; NumAgprs: 0
; TotalNumVgprs: 0
; ScratchSize: 0
; MemoryBound: 0
; FloatMode: 240
; IeeeMode: 1
; LDSByteSize: 0 bytes/workgroup (compile time only)
; SGPRBlocks: 0
; VGPRBlocks: 0
; NumSGPRsForWavesPerEU: 6
; NumVGPRsForWavesPerEU: 1
; AccumOffset: 4
; Occupancy: 8
; WaveLimiterHint : 0
; COMPUTE_PGM_RSRC2:SCRATCH_EN: 0
; COMPUTE_PGM_RSRC2:USER_SGPR: 2
; COMPUTE_PGM_RSRC2:TRAP_HANDLER: 0
; COMPUTE_PGM_RSRC2:TGID_X_EN: 1
; COMPUTE_PGM_RSRC2:TGID_Y_EN: 0
; COMPUTE_PGM_RSRC2:TGID_Z_EN: 0
; COMPUTE_PGM_RSRC2:TIDIG_COMP_CNT: 0
; COMPUTE_PGM_RSRC3_GFX90A:ACCUM_OFFSET: 0
; COMPUTE_PGM_RSRC3_GFX90A:TG_SPLIT: 0
	.section	.text._ZN7rocprim17ROCPRIM_400000_NS6detail17trampoline_kernelINS0_14default_configENS1_38merge_sort_block_merge_config_selectorIjjEEZZNS1_27merge_sort_block_merge_implIS3_N6thrust23THRUST_200600_302600_NS6detail15normal_iteratorINS8_10device_ptrIjEEEESD_jNS1_19radix_merge_compareILb0ELb0EjNS0_19identity_decomposerEEEEE10hipError_tT0_T1_T2_jT3_P12ihipStream_tbPNSt15iterator_traitsISI_E10value_typeEPNSO_ISJ_E10value_typeEPSK_NS1_7vsmem_tEENKUlT_SI_SJ_SK_E_clISD_PjSD_S10_EESH_SX_SI_SJ_SK_EUlSX_E0_NS1_11comp_targetILNS1_3genE0ELNS1_11target_archE4294967295ELNS1_3gpuE0ELNS1_3repE0EEENS1_38merge_mergepath_config_static_selectorELNS0_4arch9wavefront6targetE1EEEvSJ_,"axG",@progbits,_ZN7rocprim17ROCPRIM_400000_NS6detail17trampoline_kernelINS0_14default_configENS1_38merge_sort_block_merge_config_selectorIjjEEZZNS1_27merge_sort_block_merge_implIS3_N6thrust23THRUST_200600_302600_NS6detail15normal_iteratorINS8_10device_ptrIjEEEESD_jNS1_19radix_merge_compareILb0ELb0EjNS0_19identity_decomposerEEEEE10hipError_tT0_T1_T2_jT3_P12ihipStream_tbPNSt15iterator_traitsISI_E10value_typeEPNSO_ISJ_E10value_typeEPSK_NS1_7vsmem_tEENKUlT_SI_SJ_SK_E_clISD_PjSD_S10_EESH_SX_SI_SJ_SK_EUlSX_E0_NS1_11comp_targetILNS1_3genE0ELNS1_11target_archE4294967295ELNS1_3gpuE0ELNS1_3repE0EEENS1_38merge_mergepath_config_static_selectorELNS0_4arch9wavefront6targetE1EEEvSJ_,comdat
	.protected	_ZN7rocprim17ROCPRIM_400000_NS6detail17trampoline_kernelINS0_14default_configENS1_38merge_sort_block_merge_config_selectorIjjEEZZNS1_27merge_sort_block_merge_implIS3_N6thrust23THRUST_200600_302600_NS6detail15normal_iteratorINS8_10device_ptrIjEEEESD_jNS1_19radix_merge_compareILb0ELb0EjNS0_19identity_decomposerEEEEE10hipError_tT0_T1_T2_jT3_P12ihipStream_tbPNSt15iterator_traitsISI_E10value_typeEPNSO_ISJ_E10value_typeEPSK_NS1_7vsmem_tEENKUlT_SI_SJ_SK_E_clISD_PjSD_S10_EESH_SX_SI_SJ_SK_EUlSX_E0_NS1_11comp_targetILNS1_3genE0ELNS1_11target_archE4294967295ELNS1_3gpuE0ELNS1_3repE0EEENS1_38merge_mergepath_config_static_selectorELNS0_4arch9wavefront6targetE1EEEvSJ_ ; -- Begin function _ZN7rocprim17ROCPRIM_400000_NS6detail17trampoline_kernelINS0_14default_configENS1_38merge_sort_block_merge_config_selectorIjjEEZZNS1_27merge_sort_block_merge_implIS3_N6thrust23THRUST_200600_302600_NS6detail15normal_iteratorINS8_10device_ptrIjEEEESD_jNS1_19radix_merge_compareILb0ELb0EjNS0_19identity_decomposerEEEEE10hipError_tT0_T1_T2_jT3_P12ihipStream_tbPNSt15iterator_traitsISI_E10value_typeEPNSO_ISJ_E10value_typeEPSK_NS1_7vsmem_tEENKUlT_SI_SJ_SK_E_clISD_PjSD_S10_EESH_SX_SI_SJ_SK_EUlSX_E0_NS1_11comp_targetILNS1_3genE0ELNS1_11target_archE4294967295ELNS1_3gpuE0ELNS1_3repE0EEENS1_38merge_mergepath_config_static_selectorELNS0_4arch9wavefront6targetE1EEEvSJ_
	.globl	_ZN7rocprim17ROCPRIM_400000_NS6detail17trampoline_kernelINS0_14default_configENS1_38merge_sort_block_merge_config_selectorIjjEEZZNS1_27merge_sort_block_merge_implIS3_N6thrust23THRUST_200600_302600_NS6detail15normal_iteratorINS8_10device_ptrIjEEEESD_jNS1_19radix_merge_compareILb0ELb0EjNS0_19identity_decomposerEEEEE10hipError_tT0_T1_T2_jT3_P12ihipStream_tbPNSt15iterator_traitsISI_E10value_typeEPNSO_ISJ_E10value_typeEPSK_NS1_7vsmem_tEENKUlT_SI_SJ_SK_E_clISD_PjSD_S10_EESH_SX_SI_SJ_SK_EUlSX_E0_NS1_11comp_targetILNS1_3genE0ELNS1_11target_archE4294967295ELNS1_3gpuE0ELNS1_3repE0EEENS1_38merge_mergepath_config_static_selectorELNS0_4arch9wavefront6targetE1EEEvSJ_
	.p2align	8
	.type	_ZN7rocprim17ROCPRIM_400000_NS6detail17trampoline_kernelINS0_14default_configENS1_38merge_sort_block_merge_config_selectorIjjEEZZNS1_27merge_sort_block_merge_implIS3_N6thrust23THRUST_200600_302600_NS6detail15normal_iteratorINS8_10device_ptrIjEEEESD_jNS1_19radix_merge_compareILb0ELb0EjNS0_19identity_decomposerEEEEE10hipError_tT0_T1_T2_jT3_P12ihipStream_tbPNSt15iterator_traitsISI_E10value_typeEPNSO_ISJ_E10value_typeEPSK_NS1_7vsmem_tEENKUlT_SI_SJ_SK_E_clISD_PjSD_S10_EESH_SX_SI_SJ_SK_EUlSX_E0_NS1_11comp_targetILNS1_3genE0ELNS1_11target_archE4294967295ELNS1_3gpuE0ELNS1_3repE0EEENS1_38merge_mergepath_config_static_selectorELNS0_4arch9wavefront6targetE1EEEvSJ_,@function
_ZN7rocprim17ROCPRIM_400000_NS6detail17trampoline_kernelINS0_14default_configENS1_38merge_sort_block_merge_config_selectorIjjEEZZNS1_27merge_sort_block_merge_implIS3_N6thrust23THRUST_200600_302600_NS6detail15normal_iteratorINS8_10device_ptrIjEEEESD_jNS1_19radix_merge_compareILb0ELb0EjNS0_19identity_decomposerEEEEE10hipError_tT0_T1_T2_jT3_P12ihipStream_tbPNSt15iterator_traitsISI_E10value_typeEPNSO_ISJ_E10value_typeEPSK_NS1_7vsmem_tEENKUlT_SI_SJ_SK_E_clISD_PjSD_S10_EESH_SX_SI_SJ_SK_EUlSX_E0_NS1_11comp_targetILNS1_3genE0ELNS1_11target_archE4294967295ELNS1_3gpuE0ELNS1_3repE0EEENS1_38merge_mergepath_config_static_selectorELNS0_4arch9wavefront6targetE1EEEvSJ_: ; @_ZN7rocprim17ROCPRIM_400000_NS6detail17trampoline_kernelINS0_14default_configENS1_38merge_sort_block_merge_config_selectorIjjEEZZNS1_27merge_sort_block_merge_implIS3_N6thrust23THRUST_200600_302600_NS6detail15normal_iteratorINS8_10device_ptrIjEEEESD_jNS1_19radix_merge_compareILb0ELb0EjNS0_19identity_decomposerEEEEE10hipError_tT0_T1_T2_jT3_P12ihipStream_tbPNSt15iterator_traitsISI_E10value_typeEPNSO_ISJ_E10value_typeEPSK_NS1_7vsmem_tEENKUlT_SI_SJ_SK_E_clISD_PjSD_S10_EESH_SX_SI_SJ_SK_EUlSX_E0_NS1_11comp_targetILNS1_3genE0ELNS1_11target_archE4294967295ELNS1_3gpuE0ELNS1_3repE0EEENS1_38merge_mergepath_config_static_selectorELNS0_4arch9wavefront6targetE1EEEvSJ_
; %bb.0:
	s_load_dwordx2 s[28:29], s[0:1], 0x40
	s_load_dword s5, s[0:1], 0x30
	s_add_u32 s24, s0, 64
	s_addc_u32 s25, s1, 0
	s_waitcnt lgkmcnt(0)
	s_mul_i32 s4, s29, s4
	s_add_i32 s3, s4, s3
	s_mul_i32 s3, s3, s28
	s_add_i32 s26, s3, s2
	s_cmp_ge_u32 s26, s5
	s_cbranch_scc1 .LBB651_46
; %bb.1:
	s_load_dwordx8 s[8:15], s[0:1], 0x10
	s_load_dwordx2 s[20:21], s[0:1], 0x8
	s_load_dwordx2 s[4:5], s[0:1], 0x38
	s_mov_b32 s27, 0
	s_mov_b32 s23, s27
	s_waitcnt lgkmcnt(0)
	s_lshr_b32 s29, s14, 10
	s_cmp_lg_u32 s26, s29
	s_cselect_b64 s[18:19], -1, 0
	s_lshl_b64 s[0:1], s[26:27], 2
	s_add_u32 s0, s4, s0
	s_addc_u32 s1, s5, s1
	s_load_dwordx2 s[4:5], s[0:1], 0x0
	s_lshr_b32 s0, s15, 9
	s_and_b32 s0, s0, 0x7ffffe
	s_sub_i32 s0, 0, s0
	s_and_b32 s1, s26, s0
	s_lshl_b32 s3, s1, 10
	s_lshl_b32 s16, s26, 10
	;; [unrolled: 1-line block ×3, first 2 shown]
	s_sub_i32 s6, s16, s3
	s_add_i32 s1, s1, s15
	s_add_i32 s6, s1, s6
	s_waitcnt lgkmcnt(0)
	s_sub_i32 s7, s6, s4
	s_sub_i32 s6, s6, s5
	s_sub_i32 s1, s1, s3
	s_min_u32 s22, s14, s7
	s_addk_i32 s6, 0x400
	s_or_b32 s0, s26, s0
	s_min_u32 s3, s14, s1
	s_add_i32 s1, s1, s15
	s_cmp_eq_u32 s0, -1
	s_cselect_b32 s0, s1, s6
	s_cselect_b32 s1, s3, s5
	s_mov_b32 s5, s27
	s_min_u32 s17, s0, s14
	s_sub_i32 s15, s1, s4
	s_lshl_b64 s[0:1], s[4:5], 2
	s_add_u32 s6, s20, s0
	s_addc_u32 s7, s21, s1
	s_lshl_b64 s[4:5], s[22:23], 2
	s_add_u32 s20, s20, s4
	s_addc_u32 s21, s21, s5
	s_cmp_lt_u32 s2, s28
	v_mov_b32_e32 v5, 0
	s_cselect_b32 s2, 12, 18
	global_load_dword v1, v5, s[24:25] offset:14
	s_add_u32 s2, s24, s2
	s_addc_u32 s3, s25, 0
	global_load_ushort v2, v5, s[2:3]
	s_cmp_eq_u32 s26, s29
	v_lshlrev_b32_e32 v10, 2, v0
	s_waitcnt vmcnt(1)
	v_lshrrev_b32_e32 v3, 16, v1
	v_and_b32_e32 v1, 0xffff, v1
	v_mul_lo_u32 v1, v1, v3
	s_waitcnt vmcnt(0)
	v_mul_lo_u32 v1, v1, v2
	v_add_u32_e32 v14, v1, v0
	v_add_u32_e32 v12, v14, v1
	s_cbranch_scc1 .LBB651_3
; %bb.2:
	v_mov_b32_e32 v11, v5
	v_subrev_co_u32_e32 v4, vcc, s15, v0
	v_lshl_add_u64 v[2:3], s[6:7], 0, v[10:11]
	v_lshl_add_u64 v[6:7], v[4:5], 2, s[20:21]
	v_cndmask_b32_e32 v3, v7, v3, vcc
	v_cndmask_b32_e32 v2, v6, v2, vcc
	v_mov_b32_e32 v15, v5
	v_subrev_co_u32_e32 v4, vcc, s15, v14
	v_lshl_add_u64 v[6:7], v[14:15], 2, s[6:7]
	v_lshl_add_u64 v[8:9], v[4:5], 2, s[20:21]
	v_cndmask_b32_e32 v7, v9, v7, vcc
	v_cndmask_b32_e32 v6, v8, v6, vcc
	v_mov_b32_e32 v13, v5
	v_subrev_co_u32_e32 v4, vcc, s15, v12
	global_load_dword v2, v[2:3], off
	v_lshl_add_u64 v[8:9], v[4:5], 2, s[20:21]
	global_load_dword v3, v[6:7], off
	v_lshl_add_u64 v[6:7], v[12:13], 2, s[6:7]
	v_cndmask_b32_e32 v7, v9, v7, vcc
	v_cndmask_b32_e32 v6, v8, v6, vcc
	global_load_dword v4, v[6:7], off
	v_add_u32_e32 v6, v12, v1
	s_mov_b64 s[2:3], -1
	s_sub_i32 s17, s17, s22
	s_cbranch_execz .LBB651_4
	s_branch .LBB651_9
.LBB651_3:
	s_mov_b64 s[2:3], 0
                                        ; implicit-def: $vgpr6
                                        ; implicit-def: $vgpr2_vgpr3_vgpr4_vgpr5
	s_sub_i32 s17, s17, s22
.LBB651_4:
	s_add_i32 s22, s17, s15
	s_waitcnt vmcnt(2)
	v_mov_b32_e32 v2, 0
	v_cmp_gt_u32_e32 vcc, s22, v0
	s_waitcnt vmcnt(1)
	v_mov_b32_e32 v3, v2
	s_waitcnt vmcnt(0)
	v_mov_b32_e32 v4, v2
	v_mov_b32_e32 v5, v2
	s_and_saveexec_b64 s[2:3], vcc
	s_cbranch_execnz .LBB651_47
; %bb.5:
	s_or_b64 exec, exec, s[2:3]
	v_cmp_gt_u32_e32 vcc, s22, v14
	s_and_saveexec_b64 s[2:3], vcc
	s_cbranch_execnz .LBB651_48
.LBB651_6:
	s_or_b64 exec, exec, s[2:3]
	v_cmp_gt_u32_e32 vcc, s22, v12
	s_and_saveexec_b64 s[2:3], vcc
	s_cbranch_execz .LBB651_8
.LBB651_7:
	v_mov_b32_e32 v13, 0
	v_subrev_co_u32_e32 v8, vcc, s15, v12
	v_mov_b32_e32 v9, v13
	v_lshl_add_u64 v[6:7], v[12:13], 2, s[6:7]
	v_lshl_add_u64 v[8:9], v[8:9], 2, s[20:21]
	v_cndmask_b32_e32 v7, v9, v7, vcc
	v_cndmask_b32_e32 v6, v8, v6, vcc
	global_load_dword v4, v[6:7], off
.LBB651_8:
	s_or_b64 exec, exec, s[2:3]
	v_add_u32_e32 v6, v12, v1
	v_cmp_gt_u32_e64 s[2:3], s22, v6
.LBB651_9:
	s_and_saveexec_b64 s[22:23], s[2:3]
	s_cbranch_execz .LBB651_11
; %bb.10:
	v_mov_b32_e32 v9, 0
	v_mov_b32_e32 v7, v9
	v_subrev_co_u32_e32 v8, vcc, s15, v6
	v_lshl_add_u64 v[16:17], v[6:7], 2, s[6:7]
	v_lshl_add_u64 v[6:7], v[8:9], 2, s[20:21]
	v_cndmask_b32_e32 v7, v7, v17, vcc
	v_cndmask_b32_e32 v6, v6, v16, vcc
	global_load_dword v5, v[6:7], off
.LBB651_11:
	s_or_b64 exec, exec, s[22:23]
	s_add_u32 s0, s10, s0
	s_addc_u32 s1, s11, s1
	s_add_u32 s2, s10, s4
	v_mov_b32_e32 v9, 0
	s_addc_u32 s3, s11, s5
	s_andn2_b64 vcc, exec, s[18:19]
	s_waitcnt vmcnt(0)
	ds_write2st64_b32 v10, v2, v3 offset1:4
	ds_write2st64_b32 v10, v4, v5 offset0:8 offset1:12
	s_cbranch_vccnz .LBB651_13
; %bb.12:
	v_mov_b32_e32 v11, v9
	v_subrev_co_u32_e32 v8, vcc, s15, v0
	v_lshl_add_u64 v[6:7], s[0:1], 0, v[10:11]
	v_lshl_add_u64 v[16:17], v[8:9], 2, s[2:3]
	v_cndmask_b32_e32 v7, v17, v7, vcc
	v_cndmask_b32_e32 v6, v16, v6, vcc
	v_mov_b32_e32 v15, v9
	v_subrev_co_u32_e32 v8, vcc, s15, v14
	v_lshl_add_u64 v[16:17], v[14:15], 2, s[0:1]
	v_lshl_add_u64 v[18:19], v[8:9], 2, s[2:3]
	v_cndmask_b32_e32 v17, v19, v17, vcc
	v_cndmask_b32_e32 v16, v18, v16, vcc
	v_mov_b32_e32 v13, v9
	v_subrev_co_u32_e32 v8, vcc, s15, v12
	global_load_dword v6, v[6:7], off
	v_lshl_add_u64 v[18:19], v[8:9], 2, s[2:3]
	global_load_dword v7, v[16:17], off
	v_lshl_add_u64 v[16:17], v[12:13], 2, s[0:1]
	v_cndmask_b32_e32 v17, v19, v17, vcc
	v_cndmask_b32_e32 v16, v18, v16, vcc
	global_load_dword v8, v[16:17], off
	s_add_i32 s10, s17, s15
	v_add_u32_e32 v16, v12, v1
	s_mov_b64 s[4:5], -1
	v_mov_b32_e32 v11, s10
	s_cbranch_execz .LBB651_14
	s_branch .LBB651_19
.LBB651_13:
	s_mov_b64 s[4:5], 0
                                        ; implicit-def: $vgpr16
                                        ; implicit-def: $vgpr6_vgpr7_vgpr8_vgpr9
                                        ; implicit-def: $vgpr11
.LBB651_14:
	s_add_i32 s6, s17, s15
	s_waitcnt vmcnt(2)
	v_mov_b32_e32 v6, 0
	v_cmp_gt_u32_e32 vcc, s6, v0
	s_waitcnt vmcnt(1)
	v_mov_b32_e32 v7, v6
	s_waitcnt vmcnt(0)
	v_mov_b32_e32 v8, v6
	v_mov_b32_e32 v9, v6
	s_and_saveexec_b64 s[4:5], vcc
	s_cbranch_execnz .LBB651_49
; %bb.15:
	s_or_b64 exec, exec, s[4:5]
	v_cmp_gt_u32_e32 vcc, s6, v14
	s_and_saveexec_b64 s[4:5], vcc
	s_cbranch_execnz .LBB651_50
.LBB651_16:
	s_or_b64 exec, exec, s[4:5]
	v_cmp_gt_u32_e32 vcc, s6, v12
	s_and_saveexec_b64 s[4:5], vcc
	s_cbranch_execz .LBB651_18
.LBB651_17:
	v_mov_b32_e32 v13, 0
	v_subrev_co_u32_e32 v16, vcc, s15, v12
	v_mov_b32_e32 v17, v13
	v_lshl_add_u64 v[14:15], v[12:13], 2, s[0:1]
	v_lshl_add_u64 v[16:17], v[16:17], 2, s[2:3]
	v_cndmask_b32_e32 v15, v17, v15, vcc
	v_cndmask_b32_e32 v14, v16, v14, vcc
	global_load_dword v8, v[14:15], off
.LBB651_18:
	s_or_b64 exec, exec, s[4:5]
	v_add_u32_e32 v16, v12, v1
	v_cmp_gt_u32_e64 s[4:5], s6, v16
	v_mov_b32_e32 v11, s6
.LBB651_19:
	s_and_saveexec_b64 s[6:7], s[4:5]
	s_cbranch_execz .LBB651_21
; %bb.20:
	v_mov_b32_e32 v13, 0
	v_mov_b32_e32 v17, v13
	v_subrev_co_u32_e32 v12, vcc, s15, v16
	v_lshl_add_u64 v[14:15], v[16:17], 2, s[0:1]
	v_lshl_add_u64 v[12:13], v[12:13], 2, s[2:3]
	v_cndmask_b32_e32 v13, v13, v15, vcc
	v_cndmask_b32_e32 v12, v12, v14, vcc
	global_load_dword v9, v[12:13], off
.LBB651_21:
	s_or_b64 exec, exec, s[6:7]
	v_min_u32_e32 v12, v11, v10
	v_sub_u32_e64 v1, v12, s17 clamp
	v_min_u32_e32 v13, s15, v12
	v_cmp_lt_u32_e32 vcc, v1, v13
	s_waitcnt lgkmcnt(0)
	s_barrier
	s_and_saveexec_b64 s[0:1], vcc
	s_cbranch_execz .LBB651_25
; %bb.22:
	v_lshlrev_b32_e32 v14, 2, v12
	v_lshl_add_u32 v14, s15, 2, v14
	s_mov_b64 s[2:3], 0
.LBB651_23:                             ; =>This Inner Loop Header: Depth=1
	v_add_u32_e32 v15, v13, v1
	v_lshrrev_b32_e32 v15, 1, v15
	v_not_b32_e32 v16, v15
	v_lshlrev_b32_e32 v17, 2, v15
	v_lshl_add_u32 v16, v16, 2, v14
	ds_read_b32 v17, v17
	ds_read_b32 v16, v16
	v_add_u32_e32 v18, 1, v15
	s_waitcnt lgkmcnt(0)
	v_cmp_gt_u32_e32 vcc, v17, v16
	s_nop 1
	v_cndmask_b32_e32 v13, v13, v15, vcc
	v_cndmask_b32_e32 v1, v18, v1, vcc
	v_cmp_ge_u32_e32 vcc, v1, v13
	s_or_b64 s[2:3], vcc, s[2:3]
	s_andn2_b64 exec, exec, s[2:3]
	s_cbranch_execnz .LBB651_23
; %bb.24:
	s_or_b64 exec, exec, s[2:3]
.LBB651_25:
	s_or_b64 exec, exec, s[0:1]
	v_sub_u32_e32 v12, v12, v1
	v_add_u32_e32 v15, s15, v12
	v_cmp_ge_u32_e32 vcc, s15, v1
	v_cmp_le_u32_e64 s[0:1], v15, v11
	s_or_b64 s[0:1], vcc, s[0:1]
	v_mov_b32_e32 v16, 0
	v_mov_b32_e32 v14, 0
	;; [unrolled: 1-line block ×4, first 2 shown]
	s_and_saveexec_b64 s[10:11], s[0:1]
	s_cbranch_execz .LBB651_31
; %bb.26:
	v_cmp_gt_u32_e32 vcc, s15, v1
                                        ; implicit-def: $vgpr2
	s_and_saveexec_b64 s[0:1], vcc
; %bb.27:
	v_lshlrev_b32_e32 v2, 2, v1
	ds_read_b32 v2, v2
; %bb.28:
	s_or_b64 exec, exec, s[0:1]
	v_cmp_ge_u32_e64 s[0:1], v15, v11
	v_cmp_lt_u32_e64 s[2:3], v15, v11
                                        ; implicit-def: $vgpr3
	s_and_saveexec_b64 s[4:5], s[2:3]
; %bb.29:
	v_lshlrev_b32_e32 v3, 2, v15
	ds_read_b32 v3, v3
; %bb.30:
	s_or_b64 exec, exec, s[4:5]
	s_waitcnt lgkmcnt(0)
	v_cmp_le_u32_e64 s[2:3], v2, v3
	s_and_b64 s[2:3], vcc, s[2:3]
	s_or_b64 vcc, s[0:1], s[2:3]
	v_mov_b32_e32 v4, s15
	v_cndmask_b32_e32 v12, v15, v1, vcc
	v_cndmask_b32_e32 v5, v11, v4, vcc
	v_add_u32_e32 v13, 1, v12
	v_add_u32_e32 v5, -1, v5
	v_min_u32_e32 v5, v13, v5
	v_lshlrev_b32_e32 v5, 2, v5
	ds_read_b32 v5, v5
	v_cndmask_b32_e32 v1, v1, v13, vcc
	v_cndmask_b32_e32 v14, v13, v15, vcc
	v_cmp_gt_u32_e64 s[2:3], s15, v1
	v_cmp_ge_u32_e64 s[0:1], v14, v11
	s_waitcnt lgkmcnt(0)
	v_cndmask_b32_e32 v16, v5, v3, vcc
	v_cndmask_b32_e32 v5, v2, v5, vcc
	v_cmp_le_u32_e64 s[4:5], v5, v16
	s_and_b64 s[2:3], s[2:3], s[4:5]
	s_or_b64 s[0:1], s[0:1], s[2:3]
	v_cndmask_b32_e64 v13, v14, v1, s[0:1]
	v_cndmask_b32_e64 v15, v11, v4, s[0:1]
	v_add_u32_e32 v17, 1, v13
	v_add_u32_e32 v15, -1, v15
	v_min_u32_e32 v15, v17, v15
	v_lshlrev_b32_e32 v15, 2, v15
	ds_read_b32 v15, v15
	v_cndmask_b32_e64 v1, v1, v17, s[0:1]
	v_cndmask_b32_e64 v19, v17, v14, s[0:1]
	v_cmp_gt_u32_e64 s[4:5], s15, v1
	v_cmp_ge_u32_e64 s[2:3], v19, v11
	s_waitcnt lgkmcnt(0)
	v_cndmask_b32_e64 v18, v15, v16, s[0:1]
	v_cndmask_b32_e64 v15, v5, v15, s[0:1]
	v_cmp_le_u32_e64 s[6:7], v15, v18
	s_and_b64 s[4:5], s[4:5], s[6:7]
	s_or_b64 s[2:3], s[2:3], s[4:5]
	v_cndmask_b32_e64 v14, v19, v1, s[2:3]
	v_cndmask_b32_e64 v4, v11, v4, s[2:3]
	v_add_u32_e32 v17, 1, v14
	v_add_u32_e32 v4, -1, v4
	v_min_u32_e32 v4, v17, v4
	v_lshlrev_b32_e32 v4, 2, v4
	ds_read_b32 v20, v4
	v_cndmask_b32_e32 v2, v3, v2, vcc
	v_cndmask_b32_e64 v3, v16, v5, s[0:1]
	v_cndmask_b32_e64 v4, v18, v15, s[2:3]
	;; [unrolled: 1-line block ×3, first 2 shown]
	s_waitcnt lgkmcnt(0)
	v_cndmask_b32_e64 v5, v20, v18, s[2:3]
	v_cndmask_b32_e64 v15, v15, v20, s[2:3]
	;; [unrolled: 1-line block ×3, first 2 shown]
	v_cmp_gt_u32_e64 s[0:1], s15, v1
	v_cmp_le_u32_e64 s[2:3], v15, v5
	v_cmp_ge_u32_e32 vcc, v16, v11
	s_and_b64 s[0:1], s[0:1], s[2:3]
	s_or_b64 vcc, vcc, s[0:1]
	v_cndmask_b32_e32 v16, v16, v1, vcc
	v_cndmask_b32_e32 v5, v5, v15, vcc
.LBB651_31:
	s_or_b64 exec, exec, s[10:11]
	s_barrier
	s_waitcnt vmcnt(0)
	ds_write2st64_b32 v10, v6, v7 offset1:4
	ds_write2st64_b32 v10, v8, v9 offset0:8 offset1:12
	v_lshrrev_b32_e32 v11, 3, v0
	v_lshlrev_b32_e32 v9, 2, v10
	v_lshlrev_b32_e32 v1, 2, v12
	;; [unrolled: 1-line block ×5, first 2 shown]
	v_lshl_add_u32 v9, v11, 2, v9
	s_waitcnt lgkmcnt(0)
	s_barrier
	ds_read_b32 v1, v1
	ds_read_b32 v6, v6
	;; [unrolled: 1-line block ×4, first 2 shown]
	s_waitcnt lgkmcnt(0)
	s_barrier
	s_barrier
	ds_write2_b32 v9, v2, v3 offset1:1
	ds_write2_b32 v9, v4, v5 offset0:2 offset1:3
	v_and_b32_e32 v2, 28, v11
	v_or_b32_e32 v16, 0x100, v0
	v_add_u32_e32 v4, v2, v10
	v_lshrrev_b32_e32 v2, 3, v16
	v_and_b32_e32 v2, 60, v2
	v_or_b32_e32 v15, 0x200, v0
	s_mov_b32 s17, 0
	v_add_u32_e32 v5, v2, v10
	v_lshrrev_b32_e32 v2, 3, v15
	s_lshl_b64 s[4:5], s[16:17], 2
	v_and_b32_e32 v2, 0x5c, v2
	v_or_b32_e32 v14, 0x300, v0
	s_add_u32 s0, s8, s4
	v_add_u32_e32 v12, v2, v10
	v_lshrrev_b32_e32 v2, 3, v14
	s_addc_u32 s1, s9, s5
	v_and_b32_e32 v2, 0x7c, v2
	v_mov_b32_e32 v11, 0
	v_add_u32_e32 v13, v2, v10
	v_lshl_add_u64 v[2:3], s[0:1], 0, v[10:11]
	s_and_b64 vcc, exec, s[18:19]
	s_waitcnt lgkmcnt(0)
	s_cbranch_vccz .LBB651_33
; %bb.32:
	s_barrier
	ds_read_b32 v11, v4
	ds_read_b32 v17, v5 offset:1024
	ds_read_b32 v18, v12 offset:2048
	;; [unrolled: 1-line block ×3, first 2 shown]
	s_add_u32 s0, s12, s4
	s_addc_u32 s1, s13, s5
	s_waitcnt lgkmcnt(3)
	global_store_dword v[2:3], v11, off
	s_waitcnt lgkmcnt(2)
	global_store_dword v[2:3], v17, off offset:1024
	s_waitcnt lgkmcnt(1)
	global_store_dword v[2:3], v18, off offset:2048
	;; [unrolled: 2-line block ×3, first 2 shown]
	s_barrier
	ds_write2_b32 v9, v1, v6 offset1:1
	ds_write2_b32 v9, v7, v8 offset0:2 offset1:3
	s_waitcnt lgkmcnt(0)
	s_barrier
	ds_read_b32 v11, v4
	ds_read_b32 v18, v5 offset:1024
	ds_read_b32 v19, v12 offset:2048
	;; [unrolled: 1-line block ×3, first 2 shown]
	s_waitcnt lgkmcnt(3)
	global_store_dword v10, v11, s[0:1]
	s_waitcnt lgkmcnt(2)
	global_store_dword v10, v18, s[0:1] offset:1024
	s_waitcnt lgkmcnt(1)
	global_store_dword v10, v19, s[0:1] offset:2048
	s_mov_b64 s[6:7], -1
	s_cbranch_execz .LBB651_34
	s_branch .LBB651_44
.LBB651_33:
	s_mov_b64 s[6:7], 0
                                        ; implicit-def: $vgpr17
.LBB651_34:
	s_barrier
	s_waitcnt lgkmcnt(0)
	ds_read_b32 v18, v5 offset:1024
	ds_read_b32 v17, v12 offset:2048
	;; [unrolled: 1-line block ×3, first 2 shown]
	s_sub_i32 s8, s14, s16
	v_cmp_gt_u32_e32 vcc, s8, v0
	s_and_saveexec_b64 s[0:1], vcc
	s_cbranch_execnz .LBB651_51
; %bb.35:
	s_or_b64 exec, exec, s[0:1]
	v_cmp_gt_u32_e64 s[0:1], s8, v16
	s_and_saveexec_b64 s[2:3], s[0:1]
	s_cbranch_execnz .LBB651_52
.LBB651_36:
	s_or_b64 exec, exec, s[2:3]
	v_cmp_gt_u32_e64 s[2:3], s8, v15
	s_and_saveexec_b64 s[6:7], s[2:3]
	s_cbranch_execnz .LBB651_53
.LBB651_37:
	s_or_b64 exec, exec, s[6:7]
	v_cmp_gt_u32_e64 s[6:7], s8, v14
	s_and_saveexec_b64 s[8:9], s[6:7]
	s_cbranch_execz .LBB651_39
.LBB651_38:
	s_waitcnt lgkmcnt(0)
	global_store_dword v[2:3], v11, off offset:3072
.LBB651_39:
	s_or_b64 exec, exec, s[8:9]
	s_waitcnt lgkmcnt(0)
	s_barrier
	ds_write2_b32 v9, v1, v6 offset1:1
	ds_write2_b32 v9, v7, v8 offset0:2 offset1:3
	s_waitcnt lgkmcnt(0)
	s_barrier
	ds_read_b32 v3, v5 offset:1024
	ds_read_b32 v2, v12 offset:2048
	;; [unrolled: 1-line block ×3, first 2 shown]
	s_add_u32 s8, s12, s4
	s_addc_u32 s9, s13, s5
	v_mov_b32_e32 v11, 0
	v_lshl_add_u64 v[0:1], s[8:9], 0, v[10:11]
	s_and_saveexec_b64 s[8:9], vcc
	s_cbranch_execnz .LBB651_54
; %bb.40:
	s_or_b64 exec, exec, s[8:9]
	s_and_saveexec_b64 s[8:9], s[0:1]
	s_cbranch_execnz .LBB651_55
.LBB651_41:
	s_or_b64 exec, exec, s[8:9]
	s_and_saveexec_b64 s[0:1], s[2:3]
	s_cbranch_execz .LBB651_43
.LBB651_42:
	s_waitcnt lgkmcnt(1)
	global_store_dword v[0:1], v2, off offset:2048
.LBB651_43:
	s_or_b64 exec, exec, s[0:1]
.LBB651_44:
	s_and_saveexec_b64 s[0:1], s[6:7]
	s_cbranch_execz .LBB651_46
; %bb.45:
	s_add_u32 s0, s12, s4
	s_addc_u32 s1, s13, s5
	s_waitcnt lgkmcnt(0)
	global_store_dword v10, v17, s[0:1] offset:3072
.LBB651_46:
	s_endpgm
.LBB651_47:
	v_mov_b32_e32 v11, v2
	v_subrev_co_u32_e32 v6, vcc, s15, v0
	v_mov_b32_e32 v7, v2
	v_lshl_add_u64 v[4:5], s[6:7], 0, v[10:11]
	v_lshl_add_u64 v[6:7], v[6:7], 2, s[20:21]
	v_cndmask_b32_e32 v5, v7, v5, vcc
	v_cndmask_b32_e32 v4, v6, v4, vcc
	global_load_dword v4, v[4:5], off
	v_mov_b32_e32 v5, v2
	v_mov_b32_e32 v6, v2
	;; [unrolled: 1-line block ×3, first 2 shown]
	s_waitcnt vmcnt(0)
	v_mov_b64_e32 v[2:3], v[4:5]
	v_mov_b64_e32 v[4:5], v[6:7]
	s_or_b64 exec, exec, s[2:3]
	v_cmp_gt_u32_e32 vcc, s22, v14
	s_and_saveexec_b64 s[2:3], vcc
	s_cbranch_execz .LBB651_6
.LBB651_48:
	v_mov_b32_e32 v15, 0
	v_subrev_co_u32_e32 v8, vcc, s15, v14
	v_mov_b32_e32 v9, v15
	v_lshl_add_u64 v[6:7], v[14:15], 2, s[6:7]
	v_lshl_add_u64 v[8:9], v[8:9], 2, s[20:21]
	v_cndmask_b32_e32 v7, v9, v7, vcc
	v_cndmask_b32_e32 v6, v8, v6, vcc
	global_load_dword v3, v[6:7], off
	s_or_b64 exec, exec, s[2:3]
	v_cmp_gt_u32_e32 vcc, s22, v12
	s_and_saveexec_b64 s[2:3], vcc
	s_cbranch_execnz .LBB651_7
	s_branch .LBB651_8
.LBB651_49:
	v_mov_b32_e32 v11, v6
	v_subrev_co_u32_e32 v16, vcc, s15, v0
	v_mov_b32_e32 v17, v6
	v_lshl_add_u64 v[8:9], s[0:1], 0, v[10:11]
	v_lshl_add_u64 v[16:17], v[16:17], 2, s[2:3]
	v_cndmask_b32_e32 v9, v17, v9, vcc
	v_cndmask_b32_e32 v8, v16, v8, vcc
	global_load_dword v16, v[8:9], off
	v_mov_b32_e32 v17, v6
	v_mov_b32_e32 v18, v6
	;; [unrolled: 1-line block ×3, first 2 shown]
	s_waitcnt vmcnt(0)
	v_mov_b64_e32 v[6:7], v[16:17]
	v_mov_b64_e32 v[8:9], v[18:19]
	s_or_b64 exec, exec, s[4:5]
	v_cmp_gt_u32_e32 vcc, s6, v14
	s_and_saveexec_b64 s[4:5], vcc
	s_cbranch_execz .LBB651_16
.LBB651_50:
	v_mov_b32_e32 v15, 0
	v_lshl_add_u64 v[16:17], v[14:15], 2, s[0:1]
	v_subrev_co_u32_e32 v14, vcc, s15, v14
	v_lshl_add_u64 v[14:15], v[14:15], 2, s[2:3]
	s_nop 0
	v_cndmask_b32_e32 v15, v15, v17, vcc
	v_cndmask_b32_e32 v14, v14, v16, vcc
	global_load_dword v7, v[14:15], off
	s_or_b64 exec, exec, s[4:5]
	v_cmp_gt_u32_e32 vcc, s6, v12
	s_and_saveexec_b64 s[4:5], vcc
	s_cbranch_execnz .LBB651_17
	s_branch .LBB651_18
.LBB651_51:
	ds_read_b32 v0, v4
	s_waitcnt lgkmcnt(0)
	global_store_dword v[2:3], v0, off
	s_or_b64 exec, exec, s[0:1]
	v_cmp_gt_u32_e64 s[0:1], s8, v16
	s_and_saveexec_b64 s[2:3], s[0:1]
	s_cbranch_execz .LBB651_36
.LBB651_52:
	s_waitcnt lgkmcnt(2)
	global_store_dword v[2:3], v18, off offset:1024
	s_or_b64 exec, exec, s[2:3]
	v_cmp_gt_u32_e64 s[2:3], s8, v15
	s_and_saveexec_b64 s[6:7], s[2:3]
	s_cbranch_execz .LBB651_37
.LBB651_53:
	s_waitcnt lgkmcnt(1)
	global_store_dword v[2:3], v17, off offset:2048
	s_or_b64 exec, exec, s[6:7]
	v_cmp_gt_u32_e64 s[6:7], s8, v14
	s_and_saveexec_b64 s[8:9], s[6:7]
	s_cbranch_execnz .LBB651_38
	s_branch .LBB651_39
.LBB651_54:
	ds_read_b32 v4, v4
	s_waitcnt lgkmcnt(0)
	global_store_dword v[0:1], v4, off
	s_or_b64 exec, exec, s[8:9]
	s_and_saveexec_b64 s[8:9], s[0:1]
	s_cbranch_execz .LBB651_41
.LBB651_55:
	s_waitcnt lgkmcnt(2)
	global_store_dword v[0:1], v3, off offset:1024
	s_or_b64 exec, exec, s[8:9]
	s_and_saveexec_b64 s[0:1], s[2:3]
	s_cbranch_execnz .LBB651_42
	s_branch .LBB651_43
	.section	.rodata,"a",@progbits
	.p2align	6, 0x0
	.amdhsa_kernel _ZN7rocprim17ROCPRIM_400000_NS6detail17trampoline_kernelINS0_14default_configENS1_38merge_sort_block_merge_config_selectorIjjEEZZNS1_27merge_sort_block_merge_implIS3_N6thrust23THRUST_200600_302600_NS6detail15normal_iteratorINS8_10device_ptrIjEEEESD_jNS1_19radix_merge_compareILb0ELb0EjNS0_19identity_decomposerEEEEE10hipError_tT0_T1_T2_jT3_P12ihipStream_tbPNSt15iterator_traitsISI_E10value_typeEPNSO_ISJ_E10value_typeEPSK_NS1_7vsmem_tEENKUlT_SI_SJ_SK_E_clISD_PjSD_S10_EESH_SX_SI_SJ_SK_EUlSX_E0_NS1_11comp_targetILNS1_3genE0ELNS1_11target_archE4294967295ELNS1_3gpuE0ELNS1_3repE0EEENS1_38merge_mergepath_config_static_selectorELNS0_4arch9wavefront6targetE1EEEvSJ_
		.amdhsa_group_segment_fixed_size 4224
		.amdhsa_private_segment_fixed_size 0
		.amdhsa_kernarg_size 320
		.amdhsa_user_sgpr_count 2
		.amdhsa_user_sgpr_dispatch_ptr 0
		.amdhsa_user_sgpr_queue_ptr 0
		.amdhsa_user_sgpr_kernarg_segment_ptr 1
		.amdhsa_user_sgpr_dispatch_id 0
		.amdhsa_user_sgpr_kernarg_preload_length 0
		.amdhsa_user_sgpr_kernarg_preload_offset 0
		.amdhsa_user_sgpr_private_segment_size 0
		.amdhsa_uses_dynamic_stack 0
		.amdhsa_enable_private_segment 0
		.amdhsa_system_sgpr_workgroup_id_x 1
		.amdhsa_system_sgpr_workgroup_id_y 1
		.amdhsa_system_sgpr_workgroup_id_z 1
		.amdhsa_system_sgpr_workgroup_info 0
		.amdhsa_system_vgpr_workitem_id 0
		.amdhsa_next_free_vgpr 21
		.amdhsa_next_free_sgpr 30
		.amdhsa_accum_offset 24
		.amdhsa_reserve_vcc 1
		.amdhsa_float_round_mode_32 0
		.amdhsa_float_round_mode_16_64 0
		.amdhsa_float_denorm_mode_32 3
		.amdhsa_float_denorm_mode_16_64 3
		.amdhsa_dx10_clamp 1
		.amdhsa_ieee_mode 1
		.amdhsa_fp16_overflow 0
		.amdhsa_tg_split 0
		.amdhsa_exception_fp_ieee_invalid_op 0
		.amdhsa_exception_fp_denorm_src 0
		.amdhsa_exception_fp_ieee_div_zero 0
		.amdhsa_exception_fp_ieee_overflow 0
		.amdhsa_exception_fp_ieee_underflow 0
		.amdhsa_exception_fp_ieee_inexact 0
		.amdhsa_exception_int_div_zero 0
	.end_amdhsa_kernel
	.section	.text._ZN7rocprim17ROCPRIM_400000_NS6detail17trampoline_kernelINS0_14default_configENS1_38merge_sort_block_merge_config_selectorIjjEEZZNS1_27merge_sort_block_merge_implIS3_N6thrust23THRUST_200600_302600_NS6detail15normal_iteratorINS8_10device_ptrIjEEEESD_jNS1_19radix_merge_compareILb0ELb0EjNS0_19identity_decomposerEEEEE10hipError_tT0_T1_T2_jT3_P12ihipStream_tbPNSt15iterator_traitsISI_E10value_typeEPNSO_ISJ_E10value_typeEPSK_NS1_7vsmem_tEENKUlT_SI_SJ_SK_E_clISD_PjSD_S10_EESH_SX_SI_SJ_SK_EUlSX_E0_NS1_11comp_targetILNS1_3genE0ELNS1_11target_archE4294967295ELNS1_3gpuE0ELNS1_3repE0EEENS1_38merge_mergepath_config_static_selectorELNS0_4arch9wavefront6targetE1EEEvSJ_,"axG",@progbits,_ZN7rocprim17ROCPRIM_400000_NS6detail17trampoline_kernelINS0_14default_configENS1_38merge_sort_block_merge_config_selectorIjjEEZZNS1_27merge_sort_block_merge_implIS3_N6thrust23THRUST_200600_302600_NS6detail15normal_iteratorINS8_10device_ptrIjEEEESD_jNS1_19radix_merge_compareILb0ELb0EjNS0_19identity_decomposerEEEEE10hipError_tT0_T1_T2_jT3_P12ihipStream_tbPNSt15iterator_traitsISI_E10value_typeEPNSO_ISJ_E10value_typeEPSK_NS1_7vsmem_tEENKUlT_SI_SJ_SK_E_clISD_PjSD_S10_EESH_SX_SI_SJ_SK_EUlSX_E0_NS1_11comp_targetILNS1_3genE0ELNS1_11target_archE4294967295ELNS1_3gpuE0ELNS1_3repE0EEENS1_38merge_mergepath_config_static_selectorELNS0_4arch9wavefront6targetE1EEEvSJ_,comdat
.Lfunc_end651:
	.size	_ZN7rocprim17ROCPRIM_400000_NS6detail17trampoline_kernelINS0_14default_configENS1_38merge_sort_block_merge_config_selectorIjjEEZZNS1_27merge_sort_block_merge_implIS3_N6thrust23THRUST_200600_302600_NS6detail15normal_iteratorINS8_10device_ptrIjEEEESD_jNS1_19radix_merge_compareILb0ELb0EjNS0_19identity_decomposerEEEEE10hipError_tT0_T1_T2_jT3_P12ihipStream_tbPNSt15iterator_traitsISI_E10value_typeEPNSO_ISJ_E10value_typeEPSK_NS1_7vsmem_tEENKUlT_SI_SJ_SK_E_clISD_PjSD_S10_EESH_SX_SI_SJ_SK_EUlSX_E0_NS1_11comp_targetILNS1_3genE0ELNS1_11target_archE4294967295ELNS1_3gpuE0ELNS1_3repE0EEENS1_38merge_mergepath_config_static_selectorELNS0_4arch9wavefront6targetE1EEEvSJ_, .Lfunc_end651-_ZN7rocprim17ROCPRIM_400000_NS6detail17trampoline_kernelINS0_14default_configENS1_38merge_sort_block_merge_config_selectorIjjEEZZNS1_27merge_sort_block_merge_implIS3_N6thrust23THRUST_200600_302600_NS6detail15normal_iteratorINS8_10device_ptrIjEEEESD_jNS1_19radix_merge_compareILb0ELb0EjNS0_19identity_decomposerEEEEE10hipError_tT0_T1_T2_jT3_P12ihipStream_tbPNSt15iterator_traitsISI_E10value_typeEPNSO_ISJ_E10value_typeEPSK_NS1_7vsmem_tEENKUlT_SI_SJ_SK_E_clISD_PjSD_S10_EESH_SX_SI_SJ_SK_EUlSX_E0_NS1_11comp_targetILNS1_3genE0ELNS1_11target_archE4294967295ELNS1_3gpuE0ELNS1_3repE0EEENS1_38merge_mergepath_config_static_selectorELNS0_4arch9wavefront6targetE1EEEvSJ_
                                        ; -- End function
	.set _ZN7rocprim17ROCPRIM_400000_NS6detail17trampoline_kernelINS0_14default_configENS1_38merge_sort_block_merge_config_selectorIjjEEZZNS1_27merge_sort_block_merge_implIS3_N6thrust23THRUST_200600_302600_NS6detail15normal_iteratorINS8_10device_ptrIjEEEESD_jNS1_19radix_merge_compareILb0ELb0EjNS0_19identity_decomposerEEEEE10hipError_tT0_T1_T2_jT3_P12ihipStream_tbPNSt15iterator_traitsISI_E10value_typeEPNSO_ISJ_E10value_typeEPSK_NS1_7vsmem_tEENKUlT_SI_SJ_SK_E_clISD_PjSD_S10_EESH_SX_SI_SJ_SK_EUlSX_E0_NS1_11comp_targetILNS1_3genE0ELNS1_11target_archE4294967295ELNS1_3gpuE0ELNS1_3repE0EEENS1_38merge_mergepath_config_static_selectorELNS0_4arch9wavefront6targetE1EEEvSJ_.num_vgpr, 21
	.set _ZN7rocprim17ROCPRIM_400000_NS6detail17trampoline_kernelINS0_14default_configENS1_38merge_sort_block_merge_config_selectorIjjEEZZNS1_27merge_sort_block_merge_implIS3_N6thrust23THRUST_200600_302600_NS6detail15normal_iteratorINS8_10device_ptrIjEEEESD_jNS1_19radix_merge_compareILb0ELb0EjNS0_19identity_decomposerEEEEE10hipError_tT0_T1_T2_jT3_P12ihipStream_tbPNSt15iterator_traitsISI_E10value_typeEPNSO_ISJ_E10value_typeEPSK_NS1_7vsmem_tEENKUlT_SI_SJ_SK_E_clISD_PjSD_S10_EESH_SX_SI_SJ_SK_EUlSX_E0_NS1_11comp_targetILNS1_3genE0ELNS1_11target_archE4294967295ELNS1_3gpuE0ELNS1_3repE0EEENS1_38merge_mergepath_config_static_selectorELNS0_4arch9wavefront6targetE1EEEvSJ_.num_agpr, 0
	.set _ZN7rocprim17ROCPRIM_400000_NS6detail17trampoline_kernelINS0_14default_configENS1_38merge_sort_block_merge_config_selectorIjjEEZZNS1_27merge_sort_block_merge_implIS3_N6thrust23THRUST_200600_302600_NS6detail15normal_iteratorINS8_10device_ptrIjEEEESD_jNS1_19radix_merge_compareILb0ELb0EjNS0_19identity_decomposerEEEEE10hipError_tT0_T1_T2_jT3_P12ihipStream_tbPNSt15iterator_traitsISI_E10value_typeEPNSO_ISJ_E10value_typeEPSK_NS1_7vsmem_tEENKUlT_SI_SJ_SK_E_clISD_PjSD_S10_EESH_SX_SI_SJ_SK_EUlSX_E0_NS1_11comp_targetILNS1_3genE0ELNS1_11target_archE4294967295ELNS1_3gpuE0ELNS1_3repE0EEENS1_38merge_mergepath_config_static_selectorELNS0_4arch9wavefront6targetE1EEEvSJ_.numbered_sgpr, 30
	.set _ZN7rocprim17ROCPRIM_400000_NS6detail17trampoline_kernelINS0_14default_configENS1_38merge_sort_block_merge_config_selectorIjjEEZZNS1_27merge_sort_block_merge_implIS3_N6thrust23THRUST_200600_302600_NS6detail15normal_iteratorINS8_10device_ptrIjEEEESD_jNS1_19radix_merge_compareILb0ELb0EjNS0_19identity_decomposerEEEEE10hipError_tT0_T1_T2_jT3_P12ihipStream_tbPNSt15iterator_traitsISI_E10value_typeEPNSO_ISJ_E10value_typeEPSK_NS1_7vsmem_tEENKUlT_SI_SJ_SK_E_clISD_PjSD_S10_EESH_SX_SI_SJ_SK_EUlSX_E0_NS1_11comp_targetILNS1_3genE0ELNS1_11target_archE4294967295ELNS1_3gpuE0ELNS1_3repE0EEENS1_38merge_mergepath_config_static_selectorELNS0_4arch9wavefront6targetE1EEEvSJ_.num_named_barrier, 0
	.set _ZN7rocprim17ROCPRIM_400000_NS6detail17trampoline_kernelINS0_14default_configENS1_38merge_sort_block_merge_config_selectorIjjEEZZNS1_27merge_sort_block_merge_implIS3_N6thrust23THRUST_200600_302600_NS6detail15normal_iteratorINS8_10device_ptrIjEEEESD_jNS1_19radix_merge_compareILb0ELb0EjNS0_19identity_decomposerEEEEE10hipError_tT0_T1_T2_jT3_P12ihipStream_tbPNSt15iterator_traitsISI_E10value_typeEPNSO_ISJ_E10value_typeEPSK_NS1_7vsmem_tEENKUlT_SI_SJ_SK_E_clISD_PjSD_S10_EESH_SX_SI_SJ_SK_EUlSX_E0_NS1_11comp_targetILNS1_3genE0ELNS1_11target_archE4294967295ELNS1_3gpuE0ELNS1_3repE0EEENS1_38merge_mergepath_config_static_selectorELNS0_4arch9wavefront6targetE1EEEvSJ_.private_seg_size, 0
	.set _ZN7rocprim17ROCPRIM_400000_NS6detail17trampoline_kernelINS0_14default_configENS1_38merge_sort_block_merge_config_selectorIjjEEZZNS1_27merge_sort_block_merge_implIS3_N6thrust23THRUST_200600_302600_NS6detail15normal_iteratorINS8_10device_ptrIjEEEESD_jNS1_19radix_merge_compareILb0ELb0EjNS0_19identity_decomposerEEEEE10hipError_tT0_T1_T2_jT3_P12ihipStream_tbPNSt15iterator_traitsISI_E10value_typeEPNSO_ISJ_E10value_typeEPSK_NS1_7vsmem_tEENKUlT_SI_SJ_SK_E_clISD_PjSD_S10_EESH_SX_SI_SJ_SK_EUlSX_E0_NS1_11comp_targetILNS1_3genE0ELNS1_11target_archE4294967295ELNS1_3gpuE0ELNS1_3repE0EEENS1_38merge_mergepath_config_static_selectorELNS0_4arch9wavefront6targetE1EEEvSJ_.uses_vcc, 1
	.set _ZN7rocprim17ROCPRIM_400000_NS6detail17trampoline_kernelINS0_14default_configENS1_38merge_sort_block_merge_config_selectorIjjEEZZNS1_27merge_sort_block_merge_implIS3_N6thrust23THRUST_200600_302600_NS6detail15normal_iteratorINS8_10device_ptrIjEEEESD_jNS1_19radix_merge_compareILb0ELb0EjNS0_19identity_decomposerEEEEE10hipError_tT0_T1_T2_jT3_P12ihipStream_tbPNSt15iterator_traitsISI_E10value_typeEPNSO_ISJ_E10value_typeEPSK_NS1_7vsmem_tEENKUlT_SI_SJ_SK_E_clISD_PjSD_S10_EESH_SX_SI_SJ_SK_EUlSX_E0_NS1_11comp_targetILNS1_3genE0ELNS1_11target_archE4294967295ELNS1_3gpuE0ELNS1_3repE0EEENS1_38merge_mergepath_config_static_selectorELNS0_4arch9wavefront6targetE1EEEvSJ_.uses_flat_scratch, 0
	.set _ZN7rocprim17ROCPRIM_400000_NS6detail17trampoline_kernelINS0_14default_configENS1_38merge_sort_block_merge_config_selectorIjjEEZZNS1_27merge_sort_block_merge_implIS3_N6thrust23THRUST_200600_302600_NS6detail15normal_iteratorINS8_10device_ptrIjEEEESD_jNS1_19radix_merge_compareILb0ELb0EjNS0_19identity_decomposerEEEEE10hipError_tT0_T1_T2_jT3_P12ihipStream_tbPNSt15iterator_traitsISI_E10value_typeEPNSO_ISJ_E10value_typeEPSK_NS1_7vsmem_tEENKUlT_SI_SJ_SK_E_clISD_PjSD_S10_EESH_SX_SI_SJ_SK_EUlSX_E0_NS1_11comp_targetILNS1_3genE0ELNS1_11target_archE4294967295ELNS1_3gpuE0ELNS1_3repE0EEENS1_38merge_mergepath_config_static_selectorELNS0_4arch9wavefront6targetE1EEEvSJ_.has_dyn_sized_stack, 0
	.set _ZN7rocprim17ROCPRIM_400000_NS6detail17trampoline_kernelINS0_14default_configENS1_38merge_sort_block_merge_config_selectorIjjEEZZNS1_27merge_sort_block_merge_implIS3_N6thrust23THRUST_200600_302600_NS6detail15normal_iteratorINS8_10device_ptrIjEEEESD_jNS1_19radix_merge_compareILb0ELb0EjNS0_19identity_decomposerEEEEE10hipError_tT0_T1_T2_jT3_P12ihipStream_tbPNSt15iterator_traitsISI_E10value_typeEPNSO_ISJ_E10value_typeEPSK_NS1_7vsmem_tEENKUlT_SI_SJ_SK_E_clISD_PjSD_S10_EESH_SX_SI_SJ_SK_EUlSX_E0_NS1_11comp_targetILNS1_3genE0ELNS1_11target_archE4294967295ELNS1_3gpuE0ELNS1_3repE0EEENS1_38merge_mergepath_config_static_selectorELNS0_4arch9wavefront6targetE1EEEvSJ_.has_recursion, 0
	.set _ZN7rocprim17ROCPRIM_400000_NS6detail17trampoline_kernelINS0_14default_configENS1_38merge_sort_block_merge_config_selectorIjjEEZZNS1_27merge_sort_block_merge_implIS3_N6thrust23THRUST_200600_302600_NS6detail15normal_iteratorINS8_10device_ptrIjEEEESD_jNS1_19radix_merge_compareILb0ELb0EjNS0_19identity_decomposerEEEEE10hipError_tT0_T1_T2_jT3_P12ihipStream_tbPNSt15iterator_traitsISI_E10value_typeEPNSO_ISJ_E10value_typeEPSK_NS1_7vsmem_tEENKUlT_SI_SJ_SK_E_clISD_PjSD_S10_EESH_SX_SI_SJ_SK_EUlSX_E0_NS1_11comp_targetILNS1_3genE0ELNS1_11target_archE4294967295ELNS1_3gpuE0ELNS1_3repE0EEENS1_38merge_mergepath_config_static_selectorELNS0_4arch9wavefront6targetE1EEEvSJ_.has_indirect_call, 0
	.section	.AMDGPU.csdata,"",@progbits
; Kernel info:
; codeLenInByte = 2860
; TotalNumSgprs: 36
; NumVgprs: 21
; NumAgprs: 0
; TotalNumVgprs: 21
; ScratchSize: 0
; MemoryBound: 0
; FloatMode: 240
; IeeeMode: 1
; LDSByteSize: 4224 bytes/workgroup (compile time only)
; SGPRBlocks: 4
; VGPRBlocks: 2
; NumSGPRsForWavesPerEU: 36
; NumVGPRsForWavesPerEU: 21
; AccumOffset: 24
; Occupancy: 8
; WaveLimiterHint : 1
; COMPUTE_PGM_RSRC2:SCRATCH_EN: 0
; COMPUTE_PGM_RSRC2:USER_SGPR: 2
; COMPUTE_PGM_RSRC2:TRAP_HANDLER: 0
; COMPUTE_PGM_RSRC2:TGID_X_EN: 1
; COMPUTE_PGM_RSRC2:TGID_Y_EN: 1
; COMPUTE_PGM_RSRC2:TGID_Z_EN: 1
; COMPUTE_PGM_RSRC2:TIDIG_COMP_CNT: 0
; COMPUTE_PGM_RSRC3_GFX90A:ACCUM_OFFSET: 5
; COMPUTE_PGM_RSRC3_GFX90A:TG_SPLIT: 0
	.section	.text._ZN7rocprim17ROCPRIM_400000_NS6detail17trampoline_kernelINS0_14default_configENS1_38merge_sort_block_merge_config_selectorIjjEEZZNS1_27merge_sort_block_merge_implIS3_N6thrust23THRUST_200600_302600_NS6detail15normal_iteratorINS8_10device_ptrIjEEEESD_jNS1_19radix_merge_compareILb0ELb0EjNS0_19identity_decomposerEEEEE10hipError_tT0_T1_T2_jT3_P12ihipStream_tbPNSt15iterator_traitsISI_E10value_typeEPNSO_ISJ_E10value_typeEPSK_NS1_7vsmem_tEENKUlT_SI_SJ_SK_E_clISD_PjSD_S10_EESH_SX_SI_SJ_SK_EUlSX_E0_NS1_11comp_targetILNS1_3genE10ELNS1_11target_archE1201ELNS1_3gpuE5ELNS1_3repE0EEENS1_38merge_mergepath_config_static_selectorELNS0_4arch9wavefront6targetE1EEEvSJ_,"axG",@progbits,_ZN7rocprim17ROCPRIM_400000_NS6detail17trampoline_kernelINS0_14default_configENS1_38merge_sort_block_merge_config_selectorIjjEEZZNS1_27merge_sort_block_merge_implIS3_N6thrust23THRUST_200600_302600_NS6detail15normal_iteratorINS8_10device_ptrIjEEEESD_jNS1_19radix_merge_compareILb0ELb0EjNS0_19identity_decomposerEEEEE10hipError_tT0_T1_T2_jT3_P12ihipStream_tbPNSt15iterator_traitsISI_E10value_typeEPNSO_ISJ_E10value_typeEPSK_NS1_7vsmem_tEENKUlT_SI_SJ_SK_E_clISD_PjSD_S10_EESH_SX_SI_SJ_SK_EUlSX_E0_NS1_11comp_targetILNS1_3genE10ELNS1_11target_archE1201ELNS1_3gpuE5ELNS1_3repE0EEENS1_38merge_mergepath_config_static_selectorELNS0_4arch9wavefront6targetE1EEEvSJ_,comdat
	.protected	_ZN7rocprim17ROCPRIM_400000_NS6detail17trampoline_kernelINS0_14default_configENS1_38merge_sort_block_merge_config_selectorIjjEEZZNS1_27merge_sort_block_merge_implIS3_N6thrust23THRUST_200600_302600_NS6detail15normal_iteratorINS8_10device_ptrIjEEEESD_jNS1_19radix_merge_compareILb0ELb0EjNS0_19identity_decomposerEEEEE10hipError_tT0_T1_T2_jT3_P12ihipStream_tbPNSt15iterator_traitsISI_E10value_typeEPNSO_ISJ_E10value_typeEPSK_NS1_7vsmem_tEENKUlT_SI_SJ_SK_E_clISD_PjSD_S10_EESH_SX_SI_SJ_SK_EUlSX_E0_NS1_11comp_targetILNS1_3genE10ELNS1_11target_archE1201ELNS1_3gpuE5ELNS1_3repE0EEENS1_38merge_mergepath_config_static_selectorELNS0_4arch9wavefront6targetE1EEEvSJ_ ; -- Begin function _ZN7rocprim17ROCPRIM_400000_NS6detail17trampoline_kernelINS0_14default_configENS1_38merge_sort_block_merge_config_selectorIjjEEZZNS1_27merge_sort_block_merge_implIS3_N6thrust23THRUST_200600_302600_NS6detail15normal_iteratorINS8_10device_ptrIjEEEESD_jNS1_19radix_merge_compareILb0ELb0EjNS0_19identity_decomposerEEEEE10hipError_tT0_T1_T2_jT3_P12ihipStream_tbPNSt15iterator_traitsISI_E10value_typeEPNSO_ISJ_E10value_typeEPSK_NS1_7vsmem_tEENKUlT_SI_SJ_SK_E_clISD_PjSD_S10_EESH_SX_SI_SJ_SK_EUlSX_E0_NS1_11comp_targetILNS1_3genE10ELNS1_11target_archE1201ELNS1_3gpuE5ELNS1_3repE0EEENS1_38merge_mergepath_config_static_selectorELNS0_4arch9wavefront6targetE1EEEvSJ_
	.globl	_ZN7rocprim17ROCPRIM_400000_NS6detail17trampoline_kernelINS0_14default_configENS1_38merge_sort_block_merge_config_selectorIjjEEZZNS1_27merge_sort_block_merge_implIS3_N6thrust23THRUST_200600_302600_NS6detail15normal_iteratorINS8_10device_ptrIjEEEESD_jNS1_19radix_merge_compareILb0ELb0EjNS0_19identity_decomposerEEEEE10hipError_tT0_T1_T2_jT3_P12ihipStream_tbPNSt15iterator_traitsISI_E10value_typeEPNSO_ISJ_E10value_typeEPSK_NS1_7vsmem_tEENKUlT_SI_SJ_SK_E_clISD_PjSD_S10_EESH_SX_SI_SJ_SK_EUlSX_E0_NS1_11comp_targetILNS1_3genE10ELNS1_11target_archE1201ELNS1_3gpuE5ELNS1_3repE0EEENS1_38merge_mergepath_config_static_selectorELNS0_4arch9wavefront6targetE1EEEvSJ_
	.p2align	8
	.type	_ZN7rocprim17ROCPRIM_400000_NS6detail17trampoline_kernelINS0_14default_configENS1_38merge_sort_block_merge_config_selectorIjjEEZZNS1_27merge_sort_block_merge_implIS3_N6thrust23THRUST_200600_302600_NS6detail15normal_iteratorINS8_10device_ptrIjEEEESD_jNS1_19radix_merge_compareILb0ELb0EjNS0_19identity_decomposerEEEEE10hipError_tT0_T1_T2_jT3_P12ihipStream_tbPNSt15iterator_traitsISI_E10value_typeEPNSO_ISJ_E10value_typeEPSK_NS1_7vsmem_tEENKUlT_SI_SJ_SK_E_clISD_PjSD_S10_EESH_SX_SI_SJ_SK_EUlSX_E0_NS1_11comp_targetILNS1_3genE10ELNS1_11target_archE1201ELNS1_3gpuE5ELNS1_3repE0EEENS1_38merge_mergepath_config_static_selectorELNS0_4arch9wavefront6targetE1EEEvSJ_,@function
_ZN7rocprim17ROCPRIM_400000_NS6detail17trampoline_kernelINS0_14default_configENS1_38merge_sort_block_merge_config_selectorIjjEEZZNS1_27merge_sort_block_merge_implIS3_N6thrust23THRUST_200600_302600_NS6detail15normal_iteratorINS8_10device_ptrIjEEEESD_jNS1_19radix_merge_compareILb0ELb0EjNS0_19identity_decomposerEEEEE10hipError_tT0_T1_T2_jT3_P12ihipStream_tbPNSt15iterator_traitsISI_E10value_typeEPNSO_ISJ_E10value_typeEPSK_NS1_7vsmem_tEENKUlT_SI_SJ_SK_E_clISD_PjSD_S10_EESH_SX_SI_SJ_SK_EUlSX_E0_NS1_11comp_targetILNS1_3genE10ELNS1_11target_archE1201ELNS1_3gpuE5ELNS1_3repE0EEENS1_38merge_mergepath_config_static_selectorELNS0_4arch9wavefront6targetE1EEEvSJ_: ; @_ZN7rocprim17ROCPRIM_400000_NS6detail17trampoline_kernelINS0_14default_configENS1_38merge_sort_block_merge_config_selectorIjjEEZZNS1_27merge_sort_block_merge_implIS3_N6thrust23THRUST_200600_302600_NS6detail15normal_iteratorINS8_10device_ptrIjEEEESD_jNS1_19radix_merge_compareILb0ELb0EjNS0_19identity_decomposerEEEEE10hipError_tT0_T1_T2_jT3_P12ihipStream_tbPNSt15iterator_traitsISI_E10value_typeEPNSO_ISJ_E10value_typeEPSK_NS1_7vsmem_tEENKUlT_SI_SJ_SK_E_clISD_PjSD_S10_EESH_SX_SI_SJ_SK_EUlSX_E0_NS1_11comp_targetILNS1_3genE10ELNS1_11target_archE1201ELNS1_3gpuE5ELNS1_3repE0EEENS1_38merge_mergepath_config_static_selectorELNS0_4arch9wavefront6targetE1EEEvSJ_
; %bb.0:
	.section	.rodata,"a",@progbits
	.p2align	6, 0x0
	.amdhsa_kernel _ZN7rocprim17ROCPRIM_400000_NS6detail17trampoline_kernelINS0_14default_configENS1_38merge_sort_block_merge_config_selectorIjjEEZZNS1_27merge_sort_block_merge_implIS3_N6thrust23THRUST_200600_302600_NS6detail15normal_iteratorINS8_10device_ptrIjEEEESD_jNS1_19radix_merge_compareILb0ELb0EjNS0_19identity_decomposerEEEEE10hipError_tT0_T1_T2_jT3_P12ihipStream_tbPNSt15iterator_traitsISI_E10value_typeEPNSO_ISJ_E10value_typeEPSK_NS1_7vsmem_tEENKUlT_SI_SJ_SK_E_clISD_PjSD_S10_EESH_SX_SI_SJ_SK_EUlSX_E0_NS1_11comp_targetILNS1_3genE10ELNS1_11target_archE1201ELNS1_3gpuE5ELNS1_3repE0EEENS1_38merge_mergepath_config_static_selectorELNS0_4arch9wavefront6targetE1EEEvSJ_
		.amdhsa_group_segment_fixed_size 0
		.amdhsa_private_segment_fixed_size 0
		.amdhsa_kernarg_size 64
		.amdhsa_user_sgpr_count 2
		.amdhsa_user_sgpr_dispatch_ptr 0
		.amdhsa_user_sgpr_queue_ptr 0
		.amdhsa_user_sgpr_kernarg_segment_ptr 1
		.amdhsa_user_sgpr_dispatch_id 0
		.amdhsa_user_sgpr_kernarg_preload_length 0
		.amdhsa_user_sgpr_kernarg_preload_offset 0
		.amdhsa_user_sgpr_private_segment_size 0
		.amdhsa_uses_dynamic_stack 0
		.amdhsa_enable_private_segment 0
		.amdhsa_system_sgpr_workgroup_id_x 1
		.amdhsa_system_sgpr_workgroup_id_y 0
		.amdhsa_system_sgpr_workgroup_id_z 0
		.amdhsa_system_sgpr_workgroup_info 0
		.amdhsa_system_vgpr_workitem_id 0
		.amdhsa_next_free_vgpr 1
		.amdhsa_next_free_sgpr 0
		.amdhsa_accum_offset 4
		.amdhsa_reserve_vcc 0
		.amdhsa_float_round_mode_32 0
		.amdhsa_float_round_mode_16_64 0
		.amdhsa_float_denorm_mode_32 3
		.amdhsa_float_denorm_mode_16_64 3
		.amdhsa_dx10_clamp 1
		.amdhsa_ieee_mode 1
		.amdhsa_fp16_overflow 0
		.amdhsa_tg_split 0
		.amdhsa_exception_fp_ieee_invalid_op 0
		.amdhsa_exception_fp_denorm_src 0
		.amdhsa_exception_fp_ieee_div_zero 0
		.amdhsa_exception_fp_ieee_overflow 0
		.amdhsa_exception_fp_ieee_underflow 0
		.amdhsa_exception_fp_ieee_inexact 0
		.amdhsa_exception_int_div_zero 0
	.end_amdhsa_kernel
	.section	.text._ZN7rocprim17ROCPRIM_400000_NS6detail17trampoline_kernelINS0_14default_configENS1_38merge_sort_block_merge_config_selectorIjjEEZZNS1_27merge_sort_block_merge_implIS3_N6thrust23THRUST_200600_302600_NS6detail15normal_iteratorINS8_10device_ptrIjEEEESD_jNS1_19radix_merge_compareILb0ELb0EjNS0_19identity_decomposerEEEEE10hipError_tT0_T1_T2_jT3_P12ihipStream_tbPNSt15iterator_traitsISI_E10value_typeEPNSO_ISJ_E10value_typeEPSK_NS1_7vsmem_tEENKUlT_SI_SJ_SK_E_clISD_PjSD_S10_EESH_SX_SI_SJ_SK_EUlSX_E0_NS1_11comp_targetILNS1_3genE10ELNS1_11target_archE1201ELNS1_3gpuE5ELNS1_3repE0EEENS1_38merge_mergepath_config_static_selectorELNS0_4arch9wavefront6targetE1EEEvSJ_,"axG",@progbits,_ZN7rocprim17ROCPRIM_400000_NS6detail17trampoline_kernelINS0_14default_configENS1_38merge_sort_block_merge_config_selectorIjjEEZZNS1_27merge_sort_block_merge_implIS3_N6thrust23THRUST_200600_302600_NS6detail15normal_iteratorINS8_10device_ptrIjEEEESD_jNS1_19radix_merge_compareILb0ELb0EjNS0_19identity_decomposerEEEEE10hipError_tT0_T1_T2_jT3_P12ihipStream_tbPNSt15iterator_traitsISI_E10value_typeEPNSO_ISJ_E10value_typeEPSK_NS1_7vsmem_tEENKUlT_SI_SJ_SK_E_clISD_PjSD_S10_EESH_SX_SI_SJ_SK_EUlSX_E0_NS1_11comp_targetILNS1_3genE10ELNS1_11target_archE1201ELNS1_3gpuE5ELNS1_3repE0EEENS1_38merge_mergepath_config_static_selectorELNS0_4arch9wavefront6targetE1EEEvSJ_,comdat
.Lfunc_end652:
	.size	_ZN7rocprim17ROCPRIM_400000_NS6detail17trampoline_kernelINS0_14default_configENS1_38merge_sort_block_merge_config_selectorIjjEEZZNS1_27merge_sort_block_merge_implIS3_N6thrust23THRUST_200600_302600_NS6detail15normal_iteratorINS8_10device_ptrIjEEEESD_jNS1_19radix_merge_compareILb0ELb0EjNS0_19identity_decomposerEEEEE10hipError_tT0_T1_T2_jT3_P12ihipStream_tbPNSt15iterator_traitsISI_E10value_typeEPNSO_ISJ_E10value_typeEPSK_NS1_7vsmem_tEENKUlT_SI_SJ_SK_E_clISD_PjSD_S10_EESH_SX_SI_SJ_SK_EUlSX_E0_NS1_11comp_targetILNS1_3genE10ELNS1_11target_archE1201ELNS1_3gpuE5ELNS1_3repE0EEENS1_38merge_mergepath_config_static_selectorELNS0_4arch9wavefront6targetE1EEEvSJ_, .Lfunc_end652-_ZN7rocprim17ROCPRIM_400000_NS6detail17trampoline_kernelINS0_14default_configENS1_38merge_sort_block_merge_config_selectorIjjEEZZNS1_27merge_sort_block_merge_implIS3_N6thrust23THRUST_200600_302600_NS6detail15normal_iteratorINS8_10device_ptrIjEEEESD_jNS1_19radix_merge_compareILb0ELb0EjNS0_19identity_decomposerEEEEE10hipError_tT0_T1_T2_jT3_P12ihipStream_tbPNSt15iterator_traitsISI_E10value_typeEPNSO_ISJ_E10value_typeEPSK_NS1_7vsmem_tEENKUlT_SI_SJ_SK_E_clISD_PjSD_S10_EESH_SX_SI_SJ_SK_EUlSX_E0_NS1_11comp_targetILNS1_3genE10ELNS1_11target_archE1201ELNS1_3gpuE5ELNS1_3repE0EEENS1_38merge_mergepath_config_static_selectorELNS0_4arch9wavefront6targetE1EEEvSJ_
                                        ; -- End function
	.set _ZN7rocprim17ROCPRIM_400000_NS6detail17trampoline_kernelINS0_14default_configENS1_38merge_sort_block_merge_config_selectorIjjEEZZNS1_27merge_sort_block_merge_implIS3_N6thrust23THRUST_200600_302600_NS6detail15normal_iteratorINS8_10device_ptrIjEEEESD_jNS1_19radix_merge_compareILb0ELb0EjNS0_19identity_decomposerEEEEE10hipError_tT0_T1_T2_jT3_P12ihipStream_tbPNSt15iterator_traitsISI_E10value_typeEPNSO_ISJ_E10value_typeEPSK_NS1_7vsmem_tEENKUlT_SI_SJ_SK_E_clISD_PjSD_S10_EESH_SX_SI_SJ_SK_EUlSX_E0_NS1_11comp_targetILNS1_3genE10ELNS1_11target_archE1201ELNS1_3gpuE5ELNS1_3repE0EEENS1_38merge_mergepath_config_static_selectorELNS0_4arch9wavefront6targetE1EEEvSJ_.num_vgpr, 0
	.set _ZN7rocprim17ROCPRIM_400000_NS6detail17trampoline_kernelINS0_14default_configENS1_38merge_sort_block_merge_config_selectorIjjEEZZNS1_27merge_sort_block_merge_implIS3_N6thrust23THRUST_200600_302600_NS6detail15normal_iteratorINS8_10device_ptrIjEEEESD_jNS1_19radix_merge_compareILb0ELb0EjNS0_19identity_decomposerEEEEE10hipError_tT0_T1_T2_jT3_P12ihipStream_tbPNSt15iterator_traitsISI_E10value_typeEPNSO_ISJ_E10value_typeEPSK_NS1_7vsmem_tEENKUlT_SI_SJ_SK_E_clISD_PjSD_S10_EESH_SX_SI_SJ_SK_EUlSX_E0_NS1_11comp_targetILNS1_3genE10ELNS1_11target_archE1201ELNS1_3gpuE5ELNS1_3repE0EEENS1_38merge_mergepath_config_static_selectorELNS0_4arch9wavefront6targetE1EEEvSJ_.num_agpr, 0
	.set _ZN7rocprim17ROCPRIM_400000_NS6detail17trampoline_kernelINS0_14default_configENS1_38merge_sort_block_merge_config_selectorIjjEEZZNS1_27merge_sort_block_merge_implIS3_N6thrust23THRUST_200600_302600_NS6detail15normal_iteratorINS8_10device_ptrIjEEEESD_jNS1_19radix_merge_compareILb0ELb0EjNS0_19identity_decomposerEEEEE10hipError_tT0_T1_T2_jT3_P12ihipStream_tbPNSt15iterator_traitsISI_E10value_typeEPNSO_ISJ_E10value_typeEPSK_NS1_7vsmem_tEENKUlT_SI_SJ_SK_E_clISD_PjSD_S10_EESH_SX_SI_SJ_SK_EUlSX_E0_NS1_11comp_targetILNS1_3genE10ELNS1_11target_archE1201ELNS1_3gpuE5ELNS1_3repE0EEENS1_38merge_mergepath_config_static_selectorELNS0_4arch9wavefront6targetE1EEEvSJ_.numbered_sgpr, 0
	.set _ZN7rocprim17ROCPRIM_400000_NS6detail17trampoline_kernelINS0_14default_configENS1_38merge_sort_block_merge_config_selectorIjjEEZZNS1_27merge_sort_block_merge_implIS3_N6thrust23THRUST_200600_302600_NS6detail15normal_iteratorINS8_10device_ptrIjEEEESD_jNS1_19radix_merge_compareILb0ELb0EjNS0_19identity_decomposerEEEEE10hipError_tT0_T1_T2_jT3_P12ihipStream_tbPNSt15iterator_traitsISI_E10value_typeEPNSO_ISJ_E10value_typeEPSK_NS1_7vsmem_tEENKUlT_SI_SJ_SK_E_clISD_PjSD_S10_EESH_SX_SI_SJ_SK_EUlSX_E0_NS1_11comp_targetILNS1_3genE10ELNS1_11target_archE1201ELNS1_3gpuE5ELNS1_3repE0EEENS1_38merge_mergepath_config_static_selectorELNS0_4arch9wavefront6targetE1EEEvSJ_.num_named_barrier, 0
	.set _ZN7rocprim17ROCPRIM_400000_NS6detail17trampoline_kernelINS0_14default_configENS1_38merge_sort_block_merge_config_selectorIjjEEZZNS1_27merge_sort_block_merge_implIS3_N6thrust23THRUST_200600_302600_NS6detail15normal_iteratorINS8_10device_ptrIjEEEESD_jNS1_19radix_merge_compareILb0ELb0EjNS0_19identity_decomposerEEEEE10hipError_tT0_T1_T2_jT3_P12ihipStream_tbPNSt15iterator_traitsISI_E10value_typeEPNSO_ISJ_E10value_typeEPSK_NS1_7vsmem_tEENKUlT_SI_SJ_SK_E_clISD_PjSD_S10_EESH_SX_SI_SJ_SK_EUlSX_E0_NS1_11comp_targetILNS1_3genE10ELNS1_11target_archE1201ELNS1_3gpuE5ELNS1_3repE0EEENS1_38merge_mergepath_config_static_selectorELNS0_4arch9wavefront6targetE1EEEvSJ_.private_seg_size, 0
	.set _ZN7rocprim17ROCPRIM_400000_NS6detail17trampoline_kernelINS0_14default_configENS1_38merge_sort_block_merge_config_selectorIjjEEZZNS1_27merge_sort_block_merge_implIS3_N6thrust23THRUST_200600_302600_NS6detail15normal_iteratorINS8_10device_ptrIjEEEESD_jNS1_19radix_merge_compareILb0ELb0EjNS0_19identity_decomposerEEEEE10hipError_tT0_T1_T2_jT3_P12ihipStream_tbPNSt15iterator_traitsISI_E10value_typeEPNSO_ISJ_E10value_typeEPSK_NS1_7vsmem_tEENKUlT_SI_SJ_SK_E_clISD_PjSD_S10_EESH_SX_SI_SJ_SK_EUlSX_E0_NS1_11comp_targetILNS1_3genE10ELNS1_11target_archE1201ELNS1_3gpuE5ELNS1_3repE0EEENS1_38merge_mergepath_config_static_selectorELNS0_4arch9wavefront6targetE1EEEvSJ_.uses_vcc, 0
	.set _ZN7rocprim17ROCPRIM_400000_NS6detail17trampoline_kernelINS0_14default_configENS1_38merge_sort_block_merge_config_selectorIjjEEZZNS1_27merge_sort_block_merge_implIS3_N6thrust23THRUST_200600_302600_NS6detail15normal_iteratorINS8_10device_ptrIjEEEESD_jNS1_19radix_merge_compareILb0ELb0EjNS0_19identity_decomposerEEEEE10hipError_tT0_T1_T2_jT3_P12ihipStream_tbPNSt15iterator_traitsISI_E10value_typeEPNSO_ISJ_E10value_typeEPSK_NS1_7vsmem_tEENKUlT_SI_SJ_SK_E_clISD_PjSD_S10_EESH_SX_SI_SJ_SK_EUlSX_E0_NS1_11comp_targetILNS1_3genE10ELNS1_11target_archE1201ELNS1_3gpuE5ELNS1_3repE0EEENS1_38merge_mergepath_config_static_selectorELNS0_4arch9wavefront6targetE1EEEvSJ_.uses_flat_scratch, 0
	.set _ZN7rocprim17ROCPRIM_400000_NS6detail17trampoline_kernelINS0_14default_configENS1_38merge_sort_block_merge_config_selectorIjjEEZZNS1_27merge_sort_block_merge_implIS3_N6thrust23THRUST_200600_302600_NS6detail15normal_iteratorINS8_10device_ptrIjEEEESD_jNS1_19radix_merge_compareILb0ELb0EjNS0_19identity_decomposerEEEEE10hipError_tT0_T1_T2_jT3_P12ihipStream_tbPNSt15iterator_traitsISI_E10value_typeEPNSO_ISJ_E10value_typeEPSK_NS1_7vsmem_tEENKUlT_SI_SJ_SK_E_clISD_PjSD_S10_EESH_SX_SI_SJ_SK_EUlSX_E0_NS1_11comp_targetILNS1_3genE10ELNS1_11target_archE1201ELNS1_3gpuE5ELNS1_3repE0EEENS1_38merge_mergepath_config_static_selectorELNS0_4arch9wavefront6targetE1EEEvSJ_.has_dyn_sized_stack, 0
	.set _ZN7rocprim17ROCPRIM_400000_NS6detail17trampoline_kernelINS0_14default_configENS1_38merge_sort_block_merge_config_selectorIjjEEZZNS1_27merge_sort_block_merge_implIS3_N6thrust23THRUST_200600_302600_NS6detail15normal_iteratorINS8_10device_ptrIjEEEESD_jNS1_19radix_merge_compareILb0ELb0EjNS0_19identity_decomposerEEEEE10hipError_tT0_T1_T2_jT3_P12ihipStream_tbPNSt15iterator_traitsISI_E10value_typeEPNSO_ISJ_E10value_typeEPSK_NS1_7vsmem_tEENKUlT_SI_SJ_SK_E_clISD_PjSD_S10_EESH_SX_SI_SJ_SK_EUlSX_E0_NS1_11comp_targetILNS1_3genE10ELNS1_11target_archE1201ELNS1_3gpuE5ELNS1_3repE0EEENS1_38merge_mergepath_config_static_selectorELNS0_4arch9wavefront6targetE1EEEvSJ_.has_recursion, 0
	.set _ZN7rocprim17ROCPRIM_400000_NS6detail17trampoline_kernelINS0_14default_configENS1_38merge_sort_block_merge_config_selectorIjjEEZZNS1_27merge_sort_block_merge_implIS3_N6thrust23THRUST_200600_302600_NS6detail15normal_iteratorINS8_10device_ptrIjEEEESD_jNS1_19radix_merge_compareILb0ELb0EjNS0_19identity_decomposerEEEEE10hipError_tT0_T1_T2_jT3_P12ihipStream_tbPNSt15iterator_traitsISI_E10value_typeEPNSO_ISJ_E10value_typeEPSK_NS1_7vsmem_tEENKUlT_SI_SJ_SK_E_clISD_PjSD_S10_EESH_SX_SI_SJ_SK_EUlSX_E0_NS1_11comp_targetILNS1_3genE10ELNS1_11target_archE1201ELNS1_3gpuE5ELNS1_3repE0EEENS1_38merge_mergepath_config_static_selectorELNS0_4arch9wavefront6targetE1EEEvSJ_.has_indirect_call, 0
	.section	.AMDGPU.csdata,"",@progbits
; Kernel info:
; codeLenInByte = 0
; TotalNumSgprs: 6
; NumVgprs: 0
; NumAgprs: 0
; TotalNumVgprs: 0
; ScratchSize: 0
; MemoryBound: 0
; FloatMode: 240
; IeeeMode: 1
; LDSByteSize: 0 bytes/workgroup (compile time only)
; SGPRBlocks: 0
; VGPRBlocks: 0
; NumSGPRsForWavesPerEU: 6
; NumVGPRsForWavesPerEU: 1
; AccumOffset: 4
; Occupancy: 8
; WaveLimiterHint : 0
; COMPUTE_PGM_RSRC2:SCRATCH_EN: 0
; COMPUTE_PGM_RSRC2:USER_SGPR: 2
; COMPUTE_PGM_RSRC2:TRAP_HANDLER: 0
; COMPUTE_PGM_RSRC2:TGID_X_EN: 1
; COMPUTE_PGM_RSRC2:TGID_Y_EN: 0
; COMPUTE_PGM_RSRC2:TGID_Z_EN: 0
; COMPUTE_PGM_RSRC2:TIDIG_COMP_CNT: 0
; COMPUTE_PGM_RSRC3_GFX90A:ACCUM_OFFSET: 0
; COMPUTE_PGM_RSRC3_GFX90A:TG_SPLIT: 0
	.section	.text._ZN7rocprim17ROCPRIM_400000_NS6detail17trampoline_kernelINS0_14default_configENS1_38merge_sort_block_merge_config_selectorIjjEEZZNS1_27merge_sort_block_merge_implIS3_N6thrust23THRUST_200600_302600_NS6detail15normal_iteratorINS8_10device_ptrIjEEEESD_jNS1_19radix_merge_compareILb0ELb0EjNS0_19identity_decomposerEEEEE10hipError_tT0_T1_T2_jT3_P12ihipStream_tbPNSt15iterator_traitsISI_E10value_typeEPNSO_ISJ_E10value_typeEPSK_NS1_7vsmem_tEENKUlT_SI_SJ_SK_E_clISD_PjSD_S10_EESH_SX_SI_SJ_SK_EUlSX_E0_NS1_11comp_targetILNS1_3genE5ELNS1_11target_archE942ELNS1_3gpuE9ELNS1_3repE0EEENS1_38merge_mergepath_config_static_selectorELNS0_4arch9wavefront6targetE1EEEvSJ_,"axG",@progbits,_ZN7rocprim17ROCPRIM_400000_NS6detail17trampoline_kernelINS0_14default_configENS1_38merge_sort_block_merge_config_selectorIjjEEZZNS1_27merge_sort_block_merge_implIS3_N6thrust23THRUST_200600_302600_NS6detail15normal_iteratorINS8_10device_ptrIjEEEESD_jNS1_19radix_merge_compareILb0ELb0EjNS0_19identity_decomposerEEEEE10hipError_tT0_T1_T2_jT3_P12ihipStream_tbPNSt15iterator_traitsISI_E10value_typeEPNSO_ISJ_E10value_typeEPSK_NS1_7vsmem_tEENKUlT_SI_SJ_SK_E_clISD_PjSD_S10_EESH_SX_SI_SJ_SK_EUlSX_E0_NS1_11comp_targetILNS1_3genE5ELNS1_11target_archE942ELNS1_3gpuE9ELNS1_3repE0EEENS1_38merge_mergepath_config_static_selectorELNS0_4arch9wavefront6targetE1EEEvSJ_,comdat
	.protected	_ZN7rocprim17ROCPRIM_400000_NS6detail17trampoline_kernelINS0_14default_configENS1_38merge_sort_block_merge_config_selectorIjjEEZZNS1_27merge_sort_block_merge_implIS3_N6thrust23THRUST_200600_302600_NS6detail15normal_iteratorINS8_10device_ptrIjEEEESD_jNS1_19radix_merge_compareILb0ELb0EjNS0_19identity_decomposerEEEEE10hipError_tT0_T1_T2_jT3_P12ihipStream_tbPNSt15iterator_traitsISI_E10value_typeEPNSO_ISJ_E10value_typeEPSK_NS1_7vsmem_tEENKUlT_SI_SJ_SK_E_clISD_PjSD_S10_EESH_SX_SI_SJ_SK_EUlSX_E0_NS1_11comp_targetILNS1_3genE5ELNS1_11target_archE942ELNS1_3gpuE9ELNS1_3repE0EEENS1_38merge_mergepath_config_static_selectorELNS0_4arch9wavefront6targetE1EEEvSJ_ ; -- Begin function _ZN7rocprim17ROCPRIM_400000_NS6detail17trampoline_kernelINS0_14default_configENS1_38merge_sort_block_merge_config_selectorIjjEEZZNS1_27merge_sort_block_merge_implIS3_N6thrust23THRUST_200600_302600_NS6detail15normal_iteratorINS8_10device_ptrIjEEEESD_jNS1_19radix_merge_compareILb0ELb0EjNS0_19identity_decomposerEEEEE10hipError_tT0_T1_T2_jT3_P12ihipStream_tbPNSt15iterator_traitsISI_E10value_typeEPNSO_ISJ_E10value_typeEPSK_NS1_7vsmem_tEENKUlT_SI_SJ_SK_E_clISD_PjSD_S10_EESH_SX_SI_SJ_SK_EUlSX_E0_NS1_11comp_targetILNS1_3genE5ELNS1_11target_archE942ELNS1_3gpuE9ELNS1_3repE0EEENS1_38merge_mergepath_config_static_selectorELNS0_4arch9wavefront6targetE1EEEvSJ_
	.globl	_ZN7rocprim17ROCPRIM_400000_NS6detail17trampoline_kernelINS0_14default_configENS1_38merge_sort_block_merge_config_selectorIjjEEZZNS1_27merge_sort_block_merge_implIS3_N6thrust23THRUST_200600_302600_NS6detail15normal_iteratorINS8_10device_ptrIjEEEESD_jNS1_19radix_merge_compareILb0ELb0EjNS0_19identity_decomposerEEEEE10hipError_tT0_T1_T2_jT3_P12ihipStream_tbPNSt15iterator_traitsISI_E10value_typeEPNSO_ISJ_E10value_typeEPSK_NS1_7vsmem_tEENKUlT_SI_SJ_SK_E_clISD_PjSD_S10_EESH_SX_SI_SJ_SK_EUlSX_E0_NS1_11comp_targetILNS1_3genE5ELNS1_11target_archE942ELNS1_3gpuE9ELNS1_3repE0EEENS1_38merge_mergepath_config_static_selectorELNS0_4arch9wavefront6targetE1EEEvSJ_
	.p2align	8
	.type	_ZN7rocprim17ROCPRIM_400000_NS6detail17trampoline_kernelINS0_14default_configENS1_38merge_sort_block_merge_config_selectorIjjEEZZNS1_27merge_sort_block_merge_implIS3_N6thrust23THRUST_200600_302600_NS6detail15normal_iteratorINS8_10device_ptrIjEEEESD_jNS1_19radix_merge_compareILb0ELb0EjNS0_19identity_decomposerEEEEE10hipError_tT0_T1_T2_jT3_P12ihipStream_tbPNSt15iterator_traitsISI_E10value_typeEPNSO_ISJ_E10value_typeEPSK_NS1_7vsmem_tEENKUlT_SI_SJ_SK_E_clISD_PjSD_S10_EESH_SX_SI_SJ_SK_EUlSX_E0_NS1_11comp_targetILNS1_3genE5ELNS1_11target_archE942ELNS1_3gpuE9ELNS1_3repE0EEENS1_38merge_mergepath_config_static_selectorELNS0_4arch9wavefront6targetE1EEEvSJ_,@function
_ZN7rocprim17ROCPRIM_400000_NS6detail17trampoline_kernelINS0_14default_configENS1_38merge_sort_block_merge_config_selectorIjjEEZZNS1_27merge_sort_block_merge_implIS3_N6thrust23THRUST_200600_302600_NS6detail15normal_iteratorINS8_10device_ptrIjEEEESD_jNS1_19radix_merge_compareILb0ELb0EjNS0_19identity_decomposerEEEEE10hipError_tT0_T1_T2_jT3_P12ihipStream_tbPNSt15iterator_traitsISI_E10value_typeEPNSO_ISJ_E10value_typeEPSK_NS1_7vsmem_tEENKUlT_SI_SJ_SK_E_clISD_PjSD_S10_EESH_SX_SI_SJ_SK_EUlSX_E0_NS1_11comp_targetILNS1_3genE5ELNS1_11target_archE942ELNS1_3gpuE9ELNS1_3repE0EEENS1_38merge_mergepath_config_static_selectorELNS0_4arch9wavefront6targetE1EEEvSJ_: ; @_ZN7rocprim17ROCPRIM_400000_NS6detail17trampoline_kernelINS0_14default_configENS1_38merge_sort_block_merge_config_selectorIjjEEZZNS1_27merge_sort_block_merge_implIS3_N6thrust23THRUST_200600_302600_NS6detail15normal_iteratorINS8_10device_ptrIjEEEESD_jNS1_19radix_merge_compareILb0ELb0EjNS0_19identity_decomposerEEEEE10hipError_tT0_T1_T2_jT3_P12ihipStream_tbPNSt15iterator_traitsISI_E10value_typeEPNSO_ISJ_E10value_typeEPSK_NS1_7vsmem_tEENKUlT_SI_SJ_SK_E_clISD_PjSD_S10_EESH_SX_SI_SJ_SK_EUlSX_E0_NS1_11comp_targetILNS1_3genE5ELNS1_11target_archE942ELNS1_3gpuE9ELNS1_3repE0EEENS1_38merge_mergepath_config_static_selectorELNS0_4arch9wavefront6targetE1EEEvSJ_
; %bb.0:
	.section	.rodata,"a",@progbits
	.p2align	6, 0x0
	.amdhsa_kernel _ZN7rocprim17ROCPRIM_400000_NS6detail17trampoline_kernelINS0_14default_configENS1_38merge_sort_block_merge_config_selectorIjjEEZZNS1_27merge_sort_block_merge_implIS3_N6thrust23THRUST_200600_302600_NS6detail15normal_iteratorINS8_10device_ptrIjEEEESD_jNS1_19radix_merge_compareILb0ELb0EjNS0_19identity_decomposerEEEEE10hipError_tT0_T1_T2_jT3_P12ihipStream_tbPNSt15iterator_traitsISI_E10value_typeEPNSO_ISJ_E10value_typeEPSK_NS1_7vsmem_tEENKUlT_SI_SJ_SK_E_clISD_PjSD_S10_EESH_SX_SI_SJ_SK_EUlSX_E0_NS1_11comp_targetILNS1_3genE5ELNS1_11target_archE942ELNS1_3gpuE9ELNS1_3repE0EEENS1_38merge_mergepath_config_static_selectorELNS0_4arch9wavefront6targetE1EEEvSJ_
		.amdhsa_group_segment_fixed_size 0
		.amdhsa_private_segment_fixed_size 0
		.amdhsa_kernarg_size 64
		.amdhsa_user_sgpr_count 2
		.amdhsa_user_sgpr_dispatch_ptr 0
		.amdhsa_user_sgpr_queue_ptr 0
		.amdhsa_user_sgpr_kernarg_segment_ptr 1
		.amdhsa_user_sgpr_dispatch_id 0
		.amdhsa_user_sgpr_kernarg_preload_length 0
		.amdhsa_user_sgpr_kernarg_preload_offset 0
		.amdhsa_user_sgpr_private_segment_size 0
		.amdhsa_uses_dynamic_stack 0
		.amdhsa_enable_private_segment 0
		.amdhsa_system_sgpr_workgroup_id_x 1
		.amdhsa_system_sgpr_workgroup_id_y 0
		.amdhsa_system_sgpr_workgroup_id_z 0
		.amdhsa_system_sgpr_workgroup_info 0
		.amdhsa_system_vgpr_workitem_id 0
		.amdhsa_next_free_vgpr 1
		.amdhsa_next_free_sgpr 0
		.amdhsa_accum_offset 4
		.amdhsa_reserve_vcc 0
		.amdhsa_float_round_mode_32 0
		.amdhsa_float_round_mode_16_64 0
		.amdhsa_float_denorm_mode_32 3
		.amdhsa_float_denorm_mode_16_64 3
		.amdhsa_dx10_clamp 1
		.amdhsa_ieee_mode 1
		.amdhsa_fp16_overflow 0
		.amdhsa_tg_split 0
		.amdhsa_exception_fp_ieee_invalid_op 0
		.amdhsa_exception_fp_denorm_src 0
		.amdhsa_exception_fp_ieee_div_zero 0
		.amdhsa_exception_fp_ieee_overflow 0
		.amdhsa_exception_fp_ieee_underflow 0
		.amdhsa_exception_fp_ieee_inexact 0
		.amdhsa_exception_int_div_zero 0
	.end_amdhsa_kernel
	.section	.text._ZN7rocprim17ROCPRIM_400000_NS6detail17trampoline_kernelINS0_14default_configENS1_38merge_sort_block_merge_config_selectorIjjEEZZNS1_27merge_sort_block_merge_implIS3_N6thrust23THRUST_200600_302600_NS6detail15normal_iteratorINS8_10device_ptrIjEEEESD_jNS1_19radix_merge_compareILb0ELb0EjNS0_19identity_decomposerEEEEE10hipError_tT0_T1_T2_jT3_P12ihipStream_tbPNSt15iterator_traitsISI_E10value_typeEPNSO_ISJ_E10value_typeEPSK_NS1_7vsmem_tEENKUlT_SI_SJ_SK_E_clISD_PjSD_S10_EESH_SX_SI_SJ_SK_EUlSX_E0_NS1_11comp_targetILNS1_3genE5ELNS1_11target_archE942ELNS1_3gpuE9ELNS1_3repE0EEENS1_38merge_mergepath_config_static_selectorELNS0_4arch9wavefront6targetE1EEEvSJ_,"axG",@progbits,_ZN7rocprim17ROCPRIM_400000_NS6detail17trampoline_kernelINS0_14default_configENS1_38merge_sort_block_merge_config_selectorIjjEEZZNS1_27merge_sort_block_merge_implIS3_N6thrust23THRUST_200600_302600_NS6detail15normal_iteratorINS8_10device_ptrIjEEEESD_jNS1_19radix_merge_compareILb0ELb0EjNS0_19identity_decomposerEEEEE10hipError_tT0_T1_T2_jT3_P12ihipStream_tbPNSt15iterator_traitsISI_E10value_typeEPNSO_ISJ_E10value_typeEPSK_NS1_7vsmem_tEENKUlT_SI_SJ_SK_E_clISD_PjSD_S10_EESH_SX_SI_SJ_SK_EUlSX_E0_NS1_11comp_targetILNS1_3genE5ELNS1_11target_archE942ELNS1_3gpuE9ELNS1_3repE0EEENS1_38merge_mergepath_config_static_selectorELNS0_4arch9wavefront6targetE1EEEvSJ_,comdat
.Lfunc_end653:
	.size	_ZN7rocprim17ROCPRIM_400000_NS6detail17trampoline_kernelINS0_14default_configENS1_38merge_sort_block_merge_config_selectorIjjEEZZNS1_27merge_sort_block_merge_implIS3_N6thrust23THRUST_200600_302600_NS6detail15normal_iteratorINS8_10device_ptrIjEEEESD_jNS1_19radix_merge_compareILb0ELb0EjNS0_19identity_decomposerEEEEE10hipError_tT0_T1_T2_jT3_P12ihipStream_tbPNSt15iterator_traitsISI_E10value_typeEPNSO_ISJ_E10value_typeEPSK_NS1_7vsmem_tEENKUlT_SI_SJ_SK_E_clISD_PjSD_S10_EESH_SX_SI_SJ_SK_EUlSX_E0_NS1_11comp_targetILNS1_3genE5ELNS1_11target_archE942ELNS1_3gpuE9ELNS1_3repE0EEENS1_38merge_mergepath_config_static_selectorELNS0_4arch9wavefront6targetE1EEEvSJ_, .Lfunc_end653-_ZN7rocprim17ROCPRIM_400000_NS6detail17trampoline_kernelINS0_14default_configENS1_38merge_sort_block_merge_config_selectorIjjEEZZNS1_27merge_sort_block_merge_implIS3_N6thrust23THRUST_200600_302600_NS6detail15normal_iteratorINS8_10device_ptrIjEEEESD_jNS1_19radix_merge_compareILb0ELb0EjNS0_19identity_decomposerEEEEE10hipError_tT0_T1_T2_jT3_P12ihipStream_tbPNSt15iterator_traitsISI_E10value_typeEPNSO_ISJ_E10value_typeEPSK_NS1_7vsmem_tEENKUlT_SI_SJ_SK_E_clISD_PjSD_S10_EESH_SX_SI_SJ_SK_EUlSX_E0_NS1_11comp_targetILNS1_3genE5ELNS1_11target_archE942ELNS1_3gpuE9ELNS1_3repE0EEENS1_38merge_mergepath_config_static_selectorELNS0_4arch9wavefront6targetE1EEEvSJ_
                                        ; -- End function
	.set _ZN7rocprim17ROCPRIM_400000_NS6detail17trampoline_kernelINS0_14default_configENS1_38merge_sort_block_merge_config_selectorIjjEEZZNS1_27merge_sort_block_merge_implIS3_N6thrust23THRUST_200600_302600_NS6detail15normal_iteratorINS8_10device_ptrIjEEEESD_jNS1_19radix_merge_compareILb0ELb0EjNS0_19identity_decomposerEEEEE10hipError_tT0_T1_T2_jT3_P12ihipStream_tbPNSt15iterator_traitsISI_E10value_typeEPNSO_ISJ_E10value_typeEPSK_NS1_7vsmem_tEENKUlT_SI_SJ_SK_E_clISD_PjSD_S10_EESH_SX_SI_SJ_SK_EUlSX_E0_NS1_11comp_targetILNS1_3genE5ELNS1_11target_archE942ELNS1_3gpuE9ELNS1_3repE0EEENS1_38merge_mergepath_config_static_selectorELNS0_4arch9wavefront6targetE1EEEvSJ_.num_vgpr, 0
	.set _ZN7rocprim17ROCPRIM_400000_NS6detail17trampoline_kernelINS0_14default_configENS1_38merge_sort_block_merge_config_selectorIjjEEZZNS1_27merge_sort_block_merge_implIS3_N6thrust23THRUST_200600_302600_NS6detail15normal_iteratorINS8_10device_ptrIjEEEESD_jNS1_19radix_merge_compareILb0ELb0EjNS0_19identity_decomposerEEEEE10hipError_tT0_T1_T2_jT3_P12ihipStream_tbPNSt15iterator_traitsISI_E10value_typeEPNSO_ISJ_E10value_typeEPSK_NS1_7vsmem_tEENKUlT_SI_SJ_SK_E_clISD_PjSD_S10_EESH_SX_SI_SJ_SK_EUlSX_E0_NS1_11comp_targetILNS1_3genE5ELNS1_11target_archE942ELNS1_3gpuE9ELNS1_3repE0EEENS1_38merge_mergepath_config_static_selectorELNS0_4arch9wavefront6targetE1EEEvSJ_.num_agpr, 0
	.set _ZN7rocprim17ROCPRIM_400000_NS6detail17trampoline_kernelINS0_14default_configENS1_38merge_sort_block_merge_config_selectorIjjEEZZNS1_27merge_sort_block_merge_implIS3_N6thrust23THRUST_200600_302600_NS6detail15normal_iteratorINS8_10device_ptrIjEEEESD_jNS1_19radix_merge_compareILb0ELb0EjNS0_19identity_decomposerEEEEE10hipError_tT0_T1_T2_jT3_P12ihipStream_tbPNSt15iterator_traitsISI_E10value_typeEPNSO_ISJ_E10value_typeEPSK_NS1_7vsmem_tEENKUlT_SI_SJ_SK_E_clISD_PjSD_S10_EESH_SX_SI_SJ_SK_EUlSX_E0_NS1_11comp_targetILNS1_3genE5ELNS1_11target_archE942ELNS1_3gpuE9ELNS1_3repE0EEENS1_38merge_mergepath_config_static_selectorELNS0_4arch9wavefront6targetE1EEEvSJ_.numbered_sgpr, 0
	.set _ZN7rocprim17ROCPRIM_400000_NS6detail17trampoline_kernelINS0_14default_configENS1_38merge_sort_block_merge_config_selectorIjjEEZZNS1_27merge_sort_block_merge_implIS3_N6thrust23THRUST_200600_302600_NS6detail15normal_iteratorINS8_10device_ptrIjEEEESD_jNS1_19radix_merge_compareILb0ELb0EjNS0_19identity_decomposerEEEEE10hipError_tT0_T1_T2_jT3_P12ihipStream_tbPNSt15iterator_traitsISI_E10value_typeEPNSO_ISJ_E10value_typeEPSK_NS1_7vsmem_tEENKUlT_SI_SJ_SK_E_clISD_PjSD_S10_EESH_SX_SI_SJ_SK_EUlSX_E0_NS1_11comp_targetILNS1_3genE5ELNS1_11target_archE942ELNS1_3gpuE9ELNS1_3repE0EEENS1_38merge_mergepath_config_static_selectorELNS0_4arch9wavefront6targetE1EEEvSJ_.num_named_barrier, 0
	.set _ZN7rocprim17ROCPRIM_400000_NS6detail17trampoline_kernelINS0_14default_configENS1_38merge_sort_block_merge_config_selectorIjjEEZZNS1_27merge_sort_block_merge_implIS3_N6thrust23THRUST_200600_302600_NS6detail15normal_iteratorINS8_10device_ptrIjEEEESD_jNS1_19radix_merge_compareILb0ELb0EjNS0_19identity_decomposerEEEEE10hipError_tT0_T1_T2_jT3_P12ihipStream_tbPNSt15iterator_traitsISI_E10value_typeEPNSO_ISJ_E10value_typeEPSK_NS1_7vsmem_tEENKUlT_SI_SJ_SK_E_clISD_PjSD_S10_EESH_SX_SI_SJ_SK_EUlSX_E0_NS1_11comp_targetILNS1_3genE5ELNS1_11target_archE942ELNS1_3gpuE9ELNS1_3repE0EEENS1_38merge_mergepath_config_static_selectorELNS0_4arch9wavefront6targetE1EEEvSJ_.private_seg_size, 0
	.set _ZN7rocprim17ROCPRIM_400000_NS6detail17trampoline_kernelINS0_14default_configENS1_38merge_sort_block_merge_config_selectorIjjEEZZNS1_27merge_sort_block_merge_implIS3_N6thrust23THRUST_200600_302600_NS6detail15normal_iteratorINS8_10device_ptrIjEEEESD_jNS1_19radix_merge_compareILb0ELb0EjNS0_19identity_decomposerEEEEE10hipError_tT0_T1_T2_jT3_P12ihipStream_tbPNSt15iterator_traitsISI_E10value_typeEPNSO_ISJ_E10value_typeEPSK_NS1_7vsmem_tEENKUlT_SI_SJ_SK_E_clISD_PjSD_S10_EESH_SX_SI_SJ_SK_EUlSX_E0_NS1_11comp_targetILNS1_3genE5ELNS1_11target_archE942ELNS1_3gpuE9ELNS1_3repE0EEENS1_38merge_mergepath_config_static_selectorELNS0_4arch9wavefront6targetE1EEEvSJ_.uses_vcc, 0
	.set _ZN7rocprim17ROCPRIM_400000_NS6detail17trampoline_kernelINS0_14default_configENS1_38merge_sort_block_merge_config_selectorIjjEEZZNS1_27merge_sort_block_merge_implIS3_N6thrust23THRUST_200600_302600_NS6detail15normal_iteratorINS8_10device_ptrIjEEEESD_jNS1_19radix_merge_compareILb0ELb0EjNS0_19identity_decomposerEEEEE10hipError_tT0_T1_T2_jT3_P12ihipStream_tbPNSt15iterator_traitsISI_E10value_typeEPNSO_ISJ_E10value_typeEPSK_NS1_7vsmem_tEENKUlT_SI_SJ_SK_E_clISD_PjSD_S10_EESH_SX_SI_SJ_SK_EUlSX_E0_NS1_11comp_targetILNS1_3genE5ELNS1_11target_archE942ELNS1_3gpuE9ELNS1_3repE0EEENS1_38merge_mergepath_config_static_selectorELNS0_4arch9wavefront6targetE1EEEvSJ_.uses_flat_scratch, 0
	.set _ZN7rocprim17ROCPRIM_400000_NS6detail17trampoline_kernelINS0_14default_configENS1_38merge_sort_block_merge_config_selectorIjjEEZZNS1_27merge_sort_block_merge_implIS3_N6thrust23THRUST_200600_302600_NS6detail15normal_iteratorINS8_10device_ptrIjEEEESD_jNS1_19radix_merge_compareILb0ELb0EjNS0_19identity_decomposerEEEEE10hipError_tT0_T1_T2_jT3_P12ihipStream_tbPNSt15iterator_traitsISI_E10value_typeEPNSO_ISJ_E10value_typeEPSK_NS1_7vsmem_tEENKUlT_SI_SJ_SK_E_clISD_PjSD_S10_EESH_SX_SI_SJ_SK_EUlSX_E0_NS1_11comp_targetILNS1_3genE5ELNS1_11target_archE942ELNS1_3gpuE9ELNS1_3repE0EEENS1_38merge_mergepath_config_static_selectorELNS0_4arch9wavefront6targetE1EEEvSJ_.has_dyn_sized_stack, 0
	.set _ZN7rocprim17ROCPRIM_400000_NS6detail17trampoline_kernelINS0_14default_configENS1_38merge_sort_block_merge_config_selectorIjjEEZZNS1_27merge_sort_block_merge_implIS3_N6thrust23THRUST_200600_302600_NS6detail15normal_iteratorINS8_10device_ptrIjEEEESD_jNS1_19radix_merge_compareILb0ELb0EjNS0_19identity_decomposerEEEEE10hipError_tT0_T1_T2_jT3_P12ihipStream_tbPNSt15iterator_traitsISI_E10value_typeEPNSO_ISJ_E10value_typeEPSK_NS1_7vsmem_tEENKUlT_SI_SJ_SK_E_clISD_PjSD_S10_EESH_SX_SI_SJ_SK_EUlSX_E0_NS1_11comp_targetILNS1_3genE5ELNS1_11target_archE942ELNS1_3gpuE9ELNS1_3repE0EEENS1_38merge_mergepath_config_static_selectorELNS0_4arch9wavefront6targetE1EEEvSJ_.has_recursion, 0
	.set _ZN7rocprim17ROCPRIM_400000_NS6detail17trampoline_kernelINS0_14default_configENS1_38merge_sort_block_merge_config_selectorIjjEEZZNS1_27merge_sort_block_merge_implIS3_N6thrust23THRUST_200600_302600_NS6detail15normal_iteratorINS8_10device_ptrIjEEEESD_jNS1_19radix_merge_compareILb0ELb0EjNS0_19identity_decomposerEEEEE10hipError_tT0_T1_T2_jT3_P12ihipStream_tbPNSt15iterator_traitsISI_E10value_typeEPNSO_ISJ_E10value_typeEPSK_NS1_7vsmem_tEENKUlT_SI_SJ_SK_E_clISD_PjSD_S10_EESH_SX_SI_SJ_SK_EUlSX_E0_NS1_11comp_targetILNS1_3genE5ELNS1_11target_archE942ELNS1_3gpuE9ELNS1_3repE0EEENS1_38merge_mergepath_config_static_selectorELNS0_4arch9wavefront6targetE1EEEvSJ_.has_indirect_call, 0
	.section	.AMDGPU.csdata,"",@progbits
; Kernel info:
; codeLenInByte = 0
; TotalNumSgprs: 6
; NumVgprs: 0
; NumAgprs: 0
; TotalNumVgprs: 0
; ScratchSize: 0
; MemoryBound: 0
; FloatMode: 240
; IeeeMode: 1
; LDSByteSize: 0 bytes/workgroup (compile time only)
; SGPRBlocks: 0
; VGPRBlocks: 0
; NumSGPRsForWavesPerEU: 6
; NumVGPRsForWavesPerEU: 1
; AccumOffset: 4
; Occupancy: 8
; WaveLimiterHint : 0
; COMPUTE_PGM_RSRC2:SCRATCH_EN: 0
; COMPUTE_PGM_RSRC2:USER_SGPR: 2
; COMPUTE_PGM_RSRC2:TRAP_HANDLER: 0
; COMPUTE_PGM_RSRC2:TGID_X_EN: 1
; COMPUTE_PGM_RSRC2:TGID_Y_EN: 0
; COMPUTE_PGM_RSRC2:TGID_Z_EN: 0
; COMPUTE_PGM_RSRC2:TIDIG_COMP_CNT: 0
; COMPUTE_PGM_RSRC3_GFX90A:ACCUM_OFFSET: 0
; COMPUTE_PGM_RSRC3_GFX90A:TG_SPLIT: 0
	.section	.text._ZN7rocprim17ROCPRIM_400000_NS6detail17trampoline_kernelINS0_14default_configENS1_38merge_sort_block_merge_config_selectorIjjEEZZNS1_27merge_sort_block_merge_implIS3_N6thrust23THRUST_200600_302600_NS6detail15normal_iteratorINS8_10device_ptrIjEEEESD_jNS1_19radix_merge_compareILb0ELb0EjNS0_19identity_decomposerEEEEE10hipError_tT0_T1_T2_jT3_P12ihipStream_tbPNSt15iterator_traitsISI_E10value_typeEPNSO_ISJ_E10value_typeEPSK_NS1_7vsmem_tEENKUlT_SI_SJ_SK_E_clISD_PjSD_S10_EESH_SX_SI_SJ_SK_EUlSX_E0_NS1_11comp_targetILNS1_3genE4ELNS1_11target_archE910ELNS1_3gpuE8ELNS1_3repE0EEENS1_38merge_mergepath_config_static_selectorELNS0_4arch9wavefront6targetE1EEEvSJ_,"axG",@progbits,_ZN7rocprim17ROCPRIM_400000_NS6detail17trampoline_kernelINS0_14default_configENS1_38merge_sort_block_merge_config_selectorIjjEEZZNS1_27merge_sort_block_merge_implIS3_N6thrust23THRUST_200600_302600_NS6detail15normal_iteratorINS8_10device_ptrIjEEEESD_jNS1_19radix_merge_compareILb0ELb0EjNS0_19identity_decomposerEEEEE10hipError_tT0_T1_T2_jT3_P12ihipStream_tbPNSt15iterator_traitsISI_E10value_typeEPNSO_ISJ_E10value_typeEPSK_NS1_7vsmem_tEENKUlT_SI_SJ_SK_E_clISD_PjSD_S10_EESH_SX_SI_SJ_SK_EUlSX_E0_NS1_11comp_targetILNS1_3genE4ELNS1_11target_archE910ELNS1_3gpuE8ELNS1_3repE0EEENS1_38merge_mergepath_config_static_selectorELNS0_4arch9wavefront6targetE1EEEvSJ_,comdat
	.protected	_ZN7rocprim17ROCPRIM_400000_NS6detail17trampoline_kernelINS0_14default_configENS1_38merge_sort_block_merge_config_selectorIjjEEZZNS1_27merge_sort_block_merge_implIS3_N6thrust23THRUST_200600_302600_NS6detail15normal_iteratorINS8_10device_ptrIjEEEESD_jNS1_19radix_merge_compareILb0ELb0EjNS0_19identity_decomposerEEEEE10hipError_tT0_T1_T2_jT3_P12ihipStream_tbPNSt15iterator_traitsISI_E10value_typeEPNSO_ISJ_E10value_typeEPSK_NS1_7vsmem_tEENKUlT_SI_SJ_SK_E_clISD_PjSD_S10_EESH_SX_SI_SJ_SK_EUlSX_E0_NS1_11comp_targetILNS1_3genE4ELNS1_11target_archE910ELNS1_3gpuE8ELNS1_3repE0EEENS1_38merge_mergepath_config_static_selectorELNS0_4arch9wavefront6targetE1EEEvSJ_ ; -- Begin function _ZN7rocprim17ROCPRIM_400000_NS6detail17trampoline_kernelINS0_14default_configENS1_38merge_sort_block_merge_config_selectorIjjEEZZNS1_27merge_sort_block_merge_implIS3_N6thrust23THRUST_200600_302600_NS6detail15normal_iteratorINS8_10device_ptrIjEEEESD_jNS1_19radix_merge_compareILb0ELb0EjNS0_19identity_decomposerEEEEE10hipError_tT0_T1_T2_jT3_P12ihipStream_tbPNSt15iterator_traitsISI_E10value_typeEPNSO_ISJ_E10value_typeEPSK_NS1_7vsmem_tEENKUlT_SI_SJ_SK_E_clISD_PjSD_S10_EESH_SX_SI_SJ_SK_EUlSX_E0_NS1_11comp_targetILNS1_3genE4ELNS1_11target_archE910ELNS1_3gpuE8ELNS1_3repE0EEENS1_38merge_mergepath_config_static_selectorELNS0_4arch9wavefront6targetE1EEEvSJ_
	.globl	_ZN7rocprim17ROCPRIM_400000_NS6detail17trampoline_kernelINS0_14default_configENS1_38merge_sort_block_merge_config_selectorIjjEEZZNS1_27merge_sort_block_merge_implIS3_N6thrust23THRUST_200600_302600_NS6detail15normal_iteratorINS8_10device_ptrIjEEEESD_jNS1_19radix_merge_compareILb0ELb0EjNS0_19identity_decomposerEEEEE10hipError_tT0_T1_T2_jT3_P12ihipStream_tbPNSt15iterator_traitsISI_E10value_typeEPNSO_ISJ_E10value_typeEPSK_NS1_7vsmem_tEENKUlT_SI_SJ_SK_E_clISD_PjSD_S10_EESH_SX_SI_SJ_SK_EUlSX_E0_NS1_11comp_targetILNS1_3genE4ELNS1_11target_archE910ELNS1_3gpuE8ELNS1_3repE0EEENS1_38merge_mergepath_config_static_selectorELNS0_4arch9wavefront6targetE1EEEvSJ_
	.p2align	8
	.type	_ZN7rocprim17ROCPRIM_400000_NS6detail17trampoline_kernelINS0_14default_configENS1_38merge_sort_block_merge_config_selectorIjjEEZZNS1_27merge_sort_block_merge_implIS3_N6thrust23THRUST_200600_302600_NS6detail15normal_iteratorINS8_10device_ptrIjEEEESD_jNS1_19radix_merge_compareILb0ELb0EjNS0_19identity_decomposerEEEEE10hipError_tT0_T1_T2_jT3_P12ihipStream_tbPNSt15iterator_traitsISI_E10value_typeEPNSO_ISJ_E10value_typeEPSK_NS1_7vsmem_tEENKUlT_SI_SJ_SK_E_clISD_PjSD_S10_EESH_SX_SI_SJ_SK_EUlSX_E0_NS1_11comp_targetILNS1_3genE4ELNS1_11target_archE910ELNS1_3gpuE8ELNS1_3repE0EEENS1_38merge_mergepath_config_static_selectorELNS0_4arch9wavefront6targetE1EEEvSJ_,@function
_ZN7rocprim17ROCPRIM_400000_NS6detail17trampoline_kernelINS0_14default_configENS1_38merge_sort_block_merge_config_selectorIjjEEZZNS1_27merge_sort_block_merge_implIS3_N6thrust23THRUST_200600_302600_NS6detail15normal_iteratorINS8_10device_ptrIjEEEESD_jNS1_19radix_merge_compareILb0ELb0EjNS0_19identity_decomposerEEEEE10hipError_tT0_T1_T2_jT3_P12ihipStream_tbPNSt15iterator_traitsISI_E10value_typeEPNSO_ISJ_E10value_typeEPSK_NS1_7vsmem_tEENKUlT_SI_SJ_SK_E_clISD_PjSD_S10_EESH_SX_SI_SJ_SK_EUlSX_E0_NS1_11comp_targetILNS1_3genE4ELNS1_11target_archE910ELNS1_3gpuE8ELNS1_3repE0EEENS1_38merge_mergepath_config_static_selectorELNS0_4arch9wavefront6targetE1EEEvSJ_: ; @_ZN7rocprim17ROCPRIM_400000_NS6detail17trampoline_kernelINS0_14default_configENS1_38merge_sort_block_merge_config_selectorIjjEEZZNS1_27merge_sort_block_merge_implIS3_N6thrust23THRUST_200600_302600_NS6detail15normal_iteratorINS8_10device_ptrIjEEEESD_jNS1_19radix_merge_compareILb0ELb0EjNS0_19identity_decomposerEEEEE10hipError_tT0_T1_T2_jT3_P12ihipStream_tbPNSt15iterator_traitsISI_E10value_typeEPNSO_ISJ_E10value_typeEPSK_NS1_7vsmem_tEENKUlT_SI_SJ_SK_E_clISD_PjSD_S10_EESH_SX_SI_SJ_SK_EUlSX_E0_NS1_11comp_targetILNS1_3genE4ELNS1_11target_archE910ELNS1_3gpuE8ELNS1_3repE0EEENS1_38merge_mergepath_config_static_selectorELNS0_4arch9wavefront6targetE1EEEvSJ_
; %bb.0:
	.section	.rodata,"a",@progbits
	.p2align	6, 0x0
	.amdhsa_kernel _ZN7rocprim17ROCPRIM_400000_NS6detail17trampoline_kernelINS0_14default_configENS1_38merge_sort_block_merge_config_selectorIjjEEZZNS1_27merge_sort_block_merge_implIS3_N6thrust23THRUST_200600_302600_NS6detail15normal_iteratorINS8_10device_ptrIjEEEESD_jNS1_19radix_merge_compareILb0ELb0EjNS0_19identity_decomposerEEEEE10hipError_tT0_T1_T2_jT3_P12ihipStream_tbPNSt15iterator_traitsISI_E10value_typeEPNSO_ISJ_E10value_typeEPSK_NS1_7vsmem_tEENKUlT_SI_SJ_SK_E_clISD_PjSD_S10_EESH_SX_SI_SJ_SK_EUlSX_E0_NS1_11comp_targetILNS1_3genE4ELNS1_11target_archE910ELNS1_3gpuE8ELNS1_3repE0EEENS1_38merge_mergepath_config_static_selectorELNS0_4arch9wavefront6targetE1EEEvSJ_
		.amdhsa_group_segment_fixed_size 0
		.amdhsa_private_segment_fixed_size 0
		.amdhsa_kernarg_size 64
		.amdhsa_user_sgpr_count 2
		.amdhsa_user_sgpr_dispatch_ptr 0
		.amdhsa_user_sgpr_queue_ptr 0
		.amdhsa_user_sgpr_kernarg_segment_ptr 1
		.amdhsa_user_sgpr_dispatch_id 0
		.amdhsa_user_sgpr_kernarg_preload_length 0
		.amdhsa_user_sgpr_kernarg_preload_offset 0
		.amdhsa_user_sgpr_private_segment_size 0
		.amdhsa_uses_dynamic_stack 0
		.amdhsa_enable_private_segment 0
		.amdhsa_system_sgpr_workgroup_id_x 1
		.amdhsa_system_sgpr_workgroup_id_y 0
		.amdhsa_system_sgpr_workgroup_id_z 0
		.amdhsa_system_sgpr_workgroup_info 0
		.amdhsa_system_vgpr_workitem_id 0
		.amdhsa_next_free_vgpr 1
		.amdhsa_next_free_sgpr 0
		.amdhsa_accum_offset 4
		.amdhsa_reserve_vcc 0
		.amdhsa_float_round_mode_32 0
		.amdhsa_float_round_mode_16_64 0
		.amdhsa_float_denorm_mode_32 3
		.amdhsa_float_denorm_mode_16_64 3
		.amdhsa_dx10_clamp 1
		.amdhsa_ieee_mode 1
		.amdhsa_fp16_overflow 0
		.amdhsa_tg_split 0
		.amdhsa_exception_fp_ieee_invalid_op 0
		.amdhsa_exception_fp_denorm_src 0
		.amdhsa_exception_fp_ieee_div_zero 0
		.amdhsa_exception_fp_ieee_overflow 0
		.amdhsa_exception_fp_ieee_underflow 0
		.amdhsa_exception_fp_ieee_inexact 0
		.amdhsa_exception_int_div_zero 0
	.end_amdhsa_kernel
	.section	.text._ZN7rocprim17ROCPRIM_400000_NS6detail17trampoline_kernelINS0_14default_configENS1_38merge_sort_block_merge_config_selectorIjjEEZZNS1_27merge_sort_block_merge_implIS3_N6thrust23THRUST_200600_302600_NS6detail15normal_iteratorINS8_10device_ptrIjEEEESD_jNS1_19radix_merge_compareILb0ELb0EjNS0_19identity_decomposerEEEEE10hipError_tT0_T1_T2_jT3_P12ihipStream_tbPNSt15iterator_traitsISI_E10value_typeEPNSO_ISJ_E10value_typeEPSK_NS1_7vsmem_tEENKUlT_SI_SJ_SK_E_clISD_PjSD_S10_EESH_SX_SI_SJ_SK_EUlSX_E0_NS1_11comp_targetILNS1_3genE4ELNS1_11target_archE910ELNS1_3gpuE8ELNS1_3repE0EEENS1_38merge_mergepath_config_static_selectorELNS0_4arch9wavefront6targetE1EEEvSJ_,"axG",@progbits,_ZN7rocprim17ROCPRIM_400000_NS6detail17trampoline_kernelINS0_14default_configENS1_38merge_sort_block_merge_config_selectorIjjEEZZNS1_27merge_sort_block_merge_implIS3_N6thrust23THRUST_200600_302600_NS6detail15normal_iteratorINS8_10device_ptrIjEEEESD_jNS1_19radix_merge_compareILb0ELb0EjNS0_19identity_decomposerEEEEE10hipError_tT0_T1_T2_jT3_P12ihipStream_tbPNSt15iterator_traitsISI_E10value_typeEPNSO_ISJ_E10value_typeEPSK_NS1_7vsmem_tEENKUlT_SI_SJ_SK_E_clISD_PjSD_S10_EESH_SX_SI_SJ_SK_EUlSX_E0_NS1_11comp_targetILNS1_3genE4ELNS1_11target_archE910ELNS1_3gpuE8ELNS1_3repE0EEENS1_38merge_mergepath_config_static_selectorELNS0_4arch9wavefront6targetE1EEEvSJ_,comdat
.Lfunc_end654:
	.size	_ZN7rocprim17ROCPRIM_400000_NS6detail17trampoline_kernelINS0_14default_configENS1_38merge_sort_block_merge_config_selectorIjjEEZZNS1_27merge_sort_block_merge_implIS3_N6thrust23THRUST_200600_302600_NS6detail15normal_iteratorINS8_10device_ptrIjEEEESD_jNS1_19radix_merge_compareILb0ELb0EjNS0_19identity_decomposerEEEEE10hipError_tT0_T1_T2_jT3_P12ihipStream_tbPNSt15iterator_traitsISI_E10value_typeEPNSO_ISJ_E10value_typeEPSK_NS1_7vsmem_tEENKUlT_SI_SJ_SK_E_clISD_PjSD_S10_EESH_SX_SI_SJ_SK_EUlSX_E0_NS1_11comp_targetILNS1_3genE4ELNS1_11target_archE910ELNS1_3gpuE8ELNS1_3repE0EEENS1_38merge_mergepath_config_static_selectorELNS0_4arch9wavefront6targetE1EEEvSJ_, .Lfunc_end654-_ZN7rocprim17ROCPRIM_400000_NS6detail17trampoline_kernelINS0_14default_configENS1_38merge_sort_block_merge_config_selectorIjjEEZZNS1_27merge_sort_block_merge_implIS3_N6thrust23THRUST_200600_302600_NS6detail15normal_iteratorINS8_10device_ptrIjEEEESD_jNS1_19radix_merge_compareILb0ELb0EjNS0_19identity_decomposerEEEEE10hipError_tT0_T1_T2_jT3_P12ihipStream_tbPNSt15iterator_traitsISI_E10value_typeEPNSO_ISJ_E10value_typeEPSK_NS1_7vsmem_tEENKUlT_SI_SJ_SK_E_clISD_PjSD_S10_EESH_SX_SI_SJ_SK_EUlSX_E0_NS1_11comp_targetILNS1_3genE4ELNS1_11target_archE910ELNS1_3gpuE8ELNS1_3repE0EEENS1_38merge_mergepath_config_static_selectorELNS0_4arch9wavefront6targetE1EEEvSJ_
                                        ; -- End function
	.set _ZN7rocprim17ROCPRIM_400000_NS6detail17trampoline_kernelINS0_14default_configENS1_38merge_sort_block_merge_config_selectorIjjEEZZNS1_27merge_sort_block_merge_implIS3_N6thrust23THRUST_200600_302600_NS6detail15normal_iteratorINS8_10device_ptrIjEEEESD_jNS1_19radix_merge_compareILb0ELb0EjNS0_19identity_decomposerEEEEE10hipError_tT0_T1_T2_jT3_P12ihipStream_tbPNSt15iterator_traitsISI_E10value_typeEPNSO_ISJ_E10value_typeEPSK_NS1_7vsmem_tEENKUlT_SI_SJ_SK_E_clISD_PjSD_S10_EESH_SX_SI_SJ_SK_EUlSX_E0_NS1_11comp_targetILNS1_3genE4ELNS1_11target_archE910ELNS1_3gpuE8ELNS1_3repE0EEENS1_38merge_mergepath_config_static_selectorELNS0_4arch9wavefront6targetE1EEEvSJ_.num_vgpr, 0
	.set _ZN7rocprim17ROCPRIM_400000_NS6detail17trampoline_kernelINS0_14default_configENS1_38merge_sort_block_merge_config_selectorIjjEEZZNS1_27merge_sort_block_merge_implIS3_N6thrust23THRUST_200600_302600_NS6detail15normal_iteratorINS8_10device_ptrIjEEEESD_jNS1_19radix_merge_compareILb0ELb0EjNS0_19identity_decomposerEEEEE10hipError_tT0_T1_T2_jT3_P12ihipStream_tbPNSt15iterator_traitsISI_E10value_typeEPNSO_ISJ_E10value_typeEPSK_NS1_7vsmem_tEENKUlT_SI_SJ_SK_E_clISD_PjSD_S10_EESH_SX_SI_SJ_SK_EUlSX_E0_NS1_11comp_targetILNS1_3genE4ELNS1_11target_archE910ELNS1_3gpuE8ELNS1_3repE0EEENS1_38merge_mergepath_config_static_selectorELNS0_4arch9wavefront6targetE1EEEvSJ_.num_agpr, 0
	.set _ZN7rocprim17ROCPRIM_400000_NS6detail17trampoline_kernelINS0_14default_configENS1_38merge_sort_block_merge_config_selectorIjjEEZZNS1_27merge_sort_block_merge_implIS3_N6thrust23THRUST_200600_302600_NS6detail15normal_iteratorINS8_10device_ptrIjEEEESD_jNS1_19radix_merge_compareILb0ELb0EjNS0_19identity_decomposerEEEEE10hipError_tT0_T1_T2_jT3_P12ihipStream_tbPNSt15iterator_traitsISI_E10value_typeEPNSO_ISJ_E10value_typeEPSK_NS1_7vsmem_tEENKUlT_SI_SJ_SK_E_clISD_PjSD_S10_EESH_SX_SI_SJ_SK_EUlSX_E0_NS1_11comp_targetILNS1_3genE4ELNS1_11target_archE910ELNS1_3gpuE8ELNS1_3repE0EEENS1_38merge_mergepath_config_static_selectorELNS0_4arch9wavefront6targetE1EEEvSJ_.numbered_sgpr, 0
	.set _ZN7rocprim17ROCPRIM_400000_NS6detail17trampoline_kernelINS0_14default_configENS1_38merge_sort_block_merge_config_selectorIjjEEZZNS1_27merge_sort_block_merge_implIS3_N6thrust23THRUST_200600_302600_NS6detail15normal_iteratorINS8_10device_ptrIjEEEESD_jNS1_19radix_merge_compareILb0ELb0EjNS0_19identity_decomposerEEEEE10hipError_tT0_T1_T2_jT3_P12ihipStream_tbPNSt15iterator_traitsISI_E10value_typeEPNSO_ISJ_E10value_typeEPSK_NS1_7vsmem_tEENKUlT_SI_SJ_SK_E_clISD_PjSD_S10_EESH_SX_SI_SJ_SK_EUlSX_E0_NS1_11comp_targetILNS1_3genE4ELNS1_11target_archE910ELNS1_3gpuE8ELNS1_3repE0EEENS1_38merge_mergepath_config_static_selectorELNS0_4arch9wavefront6targetE1EEEvSJ_.num_named_barrier, 0
	.set _ZN7rocprim17ROCPRIM_400000_NS6detail17trampoline_kernelINS0_14default_configENS1_38merge_sort_block_merge_config_selectorIjjEEZZNS1_27merge_sort_block_merge_implIS3_N6thrust23THRUST_200600_302600_NS6detail15normal_iteratorINS8_10device_ptrIjEEEESD_jNS1_19radix_merge_compareILb0ELb0EjNS0_19identity_decomposerEEEEE10hipError_tT0_T1_T2_jT3_P12ihipStream_tbPNSt15iterator_traitsISI_E10value_typeEPNSO_ISJ_E10value_typeEPSK_NS1_7vsmem_tEENKUlT_SI_SJ_SK_E_clISD_PjSD_S10_EESH_SX_SI_SJ_SK_EUlSX_E0_NS1_11comp_targetILNS1_3genE4ELNS1_11target_archE910ELNS1_3gpuE8ELNS1_3repE0EEENS1_38merge_mergepath_config_static_selectorELNS0_4arch9wavefront6targetE1EEEvSJ_.private_seg_size, 0
	.set _ZN7rocprim17ROCPRIM_400000_NS6detail17trampoline_kernelINS0_14default_configENS1_38merge_sort_block_merge_config_selectorIjjEEZZNS1_27merge_sort_block_merge_implIS3_N6thrust23THRUST_200600_302600_NS6detail15normal_iteratorINS8_10device_ptrIjEEEESD_jNS1_19radix_merge_compareILb0ELb0EjNS0_19identity_decomposerEEEEE10hipError_tT0_T1_T2_jT3_P12ihipStream_tbPNSt15iterator_traitsISI_E10value_typeEPNSO_ISJ_E10value_typeEPSK_NS1_7vsmem_tEENKUlT_SI_SJ_SK_E_clISD_PjSD_S10_EESH_SX_SI_SJ_SK_EUlSX_E0_NS1_11comp_targetILNS1_3genE4ELNS1_11target_archE910ELNS1_3gpuE8ELNS1_3repE0EEENS1_38merge_mergepath_config_static_selectorELNS0_4arch9wavefront6targetE1EEEvSJ_.uses_vcc, 0
	.set _ZN7rocprim17ROCPRIM_400000_NS6detail17trampoline_kernelINS0_14default_configENS1_38merge_sort_block_merge_config_selectorIjjEEZZNS1_27merge_sort_block_merge_implIS3_N6thrust23THRUST_200600_302600_NS6detail15normal_iteratorINS8_10device_ptrIjEEEESD_jNS1_19radix_merge_compareILb0ELb0EjNS0_19identity_decomposerEEEEE10hipError_tT0_T1_T2_jT3_P12ihipStream_tbPNSt15iterator_traitsISI_E10value_typeEPNSO_ISJ_E10value_typeEPSK_NS1_7vsmem_tEENKUlT_SI_SJ_SK_E_clISD_PjSD_S10_EESH_SX_SI_SJ_SK_EUlSX_E0_NS1_11comp_targetILNS1_3genE4ELNS1_11target_archE910ELNS1_3gpuE8ELNS1_3repE0EEENS1_38merge_mergepath_config_static_selectorELNS0_4arch9wavefront6targetE1EEEvSJ_.uses_flat_scratch, 0
	.set _ZN7rocprim17ROCPRIM_400000_NS6detail17trampoline_kernelINS0_14default_configENS1_38merge_sort_block_merge_config_selectorIjjEEZZNS1_27merge_sort_block_merge_implIS3_N6thrust23THRUST_200600_302600_NS6detail15normal_iteratorINS8_10device_ptrIjEEEESD_jNS1_19radix_merge_compareILb0ELb0EjNS0_19identity_decomposerEEEEE10hipError_tT0_T1_T2_jT3_P12ihipStream_tbPNSt15iterator_traitsISI_E10value_typeEPNSO_ISJ_E10value_typeEPSK_NS1_7vsmem_tEENKUlT_SI_SJ_SK_E_clISD_PjSD_S10_EESH_SX_SI_SJ_SK_EUlSX_E0_NS1_11comp_targetILNS1_3genE4ELNS1_11target_archE910ELNS1_3gpuE8ELNS1_3repE0EEENS1_38merge_mergepath_config_static_selectorELNS0_4arch9wavefront6targetE1EEEvSJ_.has_dyn_sized_stack, 0
	.set _ZN7rocprim17ROCPRIM_400000_NS6detail17trampoline_kernelINS0_14default_configENS1_38merge_sort_block_merge_config_selectorIjjEEZZNS1_27merge_sort_block_merge_implIS3_N6thrust23THRUST_200600_302600_NS6detail15normal_iteratorINS8_10device_ptrIjEEEESD_jNS1_19radix_merge_compareILb0ELb0EjNS0_19identity_decomposerEEEEE10hipError_tT0_T1_T2_jT3_P12ihipStream_tbPNSt15iterator_traitsISI_E10value_typeEPNSO_ISJ_E10value_typeEPSK_NS1_7vsmem_tEENKUlT_SI_SJ_SK_E_clISD_PjSD_S10_EESH_SX_SI_SJ_SK_EUlSX_E0_NS1_11comp_targetILNS1_3genE4ELNS1_11target_archE910ELNS1_3gpuE8ELNS1_3repE0EEENS1_38merge_mergepath_config_static_selectorELNS0_4arch9wavefront6targetE1EEEvSJ_.has_recursion, 0
	.set _ZN7rocprim17ROCPRIM_400000_NS6detail17trampoline_kernelINS0_14default_configENS1_38merge_sort_block_merge_config_selectorIjjEEZZNS1_27merge_sort_block_merge_implIS3_N6thrust23THRUST_200600_302600_NS6detail15normal_iteratorINS8_10device_ptrIjEEEESD_jNS1_19radix_merge_compareILb0ELb0EjNS0_19identity_decomposerEEEEE10hipError_tT0_T1_T2_jT3_P12ihipStream_tbPNSt15iterator_traitsISI_E10value_typeEPNSO_ISJ_E10value_typeEPSK_NS1_7vsmem_tEENKUlT_SI_SJ_SK_E_clISD_PjSD_S10_EESH_SX_SI_SJ_SK_EUlSX_E0_NS1_11comp_targetILNS1_3genE4ELNS1_11target_archE910ELNS1_3gpuE8ELNS1_3repE0EEENS1_38merge_mergepath_config_static_selectorELNS0_4arch9wavefront6targetE1EEEvSJ_.has_indirect_call, 0
	.section	.AMDGPU.csdata,"",@progbits
; Kernel info:
; codeLenInByte = 0
; TotalNumSgprs: 6
; NumVgprs: 0
; NumAgprs: 0
; TotalNumVgprs: 0
; ScratchSize: 0
; MemoryBound: 0
; FloatMode: 240
; IeeeMode: 1
; LDSByteSize: 0 bytes/workgroup (compile time only)
; SGPRBlocks: 0
; VGPRBlocks: 0
; NumSGPRsForWavesPerEU: 6
; NumVGPRsForWavesPerEU: 1
; AccumOffset: 4
; Occupancy: 8
; WaveLimiterHint : 0
; COMPUTE_PGM_RSRC2:SCRATCH_EN: 0
; COMPUTE_PGM_RSRC2:USER_SGPR: 2
; COMPUTE_PGM_RSRC2:TRAP_HANDLER: 0
; COMPUTE_PGM_RSRC2:TGID_X_EN: 1
; COMPUTE_PGM_RSRC2:TGID_Y_EN: 0
; COMPUTE_PGM_RSRC2:TGID_Z_EN: 0
; COMPUTE_PGM_RSRC2:TIDIG_COMP_CNT: 0
; COMPUTE_PGM_RSRC3_GFX90A:ACCUM_OFFSET: 0
; COMPUTE_PGM_RSRC3_GFX90A:TG_SPLIT: 0
	.section	.text._ZN7rocprim17ROCPRIM_400000_NS6detail17trampoline_kernelINS0_14default_configENS1_38merge_sort_block_merge_config_selectorIjjEEZZNS1_27merge_sort_block_merge_implIS3_N6thrust23THRUST_200600_302600_NS6detail15normal_iteratorINS8_10device_ptrIjEEEESD_jNS1_19radix_merge_compareILb0ELb0EjNS0_19identity_decomposerEEEEE10hipError_tT0_T1_T2_jT3_P12ihipStream_tbPNSt15iterator_traitsISI_E10value_typeEPNSO_ISJ_E10value_typeEPSK_NS1_7vsmem_tEENKUlT_SI_SJ_SK_E_clISD_PjSD_S10_EESH_SX_SI_SJ_SK_EUlSX_E0_NS1_11comp_targetILNS1_3genE3ELNS1_11target_archE908ELNS1_3gpuE7ELNS1_3repE0EEENS1_38merge_mergepath_config_static_selectorELNS0_4arch9wavefront6targetE1EEEvSJ_,"axG",@progbits,_ZN7rocprim17ROCPRIM_400000_NS6detail17trampoline_kernelINS0_14default_configENS1_38merge_sort_block_merge_config_selectorIjjEEZZNS1_27merge_sort_block_merge_implIS3_N6thrust23THRUST_200600_302600_NS6detail15normal_iteratorINS8_10device_ptrIjEEEESD_jNS1_19radix_merge_compareILb0ELb0EjNS0_19identity_decomposerEEEEE10hipError_tT0_T1_T2_jT3_P12ihipStream_tbPNSt15iterator_traitsISI_E10value_typeEPNSO_ISJ_E10value_typeEPSK_NS1_7vsmem_tEENKUlT_SI_SJ_SK_E_clISD_PjSD_S10_EESH_SX_SI_SJ_SK_EUlSX_E0_NS1_11comp_targetILNS1_3genE3ELNS1_11target_archE908ELNS1_3gpuE7ELNS1_3repE0EEENS1_38merge_mergepath_config_static_selectorELNS0_4arch9wavefront6targetE1EEEvSJ_,comdat
	.protected	_ZN7rocprim17ROCPRIM_400000_NS6detail17trampoline_kernelINS0_14default_configENS1_38merge_sort_block_merge_config_selectorIjjEEZZNS1_27merge_sort_block_merge_implIS3_N6thrust23THRUST_200600_302600_NS6detail15normal_iteratorINS8_10device_ptrIjEEEESD_jNS1_19radix_merge_compareILb0ELb0EjNS0_19identity_decomposerEEEEE10hipError_tT0_T1_T2_jT3_P12ihipStream_tbPNSt15iterator_traitsISI_E10value_typeEPNSO_ISJ_E10value_typeEPSK_NS1_7vsmem_tEENKUlT_SI_SJ_SK_E_clISD_PjSD_S10_EESH_SX_SI_SJ_SK_EUlSX_E0_NS1_11comp_targetILNS1_3genE3ELNS1_11target_archE908ELNS1_3gpuE7ELNS1_3repE0EEENS1_38merge_mergepath_config_static_selectorELNS0_4arch9wavefront6targetE1EEEvSJ_ ; -- Begin function _ZN7rocprim17ROCPRIM_400000_NS6detail17trampoline_kernelINS0_14default_configENS1_38merge_sort_block_merge_config_selectorIjjEEZZNS1_27merge_sort_block_merge_implIS3_N6thrust23THRUST_200600_302600_NS6detail15normal_iteratorINS8_10device_ptrIjEEEESD_jNS1_19radix_merge_compareILb0ELb0EjNS0_19identity_decomposerEEEEE10hipError_tT0_T1_T2_jT3_P12ihipStream_tbPNSt15iterator_traitsISI_E10value_typeEPNSO_ISJ_E10value_typeEPSK_NS1_7vsmem_tEENKUlT_SI_SJ_SK_E_clISD_PjSD_S10_EESH_SX_SI_SJ_SK_EUlSX_E0_NS1_11comp_targetILNS1_3genE3ELNS1_11target_archE908ELNS1_3gpuE7ELNS1_3repE0EEENS1_38merge_mergepath_config_static_selectorELNS0_4arch9wavefront6targetE1EEEvSJ_
	.globl	_ZN7rocprim17ROCPRIM_400000_NS6detail17trampoline_kernelINS0_14default_configENS1_38merge_sort_block_merge_config_selectorIjjEEZZNS1_27merge_sort_block_merge_implIS3_N6thrust23THRUST_200600_302600_NS6detail15normal_iteratorINS8_10device_ptrIjEEEESD_jNS1_19radix_merge_compareILb0ELb0EjNS0_19identity_decomposerEEEEE10hipError_tT0_T1_T2_jT3_P12ihipStream_tbPNSt15iterator_traitsISI_E10value_typeEPNSO_ISJ_E10value_typeEPSK_NS1_7vsmem_tEENKUlT_SI_SJ_SK_E_clISD_PjSD_S10_EESH_SX_SI_SJ_SK_EUlSX_E0_NS1_11comp_targetILNS1_3genE3ELNS1_11target_archE908ELNS1_3gpuE7ELNS1_3repE0EEENS1_38merge_mergepath_config_static_selectorELNS0_4arch9wavefront6targetE1EEEvSJ_
	.p2align	8
	.type	_ZN7rocprim17ROCPRIM_400000_NS6detail17trampoline_kernelINS0_14default_configENS1_38merge_sort_block_merge_config_selectorIjjEEZZNS1_27merge_sort_block_merge_implIS3_N6thrust23THRUST_200600_302600_NS6detail15normal_iteratorINS8_10device_ptrIjEEEESD_jNS1_19radix_merge_compareILb0ELb0EjNS0_19identity_decomposerEEEEE10hipError_tT0_T1_T2_jT3_P12ihipStream_tbPNSt15iterator_traitsISI_E10value_typeEPNSO_ISJ_E10value_typeEPSK_NS1_7vsmem_tEENKUlT_SI_SJ_SK_E_clISD_PjSD_S10_EESH_SX_SI_SJ_SK_EUlSX_E0_NS1_11comp_targetILNS1_3genE3ELNS1_11target_archE908ELNS1_3gpuE7ELNS1_3repE0EEENS1_38merge_mergepath_config_static_selectorELNS0_4arch9wavefront6targetE1EEEvSJ_,@function
_ZN7rocprim17ROCPRIM_400000_NS6detail17trampoline_kernelINS0_14default_configENS1_38merge_sort_block_merge_config_selectorIjjEEZZNS1_27merge_sort_block_merge_implIS3_N6thrust23THRUST_200600_302600_NS6detail15normal_iteratorINS8_10device_ptrIjEEEESD_jNS1_19radix_merge_compareILb0ELb0EjNS0_19identity_decomposerEEEEE10hipError_tT0_T1_T2_jT3_P12ihipStream_tbPNSt15iterator_traitsISI_E10value_typeEPNSO_ISJ_E10value_typeEPSK_NS1_7vsmem_tEENKUlT_SI_SJ_SK_E_clISD_PjSD_S10_EESH_SX_SI_SJ_SK_EUlSX_E0_NS1_11comp_targetILNS1_3genE3ELNS1_11target_archE908ELNS1_3gpuE7ELNS1_3repE0EEENS1_38merge_mergepath_config_static_selectorELNS0_4arch9wavefront6targetE1EEEvSJ_: ; @_ZN7rocprim17ROCPRIM_400000_NS6detail17trampoline_kernelINS0_14default_configENS1_38merge_sort_block_merge_config_selectorIjjEEZZNS1_27merge_sort_block_merge_implIS3_N6thrust23THRUST_200600_302600_NS6detail15normal_iteratorINS8_10device_ptrIjEEEESD_jNS1_19radix_merge_compareILb0ELb0EjNS0_19identity_decomposerEEEEE10hipError_tT0_T1_T2_jT3_P12ihipStream_tbPNSt15iterator_traitsISI_E10value_typeEPNSO_ISJ_E10value_typeEPSK_NS1_7vsmem_tEENKUlT_SI_SJ_SK_E_clISD_PjSD_S10_EESH_SX_SI_SJ_SK_EUlSX_E0_NS1_11comp_targetILNS1_3genE3ELNS1_11target_archE908ELNS1_3gpuE7ELNS1_3repE0EEENS1_38merge_mergepath_config_static_selectorELNS0_4arch9wavefront6targetE1EEEvSJ_
; %bb.0:
	.section	.rodata,"a",@progbits
	.p2align	6, 0x0
	.amdhsa_kernel _ZN7rocprim17ROCPRIM_400000_NS6detail17trampoline_kernelINS0_14default_configENS1_38merge_sort_block_merge_config_selectorIjjEEZZNS1_27merge_sort_block_merge_implIS3_N6thrust23THRUST_200600_302600_NS6detail15normal_iteratorINS8_10device_ptrIjEEEESD_jNS1_19radix_merge_compareILb0ELb0EjNS0_19identity_decomposerEEEEE10hipError_tT0_T1_T2_jT3_P12ihipStream_tbPNSt15iterator_traitsISI_E10value_typeEPNSO_ISJ_E10value_typeEPSK_NS1_7vsmem_tEENKUlT_SI_SJ_SK_E_clISD_PjSD_S10_EESH_SX_SI_SJ_SK_EUlSX_E0_NS1_11comp_targetILNS1_3genE3ELNS1_11target_archE908ELNS1_3gpuE7ELNS1_3repE0EEENS1_38merge_mergepath_config_static_selectorELNS0_4arch9wavefront6targetE1EEEvSJ_
		.amdhsa_group_segment_fixed_size 0
		.amdhsa_private_segment_fixed_size 0
		.amdhsa_kernarg_size 64
		.amdhsa_user_sgpr_count 2
		.amdhsa_user_sgpr_dispatch_ptr 0
		.amdhsa_user_sgpr_queue_ptr 0
		.amdhsa_user_sgpr_kernarg_segment_ptr 1
		.amdhsa_user_sgpr_dispatch_id 0
		.amdhsa_user_sgpr_kernarg_preload_length 0
		.amdhsa_user_sgpr_kernarg_preload_offset 0
		.amdhsa_user_sgpr_private_segment_size 0
		.amdhsa_uses_dynamic_stack 0
		.amdhsa_enable_private_segment 0
		.amdhsa_system_sgpr_workgroup_id_x 1
		.amdhsa_system_sgpr_workgroup_id_y 0
		.amdhsa_system_sgpr_workgroup_id_z 0
		.amdhsa_system_sgpr_workgroup_info 0
		.amdhsa_system_vgpr_workitem_id 0
		.amdhsa_next_free_vgpr 1
		.amdhsa_next_free_sgpr 0
		.amdhsa_accum_offset 4
		.amdhsa_reserve_vcc 0
		.amdhsa_float_round_mode_32 0
		.amdhsa_float_round_mode_16_64 0
		.amdhsa_float_denorm_mode_32 3
		.amdhsa_float_denorm_mode_16_64 3
		.amdhsa_dx10_clamp 1
		.amdhsa_ieee_mode 1
		.amdhsa_fp16_overflow 0
		.amdhsa_tg_split 0
		.amdhsa_exception_fp_ieee_invalid_op 0
		.amdhsa_exception_fp_denorm_src 0
		.amdhsa_exception_fp_ieee_div_zero 0
		.amdhsa_exception_fp_ieee_overflow 0
		.amdhsa_exception_fp_ieee_underflow 0
		.amdhsa_exception_fp_ieee_inexact 0
		.amdhsa_exception_int_div_zero 0
	.end_amdhsa_kernel
	.section	.text._ZN7rocprim17ROCPRIM_400000_NS6detail17trampoline_kernelINS0_14default_configENS1_38merge_sort_block_merge_config_selectorIjjEEZZNS1_27merge_sort_block_merge_implIS3_N6thrust23THRUST_200600_302600_NS6detail15normal_iteratorINS8_10device_ptrIjEEEESD_jNS1_19radix_merge_compareILb0ELb0EjNS0_19identity_decomposerEEEEE10hipError_tT0_T1_T2_jT3_P12ihipStream_tbPNSt15iterator_traitsISI_E10value_typeEPNSO_ISJ_E10value_typeEPSK_NS1_7vsmem_tEENKUlT_SI_SJ_SK_E_clISD_PjSD_S10_EESH_SX_SI_SJ_SK_EUlSX_E0_NS1_11comp_targetILNS1_3genE3ELNS1_11target_archE908ELNS1_3gpuE7ELNS1_3repE0EEENS1_38merge_mergepath_config_static_selectorELNS0_4arch9wavefront6targetE1EEEvSJ_,"axG",@progbits,_ZN7rocprim17ROCPRIM_400000_NS6detail17trampoline_kernelINS0_14default_configENS1_38merge_sort_block_merge_config_selectorIjjEEZZNS1_27merge_sort_block_merge_implIS3_N6thrust23THRUST_200600_302600_NS6detail15normal_iteratorINS8_10device_ptrIjEEEESD_jNS1_19radix_merge_compareILb0ELb0EjNS0_19identity_decomposerEEEEE10hipError_tT0_T1_T2_jT3_P12ihipStream_tbPNSt15iterator_traitsISI_E10value_typeEPNSO_ISJ_E10value_typeEPSK_NS1_7vsmem_tEENKUlT_SI_SJ_SK_E_clISD_PjSD_S10_EESH_SX_SI_SJ_SK_EUlSX_E0_NS1_11comp_targetILNS1_3genE3ELNS1_11target_archE908ELNS1_3gpuE7ELNS1_3repE0EEENS1_38merge_mergepath_config_static_selectorELNS0_4arch9wavefront6targetE1EEEvSJ_,comdat
.Lfunc_end655:
	.size	_ZN7rocprim17ROCPRIM_400000_NS6detail17trampoline_kernelINS0_14default_configENS1_38merge_sort_block_merge_config_selectorIjjEEZZNS1_27merge_sort_block_merge_implIS3_N6thrust23THRUST_200600_302600_NS6detail15normal_iteratorINS8_10device_ptrIjEEEESD_jNS1_19radix_merge_compareILb0ELb0EjNS0_19identity_decomposerEEEEE10hipError_tT0_T1_T2_jT3_P12ihipStream_tbPNSt15iterator_traitsISI_E10value_typeEPNSO_ISJ_E10value_typeEPSK_NS1_7vsmem_tEENKUlT_SI_SJ_SK_E_clISD_PjSD_S10_EESH_SX_SI_SJ_SK_EUlSX_E0_NS1_11comp_targetILNS1_3genE3ELNS1_11target_archE908ELNS1_3gpuE7ELNS1_3repE0EEENS1_38merge_mergepath_config_static_selectorELNS0_4arch9wavefront6targetE1EEEvSJ_, .Lfunc_end655-_ZN7rocprim17ROCPRIM_400000_NS6detail17trampoline_kernelINS0_14default_configENS1_38merge_sort_block_merge_config_selectorIjjEEZZNS1_27merge_sort_block_merge_implIS3_N6thrust23THRUST_200600_302600_NS6detail15normal_iteratorINS8_10device_ptrIjEEEESD_jNS1_19radix_merge_compareILb0ELb0EjNS0_19identity_decomposerEEEEE10hipError_tT0_T1_T2_jT3_P12ihipStream_tbPNSt15iterator_traitsISI_E10value_typeEPNSO_ISJ_E10value_typeEPSK_NS1_7vsmem_tEENKUlT_SI_SJ_SK_E_clISD_PjSD_S10_EESH_SX_SI_SJ_SK_EUlSX_E0_NS1_11comp_targetILNS1_3genE3ELNS1_11target_archE908ELNS1_3gpuE7ELNS1_3repE0EEENS1_38merge_mergepath_config_static_selectorELNS0_4arch9wavefront6targetE1EEEvSJ_
                                        ; -- End function
	.set _ZN7rocprim17ROCPRIM_400000_NS6detail17trampoline_kernelINS0_14default_configENS1_38merge_sort_block_merge_config_selectorIjjEEZZNS1_27merge_sort_block_merge_implIS3_N6thrust23THRUST_200600_302600_NS6detail15normal_iteratorINS8_10device_ptrIjEEEESD_jNS1_19radix_merge_compareILb0ELb0EjNS0_19identity_decomposerEEEEE10hipError_tT0_T1_T2_jT3_P12ihipStream_tbPNSt15iterator_traitsISI_E10value_typeEPNSO_ISJ_E10value_typeEPSK_NS1_7vsmem_tEENKUlT_SI_SJ_SK_E_clISD_PjSD_S10_EESH_SX_SI_SJ_SK_EUlSX_E0_NS1_11comp_targetILNS1_3genE3ELNS1_11target_archE908ELNS1_3gpuE7ELNS1_3repE0EEENS1_38merge_mergepath_config_static_selectorELNS0_4arch9wavefront6targetE1EEEvSJ_.num_vgpr, 0
	.set _ZN7rocprim17ROCPRIM_400000_NS6detail17trampoline_kernelINS0_14default_configENS1_38merge_sort_block_merge_config_selectorIjjEEZZNS1_27merge_sort_block_merge_implIS3_N6thrust23THRUST_200600_302600_NS6detail15normal_iteratorINS8_10device_ptrIjEEEESD_jNS1_19radix_merge_compareILb0ELb0EjNS0_19identity_decomposerEEEEE10hipError_tT0_T1_T2_jT3_P12ihipStream_tbPNSt15iterator_traitsISI_E10value_typeEPNSO_ISJ_E10value_typeEPSK_NS1_7vsmem_tEENKUlT_SI_SJ_SK_E_clISD_PjSD_S10_EESH_SX_SI_SJ_SK_EUlSX_E0_NS1_11comp_targetILNS1_3genE3ELNS1_11target_archE908ELNS1_3gpuE7ELNS1_3repE0EEENS1_38merge_mergepath_config_static_selectorELNS0_4arch9wavefront6targetE1EEEvSJ_.num_agpr, 0
	.set _ZN7rocprim17ROCPRIM_400000_NS6detail17trampoline_kernelINS0_14default_configENS1_38merge_sort_block_merge_config_selectorIjjEEZZNS1_27merge_sort_block_merge_implIS3_N6thrust23THRUST_200600_302600_NS6detail15normal_iteratorINS8_10device_ptrIjEEEESD_jNS1_19radix_merge_compareILb0ELb0EjNS0_19identity_decomposerEEEEE10hipError_tT0_T1_T2_jT3_P12ihipStream_tbPNSt15iterator_traitsISI_E10value_typeEPNSO_ISJ_E10value_typeEPSK_NS1_7vsmem_tEENKUlT_SI_SJ_SK_E_clISD_PjSD_S10_EESH_SX_SI_SJ_SK_EUlSX_E0_NS1_11comp_targetILNS1_3genE3ELNS1_11target_archE908ELNS1_3gpuE7ELNS1_3repE0EEENS1_38merge_mergepath_config_static_selectorELNS0_4arch9wavefront6targetE1EEEvSJ_.numbered_sgpr, 0
	.set _ZN7rocprim17ROCPRIM_400000_NS6detail17trampoline_kernelINS0_14default_configENS1_38merge_sort_block_merge_config_selectorIjjEEZZNS1_27merge_sort_block_merge_implIS3_N6thrust23THRUST_200600_302600_NS6detail15normal_iteratorINS8_10device_ptrIjEEEESD_jNS1_19radix_merge_compareILb0ELb0EjNS0_19identity_decomposerEEEEE10hipError_tT0_T1_T2_jT3_P12ihipStream_tbPNSt15iterator_traitsISI_E10value_typeEPNSO_ISJ_E10value_typeEPSK_NS1_7vsmem_tEENKUlT_SI_SJ_SK_E_clISD_PjSD_S10_EESH_SX_SI_SJ_SK_EUlSX_E0_NS1_11comp_targetILNS1_3genE3ELNS1_11target_archE908ELNS1_3gpuE7ELNS1_3repE0EEENS1_38merge_mergepath_config_static_selectorELNS0_4arch9wavefront6targetE1EEEvSJ_.num_named_barrier, 0
	.set _ZN7rocprim17ROCPRIM_400000_NS6detail17trampoline_kernelINS0_14default_configENS1_38merge_sort_block_merge_config_selectorIjjEEZZNS1_27merge_sort_block_merge_implIS3_N6thrust23THRUST_200600_302600_NS6detail15normal_iteratorINS8_10device_ptrIjEEEESD_jNS1_19radix_merge_compareILb0ELb0EjNS0_19identity_decomposerEEEEE10hipError_tT0_T1_T2_jT3_P12ihipStream_tbPNSt15iterator_traitsISI_E10value_typeEPNSO_ISJ_E10value_typeEPSK_NS1_7vsmem_tEENKUlT_SI_SJ_SK_E_clISD_PjSD_S10_EESH_SX_SI_SJ_SK_EUlSX_E0_NS1_11comp_targetILNS1_3genE3ELNS1_11target_archE908ELNS1_3gpuE7ELNS1_3repE0EEENS1_38merge_mergepath_config_static_selectorELNS0_4arch9wavefront6targetE1EEEvSJ_.private_seg_size, 0
	.set _ZN7rocprim17ROCPRIM_400000_NS6detail17trampoline_kernelINS0_14default_configENS1_38merge_sort_block_merge_config_selectorIjjEEZZNS1_27merge_sort_block_merge_implIS3_N6thrust23THRUST_200600_302600_NS6detail15normal_iteratorINS8_10device_ptrIjEEEESD_jNS1_19radix_merge_compareILb0ELb0EjNS0_19identity_decomposerEEEEE10hipError_tT0_T1_T2_jT3_P12ihipStream_tbPNSt15iterator_traitsISI_E10value_typeEPNSO_ISJ_E10value_typeEPSK_NS1_7vsmem_tEENKUlT_SI_SJ_SK_E_clISD_PjSD_S10_EESH_SX_SI_SJ_SK_EUlSX_E0_NS1_11comp_targetILNS1_3genE3ELNS1_11target_archE908ELNS1_3gpuE7ELNS1_3repE0EEENS1_38merge_mergepath_config_static_selectorELNS0_4arch9wavefront6targetE1EEEvSJ_.uses_vcc, 0
	.set _ZN7rocprim17ROCPRIM_400000_NS6detail17trampoline_kernelINS0_14default_configENS1_38merge_sort_block_merge_config_selectorIjjEEZZNS1_27merge_sort_block_merge_implIS3_N6thrust23THRUST_200600_302600_NS6detail15normal_iteratorINS8_10device_ptrIjEEEESD_jNS1_19radix_merge_compareILb0ELb0EjNS0_19identity_decomposerEEEEE10hipError_tT0_T1_T2_jT3_P12ihipStream_tbPNSt15iterator_traitsISI_E10value_typeEPNSO_ISJ_E10value_typeEPSK_NS1_7vsmem_tEENKUlT_SI_SJ_SK_E_clISD_PjSD_S10_EESH_SX_SI_SJ_SK_EUlSX_E0_NS1_11comp_targetILNS1_3genE3ELNS1_11target_archE908ELNS1_3gpuE7ELNS1_3repE0EEENS1_38merge_mergepath_config_static_selectorELNS0_4arch9wavefront6targetE1EEEvSJ_.uses_flat_scratch, 0
	.set _ZN7rocprim17ROCPRIM_400000_NS6detail17trampoline_kernelINS0_14default_configENS1_38merge_sort_block_merge_config_selectorIjjEEZZNS1_27merge_sort_block_merge_implIS3_N6thrust23THRUST_200600_302600_NS6detail15normal_iteratorINS8_10device_ptrIjEEEESD_jNS1_19radix_merge_compareILb0ELb0EjNS0_19identity_decomposerEEEEE10hipError_tT0_T1_T2_jT3_P12ihipStream_tbPNSt15iterator_traitsISI_E10value_typeEPNSO_ISJ_E10value_typeEPSK_NS1_7vsmem_tEENKUlT_SI_SJ_SK_E_clISD_PjSD_S10_EESH_SX_SI_SJ_SK_EUlSX_E0_NS1_11comp_targetILNS1_3genE3ELNS1_11target_archE908ELNS1_3gpuE7ELNS1_3repE0EEENS1_38merge_mergepath_config_static_selectorELNS0_4arch9wavefront6targetE1EEEvSJ_.has_dyn_sized_stack, 0
	.set _ZN7rocprim17ROCPRIM_400000_NS6detail17trampoline_kernelINS0_14default_configENS1_38merge_sort_block_merge_config_selectorIjjEEZZNS1_27merge_sort_block_merge_implIS3_N6thrust23THRUST_200600_302600_NS6detail15normal_iteratorINS8_10device_ptrIjEEEESD_jNS1_19radix_merge_compareILb0ELb0EjNS0_19identity_decomposerEEEEE10hipError_tT0_T1_T2_jT3_P12ihipStream_tbPNSt15iterator_traitsISI_E10value_typeEPNSO_ISJ_E10value_typeEPSK_NS1_7vsmem_tEENKUlT_SI_SJ_SK_E_clISD_PjSD_S10_EESH_SX_SI_SJ_SK_EUlSX_E0_NS1_11comp_targetILNS1_3genE3ELNS1_11target_archE908ELNS1_3gpuE7ELNS1_3repE0EEENS1_38merge_mergepath_config_static_selectorELNS0_4arch9wavefront6targetE1EEEvSJ_.has_recursion, 0
	.set _ZN7rocprim17ROCPRIM_400000_NS6detail17trampoline_kernelINS0_14default_configENS1_38merge_sort_block_merge_config_selectorIjjEEZZNS1_27merge_sort_block_merge_implIS3_N6thrust23THRUST_200600_302600_NS6detail15normal_iteratorINS8_10device_ptrIjEEEESD_jNS1_19radix_merge_compareILb0ELb0EjNS0_19identity_decomposerEEEEE10hipError_tT0_T1_T2_jT3_P12ihipStream_tbPNSt15iterator_traitsISI_E10value_typeEPNSO_ISJ_E10value_typeEPSK_NS1_7vsmem_tEENKUlT_SI_SJ_SK_E_clISD_PjSD_S10_EESH_SX_SI_SJ_SK_EUlSX_E0_NS1_11comp_targetILNS1_3genE3ELNS1_11target_archE908ELNS1_3gpuE7ELNS1_3repE0EEENS1_38merge_mergepath_config_static_selectorELNS0_4arch9wavefront6targetE1EEEvSJ_.has_indirect_call, 0
	.section	.AMDGPU.csdata,"",@progbits
; Kernel info:
; codeLenInByte = 0
; TotalNumSgprs: 6
; NumVgprs: 0
; NumAgprs: 0
; TotalNumVgprs: 0
; ScratchSize: 0
; MemoryBound: 0
; FloatMode: 240
; IeeeMode: 1
; LDSByteSize: 0 bytes/workgroup (compile time only)
; SGPRBlocks: 0
; VGPRBlocks: 0
; NumSGPRsForWavesPerEU: 6
; NumVGPRsForWavesPerEU: 1
; AccumOffset: 4
; Occupancy: 8
; WaveLimiterHint : 0
; COMPUTE_PGM_RSRC2:SCRATCH_EN: 0
; COMPUTE_PGM_RSRC2:USER_SGPR: 2
; COMPUTE_PGM_RSRC2:TRAP_HANDLER: 0
; COMPUTE_PGM_RSRC2:TGID_X_EN: 1
; COMPUTE_PGM_RSRC2:TGID_Y_EN: 0
; COMPUTE_PGM_RSRC2:TGID_Z_EN: 0
; COMPUTE_PGM_RSRC2:TIDIG_COMP_CNT: 0
; COMPUTE_PGM_RSRC3_GFX90A:ACCUM_OFFSET: 0
; COMPUTE_PGM_RSRC3_GFX90A:TG_SPLIT: 0
	.section	.text._ZN7rocprim17ROCPRIM_400000_NS6detail17trampoline_kernelINS0_14default_configENS1_38merge_sort_block_merge_config_selectorIjjEEZZNS1_27merge_sort_block_merge_implIS3_N6thrust23THRUST_200600_302600_NS6detail15normal_iteratorINS8_10device_ptrIjEEEESD_jNS1_19radix_merge_compareILb0ELb0EjNS0_19identity_decomposerEEEEE10hipError_tT0_T1_T2_jT3_P12ihipStream_tbPNSt15iterator_traitsISI_E10value_typeEPNSO_ISJ_E10value_typeEPSK_NS1_7vsmem_tEENKUlT_SI_SJ_SK_E_clISD_PjSD_S10_EESH_SX_SI_SJ_SK_EUlSX_E0_NS1_11comp_targetILNS1_3genE2ELNS1_11target_archE906ELNS1_3gpuE6ELNS1_3repE0EEENS1_38merge_mergepath_config_static_selectorELNS0_4arch9wavefront6targetE1EEEvSJ_,"axG",@progbits,_ZN7rocprim17ROCPRIM_400000_NS6detail17trampoline_kernelINS0_14default_configENS1_38merge_sort_block_merge_config_selectorIjjEEZZNS1_27merge_sort_block_merge_implIS3_N6thrust23THRUST_200600_302600_NS6detail15normal_iteratorINS8_10device_ptrIjEEEESD_jNS1_19radix_merge_compareILb0ELb0EjNS0_19identity_decomposerEEEEE10hipError_tT0_T1_T2_jT3_P12ihipStream_tbPNSt15iterator_traitsISI_E10value_typeEPNSO_ISJ_E10value_typeEPSK_NS1_7vsmem_tEENKUlT_SI_SJ_SK_E_clISD_PjSD_S10_EESH_SX_SI_SJ_SK_EUlSX_E0_NS1_11comp_targetILNS1_3genE2ELNS1_11target_archE906ELNS1_3gpuE6ELNS1_3repE0EEENS1_38merge_mergepath_config_static_selectorELNS0_4arch9wavefront6targetE1EEEvSJ_,comdat
	.protected	_ZN7rocprim17ROCPRIM_400000_NS6detail17trampoline_kernelINS0_14default_configENS1_38merge_sort_block_merge_config_selectorIjjEEZZNS1_27merge_sort_block_merge_implIS3_N6thrust23THRUST_200600_302600_NS6detail15normal_iteratorINS8_10device_ptrIjEEEESD_jNS1_19radix_merge_compareILb0ELb0EjNS0_19identity_decomposerEEEEE10hipError_tT0_T1_T2_jT3_P12ihipStream_tbPNSt15iterator_traitsISI_E10value_typeEPNSO_ISJ_E10value_typeEPSK_NS1_7vsmem_tEENKUlT_SI_SJ_SK_E_clISD_PjSD_S10_EESH_SX_SI_SJ_SK_EUlSX_E0_NS1_11comp_targetILNS1_3genE2ELNS1_11target_archE906ELNS1_3gpuE6ELNS1_3repE0EEENS1_38merge_mergepath_config_static_selectorELNS0_4arch9wavefront6targetE1EEEvSJ_ ; -- Begin function _ZN7rocprim17ROCPRIM_400000_NS6detail17trampoline_kernelINS0_14default_configENS1_38merge_sort_block_merge_config_selectorIjjEEZZNS1_27merge_sort_block_merge_implIS3_N6thrust23THRUST_200600_302600_NS6detail15normal_iteratorINS8_10device_ptrIjEEEESD_jNS1_19radix_merge_compareILb0ELb0EjNS0_19identity_decomposerEEEEE10hipError_tT0_T1_T2_jT3_P12ihipStream_tbPNSt15iterator_traitsISI_E10value_typeEPNSO_ISJ_E10value_typeEPSK_NS1_7vsmem_tEENKUlT_SI_SJ_SK_E_clISD_PjSD_S10_EESH_SX_SI_SJ_SK_EUlSX_E0_NS1_11comp_targetILNS1_3genE2ELNS1_11target_archE906ELNS1_3gpuE6ELNS1_3repE0EEENS1_38merge_mergepath_config_static_selectorELNS0_4arch9wavefront6targetE1EEEvSJ_
	.globl	_ZN7rocprim17ROCPRIM_400000_NS6detail17trampoline_kernelINS0_14default_configENS1_38merge_sort_block_merge_config_selectorIjjEEZZNS1_27merge_sort_block_merge_implIS3_N6thrust23THRUST_200600_302600_NS6detail15normal_iteratorINS8_10device_ptrIjEEEESD_jNS1_19radix_merge_compareILb0ELb0EjNS0_19identity_decomposerEEEEE10hipError_tT0_T1_T2_jT3_P12ihipStream_tbPNSt15iterator_traitsISI_E10value_typeEPNSO_ISJ_E10value_typeEPSK_NS1_7vsmem_tEENKUlT_SI_SJ_SK_E_clISD_PjSD_S10_EESH_SX_SI_SJ_SK_EUlSX_E0_NS1_11comp_targetILNS1_3genE2ELNS1_11target_archE906ELNS1_3gpuE6ELNS1_3repE0EEENS1_38merge_mergepath_config_static_selectorELNS0_4arch9wavefront6targetE1EEEvSJ_
	.p2align	8
	.type	_ZN7rocprim17ROCPRIM_400000_NS6detail17trampoline_kernelINS0_14default_configENS1_38merge_sort_block_merge_config_selectorIjjEEZZNS1_27merge_sort_block_merge_implIS3_N6thrust23THRUST_200600_302600_NS6detail15normal_iteratorINS8_10device_ptrIjEEEESD_jNS1_19radix_merge_compareILb0ELb0EjNS0_19identity_decomposerEEEEE10hipError_tT0_T1_T2_jT3_P12ihipStream_tbPNSt15iterator_traitsISI_E10value_typeEPNSO_ISJ_E10value_typeEPSK_NS1_7vsmem_tEENKUlT_SI_SJ_SK_E_clISD_PjSD_S10_EESH_SX_SI_SJ_SK_EUlSX_E0_NS1_11comp_targetILNS1_3genE2ELNS1_11target_archE906ELNS1_3gpuE6ELNS1_3repE0EEENS1_38merge_mergepath_config_static_selectorELNS0_4arch9wavefront6targetE1EEEvSJ_,@function
_ZN7rocprim17ROCPRIM_400000_NS6detail17trampoline_kernelINS0_14default_configENS1_38merge_sort_block_merge_config_selectorIjjEEZZNS1_27merge_sort_block_merge_implIS3_N6thrust23THRUST_200600_302600_NS6detail15normal_iteratorINS8_10device_ptrIjEEEESD_jNS1_19radix_merge_compareILb0ELb0EjNS0_19identity_decomposerEEEEE10hipError_tT0_T1_T2_jT3_P12ihipStream_tbPNSt15iterator_traitsISI_E10value_typeEPNSO_ISJ_E10value_typeEPSK_NS1_7vsmem_tEENKUlT_SI_SJ_SK_E_clISD_PjSD_S10_EESH_SX_SI_SJ_SK_EUlSX_E0_NS1_11comp_targetILNS1_3genE2ELNS1_11target_archE906ELNS1_3gpuE6ELNS1_3repE0EEENS1_38merge_mergepath_config_static_selectorELNS0_4arch9wavefront6targetE1EEEvSJ_: ; @_ZN7rocprim17ROCPRIM_400000_NS6detail17trampoline_kernelINS0_14default_configENS1_38merge_sort_block_merge_config_selectorIjjEEZZNS1_27merge_sort_block_merge_implIS3_N6thrust23THRUST_200600_302600_NS6detail15normal_iteratorINS8_10device_ptrIjEEEESD_jNS1_19radix_merge_compareILb0ELb0EjNS0_19identity_decomposerEEEEE10hipError_tT0_T1_T2_jT3_P12ihipStream_tbPNSt15iterator_traitsISI_E10value_typeEPNSO_ISJ_E10value_typeEPSK_NS1_7vsmem_tEENKUlT_SI_SJ_SK_E_clISD_PjSD_S10_EESH_SX_SI_SJ_SK_EUlSX_E0_NS1_11comp_targetILNS1_3genE2ELNS1_11target_archE906ELNS1_3gpuE6ELNS1_3repE0EEENS1_38merge_mergepath_config_static_selectorELNS0_4arch9wavefront6targetE1EEEvSJ_
; %bb.0:
	.section	.rodata,"a",@progbits
	.p2align	6, 0x0
	.amdhsa_kernel _ZN7rocprim17ROCPRIM_400000_NS6detail17trampoline_kernelINS0_14default_configENS1_38merge_sort_block_merge_config_selectorIjjEEZZNS1_27merge_sort_block_merge_implIS3_N6thrust23THRUST_200600_302600_NS6detail15normal_iteratorINS8_10device_ptrIjEEEESD_jNS1_19radix_merge_compareILb0ELb0EjNS0_19identity_decomposerEEEEE10hipError_tT0_T1_T2_jT3_P12ihipStream_tbPNSt15iterator_traitsISI_E10value_typeEPNSO_ISJ_E10value_typeEPSK_NS1_7vsmem_tEENKUlT_SI_SJ_SK_E_clISD_PjSD_S10_EESH_SX_SI_SJ_SK_EUlSX_E0_NS1_11comp_targetILNS1_3genE2ELNS1_11target_archE906ELNS1_3gpuE6ELNS1_3repE0EEENS1_38merge_mergepath_config_static_selectorELNS0_4arch9wavefront6targetE1EEEvSJ_
		.amdhsa_group_segment_fixed_size 0
		.amdhsa_private_segment_fixed_size 0
		.amdhsa_kernarg_size 64
		.amdhsa_user_sgpr_count 2
		.amdhsa_user_sgpr_dispatch_ptr 0
		.amdhsa_user_sgpr_queue_ptr 0
		.amdhsa_user_sgpr_kernarg_segment_ptr 1
		.amdhsa_user_sgpr_dispatch_id 0
		.amdhsa_user_sgpr_kernarg_preload_length 0
		.amdhsa_user_sgpr_kernarg_preload_offset 0
		.amdhsa_user_sgpr_private_segment_size 0
		.amdhsa_uses_dynamic_stack 0
		.amdhsa_enable_private_segment 0
		.amdhsa_system_sgpr_workgroup_id_x 1
		.amdhsa_system_sgpr_workgroup_id_y 0
		.amdhsa_system_sgpr_workgroup_id_z 0
		.amdhsa_system_sgpr_workgroup_info 0
		.amdhsa_system_vgpr_workitem_id 0
		.amdhsa_next_free_vgpr 1
		.amdhsa_next_free_sgpr 0
		.amdhsa_accum_offset 4
		.amdhsa_reserve_vcc 0
		.amdhsa_float_round_mode_32 0
		.amdhsa_float_round_mode_16_64 0
		.amdhsa_float_denorm_mode_32 3
		.amdhsa_float_denorm_mode_16_64 3
		.amdhsa_dx10_clamp 1
		.amdhsa_ieee_mode 1
		.amdhsa_fp16_overflow 0
		.amdhsa_tg_split 0
		.amdhsa_exception_fp_ieee_invalid_op 0
		.amdhsa_exception_fp_denorm_src 0
		.amdhsa_exception_fp_ieee_div_zero 0
		.amdhsa_exception_fp_ieee_overflow 0
		.amdhsa_exception_fp_ieee_underflow 0
		.amdhsa_exception_fp_ieee_inexact 0
		.amdhsa_exception_int_div_zero 0
	.end_amdhsa_kernel
	.section	.text._ZN7rocprim17ROCPRIM_400000_NS6detail17trampoline_kernelINS0_14default_configENS1_38merge_sort_block_merge_config_selectorIjjEEZZNS1_27merge_sort_block_merge_implIS3_N6thrust23THRUST_200600_302600_NS6detail15normal_iteratorINS8_10device_ptrIjEEEESD_jNS1_19radix_merge_compareILb0ELb0EjNS0_19identity_decomposerEEEEE10hipError_tT0_T1_T2_jT3_P12ihipStream_tbPNSt15iterator_traitsISI_E10value_typeEPNSO_ISJ_E10value_typeEPSK_NS1_7vsmem_tEENKUlT_SI_SJ_SK_E_clISD_PjSD_S10_EESH_SX_SI_SJ_SK_EUlSX_E0_NS1_11comp_targetILNS1_3genE2ELNS1_11target_archE906ELNS1_3gpuE6ELNS1_3repE0EEENS1_38merge_mergepath_config_static_selectorELNS0_4arch9wavefront6targetE1EEEvSJ_,"axG",@progbits,_ZN7rocprim17ROCPRIM_400000_NS6detail17trampoline_kernelINS0_14default_configENS1_38merge_sort_block_merge_config_selectorIjjEEZZNS1_27merge_sort_block_merge_implIS3_N6thrust23THRUST_200600_302600_NS6detail15normal_iteratorINS8_10device_ptrIjEEEESD_jNS1_19radix_merge_compareILb0ELb0EjNS0_19identity_decomposerEEEEE10hipError_tT0_T1_T2_jT3_P12ihipStream_tbPNSt15iterator_traitsISI_E10value_typeEPNSO_ISJ_E10value_typeEPSK_NS1_7vsmem_tEENKUlT_SI_SJ_SK_E_clISD_PjSD_S10_EESH_SX_SI_SJ_SK_EUlSX_E0_NS1_11comp_targetILNS1_3genE2ELNS1_11target_archE906ELNS1_3gpuE6ELNS1_3repE0EEENS1_38merge_mergepath_config_static_selectorELNS0_4arch9wavefront6targetE1EEEvSJ_,comdat
.Lfunc_end656:
	.size	_ZN7rocprim17ROCPRIM_400000_NS6detail17trampoline_kernelINS0_14default_configENS1_38merge_sort_block_merge_config_selectorIjjEEZZNS1_27merge_sort_block_merge_implIS3_N6thrust23THRUST_200600_302600_NS6detail15normal_iteratorINS8_10device_ptrIjEEEESD_jNS1_19radix_merge_compareILb0ELb0EjNS0_19identity_decomposerEEEEE10hipError_tT0_T1_T2_jT3_P12ihipStream_tbPNSt15iterator_traitsISI_E10value_typeEPNSO_ISJ_E10value_typeEPSK_NS1_7vsmem_tEENKUlT_SI_SJ_SK_E_clISD_PjSD_S10_EESH_SX_SI_SJ_SK_EUlSX_E0_NS1_11comp_targetILNS1_3genE2ELNS1_11target_archE906ELNS1_3gpuE6ELNS1_3repE0EEENS1_38merge_mergepath_config_static_selectorELNS0_4arch9wavefront6targetE1EEEvSJ_, .Lfunc_end656-_ZN7rocprim17ROCPRIM_400000_NS6detail17trampoline_kernelINS0_14default_configENS1_38merge_sort_block_merge_config_selectorIjjEEZZNS1_27merge_sort_block_merge_implIS3_N6thrust23THRUST_200600_302600_NS6detail15normal_iteratorINS8_10device_ptrIjEEEESD_jNS1_19radix_merge_compareILb0ELb0EjNS0_19identity_decomposerEEEEE10hipError_tT0_T1_T2_jT3_P12ihipStream_tbPNSt15iterator_traitsISI_E10value_typeEPNSO_ISJ_E10value_typeEPSK_NS1_7vsmem_tEENKUlT_SI_SJ_SK_E_clISD_PjSD_S10_EESH_SX_SI_SJ_SK_EUlSX_E0_NS1_11comp_targetILNS1_3genE2ELNS1_11target_archE906ELNS1_3gpuE6ELNS1_3repE0EEENS1_38merge_mergepath_config_static_selectorELNS0_4arch9wavefront6targetE1EEEvSJ_
                                        ; -- End function
	.set _ZN7rocprim17ROCPRIM_400000_NS6detail17trampoline_kernelINS0_14default_configENS1_38merge_sort_block_merge_config_selectorIjjEEZZNS1_27merge_sort_block_merge_implIS3_N6thrust23THRUST_200600_302600_NS6detail15normal_iteratorINS8_10device_ptrIjEEEESD_jNS1_19radix_merge_compareILb0ELb0EjNS0_19identity_decomposerEEEEE10hipError_tT0_T1_T2_jT3_P12ihipStream_tbPNSt15iterator_traitsISI_E10value_typeEPNSO_ISJ_E10value_typeEPSK_NS1_7vsmem_tEENKUlT_SI_SJ_SK_E_clISD_PjSD_S10_EESH_SX_SI_SJ_SK_EUlSX_E0_NS1_11comp_targetILNS1_3genE2ELNS1_11target_archE906ELNS1_3gpuE6ELNS1_3repE0EEENS1_38merge_mergepath_config_static_selectorELNS0_4arch9wavefront6targetE1EEEvSJ_.num_vgpr, 0
	.set _ZN7rocprim17ROCPRIM_400000_NS6detail17trampoline_kernelINS0_14default_configENS1_38merge_sort_block_merge_config_selectorIjjEEZZNS1_27merge_sort_block_merge_implIS3_N6thrust23THRUST_200600_302600_NS6detail15normal_iteratorINS8_10device_ptrIjEEEESD_jNS1_19radix_merge_compareILb0ELb0EjNS0_19identity_decomposerEEEEE10hipError_tT0_T1_T2_jT3_P12ihipStream_tbPNSt15iterator_traitsISI_E10value_typeEPNSO_ISJ_E10value_typeEPSK_NS1_7vsmem_tEENKUlT_SI_SJ_SK_E_clISD_PjSD_S10_EESH_SX_SI_SJ_SK_EUlSX_E0_NS1_11comp_targetILNS1_3genE2ELNS1_11target_archE906ELNS1_3gpuE6ELNS1_3repE0EEENS1_38merge_mergepath_config_static_selectorELNS0_4arch9wavefront6targetE1EEEvSJ_.num_agpr, 0
	.set _ZN7rocprim17ROCPRIM_400000_NS6detail17trampoline_kernelINS0_14default_configENS1_38merge_sort_block_merge_config_selectorIjjEEZZNS1_27merge_sort_block_merge_implIS3_N6thrust23THRUST_200600_302600_NS6detail15normal_iteratorINS8_10device_ptrIjEEEESD_jNS1_19radix_merge_compareILb0ELb0EjNS0_19identity_decomposerEEEEE10hipError_tT0_T1_T2_jT3_P12ihipStream_tbPNSt15iterator_traitsISI_E10value_typeEPNSO_ISJ_E10value_typeEPSK_NS1_7vsmem_tEENKUlT_SI_SJ_SK_E_clISD_PjSD_S10_EESH_SX_SI_SJ_SK_EUlSX_E0_NS1_11comp_targetILNS1_3genE2ELNS1_11target_archE906ELNS1_3gpuE6ELNS1_3repE0EEENS1_38merge_mergepath_config_static_selectorELNS0_4arch9wavefront6targetE1EEEvSJ_.numbered_sgpr, 0
	.set _ZN7rocprim17ROCPRIM_400000_NS6detail17trampoline_kernelINS0_14default_configENS1_38merge_sort_block_merge_config_selectorIjjEEZZNS1_27merge_sort_block_merge_implIS3_N6thrust23THRUST_200600_302600_NS6detail15normal_iteratorINS8_10device_ptrIjEEEESD_jNS1_19radix_merge_compareILb0ELb0EjNS0_19identity_decomposerEEEEE10hipError_tT0_T1_T2_jT3_P12ihipStream_tbPNSt15iterator_traitsISI_E10value_typeEPNSO_ISJ_E10value_typeEPSK_NS1_7vsmem_tEENKUlT_SI_SJ_SK_E_clISD_PjSD_S10_EESH_SX_SI_SJ_SK_EUlSX_E0_NS1_11comp_targetILNS1_3genE2ELNS1_11target_archE906ELNS1_3gpuE6ELNS1_3repE0EEENS1_38merge_mergepath_config_static_selectorELNS0_4arch9wavefront6targetE1EEEvSJ_.num_named_barrier, 0
	.set _ZN7rocprim17ROCPRIM_400000_NS6detail17trampoline_kernelINS0_14default_configENS1_38merge_sort_block_merge_config_selectorIjjEEZZNS1_27merge_sort_block_merge_implIS3_N6thrust23THRUST_200600_302600_NS6detail15normal_iteratorINS8_10device_ptrIjEEEESD_jNS1_19radix_merge_compareILb0ELb0EjNS0_19identity_decomposerEEEEE10hipError_tT0_T1_T2_jT3_P12ihipStream_tbPNSt15iterator_traitsISI_E10value_typeEPNSO_ISJ_E10value_typeEPSK_NS1_7vsmem_tEENKUlT_SI_SJ_SK_E_clISD_PjSD_S10_EESH_SX_SI_SJ_SK_EUlSX_E0_NS1_11comp_targetILNS1_3genE2ELNS1_11target_archE906ELNS1_3gpuE6ELNS1_3repE0EEENS1_38merge_mergepath_config_static_selectorELNS0_4arch9wavefront6targetE1EEEvSJ_.private_seg_size, 0
	.set _ZN7rocprim17ROCPRIM_400000_NS6detail17trampoline_kernelINS0_14default_configENS1_38merge_sort_block_merge_config_selectorIjjEEZZNS1_27merge_sort_block_merge_implIS3_N6thrust23THRUST_200600_302600_NS6detail15normal_iteratorINS8_10device_ptrIjEEEESD_jNS1_19radix_merge_compareILb0ELb0EjNS0_19identity_decomposerEEEEE10hipError_tT0_T1_T2_jT3_P12ihipStream_tbPNSt15iterator_traitsISI_E10value_typeEPNSO_ISJ_E10value_typeEPSK_NS1_7vsmem_tEENKUlT_SI_SJ_SK_E_clISD_PjSD_S10_EESH_SX_SI_SJ_SK_EUlSX_E0_NS1_11comp_targetILNS1_3genE2ELNS1_11target_archE906ELNS1_3gpuE6ELNS1_3repE0EEENS1_38merge_mergepath_config_static_selectorELNS0_4arch9wavefront6targetE1EEEvSJ_.uses_vcc, 0
	.set _ZN7rocprim17ROCPRIM_400000_NS6detail17trampoline_kernelINS0_14default_configENS1_38merge_sort_block_merge_config_selectorIjjEEZZNS1_27merge_sort_block_merge_implIS3_N6thrust23THRUST_200600_302600_NS6detail15normal_iteratorINS8_10device_ptrIjEEEESD_jNS1_19radix_merge_compareILb0ELb0EjNS0_19identity_decomposerEEEEE10hipError_tT0_T1_T2_jT3_P12ihipStream_tbPNSt15iterator_traitsISI_E10value_typeEPNSO_ISJ_E10value_typeEPSK_NS1_7vsmem_tEENKUlT_SI_SJ_SK_E_clISD_PjSD_S10_EESH_SX_SI_SJ_SK_EUlSX_E0_NS1_11comp_targetILNS1_3genE2ELNS1_11target_archE906ELNS1_3gpuE6ELNS1_3repE0EEENS1_38merge_mergepath_config_static_selectorELNS0_4arch9wavefront6targetE1EEEvSJ_.uses_flat_scratch, 0
	.set _ZN7rocprim17ROCPRIM_400000_NS6detail17trampoline_kernelINS0_14default_configENS1_38merge_sort_block_merge_config_selectorIjjEEZZNS1_27merge_sort_block_merge_implIS3_N6thrust23THRUST_200600_302600_NS6detail15normal_iteratorINS8_10device_ptrIjEEEESD_jNS1_19radix_merge_compareILb0ELb0EjNS0_19identity_decomposerEEEEE10hipError_tT0_T1_T2_jT3_P12ihipStream_tbPNSt15iterator_traitsISI_E10value_typeEPNSO_ISJ_E10value_typeEPSK_NS1_7vsmem_tEENKUlT_SI_SJ_SK_E_clISD_PjSD_S10_EESH_SX_SI_SJ_SK_EUlSX_E0_NS1_11comp_targetILNS1_3genE2ELNS1_11target_archE906ELNS1_3gpuE6ELNS1_3repE0EEENS1_38merge_mergepath_config_static_selectorELNS0_4arch9wavefront6targetE1EEEvSJ_.has_dyn_sized_stack, 0
	.set _ZN7rocprim17ROCPRIM_400000_NS6detail17trampoline_kernelINS0_14default_configENS1_38merge_sort_block_merge_config_selectorIjjEEZZNS1_27merge_sort_block_merge_implIS3_N6thrust23THRUST_200600_302600_NS6detail15normal_iteratorINS8_10device_ptrIjEEEESD_jNS1_19radix_merge_compareILb0ELb0EjNS0_19identity_decomposerEEEEE10hipError_tT0_T1_T2_jT3_P12ihipStream_tbPNSt15iterator_traitsISI_E10value_typeEPNSO_ISJ_E10value_typeEPSK_NS1_7vsmem_tEENKUlT_SI_SJ_SK_E_clISD_PjSD_S10_EESH_SX_SI_SJ_SK_EUlSX_E0_NS1_11comp_targetILNS1_3genE2ELNS1_11target_archE906ELNS1_3gpuE6ELNS1_3repE0EEENS1_38merge_mergepath_config_static_selectorELNS0_4arch9wavefront6targetE1EEEvSJ_.has_recursion, 0
	.set _ZN7rocprim17ROCPRIM_400000_NS6detail17trampoline_kernelINS0_14default_configENS1_38merge_sort_block_merge_config_selectorIjjEEZZNS1_27merge_sort_block_merge_implIS3_N6thrust23THRUST_200600_302600_NS6detail15normal_iteratorINS8_10device_ptrIjEEEESD_jNS1_19radix_merge_compareILb0ELb0EjNS0_19identity_decomposerEEEEE10hipError_tT0_T1_T2_jT3_P12ihipStream_tbPNSt15iterator_traitsISI_E10value_typeEPNSO_ISJ_E10value_typeEPSK_NS1_7vsmem_tEENKUlT_SI_SJ_SK_E_clISD_PjSD_S10_EESH_SX_SI_SJ_SK_EUlSX_E0_NS1_11comp_targetILNS1_3genE2ELNS1_11target_archE906ELNS1_3gpuE6ELNS1_3repE0EEENS1_38merge_mergepath_config_static_selectorELNS0_4arch9wavefront6targetE1EEEvSJ_.has_indirect_call, 0
	.section	.AMDGPU.csdata,"",@progbits
; Kernel info:
; codeLenInByte = 0
; TotalNumSgprs: 6
; NumVgprs: 0
; NumAgprs: 0
; TotalNumVgprs: 0
; ScratchSize: 0
; MemoryBound: 0
; FloatMode: 240
; IeeeMode: 1
; LDSByteSize: 0 bytes/workgroup (compile time only)
; SGPRBlocks: 0
; VGPRBlocks: 0
; NumSGPRsForWavesPerEU: 6
; NumVGPRsForWavesPerEU: 1
; AccumOffset: 4
; Occupancy: 8
; WaveLimiterHint : 0
; COMPUTE_PGM_RSRC2:SCRATCH_EN: 0
; COMPUTE_PGM_RSRC2:USER_SGPR: 2
; COMPUTE_PGM_RSRC2:TRAP_HANDLER: 0
; COMPUTE_PGM_RSRC2:TGID_X_EN: 1
; COMPUTE_PGM_RSRC2:TGID_Y_EN: 0
; COMPUTE_PGM_RSRC2:TGID_Z_EN: 0
; COMPUTE_PGM_RSRC2:TIDIG_COMP_CNT: 0
; COMPUTE_PGM_RSRC3_GFX90A:ACCUM_OFFSET: 0
; COMPUTE_PGM_RSRC3_GFX90A:TG_SPLIT: 0
	.section	.text._ZN7rocprim17ROCPRIM_400000_NS6detail17trampoline_kernelINS0_14default_configENS1_38merge_sort_block_merge_config_selectorIjjEEZZNS1_27merge_sort_block_merge_implIS3_N6thrust23THRUST_200600_302600_NS6detail15normal_iteratorINS8_10device_ptrIjEEEESD_jNS1_19radix_merge_compareILb0ELb0EjNS0_19identity_decomposerEEEEE10hipError_tT0_T1_T2_jT3_P12ihipStream_tbPNSt15iterator_traitsISI_E10value_typeEPNSO_ISJ_E10value_typeEPSK_NS1_7vsmem_tEENKUlT_SI_SJ_SK_E_clISD_PjSD_S10_EESH_SX_SI_SJ_SK_EUlSX_E0_NS1_11comp_targetILNS1_3genE9ELNS1_11target_archE1100ELNS1_3gpuE3ELNS1_3repE0EEENS1_38merge_mergepath_config_static_selectorELNS0_4arch9wavefront6targetE1EEEvSJ_,"axG",@progbits,_ZN7rocprim17ROCPRIM_400000_NS6detail17trampoline_kernelINS0_14default_configENS1_38merge_sort_block_merge_config_selectorIjjEEZZNS1_27merge_sort_block_merge_implIS3_N6thrust23THRUST_200600_302600_NS6detail15normal_iteratorINS8_10device_ptrIjEEEESD_jNS1_19radix_merge_compareILb0ELb0EjNS0_19identity_decomposerEEEEE10hipError_tT0_T1_T2_jT3_P12ihipStream_tbPNSt15iterator_traitsISI_E10value_typeEPNSO_ISJ_E10value_typeEPSK_NS1_7vsmem_tEENKUlT_SI_SJ_SK_E_clISD_PjSD_S10_EESH_SX_SI_SJ_SK_EUlSX_E0_NS1_11comp_targetILNS1_3genE9ELNS1_11target_archE1100ELNS1_3gpuE3ELNS1_3repE0EEENS1_38merge_mergepath_config_static_selectorELNS0_4arch9wavefront6targetE1EEEvSJ_,comdat
	.protected	_ZN7rocprim17ROCPRIM_400000_NS6detail17trampoline_kernelINS0_14default_configENS1_38merge_sort_block_merge_config_selectorIjjEEZZNS1_27merge_sort_block_merge_implIS3_N6thrust23THRUST_200600_302600_NS6detail15normal_iteratorINS8_10device_ptrIjEEEESD_jNS1_19radix_merge_compareILb0ELb0EjNS0_19identity_decomposerEEEEE10hipError_tT0_T1_T2_jT3_P12ihipStream_tbPNSt15iterator_traitsISI_E10value_typeEPNSO_ISJ_E10value_typeEPSK_NS1_7vsmem_tEENKUlT_SI_SJ_SK_E_clISD_PjSD_S10_EESH_SX_SI_SJ_SK_EUlSX_E0_NS1_11comp_targetILNS1_3genE9ELNS1_11target_archE1100ELNS1_3gpuE3ELNS1_3repE0EEENS1_38merge_mergepath_config_static_selectorELNS0_4arch9wavefront6targetE1EEEvSJ_ ; -- Begin function _ZN7rocprim17ROCPRIM_400000_NS6detail17trampoline_kernelINS0_14default_configENS1_38merge_sort_block_merge_config_selectorIjjEEZZNS1_27merge_sort_block_merge_implIS3_N6thrust23THRUST_200600_302600_NS6detail15normal_iteratorINS8_10device_ptrIjEEEESD_jNS1_19radix_merge_compareILb0ELb0EjNS0_19identity_decomposerEEEEE10hipError_tT0_T1_T2_jT3_P12ihipStream_tbPNSt15iterator_traitsISI_E10value_typeEPNSO_ISJ_E10value_typeEPSK_NS1_7vsmem_tEENKUlT_SI_SJ_SK_E_clISD_PjSD_S10_EESH_SX_SI_SJ_SK_EUlSX_E0_NS1_11comp_targetILNS1_3genE9ELNS1_11target_archE1100ELNS1_3gpuE3ELNS1_3repE0EEENS1_38merge_mergepath_config_static_selectorELNS0_4arch9wavefront6targetE1EEEvSJ_
	.globl	_ZN7rocprim17ROCPRIM_400000_NS6detail17trampoline_kernelINS0_14default_configENS1_38merge_sort_block_merge_config_selectorIjjEEZZNS1_27merge_sort_block_merge_implIS3_N6thrust23THRUST_200600_302600_NS6detail15normal_iteratorINS8_10device_ptrIjEEEESD_jNS1_19radix_merge_compareILb0ELb0EjNS0_19identity_decomposerEEEEE10hipError_tT0_T1_T2_jT3_P12ihipStream_tbPNSt15iterator_traitsISI_E10value_typeEPNSO_ISJ_E10value_typeEPSK_NS1_7vsmem_tEENKUlT_SI_SJ_SK_E_clISD_PjSD_S10_EESH_SX_SI_SJ_SK_EUlSX_E0_NS1_11comp_targetILNS1_3genE9ELNS1_11target_archE1100ELNS1_3gpuE3ELNS1_3repE0EEENS1_38merge_mergepath_config_static_selectorELNS0_4arch9wavefront6targetE1EEEvSJ_
	.p2align	8
	.type	_ZN7rocprim17ROCPRIM_400000_NS6detail17trampoline_kernelINS0_14default_configENS1_38merge_sort_block_merge_config_selectorIjjEEZZNS1_27merge_sort_block_merge_implIS3_N6thrust23THRUST_200600_302600_NS6detail15normal_iteratorINS8_10device_ptrIjEEEESD_jNS1_19radix_merge_compareILb0ELb0EjNS0_19identity_decomposerEEEEE10hipError_tT0_T1_T2_jT3_P12ihipStream_tbPNSt15iterator_traitsISI_E10value_typeEPNSO_ISJ_E10value_typeEPSK_NS1_7vsmem_tEENKUlT_SI_SJ_SK_E_clISD_PjSD_S10_EESH_SX_SI_SJ_SK_EUlSX_E0_NS1_11comp_targetILNS1_3genE9ELNS1_11target_archE1100ELNS1_3gpuE3ELNS1_3repE0EEENS1_38merge_mergepath_config_static_selectorELNS0_4arch9wavefront6targetE1EEEvSJ_,@function
_ZN7rocprim17ROCPRIM_400000_NS6detail17trampoline_kernelINS0_14default_configENS1_38merge_sort_block_merge_config_selectorIjjEEZZNS1_27merge_sort_block_merge_implIS3_N6thrust23THRUST_200600_302600_NS6detail15normal_iteratorINS8_10device_ptrIjEEEESD_jNS1_19radix_merge_compareILb0ELb0EjNS0_19identity_decomposerEEEEE10hipError_tT0_T1_T2_jT3_P12ihipStream_tbPNSt15iterator_traitsISI_E10value_typeEPNSO_ISJ_E10value_typeEPSK_NS1_7vsmem_tEENKUlT_SI_SJ_SK_E_clISD_PjSD_S10_EESH_SX_SI_SJ_SK_EUlSX_E0_NS1_11comp_targetILNS1_3genE9ELNS1_11target_archE1100ELNS1_3gpuE3ELNS1_3repE0EEENS1_38merge_mergepath_config_static_selectorELNS0_4arch9wavefront6targetE1EEEvSJ_: ; @_ZN7rocprim17ROCPRIM_400000_NS6detail17trampoline_kernelINS0_14default_configENS1_38merge_sort_block_merge_config_selectorIjjEEZZNS1_27merge_sort_block_merge_implIS3_N6thrust23THRUST_200600_302600_NS6detail15normal_iteratorINS8_10device_ptrIjEEEESD_jNS1_19radix_merge_compareILb0ELb0EjNS0_19identity_decomposerEEEEE10hipError_tT0_T1_T2_jT3_P12ihipStream_tbPNSt15iterator_traitsISI_E10value_typeEPNSO_ISJ_E10value_typeEPSK_NS1_7vsmem_tEENKUlT_SI_SJ_SK_E_clISD_PjSD_S10_EESH_SX_SI_SJ_SK_EUlSX_E0_NS1_11comp_targetILNS1_3genE9ELNS1_11target_archE1100ELNS1_3gpuE3ELNS1_3repE0EEENS1_38merge_mergepath_config_static_selectorELNS0_4arch9wavefront6targetE1EEEvSJ_
; %bb.0:
	.section	.rodata,"a",@progbits
	.p2align	6, 0x0
	.amdhsa_kernel _ZN7rocprim17ROCPRIM_400000_NS6detail17trampoline_kernelINS0_14default_configENS1_38merge_sort_block_merge_config_selectorIjjEEZZNS1_27merge_sort_block_merge_implIS3_N6thrust23THRUST_200600_302600_NS6detail15normal_iteratorINS8_10device_ptrIjEEEESD_jNS1_19radix_merge_compareILb0ELb0EjNS0_19identity_decomposerEEEEE10hipError_tT0_T1_T2_jT3_P12ihipStream_tbPNSt15iterator_traitsISI_E10value_typeEPNSO_ISJ_E10value_typeEPSK_NS1_7vsmem_tEENKUlT_SI_SJ_SK_E_clISD_PjSD_S10_EESH_SX_SI_SJ_SK_EUlSX_E0_NS1_11comp_targetILNS1_3genE9ELNS1_11target_archE1100ELNS1_3gpuE3ELNS1_3repE0EEENS1_38merge_mergepath_config_static_selectorELNS0_4arch9wavefront6targetE1EEEvSJ_
		.amdhsa_group_segment_fixed_size 0
		.amdhsa_private_segment_fixed_size 0
		.amdhsa_kernarg_size 64
		.amdhsa_user_sgpr_count 2
		.amdhsa_user_sgpr_dispatch_ptr 0
		.amdhsa_user_sgpr_queue_ptr 0
		.amdhsa_user_sgpr_kernarg_segment_ptr 1
		.amdhsa_user_sgpr_dispatch_id 0
		.amdhsa_user_sgpr_kernarg_preload_length 0
		.amdhsa_user_sgpr_kernarg_preload_offset 0
		.amdhsa_user_sgpr_private_segment_size 0
		.amdhsa_uses_dynamic_stack 0
		.amdhsa_enable_private_segment 0
		.amdhsa_system_sgpr_workgroup_id_x 1
		.amdhsa_system_sgpr_workgroup_id_y 0
		.amdhsa_system_sgpr_workgroup_id_z 0
		.amdhsa_system_sgpr_workgroup_info 0
		.amdhsa_system_vgpr_workitem_id 0
		.amdhsa_next_free_vgpr 1
		.amdhsa_next_free_sgpr 0
		.amdhsa_accum_offset 4
		.amdhsa_reserve_vcc 0
		.amdhsa_float_round_mode_32 0
		.amdhsa_float_round_mode_16_64 0
		.amdhsa_float_denorm_mode_32 3
		.amdhsa_float_denorm_mode_16_64 3
		.amdhsa_dx10_clamp 1
		.amdhsa_ieee_mode 1
		.amdhsa_fp16_overflow 0
		.amdhsa_tg_split 0
		.amdhsa_exception_fp_ieee_invalid_op 0
		.amdhsa_exception_fp_denorm_src 0
		.amdhsa_exception_fp_ieee_div_zero 0
		.amdhsa_exception_fp_ieee_overflow 0
		.amdhsa_exception_fp_ieee_underflow 0
		.amdhsa_exception_fp_ieee_inexact 0
		.amdhsa_exception_int_div_zero 0
	.end_amdhsa_kernel
	.section	.text._ZN7rocprim17ROCPRIM_400000_NS6detail17trampoline_kernelINS0_14default_configENS1_38merge_sort_block_merge_config_selectorIjjEEZZNS1_27merge_sort_block_merge_implIS3_N6thrust23THRUST_200600_302600_NS6detail15normal_iteratorINS8_10device_ptrIjEEEESD_jNS1_19radix_merge_compareILb0ELb0EjNS0_19identity_decomposerEEEEE10hipError_tT0_T1_T2_jT3_P12ihipStream_tbPNSt15iterator_traitsISI_E10value_typeEPNSO_ISJ_E10value_typeEPSK_NS1_7vsmem_tEENKUlT_SI_SJ_SK_E_clISD_PjSD_S10_EESH_SX_SI_SJ_SK_EUlSX_E0_NS1_11comp_targetILNS1_3genE9ELNS1_11target_archE1100ELNS1_3gpuE3ELNS1_3repE0EEENS1_38merge_mergepath_config_static_selectorELNS0_4arch9wavefront6targetE1EEEvSJ_,"axG",@progbits,_ZN7rocprim17ROCPRIM_400000_NS6detail17trampoline_kernelINS0_14default_configENS1_38merge_sort_block_merge_config_selectorIjjEEZZNS1_27merge_sort_block_merge_implIS3_N6thrust23THRUST_200600_302600_NS6detail15normal_iteratorINS8_10device_ptrIjEEEESD_jNS1_19radix_merge_compareILb0ELb0EjNS0_19identity_decomposerEEEEE10hipError_tT0_T1_T2_jT3_P12ihipStream_tbPNSt15iterator_traitsISI_E10value_typeEPNSO_ISJ_E10value_typeEPSK_NS1_7vsmem_tEENKUlT_SI_SJ_SK_E_clISD_PjSD_S10_EESH_SX_SI_SJ_SK_EUlSX_E0_NS1_11comp_targetILNS1_3genE9ELNS1_11target_archE1100ELNS1_3gpuE3ELNS1_3repE0EEENS1_38merge_mergepath_config_static_selectorELNS0_4arch9wavefront6targetE1EEEvSJ_,comdat
.Lfunc_end657:
	.size	_ZN7rocprim17ROCPRIM_400000_NS6detail17trampoline_kernelINS0_14default_configENS1_38merge_sort_block_merge_config_selectorIjjEEZZNS1_27merge_sort_block_merge_implIS3_N6thrust23THRUST_200600_302600_NS6detail15normal_iteratorINS8_10device_ptrIjEEEESD_jNS1_19radix_merge_compareILb0ELb0EjNS0_19identity_decomposerEEEEE10hipError_tT0_T1_T2_jT3_P12ihipStream_tbPNSt15iterator_traitsISI_E10value_typeEPNSO_ISJ_E10value_typeEPSK_NS1_7vsmem_tEENKUlT_SI_SJ_SK_E_clISD_PjSD_S10_EESH_SX_SI_SJ_SK_EUlSX_E0_NS1_11comp_targetILNS1_3genE9ELNS1_11target_archE1100ELNS1_3gpuE3ELNS1_3repE0EEENS1_38merge_mergepath_config_static_selectorELNS0_4arch9wavefront6targetE1EEEvSJ_, .Lfunc_end657-_ZN7rocprim17ROCPRIM_400000_NS6detail17trampoline_kernelINS0_14default_configENS1_38merge_sort_block_merge_config_selectorIjjEEZZNS1_27merge_sort_block_merge_implIS3_N6thrust23THRUST_200600_302600_NS6detail15normal_iteratorINS8_10device_ptrIjEEEESD_jNS1_19radix_merge_compareILb0ELb0EjNS0_19identity_decomposerEEEEE10hipError_tT0_T1_T2_jT3_P12ihipStream_tbPNSt15iterator_traitsISI_E10value_typeEPNSO_ISJ_E10value_typeEPSK_NS1_7vsmem_tEENKUlT_SI_SJ_SK_E_clISD_PjSD_S10_EESH_SX_SI_SJ_SK_EUlSX_E0_NS1_11comp_targetILNS1_3genE9ELNS1_11target_archE1100ELNS1_3gpuE3ELNS1_3repE0EEENS1_38merge_mergepath_config_static_selectorELNS0_4arch9wavefront6targetE1EEEvSJ_
                                        ; -- End function
	.set _ZN7rocprim17ROCPRIM_400000_NS6detail17trampoline_kernelINS0_14default_configENS1_38merge_sort_block_merge_config_selectorIjjEEZZNS1_27merge_sort_block_merge_implIS3_N6thrust23THRUST_200600_302600_NS6detail15normal_iteratorINS8_10device_ptrIjEEEESD_jNS1_19radix_merge_compareILb0ELb0EjNS0_19identity_decomposerEEEEE10hipError_tT0_T1_T2_jT3_P12ihipStream_tbPNSt15iterator_traitsISI_E10value_typeEPNSO_ISJ_E10value_typeEPSK_NS1_7vsmem_tEENKUlT_SI_SJ_SK_E_clISD_PjSD_S10_EESH_SX_SI_SJ_SK_EUlSX_E0_NS1_11comp_targetILNS1_3genE9ELNS1_11target_archE1100ELNS1_3gpuE3ELNS1_3repE0EEENS1_38merge_mergepath_config_static_selectorELNS0_4arch9wavefront6targetE1EEEvSJ_.num_vgpr, 0
	.set _ZN7rocprim17ROCPRIM_400000_NS6detail17trampoline_kernelINS0_14default_configENS1_38merge_sort_block_merge_config_selectorIjjEEZZNS1_27merge_sort_block_merge_implIS3_N6thrust23THRUST_200600_302600_NS6detail15normal_iteratorINS8_10device_ptrIjEEEESD_jNS1_19radix_merge_compareILb0ELb0EjNS0_19identity_decomposerEEEEE10hipError_tT0_T1_T2_jT3_P12ihipStream_tbPNSt15iterator_traitsISI_E10value_typeEPNSO_ISJ_E10value_typeEPSK_NS1_7vsmem_tEENKUlT_SI_SJ_SK_E_clISD_PjSD_S10_EESH_SX_SI_SJ_SK_EUlSX_E0_NS1_11comp_targetILNS1_3genE9ELNS1_11target_archE1100ELNS1_3gpuE3ELNS1_3repE0EEENS1_38merge_mergepath_config_static_selectorELNS0_4arch9wavefront6targetE1EEEvSJ_.num_agpr, 0
	.set _ZN7rocprim17ROCPRIM_400000_NS6detail17trampoline_kernelINS0_14default_configENS1_38merge_sort_block_merge_config_selectorIjjEEZZNS1_27merge_sort_block_merge_implIS3_N6thrust23THRUST_200600_302600_NS6detail15normal_iteratorINS8_10device_ptrIjEEEESD_jNS1_19radix_merge_compareILb0ELb0EjNS0_19identity_decomposerEEEEE10hipError_tT0_T1_T2_jT3_P12ihipStream_tbPNSt15iterator_traitsISI_E10value_typeEPNSO_ISJ_E10value_typeEPSK_NS1_7vsmem_tEENKUlT_SI_SJ_SK_E_clISD_PjSD_S10_EESH_SX_SI_SJ_SK_EUlSX_E0_NS1_11comp_targetILNS1_3genE9ELNS1_11target_archE1100ELNS1_3gpuE3ELNS1_3repE0EEENS1_38merge_mergepath_config_static_selectorELNS0_4arch9wavefront6targetE1EEEvSJ_.numbered_sgpr, 0
	.set _ZN7rocprim17ROCPRIM_400000_NS6detail17trampoline_kernelINS0_14default_configENS1_38merge_sort_block_merge_config_selectorIjjEEZZNS1_27merge_sort_block_merge_implIS3_N6thrust23THRUST_200600_302600_NS6detail15normal_iteratorINS8_10device_ptrIjEEEESD_jNS1_19radix_merge_compareILb0ELb0EjNS0_19identity_decomposerEEEEE10hipError_tT0_T1_T2_jT3_P12ihipStream_tbPNSt15iterator_traitsISI_E10value_typeEPNSO_ISJ_E10value_typeEPSK_NS1_7vsmem_tEENKUlT_SI_SJ_SK_E_clISD_PjSD_S10_EESH_SX_SI_SJ_SK_EUlSX_E0_NS1_11comp_targetILNS1_3genE9ELNS1_11target_archE1100ELNS1_3gpuE3ELNS1_3repE0EEENS1_38merge_mergepath_config_static_selectorELNS0_4arch9wavefront6targetE1EEEvSJ_.num_named_barrier, 0
	.set _ZN7rocprim17ROCPRIM_400000_NS6detail17trampoline_kernelINS0_14default_configENS1_38merge_sort_block_merge_config_selectorIjjEEZZNS1_27merge_sort_block_merge_implIS3_N6thrust23THRUST_200600_302600_NS6detail15normal_iteratorINS8_10device_ptrIjEEEESD_jNS1_19radix_merge_compareILb0ELb0EjNS0_19identity_decomposerEEEEE10hipError_tT0_T1_T2_jT3_P12ihipStream_tbPNSt15iterator_traitsISI_E10value_typeEPNSO_ISJ_E10value_typeEPSK_NS1_7vsmem_tEENKUlT_SI_SJ_SK_E_clISD_PjSD_S10_EESH_SX_SI_SJ_SK_EUlSX_E0_NS1_11comp_targetILNS1_3genE9ELNS1_11target_archE1100ELNS1_3gpuE3ELNS1_3repE0EEENS1_38merge_mergepath_config_static_selectorELNS0_4arch9wavefront6targetE1EEEvSJ_.private_seg_size, 0
	.set _ZN7rocprim17ROCPRIM_400000_NS6detail17trampoline_kernelINS0_14default_configENS1_38merge_sort_block_merge_config_selectorIjjEEZZNS1_27merge_sort_block_merge_implIS3_N6thrust23THRUST_200600_302600_NS6detail15normal_iteratorINS8_10device_ptrIjEEEESD_jNS1_19radix_merge_compareILb0ELb0EjNS0_19identity_decomposerEEEEE10hipError_tT0_T1_T2_jT3_P12ihipStream_tbPNSt15iterator_traitsISI_E10value_typeEPNSO_ISJ_E10value_typeEPSK_NS1_7vsmem_tEENKUlT_SI_SJ_SK_E_clISD_PjSD_S10_EESH_SX_SI_SJ_SK_EUlSX_E0_NS1_11comp_targetILNS1_3genE9ELNS1_11target_archE1100ELNS1_3gpuE3ELNS1_3repE0EEENS1_38merge_mergepath_config_static_selectorELNS0_4arch9wavefront6targetE1EEEvSJ_.uses_vcc, 0
	.set _ZN7rocprim17ROCPRIM_400000_NS6detail17trampoline_kernelINS0_14default_configENS1_38merge_sort_block_merge_config_selectorIjjEEZZNS1_27merge_sort_block_merge_implIS3_N6thrust23THRUST_200600_302600_NS6detail15normal_iteratorINS8_10device_ptrIjEEEESD_jNS1_19radix_merge_compareILb0ELb0EjNS0_19identity_decomposerEEEEE10hipError_tT0_T1_T2_jT3_P12ihipStream_tbPNSt15iterator_traitsISI_E10value_typeEPNSO_ISJ_E10value_typeEPSK_NS1_7vsmem_tEENKUlT_SI_SJ_SK_E_clISD_PjSD_S10_EESH_SX_SI_SJ_SK_EUlSX_E0_NS1_11comp_targetILNS1_3genE9ELNS1_11target_archE1100ELNS1_3gpuE3ELNS1_3repE0EEENS1_38merge_mergepath_config_static_selectorELNS0_4arch9wavefront6targetE1EEEvSJ_.uses_flat_scratch, 0
	.set _ZN7rocprim17ROCPRIM_400000_NS6detail17trampoline_kernelINS0_14default_configENS1_38merge_sort_block_merge_config_selectorIjjEEZZNS1_27merge_sort_block_merge_implIS3_N6thrust23THRUST_200600_302600_NS6detail15normal_iteratorINS8_10device_ptrIjEEEESD_jNS1_19radix_merge_compareILb0ELb0EjNS0_19identity_decomposerEEEEE10hipError_tT0_T1_T2_jT3_P12ihipStream_tbPNSt15iterator_traitsISI_E10value_typeEPNSO_ISJ_E10value_typeEPSK_NS1_7vsmem_tEENKUlT_SI_SJ_SK_E_clISD_PjSD_S10_EESH_SX_SI_SJ_SK_EUlSX_E0_NS1_11comp_targetILNS1_3genE9ELNS1_11target_archE1100ELNS1_3gpuE3ELNS1_3repE0EEENS1_38merge_mergepath_config_static_selectorELNS0_4arch9wavefront6targetE1EEEvSJ_.has_dyn_sized_stack, 0
	.set _ZN7rocprim17ROCPRIM_400000_NS6detail17trampoline_kernelINS0_14default_configENS1_38merge_sort_block_merge_config_selectorIjjEEZZNS1_27merge_sort_block_merge_implIS3_N6thrust23THRUST_200600_302600_NS6detail15normal_iteratorINS8_10device_ptrIjEEEESD_jNS1_19radix_merge_compareILb0ELb0EjNS0_19identity_decomposerEEEEE10hipError_tT0_T1_T2_jT3_P12ihipStream_tbPNSt15iterator_traitsISI_E10value_typeEPNSO_ISJ_E10value_typeEPSK_NS1_7vsmem_tEENKUlT_SI_SJ_SK_E_clISD_PjSD_S10_EESH_SX_SI_SJ_SK_EUlSX_E0_NS1_11comp_targetILNS1_3genE9ELNS1_11target_archE1100ELNS1_3gpuE3ELNS1_3repE0EEENS1_38merge_mergepath_config_static_selectorELNS0_4arch9wavefront6targetE1EEEvSJ_.has_recursion, 0
	.set _ZN7rocprim17ROCPRIM_400000_NS6detail17trampoline_kernelINS0_14default_configENS1_38merge_sort_block_merge_config_selectorIjjEEZZNS1_27merge_sort_block_merge_implIS3_N6thrust23THRUST_200600_302600_NS6detail15normal_iteratorINS8_10device_ptrIjEEEESD_jNS1_19radix_merge_compareILb0ELb0EjNS0_19identity_decomposerEEEEE10hipError_tT0_T1_T2_jT3_P12ihipStream_tbPNSt15iterator_traitsISI_E10value_typeEPNSO_ISJ_E10value_typeEPSK_NS1_7vsmem_tEENKUlT_SI_SJ_SK_E_clISD_PjSD_S10_EESH_SX_SI_SJ_SK_EUlSX_E0_NS1_11comp_targetILNS1_3genE9ELNS1_11target_archE1100ELNS1_3gpuE3ELNS1_3repE0EEENS1_38merge_mergepath_config_static_selectorELNS0_4arch9wavefront6targetE1EEEvSJ_.has_indirect_call, 0
	.section	.AMDGPU.csdata,"",@progbits
; Kernel info:
; codeLenInByte = 0
; TotalNumSgprs: 6
; NumVgprs: 0
; NumAgprs: 0
; TotalNumVgprs: 0
; ScratchSize: 0
; MemoryBound: 0
; FloatMode: 240
; IeeeMode: 1
; LDSByteSize: 0 bytes/workgroup (compile time only)
; SGPRBlocks: 0
; VGPRBlocks: 0
; NumSGPRsForWavesPerEU: 6
; NumVGPRsForWavesPerEU: 1
; AccumOffset: 4
; Occupancy: 8
; WaveLimiterHint : 0
; COMPUTE_PGM_RSRC2:SCRATCH_EN: 0
; COMPUTE_PGM_RSRC2:USER_SGPR: 2
; COMPUTE_PGM_RSRC2:TRAP_HANDLER: 0
; COMPUTE_PGM_RSRC2:TGID_X_EN: 1
; COMPUTE_PGM_RSRC2:TGID_Y_EN: 0
; COMPUTE_PGM_RSRC2:TGID_Z_EN: 0
; COMPUTE_PGM_RSRC2:TIDIG_COMP_CNT: 0
; COMPUTE_PGM_RSRC3_GFX90A:ACCUM_OFFSET: 0
; COMPUTE_PGM_RSRC3_GFX90A:TG_SPLIT: 0
	.section	.text._ZN7rocprim17ROCPRIM_400000_NS6detail17trampoline_kernelINS0_14default_configENS1_38merge_sort_block_merge_config_selectorIjjEEZZNS1_27merge_sort_block_merge_implIS3_N6thrust23THRUST_200600_302600_NS6detail15normal_iteratorINS8_10device_ptrIjEEEESD_jNS1_19radix_merge_compareILb0ELb0EjNS0_19identity_decomposerEEEEE10hipError_tT0_T1_T2_jT3_P12ihipStream_tbPNSt15iterator_traitsISI_E10value_typeEPNSO_ISJ_E10value_typeEPSK_NS1_7vsmem_tEENKUlT_SI_SJ_SK_E_clISD_PjSD_S10_EESH_SX_SI_SJ_SK_EUlSX_E0_NS1_11comp_targetILNS1_3genE8ELNS1_11target_archE1030ELNS1_3gpuE2ELNS1_3repE0EEENS1_38merge_mergepath_config_static_selectorELNS0_4arch9wavefront6targetE1EEEvSJ_,"axG",@progbits,_ZN7rocprim17ROCPRIM_400000_NS6detail17trampoline_kernelINS0_14default_configENS1_38merge_sort_block_merge_config_selectorIjjEEZZNS1_27merge_sort_block_merge_implIS3_N6thrust23THRUST_200600_302600_NS6detail15normal_iteratorINS8_10device_ptrIjEEEESD_jNS1_19radix_merge_compareILb0ELb0EjNS0_19identity_decomposerEEEEE10hipError_tT0_T1_T2_jT3_P12ihipStream_tbPNSt15iterator_traitsISI_E10value_typeEPNSO_ISJ_E10value_typeEPSK_NS1_7vsmem_tEENKUlT_SI_SJ_SK_E_clISD_PjSD_S10_EESH_SX_SI_SJ_SK_EUlSX_E0_NS1_11comp_targetILNS1_3genE8ELNS1_11target_archE1030ELNS1_3gpuE2ELNS1_3repE0EEENS1_38merge_mergepath_config_static_selectorELNS0_4arch9wavefront6targetE1EEEvSJ_,comdat
	.protected	_ZN7rocprim17ROCPRIM_400000_NS6detail17trampoline_kernelINS0_14default_configENS1_38merge_sort_block_merge_config_selectorIjjEEZZNS1_27merge_sort_block_merge_implIS3_N6thrust23THRUST_200600_302600_NS6detail15normal_iteratorINS8_10device_ptrIjEEEESD_jNS1_19radix_merge_compareILb0ELb0EjNS0_19identity_decomposerEEEEE10hipError_tT0_T1_T2_jT3_P12ihipStream_tbPNSt15iterator_traitsISI_E10value_typeEPNSO_ISJ_E10value_typeEPSK_NS1_7vsmem_tEENKUlT_SI_SJ_SK_E_clISD_PjSD_S10_EESH_SX_SI_SJ_SK_EUlSX_E0_NS1_11comp_targetILNS1_3genE8ELNS1_11target_archE1030ELNS1_3gpuE2ELNS1_3repE0EEENS1_38merge_mergepath_config_static_selectorELNS0_4arch9wavefront6targetE1EEEvSJ_ ; -- Begin function _ZN7rocprim17ROCPRIM_400000_NS6detail17trampoline_kernelINS0_14default_configENS1_38merge_sort_block_merge_config_selectorIjjEEZZNS1_27merge_sort_block_merge_implIS3_N6thrust23THRUST_200600_302600_NS6detail15normal_iteratorINS8_10device_ptrIjEEEESD_jNS1_19radix_merge_compareILb0ELb0EjNS0_19identity_decomposerEEEEE10hipError_tT0_T1_T2_jT3_P12ihipStream_tbPNSt15iterator_traitsISI_E10value_typeEPNSO_ISJ_E10value_typeEPSK_NS1_7vsmem_tEENKUlT_SI_SJ_SK_E_clISD_PjSD_S10_EESH_SX_SI_SJ_SK_EUlSX_E0_NS1_11comp_targetILNS1_3genE8ELNS1_11target_archE1030ELNS1_3gpuE2ELNS1_3repE0EEENS1_38merge_mergepath_config_static_selectorELNS0_4arch9wavefront6targetE1EEEvSJ_
	.globl	_ZN7rocprim17ROCPRIM_400000_NS6detail17trampoline_kernelINS0_14default_configENS1_38merge_sort_block_merge_config_selectorIjjEEZZNS1_27merge_sort_block_merge_implIS3_N6thrust23THRUST_200600_302600_NS6detail15normal_iteratorINS8_10device_ptrIjEEEESD_jNS1_19radix_merge_compareILb0ELb0EjNS0_19identity_decomposerEEEEE10hipError_tT0_T1_T2_jT3_P12ihipStream_tbPNSt15iterator_traitsISI_E10value_typeEPNSO_ISJ_E10value_typeEPSK_NS1_7vsmem_tEENKUlT_SI_SJ_SK_E_clISD_PjSD_S10_EESH_SX_SI_SJ_SK_EUlSX_E0_NS1_11comp_targetILNS1_3genE8ELNS1_11target_archE1030ELNS1_3gpuE2ELNS1_3repE0EEENS1_38merge_mergepath_config_static_selectorELNS0_4arch9wavefront6targetE1EEEvSJ_
	.p2align	8
	.type	_ZN7rocprim17ROCPRIM_400000_NS6detail17trampoline_kernelINS0_14default_configENS1_38merge_sort_block_merge_config_selectorIjjEEZZNS1_27merge_sort_block_merge_implIS3_N6thrust23THRUST_200600_302600_NS6detail15normal_iteratorINS8_10device_ptrIjEEEESD_jNS1_19radix_merge_compareILb0ELb0EjNS0_19identity_decomposerEEEEE10hipError_tT0_T1_T2_jT3_P12ihipStream_tbPNSt15iterator_traitsISI_E10value_typeEPNSO_ISJ_E10value_typeEPSK_NS1_7vsmem_tEENKUlT_SI_SJ_SK_E_clISD_PjSD_S10_EESH_SX_SI_SJ_SK_EUlSX_E0_NS1_11comp_targetILNS1_3genE8ELNS1_11target_archE1030ELNS1_3gpuE2ELNS1_3repE0EEENS1_38merge_mergepath_config_static_selectorELNS0_4arch9wavefront6targetE1EEEvSJ_,@function
_ZN7rocprim17ROCPRIM_400000_NS6detail17trampoline_kernelINS0_14default_configENS1_38merge_sort_block_merge_config_selectorIjjEEZZNS1_27merge_sort_block_merge_implIS3_N6thrust23THRUST_200600_302600_NS6detail15normal_iteratorINS8_10device_ptrIjEEEESD_jNS1_19radix_merge_compareILb0ELb0EjNS0_19identity_decomposerEEEEE10hipError_tT0_T1_T2_jT3_P12ihipStream_tbPNSt15iterator_traitsISI_E10value_typeEPNSO_ISJ_E10value_typeEPSK_NS1_7vsmem_tEENKUlT_SI_SJ_SK_E_clISD_PjSD_S10_EESH_SX_SI_SJ_SK_EUlSX_E0_NS1_11comp_targetILNS1_3genE8ELNS1_11target_archE1030ELNS1_3gpuE2ELNS1_3repE0EEENS1_38merge_mergepath_config_static_selectorELNS0_4arch9wavefront6targetE1EEEvSJ_: ; @_ZN7rocprim17ROCPRIM_400000_NS6detail17trampoline_kernelINS0_14default_configENS1_38merge_sort_block_merge_config_selectorIjjEEZZNS1_27merge_sort_block_merge_implIS3_N6thrust23THRUST_200600_302600_NS6detail15normal_iteratorINS8_10device_ptrIjEEEESD_jNS1_19radix_merge_compareILb0ELb0EjNS0_19identity_decomposerEEEEE10hipError_tT0_T1_T2_jT3_P12ihipStream_tbPNSt15iterator_traitsISI_E10value_typeEPNSO_ISJ_E10value_typeEPSK_NS1_7vsmem_tEENKUlT_SI_SJ_SK_E_clISD_PjSD_S10_EESH_SX_SI_SJ_SK_EUlSX_E0_NS1_11comp_targetILNS1_3genE8ELNS1_11target_archE1030ELNS1_3gpuE2ELNS1_3repE0EEENS1_38merge_mergepath_config_static_selectorELNS0_4arch9wavefront6targetE1EEEvSJ_
; %bb.0:
	.section	.rodata,"a",@progbits
	.p2align	6, 0x0
	.amdhsa_kernel _ZN7rocprim17ROCPRIM_400000_NS6detail17trampoline_kernelINS0_14default_configENS1_38merge_sort_block_merge_config_selectorIjjEEZZNS1_27merge_sort_block_merge_implIS3_N6thrust23THRUST_200600_302600_NS6detail15normal_iteratorINS8_10device_ptrIjEEEESD_jNS1_19radix_merge_compareILb0ELb0EjNS0_19identity_decomposerEEEEE10hipError_tT0_T1_T2_jT3_P12ihipStream_tbPNSt15iterator_traitsISI_E10value_typeEPNSO_ISJ_E10value_typeEPSK_NS1_7vsmem_tEENKUlT_SI_SJ_SK_E_clISD_PjSD_S10_EESH_SX_SI_SJ_SK_EUlSX_E0_NS1_11comp_targetILNS1_3genE8ELNS1_11target_archE1030ELNS1_3gpuE2ELNS1_3repE0EEENS1_38merge_mergepath_config_static_selectorELNS0_4arch9wavefront6targetE1EEEvSJ_
		.amdhsa_group_segment_fixed_size 0
		.amdhsa_private_segment_fixed_size 0
		.amdhsa_kernarg_size 64
		.amdhsa_user_sgpr_count 2
		.amdhsa_user_sgpr_dispatch_ptr 0
		.amdhsa_user_sgpr_queue_ptr 0
		.amdhsa_user_sgpr_kernarg_segment_ptr 1
		.amdhsa_user_sgpr_dispatch_id 0
		.amdhsa_user_sgpr_kernarg_preload_length 0
		.amdhsa_user_sgpr_kernarg_preload_offset 0
		.amdhsa_user_sgpr_private_segment_size 0
		.amdhsa_uses_dynamic_stack 0
		.amdhsa_enable_private_segment 0
		.amdhsa_system_sgpr_workgroup_id_x 1
		.amdhsa_system_sgpr_workgroup_id_y 0
		.amdhsa_system_sgpr_workgroup_id_z 0
		.amdhsa_system_sgpr_workgroup_info 0
		.amdhsa_system_vgpr_workitem_id 0
		.amdhsa_next_free_vgpr 1
		.amdhsa_next_free_sgpr 0
		.amdhsa_accum_offset 4
		.amdhsa_reserve_vcc 0
		.amdhsa_float_round_mode_32 0
		.amdhsa_float_round_mode_16_64 0
		.amdhsa_float_denorm_mode_32 3
		.amdhsa_float_denorm_mode_16_64 3
		.amdhsa_dx10_clamp 1
		.amdhsa_ieee_mode 1
		.amdhsa_fp16_overflow 0
		.amdhsa_tg_split 0
		.amdhsa_exception_fp_ieee_invalid_op 0
		.amdhsa_exception_fp_denorm_src 0
		.amdhsa_exception_fp_ieee_div_zero 0
		.amdhsa_exception_fp_ieee_overflow 0
		.amdhsa_exception_fp_ieee_underflow 0
		.amdhsa_exception_fp_ieee_inexact 0
		.amdhsa_exception_int_div_zero 0
	.end_amdhsa_kernel
	.section	.text._ZN7rocprim17ROCPRIM_400000_NS6detail17trampoline_kernelINS0_14default_configENS1_38merge_sort_block_merge_config_selectorIjjEEZZNS1_27merge_sort_block_merge_implIS3_N6thrust23THRUST_200600_302600_NS6detail15normal_iteratorINS8_10device_ptrIjEEEESD_jNS1_19radix_merge_compareILb0ELb0EjNS0_19identity_decomposerEEEEE10hipError_tT0_T1_T2_jT3_P12ihipStream_tbPNSt15iterator_traitsISI_E10value_typeEPNSO_ISJ_E10value_typeEPSK_NS1_7vsmem_tEENKUlT_SI_SJ_SK_E_clISD_PjSD_S10_EESH_SX_SI_SJ_SK_EUlSX_E0_NS1_11comp_targetILNS1_3genE8ELNS1_11target_archE1030ELNS1_3gpuE2ELNS1_3repE0EEENS1_38merge_mergepath_config_static_selectorELNS0_4arch9wavefront6targetE1EEEvSJ_,"axG",@progbits,_ZN7rocprim17ROCPRIM_400000_NS6detail17trampoline_kernelINS0_14default_configENS1_38merge_sort_block_merge_config_selectorIjjEEZZNS1_27merge_sort_block_merge_implIS3_N6thrust23THRUST_200600_302600_NS6detail15normal_iteratorINS8_10device_ptrIjEEEESD_jNS1_19radix_merge_compareILb0ELb0EjNS0_19identity_decomposerEEEEE10hipError_tT0_T1_T2_jT3_P12ihipStream_tbPNSt15iterator_traitsISI_E10value_typeEPNSO_ISJ_E10value_typeEPSK_NS1_7vsmem_tEENKUlT_SI_SJ_SK_E_clISD_PjSD_S10_EESH_SX_SI_SJ_SK_EUlSX_E0_NS1_11comp_targetILNS1_3genE8ELNS1_11target_archE1030ELNS1_3gpuE2ELNS1_3repE0EEENS1_38merge_mergepath_config_static_selectorELNS0_4arch9wavefront6targetE1EEEvSJ_,comdat
.Lfunc_end658:
	.size	_ZN7rocprim17ROCPRIM_400000_NS6detail17trampoline_kernelINS0_14default_configENS1_38merge_sort_block_merge_config_selectorIjjEEZZNS1_27merge_sort_block_merge_implIS3_N6thrust23THRUST_200600_302600_NS6detail15normal_iteratorINS8_10device_ptrIjEEEESD_jNS1_19radix_merge_compareILb0ELb0EjNS0_19identity_decomposerEEEEE10hipError_tT0_T1_T2_jT3_P12ihipStream_tbPNSt15iterator_traitsISI_E10value_typeEPNSO_ISJ_E10value_typeEPSK_NS1_7vsmem_tEENKUlT_SI_SJ_SK_E_clISD_PjSD_S10_EESH_SX_SI_SJ_SK_EUlSX_E0_NS1_11comp_targetILNS1_3genE8ELNS1_11target_archE1030ELNS1_3gpuE2ELNS1_3repE0EEENS1_38merge_mergepath_config_static_selectorELNS0_4arch9wavefront6targetE1EEEvSJ_, .Lfunc_end658-_ZN7rocprim17ROCPRIM_400000_NS6detail17trampoline_kernelINS0_14default_configENS1_38merge_sort_block_merge_config_selectorIjjEEZZNS1_27merge_sort_block_merge_implIS3_N6thrust23THRUST_200600_302600_NS6detail15normal_iteratorINS8_10device_ptrIjEEEESD_jNS1_19radix_merge_compareILb0ELb0EjNS0_19identity_decomposerEEEEE10hipError_tT0_T1_T2_jT3_P12ihipStream_tbPNSt15iterator_traitsISI_E10value_typeEPNSO_ISJ_E10value_typeEPSK_NS1_7vsmem_tEENKUlT_SI_SJ_SK_E_clISD_PjSD_S10_EESH_SX_SI_SJ_SK_EUlSX_E0_NS1_11comp_targetILNS1_3genE8ELNS1_11target_archE1030ELNS1_3gpuE2ELNS1_3repE0EEENS1_38merge_mergepath_config_static_selectorELNS0_4arch9wavefront6targetE1EEEvSJ_
                                        ; -- End function
	.set _ZN7rocprim17ROCPRIM_400000_NS6detail17trampoline_kernelINS0_14default_configENS1_38merge_sort_block_merge_config_selectorIjjEEZZNS1_27merge_sort_block_merge_implIS3_N6thrust23THRUST_200600_302600_NS6detail15normal_iteratorINS8_10device_ptrIjEEEESD_jNS1_19radix_merge_compareILb0ELb0EjNS0_19identity_decomposerEEEEE10hipError_tT0_T1_T2_jT3_P12ihipStream_tbPNSt15iterator_traitsISI_E10value_typeEPNSO_ISJ_E10value_typeEPSK_NS1_7vsmem_tEENKUlT_SI_SJ_SK_E_clISD_PjSD_S10_EESH_SX_SI_SJ_SK_EUlSX_E0_NS1_11comp_targetILNS1_3genE8ELNS1_11target_archE1030ELNS1_3gpuE2ELNS1_3repE0EEENS1_38merge_mergepath_config_static_selectorELNS0_4arch9wavefront6targetE1EEEvSJ_.num_vgpr, 0
	.set _ZN7rocprim17ROCPRIM_400000_NS6detail17trampoline_kernelINS0_14default_configENS1_38merge_sort_block_merge_config_selectorIjjEEZZNS1_27merge_sort_block_merge_implIS3_N6thrust23THRUST_200600_302600_NS6detail15normal_iteratorINS8_10device_ptrIjEEEESD_jNS1_19radix_merge_compareILb0ELb0EjNS0_19identity_decomposerEEEEE10hipError_tT0_T1_T2_jT3_P12ihipStream_tbPNSt15iterator_traitsISI_E10value_typeEPNSO_ISJ_E10value_typeEPSK_NS1_7vsmem_tEENKUlT_SI_SJ_SK_E_clISD_PjSD_S10_EESH_SX_SI_SJ_SK_EUlSX_E0_NS1_11comp_targetILNS1_3genE8ELNS1_11target_archE1030ELNS1_3gpuE2ELNS1_3repE0EEENS1_38merge_mergepath_config_static_selectorELNS0_4arch9wavefront6targetE1EEEvSJ_.num_agpr, 0
	.set _ZN7rocprim17ROCPRIM_400000_NS6detail17trampoline_kernelINS0_14default_configENS1_38merge_sort_block_merge_config_selectorIjjEEZZNS1_27merge_sort_block_merge_implIS3_N6thrust23THRUST_200600_302600_NS6detail15normal_iteratorINS8_10device_ptrIjEEEESD_jNS1_19radix_merge_compareILb0ELb0EjNS0_19identity_decomposerEEEEE10hipError_tT0_T1_T2_jT3_P12ihipStream_tbPNSt15iterator_traitsISI_E10value_typeEPNSO_ISJ_E10value_typeEPSK_NS1_7vsmem_tEENKUlT_SI_SJ_SK_E_clISD_PjSD_S10_EESH_SX_SI_SJ_SK_EUlSX_E0_NS1_11comp_targetILNS1_3genE8ELNS1_11target_archE1030ELNS1_3gpuE2ELNS1_3repE0EEENS1_38merge_mergepath_config_static_selectorELNS0_4arch9wavefront6targetE1EEEvSJ_.numbered_sgpr, 0
	.set _ZN7rocprim17ROCPRIM_400000_NS6detail17trampoline_kernelINS0_14default_configENS1_38merge_sort_block_merge_config_selectorIjjEEZZNS1_27merge_sort_block_merge_implIS3_N6thrust23THRUST_200600_302600_NS6detail15normal_iteratorINS8_10device_ptrIjEEEESD_jNS1_19radix_merge_compareILb0ELb0EjNS0_19identity_decomposerEEEEE10hipError_tT0_T1_T2_jT3_P12ihipStream_tbPNSt15iterator_traitsISI_E10value_typeEPNSO_ISJ_E10value_typeEPSK_NS1_7vsmem_tEENKUlT_SI_SJ_SK_E_clISD_PjSD_S10_EESH_SX_SI_SJ_SK_EUlSX_E0_NS1_11comp_targetILNS1_3genE8ELNS1_11target_archE1030ELNS1_3gpuE2ELNS1_3repE0EEENS1_38merge_mergepath_config_static_selectorELNS0_4arch9wavefront6targetE1EEEvSJ_.num_named_barrier, 0
	.set _ZN7rocprim17ROCPRIM_400000_NS6detail17trampoline_kernelINS0_14default_configENS1_38merge_sort_block_merge_config_selectorIjjEEZZNS1_27merge_sort_block_merge_implIS3_N6thrust23THRUST_200600_302600_NS6detail15normal_iteratorINS8_10device_ptrIjEEEESD_jNS1_19radix_merge_compareILb0ELb0EjNS0_19identity_decomposerEEEEE10hipError_tT0_T1_T2_jT3_P12ihipStream_tbPNSt15iterator_traitsISI_E10value_typeEPNSO_ISJ_E10value_typeEPSK_NS1_7vsmem_tEENKUlT_SI_SJ_SK_E_clISD_PjSD_S10_EESH_SX_SI_SJ_SK_EUlSX_E0_NS1_11comp_targetILNS1_3genE8ELNS1_11target_archE1030ELNS1_3gpuE2ELNS1_3repE0EEENS1_38merge_mergepath_config_static_selectorELNS0_4arch9wavefront6targetE1EEEvSJ_.private_seg_size, 0
	.set _ZN7rocprim17ROCPRIM_400000_NS6detail17trampoline_kernelINS0_14default_configENS1_38merge_sort_block_merge_config_selectorIjjEEZZNS1_27merge_sort_block_merge_implIS3_N6thrust23THRUST_200600_302600_NS6detail15normal_iteratorINS8_10device_ptrIjEEEESD_jNS1_19radix_merge_compareILb0ELb0EjNS0_19identity_decomposerEEEEE10hipError_tT0_T1_T2_jT3_P12ihipStream_tbPNSt15iterator_traitsISI_E10value_typeEPNSO_ISJ_E10value_typeEPSK_NS1_7vsmem_tEENKUlT_SI_SJ_SK_E_clISD_PjSD_S10_EESH_SX_SI_SJ_SK_EUlSX_E0_NS1_11comp_targetILNS1_3genE8ELNS1_11target_archE1030ELNS1_3gpuE2ELNS1_3repE0EEENS1_38merge_mergepath_config_static_selectorELNS0_4arch9wavefront6targetE1EEEvSJ_.uses_vcc, 0
	.set _ZN7rocprim17ROCPRIM_400000_NS6detail17trampoline_kernelINS0_14default_configENS1_38merge_sort_block_merge_config_selectorIjjEEZZNS1_27merge_sort_block_merge_implIS3_N6thrust23THRUST_200600_302600_NS6detail15normal_iteratorINS8_10device_ptrIjEEEESD_jNS1_19radix_merge_compareILb0ELb0EjNS0_19identity_decomposerEEEEE10hipError_tT0_T1_T2_jT3_P12ihipStream_tbPNSt15iterator_traitsISI_E10value_typeEPNSO_ISJ_E10value_typeEPSK_NS1_7vsmem_tEENKUlT_SI_SJ_SK_E_clISD_PjSD_S10_EESH_SX_SI_SJ_SK_EUlSX_E0_NS1_11comp_targetILNS1_3genE8ELNS1_11target_archE1030ELNS1_3gpuE2ELNS1_3repE0EEENS1_38merge_mergepath_config_static_selectorELNS0_4arch9wavefront6targetE1EEEvSJ_.uses_flat_scratch, 0
	.set _ZN7rocprim17ROCPRIM_400000_NS6detail17trampoline_kernelINS0_14default_configENS1_38merge_sort_block_merge_config_selectorIjjEEZZNS1_27merge_sort_block_merge_implIS3_N6thrust23THRUST_200600_302600_NS6detail15normal_iteratorINS8_10device_ptrIjEEEESD_jNS1_19radix_merge_compareILb0ELb0EjNS0_19identity_decomposerEEEEE10hipError_tT0_T1_T2_jT3_P12ihipStream_tbPNSt15iterator_traitsISI_E10value_typeEPNSO_ISJ_E10value_typeEPSK_NS1_7vsmem_tEENKUlT_SI_SJ_SK_E_clISD_PjSD_S10_EESH_SX_SI_SJ_SK_EUlSX_E0_NS1_11comp_targetILNS1_3genE8ELNS1_11target_archE1030ELNS1_3gpuE2ELNS1_3repE0EEENS1_38merge_mergepath_config_static_selectorELNS0_4arch9wavefront6targetE1EEEvSJ_.has_dyn_sized_stack, 0
	.set _ZN7rocprim17ROCPRIM_400000_NS6detail17trampoline_kernelINS0_14default_configENS1_38merge_sort_block_merge_config_selectorIjjEEZZNS1_27merge_sort_block_merge_implIS3_N6thrust23THRUST_200600_302600_NS6detail15normal_iteratorINS8_10device_ptrIjEEEESD_jNS1_19radix_merge_compareILb0ELb0EjNS0_19identity_decomposerEEEEE10hipError_tT0_T1_T2_jT3_P12ihipStream_tbPNSt15iterator_traitsISI_E10value_typeEPNSO_ISJ_E10value_typeEPSK_NS1_7vsmem_tEENKUlT_SI_SJ_SK_E_clISD_PjSD_S10_EESH_SX_SI_SJ_SK_EUlSX_E0_NS1_11comp_targetILNS1_3genE8ELNS1_11target_archE1030ELNS1_3gpuE2ELNS1_3repE0EEENS1_38merge_mergepath_config_static_selectorELNS0_4arch9wavefront6targetE1EEEvSJ_.has_recursion, 0
	.set _ZN7rocprim17ROCPRIM_400000_NS6detail17trampoline_kernelINS0_14default_configENS1_38merge_sort_block_merge_config_selectorIjjEEZZNS1_27merge_sort_block_merge_implIS3_N6thrust23THRUST_200600_302600_NS6detail15normal_iteratorINS8_10device_ptrIjEEEESD_jNS1_19radix_merge_compareILb0ELb0EjNS0_19identity_decomposerEEEEE10hipError_tT0_T1_T2_jT3_P12ihipStream_tbPNSt15iterator_traitsISI_E10value_typeEPNSO_ISJ_E10value_typeEPSK_NS1_7vsmem_tEENKUlT_SI_SJ_SK_E_clISD_PjSD_S10_EESH_SX_SI_SJ_SK_EUlSX_E0_NS1_11comp_targetILNS1_3genE8ELNS1_11target_archE1030ELNS1_3gpuE2ELNS1_3repE0EEENS1_38merge_mergepath_config_static_selectorELNS0_4arch9wavefront6targetE1EEEvSJ_.has_indirect_call, 0
	.section	.AMDGPU.csdata,"",@progbits
; Kernel info:
; codeLenInByte = 0
; TotalNumSgprs: 6
; NumVgprs: 0
; NumAgprs: 0
; TotalNumVgprs: 0
; ScratchSize: 0
; MemoryBound: 0
; FloatMode: 240
; IeeeMode: 1
; LDSByteSize: 0 bytes/workgroup (compile time only)
; SGPRBlocks: 0
; VGPRBlocks: 0
; NumSGPRsForWavesPerEU: 6
; NumVGPRsForWavesPerEU: 1
; AccumOffset: 4
; Occupancy: 8
; WaveLimiterHint : 0
; COMPUTE_PGM_RSRC2:SCRATCH_EN: 0
; COMPUTE_PGM_RSRC2:USER_SGPR: 2
; COMPUTE_PGM_RSRC2:TRAP_HANDLER: 0
; COMPUTE_PGM_RSRC2:TGID_X_EN: 1
; COMPUTE_PGM_RSRC2:TGID_Y_EN: 0
; COMPUTE_PGM_RSRC2:TGID_Z_EN: 0
; COMPUTE_PGM_RSRC2:TIDIG_COMP_CNT: 0
; COMPUTE_PGM_RSRC3_GFX90A:ACCUM_OFFSET: 0
; COMPUTE_PGM_RSRC3_GFX90A:TG_SPLIT: 0
	.section	.text._ZN7rocprim17ROCPRIM_400000_NS6detail17trampoline_kernelINS0_14default_configENS1_38merge_sort_block_merge_config_selectorIjjEEZZNS1_27merge_sort_block_merge_implIS3_N6thrust23THRUST_200600_302600_NS6detail15normal_iteratorINS8_10device_ptrIjEEEESD_jNS1_19radix_merge_compareILb0ELb0EjNS0_19identity_decomposerEEEEE10hipError_tT0_T1_T2_jT3_P12ihipStream_tbPNSt15iterator_traitsISI_E10value_typeEPNSO_ISJ_E10value_typeEPSK_NS1_7vsmem_tEENKUlT_SI_SJ_SK_E_clISD_PjSD_S10_EESH_SX_SI_SJ_SK_EUlSX_E1_NS1_11comp_targetILNS1_3genE0ELNS1_11target_archE4294967295ELNS1_3gpuE0ELNS1_3repE0EEENS1_36merge_oddeven_config_static_selectorELNS0_4arch9wavefront6targetE1EEEvSJ_,"axG",@progbits,_ZN7rocprim17ROCPRIM_400000_NS6detail17trampoline_kernelINS0_14default_configENS1_38merge_sort_block_merge_config_selectorIjjEEZZNS1_27merge_sort_block_merge_implIS3_N6thrust23THRUST_200600_302600_NS6detail15normal_iteratorINS8_10device_ptrIjEEEESD_jNS1_19radix_merge_compareILb0ELb0EjNS0_19identity_decomposerEEEEE10hipError_tT0_T1_T2_jT3_P12ihipStream_tbPNSt15iterator_traitsISI_E10value_typeEPNSO_ISJ_E10value_typeEPSK_NS1_7vsmem_tEENKUlT_SI_SJ_SK_E_clISD_PjSD_S10_EESH_SX_SI_SJ_SK_EUlSX_E1_NS1_11comp_targetILNS1_3genE0ELNS1_11target_archE4294967295ELNS1_3gpuE0ELNS1_3repE0EEENS1_36merge_oddeven_config_static_selectorELNS0_4arch9wavefront6targetE1EEEvSJ_,comdat
	.protected	_ZN7rocprim17ROCPRIM_400000_NS6detail17trampoline_kernelINS0_14default_configENS1_38merge_sort_block_merge_config_selectorIjjEEZZNS1_27merge_sort_block_merge_implIS3_N6thrust23THRUST_200600_302600_NS6detail15normal_iteratorINS8_10device_ptrIjEEEESD_jNS1_19radix_merge_compareILb0ELb0EjNS0_19identity_decomposerEEEEE10hipError_tT0_T1_T2_jT3_P12ihipStream_tbPNSt15iterator_traitsISI_E10value_typeEPNSO_ISJ_E10value_typeEPSK_NS1_7vsmem_tEENKUlT_SI_SJ_SK_E_clISD_PjSD_S10_EESH_SX_SI_SJ_SK_EUlSX_E1_NS1_11comp_targetILNS1_3genE0ELNS1_11target_archE4294967295ELNS1_3gpuE0ELNS1_3repE0EEENS1_36merge_oddeven_config_static_selectorELNS0_4arch9wavefront6targetE1EEEvSJ_ ; -- Begin function _ZN7rocprim17ROCPRIM_400000_NS6detail17trampoline_kernelINS0_14default_configENS1_38merge_sort_block_merge_config_selectorIjjEEZZNS1_27merge_sort_block_merge_implIS3_N6thrust23THRUST_200600_302600_NS6detail15normal_iteratorINS8_10device_ptrIjEEEESD_jNS1_19radix_merge_compareILb0ELb0EjNS0_19identity_decomposerEEEEE10hipError_tT0_T1_T2_jT3_P12ihipStream_tbPNSt15iterator_traitsISI_E10value_typeEPNSO_ISJ_E10value_typeEPSK_NS1_7vsmem_tEENKUlT_SI_SJ_SK_E_clISD_PjSD_S10_EESH_SX_SI_SJ_SK_EUlSX_E1_NS1_11comp_targetILNS1_3genE0ELNS1_11target_archE4294967295ELNS1_3gpuE0ELNS1_3repE0EEENS1_36merge_oddeven_config_static_selectorELNS0_4arch9wavefront6targetE1EEEvSJ_
	.globl	_ZN7rocprim17ROCPRIM_400000_NS6detail17trampoline_kernelINS0_14default_configENS1_38merge_sort_block_merge_config_selectorIjjEEZZNS1_27merge_sort_block_merge_implIS3_N6thrust23THRUST_200600_302600_NS6detail15normal_iteratorINS8_10device_ptrIjEEEESD_jNS1_19radix_merge_compareILb0ELb0EjNS0_19identity_decomposerEEEEE10hipError_tT0_T1_T2_jT3_P12ihipStream_tbPNSt15iterator_traitsISI_E10value_typeEPNSO_ISJ_E10value_typeEPSK_NS1_7vsmem_tEENKUlT_SI_SJ_SK_E_clISD_PjSD_S10_EESH_SX_SI_SJ_SK_EUlSX_E1_NS1_11comp_targetILNS1_3genE0ELNS1_11target_archE4294967295ELNS1_3gpuE0ELNS1_3repE0EEENS1_36merge_oddeven_config_static_selectorELNS0_4arch9wavefront6targetE1EEEvSJ_
	.p2align	8
	.type	_ZN7rocprim17ROCPRIM_400000_NS6detail17trampoline_kernelINS0_14default_configENS1_38merge_sort_block_merge_config_selectorIjjEEZZNS1_27merge_sort_block_merge_implIS3_N6thrust23THRUST_200600_302600_NS6detail15normal_iteratorINS8_10device_ptrIjEEEESD_jNS1_19radix_merge_compareILb0ELb0EjNS0_19identity_decomposerEEEEE10hipError_tT0_T1_T2_jT3_P12ihipStream_tbPNSt15iterator_traitsISI_E10value_typeEPNSO_ISJ_E10value_typeEPSK_NS1_7vsmem_tEENKUlT_SI_SJ_SK_E_clISD_PjSD_S10_EESH_SX_SI_SJ_SK_EUlSX_E1_NS1_11comp_targetILNS1_3genE0ELNS1_11target_archE4294967295ELNS1_3gpuE0ELNS1_3repE0EEENS1_36merge_oddeven_config_static_selectorELNS0_4arch9wavefront6targetE1EEEvSJ_,@function
_ZN7rocprim17ROCPRIM_400000_NS6detail17trampoline_kernelINS0_14default_configENS1_38merge_sort_block_merge_config_selectorIjjEEZZNS1_27merge_sort_block_merge_implIS3_N6thrust23THRUST_200600_302600_NS6detail15normal_iteratorINS8_10device_ptrIjEEEESD_jNS1_19radix_merge_compareILb0ELb0EjNS0_19identity_decomposerEEEEE10hipError_tT0_T1_T2_jT3_P12ihipStream_tbPNSt15iterator_traitsISI_E10value_typeEPNSO_ISJ_E10value_typeEPSK_NS1_7vsmem_tEENKUlT_SI_SJ_SK_E_clISD_PjSD_S10_EESH_SX_SI_SJ_SK_EUlSX_E1_NS1_11comp_targetILNS1_3genE0ELNS1_11target_archE4294967295ELNS1_3gpuE0ELNS1_3repE0EEENS1_36merge_oddeven_config_static_selectorELNS0_4arch9wavefront6targetE1EEEvSJ_: ; @_ZN7rocprim17ROCPRIM_400000_NS6detail17trampoline_kernelINS0_14default_configENS1_38merge_sort_block_merge_config_selectorIjjEEZZNS1_27merge_sort_block_merge_implIS3_N6thrust23THRUST_200600_302600_NS6detail15normal_iteratorINS8_10device_ptrIjEEEESD_jNS1_19radix_merge_compareILb0ELb0EjNS0_19identity_decomposerEEEEE10hipError_tT0_T1_T2_jT3_P12ihipStream_tbPNSt15iterator_traitsISI_E10value_typeEPNSO_ISJ_E10value_typeEPSK_NS1_7vsmem_tEENKUlT_SI_SJ_SK_E_clISD_PjSD_S10_EESH_SX_SI_SJ_SK_EUlSX_E1_NS1_11comp_targetILNS1_3genE0ELNS1_11target_archE4294967295ELNS1_3gpuE0ELNS1_3repE0EEENS1_36merge_oddeven_config_static_selectorELNS0_4arch9wavefront6targetE1EEEvSJ_
; %bb.0:
	s_load_dword s18, s[0:1], 0x20
	s_waitcnt lgkmcnt(0)
	s_lshr_b32 s3, s18, 8
	s_cmp_eq_u32 s2, s3
	s_cselect_b64 s[6:7], -1, 0
	s_cmp_lg_u32 s2, s3
	s_cselect_b64 s[8:9], -1, 0
	s_lshl_b32 s16, s2, 8
	s_sub_i32 s3, s18, s16
	v_cmp_gt_u32_e64 s[4:5], s3, v0
	s_or_b64 s[8:9], s[8:9], s[4:5]
	s_and_saveexec_b64 s[10:11], s[8:9]
	s_cbranch_execz .LBB659_24
; %bb.1:
	s_load_dwordx8 s[8:15], s[0:1], 0x0
	s_mov_b32 s17, 0
	s_lshl_b64 s[20:21], s[16:17], 2
	v_lshlrev_b32_e32 v1, 2, v0
	s_load_dword s17, s[0:1], 0x24
	s_waitcnt lgkmcnt(0)
	s_add_u32 s22, s8, s20
	s_addc_u32 s23, s9, s21
	s_add_u32 s12, s12, s20
	s_addc_u32 s13, s13, s21
	global_load_dword v2, v1, s[12:13]
	global_load_dword v3, v1, s[22:23]
	s_lshr_b32 s0, s17, 8
	s_sub_i32 s1, 0, s0
	s_and_b32 s1, s2, s1
	s_and_b32 s0, s1, s0
	s_lshl_b32 s19, s1, 8
	s_sub_i32 s12, 0, s17
	s_cmp_eq_u32 s0, 0
	s_cselect_b64 s[0:1], -1, 0
	s_and_b64 s[2:3], s[0:1], exec
	s_cselect_b32 s12, s17, s12
	s_add_i32 s12, s12, s19
	s_mov_b64 s[2:3], -1
	s_cmp_gt_u32 s18, s12
	v_add_u32_e32 v0, s16, v0
	s_cbranch_scc1 .LBB659_9
; %bb.2:
	s_and_b64 vcc, exec, s[6:7]
	s_cbranch_vccz .LBB659_6
; %bb.3:
	v_cmp_gt_u32_e32 vcc, s18, v0
	s_and_saveexec_b64 s[2:3], vcc
	s_cbranch_execz .LBB659_5
; %bb.4:
	v_mov_b32_e32 v1, 0
	v_lshlrev_b64 v[4:5], 2, v[0:1]
	v_lshl_add_u64 v[6:7], s[10:11], 0, v[4:5]
	v_lshl_add_u64 v[4:5], s[14:15], 0, v[4:5]
	s_waitcnt vmcnt(0)
	global_store_dword v[6:7], v3, off
	global_store_dword v[4:5], v2, off
.LBB659_5:
	s_or_b64 exec, exec, s[2:3]
	s_mov_b64 s[2:3], 0
.LBB659_6:
	s_andn2_b64 vcc, exec, s[2:3]
	s_cbranch_vccnz .LBB659_8
; %bb.7:
	v_mov_b32_e32 v1, 0
	v_lshlrev_b64 v[4:5], 2, v[0:1]
	v_lshl_add_u64 v[6:7], s[10:11], 0, v[4:5]
	v_lshl_add_u64 v[4:5], s[14:15], 0, v[4:5]
	s_waitcnt vmcnt(0)
	global_store_dword v[6:7], v3, off
	global_store_dword v[4:5], v2, off
.LBB659_8:
	s_mov_b64 s[2:3], 0
.LBB659_9:
	s_andn2_b64 vcc, exec, s[2:3]
	s_cbranch_vccnz .LBB659_24
; %bb.10:
	s_min_u32 s13, s12, s18
	s_add_i32 s2, s13, s17
	s_min_u32 s16, s2, s18
	s_min_u32 s2, s19, s13
	s_add_i32 s19, s19, s13
	v_subrev_u32_e32 v0, s19, v0
	v_add_u32_e32 v4, s2, v0
	s_andn2_b64 vcc, exec, s[6:7]
	s_mov_b64 s[2:3], -1
	s_cbranch_vccnz .LBB659_18
; %bb.11:
	s_and_saveexec_b64 s[2:3], s[4:5]
	s_cbranch_execz .LBB659_17
; %bb.12:
	s_cmp_ge_u32 s12, s16
	v_mov_b32_e32 v5, s13
	s_cbranch_scc1 .LBB659_16
; %bb.13:
	s_mov_b64 s[4:5], 0
	v_mov_b32_e32 v6, s16
	v_mov_b32_e32 v5, s13
	v_mov_b32_e32 v1, 0
.LBB659_14:                             ; =>This Inner Loop Header: Depth=1
	v_add_u32_e32 v0, v5, v6
	v_lshrrev_b32_e32 v0, 1, v0
	v_lshl_add_u64 v[8:9], v[0:1], 2, s[8:9]
	global_load_dword v7, v[8:9], off
	v_add_u32_e32 v8, 1, v0
	s_waitcnt vmcnt(0)
	v_cmp_gt_u32_e32 vcc, v3, v7
	s_nop 1
	v_cndmask_b32_e64 v9, 0, 1, vcc
	v_cmp_le_u32_e32 vcc, v7, v3
	s_nop 1
	v_cndmask_b32_e64 v7, 0, 1, vcc
	v_cndmask_b32_e64 v7, v7, v9, s[0:1]
	v_and_b32_e32 v7, 1, v7
	v_cmp_eq_u32_e32 vcc, 1, v7
	s_nop 1
	v_cndmask_b32_e32 v6, v0, v6, vcc
	v_cndmask_b32_e32 v5, v5, v8, vcc
	v_cmp_ge_u32_e32 vcc, v5, v6
	s_or_b64 s[4:5], vcc, s[4:5]
	s_andn2_b64 exec, exec, s[4:5]
	s_cbranch_execnz .LBB659_14
; %bb.15:
	s_or_b64 exec, exec, s[4:5]
.LBB659_16:
	v_add_u32_e32 v0, v5, v4
	v_mov_b32_e32 v1, 0
	v_lshlrev_b64 v[0:1], 2, v[0:1]
	v_lshl_add_u64 v[6:7], s[10:11], 0, v[0:1]
	v_lshl_add_u64 v[0:1], s[14:15], 0, v[0:1]
	s_waitcnt vmcnt(0)
	global_store_dword v[6:7], v3, off
	global_store_dword v[0:1], v2, off
.LBB659_17:
	s_or_b64 exec, exec, s[2:3]
	s_mov_b64 s[2:3], 0
.LBB659_18:
	s_andn2_b64 vcc, exec, s[2:3]
	s_cbranch_vccnz .LBB659_24
; %bb.19:
	s_cmp_ge_u32 s12, s16
	v_mov_b32_e32 v5, s13
	s_cbranch_scc1 .LBB659_23
; %bb.20:
	s_mov_b64 s[2:3], 0
	v_mov_b32_e32 v6, s16
	v_mov_b32_e32 v5, s13
	;; [unrolled: 1-line block ×3, first 2 shown]
.LBB659_21:                             ; =>This Inner Loop Header: Depth=1
	v_add_u32_e32 v0, v5, v6
	v_lshrrev_b32_e32 v0, 1, v0
	v_lshl_add_u64 v[8:9], v[0:1], 2, s[8:9]
	global_load_dword v7, v[8:9], off
	v_add_u32_e32 v8, 1, v0
	s_waitcnt vmcnt(0)
	v_cmp_gt_u32_e32 vcc, v3, v7
	s_nop 1
	v_cndmask_b32_e64 v9, 0, 1, vcc
	v_cmp_le_u32_e32 vcc, v7, v3
	s_nop 1
	v_cndmask_b32_e64 v7, 0, 1, vcc
	v_cndmask_b32_e64 v7, v7, v9, s[0:1]
	v_and_b32_e32 v7, 1, v7
	v_cmp_eq_u32_e32 vcc, 1, v7
	s_nop 1
	v_cndmask_b32_e32 v6, v0, v6, vcc
	v_cndmask_b32_e32 v5, v5, v8, vcc
	v_cmp_ge_u32_e32 vcc, v5, v6
	s_or_b64 s[2:3], vcc, s[2:3]
	s_andn2_b64 exec, exec, s[2:3]
	s_cbranch_execnz .LBB659_21
; %bb.22:
	s_or_b64 exec, exec, s[2:3]
.LBB659_23:
	v_add_u32_e32 v0, v5, v4
	v_mov_b32_e32 v1, 0
	v_lshlrev_b64 v[0:1], 2, v[0:1]
	v_lshl_add_u64 v[4:5], s[10:11], 0, v[0:1]
	v_lshl_add_u64 v[0:1], s[14:15], 0, v[0:1]
	s_waitcnt vmcnt(0)
	global_store_dword v[4:5], v3, off
	global_store_dword v[0:1], v2, off
.LBB659_24:
	s_endpgm
	.section	.rodata,"a",@progbits
	.p2align	6, 0x0
	.amdhsa_kernel _ZN7rocprim17ROCPRIM_400000_NS6detail17trampoline_kernelINS0_14default_configENS1_38merge_sort_block_merge_config_selectorIjjEEZZNS1_27merge_sort_block_merge_implIS3_N6thrust23THRUST_200600_302600_NS6detail15normal_iteratorINS8_10device_ptrIjEEEESD_jNS1_19radix_merge_compareILb0ELb0EjNS0_19identity_decomposerEEEEE10hipError_tT0_T1_T2_jT3_P12ihipStream_tbPNSt15iterator_traitsISI_E10value_typeEPNSO_ISJ_E10value_typeEPSK_NS1_7vsmem_tEENKUlT_SI_SJ_SK_E_clISD_PjSD_S10_EESH_SX_SI_SJ_SK_EUlSX_E1_NS1_11comp_targetILNS1_3genE0ELNS1_11target_archE4294967295ELNS1_3gpuE0ELNS1_3repE0EEENS1_36merge_oddeven_config_static_selectorELNS0_4arch9wavefront6targetE1EEEvSJ_
		.amdhsa_group_segment_fixed_size 0
		.amdhsa_private_segment_fixed_size 0
		.amdhsa_kernarg_size 48
		.amdhsa_user_sgpr_count 2
		.amdhsa_user_sgpr_dispatch_ptr 0
		.amdhsa_user_sgpr_queue_ptr 0
		.amdhsa_user_sgpr_kernarg_segment_ptr 1
		.amdhsa_user_sgpr_dispatch_id 0
		.amdhsa_user_sgpr_kernarg_preload_length 0
		.amdhsa_user_sgpr_kernarg_preload_offset 0
		.amdhsa_user_sgpr_private_segment_size 0
		.amdhsa_uses_dynamic_stack 0
		.amdhsa_enable_private_segment 0
		.amdhsa_system_sgpr_workgroup_id_x 1
		.amdhsa_system_sgpr_workgroup_id_y 0
		.amdhsa_system_sgpr_workgroup_id_z 0
		.amdhsa_system_sgpr_workgroup_info 0
		.amdhsa_system_vgpr_workitem_id 0
		.amdhsa_next_free_vgpr 10
		.amdhsa_next_free_sgpr 24
		.amdhsa_accum_offset 12
		.amdhsa_reserve_vcc 1
		.amdhsa_float_round_mode_32 0
		.amdhsa_float_round_mode_16_64 0
		.amdhsa_float_denorm_mode_32 3
		.amdhsa_float_denorm_mode_16_64 3
		.amdhsa_dx10_clamp 1
		.amdhsa_ieee_mode 1
		.amdhsa_fp16_overflow 0
		.amdhsa_tg_split 0
		.amdhsa_exception_fp_ieee_invalid_op 0
		.amdhsa_exception_fp_denorm_src 0
		.amdhsa_exception_fp_ieee_div_zero 0
		.amdhsa_exception_fp_ieee_overflow 0
		.amdhsa_exception_fp_ieee_underflow 0
		.amdhsa_exception_fp_ieee_inexact 0
		.amdhsa_exception_int_div_zero 0
	.end_amdhsa_kernel
	.section	.text._ZN7rocprim17ROCPRIM_400000_NS6detail17trampoline_kernelINS0_14default_configENS1_38merge_sort_block_merge_config_selectorIjjEEZZNS1_27merge_sort_block_merge_implIS3_N6thrust23THRUST_200600_302600_NS6detail15normal_iteratorINS8_10device_ptrIjEEEESD_jNS1_19radix_merge_compareILb0ELb0EjNS0_19identity_decomposerEEEEE10hipError_tT0_T1_T2_jT3_P12ihipStream_tbPNSt15iterator_traitsISI_E10value_typeEPNSO_ISJ_E10value_typeEPSK_NS1_7vsmem_tEENKUlT_SI_SJ_SK_E_clISD_PjSD_S10_EESH_SX_SI_SJ_SK_EUlSX_E1_NS1_11comp_targetILNS1_3genE0ELNS1_11target_archE4294967295ELNS1_3gpuE0ELNS1_3repE0EEENS1_36merge_oddeven_config_static_selectorELNS0_4arch9wavefront6targetE1EEEvSJ_,"axG",@progbits,_ZN7rocprim17ROCPRIM_400000_NS6detail17trampoline_kernelINS0_14default_configENS1_38merge_sort_block_merge_config_selectorIjjEEZZNS1_27merge_sort_block_merge_implIS3_N6thrust23THRUST_200600_302600_NS6detail15normal_iteratorINS8_10device_ptrIjEEEESD_jNS1_19radix_merge_compareILb0ELb0EjNS0_19identity_decomposerEEEEE10hipError_tT0_T1_T2_jT3_P12ihipStream_tbPNSt15iterator_traitsISI_E10value_typeEPNSO_ISJ_E10value_typeEPSK_NS1_7vsmem_tEENKUlT_SI_SJ_SK_E_clISD_PjSD_S10_EESH_SX_SI_SJ_SK_EUlSX_E1_NS1_11comp_targetILNS1_3genE0ELNS1_11target_archE4294967295ELNS1_3gpuE0ELNS1_3repE0EEENS1_36merge_oddeven_config_static_selectorELNS0_4arch9wavefront6targetE1EEEvSJ_,comdat
.Lfunc_end659:
	.size	_ZN7rocprim17ROCPRIM_400000_NS6detail17trampoline_kernelINS0_14default_configENS1_38merge_sort_block_merge_config_selectorIjjEEZZNS1_27merge_sort_block_merge_implIS3_N6thrust23THRUST_200600_302600_NS6detail15normal_iteratorINS8_10device_ptrIjEEEESD_jNS1_19radix_merge_compareILb0ELb0EjNS0_19identity_decomposerEEEEE10hipError_tT0_T1_T2_jT3_P12ihipStream_tbPNSt15iterator_traitsISI_E10value_typeEPNSO_ISJ_E10value_typeEPSK_NS1_7vsmem_tEENKUlT_SI_SJ_SK_E_clISD_PjSD_S10_EESH_SX_SI_SJ_SK_EUlSX_E1_NS1_11comp_targetILNS1_3genE0ELNS1_11target_archE4294967295ELNS1_3gpuE0ELNS1_3repE0EEENS1_36merge_oddeven_config_static_selectorELNS0_4arch9wavefront6targetE1EEEvSJ_, .Lfunc_end659-_ZN7rocprim17ROCPRIM_400000_NS6detail17trampoline_kernelINS0_14default_configENS1_38merge_sort_block_merge_config_selectorIjjEEZZNS1_27merge_sort_block_merge_implIS3_N6thrust23THRUST_200600_302600_NS6detail15normal_iteratorINS8_10device_ptrIjEEEESD_jNS1_19radix_merge_compareILb0ELb0EjNS0_19identity_decomposerEEEEE10hipError_tT0_T1_T2_jT3_P12ihipStream_tbPNSt15iterator_traitsISI_E10value_typeEPNSO_ISJ_E10value_typeEPSK_NS1_7vsmem_tEENKUlT_SI_SJ_SK_E_clISD_PjSD_S10_EESH_SX_SI_SJ_SK_EUlSX_E1_NS1_11comp_targetILNS1_3genE0ELNS1_11target_archE4294967295ELNS1_3gpuE0ELNS1_3repE0EEENS1_36merge_oddeven_config_static_selectorELNS0_4arch9wavefront6targetE1EEEvSJ_
                                        ; -- End function
	.set _ZN7rocprim17ROCPRIM_400000_NS6detail17trampoline_kernelINS0_14default_configENS1_38merge_sort_block_merge_config_selectorIjjEEZZNS1_27merge_sort_block_merge_implIS3_N6thrust23THRUST_200600_302600_NS6detail15normal_iteratorINS8_10device_ptrIjEEEESD_jNS1_19radix_merge_compareILb0ELb0EjNS0_19identity_decomposerEEEEE10hipError_tT0_T1_T2_jT3_P12ihipStream_tbPNSt15iterator_traitsISI_E10value_typeEPNSO_ISJ_E10value_typeEPSK_NS1_7vsmem_tEENKUlT_SI_SJ_SK_E_clISD_PjSD_S10_EESH_SX_SI_SJ_SK_EUlSX_E1_NS1_11comp_targetILNS1_3genE0ELNS1_11target_archE4294967295ELNS1_3gpuE0ELNS1_3repE0EEENS1_36merge_oddeven_config_static_selectorELNS0_4arch9wavefront6targetE1EEEvSJ_.num_vgpr, 10
	.set _ZN7rocprim17ROCPRIM_400000_NS6detail17trampoline_kernelINS0_14default_configENS1_38merge_sort_block_merge_config_selectorIjjEEZZNS1_27merge_sort_block_merge_implIS3_N6thrust23THRUST_200600_302600_NS6detail15normal_iteratorINS8_10device_ptrIjEEEESD_jNS1_19radix_merge_compareILb0ELb0EjNS0_19identity_decomposerEEEEE10hipError_tT0_T1_T2_jT3_P12ihipStream_tbPNSt15iterator_traitsISI_E10value_typeEPNSO_ISJ_E10value_typeEPSK_NS1_7vsmem_tEENKUlT_SI_SJ_SK_E_clISD_PjSD_S10_EESH_SX_SI_SJ_SK_EUlSX_E1_NS1_11comp_targetILNS1_3genE0ELNS1_11target_archE4294967295ELNS1_3gpuE0ELNS1_3repE0EEENS1_36merge_oddeven_config_static_selectorELNS0_4arch9wavefront6targetE1EEEvSJ_.num_agpr, 0
	.set _ZN7rocprim17ROCPRIM_400000_NS6detail17trampoline_kernelINS0_14default_configENS1_38merge_sort_block_merge_config_selectorIjjEEZZNS1_27merge_sort_block_merge_implIS3_N6thrust23THRUST_200600_302600_NS6detail15normal_iteratorINS8_10device_ptrIjEEEESD_jNS1_19radix_merge_compareILb0ELb0EjNS0_19identity_decomposerEEEEE10hipError_tT0_T1_T2_jT3_P12ihipStream_tbPNSt15iterator_traitsISI_E10value_typeEPNSO_ISJ_E10value_typeEPSK_NS1_7vsmem_tEENKUlT_SI_SJ_SK_E_clISD_PjSD_S10_EESH_SX_SI_SJ_SK_EUlSX_E1_NS1_11comp_targetILNS1_3genE0ELNS1_11target_archE4294967295ELNS1_3gpuE0ELNS1_3repE0EEENS1_36merge_oddeven_config_static_selectorELNS0_4arch9wavefront6targetE1EEEvSJ_.numbered_sgpr, 24
	.set _ZN7rocprim17ROCPRIM_400000_NS6detail17trampoline_kernelINS0_14default_configENS1_38merge_sort_block_merge_config_selectorIjjEEZZNS1_27merge_sort_block_merge_implIS3_N6thrust23THRUST_200600_302600_NS6detail15normal_iteratorINS8_10device_ptrIjEEEESD_jNS1_19radix_merge_compareILb0ELb0EjNS0_19identity_decomposerEEEEE10hipError_tT0_T1_T2_jT3_P12ihipStream_tbPNSt15iterator_traitsISI_E10value_typeEPNSO_ISJ_E10value_typeEPSK_NS1_7vsmem_tEENKUlT_SI_SJ_SK_E_clISD_PjSD_S10_EESH_SX_SI_SJ_SK_EUlSX_E1_NS1_11comp_targetILNS1_3genE0ELNS1_11target_archE4294967295ELNS1_3gpuE0ELNS1_3repE0EEENS1_36merge_oddeven_config_static_selectorELNS0_4arch9wavefront6targetE1EEEvSJ_.num_named_barrier, 0
	.set _ZN7rocprim17ROCPRIM_400000_NS6detail17trampoline_kernelINS0_14default_configENS1_38merge_sort_block_merge_config_selectorIjjEEZZNS1_27merge_sort_block_merge_implIS3_N6thrust23THRUST_200600_302600_NS6detail15normal_iteratorINS8_10device_ptrIjEEEESD_jNS1_19radix_merge_compareILb0ELb0EjNS0_19identity_decomposerEEEEE10hipError_tT0_T1_T2_jT3_P12ihipStream_tbPNSt15iterator_traitsISI_E10value_typeEPNSO_ISJ_E10value_typeEPSK_NS1_7vsmem_tEENKUlT_SI_SJ_SK_E_clISD_PjSD_S10_EESH_SX_SI_SJ_SK_EUlSX_E1_NS1_11comp_targetILNS1_3genE0ELNS1_11target_archE4294967295ELNS1_3gpuE0ELNS1_3repE0EEENS1_36merge_oddeven_config_static_selectorELNS0_4arch9wavefront6targetE1EEEvSJ_.private_seg_size, 0
	.set _ZN7rocprim17ROCPRIM_400000_NS6detail17trampoline_kernelINS0_14default_configENS1_38merge_sort_block_merge_config_selectorIjjEEZZNS1_27merge_sort_block_merge_implIS3_N6thrust23THRUST_200600_302600_NS6detail15normal_iteratorINS8_10device_ptrIjEEEESD_jNS1_19radix_merge_compareILb0ELb0EjNS0_19identity_decomposerEEEEE10hipError_tT0_T1_T2_jT3_P12ihipStream_tbPNSt15iterator_traitsISI_E10value_typeEPNSO_ISJ_E10value_typeEPSK_NS1_7vsmem_tEENKUlT_SI_SJ_SK_E_clISD_PjSD_S10_EESH_SX_SI_SJ_SK_EUlSX_E1_NS1_11comp_targetILNS1_3genE0ELNS1_11target_archE4294967295ELNS1_3gpuE0ELNS1_3repE0EEENS1_36merge_oddeven_config_static_selectorELNS0_4arch9wavefront6targetE1EEEvSJ_.uses_vcc, 1
	.set _ZN7rocprim17ROCPRIM_400000_NS6detail17trampoline_kernelINS0_14default_configENS1_38merge_sort_block_merge_config_selectorIjjEEZZNS1_27merge_sort_block_merge_implIS3_N6thrust23THRUST_200600_302600_NS6detail15normal_iteratorINS8_10device_ptrIjEEEESD_jNS1_19radix_merge_compareILb0ELb0EjNS0_19identity_decomposerEEEEE10hipError_tT0_T1_T2_jT3_P12ihipStream_tbPNSt15iterator_traitsISI_E10value_typeEPNSO_ISJ_E10value_typeEPSK_NS1_7vsmem_tEENKUlT_SI_SJ_SK_E_clISD_PjSD_S10_EESH_SX_SI_SJ_SK_EUlSX_E1_NS1_11comp_targetILNS1_3genE0ELNS1_11target_archE4294967295ELNS1_3gpuE0ELNS1_3repE0EEENS1_36merge_oddeven_config_static_selectorELNS0_4arch9wavefront6targetE1EEEvSJ_.uses_flat_scratch, 0
	.set _ZN7rocprim17ROCPRIM_400000_NS6detail17trampoline_kernelINS0_14default_configENS1_38merge_sort_block_merge_config_selectorIjjEEZZNS1_27merge_sort_block_merge_implIS3_N6thrust23THRUST_200600_302600_NS6detail15normal_iteratorINS8_10device_ptrIjEEEESD_jNS1_19radix_merge_compareILb0ELb0EjNS0_19identity_decomposerEEEEE10hipError_tT0_T1_T2_jT3_P12ihipStream_tbPNSt15iterator_traitsISI_E10value_typeEPNSO_ISJ_E10value_typeEPSK_NS1_7vsmem_tEENKUlT_SI_SJ_SK_E_clISD_PjSD_S10_EESH_SX_SI_SJ_SK_EUlSX_E1_NS1_11comp_targetILNS1_3genE0ELNS1_11target_archE4294967295ELNS1_3gpuE0ELNS1_3repE0EEENS1_36merge_oddeven_config_static_selectorELNS0_4arch9wavefront6targetE1EEEvSJ_.has_dyn_sized_stack, 0
	.set _ZN7rocprim17ROCPRIM_400000_NS6detail17trampoline_kernelINS0_14default_configENS1_38merge_sort_block_merge_config_selectorIjjEEZZNS1_27merge_sort_block_merge_implIS3_N6thrust23THRUST_200600_302600_NS6detail15normal_iteratorINS8_10device_ptrIjEEEESD_jNS1_19radix_merge_compareILb0ELb0EjNS0_19identity_decomposerEEEEE10hipError_tT0_T1_T2_jT3_P12ihipStream_tbPNSt15iterator_traitsISI_E10value_typeEPNSO_ISJ_E10value_typeEPSK_NS1_7vsmem_tEENKUlT_SI_SJ_SK_E_clISD_PjSD_S10_EESH_SX_SI_SJ_SK_EUlSX_E1_NS1_11comp_targetILNS1_3genE0ELNS1_11target_archE4294967295ELNS1_3gpuE0ELNS1_3repE0EEENS1_36merge_oddeven_config_static_selectorELNS0_4arch9wavefront6targetE1EEEvSJ_.has_recursion, 0
	.set _ZN7rocprim17ROCPRIM_400000_NS6detail17trampoline_kernelINS0_14default_configENS1_38merge_sort_block_merge_config_selectorIjjEEZZNS1_27merge_sort_block_merge_implIS3_N6thrust23THRUST_200600_302600_NS6detail15normal_iteratorINS8_10device_ptrIjEEEESD_jNS1_19radix_merge_compareILb0ELb0EjNS0_19identity_decomposerEEEEE10hipError_tT0_T1_T2_jT3_P12ihipStream_tbPNSt15iterator_traitsISI_E10value_typeEPNSO_ISJ_E10value_typeEPSK_NS1_7vsmem_tEENKUlT_SI_SJ_SK_E_clISD_PjSD_S10_EESH_SX_SI_SJ_SK_EUlSX_E1_NS1_11comp_targetILNS1_3genE0ELNS1_11target_archE4294967295ELNS1_3gpuE0ELNS1_3repE0EEENS1_36merge_oddeven_config_static_selectorELNS0_4arch9wavefront6targetE1EEEvSJ_.has_indirect_call, 0
	.section	.AMDGPU.csdata,"",@progbits
; Kernel info:
; codeLenInByte = 780
; TotalNumSgprs: 30
; NumVgprs: 10
; NumAgprs: 0
; TotalNumVgprs: 10
; ScratchSize: 0
; MemoryBound: 0
; FloatMode: 240
; IeeeMode: 1
; LDSByteSize: 0 bytes/workgroup (compile time only)
; SGPRBlocks: 3
; VGPRBlocks: 1
; NumSGPRsForWavesPerEU: 30
; NumVGPRsForWavesPerEU: 10
; AccumOffset: 12
; Occupancy: 8
; WaveLimiterHint : 0
; COMPUTE_PGM_RSRC2:SCRATCH_EN: 0
; COMPUTE_PGM_RSRC2:USER_SGPR: 2
; COMPUTE_PGM_RSRC2:TRAP_HANDLER: 0
; COMPUTE_PGM_RSRC2:TGID_X_EN: 1
; COMPUTE_PGM_RSRC2:TGID_Y_EN: 0
; COMPUTE_PGM_RSRC2:TGID_Z_EN: 0
; COMPUTE_PGM_RSRC2:TIDIG_COMP_CNT: 0
; COMPUTE_PGM_RSRC3_GFX90A:ACCUM_OFFSET: 2
; COMPUTE_PGM_RSRC3_GFX90A:TG_SPLIT: 0
	.section	.text._ZN7rocprim17ROCPRIM_400000_NS6detail17trampoline_kernelINS0_14default_configENS1_38merge_sort_block_merge_config_selectorIjjEEZZNS1_27merge_sort_block_merge_implIS3_N6thrust23THRUST_200600_302600_NS6detail15normal_iteratorINS8_10device_ptrIjEEEESD_jNS1_19radix_merge_compareILb0ELb0EjNS0_19identity_decomposerEEEEE10hipError_tT0_T1_T2_jT3_P12ihipStream_tbPNSt15iterator_traitsISI_E10value_typeEPNSO_ISJ_E10value_typeEPSK_NS1_7vsmem_tEENKUlT_SI_SJ_SK_E_clISD_PjSD_S10_EESH_SX_SI_SJ_SK_EUlSX_E1_NS1_11comp_targetILNS1_3genE10ELNS1_11target_archE1201ELNS1_3gpuE5ELNS1_3repE0EEENS1_36merge_oddeven_config_static_selectorELNS0_4arch9wavefront6targetE1EEEvSJ_,"axG",@progbits,_ZN7rocprim17ROCPRIM_400000_NS6detail17trampoline_kernelINS0_14default_configENS1_38merge_sort_block_merge_config_selectorIjjEEZZNS1_27merge_sort_block_merge_implIS3_N6thrust23THRUST_200600_302600_NS6detail15normal_iteratorINS8_10device_ptrIjEEEESD_jNS1_19radix_merge_compareILb0ELb0EjNS0_19identity_decomposerEEEEE10hipError_tT0_T1_T2_jT3_P12ihipStream_tbPNSt15iterator_traitsISI_E10value_typeEPNSO_ISJ_E10value_typeEPSK_NS1_7vsmem_tEENKUlT_SI_SJ_SK_E_clISD_PjSD_S10_EESH_SX_SI_SJ_SK_EUlSX_E1_NS1_11comp_targetILNS1_3genE10ELNS1_11target_archE1201ELNS1_3gpuE5ELNS1_3repE0EEENS1_36merge_oddeven_config_static_selectorELNS0_4arch9wavefront6targetE1EEEvSJ_,comdat
	.protected	_ZN7rocprim17ROCPRIM_400000_NS6detail17trampoline_kernelINS0_14default_configENS1_38merge_sort_block_merge_config_selectorIjjEEZZNS1_27merge_sort_block_merge_implIS3_N6thrust23THRUST_200600_302600_NS6detail15normal_iteratorINS8_10device_ptrIjEEEESD_jNS1_19radix_merge_compareILb0ELb0EjNS0_19identity_decomposerEEEEE10hipError_tT0_T1_T2_jT3_P12ihipStream_tbPNSt15iterator_traitsISI_E10value_typeEPNSO_ISJ_E10value_typeEPSK_NS1_7vsmem_tEENKUlT_SI_SJ_SK_E_clISD_PjSD_S10_EESH_SX_SI_SJ_SK_EUlSX_E1_NS1_11comp_targetILNS1_3genE10ELNS1_11target_archE1201ELNS1_3gpuE5ELNS1_3repE0EEENS1_36merge_oddeven_config_static_selectorELNS0_4arch9wavefront6targetE1EEEvSJ_ ; -- Begin function _ZN7rocprim17ROCPRIM_400000_NS6detail17trampoline_kernelINS0_14default_configENS1_38merge_sort_block_merge_config_selectorIjjEEZZNS1_27merge_sort_block_merge_implIS3_N6thrust23THRUST_200600_302600_NS6detail15normal_iteratorINS8_10device_ptrIjEEEESD_jNS1_19radix_merge_compareILb0ELb0EjNS0_19identity_decomposerEEEEE10hipError_tT0_T1_T2_jT3_P12ihipStream_tbPNSt15iterator_traitsISI_E10value_typeEPNSO_ISJ_E10value_typeEPSK_NS1_7vsmem_tEENKUlT_SI_SJ_SK_E_clISD_PjSD_S10_EESH_SX_SI_SJ_SK_EUlSX_E1_NS1_11comp_targetILNS1_3genE10ELNS1_11target_archE1201ELNS1_3gpuE5ELNS1_3repE0EEENS1_36merge_oddeven_config_static_selectorELNS0_4arch9wavefront6targetE1EEEvSJ_
	.globl	_ZN7rocprim17ROCPRIM_400000_NS6detail17trampoline_kernelINS0_14default_configENS1_38merge_sort_block_merge_config_selectorIjjEEZZNS1_27merge_sort_block_merge_implIS3_N6thrust23THRUST_200600_302600_NS6detail15normal_iteratorINS8_10device_ptrIjEEEESD_jNS1_19radix_merge_compareILb0ELb0EjNS0_19identity_decomposerEEEEE10hipError_tT0_T1_T2_jT3_P12ihipStream_tbPNSt15iterator_traitsISI_E10value_typeEPNSO_ISJ_E10value_typeEPSK_NS1_7vsmem_tEENKUlT_SI_SJ_SK_E_clISD_PjSD_S10_EESH_SX_SI_SJ_SK_EUlSX_E1_NS1_11comp_targetILNS1_3genE10ELNS1_11target_archE1201ELNS1_3gpuE5ELNS1_3repE0EEENS1_36merge_oddeven_config_static_selectorELNS0_4arch9wavefront6targetE1EEEvSJ_
	.p2align	8
	.type	_ZN7rocprim17ROCPRIM_400000_NS6detail17trampoline_kernelINS0_14default_configENS1_38merge_sort_block_merge_config_selectorIjjEEZZNS1_27merge_sort_block_merge_implIS3_N6thrust23THRUST_200600_302600_NS6detail15normal_iteratorINS8_10device_ptrIjEEEESD_jNS1_19radix_merge_compareILb0ELb0EjNS0_19identity_decomposerEEEEE10hipError_tT0_T1_T2_jT3_P12ihipStream_tbPNSt15iterator_traitsISI_E10value_typeEPNSO_ISJ_E10value_typeEPSK_NS1_7vsmem_tEENKUlT_SI_SJ_SK_E_clISD_PjSD_S10_EESH_SX_SI_SJ_SK_EUlSX_E1_NS1_11comp_targetILNS1_3genE10ELNS1_11target_archE1201ELNS1_3gpuE5ELNS1_3repE0EEENS1_36merge_oddeven_config_static_selectorELNS0_4arch9wavefront6targetE1EEEvSJ_,@function
_ZN7rocprim17ROCPRIM_400000_NS6detail17trampoline_kernelINS0_14default_configENS1_38merge_sort_block_merge_config_selectorIjjEEZZNS1_27merge_sort_block_merge_implIS3_N6thrust23THRUST_200600_302600_NS6detail15normal_iteratorINS8_10device_ptrIjEEEESD_jNS1_19radix_merge_compareILb0ELb0EjNS0_19identity_decomposerEEEEE10hipError_tT0_T1_T2_jT3_P12ihipStream_tbPNSt15iterator_traitsISI_E10value_typeEPNSO_ISJ_E10value_typeEPSK_NS1_7vsmem_tEENKUlT_SI_SJ_SK_E_clISD_PjSD_S10_EESH_SX_SI_SJ_SK_EUlSX_E1_NS1_11comp_targetILNS1_3genE10ELNS1_11target_archE1201ELNS1_3gpuE5ELNS1_3repE0EEENS1_36merge_oddeven_config_static_selectorELNS0_4arch9wavefront6targetE1EEEvSJ_: ; @_ZN7rocprim17ROCPRIM_400000_NS6detail17trampoline_kernelINS0_14default_configENS1_38merge_sort_block_merge_config_selectorIjjEEZZNS1_27merge_sort_block_merge_implIS3_N6thrust23THRUST_200600_302600_NS6detail15normal_iteratorINS8_10device_ptrIjEEEESD_jNS1_19radix_merge_compareILb0ELb0EjNS0_19identity_decomposerEEEEE10hipError_tT0_T1_T2_jT3_P12ihipStream_tbPNSt15iterator_traitsISI_E10value_typeEPNSO_ISJ_E10value_typeEPSK_NS1_7vsmem_tEENKUlT_SI_SJ_SK_E_clISD_PjSD_S10_EESH_SX_SI_SJ_SK_EUlSX_E1_NS1_11comp_targetILNS1_3genE10ELNS1_11target_archE1201ELNS1_3gpuE5ELNS1_3repE0EEENS1_36merge_oddeven_config_static_selectorELNS0_4arch9wavefront6targetE1EEEvSJ_
; %bb.0:
	.section	.rodata,"a",@progbits
	.p2align	6, 0x0
	.amdhsa_kernel _ZN7rocprim17ROCPRIM_400000_NS6detail17trampoline_kernelINS0_14default_configENS1_38merge_sort_block_merge_config_selectorIjjEEZZNS1_27merge_sort_block_merge_implIS3_N6thrust23THRUST_200600_302600_NS6detail15normal_iteratorINS8_10device_ptrIjEEEESD_jNS1_19radix_merge_compareILb0ELb0EjNS0_19identity_decomposerEEEEE10hipError_tT0_T1_T2_jT3_P12ihipStream_tbPNSt15iterator_traitsISI_E10value_typeEPNSO_ISJ_E10value_typeEPSK_NS1_7vsmem_tEENKUlT_SI_SJ_SK_E_clISD_PjSD_S10_EESH_SX_SI_SJ_SK_EUlSX_E1_NS1_11comp_targetILNS1_3genE10ELNS1_11target_archE1201ELNS1_3gpuE5ELNS1_3repE0EEENS1_36merge_oddeven_config_static_selectorELNS0_4arch9wavefront6targetE1EEEvSJ_
		.amdhsa_group_segment_fixed_size 0
		.amdhsa_private_segment_fixed_size 0
		.amdhsa_kernarg_size 48
		.amdhsa_user_sgpr_count 2
		.amdhsa_user_sgpr_dispatch_ptr 0
		.amdhsa_user_sgpr_queue_ptr 0
		.amdhsa_user_sgpr_kernarg_segment_ptr 1
		.amdhsa_user_sgpr_dispatch_id 0
		.amdhsa_user_sgpr_kernarg_preload_length 0
		.amdhsa_user_sgpr_kernarg_preload_offset 0
		.amdhsa_user_sgpr_private_segment_size 0
		.amdhsa_uses_dynamic_stack 0
		.amdhsa_enable_private_segment 0
		.amdhsa_system_sgpr_workgroup_id_x 1
		.amdhsa_system_sgpr_workgroup_id_y 0
		.amdhsa_system_sgpr_workgroup_id_z 0
		.amdhsa_system_sgpr_workgroup_info 0
		.amdhsa_system_vgpr_workitem_id 0
		.amdhsa_next_free_vgpr 1
		.amdhsa_next_free_sgpr 0
		.amdhsa_accum_offset 4
		.amdhsa_reserve_vcc 0
		.amdhsa_float_round_mode_32 0
		.amdhsa_float_round_mode_16_64 0
		.amdhsa_float_denorm_mode_32 3
		.amdhsa_float_denorm_mode_16_64 3
		.amdhsa_dx10_clamp 1
		.amdhsa_ieee_mode 1
		.amdhsa_fp16_overflow 0
		.amdhsa_tg_split 0
		.amdhsa_exception_fp_ieee_invalid_op 0
		.amdhsa_exception_fp_denorm_src 0
		.amdhsa_exception_fp_ieee_div_zero 0
		.amdhsa_exception_fp_ieee_overflow 0
		.amdhsa_exception_fp_ieee_underflow 0
		.amdhsa_exception_fp_ieee_inexact 0
		.amdhsa_exception_int_div_zero 0
	.end_amdhsa_kernel
	.section	.text._ZN7rocprim17ROCPRIM_400000_NS6detail17trampoline_kernelINS0_14default_configENS1_38merge_sort_block_merge_config_selectorIjjEEZZNS1_27merge_sort_block_merge_implIS3_N6thrust23THRUST_200600_302600_NS6detail15normal_iteratorINS8_10device_ptrIjEEEESD_jNS1_19radix_merge_compareILb0ELb0EjNS0_19identity_decomposerEEEEE10hipError_tT0_T1_T2_jT3_P12ihipStream_tbPNSt15iterator_traitsISI_E10value_typeEPNSO_ISJ_E10value_typeEPSK_NS1_7vsmem_tEENKUlT_SI_SJ_SK_E_clISD_PjSD_S10_EESH_SX_SI_SJ_SK_EUlSX_E1_NS1_11comp_targetILNS1_3genE10ELNS1_11target_archE1201ELNS1_3gpuE5ELNS1_3repE0EEENS1_36merge_oddeven_config_static_selectorELNS0_4arch9wavefront6targetE1EEEvSJ_,"axG",@progbits,_ZN7rocprim17ROCPRIM_400000_NS6detail17trampoline_kernelINS0_14default_configENS1_38merge_sort_block_merge_config_selectorIjjEEZZNS1_27merge_sort_block_merge_implIS3_N6thrust23THRUST_200600_302600_NS6detail15normal_iteratorINS8_10device_ptrIjEEEESD_jNS1_19radix_merge_compareILb0ELb0EjNS0_19identity_decomposerEEEEE10hipError_tT0_T1_T2_jT3_P12ihipStream_tbPNSt15iterator_traitsISI_E10value_typeEPNSO_ISJ_E10value_typeEPSK_NS1_7vsmem_tEENKUlT_SI_SJ_SK_E_clISD_PjSD_S10_EESH_SX_SI_SJ_SK_EUlSX_E1_NS1_11comp_targetILNS1_3genE10ELNS1_11target_archE1201ELNS1_3gpuE5ELNS1_3repE0EEENS1_36merge_oddeven_config_static_selectorELNS0_4arch9wavefront6targetE1EEEvSJ_,comdat
.Lfunc_end660:
	.size	_ZN7rocprim17ROCPRIM_400000_NS6detail17trampoline_kernelINS0_14default_configENS1_38merge_sort_block_merge_config_selectorIjjEEZZNS1_27merge_sort_block_merge_implIS3_N6thrust23THRUST_200600_302600_NS6detail15normal_iteratorINS8_10device_ptrIjEEEESD_jNS1_19radix_merge_compareILb0ELb0EjNS0_19identity_decomposerEEEEE10hipError_tT0_T1_T2_jT3_P12ihipStream_tbPNSt15iterator_traitsISI_E10value_typeEPNSO_ISJ_E10value_typeEPSK_NS1_7vsmem_tEENKUlT_SI_SJ_SK_E_clISD_PjSD_S10_EESH_SX_SI_SJ_SK_EUlSX_E1_NS1_11comp_targetILNS1_3genE10ELNS1_11target_archE1201ELNS1_3gpuE5ELNS1_3repE0EEENS1_36merge_oddeven_config_static_selectorELNS0_4arch9wavefront6targetE1EEEvSJ_, .Lfunc_end660-_ZN7rocprim17ROCPRIM_400000_NS6detail17trampoline_kernelINS0_14default_configENS1_38merge_sort_block_merge_config_selectorIjjEEZZNS1_27merge_sort_block_merge_implIS3_N6thrust23THRUST_200600_302600_NS6detail15normal_iteratorINS8_10device_ptrIjEEEESD_jNS1_19radix_merge_compareILb0ELb0EjNS0_19identity_decomposerEEEEE10hipError_tT0_T1_T2_jT3_P12ihipStream_tbPNSt15iterator_traitsISI_E10value_typeEPNSO_ISJ_E10value_typeEPSK_NS1_7vsmem_tEENKUlT_SI_SJ_SK_E_clISD_PjSD_S10_EESH_SX_SI_SJ_SK_EUlSX_E1_NS1_11comp_targetILNS1_3genE10ELNS1_11target_archE1201ELNS1_3gpuE5ELNS1_3repE0EEENS1_36merge_oddeven_config_static_selectorELNS0_4arch9wavefront6targetE1EEEvSJ_
                                        ; -- End function
	.set _ZN7rocprim17ROCPRIM_400000_NS6detail17trampoline_kernelINS0_14default_configENS1_38merge_sort_block_merge_config_selectorIjjEEZZNS1_27merge_sort_block_merge_implIS3_N6thrust23THRUST_200600_302600_NS6detail15normal_iteratorINS8_10device_ptrIjEEEESD_jNS1_19radix_merge_compareILb0ELb0EjNS0_19identity_decomposerEEEEE10hipError_tT0_T1_T2_jT3_P12ihipStream_tbPNSt15iterator_traitsISI_E10value_typeEPNSO_ISJ_E10value_typeEPSK_NS1_7vsmem_tEENKUlT_SI_SJ_SK_E_clISD_PjSD_S10_EESH_SX_SI_SJ_SK_EUlSX_E1_NS1_11comp_targetILNS1_3genE10ELNS1_11target_archE1201ELNS1_3gpuE5ELNS1_3repE0EEENS1_36merge_oddeven_config_static_selectorELNS0_4arch9wavefront6targetE1EEEvSJ_.num_vgpr, 0
	.set _ZN7rocprim17ROCPRIM_400000_NS6detail17trampoline_kernelINS0_14default_configENS1_38merge_sort_block_merge_config_selectorIjjEEZZNS1_27merge_sort_block_merge_implIS3_N6thrust23THRUST_200600_302600_NS6detail15normal_iteratorINS8_10device_ptrIjEEEESD_jNS1_19radix_merge_compareILb0ELb0EjNS0_19identity_decomposerEEEEE10hipError_tT0_T1_T2_jT3_P12ihipStream_tbPNSt15iterator_traitsISI_E10value_typeEPNSO_ISJ_E10value_typeEPSK_NS1_7vsmem_tEENKUlT_SI_SJ_SK_E_clISD_PjSD_S10_EESH_SX_SI_SJ_SK_EUlSX_E1_NS1_11comp_targetILNS1_3genE10ELNS1_11target_archE1201ELNS1_3gpuE5ELNS1_3repE0EEENS1_36merge_oddeven_config_static_selectorELNS0_4arch9wavefront6targetE1EEEvSJ_.num_agpr, 0
	.set _ZN7rocprim17ROCPRIM_400000_NS6detail17trampoline_kernelINS0_14default_configENS1_38merge_sort_block_merge_config_selectorIjjEEZZNS1_27merge_sort_block_merge_implIS3_N6thrust23THRUST_200600_302600_NS6detail15normal_iteratorINS8_10device_ptrIjEEEESD_jNS1_19radix_merge_compareILb0ELb0EjNS0_19identity_decomposerEEEEE10hipError_tT0_T1_T2_jT3_P12ihipStream_tbPNSt15iterator_traitsISI_E10value_typeEPNSO_ISJ_E10value_typeEPSK_NS1_7vsmem_tEENKUlT_SI_SJ_SK_E_clISD_PjSD_S10_EESH_SX_SI_SJ_SK_EUlSX_E1_NS1_11comp_targetILNS1_3genE10ELNS1_11target_archE1201ELNS1_3gpuE5ELNS1_3repE0EEENS1_36merge_oddeven_config_static_selectorELNS0_4arch9wavefront6targetE1EEEvSJ_.numbered_sgpr, 0
	.set _ZN7rocprim17ROCPRIM_400000_NS6detail17trampoline_kernelINS0_14default_configENS1_38merge_sort_block_merge_config_selectorIjjEEZZNS1_27merge_sort_block_merge_implIS3_N6thrust23THRUST_200600_302600_NS6detail15normal_iteratorINS8_10device_ptrIjEEEESD_jNS1_19radix_merge_compareILb0ELb0EjNS0_19identity_decomposerEEEEE10hipError_tT0_T1_T2_jT3_P12ihipStream_tbPNSt15iterator_traitsISI_E10value_typeEPNSO_ISJ_E10value_typeEPSK_NS1_7vsmem_tEENKUlT_SI_SJ_SK_E_clISD_PjSD_S10_EESH_SX_SI_SJ_SK_EUlSX_E1_NS1_11comp_targetILNS1_3genE10ELNS1_11target_archE1201ELNS1_3gpuE5ELNS1_3repE0EEENS1_36merge_oddeven_config_static_selectorELNS0_4arch9wavefront6targetE1EEEvSJ_.num_named_barrier, 0
	.set _ZN7rocprim17ROCPRIM_400000_NS6detail17trampoline_kernelINS0_14default_configENS1_38merge_sort_block_merge_config_selectorIjjEEZZNS1_27merge_sort_block_merge_implIS3_N6thrust23THRUST_200600_302600_NS6detail15normal_iteratorINS8_10device_ptrIjEEEESD_jNS1_19radix_merge_compareILb0ELb0EjNS0_19identity_decomposerEEEEE10hipError_tT0_T1_T2_jT3_P12ihipStream_tbPNSt15iterator_traitsISI_E10value_typeEPNSO_ISJ_E10value_typeEPSK_NS1_7vsmem_tEENKUlT_SI_SJ_SK_E_clISD_PjSD_S10_EESH_SX_SI_SJ_SK_EUlSX_E1_NS1_11comp_targetILNS1_3genE10ELNS1_11target_archE1201ELNS1_3gpuE5ELNS1_3repE0EEENS1_36merge_oddeven_config_static_selectorELNS0_4arch9wavefront6targetE1EEEvSJ_.private_seg_size, 0
	.set _ZN7rocprim17ROCPRIM_400000_NS6detail17trampoline_kernelINS0_14default_configENS1_38merge_sort_block_merge_config_selectorIjjEEZZNS1_27merge_sort_block_merge_implIS3_N6thrust23THRUST_200600_302600_NS6detail15normal_iteratorINS8_10device_ptrIjEEEESD_jNS1_19radix_merge_compareILb0ELb0EjNS0_19identity_decomposerEEEEE10hipError_tT0_T1_T2_jT3_P12ihipStream_tbPNSt15iterator_traitsISI_E10value_typeEPNSO_ISJ_E10value_typeEPSK_NS1_7vsmem_tEENKUlT_SI_SJ_SK_E_clISD_PjSD_S10_EESH_SX_SI_SJ_SK_EUlSX_E1_NS1_11comp_targetILNS1_3genE10ELNS1_11target_archE1201ELNS1_3gpuE5ELNS1_3repE0EEENS1_36merge_oddeven_config_static_selectorELNS0_4arch9wavefront6targetE1EEEvSJ_.uses_vcc, 0
	.set _ZN7rocprim17ROCPRIM_400000_NS6detail17trampoline_kernelINS0_14default_configENS1_38merge_sort_block_merge_config_selectorIjjEEZZNS1_27merge_sort_block_merge_implIS3_N6thrust23THRUST_200600_302600_NS6detail15normal_iteratorINS8_10device_ptrIjEEEESD_jNS1_19radix_merge_compareILb0ELb0EjNS0_19identity_decomposerEEEEE10hipError_tT0_T1_T2_jT3_P12ihipStream_tbPNSt15iterator_traitsISI_E10value_typeEPNSO_ISJ_E10value_typeEPSK_NS1_7vsmem_tEENKUlT_SI_SJ_SK_E_clISD_PjSD_S10_EESH_SX_SI_SJ_SK_EUlSX_E1_NS1_11comp_targetILNS1_3genE10ELNS1_11target_archE1201ELNS1_3gpuE5ELNS1_3repE0EEENS1_36merge_oddeven_config_static_selectorELNS0_4arch9wavefront6targetE1EEEvSJ_.uses_flat_scratch, 0
	.set _ZN7rocprim17ROCPRIM_400000_NS6detail17trampoline_kernelINS0_14default_configENS1_38merge_sort_block_merge_config_selectorIjjEEZZNS1_27merge_sort_block_merge_implIS3_N6thrust23THRUST_200600_302600_NS6detail15normal_iteratorINS8_10device_ptrIjEEEESD_jNS1_19radix_merge_compareILb0ELb0EjNS0_19identity_decomposerEEEEE10hipError_tT0_T1_T2_jT3_P12ihipStream_tbPNSt15iterator_traitsISI_E10value_typeEPNSO_ISJ_E10value_typeEPSK_NS1_7vsmem_tEENKUlT_SI_SJ_SK_E_clISD_PjSD_S10_EESH_SX_SI_SJ_SK_EUlSX_E1_NS1_11comp_targetILNS1_3genE10ELNS1_11target_archE1201ELNS1_3gpuE5ELNS1_3repE0EEENS1_36merge_oddeven_config_static_selectorELNS0_4arch9wavefront6targetE1EEEvSJ_.has_dyn_sized_stack, 0
	.set _ZN7rocprim17ROCPRIM_400000_NS6detail17trampoline_kernelINS0_14default_configENS1_38merge_sort_block_merge_config_selectorIjjEEZZNS1_27merge_sort_block_merge_implIS3_N6thrust23THRUST_200600_302600_NS6detail15normal_iteratorINS8_10device_ptrIjEEEESD_jNS1_19radix_merge_compareILb0ELb0EjNS0_19identity_decomposerEEEEE10hipError_tT0_T1_T2_jT3_P12ihipStream_tbPNSt15iterator_traitsISI_E10value_typeEPNSO_ISJ_E10value_typeEPSK_NS1_7vsmem_tEENKUlT_SI_SJ_SK_E_clISD_PjSD_S10_EESH_SX_SI_SJ_SK_EUlSX_E1_NS1_11comp_targetILNS1_3genE10ELNS1_11target_archE1201ELNS1_3gpuE5ELNS1_3repE0EEENS1_36merge_oddeven_config_static_selectorELNS0_4arch9wavefront6targetE1EEEvSJ_.has_recursion, 0
	.set _ZN7rocprim17ROCPRIM_400000_NS6detail17trampoline_kernelINS0_14default_configENS1_38merge_sort_block_merge_config_selectorIjjEEZZNS1_27merge_sort_block_merge_implIS3_N6thrust23THRUST_200600_302600_NS6detail15normal_iteratorINS8_10device_ptrIjEEEESD_jNS1_19radix_merge_compareILb0ELb0EjNS0_19identity_decomposerEEEEE10hipError_tT0_T1_T2_jT3_P12ihipStream_tbPNSt15iterator_traitsISI_E10value_typeEPNSO_ISJ_E10value_typeEPSK_NS1_7vsmem_tEENKUlT_SI_SJ_SK_E_clISD_PjSD_S10_EESH_SX_SI_SJ_SK_EUlSX_E1_NS1_11comp_targetILNS1_3genE10ELNS1_11target_archE1201ELNS1_3gpuE5ELNS1_3repE0EEENS1_36merge_oddeven_config_static_selectorELNS0_4arch9wavefront6targetE1EEEvSJ_.has_indirect_call, 0
	.section	.AMDGPU.csdata,"",@progbits
; Kernel info:
; codeLenInByte = 0
; TotalNumSgprs: 6
; NumVgprs: 0
; NumAgprs: 0
; TotalNumVgprs: 0
; ScratchSize: 0
; MemoryBound: 0
; FloatMode: 240
; IeeeMode: 1
; LDSByteSize: 0 bytes/workgroup (compile time only)
; SGPRBlocks: 0
; VGPRBlocks: 0
; NumSGPRsForWavesPerEU: 6
; NumVGPRsForWavesPerEU: 1
; AccumOffset: 4
; Occupancy: 8
; WaveLimiterHint : 0
; COMPUTE_PGM_RSRC2:SCRATCH_EN: 0
; COMPUTE_PGM_RSRC2:USER_SGPR: 2
; COMPUTE_PGM_RSRC2:TRAP_HANDLER: 0
; COMPUTE_PGM_RSRC2:TGID_X_EN: 1
; COMPUTE_PGM_RSRC2:TGID_Y_EN: 0
; COMPUTE_PGM_RSRC2:TGID_Z_EN: 0
; COMPUTE_PGM_RSRC2:TIDIG_COMP_CNT: 0
; COMPUTE_PGM_RSRC3_GFX90A:ACCUM_OFFSET: 0
; COMPUTE_PGM_RSRC3_GFX90A:TG_SPLIT: 0
	.section	.text._ZN7rocprim17ROCPRIM_400000_NS6detail17trampoline_kernelINS0_14default_configENS1_38merge_sort_block_merge_config_selectorIjjEEZZNS1_27merge_sort_block_merge_implIS3_N6thrust23THRUST_200600_302600_NS6detail15normal_iteratorINS8_10device_ptrIjEEEESD_jNS1_19radix_merge_compareILb0ELb0EjNS0_19identity_decomposerEEEEE10hipError_tT0_T1_T2_jT3_P12ihipStream_tbPNSt15iterator_traitsISI_E10value_typeEPNSO_ISJ_E10value_typeEPSK_NS1_7vsmem_tEENKUlT_SI_SJ_SK_E_clISD_PjSD_S10_EESH_SX_SI_SJ_SK_EUlSX_E1_NS1_11comp_targetILNS1_3genE5ELNS1_11target_archE942ELNS1_3gpuE9ELNS1_3repE0EEENS1_36merge_oddeven_config_static_selectorELNS0_4arch9wavefront6targetE1EEEvSJ_,"axG",@progbits,_ZN7rocprim17ROCPRIM_400000_NS6detail17trampoline_kernelINS0_14default_configENS1_38merge_sort_block_merge_config_selectorIjjEEZZNS1_27merge_sort_block_merge_implIS3_N6thrust23THRUST_200600_302600_NS6detail15normal_iteratorINS8_10device_ptrIjEEEESD_jNS1_19radix_merge_compareILb0ELb0EjNS0_19identity_decomposerEEEEE10hipError_tT0_T1_T2_jT3_P12ihipStream_tbPNSt15iterator_traitsISI_E10value_typeEPNSO_ISJ_E10value_typeEPSK_NS1_7vsmem_tEENKUlT_SI_SJ_SK_E_clISD_PjSD_S10_EESH_SX_SI_SJ_SK_EUlSX_E1_NS1_11comp_targetILNS1_3genE5ELNS1_11target_archE942ELNS1_3gpuE9ELNS1_3repE0EEENS1_36merge_oddeven_config_static_selectorELNS0_4arch9wavefront6targetE1EEEvSJ_,comdat
	.protected	_ZN7rocprim17ROCPRIM_400000_NS6detail17trampoline_kernelINS0_14default_configENS1_38merge_sort_block_merge_config_selectorIjjEEZZNS1_27merge_sort_block_merge_implIS3_N6thrust23THRUST_200600_302600_NS6detail15normal_iteratorINS8_10device_ptrIjEEEESD_jNS1_19radix_merge_compareILb0ELb0EjNS0_19identity_decomposerEEEEE10hipError_tT0_T1_T2_jT3_P12ihipStream_tbPNSt15iterator_traitsISI_E10value_typeEPNSO_ISJ_E10value_typeEPSK_NS1_7vsmem_tEENKUlT_SI_SJ_SK_E_clISD_PjSD_S10_EESH_SX_SI_SJ_SK_EUlSX_E1_NS1_11comp_targetILNS1_3genE5ELNS1_11target_archE942ELNS1_3gpuE9ELNS1_3repE0EEENS1_36merge_oddeven_config_static_selectorELNS0_4arch9wavefront6targetE1EEEvSJ_ ; -- Begin function _ZN7rocprim17ROCPRIM_400000_NS6detail17trampoline_kernelINS0_14default_configENS1_38merge_sort_block_merge_config_selectorIjjEEZZNS1_27merge_sort_block_merge_implIS3_N6thrust23THRUST_200600_302600_NS6detail15normal_iteratorINS8_10device_ptrIjEEEESD_jNS1_19radix_merge_compareILb0ELb0EjNS0_19identity_decomposerEEEEE10hipError_tT0_T1_T2_jT3_P12ihipStream_tbPNSt15iterator_traitsISI_E10value_typeEPNSO_ISJ_E10value_typeEPSK_NS1_7vsmem_tEENKUlT_SI_SJ_SK_E_clISD_PjSD_S10_EESH_SX_SI_SJ_SK_EUlSX_E1_NS1_11comp_targetILNS1_3genE5ELNS1_11target_archE942ELNS1_3gpuE9ELNS1_3repE0EEENS1_36merge_oddeven_config_static_selectorELNS0_4arch9wavefront6targetE1EEEvSJ_
	.globl	_ZN7rocprim17ROCPRIM_400000_NS6detail17trampoline_kernelINS0_14default_configENS1_38merge_sort_block_merge_config_selectorIjjEEZZNS1_27merge_sort_block_merge_implIS3_N6thrust23THRUST_200600_302600_NS6detail15normal_iteratorINS8_10device_ptrIjEEEESD_jNS1_19radix_merge_compareILb0ELb0EjNS0_19identity_decomposerEEEEE10hipError_tT0_T1_T2_jT3_P12ihipStream_tbPNSt15iterator_traitsISI_E10value_typeEPNSO_ISJ_E10value_typeEPSK_NS1_7vsmem_tEENKUlT_SI_SJ_SK_E_clISD_PjSD_S10_EESH_SX_SI_SJ_SK_EUlSX_E1_NS1_11comp_targetILNS1_3genE5ELNS1_11target_archE942ELNS1_3gpuE9ELNS1_3repE0EEENS1_36merge_oddeven_config_static_selectorELNS0_4arch9wavefront6targetE1EEEvSJ_
	.p2align	8
	.type	_ZN7rocprim17ROCPRIM_400000_NS6detail17trampoline_kernelINS0_14default_configENS1_38merge_sort_block_merge_config_selectorIjjEEZZNS1_27merge_sort_block_merge_implIS3_N6thrust23THRUST_200600_302600_NS6detail15normal_iteratorINS8_10device_ptrIjEEEESD_jNS1_19radix_merge_compareILb0ELb0EjNS0_19identity_decomposerEEEEE10hipError_tT0_T1_T2_jT3_P12ihipStream_tbPNSt15iterator_traitsISI_E10value_typeEPNSO_ISJ_E10value_typeEPSK_NS1_7vsmem_tEENKUlT_SI_SJ_SK_E_clISD_PjSD_S10_EESH_SX_SI_SJ_SK_EUlSX_E1_NS1_11comp_targetILNS1_3genE5ELNS1_11target_archE942ELNS1_3gpuE9ELNS1_3repE0EEENS1_36merge_oddeven_config_static_selectorELNS0_4arch9wavefront6targetE1EEEvSJ_,@function
_ZN7rocprim17ROCPRIM_400000_NS6detail17trampoline_kernelINS0_14default_configENS1_38merge_sort_block_merge_config_selectorIjjEEZZNS1_27merge_sort_block_merge_implIS3_N6thrust23THRUST_200600_302600_NS6detail15normal_iteratorINS8_10device_ptrIjEEEESD_jNS1_19radix_merge_compareILb0ELb0EjNS0_19identity_decomposerEEEEE10hipError_tT0_T1_T2_jT3_P12ihipStream_tbPNSt15iterator_traitsISI_E10value_typeEPNSO_ISJ_E10value_typeEPSK_NS1_7vsmem_tEENKUlT_SI_SJ_SK_E_clISD_PjSD_S10_EESH_SX_SI_SJ_SK_EUlSX_E1_NS1_11comp_targetILNS1_3genE5ELNS1_11target_archE942ELNS1_3gpuE9ELNS1_3repE0EEENS1_36merge_oddeven_config_static_selectorELNS0_4arch9wavefront6targetE1EEEvSJ_: ; @_ZN7rocprim17ROCPRIM_400000_NS6detail17trampoline_kernelINS0_14default_configENS1_38merge_sort_block_merge_config_selectorIjjEEZZNS1_27merge_sort_block_merge_implIS3_N6thrust23THRUST_200600_302600_NS6detail15normal_iteratorINS8_10device_ptrIjEEEESD_jNS1_19radix_merge_compareILb0ELb0EjNS0_19identity_decomposerEEEEE10hipError_tT0_T1_T2_jT3_P12ihipStream_tbPNSt15iterator_traitsISI_E10value_typeEPNSO_ISJ_E10value_typeEPSK_NS1_7vsmem_tEENKUlT_SI_SJ_SK_E_clISD_PjSD_S10_EESH_SX_SI_SJ_SK_EUlSX_E1_NS1_11comp_targetILNS1_3genE5ELNS1_11target_archE942ELNS1_3gpuE9ELNS1_3repE0EEENS1_36merge_oddeven_config_static_selectorELNS0_4arch9wavefront6targetE1EEEvSJ_
; %bb.0:
	.section	.rodata,"a",@progbits
	.p2align	6, 0x0
	.amdhsa_kernel _ZN7rocprim17ROCPRIM_400000_NS6detail17trampoline_kernelINS0_14default_configENS1_38merge_sort_block_merge_config_selectorIjjEEZZNS1_27merge_sort_block_merge_implIS3_N6thrust23THRUST_200600_302600_NS6detail15normal_iteratorINS8_10device_ptrIjEEEESD_jNS1_19radix_merge_compareILb0ELb0EjNS0_19identity_decomposerEEEEE10hipError_tT0_T1_T2_jT3_P12ihipStream_tbPNSt15iterator_traitsISI_E10value_typeEPNSO_ISJ_E10value_typeEPSK_NS1_7vsmem_tEENKUlT_SI_SJ_SK_E_clISD_PjSD_S10_EESH_SX_SI_SJ_SK_EUlSX_E1_NS1_11comp_targetILNS1_3genE5ELNS1_11target_archE942ELNS1_3gpuE9ELNS1_3repE0EEENS1_36merge_oddeven_config_static_selectorELNS0_4arch9wavefront6targetE1EEEvSJ_
		.amdhsa_group_segment_fixed_size 0
		.amdhsa_private_segment_fixed_size 0
		.amdhsa_kernarg_size 48
		.amdhsa_user_sgpr_count 2
		.amdhsa_user_sgpr_dispatch_ptr 0
		.amdhsa_user_sgpr_queue_ptr 0
		.amdhsa_user_sgpr_kernarg_segment_ptr 1
		.amdhsa_user_sgpr_dispatch_id 0
		.amdhsa_user_sgpr_kernarg_preload_length 0
		.amdhsa_user_sgpr_kernarg_preload_offset 0
		.amdhsa_user_sgpr_private_segment_size 0
		.amdhsa_uses_dynamic_stack 0
		.amdhsa_enable_private_segment 0
		.amdhsa_system_sgpr_workgroup_id_x 1
		.amdhsa_system_sgpr_workgroup_id_y 0
		.amdhsa_system_sgpr_workgroup_id_z 0
		.amdhsa_system_sgpr_workgroup_info 0
		.amdhsa_system_vgpr_workitem_id 0
		.amdhsa_next_free_vgpr 1
		.amdhsa_next_free_sgpr 0
		.amdhsa_accum_offset 4
		.amdhsa_reserve_vcc 0
		.amdhsa_float_round_mode_32 0
		.amdhsa_float_round_mode_16_64 0
		.amdhsa_float_denorm_mode_32 3
		.amdhsa_float_denorm_mode_16_64 3
		.amdhsa_dx10_clamp 1
		.amdhsa_ieee_mode 1
		.amdhsa_fp16_overflow 0
		.amdhsa_tg_split 0
		.amdhsa_exception_fp_ieee_invalid_op 0
		.amdhsa_exception_fp_denorm_src 0
		.amdhsa_exception_fp_ieee_div_zero 0
		.amdhsa_exception_fp_ieee_overflow 0
		.amdhsa_exception_fp_ieee_underflow 0
		.amdhsa_exception_fp_ieee_inexact 0
		.amdhsa_exception_int_div_zero 0
	.end_amdhsa_kernel
	.section	.text._ZN7rocprim17ROCPRIM_400000_NS6detail17trampoline_kernelINS0_14default_configENS1_38merge_sort_block_merge_config_selectorIjjEEZZNS1_27merge_sort_block_merge_implIS3_N6thrust23THRUST_200600_302600_NS6detail15normal_iteratorINS8_10device_ptrIjEEEESD_jNS1_19radix_merge_compareILb0ELb0EjNS0_19identity_decomposerEEEEE10hipError_tT0_T1_T2_jT3_P12ihipStream_tbPNSt15iterator_traitsISI_E10value_typeEPNSO_ISJ_E10value_typeEPSK_NS1_7vsmem_tEENKUlT_SI_SJ_SK_E_clISD_PjSD_S10_EESH_SX_SI_SJ_SK_EUlSX_E1_NS1_11comp_targetILNS1_3genE5ELNS1_11target_archE942ELNS1_3gpuE9ELNS1_3repE0EEENS1_36merge_oddeven_config_static_selectorELNS0_4arch9wavefront6targetE1EEEvSJ_,"axG",@progbits,_ZN7rocprim17ROCPRIM_400000_NS6detail17trampoline_kernelINS0_14default_configENS1_38merge_sort_block_merge_config_selectorIjjEEZZNS1_27merge_sort_block_merge_implIS3_N6thrust23THRUST_200600_302600_NS6detail15normal_iteratorINS8_10device_ptrIjEEEESD_jNS1_19radix_merge_compareILb0ELb0EjNS0_19identity_decomposerEEEEE10hipError_tT0_T1_T2_jT3_P12ihipStream_tbPNSt15iterator_traitsISI_E10value_typeEPNSO_ISJ_E10value_typeEPSK_NS1_7vsmem_tEENKUlT_SI_SJ_SK_E_clISD_PjSD_S10_EESH_SX_SI_SJ_SK_EUlSX_E1_NS1_11comp_targetILNS1_3genE5ELNS1_11target_archE942ELNS1_3gpuE9ELNS1_3repE0EEENS1_36merge_oddeven_config_static_selectorELNS0_4arch9wavefront6targetE1EEEvSJ_,comdat
.Lfunc_end661:
	.size	_ZN7rocprim17ROCPRIM_400000_NS6detail17trampoline_kernelINS0_14default_configENS1_38merge_sort_block_merge_config_selectorIjjEEZZNS1_27merge_sort_block_merge_implIS3_N6thrust23THRUST_200600_302600_NS6detail15normal_iteratorINS8_10device_ptrIjEEEESD_jNS1_19radix_merge_compareILb0ELb0EjNS0_19identity_decomposerEEEEE10hipError_tT0_T1_T2_jT3_P12ihipStream_tbPNSt15iterator_traitsISI_E10value_typeEPNSO_ISJ_E10value_typeEPSK_NS1_7vsmem_tEENKUlT_SI_SJ_SK_E_clISD_PjSD_S10_EESH_SX_SI_SJ_SK_EUlSX_E1_NS1_11comp_targetILNS1_3genE5ELNS1_11target_archE942ELNS1_3gpuE9ELNS1_3repE0EEENS1_36merge_oddeven_config_static_selectorELNS0_4arch9wavefront6targetE1EEEvSJ_, .Lfunc_end661-_ZN7rocprim17ROCPRIM_400000_NS6detail17trampoline_kernelINS0_14default_configENS1_38merge_sort_block_merge_config_selectorIjjEEZZNS1_27merge_sort_block_merge_implIS3_N6thrust23THRUST_200600_302600_NS6detail15normal_iteratorINS8_10device_ptrIjEEEESD_jNS1_19radix_merge_compareILb0ELb0EjNS0_19identity_decomposerEEEEE10hipError_tT0_T1_T2_jT3_P12ihipStream_tbPNSt15iterator_traitsISI_E10value_typeEPNSO_ISJ_E10value_typeEPSK_NS1_7vsmem_tEENKUlT_SI_SJ_SK_E_clISD_PjSD_S10_EESH_SX_SI_SJ_SK_EUlSX_E1_NS1_11comp_targetILNS1_3genE5ELNS1_11target_archE942ELNS1_3gpuE9ELNS1_3repE0EEENS1_36merge_oddeven_config_static_selectorELNS0_4arch9wavefront6targetE1EEEvSJ_
                                        ; -- End function
	.set _ZN7rocprim17ROCPRIM_400000_NS6detail17trampoline_kernelINS0_14default_configENS1_38merge_sort_block_merge_config_selectorIjjEEZZNS1_27merge_sort_block_merge_implIS3_N6thrust23THRUST_200600_302600_NS6detail15normal_iteratorINS8_10device_ptrIjEEEESD_jNS1_19radix_merge_compareILb0ELb0EjNS0_19identity_decomposerEEEEE10hipError_tT0_T1_T2_jT3_P12ihipStream_tbPNSt15iterator_traitsISI_E10value_typeEPNSO_ISJ_E10value_typeEPSK_NS1_7vsmem_tEENKUlT_SI_SJ_SK_E_clISD_PjSD_S10_EESH_SX_SI_SJ_SK_EUlSX_E1_NS1_11comp_targetILNS1_3genE5ELNS1_11target_archE942ELNS1_3gpuE9ELNS1_3repE0EEENS1_36merge_oddeven_config_static_selectorELNS0_4arch9wavefront6targetE1EEEvSJ_.num_vgpr, 0
	.set _ZN7rocprim17ROCPRIM_400000_NS6detail17trampoline_kernelINS0_14default_configENS1_38merge_sort_block_merge_config_selectorIjjEEZZNS1_27merge_sort_block_merge_implIS3_N6thrust23THRUST_200600_302600_NS6detail15normal_iteratorINS8_10device_ptrIjEEEESD_jNS1_19radix_merge_compareILb0ELb0EjNS0_19identity_decomposerEEEEE10hipError_tT0_T1_T2_jT3_P12ihipStream_tbPNSt15iterator_traitsISI_E10value_typeEPNSO_ISJ_E10value_typeEPSK_NS1_7vsmem_tEENKUlT_SI_SJ_SK_E_clISD_PjSD_S10_EESH_SX_SI_SJ_SK_EUlSX_E1_NS1_11comp_targetILNS1_3genE5ELNS1_11target_archE942ELNS1_3gpuE9ELNS1_3repE0EEENS1_36merge_oddeven_config_static_selectorELNS0_4arch9wavefront6targetE1EEEvSJ_.num_agpr, 0
	.set _ZN7rocprim17ROCPRIM_400000_NS6detail17trampoline_kernelINS0_14default_configENS1_38merge_sort_block_merge_config_selectorIjjEEZZNS1_27merge_sort_block_merge_implIS3_N6thrust23THRUST_200600_302600_NS6detail15normal_iteratorINS8_10device_ptrIjEEEESD_jNS1_19radix_merge_compareILb0ELb0EjNS0_19identity_decomposerEEEEE10hipError_tT0_T1_T2_jT3_P12ihipStream_tbPNSt15iterator_traitsISI_E10value_typeEPNSO_ISJ_E10value_typeEPSK_NS1_7vsmem_tEENKUlT_SI_SJ_SK_E_clISD_PjSD_S10_EESH_SX_SI_SJ_SK_EUlSX_E1_NS1_11comp_targetILNS1_3genE5ELNS1_11target_archE942ELNS1_3gpuE9ELNS1_3repE0EEENS1_36merge_oddeven_config_static_selectorELNS0_4arch9wavefront6targetE1EEEvSJ_.numbered_sgpr, 0
	.set _ZN7rocprim17ROCPRIM_400000_NS6detail17trampoline_kernelINS0_14default_configENS1_38merge_sort_block_merge_config_selectorIjjEEZZNS1_27merge_sort_block_merge_implIS3_N6thrust23THRUST_200600_302600_NS6detail15normal_iteratorINS8_10device_ptrIjEEEESD_jNS1_19radix_merge_compareILb0ELb0EjNS0_19identity_decomposerEEEEE10hipError_tT0_T1_T2_jT3_P12ihipStream_tbPNSt15iterator_traitsISI_E10value_typeEPNSO_ISJ_E10value_typeEPSK_NS1_7vsmem_tEENKUlT_SI_SJ_SK_E_clISD_PjSD_S10_EESH_SX_SI_SJ_SK_EUlSX_E1_NS1_11comp_targetILNS1_3genE5ELNS1_11target_archE942ELNS1_3gpuE9ELNS1_3repE0EEENS1_36merge_oddeven_config_static_selectorELNS0_4arch9wavefront6targetE1EEEvSJ_.num_named_barrier, 0
	.set _ZN7rocprim17ROCPRIM_400000_NS6detail17trampoline_kernelINS0_14default_configENS1_38merge_sort_block_merge_config_selectorIjjEEZZNS1_27merge_sort_block_merge_implIS3_N6thrust23THRUST_200600_302600_NS6detail15normal_iteratorINS8_10device_ptrIjEEEESD_jNS1_19radix_merge_compareILb0ELb0EjNS0_19identity_decomposerEEEEE10hipError_tT0_T1_T2_jT3_P12ihipStream_tbPNSt15iterator_traitsISI_E10value_typeEPNSO_ISJ_E10value_typeEPSK_NS1_7vsmem_tEENKUlT_SI_SJ_SK_E_clISD_PjSD_S10_EESH_SX_SI_SJ_SK_EUlSX_E1_NS1_11comp_targetILNS1_3genE5ELNS1_11target_archE942ELNS1_3gpuE9ELNS1_3repE0EEENS1_36merge_oddeven_config_static_selectorELNS0_4arch9wavefront6targetE1EEEvSJ_.private_seg_size, 0
	.set _ZN7rocprim17ROCPRIM_400000_NS6detail17trampoline_kernelINS0_14default_configENS1_38merge_sort_block_merge_config_selectorIjjEEZZNS1_27merge_sort_block_merge_implIS3_N6thrust23THRUST_200600_302600_NS6detail15normal_iteratorINS8_10device_ptrIjEEEESD_jNS1_19radix_merge_compareILb0ELb0EjNS0_19identity_decomposerEEEEE10hipError_tT0_T1_T2_jT3_P12ihipStream_tbPNSt15iterator_traitsISI_E10value_typeEPNSO_ISJ_E10value_typeEPSK_NS1_7vsmem_tEENKUlT_SI_SJ_SK_E_clISD_PjSD_S10_EESH_SX_SI_SJ_SK_EUlSX_E1_NS1_11comp_targetILNS1_3genE5ELNS1_11target_archE942ELNS1_3gpuE9ELNS1_3repE0EEENS1_36merge_oddeven_config_static_selectorELNS0_4arch9wavefront6targetE1EEEvSJ_.uses_vcc, 0
	.set _ZN7rocprim17ROCPRIM_400000_NS6detail17trampoline_kernelINS0_14default_configENS1_38merge_sort_block_merge_config_selectorIjjEEZZNS1_27merge_sort_block_merge_implIS3_N6thrust23THRUST_200600_302600_NS6detail15normal_iteratorINS8_10device_ptrIjEEEESD_jNS1_19radix_merge_compareILb0ELb0EjNS0_19identity_decomposerEEEEE10hipError_tT0_T1_T2_jT3_P12ihipStream_tbPNSt15iterator_traitsISI_E10value_typeEPNSO_ISJ_E10value_typeEPSK_NS1_7vsmem_tEENKUlT_SI_SJ_SK_E_clISD_PjSD_S10_EESH_SX_SI_SJ_SK_EUlSX_E1_NS1_11comp_targetILNS1_3genE5ELNS1_11target_archE942ELNS1_3gpuE9ELNS1_3repE0EEENS1_36merge_oddeven_config_static_selectorELNS0_4arch9wavefront6targetE1EEEvSJ_.uses_flat_scratch, 0
	.set _ZN7rocprim17ROCPRIM_400000_NS6detail17trampoline_kernelINS0_14default_configENS1_38merge_sort_block_merge_config_selectorIjjEEZZNS1_27merge_sort_block_merge_implIS3_N6thrust23THRUST_200600_302600_NS6detail15normal_iteratorINS8_10device_ptrIjEEEESD_jNS1_19radix_merge_compareILb0ELb0EjNS0_19identity_decomposerEEEEE10hipError_tT0_T1_T2_jT3_P12ihipStream_tbPNSt15iterator_traitsISI_E10value_typeEPNSO_ISJ_E10value_typeEPSK_NS1_7vsmem_tEENKUlT_SI_SJ_SK_E_clISD_PjSD_S10_EESH_SX_SI_SJ_SK_EUlSX_E1_NS1_11comp_targetILNS1_3genE5ELNS1_11target_archE942ELNS1_3gpuE9ELNS1_3repE0EEENS1_36merge_oddeven_config_static_selectorELNS0_4arch9wavefront6targetE1EEEvSJ_.has_dyn_sized_stack, 0
	.set _ZN7rocprim17ROCPRIM_400000_NS6detail17trampoline_kernelINS0_14default_configENS1_38merge_sort_block_merge_config_selectorIjjEEZZNS1_27merge_sort_block_merge_implIS3_N6thrust23THRUST_200600_302600_NS6detail15normal_iteratorINS8_10device_ptrIjEEEESD_jNS1_19radix_merge_compareILb0ELb0EjNS0_19identity_decomposerEEEEE10hipError_tT0_T1_T2_jT3_P12ihipStream_tbPNSt15iterator_traitsISI_E10value_typeEPNSO_ISJ_E10value_typeEPSK_NS1_7vsmem_tEENKUlT_SI_SJ_SK_E_clISD_PjSD_S10_EESH_SX_SI_SJ_SK_EUlSX_E1_NS1_11comp_targetILNS1_3genE5ELNS1_11target_archE942ELNS1_3gpuE9ELNS1_3repE0EEENS1_36merge_oddeven_config_static_selectorELNS0_4arch9wavefront6targetE1EEEvSJ_.has_recursion, 0
	.set _ZN7rocprim17ROCPRIM_400000_NS6detail17trampoline_kernelINS0_14default_configENS1_38merge_sort_block_merge_config_selectorIjjEEZZNS1_27merge_sort_block_merge_implIS3_N6thrust23THRUST_200600_302600_NS6detail15normal_iteratorINS8_10device_ptrIjEEEESD_jNS1_19radix_merge_compareILb0ELb0EjNS0_19identity_decomposerEEEEE10hipError_tT0_T1_T2_jT3_P12ihipStream_tbPNSt15iterator_traitsISI_E10value_typeEPNSO_ISJ_E10value_typeEPSK_NS1_7vsmem_tEENKUlT_SI_SJ_SK_E_clISD_PjSD_S10_EESH_SX_SI_SJ_SK_EUlSX_E1_NS1_11comp_targetILNS1_3genE5ELNS1_11target_archE942ELNS1_3gpuE9ELNS1_3repE0EEENS1_36merge_oddeven_config_static_selectorELNS0_4arch9wavefront6targetE1EEEvSJ_.has_indirect_call, 0
	.section	.AMDGPU.csdata,"",@progbits
; Kernel info:
; codeLenInByte = 0
; TotalNumSgprs: 6
; NumVgprs: 0
; NumAgprs: 0
; TotalNumVgprs: 0
; ScratchSize: 0
; MemoryBound: 0
; FloatMode: 240
; IeeeMode: 1
; LDSByteSize: 0 bytes/workgroup (compile time only)
; SGPRBlocks: 0
; VGPRBlocks: 0
; NumSGPRsForWavesPerEU: 6
; NumVGPRsForWavesPerEU: 1
; AccumOffset: 4
; Occupancy: 8
; WaveLimiterHint : 0
; COMPUTE_PGM_RSRC2:SCRATCH_EN: 0
; COMPUTE_PGM_RSRC2:USER_SGPR: 2
; COMPUTE_PGM_RSRC2:TRAP_HANDLER: 0
; COMPUTE_PGM_RSRC2:TGID_X_EN: 1
; COMPUTE_PGM_RSRC2:TGID_Y_EN: 0
; COMPUTE_PGM_RSRC2:TGID_Z_EN: 0
; COMPUTE_PGM_RSRC2:TIDIG_COMP_CNT: 0
; COMPUTE_PGM_RSRC3_GFX90A:ACCUM_OFFSET: 0
; COMPUTE_PGM_RSRC3_GFX90A:TG_SPLIT: 0
	.section	.text._ZN7rocprim17ROCPRIM_400000_NS6detail17trampoline_kernelINS0_14default_configENS1_38merge_sort_block_merge_config_selectorIjjEEZZNS1_27merge_sort_block_merge_implIS3_N6thrust23THRUST_200600_302600_NS6detail15normal_iteratorINS8_10device_ptrIjEEEESD_jNS1_19radix_merge_compareILb0ELb0EjNS0_19identity_decomposerEEEEE10hipError_tT0_T1_T2_jT3_P12ihipStream_tbPNSt15iterator_traitsISI_E10value_typeEPNSO_ISJ_E10value_typeEPSK_NS1_7vsmem_tEENKUlT_SI_SJ_SK_E_clISD_PjSD_S10_EESH_SX_SI_SJ_SK_EUlSX_E1_NS1_11comp_targetILNS1_3genE4ELNS1_11target_archE910ELNS1_3gpuE8ELNS1_3repE0EEENS1_36merge_oddeven_config_static_selectorELNS0_4arch9wavefront6targetE1EEEvSJ_,"axG",@progbits,_ZN7rocprim17ROCPRIM_400000_NS6detail17trampoline_kernelINS0_14default_configENS1_38merge_sort_block_merge_config_selectorIjjEEZZNS1_27merge_sort_block_merge_implIS3_N6thrust23THRUST_200600_302600_NS6detail15normal_iteratorINS8_10device_ptrIjEEEESD_jNS1_19radix_merge_compareILb0ELb0EjNS0_19identity_decomposerEEEEE10hipError_tT0_T1_T2_jT3_P12ihipStream_tbPNSt15iterator_traitsISI_E10value_typeEPNSO_ISJ_E10value_typeEPSK_NS1_7vsmem_tEENKUlT_SI_SJ_SK_E_clISD_PjSD_S10_EESH_SX_SI_SJ_SK_EUlSX_E1_NS1_11comp_targetILNS1_3genE4ELNS1_11target_archE910ELNS1_3gpuE8ELNS1_3repE0EEENS1_36merge_oddeven_config_static_selectorELNS0_4arch9wavefront6targetE1EEEvSJ_,comdat
	.protected	_ZN7rocprim17ROCPRIM_400000_NS6detail17trampoline_kernelINS0_14default_configENS1_38merge_sort_block_merge_config_selectorIjjEEZZNS1_27merge_sort_block_merge_implIS3_N6thrust23THRUST_200600_302600_NS6detail15normal_iteratorINS8_10device_ptrIjEEEESD_jNS1_19radix_merge_compareILb0ELb0EjNS0_19identity_decomposerEEEEE10hipError_tT0_T1_T2_jT3_P12ihipStream_tbPNSt15iterator_traitsISI_E10value_typeEPNSO_ISJ_E10value_typeEPSK_NS1_7vsmem_tEENKUlT_SI_SJ_SK_E_clISD_PjSD_S10_EESH_SX_SI_SJ_SK_EUlSX_E1_NS1_11comp_targetILNS1_3genE4ELNS1_11target_archE910ELNS1_3gpuE8ELNS1_3repE0EEENS1_36merge_oddeven_config_static_selectorELNS0_4arch9wavefront6targetE1EEEvSJ_ ; -- Begin function _ZN7rocprim17ROCPRIM_400000_NS6detail17trampoline_kernelINS0_14default_configENS1_38merge_sort_block_merge_config_selectorIjjEEZZNS1_27merge_sort_block_merge_implIS3_N6thrust23THRUST_200600_302600_NS6detail15normal_iteratorINS8_10device_ptrIjEEEESD_jNS1_19radix_merge_compareILb0ELb0EjNS0_19identity_decomposerEEEEE10hipError_tT0_T1_T2_jT3_P12ihipStream_tbPNSt15iterator_traitsISI_E10value_typeEPNSO_ISJ_E10value_typeEPSK_NS1_7vsmem_tEENKUlT_SI_SJ_SK_E_clISD_PjSD_S10_EESH_SX_SI_SJ_SK_EUlSX_E1_NS1_11comp_targetILNS1_3genE4ELNS1_11target_archE910ELNS1_3gpuE8ELNS1_3repE0EEENS1_36merge_oddeven_config_static_selectorELNS0_4arch9wavefront6targetE1EEEvSJ_
	.globl	_ZN7rocprim17ROCPRIM_400000_NS6detail17trampoline_kernelINS0_14default_configENS1_38merge_sort_block_merge_config_selectorIjjEEZZNS1_27merge_sort_block_merge_implIS3_N6thrust23THRUST_200600_302600_NS6detail15normal_iteratorINS8_10device_ptrIjEEEESD_jNS1_19radix_merge_compareILb0ELb0EjNS0_19identity_decomposerEEEEE10hipError_tT0_T1_T2_jT3_P12ihipStream_tbPNSt15iterator_traitsISI_E10value_typeEPNSO_ISJ_E10value_typeEPSK_NS1_7vsmem_tEENKUlT_SI_SJ_SK_E_clISD_PjSD_S10_EESH_SX_SI_SJ_SK_EUlSX_E1_NS1_11comp_targetILNS1_3genE4ELNS1_11target_archE910ELNS1_3gpuE8ELNS1_3repE0EEENS1_36merge_oddeven_config_static_selectorELNS0_4arch9wavefront6targetE1EEEvSJ_
	.p2align	8
	.type	_ZN7rocprim17ROCPRIM_400000_NS6detail17trampoline_kernelINS0_14default_configENS1_38merge_sort_block_merge_config_selectorIjjEEZZNS1_27merge_sort_block_merge_implIS3_N6thrust23THRUST_200600_302600_NS6detail15normal_iteratorINS8_10device_ptrIjEEEESD_jNS1_19radix_merge_compareILb0ELb0EjNS0_19identity_decomposerEEEEE10hipError_tT0_T1_T2_jT3_P12ihipStream_tbPNSt15iterator_traitsISI_E10value_typeEPNSO_ISJ_E10value_typeEPSK_NS1_7vsmem_tEENKUlT_SI_SJ_SK_E_clISD_PjSD_S10_EESH_SX_SI_SJ_SK_EUlSX_E1_NS1_11comp_targetILNS1_3genE4ELNS1_11target_archE910ELNS1_3gpuE8ELNS1_3repE0EEENS1_36merge_oddeven_config_static_selectorELNS0_4arch9wavefront6targetE1EEEvSJ_,@function
_ZN7rocprim17ROCPRIM_400000_NS6detail17trampoline_kernelINS0_14default_configENS1_38merge_sort_block_merge_config_selectorIjjEEZZNS1_27merge_sort_block_merge_implIS3_N6thrust23THRUST_200600_302600_NS6detail15normal_iteratorINS8_10device_ptrIjEEEESD_jNS1_19radix_merge_compareILb0ELb0EjNS0_19identity_decomposerEEEEE10hipError_tT0_T1_T2_jT3_P12ihipStream_tbPNSt15iterator_traitsISI_E10value_typeEPNSO_ISJ_E10value_typeEPSK_NS1_7vsmem_tEENKUlT_SI_SJ_SK_E_clISD_PjSD_S10_EESH_SX_SI_SJ_SK_EUlSX_E1_NS1_11comp_targetILNS1_3genE4ELNS1_11target_archE910ELNS1_3gpuE8ELNS1_3repE0EEENS1_36merge_oddeven_config_static_selectorELNS0_4arch9wavefront6targetE1EEEvSJ_: ; @_ZN7rocprim17ROCPRIM_400000_NS6detail17trampoline_kernelINS0_14default_configENS1_38merge_sort_block_merge_config_selectorIjjEEZZNS1_27merge_sort_block_merge_implIS3_N6thrust23THRUST_200600_302600_NS6detail15normal_iteratorINS8_10device_ptrIjEEEESD_jNS1_19radix_merge_compareILb0ELb0EjNS0_19identity_decomposerEEEEE10hipError_tT0_T1_T2_jT3_P12ihipStream_tbPNSt15iterator_traitsISI_E10value_typeEPNSO_ISJ_E10value_typeEPSK_NS1_7vsmem_tEENKUlT_SI_SJ_SK_E_clISD_PjSD_S10_EESH_SX_SI_SJ_SK_EUlSX_E1_NS1_11comp_targetILNS1_3genE4ELNS1_11target_archE910ELNS1_3gpuE8ELNS1_3repE0EEENS1_36merge_oddeven_config_static_selectorELNS0_4arch9wavefront6targetE1EEEvSJ_
; %bb.0:
	.section	.rodata,"a",@progbits
	.p2align	6, 0x0
	.amdhsa_kernel _ZN7rocprim17ROCPRIM_400000_NS6detail17trampoline_kernelINS0_14default_configENS1_38merge_sort_block_merge_config_selectorIjjEEZZNS1_27merge_sort_block_merge_implIS3_N6thrust23THRUST_200600_302600_NS6detail15normal_iteratorINS8_10device_ptrIjEEEESD_jNS1_19radix_merge_compareILb0ELb0EjNS0_19identity_decomposerEEEEE10hipError_tT0_T1_T2_jT3_P12ihipStream_tbPNSt15iterator_traitsISI_E10value_typeEPNSO_ISJ_E10value_typeEPSK_NS1_7vsmem_tEENKUlT_SI_SJ_SK_E_clISD_PjSD_S10_EESH_SX_SI_SJ_SK_EUlSX_E1_NS1_11comp_targetILNS1_3genE4ELNS1_11target_archE910ELNS1_3gpuE8ELNS1_3repE0EEENS1_36merge_oddeven_config_static_selectorELNS0_4arch9wavefront6targetE1EEEvSJ_
		.amdhsa_group_segment_fixed_size 0
		.amdhsa_private_segment_fixed_size 0
		.amdhsa_kernarg_size 48
		.amdhsa_user_sgpr_count 2
		.amdhsa_user_sgpr_dispatch_ptr 0
		.amdhsa_user_sgpr_queue_ptr 0
		.amdhsa_user_sgpr_kernarg_segment_ptr 1
		.amdhsa_user_sgpr_dispatch_id 0
		.amdhsa_user_sgpr_kernarg_preload_length 0
		.amdhsa_user_sgpr_kernarg_preload_offset 0
		.amdhsa_user_sgpr_private_segment_size 0
		.amdhsa_uses_dynamic_stack 0
		.amdhsa_enable_private_segment 0
		.amdhsa_system_sgpr_workgroup_id_x 1
		.amdhsa_system_sgpr_workgroup_id_y 0
		.amdhsa_system_sgpr_workgroup_id_z 0
		.amdhsa_system_sgpr_workgroup_info 0
		.amdhsa_system_vgpr_workitem_id 0
		.amdhsa_next_free_vgpr 1
		.amdhsa_next_free_sgpr 0
		.amdhsa_accum_offset 4
		.amdhsa_reserve_vcc 0
		.amdhsa_float_round_mode_32 0
		.amdhsa_float_round_mode_16_64 0
		.amdhsa_float_denorm_mode_32 3
		.amdhsa_float_denorm_mode_16_64 3
		.amdhsa_dx10_clamp 1
		.amdhsa_ieee_mode 1
		.amdhsa_fp16_overflow 0
		.amdhsa_tg_split 0
		.amdhsa_exception_fp_ieee_invalid_op 0
		.amdhsa_exception_fp_denorm_src 0
		.amdhsa_exception_fp_ieee_div_zero 0
		.amdhsa_exception_fp_ieee_overflow 0
		.amdhsa_exception_fp_ieee_underflow 0
		.amdhsa_exception_fp_ieee_inexact 0
		.amdhsa_exception_int_div_zero 0
	.end_amdhsa_kernel
	.section	.text._ZN7rocprim17ROCPRIM_400000_NS6detail17trampoline_kernelINS0_14default_configENS1_38merge_sort_block_merge_config_selectorIjjEEZZNS1_27merge_sort_block_merge_implIS3_N6thrust23THRUST_200600_302600_NS6detail15normal_iteratorINS8_10device_ptrIjEEEESD_jNS1_19radix_merge_compareILb0ELb0EjNS0_19identity_decomposerEEEEE10hipError_tT0_T1_T2_jT3_P12ihipStream_tbPNSt15iterator_traitsISI_E10value_typeEPNSO_ISJ_E10value_typeEPSK_NS1_7vsmem_tEENKUlT_SI_SJ_SK_E_clISD_PjSD_S10_EESH_SX_SI_SJ_SK_EUlSX_E1_NS1_11comp_targetILNS1_3genE4ELNS1_11target_archE910ELNS1_3gpuE8ELNS1_3repE0EEENS1_36merge_oddeven_config_static_selectorELNS0_4arch9wavefront6targetE1EEEvSJ_,"axG",@progbits,_ZN7rocprim17ROCPRIM_400000_NS6detail17trampoline_kernelINS0_14default_configENS1_38merge_sort_block_merge_config_selectorIjjEEZZNS1_27merge_sort_block_merge_implIS3_N6thrust23THRUST_200600_302600_NS6detail15normal_iteratorINS8_10device_ptrIjEEEESD_jNS1_19radix_merge_compareILb0ELb0EjNS0_19identity_decomposerEEEEE10hipError_tT0_T1_T2_jT3_P12ihipStream_tbPNSt15iterator_traitsISI_E10value_typeEPNSO_ISJ_E10value_typeEPSK_NS1_7vsmem_tEENKUlT_SI_SJ_SK_E_clISD_PjSD_S10_EESH_SX_SI_SJ_SK_EUlSX_E1_NS1_11comp_targetILNS1_3genE4ELNS1_11target_archE910ELNS1_3gpuE8ELNS1_3repE0EEENS1_36merge_oddeven_config_static_selectorELNS0_4arch9wavefront6targetE1EEEvSJ_,comdat
.Lfunc_end662:
	.size	_ZN7rocprim17ROCPRIM_400000_NS6detail17trampoline_kernelINS0_14default_configENS1_38merge_sort_block_merge_config_selectorIjjEEZZNS1_27merge_sort_block_merge_implIS3_N6thrust23THRUST_200600_302600_NS6detail15normal_iteratorINS8_10device_ptrIjEEEESD_jNS1_19radix_merge_compareILb0ELb0EjNS0_19identity_decomposerEEEEE10hipError_tT0_T1_T2_jT3_P12ihipStream_tbPNSt15iterator_traitsISI_E10value_typeEPNSO_ISJ_E10value_typeEPSK_NS1_7vsmem_tEENKUlT_SI_SJ_SK_E_clISD_PjSD_S10_EESH_SX_SI_SJ_SK_EUlSX_E1_NS1_11comp_targetILNS1_3genE4ELNS1_11target_archE910ELNS1_3gpuE8ELNS1_3repE0EEENS1_36merge_oddeven_config_static_selectorELNS0_4arch9wavefront6targetE1EEEvSJ_, .Lfunc_end662-_ZN7rocprim17ROCPRIM_400000_NS6detail17trampoline_kernelINS0_14default_configENS1_38merge_sort_block_merge_config_selectorIjjEEZZNS1_27merge_sort_block_merge_implIS3_N6thrust23THRUST_200600_302600_NS6detail15normal_iteratorINS8_10device_ptrIjEEEESD_jNS1_19radix_merge_compareILb0ELb0EjNS0_19identity_decomposerEEEEE10hipError_tT0_T1_T2_jT3_P12ihipStream_tbPNSt15iterator_traitsISI_E10value_typeEPNSO_ISJ_E10value_typeEPSK_NS1_7vsmem_tEENKUlT_SI_SJ_SK_E_clISD_PjSD_S10_EESH_SX_SI_SJ_SK_EUlSX_E1_NS1_11comp_targetILNS1_3genE4ELNS1_11target_archE910ELNS1_3gpuE8ELNS1_3repE0EEENS1_36merge_oddeven_config_static_selectorELNS0_4arch9wavefront6targetE1EEEvSJ_
                                        ; -- End function
	.set _ZN7rocprim17ROCPRIM_400000_NS6detail17trampoline_kernelINS0_14default_configENS1_38merge_sort_block_merge_config_selectorIjjEEZZNS1_27merge_sort_block_merge_implIS3_N6thrust23THRUST_200600_302600_NS6detail15normal_iteratorINS8_10device_ptrIjEEEESD_jNS1_19radix_merge_compareILb0ELb0EjNS0_19identity_decomposerEEEEE10hipError_tT0_T1_T2_jT3_P12ihipStream_tbPNSt15iterator_traitsISI_E10value_typeEPNSO_ISJ_E10value_typeEPSK_NS1_7vsmem_tEENKUlT_SI_SJ_SK_E_clISD_PjSD_S10_EESH_SX_SI_SJ_SK_EUlSX_E1_NS1_11comp_targetILNS1_3genE4ELNS1_11target_archE910ELNS1_3gpuE8ELNS1_3repE0EEENS1_36merge_oddeven_config_static_selectorELNS0_4arch9wavefront6targetE1EEEvSJ_.num_vgpr, 0
	.set _ZN7rocprim17ROCPRIM_400000_NS6detail17trampoline_kernelINS0_14default_configENS1_38merge_sort_block_merge_config_selectorIjjEEZZNS1_27merge_sort_block_merge_implIS3_N6thrust23THRUST_200600_302600_NS6detail15normal_iteratorINS8_10device_ptrIjEEEESD_jNS1_19radix_merge_compareILb0ELb0EjNS0_19identity_decomposerEEEEE10hipError_tT0_T1_T2_jT3_P12ihipStream_tbPNSt15iterator_traitsISI_E10value_typeEPNSO_ISJ_E10value_typeEPSK_NS1_7vsmem_tEENKUlT_SI_SJ_SK_E_clISD_PjSD_S10_EESH_SX_SI_SJ_SK_EUlSX_E1_NS1_11comp_targetILNS1_3genE4ELNS1_11target_archE910ELNS1_3gpuE8ELNS1_3repE0EEENS1_36merge_oddeven_config_static_selectorELNS0_4arch9wavefront6targetE1EEEvSJ_.num_agpr, 0
	.set _ZN7rocprim17ROCPRIM_400000_NS6detail17trampoline_kernelINS0_14default_configENS1_38merge_sort_block_merge_config_selectorIjjEEZZNS1_27merge_sort_block_merge_implIS3_N6thrust23THRUST_200600_302600_NS6detail15normal_iteratorINS8_10device_ptrIjEEEESD_jNS1_19radix_merge_compareILb0ELb0EjNS0_19identity_decomposerEEEEE10hipError_tT0_T1_T2_jT3_P12ihipStream_tbPNSt15iterator_traitsISI_E10value_typeEPNSO_ISJ_E10value_typeEPSK_NS1_7vsmem_tEENKUlT_SI_SJ_SK_E_clISD_PjSD_S10_EESH_SX_SI_SJ_SK_EUlSX_E1_NS1_11comp_targetILNS1_3genE4ELNS1_11target_archE910ELNS1_3gpuE8ELNS1_3repE0EEENS1_36merge_oddeven_config_static_selectorELNS0_4arch9wavefront6targetE1EEEvSJ_.numbered_sgpr, 0
	.set _ZN7rocprim17ROCPRIM_400000_NS6detail17trampoline_kernelINS0_14default_configENS1_38merge_sort_block_merge_config_selectorIjjEEZZNS1_27merge_sort_block_merge_implIS3_N6thrust23THRUST_200600_302600_NS6detail15normal_iteratorINS8_10device_ptrIjEEEESD_jNS1_19radix_merge_compareILb0ELb0EjNS0_19identity_decomposerEEEEE10hipError_tT0_T1_T2_jT3_P12ihipStream_tbPNSt15iterator_traitsISI_E10value_typeEPNSO_ISJ_E10value_typeEPSK_NS1_7vsmem_tEENKUlT_SI_SJ_SK_E_clISD_PjSD_S10_EESH_SX_SI_SJ_SK_EUlSX_E1_NS1_11comp_targetILNS1_3genE4ELNS1_11target_archE910ELNS1_3gpuE8ELNS1_3repE0EEENS1_36merge_oddeven_config_static_selectorELNS0_4arch9wavefront6targetE1EEEvSJ_.num_named_barrier, 0
	.set _ZN7rocprim17ROCPRIM_400000_NS6detail17trampoline_kernelINS0_14default_configENS1_38merge_sort_block_merge_config_selectorIjjEEZZNS1_27merge_sort_block_merge_implIS3_N6thrust23THRUST_200600_302600_NS6detail15normal_iteratorINS8_10device_ptrIjEEEESD_jNS1_19radix_merge_compareILb0ELb0EjNS0_19identity_decomposerEEEEE10hipError_tT0_T1_T2_jT3_P12ihipStream_tbPNSt15iterator_traitsISI_E10value_typeEPNSO_ISJ_E10value_typeEPSK_NS1_7vsmem_tEENKUlT_SI_SJ_SK_E_clISD_PjSD_S10_EESH_SX_SI_SJ_SK_EUlSX_E1_NS1_11comp_targetILNS1_3genE4ELNS1_11target_archE910ELNS1_3gpuE8ELNS1_3repE0EEENS1_36merge_oddeven_config_static_selectorELNS0_4arch9wavefront6targetE1EEEvSJ_.private_seg_size, 0
	.set _ZN7rocprim17ROCPRIM_400000_NS6detail17trampoline_kernelINS0_14default_configENS1_38merge_sort_block_merge_config_selectorIjjEEZZNS1_27merge_sort_block_merge_implIS3_N6thrust23THRUST_200600_302600_NS6detail15normal_iteratorINS8_10device_ptrIjEEEESD_jNS1_19radix_merge_compareILb0ELb0EjNS0_19identity_decomposerEEEEE10hipError_tT0_T1_T2_jT3_P12ihipStream_tbPNSt15iterator_traitsISI_E10value_typeEPNSO_ISJ_E10value_typeEPSK_NS1_7vsmem_tEENKUlT_SI_SJ_SK_E_clISD_PjSD_S10_EESH_SX_SI_SJ_SK_EUlSX_E1_NS1_11comp_targetILNS1_3genE4ELNS1_11target_archE910ELNS1_3gpuE8ELNS1_3repE0EEENS1_36merge_oddeven_config_static_selectorELNS0_4arch9wavefront6targetE1EEEvSJ_.uses_vcc, 0
	.set _ZN7rocprim17ROCPRIM_400000_NS6detail17trampoline_kernelINS0_14default_configENS1_38merge_sort_block_merge_config_selectorIjjEEZZNS1_27merge_sort_block_merge_implIS3_N6thrust23THRUST_200600_302600_NS6detail15normal_iteratorINS8_10device_ptrIjEEEESD_jNS1_19radix_merge_compareILb0ELb0EjNS0_19identity_decomposerEEEEE10hipError_tT0_T1_T2_jT3_P12ihipStream_tbPNSt15iterator_traitsISI_E10value_typeEPNSO_ISJ_E10value_typeEPSK_NS1_7vsmem_tEENKUlT_SI_SJ_SK_E_clISD_PjSD_S10_EESH_SX_SI_SJ_SK_EUlSX_E1_NS1_11comp_targetILNS1_3genE4ELNS1_11target_archE910ELNS1_3gpuE8ELNS1_3repE0EEENS1_36merge_oddeven_config_static_selectorELNS0_4arch9wavefront6targetE1EEEvSJ_.uses_flat_scratch, 0
	.set _ZN7rocprim17ROCPRIM_400000_NS6detail17trampoline_kernelINS0_14default_configENS1_38merge_sort_block_merge_config_selectorIjjEEZZNS1_27merge_sort_block_merge_implIS3_N6thrust23THRUST_200600_302600_NS6detail15normal_iteratorINS8_10device_ptrIjEEEESD_jNS1_19radix_merge_compareILb0ELb0EjNS0_19identity_decomposerEEEEE10hipError_tT0_T1_T2_jT3_P12ihipStream_tbPNSt15iterator_traitsISI_E10value_typeEPNSO_ISJ_E10value_typeEPSK_NS1_7vsmem_tEENKUlT_SI_SJ_SK_E_clISD_PjSD_S10_EESH_SX_SI_SJ_SK_EUlSX_E1_NS1_11comp_targetILNS1_3genE4ELNS1_11target_archE910ELNS1_3gpuE8ELNS1_3repE0EEENS1_36merge_oddeven_config_static_selectorELNS0_4arch9wavefront6targetE1EEEvSJ_.has_dyn_sized_stack, 0
	.set _ZN7rocprim17ROCPRIM_400000_NS6detail17trampoline_kernelINS0_14default_configENS1_38merge_sort_block_merge_config_selectorIjjEEZZNS1_27merge_sort_block_merge_implIS3_N6thrust23THRUST_200600_302600_NS6detail15normal_iteratorINS8_10device_ptrIjEEEESD_jNS1_19radix_merge_compareILb0ELb0EjNS0_19identity_decomposerEEEEE10hipError_tT0_T1_T2_jT3_P12ihipStream_tbPNSt15iterator_traitsISI_E10value_typeEPNSO_ISJ_E10value_typeEPSK_NS1_7vsmem_tEENKUlT_SI_SJ_SK_E_clISD_PjSD_S10_EESH_SX_SI_SJ_SK_EUlSX_E1_NS1_11comp_targetILNS1_3genE4ELNS1_11target_archE910ELNS1_3gpuE8ELNS1_3repE0EEENS1_36merge_oddeven_config_static_selectorELNS0_4arch9wavefront6targetE1EEEvSJ_.has_recursion, 0
	.set _ZN7rocprim17ROCPRIM_400000_NS6detail17trampoline_kernelINS0_14default_configENS1_38merge_sort_block_merge_config_selectorIjjEEZZNS1_27merge_sort_block_merge_implIS3_N6thrust23THRUST_200600_302600_NS6detail15normal_iteratorINS8_10device_ptrIjEEEESD_jNS1_19radix_merge_compareILb0ELb0EjNS0_19identity_decomposerEEEEE10hipError_tT0_T1_T2_jT3_P12ihipStream_tbPNSt15iterator_traitsISI_E10value_typeEPNSO_ISJ_E10value_typeEPSK_NS1_7vsmem_tEENKUlT_SI_SJ_SK_E_clISD_PjSD_S10_EESH_SX_SI_SJ_SK_EUlSX_E1_NS1_11comp_targetILNS1_3genE4ELNS1_11target_archE910ELNS1_3gpuE8ELNS1_3repE0EEENS1_36merge_oddeven_config_static_selectorELNS0_4arch9wavefront6targetE1EEEvSJ_.has_indirect_call, 0
	.section	.AMDGPU.csdata,"",@progbits
; Kernel info:
; codeLenInByte = 0
; TotalNumSgprs: 6
; NumVgprs: 0
; NumAgprs: 0
; TotalNumVgprs: 0
; ScratchSize: 0
; MemoryBound: 0
; FloatMode: 240
; IeeeMode: 1
; LDSByteSize: 0 bytes/workgroup (compile time only)
; SGPRBlocks: 0
; VGPRBlocks: 0
; NumSGPRsForWavesPerEU: 6
; NumVGPRsForWavesPerEU: 1
; AccumOffset: 4
; Occupancy: 8
; WaveLimiterHint : 0
; COMPUTE_PGM_RSRC2:SCRATCH_EN: 0
; COMPUTE_PGM_RSRC2:USER_SGPR: 2
; COMPUTE_PGM_RSRC2:TRAP_HANDLER: 0
; COMPUTE_PGM_RSRC2:TGID_X_EN: 1
; COMPUTE_PGM_RSRC2:TGID_Y_EN: 0
; COMPUTE_PGM_RSRC2:TGID_Z_EN: 0
; COMPUTE_PGM_RSRC2:TIDIG_COMP_CNT: 0
; COMPUTE_PGM_RSRC3_GFX90A:ACCUM_OFFSET: 0
; COMPUTE_PGM_RSRC3_GFX90A:TG_SPLIT: 0
	.section	.text._ZN7rocprim17ROCPRIM_400000_NS6detail17trampoline_kernelINS0_14default_configENS1_38merge_sort_block_merge_config_selectorIjjEEZZNS1_27merge_sort_block_merge_implIS3_N6thrust23THRUST_200600_302600_NS6detail15normal_iteratorINS8_10device_ptrIjEEEESD_jNS1_19radix_merge_compareILb0ELb0EjNS0_19identity_decomposerEEEEE10hipError_tT0_T1_T2_jT3_P12ihipStream_tbPNSt15iterator_traitsISI_E10value_typeEPNSO_ISJ_E10value_typeEPSK_NS1_7vsmem_tEENKUlT_SI_SJ_SK_E_clISD_PjSD_S10_EESH_SX_SI_SJ_SK_EUlSX_E1_NS1_11comp_targetILNS1_3genE3ELNS1_11target_archE908ELNS1_3gpuE7ELNS1_3repE0EEENS1_36merge_oddeven_config_static_selectorELNS0_4arch9wavefront6targetE1EEEvSJ_,"axG",@progbits,_ZN7rocprim17ROCPRIM_400000_NS6detail17trampoline_kernelINS0_14default_configENS1_38merge_sort_block_merge_config_selectorIjjEEZZNS1_27merge_sort_block_merge_implIS3_N6thrust23THRUST_200600_302600_NS6detail15normal_iteratorINS8_10device_ptrIjEEEESD_jNS1_19radix_merge_compareILb0ELb0EjNS0_19identity_decomposerEEEEE10hipError_tT0_T1_T2_jT3_P12ihipStream_tbPNSt15iterator_traitsISI_E10value_typeEPNSO_ISJ_E10value_typeEPSK_NS1_7vsmem_tEENKUlT_SI_SJ_SK_E_clISD_PjSD_S10_EESH_SX_SI_SJ_SK_EUlSX_E1_NS1_11comp_targetILNS1_3genE3ELNS1_11target_archE908ELNS1_3gpuE7ELNS1_3repE0EEENS1_36merge_oddeven_config_static_selectorELNS0_4arch9wavefront6targetE1EEEvSJ_,comdat
	.protected	_ZN7rocprim17ROCPRIM_400000_NS6detail17trampoline_kernelINS0_14default_configENS1_38merge_sort_block_merge_config_selectorIjjEEZZNS1_27merge_sort_block_merge_implIS3_N6thrust23THRUST_200600_302600_NS6detail15normal_iteratorINS8_10device_ptrIjEEEESD_jNS1_19radix_merge_compareILb0ELb0EjNS0_19identity_decomposerEEEEE10hipError_tT0_T1_T2_jT3_P12ihipStream_tbPNSt15iterator_traitsISI_E10value_typeEPNSO_ISJ_E10value_typeEPSK_NS1_7vsmem_tEENKUlT_SI_SJ_SK_E_clISD_PjSD_S10_EESH_SX_SI_SJ_SK_EUlSX_E1_NS1_11comp_targetILNS1_3genE3ELNS1_11target_archE908ELNS1_3gpuE7ELNS1_3repE0EEENS1_36merge_oddeven_config_static_selectorELNS0_4arch9wavefront6targetE1EEEvSJ_ ; -- Begin function _ZN7rocprim17ROCPRIM_400000_NS6detail17trampoline_kernelINS0_14default_configENS1_38merge_sort_block_merge_config_selectorIjjEEZZNS1_27merge_sort_block_merge_implIS3_N6thrust23THRUST_200600_302600_NS6detail15normal_iteratorINS8_10device_ptrIjEEEESD_jNS1_19radix_merge_compareILb0ELb0EjNS0_19identity_decomposerEEEEE10hipError_tT0_T1_T2_jT3_P12ihipStream_tbPNSt15iterator_traitsISI_E10value_typeEPNSO_ISJ_E10value_typeEPSK_NS1_7vsmem_tEENKUlT_SI_SJ_SK_E_clISD_PjSD_S10_EESH_SX_SI_SJ_SK_EUlSX_E1_NS1_11comp_targetILNS1_3genE3ELNS1_11target_archE908ELNS1_3gpuE7ELNS1_3repE0EEENS1_36merge_oddeven_config_static_selectorELNS0_4arch9wavefront6targetE1EEEvSJ_
	.globl	_ZN7rocprim17ROCPRIM_400000_NS6detail17trampoline_kernelINS0_14default_configENS1_38merge_sort_block_merge_config_selectorIjjEEZZNS1_27merge_sort_block_merge_implIS3_N6thrust23THRUST_200600_302600_NS6detail15normal_iteratorINS8_10device_ptrIjEEEESD_jNS1_19radix_merge_compareILb0ELb0EjNS0_19identity_decomposerEEEEE10hipError_tT0_T1_T2_jT3_P12ihipStream_tbPNSt15iterator_traitsISI_E10value_typeEPNSO_ISJ_E10value_typeEPSK_NS1_7vsmem_tEENKUlT_SI_SJ_SK_E_clISD_PjSD_S10_EESH_SX_SI_SJ_SK_EUlSX_E1_NS1_11comp_targetILNS1_3genE3ELNS1_11target_archE908ELNS1_3gpuE7ELNS1_3repE0EEENS1_36merge_oddeven_config_static_selectorELNS0_4arch9wavefront6targetE1EEEvSJ_
	.p2align	8
	.type	_ZN7rocprim17ROCPRIM_400000_NS6detail17trampoline_kernelINS0_14default_configENS1_38merge_sort_block_merge_config_selectorIjjEEZZNS1_27merge_sort_block_merge_implIS3_N6thrust23THRUST_200600_302600_NS6detail15normal_iteratorINS8_10device_ptrIjEEEESD_jNS1_19radix_merge_compareILb0ELb0EjNS0_19identity_decomposerEEEEE10hipError_tT0_T1_T2_jT3_P12ihipStream_tbPNSt15iterator_traitsISI_E10value_typeEPNSO_ISJ_E10value_typeEPSK_NS1_7vsmem_tEENKUlT_SI_SJ_SK_E_clISD_PjSD_S10_EESH_SX_SI_SJ_SK_EUlSX_E1_NS1_11comp_targetILNS1_3genE3ELNS1_11target_archE908ELNS1_3gpuE7ELNS1_3repE0EEENS1_36merge_oddeven_config_static_selectorELNS0_4arch9wavefront6targetE1EEEvSJ_,@function
_ZN7rocprim17ROCPRIM_400000_NS6detail17trampoline_kernelINS0_14default_configENS1_38merge_sort_block_merge_config_selectorIjjEEZZNS1_27merge_sort_block_merge_implIS3_N6thrust23THRUST_200600_302600_NS6detail15normal_iteratorINS8_10device_ptrIjEEEESD_jNS1_19radix_merge_compareILb0ELb0EjNS0_19identity_decomposerEEEEE10hipError_tT0_T1_T2_jT3_P12ihipStream_tbPNSt15iterator_traitsISI_E10value_typeEPNSO_ISJ_E10value_typeEPSK_NS1_7vsmem_tEENKUlT_SI_SJ_SK_E_clISD_PjSD_S10_EESH_SX_SI_SJ_SK_EUlSX_E1_NS1_11comp_targetILNS1_3genE3ELNS1_11target_archE908ELNS1_3gpuE7ELNS1_3repE0EEENS1_36merge_oddeven_config_static_selectorELNS0_4arch9wavefront6targetE1EEEvSJ_: ; @_ZN7rocprim17ROCPRIM_400000_NS6detail17trampoline_kernelINS0_14default_configENS1_38merge_sort_block_merge_config_selectorIjjEEZZNS1_27merge_sort_block_merge_implIS3_N6thrust23THRUST_200600_302600_NS6detail15normal_iteratorINS8_10device_ptrIjEEEESD_jNS1_19radix_merge_compareILb0ELb0EjNS0_19identity_decomposerEEEEE10hipError_tT0_T1_T2_jT3_P12ihipStream_tbPNSt15iterator_traitsISI_E10value_typeEPNSO_ISJ_E10value_typeEPSK_NS1_7vsmem_tEENKUlT_SI_SJ_SK_E_clISD_PjSD_S10_EESH_SX_SI_SJ_SK_EUlSX_E1_NS1_11comp_targetILNS1_3genE3ELNS1_11target_archE908ELNS1_3gpuE7ELNS1_3repE0EEENS1_36merge_oddeven_config_static_selectorELNS0_4arch9wavefront6targetE1EEEvSJ_
; %bb.0:
	.section	.rodata,"a",@progbits
	.p2align	6, 0x0
	.amdhsa_kernel _ZN7rocprim17ROCPRIM_400000_NS6detail17trampoline_kernelINS0_14default_configENS1_38merge_sort_block_merge_config_selectorIjjEEZZNS1_27merge_sort_block_merge_implIS3_N6thrust23THRUST_200600_302600_NS6detail15normal_iteratorINS8_10device_ptrIjEEEESD_jNS1_19radix_merge_compareILb0ELb0EjNS0_19identity_decomposerEEEEE10hipError_tT0_T1_T2_jT3_P12ihipStream_tbPNSt15iterator_traitsISI_E10value_typeEPNSO_ISJ_E10value_typeEPSK_NS1_7vsmem_tEENKUlT_SI_SJ_SK_E_clISD_PjSD_S10_EESH_SX_SI_SJ_SK_EUlSX_E1_NS1_11comp_targetILNS1_3genE3ELNS1_11target_archE908ELNS1_3gpuE7ELNS1_3repE0EEENS1_36merge_oddeven_config_static_selectorELNS0_4arch9wavefront6targetE1EEEvSJ_
		.amdhsa_group_segment_fixed_size 0
		.amdhsa_private_segment_fixed_size 0
		.amdhsa_kernarg_size 48
		.amdhsa_user_sgpr_count 2
		.amdhsa_user_sgpr_dispatch_ptr 0
		.amdhsa_user_sgpr_queue_ptr 0
		.amdhsa_user_sgpr_kernarg_segment_ptr 1
		.amdhsa_user_sgpr_dispatch_id 0
		.amdhsa_user_sgpr_kernarg_preload_length 0
		.amdhsa_user_sgpr_kernarg_preload_offset 0
		.amdhsa_user_sgpr_private_segment_size 0
		.amdhsa_uses_dynamic_stack 0
		.amdhsa_enable_private_segment 0
		.amdhsa_system_sgpr_workgroup_id_x 1
		.amdhsa_system_sgpr_workgroup_id_y 0
		.amdhsa_system_sgpr_workgroup_id_z 0
		.amdhsa_system_sgpr_workgroup_info 0
		.amdhsa_system_vgpr_workitem_id 0
		.amdhsa_next_free_vgpr 1
		.amdhsa_next_free_sgpr 0
		.amdhsa_accum_offset 4
		.amdhsa_reserve_vcc 0
		.amdhsa_float_round_mode_32 0
		.amdhsa_float_round_mode_16_64 0
		.amdhsa_float_denorm_mode_32 3
		.amdhsa_float_denorm_mode_16_64 3
		.amdhsa_dx10_clamp 1
		.amdhsa_ieee_mode 1
		.amdhsa_fp16_overflow 0
		.amdhsa_tg_split 0
		.amdhsa_exception_fp_ieee_invalid_op 0
		.amdhsa_exception_fp_denorm_src 0
		.amdhsa_exception_fp_ieee_div_zero 0
		.amdhsa_exception_fp_ieee_overflow 0
		.amdhsa_exception_fp_ieee_underflow 0
		.amdhsa_exception_fp_ieee_inexact 0
		.amdhsa_exception_int_div_zero 0
	.end_amdhsa_kernel
	.section	.text._ZN7rocprim17ROCPRIM_400000_NS6detail17trampoline_kernelINS0_14default_configENS1_38merge_sort_block_merge_config_selectorIjjEEZZNS1_27merge_sort_block_merge_implIS3_N6thrust23THRUST_200600_302600_NS6detail15normal_iteratorINS8_10device_ptrIjEEEESD_jNS1_19radix_merge_compareILb0ELb0EjNS0_19identity_decomposerEEEEE10hipError_tT0_T1_T2_jT3_P12ihipStream_tbPNSt15iterator_traitsISI_E10value_typeEPNSO_ISJ_E10value_typeEPSK_NS1_7vsmem_tEENKUlT_SI_SJ_SK_E_clISD_PjSD_S10_EESH_SX_SI_SJ_SK_EUlSX_E1_NS1_11comp_targetILNS1_3genE3ELNS1_11target_archE908ELNS1_3gpuE7ELNS1_3repE0EEENS1_36merge_oddeven_config_static_selectorELNS0_4arch9wavefront6targetE1EEEvSJ_,"axG",@progbits,_ZN7rocprim17ROCPRIM_400000_NS6detail17trampoline_kernelINS0_14default_configENS1_38merge_sort_block_merge_config_selectorIjjEEZZNS1_27merge_sort_block_merge_implIS3_N6thrust23THRUST_200600_302600_NS6detail15normal_iteratorINS8_10device_ptrIjEEEESD_jNS1_19radix_merge_compareILb0ELb0EjNS0_19identity_decomposerEEEEE10hipError_tT0_T1_T2_jT3_P12ihipStream_tbPNSt15iterator_traitsISI_E10value_typeEPNSO_ISJ_E10value_typeEPSK_NS1_7vsmem_tEENKUlT_SI_SJ_SK_E_clISD_PjSD_S10_EESH_SX_SI_SJ_SK_EUlSX_E1_NS1_11comp_targetILNS1_3genE3ELNS1_11target_archE908ELNS1_3gpuE7ELNS1_3repE0EEENS1_36merge_oddeven_config_static_selectorELNS0_4arch9wavefront6targetE1EEEvSJ_,comdat
.Lfunc_end663:
	.size	_ZN7rocprim17ROCPRIM_400000_NS6detail17trampoline_kernelINS0_14default_configENS1_38merge_sort_block_merge_config_selectorIjjEEZZNS1_27merge_sort_block_merge_implIS3_N6thrust23THRUST_200600_302600_NS6detail15normal_iteratorINS8_10device_ptrIjEEEESD_jNS1_19radix_merge_compareILb0ELb0EjNS0_19identity_decomposerEEEEE10hipError_tT0_T1_T2_jT3_P12ihipStream_tbPNSt15iterator_traitsISI_E10value_typeEPNSO_ISJ_E10value_typeEPSK_NS1_7vsmem_tEENKUlT_SI_SJ_SK_E_clISD_PjSD_S10_EESH_SX_SI_SJ_SK_EUlSX_E1_NS1_11comp_targetILNS1_3genE3ELNS1_11target_archE908ELNS1_3gpuE7ELNS1_3repE0EEENS1_36merge_oddeven_config_static_selectorELNS0_4arch9wavefront6targetE1EEEvSJ_, .Lfunc_end663-_ZN7rocprim17ROCPRIM_400000_NS6detail17trampoline_kernelINS0_14default_configENS1_38merge_sort_block_merge_config_selectorIjjEEZZNS1_27merge_sort_block_merge_implIS3_N6thrust23THRUST_200600_302600_NS6detail15normal_iteratorINS8_10device_ptrIjEEEESD_jNS1_19radix_merge_compareILb0ELb0EjNS0_19identity_decomposerEEEEE10hipError_tT0_T1_T2_jT3_P12ihipStream_tbPNSt15iterator_traitsISI_E10value_typeEPNSO_ISJ_E10value_typeEPSK_NS1_7vsmem_tEENKUlT_SI_SJ_SK_E_clISD_PjSD_S10_EESH_SX_SI_SJ_SK_EUlSX_E1_NS1_11comp_targetILNS1_3genE3ELNS1_11target_archE908ELNS1_3gpuE7ELNS1_3repE0EEENS1_36merge_oddeven_config_static_selectorELNS0_4arch9wavefront6targetE1EEEvSJ_
                                        ; -- End function
	.set _ZN7rocprim17ROCPRIM_400000_NS6detail17trampoline_kernelINS0_14default_configENS1_38merge_sort_block_merge_config_selectorIjjEEZZNS1_27merge_sort_block_merge_implIS3_N6thrust23THRUST_200600_302600_NS6detail15normal_iteratorINS8_10device_ptrIjEEEESD_jNS1_19radix_merge_compareILb0ELb0EjNS0_19identity_decomposerEEEEE10hipError_tT0_T1_T2_jT3_P12ihipStream_tbPNSt15iterator_traitsISI_E10value_typeEPNSO_ISJ_E10value_typeEPSK_NS1_7vsmem_tEENKUlT_SI_SJ_SK_E_clISD_PjSD_S10_EESH_SX_SI_SJ_SK_EUlSX_E1_NS1_11comp_targetILNS1_3genE3ELNS1_11target_archE908ELNS1_3gpuE7ELNS1_3repE0EEENS1_36merge_oddeven_config_static_selectorELNS0_4arch9wavefront6targetE1EEEvSJ_.num_vgpr, 0
	.set _ZN7rocprim17ROCPRIM_400000_NS6detail17trampoline_kernelINS0_14default_configENS1_38merge_sort_block_merge_config_selectorIjjEEZZNS1_27merge_sort_block_merge_implIS3_N6thrust23THRUST_200600_302600_NS6detail15normal_iteratorINS8_10device_ptrIjEEEESD_jNS1_19radix_merge_compareILb0ELb0EjNS0_19identity_decomposerEEEEE10hipError_tT0_T1_T2_jT3_P12ihipStream_tbPNSt15iterator_traitsISI_E10value_typeEPNSO_ISJ_E10value_typeEPSK_NS1_7vsmem_tEENKUlT_SI_SJ_SK_E_clISD_PjSD_S10_EESH_SX_SI_SJ_SK_EUlSX_E1_NS1_11comp_targetILNS1_3genE3ELNS1_11target_archE908ELNS1_3gpuE7ELNS1_3repE0EEENS1_36merge_oddeven_config_static_selectorELNS0_4arch9wavefront6targetE1EEEvSJ_.num_agpr, 0
	.set _ZN7rocprim17ROCPRIM_400000_NS6detail17trampoline_kernelINS0_14default_configENS1_38merge_sort_block_merge_config_selectorIjjEEZZNS1_27merge_sort_block_merge_implIS3_N6thrust23THRUST_200600_302600_NS6detail15normal_iteratorINS8_10device_ptrIjEEEESD_jNS1_19radix_merge_compareILb0ELb0EjNS0_19identity_decomposerEEEEE10hipError_tT0_T1_T2_jT3_P12ihipStream_tbPNSt15iterator_traitsISI_E10value_typeEPNSO_ISJ_E10value_typeEPSK_NS1_7vsmem_tEENKUlT_SI_SJ_SK_E_clISD_PjSD_S10_EESH_SX_SI_SJ_SK_EUlSX_E1_NS1_11comp_targetILNS1_3genE3ELNS1_11target_archE908ELNS1_3gpuE7ELNS1_3repE0EEENS1_36merge_oddeven_config_static_selectorELNS0_4arch9wavefront6targetE1EEEvSJ_.numbered_sgpr, 0
	.set _ZN7rocprim17ROCPRIM_400000_NS6detail17trampoline_kernelINS0_14default_configENS1_38merge_sort_block_merge_config_selectorIjjEEZZNS1_27merge_sort_block_merge_implIS3_N6thrust23THRUST_200600_302600_NS6detail15normal_iteratorINS8_10device_ptrIjEEEESD_jNS1_19radix_merge_compareILb0ELb0EjNS0_19identity_decomposerEEEEE10hipError_tT0_T1_T2_jT3_P12ihipStream_tbPNSt15iterator_traitsISI_E10value_typeEPNSO_ISJ_E10value_typeEPSK_NS1_7vsmem_tEENKUlT_SI_SJ_SK_E_clISD_PjSD_S10_EESH_SX_SI_SJ_SK_EUlSX_E1_NS1_11comp_targetILNS1_3genE3ELNS1_11target_archE908ELNS1_3gpuE7ELNS1_3repE0EEENS1_36merge_oddeven_config_static_selectorELNS0_4arch9wavefront6targetE1EEEvSJ_.num_named_barrier, 0
	.set _ZN7rocprim17ROCPRIM_400000_NS6detail17trampoline_kernelINS0_14default_configENS1_38merge_sort_block_merge_config_selectorIjjEEZZNS1_27merge_sort_block_merge_implIS3_N6thrust23THRUST_200600_302600_NS6detail15normal_iteratorINS8_10device_ptrIjEEEESD_jNS1_19radix_merge_compareILb0ELb0EjNS0_19identity_decomposerEEEEE10hipError_tT0_T1_T2_jT3_P12ihipStream_tbPNSt15iterator_traitsISI_E10value_typeEPNSO_ISJ_E10value_typeEPSK_NS1_7vsmem_tEENKUlT_SI_SJ_SK_E_clISD_PjSD_S10_EESH_SX_SI_SJ_SK_EUlSX_E1_NS1_11comp_targetILNS1_3genE3ELNS1_11target_archE908ELNS1_3gpuE7ELNS1_3repE0EEENS1_36merge_oddeven_config_static_selectorELNS0_4arch9wavefront6targetE1EEEvSJ_.private_seg_size, 0
	.set _ZN7rocprim17ROCPRIM_400000_NS6detail17trampoline_kernelINS0_14default_configENS1_38merge_sort_block_merge_config_selectorIjjEEZZNS1_27merge_sort_block_merge_implIS3_N6thrust23THRUST_200600_302600_NS6detail15normal_iteratorINS8_10device_ptrIjEEEESD_jNS1_19radix_merge_compareILb0ELb0EjNS0_19identity_decomposerEEEEE10hipError_tT0_T1_T2_jT3_P12ihipStream_tbPNSt15iterator_traitsISI_E10value_typeEPNSO_ISJ_E10value_typeEPSK_NS1_7vsmem_tEENKUlT_SI_SJ_SK_E_clISD_PjSD_S10_EESH_SX_SI_SJ_SK_EUlSX_E1_NS1_11comp_targetILNS1_3genE3ELNS1_11target_archE908ELNS1_3gpuE7ELNS1_3repE0EEENS1_36merge_oddeven_config_static_selectorELNS0_4arch9wavefront6targetE1EEEvSJ_.uses_vcc, 0
	.set _ZN7rocprim17ROCPRIM_400000_NS6detail17trampoline_kernelINS0_14default_configENS1_38merge_sort_block_merge_config_selectorIjjEEZZNS1_27merge_sort_block_merge_implIS3_N6thrust23THRUST_200600_302600_NS6detail15normal_iteratorINS8_10device_ptrIjEEEESD_jNS1_19radix_merge_compareILb0ELb0EjNS0_19identity_decomposerEEEEE10hipError_tT0_T1_T2_jT3_P12ihipStream_tbPNSt15iterator_traitsISI_E10value_typeEPNSO_ISJ_E10value_typeEPSK_NS1_7vsmem_tEENKUlT_SI_SJ_SK_E_clISD_PjSD_S10_EESH_SX_SI_SJ_SK_EUlSX_E1_NS1_11comp_targetILNS1_3genE3ELNS1_11target_archE908ELNS1_3gpuE7ELNS1_3repE0EEENS1_36merge_oddeven_config_static_selectorELNS0_4arch9wavefront6targetE1EEEvSJ_.uses_flat_scratch, 0
	.set _ZN7rocprim17ROCPRIM_400000_NS6detail17trampoline_kernelINS0_14default_configENS1_38merge_sort_block_merge_config_selectorIjjEEZZNS1_27merge_sort_block_merge_implIS3_N6thrust23THRUST_200600_302600_NS6detail15normal_iteratorINS8_10device_ptrIjEEEESD_jNS1_19radix_merge_compareILb0ELb0EjNS0_19identity_decomposerEEEEE10hipError_tT0_T1_T2_jT3_P12ihipStream_tbPNSt15iterator_traitsISI_E10value_typeEPNSO_ISJ_E10value_typeEPSK_NS1_7vsmem_tEENKUlT_SI_SJ_SK_E_clISD_PjSD_S10_EESH_SX_SI_SJ_SK_EUlSX_E1_NS1_11comp_targetILNS1_3genE3ELNS1_11target_archE908ELNS1_3gpuE7ELNS1_3repE0EEENS1_36merge_oddeven_config_static_selectorELNS0_4arch9wavefront6targetE1EEEvSJ_.has_dyn_sized_stack, 0
	.set _ZN7rocprim17ROCPRIM_400000_NS6detail17trampoline_kernelINS0_14default_configENS1_38merge_sort_block_merge_config_selectorIjjEEZZNS1_27merge_sort_block_merge_implIS3_N6thrust23THRUST_200600_302600_NS6detail15normal_iteratorINS8_10device_ptrIjEEEESD_jNS1_19radix_merge_compareILb0ELb0EjNS0_19identity_decomposerEEEEE10hipError_tT0_T1_T2_jT3_P12ihipStream_tbPNSt15iterator_traitsISI_E10value_typeEPNSO_ISJ_E10value_typeEPSK_NS1_7vsmem_tEENKUlT_SI_SJ_SK_E_clISD_PjSD_S10_EESH_SX_SI_SJ_SK_EUlSX_E1_NS1_11comp_targetILNS1_3genE3ELNS1_11target_archE908ELNS1_3gpuE7ELNS1_3repE0EEENS1_36merge_oddeven_config_static_selectorELNS0_4arch9wavefront6targetE1EEEvSJ_.has_recursion, 0
	.set _ZN7rocprim17ROCPRIM_400000_NS6detail17trampoline_kernelINS0_14default_configENS1_38merge_sort_block_merge_config_selectorIjjEEZZNS1_27merge_sort_block_merge_implIS3_N6thrust23THRUST_200600_302600_NS6detail15normal_iteratorINS8_10device_ptrIjEEEESD_jNS1_19radix_merge_compareILb0ELb0EjNS0_19identity_decomposerEEEEE10hipError_tT0_T1_T2_jT3_P12ihipStream_tbPNSt15iterator_traitsISI_E10value_typeEPNSO_ISJ_E10value_typeEPSK_NS1_7vsmem_tEENKUlT_SI_SJ_SK_E_clISD_PjSD_S10_EESH_SX_SI_SJ_SK_EUlSX_E1_NS1_11comp_targetILNS1_3genE3ELNS1_11target_archE908ELNS1_3gpuE7ELNS1_3repE0EEENS1_36merge_oddeven_config_static_selectorELNS0_4arch9wavefront6targetE1EEEvSJ_.has_indirect_call, 0
	.section	.AMDGPU.csdata,"",@progbits
; Kernel info:
; codeLenInByte = 0
; TotalNumSgprs: 6
; NumVgprs: 0
; NumAgprs: 0
; TotalNumVgprs: 0
; ScratchSize: 0
; MemoryBound: 0
; FloatMode: 240
; IeeeMode: 1
; LDSByteSize: 0 bytes/workgroup (compile time only)
; SGPRBlocks: 0
; VGPRBlocks: 0
; NumSGPRsForWavesPerEU: 6
; NumVGPRsForWavesPerEU: 1
; AccumOffset: 4
; Occupancy: 8
; WaveLimiterHint : 0
; COMPUTE_PGM_RSRC2:SCRATCH_EN: 0
; COMPUTE_PGM_RSRC2:USER_SGPR: 2
; COMPUTE_PGM_RSRC2:TRAP_HANDLER: 0
; COMPUTE_PGM_RSRC2:TGID_X_EN: 1
; COMPUTE_PGM_RSRC2:TGID_Y_EN: 0
; COMPUTE_PGM_RSRC2:TGID_Z_EN: 0
; COMPUTE_PGM_RSRC2:TIDIG_COMP_CNT: 0
; COMPUTE_PGM_RSRC3_GFX90A:ACCUM_OFFSET: 0
; COMPUTE_PGM_RSRC3_GFX90A:TG_SPLIT: 0
	.section	.text._ZN7rocprim17ROCPRIM_400000_NS6detail17trampoline_kernelINS0_14default_configENS1_38merge_sort_block_merge_config_selectorIjjEEZZNS1_27merge_sort_block_merge_implIS3_N6thrust23THRUST_200600_302600_NS6detail15normal_iteratorINS8_10device_ptrIjEEEESD_jNS1_19radix_merge_compareILb0ELb0EjNS0_19identity_decomposerEEEEE10hipError_tT0_T1_T2_jT3_P12ihipStream_tbPNSt15iterator_traitsISI_E10value_typeEPNSO_ISJ_E10value_typeEPSK_NS1_7vsmem_tEENKUlT_SI_SJ_SK_E_clISD_PjSD_S10_EESH_SX_SI_SJ_SK_EUlSX_E1_NS1_11comp_targetILNS1_3genE2ELNS1_11target_archE906ELNS1_3gpuE6ELNS1_3repE0EEENS1_36merge_oddeven_config_static_selectorELNS0_4arch9wavefront6targetE1EEEvSJ_,"axG",@progbits,_ZN7rocprim17ROCPRIM_400000_NS6detail17trampoline_kernelINS0_14default_configENS1_38merge_sort_block_merge_config_selectorIjjEEZZNS1_27merge_sort_block_merge_implIS3_N6thrust23THRUST_200600_302600_NS6detail15normal_iteratorINS8_10device_ptrIjEEEESD_jNS1_19radix_merge_compareILb0ELb0EjNS0_19identity_decomposerEEEEE10hipError_tT0_T1_T2_jT3_P12ihipStream_tbPNSt15iterator_traitsISI_E10value_typeEPNSO_ISJ_E10value_typeEPSK_NS1_7vsmem_tEENKUlT_SI_SJ_SK_E_clISD_PjSD_S10_EESH_SX_SI_SJ_SK_EUlSX_E1_NS1_11comp_targetILNS1_3genE2ELNS1_11target_archE906ELNS1_3gpuE6ELNS1_3repE0EEENS1_36merge_oddeven_config_static_selectorELNS0_4arch9wavefront6targetE1EEEvSJ_,comdat
	.protected	_ZN7rocprim17ROCPRIM_400000_NS6detail17trampoline_kernelINS0_14default_configENS1_38merge_sort_block_merge_config_selectorIjjEEZZNS1_27merge_sort_block_merge_implIS3_N6thrust23THRUST_200600_302600_NS6detail15normal_iteratorINS8_10device_ptrIjEEEESD_jNS1_19radix_merge_compareILb0ELb0EjNS0_19identity_decomposerEEEEE10hipError_tT0_T1_T2_jT3_P12ihipStream_tbPNSt15iterator_traitsISI_E10value_typeEPNSO_ISJ_E10value_typeEPSK_NS1_7vsmem_tEENKUlT_SI_SJ_SK_E_clISD_PjSD_S10_EESH_SX_SI_SJ_SK_EUlSX_E1_NS1_11comp_targetILNS1_3genE2ELNS1_11target_archE906ELNS1_3gpuE6ELNS1_3repE0EEENS1_36merge_oddeven_config_static_selectorELNS0_4arch9wavefront6targetE1EEEvSJ_ ; -- Begin function _ZN7rocprim17ROCPRIM_400000_NS6detail17trampoline_kernelINS0_14default_configENS1_38merge_sort_block_merge_config_selectorIjjEEZZNS1_27merge_sort_block_merge_implIS3_N6thrust23THRUST_200600_302600_NS6detail15normal_iteratorINS8_10device_ptrIjEEEESD_jNS1_19radix_merge_compareILb0ELb0EjNS0_19identity_decomposerEEEEE10hipError_tT0_T1_T2_jT3_P12ihipStream_tbPNSt15iterator_traitsISI_E10value_typeEPNSO_ISJ_E10value_typeEPSK_NS1_7vsmem_tEENKUlT_SI_SJ_SK_E_clISD_PjSD_S10_EESH_SX_SI_SJ_SK_EUlSX_E1_NS1_11comp_targetILNS1_3genE2ELNS1_11target_archE906ELNS1_3gpuE6ELNS1_3repE0EEENS1_36merge_oddeven_config_static_selectorELNS0_4arch9wavefront6targetE1EEEvSJ_
	.globl	_ZN7rocprim17ROCPRIM_400000_NS6detail17trampoline_kernelINS0_14default_configENS1_38merge_sort_block_merge_config_selectorIjjEEZZNS1_27merge_sort_block_merge_implIS3_N6thrust23THRUST_200600_302600_NS6detail15normal_iteratorINS8_10device_ptrIjEEEESD_jNS1_19radix_merge_compareILb0ELb0EjNS0_19identity_decomposerEEEEE10hipError_tT0_T1_T2_jT3_P12ihipStream_tbPNSt15iterator_traitsISI_E10value_typeEPNSO_ISJ_E10value_typeEPSK_NS1_7vsmem_tEENKUlT_SI_SJ_SK_E_clISD_PjSD_S10_EESH_SX_SI_SJ_SK_EUlSX_E1_NS1_11comp_targetILNS1_3genE2ELNS1_11target_archE906ELNS1_3gpuE6ELNS1_3repE0EEENS1_36merge_oddeven_config_static_selectorELNS0_4arch9wavefront6targetE1EEEvSJ_
	.p2align	8
	.type	_ZN7rocprim17ROCPRIM_400000_NS6detail17trampoline_kernelINS0_14default_configENS1_38merge_sort_block_merge_config_selectorIjjEEZZNS1_27merge_sort_block_merge_implIS3_N6thrust23THRUST_200600_302600_NS6detail15normal_iteratorINS8_10device_ptrIjEEEESD_jNS1_19radix_merge_compareILb0ELb0EjNS0_19identity_decomposerEEEEE10hipError_tT0_T1_T2_jT3_P12ihipStream_tbPNSt15iterator_traitsISI_E10value_typeEPNSO_ISJ_E10value_typeEPSK_NS1_7vsmem_tEENKUlT_SI_SJ_SK_E_clISD_PjSD_S10_EESH_SX_SI_SJ_SK_EUlSX_E1_NS1_11comp_targetILNS1_3genE2ELNS1_11target_archE906ELNS1_3gpuE6ELNS1_3repE0EEENS1_36merge_oddeven_config_static_selectorELNS0_4arch9wavefront6targetE1EEEvSJ_,@function
_ZN7rocprim17ROCPRIM_400000_NS6detail17trampoline_kernelINS0_14default_configENS1_38merge_sort_block_merge_config_selectorIjjEEZZNS1_27merge_sort_block_merge_implIS3_N6thrust23THRUST_200600_302600_NS6detail15normal_iteratorINS8_10device_ptrIjEEEESD_jNS1_19radix_merge_compareILb0ELb0EjNS0_19identity_decomposerEEEEE10hipError_tT0_T1_T2_jT3_P12ihipStream_tbPNSt15iterator_traitsISI_E10value_typeEPNSO_ISJ_E10value_typeEPSK_NS1_7vsmem_tEENKUlT_SI_SJ_SK_E_clISD_PjSD_S10_EESH_SX_SI_SJ_SK_EUlSX_E1_NS1_11comp_targetILNS1_3genE2ELNS1_11target_archE906ELNS1_3gpuE6ELNS1_3repE0EEENS1_36merge_oddeven_config_static_selectorELNS0_4arch9wavefront6targetE1EEEvSJ_: ; @_ZN7rocprim17ROCPRIM_400000_NS6detail17trampoline_kernelINS0_14default_configENS1_38merge_sort_block_merge_config_selectorIjjEEZZNS1_27merge_sort_block_merge_implIS3_N6thrust23THRUST_200600_302600_NS6detail15normal_iteratorINS8_10device_ptrIjEEEESD_jNS1_19radix_merge_compareILb0ELb0EjNS0_19identity_decomposerEEEEE10hipError_tT0_T1_T2_jT3_P12ihipStream_tbPNSt15iterator_traitsISI_E10value_typeEPNSO_ISJ_E10value_typeEPSK_NS1_7vsmem_tEENKUlT_SI_SJ_SK_E_clISD_PjSD_S10_EESH_SX_SI_SJ_SK_EUlSX_E1_NS1_11comp_targetILNS1_3genE2ELNS1_11target_archE906ELNS1_3gpuE6ELNS1_3repE0EEENS1_36merge_oddeven_config_static_selectorELNS0_4arch9wavefront6targetE1EEEvSJ_
; %bb.0:
	.section	.rodata,"a",@progbits
	.p2align	6, 0x0
	.amdhsa_kernel _ZN7rocprim17ROCPRIM_400000_NS6detail17trampoline_kernelINS0_14default_configENS1_38merge_sort_block_merge_config_selectorIjjEEZZNS1_27merge_sort_block_merge_implIS3_N6thrust23THRUST_200600_302600_NS6detail15normal_iteratorINS8_10device_ptrIjEEEESD_jNS1_19radix_merge_compareILb0ELb0EjNS0_19identity_decomposerEEEEE10hipError_tT0_T1_T2_jT3_P12ihipStream_tbPNSt15iterator_traitsISI_E10value_typeEPNSO_ISJ_E10value_typeEPSK_NS1_7vsmem_tEENKUlT_SI_SJ_SK_E_clISD_PjSD_S10_EESH_SX_SI_SJ_SK_EUlSX_E1_NS1_11comp_targetILNS1_3genE2ELNS1_11target_archE906ELNS1_3gpuE6ELNS1_3repE0EEENS1_36merge_oddeven_config_static_selectorELNS0_4arch9wavefront6targetE1EEEvSJ_
		.amdhsa_group_segment_fixed_size 0
		.amdhsa_private_segment_fixed_size 0
		.amdhsa_kernarg_size 48
		.amdhsa_user_sgpr_count 2
		.amdhsa_user_sgpr_dispatch_ptr 0
		.amdhsa_user_sgpr_queue_ptr 0
		.amdhsa_user_sgpr_kernarg_segment_ptr 1
		.amdhsa_user_sgpr_dispatch_id 0
		.amdhsa_user_sgpr_kernarg_preload_length 0
		.amdhsa_user_sgpr_kernarg_preload_offset 0
		.amdhsa_user_sgpr_private_segment_size 0
		.amdhsa_uses_dynamic_stack 0
		.amdhsa_enable_private_segment 0
		.amdhsa_system_sgpr_workgroup_id_x 1
		.amdhsa_system_sgpr_workgroup_id_y 0
		.amdhsa_system_sgpr_workgroup_id_z 0
		.amdhsa_system_sgpr_workgroup_info 0
		.amdhsa_system_vgpr_workitem_id 0
		.amdhsa_next_free_vgpr 1
		.amdhsa_next_free_sgpr 0
		.amdhsa_accum_offset 4
		.amdhsa_reserve_vcc 0
		.amdhsa_float_round_mode_32 0
		.amdhsa_float_round_mode_16_64 0
		.amdhsa_float_denorm_mode_32 3
		.amdhsa_float_denorm_mode_16_64 3
		.amdhsa_dx10_clamp 1
		.amdhsa_ieee_mode 1
		.amdhsa_fp16_overflow 0
		.amdhsa_tg_split 0
		.amdhsa_exception_fp_ieee_invalid_op 0
		.amdhsa_exception_fp_denorm_src 0
		.amdhsa_exception_fp_ieee_div_zero 0
		.amdhsa_exception_fp_ieee_overflow 0
		.amdhsa_exception_fp_ieee_underflow 0
		.amdhsa_exception_fp_ieee_inexact 0
		.amdhsa_exception_int_div_zero 0
	.end_amdhsa_kernel
	.section	.text._ZN7rocprim17ROCPRIM_400000_NS6detail17trampoline_kernelINS0_14default_configENS1_38merge_sort_block_merge_config_selectorIjjEEZZNS1_27merge_sort_block_merge_implIS3_N6thrust23THRUST_200600_302600_NS6detail15normal_iteratorINS8_10device_ptrIjEEEESD_jNS1_19radix_merge_compareILb0ELb0EjNS0_19identity_decomposerEEEEE10hipError_tT0_T1_T2_jT3_P12ihipStream_tbPNSt15iterator_traitsISI_E10value_typeEPNSO_ISJ_E10value_typeEPSK_NS1_7vsmem_tEENKUlT_SI_SJ_SK_E_clISD_PjSD_S10_EESH_SX_SI_SJ_SK_EUlSX_E1_NS1_11comp_targetILNS1_3genE2ELNS1_11target_archE906ELNS1_3gpuE6ELNS1_3repE0EEENS1_36merge_oddeven_config_static_selectorELNS0_4arch9wavefront6targetE1EEEvSJ_,"axG",@progbits,_ZN7rocprim17ROCPRIM_400000_NS6detail17trampoline_kernelINS0_14default_configENS1_38merge_sort_block_merge_config_selectorIjjEEZZNS1_27merge_sort_block_merge_implIS3_N6thrust23THRUST_200600_302600_NS6detail15normal_iteratorINS8_10device_ptrIjEEEESD_jNS1_19radix_merge_compareILb0ELb0EjNS0_19identity_decomposerEEEEE10hipError_tT0_T1_T2_jT3_P12ihipStream_tbPNSt15iterator_traitsISI_E10value_typeEPNSO_ISJ_E10value_typeEPSK_NS1_7vsmem_tEENKUlT_SI_SJ_SK_E_clISD_PjSD_S10_EESH_SX_SI_SJ_SK_EUlSX_E1_NS1_11comp_targetILNS1_3genE2ELNS1_11target_archE906ELNS1_3gpuE6ELNS1_3repE0EEENS1_36merge_oddeven_config_static_selectorELNS0_4arch9wavefront6targetE1EEEvSJ_,comdat
.Lfunc_end664:
	.size	_ZN7rocprim17ROCPRIM_400000_NS6detail17trampoline_kernelINS0_14default_configENS1_38merge_sort_block_merge_config_selectorIjjEEZZNS1_27merge_sort_block_merge_implIS3_N6thrust23THRUST_200600_302600_NS6detail15normal_iteratorINS8_10device_ptrIjEEEESD_jNS1_19radix_merge_compareILb0ELb0EjNS0_19identity_decomposerEEEEE10hipError_tT0_T1_T2_jT3_P12ihipStream_tbPNSt15iterator_traitsISI_E10value_typeEPNSO_ISJ_E10value_typeEPSK_NS1_7vsmem_tEENKUlT_SI_SJ_SK_E_clISD_PjSD_S10_EESH_SX_SI_SJ_SK_EUlSX_E1_NS1_11comp_targetILNS1_3genE2ELNS1_11target_archE906ELNS1_3gpuE6ELNS1_3repE0EEENS1_36merge_oddeven_config_static_selectorELNS0_4arch9wavefront6targetE1EEEvSJ_, .Lfunc_end664-_ZN7rocprim17ROCPRIM_400000_NS6detail17trampoline_kernelINS0_14default_configENS1_38merge_sort_block_merge_config_selectorIjjEEZZNS1_27merge_sort_block_merge_implIS3_N6thrust23THRUST_200600_302600_NS6detail15normal_iteratorINS8_10device_ptrIjEEEESD_jNS1_19radix_merge_compareILb0ELb0EjNS0_19identity_decomposerEEEEE10hipError_tT0_T1_T2_jT3_P12ihipStream_tbPNSt15iterator_traitsISI_E10value_typeEPNSO_ISJ_E10value_typeEPSK_NS1_7vsmem_tEENKUlT_SI_SJ_SK_E_clISD_PjSD_S10_EESH_SX_SI_SJ_SK_EUlSX_E1_NS1_11comp_targetILNS1_3genE2ELNS1_11target_archE906ELNS1_3gpuE6ELNS1_3repE0EEENS1_36merge_oddeven_config_static_selectorELNS0_4arch9wavefront6targetE1EEEvSJ_
                                        ; -- End function
	.set _ZN7rocprim17ROCPRIM_400000_NS6detail17trampoline_kernelINS0_14default_configENS1_38merge_sort_block_merge_config_selectorIjjEEZZNS1_27merge_sort_block_merge_implIS3_N6thrust23THRUST_200600_302600_NS6detail15normal_iteratorINS8_10device_ptrIjEEEESD_jNS1_19radix_merge_compareILb0ELb0EjNS0_19identity_decomposerEEEEE10hipError_tT0_T1_T2_jT3_P12ihipStream_tbPNSt15iterator_traitsISI_E10value_typeEPNSO_ISJ_E10value_typeEPSK_NS1_7vsmem_tEENKUlT_SI_SJ_SK_E_clISD_PjSD_S10_EESH_SX_SI_SJ_SK_EUlSX_E1_NS1_11comp_targetILNS1_3genE2ELNS1_11target_archE906ELNS1_3gpuE6ELNS1_3repE0EEENS1_36merge_oddeven_config_static_selectorELNS0_4arch9wavefront6targetE1EEEvSJ_.num_vgpr, 0
	.set _ZN7rocprim17ROCPRIM_400000_NS6detail17trampoline_kernelINS0_14default_configENS1_38merge_sort_block_merge_config_selectorIjjEEZZNS1_27merge_sort_block_merge_implIS3_N6thrust23THRUST_200600_302600_NS6detail15normal_iteratorINS8_10device_ptrIjEEEESD_jNS1_19radix_merge_compareILb0ELb0EjNS0_19identity_decomposerEEEEE10hipError_tT0_T1_T2_jT3_P12ihipStream_tbPNSt15iterator_traitsISI_E10value_typeEPNSO_ISJ_E10value_typeEPSK_NS1_7vsmem_tEENKUlT_SI_SJ_SK_E_clISD_PjSD_S10_EESH_SX_SI_SJ_SK_EUlSX_E1_NS1_11comp_targetILNS1_3genE2ELNS1_11target_archE906ELNS1_3gpuE6ELNS1_3repE0EEENS1_36merge_oddeven_config_static_selectorELNS0_4arch9wavefront6targetE1EEEvSJ_.num_agpr, 0
	.set _ZN7rocprim17ROCPRIM_400000_NS6detail17trampoline_kernelINS0_14default_configENS1_38merge_sort_block_merge_config_selectorIjjEEZZNS1_27merge_sort_block_merge_implIS3_N6thrust23THRUST_200600_302600_NS6detail15normal_iteratorINS8_10device_ptrIjEEEESD_jNS1_19radix_merge_compareILb0ELb0EjNS0_19identity_decomposerEEEEE10hipError_tT0_T1_T2_jT3_P12ihipStream_tbPNSt15iterator_traitsISI_E10value_typeEPNSO_ISJ_E10value_typeEPSK_NS1_7vsmem_tEENKUlT_SI_SJ_SK_E_clISD_PjSD_S10_EESH_SX_SI_SJ_SK_EUlSX_E1_NS1_11comp_targetILNS1_3genE2ELNS1_11target_archE906ELNS1_3gpuE6ELNS1_3repE0EEENS1_36merge_oddeven_config_static_selectorELNS0_4arch9wavefront6targetE1EEEvSJ_.numbered_sgpr, 0
	.set _ZN7rocprim17ROCPRIM_400000_NS6detail17trampoline_kernelINS0_14default_configENS1_38merge_sort_block_merge_config_selectorIjjEEZZNS1_27merge_sort_block_merge_implIS3_N6thrust23THRUST_200600_302600_NS6detail15normal_iteratorINS8_10device_ptrIjEEEESD_jNS1_19radix_merge_compareILb0ELb0EjNS0_19identity_decomposerEEEEE10hipError_tT0_T1_T2_jT3_P12ihipStream_tbPNSt15iterator_traitsISI_E10value_typeEPNSO_ISJ_E10value_typeEPSK_NS1_7vsmem_tEENKUlT_SI_SJ_SK_E_clISD_PjSD_S10_EESH_SX_SI_SJ_SK_EUlSX_E1_NS1_11comp_targetILNS1_3genE2ELNS1_11target_archE906ELNS1_3gpuE6ELNS1_3repE0EEENS1_36merge_oddeven_config_static_selectorELNS0_4arch9wavefront6targetE1EEEvSJ_.num_named_barrier, 0
	.set _ZN7rocprim17ROCPRIM_400000_NS6detail17trampoline_kernelINS0_14default_configENS1_38merge_sort_block_merge_config_selectorIjjEEZZNS1_27merge_sort_block_merge_implIS3_N6thrust23THRUST_200600_302600_NS6detail15normal_iteratorINS8_10device_ptrIjEEEESD_jNS1_19radix_merge_compareILb0ELb0EjNS0_19identity_decomposerEEEEE10hipError_tT0_T1_T2_jT3_P12ihipStream_tbPNSt15iterator_traitsISI_E10value_typeEPNSO_ISJ_E10value_typeEPSK_NS1_7vsmem_tEENKUlT_SI_SJ_SK_E_clISD_PjSD_S10_EESH_SX_SI_SJ_SK_EUlSX_E1_NS1_11comp_targetILNS1_3genE2ELNS1_11target_archE906ELNS1_3gpuE6ELNS1_3repE0EEENS1_36merge_oddeven_config_static_selectorELNS0_4arch9wavefront6targetE1EEEvSJ_.private_seg_size, 0
	.set _ZN7rocprim17ROCPRIM_400000_NS6detail17trampoline_kernelINS0_14default_configENS1_38merge_sort_block_merge_config_selectorIjjEEZZNS1_27merge_sort_block_merge_implIS3_N6thrust23THRUST_200600_302600_NS6detail15normal_iteratorINS8_10device_ptrIjEEEESD_jNS1_19radix_merge_compareILb0ELb0EjNS0_19identity_decomposerEEEEE10hipError_tT0_T1_T2_jT3_P12ihipStream_tbPNSt15iterator_traitsISI_E10value_typeEPNSO_ISJ_E10value_typeEPSK_NS1_7vsmem_tEENKUlT_SI_SJ_SK_E_clISD_PjSD_S10_EESH_SX_SI_SJ_SK_EUlSX_E1_NS1_11comp_targetILNS1_3genE2ELNS1_11target_archE906ELNS1_3gpuE6ELNS1_3repE0EEENS1_36merge_oddeven_config_static_selectorELNS0_4arch9wavefront6targetE1EEEvSJ_.uses_vcc, 0
	.set _ZN7rocprim17ROCPRIM_400000_NS6detail17trampoline_kernelINS0_14default_configENS1_38merge_sort_block_merge_config_selectorIjjEEZZNS1_27merge_sort_block_merge_implIS3_N6thrust23THRUST_200600_302600_NS6detail15normal_iteratorINS8_10device_ptrIjEEEESD_jNS1_19radix_merge_compareILb0ELb0EjNS0_19identity_decomposerEEEEE10hipError_tT0_T1_T2_jT3_P12ihipStream_tbPNSt15iterator_traitsISI_E10value_typeEPNSO_ISJ_E10value_typeEPSK_NS1_7vsmem_tEENKUlT_SI_SJ_SK_E_clISD_PjSD_S10_EESH_SX_SI_SJ_SK_EUlSX_E1_NS1_11comp_targetILNS1_3genE2ELNS1_11target_archE906ELNS1_3gpuE6ELNS1_3repE0EEENS1_36merge_oddeven_config_static_selectorELNS0_4arch9wavefront6targetE1EEEvSJ_.uses_flat_scratch, 0
	.set _ZN7rocprim17ROCPRIM_400000_NS6detail17trampoline_kernelINS0_14default_configENS1_38merge_sort_block_merge_config_selectorIjjEEZZNS1_27merge_sort_block_merge_implIS3_N6thrust23THRUST_200600_302600_NS6detail15normal_iteratorINS8_10device_ptrIjEEEESD_jNS1_19radix_merge_compareILb0ELb0EjNS0_19identity_decomposerEEEEE10hipError_tT0_T1_T2_jT3_P12ihipStream_tbPNSt15iterator_traitsISI_E10value_typeEPNSO_ISJ_E10value_typeEPSK_NS1_7vsmem_tEENKUlT_SI_SJ_SK_E_clISD_PjSD_S10_EESH_SX_SI_SJ_SK_EUlSX_E1_NS1_11comp_targetILNS1_3genE2ELNS1_11target_archE906ELNS1_3gpuE6ELNS1_3repE0EEENS1_36merge_oddeven_config_static_selectorELNS0_4arch9wavefront6targetE1EEEvSJ_.has_dyn_sized_stack, 0
	.set _ZN7rocprim17ROCPRIM_400000_NS6detail17trampoline_kernelINS0_14default_configENS1_38merge_sort_block_merge_config_selectorIjjEEZZNS1_27merge_sort_block_merge_implIS3_N6thrust23THRUST_200600_302600_NS6detail15normal_iteratorINS8_10device_ptrIjEEEESD_jNS1_19radix_merge_compareILb0ELb0EjNS0_19identity_decomposerEEEEE10hipError_tT0_T1_T2_jT3_P12ihipStream_tbPNSt15iterator_traitsISI_E10value_typeEPNSO_ISJ_E10value_typeEPSK_NS1_7vsmem_tEENKUlT_SI_SJ_SK_E_clISD_PjSD_S10_EESH_SX_SI_SJ_SK_EUlSX_E1_NS1_11comp_targetILNS1_3genE2ELNS1_11target_archE906ELNS1_3gpuE6ELNS1_3repE0EEENS1_36merge_oddeven_config_static_selectorELNS0_4arch9wavefront6targetE1EEEvSJ_.has_recursion, 0
	.set _ZN7rocprim17ROCPRIM_400000_NS6detail17trampoline_kernelINS0_14default_configENS1_38merge_sort_block_merge_config_selectorIjjEEZZNS1_27merge_sort_block_merge_implIS3_N6thrust23THRUST_200600_302600_NS6detail15normal_iteratorINS8_10device_ptrIjEEEESD_jNS1_19radix_merge_compareILb0ELb0EjNS0_19identity_decomposerEEEEE10hipError_tT0_T1_T2_jT3_P12ihipStream_tbPNSt15iterator_traitsISI_E10value_typeEPNSO_ISJ_E10value_typeEPSK_NS1_7vsmem_tEENKUlT_SI_SJ_SK_E_clISD_PjSD_S10_EESH_SX_SI_SJ_SK_EUlSX_E1_NS1_11comp_targetILNS1_3genE2ELNS1_11target_archE906ELNS1_3gpuE6ELNS1_3repE0EEENS1_36merge_oddeven_config_static_selectorELNS0_4arch9wavefront6targetE1EEEvSJ_.has_indirect_call, 0
	.section	.AMDGPU.csdata,"",@progbits
; Kernel info:
; codeLenInByte = 0
; TotalNumSgprs: 6
; NumVgprs: 0
; NumAgprs: 0
; TotalNumVgprs: 0
; ScratchSize: 0
; MemoryBound: 0
; FloatMode: 240
; IeeeMode: 1
; LDSByteSize: 0 bytes/workgroup (compile time only)
; SGPRBlocks: 0
; VGPRBlocks: 0
; NumSGPRsForWavesPerEU: 6
; NumVGPRsForWavesPerEU: 1
; AccumOffset: 4
; Occupancy: 8
; WaveLimiterHint : 0
; COMPUTE_PGM_RSRC2:SCRATCH_EN: 0
; COMPUTE_PGM_RSRC2:USER_SGPR: 2
; COMPUTE_PGM_RSRC2:TRAP_HANDLER: 0
; COMPUTE_PGM_RSRC2:TGID_X_EN: 1
; COMPUTE_PGM_RSRC2:TGID_Y_EN: 0
; COMPUTE_PGM_RSRC2:TGID_Z_EN: 0
; COMPUTE_PGM_RSRC2:TIDIG_COMP_CNT: 0
; COMPUTE_PGM_RSRC3_GFX90A:ACCUM_OFFSET: 0
; COMPUTE_PGM_RSRC3_GFX90A:TG_SPLIT: 0
	.section	.text._ZN7rocprim17ROCPRIM_400000_NS6detail17trampoline_kernelINS0_14default_configENS1_38merge_sort_block_merge_config_selectorIjjEEZZNS1_27merge_sort_block_merge_implIS3_N6thrust23THRUST_200600_302600_NS6detail15normal_iteratorINS8_10device_ptrIjEEEESD_jNS1_19radix_merge_compareILb0ELb0EjNS0_19identity_decomposerEEEEE10hipError_tT0_T1_T2_jT3_P12ihipStream_tbPNSt15iterator_traitsISI_E10value_typeEPNSO_ISJ_E10value_typeEPSK_NS1_7vsmem_tEENKUlT_SI_SJ_SK_E_clISD_PjSD_S10_EESH_SX_SI_SJ_SK_EUlSX_E1_NS1_11comp_targetILNS1_3genE9ELNS1_11target_archE1100ELNS1_3gpuE3ELNS1_3repE0EEENS1_36merge_oddeven_config_static_selectorELNS0_4arch9wavefront6targetE1EEEvSJ_,"axG",@progbits,_ZN7rocprim17ROCPRIM_400000_NS6detail17trampoline_kernelINS0_14default_configENS1_38merge_sort_block_merge_config_selectorIjjEEZZNS1_27merge_sort_block_merge_implIS3_N6thrust23THRUST_200600_302600_NS6detail15normal_iteratorINS8_10device_ptrIjEEEESD_jNS1_19radix_merge_compareILb0ELb0EjNS0_19identity_decomposerEEEEE10hipError_tT0_T1_T2_jT3_P12ihipStream_tbPNSt15iterator_traitsISI_E10value_typeEPNSO_ISJ_E10value_typeEPSK_NS1_7vsmem_tEENKUlT_SI_SJ_SK_E_clISD_PjSD_S10_EESH_SX_SI_SJ_SK_EUlSX_E1_NS1_11comp_targetILNS1_3genE9ELNS1_11target_archE1100ELNS1_3gpuE3ELNS1_3repE0EEENS1_36merge_oddeven_config_static_selectorELNS0_4arch9wavefront6targetE1EEEvSJ_,comdat
	.protected	_ZN7rocprim17ROCPRIM_400000_NS6detail17trampoline_kernelINS0_14default_configENS1_38merge_sort_block_merge_config_selectorIjjEEZZNS1_27merge_sort_block_merge_implIS3_N6thrust23THRUST_200600_302600_NS6detail15normal_iteratorINS8_10device_ptrIjEEEESD_jNS1_19radix_merge_compareILb0ELb0EjNS0_19identity_decomposerEEEEE10hipError_tT0_T1_T2_jT3_P12ihipStream_tbPNSt15iterator_traitsISI_E10value_typeEPNSO_ISJ_E10value_typeEPSK_NS1_7vsmem_tEENKUlT_SI_SJ_SK_E_clISD_PjSD_S10_EESH_SX_SI_SJ_SK_EUlSX_E1_NS1_11comp_targetILNS1_3genE9ELNS1_11target_archE1100ELNS1_3gpuE3ELNS1_3repE0EEENS1_36merge_oddeven_config_static_selectorELNS0_4arch9wavefront6targetE1EEEvSJ_ ; -- Begin function _ZN7rocprim17ROCPRIM_400000_NS6detail17trampoline_kernelINS0_14default_configENS1_38merge_sort_block_merge_config_selectorIjjEEZZNS1_27merge_sort_block_merge_implIS3_N6thrust23THRUST_200600_302600_NS6detail15normal_iteratorINS8_10device_ptrIjEEEESD_jNS1_19radix_merge_compareILb0ELb0EjNS0_19identity_decomposerEEEEE10hipError_tT0_T1_T2_jT3_P12ihipStream_tbPNSt15iterator_traitsISI_E10value_typeEPNSO_ISJ_E10value_typeEPSK_NS1_7vsmem_tEENKUlT_SI_SJ_SK_E_clISD_PjSD_S10_EESH_SX_SI_SJ_SK_EUlSX_E1_NS1_11comp_targetILNS1_3genE9ELNS1_11target_archE1100ELNS1_3gpuE3ELNS1_3repE0EEENS1_36merge_oddeven_config_static_selectorELNS0_4arch9wavefront6targetE1EEEvSJ_
	.globl	_ZN7rocprim17ROCPRIM_400000_NS6detail17trampoline_kernelINS0_14default_configENS1_38merge_sort_block_merge_config_selectorIjjEEZZNS1_27merge_sort_block_merge_implIS3_N6thrust23THRUST_200600_302600_NS6detail15normal_iteratorINS8_10device_ptrIjEEEESD_jNS1_19radix_merge_compareILb0ELb0EjNS0_19identity_decomposerEEEEE10hipError_tT0_T1_T2_jT3_P12ihipStream_tbPNSt15iterator_traitsISI_E10value_typeEPNSO_ISJ_E10value_typeEPSK_NS1_7vsmem_tEENKUlT_SI_SJ_SK_E_clISD_PjSD_S10_EESH_SX_SI_SJ_SK_EUlSX_E1_NS1_11comp_targetILNS1_3genE9ELNS1_11target_archE1100ELNS1_3gpuE3ELNS1_3repE0EEENS1_36merge_oddeven_config_static_selectorELNS0_4arch9wavefront6targetE1EEEvSJ_
	.p2align	8
	.type	_ZN7rocprim17ROCPRIM_400000_NS6detail17trampoline_kernelINS0_14default_configENS1_38merge_sort_block_merge_config_selectorIjjEEZZNS1_27merge_sort_block_merge_implIS3_N6thrust23THRUST_200600_302600_NS6detail15normal_iteratorINS8_10device_ptrIjEEEESD_jNS1_19radix_merge_compareILb0ELb0EjNS0_19identity_decomposerEEEEE10hipError_tT0_T1_T2_jT3_P12ihipStream_tbPNSt15iterator_traitsISI_E10value_typeEPNSO_ISJ_E10value_typeEPSK_NS1_7vsmem_tEENKUlT_SI_SJ_SK_E_clISD_PjSD_S10_EESH_SX_SI_SJ_SK_EUlSX_E1_NS1_11comp_targetILNS1_3genE9ELNS1_11target_archE1100ELNS1_3gpuE3ELNS1_3repE0EEENS1_36merge_oddeven_config_static_selectorELNS0_4arch9wavefront6targetE1EEEvSJ_,@function
_ZN7rocprim17ROCPRIM_400000_NS6detail17trampoline_kernelINS0_14default_configENS1_38merge_sort_block_merge_config_selectorIjjEEZZNS1_27merge_sort_block_merge_implIS3_N6thrust23THRUST_200600_302600_NS6detail15normal_iteratorINS8_10device_ptrIjEEEESD_jNS1_19radix_merge_compareILb0ELb0EjNS0_19identity_decomposerEEEEE10hipError_tT0_T1_T2_jT3_P12ihipStream_tbPNSt15iterator_traitsISI_E10value_typeEPNSO_ISJ_E10value_typeEPSK_NS1_7vsmem_tEENKUlT_SI_SJ_SK_E_clISD_PjSD_S10_EESH_SX_SI_SJ_SK_EUlSX_E1_NS1_11comp_targetILNS1_3genE9ELNS1_11target_archE1100ELNS1_3gpuE3ELNS1_3repE0EEENS1_36merge_oddeven_config_static_selectorELNS0_4arch9wavefront6targetE1EEEvSJ_: ; @_ZN7rocprim17ROCPRIM_400000_NS6detail17trampoline_kernelINS0_14default_configENS1_38merge_sort_block_merge_config_selectorIjjEEZZNS1_27merge_sort_block_merge_implIS3_N6thrust23THRUST_200600_302600_NS6detail15normal_iteratorINS8_10device_ptrIjEEEESD_jNS1_19radix_merge_compareILb0ELb0EjNS0_19identity_decomposerEEEEE10hipError_tT0_T1_T2_jT3_P12ihipStream_tbPNSt15iterator_traitsISI_E10value_typeEPNSO_ISJ_E10value_typeEPSK_NS1_7vsmem_tEENKUlT_SI_SJ_SK_E_clISD_PjSD_S10_EESH_SX_SI_SJ_SK_EUlSX_E1_NS1_11comp_targetILNS1_3genE9ELNS1_11target_archE1100ELNS1_3gpuE3ELNS1_3repE0EEENS1_36merge_oddeven_config_static_selectorELNS0_4arch9wavefront6targetE1EEEvSJ_
; %bb.0:
	.section	.rodata,"a",@progbits
	.p2align	6, 0x0
	.amdhsa_kernel _ZN7rocprim17ROCPRIM_400000_NS6detail17trampoline_kernelINS0_14default_configENS1_38merge_sort_block_merge_config_selectorIjjEEZZNS1_27merge_sort_block_merge_implIS3_N6thrust23THRUST_200600_302600_NS6detail15normal_iteratorINS8_10device_ptrIjEEEESD_jNS1_19radix_merge_compareILb0ELb0EjNS0_19identity_decomposerEEEEE10hipError_tT0_T1_T2_jT3_P12ihipStream_tbPNSt15iterator_traitsISI_E10value_typeEPNSO_ISJ_E10value_typeEPSK_NS1_7vsmem_tEENKUlT_SI_SJ_SK_E_clISD_PjSD_S10_EESH_SX_SI_SJ_SK_EUlSX_E1_NS1_11comp_targetILNS1_3genE9ELNS1_11target_archE1100ELNS1_3gpuE3ELNS1_3repE0EEENS1_36merge_oddeven_config_static_selectorELNS0_4arch9wavefront6targetE1EEEvSJ_
		.amdhsa_group_segment_fixed_size 0
		.amdhsa_private_segment_fixed_size 0
		.amdhsa_kernarg_size 48
		.amdhsa_user_sgpr_count 2
		.amdhsa_user_sgpr_dispatch_ptr 0
		.amdhsa_user_sgpr_queue_ptr 0
		.amdhsa_user_sgpr_kernarg_segment_ptr 1
		.amdhsa_user_sgpr_dispatch_id 0
		.amdhsa_user_sgpr_kernarg_preload_length 0
		.amdhsa_user_sgpr_kernarg_preload_offset 0
		.amdhsa_user_sgpr_private_segment_size 0
		.amdhsa_uses_dynamic_stack 0
		.amdhsa_enable_private_segment 0
		.amdhsa_system_sgpr_workgroup_id_x 1
		.amdhsa_system_sgpr_workgroup_id_y 0
		.amdhsa_system_sgpr_workgroup_id_z 0
		.amdhsa_system_sgpr_workgroup_info 0
		.amdhsa_system_vgpr_workitem_id 0
		.amdhsa_next_free_vgpr 1
		.amdhsa_next_free_sgpr 0
		.amdhsa_accum_offset 4
		.amdhsa_reserve_vcc 0
		.amdhsa_float_round_mode_32 0
		.amdhsa_float_round_mode_16_64 0
		.amdhsa_float_denorm_mode_32 3
		.amdhsa_float_denorm_mode_16_64 3
		.amdhsa_dx10_clamp 1
		.amdhsa_ieee_mode 1
		.amdhsa_fp16_overflow 0
		.amdhsa_tg_split 0
		.amdhsa_exception_fp_ieee_invalid_op 0
		.amdhsa_exception_fp_denorm_src 0
		.amdhsa_exception_fp_ieee_div_zero 0
		.amdhsa_exception_fp_ieee_overflow 0
		.amdhsa_exception_fp_ieee_underflow 0
		.amdhsa_exception_fp_ieee_inexact 0
		.amdhsa_exception_int_div_zero 0
	.end_amdhsa_kernel
	.section	.text._ZN7rocprim17ROCPRIM_400000_NS6detail17trampoline_kernelINS0_14default_configENS1_38merge_sort_block_merge_config_selectorIjjEEZZNS1_27merge_sort_block_merge_implIS3_N6thrust23THRUST_200600_302600_NS6detail15normal_iteratorINS8_10device_ptrIjEEEESD_jNS1_19radix_merge_compareILb0ELb0EjNS0_19identity_decomposerEEEEE10hipError_tT0_T1_T2_jT3_P12ihipStream_tbPNSt15iterator_traitsISI_E10value_typeEPNSO_ISJ_E10value_typeEPSK_NS1_7vsmem_tEENKUlT_SI_SJ_SK_E_clISD_PjSD_S10_EESH_SX_SI_SJ_SK_EUlSX_E1_NS1_11comp_targetILNS1_3genE9ELNS1_11target_archE1100ELNS1_3gpuE3ELNS1_3repE0EEENS1_36merge_oddeven_config_static_selectorELNS0_4arch9wavefront6targetE1EEEvSJ_,"axG",@progbits,_ZN7rocprim17ROCPRIM_400000_NS6detail17trampoline_kernelINS0_14default_configENS1_38merge_sort_block_merge_config_selectorIjjEEZZNS1_27merge_sort_block_merge_implIS3_N6thrust23THRUST_200600_302600_NS6detail15normal_iteratorINS8_10device_ptrIjEEEESD_jNS1_19radix_merge_compareILb0ELb0EjNS0_19identity_decomposerEEEEE10hipError_tT0_T1_T2_jT3_P12ihipStream_tbPNSt15iterator_traitsISI_E10value_typeEPNSO_ISJ_E10value_typeEPSK_NS1_7vsmem_tEENKUlT_SI_SJ_SK_E_clISD_PjSD_S10_EESH_SX_SI_SJ_SK_EUlSX_E1_NS1_11comp_targetILNS1_3genE9ELNS1_11target_archE1100ELNS1_3gpuE3ELNS1_3repE0EEENS1_36merge_oddeven_config_static_selectorELNS0_4arch9wavefront6targetE1EEEvSJ_,comdat
.Lfunc_end665:
	.size	_ZN7rocprim17ROCPRIM_400000_NS6detail17trampoline_kernelINS0_14default_configENS1_38merge_sort_block_merge_config_selectorIjjEEZZNS1_27merge_sort_block_merge_implIS3_N6thrust23THRUST_200600_302600_NS6detail15normal_iteratorINS8_10device_ptrIjEEEESD_jNS1_19radix_merge_compareILb0ELb0EjNS0_19identity_decomposerEEEEE10hipError_tT0_T1_T2_jT3_P12ihipStream_tbPNSt15iterator_traitsISI_E10value_typeEPNSO_ISJ_E10value_typeEPSK_NS1_7vsmem_tEENKUlT_SI_SJ_SK_E_clISD_PjSD_S10_EESH_SX_SI_SJ_SK_EUlSX_E1_NS1_11comp_targetILNS1_3genE9ELNS1_11target_archE1100ELNS1_3gpuE3ELNS1_3repE0EEENS1_36merge_oddeven_config_static_selectorELNS0_4arch9wavefront6targetE1EEEvSJ_, .Lfunc_end665-_ZN7rocprim17ROCPRIM_400000_NS6detail17trampoline_kernelINS0_14default_configENS1_38merge_sort_block_merge_config_selectorIjjEEZZNS1_27merge_sort_block_merge_implIS3_N6thrust23THRUST_200600_302600_NS6detail15normal_iteratorINS8_10device_ptrIjEEEESD_jNS1_19radix_merge_compareILb0ELb0EjNS0_19identity_decomposerEEEEE10hipError_tT0_T1_T2_jT3_P12ihipStream_tbPNSt15iterator_traitsISI_E10value_typeEPNSO_ISJ_E10value_typeEPSK_NS1_7vsmem_tEENKUlT_SI_SJ_SK_E_clISD_PjSD_S10_EESH_SX_SI_SJ_SK_EUlSX_E1_NS1_11comp_targetILNS1_3genE9ELNS1_11target_archE1100ELNS1_3gpuE3ELNS1_3repE0EEENS1_36merge_oddeven_config_static_selectorELNS0_4arch9wavefront6targetE1EEEvSJ_
                                        ; -- End function
	.set _ZN7rocprim17ROCPRIM_400000_NS6detail17trampoline_kernelINS0_14default_configENS1_38merge_sort_block_merge_config_selectorIjjEEZZNS1_27merge_sort_block_merge_implIS3_N6thrust23THRUST_200600_302600_NS6detail15normal_iteratorINS8_10device_ptrIjEEEESD_jNS1_19radix_merge_compareILb0ELb0EjNS0_19identity_decomposerEEEEE10hipError_tT0_T1_T2_jT3_P12ihipStream_tbPNSt15iterator_traitsISI_E10value_typeEPNSO_ISJ_E10value_typeEPSK_NS1_7vsmem_tEENKUlT_SI_SJ_SK_E_clISD_PjSD_S10_EESH_SX_SI_SJ_SK_EUlSX_E1_NS1_11comp_targetILNS1_3genE9ELNS1_11target_archE1100ELNS1_3gpuE3ELNS1_3repE0EEENS1_36merge_oddeven_config_static_selectorELNS0_4arch9wavefront6targetE1EEEvSJ_.num_vgpr, 0
	.set _ZN7rocprim17ROCPRIM_400000_NS6detail17trampoline_kernelINS0_14default_configENS1_38merge_sort_block_merge_config_selectorIjjEEZZNS1_27merge_sort_block_merge_implIS3_N6thrust23THRUST_200600_302600_NS6detail15normal_iteratorINS8_10device_ptrIjEEEESD_jNS1_19radix_merge_compareILb0ELb0EjNS0_19identity_decomposerEEEEE10hipError_tT0_T1_T2_jT3_P12ihipStream_tbPNSt15iterator_traitsISI_E10value_typeEPNSO_ISJ_E10value_typeEPSK_NS1_7vsmem_tEENKUlT_SI_SJ_SK_E_clISD_PjSD_S10_EESH_SX_SI_SJ_SK_EUlSX_E1_NS1_11comp_targetILNS1_3genE9ELNS1_11target_archE1100ELNS1_3gpuE3ELNS1_3repE0EEENS1_36merge_oddeven_config_static_selectorELNS0_4arch9wavefront6targetE1EEEvSJ_.num_agpr, 0
	.set _ZN7rocprim17ROCPRIM_400000_NS6detail17trampoline_kernelINS0_14default_configENS1_38merge_sort_block_merge_config_selectorIjjEEZZNS1_27merge_sort_block_merge_implIS3_N6thrust23THRUST_200600_302600_NS6detail15normal_iteratorINS8_10device_ptrIjEEEESD_jNS1_19radix_merge_compareILb0ELb0EjNS0_19identity_decomposerEEEEE10hipError_tT0_T1_T2_jT3_P12ihipStream_tbPNSt15iterator_traitsISI_E10value_typeEPNSO_ISJ_E10value_typeEPSK_NS1_7vsmem_tEENKUlT_SI_SJ_SK_E_clISD_PjSD_S10_EESH_SX_SI_SJ_SK_EUlSX_E1_NS1_11comp_targetILNS1_3genE9ELNS1_11target_archE1100ELNS1_3gpuE3ELNS1_3repE0EEENS1_36merge_oddeven_config_static_selectorELNS0_4arch9wavefront6targetE1EEEvSJ_.numbered_sgpr, 0
	.set _ZN7rocprim17ROCPRIM_400000_NS6detail17trampoline_kernelINS0_14default_configENS1_38merge_sort_block_merge_config_selectorIjjEEZZNS1_27merge_sort_block_merge_implIS3_N6thrust23THRUST_200600_302600_NS6detail15normal_iteratorINS8_10device_ptrIjEEEESD_jNS1_19radix_merge_compareILb0ELb0EjNS0_19identity_decomposerEEEEE10hipError_tT0_T1_T2_jT3_P12ihipStream_tbPNSt15iterator_traitsISI_E10value_typeEPNSO_ISJ_E10value_typeEPSK_NS1_7vsmem_tEENKUlT_SI_SJ_SK_E_clISD_PjSD_S10_EESH_SX_SI_SJ_SK_EUlSX_E1_NS1_11comp_targetILNS1_3genE9ELNS1_11target_archE1100ELNS1_3gpuE3ELNS1_3repE0EEENS1_36merge_oddeven_config_static_selectorELNS0_4arch9wavefront6targetE1EEEvSJ_.num_named_barrier, 0
	.set _ZN7rocprim17ROCPRIM_400000_NS6detail17trampoline_kernelINS0_14default_configENS1_38merge_sort_block_merge_config_selectorIjjEEZZNS1_27merge_sort_block_merge_implIS3_N6thrust23THRUST_200600_302600_NS6detail15normal_iteratorINS8_10device_ptrIjEEEESD_jNS1_19radix_merge_compareILb0ELb0EjNS0_19identity_decomposerEEEEE10hipError_tT0_T1_T2_jT3_P12ihipStream_tbPNSt15iterator_traitsISI_E10value_typeEPNSO_ISJ_E10value_typeEPSK_NS1_7vsmem_tEENKUlT_SI_SJ_SK_E_clISD_PjSD_S10_EESH_SX_SI_SJ_SK_EUlSX_E1_NS1_11comp_targetILNS1_3genE9ELNS1_11target_archE1100ELNS1_3gpuE3ELNS1_3repE0EEENS1_36merge_oddeven_config_static_selectorELNS0_4arch9wavefront6targetE1EEEvSJ_.private_seg_size, 0
	.set _ZN7rocprim17ROCPRIM_400000_NS6detail17trampoline_kernelINS0_14default_configENS1_38merge_sort_block_merge_config_selectorIjjEEZZNS1_27merge_sort_block_merge_implIS3_N6thrust23THRUST_200600_302600_NS6detail15normal_iteratorINS8_10device_ptrIjEEEESD_jNS1_19radix_merge_compareILb0ELb0EjNS0_19identity_decomposerEEEEE10hipError_tT0_T1_T2_jT3_P12ihipStream_tbPNSt15iterator_traitsISI_E10value_typeEPNSO_ISJ_E10value_typeEPSK_NS1_7vsmem_tEENKUlT_SI_SJ_SK_E_clISD_PjSD_S10_EESH_SX_SI_SJ_SK_EUlSX_E1_NS1_11comp_targetILNS1_3genE9ELNS1_11target_archE1100ELNS1_3gpuE3ELNS1_3repE0EEENS1_36merge_oddeven_config_static_selectorELNS0_4arch9wavefront6targetE1EEEvSJ_.uses_vcc, 0
	.set _ZN7rocprim17ROCPRIM_400000_NS6detail17trampoline_kernelINS0_14default_configENS1_38merge_sort_block_merge_config_selectorIjjEEZZNS1_27merge_sort_block_merge_implIS3_N6thrust23THRUST_200600_302600_NS6detail15normal_iteratorINS8_10device_ptrIjEEEESD_jNS1_19radix_merge_compareILb0ELb0EjNS0_19identity_decomposerEEEEE10hipError_tT0_T1_T2_jT3_P12ihipStream_tbPNSt15iterator_traitsISI_E10value_typeEPNSO_ISJ_E10value_typeEPSK_NS1_7vsmem_tEENKUlT_SI_SJ_SK_E_clISD_PjSD_S10_EESH_SX_SI_SJ_SK_EUlSX_E1_NS1_11comp_targetILNS1_3genE9ELNS1_11target_archE1100ELNS1_3gpuE3ELNS1_3repE0EEENS1_36merge_oddeven_config_static_selectorELNS0_4arch9wavefront6targetE1EEEvSJ_.uses_flat_scratch, 0
	.set _ZN7rocprim17ROCPRIM_400000_NS6detail17trampoline_kernelINS0_14default_configENS1_38merge_sort_block_merge_config_selectorIjjEEZZNS1_27merge_sort_block_merge_implIS3_N6thrust23THRUST_200600_302600_NS6detail15normal_iteratorINS8_10device_ptrIjEEEESD_jNS1_19radix_merge_compareILb0ELb0EjNS0_19identity_decomposerEEEEE10hipError_tT0_T1_T2_jT3_P12ihipStream_tbPNSt15iterator_traitsISI_E10value_typeEPNSO_ISJ_E10value_typeEPSK_NS1_7vsmem_tEENKUlT_SI_SJ_SK_E_clISD_PjSD_S10_EESH_SX_SI_SJ_SK_EUlSX_E1_NS1_11comp_targetILNS1_3genE9ELNS1_11target_archE1100ELNS1_3gpuE3ELNS1_3repE0EEENS1_36merge_oddeven_config_static_selectorELNS0_4arch9wavefront6targetE1EEEvSJ_.has_dyn_sized_stack, 0
	.set _ZN7rocprim17ROCPRIM_400000_NS6detail17trampoline_kernelINS0_14default_configENS1_38merge_sort_block_merge_config_selectorIjjEEZZNS1_27merge_sort_block_merge_implIS3_N6thrust23THRUST_200600_302600_NS6detail15normal_iteratorINS8_10device_ptrIjEEEESD_jNS1_19radix_merge_compareILb0ELb0EjNS0_19identity_decomposerEEEEE10hipError_tT0_T1_T2_jT3_P12ihipStream_tbPNSt15iterator_traitsISI_E10value_typeEPNSO_ISJ_E10value_typeEPSK_NS1_7vsmem_tEENKUlT_SI_SJ_SK_E_clISD_PjSD_S10_EESH_SX_SI_SJ_SK_EUlSX_E1_NS1_11comp_targetILNS1_3genE9ELNS1_11target_archE1100ELNS1_3gpuE3ELNS1_3repE0EEENS1_36merge_oddeven_config_static_selectorELNS0_4arch9wavefront6targetE1EEEvSJ_.has_recursion, 0
	.set _ZN7rocprim17ROCPRIM_400000_NS6detail17trampoline_kernelINS0_14default_configENS1_38merge_sort_block_merge_config_selectorIjjEEZZNS1_27merge_sort_block_merge_implIS3_N6thrust23THRUST_200600_302600_NS6detail15normal_iteratorINS8_10device_ptrIjEEEESD_jNS1_19radix_merge_compareILb0ELb0EjNS0_19identity_decomposerEEEEE10hipError_tT0_T1_T2_jT3_P12ihipStream_tbPNSt15iterator_traitsISI_E10value_typeEPNSO_ISJ_E10value_typeEPSK_NS1_7vsmem_tEENKUlT_SI_SJ_SK_E_clISD_PjSD_S10_EESH_SX_SI_SJ_SK_EUlSX_E1_NS1_11comp_targetILNS1_3genE9ELNS1_11target_archE1100ELNS1_3gpuE3ELNS1_3repE0EEENS1_36merge_oddeven_config_static_selectorELNS0_4arch9wavefront6targetE1EEEvSJ_.has_indirect_call, 0
	.section	.AMDGPU.csdata,"",@progbits
; Kernel info:
; codeLenInByte = 0
; TotalNumSgprs: 6
; NumVgprs: 0
; NumAgprs: 0
; TotalNumVgprs: 0
; ScratchSize: 0
; MemoryBound: 0
; FloatMode: 240
; IeeeMode: 1
; LDSByteSize: 0 bytes/workgroup (compile time only)
; SGPRBlocks: 0
; VGPRBlocks: 0
; NumSGPRsForWavesPerEU: 6
; NumVGPRsForWavesPerEU: 1
; AccumOffset: 4
; Occupancy: 8
; WaveLimiterHint : 0
; COMPUTE_PGM_RSRC2:SCRATCH_EN: 0
; COMPUTE_PGM_RSRC2:USER_SGPR: 2
; COMPUTE_PGM_RSRC2:TRAP_HANDLER: 0
; COMPUTE_PGM_RSRC2:TGID_X_EN: 1
; COMPUTE_PGM_RSRC2:TGID_Y_EN: 0
; COMPUTE_PGM_RSRC2:TGID_Z_EN: 0
; COMPUTE_PGM_RSRC2:TIDIG_COMP_CNT: 0
; COMPUTE_PGM_RSRC3_GFX90A:ACCUM_OFFSET: 0
; COMPUTE_PGM_RSRC3_GFX90A:TG_SPLIT: 0
	.section	.text._ZN7rocprim17ROCPRIM_400000_NS6detail17trampoline_kernelINS0_14default_configENS1_38merge_sort_block_merge_config_selectorIjjEEZZNS1_27merge_sort_block_merge_implIS3_N6thrust23THRUST_200600_302600_NS6detail15normal_iteratorINS8_10device_ptrIjEEEESD_jNS1_19radix_merge_compareILb0ELb0EjNS0_19identity_decomposerEEEEE10hipError_tT0_T1_T2_jT3_P12ihipStream_tbPNSt15iterator_traitsISI_E10value_typeEPNSO_ISJ_E10value_typeEPSK_NS1_7vsmem_tEENKUlT_SI_SJ_SK_E_clISD_PjSD_S10_EESH_SX_SI_SJ_SK_EUlSX_E1_NS1_11comp_targetILNS1_3genE8ELNS1_11target_archE1030ELNS1_3gpuE2ELNS1_3repE0EEENS1_36merge_oddeven_config_static_selectorELNS0_4arch9wavefront6targetE1EEEvSJ_,"axG",@progbits,_ZN7rocprim17ROCPRIM_400000_NS6detail17trampoline_kernelINS0_14default_configENS1_38merge_sort_block_merge_config_selectorIjjEEZZNS1_27merge_sort_block_merge_implIS3_N6thrust23THRUST_200600_302600_NS6detail15normal_iteratorINS8_10device_ptrIjEEEESD_jNS1_19radix_merge_compareILb0ELb0EjNS0_19identity_decomposerEEEEE10hipError_tT0_T1_T2_jT3_P12ihipStream_tbPNSt15iterator_traitsISI_E10value_typeEPNSO_ISJ_E10value_typeEPSK_NS1_7vsmem_tEENKUlT_SI_SJ_SK_E_clISD_PjSD_S10_EESH_SX_SI_SJ_SK_EUlSX_E1_NS1_11comp_targetILNS1_3genE8ELNS1_11target_archE1030ELNS1_3gpuE2ELNS1_3repE0EEENS1_36merge_oddeven_config_static_selectorELNS0_4arch9wavefront6targetE1EEEvSJ_,comdat
	.protected	_ZN7rocprim17ROCPRIM_400000_NS6detail17trampoline_kernelINS0_14default_configENS1_38merge_sort_block_merge_config_selectorIjjEEZZNS1_27merge_sort_block_merge_implIS3_N6thrust23THRUST_200600_302600_NS6detail15normal_iteratorINS8_10device_ptrIjEEEESD_jNS1_19radix_merge_compareILb0ELb0EjNS0_19identity_decomposerEEEEE10hipError_tT0_T1_T2_jT3_P12ihipStream_tbPNSt15iterator_traitsISI_E10value_typeEPNSO_ISJ_E10value_typeEPSK_NS1_7vsmem_tEENKUlT_SI_SJ_SK_E_clISD_PjSD_S10_EESH_SX_SI_SJ_SK_EUlSX_E1_NS1_11comp_targetILNS1_3genE8ELNS1_11target_archE1030ELNS1_3gpuE2ELNS1_3repE0EEENS1_36merge_oddeven_config_static_selectorELNS0_4arch9wavefront6targetE1EEEvSJ_ ; -- Begin function _ZN7rocprim17ROCPRIM_400000_NS6detail17trampoline_kernelINS0_14default_configENS1_38merge_sort_block_merge_config_selectorIjjEEZZNS1_27merge_sort_block_merge_implIS3_N6thrust23THRUST_200600_302600_NS6detail15normal_iteratorINS8_10device_ptrIjEEEESD_jNS1_19radix_merge_compareILb0ELb0EjNS0_19identity_decomposerEEEEE10hipError_tT0_T1_T2_jT3_P12ihipStream_tbPNSt15iterator_traitsISI_E10value_typeEPNSO_ISJ_E10value_typeEPSK_NS1_7vsmem_tEENKUlT_SI_SJ_SK_E_clISD_PjSD_S10_EESH_SX_SI_SJ_SK_EUlSX_E1_NS1_11comp_targetILNS1_3genE8ELNS1_11target_archE1030ELNS1_3gpuE2ELNS1_3repE0EEENS1_36merge_oddeven_config_static_selectorELNS0_4arch9wavefront6targetE1EEEvSJ_
	.globl	_ZN7rocprim17ROCPRIM_400000_NS6detail17trampoline_kernelINS0_14default_configENS1_38merge_sort_block_merge_config_selectorIjjEEZZNS1_27merge_sort_block_merge_implIS3_N6thrust23THRUST_200600_302600_NS6detail15normal_iteratorINS8_10device_ptrIjEEEESD_jNS1_19radix_merge_compareILb0ELb0EjNS0_19identity_decomposerEEEEE10hipError_tT0_T1_T2_jT3_P12ihipStream_tbPNSt15iterator_traitsISI_E10value_typeEPNSO_ISJ_E10value_typeEPSK_NS1_7vsmem_tEENKUlT_SI_SJ_SK_E_clISD_PjSD_S10_EESH_SX_SI_SJ_SK_EUlSX_E1_NS1_11comp_targetILNS1_3genE8ELNS1_11target_archE1030ELNS1_3gpuE2ELNS1_3repE0EEENS1_36merge_oddeven_config_static_selectorELNS0_4arch9wavefront6targetE1EEEvSJ_
	.p2align	8
	.type	_ZN7rocprim17ROCPRIM_400000_NS6detail17trampoline_kernelINS0_14default_configENS1_38merge_sort_block_merge_config_selectorIjjEEZZNS1_27merge_sort_block_merge_implIS3_N6thrust23THRUST_200600_302600_NS6detail15normal_iteratorINS8_10device_ptrIjEEEESD_jNS1_19radix_merge_compareILb0ELb0EjNS0_19identity_decomposerEEEEE10hipError_tT0_T1_T2_jT3_P12ihipStream_tbPNSt15iterator_traitsISI_E10value_typeEPNSO_ISJ_E10value_typeEPSK_NS1_7vsmem_tEENKUlT_SI_SJ_SK_E_clISD_PjSD_S10_EESH_SX_SI_SJ_SK_EUlSX_E1_NS1_11comp_targetILNS1_3genE8ELNS1_11target_archE1030ELNS1_3gpuE2ELNS1_3repE0EEENS1_36merge_oddeven_config_static_selectorELNS0_4arch9wavefront6targetE1EEEvSJ_,@function
_ZN7rocprim17ROCPRIM_400000_NS6detail17trampoline_kernelINS0_14default_configENS1_38merge_sort_block_merge_config_selectorIjjEEZZNS1_27merge_sort_block_merge_implIS3_N6thrust23THRUST_200600_302600_NS6detail15normal_iteratorINS8_10device_ptrIjEEEESD_jNS1_19radix_merge_compareILb0ELb0EjNS0_19identity_decomposerEEEEE10hipError_tT0_T1_T2_jT3_P12ihipStream_tbPNSt15iterator_traitsISI_E10value_typeEPNSO_ISJ_E10value_typeEPSK_NS1_7vsmem_tEENKUlT_SI_SJ_SK_E_clISD_PjSD_S10_EESH_SX_SI_SJ_SK_EUlSX_E1_NS1_11comp_targetILNS1_3genE8ELNS1_11target_archE1030ELNS1_3gpuE2ELNS1_3repE0EEENS1_36merge_oddeven_config_static_selectorELNS0_4arch9wavefront6targetE1EEEvSJ_: ; @_ZN7rocprim17ROCPRIM_400000_NS6detail17trampoline_kernelINS0_14default_configENS1_38merge_sort_block_merge_config_selectorIjjEEZZNS1_27merge_sort_block_merge_implIS3_N6thrust23THRUST_200600_302600_NS6detail15normal_iteratorINS8_10device_ptrIjEEEESD_jNS1_19radix_merge_compareILb0ELb0EjNS0_19identity_decomposerEEEEE10hipError_tT0_T1_T2_jT3_P12ihipStream_tbPNSt15iterator_traitsISI_E10value_typeEPNSO_ISJ_E10value_typeEPSK_NS1_7vsmem_tEENKUlT_SI_SJ_SK_E_clISD_PjSD_S10_EESH_SX_SI_SJ_SK_EUlSX_E1_NS1_11comp_targetILNS1_3genE8ELNS1_11target_archE1030ELNS1_3gpuE2ELNS1_3repE0EEENS1_36merge_oddeven_config_static_selectorELNS0_4arch9wavefront6targetE1EEEvSJ_
; %bb.0:
	.section	.rodata,"a",@progbits
	.p2align	6, 0x0
	.amdhsa_kernel _ZN7rocprim17ROCPRIM_400000_NS6detail17trampoline_kernelINS0_14default_configENS1_38merge_sort_block_merge_config_selectorIjjEEZZNS1_27merge_sort_block_merge_implIS3_N6thrust23THRUST_200600_302600_NS6detail15normal_iteratorINS8_10device_ptrIjEEEESD_jNS1_19radix_merge_compareILb0ELb0EjNS0_19identity_decomposerEEEEE10hipError_tT0_T1_T2_jT3_P12ihipStream_tbPNSt15iterator_traitsISI_E10value_typeEPNSO_ISJ_E10value_typeEPSK_NS1_7vsmem_tEENKUlT_SI_SJ_SK_E_clISD_PjSD_S10_EESH_SX_SI_SJ_SK_EUlSX_E1_NS1_11comp_targetILNS1_3genE8ELNS1_11target_archE1030ELNS1_3gpuE2ELNS1_3repE0EEENS1_36merge_oddeven_config_static_selectorELNS0_4arch9wavefront6targetE1EEEvSJ_
		.amdhsa_group_segment_fixed_size 0
		.amdhsa_private_segment_fixed_size 0
		.amdhsa_kernarg_size 48
		.amdhsa_user_sgpr_count 2
		.amdhsa_user_sgpr_dispatch_ptr 0
		.amdhsa_user_sgpr_queue_ptr 0
		.amdhsa_user_sgpr_kernarg_segment_ptr 1
		.amdhsa_user_sgpr_dispatch_id 0
		.amdhsa_user_sgpr_kernarg_preload_length 0
		.amdhsa_user_sgpr_kernarg_preload_offset 0
		.amdhsa_user_sgpr_private_segment_size 0
		.amdhsa_uses_dynamic_stack 0
		.amdhsa_enable_private_segment 0
		.amdhsa_system_sgpr_workgroup_id_x 1
		.amdhsa_system_sgpr_workgroup_id_y 0
		.amdhsa_system_sgpr_workgroup_id_z 0
		.amdhsa_system_sgpr_workgroup_info 0
		.amdhsa_system_vgpr_workitem_id 0
		.amdhsa_next_free_vgpr 1
		.amdhsa_next_free_sgpr 0
		.amdhsa_accum_offset 4
		.amdhsa_reserve_vcc 0
		.amdhsa_float_round_mode_32 0
		.amdhsa_float_round_mode_16_64 0
		.amdhsa_float_denorm_mode_32 3
		.amdhsa_float_denorm_mode_16_64 3
		.amdhsa_dx10_clamp 1
		.amdhsa_ieee_mode 1
		.amdhsa_fp16_overflow 0
		.amdhsa_tg_split 0
		.amdhsa_exception_fp_ieee_invalid_op 0
		.amdhsa_exception_fp_denorm_src 0
		.amdhsa_exception_fp_ieee_div_zero 0
		.amdhsa_exception_fp_ieee_overflow 0
		.amdhsa_exception_fp_ieee_underflow 0
		.amdhsa_exception_fp_ieee_inexact 0
		.amdhsa_exception_int_div_zero 0
	.end_amdhsa_kernel
	.section	.text._ZN7rocprim17ROCPRIM_400000_NS6detail17trampoline_kernelINS0_14default_configENS1_38merge_sort_block_merge_config_selectorIjjEEZZNS1_27merge_sort_block_merge_implIS3_N6thrust23THRUST_200600_302600_NS6detail15normal_iteratorINS8_10device_ptrIjEEEESD_jNS1_19radix_merge_compareILb0ELb0EjNS0_19identity_decomposerEEEEE10hipError_tT0_T1_T2_jT3_P12ihipStream_tbPNSt15iterator_traitsISI_E10value_typeEPNSO_ISJ_E10value_typeEPSK_NS1_7vsmem_tEENKUlT_SI_SJ_SK_E_clISD_PjSD_S10_EESH_SX_SI_SJ_SK_EUlSX_E1_NS1_11comp_targetILNS1_3genE8ELNS1_11target_archE1030ELNS1_3gpuE2ELNS1_3repE0EEENS1_36merge_oddeven_config_static_selectorELNS0_4arch9wavefront6targetE1EEEvSJ_,"axG",@progbits,_ZN7rocprim17ROCPRIM_400000_NS6detail17trampoline_kernelINS0_14default_configENS1_38merge_sort_block_merge_config_selectorIjjEEZZNS1_27merge_sort_block_merge_implIS3_N6thrust23THRUST_200600_302600_NS6detail15normal_iteratorINS8_10device_ptrIjEEEESD_jNS1_19radix_merge_compareILb0ELb0EjNS0_19identity_decomposerEEEEE10hipError_tT0_T1_T2_jT3_P12ihipStream_tbPNSt15iterator_traitsISI_E10value_typeEPNSO_ISJ_E10value_typeEPSK_NS1_7vsmem_tEENKUlT_SI_SJ_SK_E_clISD_PjSD_S10_EESH_SX_SI_SJ_SK_EUlSX_E1_NS1_11comp_targetILNS1_3genE8ELNS1_11target_archE1030ELNS1_3gpuE2ELNS1_3repE0EEENS1_36merge_oddeven_config_static_selectorELNS0_4arch9wavefront6targetE1EEEvSJ_,comdat
.Lfunc_end666:
	.size	_ZN7rocprim17ROCPRIM_400000_NS6detail17trampoline_kernelINS0_14default_configENS1_38merge_sort_block_merge_config_selectorIjjEEZZNS1_27merge_sort_block_merge_implIS3_N6thrust23THRUST_200600_302600_NS6detail15normal_iteratorINS8_10device_ptrIjEEEESD_jNS1_19radix_merge_compareILb0ELb0EjNS0_19identity_decomposerEEEEE10hipError_tT0_T1_T2_jT3_P12ihipStream_tbPNSt15iterator_traitsISI_E10value_typeEPNSO_ISJ_E10value_typeEPSK_NS1_7vsmem_tEENKUlT_SI_SJ_SK_E_clISD_PjSD_S10_EESH_SX_SI_SJ_SK_EUlSX_E1_NS1_11comp_targetILNS1_3genE8ELNS1_11target_archE1030ELNS1_3gpuE2ELNS1_3repE0EEENS1_36merge_oddeven_config_static_selectorELNS0_4arch9wavefront6targetE1EEEvSJ_, .Lfunc_end666-_ZN7rocprim17ROCPRIM_400000_NS6detail17trampoline_kernelINS0_14default_configENS1_38merge_sort_block_merge_config_selectorIjjEEZZNS1_27merge_sort_block_merge_implIS3_N6thrust23THRUST_200600_302600_NS6detail15normal_iteratorINS8_10device_ptrIjEEEESD_jNS1_19radix_merge_compareILb0ELb0EjNS0_19identity_decomposerEEEEE10hipError_tT0_T1_T2_jT3_P12ihipStream_tbPNSt15iterator_traitsISI_E10value_typeEPNSO_ISJ_E10value_typeEPSK_NS1_7vsmem_tEENKUlT_SI_SJ_SK_E_clISD_PjSD_S10_EESH_SX_SI_SJ_SK_EUlSX_E1_NS1_11comp_targetILNS1_3genE8ELNS1_11target_archE1030ELNS1_3gpuE2ELNS1_3repE0EEENS1_36merge_oddeven_config_static_selectorELNS0_4arch9wavefront6targetE1EEEvSJ_
                                        ; -- End function
	.set _ZN7rocprim17ROCPRIM_400000_NS6detail17trampoline_kernelINS0_14default_configENS1_38merge_sort_block_merge_config_selectorIjjEEZZNS1_27merge_sort_block_merge_implIS3_N6thrust23THRUST_200600_302600_NS6detail15normal_iteratorINS8_10device_ptrIjEEEESD_jNS1_19radix_merge_compareILb0ELb0EjNS0_19identity_decomposerEEEEE10hipError_tT0_T1_T2_jT3_P12ihipStream_tbPNSt15iterator_traitsISI_E10value_typeEPNSO_ISJ_E10value_typeEPSK_NS1_7vsmem_tEENKUlT_SI_SJ_SK_E_clISD_PjSD_S10_EESH_SX_SI_SJ_SK_EUlSX_E1_NS1_11comp_targetILNS1_3genE8ELNS1_11target_archE1030ELNS1_3gpuE2ELNS1_3repE0EEENS1_36merge_oddeven_config_static_selectorELNS0_4arch9wavefront6targetE1EEEvSJ_.num_vgpr, 0
	.set _ZN7rocprim17ROCPRIM_400000_NS6detail17trampoline_kernelINS0_14default_configENS1_38merge_sort_block_merge_config_selectorIjjEEZZNS1_27merge_sort_block_merge_implIS3_N6thrust23THRUST_200600_302600_NS6detail15normal_iteratorINS8_10device_ptrIjEEEESD_jNS1_19radix_merge_compareILb0ELb0EjNS0_19identity_decomposerEEEEE10hipError_tT0_T1_T2_jT3_P12ihipStream_tbPNSt15iterator_traitsISI_E10value_typeEPNSO_ISJ_E10value_typeEPSK_NS1_7vsmem_tEENKUlT_SI_SJ_SK_E_clISD_PjSD_S10_EESH_SX_SI_SJ_SK_EUlSX_E1_NS1_11comp_targetILNS1_3genE8ELNS1_11target_archE1030ELNS1_3gpuE2ELNS1_3repE0EEENS1_36merge_oddeven_config_static_selectorELNS0_4arch9wavefront6targetE1EEEvSJ_.num_agpr, 0
	.set _ZN7rocprim17ROCPRIM_400000_NS6detail17trampoline_kernelINS0_14default_configENS1_38merge_sort_block_merge_config_selectorIjjEEZZNS1_27merge_sort_block_merge_implIS3_N6thrust23THRUST_200600_302600_NS6detail15normal_iteratorINS8_10device_ptrIjEEEESD_jNS1_19radix_merge_compareILb0ELb0EjNS0_19identity_decomposerEEEEE10hipError_tT0_T1_T2_jT3_P12ihipStream_tbPNSt15iterator_traitsISI_E10value_typeEPNSO_ISJ_E10value_typeEPSK_NS1_7vsmem_tEENKUlT_SI_SJ_SK_E_clISD_PjSD_S10_EESH_SX_SI_SJ_SK_EUlSX_E1_NS1_11comp_targetILNS1_3genE8ELNS1_11target_archE1030ELNS1_3gpuE2ELNS1_3repE0EEENS1_36merge_oddeven_config_static_selectorELNS0_4arch9wavefront6targetE1EEEvSJ_.numbered_sgpr, 0
	.set _ZN7rocprim17ROCPRIM_400000_NS6detail17trampoline_kernelINS0_14default_configENS1_38merge_sort_block_merge_config_selectorIjjEEZZNS1_27merge_sort_block_merge_implIS3_N6thrust23THRUST_200600_302600_NS6detail15normal_iteratorINS8_10device_ptrIjEEEESD_jNS1_19radix_merge_compareILb0ELb0EjNS0_19identity_decomposerEEEEE10hipError_tT0_T1_T2_jT3_P12ihipStream_tbPNSt15iterator_traitsISI_E10value_typeEPNSO_ISJ_E10value_typeEPSK_NS1_7vsmem_tEENKUlT_SI_SJ_SK_E_clISD_PjSD_S10_EESH_SX_SI_SJ_SK_EUlSX_E1_NS1_11comp_targetILNS1_3genE8ELNS1_11target_archE1030ELNS1_3gpuE2ELNS1_3repE0EEENS1_36merge_oddeven_config_static_selectorELNS0_4arch9wavefront6targetE1EEEvSJ_.num_named_barrier, 0
	.set _ZN7rocprim17ROCPRIM_400000_NS6detail17trampoline_kernelINS0_14default_configENS1_38merge_sort_block_merge_config_selectorIjjEEZZNS1_27merge_sort_block_merge_implIS3_N6thrust23THRUST_200600_302600_NS6detail15normal_iteratorINS8_10device_ptrIjEEEESD_jNS1_19radix_merge_compareILb0ELb0EjNS0_19identity_decomposerEEEEE10hipError_tT0_T1_T2_jT3_P12ihipStream_tbPNSt15iterator_traitsISI_E10value_typeEPNSO_ISJ_E10value_typeEPSK_NS1_7vsmem_tEENKUlT_SI_SJ_SK_E_clISD_PjSD_S10_EESH_SX_SI_SJ_SK_EUlSX_E1_NS1_11comp_targetILNS1_3genE8ELNS1_11target_archE1030ELNS1_3gpuE2ELNS1_3repE0EEENS1_36merge_oddeven_config_static_selectorELNS0_4arch9wavefront6targetE1EEEvSJ_.private_seg_size, 0
	.set _ZN7rocprim17ROCPRIM_400000_NS6detail17trampoline_kernelINS0_14default_configENS1_38merge_sort_block_merge_config_selectorIjjEEZZNS1_27merge_sort_block_merge_implIS3_N6thrust23THRUST_200600_302600_NS6detail15normal_iteratorINS8_10device_ptrIjEEEESD_jNS1_19radix_merge_compareILb0ELb0EjNS0_19identity_decomposerEEEEE10hipError_tT0_T1_T2_jT3_P12ihipStream_tbPNSt15iterator_traitsISI_E10value_typeEPNSO_ISJ_E10value_typeEPSK_NS1_7vsmem_tEENKUlT_SI_SJ_SK_E_clISD_PjSD_S10_EESH_SX_SI_SJ_SK_EUlSX_E1_NS1_11comp_targetILNS1_3genE8ELNS1_11target_archE1030ELNS1_3gpuE2ELNS1_3repE0EEENS1_36merge_oddeven_config_static_selectorELNS0_4arch9wavefront6targetE1EEEvSJ_.uses_vcc, 0
	.set _ZN7rocprim17ROCPRIM_400000_NS6detail17trampoline_kernelINS0_14default_configENS1_38merge_sort_block_merge_config_selectorIjjEEZZNS1_27merge_sort_block_merge_implIS3_N6thrust23THRUST_200600_302600_NS6detail15normal_iteratorINS8_10device_ptrIjEEEESD_jNS1_19radix_merge_compareILb0ELb0EjNS0_19identity_decomposerEEEEE10hipError_tT0_T1_T2_jT3_P12ihipStream_tbPNSt15iterator_traitsISI_E10value_typeEPNSO_ISJ_E10value_typeEPSK_NS1_7vsmem_tEENKUlT_SI_SJ_SK_E_clISD_PjSD_S10_EESH_SX_SI_SJ_SK_EUlSX_E1_NS1_11comp_targetILNS1_3genE8ELNS1_11target_archE1030ELNS1_3gpuE2ELNS1_3repE0EEENS1_36merge_oddeven_config_static_selectorELNS0_4arch9wavefront6targetE1EEEvSJ_.uses_flat_scratch, 0
	.set _ZN7rocprim17ROCPRIM_400000_NS6detail17trampoline_kernelINS0_14default_configENS1_38merge_sort_block_merge_config_selectorIjjEEZZNS1_27merge_sort_block_merge_implIS3_N6thrust23THRUST_200600_302600_NS6detail15normal_iteratorINS8_10device_ptrIjEEEESD_jNS1_19radix_merge_compareILb0ELb0EjNS0_19identity_decomposerEEEEE10hipError_tT0_T1_T2_jT3_P12ihipStream_tbPNSt15iterator_traitsISI_E10value_typeEPNSO_ISJ_E10value_typeEPSK_NS1_7vsmem_tEENKUlT_SI_SJ_SK_E_clISD_PjSD_S10_EESH_SX_SI_SJ_SK_EUlSX_E1_NS1_11comp_targetILNS1_3genE8ELNS1_11target_archE1030ELNS1_3gpuE2ELNS1_3repE0EEENS1_36merge_oddeven_config_static_selectorELNS0_4arch9wavefront6targetE1EEEvSJ_.has_dyn_sized_stack, 0
	.set _ZN7rocprim17ROCPRIM_400000_NS6detail17trampoline_kernelINS0_14default_configENS1_38merge_sort_block_merge_config_selectorIjjEEZZNS1_27merge_sort_block_merge_implIS3_N6thrust23THRUST_200600_302600_NS6detail15normal_iteratorINS8_10device_ptrIjEEEESD_jNS1_19radix_merge_compareILb0ELb0EjNS0_19identity_decomposerEEEEE10hipError_tT0_T1_T2_jT3_P12ihipStream_tbPNSt15iterator_traitsISI_E10value_typeEPNSO_ISJ_E10value_typeEPSK_NS1_7vsmem_tEENKUlT_SI_SJ_SK_E_clISD_PjSD_S10_EESH_SX_SI_SJ_SK_EUlSX_E1_NS1_11comp_targetILNS1_3genE8ELNS1_11target_archE1030ELNS1_3gpuE2ELNS1_3repE0EEENS1_36merge_oddeven_config_static_selectorELNS0_4arch9wavefront6targetE1EEEvSJ_.has_recursion, 0
	.set _ZN7rocprim17ROCPRIM_400000_NS6detail17trampoline_kernelINS0_14default_configENS1_38merge_sort_block_merge_config_selectorIjjEEZZNS1_27merge_sort_block_merge_implIS3_N6thrust23THRUST_200600_302600_NS6detail15normal_iteratorINS8_10device_ptrIjEEEESD_jNS1_19radix_merge_compareILb0ELb0EjNS0_19identity_decomposerEEEEE10hipError_tT0_T1_T2_jT3_P12ihipStream_tbPNSt15iterator_traitsISI_E10value_typeEPNSO_ISJ_E10value_typeEPSK_NS1_7vsmem_tEENKUlT_SI_SJ_SK_E_clISD_PjSD_S10_EESH_SX_SI_SJ_SK_EUlSX_E1_NS1_11comp_targetILNS1_3genE8ELNS1_11target_archE1030ELNS1_3gpuE2ELNS1_3repE0EEENS1_36merge_oddeven_config_static_selectorELNS0_4arch9wavefront6targetE1EEEvSJ_.has_indirect_call, 0
	.section	.AMDGPU.csdata,"",@progbits
; Kernel info:
; codeLenInByte = 0
; TotalNumSgprs: 6
; NumVgprs: 0
; NumAgprs: 0
; TotalNumVgprs: 0
; ScratchSize: 0
; MemoryBound: 0
; FloatMode: 240
; IeeeMode: 1
; LDSByteSize: 0 bytes/workgroup (compile time only)
; SGPRBlocks: 0
; VGPRBlocks: 0
; NumSGPRsForWavesPerEU: 6
; NumVGPRsForWavesPerEU: 1
; AccumOffset: 4
; Occupancy: 8
; WaveLimiterHint : 0
; COMPUTE_PGM_RSRC2:SCRATCH_EN: 0
; COMPUTE_PGM_RSRC2:USER_SGPR: 2
; COMPUTE_PGM_RSRC2:TRAP_HANDLER: 0
; COMPUTE_PGM_RSRC2:TGID_X_EN: 1
; COMPUTE_PGM_RSRC2:TGID_Y_EN: 0
; COMPUTE_PGM_RSRC2:TGID_Z_EN: 0
; COMPUTE_PGM_RSRC2:TIDIG_COMP_CNT: 0
; COMPUTE_PGM_RSRC3_GFX90A:ACCUM_OFFSET: 0
; COMPUTE_PGM_RSRC3_GFX90A:TG_SPLIT: 0
	.section	.text._ZN7rocprim17ROCPRIM_400000_NS6detail17trampoline_kernelINS0_14default_configENS1_25transform_config_selectorIjLb0EEEZNS1_14transform_implILb0ES3_S5_PjN6thrust23THRUST_200600_302600_NS6detail15normal_iteratorINS9_10device_ptrIjEEEENS0_8identityIjEEEE10hipError_tT2_T3_mT4_P12ihipStream_tbEUlT_E_NS1_11comp_targetILNS1_3genE0ELNS1_11target_archE4294967295ELNS1_3gpuE0ELNS1_3repE0EEENS1_30default_config_static_selectorELNS0_4arch9wavefront6targetE1EEEvT1_,"axG",@progbits,_ZN7rocprim17ROCPRIM_400000_NS6detail17trampoline_kernelINS0_14default_configENS1_25transform_config_selectorIjLb0EEEZNS1_14transform_implILb0ES3_S5_PjN6thrust23THRUST_200600_302600_NS6detail15normal_iteratorINS9_10device_ptrIjEEEENS0_8identityIjEEEE10hipError_tT2_T3_mT4_P12ihipStream_tbEUlT_E_NS1_11comp_targetILNS1_3genE0ELNS1_11target_archE4294967295ELNS1_3gpuE0ELNS1_3repE0EEENS1_30default_config_static_selectorELNS0_4arch9wavefront6targetE1EEEvT1_,comdat
	.protected	_ZN7rocprim17ROCPRIM_400000_NS6detail17trampoline_kernelINS0_14default_configENS1_25transform_config_selectorIjLb0EEEZNS1_14transform_implILb0ES3_S5_PjN6thrust23THRUST_200600_302600_NS6detail15normal_iteratorINS9_10device_ptrIjEEEENS0_8identityIjEEEE10hipError_tT2_T3_mT4_P12ihipStream_tbEUlT_E_NS1_11comp_targetILNS1_3genE0ELNS1_11target_archE4294967295ELNS1_3gpuE0ELNS1_3repE0EEENS1_30default_config_static_selectorELNS0_4arch9wavefront6targetE1EEEvT1_ ; -- Begin function _ZN7rocprim17ROCPRIM_400000_NS6detail17trampoline_kernelINS0_14default_configENS1_25transform_config_selectorIjLb0EEEZNS1_14transform_implILb0ES3_S5_PjN6thrust23THRUST_200600_302600_NS6detail15normal_iteratorINS9_10device_ptrIjEEEENS0_8identityIjEEEE10hipError_tT2_T3_mT4_P12ihipStream_tbEUlT_E_NS1_11comp_targetILNS1_3genE0ELNS1_11target_archE4294967295ELNS1_3gpuE0ELNS1_3repE0EEENS1_30default_config_static_selectorELNS0_4arch9wavefront6targetE1EEEvT1_
	.globl	_ZN7rocprim17ROCPRIM_400000_NS6detail17trampoline_kernelINS0_14default_configENS1_25transform_config_selectorIjLb0EEEZNS1_14transform_implILb0ES3_S5_PjN6thrust23THRUST_200600_302600_NS6detail15normal_iteratorINS9_10device_ptrIjEEEENS0_8identityIjEEEE10hipError_tT2_T3_mT4_P12ihipStream_tbEUlT_E_NS1_11comp_targetILNS1_3genE0ELNS1_11target_archE4294967295ELNS1_3gpuE0ELNS1_3repE0EEENS1_30default_config_static_selectorELNS0_4arch9wavefront6targetE1EEEvT1_
	.p2align	8
	.type	_ZN7rocprim17ROCPRIM_400000_NS6detail17trampoline_kernelINS0_14default_configENS1_25transform_config_selectorIjLb0EEEZNS1_14transform_implILb0ES3_S5_PjN6thrust23THRUST_200600_302600_NS6detail15normal_iteratorINS9_10device_ptrIjEEEENS0_8identityIjEEEE10hipError_tT2_T3_mT4_P12ihipStream_tbEUlT_E_NS1_11comp_targetILNS1_3genE0ELNS1_11target_archE4294967295ELNS1_3gpuE0ELNS1_3repE0EEENS1_30default_config_static_selectorELNS0_4arch9wavefront6targetE1EEEvT1_,@function
_ZN7rocprim17ROCPRIM_400000_NS6detail17trampoline_kernelINS0_14default_configENS1_25transform_config_selectorIjLb0EEEZNS1_14transform_implILb0ES3_S5_PjN6thrust23THRUST_200600_302600_NS6detail15normal_iteratorINS9_10device_ptrIjEEEENS0_8identityIjEEEE10hipError_tT2_T3_mT4_P12ihipStream_tbEUlT_E_NS1_11comp_targetILNS1_3genE0ELNS1_11target_archE4294967295ELNS1_3gpuE0ELNS1_3repE0EEENS1_30default_config_static_selectorELNS0_4arch9wavefront6targetE1EEEvT1_: ; @_ZN7rocprim17ROCPRIM_400000_NS6detail17trampoline_kernelINS0_14default_configENS1_25transform_config_selectorIjLb0EEEZNS1_14transform_implILb0ES3_S5_PjN6thrust23THRUST_200600_302600_NS6detail15normal_iteratorINS9_10device_ptrIjEEEENS0_8identityIjEEEE10hipError_tT2_T3_mT4_P12ihipStream_tbEUlT_E_NS1_11comp_targetILNS1_3genE0ELNS1_11target_archE4294967295ELNS1_3gpuE0ELNS1_3repE0EEENS1_30default_config_static_selectorELNS0_4arch9wavefront6targetE1EEEvT1_
; %bb.0:
	s_load_dwordx8 s[4:11], s[0:1], 0x0
	s_load_dword s3, s[0:1], 0x28
	s_waitcnt lgkmcnt(0)
	s_lshl_b64 s[0:1], s[6:7], 2
	s_add_u32 s4, s4, s0
	s_addc_u32 s5, s5, s1
	s_add_u32 s9, s10, s0
	s_addc_u32 s12, s11, s1
	s_lshl_b32 s0, s2, 8
	s_mov_b32 s1, 0
	s_add_i32 s3, s3, -1
	s_lshl_b64 s[6:7], s[0:1], 2
	s_add_u32 s10, s4, s6
	s_addc_u32 s11, s5, s7
	s_cmp_lg_u32 s2, s3
	s_cbranch_scc0 .LBB667_2
; %bb.1:
	v_lshlrev_b32_e32 v2, 2, v0
	global_load_dword v6, v2, s[10:11]
	global_load_dword v1, v2, s[10:11] offset:512
	s_add_u32 s4, s9, s6
	v_mov_b32_e32 v3, 0
	s_addc_u32 s5, s12, s7
	v_lshl_add_u64 v[4:5], s[4:5], 0, v[2:3]
	s_mov_b64 s[4:5], -1
	s_waitcnt vmcnt(1)
	flat_store_dword v[4:5], v6
	s_cbranch_execz .LBB667_3
	s_branch .LBB667_12
.LBB667_2:
	s_mov_b64 s[4:5], 0
                                        ; implicit-def: $vgpr1
                                        ; implicit-def: $vgpr4_vgpr5
.LBB667_3:
	s_sub_i32 s2, s8, s0
	v_mov_b32_e32 v2, 0
	v_cmp_gt_u32_e32 vcc, s2, v0
	v_mov_b32_e32 v3, v2
	s_and_saveexec_b64 s[0:1], vcc
	s_cbranch_execz .LBB667_5
; %bb.4:
	s_waitcnt vmcnt(0)
	v_lshlrev_b32_e32 v1, 2, v0
	global_load_dword v4, v1, s[10:11]
	v_mov_b32_e32 v5, v2
	s_waitcnt vmcnt(0)
	v_mov_b64_e32 v[2:3], v[4:5]
.LBB667_5:
	s_or_b64 exec, exec, s[0:1]
	s_waitcnt vmcnt(0)
	v_or_b32_e32 v1, 0x80, v0
	v_cmp_gt_u32_e64 s[0:1], s2, v1
	v_cmp_le_u32_e64 s[2:3], s2, v1
	s_and_saveexec_b64 s[14:15], s[2:3]
	s_xor_b64 s[2:3], exec, s[14:15]
	s_andn2_saveexec_b64 s[2:3], s[2:3]
	s_cbranch_execz .LBB667_7
; %bb.6:
	v_lshlrev_b32_e32 v1, 2, v0
	global_load_dword v3, v1, s[10:11] offset:512
.LBB667_7:
	s_or_b64 exec, exec, s[2:3]
	s_add_u32 s2, s9, s6
	v_mov_b32_e32 v5, 0
	s_addc_u32 s3, s12, s7
	v_lshlrev_b32_e32 v4, 2, v0
	v_cndmask_b32_e32 v1, 0, v2, vcc
	v_lshl_add_u64 v[4:5], s[2:3], 0, v[4:5]
	s_and_saveexec_b64 s[2:3], vcc
	s_cbranch_execz .LBB667_9
; %bb.8:
	flat_store_dword v[4:5], v1
.LBB667_9:
	s_or_b64 exec, exec, s[2:3]
                                        ; implicit-def: $vgpr1
	s_and_saveexec_b64 s[2:3], s[0:1]
	s_cbranch_execz .LBB667_11
; %bb.10:
	s_waitcnt vmcnt(0)
	v_cndmask_b32_e64 v1, 0, v3, s[0:1]
	s_or_b64 s[4:5], s[4:5], exec
.LBB667_11:
	s_or_b64 exec, exec, s[2:3]
.LBB667_12:
	s_and_saveexec_b64 s[0:1], s[4:5]
	s_cbranch_execnz .LBB667_14
; %bb.13:
	s_endpgm
.LBB667_14:
	s_waitcnt vmcnt(0)
	flat_store_dword v[4:5], v1 offset:512
	s_endpgm
	.section	.rodata,"a",@progbits
	.p2align	6, 0x0
	.amdhsa_kernel _ZN7rocprim17ROCPRIM_400000_NS6detail17trampoline_kernelINS0_14default_configENS1_25transform_config_selectorIjLb0EEEZNS1_14transform_implILb0ES3_S5_PjN6thrust23THRUST_200600_302600_NS6detail15normal_iteratorINS9_10device_ptrIjEEEENS0_8identityIjEEEE10hipError_tT2_T3_mT4_P12ihipStream_tbEUlT_E_NS1_11comp_targetILNS1_3genE0ELNS1_11target_archE4294967295ELNS1_3gpuE0ELNS1_3repE0EEENS1_30default_config_static_selectorELNS0_4arch9wavefront6targetE1EEEvT1_
		.amdhsa_group_segment_fixed_size 0
		.amdhsa_private_segment_fixed_size 0
		.amdhsa_kernarg_size 296
		.amdhsa_user_sgpr_count 2
		.amdhsa_user_sgpr_dispatch_ptr 0
		.amdhsa_user_sgpr_queue_ptr 0
		.amdhsa_user_sgpr_kernarg_segment_ptr 1
		.amdhsa_user_sgpr_dispatch_id 0
		.amdhsa_user_sgpr_kernarg_preload_length 0
		.amdhsa_user_sgpr_kernarg_preload_offset 0
		.amdhsa_user_sgpr_private_segment_size 0
		.amdhsa_uses_dynamic_stack 0
		.amdhsa_enable_private_segment 0
		.amdhsa_system_sgpr_workgroup_id_x 1
		.amdhsa_system_sgpr_workgroup_id_y 0
		.amdhsa_system_sgpr_workgroup_id_z 0
		.amdhsa_system_sgpr_workgroup_info 0
		.amdhsa_system_vgpr_workitem_id 0
		.amdhsa_next_free_vgpr 7
		.amdhsa_next_free_sgpr 16
		.amdhsa_accum_offset 8
		.amdhsa_reserve_vcc 1
		.amdhsa_float_round_mode_32 0
		.amdhsa_float_round_mode_16_64 0
		.amdhsa_float_denorm_mode_32 3
		.amdhsa_float_denorm_mode_16_64 3
		.amdhsa_dx10_clamp 1
		.amdhsa_ieee_mode 1
		.amdhsa_fp16_overflow 0
		.amdhsa_tg_split 0
		.amdhsa_exception_fp_ieee_invalid_op 0
		.amdhsa_exception_fp_denorm_src 0
		.amdhsa_exception_fp_ieee_div_zero 0
		.amdhsa_exception_fp_ieee_overflow 0
		.amdhsa_exception_fp_ieee_underflow 0
		.amdhsa_exception_fp_ieee_inexact 0
		.amdhsa_exception_int_div_zero 0
	.end_amdhsa_kernel
	.section	.text._ZN7rocprim17ROCPRIM_400000_NS6detail17trampoline_kernelINS0_14default_configENS1_25transform_config_selectorIjLb0EEEZNS1_14transform_implILb0ES3_S5_PjN6thrust23THRUST_200600_302600_NS6detail15normal_iteratorINS9_10device_ptrIjEEEENS0_8identityIjEEEE10hipError_tT2_T3_mT4_P12ihipStream_tbEUlT_E_NS1_11comp_targetILNS1_3genE0ELNS1_11target_archE4294967295ELNS1_3gpuE0ELNS1_3repE0EEENS1_30default_config_static_selectorELNS0_4arch9wavefront6targetE1EEEvT1_,"axG",@progbits,_ZN7rocprim17ROCPRIM_400000_NS6detail17trampoline_kernelINS0_14default_configENS1_25transform_config_selectorIjLb0EEEZNS1_14transform_implILb0ES3_S5_PjN6thrust23THRUST_200600_302600_NS6detail15normal_iteratorINS9_10device_ptrIjEEEENS0_8identityIjEEEE10hipError_tT2_T3_mT4_P12ihipStream_tbEUlT_E_NS1_11comp_targetILNS1_3genE0ELNS1_11target_archE4294967295ELNS1_3gpuE0ELNS1_3repE0EEENS1_30default_config_static_selectorELNS0_4arch9wavefront6targetE1EEEvT1_,comdat
.Lfunc_end667:
	.size	_ZN7rocprim17ROCPRIM_400000_NS6detail17trampoline_kernelINS0_14default_configENS1_25transform_config_selectorIjLb0EEEZNS1_14transform_implILb0ES3_S5_PjN6thrust23THRUST_200600_302600_NS6detail15normal_iteratorINS9_10device_ptrIjEEEENS0_8identityIjEEEE10hipError_tT2_T3_mT4_P12ihipStream_tbEUlT_E_NS1_11comp_targetILNS1_3genE0ELNS1_11target_archE4294967295ELNS1_3gpuE0ELNS1_3repE0EEENS1_30default_config_static_selectorELNS0_4arch9wavefront6targetE1EEEvT1_, .Lfunc_end667-_ZN7rocprim17ROCPRIM_400000_NS6detail17trampoline_kernelINS0_14default_configENS1_25transform_config_selectorIjLb0EEEZNS1_14transform_implILb0ES3_S5_PjN6thrust23THRUST_200600_302600_NS6detail15normal_iteratorINS9_10device_ptrIjEEEENS0_8identityIjEEEE10hipError_tT2_T3_mT4_P12ihipStream_tbEUlT_E_NS1_11comp_targetILNS1_3genE0ELNS1_11target_archE4294967295ELNS1_3gpuE0ELNS1_3repE0EEENS1_30default_config_static_selectorELNS0_4arch9wavefront6targetE1EEEvT1_
                                        ; -- End function
	.set _ZN7rocprim17ROCPRIM_400000_NS6detail17trampoline_kernelINS0_14default_configENS1_25transform_config_selectorIjLb0EEEZNS1_14transform_implILb0ES3_S5_PjN6thrust23THRUST_200600_302600_NS6detail15normal_iteratorINS9_10device_ptrIjEEEENS0_8identityIjEEEE10hipError_tT2_T3_mT4_P12ihipStream_tbEUlT_E_NS1_11comp_targetILNS1_3genE0ELNS1_11target_archE4294967295ELNS1_3gpuE0ELNS1_3repE0EEENS1_30default_config_static_selectorELNS0_4arch9wavefront6targetE1EEEvT1_.num_vgpr, 7
	.set _ZN7rocprim17ROCPRIM_400000_NS6detail17trampoline_kernelINS0_14default_configENS1_25transform_config_selectorIjLb0EEEZNS1_14transform_implILb0ES3_S5_PjN6thrust23THRUST_200600_302600_NS6detail15normal_iteratorINS9_10device_ptrIjEEEENS0_8identityIjEEEE10hipError_tT2_T3_mT4_P12ihipStream_tbEUlT_E_NS1_11comp_targetILNS1_3genE0ELNS1_11target_archE4294967295ELNS1_3gpuE0ELNS1_3repE0EEENS1_30default_config_static_selectorELNS0_4arch9wavefront6targetE1EEEvT1_.num_agpr, 0
	.set _ZN7rocprim17ROCPRIM_400000_NS6detail17trampoline_kernelINS0_14default_configENS1_25transform_config_selectorIjLb0EEEZNS1_14transform_implILb0ES3_S5_PjN6thrust23THRUST_200600_302600_NS6detail15normal_iteratorINS9_10device_ptrIjEEEENS0_8identityIjEEEE10hipError_tT2_T3_mT4_P12ihipStream_tbEUlT_E_NS1_11comp_targetILNS1_3genE0ELNS1_11target_archE4294967295ELNS1_3gpuE0ELNS1_3repE0EEENS1_30default_config_static_selectorELNS0_4arch9wavefront6targetE1EEEvT1_.numbered_sgpr, 16
	.set _ZN7rocprim17ROCPRIM_400000_NS6detail17trampoline_kernelINS0_14default_configENS1_25transform_config_selectorIjLb0EEEZNS1_14transform_implILb0ES3_S5_PjN6thrust23THRUST_200600_302600_NS6detail15normal_iteratorINS9_10device_ptrIjEEEENS0_8identityIjEEEE10hipError_tT2_T3_mT4_P12ihipStream_tbEUlT_E_NS1_11comp_targetILNS1_3genE0ELNS1_11target_archE4294967295ELNS1_3gpuE0ELNS1_3repE0EEENS1_30default_config_static_selectorELNS0_4arch9wavefront6targetE1EEEvT1_.num_named_barrier, 0
	.set _ZN7rocprim17ROCPRIM_400000_NS6detail17trampoline_kernelINS0_14default_configENS1_25transform_config_selectorIjLb0EEEZNS1_14transform_implILb0ES3_S5_PjN6thrust23THRUST_200600_302600_NS6detail15normal_iteratorINS9_10device_ptrIjEEEENS0_8identityIjEEEE10hipError_tT2_T3_mT4_P12ihipStream_tbEUlT_E_NS1_11comp_targetILNS1_3genE0ELNS1_11target_archE4294967295ELNS1_3gpuE0ELNS1_3repE0EEENS1_30default_config_static_selectorELNS0_4arch9wavefront6targetE1EEEvT1_.private_seg_size, 0
	.set _ZN7rocprim17ROCPRIM_400000_NS6detail17trampoline_kernelINS0_14default_configENS1_25transform_config_selectorIjLb0EEEZNS1_14transform_implILb0ES3_S5_PjN6thrust23THRUST_200600_302600_NS6detail15normal_iteratorINS9_10device_ptrIjEEEENS0_8identityIjEEEE10hipError_tT2_T3_mT4_P12ihipStream_tbEUlT_E_NS1_11comp_targetILNS1_3genE0ELNS1_11target_archE4294967295ELNS1_3gpuE0ELNS1_3repE0EEENS1_30default_config_static_selectorELNS0_4arch9wavefront6targetE1EEEvT1_.uses_vcc, 1
	.set _ZN7rocprim17ROCPRIM_400000_NS6detail17trampoline_kernelINS0_14default_configENS1_25transform_config_selectorIjLb0EEEZNS1_14transform_implILb0ES3_S5_PjN6thrust23THRUST_200600_302600_NS6detail15normal_iteratorINS9_10device_ptrIjEEEENS0_8identityIjEEEE10hipError_tT2_T3_mT4_P12ihipStream_tbEUlT_E_NS1_11comp_targetILNS1_3genE0ELNS1_11target_archE4294967295ELNS1_3gpuE0ELNS1_3repE0EEENS1_30default_config_static_selectorELNS0_4arch9wavefront6targetE1EEEvT1_.uses_flat_scratch, 0
	.set _ZN7rocprim17ROCPRIM_400000_NS6detail17trampoline_kernelINS0_14default_configENS1_25transform_config_selectorIjLb0EEEZNS1_14transform_implILb0ES3_S5_PjN6thrust23THRUST_200600_302600_NS6detail15normal_iteratorINS9_10device_ptrIjEEEENS0_8identityIjEEEE10hipError_tT2_T3_mT4_P12ihipStream_tbEUlT_E_NS1_11comp_targetILNS1_3genE0ELNS1_11target_archE4294967295ELNS1_3gpuE0ELNS1_3repE0EEENS1_30default_config_static_selectorELNS0_4arch9wavefront6targetE1EEEvT1_.has_dyn_sized_stack, 0
	.set _ZN7rocprim17ROCPRIM_400000_NS6detail17trampoline_kernelINS0_14default_configENS1_25transform_config_selectorIjLb0EEEZNS1_14transform_implILb0ES3_S5_PjN6thrust23THRUST_200600_302600_NS6detail15normal_iteratorINS9_10device_ptrIjEEEENS0_8identityIjEEEE10hipError_tT2_T3_mT4_P12ihipStream_tbEUlT_E_NS1_11comp_targetILNS1_3genE0ELNS1_11target_archE4294967295ELNS1_3gpuE0ELNS1_3repE0EEENS1_30default_config_static_selectorELNS0_4arch9wavefront6targetE1EEEvT1_.has_recursion, 0
	.set _ZN7rocprim17ROCPRIM_400000_NS6detail17trampoline_kernelINS0_14default_configENS1_25transform_config_selectorIjLb0EEEZNS1_14transform_implILb0ES3_S5_PjN6thrust23THRUST_200600_302600_NS6detail15normal_iteratorINS9_10device_ptrIjEEEENS0_8identityIjEEEE10hipError_tT2_T3_mT4_P12ihipStream_tbEUlT_E_NS1_11comp_targetILNS1_3genE0ELNS1_11target_archE4294967295ELNS1_3gpuE0ELNS1_3repE0EEENS1_30default_config_static_selectorELNS0_4arch9wavefront6targetE1EEEvT1_.has_indirect_call, 0
	.section	.AMDGPU.csdata,"",@progbits
; Kernel info:
; codeLenInByte = 360
; TotalNumSgprs: 22
; NumVgprs: 7
; NumAgprs: 0
; TotalNumVgprs: 7
; ScratchSize: 0
; MemoryBound: 0
; FloatMode: 240
; IeeeMode: 1
; LDSByteSize: 0 bytes/workgroup (compile time only)
; SGPRBlocks: 2
; VGPRBlocks: 0
; NumSGPRsForWavesPerEU: 22
; NumVGPRsForWavesPerEU: 7
; AccumOffset: 8
; Occupancy: 8
; WaveLimiterHint : 1
; COMPUTE_PGM_RSRC2:SCRATCH_EN: 0
; COMPUTE_PGM_RSRC2:USER_SGPR: 2
; COMPUTE_PGM_RSRC2:TRAP_HANDLER: 0
; COMPUTE_PGM_RSRC2:TGID_X_EN: 1
; COMPUTE_PGM_RSRC2:TGID_Y_EN: 0
; COMPUTE_PGM_RSRC2:TGID_Z_EN: 0
; COMPUTE_PGM_RSRC2:TIDIG_COMP_CNT: 0
; COMPUTE_PGM_RSRC3_GFX90A:ACCUM_OFFSET: 1
; COMPUTE_PGM_RSRC3_GFX90A:TG_SPLIT: 0
	.section	.text._ZN7rocprim17ROCPRIM_400000_NS6detail17trampoline_kernelINS0_14default_configENS1_25transform_config_selectorIjLb0EEEZNS1_14transform_implILb0ES3_S5_PjN6thrust23THRUST_200600_302600_NS6detail15normal_iteratorINS9_10device_ptrIjEEEENS0_8identityIjEEEE10hipError_tT2_T3_mT4_P12ihipStream_tbEUlT_E_NS1_11comp_targetILNS1_3genE5ELNS1_11target_archE942ELNS1_3gpuE9ELNS1_3repE0EEENS1_30default_config_static_selectorELNS0_4arch9wavefront6targetE1EEEvT1_,"axG",@progbits,_ZN7rocprim17ROCPRIM_400000_NS6detail17trampoline_kernelINS0_14default_configENS1_25transform_config_selectorIjLb0EEEZNS1_14transform_implILb0ES3_S5_PjN6thrust23THRUST_200600_302600_NS6detail15normal_iteratorINS9_10device_ptrIjEEEENS0_8identityIjEEEE10hipError_tT2_T3_mT4_P12ihipStream_tbEUlT_E_NS1_11comp_targetILNS1_3genE5ELNS1_11target_archE942ELNS1_3gpuE9ELNS1_3repE0EEENS1_30default_config_static_selectorELNS0_4arch9wavefront6targetE1EEEvT1_,comdat
	.protected	_ZN7rocprim17ROCPRIM_400000_NS6detail17trampoline_kernelINS0_14default_configENS1_25transform_config_selectorIjLb0EEEZNS1_14transform_implILb0ES3_S5_PjN6thrust23THRUST_200600_302600_NS6detail15normal_iteratorINS9_10device_ptrIjEEEENS0_8identityIjEEEE10hipError_tT2_T3_mT4_P12ihipStream_tbEUlT_E_NS1_11comp_targetILNS1_3genE5ELNS1_11target_archE942ELNS1_3gpuE9ELNS1_3repE0EEENS1_30default_config_static_selectorELNS0_4arch9wavefront6targetE1EEEvT1_ ; -- Begin function _ZN7rocprim17ROCPRIM_400000_NS6detail17trampoline_kernelINS0_14default_configENS1_25transform_config_selectorIjLb0EEEZNS1_14transform_implILb0ES3_S5_PjN6thrust23THRUST_200600_302600_NS6detail15normal_iteratorINS9_10device_ptrIjEEEENS0_8identityIjEEEE10hipError_tT2_T3_mT4_P12ihipStream_tbEUlT_E_NS1_11comp_targetILNS1_3genE5ELNS1_11target_archE942ELNS1_3gpuE9ELNS1_3repE0EEENS1_30default_config_static_selectorELNS0_4arch9wavefront6targetE1EEEvT1_
	.globl	_ZN7rocprim17ROCPRIM_400000_NS6detail17trampoline_kernelINS0_14default_configENS1_25transform_config_selectorIjLb0EEEZNS1_14transform_implILb0ES3_S5_PjN6thrust23THRUST_200600_302600_NS6detail15normal_iteratorINS9_10device_ptrIjEEEENS0_8identityIjEEEE10hipError_tT2_T3_mT4_P12ihipStream_tbEUlT_E_NS1_11comp_targetILNS1_3genE5ELNS1_11target_archE942ELNS1_3gpuE9ELNS1_3repE0EEENS1_30default_config_static_selectorELNS0_4arch9wavefront6targetE1EEEvT1_
	.p2align	8
	.type	_ZN7rocprim17ROCPRIM_400000_NS6detail17trampoline_kernelINS0_14default_configENS1_25transform_config_selectorIjLb0EEEZNS1_14transform_implILb0ES3_S5_PjN6thrust23THRUST_200600_302600_NS6detail15normal_iteratorINS9_10device_ptrIjEEEENS0_8identityIjEEEE10hipError_tT2_T3_mT4_P12ihipStream_tbEUlT_E_NS1_11comp_targetILNS1_3genE5ELNS1_11target_archE942ELNS1_3gpuE9ELNS1_3repE0EEENS1_30default_config_static_selectorELNS0_4arch9wavefront6targetE1EEEvT1_,@function
_ZN7rocprim17ROCPRIM_400000_NS6detail17trampoline_kernelINS0_14default_configENS1_25transform_config_selectorIjLb0EEEZNS1_14transform_implILb0ES3_S5_PjN6thrust23THRUST_200600_302600_NS6detail15normal_iteratorINS9_10device_ptrIjEEEENS0_8identityIjEEEE10hipError_tT2_T3_mT4_P12ihipStream_tbEUlT_E_NS1_11comp_targetILNS1_3genE5ELNS1_11target_archE942ELNS1_3gpuE9ELNS1_3repE0EEENS1_30default_config_static_selectorELNS0_4arch9wavefront6targetE1EEEvT1_: ; @_ZN7rocprim17ROCPRIM_400000_NS6detail17trampoline_kernelINS0_14default_configENS1_25transform_config_selectorIjLb0EEEZNS1_14transform_implILb0ES3_S5_PjN6thrust23THRUST_200600_302600_NS6detail15normal_iteratorINS9_10device_ptrIjEEEENS0_8identityIjEEEE10hipError_tT2_T3_mT4_P12ihipStream_tbEUlT_E_NS1_11comp_targetILNS1_3genE5ELNS1_11target_archE942ELNS1_3gpuE9ELNS1_3repE0EEENS1_30default_config_static_selectorELNS0_4arch9wavefront6targetE1EEEvT1_
; %bb.0:
	.section	.rodata,"a",@progbits
	.p2align	6, 0x0
	.amdhsa_kernel _ZN7rocprim17ROCPRIM_400000_NS6detail17trampoline_kernelINS0_14default_configENS1_25transform_config_selectorIjLb0EEEZNS1_14transform_implILb0ES3_S5_PjN6thrust23THRUST_200600_302600_NS6detail15normal_iteratorINS9_10device_ptrIjEEEENS0_8identityIjEEEE10hipError_tT2_T3_mT4_P12ihipStream_tbEUlT_E_NS1_11comp_targetILNS1_3genE5ELNS1_11target_archE942ELNS1_3gpuE9ELNS1_3repE0EEENS1_30default_config_static_selectorELNS0_4arch9wavefront6targetE1EEEvT1_
		.amdhsa_group_segment_fixed_size 0
		.amdhsa_private_segment_fixed_size 0
		.amdhsa_kernarg_size 40
		.amdhsa_user_sgpr_count 2
		.amdhsa_user_sgpr_dispatch_ptr 0
		.amdhsa_user_sgpr_queue_ptr 0
		.amdhsa_user_sgpr_kernarg_segment_ptr 1
		.amdhsa_user_sgpr_dispatch_id 0
		.amdhsa_user_sgpr_kernarg_preload_length 0
		.amdhsa_user_sgpr_kernarg_preload_offset 0
		.amdhsa_user_sgpr_private_segment_size 0
		.amdhsa_uses_dynamic_stack 0
		.amdhsa_enable_private_segment 0
		.amdhsa_system_sgpr_workgroup_id_x 1
		.amdhsa_system_sgpr_workgroup_id_y 0
		.amdhsa_system_sgpr_workgroup_id_z 0
		.amdhsa_system_sgpr_workgroup_info 0
		.amdhsa_system_vgpr_workitem_id 0
		.amdhsa_next_free_vgpr 1
		.amdhsa_next_free_sgpr 0
		.amdhsa_accum_offset 4
		.amdhsa_reserve_vcc 0
		.amdhsa_float_round_mode_32 0
		.amdhsa_float_round_mode_16_64 0
		.amdhsa_float_denorm_mode_32 3
		.amdhsa_float_denorm_mode_16_64 3
		.amdhsa_dx10_clamp 1
		.amdhsa_ieee_mode 1
		.amdhsa_fp16_overflow 0
		.amdhsa_tg_split 0
		.amdhsa_exception_fp_ieee_invalid_op 0
		.amdhsa_exception_fp_denorm_src 0
		.amdhsa_exception_fp_ieee_div_zero 0
		.amdhsa_exception_fp_ieee_overflow 0
		.amdhsa_exception_fp_ieee_underflow 0
		.amdhsa_exception_fp_ieee_inexact 0
		.amdhsa_exception_int_div_zero 0
	.end_amdhsa_kernel
	.section	.text._ZN7rocprim17ROCPRIM_400000_NS6detail17trampoline_kernelINS0_14default_configENS1_25transform_config_selectorIjLb0EEEZNS1_14transform_implILb0ES3_S5_PjN6thrust23THRUST_200600_302600_NS6detail15normal_iteratorINS9_10device_ptrIjEEEENS0_8identityIjEEEE10hipError_tT2_T3_mT4_P12ihipStream_tbEUlT_E_NS1_11comp_targetILNS1_3genE5ELNS1_11target_archE942ELNS1_3gpuE9ELNS1_3repE0EEENS1_30default_config_static_selectorELNS0_4arch9wavefront6targetE1EEEvT1_,"axG",@progbits,_ZN7rocprim17ROCPRIM_400000_NS6detail17trampoline_kernelINS0_14default_configENS1_25transform_config_selectorIjLb0EEEZNS1_14transform_implILb0ES3_S5_PjN6thrust23THRUST_200600_302600_NS6detail15normal_iteratorINS9_10device_ptrIjEEEENS0_8identityIjEEEE10hipError_tT2_T3_mT4_P12ihipStream_tbEUlT_E_NS1_11comp_targetILNS1_3genE5ELNS1_11target_archE942ELNS1_3gpuE9ELNS1_3repE0EEENS1_30default_config_static_selectorELNS0_4arch9wavefront6targetE1EEEvT1_,comdat
.Lfunc_end668:
	.size	_ZN7rocprim17ROCPRIM_400000_NS6detail17trampoline_kernelINS0_14default_configENS1_25transform_config_selectorIjLb0EEEZNS1_14transform_implILb0ES3_S5_PjN6thrust23THRUST_200600_302600_NS6detail15normal_iteratorINS9_10device_ptrIjEEEENS0_8identityIjEEEE10hipError_tT2_T3_mT4_P12ihipStream_tbEUlT_E_NS1_11comp_targetILNS1_3genE5ELNS1_11target_archE942ELNS1_3gpuE9ELNS1_3repE0EEENS1_30default_config_static_selectorELNS0_4arch9wavefront6targetE1EEEvT1_, .Lfunc_end668-_ZN7rocprim17ROCPRIM_400000_NS6detail17trampoline_kernelINS0_14default_configENS1_25transform_config_selectorIjLb0EEEZNS1_14transform_implILb0ES3_S5_PjN6thrust23THRUST_200600_302600_NS6detail15normal_iteratorINS9_10device_ptrIjEEEENS0_8identityIjEEEE10hipError_tT2_T3_mT4_P12ihipStream_tbEUlT_E_NS1_11comp_targetILNS1_3genE5ELNS1_11target_archE942ELNS1_3gpuE9ELNS1_3repE0EEENS1_30default_config_static_selectorELNS0_4arch9wavefront6targetE1EEEvT1_
                                        ; -- End function
	.set _ZN7rocprim17ROCPRIM_400000_NS6detail17trampoline_kernelINS0_14default_configENS1_25transform_config_selectorIjLb0EEEZNS1_14transform_implILb0ES3_S5_PjN6thrust23THRUST_200600_302600_NS6detail15normal_iteratorINS9_10device_ptrIjEEEENS0_8identityIjEEEE10hipError_tT2_T3_mT4_P12ihipStream_tbEUlT_E_NS1_11comp_targetILNS1_3genE5ELNS1_11target_archE942ELNS1_3gpuE9ELNS1_3repE0EEENS1_30default_config_static_selectorELNS0_4arch9wavefront6targetE1EEEvT1_.num_vgpr, 0
	.set _ZN7rocprim17ROCPRIM_400000_NS6detail17trampoline_kernelINS0_14default_configENS1_25transform_config_selectorIjLb0EEEZNS1_14transform_implILb0ES3_S5_PjN6thrust23THRUST_200600_302600_NS6detail15normal_iteratorINS9_10device_ptrIjEEEENS0_8identityIjEEEE10hipError_tT2_T3_mT4_P12ihipStream_tbEUlT_E_NS1_11comp_targetILNS1_3genE5ELNS1_11target_archE942ELNS1_3gpuE9ELNS1_3repE0EEENS1_30default_config_static_selectorELNS0_4arch9wavefront6targetE1EEEvT1_.num_agpr, 0
	.set _ZN7rocprim17ROCPRIM_400000_NS6detail17trampoline_kernelINS0_14default_configENS1_25transform_config_selectorIjLb0EEEZNS1_14transform_implILb0ES3_S5_PjN6thrust23THRUST_200600_302600_NS6detail15normal_iteratorINS9_10device_ptrIjEEEENS0_8identityIjEEEE10hipError_tT2_T3_mT4_P12ihipStream_tbEUlT_E_NS1_11comp_targetILNS1_3genE5ELNS1_11target_archE942ELNS1_3gpuE9ELNS1_3repE0EEENS1_30default_config_static_selectorELNS0_4arch9wavefront6targetE1EEEvT1_.numbered_sgpr, 0
	.set _ZN7rocprim17ROCPRIM_400000_NS6detail17trampoline_kernelINS0_14default_configENS1_25transform_config_selectorIjLb0EEEZNS1_14transform_implILb0ES3_S5_PjN6thrust23THRUST_200600_302600_NS6detail15normal_iteratorINS9_10device_ptrIjEEEENS0_8identityIjEEEE10hipError_tT2_T3_mT4_P12ihipStream_tbEUlT_E_NS1_11comp_targetILNS1_3genE5ELNS1_11target_archE942ELNS1_3gpuE9ELNS1_3repE0EEENS1_30default_config_static_selectorELNS0_4arch9wavefront6targetE1EEEvT1_.num_named_barrier, 0
	.set _ZN7rocprim17ROCPRIM_400000_NS6detail17trampoline_kernelINS0_14default_configENS1_25transform_config_selectorIjLb0EEEZNS1_14transform_implILb0ES3_S5_PjN6thrust23THRUST_200600_302600_NS6detail15normal_iteratorINS9_10device_ptrIjEEEENS0_8identityIjEEEE10hipError_tT2_T3_mT4_P12ihipStream_tbEUlT_E_NS1_11comp_targetILNS1_3genE5ELNS1_11target_archE942ELNS1_3gpuE9ELNS1_3repE0EEENS1_30default_config_static_selectorELNS0_4arch9wavefront6targetE1EEEvT1_.private_seg_size, 0
	.set _ZN7rocprim17ROCPRIM_400000_NS6detail17trampoline_kernelINS0_14default_configENS1_25transform_config_selectorIjLb0EEEZNS1_14transform_implILb0ES3_S5_PjN6thrust23THRUST_200600_302600_NS6detail15normal_iteratorINS9_10device_ptrIjEEEENS0_8identityIjEEEE10hipError_tT2_T3_mT4_P12ihipStream_tbEUlT_E_NS1_11comp_targetILNS1_3genE5ELNS1_11target_archE942ELNS1_3gpuE9ELNS1_3repE0EEENS1_30default_config_static_selectorELNS0_4arch9wavefront6targetE1EEEvT1_.uses_vcc, 0
	.set _ZN7rocprim17ROCPRIM_400000_NS6detail17trampoline_kernelINS0_14default_configENS1_25transform_config_selectorIjLb0EEEZNS1_14transform_implILb0ES3_S5_PjN6thrust23THRUST_200600_302600_NS6detail15normal_iteratorINS9_10device_ptrIjEEEENS0_8identityIjEEEE10hipError_tT2_T3_mT4_P12ihipStream_tbEUlT_E_NS1_11comp_targetILNS1_3genE5ELNS1_11target_archE942ELNS1_3gpuE9ELNS1_3repE0EEENS1_30default_config_static_selectorELNS0_4arch9wavefront6targetE1EEEvT1_.uses_flat_scratch, 0
	.set _ZN7rocprim17ROCPRIM_400000_NS6detail17trampoline_kernelINS0_14default_configENS1_25transform_config_selectorIjLb0EEEZNS1_14transform_implILb0ES3_S5_PjN6thrust23THRUST_200600_302600_NS6detail15normal_iteratorINS9_10device_ptrIjEEEENS0_8identityIjEEEE10hipError_tT2_T3_mT4_P12ihipStream_tbEUlT_E_NS1_11comp_targetILNS1_3genE5ELNS1_11target_archE942ELNS1_3gpuE9ELNS1_3repE0EEENS1_30default_config_static_selectorELNS0_4arch9wavefront6targetE1EEEvT1_.has_dyn_sized_stack, 0
	.set _ZN7rocprim17ROCPRIM_400000_NS6detail17trampoline_kernelINS0_14default_configENS1_25transform_config_selectorIjLb0EEEZNS1_14transform_implILb0ES3_S5_PjN6thrust23THRUST_200600_302600_NS6detail15normal_iteratorINS9_10device_ptrIjEEEENS0_8identityIjEEEE10hipError_tT2_T3_mT4_P12ihipStream_tbEUlT_E_NS1_11comp_targetILNS1_3genE5ELNS1_11target_archE942ELNS1_3gpuE9ELNS1_3repE0EEENS1_30default_config_static_selectorELNS0_4arch9wavefront6targetE1EEEvT1_.has_recursion, 0
	.set _ZN7rocprim17ROCPRIM_400000_NS6detail17trampoline_kernelINS0_14default_configENS1_25transform_config_selectorIjLb0EEEZNS1_14transform_implILb0ES3_S5_PjN6thrust23THRUST_200600_302600_NS6detail15normal_iteratorINS9_10device_ptrIjEEEENS0_8identityIjEEEE10hipError_tT2_T3_mT4_P12ihipStream_tbEUlT_E_NS1_11comp_targetILNS1_3genE5ELNS1_11target_archE942ELNS1_3gpuE9ELNS1_3repE0EEENS1_30default_config_static_selectorELNS0_4arch9wavefront6targetE1EEEvT1_.has_indirect_call, 0
	.section	.AMDGPU.csdata,"",@progbits
; Kernel info:
; codeLenInByte = 0
; TotalNumSgprs: 6
; NumVgprs: 0
; NumAgprs: 0
; TotalNumVgprs: 0
; ScratchSize: 0
; MemoryBound: 0
; FloatMode: 240
; IeeeMode: 1
; LDSByteSize: 0 bytes/workgroup (compile time only)
; SGPRBlocks: 0
; VGPRBlocks: 0
; NumSGPRsForWavesPerEU: 6
; NumVGPRsForWavesPerEU: 1
; AccumOffset: 4
; Occupancy: 8
; WaveLimiterHint : 0
; COMPUTE_PGM_RSRC2:SCRATCH_EN: 0
; COMPUTE_PGM_RSRC2:USER_SGPR: 2
; COMPUTE_PGM_RSRC2:TRAP_HANDLER: 0
; COMPUTE_PGM_RSRC2:TGID_X_EN: 1
; COMPUTE_PGM_RSRC2:TGID_Y_EN: 0
; COMPUTE_PGM_RSRC2:TGID_Z_EN: 0
; COMPUTE_PGM_RSRC2:TIDIG_COMP_CNT: 0
; COMPUTE_PGM_RSRC3_GFX90A:ACCUM_OFFSET: 0
; COMPUTE_PGM_RSRC3_GFX90A:TG_SPLIT: 0
	.section	.text._ZN7rocprim17ROCPRIM_400000_NS6detail17trampoline_kernelINS0_14default_configENS1_25transform_config_selectorIjLb0EEEZNS1_14transform_implILb0ES3_S5_PjN6thrust23THRUST_200600_302600_NS6detail15normal_iteratorINS9_10device_ptrIjEEEENS0_8identityIjEEEE10hipError_tT2_T3_mT4_P12ihipStream_tbEUlT_E_NS1_11comp_targetILNS1_3genE4ELNS1_11target_archE910ELNS1_3gpuE8ELNS1_3repE0EEENS1_30default_config_static_selectorELNS0_4arch9wavefront6targetE1EEEvT1_,"axG",@progbits,_ZN7rocprim17ROCPRIM_400000_NS6detail17trampoline_kernelINS0_14default_configENS1_25transform_config_selectorIjLb0EEEZNS1_14transform_implILb0ES3_S5_PjN6thrust23THRUST_200600_302600_NS6detail15normal_iteratorINS9_10device_ptrIjEEEENS0_8identityIjEEEE10hipError_tT2_T3_mT4_P12ihipStream_tbEUlT_E_NS1_11comp_targetILNS1_3genE4ELNS1_11target_archE910ELNS1_3gpuE8ELNS1_3repE0EEENS1_30default_config_static_selectorELNS0_4arch9wavefront6targetE1EEEvT1_,comdat
	.protected	_ZN7rocprim17ROCPRIM_400000_NS6detail17trampoline_kernelINS0_14default_configENS1_25transform_config_selectorIjLb0EEEZNS1_14transform_implILb0ES3_S5_PjN6thrust23THRUST_200600_302600_NS6detail15normal_iteratorINS9_10device_ptrIjEEEENS0_8identityIjEEEE10hipError_tT2_T3_mT4_P12ihipStream_tbEUlT_E_NS1_11comp_targetILNS1_3genE4ELNS1_11target_archE910ELNS1_3gpuE8ELNS1_3repE0EEENS1_30default_config_static_selectorELNS0_4arch9wavefront6targetE1EEEvT1_ ; -- Begin function _ZN7rocprim17ROCPRIM_400000_NS6detail17trampoline_kernelINS0_14default_configENS1_25transform_config_selectorIjLb0EEEZNS1_14transform_implILb0ES3_S5_PjN6thrust23THRUST_200600_302600_NS6detail15normal_iteratorINS9_10device_ptrIjEEEENS0_8identityIjEEEE10hipError_tT2_T3_mT4_P12ihipStream_tbEUlT_E_NS1_11comp_targetILNS1_3genE4ELNS1_11target_archE910ELNS1_3gpuE8ELNS1_3repE0EEENS1_30default_config_static_selectorELNS0_4arch9wavefront6targetE1EEEvT1_
	.globl	_ZN7rocprim17ROCPRIM_400000_NS6detail17trampoline_kernelINS0_14default_configENS1_25transform_config_selectorIjLb0EEEZNS1_14transform_implILb0ES3_S5_PjN6thrust23THRUST_200600_302600_NS6detail15normal_iteratorINS9_10device_ptrIjEEEENS0_8identityIjEEEE10hipError_tT2_T3_mT4_P12ihipStream_tbEUlT_E_NS1_11comp_targetILNS1_3genE4ELNS1_11target_archE910ELNS1_3gpuE8ELNS1_3repE0EEENS1_30default_config_static_selectorELNS0_4arch9wavefront6targetE1EEEvT1_
	.p2align	8
	.type	_ZN7rocprim17ROCPRIM_400000_NS6detail17trampoline_kernelINS0_14default_configENS1_25transform_config_selectorIjLb0EEEZNS1_14transform_implILb0ES3_S5_PjN6thrust23THRUST_200600_302600_NS6detail15normal_iteratorINS9_10device_ptrIjEEEENS0_8identityIjEEEE10hipError_tT2_T3_mT4_P12ihipStream_tbEUlT_E_NS1_11comp_targetILNS1_3genE4ELNS1_11target_archE910ELNS1_3gpuE8ELNS1_3repE0EEENS1_30default_config_static_selectorELNS0_4arch9wavefront6targetE1EEEvT1_,@function
_ZN7rocprim17ROCPRIM_400000_NS6detail17trampoline_kernelINS0_14default_configENS1_25transform_config_selectorIjLb0EEEZNS1_14transform_implILb0ES3_S5_PjN6thrust23THRUST_200600_302600_NS6detail15normal_iteratorINS9_10device_ptrIjEEEENS0_8identityIjEEEE10hipError_tT2_T3_mT4_P12ihipStream_tbEUlT_E_NS1_11comp_targetILNS1_3genE4ELNS1_11target_archE910ELNS1_3gpuE8ELNS1_3repE0EEENS1_30default_config_static_selectorELNS0_4arch9wavefront6targetE1EEEvT1_: ; @_ZN7rocprim17ROCPRIM_400000_NS6detail17trampoline_kernelINS0_14default_configENS1_25transform_config_selectorIjLb0EEEZNS1_14transform_implILb0ES3_S5_PjN6thrust23THRUST_200600_302600_NS6detail15normal_iteratorINS9_10device_ptrIjEEEENS0_8identityIjEEEE10hipError_tT2_T3_mT4_P12ihipStream_tbEUlT_E_NS1_11comp_targetILNS1_3genE4ELNS1_11target_archE910ELNS1_3gpuE8ELNS1_3repE0EEENS1_30default_config_static_selectorELNS0_4arch9wavefront6targetE1EEEvT1_
; %bb.0:
	.section	.rodata,"a",@progbits
	.p2align	6, 0x0
	.amdhsa_kernel _ZN7rocprim17ROCPRIM_400000_NS6detail17trampoline_kernelINS0_14default_configENS1_25transform_config_selectorIjLb0EEEZNS1_14transform_implILb0ES3_S5_PjN6thrust23THRUST_200600_302600_NS6detail15normal_iteratorINS9_10device_ptrIjEEEENS0_8identityIjEEEE10hipError_tT2_T3_mT4_P12ihipStream_tbEUlT_E_NS1_11comp_targetILNS1_3genE4ELNS1_11target_archE910ELNS1_3gpuE8ELNS1_3repE0EEENS1_30default_config_static_selectorELNS0_4arch9wavefront6targetE1EEEvT1_
		.amdhsa_group_segment_fixed_size 0
		.amdhsa_private_segment_fixed_size 0
		.amdhsa_kernarg_size 40
		.amdhsa_user_sgpr_count 2
		.amdhsa_user_sgpr_dispatch_ptr 0
		.amdhsa_user_sgpr_queue_ptr 0
		.amdhsa_user_sgpr_kernarg_segment_ptr 1
		.amdhsa_user_sgpr_dispatch_id 0
		.amdhsa_user_sgpr_kernarg_preload_length 0
		.amdhsa_user_sgpr_kernarg_preload_offset 0
		.amdhsa_user_sgpr_private_segment_size 0
		.amdhsa_uses_dynamic_stack 0
		.amdhsa_enable_private_segment 0
		.amdhsa_system_sgpr_workgroup_id_x 1
		.amdhsa_system_sgpr_workgroup_id_y 0
		.amdhsa_system_sgpr_workgroup_id_z 0
		.amdhsa_system_sgpr_workgroup_info 0
		.amdhsa_system_vgpr_workitem_id 0
		.amdhsa_next_free_vgpr 1
		.amdhsa_next_free_sgpr 0
		.amdhsa_accum_offset 4
		.amdhsa_reserve_vcc 0
		.amdhsa_float_round_mode_32 0
		.amdhsa_float_round_mode_16_64 0
		.amdhsa_float_denorm_mode_32 3
		.amdhsa_float_denorm_mode_16_64 3
		.amdhsa_dx10_clamp 1
		.amdhsa_ieee_mode 1
		.amdhsa_fp16_overflow 0
		.amdhsa_tg_split 0
		.amdhsa_exception_fp_ieee_invalid_op 0
		.amdhsa_exception_fp_denorm_src 0
		.amdhsa_exception_fp_ieee_div_zero 0
		.amdhsa_exception_fp_ieee_overflow 0
		.amdhsa_exception_fp_ieee_underflow 0
		.amdhsa_exception_fp_ieee_inexact 0
		.amdhsa_exception_int_div_zero 0
	.end_amdhsa_kernel
	.section	.text._ZN7rocprim17ROCPRIM_400000_NS6detail17trampoline_kernelINS0_14default_configENS1_25transform_config_selectorIjLb0EEEZNS1_14transform_implILb0ES3_S5_PjN6thrust23THRUST_200600_302600_NS6detail15normal_iteratorINS9_10device_ptrIjEEEENS0_8identityIjEEEE10hipError_tT2_T3_mT4_P12ihipStream_tbEUlT_E_NS1_11comp_targetILNS1_3genE4ELNS1_11target_archE910ELNS1_3gpuE8ELNS1_3repE0EEENS1_30default_config_static_selectorELNS0_4arch9wavefront6targetE1EEEvT1_,"axG",@progbits,_ZN7rocprim17ROCPRIM_400000_NS6detail17trampoline_kernelINS0_14default_configENS1_25transform_config_selectorIjLb0EEEZNS1_14transform_implILb0ES3_S5_PjN6thrust23THRUST_200600_302600_NS6detail15normal_iteratorINS9_10device_ptrIjEEEENS0_8identityIjEEEE10hipError_tT2_T3_mT4_P12ihipStream_tbEUlT_E_NS1_11comp_targetILNS1_3genE4ELNS1_11target_archE910ELNS1_3gpuE8ELNS1_3repE0EEENS1_30default_config_static_selectorELNS0_4arch9wavefront6targetE1EEEvT1_,comdat
.Lfunc_end669:
	.size	_ZN7rocprim17ROCPRIM_400000_NS6detail17trampoline_kernelINS0_14default_configENS1_25transform_config_selectorIjLb0EEEZNS1_14transform_implILb0ES3_S5_PjN6thrust23THRUST_200600_302600_NS6detail15normal_iteratorINS9_10device_ptrIjEEEENS0_8identityIjEEEE10hipError_tT2_T3_mT4_P12ihipStream_tbEUlT_E_NS1_11comp_targetILNS1_3genE4ELNS1_11target_archE910ELNS1_3gpuE8ELNS1_3repE0EEENS1_30default_config_static_selectorELNS0_4arch9wavefront6targetE1EEEvT1_, .Lfunc_end669-_ZN7rocprim17ROCPRIM_400000_NS6detail17trampoline_kernelINS0_14default_configENS1_25transform_config_selectorIjLb0EEEZNS1_14transform_implILb0ES3_S5_PjN6thrust23THRUST_200600_302600_NS6detail15normal_iteratorINS9_10device_ptrIjEEEENS0_8identityIjEEEE10hipError_tT2_T3_mT4_P12ihipStream_tbEUlT_E_NS1_11comp_targetILNS1_3genE4ELNS1_11target_archE910ELNS1_3gpuE8ELNS1_3repE0EEENS1_30default_config_static_selectorELNS0_4arch9wavefront6targetE1EEEvT1_
                                        ; -- End function
	.set _ZN7rocprim17ROCPRIM_400000_NS6detail17trampoline_kernelINS0_14default_configENS1_25transform_config_selectorIjLb0EEEZNS1_14transform_implILb0ES3_S5_PjN6thrust23THRUST_200600_302600_NS6detail15normal_iteratorINS9_10device_ptrIjEEEENS0_8identityIjEEEE10hipError_tT2_T3_mT4_P12ihipStream_tbEUlT_E_NS1_11comp_targetILNS1_3genE4ELNS1_11target_archE910ELNS1_3gpuE8ELNS1_3repE0EEENS1_30default_config_static_selectorELNS0_4arch9wavefront6targetE1EEEvT1_.num_vgpr, 0
	.set _ZN7rocprim17ROCPRIM_400000_NS6detail17trampoline_kernelINS0_14default_configENS1_25transform_config_selectorIjLb0EEEZNS1_14transform_implILb0ES3_S5_PjN6thrust23THRUST_200600_302600_NS6detail15normal_iteratorINS9_10device_ptrIjEEEENS0_8identityIjEEEE10hipError_tT2_T3_mT4_P12ihipStream_tbEUlT_E_NS1_11comp_targetILNS1_3genE4ELNS1_11target_archE910ELNS1_3gpuE8ELNS1_3repE0EEENS1_30default_config_static_selectorELNS0_4arch9wavefront6targetE1EEEvT1_.num_agpr, 0
	.set _ZN7rocprim17ROCPRIM_400000_NS6detail17trampoline_kernelINS0_14default_configENS1_25transform_config_selectorIjLb0EEEZNS1_14transform_implILb0ES3_S5_PjN6thrust23THRUST_200600_302600_NS6detail15normal_iteratorINS9_10device_ptrIjEEEENS0_8identityIjEEEE10hipError_tT2_T3_mT4_P12ihipStream_tbEUlT_E_NS1_11comp_targetILNS1_3genE4ELNS1_11target_archE910ELNS1_3gpuE8ELNS1_3repE0EEENS1_30default_config_static_selectorELNS0_4arch9wavefront6targetE1EEEvT1_.numbered_sgpr, 0
	.set _ZN7rocprim17ROCPRIM_400000_NS6detail17trampoline_kernelINS0_14default_configENS1_25transform_config_selectorIjLb0EEEZNS1_14transform_implILb0ES3_S5_PjN6thrust23THRUST_200600_302600_NS6detail15normal_iteratorINS9_10device_ptrIjEEEENS0_8identityIjEEEE10hipError_tT2_T3_mT4_P12ihipStream_tbEUlT_E_NS1_11comp_targetILNS1_3genE4ELNS1_11target_archE910ELNS1_3gpuE8ELNS1_3repE0EEENS1_30default_config_static_selectorELNS0_4arch9wavefront6targetE1EEEvT1_.num_named_barrier, 0
	.set _ZN7rocprim17ROCPRIM_400000_NS6detail17trampoline_kernelINS0_14default_configENS1_25transform_config_selectorIjLb0EEEZNS1_14transform_implILb0ES3_S5_PjN6thrust23THRUST_200600_302600_NS6detail15normal_iteratorINS9_10device_ptrIjEEEENS0_8identityIjEEEE10hipError_tT2_T3_mT4_P12ihipStream_tbEUlT_E_NS1_11comp_targetILNS1_3genE4ELNS1_11target_archE910ELNS1_3gpuE8ELNS1_3repE0EEENS1_30default_config_static_selectorELNS0_4arch9wavefront6targetE1EEEvT1_.private_seg_size, 0
	.set _ZN7rocprim17ROCPRIM_400000_NS6detail17trampoline_kernelINS0_14default_configENS1_25transform_config_selectorIjLb0EEEZNS1_14transform_implILb0ES3_S5_PjN6thrust23THRUST_200600_302600_NS6detail15normal_iteratorINS9_10device_ptrIjEEEENS0_8identityIjEEEE10hipError_tT2_T3_mT4_P12ihipStream_tbEUlT_E_NS1_11comp_targetILNS1_3genE4ELNS1_11target_archE910ELNS1_3gpuE8ELNS1_3repE0EEENS1_30default_config_static_selectorELNS0_4arch9wavefront6targetE1EEEvT1_.uses_vcc, 0
	.set _ZN7rocprim17ROCPRIM_400000_NS6detail17trampoline_kernelINS0_14default_configENS1_25transform_config_selectorIjLb0EEEZNS1_14transform_implILb0ES3_S5_PjN6thrust23THRUST_200600_302600_NS6detail15normal_iteratorINS9_10device_ptrIjEEEENS0_8identityIjEEEE10hipError_tT2_T3_mT4_P12ihipStream_tbEUlT_E_NS1_11comp_targetILNS1_3genE4ELNS1_11target_archE910ELNS1_3gpuE8ELNS1_3repE0EEENS1_30default_config_static_selectorELNS0_4arch9wavefront6targetE1EEEvT1_.uses_flat_scratch, 0
	.set _ZN7rocprim17ROCPRIM_400000_NS6detail17trampoline_kernelINS0_14default_configENS1_25transform_config_selectorIjLb0EEEZNS1_14transform_implILb0ES3_S5_PjN6thrust23THRUST_200600_302600_NS6detail15normal_iteratorINS9_10device_ptrIjEEEENS0_8identityIjEEEE10hipError_tT2_T3_mT4_P12ihipStream_tbEUlT_E_NS1_11comp_targetILNS1_3genE4ELNS1_11target_archE910ELNS1_3gpuE8ELNS1_3repE0EEENS1_30default_config_static_selectorELNS0_4arch9wavefront6targetE1EEEvT1_.has_dyn_sized_stack, 0
	.set _ZN7rocprim17ROCPRIM_400000_NS6detail17trampoline_kernelINS0_14default_configENS1_25transform_config_selectorIjLb0EEEZNS1_14transform_implILb0ES3_S5_PjN6thrust23THRUST_200600_302600_NS6detail15normal_iteratorINS9_10device_ptrIjEEEENS0_8identityIjEEEE10hipError_tT2_T3_mT4_P12ihipStream_tbEUlT_E_NS1_11comp_targetILNS1_3genE4ELNS1_11target_archE910ELNS1_3gpuE8ELNS1_3repE0EEENS1_30default_config_static_selectorELNS0_4arch9wavefront6targetE1EEEvT1_.has_recursion, 0
	.set _ZN7rocprim17ROCPRIM_400000_NS6detail17trampoline_kernelINS0_14default_configENS1_25transform_config_selectorIjLb0EEEZNS1_14transform_implILb0ES3_S5_PjN6thrust23THRUST_200600_302600_NS6detail15normal_iteratorINS9_10device_ptrIjEEEENS0_8identityIjEEEE10hipError_tT2_T3_mT4_P12ihipStream_tbEUlT_E_NS1_11comp_targetILNS1_3genE4ELNS1_11target_archE910ELNS1_3gpuE8ELNS1_3repE0EEENS1_30default_config_static_selectorELNS0_4arch9wavefront6targetE1EEEvT1_.has_indirect_call, 0
	.section	.AMDGPU.csdata,"",@progbits
; Kernel info:
; codeLenInByte = 0
; TotalNumSgprs: 6
; NumVgprs: 0
; NumAgprs: 0
; TotalNumVgprs: 0
; ScratchSize: 0
; MemoryBound: 0
; FloatMode: 240
; IeeeMode: 1
; LDSByteSize: 0 bytes/workgroup (compile time only)
; SGPRBlocks: 0
; VGPRBlocks: 0
; NumSGPRsForWavesPerEU: 6
; NumVGPRsForWavesPerEU: 1
; AccumOffset: 4
; Occupancy: 8
; WaveLimiterHint : 0
; COMPUTE_PGM_RSRC2:SCRATCH_EN: 0
; COMPUTE_PGM_RSRC2:USER_SGPR: 2
; COMPUTE_PGM_RSRC2:TRAP_HANDLER: 0
; COMPUTE_PGM_RSRC2:TGID_X_EN: 1
; COMPUTE_PGM_RSRC2:TGID_Y_EN: 0
; COMPUTE_PGM_RSRC2:TGID_Z_EN: 0
; COMPUTE_PGM_RSRC2:TIDIG_COMP_CNT: 0
; COMPUTE_PGM_RSRC3_GFX90A:ACCUM_OFFSET: 0
; COMPUTE_PGM_RSRC3_GFX90A:TG_SPLIT: 0
	.section	.text._ZN7rocprim17ROCPRIM_400000_NS6detail17trampoline_kernelINS0_14default_configENS1_25transform_config_selectorIjLb0EEEZNS1_14transform_implILb0ES3_S5_PjN6thrust23THRUST_200600_302600_NS6detail15normal_iteratorINS9_10device_ptrIjEEEENS0_8identityIjEEEE10hipError_tT2_T3_mT4_P12ihipStream_tbEUlT_E_NS1_11comp_targetILNS1_3genE3ELNS1_11target_archE908ELNS1_3gpuE7ELNS1_3repE0EEENS1_30default_config_static_selectorELNS0_4arch9wavefront6targetE1EEEvT1_,"axG",@progbits,_ZN7rocprim17ROCPRIM_400000_NS6detail17trampoline_kernelINS0_14default_configENS1_25transform_config_selectorIjLb0EEEZNS1_14transform_implILb0ES3_S5_PjN6thrust23THRUST_200600_302600_NS6detail15normal_iteratorINS9_10device_ptrIjEEEENS0_8identityIjEEEE10hipError_tT2_T3_mT4_P12ihipStream_tbEUlT_E_NS1_11comp_targetILNS1_3genE3ELNS1_11target_archE908ELNS1_3gpuE7ELNS1_3repE0EEENS1_30default_config_static_selectorELNS0_4arch9wavefront6targetE1EEEvT1_,comdat
	.protected	_ZN7rocprim17ROCPRIM_400000_NS6detail17trampoline_kernelINS0_14default_configENS1_25transform_config_selectorIjLb0EEEZNS1_14transform_implILb0ES3_S5_PjN6thrust23THRUST_200600_302600_NS6detail15normal_iteratorINS9_10device_ptrIjEEEENS0_8identityIjEEEE10hipError_tT2_T3_mT4_P12ihipStream_tbEUlT_E_NS1_11comp_targetILNS1_3genE3ELNS1_11target_archE908ELNS1_3gpuE7ELNS1_3repE0EEENS1_30default_config_static_selectorELNS0_4arch9wavefront6targetE1EEEvT1_ ; -- Begin function _ZN7rocprim17ROCPRIM_400000_NS6detail17trampoline_kernelINS0_14default_configENS1_25transform_config_selectorIjLb0EEEZNS1_14transform_implILb0ES3_S5_PjN6thrust23THRUST_200600_302600_NS6detail15normal_iteratorINS9_10device_ptrIjEEEENS0_8identityIjEEEE10hipError_tT2_T3_mT4_P12ihipStream_tbEUlT_E_NS1_11comp_targetILNS1_3genE3ELNS1_11target_archE908ELNS1_3gpuE7ELNS1_3repE0EEENS1_30default_config_static_selectorELNS0_4arch9wavefront6targetE1EEEvT1_
	.globl	_ZN7rocprim17ROCPRIM_400000_NS6detail17trampoline_kernelINS0_14default_configENS1_25transform_config_selectorIjLb0EEEZNS1_14transform_implILb0ES3_S5_PjN6thrust23THRUST_200600_302600_NS6detail15normal_iteratorINS9_10device_ptrIjEEEENS0_8identityIjEEEE10hipError_tT2_T3_mT4_P12ihipStream_tbEUlT_E_NS1_11comp_targetILNS1_3genE3ELNS1_11target_archE908ELNS1_3gpuE7ELNS1_3repE0EEENS1_30default_config_static_selectorELNS0_4arch9wavefront6targetE1EEEvT1_
	.p2align	8
	.type	_ZN7rocprim17ROCPRIM_400000_NS6detail17trampoline_kernelINS0_14default_configENS1_25transform_config_selectorIjLb0EEEZNS1_14transform_implILb0ES3_S5_PjN6thrust23THRUST_200600_302600_NS6detail15normal_iteratorINS9_10device_ptrIjEEEENS0_8identityIjEEEE10hipError_tT2_T3_mT4_P12ihipStream_tbEUlT_E_NS1_11comp_targetILNS1_3genE3ELNS1_11target_archE908ELNS1_3gpuE7ELNS1_3repE0EEENS1_30default_config_static_selectorELNS0_4arch9wavefront6targetE1EEEvT1_,@function
_ZN7rocprim17ROCPRIM_400000_NS6detail17trampoline_kernelINS0_14default_configENS1_25transform_config_selectorIjLb0EEEZNS1_14transform_implILb0ES3_S5_PjN6thrust23THRUST_200600_302600_NS6detail15normal_iteratorINS9_10device_ptrIjEEEENS0_8identityIjEEEE10hipError_tT2_T3_mT4_P12ihipStream_tbEUlT_E_NS1_11comp_targetILNS1_3genE3ELNS1_11target_archE908ELNS1_3gpuE7ELNS1_3repE0EEENS1_30default_config_static_selectorELNS0_4arch9wavefront6targetE1EEEvT1_: ; @_ZN7rocprim17ROCPRIM_400000_NS6detail17trampoline_kernelINS0_14default_configENS1_25transform_config_selectorIjLb0EEEZNS1_14transform_implILb0ES3_S5_PjN6thrust23THRUST_200600_302600_NS6detail15normal_iteratorINS9_10device_ptrIjEEEENS0_8identityIjEEEE10hipError_tT2_T3_mT4_P12ihipStream_tbEUlT_E_NS1_11comp_targetILNS1_3genE3ELNS1_11target_archE908ELNS1_3gpuE7ELNS1_3repE0EEENS1_30default_config_static_selectorELNS0_4arch9wavefront6targetE1EEEvT1_
; %bb.0:
	.section	.rodata,"a",@progbits
	.p2align	6, 0x0
	.amdhsa_kernel _ZN7rocprim17ROCPRIM_400000_NS6detail17trampoline_kernelINS0_14default_configENS1_25transform_config_selectorIjLb0EEEZNS1_14transform_implILb0ES3_S5_PjN6thrust23THRUST_200600_302600_NS6detail15normal_iteratorINS9_10device_ptrIjEEEENS0_8identityIjEEEE10hipError_tT2_T3_mT4_P12ihipStream_tbEUlT_E_NS1_11comp_targetILNS1_3genE3ELNS1_11target_archE908ELNS1_3gpuE7ELNS1_3repE0EEENS1_30default_config_static_selectorELNS0_4arch9wavefront6targetE1EEEvT1_
		.amdhsa_group_segment_fixed_size 0
		.amdhsa_private_segment_fixed_size 0
		.amdhsa_kernarg_size 40
		.amdhsa_user_sgpr_count 2
		.amdhsa_user_sgpr_dispatch_ptr 0
		.amdhsa_user_sgpr_queue_ptr 0
		.amdhsa_user_sgpr_kernarg_segment_ptr 1
		.amdhsa_user_sgpr_dispatch_id 0
		.amdhsa_user_sgpr_kernarg_preload_length 0
		.amdhsa_user_sgpr_kernarg_preload_offset 0
		.amdhsa_user_sgpr_private_segment_size 0
		.amdhsa_uses_dynamic_stack 0
		.amdhsa_enable_private_segment 0
		.amdhsa_system_sgpr_workgroup_id_x 1
		.amdhsa_system_sgpr_workgroup_id_y 0
		.amdhsa_system_sgpr_workgroup_id_z 0
		.amdhsa_system_sgpr_workgroup_info 0
		.amdhsa_system_vgpr_workitem_id 0
		.amdhsa_next_free_vgpr 1
		.amdhsa_next_free_sgpr 0
		.amdhsa_accum_offset 4
		.amdhsa_reserve_vcc 0
		.amdhsa_float_round_mode_32 0
		.amdhsa_float_round_mode_16_64 0
		.amdhsa_float_denorm_mode_32 3
		.amdhsa_float_denorm_mode_16_64 3
		.amdhsa_dx10_clamp 1
		.amdhsa_ieee_mode 1
		.amdhsa_fp16_overflow 0
		.amdhsa_tg_split 0
		.amdhsa_exception_fp_ieee_invalid_op 0
		.amdhsa_exception_fp_denorm_src 0
		.amdhsa_exception_fp_ieee_div_zero 0
		.amdhsa_exception_fp_ieee_overflow 0
		.amdhsa_exception_fp_ieee_underflow 0
		.amdhsa_exception_fp_ieee_inexact 0
		.amdhsa_exception_int_div_zero 0
	.end_amdhsa_kernel
	.section	.text._ZN7rocprim17ROCPRIM_400000_NS6detail17trampoline_kernelINS0_14default_configENS1_25transform_config_selectorIjLb0EEEZNS1_14transform_implILb0ES3_S5_PjN6thrust23THRUST_200600_302600_NS6detail15normal_iteratorINS9_10device_ptrIjEEEENS0_8identityIjEEEE10hipError_tT2_T3_mT4_P12ihipStream_tbEUlT_E_NS1_11comp_targetILNS1_3genE3ELNS1_11target_archE908ELNS1_3gpuE7ELNS1_3repE0EEENS1_30default_config_static_selectorELNS0_4arch9wavefront6targetE1EEEvT1_,"axG",@progbits,_ZN7rocprim17ROCPRIM_400000_NS6detail17trampoline_kernelINS0_14default_configENS1_25transform_config_selectorIjLb0EEEZNS1_14transform_implILb0ES3_S5_PjN6thrust23THRUST_200600_302600_NS6detail15normal_iteratorINS9_10device_ptrIjEEEENS0_8identityIjEEEE10hipError_tT2_T3_mT4_P12ihipStream_tbEUlT_E_NS1_11comp_targetILNS1_3genE3ELNS1_11target_archE908ELNS1_3gpuE7ELNS1_3repE0EEENS1_30default_config_static_selectorELNS0_4arch9wavefront6targetE1EEEvT1_,comdat
.Lfunc_end670:
	.size	_ZN7rocprim17ROCPRIM_400000_NS6detail17trampoline_kernelINS0_14default_configENS1_25transform_config_selectorIjLb0EEEZNS1_14transform_implILb0ES3_S5_PjN6thrust23THRUST_200600_302600_NS6detail15normal_iteratorINS9_10device_ptrIjEEEENS0_8identityIjEEEE10hipError_tT2_T3_mT4_P12ihipStream_tbEUlT_E_NS1_11comp_targetILNS1_3genE3ELNS1_11target_archE908ELNS1_3gpuE7ELNS1_3repE0EEENS1_30default_config_static_selectorELNS0_4arch9wavefront6targetE1EEEvT1_, .Lfunc_end670-_ZN7rocprim17ROCPRIM_400000_NS6detail17trampoline_kernelINS0_14default_configENS1_25transform_config_selectorIjLb0EEEZNS1_14transform_implILb0ES3_S5_PjN6thrust23THRUST_200600_302600_NS6detail15normal_iteratorINS9_10device_ptrIjEEEENS0_8identityIjEEEE10hipError_tT2_T3_mT4_P12ihipStream_tbEUlT_E_NS1_11comp_targetILNS1_3genE3ELNS1_11target_archE908ELNS1_3gpuE7ELNS1_3repE0EEENS1_30default_config_static_selectorELNS0_4arch9wavefront6targetE1EEEvT1_
                                        ; -- End function
	.set _ZN7rocprim17ROCPRIM_400000_NS6detail17trampoline_kernelINS0_14default_configENS1_25transform_config_selectorIjLb0EEEZNS1_14transform_implILb0ES3_S5_PjN6thrust23THRUST_200600_302600_NS6detail15normal_iteratorINS9_10device_ptrIjEEEENS0_8identityIjEEEE10hipError_tT2_T3_mT4_P12ihipStream_tbEUlT_E_NS1_11comp_targetILNS1_3genE3ELNS1_11target_archE908ELNS1_3gpuE7ELNS1_3repE0EEENS1_30default_config_static_selectorELNS0_4arch9wavefront6targetE1EEEvT1_.num_vgpr, 0
	.set _ZN7rocprim17ROCPRIM_400000_NS6detail17trampoline_kernelINS0_14default_configENS1_25transform_config_selectorIjLb0EEEZNS1_14transform_implILb0ES3_S5_PjN6thrust23THRUST_200600_302600_NS6detail15normal_iteratorINS9_10device_ptrIjEEEENS0_8identityIjEEEE10hipError_tT2_T3_mT4_P12ihipStream_tbEUlT_E_NS1_11comp_targetILNS1_3genE3ELNS1_11target_archE908ELNS1_3gpuE7ELNS1_3repE0EEENS1_30default_config_static_selectorELNS0_4arch9wavefront6targetE1EEEvT1_.num_agpr, 0
	.set _ZN7rocprim17ROCPRIM_400000_NS6detail17trampoline_kernelINS0_14default_configENS1_25transform_config_selectorIjLb0EEEZNS1_14transform_implILb0ES3_S5_PjN6thrust23THRUST_200600_302600_NS6detail15normal_iteratorINS9_10device_ptrIjEEEENS0_8identityIjEEEE10hipError_tT2_T3_mT4_P12ihipStream_tbEUlT_E_NS1_11comp_targetILNS1_3genE3ELNS1_11target_archE908ELNS1_3gpuE7ELNS1_3repE0EEENS1_30default_config_static_selectorELNS0_4arch9wavefront6targetE1EEEvT1_.numbered_sgpr, 0
	.set _ZN7rocprim17ROCPRIM_400000_NS6detail17trampoline_kernelINS0_14default_configENS1_25transform_config_selectorIjLb0EEEZNS1_14transform_implILb0ES3_S5_PjN6thrust23THRUST_200600_302600_NS6detail15normal_iteratorINS9_10device_ptrIjEEEENS0_8identityIjEEEE10hipError_tT2_T3_mT4_P12ihipStream_tbEUlT_E_NS1_11comp_targetILNS1_3genE3ELNS1_11target_archE908ELNS1_3gpuE7ELNS1_3repE0EEENS1_30default_config_static_selectorELNS0_4arch9wavefront6targetE1EEEvT1_.num_named_barrier, 0
	.set _ZN7rocprim17ROCPRIM_400000_NS6detail17trampoline_kernelINS0_14default_configENS1_25transform_config_selectorIjLb0EEEZNS1_14transform_implILb0ES3_S5_PjN6thrust23THRUST_200600_302600_NS6detail15normal_iteratorINS9_10device_ptrIjEEEENS0_8identityIjEEEE10hipError_tT2_T3_mT4_P12ihipStream_tbEUlT_E_NS1_11comp_targetILNS1_3genE3ELNS1_11target_archE908ELNS1_3gpuE7ELNS1_3repE0EEENS1_30default_config_static_selectorELNS0_4arch9wavefront6targetE1EEEvT1_.private_seg_size, 0
	.set _ZN7rocprim17ROCPRIM_400000_NS6detail17trampoline_kernelINS0_14default_configENS1_25transform_config_selectorIjLb0EEEZNS1_14transform_implILb0ES3_S5_PjN6thrust23THRUST_200600_302600_NS6detail15normal_iteratorINS9_10device_ptrIjEEEENS0_8identityIjEEEE10hipError_tT2_T3_mT4_P12ihipStream_tbEUlT_E_NS1_11comp_targetILNS1_3genE3ELNS1_11target_archE908ELNS1_3gpuE7ELNS1_3repE0EEENS1_30default_config_static_selectorELNS0_4arch9wavefront6targetE1EEEvT1_.uses_vcc, 0
	.set _ZN7rocprim17ROCPRIM_400000_NS6detail17trampoline_kernelINS0_14default_configENS1_25transform_config_selectorIjLb0EEEZNS1_14transform_implILb0ES3_S5_PjN6thrust23THRUST_200600_302600_NS6detail15normal_iteratorINS9_10device_ptrIjEEEENS0_8identityIjEEEE10hipError_tT2_T3_mT4_P12ihipStream_tbEUlT_E_NS1_11comp_targetILNS1_3genE3ELNS1_11target_archE908ELNS1_3gpuE7ELNS1_3repE0EEENS1_30default_config_static_selectorELNS0_4arch9wavefront6targetE1EEEvT1_.uses_flat_scratch, 0
	.set _ZN7rocprim17ROCPRIM_400000_NS6detail17trampoline_kernelINS0_14default_configENS1_25transform_config_selectorIjLb0EEEZNS1_14transform_implILb0ES3_S5_PjN6thrust23THRUST_200600_302600_NS6detail15normal_iteratorINS9_10device_ptrIjEEEENS0_8identityIjEEEE10hipError_tT2_T3_mT4_P12ihipStream_tbEUlT_E_NS1_11comp_targetILNS1_3genE3ELNS1_11target_archE908ELNS1_3gpuE7ELNS1_3repE0EEENS1_30default_config_static_selectorELNS0_4arch9wavefront6targetE1EEEvT1_.has_dyn_sized_stack, 0
	.set _ZN7rocprim17ROCPRIM_400000_NS6detail17trampoline_kernelINS0_14default_configENS1_25transform_config_selectorIjLb0EEEZNS1_14transform_implILb0ES3_S5_PjN6thrust23THRUST_200600_302600_NS6detail15normal_iteratorINS9_10device_ptrIjEEEENS0_8identityIjEEEE10hipError_tT2_T3_mT4_P12ihipStream_tbEUlT_E_NS1_11comp_targetILNS1_3genE3ELNS1_11target_archE908ELNS1_3gpuE7ELNS1_3repE0EEENS1_30default_config_static_selectorELNS0_4arch9wavefront6targetE1EEEvT1_.has_recursion, 0
	.set _ZN7rocprim17ROCPRIM_400000_NS6detail17trampoline_kernelINS0_14default_configENS1_25transform_config_selectorIjLb0EEEZNS1_14transform_implILb0ES3_S5_PjN6thrust23THRUST_200600_302600_NS6detail15normal_iteratorINS9_10device_ptrIjEEEENS0_8identityIjEEEE10hipError_tT2_T3_mT4_P12ihipStream_tbEUlT_E_NS1_11comp_targetILNS1_3genE3ELNS1_11target_archE908ELNS1_3gpuE7ELNS1_3repE0EEENS1_30default_config_static_selectorELNS0_4arch9wavefront6targetE1EEEvT1_.has_indirect_call, 0
	.section	.AMDGPU.csdata,"",@progbits
; Kernel info:
; codeLenInByte = 0
; TotalNumSgprs: 6
; NumVgprs: 0
; NumAgprs: 0
; TotalNumVgprs: 0
; ScratchSize: 0
; MemoryBound: 0
; FloatMode: 240
; IeeeMode: 1
; LDSByteSize: 0 bytes/workgroup (compile time only)
; SGPRBlocks: 0
; VGPRBlocks: 0
; NumSGPRsForWavesPerEU: 6
; NumVGPRsForWavesPerEU: 1
; AccumOffset: 4
; Occupancy: 8
; WaveLimiterHint : 0
; COMPUTE_PGM_RSRC2:SCRATCH_EN: 0
; COMPUTE_PGM_RSRC2:USER_SGPR: 2
; COMPUTE_PGM_RSRC2:TRAP_HANDLER: 0
; COMPUTE_PGM_RSRC2:TGID_X_EN: 1
; COMPUTE_PGM_RSRC2:TGID_Y_EN: 0
; COMPUTE_PGM_RSRC2:TGID_Z_EN: 0
; COMPUTE_PGM_RSRC2:TIDIG_COMP_CNT: 0
; COMPUTE_PGM_RSRC3_GFX90A:ACCUM_OFFSET: 0
; COMPUTE_PGM_RSRC3_GFX90A:TG_SPLIT: 0
	.section	.text._ZN7rocprim17ROCPRIM_400000_NS6detail17trampoline_kernelINS0_14default_configENS1_25transform_config_selectorIjLb0EEEZNS1_14transform_implILb0ES3_S5_PjN6thrust23THRUST_200600_302600_NS6detail15normal_iteratorINS9_10device_ptrIjEEEENS0_8identityIjEEEE10hipError_tT2_T3_mT4_P12ihipStream_tbEUlT_E_NS1_11comp_targetILNS1_3genE2ELNS1_11target_archE906ELNS1_3gpuE6ELNS1_3repE0EEENS1_30default_config_static_selectorELNS0_4arch9wavefront6targetE1EEEvT1_,"axG",@progbits,_ZN7rocprim17ROCPRIM_400000_NS6detail17trampoline_kernelINS0_14default_configENS1_25transform_config_selectorIjLb0EEEZNS1_14transform_implILb0ES3_S5_PjN6thrust23THRUST_200600_302600_NS6detail15normal_iteratorINS9_10device_ptrIjEEEENS0_8identityIjEEEE10hipError_tT2_T3_mT4_P12ihipStream_tbEUlT_E_NS1_11comp_targetILNS1_3genE2ELNS1_11target_archE906ELNS1_3gpuE6ELNS1_3repE0EEENS1_30default_config_static_selectorELNS0_4arch9wavefront6targetE1EEEvT1_,comdat
	.protected	_ZN7rocprim17ROCPRIM_400000_NS6detail17trampoline_kernelINS0_14default_configENS1_25transform_config_selectorIjLb0EEEZNS1_14transform_implILb0ES3_S5_PjN6thrust23THRUST_200600_302600_NS6detail15normal_iteratorINS9_10device_ptrIjEEEENS0_8identityIjEEEE10hipError_tT2_T3_mT4_P12ihipStream_tbEUlT_E_NS1_11comp_targetILNS1_3genE2ELNS1_11target_archE906ELNS1_3gpuE6ELNS1_3repE0EEENS1_30default_config_static_selectorELNS0_4arch9wavefront6targetE1EEEvT1_ ; -- Begin function _ZN7rocprim17ROCPRIM_400000_NS6detail17trampoline_kernelINS0_14default_configENS1_25transform_config_selectorIjLb0EEEZNS1_14transform_implILb0ES3_S5_PjN6thrust23THRUST_200600_302600_NS6detail15normal_iteratorINS9_10device_ptrIjEEEENS0_8identityIjEEEE10hipError_tT2_T3_mT4_P12ihipStream_tbEUlT_E_NS1_11comp_targetILNS1_3genE2ELNS1_11target_archE906ELNS1_3gpuE6ELNS1_3repE0EEENS1_30default_config_static_selectorELNS0_4arch9wavefront6targetE1EEEvT1_
	.globl	_ZN7rocprim17ROCPRIM_400000_NS6detail17trampoline_kernelINS0_14default_configENS1_25transform_config_selectorIjLb0EEEZNS1_14transform_implILb0ES3_S5_PjN6thrust23THRUST_200600_302600_NS6detail15normal_iteratorINS9_10device_ptrIjEEEENS0_8identityIjEEEE10hipError_tT2_T3_mT4_P12ihipStream_tbEUlT_E_NS1_11comp_targetILNS1_3genE2ELNS1_11target_archE906ELNS1_3gpuE6ELNS1_3repE0EEENS1_30default_config_static_selectorELNS0_4arch9wavefront6targetE1EEEvT1_
	.p2align	8
	.type	_ZN7rocprim17ROCPRIM_400000_NS6detail17trampoline_kernelINS0_14default_configENS1_25transform_config_selectorIjLb0EEEZNS1_14transform_implILb0ES3_S5_PjN6thrust23THRUST_200600_302600_NS6detail15normal_iteratorINS9_10device_ptrIjEEEENS0_8identityIjEEEE10hipError_tT2_T3_mT4_P12ihipStream_tbEUlT_E_NS1_11comp_targetILNS1_3genE2ELNS1_11target_archE906ELNS1_3gpuE6ELNS1_3repE0EEENS1_30default_config_static_selectorELNS0_4arch9wavefront6targetE1EEEvT1_,@function
_ZN7rocprim17ROCPRIM_400000_NS6detail17trampoline_kernelINS0_14default_configENS1_25transform_config_selectorIjLb0EEEZNS1_14transform_implILb0ES3_S5_PjN6thrust23THRUST_200600_302600_NS6detail15normal_iteratorINS9_10device_ptrIjEEEENS0_8identityIjEEEE10hipError_tT2_T3_mT4_P12ihipStream_tbEUlT_E_NS1_11comp_targetILNS1_3genE2ELNS1_11target_archE906ELNS1_3gpuE6ELNS1_3repE0EEENS1_30default_config_static_selectorELNS0_4arch9wavefront6targetE1EEEvT1_: ; @_ZN7rocprim17ROCPRIM_400000_NS6detail17trampoline_kernelINS0_14default_configENS1_25transform_config_selectorIjLb0EEEZNS1_14transform_implILb0ES3_S5_PjN6thrust23THRUST_200600_302600_NS6detail15normal_iteratorINS9_10device_ptrIjEEEENS0_8identityIjEEEE10hipError_tT2_T3_mT4_P12ihipStream_tbEUlT_E_NS1_11comp_targetILNS1_3genE2ELNS1_11target_archE906ELNS1_3gpuE6ELNS1_3repE0EEENS1_30default_config_static_selectorELNS0_4arch9wavefront6targetE1EEEvT1_
; %bb.0:
	.section	.rodata,"a",@progbits
	.p2align	6, 0x0
	.amdhsa_kernel _ZN7rocprim17ROCPRIM_400000_NS6detail17trampoline_kernelINS0_14default_configENS1_25transform_config_selectorIjLb0EEEZNS1_14transform_implILb0ES3_S5_PjN6thrust23THRUST_200600_302600_NS6detail15normal_iteratorINS9_10device_ptrIjEEEENS0_8identityIjEEEE10hipError_tT2_T3_mT4_P12ihipStream_tbEUlT_E_NS1_11comp_targetILNS1_3genE2ELNS1_11target_archE906ELNS1_3gpuE6ELNS1_3repE0EEENS1_30default_config_static_selectorELNS0_4arch9wavefront6targetE1EEEvT1_
		.amdhsa_group_segment_fixed_size 0
		.amdhsa_private_segment_fixed_size 0
		.amdhsa_kernarg_size 40
		.amdhsa_user_sgpr_count 2
		.amdhsa_user_sgpr_dispatch_ptr 0
		.amdhsa_user_sgpr_queue_ptr 0
		.amdhsa_user_sgpr_kernarg_segment_ptr 1
		.amdhsa_user_sgpr_dispatch_id 0
		.amdhsa_user_sgpr_kernarg_preload_length 0
		.amdhsa_user_sgpr_kernarg_preload_offset 0
		.amdhsa_user_sgpr_private_segment_size 0
		.amdhsa_uses_dynamic_stack 0
		.amdhsa_enable_private_segment 0
		.amdhsa_system_sgpr_workgroup_id_x 1
		.amdhsa_system_sgpr_workgroup_id_y 0
		.amdhsa_system_sgpr_workgroup_id_z 0
		.amdhsa_system_sgpr_workgroup_info 0
		.amdhsa_system_vgpr_workitem_id 0
		.amdhsa_next_free_vgpr 1
		.amdhsa_next_free_sgpr 0
		.amdhsa_accum_offset 4
		.amdhsa_reserve_vcc 0
		.amdhsa_float_round_mode_32 0
		.amdhsa_float_round_mode_16_64 0
		.amdhsa_float_denorm_mode_32 3
		.amdhsa_float_denorm_mode_16_64 3
		.amdhsa_dx10_clamp 1
		.amdhsa_ieee_mode 1
		.amdhsa_fp16_overflow 0
		.amdhsa_tg_split 0
		.amdhsa_exception_fp_ieee_invalid_op 0
		.amdhsa_exception_fp_denorm_src 0
		.amdhsa_exception_fp_ieee_div_zero 0
		.amdhsa_exception_fp_ieee_overflow 0
		.amdhsa_exception_fp_ieee_underflow 0
		.amdhsa_exception_fp_ieee_inexact 0
		.amdhsa_exception_int_div_zero 0
	.end_amdhsa_kernel
	.section	.text._ZN7rocprim17ROCPRIM_400000_NS6detail17trampoline_kernelINS0_14default_configENS1_25transform_config_selectorIjLb0EEEZNS1_14transform_implILb0ES3_S5_PjN6thrust23THRUST_200600_302600_NS6detail15normal_iteratorINS9_10device_ptrIjEEEENS0_8identityIjEEEE10hipError_tT2_T3_mT4_P12ihipStream_tbEUlT_E_NS1_11comp_targetILNS1_3genE2ELNS1_11target_archE906ELNS1_3gpuE6ELNS1_3repE0EEENS1_30default_config_static_selectorELNS0_4arch9wavefront6targetE1EEEvT1_,"axG",@progbits,_ZN7rocprim17ROCPRIM_400000_NS6detail17trampoline_kernelINS0_14default_configENS1_25transform_config_selectorIjLb0EEEZNS1_14transform_implILb0ES3_S5_PjN6thrust23THRUST_200600_302600_NS6detail15normal_iteratorINS9_10device_ptrIjEEEENS0_8identityIjEEEE10hipError_tT2_T3_mT4_P12ihipStream_tbEUlT_E_NS1_11comp_targetILNS1_3genE2ELNS1_11target_archE906ELNS1_3gpuE6ELNS1_3repE0EEENS1_30default_config_static_selectorELNS0_4arch9wavefront6targetE1EEEvT1_,comdat
.Lfunc_end671:
	.size	_ZN7rocprim17ROCPRIM_400000_NS6detail17trampoline_kernelINS0_14default_configENS1_25transform_config_selectorIjLb0EEEZNS1_14transform_implILb0ES3_S5_PjN6thrust23THRUST_200600_302600_NS6detail15normal_iteratorINS9_10device_ptrIjEEEENS0_8identityIjEEEE10hipError_tT2_T3_mT4_P12ihipStream_tbEUlT_E_NS1_11comp_targetILNS1_3genE2ELNS1_11target_archE906ELNS1_3gpuE6ELNS1_3repE0EEENS1_30default_config_static_selectorELNS0_4arch9wavefront6targetE1EEEvT1_, .Lfunc_end671-_ZN7rocprim17ROCPRIM_400000_NS6detail17trampoline_kernelINS0_14default_configENS1_25transform_config_selectorIjLb0EEEZNS1_14transform_implILb0ES3_S5_PjN6thrust23THRUST_200600_302600_NS6detail15normal_iteratorINS9_10device_ptrIjEEEENS0_8identityIjEEEE10hipError_tT2_T3_mT4_P12ihipStream_tbEUlT_E_NS1_11comp_targetILNS1_3genE2ELNS1_11target_archE906ELNS1_3gpuE6ELNS1_3repE0EEENS1_30default_config_static_selectorELNS0_4arch9wavefront6targetE1EEEvT1_
                                        ; -- End function
	.set _ZN7rocprim17ROCPRIM_400000_NS6detail17trampoline_kernelINS0_14default_configENS1_25transform_config_selectorIjLb0EEEZNS1_14transform_implILb0ES3_S5_PjN6thrust23THRUST_200600_302600_NS6detail15normal_iteratorINS9_10device_ptrIjEEEENS0_8identityIjEEEE10hipError_tT2_T3_mT4_P12ihipStream_tbEUlT_E_NS1_11comp_targetILNS1_3genE2ELNS1_11target_archE906ELNS1_3gpuE6ELNS1_3repE0EEENS1_30default_config_static_selectorELNS0_4arch9wavefront6targetE1EEEvT1_.num_vgpr, 0
	.set _ZN7rocprim17ROCPRIM_400000_NS6detail17trampoline_kernelINS0_14default_configENS1_25transform_config_selectorIjLb0EEEZNS1_14transform_implILb0ES3_S5_PjN6thrust23THRUST_200600_302600_NS6detail15normal_iteratorINS9_10device_ptrIjEEEENS0_8identityIjEEEE10hipError_tT2_T3_mT4_P12ihipStream_tbEUlT_E_NS1_11comp_targetILNS1_3genE2ELNS1_11target_archE906ELNS1_3gpuE6ELNS1_3repE0EEENS1_30default_config_static_selectorELNS0_4arch9wavefront6targetE1EEEvT1_.num_agpr, 0
	.set _ZN7rocprim17ROCPRIM_400000_NS6detail17trampoline_kernelINS0_14default_configENS1_25transform_config_selectorIjLb0EEEZNS1_14transform_implILb0ES3_S5_PjN6thrust23THRUST_200600_302600_NS6detail15normal_iteratorINS9_10device_ptrIjEEEENS0_8identityIjEEEE10hipError_tT2_T3_mT4_P12ihipStream_tbEUlT_E_NS1_11comp_targetILNS1_3genE2ELNS1_11target_archE906ELNS1_3gpuE6ELNS1_3repE0EEENS1_30default_config_static_selectorELNS0_4arch9wavefront6targetE1EEEvT1_.numbered_sgpr, 0
	.set _ZN7rocprim17ROCPRIM_400000_NS6detail17trampoline_kernelINS0_14default_configENS1_25transform_config_selectorIjLb0EEEZNS1_14transform_implILb0ES3_S5_PjN6thrust23THRUST_200600_302600_NS6detail15normal_iteratorINS9_10device_ptrIjEEEENS0_8identityIjEEEE10hipError_tT2_T3_mT4_P12ihipStream_tbEUlT_E_NS1_11comp_targetILNS1_3genE2ELNS1_11target_archE906ELNS1_3gpuE6ELNS1_3repE0EEENS1_30default_config_static_selectorELNS0_4arch9wavefront6targetE1EEEvT1_.num_named_barrier, 0
	.set _ZN7rocprim17ROCPRIM_400000_NS6detail17trampoline_kernelINS0_14default_configENS1_25transform_config_selectorIjLb0EEEZNS1_14transform_implILb0ES3_S5_PjN6thrust23THRUST_200600_302600_NS6detail15normal_iteratorINS9_10device_ptrIjEEEENS0_8identityIjEEEE10hipError_tT2_T3_mT4_P12ihipStream_tbEUlT_E_NS1_11comp_targetILNS1_3genE2ELNS1_11target_archE906ELNS1_3gpuE6ELNS1_3repE0EEENS1_30default_config_static_selectorELNS0_4arch9wavefront6targetE1EEEvT1_.private_seg_size, 0
	.set _ZN7rocprim17ROCPRIM_400000_NS6detail17trampoline_kernelINS0_14default_configENS1_25transform_config_selectorIjLb0EEEZNS1_14transform_implILb0ES3_S5_PjN6thrust23THRUST_200600_302600_NS6detail15normal_iteratorINS9_10device_ptrIjEEEENS0_8identityIjEEEE10hipError_tT2_T3_mT4_P12ihipStream_tbEUlT_E_NS1_11comp_targetILNS1_3genE2ELNS1_11target_archE906ELNS1_3gpuE6ELNS1_3repE0EEENS1_30default_config_static_selectorELNS0_4arch9wavefront6targetE1EEEvT1_.uses_vcc, 0
	.set _ZN7rocprim17ROCPRIM_400000_NS6detail17trampoline_kernelINS0_14default_configENS1_25transform_config_selectorIjLb0EEEZNS1_14transform_implILb0ES3_S5_PjN6thrust23THRUST_200600_302600_NS6detail15normal_iteratorINS9_10device_ptrIjEEEENS0_8identityIjEEEE10hipError_tT2_T3_mT4_P12ihipStream_tbEUlT_E_NS1_11comp_targetILNS1_3genE2ELNS1_11target_archE906ELNS1_3gpuE6ELNS1_3repE0EEENS1_30default_config_static_selectorELNS0_4arch9wavefront6targetE1EEEvT1_.uses_flat_scratch, 0
	.set _ZN7rocprim17ROCPRIM_400000_NS6detail17trampoline_kernelINS0_14default_configENS1_25transform_config_selectorIjLb0EEEZNS1_14transform_implILb0ES3_S5_PjN6thrust23THRUST_200600_302600_NS6detail15normal_iteratorINS9_10device_ptrIjEEEENS0_8identityIjEEEE10hipError_tT2_T3_mT4_P12ihipStream_tbEUlT_E_NS1_11comp_targetILNS1_3genE2ELNS1_11target_archE906ELNS1_3gpuE6ELNS1_3repE0EEENS1_30default_config_static_selectorELNS0_4arch9wavefront6targetE1EEEvT1_.has_dyn_sized_stack, 0
	.set _ZN7rocprim17ROCPRIM_400000_NS6detail17trampoline_kernelINS0_14default_configENS1_25transform_config_selectorIjLb0EEEZNS1_14transform_implILb0ES3_S5_PjN6thrust23THRUST_200600_302600_NS6detail15normal_iteratorINS9_10device_ptrIjEEEENS0_8identityIjEEEE10hipError_tT2_T3_mT4_P12ihipStream_tbEUlT_E_NS1_11comp_targetILNS1_3genE2ELNS1_11target_archE906ELNS1_3gpuE6ELNS1_3repE0EEENS1_30default_config_static_selectorELNS0_4arch9wavefront6targetE1EEEvT1_.has_recursion, 0
	.set _ZN7rocprim17ROCPRIM_400000_NS6detail17trampoline_kernelINS0_14default_configENS1_25transform_config_selectorIjLb0EEEZNS1_14transform_implILb0ES3_S5_PjN6thrust23THRUST_200600_302600_NS6detail15normal_iteratorINS9_10device_ptrIjEEEENS0_8identityIjEEEE10hipError_tT2_T3_mT4_P12ihipStream_tbEUlT_E_NS1_11comp_targetILNS1_3genE2ELNS1_11target_archE906ELNS1_3gpuE6ELNS1_3repE0EEENS1_30default_config_static_selectorELNS0_4arch9wavefront6targetE1EEEvT1_.has_indirect_call, 0
	.section	.AMDGPU.csdata,"",@progbits
; Kernel info:
; codeLenInByte = 0
; TotalNumSgprs: 6
; NumVgprs: 0
; NumAgprs: 0
; TotalNumVgprs: 0
; ScratchSize: 0
; MemoryBound: 0
; FloatMode: 240
; IeeeMode: 1
; LDSByteSize: 0 bytes/workgroup (compile time only)
; SGPRBlocks: 0
; VGPRBlocks: 0
; NumSGPRsForWavesPerEU: 6
; NumVGPRsForWavesPerEU: 1
; AccumOffset: 4
; Occupancy: 8
; WaveLimiterHint : 0
; COMPUTE_PGM_RSRC2:SCRATCH_EN: 0
; COMPUTE_PGM_RSRC2:USER_SGPR: 2
; COMPUTE_PGM_RSRC2:TRAP_HANDLER: 0
; COMPUTE_PGM_RSRC2:TGID_X_EN: 1
; COMPUTE_PGM_RSRC2:TGID_Y_EN: 0
; COMPUTE_PGM_RSRC2:TGID_Z_EN: 0
; COMPUTE_PGM_RSRC2:TIDIG_COMP_CNT: 0
; COMPUTE_PGM_RSRC3_GFX90A:ACCUM_OFFSET: 0
; COMPUTE_PGM_RSRC3_GFX90A:TG_SPLIT: 0
	.section	.text._ZN7rocprim17ROCPRIM_400000_NS6detail17trampoline_kernelINS0_14default_configENS1_25transform_config_selectorIjLb0EEEZNS1_14transform_implILb0ES3_S5_PjN6thrust23THRUST_200600_302600_NS6detail15normal_iteratorINS9_10device_ptrIjEEEENS0_8identityIjEEEE10hipError_tT2_T3_mT4_P12ihipStream_tbEUlT_E_NS1_11comp_targetILNS1_3genE10ELNS1_11target_archE1201ELNS1_3gpuE5ELNS1_3repE0EEENS1_30default_config_static_selectorELNS0_4arch9wavefront6targetE1EEEvT1_,"axG",@progbits,_ZN7rocprim17ROCPRIM_400000_NS6detail17trampoline_kernelINS0_14default_configENS1_25transform_config_selectorIjLb0EEEZNS1_14transform_implILb0ES3_S5_PjN6thrust23THRUST_200600_302600_NS6detail15normal_iteratorINS9_10device_ptrIjEEEENS0_8identityIjEEEE10hipError_tT2_T3_mT4_P12ihipStream_tbEUlT_E_NS1_11comp_targetILNS1_3genE10ELNS1_11target_archE1201ELNS1_3gpuE5ELNS1_3repE0EEENS1_30default_config_static_selectorELNS0_4arch9wavefront6targetE1EEEvT1_,comdat
	.protected	_ZN7rocprim17ROCPRIM_400000_NS6detail17trampoline_kernelINS0_14default_configENS1_25transform_config_selectorIjLb0EEEZNS1_14transform_implILb0ES3_S5_PjN6thrust23THRUST_200600_302600_NS6detail15normal_iteratorINS9_10device_ptrIjEEEENS0_8identityIjEEEE10hipError_tT2_T3_mT4_P12ihipStream_tbEUlT_E_NS1_11comp_targetILNS1_3genE10ELNS1_11target_archE1201ELNS1_3gpuE5ELNS1_3repE0EEENS1_30default_config_static_selectorELNS0_4arch9wavefront6targetE1EEEvT1_ ; -- Begin function _ZN7rocprim17ROCPRIM_400000_NS6detail17trampoline_kernelINS0_14default_configENS1_25transform_config_selectorIjLb0EEEZNS1_14transform_implILb0ES3_S5_PjN6thrust23THRUST_200600_302600_NS6detail15normal_iteratorINS9_10device_ptrIjEEEENS0_8identityIjEEEE10hipError_tT2_T3_mT4_P12ihipStream_tbEUlT_E_NS1_11comp_targetILNS1_3genE10ELNS1_11target_archE1201ELNS1_3gpuE5ELNS1_3repE0EEENS1_30default_config_static_selectorELNS0_4arch9wavefront6targetE1EEEvT1_
	.globl	_ZN7rocprim17ROCPRIM_400000_NS6detail17trampoline_kernelINS0_14default_configENS1_25transform_config_selectorIjLb0EEEZNS1_14transform_implILb0ES3_S5_PjN6thrust23THRUST_200600_302600_NS6detail15normal_iteratorINS9_10device_ptrIjEEEENS0_8identityIjEEEE10hipError_tT2_T3_mT4_P12ihipStream_tbEUlT_E_NS1_11comp_targetILNS1_3genE10ELNS1_11target_archE1201ELNS1_3gpuE5ELNS1_3repE0EEENS1_30default_config_static_selectorELNS0_4arch9wavefront6targetE1EEEvT1_
	.p2align	8
	.type	_ZN7rocprim17ROCPRIM_400000_NS6detail17trampoline_kernelINS0_14default_configENS1_25transform_config_selectorIjLb0EEEZNS1_14transform_implILb0ES3_S5_PjN6thrust23THRUST_200600_302600_NS6detail15normal_iteratorINS9_10device_ptrIjEEEENS0_8identityIjEEEE10hipError_tT2_T3_mT4_P12ihipStream_tbEUlT_E_NS1_11comp_targetILNS1_3genE10ELNS1_11target_archE1201ELNS1_3gpuE5ELNS1_3repE0EEENS1_30default_config_static_selectorELNS0_4arch9wavefront6targetE1EEEvT1_,@function
_ZN7rocprim17ROCPRIM_400000_NS6detail17trampoline_kernelINS0_14default_configENS1_25transform_config_selectorIjLb0EEEZNS1_14transform_implILb0ES3_S5_PjN6thrust23THRUST_200600_302600_NS6detail15normal_iteratorINS9_10device_ptrIjEEEENS0_8identityIjEEEE10hipError_tT2_T3_mT4_P12ihipStream_tbEUlT_E_NS1_11comp_targetILNS1_3genE10ELNS1_11target_archE1201ELNS1_3gpuE5ELNS1_3repE0EEENS1_30default_config_static_selectorELNS0_4arch9wavefront6targetE1EEEvT1_: ; @_ZN7rocprim17ROCPRIM_400000_NS6detail17trampoline_kernelINS0_14default_configENS1_25transform_config_selectorIjLb0EEEZNS1_14transform_implILb0ES3_S5_PjN6thrust23THRUST_200600_302600_NS6detail15normal_iteratorINS9_10device_ptrIjEEEENS0_8identityIjEEEE10hipError_tT2_T3_mT4_P12ihipStream_tbEUlT_E_NS1_11comp_targetILNS1_3genE10ELNS1_11target_archE1201ELNS1_3gpuE5ELNS1_3repE0EEENS1_30default_config_static_selectorELNS0_4arch9wavefront6targetE1EEEvT1_
; %bb.0:
	.section	.rodata,"a",@progbits
	.p2align	6, 0x0
	.amdhsa_kernel _ZN7rocprim17ROCPRIM_400000_NS6detail17trampoline_kernelINS0_14default_configENS1_25transform_config_selectorIjLb0EEEZNS1_14transform_implILb0ES3_S5_PjN6thrust23THRUST_200600_302600_NS6detail15normal_iteratorINS9_10device_ptrIjEEEENS0_8identityIjEEEE10hipError_tT2_T3_mT4_P12ihipStream_tbEUlT_E_NS1_11comp_targetILNS1_3genE10ELNS1_11target_archE1201ELNS1_3gpuE5ELNS1_3repE0EEENS1_30default_config_static_selectorELNS0_4arch9wavefront6targetE1EEEvT1_
		.amdhsa_group_segment_fixed_size 0
		.amdhsa_private_segment_fixed_size 0
		.amdhsa_kernarg_size 40
		.amdhsa_user_sgpr_count 2
		.amdhsa_user_sgpr_dispatch_ptr 0
		.amdhsa_user_sgpr_queue_ptr 0
		.amdhsa_user_sgpr_kernarg_segment_ptr 1
		.amdhsa_user_sgpr_dispatch_id 0
		.amdhsa_user_sgpr_kernarg_preload_length 0
		.amdhsa_user_sgpr_kernarg_preload_offset 0
		.amdhsa_user_sgpr_private_segment_size 0
		.amdhsa_uses_dynamic_stack 0
		.amdhsa_enable_private_segment 0
		.amdhsa_system_sgpr_workgroup_id_x 1
		.amdhsa_system_sgpr_workgroup_id_y 0
		.amdhsa_system_sgpr_workgroup_id_z 0
		.amdhsa_system_sgpr_workgroup_info 0
		.amdhsa_system_vgpr_workitem_id 0
		.amdhsa_next_free_vgpr 1
		.amdhsa_next_free_sgpr 0
		.amdhsa_accum_offset 4
		.amdhsa_reserve_vcc 0
		.amdhsa_float_round_mode_32 0
		.amdhsa_float_round_mode_16_64 0
		.amdhsa_float_denorm_mode_32 3
		.amdhsa_float_denorm_mode_16_64 3
		.amdhsa_dx10_clamp 1
		.amdhsa_ieee_mode 1
		.amdhsa_fp16_overflow 0
		.amdhsa_tg_split 0
		.amdhsa_exception_fp_ieee_invalid_op 0
		.amdhsa_exception_fp_denorm_src 0
		.amdhsa_exception_fp_ieee_div_zero 0
		.amdhsa_exception_fp_ieee_overflow 0
		.amdhsa_exception_fp_ieee_underflow 0
		.amdhsa_exception_fp_ieee_inexact 0
		.amdhsa_exception_int_div_zero 0
	.end_amdhsa_kernel
	.section	.text._ZN7rocprim17ROCPRIM_400000_NS6detail17trampoline_kernelINS0_14default_configENS1_25transform_config_selectorIjLb0EEEZNS1_14transform_implILb0ES3_S5_PjN6thrust23THRUST_200600_302600_NS6detail15normal_iteratorINS9_10device_ptrIjEEEENS0_8identityIjEEEE10hipError_tT2_T3_mT4_P12ihipStream_tbEUlT_E_NS1_11comp_targetILNS1_3genE10ELNS1_11target_archE1201ELNS1_3gpuE5ELNS1_3repE0EEENS1_30default_config_static_selectorELNS0_4arch9wavefront6targetE1EEEvT1_,"axG",@progbits,_ZN7rocprim17ROCPRIM_400000_NS6detail17trampoline_kernelINS0_14default_configENS1_25transform_config_selectorIjLb0EEEZNS1_14transform_implILb0ES3_S5_PjN6thrust23THRUST_200600_302600_NS6detail15normal_iteratorINS9_10device_ptrIjEEEENS0_8identityIjEEEE10hipError_tT2_T3_mT4_P12ihipStream_tbEUlT_E_NS1_11comp_targetILNS1_3genE10ELNS1_11target_archE1201ELNS1_3gpuE5ELNS1_3repE0EEENS1_30default_config_static_selectorELNS0_4arch9wavefront6targetE1EEEvT1_,comdat
.Lfunc_end672:
	.size	_ZN7rocprim17ROCPRIM_400000_NS6detail17trampoline_kernelINS0_14default_configENS1_25transform_config_selectorIjLb0EEEZNS1_14transform_implILb0ES3_S5_PjN6thrust23THRUST_200600_302600_NS6detail15normal_iteratorINS9_10device_ptrIjEEEENS0_8identityIjEEEE10hipError_tT2_T3_mT4_P12ihipStream_tbEUlT_E_NS1_11comp_targetILNS1_3genE10ELNS1_11target_archE1201ELNS1_3gpuE5ELNS1_3repE0EEENS1_30default_config_static_selectorELNS0_4arch9wavefront6targetE1EEEvT1_, .Lfunc_end672-_ZN7rocprim17ROCPRIM_400000_NS6detail17trampoline_kernelINS0_14default_configENS1_25transform_config_selectorIjLb0EEEZNS1_14transform_implILb0ES3_S5_PjN6thrust23THRUST_200600_302600_NS6detail15normal_iteratorINS9_10device_ptrIjEEEENS0_8identityIjEEEE10hipError_tT2_T3_mT4_P12ihipStream_tbEUlT_E_NS1_11comp_targetILNS1_3genE10ELNS1_11target_archE1201ELNS1_3gpuE5ELNS1_3repE0EEENS1_30default_config_static_selectorELNS0_4arch9wavefront6targetE1EEEvT1_
                                        ; -- End function
	.set _ZN7rocprim17ROCPRIM_400000_NS6detail17trampoline_kernelINS0_14default_configENS1_25transform_config_selectorIjLb0EEEZNS1_14transform_implILb0ES3_S5_PjN6thrust23THRUST_200600_302600_NS6detail15normal_iteratorINS9_10device_ptrIjEEEENS0_8identityIjEEEE10hipError_tT2_T3_mT4_P12ihipStream_tbEUlT_E_NS1_11comp_targetILNS1_3genE10ELNS1_11target_archE1201ELNS1_3gpuE5ELNS1_3repE0EEENS1_30default_config_static_selectorELNS0_4arch9wavefront6targetE1EEEvT1_.num_vgpr, 0
	.set _ZN7rocprim17ROCPRIM_400000_NS6detail17trampoline_kernelINS0_14default_configENS1_25transform_config_selectorIjLb0EEEZNS1_14transform_implILb0ES3_S5_PjN6thrust23THRUST_200600_302600_NS6detail15normal_iteratorINS9_10device_ptrIjEEEENS0_8identityIjEEEE10hipError_tT2_T3_mT4_P12ihipStream_tbEUlT_E_NS1_11comp_targetILNS1_3genE10ELNS1_11target_archE1201ELNS1_3gpuE5ELNS1_3repE0EEENS1_30default_config_static_selectorELNS0_4arch9wavefront6targetE1EEEvT1_.num_agpr, 0
	.set _ZN7rocprim17ROCPRIM_400000_NS6detail17trampoline_kernelINS0_14default_configENS1_25transform_config_selectorIjLb0EEEZNS1_14transform_implILb0ES3_S5_PjN6thrust23THRUST_200600_302600_NS6detail15normal_iteratorINS9_10device_ptrIjEEEENS0_8identityIjEEEE10hipError_tT2_T3_mT4_P12ihipStream_tbEUlT_E_NS1_11comp_targetILNS1_3genE10ELNS1_11target_archE1201ELNS1_3gpuE5ELNS1_3repE0EEENS1_30default_config_static_selectorELNS0_4arch9wavefront6targetE1EEEvT1_.numbered_sgpr, 0
	.set _ZN7rocprim17ROCPRIM_400000_NS6detail17trampoline_kernelINS0_14default_configENS1_25transform_config_selectorIjLb0EEEZNS1_14transform_implILb0ES3_S5_PjN6thrust23THRUST_200600_302600_NS6detail15normal_iteratorINS9_10device_ptrIjEEEENS0_8identityIjEEEE10hipError_tT2_T3_mT4_P12ihipStream_tbEUlT_E_NS1_11comp_targetILNS1_3genE10ELNS1_11target_archE1201ELNS1_3gpuE5ELNS1_3repE0EEENS1_30default_config_static_selectorELNS0_4arch9wavefront6targetE1EEEvT1_.num_named_barrier, 0
	.set _ZN7rocprim17ROCPRIM_400000_NS6detail17trampoline_kernelINS0_14default_configENS1_25transform_config_selectorIjLb0EEEZNS1_14transform_implILb0ES3_S5_PjN6thrust23THRUST_200600_302600_NS6detail15normal_iteratorINS9_10device_ptrIjEEEENS0_8identityIjEEEE10hipError_tT2_T3_mT4_P12ihipStream_tbEUlT_E_NS1_11comp_targetILNS1_3genE10ELNS1_11target_archE1201ELNS1_3gpuE5ELNS1_3repE0EEENS1_30default_config_static_selectorELNS0_4arch9wavefront6targetE1EEEvT1_.private_seg_size, 0
	.set _ZN7rocprim17ROCPRIM_400000_NS6detail17trampoline_kernelINS0_14default_configENS1_25transform_config_selectorIjLb0EEEZNS1_14transform_implILb0ES3_S5_PjN6thrust23THRUST_200600_302600_NS6detail15normal_iteratorINS9_10device_ptrIjEEEENS0_8identityIjEEEE10hipError_tT2_T3_mT4_P12ihipStream_tbEUlT_E_NS1_11comp_targetILNS1_3genE10ELNS1_11target_archE1201ELNS1_3gpuE5ELNS1_3repE0EEENS1_30default_config_static_selectorELNS0_4arch9wavefront6targetE1EEEvT1_.uses_vcc, 0
	.set _ZN7rocprim17ROCPRIM_400000_NS6detail17trampoline_kernelINS0_14default_configENS1_25transform_config_selectorIjLb0EEEZNS1_14transform_implILb0ES3_S5_PjN6thrust23THRUST_200600_302600_NS6detail15normal_iteratorINS9_10device_ptrIjEEEENS0_8identityIjEEEE10hipError_tT2_T3_mT4_P12ihipStream_tbEUlT_E_NS1_11comp_targetILNS1_3genE10ELNS1_11target_archE1201ELNS1_3gpuE5ELNS1_3repE0EEENS1_30default_config_static_selectorELNS0_4arch9wavefront6targetE1EEEvT1_.uses_flat_scratch, 0
	.set _ZN7rocprim17ROCPRIM_400000_NS6detail17trampoline_kernelINS0_14default_configENS1_25transform_config_selectorIjLb0EEEZNS1_14transform_implILb0ES3_S5_PjN6thrust23THRUST_200600_302600_NS6detail15normal_iteratorINS9_10device_ptrIjEEEENS0_8identityIjEEEE10hipError_tT2_T3_mT4_P12ihipStream_tbEUlT_E_NS1_11comp_targetILNS1_3genE10ELNS1_11target_archE1201ELNS1_3gpuE5ELNS1_3repE0EEENS1_30default_config_static_selectorELNS0_4arch9wavefront6targetE1EEEvT1_.has_dyn_sized_stack, 0
	.set _ZN7rocprim17ROCPRIM_400000_NS6detail17trampoline_kernelINS0_14default_configENS1_25transform_config_selectorIjLb0EEEZNS1_14transform_implILb0ES3_S5_PjN6thrust23THRUST_200600_302600_NS6detail15normal_iteratorINS9_10device_ptrIjEEEENS0_8identityIjEEEE10hipError_tT2_T3_mT4_P12ihipStream_tbEUlT_E_NS1_11comp_targetILNS1_3genE10ELNS1_11target_archE1201ELNS1_3gpuE5ELNS1_3repE0EEENS1_30default_config_static_selectorELNS0_4arch9wavefront6targetE1EEEvT1_.has_recursion, 0
	.set _ZN7rocprim17ROCPRIM_400000_NS6detail17trampoline_kernelINS0_14default_configENS1_25transform_config_selectorIjLb0EEEZNS1_14transform_implILb0ES3_S5_PjN6thrust23THRUST_200600_302600_NS6detail15normal_iteratorINS9_10device_ptrIjEEEENS0_8identityIjEEEE10hipError_tT2_T3_mT4_P12ihipStream_tbEUlT_E_NS1_11comp_targetILNS1_3genE10ELNS1_11target_archE1201ELNS1_3gpuE5ELNS1_3repE0EEENS1_30default_config_static_selectorELNS0_4arch9wavefront6targetE1EEEvT1_.has_indirect_call, 0
	.section	.AMDGPU.csdata,"",@progbits
; Kernel info:
; codeLenInByte = 0
; TotalNumSgprs: 6
; NumVgprs: 0
; NumAgprs: 0
; TotalNumVgprs: 0
; ScratchSize: 0
; MemoryBound: 0
; FloatMode: 240
; IeeeMode: 1
; LDSByteSize: 0 bytes/workgroup (compile time only)
; SGPRBlocks: 0
; VGPRBlocks: 0
; NumSGPRsForWavesPerEU: 6
; NumVGPRsForWavesPerEU: 1
; AccumOffset: 4
; Occupancy: 8
; WaveLimiterHint : 0
; COMPUTE_PGM_RSRC2:SCRATCH_EN: 0
; COMPUTE_PGM_RSRC2:USER_SGPR: 2
; COMPUTE_PGM_RSRC2:TRAP_HANDLER: 0
; COMPUTE_PGM_RSRC2:TGID_X_EN: 1
; COMPUTE_PGM_RSRC2:TGID_Y_EN: 0
; COMPUTE_PGM_RSRC2:TGID_Z_EN: 0
; COMPUTE_PGM_RSRC2:TIDIG_COMP_CNT: 0
; COMPUTE_PGM_RSRC3_GFX90A:ACCUM_OFFSET: 0
; COMPUTE_PGM_RSRC3_GFX90A:TG_SPLIT: 0
	.section	.text._ZN7rocprim17ROCPRIM_400000_NS6detail17trampoline_kernelINS0_14default_configENS1_25transform_config_selectorIjLb0EEEZNS1_14transform_implILb0ES3_S5_PjN6thrust23THRUST_200600_302600_NS6detail15normal_iteratorINS9_10device_ptrIjEEEENS0_8identityIjEEEE10hipError_tT2_T3_mT4_P12ihipStream_tbEUlT_E_NS1_11comp_targetILNS1_3genE10ELNS1_11target_archE1200ELNS1_3gpuE4ELNS1_3repE0EEENS1_30default_config_static_selectorELNS0_4arch9wavefront6targetE1EEEvT1_,"axG",@progbits,_ZN7rocprim17ROCPRIM_400000_NS6detail17trampoline_kernelINS0_14default_configENS1_25transform_config_selectorIjLb0EEEZNS1_14transform_implILb0ES3_S5_PjN6thrust23THRUST_200600_302600_NS6detail15normal_iteratorINS9_10device_ptrIjEEEENS0_8identityIjEEEE10hipError_tT2_T3_mT4_P12ihipStream_tbEUlT_E_NS1_11comp_targetILNS1_3genE10ELNS1_11target_archE1200ELNS1_3gpuE4ELNS1_3repE0EEENS1_30default_config_static_selectorELNS0_4arch9wavefront6targetE1EEEvT1_,comdat
	.protected	_ZN7rocprim17ROCPRIM_400000_NS6detail17trampoline_kernelINS0_14default_configENS1_25transform_config_selectorIjLb0EEEZNS1_14transform_implILb0ES3_S5_PjN6thrust23THRUST_200600_302600_NS6detail15normal_iteratorINS9_10device_ptrIjEEEENS0_8identityIjEEEE10hipError_tT2_T3_mT4_P12ihipStream_tbEUlT_E_NS1_11comp_targetILNS1_3genE10ELNS1_11target_archE1200ELNS1_3gpuE4ELNS1_3repE0EEENS1_30default_config_static_selectorELNS0_4arch9wavefront6targetE1EEEvT1_ ; -- Begin function _ZN7rocprim17ROCPRIM_400000_NS6detail17trampoline_kernelINS0_14default_configENS1_25transform_config_selectorIjLb0EEEZNS1_14transform_implILb0ES3_S5_PjN6thrust23THRUST_200600_302600_NS6detail15normal_iteratorINS9_10device_ptrIjEEEENS0_8identityIjEEEE10hipError_tT2_T3_mT4_P12ihipStream_tbEUlT_E_NS1_11comp_targetILNS1_3genE10ELNS1_11target_archE1200ELNS1_3gpuE4ELNS1_3repE0EEENS1_30default_config_static_selectorELNS0_4arch9wavefront6targetE1EEEvT1_
	.globl	_ZN7rocprim17ROCPRIM_400000_NS6detail17trampoline_kernelINS0_14default_configENS1_25transform_config_selectorIjLb0EEEZNS1_14transform_implILb0ES3_S5_PjN6thrust23THRUST_200600_302600_NS6detail15normal_iteratorINS9_10device_ptrIjEEEENS0_8identityIjEEEE10hipError_tT2_T3_mT4_P12ihipStream_tbEUlT_E_NS1_11comp_targetILNS1_3genE10ELNS1_11target_archE1200ELNS1_3gpuE4ELNS1_3repE0EEENS1_30default_config_static_selectorELNS0_4arch9wavefront6targetE1EEEvT1_
	.p2align	8
	.type	_ZN7rocprim17ROCPRIM_400000_NS6detail17trampoline_kernelINS0_14default_configENS1_25transform_config_selectorIjLb0EEEZNS1_14transform_implILb0ES3_S5_PjN6thrust23THRUST_200600_302600_NS6detail15normal_iteratorINS9_10device_ptrIjEEEENS0_8identityIjEEEE10hipError_tT2_T3_mT4_P12ihipStream_tbEUlT_E_NS1_11comp_targetILNS1_3genE10ELNS1_11target_archE1200ELNS1_3gpuE4ELNS1_3repE0EEENS1_30default_config_static_selectorELNS0_4arch9wavefront6targetE1EEEvT1_,@function
_ZN7rocprim17ROCPRIM_400000_NS6detail17trampoline_kernelINS0_14default_configENS1_25transform_config_selectorIjLb0EEEZNS1_14transform_implILb0ES3_S5_PjN6thrust23THRUST_200600_302600_NS6detail15normal_iteratorINS9_10device_ptrIjEEEENS0_8identityIjEEEE10hipError_tT2_T3_mT4_P12ihipStream_tbEUlT_E_NS1_11comp_targetILNS1_3genE10ELNS1_11target_archE1200ELNS1_3gpuE4ELNS1_3repE0EEENS1_30default_config_static_selectorELNS0_4arch9wavefront6targetE1EEEvT1_: ; @_ZN7rocprim17ROCPRIM_400000_NS6detail17trampoline_kernelINS0_14default_configENS1_25transform_config_selectorIjLb0EEEZNS1_14transform_implILb0ES3_S5_PjN6thrust23THRUST_200600_302600_NS6detail15normal_iteratorINS9_10device_ptrIjEEEENS0_8identityIjEEEE10hipError_tT2_T3_mT4_P12ihipStream_tbEUlT_E_NS1_11comp_targetILNS1_3genE10ELNS1_11target_archE1200ELNS1_3gpuE4ELNS1_3repE0EEENS1_30default_config_static_selectorELNS0_4arch9wavefront6targetE1EEEvT1_
; %bb.0:
	.section	.rodata,"a",@progbits
	.p2align	6, 0x0
	.amdhsa_kernel _ZN7rocprim17ROCPRIM_400000_NS6detail17trampoline_kernelINS0_14default_configENS1_25transform_config_selectorIjLb0EEEZNS1_14transform_implILb0ES3_S5_PjN6thrust23THRUST_200600_302600_NS6detail15normal_iteratorINS9_10device_ptrIjEEEENS0_8identityIjEEEE10hipError_tT2_T3_mT4_P12ihipStream_tbEUlT_E_NS1_11comp_targetILNS1_3genE10ELNS1_11target_archE1200ELNS1_3gpuE4ELNS1_3repE0EEENS1_30default_config_static_selectorELNS0_4arch9wavefront6targetE1EEEvT1_
		.amdhsa_group_segment_fixed_size 0
		.amdhsa_private_segment_fixed_size 0
		.amdhsa_kernarg_size 40
		.amdhsa_user_sgpr_count 2
		.amdhsa_user_sgpr_dispatch_ptr 0
		.amdhsa_user_sgpr_queue_ptr 0
		.amdhsa_user_sgpr_kernarg_segment_ptr 1
		.amdhsa_user_sgpr_dispatch_id 0
		.amdhsa_user_sgpr_kernarg_preload_length 0
		.amdhsa_user_sgpr_kernarg_preload_offset 0
		.amdhsa_user_sgpr_private_segment_size 0
		.amdhsa_uses_dynamic_stack 0
		.amdhsa_enable_private_segment 0
		.amdhsa_system_sgpr_workgroup_id_x 1
		.amdhsa_system_sgpr_workgroup_id_y 0
		.amdhsa_system_sgpr_workgroup_id_z 0
		.amdhsa_system_sgpr_workgroup_info 0
		.amdhsa_system_vgpr_workitem_id 0
		.amdhsa_next_free_vgpr 1
		.amdhsa_next_free_sgpr 0
		.amdhsa_accum_offset 4
		.amdhsa_reserve_vcc 0
		.amdhsa_float_round_mode_32 0
		.amdhsa_float_round_mode_16_64 0
		.amdhsa_float_denorm_mode_32 3
		.amdhsa_float_denorm_mode_16_64 3
		.amdhsa_dx10_clamp 1
		.amdhsa_ieee_mode 1
		.amdhsa_fp16_overflow 0
		.amdhsa_tg_split 0
		.amdhsa_exception_fp_ieee_invalid_op 0
		.amdhsa_exception_fp_denorm_src 0
		.amdhsa_exception_fp_ieee_div_zero 0
		.amdhsa_exception_fp_ieee_overflow 0
		.amdhsa_exception_fp_ieee_underflow 0
		.amdhsa_exception_fp_ieee_inexact 0
		.amdhsa_exception_int_div_zero 0
	.end_amdhsa_kernel
	.section	.text._ZN7rocprim17ROCPRIM_400000_NS6detail17trampoline_kernelINS0_14default_configENS1_25transform_config_selectorIjLb0EEEZNS1_14transform_implILb0ES3_S5_PjN6thrust23THRUST_200600_302600_NS6detail15normal_iteratorINS9_10device_ptrIjEEEENS0_8identityIjEEEE10hipError_tT2_T3_mT4_P12ihipStream_tbEUlT_E_NS1_11comp_targetILNS1_3genE10ELNS1_11target_archE1200ELNS1_3gpuE4ELNS1_3repE0EEENS1_30default_config_static_selectorELNS0_4arch9wavefront6targetE1EEEvT1_,"axG",@progbits,_ZN7rocprim17ROCPRIM_400000_NS6detail17trampoline_kernelINS0_14default_configENS1_25transform_config_selectorIjLb0EEEZNS1_14transform_implILb0ES3_S5_PjN6thrust23THRUST_200600_302600_NS6detail15normal_iteratorINS9_10device_ptrIjEEEENS0_8identityIjEEEE10hipError_tT2_T3_mT4_P12ihipStream_tbEUlT_E_NS1_11comp_targetILNS1_3genE10ELNS1_11target_archE1200ELNS1_3gpuE4ELNS1_3repE0EEENS1_30default_config_static_selectorELNS0_4arch9wavefront6targetE1EEEvT1_,comdat
.Lfunc_end673:
	.size	_ZN7rocprim17ROCPRIM_400000_NS6detail17trampoline_kernelINS0_14default_configENS1_25transform_config_selectorIjLb0EEEZNS1_14transform_implILb0ES3_S5_PjN6thrust23THRUST_200600_302600_NS6detail15normal_iteratorINS9_10device_ptrIjEEEENS0_8identityIjEEEE10hipError_tT2_T3_mT4_P12ihipStream_tbEUlT_E_NS1_11comp_targetILNS1_3genE10ELNS1_11target_archE1200ELNS1_3gpuE4ELNS1_3repE0EEENS1_30default_config_static_selectorELNS0_4arch9wavefront6targetE1EEEvT1_, .Lfunc_end673-_ZN7rocprim17ROCPRIM_400000_NS6detail17trampoline_kernelINS0_14default_configENS1_25transform_config_selectorIjLb0EEEZNS1_14transform_implILb0ES3_S5_PjN6thrust23THRUST_200600_302600_NS6detail15normal_iteratorINS9_10device_ptrIjEEEENS0_8identityIjEEEE10hipError_tT2_T3_mT4_P12ihipStream_tbEUlT_E_NS1_11comp_targetILNS1_3genE10ELNS1_11target_archE1200ELNS1_3gpuE4ELNS1_3repE0EEENS1_30default_config_static_selectorELNS0_4arch9wavefront6targetE1EEEvT1_
                                        ; -- End function
	.set _ZN7rocprim17ROCPRIM_400000_NS6detail17trampoline_kernelINS0_14default_configENS1_25transform_config_selectorIjLb0EEEZNS1_14transform_implILb0ES3_S5_PjN6thrust23THRUST_200600_302600_NS6detail15normal_iteratorINS9_10device_ptrIjEEEENS0_8identityIjEEEE10hipError_tT2_T3_mT4_P12ihipStream_tbEUlT_E_NS1_11comp_targetILNS1_3genE10ELNS1_11target_archE1200ELNS1_3gpuE4ELNS1_3repE0EEENS1_30default_config_static_selectorELNS0_4arch9wavefront6targetE1EEEvT1_.num_vgpr, 0
	.set _ZN7rocprim17ROCPRIM_400000_NS6detail17trampoline_kernelINS0_14default_configENS1_25transform_config_selectorIjLb0EEEZNS1_14transform_implILb0ES3_S5_PjN6thrust23THRUST_200600_302600_NS6detail15normal_iteratorINS9_10device_ptrIjEEEENS0_8identityIjEEEE10hipError_tT2_T3_mT4_P12ihipStream_tbEUlT_E_NS1_11comp_targetILNS1_3genE10ELNS1_11target_archE1200ELNS1_3gpuE4ELNS1_3repE0EEENS1_30default_config_static_selectorELNS0_4arch9wavefront6targetE1EEEvT1_.num_agpr, 0
	.set _ZN7rocprim17ROCPRIM_400000_NS6detail17trampoline_kernelINS0_14default_configENS1_25transform_config_selectorIjLb0EEEZNS1_14transform_implILb0ES3_S5_PjN6thrust23THRUST_200600_302600_NS6detail15normal_iteratorINS9_10device_ptrIjEEEENS0_8identityIjEEEE10hipError_tT2_T3_mT4_P12ihipStream_tbEUlT_E_NS1_11comp_targetILNS1_3genE10ELNS1_11target_archE1200ELNS1_3gpuE4ELNS1_3repE0EEENS1_30default_config_static_selectorELNS0_4arch9wavefront6targetE1EEEvT1_.numbered_sgpr, 0
	.set _ZN7rocprim17ROCPRIM_400000_NS6detail17trampoline_kernelINS0_14default_configENS1_25transform_config_selectorIjLb0EEEZNS1_14transform_implILb0ES3_S5_PjN6thrust23THRUST_200600_302600_NS6detail15normal_iteratorINS9_10device_ptrIjEEEENS0_8identityIjEEEE10hipError_tT2_T3_mT4_P12ihipStream_tbEUlT_E_NS1_11comp_targetILNS1_3genE10ELNS1_11target_archE1200ELNS1_3gpuE4ELNS1_3repE0EEENS1_30default_config_static_selectorELNS0_4arch9wavefront6targetE1EEEvT1_.num_named_barrier, 0
	.set _ZN7rocprim17ROCPRIM_400000_NS6detail17trampoline_kernelINS0_14default_configENS1_25transform_config_selectorIjLb0EEEZNS1_14transform_implILb0ES3_S5_PjN6thrust23THRUST_200600_302600_NS6detail15normal_iteratorINS9_10device_ptrIjEEEENS0_8identityIjEEEE10hipError_tT2_T3_mT4_P12ihipStream_tbEUlT_E_NS1_11comp_targetILNS1_3genE10ELNS1_11target_archE1200ELNS1_3gpuE4ELNS1_3repE0EEENS1_30default_config_static_selectorELNS0_4arch9wavefront6targetE1EEEvT1_.private_seg_size, 0
	.set _ZN7rocprim17ROCPRIM_400000_NS6detail17trampoline_kernelINS0_14default_configENS1_25transform_config_selectorIjLb0EEEZNS1_14transform_implILb0ES3_S5_PjN6thrust23THRUST_200600_302600_NS6detail15normal_iteratorINS9_10device_ptrIjEEEENS0_8identityIjEEEE10hipError_tT2_T3_mT4_P12ihipStream_tbEUlT_E_NS1_11comp_targetILNS1_3genE10ELNS1_11target_archE1200ELNS1_3gpuE4ELNS1_3repE0EEENS1_30default_config_static_selectorELNS0_4arch9wavefront6targetE1EEEvT1_.uses_vcc, 0
	.set _ZN7rocprim17ROCPRIM_400000_NS6detail17trampoline_kernelINS0_14default_configENS1_25transform_config_selectorIjLb0EEEZNS1_14transform_implILb0ES3_S5_PjN6thrust23THRUST_200600_302600_NS6detail15normal_iteratorINS9_10device_ptrIjEEEENS0_8identityIjEEEE10hipError_tT2_T3_mT4_P12ihipStream_tbEUlT_E_NS1_11comp_targetILNS1_3genE10ELNS1_11target_archE1200ELNS1_3gpuE4ELNS1_3repE0EEENS1_30default_config_static_selectorELNS0_4arch9wavefront6targetE1EEEvT1_.uses_flat_scratch, 0
	.set _ZN7rocprim17ROCPRIM_400000_NS6detail17trampoline_kernelINS0_14default_configENS1_25transform_config_selectorIjLb0EEEZNS1_14transform_implILb0ES3_S5_PjN6thrust23THRUST_200600_302600_NS6detail15normal_iteratorINS9_10device_ptrIjEEEENS0_8identityIjEEEE10hipError_tT2_T3_mT4_P12ihipStream_tbEUlT_E_NS1_11comp_targetILNS1_3genE10ELNS1_11target_archE1200ELNS1_3gpuE4ELNS1_3repE0EEENS1_30default_config_static_selectorELNS0_4arch9wavefront6targetE1EEEvT1_.has_dyn_sized_stack, 0
	.set _ZN7rocprim17ROCPRIM_400000_NS6detail17trampoline_kernelINS0_14default_configENS1_25transform_config_selectorIjLb0EEEZNS1_14transform_implILb0ES3_S5_PjN6thrust23THRUST_200600_302600_NS6detail15normal_iteratorINS9_10device_ptrIjEEEENS0_8identityIjEEEE10hipError_tT2_T3_mT4_P12ihipStream_tbEUlT_E_NS1_11comp_targetILNS1_3genE10ELNS1_11target_archE1200ELNS1_3gpuE4ELNS1_3repE0EEENS1_30default_config_static_selectorELNS0_4arch9wavefront6targetE1EEEvT1_.has_recursion, 0
	.set _ZN7rocprim17ROCPRIM_400000_NS6detail17trampoline_kernelINS0_14default_configENS1_25transform_config_selectorIjLb0EEEZNS1_14transform_implILb0ES3_S5_PjN6thrust23THRUST_200600_302600_NS6detail15normal_iteratorINS9_10device_ptrIjEEEENS0_8identityIjEEEE10hipError_tT2_T3_mT4_P12ihipStream_tbEUlT_E_NS1_11comp_targetILNS1_3genE10ELNS1_11target_archE1200ELNS1_3gpuE4ELNS1_3repE0EEENS1_30default_config_static_selectorELNS0_4arch9wavefront6targetE1EEEvT1_.has_indirect_call, 0
	.section	.AMDGPU.csdata,"",@progbits
; Kernel info:
; codeLenInByte = 0
; TotalNumSgprs: 6
; NumVgprs: 0
; NumAgprs: 0
; TotalNumVgprs: 0
; ScratchSize: 0
; MemoryBound: 0
; FloatMode: 240
; IeeeMode: 1
; LDSByteSize: 0 bytes/workgroup (compile time only)
; SGPRBlocks: 0
; VGPRBlocks: 0
; NumSGPRsForWavesPerEU: 6
; NumVGPRsForWavesPerEU: 1
; AccumOffset: 4
; Occupancy: 8
; WaveLimiterHint : 0
; COMPUTE_PGM_RSRC2:SCRATCH_EN: 0
; COMPUTE_PGM_RSRC2:USER_SGPR: 2
; COMPUTE_PGM_RSRC2:TRAP_HANDLER: 0
; COMPUTE_PGM_RSRC2:TGID_X_EN: 1
; COMPUTE_PGM_RSRC2:TGID_Y_EN: 0
; COMPUTE_PGM_RSRC2:TGID_Z_EN: 0
; COMPUTE_PGM_RSRC2:TIDIG_COMP_CNT: 0
; COMPUTE_PGM_RSRC3_GFX90A:ACCUM_OFFSET: 0
; COMPUTE_PGM_RSRC3_GFX90A:TG_SPLIT: 0
	.section	.text._ZN7rocprim17ROCPRIM_400000_NS6detail17trampoline_kernelINS0_14default_configENS1_25transform_config_selectorIjLb0EEEZNS1_14transform_implILb0ES3_S5_PjN6thrust23THRUST_200600_302600_NS6detail15normal_iteratorINS9_10device_ptrIjEEEENS0_8identityIjEEEE10hipError_tT2_T3_mT4_P12ihipStream_tbEUlT_E_NS1_11comp_targetILNS1_3genE9ELNS1_11target_archE1100ELNS1_3gpuE3ELNS1_3repE0EEENS1_30default_config_static_selectorELNS0_4arch9wavefront6targetE1EEEvT1_,"axG",@progbits,_ZN7rocprim17ROCPRIM_400000_NS6detail17trampoline_kernelINS0_14default_configENS1_25transform_config_selectorIjLb0EEEZNS1_14transform_implILb0ES3_S5_PjN6thrust23THRUST_200600_302600_NS6detail15normal_iteratorINS9_10device_ptrIjEEEENS0_8identityIjEEEE10hipError_tT2_T3_mT4_P12ihipStream_tbEUlT_E_NS1_11comp_targetILNS1_3genE9ELNS1_11target_archE1100ELNS1_3gpuE3ELNS1_3repE0EEENS1_30default_config_static_selectorELNS0_4arch9wavefront6targetE1EEEvT1_,comdat
	.protected	_ZN7rocprim17ROCPRIM_400000_NS6detail17trampoline_kernelINS0_14default_configENS1_25transform_config_selectorIjLb0EEEZNS1_14transform_implILb0ES3_S5_PjN6thrust23THRUST_200600_302600_NS6detail15normal_iteratorINS9_10device_ptrIjEEEENS0_8identityIjEEEE10hipError_tT2_T3_mT4_P12ihipStream_tbEUlT_E_NS1_11comp_targetILNS1_3genE9ELNS1_11target_archE1100ELNS1_3gpuE3ELNS1_3repE0EEENS1_30default_config_static_selectorELNS0_4arch9wavefront6targetE1EEEvT1_ ; -- Begin function _ZN7rocprim17ROCPRIM_400000_NS6detail17trampoline_kernelINS0_14default_configENS1_25transform_config_selectorIjLb0EEEZNS1_14transform_implILb0ES3_S5_PjN6thrust23THRUST_200600_302600_NS6detail15normal_iteratorINS9_10device_ptrIjEEEENS0_8identityIjEEEE10hipError_tT2_T3_mT4_P12ihipStream_tbEUlT_E_NS1_11comp_targetILNS1_3genE9ELNS1_11target_archE1100ELNS1_3gpuE3ELNS1_3repE0EEENS1_30default_config_static_selectorELNS0_4arch9wavefront6targetE1EEEvT1_
	.globl	_ZN7rocprim17ROCPRIM_400000_NS6detail17trampoline_kernelINS0_14default_configENS1_25transform_config_selectorIjLb0EEEZNS1_14transform_implILb0ES3_S5_PjN6thrust23THRUST_200600_302600_NS6detail15normal_iteratorINS9_10device_ptrIjEEEENS0_8identityIjEEEE10hipError_tT2_T3_mT4_P12ihipStream_tbEUlT_E_NS1_11comp_targetILNS1_3genE9ELNS1_11target_archE1100ELNS1_3gpuE3ELNS1_3repE0EEENS1_30default_config_static_selectorELNS0_4arch9wavefront6targetE1EEEvT1_
	.p2align	8
	.type	_ZN7rocprim17ROCPRIM_400000_NS6detail17trampoline_kernelINS0_14default_configENS1_25transform_config_selectorIjLb0EEEZNS1_14transform_implILb0ES3_S5_PjN6thrust23THRUST_200600_302600_NS6detail15normal_iteratorINS9_10device_ptrIjEEEENS0_8identityIjEEEE10hipError_tT2_T3_mT4_P12ihipStream_tbEUlT_E_NS1_11comp_targetILNS1_3genE9ELNS1_11target_archE1100ELNS1_3gpuE3ELNS1_3repE0EEENS1_30default_config_static_selectorELNS0_4arch9wavefront6targetE1EEEvT1_,@function
_ZN7rocprim17ROCPRIM_400000_NS6detail17trampoline_kernelINS0_14default_configENS1_25transform_config_selectorIjLb0EEEZNS1_14transform_implILb0ES3_S5_PjN6thrust23THRUST_200600_302600_NS6detail15normal_iteratorINS9_10device_ptrIjEEEENS0_8identityIjEEEE10hipError_tT2_T3_mT4_P12ihipStream_tbEUlT_E_NS1_11comp_targetILNS1_3genE9ELNS1_11target_archE1100ELNS1_3gpuE3ELNS1_3repE0EEENS1_30default_config_static_selectorELNS0_4arch9wavefront6targetE1EEEvT1_: ; @_ZN7rocprim17ROCPRIM_400000_NS6detail17trampoline_kernelINS0_14default_configENS1_25transform_config_selectorIjLb0EEEZNS1_14transform_implILb0ES3_S5_PjN6thrust23THRUST_200600_302600_NS6detail15normal_iteratorINS9_10device_ptrIjEEEENS0_8identityIjEEEE10hipError_tT2_T3_mT4_P12ihipStream_tbEUlT_E_NS1_11comp_targetILNS1_3genE9ELNS1_11target_archE1100ELNS1_3gpuE3ELNS1_3repE0EEENS1_30default_config_static_selectorELNS0_4arch9wavefront6targetE1EEEvT1_
; %bb.0:
	.section	.rodata,"a",@progbits
	.p2align	6, 0x0
	.amdhsa_kernel _ZN7rocprim17ROCPRIM_400000_NS6detail17trampoline_kernelINS0_14default_configENS1_25transform_config_selectorIjLb0EEEZNS1_14transform_implILb0ES3_S5_PjN6thrust23THRUST_200600_302600_NS6detail15normal_iteratorINS9_10device_ptrIjEEEENS0_8identityIjEEEE10hipError_tT2_T3_mT4_P12ihipStream_tbEUlT_E_NS1_11comp_targetILNS1_3genE9ELNS1_11target_archE1100ELNS1_3gpuE3ELNS1_3repE0EEENS1_30default_config_static_selectorELNS0_4arch9wavefront6targetE1EEEvT1_
		.amdhsa_group_segment_fixed_size 0
		.amdhsa_private_segment_fixed_size 0
		.amdhsa_kernarg_size 40
		.amdhsa_user_sgpr_count 2
		.amdhsa_user_sgpr_dispatch_ptr 0
		.amdhsa_user_sgpr_queue_ptr 0
		.amdhsa_user_sgpr_kernarg_segment_ptr 1
		.amdhsa_user_sgpr_dispatch_id 0
		.amdhsa_user_sgpr_kernarg_preload_length 0
		.amdhsa_user_sgpr_kernarg_preload_offset 0
		.amdhsa_user_sgpr_private_segment_size 0
		.amdhsa_uses_dynamic_stack 0
		.amdhsa_enable_private_segment 0
		.amdhsa_system_sgpr_workgroup_id_x 1
		.amdhsa_system_sgpr_workgroup_id_y 0
		.amdhsa_system_sgpr_workgroup_id_z 0
		.amdhsa_system_sgpr_workgroup_info 0
		.amdhsa_system_vgpr_workitem_id 0
		.amdhsa_next_free_vgpr 1
		.amdhsa_next_free_sgpr 0
		.amdhsa_accum_offset 4
		.amdhsa_reserve_vcc 0
		.amdhsa_float_round_mode_32 0
		.amdhsa_float_round_mode_16_64 0
		.amdhsa_float_denorm_mode_32 3
		.amdhsa_float_denorm_mode_16_64 3
		.amdhsa_dx10_clamp 1
		.amdhsa_ieee_mode 1
		.amdhsa_fp16_overflow 0
		.amdhsa_tg_split 0
		.amdhsa_exception_fp_ieee_invalid_op 0
		.amdhsa_exception_fp_denorm_src 0
		.amdhsa_exception_fp_ieee_div_zero 0
		.amdhsa_exception_fp_ieee_overflow 0
		.amdhsa_exception_fp_ieee_underflow 0
		.amdhsa_exception_fp_ieee_inexact 0
		.amdhsa_exception_int_div_zero 0
	.end_amdhsa_kernel
	.section	.text._ZN7rocprim17ROCPRIM_400000_NS6detail17trampoline_kernelINS0_14default_configENS1_25transform_config_selectorIjLb0EEEZNS1_14transform_implILb0ES3_S5_PjN6thrust23THRUST_200600_302600_NS6detail15normal_iteratorINS9_10device_ptrIjEEEENS0_8identityIjEEEE10hipError_tT2_T3_mT4_P12ihipStream_tbEUlT_E_NS1_11comp_targetILNS1_3genE9ELNS1_11target_archE1100ELNS1_3gpuE3ELNS1_3repE0EEENS1_30default_config_static_selectorELNS0_4arch9wavefront6targetE1EEEvT1_,"axG",@progbits,_ZN7rocprim17ROCPRIM_400000_NS6detail17trampoline_kernelINS0_14default_configENS1_25transform_config_selectorIjLb0EEEZNS1_14transform_implILb0ES3_S5_PjN6thrust23THRUST_200600_302600_NS6detail15normal_iteratorINS9_10device_ptrIjEEEENS0_8identityIjEEEE10hipError_tT2_T3_mT4_P12ihipStream_tbEUlT_E_NS1_11comp_targetILNS1_3genE9ELNS1_11target_archE1100ELNS1_3gpuE3ELNS1_3repE0EEENS1_30default_config_static_selectorELNS0_4arch9wavefront6targetE1EEEvT1_,comdat
.Lfunc_end674:
	.size	_ZN7rocprim17ROCPRIM_400000_NS6detail17trampoline_kernelINS0_14default_configENS1_25transform_config_selectorIjLb0EEEZNS1_14transform_implILb0ES3_S5_PjN6thrust23THRUST_200600_302600_NS6detail15normal_iteratorINS9_10device_ptrIjEEEENS0_8identityIjEEEE10hipError_tT2_T3_mT4_P12ihipStream_tbEUlT_E_NS1_11comp_targetILNS1_3genE9ELNS1_11target_archE1100ELNS1_3gpuE3ELNS1_3repE0EEENS1_30default_config_static_selectorELNS0_4arch9wavefront6targetE1EEEvT1_, .Lfunc_end674-_ZN7rocprim17ROCPRIM_400000_NS6detail17trampoline_kernelINS0_14default_configENS1_25transform_config_selectorIjLb0EEEZNS1_14transform_implILb0ES3_S5_PjN6thrust23THRUST_200600_302600_NS6detail15normal_iteratorINS9_10device_ptrIjEEEENS0_8identityIjEEEE10hipError_tT2_T3_mT4_P12ihipStream_tbEUlT_E_NS1_11comp_targetILNS1_3genE9ELNS1_11target_archE1100ELNS1_3gpuE3ELNS1_3repE0EEENS1_30default_config_static_selectorELNS0_4arch9wavefront6targetE1EEEvT1_
                                        ; -- End function
	.set _ZN7rocprim17ROCPRIM_400000_NS6detail17trampoline_kernelINS0_14default_configENS1_25transform_config_selectorIjLb0EEEZNS1_14transform_implILb0ES3_S5_PjN6thrust23THRUST_200600_302600_NS6detail15normal_iteratorINS9_10device_ptrIjEEEENS0_8identityIjEEEE10hipError_tT2_T3_mT4_P12ihipStream_tbEUlT_E_NS1_11comp_targetILNS1_3genE9ELNS1_11target_archE1100ELNS1_3gpuE3ELNS1_3repE0EEENS1_30default_config_static_selectorELNS0_4arch9wavefront6targetE1EEEvT1_.num_vgpr, 0
	.set _ZN7rocprim17ROCPRIM_400000_NS6detail17trampoline_kernelINS0_14default_configENS1_25transform_config_selectorIjLb0EEEZNS1_14transform_implILb0ES3_S5_PjN6thrust23THRUST_200600_302600_NS6detail15normal_iteratorINS9_10device_ptrIjEEEENS0_8identityIjEEEE10hipError_tT2_T3_mT4_P12ihipStream_tbEUlT_E_NS1_11comp_targetILNS1_3genE9ELNS1_11target_archE1100ELNS1_3gpuE3ELNS1_3repE0EEENS1_30default_config_static_selectorELNS0_4arch9wavefront6targetE1EEEvT1_.num_agpr, 0
	.set _ZN7rocprim17ROCPRIM_400000_NS6detail17trampoline_kernelINS0_14default_configENS1_25transform_config_selectorIjLb0EEEZNS1_14transform_implILb0ES3_S5_PjN6thrust23THRUST_200600_302600_NS6detail15normal_iteratorINS9_10device_ptrIjEEEENS0_8identityIjEEEE10hipError_tT2_T3_mT4_P12ihipStream_tbEUlT_E_NS1_11comp_targetILNS1_3genE9ELNS1_11target_archE1100ELNS1_3gpuE3ELNS1_3repE0EEENS1_30default_config_static_selectorELNS0_4arch9wavefront6targetE1EEEvT1_.numbered_sgpr, 0
	.set _ZN7rocprim17ROCPRIM_400000_NS6detail17trampoline_kernelINS0_14default_configENS1_25transform_config_selectorIjLb0EEEZNS1_14transform_implILb0ES3_S5_PjN6thrust23THRUST_200600_302600_NS6detail15normal_iteratorINS9_10device_ptrIjEEEENS0_8identityIjEEEE10hipError_tT2_T3_mT4_P12ihipStream_tbEUlT_E_NS1_11comp_targetILNS1_3genE9ELNS1_11target_archE1100ELNS1_3gpuE3ELNS1_3repE0EEENS1_30default_config_static_selectorELNS0_4arch9wavefront6targetE1EEEvT1_.num_named_barrier, 0
	.set _ZN7rocprim17ROCPRIM_400000_NS6detail17trampoline_kernelINS0_14default_configENS1_25transform_config_selectorIjLb0EEEZNS1_14transform_implILb0ES3_S5_PjN6thrust23THRUST_200600_302600_NS6detail15normal_iteratorINS9_10device_ptrIjEEEENS0_8identityIjEEEE10hipError_tT2_T3_mT4_P12ihipStream_tbEUlT_E_NS1_11comp_targetILNS1_3genE9ELNS1_11target_archE1100ELNS1_3gpuE3ELNS1_3repE0EEENS1_30default_config_static_selectorELNS0_4arch9wavefront6targetE1EEEvT1_.private_seg_size, 0
	.set _ZN7rocprim17ROCPRIM_400000_NS6detail17trampoline_kernelINS0_14default_configENS1_25transform_config_selectorIjLb0EEEZNS1_14transform_implILb0ES3_S5_PjN6thrust23THRUST_200600_302600_NS6detail15normal_iteratorINS9_10device_ptrIjEEEENS0_8identityIjEEEE10hipError_tT2_T3_mT4_P12ihipStream_tbEUlT_E_NS1_11comp_targetILNS1_3genE9ELNS1_11target_archE1100ELNS1_3gpuE3ELNS1_3repE0EEENS1_30default_config_static_selectorELNS0_4arch9wavefront6targetE1EEEvT1_.uses_vcc, 0
	.set _ZN7rocprim17ROCPRIM_400000_NS6detail17trampoline_kernelINS0_14default_configENS1_25transform_config_selectorIjLb0EEEZNS1_14transform_implILb0ES3_S5_PjN6thrust23THRUST_200600_302600_NS6detail15normal_iteratorINS9_10device_ptrIjEEEENS0_8identityIjEEEE10hipError_tT2_T3_mT4_P12ihipStream_tbEUlT_E_NS1_11comp_targetILNS1_3genE9ELNS1_11target_archE1100ELNS1_3gpuE3ELNS1_3repE0EEENS1_30default_config_static_selectorELNS0_4arch9wavefront6targetE1EEEvT1_.uses_flat_scratch, 0
	.set _ZN7rocprim17ROCPRIM_400000_NS6detail17trampoline_kernelINS0_14default_configENS1_25transform_config_selectorIjLb0EEEZNS1_14transform_implILb0ES3_S5_PjN6thrust23THRUST_200600_302600_NS6detail15normal_iteratorINS9_10device_ptrIjEEEENS0_8identityIjEEEE10hipError_tT2_T3_mT4_P12ihipStream_tbEUlT_E_NS1_11comp_targetILNS1_3genE9ELNS1_11target_archE1100ELNS1_3gpuE3ELNS1_3repE0EEENS1_30default_config_static_selectorELNS0_4arch9wavefront6targetE1EEEvT1_.has_dyn_sized_stack, 0
	.set _ZN7rocprim17ROCPRIM_400000_NS6detail17trampoline_kernelINS0_14default_configENS1_25transform_config_selectorIjLb0EEEZNS1_14transform_implILb0ES3_S5_PjN6thrust23THRUST_200600_302600_NS6detail15normal_iteratorINS9_10device_ptrIjEEEENS0_8identityIjEEEE10hipError_tT2_T3_mT4_P12ihipStream_tbEUlT_E_NS1_11comp_targetILNS1_3genE9ELNS1_11target_archE1100ELNS1_3gpuE3ELNS1_3repE0EEENS1_30default_config_static_selectorELNS0_4arch9wavefront6targetE1EEEvT1_.has_recursion, 0
	.set _ZN7rocprim17ROCPRIM_400000_NS6detail17trampoline_kernelINS0_14default_configENS1_25transform_config_selectorIjLb0EEEZNS1_14transform_implILb0ES3_S5_PjN6thrust23THRUST_200600_302600_NS6detail15normal_iteratorINS9_10device_ptrIjEEEENS0_8identityIjEEEE10hipError_tT2_T3_mT4_P12ihipStream_tbEUlT_E_NS1_11comp_targetILNS1_3genE9ELNS1_11target_archE1100ELNS1_3gpuE3ELNS1_3repE0EEENS1_30default_config_static_selectorELNS0_4arch9wavefront6targetE1EEEvT1_.has_indirect_call, 0
	.section	.AMDGPU.csdata,"",@progbits
; Kernel info:
; codeLenInByte = 0
; TotalNumSgprs: 6
; NumVgprs: 0
; NumAgprs: 0
; TotalNumVgprs: 0
; ScratchSize: 0
; MemoryBound: 0
; FloatMode: 240
; IeeeMode: 1
; LDSByteSize: 0 bytes/workgroup (compile time only)
; SGPRBlocks: 0
; VGPRBlocks: 0
; NumSGPRsForWavesPerEU: 6
; NumVGPRsForWavesPerEU: 1
; AccumOffset: 4
; Occupancy: 8
; WaveLimiterHint : 0
; COMPUTE_PGM_RSRC2:SCRATCH_EN: 0
; COMPUTE_PGM_RSRC2:USER_SGPR: 2
; COMPUTE_PGM_RSRC2:TRAP_HANDLER: 0
; COMPUTE_PGM_RSRC2:TGID_X_EN: 1
; COMPUTE_PGM_RSRC2:TGID_Y_EN: 0
; COMPUTE_PGM_RSRC2:TGID_Z_EN: 0
; COMPUTE_PGM_RSRC2:TIDIG_COMP_CNT: 0
; COMPUTE_PGM_RSRC3_GFX90A:ACCUM_OFFSET: 0
; COMPUTE_PGM_RSRC3_GFX90A:TG_SPLIT: 0
	.section	.text._ZN7rocprim17ROCPRIM_400000_NS6detail17trampoline_kernelINS0_14default_configENS1_25transform_config_selectorIjLb0EEEZNS1_14transform_implILb0ES3_S5_PjN6thrust23THRUST_200600_302600_NS6detail15normal_iteratorINS9_10device_ptrIjEEEENS0_8identityIjEEEE10hipError_tT2_T3_mT4_P12ihipStream_tbEUlT_E_NS1_11comp_targetILNS1_3genE8ELNS1_11target_archE1030ELNS1_3gpuE2ELNS1_3repE0EEENS1_30default_config_static_selectorELNS0_4arch9wavefront6targetE1EEEvT1_,"axG",@progbits,_ZN7rocprim17ROCPRIM_400000_NS6detail17trampoline_kernelINS0_14default_configENS1_25transform_config_selectorIjLb0EEEZNS1_14transform_implILb0ES3_S5_PjN6thrust23THRUST_200600_302600_NS6detail15normal_iteratorINS9_10device_ptrIjEEEENS0_8identityIjEEEE10hipError_tT2_T3_mT4_P12ihipStream_tbEUlT_E_NS1_11comp_targetILNS1_3genE8ELNS1_11target_archE1030ELNS1_3gpuE2ELNS1_3repE0EEENS1_30default_config_static_selectorELNS0_4arch9wavefront6targetE1EEEvT1_,comdat
	.protected	_ZN7rocprim17ROCPRIM_400000_NS6detail17trampoline_kernelINS0_14default_configENS1_25transform_config_selectorIjLb0EEEZNS1_14transform_implILb0ES3_S5_PjN6thrust23THRUST_200600_302600_NS6detail15normal_iteratorINS9_10device_ptrIjEEEENS0_8identityIjEEEE10hipError_tT2_T3_mT4_P12ihipStream_tbEUlT_E_NS1_11comp_targetILNS1_3genE8ELNS1_11target_archE1030ELNS1_3gpuE2ELNS1_3repE0EEENS1_30default_config_static_selectorELNS0_4arch9wavefront6targetE1EEEvT1_ ; -- Begin function _ZN7rocprim17ROCPRIM_400000_NS6detail17trampoline_kernelINS0_14default_configENS1_25transform_config_selectorIjLb0EEEZNS1_14transform_implILb0ES3_S5_PjN6thrust23THRUST_200600_302600_NS6detail15normal_iteratorINS9_10device_ptrIjEEEENS0_8identityIjEEEE10hipError_tT2_T3_mT4_P12ihipStream_tbEUlT_E_NS1_11comp_targetILNS1_3genE8ELNS1_11target_archE1030ELNS1_3gpuE2ELNS1_3repE0EEENS1_30default_config_static_selectorELNS0_4arch9wavefront6targetE1EEEvT1_
	.globl	_ZN7rocprim17ROCPRIM_400000_NS6detail17trampoline_kernelINS0_14default_configENS1_25transform_config_selectorIjLb0EEEZNS1_14transform_implILb0ES3_S5_PjN6thrust23THRUST_200600_302600_NS6detail15normal_iteratorINS9_10device_ptrIjEEEENS0_8identityIjEEEE10hipError_tT2_T3_mT4_P12ihipStream_tbEUlT_E_NS1_11comp_targetILNS1_3genE8ELNS1_11target_archE1030ELNS1_3gpuE2ELNS1_3repE0EEENS1_30default_config_static_selectorELNS0_4arch9wavefront6targetE1EEEvT1_
	.p2align	8
	.type	_ZN7rocprim17ROCPRIM_400000_NS6detail17trampoline_kernelINS0_14default_configENS1_25transform_config_selectorIjLb0EEEZNS1_14transform_implILb0ES3_S5_PjN6thrust23THRUST_200600_302600_NS6detail15normal_iteratorINS9_10device_ptrIjEEEENS0_8identityIjEEEE10hipError_tT2_T3_mT4_P12ihipStream_tbEUlT_E_NS1_11comp_targetILNS1_3genE8ELNS1_11target_archE1030ELNS1_3gpuE2ELNS1_3repE0EEENS1_30default_config_static_selectorELNS0_4arch9wavefront6targetE1EEEvT1_,@function
_ZN7rocprim17ROCPRIM_400000_NS6detail17trampoline_kernelINS0_14default_configENS1_25transform_config_selectorIjLb0EEEZNS1_14transform_implILb0ES3_S5_PjN6thrust23THRUST_200600_302600_NS6detail15normal_iteratorINS9_10device_ptrIjEEEENS0_8identityIjEEEE10hipError_tT2_T3_mT4_P12ihipStream_tbEUlT_E_NS1_11comp_targetILNS1_3genE8ELNS1_11target_archE1030ELNS1_3gpuE2ELNS1_3repE0EEENS1_30default_config_static_selectorELNS0_4arch9wavefront6targetE1EEEvT1_: ; @_ZN7rocprim17ROCPRIM_400000_NS6detail17trampoline_kernelINS0_14default_configENS1_25transform_config_selectorIjLb0EEEZNS1_14transform_implILb0ES3_S5_PjN6thrust23THRUST_200600_302600_NS6detail15normal_iteratorINS9_10device_ptrIjEEEENS0_8identityIjEEEE10hipError_tT2_T3_mT4_P12ihipStream_tbEUlT_E_NS1_11comp_targetILNS1_3genE8ELNS1_11target_archE1030ELNS1_3gpuE2ELNS1_3repE0EEENS1_30default_config_static_selectorELNS0_4arch9wavefront6targetE1EEEvT1_
; %bb.0:
	.section	.rodata,"a",@progbits
	.p2align	6, 0x0
	.amdhsa_kernel _ZN7rocprim17ROCPRIM_400000_NS6detail17trampoline_kernelINS0_14default_configENS1_25transform_config_selectorIjLb0EEEZNS1_14transform_implILb0ES3_S5_PjN6thrust23THRUST_200600_302600_NS6detail15normal_iteratorINS9_10device_ptrIjEEEENS0_8identityIjEEEE10hipError_tT2_T3_mT4_P12ihipStream_tbEUlT_E_NS1_11comp_targetILNS1_3genE8ELNS1_11target_archE1030ELNS1_3gpuE2ELNS1_3repE0EEENS1_30default_config_static_selectorELNS0_4arch9wavefront6targetE1EEEvT1_
		.amdhsa_group_segment_fixed_size 0
		.amdhsa_private_segment_fixed_size 0
		.amdhsa_kernarg_size 40
		.amdhsa_user_sgpr_count 2
		.amdhsa_user_sgpr_dispatch_ptr 0
		.amdhsa_user_sgpr_queue_ptr 0
		.amdhsa_user_sgpr_kernarg_segment_ptr 1
		.amdhsa_user_sgpr_dispatch_id 0
		.amdhsa_user_sgpr_kernarg_preload_length 0
		.amdhsa_user_sgpr_kernarg_preload_offset 0
		.amdhsa_user_sgpr_private_segment_size 0
		.amdhsa_uses_dynamic_stack 0
		.amdhsa_enable_private_segment 0
		.amdhsa_system_sgpr_workgroup_id_x 1
		.amdhsa_system_sgpr_workgroup_id_y 0
		.amdhsa_system_sgpr_workgroup_id_z 0
		.amdhsa_system_sgpr_workgroup_info 0
		.amdhsa_system_vgpr_workitem_id 0
		.amdhsa_next_free_vgpr 1
		.amdhsa_next_free_sgpr 0
		.amdhsa_accum_offset 4
		.amdhsa_reserve_vcc 0
		.amdhsa_float_round_mode_32 0
		.amdhsa_float_round_mode_16_64 0
		.amdhsa_float_denorm_mode_32 3
		.amdhsa_float_denorm_mode_16_64 3
		.amdhsa_dx10_clamp 1
		.amdhsa_ieee_mode 1
		.amdhsa_fp16_overflow 0
		.amdhsa_tg_split 0
		.amdhsa_exception_fp_ieee_invalid_op 0
		.amdhsa_exception_fp_denorm_src 0
		.amdhsa_exception_fp_ieee_div_zero 0
		.amdhsa_exception_fp_ieee_overflow 0
		.amdhsa_exception_fp_ieee_underflow 0
		.amdhsa_exception_fp_ieee_inexact 0
		.amdhsa_exception_int_div_zero 0
	.end_amdhsa_kernel
	.section	.text._ZN7rocprim17ROCPRIM_400000_NS6detail17trampoline_kernelINS0_14default_configENS1_25transform_config_selectorIjLb0EEEZNS1_14transform_implILb0ES3_S5_PjN6thrust23THRUST_200600_302600_NS6detail15normal_iteratorINS9_10device_ptrIjEEEENS0_8identityIjEEEE10hipError_tT2_T3_mT4_P12ihipStream_tbEUlT_E_NS1_11comp_targetILNS1_3genE8ELNS1_11target_archE1030ELNS1_3gpuE2ELNS1_3repE0EEENS1_30default_config_static_selectorELNS0_4arch9wavefront6targetE1EEEvT1_,"axG",@progbits,_ZN7rocprim17ROCPRIM_400000_NS6detail17trampoline_kernelINS0_14default_configENS1_25transform_config_selectorIjLb0EEEZNS1_14transform_implILb0ES3_S5_PjN6thrust23THRUST_200600_302600_NS6detail15normal_iteratorINS9_10device_ptrIjEEEENS0_8identityIjEEEE10hipError_tT2_T3_mT4_P12ihipStream_tbEUlT_E_NS1_11comp_targetILNS1_3genE8ELNS1_11target_archE1030ELNS1_3gpuE2ELNS1_3repE0EEENS1_30default_config_static_selectorELNS0_4arch9wavefront6targetE1EEEvT1_,comdat
.Lfunc_end675:
	.size	_ZN7rocprim17ROCPRIM_400000_NS6detail17trampoline_kernelINS0_14default_configENS1_25transform_config_selectorIjLb0EEEZNS1_14transform_implILb0ES3_S5_PjN6thrust23THRUST_200600_302600_NS6detail15normal_iteratorINS9_10device_ptrIjEEEENS0_8identityIjEEEE10hipError_tT2_T3_mT4_P12ihipStream_tbEUlT_E_NS1_11comp_targetILNS1_3genE8ELNS1_11target_archE1030ELNS1_3gpuE2ELNS1_3repE0EEENS1_30default_config_static_selectorELNS0_4arch9wavefront6targetE1EEEvT1_, .Lfunc_end675-_ZN7rocprim17ROCPRIM_400000_NS6detail17trampoline_kernelINS0_14default_configENS1_25transform_config_selectorIjLb0EEEZNS1_14transform_implILb0ES3_S5_PjN6thrust23THRUST_200600_302600_NS6detail15normal_iteratorINS9_10device_ptrIjEEEENS0_8identityIjEEEE10hipError_tT2_T3_mT4_P12ihipStream_tbEUlT_E_NS1_11comp_targetILNS1_3genE8ELNS1_11target_archE1030ELNS1_3gpuE2ELNS1_3repE0EEENS1_30default_config_static_selectorELNS0_4arch9wavefront6targetE1EEEvT1_
                                        ; -- End function
	.set _ZN7rocprim17ROCPRIM_400000_NS6detail17trampoline_kernelINS0_14default_configENS1_25transform_config_selectorIjLb0EEEZNS1_14transform_implILb0ES3_S5_PjN6thrust23THRUST_200600_302600_NS6detail15normal_iteratorINS9_10device_ptrIjEEEENS0_8identityIjEEEE10hipError_tT2_T3_mT4_P12ihipStream_tbEUlT_E_NS1_11comp_targetILNS1_3genE8ELNS1_11target_archE1030ELNS1_3gpuE2ELNS1_3repE0EEENS1_30default_config_static_selectorELNS0_4arch9wavefront6targetE1EEEvT1_.num_vgpr, 0
	.set _ZN7rocprim17ROCPRIM_400000_NS6detail17trampoline_kernelINS0_14default_configENS1_25transform_config_selectorIjLb0EEEZNS1_14transform_implILb0ES3_S5_PjN6thrust23THRUST_200600_302600_NS6detail15normal_iteratorINS9_10device_ptrIjEEEENS0_8identityIjEEEE10hipError_tT2_T3_mT4_P12ihipStream_tbEUlT_E_NS1_11comp_targetILNS1_3genE8ELNS1_11target_archE1030ELNS1_3gpuE2ELNS1_3repE0EEENS1_30default_config_static_selectorELNS0_4arch9wavefront6targetE1EEEvT1_.num_agpr, 0
	.set _ZN7rocprim17ROCPRIM_400000_NS6detail17trampoline_kernelINS0_14default_configENS1_25transform_config_selectorIjLb0EEEZNS1_14transform_implILb0ES3_S5_PjN6thrust23THRUST_200600_302600_NS6detail15normal_iteratorINS9_10device_ptrIjEEEENS0_8identityIjEEEE10hipError_tT2_T3_mT4_P12ihipStream_tbEUlT_E_NS1_11comp_targetILNS1_3genE8ELNS1_11target_archE1030ELNS1_3gpuE2ELNS1_3repE0EEENS1_30default_config_static_selectorELNS0_4arch9wavefront6targetE1EEEvT1_.numbered_sgpr, 0
	.set _ZN7rocprim17ROCPRIM_400000_NS6detail17trampoline_kernelINS0_14default_configENS1_25transform_config_selectorIjLb0EEEZNS1_14transform_implILb0ES3_S5_PjN6thrust23THRUST_200600_302600_NS6detail15normal_iteratorINS9_10device_ptrIjEEEENS0_8identityIjEEEE10hipError_tT2_T3_mT4_P12ihipStream_tbEUlT_E_NS1_11comp_targetILNS1_3genE8ELNS1_11target_archE1030ELNS1_3gpuE2ELNS1_3repE0EEENS1_30default_config_static_selectorELNS0_4arch9wavefront6targetE1EEEvT1_.num_named_barrier, 0
	.set _ZN7rocprim17ROCPRIM_400000_NS6detail17trampoline_kernelINS0_14default_configENS1_25transform_config_selectorIjLb0EEEZNS1_14transform_implILb0ES3_S5_PjN6thrust23THRUST_200600_302600_NS6detail15normal_iteratorINS9_10device_ptrIjEEEENS0_8identityIjEEEE10hipError_tT2_T3_mT4_P12ihipStream_tbEUlT_E_NS1_11comp_targetILNS1_3genE8ELNS1_11target_archE1030ELNS1_3gpuE2ELNS1_3repE0EEENS1_30default_config_static_selectorELNS0_4arch9wavefront6targetE1EEEvT1_.private_seg_size, 0
	.set _ZN7rocprim17ROCPRIM_400000_NS6detail17trampoline_kernelINS0_14default_configENS1_25transform_config_selectorIjLb0EEEZNS1_14transform_implILb0ES3_S5_PjN6thrust23THRUST_200600_302600_NS6detail15normal_iteratorINS9_10device_ptrIjEEEENS0_8identityIjEEEE10hipError_tT2_T3_mT4_P12ihipStream_tbEUlT_E_NS1_11comp_targetILNS1_3genE8ELNS1_11target_archE1030ELNS1_3gpuE2ELNS1_3repE0EEENS1_30default_config_static_selectorELNS0_4arch9wavefront6targetE1EEEvT1_.uses_vcc, 0
	.set _ZN7rocprim17ROCPRIM_400000_NS6detail17trampoline_kernelINS0_14default_configENS1_25transform_config_selectorIjLb0EEEZNS1_14transform_implILb0ES3_S5_PjN6thrust23THRUST_200600_302600_NS6detail15normal_iteratorINS9_10device_ptrIjEEEENS0_8identityIjEEEE10hipError_tT2_T3_mT4_P12ihipStream_tbEUlT_E_NS1_11comp_targetILNS1_3genE8ELNS1_11target_archE1030ELNS1_3gpuE2ELNS1_3repE0EEENS1_30default_config_static_selectorELNS0_4arch9wavefront6targetE1EEEvT1_.uses_flat_scratch, 0
	.set _ZN7rocprim17ROCPRIM_400000_NS6detail17trampoline_kernelINS0_14default_configENS1_25transform_config_selectorIjLb0EEEZNS1_14transform_implILb0ES3_S5_PjN6thrust23THRUST_200600_302600_NS6detail15normal_iteratorINS9_10device_ptrIjEEEENS0_8identityIjEEEE10hipError_tT2_T3_mT4_P12ihipStream_tbEUlT_E_NS1_11comp_targetILNS1_3genE8ELNS1_11target_archE1030ELNS1_3gpuE2ELNS1_3repE0EEENS1_30default_config_static_selectorELNS0_4arch9wavefront6targetE1EEEvT1_.has_dyn_sized_stack, 0
	.set _ZN7rocprim17ROCPRIM_400000_NS6detail17trampoline_kernelINS0_14default_configENS1_25transform_config_selectorIjLb0EEEZNS1_14transform_implILb0ES3_S5_PjN6thrust23THRUST_200600_302600_NS6detail15normal_iteratorINS9_10device_ptrIjEEEENS0_8identityIjEEEE10hipError_tT2_T3_mT4_P12ihipStream_tbEUlT_E_NS1_11comp_targetILNS1_3genE8ELNS1_11target_archE1030ELNS1_3gpuE2ELNS1_3repE0EEENS1_30default_config_static_selectorELNS0_4arch9wavefront6targetE1EEEvT1_.has_recursion, 0
	.set _ZN7rocprim17ROCPRIM_400000_NS6detail17trampoline_kernelINS0_14default_configENS1_25transform_config_selectorIjLb0EEEZNS1_14transform_implILb0ES3_S5_PjN6thrust23THRUST_200600_302600_NS6detail15normal_iteratorINS9_10device_ptrIjEEEENS0_8identityIjEEEE10hipError_tT2_T3_mT4_P12ihipStream_tbEUlT_E_NS1_11comp_targetILNS1_3genE8ELNS1_11target_archE1030ELNS1_3gpuE2ELNS1_3repE0EEENS1_30default_config_static_selectorELNS0_4arch9wavefront6targetE1EEEvT1_.has_indirect_call, 0
	.section	.AMDGPU.csdata,"",@progbits
; Kernel info:
; codeLenInByte = 0
; TotalNumSgprs: 6
; NumVgprs: 0
; NumAgprs: 0
; TotalNumVgprs: 0
; ScratchSize: 0
; MemoryBound: 0
; FloatMode: 240
; IeeeMode: 1
; LDSByteSize: 0 bytes/workgroup (compile time only)
; SGPRBlocks: 0
; VGPRBlocks: 0
; NumSGPRsForWavesPerEU: 6
; NumVGPRsForWavesPerEU: 1
; AccumOffset: 4
; Occupancy: 8
; WaveLimiterHint : 0
; COMPUTE_PGM_RSRC2:SCRATCH_EN: 0
; COMPUTE_PGM_RSRC2:USER_SGPR: 2
; COMPUTE_PGM_RSRC2:TRAP_HANDLER: 0
; COMPUTE_PGM_RSRC2:TGID_X_EN: 1
; COMPUTE_PGM_RSRC2:TGID_Y_EN: 0
; COMPUTE_PGM_RSRC2:TGID_Z_EN: 0
; COMPUTE_PGM_RSRC2:TIDIG_COMP_CNT: 0
; COMPUTE_PGM_RSRC3_GFX90A:ACCUM_OFFSET: 0
; COMPUTE_PGM_RSRC3_GFX90A:TG_SPLIT: 0
	.section	.text._ZN7rocprim17ROCPRIM_400000_NS6detail17trampoline_kernelINS0_14default_configENS1_38merge_sort_block_merge_config_selectorIjjEEZZNS1_27merge_sort_block_merge_implIS3_N6thrust23THRUST_200600_302600_NS6detail15normal_iteratorINS8_10device_ptrIjEEEESD_jNS1_19radix_merge_compareILb0ELb1EjNS0_19identity_decomposerEEEEE10hipError_tT0_T1_T2_jT3_P12ihipStream_tbPNSt15iterator_traitsISI_E10value_typeEPNSO_ISJ_E10value_typeEPSK_NS1_7vsmem_tEENKUlT_SI_SJ_SK_E_clIPjSD_S10_SD_EESH_SX_SI_SJ_SK_EUlSX_E_NS1_11comp_targetILNS1_3genE0ELNS1_11target_archE4294967295ELNS1_3gpuE0ELNS1_3repE0EEENS1_48merge_mergepath_partition_config_static_selectorELNS0_4arch9wavefront6targetE1EEEvSJ_,"axG",@progbits,_ZN7rocprim17ROCPRIM_400000_NS6detail17trampoline_kernelINS0_14default_configENS1_38merge_sort_block_merge_config_selectorIjjEEZZNS1_27merge_sort_block_merge_implIS3_N6thrust23THRUST_200600_302600_NS6detail15normal_iteratorINS8_10device_ptrIjEEEESD_jNS1_19radix_merge_compareILb0ELb1EjNS0_19identity_decomposerEEEEE10hipError_tT0_T1_T2_jT3_P12ihipStream_tbPNSt15iterator_traitsISI_E10value_typeEPNSO_ISJ_E10value_typeEPSK_NS1_7vsmem_tEENKUlT_SI_SJ_SK_E_clIPjSD_S10_SD_EESH_SX_SI_SJ_SK_EUlSX_E_NS1_11comp_targetILNS1_3genE0ELNS1_11target_archE4294967295ELNS1_3gpuE0ELNS1_3repE0EEENS1_48merge_mergepath_partition_config_static_selectorELNS0_4arch9wavefront6targetE1EEEvSJ_,comdat
	.protected	_ZN7rocprim17ROCPRIM_400000_NS6detail17trampoline_kernelINS0_14default_configENS1_38merge_sort_block_merge_config_selectorIjjEEZZNS1_27merge_sort_block_merge_implIS3_N6thrust23THRUST_200600_302600_NS6detail15normal_iteratorINS8_10device_ptrIjEEEESD_jNS1_19radix_merge_compareILb0ELb1EjNS0_19identity_decomposerEEEEE10hipError_tT0_T1_T2_jT3_P12ihipStream_tbPNSt15iterator_traitsISI_E10value_typeEPNSO_ISJ_E10value_typeEPSK_NS1_7vsmem_tEENKUlT_SI_SJ_SK_E_clIPjSD_S10_SD_EESH_SX_SI_SJ_SK_EUlSX_E_NS1_11comp_targetILNS1_3genE0ELNS1_11target_archE4294967295ELNS1_3gpuE0ELNS1_3repE0EEENS1_48merge_mergepath_partition_config_static_selectorELNS0_4arch9wavefront6targetE1EEEvSJ_ ; -- Begin function _ZN7rocprim17ROCPRIM_400000_NS6detail17trampoline_kernelINS0_14default_configENS1_38merge_sort_block_merge_config_selectorIjjEEZZNS1_27merge_sort_block_merge_implIS3_N6thrust23THRUST_200600_302600_NS6detail15normal_iteratorINS8_10device_ptrIjEEEESD_jNS1_19radix_merge_compareILb0ELb1EjNS0_19identity_decomposerEEEEE10hipError_tT0_T1_T2_jT3_P12ihipStream_tbPNSt15iterator_traitsISI_E10value_typeEPNSO_ISJ_E10value_typeEPSK_NS1_7vsmem_tEENKUlT_SI_SJ_SK_E_clIPjSD_S10_SD_EESH_SX_SI_SJ_SK_EUlSX_E_NS1_11comp_targetILNS1_3genE0ELNS1_11target_archE4294967295ELNS1_3gpuE0ELNS1_3repE0EEENS1_48merge_mergepath_partition_config_static_selectorELNS0_4arch9wavefront6targetE1EEEvSJ_
	.globl	_ZN7rocprim17ROCPRIM_400000_NS6detail17trampoline_kernelINS0_14default_configENS1_38merge_sort_block_merge_config_selectorIjjEEZZNS1_27merge_sort_block_merge_implIS3_N6thrust23THRUST_200600_302600_NS6detail15normal_iteratorINS8_10device_ptrIjEEEESD_jNS1_19radix_merge_compareILb0ELb1EjNS0_19identity_decomposerEEEEE10hipError_tT0_T1_T2_jT3_P12ihipStream_tbPNSt15iterator_traitsISI_E10value_typeEPNSO_ISJ_E10value_typeEPSK_NS1_7vsmem_tEENKUlT_SI_SJ_SK_E_clIPjSD_S10_SD_EESH_SX_SI_SJ_SK_EUlSX_E_NS1_11comp_targetILNS1_3genE0ELNS1_11target_archE4294967295ELNS1_3gpuE0ELNS1_3repE0EEENS1_48merge_mergepath_partition_config_static_selectorELNS0_4arch9wavefront6targetE1EEEvSJ_
	.p2align	8
	.type	_ZN7rocprim17ROCPRIM_400000_NS6detail17trampoline_kernelINS0_14default_configENS1_38merge_sort_block_merge_config_selectorIjjEEZZNS1_27merge_sort_block_merge_implIS3_N6thrust23THRUST_200600_302600_NS6detail15normal_iteratorINS8_10device_ptrIjEEEESD_jNS1_19radix_merge_compareILb0ELb1EjNS0_19identity_decomposerEEEEE10hipError_tT0_T1_T2_jT3_P12ihipStream_tbPNSt15iterator_traitsISI_E10value_typeEPNSO_ISJ_E10value_typeEPSK_NS1_7vsmem_tEENKUlT_SI_SJ_SK_E_clIPjSD_S10_SD_EESH_SX_SI_SJ_SK_EUlSX_E_NS1_11comp_targetILNS1_3genE0ELNS1_11target_archE4294967295ELNS1_3gpuE0ELNS1_3repE0EEENS1_48merge_mergepath_partition_config_static_selectorELNS0_4arch9wavefront6targetE1EEEvSJ_,@function
_ZN7rocprim17ROCPRIM_400000_NS6detail17trampoline_kernelINS0_14default_configENS1_38merge_sort_block_merge_config_selectorIjjEEZZNS1_27merge_sort_block_merge_implIS3_N6thrust23THRUST_200600_302600_NS6detail15normal_iteratorINS8_10device_ptrIjEEEESD_jNS1_19radix_merge_compareILb0ELb1EjNS0_19identity_decomposerEEEEE10hipError_tT0_T1_T2_jT3_P12ihipStream_tbPNSt15iterator_traitsISI_E10value_typeEPNSO_ISJ_E10value_typeEPSK_NS1_7vsmem_tEENKUlT_SI_SJ_SK_E_clIPjSD_S10_SD_EESH_SX_SI_SJ_SK_EUlSX_E_NS1_11comp_targetILNS1_3genE0ELNS1_11target_archE4294967295ELNS1_3gpuE0ELNS1_3repE0EEENS1_48merge_mergepath_partition_config_static_selectorELNS0_4arch9wavefront6targetE1EEEvSJ_: ; @_ZN7rocprim17ROCPRIM_400000_NS6detail17trampoline_kernelINS0_14default_configENS1_38merge_sort_block_merge_config_selectorIjjEEZZNS1_27merge_sort_block_merge_implIS3_N6thrust23THRUST_200600_302600_NS6detail15normal_iteratorINS8_10device_ptrIjEEEESD_jNS1_19radix_merge_compareILb0ELb1EjNS0_19identity_decomposerEEEEE10hipError_tT0_T1_T2_jT3_P12ihipStream_tbPNSt15iterator_traitsISI_E10value_typeEPNSO_ISJ_E10value_typeEPSK_NS1_7vsmem_tEENKUlT_SI_SJ_SK_E_clIPjSD_S10_SD_EESH_SX_SI_SJ_SK_EUlSX_E_NS1_11comp_targetILNS1_3genE0ELNS1_11target_archE4294967295ELNS1_3gpuE0ELNS1_3repE0EEENS1_48merge_mergepath_partition_config_static_selectorELNS0_4arch9wavefront6targetE1EEEvSJ_
; %bb.0:
	s_load_dword s3, s[0:1], 0x0
	v_lshl_or_b32 v0, s2, 7, v0
	s_waitcnt lgkmcnt(0)
	v_cmp_gt_u32_e32 vcc, s3, v0
	s_and_saveexec_b64 s[2:3], vcc
	s_cbranch_execz .LBB676_6
; %bb.1:
	s_load_dwordx2 s[4:5], s[0:1], 0x4
	s_load_dwordx2 s[2:3], s[0:1], 0x20
	s_waitcnt lgkmcnt(0)
	s_lshr_b32 s6, s4, 9
	s_and_b32 s6, s6, 0x7ffffe
	s_add_i32 s7, s6, -1
	s_sub_i32 s6, 0, s6
	v_and_b32_e32 v1, s6, v0
	v_lshlrev_b32_e32 v1, 10, v1
	v_min_u32_e32 v2, s5, v1
	v_add_u32_e32 v1, s4, v1
	v_min_u32_e32 v4, s5, v1
	v_add_u32_e32 v1, s4, v4
	v_and_b32_e32 v3, s7, v0
	v_min_u32_e32 v1, s5, v1
	v_sub_u32_e32 v5, v1, v2
	v_lshlrev_b32_e32 v3, 10, v3
	v_min_u32_e32 v10, v5, v3
	v_sub_u32_e32 v3, v4, v2
	v_sub_u32_e32 v1, v1, v4
	v_sub_u32_e64 v1, v10, v1 clamp
	v_min_u32_e32 v11, v10, v3
	v_cmp_lt_u32_e32 vcc, v1, v11
	s_and_saveexec_b64 s[4:5], vcc
	s_cbranch_execz .LBB676_5
; %bb.2:
	s_load_dwordx2 s[8:9], s[0:1], 0x10
	s_load_dword s6, s[0:1], 0x18
	v_mov_b32_e32 v5, 0
	v_mov_b32_e32 v3, v5
	s_mov_b64 s[0:1], 0
	s_waitcnt lgkmcnt(0)
	v_lshl_add_u64 v[6:7], v[2:3], 2, s[8:9]
	v_lshl_add_u64 v[8:9], v[4:5], 2, s[8:9]
.LBB676_3:                              ; =>This Inner Loop Header: Depth=1
	v_add_u32_e32 v3, v11, v1
	v_lshrrev_b32_e32 v4, 1, v3
	v_mov_b32_e32 v13, v5
	v_xad_u32 v12, v4, -1, v10
	v_lshl_add_u64 v[14:15], v[4:5], 2, v[6:7]
	v_lshl_add_u64 v[12:13], v[12:13], 2, v[8:9]
	global_load_dword v3, v[14:15], off
	global_load_dword v16, v[12:13], off
	v_add_u32_e32 v12, 1, v4
	s_waitcnt vmcnt(1)
	v_and_b32_e32 v3, s6, v3
	s_waitcnt vmcnt(0)
	v_and_b32_e32 v13, s6, v16
	v_cmp_gt_u32_e32 vcc, v3, v13
	s_nop 1
	v_cndmask_b32_e32 v11, v11, v4, vcc
	v_cndmask_b32_e32 v1, v12, v1, vcc
	v_cmp_ge_u32_e32 vcc, v1, v11
	s_or_b64 s[0:1], vcc, s[0:1]
	s_andn2_b64 exec, exec, s[0:1]
	s_cbranch_execnz .LBB676_3
; %bb.4:
	s_or_b64 exec, exec, s[0:1]
.LBB676_5:
	s_or_b64 exec, exec, s[4:5]
	v_add_u32_e32 v2, v1, v2
	v_mov_b32_e32 v1, 0
	v_lshl_add_u64 v[0:1], v[0:1], 2, s[2:3]
	global_store_dword v[0:1], v2, off
.LBB676_6:
	s_endpgm
	.section	.rodata,"a",@progbits
	.p2align	6, 0x0
	.amdhsa_kernel _ZN7rocprim17ROCPRIM_400000_NS6detail17trampoline_kernelINS0_14default_configENS1_38merge_sort_block_merge_config_selectorIjjEEZZNS1_27merge_sort_block_merge_implIS3_N6thrust23THRUST_200600_302600_NS6detail15normal_iteratorINS8_10device_ptrIjEEEESD_jNS1_19radix_merge_compareILb0ELb1EjNS0_19identity_decomposerEEEEE10hipError_tT0_T1_T2_jT3_P12ihipStream_tbPNSt15iterator_traitsISI_E10value_typeEPNSO_ISJ_E10value_typeEPSK_NS1_7vsmem_tEENKUlT_SI_SJ_SK_E_clIPjSD_S10_SD_EESH_SX_SI_SJ_SK_EUlSX_E_NS1_11comp_targetILNS1_3genE0ELNS1_11target_archE4294967295ELNS1_3gpuE0ELNS1_3repE0EEENS1_48merge_mergepath_partition_config_static_selectorELNS0_4arch9wavefront6targetE1EEEvSJ_
		.amdhsa_group_segment_fixed_size 0
		.amdhsa_private_segment_fixed_size 0
		.amdhsa_kernarg_size 40
		.amdhsa_user_sgpr_count 2
		.amdhsa_user_sgpr_dispatch_ptr 0
		.amdhsa_user_sgpr_queue_ptr 0
		.amdhsa_user_sgpr_kernarg_segment_ptr 1
		.amdhsa_user_sgpr_dispatch_id 0
		.amdhsa_user_sgpr_kernarg_preload_length 0
		.amdhsa_user_sgpr_kernarg_preload_offset 0
		.amdhsa_user_sgpr_private_segment_size 0
		.amdhsa_uses_dynamic_stack 0
		.amdhsa_enable_private_segment 0
		.amdhsa_system_sgpr_workgroup_id_x 1
		.amdhsa_system_sgpr_workgroup_id_y 0
		.amdhsa_system_sgpr_workgroup_id_z 0
		.amdhsa_system_sgpr_workgroup_info 0
		.amdhsa_system_vgpr_workitem_id 0
		.amdhsa_next_free_vgpr 17
		.amdhsa_next_free_sgpr 10
		.amdhsa_accum_offset 20
		.amdhsa_reserve_vcc 1
		.amdhsa_float_round_mode_32 0
		.amdhsa_float_round_mode_16_64 0
		.amdhsa_float_denorm_mode_32 3
		.amdhsa_float_denorm_mode_16_64 3
		.amdhsa_dx10_clamp 1
		.amdhsa_ieee_mode 1
		.amdhsa_fp16_overflow 0
		.amdhsa_tg_split 0
		.amdhsa_exception_fp_ieee_invalid_op 0
		.amdhsa_exception_fp_denorm_src 0
		.amdhsa_exception_fp_ieee_div_zero 0
		.amdhsa_exception_fp_ieee_overflow 0
		.amdhsa_exception_fp_ieee_underflow 0
		.amdhsa_exception_fp_ieee_inexact 0
		.amdhsa_exception_int_div_zero 0
	.end_amdhsa_kernel
	.section	.text._ZN7rocprim17ROCPRIM_400000_NS6detail17trampoline_kernelINS0_14default_configENS1_38merge_sort_block_merge_config_selectorIjjEEZZNS1_27merge_sort_block_merge_implIS3_N6thrust23THRUST_200600_302600_NS6detail15normal_iteratorINS8_10device_ptrIjEEEESD_jNS1_19radix_merge_compareILb0ELb1EjNS0_19identity_decomposerEEEEE10hipError_tT0_T1_T2_jT3_P12ihipStream_tbPNSt15iterator_traitsISI_E10value_typeEPNSO_ISJ_E10value_typeEPSK_NS1_7vsmem_tEENKUlT_SI_SJ_SK_E_clIPjSD_S10_SD_EESH_SX_SI_SJ_SK_EUlSX_E_NS1_11comp_targetILNS1_3genE0ELNS1_11target_archE4294967295ELNS1_3gpuE0ELNS1_3repE0EEENS1_48merge_mergepath_partition_config_static_selectorELNS0_4arch9wavefront6targetE1EEEvSJ_,"axG",@progbits,_ZN7rocprim17ROCPRIM_400000_NS6detail17trampoline_kernelINS0_14default_configENS1_38merge_sort_block_merge_config_selectorIjjEEZZNS1_27merge_sort_block_merge_implIS3_N6thrust23THRUST_200600_302600_NS6detail15normal_iteratorINS8_10device_ptrIjEEEESD_jNS1_19radix_merge_compareILb0ELb1EjNS0_19identity_decomposerEEEEE10hipError_tT0_T1_T2_jT3_P12ihipStream_tbPNSt15iterator_traitsISI_E10value_typeEPNSO_ISJ_E10value_typeEPSK_NS1_7vsmem_tEENKUlT_SI_SJ_SK_E_clIPjSD_S10_SD_EESH_SX_SI_SJ_SK_EUlSX_E_NS1_11comp_targetILNS1_3genE0ELNS1_11target_archE4294967295ELNS1_3gpuE0ELNS1_3repE0EEENS1_48merge_mergepath_partition_config_static_selectorELNS0_4arch9wavefront6targetE1EEEvSJ_,comdat
.Lfunc_end676:
	.size	_ZN7rocprim17ROCPRIM_400000_NS6detail17trampoline_kernelINS0_14default_configENS1_38merge_sort_block_merge_config_selectorIjjEEZZNS1_27merge_sort_block_merge_implIS3_N6thrust23THRUST_200600_302600_NS6detail15normal_iteratorINS8_10device_ptrIjEEEESD_jNS1_19radix_merge_compareILb0ELb1EjNS0_19identity_decomposerEEEEE10hipError_tT0_T1_T2_jT3_P12ihipStream_tbPNSt15iterator_traitsISI_E10value_typeEPNSO_ISJ_E10value_typeEPSK_NS1_7vsmem_tEENKUlT_SI_SJ_SK_E_clIPjSD_S10_SD_EESH_SX_SI_SJ_SK_EUlSX_E_NS1_11comp_targetILNS1_3genE0ELNS1_11target_archE4294967295ELNS1_3gpuE0ELNS1_3repE0EEENS1_48merge_mergepath_partition_config_static_selectorELNS0_4arch9wavefront6targetE1EEEvSJ_, .Lfunc_end676-_ZN7rocprim17ROCPRIM_400000_NS6detail17trampoline_kernelINS0_14default_configENS1_38merge_sort_block_merge_config_selectorIjjEEZZNS1_27merge_sort_block_merge_implIS3_N6thrust23THRUST_200600_302600_NS6detail15normal_iteratorINS8_10device_ptrIjEEEESD_jNS1_19radix_merge_compareILb0ELb1EjNS0_19identity_decomposerEEEEE10hipError_tT0_T1_T2_jT3_P12ihipStream_tbPNSt15iterator_traitsISI_E10value_typeEPNSO_ISJ_E10value_typeEPSK_NS1_7vsmem_tEENKUlT_SI_SJ_SK_E_clIPjSD_S10_SD_EESH_SX_SI_SJ_SK_EUlSX_E_NS1_11comp_targetILNS1_3genE0ELNS1_11target_archE4294967295ELNS1_3gpuE0ELNS1_3repE0EEENS1_48merge_mergepath_partition_config_static_selectorELNS0_4arch9wavefront6targetE1EEEvSJ_
                                        ; -- End function
	.set _ZN7rocprim17ROCPRIM_400000_NS6detail17trampoline_kernelINS0_14default_configENS1_38merge_sort_block_merge_config_selectorIjjEEZZNS1_27merge_sort_block_merge_implIS3_N6thrust23THRUST_200600_302600_NS6detail15normal_iteratorINS8_10device_ptrIjEEEESD_jNS1_19radix_merge_compareILb0ELb1EjNS0_19identity_decomposerEEEEE10hipError_tT0_T1_T2_jT3_P12ihipStream_tbPNSt15iterator_traitsISI_E10value_typeEPNSO_ISJ_E10value_typeEPSK_NS1_7vsmem_tEENKUlT_SI_SJ_SK_E_clIPjSD_S10_SD_EESH_SX_SI_SJ_SK_EUlSX_E_NS1_11comp_targetILNS1_3genE0ELNS1_11target_archE4294967295ELNS1_3gpuE0ELNS1_3repE0EEENS1_48merge_mergepath_partition_config_static_selectorELNS0_4arch9wavefront6targetE1EEEvSJ_.num_vgpr, 17
	.set _ZN7rocprim17ROCPRIM_400000_NS6detail17trampoline_kernelINS0_14default_configENS1_38merge_sort_block_merge_config_selectorIjjEEZZNS1_27merge_sort_block_merge_implIS3_N6thrust23THRUST_200600_302600_NS6detail15normal_iteratorINS8_10device_ptrIjEEEESD_jNS1_19radix_merge_compareILb0ELb1EjNS0_19identity_decomposerEEEEE10hipError_tT0_T1_T2_jT3_P12ihipStream_tbPNSt15iterator_traitsISI_E10value_typeEPNSO_ISJ_E10value_typeEPSK_NS1_7vsmem_tEENKUlT_SI_SJ_SK_E_clIPjSD_S10_SD_EESH_SX_SI_SJ_SK_EUlSX_E_NS1_11comp_targetILNS1_3genE0ELNS1_11target_archE4294967295ELNS1_3gpuE0ELNS1_3repE0EEENS1_48merge_mergepath_partition_config_static_selectorELNS0_4arch9wavefront6targetE1EEEvSJ_.num_agpr, 0
	.set _ZN7rocprim17ROCPRIM_400000_NS6detail17trampoline_kernelINS0_14default_configENS1_38merge_sort_block_merge_config_selectorIjjEEZZNS1_27merge_sort_block_merge_implIS3_N6thrust23THRUST_200600_302600_NS6detail15normal_iteratorINS8_10device_ptrIjEEEESD_jNS1_19radix_merge_compareILb0ELb1EjNS0_19identity_decomposerEEEEE10hipError_tT0_T1_T2_jT3_P12ihipStream_tbPNSt15iterator_traitsISI_E10value_typeEPNSO_ISJ_E10value_typeEPSK_NS1_7vsmem_tEENKUlT_SI_SJ_SK_E_clIPjSD_S10_SD_EESH_SX_SI_SJ_SK_EUlSX_E_NS1_11comp_targetILNS1_3genE0ELNS1_11target_archE4294967295ELNS1_3gpuE0ELNS1_3repE0EEENS1_48merge_mergepath_partition_config_static_selectorELNS0_4arch9wavefront6targetE1EEEvSJ_.numbered_sgpr, 10
	.set _ZN7rocprim17ROCPRIM_400000_NS6detail17trampoline_kernelINS0_14default_configENS1_38merge_sort_block_merge_config_selectorIjjEEZZNS1_27merge_sort_block_merge_implIS3_N6thrust23THRUST_200600_302600_NS6detail15normal_iteratorINS8_10device_ptrIjEEEESD_jNS1_19radix_merge_compareILb0ELb1EjNS0_19identity_decomposerEEEEE10hipError_tT0_T1_T2_jT3_P12ihipStream_tbPNSt15iterator_traitsISI_E10value_typeEPNSO_ISJ_E10value_typeEPSK_NS1_7vsmem_tEENKUlT_SI_SJ_SK_E_clIPjSD_S10_SD_EESH_SX_SI_SJ_SK_EUlSX_E_NS1_11comp_targetILNS1_3genE0ELNS1_11target_archE4294967295ELNS1_3gpuE0ELNS1_3repE0EEENS1_48merge_mergepath_partition_config_static_selectorELNS0_4arch9wavefront6targetE1EEEvSJ_.num_named_barrier, 0
	.set _ZN7rocprim17ROCPRIM_400000_NS6detail17trampoline_kernelINS0_14default_configENS1_38merge_sort_block_merge_config_selectorIjjEEZZNS1_27merge_sort_block_merge_implIS3_N6thrust23THRUST_200600_302600_NS6detail15normal_iteratorINS8_10device_ptrIjEEEESD_jNS1_19radix_merge_compareILb0ELb1EjNS0_19identity_decomposerEEEEE10hipError_tT0_T1_T2_jT3_P12ihipStream_tbPNSt15iterator_traitsISI_E10value_typeEPNSO_ISJ_E10value_typeEPSK_NS1_7vsmem_tEENKUlT_SI_SJ_SK_E_clIPjSD_S10_SD_EESH_SX_SI_SJ_SK_EUlSX_E_NS1_11comp_targetILNS1_3genE0ELNS1_11target_archE4294967295ELNS1_3gpuE0ELNS1_3repE0EEENS1_48merge_mergepath_partition_config_static_selectorELNS0_4arch9wavefront6targetE1EEEvSJ_.private_seg_size, 0
	.set _ZN7rocprim17ROCPRIM_400000_NS6detail17trampoline_kernelINS0_14default_configENS1_38merge_sort_block_merge_config_selectorIjjEEZZNS1_27merge_sort_block_merge_implIS3_N6thrust23THRUST_200600_302600_NS6detail15normal_iteratorINS8_10device_ptrIjEEEESD_jNS1_19radix_merge_compareILb0ELb1EjNS0_19identity_decomposerEEEEE10hipError_tT0_T1_T2_jT3_P12ihipStream_tbPNSt15iterator_traitsISI_E10value_typeEPNSO_ISJ_E10value_typeEPSK_NS1_7vsmem_tEENKUlT_SI_SJ_SK_E_clIPjSD_S10_SD_EESH_SX_SI_SJ_SK_EUlSX_E_NS1_11comp_targetILNS1_3genE0ELNS1_11target_archE4294967295ELNS1_3gpuE0ELNS1_3repE0EEENS1_48merge_mergepath_partition_config_static_selectorELNS0_4arch9wavefront6targetE1EEEvSJ_.uses_vcc, 1
	.set _ZN7rocprim17ROCPRIM_400000_NS6detail17trampoline_kernelINS0_14default_configENS1_38merge_sort_block_merge_config_selectorIjjEEZZNS1_27merge_sort_block_merge_implIS3_N6thrust23THRUST_200600_302600_NS6detail15normal_iteratorINS8_10device_ptrIjEEEESD_jNS1_19radix_merge_compareILb0ELb1EjNS0_19identity_decomposerEEEEE10hipError_tT0_T1_T2_jT3_P12ihipStream_tbPNSt15iterator_traitsISI_E10value_typeEPNSO_ISJ_E10value_typeEPSK_NS1_7vsmem_tEENKUlT_SI_SJ_SK_E_clIPjSD_S10_SD_EESH_SX_SI_SJ_SK_EUlSX_E_NS1_11comp_targetILNS1_3genE0ELNS1_11target_archE4294967295ELNS1_3gpuE0ELNS1_3repE0EEENS1_48merge_mergepath_partition_config_static_selectorELNS0_4arch9wavefront6targetE1EEEvSJ_.uses_flat_scratch, 0
	.set _ZN7rocprim17ROCPRIM_400000_NS6detail17trampoline_kernelINS0_14default_configENS1_38merge_sort_block_merge_config_selectorIjjEEZZNS1_27merge_sort_block_merge_implIS3_N6thrust23THRUST_200600_302600_NS6detail15normal_iteratorINS8_10device_ptrIjEEEESD_jNS1_19radix_merge_compareILb0ELb1EjNS0_19identity_decomposerEEEEE10hipError_tT0_T1_T2_jT3_P12ihipStream_tbPNSt15iterator_traitsISI_E10value_typeEPNSO_ISJ_E10value_typeEPSK_NS1_7vsmem_tEENKUlT_SI_SJ_SK_E_clIPjSD_S10_SD_EESH_SX_SI_SJ_SK_EUlSX_E_NS1_11comp_targetILNS1_3genE0ELNS1_11target_archE4294967295ELNS1_3gpuE0ELNS1_3repE0EEENS1_48merge_mergepath_partition_config_static_selectorELNS0_4arch9wavefront6targetE1EEEvSJ_.has_dyn_sized_stack, 0
	.set _ZN7rocprim17ROCPRIM_400000_NS6detail17trampoline_kernelINS0_14default_configENS1_38merge_sort_block_merge_config_selectorIjjEEZZNS1_27merge_sort_block_merge_implIS3_N6thrust23THRUST_200600_302600_NS6detail15normal_iteratorINS8_10device_ptrIjEEEESD_jNS1_19radix_merge_compareILb0ELb1EjNS0_19identity_decomposerEEEEE10hipError_tT0_T1_T2_jT3_P12ihipStream_tbPNSt15iterator_traitsISI_E10value_typeEPNSO_ISJ_E10value_typeEPSK_NS1_7vsmem_tEENKUlT_SI_SJ_SK_E_clIPjSD_S10_SD_EESH_SX_SI_SJ_SK_EUlSX_E_NS1_11comp_targetILNS1_3genE0ELNS1_11target_archE4294967295ELNS1_3gpuE0ELNS1_3repE0EEENS1_48merge_mergepath_partition_config_static_selectorELNS0_4arch9wavefront6targetE1EEEvSJ_.has_recursion, 0
	.set _ZN7rocprim17ROCPRIM_400000_NS6detail17trampoline_kernelINS0_14default_configENS1_38merge_sort_block_merge_config_selectorIjjEEZZNS1_27merge_sort_block_merge_implIS3_N6thrust23THRUST_200600_302600_NS6detail15normal_iteratorINS8_10device_ptrIjEEEESD_jNS1_19radix_merge_compareILb0ELb1EjNS0_19identity_decomposerEEEEE10hipError_tT0_T1_T2_jT3_P12ihipStream_tbPNSt15iterator_traitsISI_E10value_typeEPNSO_ISJ_E10value_typeEPSK_NS1_7vsmem_tEENKUlT_SI_SJ_SK_E_clIPjSD_S10_SD_EESH_SX_SI_SJ_SK_EUlSX_E_NS1_11comp_targetILNS1_3genE0ELNS1_11target_archE4294967295ELNS1_3gpuE0ELNS1_3repE0EEENS1_48merge_mergepath_partition_config_static_selectorELNS0_4arch9wavefront6targetE1EEEvSJ_.has_indirect_call, 0
	.section	.AMDGPU.csdata,"",@progbits
; Kernel info:
; codeLenInByte = 336
; TotalNumSgprs: 16
; NumVgprs: 17
; NumAgprs: 0
; TotalNumVgprs: 17
; ScratchSize: 0
; MemoryBound: 0
; FloatMode: 240
; IeeeMode: 1
; LDSByteSize: 0 bytes/workgroup (compile time only)
; SGPRBlocks: 1
; VGPRBlocks: 2
; NumSGPRsForWavesPerEU: 16
; NumVGPRsForWavesPerEU: 17
; AccumOffset: 20
; Occupancy: 8
; WaveLimiterHint : 0
; COMPUTE_PGM_RSRC2:SCRATCH_EN: 0
; COMPUTE_PGM_RSRC2:USER_SGPR: 2
; COMPUTE_PGM_RSRC2:TRAP_HANDLER: 0
; COMPUTE_PGM_RSRC2:TGID_X_EN: 1
; COMPUTE_PGM_RSRC2:TGID_Y_EN: 0
; COMPUTE_PGM_RSRC2:TGID_Z_EN: 0
; COMPUTE_PGM_RSRC2:TIDIG_COMP_CNT: 0
; COMPUTE_PGM_RSRC3_GFX90A:ACCUM_OFFSET: 4
; COMPUTE_PGM_RSRC3_GFX90A:TG_SPLIT: 0
	.section	.text._ZN7rocprim17ROCPRIM_400000_NS6detail17trampoline_kernelINS0_14default_configENS1_38merge_sort_block_merge_config_selectorIjjEEZZNS1_27merge_sort_block_merge_implIS3_N6thrust23THRUST_200600_302600_NS6detail15normal_iteratorINS8_10device_ptrIjEEEESD_jNS1_19radix_merge_compareILb0ELb1EjNS0_19identity_decomposerEEEEE10hipError_tT0_T1_T2_jT3_P12ihipStream_tbPNSt15iterator_traitsISI_E10value_typeEPNSO_ISJ_E10value_typeEPSK_NS1_7vsmem_tEENKUlT_SI_SJ_SK_E_clIPjSD_S10_SD_EESH_SX_SI_SJ_SK_EUlSX_E_NS1_11comp_targetILNS1_3genE10ELNS1_11target_archE1201ELNS1_3gpuE5ELNS1_3repE0EEENS1_48merge_mergepath_partition_config_static_selectorELNS0_4arch9wavefront6targetE1EEEvSJ_,"axG",@progbits,_ZN7rocprim17ROCPRIM_400000_NS6detail17trampoline_kernelINS0_14default_configENS1_38merge_sort_block_merge_config_selectorIjjEEZZNS1_27merge_sort_block_merge_implIS3_N6thrust23THRUST_200600_302600_NS6detail15normal_iteratorINS8_10device_ptrIjEEEESD_jNS1_19radix_merge_compareILb0ELb1EjNS0_19identity_decomposerEEEEE10hipError_tT0_T1_T2_jT3_P12ihipStream_tbPNSt15iterator_traitsISI_E10value_typeEPNSO_ISJ_E10value_typeEPSK_NS1_7vsmem_tEENKUlT_SI_SJ_SK_E_clIPjSD_S10_SD_EESH_SX_SI_SJ_SK_EUlSX_E_NS1_11comp_targetILNS1_3genE10ELNS1_11target_archE1201ELNS1_3gpuE5ELNS1_3repE0EEENS1_48merge_mergepath_partition_config_static_selectorELNS0_4arch9wavefront6targetE1EEEvSJ_,comdat
	.protected	_ZN7rocprim17ROCPRIM_400000_NS6detail17trampoline_kernelINS0_14default_configENS1_38merge_sort_block_merge_config_selectorIjjEEZZNS1_27merge_sort_block_merge_implIS3_N6thrust23THRUST_200600_302600_NS6detail15normal_iteratorINS8_10device_ptrIjEEEESD_jNS1_19radix_merge_compareILb0ELb1EjNS0_19identity_decomposerEEEEE10hipError_tT0_T1_T2_jT3_P12ihipStream_tbPNSt15iterator_traitsISI_E10value_typeEPNSO_ISJ_E10value_typeEPSK_NS1_7vsmem_tEENKUlT_SI_SJ_SK_E_clIPjSD_S10_SD_EESH_SX_SI_SJ_SK_EUlSX_E_NS1_11comp_targetILNS1_3genE10ELNS1_11target_archE1201ELNS1_3gpuE5ELNS1_3repE0EEENS1_48merge_mergepath_partition_config_static_selectorELNS0_4arch9wavefront6targetE1EEEvSJ_ ; -- Begin function _ZN7rocprim17ROCPRIM_400000_NS6detail17trampoline_kernelINS0_14default_configENS1_38merge_sort_block_merge_config_selectorIjjEEZZNS1_27merge_sort_block_merge_implIS3_N6thrust23THRUST_200600_302600_NS6detail15normal_iteratorINS8_10device_ptrIjEEEESD_jNS1_19radix_merge_compareILb0ELb1EjNS0_19identity_decomposerEEEEE10hipError_tT0_T1_T2_jT3_P12ihipStream_tbPNSt15iterator_traitsISI_E10value_typeEPNSO_ISJ_E10value_typeEPSK_NS1_7vsmem_tEENKUlT_SI_SJ_SK_E_clIPjSD_S10_SD_EESH_SX_SI_SJ_SK_EUlSX_E_NS1_11comp_targetILNS1_3genE10ELNS1_11target_archE1201ELNS1_3gpuE5ELNS1_3repE0EEENS1_48merge_mergepath_partition_config_static_selectorELNS0_4arch9wavefront6targetE1EEEvSJ_
	.globl	_ZN7rocprim17ROCPRIM_400000_NS6detail17trampoline_kernelINS0_14default_configENS1_38merge_sort_block_merge_config_selectorIjjEEZZNS1_27merge_sort_block_merge_implIS3_N6thrust23THRUST_200600_302600_NS6detail15normal_iteratorINS8_10device_ptrIjEEEESD_jNS1_19radix_merge_compareILb0ELb1EjNS0_19identity_decomposerEEEEE10hipError_tT0_T1_T2_jT3_P12ihipStream_tbPNSt15iterator_traitsISI_E10value_typeEPNSO_ISJ_E10value_typeEPSK_NS1_7vsmem_tEENKUlT_SI_SJ_SK_E_clIPjSD_S10_SD_EESH_SX_SI_SJ_SK_EUlSX_E_NS1_11comp_targetILNS1_3genE10ELNS1_11target_archE1201ELNS1_3gpuE5ELNS1_3repE0EEENS1_48merge_mergepath_partition_config_static_selectorELNS0_4arch9wavefront6targetE1EEEvSJ_
	.p2align	8
	.type	_ZN7rocprim17ROCPRIM_400000_NS6detail17trampoline_kernelINS0_14default_configENS1_38merge_sort_block_merge_config_selectorIjjEEZZNS1_27merge_sort_block_merge_implIS3_N6thrust23THRUST_200600_302600_NS6detail15normal_iteratorINS8_10device_ptrIjEEEESD_jNS1_19radix_merge_compareILb0ELb1EjNS0_19identity_decomposerEEEEE10hipError_tT0_T1_T2_jT3_P12ihipStream_tbPNSt15iterator_traitsISI_E10value_typeEPNSO_ISJ_E10value_typeEPSK_NS1_7vsmem_tEENKUlT_SI_SJ_SK_E_clIPjSD_S10_SD_EESH_SX_SI_SJ_SK_EUlSX_E_NS1_11comp_targetILNS1_3genE10ELNS1_11target_archE1201ELNS1_3gpuE5ELNS1_3repE0EEENS1_48merge_mergepath_partition_config_static_selectorELNS0_4arch9wavefront6targetE1EEEvSJ_,@function
_ZN7rocprim17ROCPRIM_400000_NS6detail17trampoline_kernelINS0_14default_configENS1_38merge_sort_block_merge_config_selectorIjjEEZZNS1_27merge_sort_block_merge_implIS3_N6thrust23THRUST_200600_302600_NS6detail15normal_iteratorINS8_10device_ptrIjEEEESD_jNS1_19radix_merge_compareILb0ELb1EjNS0_19identity_decomposerEEEEE10hipError_tT0_T1_T2_jT3_P12ihipStream_tbPNSt15iterator_traitsISI_E10value_typeEPNSO_ISJ_E10value_typeEPSK_NS1_7vsmem_tEENKUlT_SI_SJ_SK_E_clIPjSD_S10_SD_EESH_SX_SI_SJ_SK_EUlSX_E_NS1_11comp_targetILNS1_3genE10ELNS1_11target_archE1201ELNS1_3gpuE5ELNS1_3repE0EEENS1_48merge_mergepath_partition_config_static_selectorELNS0_4arch9wavefront6targetE1EEEvSJ_: ; @_ZN7rocprim17ROCPRIM_400000_NS6detail17trampoline_kernelINS0_14default_configENS1_38merge_sort_block_merge_config_selectorIjjEEZZNS1_27merge_sort_block_merge_implIS3_N6thrust23THRUST_200600_302600_NS6detail15normal_iteratorINS8_10device_ptrIjEEEESD_jNS1_19radix_merge_compareILb0ELb1EjNS0_19identity_decomposerEEEEE10hipError_tT0_T1_T2_jT3_P12ihipStream_tbPNSt15iterator_traitsISI_E10value_typeEPNSO_ISJ_E10value_typeEPSK_NS1_7vsmem_tEENKUlT_SI_SJ_SK_E_clIPjSD_S10_SD_EESH_SX_SI_SJ_SK_EUlSX_E_NS1_11comp_targetILNS1_3genE10ELNS1_11target_archE1201ELNS1_3gpuE5ELNS1_3repE0EEENS1_48merge_mergepath_partition_config_static_selectorELNS0_4arch9wavefront6targetE1EEEvSJ_
; %bb.0:
	.section	.rodata,"a",@progbits
	.p2align	6, 0x0
	.amdhsa_kernel _ZN7rocprim17ROCPRIM_400000_NS6detail17trampoline_kernelINS0_14default_configENS1_38merge_sort_block_merge_config_selectorIjjEEZZNS1_27merge_sort_block_merge_implIS3_N6thrust23THRUST_200600_302600_NS6detail15normal_iteratorINS8_10device_ptrIjEEEESD_jNS1_19radix_merge_compareILb0ELb1EjNS0_19identity_decomposerEEEEE10hipError_tT0_T1_T2_jT3_P12ihipStream_tbPNSt15iterator_traitsISI_E10value_typeEPNSO_ISJ_E10value_typeEPSK_NS1_7vsmem_tEENKUlT_SI_SJ_SK_E_clIPjSD_S10_SD_EESH_SX_SI_SJ_SK_EUlSX_E_NS1_11comp_targetILNS1_3genE10ELNS1_11target_archE1201ELNS1_3gpuE5ELNS1_3repE0EEENS1_48merge_mergepath_partition_config_static_selectorELNS0_4arch9wavefront6targetE1EEEvSJ_
		.amdhsa_group_segment_fixed_size 0
		.amdhsa_private_segment_fixed_size 0
		.amdhsa_kernarg_size 40
		.amdhsa_user_sgpr_count 2
		.amdhsa_user_sgpr_dispatch_ptr 0
		.amdhsa_user_sgpr_queue_ptr 0
		.amdhsa_user_sgpr_kernarg_segment_ptr 1
		.amdhsa_user_sgpr_dispatch_id 0
		.amdhsa_user_sgpr_kernarg_preload_length 0
		.amdhsa_user_sgpr_kernarg_preload_offset 0
		.amdhsa_user_sgpr_private_segment_size 0
		.amdhsa_uses_dynamic_stack 0
		.amdhsa_enable_private_segment 0
		.amdhsa_system_sgpr_workgroup_id_x 1
		.amdhsa_system_sgpr_workgroup_id_y 0
		.amdhsa_system_sgpr_workgroup_id_z 0
		.amdhsa_system_sgpr_workgroup_info 0
		.amdhsa_system_vgpr_workitem_id 0
		.amdhsa_next_free_vgpr 1
		.amdhsa_next_free_sgpr 0
		.amdhsa_accum_offset 4
		.amdhsa_reserve_vcc 0
		.amdhsa_float_round_mode_32 0
		.amdhsa_float_round_mode_16_64 0
		.amdhsa_float_denorm_mode_32 3
		.amdhsa_float_denorm_mode_16_64 3
		.amdhsa_dx10_clamp 1
		.amdhsa_ieee_mode 1
		.amdhsa_fp16_overflow 0
		.amdhsa_tg_split 0
		.amdhsa_exception_fp_ieee_invalid_op 0
		.amdhsa_exception_fp_denorm_src 0
		.amdhsa_exception_fp_ieee_div_zero 0
		.amdhsa_exception_fp_ieee_overflow 0
		.amdhsa_exception_fp_ieee_underflow 0
		.amdhsa_exception_fp_ieee_inexact 0
		.amdhsa_exception_int_div_zero 0
	.end_amdhsa_kernel
	.section	.text._ZN7rocprim17ROCPRIM_400000_NS6detail17trampoline_kernelINS0_14default_configENS1_38merge_sort_block_merge_config_selectorIjjEEZZNS1_27merge_sort_block_merge_implIS3_N6thrust23THRUST_200600_302600_NS6detail15normal_iteratorINS8_10device_ptrIjEEEESD_jNS1_19radix_merge_compareILb0ELb1EjNS0_19identity_decomposerEEEEE10hipError_tT0_T1_T2_jT3_P12ihipStream_tbPNSt15iterator_traitsISI_E10value_typeEPNSO_ISJ_E10value_typeEPSK_NS1_7vsmem_tEENKUlT_SI_SJ_SK_E_clIPjSD_S10_SD_EESH_SX_SI_SJ_SK_EUlSX_E_NS1_11comp_targetILNS1_3genE10ELNS1_11target_archE1201ELNS1_3gpuE5ELNS1_3repE0EEENS1_48merge_mergepath_partition_config_static_selectorELNS0_4arch9wavefront6targetE1EEEvSJ_,"axG",@progbits,_ZN7rocprim17ROCPRIM_400000_NS6detail17trampoline_kernelINS0_14default_configENS1_38merge_sort_block_merge_config_selectorIjjEEZZNS1_27merge_sort_block_merge_implIS3_N6thrust23THRUST_200600_302600_NS6detail15normal_iteratorINS8_10device_ptrIjEEEESD_jNS1_19radix_merge_compareILb0ELb1EjNS0_19identity_decomposerEEEEE10hipError_tT0_T1_T2_jT3_P12ihipStream_tbPNSt15iterator_traitsISI_E10value_typeEPNSO_ISJ_E10value_typeEPSK_NS1_7vsmem_tEENKUlT_SI_SJ_SK_E_clIPjSD_S10_SD_EESH_SX_SI_SJ_SK_EUlSX_E_NS1_11comp_targetILNS1_3genE10ELNS1_11target_archE1201ELNS1_3gpuE5ELNS1_3repE0EEENS1_48merge_mergepath_partition_config_static_selectorELNS0_4arch9wavefront6targetE1EEEvSJ_,comdat
.Lfunc_end677:
	.size	_ZN7rocprim17ROCPRIM_400000_NS6detail17trampoline_kernelINS0_14default_configENS1_38merge_sort_block_merge_config_selectorIjjEEZZNS1_27merge_sort_block_merge_implIS3_N6thrust23THRUST_200600_302600_NS6detail15normal_iteratorINS8_10device_ptrIjEEEESD_jNS1_19radix_merge_compareILb0ELb1EjNS0_19identity_decomposerEEEEE10hipError_tT0_T1_T2_jT3_P12ihipStream_tbPNSt15iterator_traitsISI_E10value_typeEPNSO_ISJ_E10value_typeEPSK_NS1_7vsmem_tEENKUlT_SI_SJ_SK_E_clIPjSD_S10_SD_EESH_SX_SI_SJ_SK_EUlSX_E_NS1_11comp_targetILNS1_3genE10ELNS1_11target_archE1201ELNS1_3gpuE5ELNS1_3repE0EEENS1_48merge_mergepath_partition_config_static_selectorELNS0_4arch9wavefront6targetE1EEEvSJ_, .Lfunc_end677-_ZN7rocprim17ROCPRIM_400000_NS6detail17trampoline_kernelINS0_14default_configENS1_38merge_sort_block_merge_config_selectorIjjEEZZNS1_27merge_sort_block_merge_implIS3_N6thrust23THRUST_200600_302600_NS6detail15normal_iteratorINS8_10device_ptrIjEEEESD_jNS1_19radix_merge_compareILb0ELb1EjNS0_19identity_decomposerEEEEE10hipError_tT0_T1_T2_jT3_P12ihipStream_tbPNSt15iterator_traitsISI_E10value_typeEPNSO_ISJ_E10value_typeEPSK_NS1_7vsmem_tEENKUlT_SI_SJ_SK_E_clIPjSD_S10_SD_EESH_SX_SI_SJ_SK_EUlSX_E_NS1_11comp_targetILNS1_3genE10ELNS1_11target_archE1201ELNS1_3gpuE5ELNS1_3repE0EEENS1_48merge_mergepath_partition_config_static_selectorELNS0_4arch9wavefront6targetE1EEEvSJ_
                                        ; -- End function
	.set _ZN7rocprim17ROCPRIM_400000_NS6detail17trampoline_kernelINS0_14default_configENS1_38merge_sort_block_merge_config_selectorIjjEEZZNS1_27merge_sort_block_merge_implIS3_N6thrust23THRUST_200600_302600_NS6detail15normal_iteratorINS8_10device_ptrIjEEEESD_jNS1_19radix_merge_compareILb0ELb1EjNS0_19identity_decomposerEEEEE10hipError_tT0_T1_T2_jT3_P12ihipStream_tbPNSt15iterator_traitsISI_E10value_typeEPNSO_ISJ_E10value_typeEPSK_NS1_7vsmem_tEENKUlT_SI_SJ_SK_E_clIPjSD_S10_SD_EESH_SX_SI_SJ_SK_EUlSX_E_NS1_11comp_targetILNS1_3genE10ELNS1_11target_archE1201ELNS1_3gpuE5ELNS1_3repE0EEENS1_48merge_mergepath_partition_config_static_selectorELNS0_4arch9wavefront6targetE1EEEvSJ_.num_vgpr, 0
	.set _ZN7rocprim17ROCPRIM_400000_NS6detail17trampoline_kernelINS0_14default_configENS1_38merge_sort_block_merge_config_selectorIjjEEZZNS1_27merge_sort_block_merge_implIS3_N6thrust23THRUST_200600_302600_NS6detail15normal_iteratorINS8_10device_ptrIjEEEESD_jNS1_19radix_merge_compareILb0ELb1EjNS0_19identity_decomposerEEEEE10hipError_tT0_T1_T2_jT3_P12ihipStream_tbPNSt15iterator_traitsISI_E10value_typeEPNSO_ISJ_E10value_typeEPSK_NS1_7vsmem_tEENKUlT_SI_SJ_SK_E_clIPjSD_S10_SD_EESH_SX_SI_SJ_SK_EUlSX_E_NS1_11comp_targetILNS1_3genE10ELNS1_11target_archE1201ELNS1_3gpuE5ELNS1_3repE0EEENS1_48merge_mergepath_partition_config_static_selectorELNS0_4arch9wavefront6targetE1EEEvSJ_.num_agpr, 0
	.set _ZN7rocprim17ROCPRIM_400000_NS6detail17trampoline_kernelINS0_14default_configENS1_38merge_sort_block_merge_config_selectorIjjEEZZNS1_27merge_sort_block_merge_implIS3_N6thrust23THRUST_200600_302600_NS6detail15normal_iteratorINS8_10device_ptrIjEEEESD_jNS1_19radix_merge_compareILb0ELb1EjNS0_19identity_decomposerEEEEE10hipError_tT0_T1_T2_jT3_P12ihipStream_tbPNSt15iterator_traitsISI_E10value_typeEPNSO_ISJ_E10value_typeEPSK_NS1_7vsmem_tEENKUlT_SI_SJ_SK_E_clIPjSD_S10_SD_EESH_SX_SI_SJ_SK_EUlSX_E_NS1_11comp_targetILNS1_3genE10ELNS1_11target_archE1201ELNS1_3gpuE5ELNS1_3repE0EEENS1_48merge_mergepath_partition_config_static_selectorELNS0_4arch9wavefront6targetE1EEEvSJ_.numbered_sgpr, 0
	.set _ZN7rocprim17ROCPRIM_400000_NS6detail17trampoline_kernelINS0_14default_configENS1_38merge_sort_block_merge_config_selectorIjjEEZZNS1_27merge_sort_block_merge_implIS3_N6thrust23THRUST_200600_302600_NS6detail15normal_iteratorINS8_10device_ptrIjEEEESD_jNS1_19radix_merge_compareILb0ELb1EjNS0_19identity_decomposerEEEEE10hipError_tT0_T1_T2_jT3_P12ihipStream_tbPNSt15iterator_traitsISI_E10value_typeEPNSO_ISJ_E10value_typeEPSK_NS1_7vsmem_tEENKUlT_SI_SJ_SK_E_clIPjSD_S10_SD_EESH_SX_SI_SJ_SK_EUlSX_E_NS1_11comp_targetILNS1_3genE10ELNS1_11target_archE1201ELNS1_3gpuE5ELNS1_3repE0EEENS1_48merge_mergepath_partition_config_static_selectorELNS0_4arch9wavefront6targetE1EEEvSJ_.num_named_barrier, 0
	.set _ZN7rocprim17ROCPRIM_400000_NS6detail17trampoline_kernelINS0_14default_configENS1_38merge_sort_block_merge_config_selectorIjjEEZZNS1_27merge_sort_block_merge_implIS3_N6thrust23THRUST_200600_302600_NS6detail15normal_iteratorINS8_10device_ptrIjEEEESD_jNS1_19radix_merge_compareILb0ELb1EjNS0_19identity_decomposerEEEEE10hipError_tT0_T1_T2_jT3_P12ihipStream_tbPNSt15iterator_traitsISI_E10value_typeEPNSO_ISJ_E10value_typeEPSK_NS1_7vsmem_tEENKUlT_SI_SJ_SK_E_clIPjSD_S10_SD_EESH_SX_SI_SJ_SK_EUlSX_E_NS1_11comp_targetILNS1_3genE10ELNS1_11target_archE1201ELNS1_3gpuE5ELNS1_3repE0EEENS1_48merge_mergepath_partition_config_static_selectorELNS0_4arch9wavefront6targetE1EEEvSJ_.private_seg_size, 0
	.set _ZN7rocprim17ROCPRIM_400000_NS6detail17trampoline_kernelINS0_14default_configENS1_38merge_sort_block_merge_config_selectorIjjEEZZNS1_27merge_sort_block_merge_implIS3_N6thrust23THRUST_200600_302600_NS6detail15normal_iteratorINS8_10device_ptrIjEEEESD_jNS1_19radix_merge_compareILb0ELb1EjNS0_19identity_decomposerEEEEE10hipError_tT0_T1_T2_jT3_P12ihipStream_tbPNSt15iterator_traitsISI_E10value_typeEPNSO_ISJ_E10value_typeEPSK_NS1_7vsmem_tEENKUlT_SI_SJ_SK_E_clIPjSD_S10_SD_EESH_SX_SI_SJ_SK_EUlSX_E_NS1_11comp_targetILNS1_3genE10ELNS1_11target_archE1201ELNS1_3gpuE5ELNS1_3repE0EEENS1_48merge_mergepath_partition_config_static_selectorELNS0_4arch9wavefront6targetE1EEEvSJ_.uses_vcc, 0
	.set _ZN7rocprim17ROCPRIM_400000_NS6detail17trampoline_kernelINS0_14default_configENS1_38merge_sort_block_merge_config_selectorIjjEEZZNS1_27merge_sort_block_merge_implIS3_N6thrust23THRUST_200600_302600_NS6detail15normal_iteratorINS8_10device_ptrIjEEEESD_jNS1_19radix_merge_compareILb0ELb1EjNS0_19identity_decomposerEEEEE10hipError_tT0_T1_T2_jT3_P12ihipStream_tbPNSt15iterator_traitsISI_E10value_typeEPNSO_ISJ_E10value_typeEPSK_NS1_7vsmem_tEENKUlT_SI_SJ_SK_E_clIPjSD_S10_SD_EESH_SX_SI_SJ_SK_EUlSX_E_NS1_11comp_targetILNS1_3genE10ELNS1_11target_archE1201ELNS1_3gpuE5ELNS1_3repE0EEENS1_48merge_mergepath_partition_config_static_selectorELNS0_4arch9wavefront6targetE1EEEvSJ_.uses_flat_scratch, 0
	.set _ZN7rocprim17ROCPRIM_400000_NS6detail17trampoline_kernelINS0_14default_configENS1_38merge_sort_block_merge_config_selectorIjjEEZZNS1_27merge_sort_block_merge_implIS3_N6thrust23THRUST_200600_302600_NS6detail15normal_iteratorINS8_10device_ptrIjEEEESD_jNS1_19radix_merge_compareILb0ELb1EjNS0_19identity_decomposerEEEEE10hipError_tT0_T1_T2_jT3_P12ihipStream_tbPNSt15iterator_traitsISI_E10value_typeEPNSO_ISJ_E10value_typeEPSK_NS1_7vsmem_tEENKUlT_SI_SJ_SK_E_clIPjSD_S10_SD_EESH_SX_SI_SJ_SK_EUlSX_E_NS1_11comp_targetILNS1_3genE10ELNS1_11target_archE1201ELNS1_3gpuE5ELNS1_3repE0EEENS1_48merge_mergepath_partition_config_static_selectorELNS0_4arch9wavefront6targetE1EEEvSJ_.has_dyn_sized_stack, 0
	.set _ZN7rocprim17ROCPRIM_400000_NS6detail17trampoline_kernelINS0_14default_configENS1_38merge_sort_block_merge_config_selectorIjjEEZZNS1_27merge_sort_block_merge_implIS3_N6thrust23THRUST_200600_302600_NS6detail15normal_iteratorINS8_10device_ptrIjEEEESD_jNS1_19radix_merge_compareILb0ELb1EjNS0_19identity_decomposerEEEEE10hipError_tT0_T1_T2_jT3_P12ihipStream_tbPNSt15iterator_traitsISI_E10value_typeEPNSO_ISJ_E10value_typeEPSK_NS1_7vsmem_tEENKUlT_SI_SJ_SK_E_clIPjSD_S10_SD_EESH_SX_SI_SJ_SK_EUlSX_E_NS1_11comp_targetILNS1_3genE10ELNS1_11target_archE1201ELNS1_3gpuE5ELNS1_3repE0EEENS1_48merge_mergepath_partition_config_static_selectorELNS0_4arch9wavefront6targetE1EEEvSJ_.has_recursion, 0
	.set _ZN7rocprim17ROCPRIM_400000_NS6detail17trampoline_kernelINS0_14default_configENS1_38merge_sort_block_merge_config_selectorIjjEEZZNS1_27merge_sort_block_merge_implIS3_N6thrust23THRUST_200600_302600_NS6detail15normal_iteratorINS8_10device_ptrIjEEEESD_jNS1_19radix_merge_compareILb0ELb1EjNS0_19identity_decomposerEEEEE10hipError_tT0_T1_T2_jT3_P12ihipStream_tbPNSt15iterator_traitsISI_E10value_typeEPNSO_ISJ_E10value_typeEPSK_NS1_7vsmem_tEENKUlT_SI_SJ_SK_E_clIPjSD_S10_SD_EESH_SX_SI_SJ_SK_EUlSX_E_NS1_11comp_targetILNS1_3genE10ELNS1_11target_archE1201ELNS1_3gpuE5ELNS1_3repE0EEENS1_48merge_mergepath_partition_config_static_selectorELNS0_4arch9wavefront6targetE1EEEvSJ_.has_indirect_call, 0
	.section	.AMDGPU.csdata,"",@progbits
; Kernel info:
; codeLenInByte = 0
; TotalNumSgprs: 6
; NumVgprs: 0
; NumAgprs: 0
; TotalNumVgprs: 0
; ScratchSize: 0
; MemoryBound: 0
; FloatMode: 240
; IeeeMode: 1
; LDSByteSize: 0 bytes/workgroup (compile time only)
; SGPRBlocks: 0
; VGPRBlocks: 0
; NumSGPRsForWavesPerEU: 6
; NumVGPRsForWavesPerEU: 1
; AccumOffset: 4
; Occupancy: 8
; WaveLimiterHint : 0
; COMPUTE_PGM_RSRC2:SCRATCH_EN: 0
; COMPUTE_PGM_RSRC2:USER_SGPR: 2
; COMPUTE_PGM_RSRC2:TRAP_HANDLER: 0
; COMPUTE_PGM_RSRC2:TGID_X_EN: 1
; COMPUTE_PGM_RSRC2:TGID_Y_EN: 0
; COMPUTE_PGM_RSRC2:TGID_Z_EN: 0
; COMPUTE_PGM_RSRC2:TIDIG_COMP_CNT: 0
; COMPUTE_PGM_RSRC3_GFX90A:ACCUM_OFFSET: 0
; COMPUTE_PGM_RSRC3_GFX90A:TG_SPLIT: 0
	.section	.text._ZN7rocprim17ROCPRIM_400000_NS6detail17trampoline_kernelINS0_14default_configENS1_38merge_sort_block_merge_config_selectorIjjEEZZNS1_27merge_sort_block_merge_implIS3_N6thrust23THRUST_200600_302600_NS6detail15normal_iteratorINS8_10device_ptrIjEEEESD_jNS1_19radix_merge_compareILb0ELb1EjNS0_19identity_decomposerEEEEE10hipError_tT0_T1_T2_jT3_P12ihipStream_tbPNSt15iterator_traitsISI_E10value_typeEPNSO_ISJ_E10value_typeEPSK_NS1_7vsmem_tEENKUlT_SI_SJ_SK_E_clIPjSD_S10_SD_EESH_SX_SI_SJ_SK_EUlSX_E_NS1_11comp_targetILNS1_3genE5ELNS1_11target_archE942ELNS1_3gpuE9ELNS1_3repE0EEENS1_48merge_mergepath_partition_config_static_selectorELNS0_4arch9wavefront6targetE1EEEvSJ_,"axG",@progbits,_ZN7rocprim17ROCPRIM_400000_NS6detail17trampoline_kernelINS0_14default_configENS1_38merge_sort_block_merge_config_selectorIjjEEZZNS1_27merge_sort_block_merge_implIS3_N6thrust23THRUST_200600_302600_NS6detail15normal_iteratorINS8_10device_ptrIjEEEESD_jNS1_19radix_merge_compareILb0ELb1EjNS0_19identity_decomposerEEEEE10hipError_tT0_T1_T2_jT3_P12ihipStream_tbPNSt15iterator_traitsISI_E10value_typeEPNSO_ISJ_E10value_typeEPSK_NS1_7vsmem_tEENKUlT_SI_SJ_SK_E_clIPjSD_S10_SD_EESH_SX_SI_SJ_SK_EUlSX_E_NS1_11comp_targetILNS1_3genE5ELNS1_11target_archE942ELNS1_3gpuE9ELNS1_3repE0EEENS1_48merge_mergepath_partition_config_static_selectorELNS0_4arch9wavefront6targetE1EEEvSJ_,comdat
	.protected	_ZN7rocprim17ROCPRIM_400000_NS6detail17trampoline_kernelINS0_14default_configENS1_38merge_sort_block_merge_config_selectorIjjEEZZNS1_27merge_sort_block_merge_implIS3_N6thrust23THRUST_200600_302600_NS6detail15normal_iteratorINS8_10device_ptrIjEEEESD_jNS1_19radix_merge_compareILb0ELb1EjNS0_19identity_decomposerEEEEE10hipError_tT0_T1_T2_jT3_P12ihipStream_tbPNSt15iterator_traitsISI_E10value_typeEPNSO_ISJ_E10value_typeEPSK_NS1_7vsmem_tEENKUlT_SI_SJ_SK_E_clIPjSD_S10_SD_EESH_SX_SI_SJ_SK_EUlSX_E_NS1_11comp_targetILNS1_3genE5ELNS1_11target_archE942ELNS1_3gpuE9ELNS1_3repE0EEENS1_48merge_mergepath_partition_config_static_selectorELNS0_4arch9wavefront6targetE1EEEvSJ_ ; -- Begin function _ZN7rocprim17ROCPRIM_400000_NS6detail17trampoline_kernelINS0_14default_configENS1_38merge_sort_block_merge_config_selectorIjjEEZZNS1_27merge_sort_block_merge_implIS3_N6thrust23THRUST_200600_302600_NS6detail15normal_iteratorINS8_10device_ptrIjEEEESD_jNS1_19radix_merge_compareILb0ELb1EjNS0_19identity_decomposerEEEEE10hipError_tT0_T1_T2_jT3_P12ihipStream_tbPNSt15iterator_traitsISI_E10value_typeEPNSO_ISJ_E10value_typeEPSK_NS1_7vsmem_tEENKUlT_SI_SJ_SK_E_clIPjSD_S10_SD_EESH_SX_SI_SJ_SK_EUlSX_E_NS1_11comp_targetILNS1_3genE5ELNS1_11target_archE942ELNS1_3gpuE9ELNS1_3repE0EEENS1_48merge_mergepath_partition_config_static_selectorELNS0_4arch9wavefront6targetE1EEEvSJ_
	.globl	_ZN7rocprim17ROCPRIM_400000_NS6detail17trampoline_kernelINS0_14default_configENS1_38merge_sort_block_merge_config_selectorIjjEEZZNS1_27merge_sort_block_merge_implIS3_N6thrust23THRUST_200600_302600_NS6detail15normal_iteratorINS8_10device_ptrIjEEEESD_jNS1_19radix_merge_compareILb0ELb1EjNS0_19identity_decomposerEEEEE10hipError_tT0_T1_T2_jT3_P12ihipStream_tbPNSt15iterator_traitsISI_E10value_typeEPNSO_ISJ_E10value_typeEPSK_NS1_7vsmem_tEENKUlT_SI_SJ_SK_E_clIPjSD_S10_SD_EESH_SX_SI_SJ_SK_EUlSX_E_NS1_11comp_targetILNS1_3genE5ELNS1_11target_archE942ELNS1_3gpuE9ELNS1_3repE0EEENS1_48merge_mergepath_partition_config_static_selectorELNS0_4arch9wavefront6targetE1EEEvSJ_
	.p2align	8
	.type	_ZN7rocprim17ROCPRIM_400000_NS6detail17trampoline_kernelINS0_14default_configENS1_38merge_sort_block_merge_config_selectorIjjEEZZNS1_27merge_sort_block_merge_implIS3_N6thrust23THRUST_200600_302600_NS6detail15normal_iteratorINS8_10device_ptrIjEEEESD_jNS1_19radix_merge_compareILb0ELb1EjNS0_19identity_decomposerEEEEE10hipError_tT0_T1_T2_jT3_P12ihipStream_tbPNSt15iterator_traitsISI_E10value_typeEPNSO_ISJ_E10value_typeEPSK_NS1_7vsmem_tEENKUlT_SI_SJ_SK_E_clIPjSD_S10_SD_EESH_SX_SI_SJ_SK_EUlSX_E_NS1_11comp_targetILNS1_3genE5ELNS1_11target_archE942ELNS1_3gpuE9ELNS1_3repE0EEENS1_48merge_mergepath_partition_config_static_selectorELNS0_4arch9wavefront6targetE1EEEvSJ_,@function
_ZN7rocprim17ROCPRIM_400000_NS6detail17trampoline_kernelINS0_14default_configENS1_38merge_sort_block_merge_config_selectorIjjEEZZNS1_27merge_sort_block_merge_implIS3_N6thrust23THRUST_200600_302600_NS6detail15normal_iteratorINS8_10device_ptrIjEEEESD_jNS1_19radix_merge_compareILb0ELb1EjNS0_19identity_decomposerEEEEE10hipError_tT0_T1_T2_jT3_P12ihipStream_tbPNSt15iterator_traitsISI_E10value_typeEPNSO_ISJ_E10value_typeEPSK_NS1_7vsmem_tEENKUlT_SI_SJ_SK_E_clIPjSD_S10_SD_EESH_SX_SI_SJ_SK_EUlSX_E_NS1_11comp_targetILNS1_3genE5ELNS1_11target_archE942ELNS1_3gpuE9ELNS1_3repE0EEENS1_48merge_mergepath_partition_config_static_selectorELNS0_4arch9wavefront6targetE1EEEvSJ_: ; @_ZN7rocprim17ROCPRIM_400000_NS6detail17trampoline_kernelINS0_14default_configENS1_38merge_sort_block_merge_config_selectorIjjEEZZNS1_27merge_sort_block_merge_implIS3_N6thrust23THRUST_200600_302600_NS6detail15normal_iteratorINS8_10device_ptrIjEEEESD_jNS1_19radix_merge_compareILb0ELb1EjNS0_19identity_decomposerEEEEE10hipError_tT0_T1_T2_jT3_P12ihipStream_tbPNSt15iterator_traitsISI_E10value_typeEPNSO_ISJ_E10value_typeEPSK_NS1_7vsmem_tEENKUlT_SI_SJ_SK_E_clIPjSD_S10_SD_EESH_SX_SI_SJ_SK_EUlSX_E_NS1_11comp_targetILNS1_3genE5ELNS1_11target_archE942ELNS1_3gpuE9ELNS1_3repE0EEENS1_48merge_mergepath_partition_config_static_selectorELNS0_4arch9wavefront6targetE1EEEvSJ_
; %bb.0:
	.section	.rodata,"a",@progbits
	.p2align	6, 0x0
	.amdhsa_kernel _ZN7rocprim17ROCPRIM_400000_NS6detail17trampoline_kernelINS0_14default_configENS1_38merge_sort_block_merge_config_selectorIjjEEZZNS1_27merge_sort_block_merge_implIS3_N6thrust23THRUST_200600_302600_NS6detail15normal_iteratorINS8_10device_ptrIjEEEESD_jNS1_19radix_merge_compareILb0ELb1EjNS0_19identity_decomposerEEEEE10hipError_tT0_T1_T2_jT3_P12ihipStream_tbPNSt15iterator_traitsISI_E10value_typeEPNSO_ISJ_E10value_typeEPSK_NS1_7vsmem_tEENKUlT_SI_SJ_SK_E_clIPjSD_S10_SD_EESH_SX_SI_SJ_SK_EUlSX_E_NS1_11comp_targetILNS1_3genE5ELNS1_11target_archE942ELNS1_3gpuE9ELNS1_3repE0EEENS1_48merge_mergepath_partition_config_static_selectorELNS0_4arch9wavefront6targetE1EEEvSJ_
		.amdhsa_group_segment_fixed_size 0
		.amdhsa_private_segment_fixed_size 0
		.amdhsa_kernarg_size 40
		.amdhsa_user_sgpr_count 2
		.amdhsa_user_sgpr_dispatch_ptr 0
		.amdhsa_user_sgpr_queue_ptr 0
		.amdhsa_user_sgpr_kernarg_segment_ptr 1
		.amdhsa_user_sgpr_dispatch_id 0
		.amdhsa_user_sgpr_kernarg_preload_length 0
		.amdhsa_user_sgpr_kernarg_preload_offset 0
		.amdhsa_user_sgpr_private_segment_size 0
		.amdhsa_uses_dynamic_stack 0
		.amdhsa_enable_private_segment 0
		.amdhsa_system_sgpr_workgroup_id_x 1
		.amdhsa_system_sgpr_workgroup_id_y 0
		.amdhsa_system_sgpr_workgroup_id_z 0
		.amdhsa_system_sgpr_workgroup_info 0
		.amdhsa_system_vgpr_workitem_id 0
		.amdhsa_next_free_vgpr 1
		.amdhsa_next_free_sgpr 0
		.amdhsa_accum_offset 4
		.amdhsa_reserve_vcc 0
		.amdhsa_float_round_mode_32 0
		.amdhsa_float_round_mode_16_64 0
		.amdhsa_float_denorm_mode_32 3
		.amdhsa_float_denorm_mode_16_64 3
		.amdhsa_dx10_clamp 1
		.amdhsa_ieee_mode 1
		.amdhsa_fp16_overflow 0
		.amdhsa_tg_split 0
		.amdhsa_exception_fp_ieee_invalid_op 0
		.amdhsa_exception_fp_denorm_src 0
		.amdhsa_exception_fp_ieee_div_zero 0
		.amdhsa_exception_fp_ieee_overflow 0
		.amdhsa_exception_fp_ieee_underflow 0
		.amdhsa_exception_fp_ieee_inexact 0
		.amdhsa_exception_int_div_zero 0
	.end_amdhsa_kernel
	.section	.text._ZN7rocprim17ROCPRIM_400000_NS6detail17trampoline_kernelINS0_14default_configENS1_38merge_sort_block_merge_config_selectorIjjEEZZNS1_27merge_sort_block_merge_implIS3_N6thrust23THRUST_200600_302600_NS6detail15normal_iteratorINS8_10device_ptrIjEEEESD_jNS1_19radix_merge_compareILb0ELb1EjNS0_19identity_decomposerEEEEE10hipError_tT0_T1_T2_jT3_P12ihipStream_tbPNSt15iterator_traitsISI_E10value_typeEPNSO_ISJ_E10value_typeEPSK_NS1_7vsmem_tEENKUlT_SI_SJ_SK_E_clIPjSD_S10_SD_EESH_SX_SI_SJ_SK_EUlSX_E_NS1_11comp_targetILNS1_3genE5ELNS1_11target_archE942ELNS1_3gpuE9ELNS1_3repE0EEENS1_48merge_mergepath_partition_config_static_selectorELNS0_4arch9wavefront6targetE1EEEvSJ_,"axG",@progbits,_ZN7rocprim17ROCPRIM_400000_NS6detail17trampoline_kernelINS0_14default_configENS1_38merge_sort_block_merge_config_selectorIjjEEZZNS1_27merge_sort_block_merge_implIS3_N6thrust23THRUST_200600_302600_NS6detail15normal_iteratorINS8_10device_ptrIjEEEESD_jNS1_19radix_merge_compareILb0ELb1EjNS0_19identity_decomposerEEEEE10hipError_tT0_T1_T2_jT3_P12ihipStream_tbPNSt15iterator_traitsISI_E10value_typeEPNSO_ISJ_E10value_typeEPSK_NS1_7vsmem_tEENKUlT_SI_SJ_SK_E_clIPjSD_S10_SD_EESH_SX_SI_SJ_SK_EUlSX_E_NS1_11comp_targetILNS1_3genE5ELNS1_11target_archE942ELNS1_3gpuE9ELNS1_3repE0EEENS1_48merge_mergepath_partition_config_static_selectorELNS0_4arch9wavefront6targetE1EEEvSJ_,comdat
.Lfunc_end678:
	.size	_ZN7rocprim17ROCPRIM_400000_NS6detail17trampoline_kernelINS0_14default_configENS1_38merge_sort_block_merge_config_selectorIjjEEZZNS1_27merge_sort_block_merge_implIS3_N6thrust23THRUST_200600_302600_NS6detail15normal_iteratorINS8_10device_ptrIjEEEESD_jNS1_19radix_merge_compareILb0ELb1EjNS0_19identity_decomposerEEEEE10hipError_tT0_T1_T2_jT3_P12ihipStream_tbPNSt15iterator_traitsISI_E10value_typeEPNSO_ISJ_E10value_typeEPSK_NS1_7vsmem_tEENKUlT_SI_SJ_SK_E_clIPjSD_S10_SD_EESH_SX_SI_SJ_SK_EUlSX_E_NS1_11comp_targetILNS1_3genE5ELNS1_11target_archE942ELNS1_3gpuE9ELNS1_3repE0EEENS1_48merge_mergepath_partition_config_static_selectorELNS0_4arch9wavefront6targetE1EEEvSJ_, .Lfunc_end678-_ZN7rocprim17ROCPRIM_400000_NS6detail17trampoline_kernelINS0_14default_configENS1_38merge_sort_block_merge_config_selectorIjjEEZZNS1_27merge_sort_block_merge_implIS3_N6thrust23THRUST_200600_302600_NS6detail15normal_iteratorINS8_10device_ptrIjEEEESD_jNS1_19radix_merge_compareILb0ELb1EjNS0_19identity_decomposerEEEEE10hipError_tT0_T1_T2_jT3_P12ihipStream_tbPNSt15iterator_traitsISI_E10value_typeEPNSO_ISJ_E10value_typeEPSK_NS1_7vsmem_tEENKUlT_SI_SJ_SK_E_clIPjSD_S10_SD_EESH_SX_SI_SJ_SK_EUlSX_E_NS1_11comp_targetILNS1_3genE5ELNS1_11target_archE942ELNS1_3gpuE9ELNS1_3repE0EEENS1_48merge_mergepath_partition_config_static_selectorELNS0_4arch9wavefront6targetE1EEEvSJ_
                                        ; -- End function
	.set _ZN7rocprim17ROCPRIM_400000_NS6detail17trampoline_kernelINS0_14default_configENS1_38merge_sort_block_merge_config_selectorIjjEEZZNS1_27merge_sort_block_merge_implIS3_N6thrust23THRUST_200600_302600_NS6detail15normal_iteratorINS8_10device_ptrIjEEEESD_jNS1_19radix_merge_compareILb0ELb1EjNS0_19identity_decomposerEEEEE10hipError_tT0_T1_T2_jT3_P12ihipStream_tbPNSt15iterator_traitsISI_E10value_typeEPNSO_ISJ_E10value_typeEPSK_NS1_7vsmem_tEENKUlT_SI_SJ_SK_E_clIPjSD_S10_SD_EESH_SX_SI_SJ_SK_EUlSX_E_NS1_11comp_targetILNS1_3genE5ELNS1_11target_archE942ELNS1_3gpuE9ELNS1_3repE0EEENS1_48merge_mergepath_partition_config_static_selectorELNS0_4arch9wavefront6targetE1EEEvSJ_.num_vgpr, 0
	.set _ZN7rocprim17ROCPRIM_400000_NS6detail17trampoline_kernelINS0_14default_configENS1_38merge_sort_block_merge_config_selectorIjjEEZZNS1_27merge_sort_block_merge_implIS3_N6thrust23THRUST_200600_302600_NS6detail15normal_iteratorINS8_10device_ptrIjEEEESD_jNS1_19radix_merge_compareILb0ELb1EjNS0_19identity_decomposerEEEEE10hipError_tT0_T1_T2_jT3_P12ihipStream_tbPNSt15iterator_traitsISI_E10value_typeEPNSO_ISJ_E10value_typeEPSK_NS1_7vsmem_tEENKUlT_SI_SJ_SK_E_clIPjSD_S10_SD_EESH_SX_SI_SJ_SK_EUlSX_E_NS1_11comp_targetILNS1_3genE5ELNS1_11target_archE942ELNS1_3gpuE9ELNS1_3repE0EEENS1_48merge_mergepath_partition_config_static_selectorELNS0_4arch9wavefront6targetE1EEEvSJ_.num_agpr, 0
	.set _ZN7rocprim17ROCPRIM_400000_NS6detail17trampoline_kernelINS0_14default_configENS1_38merge_sort_block_merge_config_selectorIjjEEZZNS1_27merge_sort_block_merge_implIS3_N6thrust23THRUST_200600_302600_NS6detail15normal_iteratorINS8_10device_ptrIjEEEESD_jNS1_19radix_merge_compareILb0ELb1EjNS0_19identity_decomposerEEEEE10hipError_tT0_T1_T2_jT3_P12ihipStream_tbPNSt15iterator_traitsISI_E10value_typeEPNSO_ISJ_E10value_typeEPSK_NS1_7vsmem_tEENKUlT_SI_SJ_SK_E_clIPjSD_S10_SD_EESH_SX_SI_SJ_SK_EUlSX_E_NS1_11comp_targetILNS1_3genE5ELNS1_11target_archE942ELNS1_3gpuE9ELNS1_3repE0EEENS1_48merge_mergepath_partition_config_static_selectorELNS0_4arch9wavefront6targetE1EEEvSJ_.numbered_sgpr, 0
	.set _ZN7rocprim17ROCPRIM_400000_NS6detail17trampoline_kernelINS0_14default_configENS1_38merge_sort_block_merge_config_selectorIjjEEZZNS1_27merge_sort_block_merge_implIS3_N6thrust23THRUST_200600_302600_NS6detail15normal_iteratorINS8_10device_ptrIjEEEESD_jNS1_19radix_merge_compareILb0ELb1EjNS0_19identity_decomposerEEEEE10hipError_tT0_T1_T2_jT3_P12ihipStream_tbPNSt15iterator_traitsISI_E10value_typeEPNSO_ISJ_E10value_typeEPSK_NS1_7vsmem_tEENKUlT_SI_SJ_SK_E_clIPjSD_S10_SD_EESH_SX_SI_SJ_SK_EUlSX_E_NS1_11comp_targetILNS1_3genE5ELNS1_11target_archE942ELNS1_3gpuE9ELNS1_3repE0EEENS1_48merge_mergepath_partition_config_static_selectorELNS0_4arch9wavefront6targetE1EEEvSJ_.num_named_barrier, 0
	.set _ZN7rocprim17ROCPRIM_400000_NS6detail17trampoline_kernelINS0_14default_configENS1_38merge_sort_block_merge_config_selectorIjjEEZZNS1_27merge_sort_block_merge_implIS3_N6thrust23THRUST_200600_302600_NS6detail15normal_iteratorINS8_10device_ptrIjEEEESD_jNS1_19radix_merge_compareILb0ELb1EjNS0_19identity_decomposerEEEEE10hipError_tT0_T1_T2_jT3_P12ihipStream_tbPNSt15iterator_traitsISI_E10value_typeEPNSO_ISJ_E10value_typeEPSK_NS1_7vsmem_tEENKUlT_SI_SJ_SK_E_clIPjSD_S10_SD_EESH_SX_SI_SJ_SK_EUlSX_E_NS1_11comp_targetILNS1_3genE5ELNS1_11target_archE942ELNS1_3gpuE9ELNS1_3repE0EEENS1_48merge_mergepath_partition_config_static_selectorELNS0_4arch9wavefront6targetE1EEEvSJ_.private_seg_size, 0
	.set _ZN7rocprim17ROCPRIM_400000_NS6detail17trampoline_kernelINS0_14default_configENS1_38merge_sort_block_merge_config_selectorIjjEEZZNS1_27merge_sort_block_merge_implIS3_N6thrust23THRUST_200600_302600_NS6detail15normal_iteratorINS8_10device_ptrIjEEEESD_jNS1_19radix_merge_compareILb0ELb1EjNS0_19identity_decomposerEEEEE10hipError_tT0_T1_T2_jT3_P12ihipStream_tbPNSt15iterator_traitsISI_E10value_typeEPNSO_ISJ_E10value_typeEPSK_NS1_7vsmem_tEENKUlT_SI_SJ_SK_E_clIPjSD_S10_SD_EESH_SX_SI_SJ_SK_EUlSX_E_NS1_11comp_targetILNS1_3genE5ELNS1_11target_archE942ELNS1_3gpuE9ELNS1_3repE0EEENS1_48merge_mergepath_partition_config_static_selectorELNS0_4arch9wavefront6targetE1EEEvSJ_.uses_vcc, 0
	.set _ZN7rocprim17ROCPRIM_400000_NS6detail17trampoline_kernelINS0_14default_configENS1_38merge_sort_block_merge_config_selectorIjjEEZZNS1_27merge_sort_block_merge_implIS3_N6thrust23THRUST_200600_302600_NS6detail15normal_iteratorINS8_10device_ptrIjEEEESD_jNS1_19radix_merge_compareILb0ELb1EjNS0_19identity_decomposerEEEEE10hipError_tT0_T1_T2_jT3_P12ihipStream_tbPNSt15iterator_traitsISI_E10value_typeEPNSO_ISJ_E10value_typeEPSK_NS1_7vsmem_tEENKUlT_SI_SJ_SK_E_clIPjSD_S10_SD_EESH_SX_SI_SJ_SK_EUlSX_E_NS1_11comp_targetILNS1_3genE5ELNS1_11target_archE942ELNS1_3gpuE9ELNS1_3repE0EEENS1_48merge_mergepath_partition_config_static_selectorELNS0_4arch9wavefront6targetE1EEEvSJ_.uses_flat_scratch, 0
	.set _ZN7rocprim17ROCPRIM_400000_NS6detail17trampoline_kernelINS0_14default_configENS1_38merge_sort_block_merge_config_selectorIjjEEZZNS1_27merge_sort_block_merge_implIS3_N6thrust23THRUST_200600_302600_NS6detail15normal_iteratorINS8_10device_ptrIjEEEESD_jNS1_19radix_merge_compareILb0ELb1EjNS0_19identity_decomposerEEEEE10hipError_tT0_T1_T2_jT3_P12ihipStream_tbPNSt15iterator_traitsISI_E10value_typeEPNSO_ISJ_E10value_typeEPSK_NS1_7vsmem_tEENKUlT_SI_SJ_SK_E_clIPjSD_S10_SD_EESH_SX_SI_SJ_SK_EUlSX_E_NS1_11comp_targetILNS1_3genE5ELNS1_11target_archE942ELNS1_3gpuE9ELNS1_3repE0EEENS1_48merge_mergepath_partition_config_static_selectorELNS0_4arch9wavefront6targetE1EEEvSJ_.has_dyn_sized_stack, 0
	.set _ZN7rocprim17ROCPRIM_400000_NS6detail17trampoline_kernelINS0_14default_configENS1_38merge_sort_block_merge_config_selectorIjjEEZZNS1_27merge_sort_block_merge_implIS3_N6thrust23THRUST_200600_302600_NS6detail15normal_iteratorINS8_10device_ptrIjEEEESD_jNS1_19radix_merge_compareILb0ELb1EjNS0_19identity_decomposerEEEEE10hipError_tT0_T1_T2_jT3_P12ihipStream_tbPNSt15iterator_traitsISI_E10value_typeEPNSO_ISJ_E10value_typeEPSK_NS1_7vsmem_tEENKUlT_SI_SJ_SK_E_clIPjSD_S10_SD_EESH_SX_SI_SJ_SK_EUlSX_E_NS1_11comp_targetILNS1_3genE5ELNS1_11target_archE942ELNS1_3gpuE9ELNS1_3repE0EEENS1_48merge_mergepath_partition_config_static_selectorELNS0_4arch9wavefront6targetE1EEEvSJ_.has_recursion, 0
	.set _ZN7rocprim17ROCPRIM_400000_NS6detail17trampoline_kernelINS0_14default_configENS1_38merge_sort_block_merge_config_selectorIjjEEZZNS1_27merge_sort_block_merge_implIS3_N6thrust23THRUST_200600_302600_NS6detail15normal_iteratorINS8_10device_ptrIjEEEESD_jNS1_19radix_merge_compareILb0ELb1EjNS0_19identity_decomposerEEEEE10hipError_tT0_T1_T2_jT3_P12ihipStream_tbPNSt15iterator_traitsISI_E10value_typeEPNSO_ISJ_E10value_typeEPSK_NS1_7vsmem_tEENKUlT_SI_SJ_SK_E_clIPjSD_S10_SD_EESH_SX_SI_SJ_SK_EUlSX_E_NS1_11comp_targetILNS1_3genE5ELNS1_11target_archE942ELNS1_3gpuE9ELNS1_3repE0EEENS1_48merge_mergepath_partition_config_static_selectorELNS0_4arch9wavefront6targetE1EEEvSJ_.has_indirect_call, 0
	.section	.AMDGPU.csdata,"",@progbits
; Kernel info:
; codeLenInByte = 0
; TotalNumSgprs: 6
; NumVgprs: 0
; NumAgprs: 0
; TotalNumVgprs: 0
; ScratchSize: 0
; MemoryBound: 0
; FloatMode: 240
; IeeeMode: 1
; LDSByteSize: 0 bytes/workgroup (compile time only)
; SGPRBlocks: 0
; VGPRBlocks: 0
; NumSGPRsForWavesPerEU: 6
; NumVGPRsForWavesPerEU: 1
; AccumOffset: 4
; Occupancy: 8
; WaveLimiterHint : 0
; COMPUTE_PGM_RSRC2:SCRATCH_EN: 0
; COMPUTE_PGM_RSRC2:USER_SGPR: 2
; COMPUTE_PGM_RSRC2:TRAP_HANDLER: 0
; COMPUTE_PGM_RSRC2:TGID_X_EN: 1
; COMPUTE_PGM_RSRC2:TGID_Y_EN: 0
; COMPUTE_PGM_RSRC2:TGID_Z_EN: 0
; COMPUTE_PGM_RSRC2:TIDIG_COMP_CNT: 0
; COMPUTE_PGM_RSRC3_GFX90A:ACCUM_OFFSET: 0
; COMPUTE_PGM_RSRC3_GFX90A:TG_SPLIT: 0
	.section	.text._ZN7rocprim17ROCPRIM_400000_NS6detail17trampoline_kernelINS0_14default_configENS1_38merge_sort_block_merge_config_selectorIjjEEZZNS1_27merge_sort_block_merge_implIS3_N6thrust23THRUST_200600_302600_NS6detail15normal_iteratorINS8_10device_ptrIjEEEESD_jNS1_19radix_merge_compareILb0ELb1EjNS0_19identity_decomposerEEEEE10hipError_tT0_T1_T2_jT3_P12ihipStream_tbPNSt15iterator_traitsISI_E10value_typeEPNSO_ISJ_E10value_typeEPSK_NS1_7vsmem_tEENKUlT_SI_SJ_SK_E_clIPjSD_S10_SD_EESH_SX_SI_SJ_SK_EUlSX_E_NS1_11comp_targetILNS1_3genE4ELNS1_11target_archE910ELNS1_3gpuE8ELNS1_3repE0EEENS1_48merge_mergepath_partition_config_static_selectorELNS0_4arch9wavefront6targetE1EEEvSJ_,"axG",@progbits,_ZN7rocprim17ROCPRIM_400000_NS6detail17trampoline_kernelINS0_14default_configENS1_38merge_sort_block_merge_config_selectorIjjEEZZNS1_27merge_sort_block_merge_implIS3_N6thrust23THRUST_200600_302600_NS6detail15normal_iteratorINS8_10device_ptrIjEEEESD_jNS1_19radix_merge_compareILb0ELb1EjNS0_19identity_decomposerEEEEE10hipError_tT0_T1_T2_jT3_P12ihipStream_tbPNSt15iterator_traitsISI_E10value_typeEPNSO_ISJ_E10value_typeEPSK_NS1_7vsmem_tEENKUlT_SI_SJ_SK_E_clIPjSD_S10_SD_EESH_SX_SI_SJ_SK_EUlSX_E_NS1_11comp_targetILNS1_3genE4ELNS1_11target_archE910ELNS1_3gpuE8ELNS1_3repE0EEENS1_48merge_mergepath_partition_config_static_selectorELNS0_4arch9wavefront6targetE1EEEvSJ_,comdat
	.protected	_ZN7rocprim17ROCPRIM_400000_NS6detail17trampoline_kernelINS0_14default_configENS1_38merge_sort_block_merge_config_selectorIjjEEZZNS1_27merge_sort_block_merge_implIS3_N6thrust23THRUST_200600_302600_NS6detail15normal_iteratorINS8_10device_ptrIjEEEESD_jNS1_19radix_merge_compareILb0ELb1EjNS0_19identity_decomposerEEEEE10hipError_tT0_T1_T2_jT3_P12ihipStream_tbPNSt15iterator_traitsISI_E10value_typeEPNSO_ISJ_E10value_typeEPSK_NS1_7vsmem_tEENKUlT_SI_SJ_SK_E_clIPjSD_S10_SD_EESH_SX_SI_SJ_SK_EUlSX_E_NS1_11comp_targetILNS1_3genE4ELNS1_11target_archE910ELNS1_3gpuE8ELNS1_3repE0EEENS1_48merge_mergepath_partition_config_static_selectorELNS0_4arch9wavefront6targetE1EEEvSJ_ ; -- Begin function _ZN7rocprim17ROCPRIM_400000_NS6detail17trampoline_kernelINS0_14default_configENS1_38merge_sort_block_merge_config_selectorIjjEEZZNS1_27merge_sort_block_merge_implIS3_N6thrust23THRUST_200600_302600_NS6detail15normal_iteratorINS8_10device_ptrIjEEEESD_jNS1_19radix_merge_compareILb0ELb1EjNS0_19identity_decomposerEEEEE10hipError_tT0_T1_T2_jT3_P12ihipStream_tbPNSt15iterator_traitsISI_E10value_typeEPNSO_ISJ_E10value_typeEPSK_NS1_7vsmem_tEENKUlT_SI_SJ_SK_E_clIPjSD_S10_SD_EESH_SX_SI_SJ_SK_EUlSX_E_NS1_11comp_targetILNS1_3genE4ELNS1_11target_archE910ELNS1_3gpuE8ELNS1_3repE0EEENS1_48merge_mergepath_partition_config_static_selectorELNS0_4arch9wavefront6targetE1EEEvSJ_
	.globl	_ZN7rocprim17ROCPRIM_400000_NS6detail17trampoline_kernelINS0_14default_configENS1_38merge_sort_block_merge_config_selectorIjjEEZZNS1_27merge_sort_block_merge_implIS3_N6thrust23THRUST_200600_302600_NS6detail15normal_iteratorINS8_10device_ptrIjEEEESD_jNS1_19radix_merge_compareILb0ELb1EjNS0_19identity_decomposerEEEEE10hipError_tT0_T1_T2_jT3_P12ihipStream_tbPNSt15iterator_traitsISI_E10value_typeEPNSO_ISJ_E10value_typeEPSK_NS1_7vsmem_tEENKUlT_SI_SJ_SK_E_clIPjSD_S10_SD_EESH_SX_SI_SJ_SK_EUlSX_E_NS1_11comp_targetILNS1_3genE4ELNS1_11target_archE910ELNS1_3gpuE8ELNS1_3repE0EEENS1_48merge_mergepath_partition_config_static_selectorELNS0_4arch9wavefront6targetE1EEEvSJ_
	.p2align	8
	.type	_ZN7rocprim17ROCPRIM_400000_NS6detail17trampoline_kernelINS0_14default_configENS1_38merge_sort_block_merge_config_selectorIjjEEZZNS1_27merge_sort_block_merge_implIS3_N6thrust23THRUST_200600_302600_NS6detail15normal_iteratorINS8_10device_ptrIjEEEESD_jNS1_19radix_merge_compareILb0ELb1EjNS0_19identity_decomposerEEEEE10hipError_tT0_T1_T2_jT3_P12ihipStream_tbPNSt15iterator_traitsISI_E10value_typeEPNSO_ISJ_E10value_typeEPSK_NS1_7vsmem_tEENKUlT_SI_SJ_SK_E_clIPjSD_S10_SD_EESH_SX_SI_SJ_SK_EUlSX_E_NS1_11comp_targetILNS1_3genE4ELNS1_11target_archE910ELNS1_3gpuE8ELNS1_3repE0EEENS1_48merge_mergepath_partition_config_static_selectorELNS0_4arch9wavefront6targetE1EEEvSJ_,@function
_ZN7rocprim17ROCPRIM_400000_NS6detail17trampoline_kernelINS0_14default_configENS1_38merge_sort_block_merge_config_selectorIjjEEZZNS1_27merge_sort_block_merge_implIS3_N6thrust23THRUST_200600_302600_NS6detail15normal_iteratorINS8_10device_ptrIjEEEESD_jNS1_19radix_merge_compareILb0ELb1EjNS0_19identity_decomposerEEEEE10hipError_tT0_T1_T2_jT3_P12ihipStream_tbPNSt15iterator_traitsISI_E10value_typeEPNSO_ISJ_E10value_typeEPSK_NS1_7vsmem_tEENKUlT_SI_SJ_SK_E_clIPjSD_S10_SD_EESH_SX_SI_SJ_SK_EUlSX_E_NS1_11comp_targetILNS1_3genE4ELNS1_11target_archE910ELNS1_3gpuE8ELNS1_3repE0EEENS1_48merge_mergepath_partition_config_static_selectorELNS0_4arch9wavefront6targetE1EEEvSJ_: ; @_ZN7rocprim17ROCPRIM_400000_NS6detail17trampoline_kernelINS0_14default_configENS1_38merge_sort_block_merge_config_selectorIjjEEZZNS1_27merge_sort_block_merge_implIS3_N6thrust23THRUST_200600_302600_NS6detail15normal_iteratorINS8_10device_ptrIjEEEESD_jNS1_19radix_merge_compareILb0ELb1EjNS0_19identity_decomposerEEEEE10hipError_tT0_T1_T2_jT3_P12ihipStream_tbPNSt15iterator_traitsISI_E10value_typeEPNSO_ISJ_E10value_typeEPSK_NS1_7vsmem_tEENKUlT_SI_SJ_SK_E_clIPjSD_S10_SD_EESH_SX_SI_SJ_SK_EUlSX_E_NS1_11comp_targetILNS1_3genE4ELNS1_11target_archE910ELNS1_3gpuE8ELNS1_3repE0EEENS1_48merge_mergepath_partition_config_static_selectorELNS0_4arch9wavefront6targetE1EEEvSJ_
; %bb.0:
	.section	.rodata,"a",@progbits
	.p2align	6, 0x0
	.amdhsa_kernel _ZN7rocprim17ROCPRIM_400000_NS6detail17trampoline_kernelINS0_14default_configENS1_38merge_sort_block_merge_config_selectorIjjEEZZNS1_27merge_sort_block_merge_implIS3_N6thrust23THRUST_200600_302600_NS6detail15normal_iteratorINS8_10device_ptrIjEEEESD_jNS1_19radix_merge_compareILb0ELb1EjNS0_19identity_decomposerEEEEE10hipError_tT0_T1_T2_jT3_P12ihipStream_tbPNSt15iterator_traitsISI_E10value_typeEPNSO_ISJ_E10value_typeEPSK_NS1_7vsmem_tEENKUlT_SI_SJ_SK_E_clIPjSD_S10_SD_EESH_SX_SI_SJ_SK_EUlSX_E_NS1_11comp_targetILNS1_3genE4ELNS1_11target_archE910ELNS1_3gpuE8ELNS1_3repE0EEENS1_48merge_mergepath_partition_config_static_selectorELNS0_4arch9wavefront6targetE1EEEvSJ_
		.amdhsa_group_segment_fixed_size 0
		.amdhsa_private_segment_fixed_size 0
		.amdhsa_kernarg_size 40
		.amdhsa_user_sgpr_count 2
		.amdhsa_user_sgpr_dispatch_ptr 0
		.amdhsa_user_sgpr_queue_ptr 0
		.amdhsa_user_sgpr_kernarg_segment_ptr 1
		.amdhsa_user_sgpr_dispatch_id 0
		.amdhsa_user_sgpr_kernarg_preload_length 0
		.amdhsa_user_sgpr_kernarg_preload_offset 0
		.amdhsa_user_sgpr_private_segment_size 0
		.amdhsa_uses_dynamic_stack 0
		.amdhsa_enable_private_segment 0
		.amdhsa_system_sgpr_workgroup_id_x 1
		.amdhsa_system_sgpr_workgroup_id_y 0
		.amdhsa_system_sgpr_workgroup_id_z 0
		.amdhsa_system_sgpr_workgroup_info 0
		.amdhsa_system_vgpr_workitem_id 0
		.amdhsa_next_free_vgpr 1
		.amdhsa_next_free_sgpr 0
		.amdhsa_accum_offset 4
		.amdhsa_reserve_vcc 0
		.amdhsa_float_round_mode_32 0
		.amdhsa_float_round_mode_16_64 0
		.amdhsa_float_denorm_mode_32 3
		.amdhsa_float_denorm_mode_16_64 3
		.amdhsa_dx10_clamp 1
		.amdhsa_ieee_mode 1
		.amdhsa_fp16_overflow 0
		.amdhsa_tg_split 0
		.amdhsa_exception_fp_ieee_invalid_op 0
		.amdhsa_exception_fp_denorm_src 0
		.amdhsa_exception_fp_ieee_div_zero 0
		.amdhsa_exception_fp_ieee_overflow 0
		.amdhsa_exception_fp_ieee_underflow 0
		.amdhsa_exception_fp_ieee_inexact 0
		.amdhsa_exception_int_div_zero 0
	.end_amdhsa_kernel
	.section	.text._ZN7rocprim17ROCPRIM_400000_NS6detail17trampoline_kernelINS0_14default_configENS1_38merge_sort_block_merge_config_selectorIjjEEZZNS1_27merge_sort_block_merge_implIS3_N6thrust23THRUST_200600_302600_NS6detail15normal_iteratorINS8_10device_ptrIjEEEESD_jNS1_19radix_merge_compareILb0ELb1EjNS0_19identity_decomposerEEEEE10hipError_tT0_T1_T2_jT3_P12ihipStream_tbPNSt15iterator_traitsISI_E10value_typeEPNSO_ISJ_E10value_typeEPSK_NS1_7vsmem_tEENKUlT_SI_SJ_SK_E_clIPjSD_S10_SD_EESH_SX_SI_SJ_SK_EUlSX_E_NS1_11comp_targetILNS1_3genE4ELNS1_11target_archE910ELNS1_3gpuE8ELNS1_3repE0EEENS1_48merge_mergepath_partition_config_static_selectorELNS0_4arch9wavefront6targetE1EEEvSJ_,"axG",@progbits,_ZN7rocprim17ROCPRIM_400000_NS6detail17trampoline_kernelINS0_14default_configENS1_38merge_sort_block_merge_config_selectorIjjEEZZNS1_27merge_sort_block_merge_implIS3_N6thrust23THRUST_200600_302600_NS6detail15normal_iteratorINS8_10device_ptrIjEEEESD_jNS1_19radix_merge_compareILb0ELb1EjNS0_19identity_decomposerEEEEE10hipError_tT0_T1_T2_jT3_P12ihipStream_tbPNSt15iterator_traitsISI_E10value_typeEPNSO_ISJ_E10value_typeEPSK_NS1_7vsmem_tEENKUlT_SI_SJ_SK_E_clIPjSD_S10_SD_EESH_SX_SI_SJ_SK_EUlSX_E_NS1_11comp_targetILNS1_3genE4ELNS1_11target_archE910ELNS1_3gpuE8ELNS1_3repE0EEENS1_48merge_mergepath_partition_config_static_selectorELNS0_4arch9wavefront6targetE1EEEvSJ_,comdat
.Lfunc_end679:
	.size	_ZN7rocprim17ROCPRIM_400000_NS6detail17trampoline_kernelINS0_14default_configENS1_38merge_sort_block_merge_config_selectorIjjEEZZNS1_27merge_sort_block_merge_implIS3_N6thrust23THRUST_200600_302600_NS6detail15normal_iteratorINS8_10device_ptrIjEEEESD_jNS1_19radix_merge_compareILb0ELb1EjNS0_19identity_decomposerEEEEE10hipError_tT0_T1_T2_jT3_P12ihipStream_tbPNSt15iterator_traitsISI_E10value_typeEPNSO_ISJ_E10value_typeEPSK_NS1_7vsmem_tEENKUlT_SI_SJ_SK_E_clIPjSD_S10_SD_EESH_SX_SI_SJ_SK_EUlSX_E_NS1_11comp_targetILNS1_3genE4ELNS1_11target_archE910ELNS1_3gpuE8ELNS1_3repE0EEENS1_48merge_mergepath_partition_config_static_selectorELNS0_4arch9wavefront6targetE1EEEvSJ_, .Lfunc_end679-_ZN7rocprim17ROCPRIM_400000_NS6detail17trampoline_kernelINS0_14default_configENS1_38merge_sort_block_merge_config_selectorIjjEEZZNS1_27merge_sort_block_merge_implIS3_N6thrust23THRUST_200600_302600_NS6detail15normal_iteratorINS8_10device_ptrIjEEEESD_jNS1_19radix_merge_compareILb0ELb1EjNS0_19identity_decomposerEEEEE10hipError_tT0_T1_T2_jT3_P12ihipStream_tbPNSt15iterator_traitsISI_E10value_typeEPNSO_ISJ_E10value_typeEPSK_NS1_7vsmem_tEENKUlT_SI_SJ_SK_E_clIPjSD_S10_SD_EESH_SX_SI_SJ_SK_EUlSX_E_NS1_11comp_targetILNS1_3genE4ELNS1_11target_archE910ELNS1_3gpuE8ELNS1_3repE0EEENS1_48merge_mergepath_partition_config_static_selectorELNS0_4arch9wavefront6targetE1EEEvSJ_
                                        ; -- End function
	.set _ZN7rocprim17ROCPRIM_400000_NS6detail17trampoline_kernelINS0_14default_configENS1_38merge_sort_block_merge_config_selectorIjjEEZZNS1_27merge_sort_block_merge_implIS3_N6thrust23THRUST_200600_302600_NS6detail15normal_iteratorINS8_10device_ptrIjEEEESD_jNS1_19radix_merge_compareILb0ELb1EjNS0_19identity_decomposerEEEEE10hipError_tT0_T1_T2_jT3_P12ihipStream_tbPNSt15iterator_traitsISI_E10value_typeEPNSO_ISJ_E10value_typeEPSK_NS1_7vsmem_tEENKUlT_SI_SJ_SK_E_clIPjSD_S10_SD_EESH_SX_SI_SJ_SK_EUlSX_E_NS1_11comp_targetILNS1_3genE4ELNS1_11target_archE910ELNS1_3gpuE8ELNS1_3repE0EEENS1_48merge_mergepath_partition_config_static_selectorELNS0_4arch9wavefront6targetE1EEEvSJ_.num_vgpr, 0
	.set _ZN7rocprim17ROCPRIM_400000_NS6detail17trampoline_kernelINS0_14default_configENS1_38merge_sort_block_merge_config_selectorIjjEEZZNS1_27merge_sort_block_merge_implIS3_N6thrust23THRUST_200600_302600_NS6detail15normal_iteratorINS8_10device_ptrIjEEEESD_jNS1_19radix_merge_compareILb0ELb1EjNS0_19identity_decomposerEEEEE10hipError_tT0_T1_T2_jT3_P12ihipStream_tbPNSt15iterator_traitsISI_E10value_typeEPNSO_ISJ_E10value_typeEPSK_NS1_7vsmem_tEENKUlT_SI_SJ_SK_E_clIPjSD_S10_SD_EESH_SX_SI_SJ_SK_EUlSX_E_NS1_11comp_targetILNS1_3genE4ELNS1_11target_archE910ELNS1_3gpuE8ELNS1_3repE0EEENS1_48merge_mergepath_partition_config_static_selectorELNS0_4arch9wavefront6targetE1EEEvSJ_.num_agpr, 0
	.set _ZN7rocprim17ROCPRIM_400000_NS6detail17trampoline_kernelINS0_14default_configENS1_38merge_sort_block_merge_config_selectorIjjEEZZNS1_27merge_sort_block_merge_implIS3_N6thrust23THRUST_200600_302600_NS6detail15normal_iteratorINS8_10device_ptrIjEEEESD_jNS1_19radix_merge_compareILb0ELb1EjNS0_19identity_decomposerEEEEE10hipError_tT0_T1_T2_jT3_P12ihipStream_tbPNSt15iterator_traitsISI_E10value_typeEPNSO_ISJ_E10value_typeEPSK_NS1_7vsmem_tEENKUlT_SI_SJ_SK_E_clIPjSD_S10_SD_EESH_SX_SI_SJ_SK_EUlSX_E_NS1_11comp_targetILNS1_3genE4ELNS1_11target_archE910ELNS1_3gpuE8ELNS1_3repE0EEENS1_48merge_mergepath_partition_config_static_selectorELNS0_4arch9wavefront6targetE1EEEvSJ_.numbered_sgpr, 0
	.set _ZN7rocprim17ROCPRIM_400000_NS6detail17trampoline_kernelINS0_14default_configENS1_38merge_sort_block_merge_config_selectorIjjEEZZNS1_27merge_sort_block_merge_implIS3_N6thrust23THRUST_200600_302600_NS6detail15normal_iteratorINS8_10device_ptrIjEEEESD_jNS1_19radix_merge_compareILb0ELb1EjNS0_19identity_decomposerEEEEE10hipError_tT0_T1_T2_jT3_P12ihipStream_tbPNSt15iterator_traitsISI_E10value_typeEPNSO_ISJ_E10value_typeEPSK_NS1_7vsmem_tEENKUlT_SI_SJ_SK_E_clIPjSD_S10_SD_EESH_SX_SI_SJ_SK_EUlSX_E_NS1_11comp_targetILNS1_3genE4ELNS1_11target_archE910ELNS1_3gpuE8ELNS1_3repE0EEENS1_48merge_mergepath_partition_config_static_selectorELNS0_4arch9wavefront6targetE1EEEvSJ_.num_named_barrier, 0
	.set _ZN7rocprim17ROCPRIM_400000_NS6detail17trampoline_kernelINS0_14default_configENS1_38merge_sort_block_merge_config_selectorIjjEEZZNS1_27merge_sort_block_merge_implIS3_N6thrust23THRUST_200600_302600_NS6detail15normal_iteratorINS8_10device_ptrIjEEEESD_jNS1_19radix_merge_compareILb0ELb1EjNS0_19identity_decomposerEEEEE10hipError_tT0_T1_T2_jT3_P12ihipStream_tbPNSt15iterator_traitsISI_E10value_typeEPNSO_ISJ_E10value_typeEPSK_NS1_7vsmem_tEENKUlT_SI_SJ_SK_E_clIPjSD_S10_SD_EESH_SX_SI_SJ_SK_EUlSX_E_NS1_11comp_targetILNS1_3genE4ELNS1_11target_archE910ELNS1_3gpuE8ELNS1_3repE0EEENS1_48merge_mergepath_partition_config_static_selectorELNS0_4arch9wavefront6targetE1EEEvSJ_.private_seg_size, 0
	.set _ZN7rocprim17ROCPRIM_400000_NS6detail17trampoline_kernelINS0_14default_configENS1_38merge_sort_block_merge_config_selectorIjjEEZZNS1_27merge_sort_block_merge_implIS3_N6thrust23THRUST_200600_302600_NS6detail15normal_iteratorINS8_10device_ptrIjEEEESD_jNS1_19radix_merge_compareILb0ELb1EjNS0_19identity_decomposerEEEEE10hipError_tT0_T1_T2_jT3_P12ihipStream_tbPNSt15iterator_traitsISI_E10value_typeEPNSO_ISJ_E10value_typeEPSK_NS1_7vsmem_tEENKUlT_SI_SJ_SK_E_clIPjSD_S10_SD_EESH_SX_SI_SJ_SK_EUlSX_E_NS1_11comp_targetILNS1_3genE4ELNS1_11target_archE910ELNS1_3gpuE8ELNS1_3repE0EEENS1_48merge_mergepath_partition_config_static_selectorELNS0_4arch9wavefront6targetE1EEEvSJ_.uses_vcc, 0
	.set _ZN7rocprim17ROCPRIM_400000_NS6detail17trampoline_kernelINS0_14default_configENS1_38merge_sort_block_merge_config_selectorIjjEEZZNS1_27merge_sort_block_merge_implIS3_N6thrust23THRUST_200600_302600_NS6detail15normal_iteratorINS8_10device_ptrIjEEEESD_jNS1_19radix_merge_compareILb0ELb1EjNS0_19identity_decomposerEEEEE10hipError_tT0_T1_T2_jT3_P12ihipStream_tbPNSt15iterator_traitsISI_E10value_typeEPNSO_ISJ_E10value_typeEPSK_NS1_7vsmem_tEENKUlT_SI_SJ_SK_E_clIPjSD_S10_SD_EESH_SX_SI_SJ_SK_EUlSX_E_NS1_11comp_targetILNS1_3genE4ELNS1_11target_archE910ELNS1_3gpuE8ELNS1_3repE0EEENS1_48merge_mergepath_partition_config_static_selectorELNS0_4arch9wavefront6targetE1EEEvSJ_.uses_flat_scratch, 0
	.set _ZN7rocprim17ROCPRIM_400000_NS6detail17trampoline_kernelINS0_14default_configENS1_38merge_sort_block_merge_config_selectorIjjEEZZNS1_27merge_sort_block_merge_implIS3_N6thrust23THRUST_200600_302600_NS6detail15normal_iteratorINS8_10device_ptrIjEEEESD_jNS1_19radix_merge_compareILb0ELb1EjNS0_19identity_decomposerEEEEE10hipError_tT0_T1_T2_jT3_P12ihipStream_tbPNSt15iterator_traitsISI_E10value_typeEPNSO_ISJ_E10value_typeEPSK_NS1_7vsmem_tEENKUlT_SI_SJ_SK_E_clIPjSD_S10_SD_EESH_SX_SI_SJ_SK_EUlSX_E_NS1_11comp_targetILNS1_3genE4ELNS1_11target_archE910ELNS1_3gpuE8ELNS1_3repE0EEENS1_48merge_mergepath_partition_config_static_selectorELNS0_4arch9wavefront6targetE1EEEvSJ_.has_dyn_sized_stack, 0
	.set _ZN7rocprim17ROCPRIM_400000_NS6detail17trampoline_kernelINS0_14default_configENS1_38merge_sort_block_merge_config_selectorIjjEEZZNS1_27merge_sort_block_merge_implIS3_N6thrust23THRUST_200600_302600_NS6detail15normal_iteratorINS8_10device_ptrIjEEEESD_jNS1_19radix_merge_compareILb0ELb1EjNS0_19identity_decomposerEEEEE10hipError_tT0_T1_T2_jT3_P12ihipStream_tbPNSt15iterator_traitsISI_E10value_typeEPNSO_ISJ_E10value_typeEPSK_NS1_7vsmem_tEENKUlT_SI_SJ_SK_E_clIPjSD_S10_SD_EESH_SX_SI_SJ_SK_EUlSX_E_NS1_11comp_targetILNS1_3genE4ELNS1_11target_archE910ELNS1_3gpuE8ELNS1_3repE0EEENS1_48merge_mergepath_partition_config_static_selectorELNS0_4arch9wavefront6targetE1EEEvSJ_.has_recursion, 0
	.set _ZN7rocprim17ROCPRIM_400000_NS6detail17trampoline_kernelINS0_14default_configENS1_38merge_sort_block_merge_config_selectorIjjEEZZNS1_27merge_sort_block_merge_implIS3_N6thrust23THRUST_200600_302600_NS6detail15normal_iteratorINS8_10device_ptrIjEEEESD_jNS1_19radix_merge_compareILb0ELb1EjNS0_19identity_decomposerEEEEE10hipError_tT0_T1_T2_jT3_P12ihipStream_tbPNSt15iterator_traitsISI_E10value_typeEPNSO_ISJ_E10value_typeEPSK_NS1_7vsmem_tEENKUlT_SI_SJ_SK_E_clIPjSD_S10_SD_EESH_SX_SI_SJ_SK_EUlSX_E_NS1_11comp_targetILNS1_3genE4ELNS1_11target_archE910ELNS1_3gpuE8ELNS1_3repE0EEENS1_48merge_mergepath_partition_config_static_selectorELNS0_4arch9wavefront6targetE1EEEvSJ_.has_indirect_call, 0
	.section	.AMDGPU.csdata,"",@progbits
; Kernel info:
; codeLenInByte = 0
; TotalNumSgprs: 6
; NumVgprs: 0
; NumAgprs: 0
; TotalNumVgprs: 0
; ScratchSize: 0
; MemoryBound: 0
; FloatMode: 240
; IeeeMode: 1
; LDSByteSize: 0 bytes/workgroup (compile time only)
; SGPRBlocks: 0
; VGPRBlocks: 0
; NumSGPRsForWavesPerEU: 6
; NumVGPRsForWavesPerEU: 1
; AccumOffset: 4
; Occupancy: 8
; WaveLimiterHint : 0
; COMPUTE_PGM_RSRC2:SCRATCH_EN: 0
; COMPUTE_PGM_RSRC2:USER_SGPR: 2
; COMPUTE_PGM_RSRC2:TRAP_HANDLER: 0
; COMPUTE_PGM_RSRC2:TGID_X_EN: 1
; COMPUTE_PGM_RSRC2:TGID_Y_EN: 0
; COMPUTE_PGM_RSRC2:TGID_Z_EN: 0
; COMPUTE_PGM_RSRC2:TIDIG_COMP_CNT: 0
; COMPUTE_PGM_RSRC3_GFX90A:ACCUM_OFFSET: 0
; COMPUTE_PGM_RSRC3_GFX90A:TG_SPLIT: 0
	.section	.text._ZN7rocprim17ROCPRIM_400000_NS6detail17trampoline_kernelINS0_14default_configENS1_38merge_sort_block_merge_config_selectorIjjEEZZNS1_27merge_sort_block_merge_implIS3_N6thrust23THRUST_200600_302600_NS6detail15normal_iteratorINS8_10device_ptrIjEEEESD_jNS1_19radix_merge_compareILb0ELb1EjNS0_19identity_decomposerEEEEE10hipError_tT0_T1_T2_jT3_P12ihipStream_tbPNSt15iterator_traitsISI_E10value_typeEPNSO_ISJ_E10value_typeEPSK_NS1_7vsmem_tEENKUlT_SI_SJ_SK_E_clIPjSD_S10_SD_EESH_SX_SI_SJ_SK_EUlSX_E_NS1_11comp_targetILNS1_3genE3ELNS1_11target_archE908ELNS1_3gpuE7ELNS1_3repE0EEENS1_48merge_mergepath_partition_config_static_selectorELNS0_4arch9wavefront6targetE1EEEvSJ_,"axG",@progbits,_ZN7rocprim17ROCPRIM_400000_NS6detail17trampoline_kernelINS0_14default_configENS1_38merge_sort_block_merge_config_selectorIjjEEZZNS1_27merge_sort_block_merge_implIS3_N6thrust23THRUST_200600_302600_NS6detail15normal_iteratorINS8_10device_ptrIjEEEESD_jNS1_19radix_merge_compareILb0ELb1EjNS0_19identity_decomposerEEEEE10hipError_tT0_T1_T2_jT3_P12ihipStream_tbPNSt15iterator_traitsISI_E10value_typeEPNSO_ISJ_E10value_typeEPSK_NS1_7vsmem_tEENKUlT_SI_SJ_SK_E_clIPjSD_S10_SD_EESH_SX_SI_SJ_SK_EUlSX_E_NS1_11comp_targetILNS1_3genE3ELNS1_11target_archE908ELNS1_3gpuE7ELNS1_3repE0EEENS1_48merge_mergepath_partition_config_static_selectorELNS0_4arch9wavefront6targetE1EEEvSJ_,comdat
	.protected	_ZN7rocprim17ROCPRIM_400000_NS6detail17trampoline_kernelINS0_14default_configENS1_38merge_sort_block_merge_config_selectorIjjEEZZNS1_27merge_sort_block_merge_implIS3_N6thrust23THRUST_200600_302600_NS6detail15normal_iteratorINS8_10device_ptrIjEEEESD_jNS1_19radix_merge_compareILb0ELb1EjNS0_19identity_decomposerEEEEE10hipError_tT0_T1_T2_jT3_P12ihipStream_tbPNSt15iterator_traitsISI_E10value_typeEPNSO_ISJ_E10value_typeEPSK_NS1_7vsmem_tEENKUlT_SI_SJ_SK_E_clIPjSD_S10_SD_EESH_SX_SI_SJ_SK_EUlSX_E_NS1_11comp_targetILNS1_3genE3ELNS1_11target_archE908ELNS1_3gpuE7ELNS1_3repE0EEENS1_48merge_mergepath_partition_config_static_selectorELNS0_4arch9wavefront6targetE1EEEvSJ_ ; -- Begin function _ZN7rocprim17ROCPRIM_400000_NS6detail17trampoline_kernelINS0_14default_configENS1_38merge_sort_block_merge_config_selectorIjjEEZZNS1_27merge_sort_block_merge_implIS3_N6thrust23THRUST_200600_302600_NS6detail15normal_iteratorINS8_10device_ptrIjEEEESD_jNS1_19radix_merge_compareILb0ELb1EjNS0_19identity_decomposerEEEEE10hipError_tT0_T1_T2_jT3_P12ihipStream_tbPNSt15iterator_traitsISI_E10value_typeEPNSO_ISJ_E10value_typeEPSK_NS1_7vsmem_tEENKUlT_SI_SJ_SK_E_clIPjSD_S10_SD_EESH_SX_SI_SJ_SK_EUlSX_E_NS1_11comp_targetILNS1_3genE3ELNS1_11target_archE908ELNS1_3gpuE7ELNS1_3repE0EEENS1_48merge_mergepath_partition_config_static_selectorELNS0_4arch9wavefront6targetE1EEEvSJ_
	.globl	_ZN7rocprim17ROCPRIM_400000_NS6detail17trampoline_kernelINS0_14default_configENS1_38merge_sort_block_merge_config_selectorIjjEEZZNS1_27merge_sort_block_merge_implIS3_N6thrust23THRUST_200600_302600_NS6detail15normal_iteratorINS8_10device_ptrIjEEEESD_jNS1_19radix_merge_compareILb0ELb1EjNS0_19identity_decomposerEEEEE10hipError_tT0_T1_T2_jT3_P12ihipStream_tbPNSt15iterator_traitsISI_E10value_typeEPNSO_ISJ_E10value_typeEPSK_NS1_7vsmem_tEENKUlT_SI_SJ_SK_E_clIPjSD_S10_SD_EESH_SX_SI_SJ_SK_EUlSX_E_NS1_11comp_targetILNS1_3genE3ELNS1_11target_archE908ELNS1_3gpuE7ELNS1_3repE0EEENS1_48merge_mergepath_partition_config_static_selectorELNS0_4arch9wavefront6targetE1EEEvSJ_
	.p2align	8
	.type	_ZN7rocprim17ROCPRIM_400000_NS6detail17trampoline_kernelINS0_14default_configENS1_38merge_sort_block_merge_config_selectorIjjEEZZNS1_27merge_sort_block_merge_implIS3_N6thrust23THRUST_200600_302600_NS6detail15normal_iteratorINS8_10device_ptrIjEEEESD_jNS1_19radix_merge_compareILb0ELb1EjNS0_19identity_decomposerEEEEE10hipError_tT0_T1_T2_jT3_P12ihipStream_tbPNSt15iterator_traitsISI_E10value_typeEPNSO_ISJ_E10value_typeEPSK_NS1_7vsmem_tEENKUlT_SI_SJ_SK_E_clIPjSD_S10_SD_EESH_SX_SI_SJ_SK_EUlSX_E_NS1_11comp_targetILNS1_3genE3ELNS1_11target_archE908ELNS1_3gpuE7ELNS1_3repE0EEENS1_48merge_mergepath_partition_config_static_selectorELNS0_4arch9wavefront6targetE1EEEvSJ_,@function
_ZN7rocprim17ROCPRIM_400000_NS6detail17trampoline_kernelINS0_14default_configENS1_38merge_sort_block_merge_config_selectorIjjEEZZNS1_27merge_sort_block_merge_implIS3_N6thrust23THRUST_200600_302600_NS6detail15normal_iteratorINS8_10device_ptrIjEEEESD_jNS1_19radix_merge_compareILb0ELb1EjNS0_19identity_decomposerEEEEE10hipError_tT0_T1_T2_jT3_P12ihipStream_tbPNSt15iterator_traitsISI_E10value_typeEPNSO_ISJ_E10value_typeEPSK_NS1_7vsmem_tEENKUlT_SI_SJ_SK_E_clIPjSD_S10_SD_EESH_SX_SI_SJ_SK_EUlSX_E_NS1_11comp_targetILNS1_3genE3ELNS1_11target_archE908ELNS1_3gpuE7ELNS1_3repE0EEENS1_48merge_mergepath_partition_config_static_selectorELNS0_4arch9wavefront6targetE1EEEvSJ_: ; @_ZN7rocprim17ROCPRIM_400000_NS6detail17trampoline_kernelINS0_14default_configENS1_38merge_sort_block_merge_config_selectorIjjEEZZNS1_27merge_sort_block_merge_implIS3_N6thrust23THRUST_200600_302600_NS6detail15normal_iteratorINS8_10device_ptrIjEEEESD_jNS1_19radix_merge_compareILb0ELb1EjNS0_19identity_decomposerEEEEE10hipError_tT0_T1_T2_jT3_P12ihipStream_tbPNSt15iterator_traitsISI_E10value_typeEPNSO_ISJ_E10value_typeEPSK_NS1_7vsmem_tEENKUlT_SI_SJ_SK_E_clIPjSD_S10_SD_EESH_SX_SI_SJ_SK_EUlSX_E_NS1_11comp_targetILNS1_3genE3ELNS1_11target_archE908ELNS1_3gpuE7ELNS1_3repE0EEENS1_48merge_mergepath_partition_config_static_selectorELNS0_4arch9wavefront6targetE1EEEvSJ_
; %bb.0:
	.section	.rodata,"a",@progbits
	.p2align	6, 0x0
	.amdhsa_kernel _ZN7rocprim17ROCPRIM_400000_NS6detail17trampoline_kernelINS0_14default_configENS1_38merge_sort_block_merge_config_selectorIjjEEZZNS1_27merge_sort_block_merge_implIS3_N6thrust23THRUST_200600_302600_NS6detail15normal_iteratorINS8_10device_ptrIjEEEESD_jNS1_19radix_merge_compareILb0ELb1EjNS0_19identity_decomposerEEEEE10hipError_tT0_T1_T2_jT3_P12ihipStream_tbPNSt15iterator_traitsISI_E10value_typeEPNSO_ISJ_E10value_typeEPSK_NS1_7vsmem_tEENKUlT_SI_SJ_SK_E_clIPjSD_S10_SD_EESH_SX_SI_SJ_SK_EUlSX_E_NS1_11comp_targetILNS1_3genE3ELNS1_11target_archE908ELNS1_3gpuE7ELNS1_3repE0EEENS1_48merge_mergepath_partition_config_static_selectorELNS0_4arch9wavefront6targetE1EEEvSJ_
		.amdhsa_group_segment_fixed_size 0
		.amdhsa_private_segment_fixed_size 0
		.amdhsa_kernarg_size 40
		.amdhsa_user_sgpr_count 2
		.amdhsa_user_sgpr_dispatch_ptr 0
		.amdhsa_user_sgpr_queue_ptr 0
		.amdhsa_user_sgpr_kernarg_segment_ptr 1
		.amdhsa_user_sgpr_dispatch_id 0
		.amdhsa_user_sgpr_kernarg_preload_length 0
		.amdhsa_user_sgpr_kernarg_preload_offset 0
		.amdhsa_user_sgpr_private_segment_size 0
		.amdhsa_uses_dynamic_stack 0
		.amdhsa_enable_private_segment 0
		.amdhsa_system_sgpr_workgroup_id_x 1
		.amdhsa_system_sgpr_workgroup_id_y 0
		.amdhsa_system_sgpr_workgroup_id_z 0
		.amdhsa_system_sgpr_workgroup_info 0
		.amdhsa_system_vgpr_workitem_id 0
		.amdhsa_next_free_vgpr 1
		.amdhsa_next_free_sgpr 0
		.amdhsa_accum_offset 4
		.amdhsa_reserve_vcc 0
		.amdhsa_float_round_mode_32 0
		.amdhsa_float_round_mode_16_64 0
		.amdhsa_float_denorm_mode_32 3
		.amdhsa_float_denorm_mode_16_64 3
		.amdhsa_dx10_clamp 1
		.amdhsa_ieee_mode 1
		.amdhsa_fp16_overflow 0
		.amdhsa_tg_split 0
		.amdhsa_exception_fp_ieee_invalid_op 0
		.amdhsa_exception_fp_denorm_src 0
		.amdhsa_exception_fp_ieee_div_zero 0
		.amdhsa_exception_fp_ieee_overflow 0
		.amdhsa_exception_fp_ieee_underflow 0
		.amdhsa_exception_fp_ieee_inexact 0
		.amdhsa_exception_int_div_zero 0
	.end_amdhsa_kernel
	.section	.text._ZN7rocprim17ROCPRIM_400000_NS6detail17trampoline_kernelINS0_14default_configENS1_38merge_sort_block_merge_config_selectorIjjEEZZNS1_27merge_sort_block_merge_implIS3_N6thrust23THRUST_200600_302600_NS6detail15normal_iteratorINS8_10device_ptrIjEEEESD_jNS1_19radix_merge_compareILb0ELb1EjNS0_19identity_decomposerEEEEE10hipError_tT0_T1_T2_jT3_P12ihipStream_tbPNSt15iterator_traitsISI_E10value_typeEPNSO_ISJ_E10value_typeEPSK_NS1_7vsmem_tEENKUlT_SI_SJ_SK_E_clIPjSD_S10_SD_EESH_SX_SI_SJ_SK_EUlSX_E_NS1_11comp_targetILNS1_3genE3ELNS1_11target_archE908ELNS1_3gpuE7ELNS1_3repE0EEENS1_48merge_mergepath_partition_config_static_selectorELNS0_4arch9wavefront6targetE1EEEvSJ_,"axG",@progbits,_ZN7rocprim17ROCPRIM_400000_NS6detail17trampoline_kernelINS0_14default_configENS1_38merge_sort_block_merge_config_selectorIjjEEZZNS1_27merge_sort_block_merge_implIS3_N6thrust23THRUST_200600_302600_NS6detail15normal_iteratorINS8_10device_ptrIjEEEESD_jNS1_19radix_merge_compareILb0ELb1EjNS0_19identity_decomposerEEEEE10hipError_tT0_T1_T2_jT3_P12ihipStream_tbPNSt15iterator_traitsISI_E10value_typeEPNSO_ISJ_E10value_typeEPSK_NS1_7vsmem_tEENKUlT_SI_SJ_SK_E_clIPjSD_S10_SD_EESH_SX_SI_SJ_SK_EUlSX_E_NS1_11comp_targetILNS1_3genE3ELNS1_11target_archE908ELNS1_3gpuE7ELNS1_3repE0EEENS1_48merge_mergepath_partition_config_static_selectorELNS0_4arch9wavefront6targetE1EEEvSJ_,comdat
.Lfunc_end680:
	.size	_ZN7rocprim17ROCPRIM_400000_NS6detail17trampoline_kernelINS0_14default_configENS1_38merge_sort_block_merge_config_selectorIjjEEZZNS1_27merge_sort_block_merge_implIS3_N6thrust23THRUST_200600_302600_NS6detail15normal_iteratorINS8_10device_ptrIjEEEESD_jNS1_19radix_merge_compareILb0ELb1EjNS0_19identity_decomposerEEEEE10hipError_tT0_T1_T2_jT3_P12ihipStream_tbPNSt15iterator_traitsISI_E10value_typeEPNSO_ISJ_E10value_typeEPSK_NS1_7vsmem_tEENKUlT_SI_SJ_SK_E_clIPjSD_S10_SD_EESH_SX_SI_SJ_SK_EUlSX_E_NS1_11comp_targetILNS1_3genE3ELNS1_11target_archE908ELNS1_3gpuE7ELNS1_3repE0EEENS1_48merge_mergepath_partition_config_static_selectorELNS0_4arch9wavefront6targetE1EEEvSJ_, .Lfunc_end680-_ZN7rocprim17ROCPRIM_400000_NS6detail17trampoline_kernelINS0_14default_configENS1_38merge_sort_block_merge_config_selectorIjjEEZZNS1_27merge_sort_block_merge_implIS3_N6thrust23THRUST_200600_302600_NS6detail15normal_iteratorINS8_10device_ptrIjEEEESD_jNS1_19radix_merge_compareILb0ELb1EjNS0_19identity_decomposerEEEEE10hipError_tT0_T1_T2_jT3_P12ihipStream_tbPNSt15iterator_traitsISI_E10value_typeEPNSO_ISJ_E10value_typeEPSK_NS1_7vsmem_tEENKUlT_SI_SJ_SK_E_clIPjSD_S10_SD_EESH_SX_SI_SJ_SK_EUlSX_E_NS1_11comp_targetILNS1_3genE3ELNS1_11target_archE908ELNS1_3gpuE7ELNS1_3repE0EEENS1_48merge_mergepath_partition_config_static_selectorELNS0_4arch9wavefront6targetE1EEEvSJ_
                                        ; -- End function
	.set _ZN7rocprim17ROCPRIM_400000_NS6detail17trampoline_kernelINS0_14default_configENS1_38merge_sort_block_merge_config_selectorIjjEEZZNS1_27merge_sort_block_merge_implIS3_N6thrust23THRUST_200600_302600_NS6detail15normal_iteratorINS8_10device_ptrIjEEEESD_jNS1_19radix_merge_compareILb0ELb1EjNS0_19identity_decomposerEEEEE10hipError_tT0_T1_T2_jT3_P12ihipStream_tbPNSt15iterator_traitsISI_E10value_typeEPNSO_ISJ_E10value_typeEPSK_NS1_7vsmem_tEENKUlT_SI_SJ_SK_E_clIPjSD_S10_SD_EESH_SX_SI_SJ_SK_EUlSX_E_NS1_11comp_targetILNS1_3genE3ELNS1_11target_archE908ELNS1_3gpuE7ELNS1_3repE0EEENS1_48merge_mergepath_partition_config_static_selectorELNS0_4arch9wavefront6targetE1EEEvSJ_.num_vgpr, 0
	.set _ZN7rocprim17ROCPRIM_400000_NS6detail17trampoline_kernelINS0_14default_configENS1_38merge_sort_block_merge_config_selectorIjjEEZZNS1_27merge_sort_block_merge_implIS3_N6thrust23THRUST_200600_302600_NS6detail15normal_iteratorINS8_10device_ptrIjEEEESD_jNS1_19radix_merge_compareILb0ELb1EjNS0_19identity_decomposerEEEEE10hipError_tT0_T1_T2_jT3_P12ihipStream_tbPNSt15iterator_traitsISI_E10value_typeEPNSO_ISJ_E10value_typeEPSK_NS1_7vsmem_tEENKUlT_SI_SJ_SK_E_clIPjSD_S10_SD_EESH_SX_SI_SJ_SK_EUlSX_E_NS1_11comp_targetILNS1_3genE3ELNS1_11target_archE908ELNS1_3gpuE7ELNS1_3repE0EEENS1_48merge_mergepath_partition_config_static_selectorELNS0_4arch9wavefront6targetE1EEEvSJ_.num_agpr, 0
	.set _ZN7rocprim17ROCPRIM_400000_NS6detail17trampoline_kernelINS0_14default_configENS1_38merge_sort_block_merge_config_selectorIjjEEZZNS1_27merge_sort_block_merge_implIS3_N6thrust23THRUST_200600_302600_NS6detail15normal_iteratorINS8_10device_ptrIjEEEESD_jNS1_19radix_merge_compareILb0ELb1EjNS0_19identity_decomposerEEEEE10hipError_tT0_T1_T2_jT3_P12ihipStream_tbPNSt15iterator_traitsISI_E10value_typeEPNSO_ISJ_E10value_typeEPSK_NS1_7vsmem_tEENKUlT_SI_SJ_SK_E_clIPjSD_S10_SD_EESH_SX_SI_SJ_SK_EUlSX_E_NS1_11comp_targetILNS1_3genE3ELNS1_11target_archE908ELNS1_3gpuE7ELNS1_3repE0EEENS1_48merge_mergepath_partition_config_static_selectorELNS0_4arch9wavefront6targetE1EEEvSJ_.numbered_sgpr, 0
	.set _ZN7rocprim17ROCPRIM_400000_NS6detail17trampoline_kernelINS0_14default_configENS1_38merge_sort_block_merge_config_selectorIjjEEZZNS1_27merge_sort_block_merge_implIS3_N6thrust23THRUST_200600_302600_NS6detail15normal_iteratorINS8_10device_ptrIjEEEESD_jNS1_19radix_merge_compareILb0ELb1EjNS0_19identity_decomposerEEEEE10hipError_tT0_T1_T2_jT3_P12ihipStream_tbPNSt15iterator_traitsISI_E10value_typeEPNSO_ISJ_E10value_typeEPSK_NS1_7vsmem_tEENKUlT_SI_SJ_SK_E_clIPjSD_S10_SD_EESH_SX_SI_SJ_SK_EUlSX_E_NS1_11comp_targetILNS1_3genE3ELNS1_11target_archE908ELNS1_3gpuE7ELNS1_3repE0EEENS1_48merge_mergepath_partition_config_static_selectorELNS0_4arch9wavefront6targetE1EEEvSJ_.num_named_barrier, 0
	.set _ZN7rocprim17ROCPRIM_400000_NS6detail17trampoline_kernelINS0_14default_configENS1_38merge_sort_block_merge_config_selectorIjjEEZZNS1_27merge_sort_block_merge_implIS3_N6thrust23THRUST_200600_302600_NS6detail15normal_iteratorINS8_10device_ptrIjEEEESD_jNS1_19radix_merge_compareILb0ELb1EjNS0_19identity_decomposerEEEEE10hipError_tT0_T1_T2_jT3_P12ihipStream_tbPNSt15iterator_traitsISI_E10value_typeEPNSO_ISJ_E10value_typeEPSK_NS1_7vsmem_tEENKUlT_SI_SJ_SK_E_clIPjSD_S10_SD_EESH_SX_SI_SJ_SK_EUlSX_E_NS1_11comp_targetILNS1_3genE3ELNS1_11target_archE908ELNS1_3gpuE7ELNS1_3repE0EEENS1_48merge_mergepath_partition_config_static_selectorELNS0_4arch9wavefront6targetE1EEEvSJ_.private_seg_size, 0
	.set _ZN7rocprim17ROCPRIM_400000_NS6detail17trampoline_kernelINS0_14default_configENS1_38merge_sort_block_merge_config_selectorIjjEEZZNS1_27merge_sort_block_merge_implIS3_N6thrust23THRUST_200600_302600_NS6detail15normal_iteratorINS8_10device_ptrIjEEEESD_jNS1_19radix_merge_compareILb0ELb1EjNS0_19identity_decomposerEEEEE10hipError_tT0_T1_T2_jT3_P12ihipStream_tbPNSt15iterator_traitsISI_E10value_typeEPNSO_ISJ_E10value_typeEPSK_NS1_7vsmem_tEENKUlT_SI_SJ_SK_E_clIPjSD_S10_SD_EESH_SX_SI_SJ_SK_EUlSX_E_NS1_11comp_targetILNS1_3genE3ELNS1_11target_archE908ELNS1_3gpuE7ELNS1_3repE0EEENS1_48merge_mergepath_partition_config_static_selectorELNS0_4arch9wavefront6targetE1EEEvSJ_.uses_vcc, 0
	.set _ZN7rocprim17ROCPRIM_400000_NS6detail17trampoline_kernelINS0_14default_configENS1_38merge_sort_block_merge_config_selectorIjjEEZZNS1_27merge_sort_block_merge_implIS3_N6thrust23THRUST_200600_302600_NS6detail15normal_iteratorINS8_10device_ptrIjEEEESD_jNS1_19radix_merge_compareILb0ELb1EjNS0_19identity_decomposerEEEEE10hipError_tT0_T1_T2_jT3_P12ihipStream_tbPNSt15iterator_traitsISI_E10value_typeEPNSO_ISJ_E10value_typeEPSK_NS1_7vsmem_tEENKUlT_SI_SJ_SK_E_clIPjSD_S10_SD_EESH_SX_SI_SJ_SK_EUlSX_E_NS1_11comp_targetILNS1_3genE3ELNS1_11target_archE908ELNS1_3gpuE7ELNS1_3repE0EEENS1_48merge_mergepath_partition_config_static_selectorELNS0_4arch9wavefront6targetE1EEEvSJ_.uses_flat_scratch, 0
	.set _ZN7rocprim17ROCPRIM_400000_NS6detail17trampoline_kernelINS0_14default_configENS1_38merge_sort_block_merge_config_selectorIjjEEZZNS1_27merge_sort_block_merge_implIS3_N6thrust23THRUST_200600_302600_NS6detail15normal_iteratorINS8_10device_ptrIjEEEESD_jNS1_19radix_merge_compareILb0ELb1EjNS0_19identity_decomposerEEEEE10hipError_tT0_T1_T2_jT3_P12ihipStream_tbPNSt15iterator_traitsISI_E10value_typeEPNSO_ISJ_E10value_typeEPSK_NS1_7vsmem_tEENKUlT_SI_SJ_SK_E_clIPjSD_S10_SD_EESH_SX_SI_SJ_SK_EUlSX_E_NS1_11comp_targetILNS1_3genE3ELNS1_11target_archE908ELNS1_3gpuE7ELNS1_3repE0EEENS1_48merge_mergepath_partition_config_static_selectorELNS0_4arch9wavefront6targetE1EEEvSJ_.has_dyn_sized_stack, 0
	.set _ZN7rocprim17ROCPRIM_400000_NS6detail17trampoline_kernelINS0_14default_configENS1_38merge_sort_block_merge_config_selectorIjjEEZZNS1_27merge_sort_block_merge_implIS3_N6thrust23THRUST_200600_302600_NS6detail15normal_iteratorINS8_10device_ptrIjEEEESD_jNS1_19radix_merge_compareILb0ELb1EjNS0_19identity_decomposerEEEEE10hipError_tT0_T1_T2_jT3_P12ihipStream_tbPNSt15iterator_traitsISI_E10value_typeEPNSO_ISJ_E10value_typeEPSK_NS1_7vsmem_tEENKUlT_SI_SJ_SK_E_clIPjSD_S10_SD_EESH_SX_SI_SJ_SK_EUlSX_E_NS1_11comp_targetILNS1_3genE3ELNS1_11target_archE908ELNS1_3gpuE7ELNS1_3repE0EEENS1_48merge_mergepath_partition_config_static_selectorELNS0_4arch9wavefront6targetE1EEEvSJ_.has_recursion, 0
	.set _ZN7rocprim17ROCPRIM_400000_NS6detail17trampoline_kernelINS0_14default_configENS1_38merge_sort_block_merge_config_selectorIjjEEZZNS1_27merge_sort_block_merge_implIS3_N6thrust23THRUST_200600_302600_NS6detail15normal_iteratorINS8_10device_ptrIjEEEESD_jNS1_19radix_merge_compareILb0ELb1EjNS0_19identity_decomposerEEEEE10hipError_tT0_T1_T2_jT3_P12ihipStream_tbPNSt15iterator_traitsISI_E10value_typeEPNSO_ISJ_E10value_typeEPSK_NS1_7vsmem_tEENKUlT_SI_SJ_SK_E_clIPjSD_S10_SD_EESH_SX_SI_SJ_SK_EUlSX_E_NS1_11comp_targetILNS1_3genE3ELNS1_11target_archE908ELNS1_3gpuE7ELNS1_3repE0EEENS1_48merge_mergepath_partition_config_static_selectorELNS0_4arch9wavefront6targetE1EEEvSJ_.has_indirect_call, 0
	.section	.AMDGPU.csdata,"",@progbits
; Kernel info:
; codeLenInByte = 0
; TotalNumSgprs: 6
; NumVgprs: 0
; NumAgprs: 0
; TotalNumVgprs: 0
; ScratchSize: 0
; MemoryBound: 0
; FloatMode: 240
; IeeeMode: 1
; LDSByteSize: 0 bytes/workgroup (compile time only)
; SGPRBlocks: 0
; VGPRBlocks: 0
; NumSGPRsForWavesPerEU: 6
; NumVGPRsForWavesPerEU: 1
; AccumOffset: 4
; Occupancy: 8
; WaveLimiterHint : 0
; COMPUTE_PGM_RSRC2:SCRATCH_EN: 0
; COMPUTE_PGM_RSRC2:USER_SGPR: 2
; COMPUTE_PGM_RSRC2:TRAP_HANDLER: 0
; COMPUTE_PGM_RSRC2:TGID_X_EN: 1
; COMPUTE_PGM_RSRC2:TGID_Y_EN: 0
; COMPUTE_PGM_RSRC2:TGID_Z_EN: 0
; COMPUTE_PGM_RSRC2:TIDIG_COMP_CNT: 0
; COMPUTE_PGM_RSRC3_GFX90A:ACCUM_OFFSET: 0
; COMPUTE_PGM_RSRC3_GFX90A:TG_SPLIT: 0
	.section	.text._ZN7rocprim17ROCPRIM_400000_NS6detail17trampoline_kernelINS0_14default_configENS1_38merge_sort_block_merge_config_selectorIjjEEZZNS1_27merge_sort_block_merge_implIS3_N6thrust23THRUST_200600_302600_NS6detail15normal_iteratorINS8_10device_ptrIjEEEESD_jNS1_19radix_merge_compareILb0ELb1EjNS0_19identity_decomposerEEEEE10hipError_tT0_T1_T2_jT3_P12ihipStream_tbPNSt15iterator_traitsISI_E10value_typeEPNSO_ISJ_E10value_typeEPSK_NS1_7vsmem_tEENKUlT_SI_SJ_SK_E_clIPjSD_S10_SD_EESH_SX_SI_SJ_SK_EUlSX_E_NS1_11comp_targetILNS1_3genE2ELNS1_11target_archE906ELNS1_3gpuE6ELNS1_3repE0EEENS1_48merge_mergepath_partition_config_static_selectorELNS0_4arch9wavefront6targetE1EEEvSJ_,"axG",@progbits,_ZN7rocprim17ROCPRIM_400000_NS6detail17trampoline_kernelINS0_14default_configENS1_38merge_sort_block_merge_config_selectorIjjEEZZNS1_27merge_sort_block_merge_implIS3_N6thrust23THRUST_200600_302600_NS6detail15normal_iteratorINS8_10device_ptrIjEEEESD_jNS1_19radix_merge_compareILb0ELb1EjNS0_19identity_decomposerEEEEE10hipError_tT0_T1_T2_jT3_P12ihipStream_tbPNSt15iterator_traitsISI_E10value_typeEPNSO_ISJ_E10value_typeEPSK_NS1_7vsmem_tEENKUlT_SI_SJ_SK_E_clIPjSD_S10_SD_EESH_SX_SI_SJ_SK_EUlSX_E_NS1_11comp_targetILNS1_3genE2ELNS1_11target_archE906ELNS1_3gpuE6ELNS1_3repE0EEENS1_48merge_mergepath_partition_config_static_selectorELNS0_4arch9wavefront6targetE1EEEvSJ_,comdat
	.protected	_ZN7rocprim17ROCPRIM_400000_NS6detail17trampoline_kernelINS0_14default_configENS1_38merge_sort_block_merge_config_selectorIjjEEZZNS1_27merge_sort_block_merge_implIS3_N6thrust23THRUST_200600_302600_NS6detail15normal_iteratorINS8_10device_ptrIjEEEESD_jNS1_19radix_merge_compareILb0ELb1EjNS0_19identity_decomposerEEEEE10hipError_tT0_T1_T2_jT3_P12ihipStream_tbPNSt15iterator_traitsISI_E10value_typeEPNSO_ISJ_E10value_typeEPSK_NS1_7vsmem_tEENKUlT_SI_SJ_SK_E_clIPjSD_S10_SD_EESH_SX_SI_SJ_SK_EUlSX_E_NS1_11comp_targetILNS1_3genE2ELNS1_11target_archE906ELNS1_3gpuE6ELNS1_3repE0EEENS1_48merge_mergepath_partition_config_static_selectorELNS0_4arch9wavefront6targetE1EEEvSJ_ ; -- Begin function _ZN7rocprim17ROCPRIM_400000_NS6detail17trampoline_kernelINS0_14default_configENS1_38merge_sort_block_merge_config_selectorIjjEEZZNS1_27merge_sort_block_merge_implIS3_N6thrust23THRUST_200600_302600_NS6detail15normal_iteratorINS8_10device_ptrIjEEEESD_jNS1_19radix_merge_compareILb0ELb1EjNS0_19identity_decomposerEEEEE10hipError_tT0_T1_T2_jT3_P12ihipStream_tbPNSt15iterator_traitsISI_E10value_typeEPNSO_ISJ_E10value_typeEPSK_NS1_7vsmem_tEENKUlT_SI_SJ_SK_E_clIPjSD_S10_SD_EESH_SX_SI_SJ_SK_EUlSX_E_NS1_11comp_targetILNS1_3genE2ELNS1_11target_archE906ELNS1_3gpuE6ELNS1_3repE0EEENS1_48merge_mergepath_partition_config_static_selectorELNS0_4arch9wavefront6targetE1EEEvSJ_
	.globl	_ZN7rocprim17ROCPRIM_400000_NS6detail17trampoline_kernelINS0_14default_configENS1_38merge_sort_block_merge_config_selectorIjjEEZZNS1_27merge_sort_block_merge_implIS3_N6thrust23THRUST_200600_302600_NS6detail15normal_iteratorINS8_10device_ptrIjEEEESD_jNS1_19radix_merge_compareILb0ELb1EjNS0_19identity_decomposerEEEEE10hipError_tT0_T1_T2_jT3_P12ihipStream_tbPNSt15iterator_traitsISI_E10value_typeEPNSO_ISJ_E10value_typeEPSK_NS1_7vsmem_tEENKUlT_SI_SJ_SK_E_clIPjSD_S10_SD_EESH_SX_SI_SJ_SK_EUlSX_E_NS1_11comp_targetILNS1_3genE2ELNS1_11target_archE906ELNS1_3gpuE6ELNS1_3repE0EEENS1_48merge_mergepath_partition_config_static_selectorELNS0_4arch9wavefront6targetE1EEEvSJ_
	.p2align	8
	.type	_ZN7rocprim17ROCPRIM_400000_NS6detail17trampoline_kernelINS0_14default_configENS1_38merge_sort_block_merge_config_selectorIjjEEZZNS1_27merge_sort_block_merge_implIS3_N6thrust23THRUST_200600_302600_NS6detail15normal_iteratorINS8_10device_ptrIjEEEESD_jNS1_19radix_merge_compareILb0ELb1EjNS0_19identity_decomposerEEEEE10hipError_tT0_T1_T2_jT3_P12ihipStream_tbPNSt15iterator_traitsISI_E10value_typeEPNSO_ISJ_E10value_typeEPSK_NS1_7vsmem_tEENKUlT_SI_SJ_SK_E_clIPjSD_S10_SD_EESH_SX_SI_SJ_SK_EUlSX_E_NS1_11comp_targetILNS1_3genE2ELNS1_11target_archE906ELNS1_3gpuE6ELNS1_3repE0EEENS1_48merge_mergepath_partition_config_static_selectorELNS0_4arch9wavefront6targetE1EEEvSJ_,@function
_ZN7rocprim17ROCPRIM_400000_NS6detail17trampoline_kernelINS0_14default_configENS1_38merge_sort_block_merge_config_selectorIjjEEZZNS1_27merge_sort_block_merge_implIS3_N6thrust23THRUST_200600_302600_NS6detail15normal_iteratorINS8_10device_ptrIjEEEESD_jNS1_19radix_merge_compareILb0ELb1EjNS0_19identity_decomposerEEEEE10hipError_tT0_T1_T2_jT3_P12ihipStream_tbPNSt15iterator_traitsISI_E10value_typeEPNSO_ISJ_E10value_typeEPSK_NS1_7vsmem_tEENKUlT_SI_SJ_SK_E_clIPjSD_S10_SD_EESH_SX_SI_SJ_SK_EUlSX_E_NS1_11comp_targetILNS1_3genE2ELNS1_11target_archE906ELNS1_3gpuE6ELNS1_3repE0EEENS1_48merge_mergepath_partition_config_static_selectorELNS0_4arch9wavefront6targetE1EEEvSJ_: ; @_ZN7rocprim17ROCPRIM_400000_NS6detail17trampoline_kernelINS0_14default_configENS1_38merge_sort_block_merge_config_selectorIjjEEZZNS1_27merge_sort_block_merge_implIS3_N6thrust23THRUST_200600_302600_NS6detail15normal_iteratorINS8_10device_ptrIjEEEESD_jNS1_19radix_merge_compareILb0ELb1EjNS0_19identity_decomposerEEEEE10hipError_tT0_T1_T2_jT3_P12ihipStream_tbPNSt15iterator_traitsISI_E10value_typeEPNSO_ISJ_E10value_typeEPSK_NS1_7vsmem_tEENKUlT_SI_SJ_SK_E_clIPjSD_S10_SD_EESH_SX_SI_SJ_SK_EUlSX_E_NS1_11comp_targetILNS1_3genE2ELNS1_11target_archE906ELNS1_3gpuE6ELNS1_3repE0EEENS1_48merge_mergepath_partition_config_static_selectorELNS0_4arch9wavefront6targetE1EEEvSJ_
; %bb.0:
	.section	.rodata,"a",@progbits
	.p2align	6, 0x0
	.amdhsa_kernel _ZN7rocprim17ROCPRIM_400000_NS6detail17trampoline_kernelINS0_14default_configENS1_38merge_sort_block_merge_config_selectorIjjEEZZNS1_27merge_sort_block_merge_implIS3_N6thrust23THRUST_200600_302600_NS6detail15normal_iteratorINS8_10device_ptrIjEEEESD_jNS1_19radix_merge_compareILb0ELb1EjNS0_19identity_decomposerEEEEE10hipError_tT0_T1_T2_jT3_P12ihipStream_tbPNSt15iterator_traitsISI_E10value_typeEPNSO_ISJ_E10value_typeEPSK_NS1_7vsmem_tEENKUlT_SI_SJ_SK_E_clIPjSD_S10_SD_EESH_SX_SI_SJ_SK_EUlSX_E_NS1_11comp_targetILNS1_3genE2ELNS1_11target_archE906ELNS1_3gpuE6ELNS1_3repE0EEENS1_48merge_mergepath_partition_config_static_selectorELNS0_4arch9wavefront6targetE1EEEvSJ_
		.amdhsa_group_segment_fixed_size 0
		.amdhsa_private_segment_fixed_size 0
		.amdhsa_kernarg_size 40
		.amdhsa_user_sgpr_count 2
		.amdhsa_user_sgpr_dispatch_ptr 0
		.amdhsa_user_sgpr_queue_ptr 0
		.amdhsa_user_sgpr_kernarg_segment_ptr 1
		.amdhsa_user_sgpr_dispatch_id 0
		.amdhsa_user_sgpr_kernarg_preload_length 0
		.amdhsa_user_sgpr_kernarg_preload_offset 0
		.amdhsa_user_sgpr_private_segment_size 0
		.amdhsa_uses_dynamic_stack 0
		.amdhsa_enable_private_segment 0
		.amdhsa_system_sgpr_workgroup_id_x 1
		.amdhsa_system_sgpr_workgroup_id_y 0
		.amdhsa_system_sgpr_workgroup_id_z 0
		.amdhsa_system_sgpr_workgroup_info 0
		.amdhsa_system_vgpr_workitem_id 0
		.amdhsa_next_free_vgpr 1
		.amdhsa_next_free_sgpr 0
		.amdhsa_accum_offset 4
		.amdhsa_reserve_vcc 0
		.amdhsa_float_round_mode_32 0
		.amdhsa_float_round_mode_16_64 0
		.amdhsa_float_denorm_mode_32 3
		.amdhsa_float_denorm_mode_16_64 3
		.amdhsa_dx10_clamp 1
		.amdhsa_ieee_mode 1
		.amdhsa_fp16_overflow 0
		.amdhsa_tg_split 0
		.amdhsa_exception_fp_ieee_invalid_op 0
		.amdhsa_exception_fp_denorm_src 0
		.amdhsa_exception_fp_ieee_div_zero 0
		.amdhsa_exception_fp_ieee_overflow 0
		.amdhsa_exception_fp_ieee_underflow 0
		.amdhsa_exception_fp_ieee_inexact 0
		.amdhsa_exception_int_div_zero 0
	.end_amdhsa_kernel
	.section	.text._ZN7rocprim17ROCPRIM_400000_NS6detail17trampoline_kernelINS0_14default_configENS1_38merge_sort_block_merge_config_selectorIjjEEZZNS1_27merge_sort_block_merge_implIS3_N6thrust23THRUST_200600_302600_NS6detail15normal_iteratorINS8_10device_ptrIjEEEESD_jNS1_19radix_merge_compareILb0ELb1EjNS0_19identity_decomposerEEEEE10hipError_tT0_T1_T2_jT3_P12ihipStream_tbPNSt15iterator_traitsISI_E10value_typeEPNSO_ISJ_E10value_typeEPSK_NS1_7vsmem_tEENKUlT_SI_SJ_SK_E_clIPjSD_S10_SD_EESH_SX_SI_SJ_SK_EUlSX_E_NS1_11comp_targetILNS1_3genE2ELNS1_11target_archE906ELNS1_3gpuE6ELNS1_3repE0EEENS1_48merge_mergepath_partition_config_static_selectorELNS0_4arch9wavefront6targetE1EEEvSJ_,"axG",@progbits,_ZN7rocprim17ROCPRIM_400000_NS6detail17trampoline_kernelINS0_14default_configENS1_38merge_sort_block_merge_config_selectorIjjEEZZNS1_27merge_sort_block_merge_implIS3_N6thrust23THRUST_200600_302600_NS6detail15normal_iteratorINS8_10device_ptrIjEEEESD_jNS1_19radix_merge_compareILb0ELb1EjNS0_19identity_decomposerEEEEE10hipError_tT0_T1_T2_jT3_P12ihipStream_tbPNSt15iterator_traitsISI_E10value_typeEPNSO_ISJ_E10value_typeEPSK_NS1_7vsmem_tEENKUlT_SI_SJ_SK_E_clIPjSD_S10_SD_EESH_SX_SI_SJ_SK_EUlSX_E_NS1_11comp_targetILNS1_3genE2ELNS1_11target_archE906ELNS1_3gpuE6ELNS1_3repE0EEENS1_48merge_mergepath_partition_config_static_selectorELNS0_4arch9wavefront6targetE1EEEvSJ_,comdat
.Lfunc_end681:
	.size	_ZN7rocprim17ROCPRIM_400000_NS6detail17trampoline_kernelINS0_14default_configENS1_38merge_sort_block_merge_config_selectorIjjEEZZNS1_27merge_sort_block_merge_implIS3_N6thrust23THRUST_200600_302600_NS6detail15normal_iteratorINS8_10device_ptrIjEEEESD_jNS1_19radix_merge_compareILb0ELb1EjNS0_19identity_decomposerEEEEE10hipError_tT0_T1_T2_jT3_P12ihipStream_tbPNSt15iterator_traitsISI_E10value_typeEPNSO_ISJ_E10value_typeEPSK_NS1_7vsmem_tEENKUlT_SI_SJ_SK_E_clIPjSD_S10_SD_EESH_SX_SI_SJ_SK_EUlSX_E_NS1_11comp_targetILNS1_3genE2ELNS1_11target_archE906ELNS1_3gpuE6ELNS1_3repE0EEENS1_48merge_mergepath_partition_config_static_selectorELNS0_4arch9wavefront6targetE1EEEvSJ_, .Lfunc_end681-_ZN7rocprim17ROCPRIM_400000_NS6detail17trampoline_kernelINS0_14default_configENS1_38merge_sort_block_merge_config_selectorIjjEEZZNS1_27merge_sort_block_merge_implIS3_N6thrust23THRUST_200600_302600_NS6detail15normal_iteratorINS8_10device_ptrIjEEEESD_jNS1_19radix_merge_compareILb0ELb1EjNS0_19identity_decomposerEEEEE10hipError_tT0_T1_T2_jT3_P12ihipStream_tbPNSt15iterator_traitsISI_E10value_typeEPNSO_ISJ_E10value_typeEPSK_NS1_7vsmem_tEENKUlT_SI_SJ_SK_E_clIPjSD_S10_SD_EESH_SX_SI_SJ_SK_EUlSX_E_NS1_11comp_targetILNS1_3genE2ELNS1_11target_archE906ELNS1_3gpuE6ELNS1_3repE0EEENS1_48merge_mergepath_partition_config_static_selectorELNS0_4arch9wavefront6targetE1EEEvSJ_
                                        ; -- End function
	.set _ZN7rocprim17ROCPRIM_400000_NS6detail17trampoline_kernelINS0_14default_configENS1_38merge_sort_block_merge_config_selectorIjjEEZZNS1_27merge_sort_block_merge_implIS3_N6thrust23THRUST_200600_302600_NS6detail15normal_iteratorINS8_10device_ptrIjEEEESD_jNS1_19radix_merge_compareILb0ELb1EjNS0_19identity_decomposerEEEEE10hipError_tT0_T1_T2_jT3_P12ihipStream_tbPNSt15iterator_traitsISI_E10value_typeEPNSO_ISJ_E10value_typeEPSK_NS1_7vsmem_tEENKUlT_SI_SJ_SK_E_clIPjSD_S10_SD_EESH_SX_SI_SJ_SK_EUlSX_E_NS1_11comp_targetILNS1_3genE2ELNS1_11target_archE906ELNS1_3gpuE6ELNS1_3repE0EEENS1_48merge_mergepath_partition_config_static_selectorELNS0_4arch9wavefront6targetE1EEEvSJ_.num_vgpr, 0
	.set _ZN7rocprim17ROCPRIM_400000_NS6detail17trampoline_kernelINS0_14default_configENS1_38merge_sort_block_merge_config_selectorIjjEEZZNS1_27merge_sort_block_merge_implIS3_N6thrust23THRUST_200600_302600_NS6detail15normal_iteratorINS8_10device_ptrIjEEEESD_jNS1_19radix_merge_compareILb0ELb1EjNS0_19identity_decomposerEEEEE10hipError_tT0_T1_T2_jT3_P12ihipStream_tbPNSt15iterator_traitsISI_E10value_typeEPNSO_ISJ_E10value_typeEPSK_NS1_7vsmem_tEENKUlT_SI_SJ_SK_E_clIPjSD_S10_SD_EESH_SX_SI_SJ_SK_EUlSX_E_NS1_11comp_targetILNS1_3genE2ELNS1_11target_archE906ELNS1_3gpuE6ELNS1_3repE0EEENS1_48merge_mergepath_partition_config_static_selectorELNS0_4arch9wavefront6targetE1EEEvSJ_.num_agpr, 0
	.set _ZN7rocprim17ROCPRIM_400000_NS6detail17trampoline_kernelINS0_14default_configENS1_38merge_sort_block_merge_config_selectorIjjEEZZNS1_27merge_sort_block_merge_implIS3_N6thrust23THRUST_200600_302600_NS6detail15normal_iteratorINS8_10device_ptrIjEEEESD_jNS1_19radix_merge_compareILb0ELb1EjNS0_19identity_decomposerEEEEE10hipError_tT0_T1_T2_jT3_P12ihipStream_tbPNSt15iterator_traitsISI_E10value_typeEPNSO_ISJ_E10value_typeEPSK_NS1_7vsmem_tEENKUlT_SI_SJ_SK_E_clIPjSD_S10_SD_EESH_SX_SI_SJ_SK_EUlSX_E_NS1_11comp_targetILNS1_3genE2ELNS1_11target_archE906ELNS1_3gpuE6ELNS1_3repE0EEENS1_48merge_mergepath_partition_config_static_selectorELNS0_4arch9wavefront6targetE1EEEvSJ_.numbered_sgpr, 0
	.set _ZN7rocprim17ROCPRIM_400000_NS6detail17trampoline_kernelINS0_14default_configENS1_38merge_sort_block_merge_config_selectorIjjEEZZNS1_27merge_sort_block_merge_implIS3_N6thrust23THRUST_200600_302600_NS6detail15normal_iteratorINS8_10device_ptrIjEEEESD_jNS1_19radix_merge_compareILb0ELb1EjNS0_19identity_decomposerEEEEE10hipError_tT0_T1_T2_jT3_P12ihipStream_tbPNSt15iterator_traitsISI_E10value_typeEPNSO_ISJ_E10value_typeEPSK_NS1_7vsmem_tEENKUlT_SI_SJ_SK_E_clIPjSD_S10_SD_EESH_SX_SI_SJ_SK_EUlSX_E_NS1_11comp_targetILNS1_3genE2ELNS1_11target_archE906ELNS1_3gpuE6ELNS1_3repE0EEENS1_48merge_mergepath_partition_config_static_selectorELNS0_4arch9wavefront6targetE1EEEvSJ_.num_named_barrier, 0
	.set _ZN7rocprim17ROCPRIM_400000_NS6detail17trampoline_kernelINS0_14default_configENS1_38merge_sort_block_merge_config_selectorIjjEEZZNS1_27merge_sort_block_merge_implIS3_N6thrust23THRUST_200600_302600_NS6detail15normal_iteratorINS8_10device_ptrIjEEEESD_jNS1_19radix_merge_compareILb0ELb1EjNS0_19identity_decomposerEEEEE10hipError_tT0_T1_T2_jT3_P12ihipStream_tbPNSt15iterator_traitsISI_E10value_typeEPNSO_ISJ_E10value_typeEPSK_NS1_7vsmem_tEENKUlT_SI_SJ_SK_E_clIPjSD_S10_SD_EESH_SX_SI_SJ_SK_EUlSX_E_NS1_11comp_targetILNS1_3genE2ELNS1_11target_archE906ELNS1_3gpuE6ELNS1_3repE0EEENS1_48merge_mergepath_partition_config_static_selectorELNS0_4arch9wavefront6targetE1EEEvSJ_.private_seg_size, 0
	.set _ZN7rocprim17ROCPRIM_400000_NS6detail17trampoline_kernelINS0_14default_configENS1_38merge_sort_block_merge_config_selectorIjjEEZZNS1_27merge_sort_block_merge_implIS3_N6thrust23THRUST_200600_302600_NS6detail15normal_iteratorINS8_10device_ptrIjEEEESD_jNS1_19radix_merge_compareILb0ELb1EjNS0_19identity_decomposerEEEEE10hipError_tT0_T1_T2_jT3_P12ihipStream_tbPNSt15iterator_traitsISI_E10value_typeEPNSO_ISJ_E10value_typeEPSK_NS1_7vsmem_tEENKUlT_SI_SJ_SK_E_clIPjSD_S10_SD_EESH_SX_SI_SJ_SK_EUlSX_E_NS1_11comp_targetILNS1_3genE2ELNS1_11target_archE906ELNS1_3gpuE6ELNS1_3repE0EEENS1_48merge_mergepath_partition_config_static_selectorELNS0_4arch9wavefront6targetE1EEEvSJ_.uses_vcc, 0
	.set _ZN7rocprim17ROCPRIM_400000_NS6detail17trampoline_kernelINS0_14default_configENS1_38merge_sort_block_merge_config_selectorIjjEEZZNS1_27merge_sort_block_merge_implIS3_N6thrust23THRUST_200600_302600_NS6detail15normal_iteratorINS8_10device_ptrIjEEEESD_jNS1_19radix_merge_compareILb0ELb1EjNS0_19identity_decomposerEEEEE10hipError_tT0_T1_T2_jT3_P12ihipStream_tbPNSt15iterator_traitsISI_E10value_typeEPNSO_ISJ_E10value_typeEPSK_NS1_7vsmem_tEENKUlT_SI_SJ_SK_E_clIPjSD_S10_SD_EESH_SX_SI_SJ_SK_EUlSX_E_NS1_11comp_targetILNS1_3genE2ELNS1_11target_archE906ELNS1_3gpuE6ELNS1_3repE0EEENS1_48merge_mergepath_partition_config_static_selectorELNS0_4arch9wavefront6targetE1EEEvSJ_.uses_flat_scratch, 0
	.set _ZN7rocprim17ROCPRIM_400000_NS6detail17trampoline_kernelINS0_14default_configENS1_38merge_sort_block_merge_config_selectorIjjEEZZNS1_27merge_sort_block_merge_implIS3_N6thrust23THRUST_200600_302600_NS6detail15normal_iteratorINS8_10device_ptrIjEEEESD_jNS1_19radix_merge_compareILb0ELb1EjNS0_19identity_decomposerEEEEE10hipError_tT0_T1_T2_jT3_P12ihipStream_tbPNSt15iterator_traitsISI_E10value_typeEPNSO_ISJ_E10value_typeEPSK_NS1_7vsmem_tEENKUlT_SI_SJ_SK_E_clIPjSD_S10_SD_EESH_SX_SI_SJ_SK_EUlSX_E_NS1_11comp_targetILNS1_3genE2ELNS1_11target_archE906ELNS1_3gpuE6ELNS1_3repE0EEENS1_48merge_mergepath_partition_config_static_selectorELNS0_4arch9wavefront6targetE1EEEvSJ_.has_dyn_sized_stack, 0
	.set _ZN7rocprim17ROCPRIM_400000_NS6detail17trampoline_kernelINS0_14default_configENS1_38merge_sort_block_merge_config_selectorIjjEEZZNS1_27merge_sort_block_merge_implIS3_N6thrust23THRUST_200600_302600_NS6detail15normal_iteratorINS8_10device_ptrIjEEEESD_jNS1_19radix_merge_compareILb0ELb1EjNS0_19identity_decomposerEEEEE10hipError_tT0_T1_T2_jT3_P12ihipStream_tbPNSt15iterator_traitsISI_E10value_typeEPNSO_ISJ_E10value_typeEPSK_NS1_7vsmem_tEENKUlT_SI_SJ_SK_E_clIPjSD_S10_SD_EESH_SX_SI_SJ_SK_EUlSX_E_NS1_11comp_targetILNS1_3genE2ELNS1_11target_archE906ELNS1_3gpuE6ELNS1_3repE0EEENS1_48merge_mergepath_partition_config_static_selectorELNS0_4arch9wavefront6targetE1EEEvSJ_.has_recursion, 0
	.set _ZN7rocprim17ROCPRIM_400000_NS6detail17trampoline_kernelINS0_14default_configENS1_38merge_sort_block_merge_config_selectorIjjEEZZNS1_27merge_sort_block_merge_implIS3_N6thrust23THRUST_200600_302600_NS6detail15normal_iteratorINS8_10device_ptrIjEEEESD_jNS1_19radix_merge_compareILb0ELb1EjNS0_19identity_decomposerEEEEE10hipError_tT0_T1_T2_jT3_P12ihipStream_tbPNSt15iterator_traitsISI_E10value_typeEPNSO_ISJ_E10value_typeEPSK_NS1_7vsmem_tEENKUlT_SI_SJ_SK_E_clIPjSD_S10_SD_EESH_SX_SI_SJ_SK_EUlSX_E_NS1_11comp_targetILNS1_3genE2ELNS1_11target_archE906ELNS1_3gpuE6ELNS1_3repE0EEENS1_48merge_mergepath_partition_config_static_selectorELNS0_4arch9wavefront6targetE1EEEvSJ_.has_indirect_call, 0
	.section	.AMDGPU.csdata,"",@progbits
; Kernel info:
; codeLenInByte = 0
; TotalNumSgprs: 6
; NumVgprs: 0
; NumAgprs: 0
; TotalNumVgprs: 0
; ScratchSize: 0
; MemoryBound: 0
; FloatMode: 240
; IeeeMode: 1
; LDSByteSize: 0 bytes/workgroup (compile time only)
; SGPRBlocks: 0
; VGPRBlocks: 0
; NumSGPRsForWavesPerEU: 6
; NumVGPRsForWavesPerEU: 1
; AccumOffset: 4
; Occupancy: 8
; WaveLimiterHint : 0
; COMPUTE_PGM_RSRC2:SCRATCH_EN: 0
; COMPUTE_PGM_RSRC2:USER_SGPR: 2
; COMPUTE_PGM_RSRC2:TRAP_HANDLER: 0
; COMPUTE_PGM_RSRC2:TGID_X_EN: 1
; COMPUTE_PGM_RSRC2:TGID_Y_EN: 0
; COMPUTE_PGM_RSRC2:TGID_Z_EN: 0
; COMPUTE_PGM_RSRC2:TIDIG_COMP_CNT: 0
; COMPUTE_PGM_RSRC3_GFX90A:ACCUM_OFFSET: 0
; COMPUTE_PGM_RSRC3_GFX90A:TG_SPLIT: 0
	.section	.text._ZN7rocprim17ROCPRIM_400000_NS6detail17trampoline_kernelINS0_14default_configENS1_38merge_sort_block_merge_config_selectorIjjEEZZNS1_27merge_sort_block_merge_implIS3_N6thrust23THRUST_200600_302600_NS6detail15normal_iteratorINS8_10device_ptrIjEEEESD_jNS1_19radix_merge_compareILb0ELb1EjNS0_19identity_decomposerEEEEE10hipError_tT0_T1_T2_jT3_P12ihipStream_tbPNSt15iterator_traitsISI_E10value_typeEPNSO_ISJ_E10value_typeEPSK_NS1_7vsmem_tEENKUlT_SI_SJ_SK_E_clIPjSD_S10_SD_EESH_SX_SI_SJ_SK_EUlSX_E_NS1_11comp_targetILNS1_3genE9ELNS1_11target_archE1100ELNS1_3gpuE3ELNS1_3repE0EEENS1_48merge_mergepath_partition_config_static_selectorELNS0_4arch9wavefront6targetE1EEEvSJ_,"axG",@progbits,_ZN7rocprim17ROCPRIM_400000_NS6detail17trampoline_kernelINS0_14default_configENS1_38merge_sort_block_merge_config_selectorIjjEEZZNS1_27merge_sort_block_merge_implIS3_N6thrust23THRUST_200600_302600_NS6detail15normal_iteratorINS8_10device_ptrIjEEEESD_jNS1_19radix_merge_compareILb0ELb1EjNS0_19identity_decomposerEEEEE10hipError_tT0_T1_T2_jT3_P12ihipStream_tbPNSt15iterator_traitsISI_E10value_typeEPNSO_ISJ_E10value_typeEPSK_NS1_7vsmem_tEENKUlT_SI_SJ_SK_E_clIPjSD_S10_SD_EESH_SX_SI_SJ_SK_EUlSX_E_NS1_11comp_targetILNS1_3genE9ELNS1_11target_archE1100ELNS1_3gpuE3ELNS1_3repE0EEENS1_48merge_mergepath_partition_config_static_selectorELNS0_4arch9wavefront6targetE1EEEvSJ_,comdat
	.protected	_ZN7rocprim17ROCPRIM_400000_NS6detail17trampoline_kernelINS0_14default_configENS1_38merge_sort_block_merge_config_selectorIjjEEZZNS1_27merge_sort_block_merge_implIS3_N6thrust23THRUST_200600_302600_NS6detail15normal_iteratorINS8_10device_ptrIjEEEESD_jNS1_19radix_merge_compareILb0ELb1EjNS0_19identity_decomposerEEEEE10hipError_tT0_T1_T2_jT3_P12ihipStream_tbPNSt15iterator_traitsISI_E10value_typeEPNSO_ISJ_E10value_typeEPSK_NS1_7vsmem_tEENKUlT_SI_SJ_SK_E_clIPjSD_S10_SD_EESH_SX_SI_SJ_SK_EUlSX_E_NS1_11comp_targetILNS1_3genE9ELNS1_11target_archE1100ELNS1_3gpuE3ELNS1_3repE0EEENS1_48merge_mergepath_partition_config_static_selectorELNS0_4arch9wavefront6targetE1EEEvSJ_ ; -- Begin function _ZN7rocprim17ROCPRIM_400000_NS6detail17trampoline_kernelINS0_14default_configENS1_38merge_sort_block_merge_config_selectorIjjEEZZNS1_27merge_sort_block_merge_implIS3_N6thrust23THRUST_200600_302600_NS6detail15normal_iteratorINS8_10device_ptrIjEEEESD_jNS1_19radix_merge_compareILb0ELb1EjNS0_19identity_decomposerEEEEE10hipError_tT0_T1_T2_jT3_P12ihipStream_tbPNSt15iterator_traitsISI_E10value_typeEPNSO_ISJ_E10value_typeEPSK_NS1_7vsmem_tEENKUlT_SI_SJ_SK_E_clIPjSD_S10_SD_EESH_SX_SI_SJ_SK_EUlSX_E_NS1_11comp_targetILNS1_3genE9ELNS1_11target_archE1100ELNS1_3gpuE3ELNS1_3repE0EEENS1_48merge_mergepath_partition_config_static_selectorELNS0_4arch9wavefront6targetE1EEEvSJ_
	.globl	_ZN7rocprim17ROCPRIM_400000_NS6detail17trampoline_kernelINS0_14default_configENS1_38merge_sort_block_merge_config_selectorIjjEEZZNS1_27merge_sort_block_merge_implIS3_N6thrust23THRUST_200600_302600_NS6detail15normal_iteratorINS8_10device_ptrIjEEEESD_jNS1_19radix_merge_compareILb0ELb1EjNS0_19identity_decomposerEEEEE10hipError_tT0_T1_T2_jT3_P12ihipStream_tbPNSt15iterator_traitsISI_E10value_typeEPNSO_ISJ_E10value_typeEPSK_NS1_7vsmem_tEENKUlT_SI_SJ_SK_E_clIPjSD_S10_SD_EESH_SX_SI_SJ_SK_EUlSX_E_NS1_11comp_targetILNS1_3genE9ELNS1_11target_archE1100ELNS1_3gpuE3ELNS1_3repE0EEENS1_48merge_mergepath_partition_config_static_selectorELNS0_4arch9wavefront6targetE1EEEvSJ_
	.p2align	8
	.type	_ZN7rocprim17ROCPRIM_400000_NS6detail17trampoline_kernelINS0_14default_configENS1_38merge_sort_block_merge_config_selectorIjjEEZZNS1_27merge_sort_block_merge_implIS3_N6thrust23THRUST_200600_302600_NS6detail15normal_iteratorINS8_10device_ptrIjEEEESD_jNS1_19radix_merge_compareILb0ELb1EjNS0_19identity_decomposerEEEEE10hipError_tT0_T1_T2_jT3_P12ihipStream_tbPNSt15iterator_traitsISI_E10value_typeEPNSO_ISJ_E10value_typeEPSK_NS1_7vsmem_tEENKUlT_SI_SJ_SK_E_clIPjSD_S10_SD_EESH_SX_SI_SJ_SK_EUlSX_E_NS1_11comp_targetILNS1_3genE9ELNS1_11target_archE1100ELNS1_3gpuE3ELNS1_3repE0EEENS1_48merge_mergepath_partition_config_static_selectorELNS0_4arch9wavefront6targetE1EEEvSJ_,@function
_ZN7rocprim17ROCPRIM_400000_NS6detail17trampoline_kernelINS0_14default_configENS1_38merge_sort_block_merge_config_selectorIjjEEZZNS1_27merge_sort_block_merge_implIS3_N6thrust23THRUST_200600_302600_NS6detail15normal_iteratorINS8_10device_ptrIjEEEESD_jNS1_19radix_merge_compareILb0ELb1EjNS0_19identity_decomposerEEEEE10hipError_tT0_T1_T2_jT3_P12ihipStream_tbPNSt15iterator_traitsISI_E10value_typeEPNSO_ISJ_E10value_typeEPSK_NS1_7vsmem_tEENKUlT_SI_SJ_SK_E_clIPjSD_S10_SD_EESH_SX_SI_SJ_SK_EUlSX_E_NS1_11comp_targetILNS1_3genE9ELNS1_11target_archE1100ELNS1_3gpuE3ELNS1_3repE0EEENS1_48merge_mergepath_partition_config_static_selectorELNS0_4arch9wavefront6targetE1EEEvSJ_: ; @_ZN7rocprim17ROCPRIM_400000_NS6detail17trampoline_kernelINS0_14default_configENS1_38merge_sort_block_merge_config_selectorIjjEEZZNS1_27merge_sort_block_merge_implIS3_N6thrust23THRUST_200600_302600_NS6detail15normal_iteratorINS8_10device_ptrIjEEEESD_jNS1_19radix_merge_compareILb0ELb1EjNS0_19identity_decomposerEEEEE10hipError_tT0_T1_T2_jT3_P12ihipStream_tbPNSt15iterator_traitsISI_E10value_typeEPNSO_ISJ_E10value_typeEPSK_NS1_7vsmem_tEENKUlT_SI_SJ_SK_E_clIPjSD_S10_SD_EESH_SX_SI_SJ_SK_EUlSX_E_NS1_11comp_targetILNS1_3genE9ELNS1_11target_archE1100ELNS1_3gpuE3ELNS1_3repE0EEENS1_48merge_mergepath_partition_config_static_selectorELNS0_4arch9wavefront6targetE1EEEvSJ_
; %bb.0:
	.section	.rodata,"a",@progbits
	.p2align	6, 0x0
	.amdhsa_kernel _ZN7rocprim17ROCPRIM_400000_NS6detail17trampoline_kernelINS0_14default_configENS1_38merge_sort_block_merge_config_selectorIjjEEZZNS1_27merge_sort_block_merge_implIS3_N6thrust23THRUST_200600_302600_NS6detail15normal_iteratorINS8_10device_ptrIjEEEESD_jNS1_19radix_merge_compareILb0ELb1EjNS0_19identity_decomposerEEEEE10hipError_tT0_T1_T2_jT3_P12ihipStream_tbPNSt15iterator_traitsISI_E10value_typeEPNSO_ISJ_E10value_typeEPSK_NS1_7vsmem_tEENKUlT_SI_SJ_SK_E_clIPjSD_S10_SD_EESH_SX_SI_SJ_SK_EUlSX_E_NS1_11comp_targetILNS1_3genE9ELNS1_11target_archE1100ELNS1_3gpuE3ELNS1_3repE0EEENS1_48merge_mergepath_partition_config_static_selectorELNS0_4arch9wavefront6targetE1EEEvSJ_
		.amdhsa_group_segment_fixed_size 0
		.amdhsa_private_segment_fixed_size 0
		.amdhsa_kernarg_size 40
		.amdhsa_user_sgpr_count 2
		.amdhsa_user_sgpr_dispatch_ptr 0
		.amdhsa_user_sgpr_queue_ptr 0
		.amdhsa_user_sgpr_kernarg_segment_ptr 1
		.amdhsa_user_sgpr_dispatch_id 0
		.amdhsa_user_sgpr_kernarg_preload_length 0
		.amdhsa_user_sgpr_kernarg_preload_offset 0
		.amdhsa_user_sgpr_private_segment_size 0
		.amdhsa_uses_dynamic_stack 0
		.amdhsa_enable_private_segment 0
		.amdhsa_system_sgpr_workgroup_id_x 1
		.amdhsa_system_sgpr_workgroup_id_y 0
		.amdhsa_system_sgpr_workgroup_id_z 0
		.amdhsa_system_sgpr_workgroup_info 0
		.amdhsa_system_vgpr_workitem_id 0
		.amdhsa_next_free_vgpr 1
		.amdhsa_next_free_sgpr 0
		.amdhsa_accum_offset 4
		.amdhsa_reserve_vcc 0
		.amdhsa_float_round_mode_32 0
		.amdhsa_float_round_mode_16_64 0
		.amdhsa_float_denorm_mode_32 3
		.amdhsa_float_denorm_mode_16_64 3
		.amdhsa_dx10_clamp 1
		.amdhsa_ieee_mode 1
		.amdhsa_fp16_overflow 0
		.amdhsa_tg_split 0
		.amdhsa_exception_fp_ieee_invalid_op 0
		.amdhsa_exception_fp_denorm_src 0
		.amdhsa_exception_fp_ieee_div_zero 0
		.amdhsa_exception_fp_ieee_overflow 0
		.amdhsa_exception_fp_ieee_underflow 0
		.amdhsa_exception_fp_ieee_inexact 0
		.amdhsa_exception_int_div_zero 0
	.end_amdhsa_kernel
	.section	.text._ZN7rocprim17ROCPRIM_400000_NS6detail17trampoline_kernelINS0_14default_configENS1_38merge_sort_block_merge_config_selectorIjjEEZZNS1_27merge_sort_block_merge_implIS3_N6thrust23THRUST_200600_302600_NS6detail15normal_iteratorINS8_10device_ptrIjEEEESD_jNS1_19radix_merge_compareILb0ELb1EjNS0_19identity_decomposerEEEEE10hipError_tT0_T1_T2_jT3_P12ihipStream_tbPNSt15iterator_traitsISI_E10value_typeEPNSO_ISJ_E10value_typeEPSK_NS1_7vsmem_tEENKUlT_SI_SJ_SK_E_clIPjSD_S10_SD_EESH_SX_SI_SJ_SK_EUlSX_E_NS1_11comp_targetILNS1_3genE9ELNS1_11target_archE1100ELNS1_3gpuE3ELNS1_3repE0EEENS1_48merge_mergepath_partition_config_static_selectorELNS0_4arch9wavefront6targetE1EEEvSJ_,"axG",@progbits,_ZN7rocprim17ROCPRIM_400000_NS6detail17trampoline_kernelINS0_14default_configENS1_38merge_sort_block_merge_config_selectorIjjEEZZNS1_27merge_sort_block_merge_implIS3_N6thrust23THRUST_200600_302600_NS6detail15normal_iteratorINS8_10device_ptrIjEEEESD_jNS1_19radix_merge_compareILb0ELb1EjNS0_19identity_decomposerEEEEE10hipError_tT0_T1_T2_jT3_P12ihipStream_tbPNSt15iterator_traitsISI_E10value_typeEPNSO_ISJ_E10value_typeEPSK_NS1_7vsmem_tEENKUlT_SI_SJ_SK_E_clIPjSD_S10_SD_EESH_SX_SI_SJ_SK_EUlSX_E_NS1_11comp_targetILNS1_3genE9ELNS1_11target_archE1100ELNS1_3gpuE3ELNS1_3repE0EEENS1_48merge_mergepath_partition_config_static_selectorELNS0_4arch9wavefront6targetE1EEEvSJ_,comdat
.Lfunc_end682:
	.size	_ZN7rocprim17ROCPRIM_400000_NS6detail17trampoline_kernelINS0_14default_configENS1_38merge_sort_block_merge_config_selectorIjjEEZZNS1_27merge_sort_block_merge_implIS3_N6thrust23THRUST_200600_302600_NS6detail15normal_iteratorINS8_10device_ptrIjEEEESD_jNS1_19radix_merge_compareILb0ELb1EjNS0_19identity_decomposerEEEEE10hipError_tT0_T1_T2_jT3_P12ihipStream_tbPNSt15iterator_traitsISI_E10value_typeEPNSO_ISJ_E10value_typeEPSK_NS1_7vsmem_tEENKUlT_SI_SJ_SK_E_clIPjSD_S10_SD_EESH_SX_SI_SJ_SK_EUlSX_E_NS1_11comp_targetILNS1_3genE9ELNS1_11target_archE1100ELNS1_3gpuE3ELNS1_3repE0EEENS1_48merge_mergepath_partition_config_static_selectorELNS0_4arch9wavefront6targetE1EEEvSJ_, .Lfunc_end682-_ZN7rocprim17ROCPRIM_400000_NS6detail17trampoline_kernelINS0_14default_configENS1_38merge_sort_block_merge_config_selectorIjjEEZZNS1_27merge_sort_block_merge_implIS3_N6thrust23THRUST_200600_302600_NS6detail15normal_iteratorINS8_10device_ptrIjEEEESD_jNS1_19radix_merge_compareILb0ELb1EjNS0_19identity_decomposerEEEEE10hipError_tT0_T1_T2_jT3_P12ihipStream_tbPNSt15iterator_traitsISI_E10value_typeEPNSO_ISJ_E10value_typeEPSK_NS1_7vsmem_tEENKUlT_SI_SJ_SK_E_clIPjSD_S10_SD_EESH_SX_SI_SJ_SK_EUlSX_E_NS1_11comp_targetILNS1_3genE9ELNS1_11target_archE1100ELNS1_3gpuE3ELNS1_3repE0EEENS1_48merge_mergepath_partition_config_static_selectorELNS0_4arch9wavefront6targetE1EEEvSJ_
                                        ; -- End function
	.set _ZN7rocprim17ROCPRIM_400000_NS6detail17trampoline_kernelINS0_14default_configENS1_38merge_sort_block_merge_config_selectorIjjEEZZNS1_27merge_sort_block_merge_implIS3_N6thrust23THRUST_200600_302600_NS6detail15normal_iteratorINS8_10device_ptrIjEEEESD_jNS1_19radix_merge_compareILb0ELb1EjNS0_19identity_decomposerEEEEE10hipError_tT0_T1_T2_jT3_P12ihipStream_tbPNSt15iterator_traitsISI_E10value_typeEPNSO_ISJ_E10value_typeEPSK_NS1_7vsmem_tEENKUlT_SI_SJ_SK_E_clIPjSD_S10_SD_EESH_SX_SI_SJ_SK_EUlSX_E_NS1_11comp_targetILNS1_3genE9ELNS1_11target_archE1100ELNS1_3gpuE3ELNS1_3repE0EEENS1_48merge_mergepath_partition_config_static_selectorELNS0_4arch9wavefront6targetE1EEEvSJ_.num_vgpr, 0
	.set _ZN7rocprim17ROCPRIM_400000_NS6detail17trampoline_kernelINS0_14default_configENS1_38merge_sort_block_merge_config_selectorIjjEEZZNS1_27merge_sort_block_merge_implIS3_N6thrust23THRUST_200600_302600_NS6detail15normal_iteratorINS8_10device_ptrIjEEEESD_jNS1_19radix_merge_compareILb0ELb1EjNS0_19identity_decomposerEEEEE10hipError_tT0_T1_T2_jT3_P12ihipStream_tbPNSt15iterator_traitsISI_E10value_typeEPNSO_ISJ_E10value_typeEPSK_NS1_7vsmem_tEENKUlT_SI_SJ_SK_E_clIPjSD_S10_SD_EESH_SX_SI_SJ_SK_EUlSX_E_NS1_11comp_targetILNS1_3genE9ELNS1_11target_archE1100ELNS1_3gpuE3ELNS1_3repE0EEENS1_48merge_mergepath_partition_config_static_selectorELNS0_4arch9wavefront6targetE1EEEvSJ_.num_agpr, 0
	.set _ZN7rocprim17ROCPRIM_400000_NS6detail17trampoline_kernelINS0_14default_configENS1_38merge_sort_block_merge_config_selectorIjjEEZZNS1_27merge_sort_block_merge_implIS3_N6thrust23THRUST_200600_302600_NS6detail15normal_iteratorINS8_10device_ptrIjEEEESD_jNS1_19radix_merge_compareILb0ELb1EjNS0_19identity_decomposerEEEEE10hipError_tT0_T1_T2_jT3_P12ihipStream_tbPNSt15iterator_traitsISI_E10value_typeEPNSO_ISJ_E10value_typeEPSK_NS1_7vsmem_tEENKUlT_SI_SJ_SK_E_clIPjSD_S10_SD_EESH_SX_SI_SJ_SK_EUlSX_E_NS1_11comp_targetILNS1_3genE9ELNS1_11target_archE1100ELNS1_3gpuE3ELNS1_3repE0EEENS1_48merge_mergepath_partition_config_static_selectorELNS0_4arch9wavefront6targetE1EEEvSJ_.numbered_sgpr, 0
	.set _ZN7rocprim17ROCPRIM_400000_NS6detail17trampoline_kernelINS0_14default_configENS1_38merge_sort_block_merge_config_selectorIjjEEZZNS1_27merge_sort_block_merge_implIS3_N6thrust23THRUST_200600_302600_NS6detail15normal_iteratorINS8_10device_ptrIjEEEESD_jNS1_19radix_merge_compareILb0ELb1EjNS0_19identity_decomposerEEEEE10hipError_tT0_T1_T2_jT3_P12ihipStream_tbPNSt15iterator_traitsISI_E10value_typeEPNSO_ISJ_E10value_typeEPSK_NS1_7vsmem_tEENKUlT_SI_SJ_SK_E_clIPjSD_S10_SD_EESH_SX_SI_SJ_SK_EUlSX_E_NS1_11comp_targetILNS1_3genE9ELNS1_11target_archE1100ELNS1_3gpuE3ELNS1_3repE0EEENS1_48merge_mergepath_partition_config_static_selectorELNS0_4arch9wavefront6targetE1EEEvSJ_.num_named_barrier, 0
	.set _ZN7rocprim17ROCPRIM_400000_NS6detail17trampoline_kernelINS0_14default_configENS1_38merge_sort_block_merge_config_selectorIjjEEZZNS1_27merge_sort_block_merge_implIS3_N6thrust23THRUST_200600_302600_NS6detail15normal_iteratorINS8_10device_ptrIjEEEESD_jNS1_19radix_merge_compareILb0ELb1EjNS0_19identity_decomposerEEEEE10hipError_tT0_T1_T2_jT3_P12ihipStream_tbPNSt15iterator_traitsISI_E10value_typeEPNSO_ISJ_E10value_typeEPSK_NS1_7vsmem_tEENKUlT_SI_SJ_SK_E_clIPjSD_S10_SD_EESH_SX_SI_SJ_SK_EUlSX_E_NS1_11comp_targetILNS1_3genE9ELNS1_11target_archE1100ELNS1_3gpuE3ELNS1_3repE0EEENS1_48merge_mergepath_partition_config_static_selectorELNS0_4arch9wavefront6targetE1EEEvSJ_.private_seg_size, 0
	.set _ZN7rocprim17ROCPRIM_400000_NS6detail17trampoline_kernelINS0_14default_configENS1_38merge_sort_block_merge_config_selectorIjjEEZZNS1_27merge_sort_block_merge_implIS3_N6thrust23THRUST_200600_302600_NS6detail15normal_iteratorINS8_10device_ptrIjEEEESD_jNS1_19radix_merge_compareILb0ELb1EjNS0_19identity_decomposerEEEEE10hipError_tT0_T1_T2_jT3_P12ihipStream_tbPNSt15iterator_traitsISI_E10value_typeEPNSO_ISJ_E10value_typeEPSK_NS1_7vsmem_tEENKUlT_SI_SJ_SK_E_clIPjSD_S10_SD_EESH_SX_SI_SJ_SK_EUlSX_E_NS1_11comp_targetILNS1_3genE9ELNS1_11target_archE1100ELNS1_3gpuE3ELNS1_3repE0EEENS1_48merge_mergepath_partition_config_static_selectorELNS0_4arch9wavefront6targetE1EEEvSJ_.uses_vcc, 0
	.set _ZN7rocprim17ROCPRIM_400000_NS6detail17trampoline_kernelINS0_14default_configENS1_38merge_sort_block_merge_config_selectorIjjEEZZNS1_27merge_sort_block_merge_implIS3_N6thrust23THRUST_200600_302600_NS6detail15normal_iteratorINS8_10device_ptrIjEEEESD_jNS1_19radix_merge_compareILb0ELb1EjNS0_19identity_decomposerEEEEE10hipError_tT0_T1_T2_jT3_P12ihipStream_tbPNSt15iterator_traitsISI_E10value_typeEPNSO_ISJ_E10value_typeEPSK_NS1_7vsmem_tEENKUlT_SI_SJ_SK_E_clIPjSD_S10_SD_EESH_SX_SI_SJ_SK_EUlSX_E_NS1_11comp_targetILNS1_3genE9ELNS1_11target_archE1100ELNS1_3gpuE3ELNS1_3repE0EEENS1_48merge_mergepath_partition_config_static_selectorELNS0_4arch9wavefront6targetE1EEEvSJ_.uses_flat_scratch, 0
	.set _ZN7rocprim17ROCPRIM_400000_NS6detail17trampoline_kernelINS0_14default_configENS1_38merge_sort_block_merge_config_selectorIjjEEZZNS1_27merge_sort_block_merge_implIS3_N6thrust23THRUST_200600_302600_NS6detail15normal_iteratorINS8_10device_ptrIjEEEESD_jNS1_19radix_merge_compareILb0ELb1EjNS0_19identity_decomposerEEEEE10hipError_tT0_T1_T2_jT3_P12ihipStream_tbPNSt15iterator_traitsISI_E10value_typeEPNSO_ISJ_E10value_typeEPSK_NS1_7vsmem_tEENKUlT_SI_SJ_SK_E_clIPjSD_S10_SD_EESH_SX_SI_SJ_SK_EUlSX_E_NS1_11comp_targetILNS1_3genE9ELNS1_11target_archE1100ELNS1_3gpuE3ELNS1_3repE0EEENS1_48merge_mergepath_partition_config_static_selectorELNS0_4arch9wavefront6targetE1EEEvSJ_.has_dyn_sized_stack, 0
	.set _ZN7rocprim17ROCPRIM_400000_NS6detail17trampoline_kernelINS0_14default_configENS1_38merge_sort_block_merge_config_selectorIjjEEZZNS1_27merge_sort_block_merge_implIS3_N6thrust23THRUST_200600_302600_NS6detail15normal_iteratorINS8_10device_ptrIjEEEESD_jNS1_19radix_merge_compareILb0ELb1EjNS0_19identity_decomposerEEEEE10hipError_tT0_T1_T2_jT3_P12ihipStream_tbPNSt15iterator_traitsISI_E10value_typeEPNSO_ISJ_E10value_typeEPSK_NS1_7vsmem_tEENKUlT_SI_SJ_SK_E_clIPjSD_S10_SD_EESH_SX_SI_SJ_SK_EUlSX_E_NS1_11comp_targetILNS1_3genE9ELNS1_11target_archE1100ELNS1_3gpuE3ELNS1_3repE0EEENS1_48merge_mergepath_partition_config_static_selectorELNS0_4arch9wavefront6targetE1EEEvSJ_.has_recursion, 0
	.set _ZN7rocprim17ROCPRIM_400000_NS6detail17trampoline_kernelINS0_14default_configENS1_38merge_sort_block_merge_config_selectorIjjEEZZNS1_27merge_sort_block_merge_implIS3_N6thrust23THRUST_200600_302600_NS6detail15normal_iteratorINS8_10device_ptrIjEEEESD_jNS1_19radix_merge_compareILb0ELb1EjNS0_19identity_decomposerEEEEE10hipError_tT0_T1_T2_jT3_P12ihipStream_tbPNSt15iterator_traitsISI_E10value_typeEPNSO_ISJ_E10value_typeEPSK_NS1_7vsmem_tEENKUlT_SI_SJ_SK_E_clIPjSD_S10_SD_EESH_SX_SI_SJ_SK_EUlSX_E_NS1_11comp_targetILNS1_3genE9ELNS1_11target_archE1100ELNS1_3gpuE3ELNS1_3repE0EEENS1_48merge_mergepath_partition_config_static_selectorELNS0_4arch9wavefront6targetE1EEEvSJ_.has_indirect_call, 0
	.section	.AMDGPU.csdata,"",@progbits
; Kernel info:
; codeLenInByte = 0
; TotalNumSgprs: 6
; NumVgprs: 0
; NumAgprs: 0
; TotalNumVgprs: 0
; ScratchSize: 0
; MemoryBound: 0
; FloatMode: 240
; IeeeMode: 1
; LDSByteSize: 0 bytes/workgroup (compile time only)
; SGPRBlocks: 0
; VGPRBlocks: 0
; NumSGPRsForWavesPerEU: 6
; NumVGPRsForWavesPerEU: 1
; AccumOffset: 4
; Occupancy: 8
; WaveLimiterHint : 0
; COMPUTE_PGM_RSRC2:SCRATCH_EN: 0
; COMPUTE_PGM_RSRC2:USER_SGPR: 2
; COMPUTE_PGM_RSRC2:TRAP_HANDLER: 0
; COMPUTE_PGM_RSRC2:TGID_X_EN: 1
; COMPUTE_PGM_RSRC2:TGID_Y_EN: 0
; COMPUTE_PGM_RSRC2:TGID_Z_EN: 0
; COMPUTE_PGM_RSRC2:TIDIG_COMP_CNT: 0
; COMPUTE_PGM_RSRC3_GFX90A:ACCUM_OFFSET: 0
; COMPUTE_PGM_RSRC3_GFX90A:TG_SPLIT: 0
	.section	.text._ZN7rocprim17ROCPRIM_400000_NS6detail17trampoline_kernelINS0_14default_configENS1_38merge_sort_block_merge_config_selectorIjjEEZZNS1_27merge_sort_block_merge_implIS3_N6thrust23THRUST_200600_302600_NS6detail15normal_iteratorINS8_10device_ptrIjEEEESD_jNS1_19radix_merge_compareILb0ELb1EjNS0_19identity_decomposerEEEEE10hipError_tT0_T1_T2_jT3_P12ihipStream_tbPNSt15iterator_traitsISI_E10value_typeEPNSO_ISJ_E10value_typeEPSK_NS1_7vsmem_tEENKUlT_SI_SJ_SK_E_clIPjSD_S10_SD_EESH_SX_SI_SJ_SK_EUlSX_E_NS1_11comp_targetILNS1_3genE8ELNS1_11target_archE1030ELNS1_3gpuE2ELNS1_3repE0EEENS1_48merge_mergepath_partition_config_static_selectorELNS0_4arch9wavefront6targetE1EEEvSJ_,"axG",@progbits,_ZN7rocprim17ROCPRIM_400000_NS6detail17trampoline_kernelINS0_14default_configENS1_38merge_sort_block_merge_config_selectorIjjEEZZNS1_27merge_sort_block_merge_implIS3_N6thrust23THRUST_200600_302600_NS6detail15normal_iteratorINS8_10device_ptrIjEEEESD_jNS1_19radix_merge_compareILb0ELb1EjNS0_19identity_decomposerEEEEE10hipError_tT0_T1_T2_jT3_P12ihipStream_tbPNSt15iterator_traitsISI_E10value_typeEPNSO_ISJ_E10value_typeEPSK_NS1_7vsmem_tEENKUlT_SI_SJ_SK_E_clIPjSD_S10_SD_EESH_SX_SI_SJ_SK_EUlSX_E_NS1_11comp_targetILNS1_3genE8ELNS1_11target_archE1030ELNS1_3gpuE2ELNS1_3repE0EEENS1_48merge_mergepath_partition_config_static_selectorELNS0_4arch9wavefront6targetE1EEEvSJ_,comdat
	.protected	_ZN7rocprim17ROCPRIM_400000_NS6detail17trampoline_kernelINS0_14default_configENS1_38merge_sort_block_merge_config_selectorIjjEEZZNS1_27merge_sort_block_merge_implIS3_N6thrust23THRUST_200600_302600_NS6detail15normal_iteratorINS8_10device_ptrIjEEEESD_jNS1_19radix_merge_compareILb0ELb1EjNS0_19identity_decomposerEEEEE10hipError_tT0_T1_T2_jT3_P12ihipStream_tbPNSt15iterator_traitsISI_E10value_typeEPNSO_ISJ_E10value_typeEPSK_NS1_7vsmem_tEENKUlT_SI_SJ_SK_E_clIPjSD_S10_SD_EESH_SX_SI_SJ_SK_EUlSX_E_NS1_11comp_targetILNS1_3genE8ELNS1_11target_archE1030ELNS1_3gpuE2ELNS1_3repE0EEENS1_48merge_mergepath_partition_config_static_selectorELNS0_4arch9wavefront6targetE1EEEvSJ_ ; -- Begin function _ZN7rocprim17ROCPRIM_400000_NS6detail17trampoline_kernelINS0_14default_configENS1_38merge_sort_block_merge_config_selectorIjjEEZZNS1_27merge_sort_block_merge_implIS3_N6thrust23THRUST_200600_302600_NS6detail15normal_iteratorINS8_10device_ptrIjEEEESD_jNS1_19radix_merge_compareILb0ELb1EjNS0_19identity_decomposerEEEEE10hipError_tT0_T1_T2_jT3_P12ihipStream_tbPNSt15iterator_traitsISI_E10value_typeEPNSO_ISJ_E10value_typeEPSK_NS1_7vsmem_tEENKUlT_SI_SJ_SK_E_clIPjSD_S10_SD_EESH_SX_SI_SJ_SK_EUlSX_E_NS1_11comp_targetILNS1_3genE8ELNS1_11target_archE1030ELNS1_3gpuE2ELNS1_3repE0EEENS1_48merge_mergepath_partition_config_static_selectorELNS0_4arch9wavefront6targetE1EEEvSJ_
	.globl	_ZN7rocprim17ROCPRIM_400000_NS6detail17trampoline_kernelINS0_14default_configENS1_38merge_sort_block_merge_config_selectorIjjEEZZNS1_27merge_sort_block_merge_implIS3_N6thrust23THRUST_200600_302600_NS6detail15normal_iteratorINS8_10device_ptrIjEEEESD_jNS1_19radix_merge_compareILb0ELb1EjNS0_19identity_decomposerEEEEE10hipError_tT0_T1_T2_jT3_P12ihipStream_tbPNSt15iterator_traitsISI_E10value_typeEPNSO_ISJ_E10value_typeEPSK_NS1_7vsmem_tEENKUlT_SI_SJ_SK_E_clIPjSD_S10_SD_EESH_SX_SI_SJ_SK_EUlSX_E_NS1_11comp_targetILNS1_3genE8ELNS1_11target_archE1030ELNS1_3gpuE2ELNS1_3repE0EEENS1_48merge_mergepath_partition_config_static_selectorELNS0_4arch9wavefront6targetE1EEEvSJ_
	.p2align	8
	.type	_ZN7rocprim17ROCPRIM_400000_NS6detail17trampoline_kernelINS0_14default_configENS1_38merge_sort_block_merge_config_selectorIjjEEZZNS1_27merge_sort_block_merge_implIS3_N6thrust23THRUST_200600_302600_NS6detail15normal_iteratorINS8_10device_ptrIjEEEESD_jNS1_19radix_merge_compareILb0ELb1EjNS0_19identity_decomposerEEEEE10hipError_tT0_T1_T2_jT3_P12ihipStream_tbPNSt15iterator_traitsISI_E10value_typeEPNSO_ISJ_E10value_typeEPSK_NS1_7vsmem_tEENKUlT_SI_SJ_SK_E_clIPjSD_S10_SD_EESH_SX_SI_SJ_SK_EUlSX_E_NS1_11comp_targetILNS1_3genE8ELNS1_11target_archE1030ELNS1_3gpuE2ELNS1_3repE0EEENS1_48merge_mergepath_partition_config_static_selectorELNS0_4arch9wavefront6targetE1EEEvSJ_,@function
_ZN7rocprim17ROCPRIM_400000_NS6detail17trampoline_kernelINS0_14default_configENS1_38merge_sort_block_merge_config_selectorIjjEEZZNS1_27merge_sort_block_merge_implIS3_N6thrust23THRUST_200600_302600_NS6detail15normal_iteratorINS8_10device_ptrIjEEEESD_jNS1_19radix_merge_compareILb0ELb1EjNS0_19identity_decomposerEEEEE10hipError_tT0_T1_T2_jT3_P12ihipStream_tbPNSt15iterator_traitsISI_E10value_typeEPNSO_ISJ_E10value_typeEPSK_NS1_7vsmem_tEENKUlT_SI_SJ_SK_E_clIPjSD_S10_SD_EESH_SX_SI_SJ_SK_EUlSX_E_NS1_11comp_targetILNS1_3genE8ELNS1_11target_archE1030ELNS1_3gpuE2ELNS1_3repE0EEENS1_48merge_mergepath_partition_config_static_selectorELNS0_4arch9wavefront6targetE1EEEvSJ_: ; @_ZN7rocprim17ROCPRIM_400000_NS6detail17trampoline_kernelINS0_14default_configENS1_38merge_sort_block_merge_config_selectorIjjEEZZNS1_27merge_sort_block_merge_implIS3_N6thrust23THRUST_200600_302600_NS6detail15normal_iteratorINS8_10device_ptrIjEEEESD_jNS1_19radix_merge_compareILb0ELb1EjNS0_19identity_decomposerEEEEE10hipError_tT0_T1_T2_jT3_P12ihipStream_tbPNSt15iterator_traitsISI_E10value_typeEPNSO_ISJ_E10value_typeEPSK_NS1_7vsmem_tEENKUlT_SI_SJ_SK_E_clIPjSD_S10_SD_EESH_SX_SI_SJ_SK_EUlSX_E_NS1_11comp_targetILNS1_3genE8ELNS1_11target_archE1030ELNS1_3gpuE2ELNS1_3repE0EEENS1_48merge_mergepath_partition_config_static_selectorELNS0_4arch9wavefront6targetE1EEEvSJ_
; %bb.0:
	.section	.rodata,"a",@progbits
	.p2align	6, 0x0
	.amdhsa_kernel _ZN7rocprim17ROCPRIM_400000_NS6detail17trampoline_kernelINS0_14default_configENS1_38merge_sort_block_merge_config_selectorIjjEEZZNS1_27merge_sort_block_merge_implIS3_N6thrust23THRUST_200600_302600_NS6detail15normal_iteratorINS8_10device_ptrIjEEEESD_jNS1_19radix_merge_compareILb0ELb1EjNS0_19identity_decomposerEEEEE10hipError_tT0_T1_T2_jT3_P12ihipStream_tbPNSt15iterator_traitsISI_E10value_typeEPNSO_ISJ_E10value_typeEPSK_NS1_7vsmem_tEENKUlT_SI_SJ_SK_E_clIPjSD_S10_SD_EESH_SX_SI_SJ_SK_EUlSX_E_NS1_11comp_targetILNS1_3genE8ELNS1_11target_archE1030ELNS1_3gpuE2ELNS1_3repE0EEENS1_48merge_mergepath_partition_config_static_selectorELNS0_4arch9wavefront6targetE1EEEvSJ_
		.amdhsa_group_segment_fixed_size 0
		.amdhsa_private_segment_fixed_size 0
		.amdhsa_kernarg_size 40
		.amdhsa_user_sgpr_count 2
		.amdhsa_user_sgpr_dispatch_ptr 0
		.amdhsa_user_sgpr_queue_ptr 0
		.amdhsa_user_sgpr_kernarg_segment_ptr 1
		.amdhsa_user_sgpr_dispatch_id 0
		.amdhsa_user_sgpr_kernarg_preload_length 0
		.amdhsa_user_sgpr_kernarg_preload_offset 0
		.amdhsa_user_sgpr_private_segment_size 0
		.amdhsa_uses_dynamic_stack 0
		.amdhsa_enable_private_segment 0
		.amdhsa_system_sgpr_workgroup_id_x 1
		.amdhsa_system_sgpr_workgroup_id_y 0
		.amdhsa_system_sgpr_workgroup_id_z 0
		.amdhsa_system_sgpr_workgroup_info 0
		.amdhsa_system_vgpr_workitem_id 0
		.amdhsa_next_free_vgpr 1
		.amdhsa_next_free_sgpr 0
		.amdhsa_accum_offset 4
		.amdhsa_reserve_vcc 0
		.amdhsa_float_round_mode_32 0
		.amdhsa_float_round_mode_16_64 0
		.amdhsa_float_denorm_mode_32 3
		.amdhsa_float_denorm_mode_16_64 3
		.amdhsa_dx10_clamp 1
		.amdhsa_ieee_mode 1
		.amdhsa_fp16_overflow 0
		.amdhsa_tg_split 0
		.amdhsa_exception_fp_ieee_invalid_op 0
		.amdhsa_exception_fp_denorm_src 0
		.amdhsa_exception_fp_ieee_div_zero 0
		.amdhsa_exception_fp_ieee_overflow 0
		.amdhsa_exception_fp_ieee_underflow 0
		.amdhsa_exception_fp_ieee_inexact 0
		.amdhsa_exception_int_div_zero 0
	.end_amdhsa_kernel
	.section	.text._ZN7rocprim17ROCPRIM_400000_NS6detail17trampoline_kernelINS0_14default_configENS1_38merge_sort_block_merge_config_selectorIjjEEZZNS1_27merge_sort_block_merge_implIS3_N6thrust23THRUST_200600_302600_NS6detail15normal_iteratorINS8_10device_ptrIjEEEESD_jNS1_19radix_merge_compareILb0ELb1EjNS0_19identity_decomposerEEEEE10hipError_tT0_T1_T2_jT3_P12ihipStream_tbPNSt15iterator_traitsISI_E10value_typeEPNSO_ISJ_E10value_typeEPSK_NS1_7vsmem_tEENKUlT_SI_SJ_SK_E_clIPjSD_S10_SD_EESH_SX_SI_SJ_SK_EUlSX_E_NS1_11comp_targetILNS1_3genE8ELNS1_11target_archE1030ELNS1_3gpuE2ELNS1_3repE0EEENS1_48merge_mergepath_partition_config_static_selectorELNS0_4arch9wavefront6targetE1EEEvSJ_,"axG",@progbits,_ZN7rocprim17ROCPRIM_400000_NS6detail17trampoline_kernelINS0_14default_configENS1_38merge_sort_block_merge_config_selectorIjjEEZZNS1_27merge_sort_block_merge_implIS3_N6thrust23THRUST_200600_302600_NS6detail15normal_iteratorINS8_10device_ptrIjEEEESD_jNS1_19radix_merge_compareILb0ELb1EjNS0_19identity_decomposerEEEEE10hipError_tT0_T1_T2_jT3_P12ihipStream_tbPNSt15iterator_traitsISI_E10value_typeEPNSO_ISJ_E10value_typeEPSK_NS1_7vsmem_tEENKUlT_SI_SJ_SK_E_clIPjSD_S10_SD_EESH_SX_SI_SJ_SK_EUlSX_E_NS1_11comp_targetILNS1_3genE8ELNS1_11target_archE1030ELNS1_3gpuE2ELNS1_3repE0EEENS1_48merge_mergepath_partition_config_static_selectorELNS0_4arch9wavefront6targetE1EEEvSJ_,comdat
.Lfunc_end683:
	.size	_ZN7rocprim17ROCPRIM_400000_NS6detail17trampoline_kernelINS0_14default_configENS1_38merge_sort_block_merge_config_selectorIjjEEZZNS1_27merge_sort_block_merge_implIS3_N6thrust23THRUST_200600_302600_NS6detail15normal_iteratorINS8_10device_ptrIjEEEESD_jNS1_19radix_merge_compareILb0ELb1EjNS0_19identity_decomposerEEEEE10hipError_tT0_T1_T2_jT3_P12ihipStream_tbPNSt15iterator_traitsISI_E10value_typeEPNSO_ISJ_E10value_typeEPSK_NS1_7vsmem_tEENKUlT_SI_SJ_SK_E_clIPjSD_S10_SD_EESH_SX_SI_SJ_SK_EUlSX_E_NS1_11comp_targetILNS1_3genE8ELNS1_11target_archE1030ELNS1_3gpuE2ELNS1_3repE0EEENS1_48merge_mergepath_partition_config_static_selectorELNS0_4arch9wavefront6targetE1EEEvSJ_, .Lfunc_end683-_ZN7rocprim17ROCPRIM_400000_NS6detail17trampoline_kernelINS0_14default_configENS1_38merge_sort_block_merge_config_selectorIjjEEZZNS1_27merge_sort_block_merge_implIS3_N6thrust23THRUST_200600_302600_NS6detail15normal_iteratorINS8_10device_ptrIjEEEESD_jNS1_19radix_merge_compareILb0ELb1EjNS0_19identity_decomposerEEEEE10hipError_tT0_T1_T2_jT3_P12ihipStream_tbPNSt15iterator_traitsISI_E10value_typeEPNSO_ISJ_E10value_typeEPSK_NS1_7vsmem_tEENKUlT_SI_SJ_SK_E_clIPjSD_S10_SD_EESH_SX_SI_SJ_SK_EUlSX_E_NS1_11comp_targetILNS1_3genE8ELNS1_11target_archE1030ELNS1_3gpuE2ELNS1_3repE0EEENS1_48merge_mergepath_partition_config_static_selectorELNS0_4arch9wavefront6targetE1EEEvSJ_
                                        ; -- End function
	.set _ZN7rocprim17ROCPRIM_400000_NS6detail17trampoline_kernelINS0_14default_configENS1_38merge_sort_block_merge_config_selectorIjjEEZZNS1_27merge_sort_block_merge_implIS3_N6thrust23THRUST_200600_302600_NS6detail15normal_iteratorINS8_10device_ptrIjEEEESD_jNS1_19radix_merge_compareILb0ELb1EjNS0_19identity_decomposerEEEEE10hipError_tT0_T1_T2_jT3_P12ihipStream_tbPNSt15iterator_traitsISI_E10value_typeEPNSO_ISJ_E10value_typeEPSK_NS1_7vsmem_tEENKUlT_SI_SJ_SK_E_clIPjSD_S10_SD_EESH_SX_SI_SJ_SK_EUlSX_E_NS1_11comp_targetILNS1_3genE8ELNS1_11target_archE1030ELNS1_3gpuE2ELNS1_3repE0EEENS1_48merge_mergepath_partition_config_static_selectorELNS0_4arch9wavefront6targetE1EEEvSJ_.num_vgpr, 0
	.set _ZN7rocprim17ROCPRIM_400000_NS6detail17trampoline_kernelINS0_14default_configENS1_38merge_sort_block_merge_config_selectorIjjEEZZNS1_27merge_sort_block_merge_implIS3_N6thrust23THRUST_200600_302600_NS6detail15normal_iteratorINS8_10device_ptrIjEEEESD_jNS1_19radix_merge_compareILb0ELb1EjNS0_19identity_decomposerEEEEE10hipError_tT0_T1_T2_jT3_P12ihipStream_tbPNSt15iterator_traitsISI_E10value_typeEPNSO_ISJ_E10value_typeEPSK_NS1_7vsmem_tEENKUlT_SI_SJ_SK_E_clIPjSD_S10_SD_EESH_SX_SI_SJ_SK_EUlSX_E_NS1_11comp_targetILNS1_3genE8ELNS1_11target_archE1030ELNS1_3gpuE2ELNS1_3repE0EEENS1_48merge_mergepath_partition_config_static_selectorELNS0_4arch9wavefront6targetE1EEEvSJ_.num_agpr, 0
	.set _ZN7rocprim17ROCPRIM_400000_NS6detail17trampoline_kernelINS0_14default_configENS1_38merge_sort_block_merge_config_selectorIjjEEZZNS1_27merge_sort_block_merge_implIS3_N6thrust23THRUST_200600_302600_NS6detail15normal_iteratorINS8_10device_ptrIjEEEESD_jNS1_19radix_merge_compareILb0ELb1EjNS0_19identity_decomposerEEEEE10hipError_tT0_T1_T2_jT3_P12ihipStream_tbPNSt15iterator_traitsISI_E10value_typeEPNSO_ISJ_E10value_typeEPSK_NS1_7vsmem_tEENKUlT_SI_SJ_SK_E_clIPjSD_S10_SD_EESH_SX_SI_SJ_SK_EUlSX_E_NS1_11comp_targetILNS1_3genE8ELNS1_11target_archE1030ELNS1_3gpuE2ELNS1_3repE0EEENS1_48merge_mergepath_partition_config_static_selectorELNS0_4arch9wavefront6targetE1EEEvSJ_.numbered_sgpr, 0
	.set _ZN7rocprim17ROCPRIM_400000_NS6detail17trampoline_kernelINS0_14default_configENS1_38merge_sort_block_merge_config_selectorIjjEEZZNS1_27merge_sort_block_merge_implIS3_N6thrust23THRUST_200600_302600_NS6detail15normal_iteratorINS8_10device_ptrIjEEEESD_jNS1_19radix_merge_compareILb0ELb1EjNS0_19identity_decomposerEEEEE10hipError_tT0_T1_T2_jT3_P12ihipStream_tbPNSt15iterator_traitsISI_E10value_typeEPNSO_ISJ_E10value_typeEPSK_NS1_7vsmem_tEENKUlT_SI_SJ_SK_E_clIPjSD_S10_SD_EESH_SX_SI_SJ_SK_EUlSX_E_NS1_11comp_targetILNS1_3genE8ELNS1_11target_archE1030ELNS1_3gpuE2ELNS1_3repE0EEENS1_48merge_mergepath_partition_config_static_selectorELNS0_4arch9wavefront6targetE1EEEvSJ_.num_named_barrier, 0
	.set _ZN7rocprim17ROCPRIM_400000_NS6detail17trampoline_kernelINS0_14default_configENS1_38merge_sort_block_merge_config_selectorIjjEEZZNS1_27merge_sort_block_merge_implIS3_N6thrust23THRUST_200600_302600_NS6detail15normal_iteratorINS8_10device_ptrIjEEEESD_jNS1_19radix_merge_compareILb0ELb1EjNS0_19identity_decomposerEEEEE10hipError_tT0_T1_T2_jT3_P12ihipStream_tbPNSt15iterator_traitsISI_E10value_typeEPNSO_ISJ_E10value_typeEPSK_NS1_7vsmem_tEENKUlT_SI_SJ_SK_E_clIPjSD_S10_SD_EESH_SX_SI_SJ_SK_EUlSX_E_NS1_11comp_targetILNS1_3genE8ELNS1_11target_archE1030ELNS1_3gpuE2ELNS1_3repE0EEENS1_48merge_mergepath_partition_config_static_selectorELNS0_4arch9wavefront6targetE1EEEvSJ_.private_seg_size, 0
	.set _ZN7rocprim17ROCPRIM_400000_NS6detail17trampoline_kernelINS0_14default_configENS1_38merge_sort_block_merge_config_selectorIjjEEZZNS1_27merge_sort_block_merge_implIS3_N6thrust23THRUST_200600_302600_NS6detail15normal_iteratorINS8_10device_ptrIjEEEESD_jNS1_19radix_merge_compareILb0ELb1EjNS0_19identity_decomposerEEEEE10hipError_tT0_T1_T2_jT3_P12ihipStream_tbPNSt15iterator_traitsISI_E10value_typeEPNSO_ISJ_E10value_typeEPSK_NS1_7vsmem_tEENKUlT_SI_SJ_SK_E_clIPjSD_S10_SD_EESH_SX_SI_SJ_SK_EUlSX_E_NS1_11comp_targetILNS1_3genE8ELNS1_11target_archE1030ELNS1_3gpuE2ELNS1_3repE0EEENS1_48merge_mergepath_partition_config_static_selectorELNS0_4arch9wavefront6targetE1EEEvSJ_.uses_vcc, 0
	.set _ZN7rocprim17ROCPRIM_400000_NS6detail17trampoline_kernelINS0_14default_configENS1_38merge_sort_block_merge_config_selectorIjjEEZZNS1_27merge_sort_block_merge_implIS3_N6thrust23THRUST_200600_302600_NS6detail15normal_iteratorINS8_10device_ptrIjEEEESD_jNS1_19radix_merge_compareILb0ELb1EjNS0_19identity_decomposerEEEEE10hipError_tT0_T1_T2_jT3_P12ihipStream_tbPNSt15iterator_traitsISI_E10value_typeEPNSO_ISJ_E10value_typeEPSK_NS1_7vsmem_tEENKUlT_SI_SJ_SK_E_clIPjSD_S10_SD_EESH_SX_SI_SJ_SK_EUlSX_E_NS1_11comp_targetILNS1_3genE8ELNS1_11target_archE1030ELNS1_3gpuE2ELNS1_3repE0EEENS1_48merge_mergepath_partition_config_static_selectorELNS0_4arch9wavefront6targetE1EEEvSJ_.uses_flat_scratch, 0
	.set _ZN7rocprim17ROCPRIM_400000_NS6detail17trampoline_kernelINS0_14default_configENS1_38merge_sort_block_merge_config_selectorIjjEEZZNS1_27merge_sort_block_merge_implIS3_N6thrust23THRUST_200600_302600_NS6detail15normal_iteratorINS8_10device_ptrIjEEEESD_jNS1_19radix_merge_compareILb0ELb1EjNS0_19identity_decomposerEEEEE10hipError_tT0_T1_T2_jT3_P12ihipStream_tbPNSt15iterator_traitsISI_E10value_typeEPNSO_ISJ_E10value_typeEPSK_NS1_7vsmem_tEENKUlT_SI_SJ_SK_E_clIPjSD_S10_SD_EESH_SX_SI_SJ_SK_EUlSX_E_NS1_11comp_targetILNS1_3genE8ELNS1_11target_archE1030ELNS1_3gpuE2ELNS1_3repE0EEENS1_48merge_mergepath_partition_config_static_selectorELNS0_4arch9wavefront6targetE1EEEvSJ_.has_dyn_sized_stack, 0
	.set _ZN7rocprim17ROCPRIM_400000_NS6detail17trampoline_kernelINS0_14default_configENS1_38merge_sort_block_merge_config_selectorIjjEEZZNS1_27merge_sort_block_merge_implIS3_N6thrust23THRUST_200600_302600_NS6detail15normal_iteratorINS8_10device_ptrIjEEEESD_jNS1_19radix_merge_compareILb0ELb1EjNS0_19identity_decomposerEEEEE10hipError_tT0_T1_T2_jT3_P12ihipStream_tbPNSt15iterator_traitsISI_E10value_typeEPNSO_ISJ_E10value_typeEPSK_NS1_7vsmem_tEENKUlT_SI_SJ_SK_E_clIPjSD_S10_SD_EESH_SX_SI_SJ_SK_EUlSX_E_NS1_11comp_targetILNS1_3genE8ELNS1_11target_archE1030ELNS1_3gpuE2ELNS1_3repE0EEENS1_48merge_mergepath_partition_config_static_selectorELNS0_4arch9wavefront6targetE1EEEvSJ_.has_recursion, 0
	.set _ZN7rocprim17ROCPRIM_400000_NS6detail17trampoline_kernelINS0_14default_configENS1_38merge_sort_block_merge_config_selectorIjjEEZZNS1_27merge_sort_block_merge_implIS3_N6thrust23THRUST_200600_302600_NS6detail15normal_iteratorINS8_10device_ptrIjEEEESD_jNS1_19radix_merge_compareILb0ELb1EjNS0_19identity_decomposerEEEEE10hipError_tT0_T1_T2_jT3_P12ihipStream_tbPNSt15iterator_traitsISI_E10value_typeEPNSO_ISJ_E10value_typeEPSK_NS1_7vsmem_tEENKUlT_SI_SJ_SK_E_clIPjSD_S10_SD_EESH_SX_SI_SJ_SK_EUlSX_E_NS1_11comp_targetILNS1_3genE8ELNS1_11target_archE1030ELNS1_3gpuE2ELNS1_3repE0EEENS1_48merge_mergepath_partition_config_static_selectorELNS0_4arch9wavefront6targetE1EEEvSJ_.has_indirect_call, 0
	.section	.AMDGPU.csdata,"",@progbits
; Kernel info:
; codeLenInByte = 0
; TotalNumSgprs: 6
; NumVgprs: 0
; NumAgprs: 0
; TotalNumVgprs: 0
; ScratchSize: 0
; MemoryBound: 0
; FloatMode: 240
; IeeeMode: 1
; LDSByteSize: 0 bytes/workgroup (compile time only)
; SGPRBlocks: 0
; VGPRBlocks: 0
; NumSGPRsForWavesPerEU: 6
; NumVGPRsForWavesPerEU: 1
; AccumOffset: 4
; Occupancy: 8
; WaveLimiterHint : 0
; COMPUTE_PGM_RSRC2:SCRATCH_EN: 0
; COMPUTE_PGM_RSRC2:USER_SGPR: 2
; COMPUTE_PGM_RSRC2:TRAP_HANDLER: 0
; COMPUTE_PGM_RSRC2:TGID_X_EN: 1
; COMPUTE_PGM_RSRC2:TGID_Y_EN: 0
; COMPUTE_PGM_RSRC2:TGID_Z_EN: 0
; COMPUTE_PGM_RSRC2:TIDIG_COMP_CNT: 0
; COMPUTE_PGM_RSRC3_GFX90A:ACCUM_OFFSET: 0
; COMPUTE_PGM_RSRC3_GFX90A:TG_SPLIT: 0
	.section	.text._ZN7rocprim17ROCPRIM_400000_NS6detail17trampoline_kernelINS0_14default_configENS1_38merge_sort_block_merge_config_selectorIjjEEZZNS1_27merge_sort_block_merge_implIS3_N6thrust23THRUST_200600_302600_NS6detail15normal_iteratorINS8_10device_ptrIjEEEESD_jNS1_19radix_merge_compareILb0ELb1EjNS0_19identity_decomposerEEEEE10hipError_tT0_T1_T2_jT3_P12ihipStream_tbPNSt15iterator_traitsISI_E10value_typeEPNSO_ISJ_E10value_typeEPSK_NS1_7vsmem_tEENKUlT_SI_SJ_SK_E_clIPjSD_S10_SD_EESH_SX_SI_SJ_SK_EUlSX_E0_NS1_11comp_targetILNS1_3genE0ELNS1_11target_archE4294967295ELNS1_3gpuE0ELNS1_3repE0EEENS1_38merge_mergepath_config_static_selectorELNS0_4arch9wavefront6targetE1EEEvSJ_,"axG",@progbits,_ZN7rocprim17ROCPRIM_400000_NS6detail17trampoline_kernelINS0_14default_configENS1_38merge_sort_block_merge_config_selectorIjjEEZZNS1_27merge_sort_block_merge_implIS3_N6thrust23THRUST_200600_302600_NS6detail15normal_iteratorINS8_10device_ptrIjEEEESD_jNS1_19radix_merge_compareILb0ELb1EjNS0_19identity_decomposerEEEEE10hipError_tT0_T1_T2_jT3_P12ihipStream_tbPNSt15iterator_traitsISI_E10value_typeEPNSO_ISJ_E10value_typeEPSK_NS1_7vsmem_tEENKUlT_SI_SJ_SK_E_clIPjSD_S10_SD_EESH_SX_SI_SJ_SK_EUlSX_E0_NS1_11comp_targetILNS1_3genE0ELNS1_11target_archE4294967295ELNS1_3gpuE0ELNS1_3repE0EEENS1_38merge_mergepath_config_static_selectorELNS0_4arch9wavefront6targetE1EEEvSJ_,comdat
	.protected	_ZN7rocprim17ROCPRIM_400000_NS6detail17trampoline_kernelINS0_14default_configENS1_38merge_sort_block_merge_config_selectorIjjEEZZNS1_27merge_sort_block_merge_implIS3_N6thrust23THRUST_200600_302600_NS6detail15normal_iteratorINS8_10device_ptrIjEEEESD_jNS1_19radix_merge_compareILb0ELb1EjNS0_19identity_decomposerEEEEE10hipError_tT0_T1_T2_jT3_P12ihipStream_tbPNSt15iterator_traitsISI_E10value_typeEPNSO_ISJ_E10value_typeEPSK_NS1_7vsmem_tEENKUlT_SI_SJ_SK_E_clIPjSD_S10_SD_EESH_SX_SI_SJ_SK_EUlSX_E0_NS1_11comp_targetILNS1_3genE0ELNS1_11target_archE4294967295ELNS1_3gpuE0ELNS1_3repE0EEENS1_38merge_mergepath_config_static_selectorELNS0_4arch9wavefront6targetE1EEEvSJ_ ; -- Begin function _ZN7rocprim17ROCPRIM_400000_NS6detail17trampoline_kernelINS0_14default_configENS1_38merge_sort_block_merge_config_selectorIjjEEZZNS1_27merge_sort_block_merge_implIS3_N6thrust23THRUST_200600_302600_NS6detail15normal_iteratorINS8_10device_ptrIjEEEESD_jNS1_19radix_merge_compareILb0ELb1EjNS0_19identity_decomposerEEEEE10hipError_tT0_T1_T2_jT3_P12ihipStream_tbPNSt15iterator_traitsISI_E10value_typeEPNSO_ISJ_E10value_typeEPSK_NS1_7vsmem_tEENKUlT_SI_SJ_SK_E_clIPjSD_S10_SD_EESH_SX_SI_SJ_SK_EUlSX_E0_NS1_11comp_targetILNS1_3genE0ELNS1_11target_archE4294967295ELNS1_3gpuE0ELNS1_3repE0EEENS1_38merge_mergepath_config_static_selectorELNS0_4arch9wavefront6targetE1EEEvSJ_
	.globl	_ZN7rocprim17ROCPRIM_400000_NS6detail17trampoline_kernelINS0_14default_configENS1_38merge_sort_block_merge_config_selectorIjjEEZZNS1_27merge_sort_block_merge_implIS3_N6thrust23THRUST_200600_302600_NS6detail15normal_iteratorINS8_10device_ptrIjEEEESD_jNS1_19radix_merge_compareILb0ELb1EjNS0_19identity_decomposerEEEEE10hipError_tT0_T1_T2_jT3_P12ihipStream_tbPNSt15iterator_traitsISI_E10value_typeEPNSO_ISJ_E10value_typeEPSK_NS1_7vsmem_tEENKUlT_SI_SJ_SK_E_clIPjSD_S10_SD_EESH_SX_SI_SJ_SK_EUlSX_E0_NS1_11comp_targetILNS1_3genE0ELNS1_11target_archE4294967295ELNS1_3gpuE0ELNS1_3repE0EEENS1_38merge_mergepath_config_static_selectorELNS0_4arch9wavefront6targetE1EEEvSJ_
	.p2align	8
	.type	_ZN7rocprim17ROCPRIM_400000_NS6detail17trampoline_kernelINS0_14default_configENS1_38merge_sort_block_merge_config_selectorIjjEEZZNS1_27merge_sort_block_merge_implIS3_N6thrust23THRUST_200600_302600_NS6detail15normal_iteratorINS8_10device_ptrIjEEEESD_jNS1_19radix_merge_compareILb0ELb1EjNS0_19identity_decomposerEEEEE10hipError_tT0_T1_T2_jT3_P12ihipStream_tbPNSt15iterator_traitsISI_E10value_typeEPNSO_ISJ_E10value_typeEPSK_NS1_7vsmem_tEENKUlT_SI_SJ_SK_E_clIPjSD_S10_SD_EESH_SX_SI_SJ_SK_EUlSX_E0_NS1_11comp_targetILNS1_3genE0ELNS1_11target_archE4294967295ELNS1_3gpuE0ELNS1_3repE0EEENS1_38merge_mergepath_config_static_selectorELNS0_4arch9wavefront6targetE1EEEvSJ_,@function
_ZN7rocprim17ROCPRIM_400000_NS6detail17trampoline_kernelINS0_14default_configENS1_38merge_sort_block_merge_config_selectorIjjEEZZNS1_27merge_sort_block_merge_implIS3_N6thrust23THRUST_200600_302600_NS6detail15normal_iteratorINS8_10device_ptrIjEEEESD_jNS1_19radix_merge_compareILb0ELb1EjNS0_19identity_decomposerEEEEE10hipError_tT0_T1_T2_jT3_P12ihipStream_tbPNSt15iterator_traitsISI_E10value_typeEPNSO_ISJ_E10value_typeEPSK_NS1_7vsmem_tEENKUlT_SI_SJ_SK_E_clIPjSD_S10_SD_EESH_SX_SI_SJ_SK_EUlSX_E0_NS1_11comp_targetILNS1_3genE0ELNS1_11target_archE4294967295ELNS1_3gpuE0ELNS1_3repE0EEENS1_38merge_mergepath_config_static_selectorELNS0_4arch9wavefront6targetE1EEEvSJ_: ; @_ZN7rocprim17ROCPRIM_400000_NS6detail17trampoline_kernelINS0_14default_configENS1_38merge_sort_block_merge_config_selectorIjjEEZZNS1_27merge_sort_block_merge_implIS3_N6thrust23THRUST_200600_302600_NS6detail15normal_iteratorINS8_10device_ptrIjEEEESD_jNS1_19radix_merge_compareILb0ELb1EjNS0_19identity_decomposerEEEEE10hipError_tT0_T1_T2_jT3_P12ihipStream_tbPNSt15iterator_traitsISI_E10value_typeEPNSO_ISJ_E10value_typeEPSK_NS1_7vsmem_tEENKUlT_SI_SJ_SK_E_clIPjSD_S10_SD_EESH_SX_SI_SJ_SK_EUlSX_E0_NS1_11comp_targetILNS1_3genE0ELNS1_11target_archE4294967295ELNS1_3gpuE0ELNS1_3repE0EEENS1_38merge_mergepath_config_static_selectorELNS0_4arch9wavefront6targetE1EEEvSJ_
; %bb.0:
	s_load_dwordx2 s[28:29], s[0:1], 0x40
	s_load_dwordx2 s[16:17], s[0:1], 0x30
	s_add_u32 s24, s0, 64
	s_addc_u32 s25, s1, 0
	s_waitcnt lgkmcnt(0)
	s_mul_i32 s4, s29, s4
	s_add_i32 s3, s4, s3
	s_mul_i32 s3, s3, s28
	s_add_i32 s26, s3, s2
	s_cmp_ge_u32 s26, s16
	s_cbranch_scc1 .LBB684_46
; %bb.1:
	s_load_dwordx8 s[8:15], s[0:1], 0x10
	s_load_dwordx2 s[20:21], s[0:1], 0x8
	s_load_dwordx2 s[4:5], s[0:1], 0x38
	s_mov_b32 s27, 0
	s_mov_b32 s23, s27
	s_waitcnt lgkmcnt(0)
	s_lshr_b32 s30, s14, 10
	s_cmp_lg_u32 s26, s30
	s_cselect_b64 s[18:19], -1, 0
	s_lshl_b64 s[0:1], s[26:27], 2
	s_add_u32 s0, s4, s0
	s_addc_u32 s1, s5, s1
	s_load_dwordx2 s[4:5], s[0:1], 0x0
	s_lshr_b32 s0, s15, 9
	s_and_b32 s0, s0, 0x7ffffe
	s_sub_i32 s0, 0, s0
	s_and_b32 s1, s26, s0
	s_lshl_b32 s3, s1, 10
	s_lshl_b32 s16, s26, 10
	;; [unrolled: 1-line block ×3, first 2 shown]
	s_sub_i32 s6, s16, s3
	s_add_i32 s1, s1, s15
	s_add_i32 s6, s1, s6
	s_waitcnt lgkmcnt(0)
	s_sub_i32 s7, s6, s4
	s_sub_i32 s6, s6, s5
	;; [unrolled: 1-line block ×3, first 2 shown]
	s_min_u32 s22, s14, s7
	s_addk_i32 s6, 0x400
	s_or_b32 s0, s26, s0
	s_min_u32 s3, s14, s1
	s_add_i32 s1, s1, s15
	s_cmp_eq_u32 s0, -1
	s_cselect_b32 s0, s1, s6
	s_cselect_b32 s1, s3, s5
	s_mov_b32 s5, s27
	s_min_u32 s29, s0, s14
	s_sub_i32 s15, s1, s4
	s_lshl_b64 s[0:1], s[4:5], 2
	s_add_u32 s6, s20, s0
	s_addc_u32 s7, s21, s1
	s_lshl_b64 s[4:5], s[22:23], 2
	s_add_u32 s20, s20, s4
	s_addc_u32 s21, s21, s5
	s_cmp_lt_u32 s2, s28
	v_mov_b32_e32 v11, 0
	s_cselect_b32 s2, 12, 18
	global_load_dword v1, v11, s[24:25] offset:14
	s_add_u32 s2, s24, s2
	s_addc_u32 s3, s25, 0
	global_load_ushort v2, v11, s[2:3]
	s_cmp_eq_u32 s26, s30
	v_lshlrev_b32_e32 v10, 2, v0
	s_waitcnt vmcnt(1)
	v_lshrrev_b32_e32 v3, 16, v1
	v_and_b32_e32 v1, 0xffff, v1
	v_mul_lo_u32 v1, v1, v3
	s_waitcnt vmcnt(0)
	v_mul_lo_u32 v1, v1, v2
	v_add_u32_e32 v14, v1, v0
	v_add_u32_e32 v12, v14, v1
	s_cbranch_scc1 .LBB684_3
; %bb.2:
	v_subrev_co_u32_e32 v4, vcc, s15, v0
	v_mov_b32_e32 v5, v11
	v_lshl_add_u64 v[2:3], s[6:7], 0, v[10:11]
	v_lshl_add_u64 v[4:5], v[4:5], 2, s[20:21]
	v_cndmask_b32_e32 v3, v5, v3, vcc
	v_cndmask_b32_e32 v2, v4, v2, vcc
	global_load_dword v2, v[2:3], off
	v_mov_b32_e32 v15, v11
	v_subrev_co_u32_e32 v6, vcc, s15, v14
	v_mov_b32_e32 v7, v11
	v_lshl_add_u64 v[4:5], v[14:15], 2, s[6:7]
	v_lshl_add_u64 v[6:7], v[6:7], 2, s[20:21]
	v_cndmask_b32_e32 v5, v7, v5, vcc
	v_cndmask_b32_e32 v4, v6, v4, vcc
	v_mov_b32_e32 v13, v11
	v_subrev_co_u32_e32 v6, vcc, s15, v12
	v_mov_b32_e32 v7, v11
	global_load_dword v3, v[4:5], off
	v_lshl_add_u64 v[4:5], v[12:13], 2, s[6:7]
	v_lshl_add_u64 v[6:7], v[6:7], 2, s[20:21]
	v_cndmask_b32_e32 v5, v7, v5, vcc
	v_cndmask_b32_e32 v4, v6, v4, vcc
	global_load_dword v4, v[4:5], off
	v_add_u32_e32 v6, v12, v1
	s_mov_b64 s[2:3], -1
	s_sub_i32 s24, s29, s22
	s_cbranch_execz .LBB684_4
	s_branch .LBB684_9
.LBB684_3:
	s_mov_b64 s[2:3], 0
                                        ; implicit-def: $vgpr6
                                        ; implicit-def: $vgpr2_vgpr3_vgpr4_vgpr5
	s_sub_i32 s24, s29, s22
.LBB684_4:
	s_add_i32 s22, s24, s15
	s_waitcnt vmcnt(2)
	v_mov_b32_e32 v2, 0
	v_cmp_gt_u32_e32 vcc, s22, v0
	s_waitcnt vmcnt(1)
	v_mov_b32_e32 v3, v2
	s_waitcnt vmcnt(0)
	v_mov_b32_e32 v4, v2
	v_mov_b32_e32 v5, v2
	s_and_saveexec_b64 s[2:3], vcc
	s_cbranch_execnz .LBB684_47
; %bb.5:
	s_or_b64 exec, exec, s[2:3]
	v_cmp_gt_u32_e32 vcc, s22, v14
	s_and_saveexec_b64 s[2:3], vcc
	s_cbranch_execnz .LBB684_48
.LBB684_6:
	s_or_b64 exec, exec, s[2:3]
	v_cmp_gt_u32_e32 vcc, s22, v12
	s_and_saveexec_b64 s[2:3], vcc
	s_cbranch_execz .LBB684_8
.LBB684_7:
	v_mov_b32_e32 v13, 0
	v_subrev_co_u32_e32 v8, vcc, s15, v12
	v_mov_b32_e32 v9, v13
	v_lshl_add_u64 v[6:7], v[12:13], 2, s[6:7]
	v_lshl_add_u64 v[8:9], v[8:9], 2, s[20:21]
	v_cndmask_b32_e32 v7, v9, v7, vcc
	v_cndmask_b32_e32 v6, v8, v6, vcc
	global_load_dword v4, v[6:7], off
.LBB684_8:
	s_or_b64 exec, exec, s[2:3]
	v_add_u32_e32 v6, v12, v1
	v_cmp_gt_u32_e64 s[2:3], s22, v6
.LBB684_9:
	s_and_saveexec_b64 s[22:23], s[2:3]
	s_cbranch_execz .LBB684_11
; %bb.10:
	v_mov_b32_e32 v7, 0
	v_lshl_add_u64 v[8:9], v[6:7], 2, s[6:7]
	v_subrev_co_u32_e32 v6, vcc, s15, v6
	v_lshl_add_u64 v[6:7], v[6:7], 2, s[20:21]
	s_nop 0
	v_cndmask_b32_e32 v7, v7, v9, vcc
	v_cndmask_b32_e32 v6, v6, v8, vcc
	global_load_dword v5, v[6:7], off
.LBB684_11:
	s_or_b64 exec, exec, s[22:23]
	s_add_u32 s0, s10, s0
	s_addc_u32 s1, s11, s1
	s_add_u32 s2, s10, s4
	v_mov_b32_e32 v11, 0
	s_addc_u32 s3, s11, s5
	s_andn2_b64 vcc, exec, s[18:19]
	s_waitcnt vmcnt(0)
	ds_write2st64_b32 v10, v2, v3 offset1:4
	ds_write2st64_b32 v10, v4, v5 offset0:8 offset1:12
	s_cbranch_vccnz .LBB684_13
; %bb.12:
	v_subrev_co_u32_e32 v8, vcc, s15, v0
	v_mov_b32_e32 v9, v11
	v_lshl_add_u64 v[6:7], s[0:1], 0, v[10:11]
	v_lshl_add_u64 v[8:9], v[8:9], 2, s[2:3]
	v_cndmask_b32_e32 v7, v9, v7, vcc
	v_cndmask_b32_e32 v6, v8, v6, vcc
	v_mov_b32_e32 v15, v11
	v_subrev_co_u32_e32 v16, vcc, s15, v14
	v_mov_b32_e32 v17, v11
	v_lshl_add_u64 v[8:9], v[14:15], 2, s[0:1]
	v_lshl_add_u64 v[16:17], v[16:17], 2, s[2:3]
	v_cndmask_b32_e32 v9, v17, v9, vcc
	v_cndmask_b32_e32 v8, v16, v8, vcc
	v_mov_b32_e32 v13, v11
	v_subrev_co_u32_e32 v16, vcc, s15, v12
	v_mov_b32_e32 v17, v11
	global_load_dword v6, v[6:7], off
	v_lshl_add_u64 v[16:17], v[16:17], 2, s[2:3]
	global_load_dword v7, v[8:9], off
	v_lshl_add_u64 v[8:9], v[12:13], 2, s[0:1]
	v_cndmask_b32_e32 v9, v17, v9, vcc
	v_cndmask_b32_e32 v8, v16, v8, vcc
	v_add_u32_e32 v16, v12, v1
	v_mov_b32_e32 v17, v11
	v_lshl_add_u64 v[18:19], v[16:17], 2, s[0:1]
	v_subrev_co_u32_e32 v16, vcc, s15, v16
	v_lshl_add_u64 v[16:17], v[16:17], 2, s[2:3]
	s_nop 0
	v_cndmask_b32_e32 v17, v17, v19, vcc
	v_cndmask_b32_e32 v16, v16, v18, vcc
	global_load_dword v8, v[8:9], off
	s_add_i32 s20, s24, s15
	global_load_dword v9, v[16:17], off
	s_cbranch_execz .LBB684_14
	s_branch .LBB684_21
.LBB684_13:
                                        ; implicit-def: $vgpr6_vgpr7_vgpr8_vgpr9
                                        ; implicit-def: $sgpr20
.LBB684_14:
	s_add_i32 s20, s24, s15
	s_waitcnt vmcnt(3)
	v_mov_b32_e32 v6, 0
	v_cmp_gt_u32_e32 vcc, s20, v0
	s_waitcnt vmcnt(2)
	v_mov_b32_e32 v7, v6
	s_waitcnt vmcnt(1)
	v_mov_b32_e32 v8, v6
	;; [unrolled: 2-line block ×3, first 2 shown]
	s_and_saveexec_b64 s[4:5], vcc
	s_cbranch_execnz .LBB684_49
; %bb.15:
	s_or_b64 exec, exec, s[4:5]
	v_cmp_gt_u32_e32 vcc, s20, v14
	s_and_saveexec_b64 s[4:5], vcc
	s_cbranch_execnz .LBB684_50
.LBB684_16:
	s_or_b64 exec, exec, s[4:5]
	v_cmp_gt_u32_e32 vcc, s20, v12
	s_and_saveexec_b64 s[4:5], vcc
	s_cbranch_execz .LBB684_18
.LBB684_17:
	v_mov_b32_e32 v13, 0
	v_subrev_co_u32_e32 v16, vcc, s15, v12
	v_mov_b32_e32 v17, v13
	v_lshl_add_u64 v[14:15], v[12:13], 2, s[0:1]
	v_lshl_add_u64 v[16:17], v[16:17], 2, s[2:3]
	v_cndmask_b32_e32 v15, v17, v15, vcc
	v_cndmask_b32_e32 v14, v16, v14, vcc
	global_load_dword v8, v[14:15], off
.LBB684_18:
	s_or_b64 exec, exec, s[4:5]
	v_add_u32_e32 v12, v12, v1
	v_cmp_gt_u32_e32 vcc, s20, v12
	s_and_saveexec_b64 s[4:5], vcc
	s_cbranch_execz .LBB684_20
; %bb.19:
	v_mov_b32_e32 v13, 0
	v_lshl_add_u64 v[14:15], v[12:13], 2, s[0:1]
	v_subrev_co_u32_e32 v12, vcc, s15, v12
	v_lshl_add_u64 v[12:13], v[12:13], 2, s[2:3]
	s_nop 0
	v_cndmask_b32_e32 v13, v13, v15, vcc
	v_cndmask_b32_e32 v12, v12, v14, vcc
	global_load_dword v9, v[12:13], off
.LBB684_20:
	s_or_b64 exec, exec, s[4:5]
.LBB684_21:
	v_min_u32_e32 v11, s20, v10
	v_sub_u32_e64 v1, v11, s24 clamp
	v_min_u32_e32 v12, s15, v11
	v_cmp_lt_u32_e32 vcc, v1, v12
	s_waitcnt lgkmcnt(0)
	s_barrier
	s_and_saveexec_b64 s[0:1], vcc
	s_cbranch_execz .LBB684_25
; %bb.22:
	v_lshlrev_b32_e32 v13, 2, v11
	v_lshl_add_u32 v13, s15, 2, v13
	s_mov_b64 s[2:3], 0
.LBB684_23:                             ; =>This Inner Loop Header: Depth=1
	v_add_u32_e32 v14, v12, v1
	v_lshrrev_b32_e32 v14, 1, v14
	v_not_b32_e32 v15, v14
	v_lshlrev_b32_e32 v16, 2, v14
	v_lshl_add_u32 v15, v15, 2, v13
	ds_read_b32 v16, v16
	ds_read_b32 v15, v15
	v_add_u32_e32 v17, 1, v14
	s_waitcnt lgkmcnt(1)
	v_and_b32_e32 v16, s17, v16
	s_waitcnt lgkmcnt(0)
	v_and_b32_e32 v15, s17, v15
	v_cmp_gt_u32_e32 vcc, v16, v15
	s_nop 1
	v_cndmask_b32_e32 v12, v12, v14, vcc
	v_cndmask_b32_e32 v1, v17, v1, vcc
	v_cmp_ge_u32_e32 vcc, v1, v12
	s_or_b64 s[2:3], vcc, s[2:3]
	s_andn2_b64 exec, exec, s[2:3]
	s_cbranch_execnz .LBB684_23
; %bb.24:
	s_or_b64 exec, exec, s[2:3]
.LBB684_25:
	s_or_b64 exec, exec, s[0:1]
	v_sub_u32_e32 v11, v11, v1
	v_add_u32_e32 v14, s15, v11
	v_cmp_ge_u32_e32 vcc, s15, v1
	v_cmp_ge_u32_e64 s[0:1], s20, v14
	s_or_b64 s[0:1], vcc, s[0:1]
	v_mov_b32_e32 v15, 0
	v_mov_b32_e32 v13, 0
	;; [unrolled: 1-line block ×4, first 2 shown]
	s_and_saveexec_b64 s[10:11], s[0:1]
	s_cbranch_execz .LBB684_31
; %bb.26:
	v_cmp_gt_u32_e32 vcc, s15, v1
                                        ; implicit-def: $vgpr2
	s_and_saveexec_b64 s[0:1], vcc
; %bb.27:
	v_lshlrev_b32_e32 v2, 2, v1
	ds_read_b32 v2, v2
; %bb.28:
	s_or_b64 exec, exec, s[0:1]
	v_cmp_le_u32_e64 s[0:1], s20, v14
	v_cmp_gt_u32_e64 s[2:3], s20, v14
                                        ; implicit-def: $vgpr3
	s_and_saveexec_b64 s[4:5], s[2:3]
; %bb.29:
	v_lshlrev_b32_e32 v3, 2, v14
	ds_read_b32 v3, v3
; %bb.30:
	s_or_b64 exec, exec, s[4:5]
	s_waitcnt lgkmcnt(0)
	v_and_b32_e32 v4, s17, v3
	v_and_b32_e32 v5, s17, v2
	v_cmp_le_u32_e64 s[2:3], v5, v4
	s_and_b64 s[2:3], vcc, s[2:3]
	s_or_b64 vcc, s[0:1], s[2:3]
	v_mov_b32_e32 v4, s20
	v_mov_b32_e32 v5, s15
	v_cndmask_b32_e32 v11, v14, v1, vcc
	v_cndmask_b32_e32 v12, v4, v5, vcc
	v_add_u32_e32 v13, 1, v11
	v_add_u32_e32 v12, -1, v12
	v_min_u32_e32 v12, v13, v12
	v_lshlrev_b32_e32 v12, 2, v12
	ds_read_b32 v12, v12
	v_cndmask_b32_e32 v14, v13, v14, vcc
	v_cndmask_b32_e32 v1, v1, v13, vcc
	v_cmp_gt_u32_e64 s[2:3], s15, v1
	v_cmp_le_u32_e64 s[0:1], s20, v14
	s_waitcnt lgkmcnt(0)
	v_cndmask_b32_e32 v15, v12, v3, vcc
	v_cndmask_b32_e32 v16, v2, v12, vcc
	v_and_b32_e32 v12, s17, v15
	v_and_b32_e32 v13, s17, v16
	v_cmp_le_u32_e64 s[4:5], v13, v12
	s_and_b64 s[2:3], s[2:3], s[4:5]
	s_or_b64 s[0:1], s[0:1], s[2:3]
	v_cndmask_b32_e64 v12, v14, v1, s[0:1]
	v_cndmask_b32_e64 v13, v4, v5, s[0:1]
	v_add_u32_e32 v17, 1, v12
	v_add_u32_e32 v13, -1, v13
	v_min_u32_e32 v13, v17, v13
	v_lshlrev_b32_e32 v13, 2, v13
	ds_read_b32 v13, v13
	v_cndmask_b32_e64 v14, v17, v14, s[0:1]
	v_cndmask_b32_e64 v1, v1, v17, s[0:1]
	v_cmp_gt_u32_e64 s[4:5], s15, v1
	v_cmp_le_u32_e64 s[2:3], s20, v14
	s_waitcnt lgkmcnt(0)
	v_cndmask_b32_e64 v18, v13, v15, s[0:1]
	v_cndmask_b32_e64 v19, v16, v13, s[0:1]
	v_and_b32_e32 v13, s17, v18
	v_and_b32_e32 v17, s17, v19
	v_cmp_le_u32_e64 s[6:7], v17, v13
	s_and_b64 s[4:5], s[4:5], s[6:7]
	s_or_b64 s[2:3], s[2:3], s[4:5]
	v_cndmask_b32_e64 v13, v14, v1, s[2:3]
	v_cndmask_b32_e64 v4, v4, v5, s[2:3]
	v_add_u32_e32 v5, 1, v13
	v_add_u32_e32 v4, -1, v4
	v_min_u32_e32 v4, v5, v4
	v_lshlrev_b32_e32 v4, 2, v4
	ds_read_b32 v17, v4
	v_cndmask_b32_e32 v2, v3, v2, vcc
	v_cndmask_b32_e64 v3, v15, v16, s[0:1]
	v_cndmask_b32_e64 v14, v5, v14, s[2:3]
	;; [unrolled: 1-line block ×3, first 2 shown]
	s_waitcnt lgkmcnt(0)
	v_cndmask_b32_e64 v16, v17, v18, s[2:3]
	v_cndmask_b32_e64 v17, v19, v17, s[2:3]
	v_and_b32_e32 v5, s17, v16
	v_and_b32_e32 v15, s17, v17
	v_cndmask_b32_e64 v4, v18, v19, s[2:3]
	v_cmp_gt_u32_e64 s[0:1], s15, v1
	v_cmp_le_u32_e64 s[2:3], v15, v5
	v_cmp_le_u32_e32 vcc, s20, v14
	s_and_b64 s[0:1], s[0:1], s[2:3]
	s_or_b64 vcc, vcc, s[0:1]
	v_cndmask_b32_e32 v15, v14, v1, vcc
	v_cndmask_b32_e32 v5, v16, v17, vcc
.LBB684_31:
	s_or_b64 exec, exec, s[10:11]
	s_barrier
	s_waitcnt vmcnt(0)
	ds_write2st64_b32 v10, v6, v7 offset1:4
	ds_write2st64_b32 v10, v8, v9 offset0:8 offset1:12
	v_lshlrev_b32_e32 v1, 2, v11
	v_lshrrev_b32_e32 v11, 3, v0
	v_lshlrev_b32_e32 v9, 2, v10
	v_lshlrev_b32_e32 v6, 2, v12
	;; [unrolled: 1-line block ×4, first 2 shown]
	v_lshl_add_u32 v9, v11, 2, v9
	s_waitcnt lgkmcnt(0)
	s_barrier
	ds_read_b32 v1, v1
	ds_read_b32 v6, v6
	;; [unrolled: 1-line block ×4, first 2 shown]
	s_waitcnt lgkmcnt(0)
	s_barrier
	s_barrier
	ds_write2_b32 v9, v2, v3 offset1:1
	ds_write2_b32 v9, v4, v5 offset0:2 offset1:3
	v_and_b32_e32 v2, 28, v11
	v_or_b32_e32 v16, 0x100, v0
	v_add_u32_e32 v4, v2, v10
	v_lshrrev_b32_e32 v2, 3, v16
	v_and_b32_e32 v2, 60, v2
	v_or_b32_e32 v15, 0x200, v0
	s_mov_b32 s17, 0
	v_add_u32_e32 v5, v2, v10
	v_lshrrev_b32_e32 v2, 3, v15
	s_lshl_b64 s[4:5], s[16:17], 2
	v_and_b32_e32 v2, 0x5c, v2
	v_or_b32_e32 v14, 0x300, v0
	s_add_u32 s0, s8, s4
	v_add_u32_e32 v12, v2, v10
	v_lshrrev_b32_e32 v2, 3, v14
	s_addc_u32 s1, s9, s5
	v_and_b32_e32 v2, 0x7c, v2
	v_mov_b32_e32 v11, 0
	v_add_u32_e32 v13, v2, v10
	v_lshl_add_u64 v[2:3], s[0:1], 0, v[10:11]
	s_and_b64 vcc, exec, s[18:19]
	s_waitcnt lgkmcnt(0)
	s_cbranch_vccz .LBB684_33
; %bb.32:
	s_barrier
	ds_read_b32 v11, v4
	ds_read_b32 v17, v5 offset:1024
	ds_read_b32 v18, v12 offset:2048
	;; [unrolled: 1-line block ×3, first 2 shown]
	s_add_u32 s0, s12, s4
	s_addc_u32 s1, s13, s5
	s_waitcnt lgkmcnt(3)
	global_store_dword v[2:3], v11, off
	s_waitcnt lgkmcnt(2)
	global_store_dword v[2:3], v17, off offset:1024
	s_waitcnt lgkmcnt(1)
	global_store_dword v[2:3], v18, off offset:2048
	;; [unrolled: 2-line block ×3, first 2 shown]
	s_barrier
	ds_write2_b32 v9, v1, v6 offset1:1
	ds_write2_b32 v9, v7, v8 offset0:2 offset1:3
	s_waitcnt lgkmcnt(0)
	s_barrier
	ds_read_b32 v11, v4
	ds_read_b32 v18, v5 offset:1024
	ds_read_b32 v19, v12 offset:2048
	;; [unrolled: 1-line block ×3, first 2 shown]
	s_waitcnt lgkmcnt(3)
	global_store_dword v10, v11, s[0:1]
	s_waitcnt lgkmcnt(2)
	global_store_dword v10, v18, s[0:1] offset:1024
	s_waitcnt lgkmcnt(1)
	global_store_dword v10, v19, s[0:1] offset:2048
	s_mov_b64 s[6:7], -1
	s_cbranch_execz .LBB684_34
	s_branch .LBB684_44
.LBB684_33:
	s_mov_b64 s[6:7], 0
                                        ; implicit-def: $vgpr17
.LBB684_34:
	s_barrier
	s_waitcnt lgkmcnt(0)
	ds_read_b32 v18, v5 offset:1024
	ds_read_b32 v17, v12 offset:2048
	;; [unrolled: 1-line block ×3, first 2 shown]
	s_sub_i32 s8, s14, s16
	v_cmp_gt_u32_e32 vcc, s8, v0
	s_and_saveexec_b64 s[0:1], vcc
	s_cbranch_execnz .LBB684_51
; %bb.35:
	s_or_b64 exec, exec, s[0:1]
	v_cmp_gt_u32_e64 s[0:1], s8, v16
	s_and_saveexec_b64 s[2:3], s[0:1]
	s_cbranch_execnz .LBB684_52
.LBB684_36:
	s_or_b64 exec, exec, s[2:3]
	v_cmp_gt_u32_e64 s[2:3], s8, v15
	s_and_saveexec_b64 s[6:7], s[2:3]
	s_cbranch_execnz .LBB684_53
.LBB684_37:
	s_or_b64 exec, exec, s[6:7]
	v_cmp_gt_u32_e64 s[6:7], s8, v14
	s_and_saveexec_b64 s[8:9], s[6:7]
	s_cbranch_execz .LBB684_39
.LBB684_38:
	s_waitcnt lgkmcnt(0)
	global_store_dword v[2:3], v11, off offset:3072
.LBB684_39:
	s_or_b64 exec, exec, s[8:9]
	s_waitcnt lgkmcnt(0)
	s_barrier
	ds_write2_b32 v9, v1, v6 offset1:1
	ds_write2_b32 v9, v7, v8 offset0:2 offset1:3
	s_waitcnt lgkmcnt(0)
	s_barrier
	ds_read_b32 v3, v5 offset:1024
	ds_read_b32 v2, v12 offset:2048
	;; [unrolled: 1-line block ×3, first 2 shown]
	s_add_u32 s8, s12, s4
	s_addc_u32 s9, s13, s5
	v_mov_b32_e32 v11, 0
	v_lshl_add_u64 v[0:1], s[8:9], 0, v[10:11]
	s_and_saveexec_b64 s[8:9], vcc
	s_cbranch_execnz .LBB684_54
; %bb.40:
	s_or_b64 exec, exec, s[8:9]
	s_and_saveexec_b64 s[8:9], s[0:1]
	s_cbranch_execnz .LBB684_55
.LBB684_41:
	s_or_b64 exec, exec, s[8:9]
	s_and_saveexec_b64 s[0:1], s[2:3]
	s_cbranch_execz .LBB684_43
.LBB684_42:
	s_waitcnt lgkmcnt(1)
	global_store_dword v[0:1], v2, off offset:2048
.LBB684_43:
	s_or_b64 exec, exec, s[0:1]
.LBB684_44:
	s_and_saveexec_b64 s[0:1], s[6:7]
	s_cbranch_execz .LBB684_46
; %bb.45:
	s_add_u32 s0, s12, s4
	s_addc_u32 s1, s13, s5
	s_waitcnt lgkmcnt(0)
	global_store_dword v10, v17, s[0:1] offset:3072
.LBB684_46:
	s_endpgm
.LBB684_47:
	v_mov_b32_e32 v11, v2
	v_subrev_co_u32_e32 v6, vcc, s15, v0
	v_mov_b32_e32 v7, v2
	v_lshl_add_u64 v[4:5], s[6:7], 0, v[10:11]
	v_lshl_add_u64 v[6:7], v[6:7], 2, s[20:21]
	v_cndmask_b32_e32 v5, v7, v5, vcc
	v_cndmask_b32_e32 v4, v6, v4, vcc
	global_load_dword v4, v[4:5], off
	v_mov_b32_e32 v5, v2
	v_mov_b32_e32 v6, v2
	;; [unrolled: 1-line block ×3, first 2 shown]
	s_waitcnt vmcnt(0)
	v_mov_b64_e32 v[2:3], v[4:5]
	v_mov_b64_e32 v[4:5], v[6:7]
	s_or_b64 exec, exec, s[2:3]
	v_cmp_gt_u32_e32 vcc, s22, v14
	s_and_saveexec_b64 s[2:3], vcc
	s_cbranch_execz .LBB684_6
.LBB684_48:
	v_mov_b32_e32 v15, 0
	v_subrev_co_u32_e32 v8, vcc, s15, v14
	v_mov_b32_e32 v9, v15
	v_lshl_add_u64 v[6:7], v[14:15], 2, s[6:7]
	v_lshl_add_u64 v[8:9], v[8:9], 2, s[20:21]
	v_cndmask_b32_e32 v7, v9, v7, vcc
	v_cndmask_b32_e32 v6, v8, v6, vcc
	global_load_dword v3, v[6:7], off
	s_or_b64 exec, exec, s[2:3]
	v_cmp_gt_u32_e32 vcc, s22, v12
	s_and_saveexec_b64 s[2:3], vcc
	s_cbranch_execnz .LBB684_7
	s_branch .LBB684_8
.LBB684_49:
	v_mov_b32_e32 v11, v6
	v_subrev_co_u32_e32 v16, vcc, s15, v0
	v_mov_b32_e32 v17, v6
	v_lshl_add_u64 v[8:9], s[0:1], 0, v[10:11]
	v_lshl_add_u64 v[16:17], v[16:17], 2, s[2:3]
	v_cndmask_b32_e32 v9, v17, v9, vcc
	v_cndmask_b32_e32 v8, v16, v8, vcc
	global_load_dword v16, v[8:9], off
	v_mov_b32_e32 v17, v6
	v_mov_b32_e32 v18, v6
	;; [unrolled: 1-line block ×3, first 2 shown]
	s_waitcnt vmcnt(0)
	v_mov_b64_e32 v[6:7], v[16:17]
	v_mov_b64_e32 v[8:9], v[18:19]
	s_or_b64 exec, exec, s[4:5]
	v_cmp_gt_u32_e32 vcc, s20, v14
	s_and_saveexec_b64 s[4:5], vcc
	s_cbranch_execz .LBB684_16
.LBB684_50:
	v_mov_b32_e32 v15, 0
	v_lshl_add_u64 v[16:17], v[14:15], 2, s[0:1]
	v_subrev_co_u32_e32 v14, vcc, s15, v14
	v_lshl_add_u64 v[14:15], v[14:15], 2, s[2:3]
	s_nop 0
	v_cndmask_b32_e32 v15, v15, v17, vcc
	v_cndmask_b32_e32 v14, v14, v16, vcc
	global_load_dword v7, v[14:15], off
	s_or_b64 exec, exec, s[4:5]
	v_cmp_gt_u32_e32 vcc, s20, v12
	s_and_saveexec_b64 s[4:5], vcc
	s_cbranch_execnz .LBB684_17
	s_branch .LBB684_18
.LBB684_51:
	ds_read_b32 v0, v4
	s_waitcnt lgkmcnt(0)
	global_store_dword v[2:3], v0, off
	s_or_b64 exec, exec, s[0:1]
	v_cmp_gt_u32_e64 s[0:1], s8, v16
	s_and_saveexec_b64 s[2:3], s[0:1]
	s_cbranch_execz .LBB684_36
.LBB684_52:
	s_waitcnt lgkmcnt(2)
	global_store_dword v[2:3], v18, off offset:1024
	s_or_b64 exec, exec, s[2:3]
	v_cmp_gt_u32_e64 s[2:3], s8, v15
	s_and_saveexec_b64 s[6:7], s[2:3]
	s_cbranch_execz .LBB684_37
.LBB684_53:
	s_waitcnt lgkmcnt(1)
	global_store_dword v[2:3], v17, off offset:2048
	s_or_b64 exec, exec, s[6:7]
	v_cmp_gt_u32_e64 s[6:7], s8, v14
	s_and_saveexec_b64 s[8:9], s[6:7]
	s_cbranch_execnz .LBB684_38
	s_branch .LBB684_39
.LBB684_54:
	ds_read_b32 v4, v4
	s_waitcnt lgkmcnt(0)
	global_store_dword v[0:1], v4, off
	s_or_b64 exec, exec, s[8:9]
	s_and_saveexec_b64 s[8:9], s[0:1]
	s_cbranch_execz .LBB684_41
.LBB684_55:
	s_waitcnt lgkmcnt(2)
	global_store_dword v[0:1], v3, off offset:1024
	s_or_b64 exec, exec, s[8:9]
	s_and_saveexec_b64 s[0:1], s[2:3]
	s_cbranch_execnz .LBB684_42
	s_branch .LBB684_43
	.section	.rodata,"a",@progbits
	.p2align	6, 0x0
	.amdhsa_kernel _ZN7rocprim17ROCPRIM_400000_NS6detail17trampoline_kernelINS0_14default_configENS1_38merge_sort_block_merge_config_selectorIjjEEZZNS1_27merge_sort_block_merge_implIS3_N6thrust23THRUST_200600_302600_NS6detail15normal_iteratorINS8_10device_ptrIjEEEESD_jNS1_19radix_merge_compareILb0ELb1EjNS0_19identity_decomposerEEEEE10hipError_tT0_T1_T2_jT3_P12ihipStream_tbPNSt15iterator_traitsISI_E10value_typeEPNSO_ISJ_E10value_typeEPSK_NS1_7vsmem_tEENKUlT_SI_SJ_SK_E_clIPjSD_S10_SD_EESH_SX_SI_SJ_SK_EUlSX_E0_NS1_11comp_targetILNS1_3genE0ELNS1_11target_archE4294967295ELNS1_3gpuE0ELNS1_3repE0EEENS1_38merge_mergepath_config_static_selectorELNS0_4arch9wavefront6targetE1EEEvSJ_
		.amdhsa_group_segment_fixed_size 4224
		.amdhsa_private_segment_fixed_size 0
		.amdhsa_kernarg_size 320
		.amdhsa_user_sgpr_count 2
		.amdhsa_user_sgpr_dispatch_ptr 0
		.amdhsa_user_sgpr_queue_ptr 0
		.amdhsa_user_sgpr_kernarg_segment_ptr 1
		.amdhsa_user_sgpr_dispatch_id 0
		.amdhsa_user_sgpr_kernarg_preload_length 0
		.amdhsa_user_sgpr_kernarg_preload_offset 0
		.amdhsa_user_sgpr_private_segment_size 0
		.amdhsa_uses_dynamic_stack 0
		.amdhsa_enable_private_segment 0
		.amdhsa_system_sgpr_workgroup_id_x 1
		.amdhsa_system_sgpr_workgroup_id_y 1
		.amdhsa_system_sgpr_workgroup_id_z 1
		.amdhsa_system_sgpr_workgroup_info 0
		.amdhsa_system_vgpr_workitem_id 0
		.amdhsa_next_free_vgpr 20
		.amdhsa_next_free_sgpr 31
		.amdhsa_accum_offset 20
		.amdhsa_reserve_vcc 1
		.amdhsa_float_round_mode_32 0
		.amdhsa_float_round_mode_16_64 0
		.amdhsa_float_denorm_mode_32 3
		.amdhsa_float_denorm_mode_16_64 3
		.amdhsa_dx10_clamp 1
		.amdhsa_ieee_mode 1
		.amdhsa_fp16_overflow 0
		.amdhsa_tg_split 0
		.amdhsa_exception_fp_ieee_invalid_op 0
		.amdhsa_exception_fp_denorm_src 0
		.amdhsa_exception_fp_ieee_div_zero 0
		.amdhsa_exception_fp_ieee_overflow 0
		.amdhsa_exception_fp_ieee_underflow 0
		.amdhsa_exception_fp_ieee_inexact 0
		.amdhsa_exception_int_div_zero 0
	.end_amdhsa_kernel
	.section	.text._ZN7rocprim17ROCPRIM_400000_NS6detail17trampoline_kernelINS0_14default_configENS1_38merge_sort_block_merge_config_selectorIjjEEZZNS1_27merge_sort_block_merge_implIS3_N6thrust23THRUST_200600_302600_NS6detail15normal_iteratorINS8_10device_ptrIjEEEESD_jNS1_19radix_merge_compareILb0ELb1EjNS0_19identity_decomposerEEEEE10hipError_tT0_T1_T2_jT3_P12ihipStream_tbPNSt15iterator_traitsISI_E10value_typeEPNSO_ISJ_E10value_typeEPSK_NS1_7vsmem_tEENKUlT_SI_SJ_SK_E_clIPjSD_S10_SD_EESH_SX_SI_SJ_SK_EUlSX_E0_NS1_11comp_targetILNS1_3genE0ELNS1_11target_archE4294967295ELNS1_3gpuE0ELNS1_3repE0EEENS1_38merge_mergepath_config_static_selectorELNS0_4arch9wavefront6targetE1EEEvSJ_,"axG",@progbits,_ZN7rocprim17ROCPRIM_400000_NS6detail17trampoline_kernelINS0_14default_configENS1_38merge_sort_block_merge_config_selectorIjjEEZZNS1_27merge_sort_block_merge_implIS3_N6thrust23THRUST_200600_302600_NS6detail15normal_iteratorINS8_10device_ptrIjEEEESD_jNS1_19radix_merge_compareILb0ELb1EjNS0_19identity_decomposerEEEEE10hipError_tT0_T1_T2_jT3_P12ihipStream_tbPNSt15iterator_traitsISI_E10value_typeEPNSO_ISJ_E10value_typeEPSK_NS1_7vsmem_tEENKUlT_SI_SJ_SK_E_clIPjSD_S10_SD_EESH_SX_SI_SJ_SK_EUlSX_E0_NS1_11comp_targetILNS1_3genE0ELNS1_11target_archE4294967295ELNS1_3gpuE0ELNS1_3repE0EEENS1_38merge_mergepath_config_static_selectorELNS0_4arch9wavefront6targetE1EEEvSJ_,comdat
.Lfunc_end684:
	.size	_ZN7rocprim17ROCPRIM_400000_NS6detail17trampoline_kernelINS0_14default_configENS1_38merge_sort_block_merge_config_selectorIjjEEZZNS1_27merge_sort_block_merge_implIS3_N6thrust23THRUST_200600_302600_NS6detail15normal_iteratorINS8_10device_ptrIjEEEESD_jNS1_19radix_merge_compareILb0ELb1EjNS0_19identity_decomposerEEEEE10hipError_tT0_T1_T2_jT3_P12ihipStream_tbPNSt15iterator_traitsISI_E10value_typeEPNSO_ISJ_E10value_typeEPSK_NS1_7vsmem_tEENKUlT_SI_SJ_SK_E_clIPjSD_S10_SD_EESH_SX_SI_SJ_SK_EUlSX_E0_NS1_11comp_targetILNS1_3genE0ELNS1_11target_archE4294967295ELNS1_3gpuE0ELNS1_3repE0EEENS1_38merge_mergepath_config_static_selectorELNS0_4arch9wavefront6targetE1EEEvSJ_, .Lfunc_end684-_ZN7rocprim17ROCPRIM_400000_NS6detail17trampoline_kernelINS0_14default_configENS1_38merge_sort_block_merge_config_selectorIjjEEZZNS1_27merge_sort_block_merge_implIS3_N6thrust23THRUST_200600_302600_NS6detail15normal_iteratorINS8_10device_ptrIjEEEESD_jNS1_19radix_merge_compareILb0ELb1EjNS0_19identity_decomposerEEEEE10hipError_tT0_T1_T2_jT3_P12ihipStream_tbPNSt15iterator_traitsISI_E10value_typeEPNSO_ISJ_E10value_typeEPSK_NS1_7vsmem_tEENKUlT_SI_SJ_SK_E_clIPjSD_S10_SD_EESH_SX_SI_SJ_SK_EUlSX_E0_NS1_11comp_targetILNS1_3genE0ELNS1_11target_archE4294967295ELNS1_3gpuE0ELNS1_3repE0EEENS1_38merge_mergepath_config_static_selectorELNS0_4arch9wavefront6targetE1EEEvSJ_
                                        ; -- End function
	.set _ZN7rocprim17ROCPRIM_400000_NS6detail17trampoline_kernelINS0_14default_configENS1_38merge_sort_block_merge_config_selectorIjjEEZZNS1_27merge_sort_block_merge_implIS3_N6thrust23THRUST_200600_302600_NS6detail15normal_iteratorINS8_10device_ptrIjEEEESD_jNS1_19radix_merge_compareILb0ELb1EjNS0_19identity_decomposerEEEEE10hipError_tT0_T1_T2_jT3_P12ihipStream_tbPNSt15iterator_traitsISI_E10value_typeEPNSO_ISJ_E10value_typeEPSK_NS1_7vsmem_tEENKUlT_SI_SJ_SK_E_clIPjSD_S10_SD_EESH_SX_SI_SJ_SK_EUlSX_E0_NS1_11comp_targetILNS1_3genE0ELNS1_11target_archE4294967295ELNS1_3gpuE0ELNS1_3repE0EEENS1_38merge_mergepath_config_static_selectorELNS0_4arch9wavefront6targetE1EEEvSJ_.num_vgpr, 20
	.set _ZN7rocprim17ROCPRIM_400000_NS6detail17trampoline_kernelINS0_14default_configENS1_38merge_sort_block_merge_config_selectorIjjEEZZNS1_27merge_sort_block_merge_implIS3_N6thrust23THRUST_200600_302600_NS6detail15normal_iteratorINS8_10device_ptrIjEEEESD_jNS1_19radix_merge_compareILb0ELb1EjNS0_19identity_decomposerEEEEE10hipError_tT0_T1_T2_jT3_P12ihipStream_tbPNSt15iterator_traitsISI_E10value_typeEPNSO_ISJ_E10value_typeEPSK_NS1_7vsmem_tEENKUlT_SI_SJ_SK_E_clIPjSD_S10_SD_EESH_SX_SI_SJ_SK_EUlSX_E0_NS1_11comp_targetILNS1_3genE0ELNS1_11target_archE4294967295ELNS1_3gpuE0ELNS1_3repE0EEENS1_38merge_mergepath_config_static_selectorELNS0_4arch9wavefront6targetE1EEEvSJ_.num_agpr, 0
	.set _ZN7rocprim17ROCPRIM_400000_NS6detail17trampoline_kernelINS0_14default_configENS1_38merge_sort_block_merge_config_selectorIjjEEZZNS1_27merge_sort_block_merge_implIS3_N6thrust23THRUST_200600_302600_NS6detail15normal_iteratorINS8_10device_ptrIjEEEESD_jNS1_19radix_merge_compareILb0ELb1EjNS0_19identity_decomposerEEEEE10hipError_tT0_T1_T2_jT3_P12ihipStream_tbPNSt15iterator_traitsISI_E10value_typeEPNSO_ISJ_E10value_typeEPSK_NS1_7vsmem_tEENKUlT_SI_SJ_SK_E_clIPjSD_S10_SD_EESH_SX_SI_SJ_SK_EUlSX_E0_NS1_11comp_targetILNS1_3genE0ELNS1_11target_archE4294967295ELNS1_3gpuE0ELNS1_3repE0EEENS1_38merge_mergepath_config_static_selectorELNS0_4arch9wavefront6targetE1EEEvSJ_.numbered_sgpr, 31
	.set _ZN7rocprim17ROCPRIM_400000_NS6detail17trampoline_kernelINS0_14default_configENS1_38merge_sort_block_merge_config_selectorIjjEEZZNS1_27merge_sort_block_merge_implIS3_N6thrust23THRUST_200600_302600_NS6detail15normal_iteratorINS8_10device_ptrIjEEEESD_jNS1_19radix_merge_compareILb0ELb1EjNS0_19identity_decomposerEEEEE10hipError_tT0_T1_T2_jT3_P12ihipStream_tbPNSt15iterator_traitsISI_E10value_typeEPNSO_ISJ_E10value_typeEPSK_NS1_7vsmem_tEENKUlT_SI_SJ_SK_E_clIPjSD_S10_SD_EESH_SX_SI_SJ_SK_EUlSX_E0_NS1_11comp_targetILNS1_3genE0ELNS1_11target_archE4294967295ELNS1_3gpuE0ELNS1_3repE0EEENS1_38merge_mergepath_config_static_selectorELNS0_4arch9wavefront6targetE1EEEvSJ_.num_named_barrier, 0
	.set _ZN7rocprim17ROCPRIM_400000_NS6detail17trampoline_kernelINS0_14default_configENS1_38merge_sort_block_merge_config_selectorIjjEEZZNS1_27merge_sort_block_merge_implIS3_N6thrust23THRUST_200600_302600_NS6detail15normal_iteratorINS8_10device_ptrIjEEEESD_jNS1_19radix_merge_compareILb0ELb1EjNS0_19identity_decomposerEEEEE10hipError_tT0_T1_T2_jT3_P12ihipStream_tbPNSt15iterator_traitsISI_E10value_typeEPNSO_ISJ_E10value_typeEPSK_NS1_7vsmem_tEENKUlT_SI_SJ_SK_E_clIPjSD_S10_SD_EESH_SX_SI_SJ_SK_EUlSX_E0_NS1_11comp_targetILNS1_3genE0ELNS1_11target_archE4294967295ELNS1_3gpuE0ELNS1_3repE0EEENS1_38merge_mergepath_config_static_selectorELNS0_4arch9wavefront6targetE1EEEvSJ_.private_seg_size, 0
	.set _ZN7rocprim17ROCPRIM_400000_NS6detail17trampoline_kernelINS0_14default_configENS1_38merge_sort_block_merge_config_selectorIjjEEZZNS1_27merge_sort_block_merge_implIS3_N6thrust23THRUST_200600_302600_NS6detail15normal_iteratorINS8_10device_ptrIjEEEESD_jNS1_19radix_merge_compareILb0ELb1EjNS0_19identity_decomposerEEEEE10hipError_tT0_T1_T2_jT3_P12ihipStream_tbPNSt15iterator_traitsISI_E10value_typeEPNSO_ISJ_E10value_typeEPSK_NS1_7vsmem_tEENKUlT_SI_SJ_SK_E_clIPjSD_S10_SD_EESH_SX_SI_SJ_SK_EUlSX_E0_NS1_11comp_targetILNS1_3genE0ELNS1_11target_archE4294967295ELNS1_3gpuE0ELNS1_3repE0EEENS1_38merge_mergepath_config_static_selectorELNS0_4arch9wavefront6targetE1EEEvSJ_.uses_vcc, 1
	.set _ZN7rocprim17ROCPRIM_400000_NS6detail17trampoline_kernelINS0_14default_configENS1_38merge_sort_block_merge_config_selectorIjjEEZZNS1_27merge_sort_block_merge_implIS3_N6thrust23THRUST_200600_302600_NS6detail15normal_iteratorINS8_10device_ptrIjEEEESD_jNS1_19radix_merge_compareILb0ELb1EjNS0_19identity_decomposerEEEEE10hipError_tT0_T1_T2_jT3_P12ihipStream_tbPNSt15iterator_traitsISI_E10value_typeEPNSO_ISJ_E10value_typeEPSK_NS1_7vsmem_tEENKUlT_SI_SJ_SK_E_clIPjSD_S10_SD_EESH_SX_SI_SJ_SK_EUlSX_E0_NS1_11comp_targetILNS1_3genE0ELNS1_11target_archE4294967295ELNS1_3gpuE0ELNS1_3repE0EEENS1_38merge_mergepath_config_static_selectorELNS0_4arch9wavefront6targetE1EEEvSJ_.uses_flat_scratch, 0
	.set _ZN7rocprim17ROCPRIM_400000_NS6detail17trampoline_kernelINS0_14default_configENS1_38merge_sort_block_merge_config_selectorIjjEEZZNS1_27merge_sort_block_merge_implIS3_N6thrust23THRUST_200600_302600_NS6detail15normal_iteratorINS8_10device_ptrIjEEEESD_jNS1_19radix_merge_compareILb0ELb1EjNS0_19identity_decomposerEEEEE10hipError_tT0_T1_T2_jT3_P12ihipStream_tbPNSt15iterator_traitsISI_E10value_typeEPNSO_ISJ_E10value_typeEPSK_NS1_7vsmem_tEENKUlT_SI_SJ_SK_E_clIPjSD_S10_SD_EESH_SX_SI_SJ_SK_EUlSX_E0_NS1_11comp_targetILNS1_3genE0ELNS1_11target_archE4294967295ELNS1_3gpuE0ELNS1_3repE0EEENS1_38merge_mergepath_config_static_selectorELNS0_4arch9wavefront6targetE1EEEvSJ_.has_dyn_sized_stack, 0
	.set _ZN7rocprim17ROCPRIM_400000_NS6detail17trampoline_kernelINS0_14default_configENS1_38merge_sort_block_merge_config_selectorIjjEEZZNS1_27merge_sort_block_merge_implIS3_N6thrust23THRUST_200600_302600_NS6detail15normal_iteratorINS8_10device_ptrIjEEEESD_jNS1_19radix_merge_compareILb0ELb1EjNS0_19identity_decomposerEEEEE10hipError_tT0_T1_T2_jT3_P12ihipStream_tbPNSt15iterator_traitsISI_E10value_typeEPNSO_ISJ_E10value_typeEPSK_NS1_7vsmem_tEENKUlT_SI_SJ_SK_E_clIPjSD_S10_SD_EESH_SX_SI_SJ_SK_EUlSX_E0_NS1_11comp_targetILNS1_3genE0ELNS1_11target_archE4294967295ELNS1_3gpuE0ELNS1_3repE0EEENS1_38merge_mergepath_config_static_selectorELNS0_4arch9wavefront6targetE1EEEvSJ_.has_recursion, 0
	.set _ZN7rocprim17ROCPRIM_400000_NS6detail17trampoline_kernelINS0_14default_configENS1_38merge_sort_block_merge_config_selectorIjjEEZZNS1_27merge_sort_block_merge_implIS3_N6thrust23THRUST_200600_302600_NS6detail15normal_iteratorINS8_10device_ptrIjEEEESD_jNS1_19radix_merge_compareILb0ELb1EjNS0_19identity_decomposerEEEEE10hipError_tT0_T1_T2_jT3_P12ihipStream_tbPNSt15iterator_traitsISI_E10value_typeEPNSO_ISJ_E10value_typeEPSK_NS1_7vsmem_tEENKUlT_SI_SJ_SK_E_clIPjSD_S10_SD_EESH_SX_SI_SJ_SK_EUlSX_E0_NS1_11comp_targetILNS1_3genE0ELNS1_11target_archE4294967295ELNS1_3gpuE0ELNS1_3repE0EEENS1_38merge_mergepath_config_static_selectorELNS0_4arch9wavefront6targetE1EEEvSJ_.has_indirect_call, 0
	.section	.AMDGPU.csdata,"",@progbits
; Kernel info:
; codeLenInByte = 2952
; TotalNumSgprs: 37
; NumVgprs: 20
; NumAgprs: 0
; TotalNumVgprs: 20
; ScratchSize: 0
; MemoryBound: 0
; FloatMode: 240
; IeeeMode: 1
; LDSByteSize: 4224 bytes/workgroup (compile time only)
; SGPRBlocks: 4
; VGPRBlocks: 2
; NumSGPRsForWavesPerEU: 37
; NumVGPRsForWavesPerEU: 20
; AccumOffset: 20
; Occupancy: 8
; WaveLimiterHint : 1
; COMPUTE_PGM_RSRC2:SCRATCH_EN: 0
; COMPUTE_PGM_RSRC2:USER_SGPR: 2
; COMPUTE_PGM_RSRC2:TRAP_HANDLER: 0
; COMPUTE_PGM_RSRC2:TGID_X_EN: 1
; COMPUTE_PGM_RSRC2:TGID_Y_EN: 1
; COMPUTE_PGM_RSRC2:TGID_Z_EN: 1
; COMPUTE_PGM_RSRC2:TIDIG_COMP_CNT: 0
; COMPUTE_PGM_RSRC3_GFX90A:ACCUM_OFFSET: 4
; COMPUTE_PGM_RSRC3_GFX90A:TG_SPLIT: 0
	.section	.text._ZN7rocprim17ROCPRIM_400000_NS6detail17trampoline_kernelINS0_14default_configENS1_38merge_sort_block_merge_config_selectorIjjEEZZNS1_27merge_sort_block_merge_implIS3_N6thrust23THRUST_200600_302600_NS6detail15normal_iteratorINS8_10device_ptrIjEEEESD_jNS1_19radix_merge_compareILb0ELb1EjNS0_19identity_decomposerEEEEE10hipError_tT0_T1_T2_jT3_P12ihipStream_tbPNSt15iterator_traitsISI_E10value_typeEPNSO_ISJ_E10value_typeEPSK_NS1_7vsmem_tEENKUlT_SI_SJ_SK_E_clIPjSD_S10_SD_EESH_SX_SI_SJ_SK_EUlSX_E0_NS1_11comp_targetILNS1_3genE10ELNS1_11target_archE1201ELNS1_3gpuE5ELNS1_3repE0EEENS1_38merge_mergepath_config_static_selectorELNS0_4arch9wavefront6targetE1EEEvSJ_,"axG",@progbits,_ZN7rocprim17ROCPRIM_400000_NS6detail17trampoline_kernelINS0_14default_configENS1_38merge_sort_block_merge_config_selectorIjjEEZZNS1_27merge_sort_block_merge_implIS3_N6thrust23THRUST_200600_302600_NS6detail15normal_iteratorINS8_10device_ptrIjEEEESD_jNS1_19radix_merge_compareILb0ELb1EjNS0_19identity_decomposerEEEEE10hipError_tT0_T1_T2_jT3_P12ihipStream_tbPNSt15iterator_traitsISI_E10value_typeEPNSO_ISJ_E10value_typeEPSK_NS1_7vsmem_tEENKUlT_SI_SJ_SK_E_clIPjSD_S10_SD_EESH_SX_SI_SJ_SK_EUlSX_E0_NS1_11comp_targetILNS1_3genE10ELNS1_11target_archE1201ELNS1_3gpuE5ELNS1_3repE0EEENS1_38merge_mergepath_config_static_selectorELNS0_4arch9wavefront6targetE1EEEvSJ_,comdat
	.protected	_ZN7rocprim17ROCPRIM_400000_NS6detail17trampoline_kernelINS0_14default_configENS1_38merge_sort_block_merge_config_selectorIjjEEZZNS1_27merge_sort_block_merge_implIS3_N6thrust23THRUST_200600_302600_NS6detail15normal_iteratorINS8_10device_ptrIjEEEESD_jNS1_19radix_merge_compareILb0ELb1EjNS0_19identity_decomposerEEEEE10hipError_tT0_T1_T2_jT3_P12ihipStream_tbPNSt15iterator_traitsISI_E10value_typeEPNSO_ISJ_E10value_typeEPSK_NS1_7vsmem_tEENKUlT_SI_SJ_SK_E_clIPjSD_S10_SD_EESH_SX_SI_SJ_SK_EUlSX_E0_NS1_11comp_targetILNS1_3genE10ELNS1_11target_archE1201ELNS1_3gpuE5ELNS1_3repE0EEENS1_38merge_mergepath_config_static_selectorELNS0_4arch9wavefront6targetE1EEEvSJ_ ; -- Begin function _ZN7rocprim17ROCPRIM_400000_NS6detail17trampoline_kernelINS0_14default_configENS1_38merge_sort_block_merge_config_selectorIjjEEZZNS1_27merge_sort_block_merge_implIS3_N6thrust23THRUST_200600_302600_NS6detail15normal_iteratorINS8_10device_ptrIjEEEESD_jNS1_19radix_merge_compareILb0ELb1EjNS0_19identity_decomposerEEEEE10hipError_tT0_T1_T2_jT3_P12ihipStream_tbPNSt15iterator_traitsISI_E10value_typeEPNSO_ISJ_E10value_typeEPSK_NS1_7vsmem_tEENKUlT_SI_SJ_SK_E_clIPjSD_S10_SD_EESH_SX_SI_SJ_SK_EUlSX_E0_NS1_11comp_targetILNS1_3genE10ELNS1_11target_archE1201ELNS1_3gpuE5ELNS1_3repE0EEENS1_38merge_mergepath_config_static_selectorELNS0_4arch9wavefront6targetE1EEEvSJ_
	.globl	_ZN7rocprim17ROCPRIM_400000_NS6detail17trampoline_kernelINS0_14default_configENS1_38merge_sort_block_merge_config_selectorIjjEEZZNS1_27merge_sort_block_merge_implIS3_N6thrust23THRUST_200600_302600_NS6detail15normal_iteratorINS8_10device_ptrIjEEEESD_jNS1_19radix_merge_compareILb0ELb1EjNS0_19identity_decomposerEEEEE10hipError_tT0_T1_T2_jT3_P12ihipStream_tbPNSt15iterator_traitsISI_E10value_typeEPNSO_ISJ_E10value_typeEPSK_NS1_7vsmem_tEENKUlT_SI_SJ_SK_E_clIPjSD_S10_SD_EESH_SX_SI_SJ_SK_EUlSX_E0_NS1_11comp_targetILNS1_3genE10ELNS1_11target_archE1201ELNS1_3gpuE5ELNS1_3repE0EEENS1_38merge_mergepath_config_static_selectorELNS0_4arch9wavefront6targetE1EEEvSJ_
	.p2align	8
	.type	_ZN7rocprim17ROCPRIM_400000_NS6detail17trampoline_kernelINS0_14default_configENS1_38merge_sort_block_merge_config_selectorIjjEEZZNS1_27merge_sort_block_merge_implIS3_N6thrust23THRUST_200600_302600_NS6detail15normal_iteratorINS8_10device_ptrIjEEEESD_jNS1_19radix_merge_compareILb0ELb1EjNS0_19identity_decomposerEEEEE10hipError_tT0_T1_T2_jT3_P12ihipStream_tbPNSt15iterator_traitsISI_E10value_typeEPNSO_ISJ_E10value_typeEPSK_NS1_7vsmem_tEENKUlT_SI_SJ_SK_E_clIPjSD_S10_SD_EESH_SX_SI_SJ_SK_EUlSX_E0_NS1_11comp_targetILNS1_3genE10ELNS1_11target_archE1201ELNS1_3gpuE5ELNS1_3repE0EEENS1_38merge_mergepath_config_static_selectorELNS0_4arch9wavefront6targetE1EEEvSJ_,@function
_ZN7rocprim17ROCPRIM_400000_NS6detail17trampoline_kernelINS0_14default_configENS1_38merge_sort_block_merge_config_selectorIjjEEZZNS1_27merge_sort_block_merge_implIS3_N6thrust23THRUST_200600_302600_NS6detail15normal_iteratorINS8_10device_ptrIjEEEESD_jNS1_19radix_merge_compareILb0ELb1EjNS0_19identity_decomposerEEEEE10hipError_tT0_T1_T2_jT3_P12ihipStream_tbPNSt15iterator_traitsISI_E10value_typeEPNSO_ISJ_E10value_typeEPSK_NS1_7vsmem_tEENKUlT_SI_SJ_SK_E_clIPjSD_S10_SD_EESH_SX_SI_SJ_SK_EUlSX_E0_NS1_11comp_targetILNS1_3genE10ELNS1_11target_archE1201ELNS1_3gpuE5ELNS1_3repE0EEENS1_38merge_mergepath_config_static_selectorELNS0_4arch9wavefront6targetE1EEEvSJ_: ; @_ZN7rocprim17ROCPRIM_400000_NS6detail17trampoline_kernelINS0_14default_configENS1_38merge_sort_block_merge_config_selectorIjjEEZZNS1_27merge_sort_block_merge_implIS3_N6thrust23THRUST_200600_302600_NS6detail15normal_iteratorINS8_10device_ptrIjEEEESD_jNS1_19radix_merge_compareILb0ELb1EjNS0_19identity_decomposerEEEEE10hipError_tT0_T1_T2_jT3_P12ihipStream_tbPNSt15iterator_traitsISI_E10value_typeEPNSO_ISJ_E10value_typeEPSK_NS1_7vsmem_tEENKUlT_SI_SJ_SK_E_clIPjSD_S10_SD_EESH_SX_SI_SJ_SK_EUlSX_E0_NS1_11comp_targetILNS1_3genE10ELNS1_11target_archE1201ELNS1_3gpuE5ELNS1_3repE0EEENS1_38merge_mergepath_config_static_selectorELNS0_4arch9wavefront6targetE1EEEvSJ_
; %bb.0:
	.section	.rodata,"a",@progbits
	.p2align	6, 0x0
	.amdhsa_kernel _ZN7rocprim17ROCPRIM_400000_NS6detail17trampoline_kernelINS0_14default_configENS1_38merge_sort_block_merge_config_selectorIjjEEZZNS1_27merge_sort_block_merge_implIS3_N6thrust23THRUST_200600_302600_NS6detail15normal_iteratorINS8_10device_ptrIjEEEESD_jNS1_19radix_merge_compareILb0ELb1EjNS0_19identity_decomposerEEEEE10hipError_tT0_T1_T2_jT3_P12ihipStream_tbPNSt15iterator_traitsISI_E10value_typeEPNSO_ISJ_E10value_typeEPSK_NS1_7vsmem_tEENKUlT_SI_SJ_SK_E_clIPjSD_S10_SD_EESH_SX_SI_SJ_SK_EUlSX_E0_NS1_11comp_targetILNS1_3genE10ELNS1_11target_archE1201ELNS1_3gpuE5ELNS1_3repE0EEENS1_38merge_mergepath_config_static_selectorELNS0_4arch9wavefront6targetE1EEEvSJ_
		.amdhsa_group_segment_fixed_size 0
		.amdhsa_private_segment_fixed_size 0
		.amdhsa_kernarg_size 64
		.amdhsa_user_sgpr_count 2
		.amdhsa_user_sgpr_dispatch_ptr 0
		.amdhsa_user_sgpr_queue_ptr 0
		.amdhsa_user_sgpr_kernarg_segment_ptr 1
		.amdhsa_user_sgpr_dispatch_id 0
		.amdhsa_user_sgpr_kernarg_preload_length 0
		.amdhsa_user_sgpr_kernarg_preload_offset 0
		.amdhsa_user_sgpr_private_segment_size 0
		.amdhsa_uses_dynamic_stack 0
		.amdhsa_enable_private_segment 0
		.amdhsa_system_sgpr_workgroup_id_x 1
		.amdhsa_system_sgpr_workgroup_id_y 0
		.amdhsa_system_sgpr_workgroup_id_z 0
		.amdhsa_system_sgpr_workgroup_info 0
		.amdhsa_system_vgpr_workitem_id 0
		.amdhsa_next_free_vgpr 1
		.amdhsa_next_free_sgpr 0
		.amdhsa_accum_offset 4
		.amdhsa_reserve_vcc 0
		.amdhsa_float_round_mode_32 0
		.amdhsa_float_round_mode_16_64 0
		.amdhsa_float_denorm_mode_32 3
		.amdhsa_float_denorm_mode_16_64 3
		.amdhsa_dx10_clamp 1
		.amdhsa_ieee_mode 1
		.amdhsa_fp16_overflow 0
		.amdhsa_tg_split 0
		.amdhsa_exception_fp_ieee_invalid_op 0
		.amdhsa_exception_fp_denorm_src 0
		.amdhsa_exception_fp_ieee_div_zero 0
		.amdhsa_exception_fp_ieee_overflow 0
		.amdhsa_exception_fp_ieee_underflow 0
		.amdhsa_exception_fp_ieee_inexact 0
		.amdhsa_exception_int_div_zero 0
	.end_amdhsa_kernel
	.section	.text._ZN7rocprim17ROCPRIM_400000_NS6detail17trampoline_kernelINS0_14default_configENS1_38merge_sort_block_merge_config_selectorIjjEEZZNS1_27merge_sort_block_merge_implIS3_N6thrust23THRUST_200600_302600_NS6detail15normal_iteratorINS8_10device_ptrIjEEEESD_jNS1_19radix_merge_compareILb0ELb1EjNS0_19identity_decomposerEEEEE10hipError_tT0_T1_T2_jT3_P12ihipStream_tbPNSt15iterator_traitsISI_E10value_typeEPNSO_ISJ_E10value_typeEPSK_NS1_7vsmem_tEENKUlT_SI_SJ_SK_E_clIPjSD_S10_SD_EESH_SX_SI_SJ_SK_EUlSX_E0_NS1_11comp_targetILNS1_3genE10ELNS1_11target_archE1201ELNS1_3gpuE5ELNS1_3repE0EEENS1_38merge_mergepath_config_static_selectorELNS0_4arch9wavefront6targetE1EEEvSJ_,"axG",@progbits,_ZN7rocprim17ROCPRIM_400000_NS6detail17trampoline_kernelINS0_14default_configENS1_38merge_sort_block_merge_config_selectorIjjEEZZNS1_27merge_sort_block_merge_implIS3_N6thrust23THRUST_200600_302600_NS6detail15normal_iteratorINS8_10device_ptrIjEEEESD_jNS1_19radix_merge_compareILb0ELb1EjNS0_19identity_decomposerEEEEE10hipError_tT0_T1_T2_jT3_P12ihipStream_tbPNSt15iterator_traitsISI_E10value_typeEPNSO_ISJ_E10value_typeEPSK_NS1_7vsmem_tEENKUlT_SI_SJ_SK_E_clIPjSD_S10_SD_EESH_SX_SI_SJ_SK_EUlSX_E0_NS1_11comp_targetILNS1_3genE10ELNS1_11target_archE1201ELNS1_3gpuE5ELNS1_3repE0EEENS1_38merge_mergepath_config_static_selectorELNS0_4arch9wavefront6targetE1EEEvSJ_,comdat
.Lfunc_end685:
	.size	_ZN7rocprim17ROCPRIM_400000_NS6detail17trampoline_kernelINS0_14default_configENS1_38merge_sort_block_merge_config_selectorIjjEEZZNS1_27merge_sort_block_merge_implIS3_N6thrust23THRUST_200600_302600_NS6detail15normal_iteratorINS8_10device_ptrIjEEEESD_jNS1_19radix_merge_compareILb0ELb1EjNS0_19identity_decomposerEEEEE10hipError_tT0_T1_T2_jT3_P12ihipStream_tbPNSt15iterator_traitsISI_E10value_typeEPNSO_ISJ_E10value_typeEPSK_NS1_7vsmem_tEENKUlT_SI_SJ_SK_E_clIPjSD_S10_SD_EESH_SX_SI_SJ_SK_EUlSX_E0_NS1_11comp_targetILNS1_3genE10ELNS1_11target_archE1201ELNS1_3gpuE5ELNS1_3repE0EEENS1_38merge_mergepath_config_static_selectorELNS0_4arch9wavefront6targetE1EEEvSJ_, .Lfunc_end685-_ZN7rocprim17ROCPRIM_400000_NS6detail17trampoline_kernelINS0_14default_configENS1_38merge_sort_block_merge_config_selectorIjjEEZZNS1_27merge_sort_block_merge_implIS3_N6thrust23THRUST_200600_302600_NS6detail15normal_iteratorINS8_10device_ptrIjEEEESD_jNS1_19radix_merge_compareILb0ELb1EjNS0_19identity_decomposerEEEEE10hipError_tT0_T1_T2_jT3_P12ihipStream_tbPNSt15iterator_traitsISI_E10value_typeEPNSO_ISJ_E10value_typeEPSK_NS1_7vsmem_tEENKUlT_SI_SJ_SK_E_clIPjSD_S10_SD_EESH_SX_SI_SJ_SK_EUlSX_E0_NS1_11comp_targetILNS1_3genE10ELNS1_11target_archE1201ELNS1_3gpuE5ELNS1_3repE0EEENS1_38merge_mergepath_config_static_selectorELNS0_4arch9wavefront6targetE1EEEvSJ_
                                        ; -- End function
	.set _ZN7rocprim17ROCPRIM_400000_NS6detail17trampoline_kernelINS0_14default_configENS1_38merge_sort_block_merge_config_selectorIjjEEZZNS1_27merge_sort_block_merge_implIS3_N6thrust23THRUST_200600_302600_NS6detail15normal_iteratorINS8_10device_ptrIjEEEESD_jNS1_19radix_merge_compareILb0ELb1EjNS0_19identity_decomposerEEEEE10hipError_tT0_T1_T2_jT3_P12ihipStream_tbPNSt15iterator_traitsISI_E10value_typeEPNSO_ISJ_E10value_typeEPSK_NS1_7vsmem_tEENKUlT_SI_SJ_SK_E_clIPjSD_S10_SD_EESH_SX_SI_SJ_SK_EUlSX_E0_NS1_11comp_targetILNS1_3genE10ELNS1_11target_archE1201ELNS1_3gpuE5ELNS1_3repE0EEENS1_38merge_mergepath_config_static_selectorELNS0_4arch9wavefront6targetE1EEEvSJ_.num_vgpr, 0
	.set _ZN7rocprim17ROCPRIM_400000_NS6detail17trampoline_kernelINS0_14default_configENS1_38merge_sort_block_merge_config_selectorIjjEEZZNS1_27merge_sort_block_merge_implIS3_N6thrust23THRUST_200600_302600_NS6detail15normal_iteratorINS8_10device_ptrIjEEEESD_jNS1_19radix_merge_compareILb0ELb1EjNS0_19identity_decomposerEEEEE10hipError_tT0_T1_T2_jT3_P12ihipStream_tbPNSt15iterator_traitsISI_E10value_typeEPNSO_ISJ_E10value_typeEPSK_NS1_7vsmem_tEENKUlT_SI_SJ_SK_E_clIPjSD_S10_SD_EESH_SX_SI_SJ_SK_EUlSX_E0_NS1_11comp_targetILNS1_3genE10ELNS1_11target_archE1201ELNS1_3gpuE5ELNS1_3repE0EEENS1_38merge_mergepath_config_static_selectorELNS0_4arch9wavefront6targetE1EEEvSJ_.num_agpr, 0
	.set _ZN7rocprim17ROCPRIM_400000_NS6detail17trampoline_kernelINS0_14default_configENS1_38merge_sort_block_merge_config_selectorIjjEEZZNS1_27merge_sort_block_merge_implIS3_N6thrust23THRUST_200600_302600_NS6detail15normal_iteratorINS8_10device_ptrIjEEEESD_jNS1_19radix_merge_compareILb0ELb1EjNS0_19identity_decomposerEEEEE10hipError_tT0_T1_T2_jT3_P12ihipStream_tbPNSt15iterator_traitsISI_E10value_typeEPNSO_ISJ_E10value_typeEPSK_NS1_7vsmem_tEENKUlT_SI_SJ_SK_E_clIPjSD_S10_SD_EESH_SX_SI_SJ_SK_EUlSX_E0_NS1_11comp_targetILNS1_3genE10ELNS1_11target_archE1201ELNS1_3gpuE5ELNS1_3repE0EEENS1_38merge_mergepath_config_static_selectorELNS0_4arch9wavefront6targetE1EEEvSJ_.numbered_sgpr, 0
	.set _ZN7rocprim17ROCPRIM_400000_NS6detail17trampoline_kernelINS0_14default_configENS1_38merge_sort_block_merge_config_selectorIjjEEZZNS1_27merge_sort_block_merge_implIS3_N6thrust23THRUST_200600_302600_NS6detail15normal_iteratorINS8_10device_ptrIjEEEESD_jNS1_19radix_merge_compareILb0ELb1EjNS0_19identity_decomposerEEEEE10hipError_tT0_T1_T2_jT3_P12ihipStream_tbPNSt15iterator_traitsISI_E10value_typeEPNSO_ISJ_E10value_typeEPSK_NS1_7vsmem_tEENKUlT_SI_SJ_SK_E_clIPjSD_S10_SD_EESH_SX_SI_SJ_SK_EUlSX_E0_NS1_11comp_targetILNS1_3genE10ELNS1_11target_archE1201ELNS1_3gpuE5ELNS1_3repE0EEENS1_38merge_mergepath_config_static_selectorELNS0_4arch9wavefront6targetE1EEEvSJ_.num_named_barrier, 0
	.set _ZN7rocprim17ROCPRIM_400000_NS6detail17trampoline_kernelINS0_14default_configENS1_38merge_sort_block_merge_config_selectorIjjEEZZNS1_27merge_sort_block_merge_implIS3_N6thrust23THRUST_200600_302600_NS6detail15normal_iteratorINS8_10device_ptrIjEEEESD_jNS1_19radix_merge_compareILb0ELb1EjNS0_19identity_decomposerEEEEE10hipError_tT0_T1_T2_jT3_P12ihipStream_tbPNSt15iterator_traitsISI_E10value_typeEPNSO_ISJ_E10value_typeEPSK_NS1_7vsmem_tEENKUlT_SI_SJ_SK_E_clIPjSD_S10_SD_EESH_SX_SI_SJ_SK_EUlSX_E0_NS1_11comp_targetILNS1_3genE10ELNS1_11target_archE1201ELNS1_3gpuE5ELNS1_3repE0EEENS1_38merge_mergepath_config_static_selectorELNS0_4arch9wavefront6targetE1EEEvSJ_.private_seg_size, 0
	.set _ZN7rocprim17ROCPRIM_400000_NS6detail17trampoline_kernelINS0_14default_configENS1_38merge_sort_block_merge_config_selectorIjjEEZZNS1_27merge_sort_block_merge_implIS3_N6thrust23THRUST_200600_302600_NS6detail15normal_iteratorINS8_10device_ptrIjEEEESD_jNS1_19radix_merge_compareILb0ELb1EjNS0_19identity_decomposerEEEEE10hipError_tT0_T1_T2_jT3_P12ihipStream_tbPNSt15iterator_traitsISI_E10value_typeEPNSO_ISJ_E10value_typeEPSK_NS1_7vsmem_tEENKUlT_SI_SJ_SK_E_clIPjSD_S10_SD_EESH_SX_SI_SJ_SK_EUlSX_E0_NS1_11comp_targetILNS1_3genE10ELNS1_11target_archE1201ELNS1_3gpuE5ELNS1_3repE0EEENS1_38merge_mergepath_config_static_selectorELNS0_4arch9wavefront6targetE1EEEvSJ_.uses_vcc, 0
	.set _ZN7rocprim17ROCPRIM_400000_NS6detail17trampoline_kernelINS0_14default_configENS1_38merge_sort_block_merge_config_selectorIjjEEZZNS1_27merge_sort_block_merge_implIS3_N6thrust23THRUST_200600_302600_NS6detail15normal_iteratorINS8_10device_ptrIjEEEESD_jNS1_19radix_merge_compareILb0ELb1EjNS0_19identity_decomposerEEEEE10hipError_tT0_T1_T2_jT3_P12ihipStream_tbPNSt15iterator_traitsISI_E10value_typeEPNSO_ISJ_E10value_typeEPSK_NS1_7vsmem_tEENKUlT_SI_SJ_SK_E_clIPjSD_S10_SD_EESH_SX_SI_SJ_SK_EUlSX_E0_NS1_11comp_targetILNS1_3genE10ELNS1_11target_archE1201ELNS1_3gpuE5ELNS1_3repE0EEENS1_38merge_mergepath_config_static_selectorELNS0_4arch9wavefront6targetE1EEEvSJ_.uses_flat_scratch, 0
	.set _ZN7rocprim17ROCPRIM_400000_NS6detail17trampoline_kernelINS0_14default_configENS1_38merge_sort_block_merge_config_selectorIjjEEZZNS1_27merge_sort_block_merge_implIS3_N6thrust23THRUST_200600_302600_NS6detail15normal_iteratorINS8_10device_ptrIjEEEESD_jNS1_19radix_merge_compareILb0ELb1EjNS0_19identity_decomposerEEEEE10hipError_tT0_T1_T2_jT3_P12ihipStream_tbPNSt15iterator_traitsISI_E10value_typeEPNSO_ISJ_E10value_typeEPSK_NS1_7vsmem_tEENKUlT_SI_SJ_SK_E_clIPjSD_S10_SD_EESH_SX_SI_SJ_SK_EUlSX_E0_NS1_11comp_targetILNS1_3genE10ELNS1_11target_archE1201ELNS1_3gpuE5ELNS1_3repE0EEENS1_38merge_mergepath_config_static_selectorELNS0_4arch9wavefront6targetE1EEEvSJ_.has_dyn_sized_stack, 0
	.set _ZN7rocprim17ROCPRIM_400000_NS6detail17trampoline_kernelINS0_14default_configENS1_38merge_sort_block_merge_config_selectorIjjEEZZNS1_27merge_sort_block_merge_implIS3_N6thrust23THRUST_200600_302600_NS6detail15normal_iteratorINS8_10device_ptrIjEEEESD_jNS1_19radix_merge_compareILb0ELb1EjNS0_19identity_decomposerEEEEE10hipError_tT0_T1_T2_jT3_P12ihipStream_tbPNSt15iterator_traitsISI_E10value_typeEPNSO_ISJ_E10value_typeEPSK_NS1_7vsmem_tEENKUlT_SI_SJ_SK_E_clIPjSD_S10_SD_EESH_SX_SI_SJ_SK_EUlSX_E0_NS1_11comp_targetILNS1_3genE10ELNS1_11target_archE1201ELNS1_3gpuE5ELNS1_3repE0EEENS1_38merge_mergepath_config_static_selectorELNS0_4arch9wavefront6targetE1EEEvSJ_.has_recursion, 0
	.set _ZN7rocprim17ROCPRIM_400000_NS6detail17trampoline_kernelINS0_14default_configENS1_38merge_sort_block_merge_config_selectorIjjEEZZNS1_27merge_sort_block_merge_implIS3_N6thrust23THRUST_200600_302600_NS6detail15normal_iteratorINS8_10device_ptrIjEEEESD_jNS1_19radix_merge_compareILb0ELb1EjNS0_19identity_decomposerEEEEE10hipError_tT0_T1_T2_jT3_P12ihipStream_tbPNSt15iterator_traitsISI_E10value_typeEPNSO_ISJ_E10value_typeEPSK_NS1_7vsmem_tEENKUlT_SI_SJ_SK_E_clIPjSD_S10_SD_EESH_SX_SI_SJ_SK_EUlSX_E0_NS1_11comp_targetILNS1_3genE10ELNS1_11target_archE1201ELNS1_3gpuE5ELNS1_3repE0EEENS1_38merge_mergepath_config_static_selectorELNS0_4arch9wavefront6targetE1EEEvSJ_.has_indirect_call, 0
	.section	.AMDGPU.csdata,"",@progbits
; Kernel info:
; codeLenInByte = 0
; TotalNumSgprs: 6
; NumVgprs: 0
; NumAgprs: 0
; TotalNumVgprs: 0
; ScratchSize: 0
; MemoryBound: 0
; FloatMode: 240
; IeeeMode: 1
; LDSByteSize: 0 bytes/workgroup (compile time only)
; SGPRBlocks: 0
; VGPRBlocks: 0
; NumSGPRsForWavesPerEU: 6
; NumVGPRsForWavesPerEU: 1
; AccumOffset: 4
; Occupancy: 8
; WaveLimiterHint : 0
; COMPUTE_PGM_RSRC2:SCRATCH_EN: 0
; COMPUTE_PGM_RSRC2:USER_SGPR: 2
; COMPUTE_PGM_RSRC2:TRAP_HANDLER: 0
; COMPUTE_PGM_RSRC2:TGID_X_EN: 1
; COMPUTE_PGM_RSRC2:TGID_Y_EN: 0
; COMPUTE_PGM_RSRC2:TGID_Z_EN: 0
; COMPUTE_PGM_RSRC2:TIDIG_COMP_CNT: 0
; COMPUTE_PGM_RSRC3_GFX90A:ACCUM_OFFSET: 0
; COMPUTE_PGM_RSRC3_GFX90A:TG_SPLIT: 0
	.section	.text._ZN7rocprim17ROCPRIM_400000_NS6detail17trampoline_kernelINS0_14default_configENS1_38merge_sort_block_merge_config_selectorIjjEEZZNS1_27merge_sort_block_merge_implIS3_N6thrust23THRUST_200600_302600_NS6detail15normal_iteratorINS8_10device_ptrIjEEEESD_jNS1_19radix_merge_compareILb0ELb1EjNS0_19identity_decomposerEEEEE10hipError_tT0_T1_T2_jT3_P12ihipStream_tbPNSt15iterator_traitsISI_E10value_typeEPNSO_ISJ_E10value_typeEPSK_NS1_7vsmem_tEENKUlT_SI_SJ_SK_E_clIPjSD_S10_SD_EESH_SX_SI_SJ_SK_EUlSX_E0_NS1_11comp_targetILNS1_3genE5ELNS1_11target_archE942ELNS1_3gpuE9ELNS1_3repE0EEENS1_38merge_mergepath_config_static_selectorELNS0_4arch9wavefront6targetE1EEEvSJ_,"axG",@progbits,_ZN7rocprim17ROCPRIM_400000_NS6detail17trampoline_kernelINS0_14default_configENS1_38merge_sort_block_merge_config_selectorIjjEEZZNS1_27merge_sort_block_merge_implIS3_N6thrust23THRUST_200600_302600_NS6detail15normal_iteratorINS8_10device_ptrIjEEEESD_jNS1_19radix_merge_compareILb0ELb1EjNS0_19identity_decomposerEEEEE10hipError_tT0_T1_T2_jT3_P12ihipStream_tbPNSt15iterator_traitsISI_E10value_typeEPNSO_ISJ_E10value_typeEPSK_NS1_7vsmem_tEENKUlT_SI_SJ_SK_E_clIPjSD_S10_SD_EESH_SX_SI_SJ_SK_EUlSX_E0_NS1_11comp_targetILNS1_3genE5ELNS1_11target_archE942ELNS1_3gpuE9ELNS1_3repE0EEENS1_38merge_mergepath_config_static_selectorELNS0_4arch9wavefront6targetE1EEEvSJ_,comdat
	.protected	_ZN7rocprim17ROCPRIM_400000_NS6detail17trampoline_kernelINS0_14default_configENS1_38merge_sort_block_merge_config_selectorIjjEEZZNS1_27merge_sort_block_merge_implIS3_N6thrust23THRUST_200600_302600_NS6detail15normal_iteratorINS8_10device_ptrIjEEEESD_jNS1_19radix_merge_compareILb0ELb1EjNS0_19identity_decomposerEEEEE10hipError_tT0_T1_T2_jT3_P12ihipStream_tbPNSt15iterator_traitsISI_E10value_typeEPNSO_ISJ_E10value_typeEPSK_NS1_7vsmem_tEENKUlT_SI_SJ_SK_E_clIPjSD_S10_SD_EESH_SX_SI_SJ_SK_EUlSX_E0_NS1_11comp_targetILNS1_3genE5ELNS1_11target_archE942ELNS1_3gpuE9ELNS1_3repE0EEENS1_38merge_mergepath_config_static_selectorELNS0_4arch9wavefront6targetE1EEEvSJ_ ; -- Begin function _ZN7rocprim17ROCPRIM_400000_NS6detail17trampoline_kernelINS0_14default_configENS1_38merge_sort_block_merge_config_selectorIjjEEZZNS1_27merge_sort_block_merge_implIS3_N6thrust23THRUST_200600_302600_NS6detail15normal_iteratorINS8_10device_ptrIjEEEESD_jNS1_19radix_merge_compareILb0ELb1EjNS0_19identity_decomposerEEEEE10hipError_tT0_T1_T2_jT3_P12ihipStream_tbPNSt15iterator_traitsISI_E10value_typeEPNSO_ISJ_E10value_typeEPSK_NS1_7vsmem_tEENKUlT_SI_SJ_SK_E_clIPjSD_S10_SD_EESH_SX_SI_SJ_SK_EUlSX_E0_NS1_11comp_targetILNS1_3genE5ELNS1_11target_archE942ELNS1_3gpuE9ELNS1_3repE0EEENS1_38merge_mergepath_config_static_selectorELNS0_4arch9wavefront6targetE1EEEvSJ_
	.globl	_ZN7rocprim17ROCPRIM_400000_NS6detail17trampoline_kernelINS0_14default_configENS1_38merge_sort_block_merge_config_selectorIjjEEZZNS1_27merge_sort_block_merge_implIS3_N6thrust23THRUST_200600_302600_NS6detail15normal_iteratorINS8_10device_ptrIjEEEESD_jNS1_19radix_merge_compareILb0ELb1EjNS0_19identity_decomposerEEEEE10hipError_tT0_T1_T2_jT3_P12ihipStream_tbPNSt15iterator_traitsISI_E10value_typeEPNSO_ISJ_E10value_typeEPSK_NS1_7vsmem_tEENKUlT_SI_SJ_SK_E_clIPjSD_S10_SD_EESH_SX_SI_SJ_SK_EUlSX_E0_NS1_11comp_targetILNS1_3genE5ELNS1_11target_archE942ELNS1_3gpuE9ELNS1_3repE0EEENS1_38merge_mergepath_config_static_selectorELNS0_4arch9wavefront6targetE1EEEvSJ_
	.p2align	8
	.type	_ZN7rocprim17ROCPRIM_400000_NS6detail17trampoline_kernelINS0_14default_configENS1_38merge_sort_block_merge_config_selectorIjjEEZZNS1_27merge_sort_block_merge_implIS3_N6thrust23THRUST_200600_302600_NS6detail15normal_iteratorINS8_10device_ptrIjEEEESD_jNS1_19radix_merge_compareILb0ELb1EjNS0_19identity_decomposerEEEEE10hipError_tT0_T1_T2_jT3_P12ihipStream_tbPNSt15iterator_traitsISI_E10value_typeEPNSO_ISJ_E10value_typeEPSK_NS1_7vsmem_tEENKUlT_SI_SJ_SK_E_clIPjSD_S10_SD_EESH_SX_SI_SJ_SK_EUlSX_E0_NS1_11comp_targetILNS1_3genE5ELNS1_11target_archE942ELNS1_3gpuE9ELNS1_3repE0EEENS1_38merge_mergepath_config_static_selectorELNS0_4arch9wavefront6targetE1EEEvSJ_,@function
_ZN7rocprim17ROCPRIM_400000_NS6detail17trampoline_kernelINS0_14default_configENS1_38merge_sort_block_merge_config_selectorIjjEEZZNS1_27merge_sort_block_merge_implIS3_N6thrust23THRUST_200600_302600_NS6detail15normal_iteratorINS8_10device_ptrIjEEEESD_jNS1_19radix_merge_compareILb0ELb1EjNS0_19identity_decomposerEEEEE10hipError_tT0_T1_T2_jT3_P12ihipStream_tbPNSt15iterator_traitsISI_E10value_typeEPNSO_ISJ_E10value_typeEPSK_NS1_7vsmem_tEENKUlT_SI_SJ_SK_E_clIPjSD_S10_SD_EESH_SX_SI_SJ_SK_EUlSX_E0_NS1_11comp_targetILNS1_3genE5ELNS1_11target_archE942ELNS1_3gpuE9ELNS1_3repE0EEENS1_38merge_mergepath_config_static_selectorELNS0_4arch9wavefront6targetE1EEEvSJ_: ; @_ZN7rocprim17ROCPRIM_400000_NS6detail17trampoline_kernelINS0_14default_configENS1_38merge_sort_block_merge_config_selectorIjjEEZZNS1_27merge_sort_block_merge_implIS3_N6thrust23THRUST_200600_302600_NS6detail15normal_iteratorINS8_10device_ptrIjEEEESD_jNS1_19radix_merge_compareILb0ELb1EjNS0_19identity_decomposerEEEEE10hipError_tT0_T1_T2_jT3_P12ihipStream_tbPNSt15iterator_traitsISI_E10value_typeEPNSO_ISJ_E10value_typeEPSK_NS1_7vsmem_tEENKUlT_SI_SJ_SK_E_clIPjSD_S10_SD_EESH_SX_SI_SJ_SK_EUlSX_E0_NS1_11comp_targetILNS1_3genE5ELNS1_11target_archE942ELNS1_3gpuE9ELNS1_3repE0EEENS1_38merge_mergepath_config_static_selectorELNS0_4arch9wavefront6targetE1EEEvSJ_
; %bb.0:
	.section	.rodata,"a",@progbits
	.p2align	6, 0x0
	.amdhsa_kernel _ZN7rocprim17ROCPRIM_400000_NS6detail17trampoline_kernelINS0_14default_configENS1_38merge_sort_block_merge_config_selectorIjjEEZZNS1_27merge_sort_block_merge_implIS3_N6thrust23THRUST_200600_302600_NS6detail15normal_iteratorINS8_10device_ptrIjEEEESD_jNS1_19radix_merge_compareILb0ELb1EjNS0_19identity_decomposerEEEEE10hipError_tT0_T1_T2_jT3_P12ihipStream_tbPNSt15iterator_traitsISI_E10value_typeEPNSO_ISJ_E10value_typeEPSK_NS1_7vsmem_tEENKUlT_SI_SJ_SK_E_clIPjSD_S10_SD_EESH_SX_SI_SJ_SK_EUlSX_E0_NS1_11comp_targetILNS1_3genE5ELNS1_11target_archE942ELNS1_3gpuE9ELNS1_3repE0EEENS1_38merge_mergepath_config_static_selectorELNS0_4arch9wavefront6targetE1EEEvSJ_
		.amdhsa_group_segment_fixed_size 0
		.amdhsa_private_segment_fixed_size 0
		.amdhsa_kernarg_size 64
		.amdhsa_user_sgpr_count 2
		.amdhsa_user_sgpr_dispatch_ptr 0
		.amdhsa_user_sgpr_queue_ptr 0
		.amdhsa_user_sgpr_kernarg_segment_ptr 1
		.amdhsa_user_sgpr_dispatch_id 0
		.amdhsa_user_sgpr_kernarg_preload_length 0
		.amdhsa_user_sgpr_kernarg_preload_offset 0
		.amdhsa_user_sgpr_private_segment_size 0
		.amdhsa_uses_dynamic_stack 0
		.amdhsa_enable_private_segment 0
		.amdhsa_system_sgpr_workgroup_id_x 1
		.amdhsa_system_sgpr_workgroup_id_y 0
		.amdhsa_system_sgpr_workgroup_id_z 0
		.amdhsa_system_sgpr_workgroup_info 0
		.amdhsa_system_vgpr_workitem_id 0
		.amdhsa_next_free_vgpr 1
		.amdhsa_next_free_sgpr 0
		.amdhsa_accum_offset 4
		.amdhsa_reserve_vcc 0
		.amdhsa_float_round_mode_32 0
		.amdhsa_float_round_mode_16_64 0
		.amdhsa_float_denorm_mode_32 3
		.amdhsa_float_denorm_mode_16_64 3
		.amdhsa_dx10_clamp 1
		.amdhsa_ieee_mode 1
		.amdhsa_fp16_overflow 0
		.amdhsa_tg_split 0
		.amdhsa_exception_fp_ieee_invalid_op 0
		.amdhsa_exception_fp_denorm_src 0
		.amdhsa_exception_fp_ieee_div_zero 0
		.amdhsa_exception_fp_ieee_overflow 0
		.amdhsa_exception_fp_ieee_underflow 0
		.amdhsa_exception_fp_ieee_inexact 0
		.amdhsa_exception_int_div_zero 0
	.end_amdhsa_kernel
	.section	.text._ZN7rocprim17ROCPRIM_400000_NS6detail17trampoline_kernelINS0_14default_configENS1_38merge_sort_block_merge_config_selectorIjjEEZZNS1_27merge_sort_block_merge_implIS3_N6thrust23THRUST_200600_302600_NS6detail15normal_iteratorINS8_10device_ptrIjEEEESD_jNS1_19radix_merge_compareILb0ELb1EjNS0_19identity_decomposerEEEEE10hipError_tT0_T1_T2_jT3_P12ihipStream_tbPNSt15iterator_traitsISI_E10value_typeEPNSO_ISJ_E10value_typeEPSK_NS1_7vsmem_tEENKUlT_SI_SJ_SK_E_clIPjSD_S10_SD_EESH_SX_SI_SJ_SK_EUlSX_E0_NS1_11comp_targetILNS1_3genE5ELNS1_11target_archE942ELNS1_3gpuE9ELNS1_3repE0EEENS1_38merge_mergepath_config_static_selectorELNS0_4arch9wavefront6targetE1EEEvSJ_,"axG",@progbits,_ZN7rocprim17ROCPRIM_400000_NS6detail17trampoline_kernelINS0_14default_configENS1_38merge_sort_block_merge_config_selectorIjjEEZZNS1_27merge_sort_block_merge_implIS3_N6thrust23THRUST_200600_302600_NS6detail15normal_iteratorINS8_10device_ptrIjEEEESD_jNS1_19radix_merge_compareILb0ELb1EjNS0_19identity_decomposerEEEEE10hipError_tT0_T1_T2_jT3_P12ihipStream_tbPNSt15iterator_traitsISI_E10value_typeEPNSO_ISJ_E10value_typeEPSK_NS1_7vsmem_tEENKUlT_SI_SJ_SK_E_clIPjSD_S10_SD_EESH_SX_SI_SJ_SK_EUlSX_E0_NS1_11comp_targetILNS1_3genE5ELNS1_11target_archE942ELNS1_3gpuE9ELNS1_3repE0EEENS1_38merge_mergepath_config_static_selectorELNS0_4arch9wavefront6targetE1EEEvSJ_,comdat
.Lfunc_end686:
	.size	_ZN7rocprim17ROCPRIM_400000_NS6detail17trampoline_kernelINS0_14default_configENS1_38merge_sort_block_merge_config_selectorIjjEEZZNS1_27merge_sort_block_merge_implIS3_N6thrust23THRUST_200600_302600_NS6detail15normal_iteratorINS8_10device_ptrIjEEEESD_jNS1_19radix_merge_compareILb0ELb1EjNS0_19identity_decomposerEEEEE10hipError_tT0_T1_T2_jT3_P12ihipStream_tbPNSt15iterator_traitsISI_E10value_typeEPNSO_ISJ_E10value_typeEPSK_NS1_7vsmem_tEENKUlT_SI_SJ_SK_E_clIPjSD_S10_SD_EESH_SX_SI_SJ_SK_EUlSX_E0_NS1_11comp_targetILNS1_3genE5ELNS1_11target_archE942ELNS1_3gpuE9ELNS1_3repE0EEENS1_38merge_mergepath_config_static_selectorELNS0_4arch9wavefront6targetE1EEEvSJ_, .Lfunc_end686-_ZN7rocprim17ROCPRIM_400000_NS6detail17trampoline_kernelINS0_14default_configENS1_38merge_sort_block_merge_config_selectorIjjEEZZNS1_27merge_sort_block_merge_implIS3_N6thrust23THRUST_200600_302600_NS6detail15normal_iteratorINS8_10device_ptrIjEEEESD_jNS1_19radix_merge_compareILb0ELb1EjNS0_19identity_decomposerEEEEE10hipError_tT0_T1_T2_jT3_P12ihipStream_tbPNSt15iterator_traitsISI_E10value_typeEPNSO_ISJ_E10value_typeEPSK_NS1_7vsmem_tEENKUlT_SI_SJ_SK_E_clIPjSD_S10_SD_EESH_SX_SI_SJ_SK_EUlSX_E0_NS1_11comp_targetILNS1_3genE5ELNS1_11target_archE942ELNS1_3gpuE9ELNS1_3repE0EEENS1_38merge_mergepath_config_static_selectorELNS0_4arch9wavefront6targetE1EEEvSJ_
                                        ; -- End function
	.set _ZN7rocprim17ROCPRIM_400000_NS6detail17trampoline_kernelINS0_14default_configENS1_38merge_sort_block_merge_config_selectorIjjEEZZNS1_27merge_sort_block_merge_implIS3_N6thrust23THRUST_200600_302600_NS6detail15normal_iteratorINS8_10device_ptrIjEEEESD_jNS1_19radix_merge_compareILb0ELb1EjNS0_19identity_decomposerEEEEE10hipError_tT0_T1_T2_jT3_P12ihipStream_tbPNSt15iterator_traitsISI_E10value_typeEPNSO_ISJ_E10value_typeEPSK_NS1_7vsmem_tEENKUlT_SI_SJ_SK_E_clIPjSD_S10_SD_EESH_SX_SI_SJ_SK_EUlSX_E0_NS1_11comp_targetILNS1_3genE5ELNS1_11target_archE942ELNS1_3gpuE9ELNS1_3repE0EEENS1_38merge_mergepath_config_static_selectorELNS0_4arch9wavefront6targetE1EEEvSJ_.num_vgpr, 0
	.set _ZN7rocprim17ROCPRIM_400000_NS6detail17trampoline_kernelINS0_14default_configENS1_38merge_sort_block_merge_config_selectorIjjEEZZNS1_27merge_sort_block_merge_implIS3_N6thrust23THRUST_200600_302600_NS6detail15normal_iteratorINS8_10device_ptrIjEEEESD_jNS1_19radix_merge_compareILb0ELb1EjNS0_19identity_decomposerEEEEE10hipError_tT0_T1_T2_jT3_P12ihipStream_tbPNSt15iterator_traitsISI_E10value_typeEPNSO_ISJ_E10value_typeEPSK_NS1_7vsmem_tEENKUlT_SI_SJ_SK_E_clIPjSD_S10_SD_EESH_SX_SI_SJ_SK_EUlSX_E0_NS1_11comp_targetILNS1_3genE5ELNS1_11target_archE942ELNS1_3gpuE9ELNS1_3repE0EEENS1_38merge_mergepath_config_static_selectorELNS0_4arch9wavefront6targetE1EEEvSJ_.num_agpr, 0
	.set _ZN7rocprim17ROCPRIM_400000_NS6detail17trampoline_kernelINS0_14default_configENS1_38merge_sort_block_merge_config_selectorIjjEEZZNS1_27merge_sort_block_merge_implIS3_N6thrust23THRUST_200600_302600_NS6detail15normal_iteratorINS8_10device_ptrIjEEEESD_jNS1_19radix_merge_compareILb0ELb1EjNS0_19identity_decomposerEEEEE10hipError_tT0_T1_T2_jT3_P12ihipStream_tbPNSt15iterator_traitsISI_E10value_typeEPNSO_ISJ_E10value_typeEPSK_NS1_7vsmem_tEENKUlT_SI_SJ_SK_E_clIPjSD_S10_SD_EESH_SX_SI_SJ_SK_EUlSX_E0_NS1_11comp_targetILNS1_3genE5ELNS1_11target_archE942ELNS1_3gpuE9ELNS1_3repE0EEENS1_38merge_mergepath_config_static_selectorELNS0_4arch9wavefront6targetE1EEEvSJ_.numbered_sgpr, 0
	.set _ZN7rocprim17ROCPRIM_400000_NS6detail17trampoline_kernelINS0_14default_configENS1_38merge_sort_block_merge_config_selectorIjjEEZZNS1_27merge_sort_block_merge_implIS3_N6thrust23THRUST_200600_302600_NS6detail15normal_iteratorINS8_10device_ptrIjEEEESD_jNS1_19radix_merge_compareILb0ELb1EjNS0_19identity_decomposerEEEEE10hipError_tT0_T1_T2_jT3_P12ihipStream_tbPNSt15iterator_traitsISI_E10value_typeEPNSO_ISJ_E10value_typeEPSK_NS1_7vsmem_tEENKUlT_SI_SJ_SK_E_clIPjSD_S10_SD_EESH_SX_SI_SJ_SK_EUlSX_E0_NS1_11comp_targetILNS1_3genE5ELNS1_11target_archE942ELNS1_3gpuE9ELNS1_3repE0EEENS1_38merge_mergepath_config_static_selectorELNS0_4arch9wavefront6targetE1EEEvSJ_.num_named_barrier, 0
	.set _ZN7rocprim17ROCPRIM_400000_NS6detail17trampoline_kernelINS0_14default_configENS1_38merge_sort_block_merge_config_selectorIjjEEZZNS1_27merge_sort_block_merge_implIS3_N6thrust23THRUST_200600_302600_NS6detail15normal_iteratorINS8_10device_ptrIjEEEESD_jNS1_19radix_merge_compareILb0ELb1EjNS0_19identity_decomposerEEEEE10hipError_tT0_T1_T2_jT3_P12ihipStream_tbPNSt15iterator_traitsISI_E10value_typeEPNSO_ISJ_E10value_typeEPSK_NS1_7vsmem_tEENKUlT_SI_SJ_SK_E_clIPjSD_S10_SD_EESH_SX_SI_SJ_SK_EUlSX_E0_NS1_11comp_targetILNS1_3genE5ELNS1_11target_archE942ELNS1_3gpuE9ELNS1_3repE0EEENS1_38merge_mergepath_config_static_selectorELNS0_4arch9wavefront6targetE1EEEvSJ_.private_seg_size, 0
	.set _ZN7rocprim17ROCPRIM_400000_NS6detail17trampoline_kernelINS0_14default_configENS1_38merge_sort_block_merge_config_selectorIjjEEZZNS1_27merge_sort_block_merge_implIS3_N6thrust23THRUST_200600_302600_NS6detail15normal_iteratorINS8_10device_ptrIjEEEESD_jNS1_19radix_merge_compareILb0ELb1EjNS0_19identity_decomposerEEEEE10hipError_tT0_T1_T2_jT3_P12ihipStream_tbPNSt15iterator_traitsISI_E10value_typeEPNSO_ISJ_E10value_typeEPSK_NS1_7vsmem_tEENKUlT_SI_SJ_SK_E_clIPjSD_S10_SD_EESH_SX_SI_SJ_SK_EUlSX_E0_NS1_11comp_targetILNS1_3genE5ELNS1_11target_archE942ELNS1_3gpuE9ELNS1_3repE0EEENS1_38merge_mergepath_config_static_selectorELNS0_4arch9wavefront6targetE1EEEvSJ_.uses_vcc, 0
	.set _ZN7rocprim17ROCPRIM_400000_NS6detail17trampoline_kernelINS0_14default_configENS1_38merge_sort_block_merge_config_selectorIjjEEZZNS1_27merge_sort_block_merge_implIS3_N6thrust23THRUST_200600_302600_NS6detail15normal_iteratorINS8_10device_ptrIjEEEESD_jNS1_19radix_merge_compareILb0ELb1EjNS0_19identity_decomposerEEEEE10hipError_tT0_T1_T2_jT3_P12ihipStream_tbPNSt15iterator_traitsISI_E10value_typeEPNSO_ISJ_E10value_typeEPSK_NS1_7vsmem_tEENKUlT_SI_SJ_SK_E_clIPjSD_S10_SD_EESH_SX_SI_SJ_SK_EUlSX_E0_NS1_11comp_targetILNS1_3genE5ELNS1_11target_archE942ELNS1_3gpuE9ELNS1_3repE0EEENS1_38merge_mergepath_config_static_selectorELNS0_4arch9wavefront6targetE1EEEvSJ_.uses_flat_scratch, 0
	.set _ZN7rocprim17ROCPRIM_400000_NS6detail17trampoline_kernelINS0_14default_configENS1_38merge_sort_block_merge_config_selectorIjjEEZZNS1_27merge_sort_block_merge_implIS3_N6thrust23THRUST_200600_302600_NS6detail15normal_iteratorINS8_10device_ptrIjEEEESD_jNS1_19radix_merge_compareILb0ELb1EjNS0_19identity_decomposerEEEEE10hipError_tT0_T1_T2_jT3_P12ihipStream_tbPNSt15iterator_traitsISI_E10value_typeEPNSO_ISJ_E10value_typeEPSK_NS1_7vsmem_tEENKUlT_SI_SJ_SK_E_clIPjSD_S10_SD_EESH_SX_SI_SJ_SK_EUlSX_E0_NS1_11comp_targetILNS1_3genE5ELNS1_11target_archE942ELNS1_3gpuE9ELNS1_3repE0EEENS1_38merge_mergepath_config_static_selectorELNS0_4arch9wavefront6targetE1EEEvSJ_.has_dyn_sized_stack, 0
	.set _ZN7rocprim17ROCPRIM_400000_NS6detail17trampoline_kernelINS0_14default_configENS1_38merge_sort_block_merge_config_selectorIjjEEZZNS1_27merge_sort_block_merge_implIS3_N6thrust23THRUST_200600_302600_NS6detail15normal_iteratorINS8_10device_ptrIjEEEESD_jNS1_19radix_merge_compareILb0ELb1EjNS0_19identity_decomposerEEEEE10hipError_tT0_T1_T2_jT3_P12ihipStream_tbPNSt15iterator_traitsISI_E10value_typeEPNSO_ISJ_E10value_typeEPSK_NS1_7vsmem_tEENKUlT_SI_SJ_SK_E_clIPjSD_S10_SD_EESH_SX_SI_SJ_SK_EUlSX_E0_NS1_11comp_targetILNS1_3genE5ELNS1_11target_archE942ELNS1_3gpuE9ELNS1_3repE0EEENS1_38merge_mergepath_config_static_selectorELNS0_4arch9wavefront6targetE1EEEvSJ_.has_recursion, 0
	.set _ZN7rocprim17ROCPRIM_400000_NS6detail17trampoline_kernelINS0_14default_configENS1_38merge_sort_block_merge_config_selectorIjjEEZZNS1_27merge_sort_block_merge_implIS3_N6thrust23THRUST_200600_302600_NS6detail15normal_iteratorINS8_10device_ptrIjEEEESD_jNS1_19radix_merge_compareILb0ELb1EjNS0_19identity_decomposerEEEEE10hipError_tT0_T1_T2_jT3_P12ihipStream_tbPNSt15iterator_traitsISI_E10value_typeEPNSO_ISJ_E10value_typeEPSK_NS1_7vsmem_tEENKUlT_SI_SJ_SK_E_clIPjSD_S10_SD_EESH_SX_SI_SJ_SK_EUlSX_E0_NS1_11comp_targetILNS1_3genE5ELNS1_11target_archE942ELNS1_3gpuE9ELNS1_3repE0EEENS1_38merge_mergepath_config_static_selectorELNS0_4arch9wavefront6targetE1EEEvSJ_.has_indirect_call, 0
	.section	.AMDGPU.csdata,"",@progbits
; Kernel info:
; codeLenInByte = 0
; TotalNumSgprs: 6
; NumVgprs: 0
; NumAgprs: 0
; TotalNumVgprs: 0
; ScratchSize: 0
; MemoryBound: 0
; FloatMode: 240
; IeeeMode: 1
; LDSByteSize: 0 bytes/workgroup (compile time only)
; SGPRBlocks: 0
; VGPRBlocks: 0
; NumSGPRsForWavesPerEU: 6
; NumVGPRsForWavesPerEU: 1
; AccumOffset: 4
; Occupancy: 8
; WaveLimiterHint : 0
; COMPUTE_PGM_RSRC2:SCRATCH_EN: 0
; COMPUTE_PGM_RSRC2:USER_SGPR: 2
; COMPUTE_PGM_RSRC2:TRAP_HANDLER: 0
; COMPUTE_PGM_RSRC2:TGID_X_EN: 1
; COMPUTE_PGM_RSRC2:TGID_Y_EN: 0
; COMPUTE_PGM_RSRC2:TGID_Z_EN: 0
; COMPUTE_PGM_RSRC2:TIDIG_COMP_CNT: 0
; COMPUTE_PGM_RSRC3_GFX90A:ACCUM_OFFSET: 0
; COMPUTE_PGM_RSRC3_GFX90A:TG_SPLIT: 0
	.section	.text._ZN7rocprim17ROCPRIM_400000_NS6detail17trampoline_kernelINS0_14default_configENS1_38merge_sort_block_merge_config_selectorIjjEEZZNS1_27merge_sort_block_merge_implIS3_N6thrust23THRUST_200600_302600_NS6detail15normal_iteratorINS8_10device_ptrIjEEEESD_jNS1_19radix_merge_compareILb0ELb1EjNS0_19identity_decomposerEEEEE10hipError_tT0_T1_T2_jT3_P12ihipStream_tbPNSt15iterator_traitsISI_E10value_typeEPNSO_ISJ_E10value_typeEPSK_NS1_7vsmem_tEENKUlT_SI_SJ_SK_E_clIPjSD_S10_SD_EESH_SX_SI_SJ_SK_EUlSX_E0_NS1_11comp_targetILNS1_3genE4ELNS1_11target_archE910ELNS1_3gpuE8ELNS1_3repE0EEENS1_38merge_mergepath_config_static_selectorELNS0_4arch9wavefront6targetE1EEEvSJ_,"axG",@progbits,_ZN7rocprim17ROCPRIM_400000_NS6detail17trampoline_kernelINS0_14default_configENS1_38merge_sort_block_merge_config_selectorIjjEEZZNS1_27merge_sort_block_merge_implIS3_N6thrust23THRUST_200600_302600_NS6detail15normal_iteratorINS8_10device_ptrIjEEEESD_jNS1_19radix_merge_compareILb0ELb1EjNS0_19identity_decomposerEEEEE10hipError_tT0_T1_T2_jT3_P12ihipStream_tbPNSt15iterator_traitsISI_E10value_typeEPNSO_ISJ_E10value_typeEPSK_NS1_7vsmem_tEENKUlT_SI_SJ_SK_E_clIPjSD_S10_SD_EESH_SX_SI_SJ_SK_EUlSX_E0_NS1_11comp_targetILNS1_3genE4ELNS1_11target_archE910ELNS1_3gpuE8ELNS1_3repE0EEENS1_38merge_mergepath_config_static_selectorELNS0_4arch9wavefront6targetE1EEEvSJ_,comdat
	.protected	_ZN7rocprim17ROCPRIM_400000_NS6detail17trampoline_kernelINS0_14default_configENS1_38merge_sort_block_merge_config_selectorIjjEEZZNS1_27merge_sort_block_merge_implIS3_N6thrust23THRUST_200600_302600_NS6detail15normal_iteratorINS8_10device_ptrIjEEEESD_jNS1_19radix_merge_compareILb0ELb1EjNS0_19identity_decomposerEEEEE10hipError_tT0_T1_T2_jT3_P12ihipStream_tbPNSt15iterator_traitsISI_E10value_typeEPNSO_ISJ_E10value_typeEPSK_NS1_7vsmem_tEENKUlT_SI_SJ_SK_E_clIPjSD_S10_SD_EESH_SX_SI_SJ_SK_EUlSX_E0_NS1_11comp_targetILNS1_3genE4ELNS1_11target_archE910ELNS1_3gpuE8ELNS1_3repE0EEENS1_38merge_mergepath_config_static_selectorELNS0_4arch9wavefront6targetE1EEEvSJ_ ; -- Begin function _ZN7rocprim17ROCPRIM_400000_NS6detail17trampoline_kernelINS0_14default_configENS1_38merge_sort_block_merge_config_selectorIjjEEZZNS1_27merge_sort_block_merge_implIS3_N6thrust23THRUST_200600_302600_NS6detail15normal_iteratorINS8_10device_ptrIjEEEESD_jNS1_19radix_merge_compareILb0ELb1EjNS0_19identity_decomposerEEEEE10hipError_tT0_T1_T2_jT3_P12ihipStream_tbPNSt15iterator_traitsISI_E10value_typeEPNSO_ISJ_E10value_typeEPSK_NS1_7vsmem_tEENKUlT_SI_SJ_SK_E_clIPjSD_S10_SD_EESH_SX_SI_SJ_SK_EUlSX_E0_NS1_11comp_targetILNS1_3genE4ELNS1_11target_archE910ELNS1_3gpuE8ELNS1_3repE0EEENS1_38merge_mergepath_config_static_selectorELNS0_4arch9wavefront6targetE1EEEvSJ_
	.globl	_ZN7rocprim17ROCPRIM_400000_NS6detail17trampoline_kernelINS0_14default_configENS1_38merge_sort_block_merge_config_selectorIjjEEZZNS1_27merge_sort_block_merge_implIS3_N6thrust23THRUST_200600_302600_NS6detail15normal_iteratorINS8_10device_ptrIjEEEESD_jNS1_19radix_merge_compareILb0ELb1EjNS0_19identity_decomposerEEEEE10hipError_tT0_T1_T2_jT3_P12ihipStream_tbPNSt15iterator_traitsISI_E10value_typeEPNSO_ISJ_E10value_typeEPSK_NS1_7vsmem_tEENKUlT_SI_SJ_SK_E_clIPjSD_S10_SD_EESH_SX_SI_SJ_SK_EUlSX_E0_NS1_11comp_targetILNS1_3genE4ELNS1_11target_archE910ELNS1_3gpuE8ELNS1_3repE0EEENS1_38merge_mergepath_config_static_selectorELNS0_4arch9wavefront6targetE1EEEvSJ_
	.p2align	8
	.type	_ZN7rocprim17ROCPRIM_400000_NS6detail17trampoline_kernelINS0_14default_configENS1_38merge_sort_block_merge_config_selectorIjjEEZZNS1_27merge_sort_block_merge_implIS3_N6thrust23THRUST_200600_302600_NS6detail15normal_iteratorINS8_10device_ptrIjEEEESD_jNS1_19radix_merge_compareILb0ELb1EjNS0_19identity_decomposerEEEEE10hipError_tT0_T1_T2_jT3_P12ihipStream_tbPNSt15iterator_traitsISI_E10value_typeEPNSO_ISJ_E10value_typeEPSK_NS1_7vsmem_tEENKUlT_SI_SJ_SK_E_clIPjSD_S10_SD_EESH_SX_SI_SJ_SK_EUlSX_E0_NS1_11comp_targetILNS1_3genE4ELNS1_11target_archE910ELNS1_3gpuE8ELNS1_3repE0EEENS1_38merge_mergepath_config_static_selectorELNS0_4arch9wavefront6targetE1EEEvSJ_,@function
_ZN7rocprim17ROCPRIM_400000_NS6detail17trampoline_kernelINS0_14default_configENS1_38merge_sort_block_merge_config_selectorIjjEEZZNS1_27merge_sort_block_merge_implIS3_N6thrust23THRUST_200600_302600_NS6detail15normal_iteratorINS8_10device_ptrIjEEEESD_jNS1_19radix_merge_compareILb0ELb1EjNS0_19identity_decomposerEEEEE10hipError_tT0_T1_T2_jT3_P12ihipStream_tbPNSt15iterator_traitsISI_E10value_typeEPNSO_ISJ_E10value_typeEPSK_NS1_7vsmem_tEENKUlT_SI_SJ_SK_E_clIPjSD_S10_SD_EESH_SX_SI_SJ_SK_EUlSX_E0_NS1_11comp_targetILNS1_3genE4ELNS1_11target_archE910ELNS1_3gpuE8ELNS1_3repE0EEENS1_38merge_mergepath_config_static_selectorELNS0_4arch9wavefront6targetE1EEEvSJ_: ; @_ZN7rocprim17ROCPRIM_400000_NS6detail17trampoline_kernelINS0_14default_configENS1_38merge_sort_block_merge_config_selectorIjjEEZZNS1_27merge_sort_block_merge_implIS3_N6thrust23THRUST_200600_302600_NS6detail15normal_iteratorINS8_10device_ptrIjEEEESD_jNS1_19radix_merge_compareILb0ELb1EjNS0_19identity_decomposerEEEEE10hipError_tT0_T1_T2_jT3_P12ihipStream_tbPNSt15iterator_traitsISI_E10value_typeEPNSO_ISJ_E10value_typeEPSK_NS1_7vsmem_tEENKUlT_SI_SJ_SK_E_clIPjSD_S10_SD_EESH_SX_SI_SJ_SK_EUlSX_E0_NS1_11comp_targetILNS1_3genE4ELNS1_11target_archE910ELNS1_3gpuE8ELNS1_3repE0EEENS1_38merge_mergepath_config_static_selectorELNS0_4arch9wavefront6targetE1EEEvSJ_
; %bb.0:
	.section	.rodata,"a",@progbits
	.p2align	6, 0x0
	.amdhsa_kernel _ZN7rocprim17ROCPRIM_400000_NS6detail17trampoline_kernelINS0_14default_configENS1_38merge_sort_block_merge_config_selectorIjjEEZZNS1_27merge_sort_block_merge_implIS3_N6thrust23THRUST_200600_302600_NS6detail15normal_iteratorINS8_10device_ptrIjEEEESD_jNS1_19radix_merge_compareILb0ELb1EjNS0_19identity_decomposerEEEEE10hipError_tT0_T1_T2_jT3_P12ihipStream_tbPNSt15iterator_traitsISI_E10value_typeEPNSO_ISJ_E10value_typeEPSK_NS1_7vsmem_tEENKUlT_SI_SJ_SK_E_clIPjSD_S10_SD_EESH_SX_SI_SJ_SK_EUlSX_E0_NS1_11comp_targetILNS1_3genE4ELNS1_11target_archE910ELNS1_3gpuE8ELNS1_3repE0EEENS1_38merge_mergepath_config_static_selectorELNS0_4arch9wavefront6targetE1EEEvSJ_
		.amdhsa_group_segment_fixed_size 0
		.amdhsa_private_segment_fixed_size 0
		.amdhsa_kernarg_size 64
		.amdhsa_user_sgpr_count 2
		.amdhsa_user_sgpr_dispatch_ptr 0
		.amdhsa_user_sgpr_queue_ptr 0
		.amdhsa_user_sgpr_kernarg_segment_ptr 1
		.amdhsa_user_sgpr_dispatch_id 0
		.amdhsa_user_sgpr_kernarg_preload_length 0
		.amdhsa_user_sgpr_kernarg_preload_offset 0
		.amdhsa_user_sgpr_private_segment_size 0
		.amdhsa_uses_dynamic_stack 0
		.amdhsa_enable_private_segment 0
		.amdhsa_system_sgpr_workgroup_id_x 1
		.amdhsa_system_sgpr_workgroup_id_y 0
		.amdhsa_system_sgpr_workgroup_id_z 0
		.amdhsa_system_sgpr_workgroup_info 0
		.amdhsa_system_vgpr_workitem_id 0
		.amdhsa_next_free_vgpr 1
		.amdhsa_next_free_sgpr 0
		.amdhsa_accum_offset 4
		.amdhsa_reserve_vcc 0
		.amdhsa_float_round_mode_32 0
		.amdhsa_float_round_mode_16_64 0
		.amdhsa_float_denorm_mode_32 3
		.amdhsa_float_denorm_mode_16_64 3
		.amdhsa_dx10_clamp 1
		.amdhsa_ieee_mode 1
		.amdhsa_fp16_overflow 0
		.amdhsa_tg_split 0
		.amdhsa_exception_fp_ieee_invalid_op 0
		.amdhsa_exception_fp_denorm_src 0
		.amdhsa_exception_fp_ieee_div_zero 0
		.amdhsa_exception_fp_ieee_overflow 0
		.amdhsa_exception_fp_ieee_underflow 0
		.amdhsa_exception_fp_ieee_inexact 0
		.amdhsa_exception_int_div_zero 0
	.end_amdhsa_kernel
	.section	.text._ZN7rocprim17ROCPRIM_400000_NS6detail17trampoline_kernelINS0_14default_configENS1_38merge_sort_block_merge_config_selectorIjjEEZZNS1_27merge_sort_block_merge_implIS3_N6thrust23THRUST_200600_302600_NS6detail15normal_iteratorINS8_10device_ptrIjEEEESD_jNS1_19radix_merge_compareILb0ELb1EjNS0_19identity_decomposerEEEEE10hipError_tT0_T1_T2_jT3_P12ihipStream_tbPNSt15iterator_traitsISI_E10value_typeEPNSO_ISJ_E10value_typeEPSK_NS1_7vsmem_tEENKUlT_SI_SJ_SK_E_clIPjSD_S10_SD_EESH_SX_SI_SJ_SK_EUlSX_E0_NS1_11comp_targetILNS1_3genE4ELNS1_11target_archE910ELNS1_3gpuE8ELNS1_3repE0EEENS1_38merge_mergepath_config_static_selectorELNS0_4arch9wavefront6targetE1EEEvSJ_,"axG",@progbits,_ZN7rocprim17ROCPRIM_400000_NS6detail17trampoline_kernelINS0_14default_configENS1_38merge_sort_block_merge_config_selectorIjjEEZZNS1_27merge_sort_block_merge_implIS3_N6thrust23THRUST_200600_302600_NS6detail15normal_iteratorINS8_10device_ptrIjEEEESD_jNS1_19radix_merge_compareILb0ELb1EjNS0_19identity_decomposerEEEEE10hipError_tT0_T1_T2_jT3_P12ihipStream_tbPNSt15iterator_traitsISI_E10value_typeEPNSO_ISJ_E10value_typeEPSK_NS1_7vsmem_tEENKUlT_SI_SJ_SK_E_clIPjSD_S10_SD_EESH_SX_SI_SJ_SK_EUlSX_E0_NS1_11comp_targetILNS1_3genE4ELNS1_11target_archE910ELNS1_3gpuE8ELNS1_3repE0EEENS1_38merge_mergepath_config_static_selectorELNS0_4arch9wavefront6targetE1EEEvSJ_,comdat
.Lfunc_end687:
	.size	_ZN7rocprim17ROCPRIM_400000_NS6detail17trampoline_kernelINS0_14default_configENS1_38merge_sort_block_merge_config_selectorIjjEEZZNS1_27merge_sort_block_merge_implIS3_N6thrust23THRUST_200600_302600_NS6detail15normal_iteratorINS8_10device_ptrIjEEEESD_jNS1_19radix_merge_compareILb0ELb1EjNS0_19identity_decomposerEEEEE10hipError_tT0_T1_T2_jT3_P12ihipStream_tbPNSt15iterator_traitsISI_E10value_typeEPNSO_ISJ_E10value_typeEPSK_NS1_7vsmem_tEENKUlT_SI_SJ_SK_E_clIPjSD_S10_SD_EESH_SX_SI_SJ_SK_EUlSX_E0_NS1_11comp_targetILNS1_3genE4ELNS1_11target_archE910ELNS1_3gpuE8ELNS1_3repE0EEENS1_38merge_mergepath_config_static_selectorELNS0_4arch9wavefront6targetE1EEEvSJ_, .Lfunc_end687-_ZN7rocprim17ROCPRIM_400000_NS6detail17trampoline_kernelINS0_14default_configENS1_38merge_sort_block_merge_config_selectorIjjEEZZNS1_27merge_sort_block_merge_implIS3_N6thrust23THRUST_200600_302600_NS6detail15normal_iteratorINS8_10device_ptrIjEEEESD_jNS1_19radix_merge_compareILb0ELb1EjNS0_19identity_decomposerEEEEE10hipError_tT0_T1_T2_jT3_P12ihipStream_tbPNSt15iterator_traitsISI_E10value_typeEPNSO_ISJ_E10value_typeEPSK_NS1_7vsmem_tEENKUlT_SI_SJ_SK_E_clIPjSD_S10_SD_EESH_SX_SI_SJ_SK_EUlSX_E0_NS1_11comp_targetILNS1_3genE4ELNS1_11target_archE910ELNS1_3gpuE8ELNS1_3repE0EEENS1_38merge_mergepath_config_static_selectorELNS0_4arch9wavefront6targetE1EEEvSJ_
                                        ; -- End function
	.set _ZN7rocprim17ROCPRIM_400000_NS6detail17trampoline_kernelINS0_14default_configENS1_38merge_sort_block_merge_config_selectorIjjEEZZNS1_27merge_sort_block_merge_implIS3_N6thrust23THRUST_200600_302600_NS6detail15normal_iteratorINS8_10device_ptrIjEEEESD_jNS1_19radix_merge_compareILb0ELb1EjNS0_19identity_decomposerEEEEE10hipError_tT0_T1_T2_jT3_P12ihipStream_tbPNSt15iterator_traitsISI_E10value_typeEPNSO_ISJ_E10value_typeEPSK_NS1_7vsmem_tEENKUlT_SI_SJ_SK_E_clIPjSD_S10_SD_EESH_SX_SI_SJ_SK_EUlSX_E0_NS1_11comp_targetILNS1_3genE4ELNS1_11target_archE910ELNS1_3gpuE8ELNS1_3repE0EEENS1_38merge_mergepath_config_static_selectorELNS0_4arch9wavefront6targetE1EEEvSJ_.num_vgpr, 0
	.set _ZN7rocprim17ROCPRIM_400000_NS6detail17trampoline_kernelINS0_14default_configENS1_38merge_sort_block_merge_config_selectorIjjEEZZNS1_27merge_sort_block_merge_implIS3_N6thrust23THRUST_200600_302600_NS6detail15normal_iteratorINS8_10device_ptrIjEEEESD_jNS1_19radix_merge_compareILb0ELb1EjNS0_19identity_decomposerEEEEE10hipError_tT0_T1_T2_jT3_P12ihipStream_tbPNSt15iterator_traitsISI_E10value_typeEPNSO_ISJ_E10value_typeEPSK_NS1_7vsmem_tEENKUlT_SI_SJ_SK_E_clIPjSD_S10_SD_EESH_SX_SI_SJ_SK_EUlSX_E0_NS1_11comp_targetILNS1_3genE4ELNS1_11target_archE910ELNS1_3gpuE8ELNS1_3repE0EEENS1_38merge_mergepath_config_static_selectorELNS0_4arch9wavefront6targetE1EEEvSJ_.num_agpr, 0
	.set _ZN7rocprim17ROCPRIM_400000_NS6detail17trampoline_kernelINS0_14default_configENS1_38merge_sort_block_merge_config_selectorIjjEEZZNS1_27merge_sort_block_merge_implIS3_N6thrust23THRUST_200600_302600_NS6detail15normal_iteratorINS8_10device_ptrIjEEEESD_jNS1_19radix_merge_compareILb0ELb1EjNS0_19identity_decomposerEEEEE10hipError_tT0_T1_T2_jT3_P12ihipStream_tbPNSt15iterator_traitsISI_E10value_typeEPNSO_ISJ_E10value_typeEPSK_NS1_7vsmem_tEENKUlT_SI_SJ_SK_E_clIPjSD_S10_SD_EESH_SX_SI_SJ_SK_EUlSX_E0_NS1_11comp_targetILNS1_3genE4ELNS1_11target_archE910ELNS1_3gpuE8ELNS1_3repE0EEENS1_38merge_mergepath_config_static_selectorELNS0_4arch9wavefront6targetE1EEEvSJ_.numbered_sgpr, 0
	.set _ZN7rocprim17ROCPRIM_400000_NS6detail17trampoline_kernelINS0_14default_configENS1_38merge_sort_block_merge_config_selectorIjjEEZZNS1_27merge_sort_block_merge_implIS3_N6thrust23THRUST_200600_302600_NS6detail15normal_iteratorINS8_10device_ptrIjEEEESD_jNS1_19radix_merge_compareILb0ELb1EjNS0_19identity_decomposerEEEEE10hipError_tT0_T1_T2_jT3_P12ihipStream_tbPNSt15iterator_traitsISI_E10value_typeEPNSO_ISJ_E10value_typeEPSK_NS1_7vsmem_tEENKUlT_SI_SJ_SK_E_clIPjSD_S10_SD_EESH_SX_SI_SJ_SK_EUlSX_E0_NS1_11comp_targetILNS1_3genE4ELNS1_11target_archE910ELNS1_3gpuE8ELNS1_3repE0EEENS1_38merge_mergepath_config_static_selectorELNS0_4arch9wavefront6targetE1EEEvSJ_.num_named_barrier, 0
	.set _ZN7rocprim17ROCPRIM_400000_NS6detail17trampoline_kernelINS0_14default_configENS1_38merge_sort_block_merge_config_selectorIjjEEZZNS1_27merge_sort_block_merge_implIS3_N6thrust23THRUST_200600_302600_NS6detail15normal_iteratorINS8_10device_ptrIjEEEESD_jNS1_19radix_merge_compareILb0ELb1EjNS0_19identity_decomposerEEEEE10hipError_tT0_T1_T2_jT3_P12ihipStream_tbPNSt15iterator_traitsISI_E10value_typeEPNSO_ISJ_E10value_typeEPSK_NS1_7vsmem_tEENKUlT_SI_SJ_SK_E_clIPjSD_S10_SD_EESH_SX_SI_SJ_SK_EUlSX_E0_NS1_11comp_targetILNS1_3genE4ELNS1_11target_archE910ELNS1_3gpuE8ELNS1_3repE0EEENS1_38merge_mergepath_config_static_selectorELNS0_4arch9wavefront6targetE1EEEvSJ_.private_seg_size, 0
	.set _ZN7rocprim17ROCPRIM_400000_NS6detail17trampoline_kernelINS0_14default_configENS1_38merge_sort_block_merge_config_selectorIjjEEZZNS1_27merge_sort_block_merge_implIS3_N6thrust23THRUST_200600_302600_NS6detail15normal_iteratorINS8_10device_ptrIjEEEESD_jNS1_19radix_merge_compareILb0ELb1EjNS0_19identity_decomposerEEEEE10hipError_tT0_T1_T2_jT3_P12ihipStream_tbPNSt15iterator_traitsISI_E10value_typeEPNSO_ISJ_E10value_typeEPSK_NS1_7vsmem_tEENKUlT_SI_SJ_SK_E_clIPjSD_S10_SD_EESH_SX_SI_SJ_SK_EUlSX_E0_NS1_11comp_targetILNS1_3genE4ELNS1_11target_archE910ELNS1_3gpuE8ELNS1_3repE0EEENS1_38merge_mergepath_config_static_selectorELNS0_4arch9wavefront6targetE1EEEvSJ_.uses_vcc, 0
	.set _ZN7rocprim17ROCPRIM_400000_NS6detail17trampoline_kernelINS0_14default_configENS1_38merge_sort_block_merge_config_selectorIjjEEZZNS1_27merge_sort_block_merge_implIS3_N6thrust23THRUST_200600_302600_NS6detail15normal_iteratorINS8_10device_ptrIjEEEESD_jNS1_19radix_merge_compareILb0ELb1EjNS0_19identity_decomposerEEEEE10hipError_tT0_T1_T2_jT3_P12ihipStream_tbPNSt15iterator_traitsISI_E10value_typeEPNSO_ISJ_E10value_typeEPSK_NS1_7vsmem_tEENKUlT_SI_SJ_SK_E_clIPjSD_S10_SD_EESH_SX_SI_SJ_SK_EUlSX_E0_NS1_11comp_targetILNS1_3genE4ELNS1_11target_archE910ELNS1_3gpuE8ELNS1_3repE0EEENS1_38merge_mergepath_config_static_selectorELNS0_4arch9wavefront6targetE1EEEvSJ_.uses_flat_scratch, 0
	.set _ZN7rocprim17ROCPRIM_400000_NS6detail17trampoline_kernelINS0_14default_configENS1_38merge_sort_block_merge_config_selectorIjjEEZZNS1_27merge_sort_block_merge_implIS3_N6thrust23THRUST_200600_302600_NS6detail15normal_iteratorINS8_10device_ptrIjEEEESD_jNS1_19radix_merge_compareILb0ELb1EjNS0_19identity_decomposerEEEEE10hipError_tT0_T1_T2_jT3_P12ihipStream_tbPNSt15iterator_traitsISI_E10value_typeEPNSO_ISJ_E10value_typeEPSK_NS1_7vsmem_tEENKUlT_SI_SJ_SK_E_clIPjSD_S10_SD_EESH_SX_SI_SJ_SK_EUlSX_E0_NS1_11comp_targetILNS1_3genE4ELNS1_11target_archE910ELNS1_3gpuE8ELNS1_3repE0EEENS1_38merge_mergepath_config_static_selectorELNS0_4arch9wavefront6targetE1EEEvSJ_.has_dyn_sized_stack, 0
	.set _ZN7rocprim17ROCPRIM_400000_NS6detail17trampoline_kernelINS0_14default_configENS1_38merge_sort_block_merge_config_selectorIjjEEZZNS1_27merge_sort_block_merge_implIS3_N6thrust23THRUST_200600_302600_NS6detail15normal_iteratorINS8_10device_ptrIjEEEESD_jNS1_19radix_merge_compareILb0ELb1EjNS0_19identity_decomposerEEEEE10hipError_tT0_T1_T2_jT3_P12ihipStream_tbPNSt15iterator_traitsISI_E10value_typeEPNSO_ISJ_E10value_typeEPSK_NS1_7vsmem_tEENKUlT_SI_SJ_SK_E_clIPjSD_S10_SD_EESH_SX_SI_SJ_SK_EUlSX_E0_NS1_11comp_targetILNS1_3genE4ELNS1_11target_archE910ELNS1_3gpuE8ELNS1_3repE0EEENS1_38merge_mergepath_config_static_selectorELNS0_4arch9wavefront6targetE1EEEvSJ_.has_recursion, 0
	.set _ZN7rocprim17ROCPRIM_400000_NS6detail17trampoline_kernelINS0_14default_configENS1_38merge_sort_block_merge_config_selectorIjjEEZZNS1_27merge_sort_block_merge_implIS3_N6thrust23THRUST_200600_302600_NS6detail15normal_iteratorINS8_10device_ptrIjEEEESD_jNS1_19radix_merge_compareILb0ELb1EjNS0_19identity_decomposerEEEEE10hipError_tT0_T1_T2_jT3_P12ihipStream_tbPNSt15iterator_traitsISI_E10value_typeEPNSO_ISJ_E10value_typeEPSK_NS1_7vsmem_tEENKUlT_SI_SJ_SK_E_clIPjSD_S10_SD_EESH_SX_SI_SJ_SK_EUlSX_E0_NS1_11comp_targetILNS1_3genE4ELNS1_11target_archE910ELNS1_3gpuE8ELNS1_3repE0EEENS1_38merge_mergepath_config_static_selectorELNS0_4arch9wavefront6targetE1EEEvSJ_.has_indirect_call, 0
	.section	.AMDGPU.csdata,"",@progbits
; Kernel info:
; codeLenInByte = 0
; TotalNumSgprs: 6
; NumVgprs: 0
; NumAgprs: 0
; TotalNumVgprs: 0
; ScratchSize: 0
; MemoryBound: 0
; FloatMode: 240
; IeeeMode: 1
; LDSByteSize: 0 bytes/workgroup (compile time only)
; SGPRBlocks: 0
; VGPRBlocks: 0
; NumSGPRsForWavesPerEU: 6
; NumVGPRsForWavesPerEU: 1
; AccumOffset: 4
; Occupancy: 8
; WaveLimiterHint : 0
; COMPUTE_PGM_RSRC2:SCRATCH_EN: 0
; COMPUTE_PGM_RSRC2:USER_SGPR: 2
; COMPUTE_PGM_RSRC2:TRAP_HANDLER: 0
; COMPUTE_PGM_RSRC2:TGID_X_EN: 1
; COMPUTE_PGM_RSRC2:TGID_Y_EN: 0
; COMPUTE_PGM_RSRC2:TGID_Z_EN: 0
; COMPUTE_PGM_RSRC2:TIDIG_COMP_CNT: 0
; COMPUTE_PGM_RSRC3_GFX90A:ACCUM_OFFSET: 0
; COMPUTE_PGM_RSRC3_GFX90A:TG_SPLIT: 0
	.section	.text._ZN7rocprim17ROCPRIM_400000_NS6detail17trampoline_kernelINS0_14default_configENS1_38merge_sort_block_merge_config_selectorIjjEEZZNS1_27merge_sort_block_merge_implIS3_N6thrust23THRUST_200600_302600_NS6detail15normal_iteratorINS8_10device_ptrIjEEEESD_jNS1_19radix_merge_compareILb0ELb1EjNS0_19identity_decomposerEEEEE10hipError_tT0_T1_T2_jT3_P12ihipStream_tbPNSt15iterator_traitsISI_E10value_typeEPNSO_ISJ_E10value_typeEPSK_NS1_7vsmem_tEENKUlT_SI_SJ_SK_E_clIPjSD_S10_SD_EESH_SX_SI_SJ_SK_EUlSX_E0_NS1_11comp_targetILNS1_3genE3ELNS1_11target_archE908ELNS1_3gpuE7ELNS1_3repE0EEENS1_38merge_mergepath_config_static_selectorELNS0_4arch9wavefront6targetE1EEEvSJ_,"axG",@progbits,_ZN7rocprim17ROCPRIM_400000_NS6detail17trampoline_kernelINS0_14default_configENS1_38merge_sort_block_merge_config_selectorIjjEEZZNS1_27merge_sort_block_merge_implIS3_N6thrust23THRUST_200600_302600_NS6detail15normal_iteratorINS8_10device_ptrIjEEEESD_jNS1_19radix_merge_compareILb0ELb1EjNS0_19identity_decomposerEEEEE10hipError_tT0_T1_T2_jT3_P12ihipStream_tbPNSt15iterator_traitsISI_E10value_typeEPNSO_ISJ_E10value_typeEPSK_NS1_7vsmem_tEENKUlT_SI_SJ_SK_E_clIPjSD_S10_SD_EESH_SX_SI_SJ_SK_EUlSX_E0_NS1_11comp_targetILNS1_3genE3ELNS1_11target_archE908ELNS1_3gpuE7ELNS1_3repE0EEENS1_38merge_mergepath_config_static_selectorELNS0_4arch9wavefront6targetE1EEEvSJ_,comdat
	.protected	_ZN7rocprim17ROCPRIM_400000_NS6detail17trampoline_kernelINS0_14default_configENS1_38merge_sort_block_merge_config_selectorIjjEEZZNS1_27merge_sort_block_merge_implIS3_N6thrust23THRUST_200600_302600_NS6detail15normal_iteratorINS8_10device_ptrIjEEEESD_jNS1_19radix_merge_compareILb0ELb1EjNS0_19identity_decomposerEEEEE10hipError_tT0_T1_T2_jT3_P12ihipStream_tbPNSt15iterator_traitsISI_E10value_typeEPNSO_ISJ_E10value_typeEPSK_NS1_7vsmem_tEENKUlT_SI_SJ_SK_E_clIPjSD_S10_SD_EESH_SX_SI_SJ_SK_EUlSX_E0_NS1_11comp_targetILNS1_3genE3ELNS1_11target_archE908ELNS1_3gpuE7ELNS1_3repE0EEENS1_38merge_mergepath_config_static_selectorELNS0_4arch9wavefront6targetE1EEEvSJ_ ; -- Begin function _ZN7rocprim17ROCPRIM_400000_NS6detail17trampoline_kernelINS0_14default_configENS1_38merge_sort_block_merge_config_selectorIjjEEZZNS1_27merge_sort_block_merge_implIS3_N6thrust23THRUST_200600_302600_NS6detail15normal_iteratorINS8_10device_ptrIjEEEESD_jNS1_19radix_merge_compareILb0ELb1EjNS0_19identity_decomposerEEEEE10hipError_tT0_T1_T2_jT3_P12ihipStream_tbPNSt15iterator_traitsISI_E10value_typeEPNSO_ISJ_E10value_typeEPSK_NS1_7vsmem_tEENKUlT_SI_SJ_SK_E_clIPjSD_S10_SD_EESH_SX_SI_SJ_SK_EUlSX_E0_NS1_11comp_targetILNS1_3genE3ELNS1_11target_archE908ELNS1_3gpuE7ELNS1_3repE0EEENS1_38merge_mergepath_config_static_selectorELNS0_4arch9wavefront6targetE1EEEvSJ_
	.globl	_ZN7rocprim17ROCPRIM_400000_NS6detail17trampoline_kernelINS0_14default_configENS1_38merge_sort_block_merge_config_selectorIjjEEZZNS1_27merge_sort_block_merge_implIS3_N6thrust23THRUST_200600_302600_NS6detail15normal_iteratorINS8_10device_ptrIjEEEESD_jNS1_19radix_merge_compareILb0ELb1EjNS0_19identity_decomposerEEEEE10hipError_tT0_T1_T2_jT3_P12ihipStream_tbPNSt15iterator_traitsISI_E10value_typeEPNSO_ISJ_E10value_typeEPSK_NS1_7vsmem_tEENKUlT_SI_SJ_SK_E_clIPjSD_S10_SD_EESH_SX_SI_SJ_SK_EUlSX_E0_NS1_11comp_targetILNS1_3genE3ELNS1_11target_archE908ELNS1_3gpuE7ELNS1_3repE0EEENS1_38merge_mergepath_config_static_selectorELNS0_4arch9wavefront6targetE1EEEvSJ_
	.p2align	8
	.type	_ZN7rocprim17ROCPRIM_400000_NS6detail17trampoline_kernelINS0_14default_configENS1_38merge_sort_block_merge_config_selectorIjjEEZZNS1_27merge_sort_block_merge_implIS3_N6thrust23THRUST_200600_302600_NS6detail15normal_iteratorINS8_10device_ptrIjEEEESD_jNS1_19radix_merge_compareILb0ELb1EjNS0_19identity_decomposerEEEEE10hipError_tT0_T1_T2_jT3_P12ihipStream_tbPNSt15iterator_traitsISI_E10value_typeEPNSO_ISJ_E10value_typeEPSK_NS1_7vsmem_tEENKUlT_SI_SJ_SK_E_clIPjSD_S10_SD_EESH_SX_SI_SJ_SK_EUlSX_E0_NS1_11comp_targetILNS1_3genE3ELNS1_11target_archE908ELNS1_3gpuE7ELNS1_3repE0EEENS1_38merge_mergepath_config_static_selectorELNS0_4arch9wavefront6targetE1EEEvSJ_,@function
_ZN7rocprim17ROCPRIM_400000_NS6detail17trampoline_kernelINS0_14default_configENS1_38merge_sort_block_merge_config_selectorIjjEEZZNS1_27merge_sort_block_merge_implIS3_N6thrust23THRUST_200600_302600_NS6detail15normal_iteratorINS8_10device_ptrIjEEEESD_jNS1_19radix_merge_compareILb0ELb1EjNS0_19identity_decomposerEEEEE10hipError_tT0_T1_T2_jT3_P12ihipStream_tbPNSt15iterator_traitsISI_E10value_typeEPNSO_ISJ_E10value_typeEPSK_NS1_7vsmem_tEENKUlT_SI_SJ_SK_E_clIPjSD_S10_SD_EESH_SX_SI_SJ_SK_EUlSX_E0_NS1_11comp_targetILNS1_3genE3ELNS1_11target_archE908ELNS1_3gpuE7ELNS1_3repE0EEENS1_38merge_mergepath_config_static_selectorELNS0_4arch9wavefront6targetE1EEEvSJ_: ; @_ZN7rocprim17ROCPRIM_400000_NS6detail17trampoline_kernelINS0_14default_configENS1_38merge_sort_block_merge_config_selectorIjjEEZZNS1_27merge_sort_block_merge_implIS3_N6thrust23THRUST_200600_302600_NS6detail15normal_iteratorINS8_10device_ptrIjEEEESD_jNS1_19radix_merge_compareILb0ELb1EjNS0_19identity_decomposerEEEEE10hipError_tT0_T1_T2_jT3_P12ihipStream_tbPNSt15iterator_traitsISI_E10value_typeEPNSO_ISJ_E10value_typeEPSK_NS1_7vsmem_tEENKUlT_SI_SJ_SK_E_clIPjSD_S10_SD_EESH_SX_SI_SJ_SK_EUlSX_E0_NS1_11comp_targetILNS1_3genE3ELNS1_11target_archE908ELNS1_3gpuE7ELNS1_3repE0EEENS1_38merge_mergepath_config_static_selectorELNS0_4arch9wavefront6targetE1EEEvSJ_
; %bb.0:
	.section	.rodata,"a",@progbits
	.p2align	6, 0x0
	.amdhsa_kernel _ZN7rocprim17ROCPRIM_400000_NS6detail17trampoline_kernelINS0_14default_configENS1_38merge_sort_block_merge_config_selectorIjjEEZZNS1_27merge_sort_block_merge_implIS3_N6thrust23THRUST_200600_302600_NS6detail15normal_iteratorINS8_10device_ptrIjEEEESD_jNS1_19radix_merge_compareILb0ELb1EjNS0_19identity_decomposerEEEEE10hipError_tT0_T1_T2_jT3_P12ihipStream_tbPNSt15iterator_traitsISI_E10value_typeEPNSO_ISJ_E10value_typeEPSK_NS1_7vsmem_tEENKUlT_SI_SJ_SK_E_clIPjSD_S10_SD_EESH_SX_SI_SJ_SK_EUlSX_E0_NS1_11comp_targetILNS1_3genE3ELNS1_11target_archE908ELNS1_3gpuE7ELNS1_3repE0EEENS1_38merge_mergepath_config_static_selectorELNS0_4arch9wavefront6targetE1EEEvSJ_
		.amdhsa_group_segment_fixed_size 0
		.amdhsa_private_segment_fixed_size 0
		.amdhsa_kernarg_size 64
		.amdhsa_user_sgpr_count 2
		.amdhsa_user_sgpr_dispatch_ptr 0
		.amdhsa_user_sgpr_queue_ptr 0
		.amdhsa_user_sgpr_kernarg_segment_ptr 1
		.amdhsa_user_sgpr_dispatch_id 0
		.amdhsa_user_sgpr_kernarg_preload_length 0
		.amdhsa_user_sgpr_kernarg_preload_offset 0
		.amdhsa_user_sgpr_private_segment_size 0
		.amdhsa_uses_dynamic_stack 0
		.amdhsa_enable_private_segment 0
		.amdhsa_system_sgpr_workgroup_id_x 1
		.amdhsa_system_sgpr_workgroup_id_y 0
		.amdhsa_system_sgpr_workgroup_id_z 0
		.amdhsa_system_sgpr_workgroup_info 0
		.amdhsa_system_vgpr_workitem_id 0
		.amdhsa_next_free_vgpr 1
		.amdhsa_next_free_sgpr 0
		.amdhsa_accum_offset 4
		.amdhsa_reserve_vcc 0
		.amdhsa_float_round_mode_32 0
		.amdhsa_float_round_mode_16_64 0
		.amdhsa_float_denorm_mode_32 3
		.amdhsa_float_denorm_mode_16_64 3
		.amdhsa_dx10_clamp 1
		.amdhsa_ieee_mode 1
		.amdhsa_fp16_overflow 0
		.amdhsa_tg_split 0
		.amdhsa_exception_fp_ieee_invalid_op 0
		.amdhsa_exception_fp_denorm_src 0
		.amdhsa_exception_fp_ieee_div_zero 0
		.amdhsa_exception_fp_ieee_overflow 0
		.amdhsa_exception_fp_ieee_underflow 0
		.amdhsa_exception_fp_ieee_inexact 0
		.amdhsa_exception_int_div_zero 0
	.end_amdhsa_kernel
	.section	.text._ZN7rocprim17ROCPRIM_400000_NS6detail17trampoline_kernelINS0_14default_configENS1_38merge_sort_block_merge_config_selectorIjjEEZZNS1_27merge_sort_block_merge_implIS3_N6thrust23THRUST_200600_302600_NS6detail15normal_iteratorINS8_10device_ptrIjEEEESD_jNS1_19radix_merge_compareILb0ELb1EjNS0_19identity_decomposerEEEEE10hipError_tT0_T1_T2_jT3_P12ihipStream_tbPNSt15iterator_traitsISI_E10value_typeEPNSO_ISJ_E10value_typeEPSK_NS1_7vsmem_tEENKUlT_SI_SJ_SK_E_clIPjSD_S10_SD_EESH_SX_SI_SJ_SK_EUlSX_E0_NS1_11comp_targetILNS1_3genE3ELNS1_11target_archE908ELNS1_3gpuE7ELNS1_3repE0EEENS1_38merge_mergepath_config_static_selectorELNS0_4arch9wavefront6targetE1EEEvSJ_,"axG",@progbits,_ZN7rocprim17ROCPRIM_400000_NS6detail17trampoline_kernelINS0_14default_configENS1_38merge_sort_block_merge_config_selectorIjjEEZZNS1_27merge_sort_block_merge_implIS3_N6thrust23THRUST_200600_302600_NS6detail15normal_iteratorINS8_10device_ptrIjEEEESD_jNS1_19radix_merge_compareILb0ELb1EjNS0_19identity_decomposerEEEEE10hipError_tT0_T1_T2_jT3_P12ihipStream_tbPNSt15iterator_traitsISI_E10value_typeEPNSO_ISJ_E10value_typeEPSK_NS1_7vsmem_tEENKUlT_SI_SJ_SK_E_clIPjSD_S10_SD_EESH_SX_SI_SJ_SK_EUlSX_E0_NS1_11comp_targetILNS1_3genE3ELNS1_11target_archE908ELNS1_3gpuE7ELNS1_3repE0EEENS1_38merge_mergepath_config_static_selectorELNS0_4arch9wavefront6targetE1EEEvSJ_,comdat
.Lfunc_end688:
	.size	_ZN7rocprim17ROCPRIM_400000_NS6detail17trampoline_kernelINS0_14default_configENS1_38merge_sort_block_merge_config_selectorIjjEEZZNS1_27merge_sort_block_merge_implIS3_N6thrust23THRUST_200600_302600_NS6detail15normal_iteratorINS8_10device_ptrIjEEEESD_jNS1_19radix_merge_compareILb0ELb1EjNS0_19identity_decomposerEEEEE10hipError_tT0_T1_T2_jT3_P12ihipStream_tbPNSt15iterator_traitsISI_E10value_typeEPNSO_ISJ_E10value_typeEPSK_NS1_7vsmem_tEENKUlT_SI_SJ_SK_E_clIPjSD_S10_SD_EESH_SX_SI_SJ_SK_EUlSX_E0_NS1_11comp_targetILNS1_3genE3ELNS1_11target_archE908ELNS1_3gpuE7ELNS1_3repE0EEENS1_38merge_mergepath_config_static_selectorELNS0_4arch9wavefront6targetE1EEEvSJ_, .Lfunc_end688-_ZN7rocprim17ROCPRIM_400000_NS6detail17trampoline_kernelINS0_14default_configENS1_38merge_sort_block_merge_config_selectorIjjEEZZNS1_27merge_sort_block_merge_implIS3_N6thrust23THRUST_200600_302600_NS6detail15normal_iteratorINS8_10device_ptrIjEEEESD_jNS1_19radix_merge_compareILb0ELb1EjNS0_19identity_decomposerEEEEE10hipError_tT0_T1_T2_jT3_P12ihipStream_tbPNSt15iterator_traitsISI_E10value_typeEPNSO_ISJ_E10value_typeEPSK_NS1_7vsmem_tEENKUlT_SI_SJ_SK_E_clIPjSD_S10_SD_EESH_SX_SI_SJ_SK_EUlSX_E0_NS1_11comp_targetILNS1_3genE3ELNS1_11target_archE908ELNS1_3gpuE7ELNS1_3repE0EEENS1_38merge_mergepath_config_static_selectorELNS0_4arch9wavefront6targetE1EEEvSJ_
                                        ; -- End function
	.set _ZN7rocprim17ROCPRIM_400000_NS6detail17trampoline_kernelINS0_14default_configENS1_38merge_sort_block_merge_config_selectorIjjEEZZNS1_27merge_sort_block_merge_implIS3_N6thrust23THRUST_200600_302600_NS6detail15normal_iteratorINS8_10device_ptrIjEEEESD_jNS1_19radix_merge_compareILb0ELb1EjNS0_19identity_decomposerEEEEE10hipError_tT0_T1_T2_jT3_P12ihipStream_tbPNSt15iterator_traitsISI_E10value_typeEPNSO_ISJ_E10value_typeEPSK_NS1_7vsmem_tEENKUlT_SI_SJ_SK_E_clIPjSD_S10_SD_EESH_SX_SI_SJ_SK_EUlSX_E0_NS1_11comp_targetILNS1_3genE3ELNS1_11target_archE908ELNS1_3gpuE7ELNS1_3repE0EEENS1_38merge_mergepath_config_static_selectorELNS0_4arch9wavefront6targetE1EEEvSJ_.num_vgpr, 0
	.set _ZN7rocprim17ROCPRIM_400000_NS6detail17trampoline_kernelINS0_14default_configENS1_38merge_sort_block_merge_config_selectorIjjEEZZNS1_27merge_sort_block_merge_implIS3_N6thrust23THRUST_200600_302600_NS6detail15normal_iteratorINS8_10device_ptrIjEEEESD_jNS1_19radix_merge_compareILb0ELb1EjNS0_19identity_decomposerEEEEE10hipError_tT0_T1_T2_jT3_P12ihipStream_tbPNSt15iterator_traitsISI_E10value_typeEPNSO_ISJ_E10value_typeEPSK_NS1_7vsmem_tEENKUlT_SI_SJ_SK_E_clIPjSD_S10_SD_EESH_SX_SI_SJ_SK_EUlSX_E0_NS1_11comp_targetILNS1_3genE3ELNS1_11target_archE908ELNS1_3gpuE7ELNS1_3repE0EEENS1_38merge_mergepath_config_static_selectorELNS0_4arch9wavefront6targetE1EEEvSJ_.num_agpr, 0
	.set _ZN7rocprim17ROCPRIM_400000_NS6detail17trampoline_kernelINS0_14default_configENS1_38merge_sort_block_merge_config_selectorIjjEEZZNS1_27merge_sort_block_merge_implIS3_N6thrust23THRUST_200600_302600_NS6detail15normal_iteratorINS8_10device_ptrIjEEEESD_jNS1_19radix_merge_compareILb0ELb1EjNS0_19identity_decomposerEEEEE10hipError_tT0_T1_T2_jT3_P12ihipStream_tbPNSt15iterator_traitsISI_E10value_typeEPNSO_ISJ_E10value_typeEPSK_NS1_7vsmem_tEENKUlT_SI_SJ_SK_E_clIPjSD_S10_SD_EESH_SX_SI_SJ_SK_EUlSX_E0_NS1_11comp_targetILNS1_3genE3ELNS1_11target_archE908ELNS1_3gpuE7ELNS1_3repE0EEENS1_38merge_mergepath_config_static_selectorELNS0_4arch9wavefront6targetE1EEEvSJ_.numbered_sgpr, 0
	.set _ZN7rocprim17ROCPRIM_400000_NS6detail17trampoline_kernelINS0_14default_configENS1_38merge_sort_block_merge_config_selectorIjjEEZZNS1_27merge_sort_block_merge_implIS3_N6thrust23THRUST_200600_302600_NS6detail15normal_iteratorINS8_10device_ptrIjEEEESD_jNS1_19radix_merge_compareILb0ELb1EjNS0_19identity_decomposerEEEEE10hipError_tT0_T1_T2_jT3_P12ihipStream_tbPNSt15iterator_traitsISI_E10value_typeEPNSO_ISJ_E10value_typeEPSK_NS1_7vsmem_tEENKUlT_SI_SJ_SK_E_clIPjSD_S10_SD_EESH_SX_SI_SJ_SK_EUlSX_E0_NS1_11comp_targetILNS1_3genE3ELNS1_11target_archE908ELNS1_3gpuE7ELNS1_3repE0EEENS1_38merge_mergepath_config_static_selectorELNS0_4arch9wavefront6targetE1EEEvSJ_.num_named_barrier, 0
	.set _ZN7rocprim17ROCPRIM_400000_NS6detail17trampoline_kernelINS0_14default_configENS1_38merge_sort_block_merge_config_selectorIjjEEZZNS1_27merge_sort_block_merge_implIS3_N6thrust23THRUST_200600_302600_NS6detail15normal_iteratorINS8_10device_ptrIjEEEESD_jNS1_19radix_merge_compareILb0ELb1EjNS0_19identity_decomposerEEEEE10hipError_tT0_T1_T2_jT3_P12ihipStream_tbPNSt15iterator_traitsISI_E10value_typeEPNSO_ISJ_E10value_typeEPSK_NS1_7vsmem_tEENKUlT_SI_SJ_SK_E_clIPjSD_S10_SD_EESH_SX_SI_SJ_SK_EUlSX_E0_NS1_11comp_targetILNS1_3genE3ELNS1_11target_archE908ELNS1_3gpuE7ELNS1_3repE0EEENS1_38merge_mergepath_config_static_selectorELNS0_4arch9wavefront6targetE1EEEvSJ_.private_seg_size, 0
	.set _ZN7rocprim17ROCPRIM_400000_NS6detail17trampoline_kernelINS0_14default_configENS1_38merge_sort_block_merge_config_selectorIjjEEZZNS1_27merge_sort_block_merge_implIS3_N6thrust23THRUST_200600_302600_NS6detail15normal_iteratorINS8_10device_ptrIjEEEESD_jNS1_19radix_merge_compareILb0ELb1EjNS0_19identity_decomposerEEEEE10hipError_tT0_T1_T2_jT3_P12ihipStream_tbPNSt15iterator_traitsISI_E10value_typeEPNSO_ISJ_E10value_typeEPSK_NS1_7vsmem_tEENKUlT_SI_SJ_SK_E_clIPjSD_S10_SD_EESH_SX_SI_SJ_SK_EUlSX_E0_NS1_11comp_targetILNS1_3genE3ELNS1_11target_archE908ELNS1_3gpuE7ELNS1_3repE0EEENS1_38merge_mergepath_config_static_selectorELNS0_4arch9wavefront6targetE1EEEvSJ_.uses_vcc, 0
	.set _ZN7rocprim17ROCPRIM_400000_NS6detail17trampoline_kernelINS0_14default_configENS1_38merge_sort_block_merge_config_selectorIjjEEZZNS1_27merge_sort_block_merge_implIS3_N6thrust23THRUST_200600_302600_NS6detail15normal_iteratorINS8_10device_ptrIjEEEESD_jNS1_19radix_merge_compareILb0ELb1EjNS0_19identity_decomposerEEEEE10hipError_tT0_T1_T2_jT3_P12ihipStream_tbPNSt15iterator_traitsISI_E10value_typeEPNSO_ISJ_E10value_typeEPSK_NS1_7vsmem_tEENKUlT_SI_SJ_SK_E_clIPjSD_S10_SD_EESH_SX_SI_SJ_SK_EUlSX_E0_NS1_11comp_targetILNS1_3genE3ELNS1_11target_archE908ELNS1_3gpuE7ELNS1_3repE0EEENS1_38merge_mergepath_config_static_selectorELNS0_4arch9wavefront6targetE1EEEvSJ_.uses_flat_scratch, 0
	.set _ZN7rocprim17ROCPRIM_400000_NS6detail17trampoline_kernelINS0_14default_configENS1_38merge_sort_block_merge_config_selectorIjjEEZZNS1_27merge_sort_block_merge_implIS3_N6thrust23THRUST_200600_302600_NS6detail15normal_iteratorINS8_10device_ptrIjEEEESD_jNS1_19radix_merge_compareILb0ELb1EjNS0_19identity_decomposerEEEEE10hipError_tT0_T1_T2_jT3_P12ihipStream_tbPNSt15iterator_traitsISI_E10value_typeEPNSO_ISJ_E10value_typeEPSK_NS1_7vsmem_tEENKUlT_SI_SJ_SK_E_clIPjSD_S10_SD_EESH_SX_SI_SJ_SK_EUlSX_E0_NS1_11comp_targetILNS1_3genE3ELNS1_11target_archE908ELNS1_3gpuE7ELNS1_3repE0EEENS1_38merge_mergepath_config_static_selectorELNS0_4arch9wavefront6targetE1EEEvSJ_.has_dyn_sized_stack, 0
	.set _ZN7rocprim17ROCPRIM_400000_NS6detail17trampoline_kernelINS0_14default_configENS1_38merge_sort_block_merge_config_selectorIjjEEZZNS1_27merge_sort_block_merge_implIS3_N6thrust23THRUST_200600_302600_NS6detail15normal_iteratorINS8_10device_ptrIjEEEESD_jNS1_19radix_merge_compareILb0ELb1EjNS0_19identity_decomposerEEEEE10hipError_tT0_T1_T2_jT3_P12ihipStream_tbPNSt15iterator_traitsISI_E10value_typeEPNSO_ISJ_E10value_typeEPSK_NS1_7vsmem_tEENKUlT_SI_SJ_SK_E_clIPjSD_S10_SD_EESH_SX_SI_SJ_SK_EUlSX_E0_NS1_11comp_targetILNS1_3genE3ELNS1_11target_archE908ELNS1_3gpuE7ELNS1_3repE0EEENS1_38merge_mergepath_config_static_selectorELNS0_4arch9wavefront6targetE1EEEvSJ_.has_recursion, 0
	.set _ZN7rocprim17ROCPRIM_400000_NS6detail17trampoline_kernelINS0_14default_configENS1_38merge_sort_block_merge_config_selectorIjjEEZZNS1_27merge_sort_block_merge_implIS3_N6thrust23THRUST_200600_302600_NS6detail15normal_iteratorINS8_10device_ptrIjEEEESD_jNS1_19radix_merge_compareILb0ELb1EjNS0_19identity_decomposerEEEEE10hipError_tT0_T1_T2_jT3_P12ihipStream_tbPNSt15iterator_traitsISI_E10value_typeEPNSO_ISJ_E10value_typeEPSK_NS1_7vsmem_tEENKUlT_SI_SJ_SK_E_clIPjSD_S10_SD_EESH_SX_SI_SJ_SK_EUlSX_E0_NS1_11comp_targetILNS1_3genE3ELNS1_11target_archE908ELNS1_3gpuE7ELNS1_3repE0EEENS1_38merge_mergepath_config_static_selectorELNS0_4arch9wavefront6targetE1EEEvSJ_.has_indirect_call, 0
	.section	.AMDGPU.csdata,"",@progbits
; Kernel info:
; codeLenInByte = 0
; TotalNumSgprs: 6
; NumVgprs: 0
; NumAgprs: 0
; TotalNumVgprs: 0
; ScratchSize: 0
; MemoryBound: 0
; FloatMode: 240
; IeeeMode: 1
; LDSByteSize: 0 bytes/workgroup (compile time only)
; SGPRBlocks: 0
; VGPRBlocks: 0
; NumSGPRsForWavesPerEU: 6
; NumVGPRsForWavesPerEU: 1
; AccumOffset: 4
; Occupancy: 8
; WaveLimiterHint : 0
; COMPUTE_PGM_RSRC2:SCRATCH_EN: 0
; COMPUTE_PGM_RSRC2:USER_SGPR: 2
; COMPUTE_PGM_RSRC2:TRAP_HANDLER: 0
; COMPUTE_PGM_RSRC2:TGID_X_EN: 1
; COMPUTE_PGM_RSRC2:TGID_Y_EN: 0
; COMPUTE_PGM_RSRC2:TGID_Z_EN: 0
; COMPUTE_PGM_RSRC2:TIDIG_COMP_CNT: 0
; COMPUTE_PGM_RSRC3_GFX90A:ACCUM_OFFSET: 0
; COMPUTE_PGM_RSRC3_GFX90A:TG_SPLIT: 0
	.section	.text._ZN7rocprim17ROCPRIM_400000_NS6detail17trampoline_kernelINS0_14default_configENS1_38merge_sort_block_merge_config_selectorIjjEEZZNS1_27merge_sort_block_merge_implIS3_N6thrust23THRUST_200600_302600_NS6detail15normal_iteratorINS8_10device_ptrIjEEEESD_jNS1_19radix_merge_compareILb0ELb1EjNS0_19identity_decomposerEEEEE10hipError_tT0_T1_T2_jT3_P12ihipStream_tbPNSt15iterator_traitsISI_E10value_typeEPNSO_ISJ_E10value_typeEPSK_NS1_7vsmem_tEENKUlT_SI_SJ_SK_E_clIPjSD_S10_SD_EESH_SX_SI_SJ_SK_EUlSX_E0_NS1_11comp_targetILNS1_3genE2ELNS1_11target_archE906ELNS1_3gpuE6ELNS1_3repE0EEENS1_38merge_mergepath_config_static_selectorELNS0_4arch9wavefront6targetE1EEEvSJ_,"axG",@progbits,_ZN7rocprim17ROCPRIM_400000_NS6detail17trampoline_kernelINS0_14default_configENS1_38merge_sort_block_merge_config_selectorIjjEEZZNS1_27merge_sort_block_merge_implIS3_N6thrust23THRUST_200600_302600_NS6detail15normal_iteratorINS8_10device_ptrIjEEEESD_jNS1_19radix_merge_compareILb0ELb1EjNS0_19identity_decomposerEEEEE10hipError_tT0_T1_T2_jT3_P12ihipStream_tbPNSt15iterator_traitsISI_E10value_typeEPNSO_ISJ_E10value_typeEPSK_NS1_7vsmem_tEENKUlT_SI_SJ_SK_E_clIPjSD_S10_SD_EESH_SX_SI_SJ_SK_EUlSX_E0_NS1_11comp_targetILNS1_3genE2ELNS1_11target_archE906ELNS1_3gpuE6ELNS1_3repE0EEENS1_38merge_mergepath_config_static_selectorELNS0_4arch9wavefront6targetE1EEEvSJ_,comdat
	.protected	_ZN7rocprim17ROCPRIM_400000_NS6detail17trampoline_kernelINS0_14default_configENS1_38merge_sort_block_merge_config_selectorIjjEEZZNS1_27merge_sort_block_merge_implIS3_N6thrust23THRUST_200600_302600_NS6detail15normal_iteratorINS8_10device_ptrIjEEEESD_jNS1_19radix_merge_compareILb0ELb1EjNS0_19identity_decomposerEEEEE10hipError_tT0_T1_T2_jT3_P12ihipStream_tbPNSt15iterator_traitsISI_E10value_typeEPNSO_ISJ_E10value_typeEPSK_NS1_7vsmem_tEENKUlT_SI_SJ_SK_E_clIPjSD_S10_SD_EESH_SX_SI_SJ_SK_EUlSX_E0_NS1_11comp_targetILNS1_3genE2ELNS1_11target_archE906ELNS1_3gpuE6ELNS1_3repE0EEENS1_38merge_mergepath_config_static_selectorELNS0_4arch9wavefront6targetE1EEEvSJ_ ; -- Begin function _ZN7rocprim17ROCPRIM_400000_NS6detail17trampoline_kernelINS0_14default_configENS1_38merge_sort_block_merge_config_selectorIjjEEZZNS1_27merge_sort_block_merge_implIS3_N6thrust23THRUST_200600_302600_NS6detail15normal_iteratorINS8_10device_ptrIjEEEESD_jNS1_19radix_merge_compareILb0ELb1EjNS0_19identity_decomposerEEEEE10hipError_tT0_T1_T2_jT3_P12ihipStream_tbPNSt15iterator_traitsISI_E10value_typeEPNSO_ISJ_E10value_typeEPSK_NS1_7vsmem_tEENKUlT_SI_SJ_SK_E_clIPjSD_S10_SD_EESH_SX_SI_SJ_SK_EUlSX_E0_NS1_11comp_targetILNS1_3genE2ELNS1_11target_archE906ELNS1_3gpuE6ELNS1_3repE0EEENS1_38merge_mergepath_config_static_selectorELNS0_4arch9wavefront6targetE1EEEvSJ_
	.globl	_ZN7rocprim17ROCPRIM_400000_NS6detail17trampoline_kernelINS0_14default_configENS1_38merge_sort_block_merge_config_selectorIjjEEZZNS1_27merge_sort_block_merge_implIS3_N6thrust23THRUST_200600_302600_NS6detail15normal_iteratorINS8_10device_ptrIjEEEESD_jNS1_19radix_merge_compareILb0ELb1EjNS0_19identity_decomposerEEEEE10hipError_tT0_T1_T2_jT3_P12ihipStream_tbPNSt15iterator_traitsISI_E10value_typeEPNSO_ISJ_E10value_typeEPSK_NS1_7vsmem_tEENKUlT_SI_SJ_SK_E_clIPjSD_S10_SD_EESH_SX_SI_SJ_SK_EUlSX_E0_NS1_11comp_targetILNS1_3genE2ELNS1_11target_archE906ELNS1_3gpuE6ELNS1_3repE0EEENS1_38merge_mergepath_config_static_selectorELNS0_4arch9wavefront6targetE1EEEvSJ_
	.p2align	8
	.type	_ZN7rocprim17ROCPRIM_400000_NS6detail17trampoline_kernelINS0_14default_configENS1_38merge_sort_block_merge_config_selectorIjjEEZZNS1_27merge_sort_block_merge_implIS3_N6thrust23THRUST_200600_302600_NS6detail15normal_iteratorINS8_10device_ptrIjEEEESD_jNS1_19radix_merge_compareILb0ELb1EjNS0_19identity_decomposerEEEEE10hipError_tT0_T1_T2_jT3_P12ihipStream_tbPNSt15iterator_traitsISI_E10value_typeEPNSO_ISJ_E10value_typeEPSK_NS1_7vsmem_tEENKUlT_SI_SJ_SK_E_clIPjSD_S10_SD_EESH_SX_SI_SJ_SK_EUlSX_E0_NS1_11comp_targetILNS1_3genE2ELNS1_11target_archE906ELNS1_3gpuE6ELNS1_3repE0EEENS1_38merge_mergepath_config_static_selectorELNS0_4arch9wavefront6targetE1EEEvSJ_,@function
_ZN7rocprim17ROCPRIM_400000_NS6detail17trampoline_kernelINS0_14default_configENS1_38merge_sort_block_merge_config_selectorIjjEEZZNS1_27merge_sort_block_merge_implIS3_N6thrust23THRUST_200600_302600_NS6detail15normal_iteratorINS8_10device_ptrIjEEEESD_jNS1_19radix_merge_compareILb0ELb1EjNS0_19identity_decomposerEEEEE10hipError_tT0_T1_T2_jT3_P12ihipStream_tbPNSt15iterator_traitsISI_E10value_typeEPNSO_ISJ_E10value_typeEPSK_NS1_7vsmem_tEENKUlT_SI_SJ_SK_E_clIPjSD_S10_SD_EESH_SX_SI_SJ_SK_EUlSX_E0_NS1_11comp_targetILNS1_3genE2ELNS1_11target_archE906ELNS1_3gpuE6ELNS1_3repE0EEENS1_38merge_mergepath_config_static_selectorELNS0_4arch9wavefront6targetE1EEEvSJ_: ; @_ZN7rocprim17ROCPRIM_400000_NS6detail17trampoline_kernelINS0_14default_configENS1_38merge_sort_block_merge_config_selectorIjjEEZZNS1_27merge_sort_block_merge_implIS3_N6thrust23THRUST_200600_302600_NS6detail15normal_iteratorINS8_10device_ptrIjEEEESD_jNS1_19radix_merge_compareILb0ELb1EjNS0_19identity_decomposerEEEEE10hipError_tT0_T1_T2_jT3_P12ihipStream_tbPNSt15iterator_traitsISI_E10value_typeEPNSO_ISJ_E10value_typeEPSK_NS1_7vsmem_tEENKUlT_SI_SJ_SK_E_clIPjSD_S10_SD_EESH_SX_SI_SJ_SK_EUlSX_E0_NS1_11comp_targetILNS1_3genE2ELNS1_11target_archE906ELNS1_3gpuE6ELNS1_3repE0EEENS1_38merge_mergepath_config_static_selectorELNS0_4arch9wavefront6targetE1EEEvSJ_
; %bb.0:
	.section	.rodata,"a",@progbits
	.p2align	6, 0x0
	.amdhsa_kernel _ZN7rocprim17ROCPRIM_400000_NS6detail17trampoline_kernelINS0_14default_configENS1_38merge_sort_block_merge_config_selectorIjjEEZZNS1_27merge_sort_block_merge_implIS3_N6thrust23THRUST_200600_302600_NS6detail15normal_iteratorINS8_10device_ptrIjEEEESD_jNS1_19radix_merge_compareILb0ELb1EjNS0_19identity_decomposerEEEEE10hipError_tT0_T1_T2_jT3_P12ihipStream_tbPNSt15iterator_traitsISI_E10value_typeEPNSO_ISJ_E10value_typeEPSK_NS1_7vsmem_tEENKUlT_SI_SJ_SK_E_clIPjSD_S10_SD_EESH_SX_SI_SJ_SK_EUlSX_E0_NS1_11comp_targetILNS1_3genE2ELNS1_11target_archE906ELNS1_3gpuE6ELNS1_3repE0EEENS1_38merge_mergepath_config_static_selectorELNS0_4arch9wavefront6targetE1EEEvSJ_
		.amdhsa_group_segment_fixed_size 0
		.amdhsa_private_segment_fixed_size 0
		.amdhsa_kernarg_size 64
		.amdhsa_user_sgpr_count 2
		.amdhsa_user_sgpr_dispatch_ptr 0
		.amdhsa_user_sgpr_queue_ptr 0
		.amdhsa_user_sgpr_kernarg_segment_ptr 1
		.amdhsa_user_sgpr_dispatch_id 0
		.amdhsa_user_sgpr_kernarg_preload_length 0
		.amdhsa_user_sgpr_kernarg_preload_offset 0
		.amdhsa_user_sgpr_private_segment_size 0
		.amdhsa_uses_dynamic_stack 0
		.amdhsa_enable_private_segment 0
		.amdhsa_system_sgpr_workgroup_id_x 1
		.amdhsa_system_sgpr_workgroup_id_y 0
		.amdhsa_system_sgpr_workgroup_id_z 0
		.amdhsa_system_sgpr_workgroup_info 0
		.amdhsa_system_vgpr_workitem_id 0
		.amdhsa_next_free_vgpr 1
		.amdhsa_next_free_sgpr 0
		.amdhsa_accum_offset 4
		.amdhsa_reserve_vcc 0
		.amdhsa_float_round_mode_32 0
		.amdhsa_float_round_mode_16_64 0
		.amdhsa_float_denorm_mode_32 3
		.amdhsa_float_denorm_mode_16_64 3
		.amdhsa_dx10_clamp 1
		.amdhsa_ieee_mode 1
		.amdhsa_fp16_overflow 0
		.amdhsa_tg_split 0
		.amdhsa_exception_fp_ieee_invalid_op 0
		.amdhsa_exception_fp_denorm_src 0
		.amdhsa_exception_fp_ieee_div_zero 0
		.amdhsa_exception_fp_ieee_overflow 0
		.amdhsa_exception_fp_ieee_underflow 0
		.amdhsa_exception_fp_ieee_inexact 0
		.amdhsa_exception_int_div_zero 0
	.end_amdhsa_kernel
	.section	.text._ZN7rocprim17ROCPRIM_400000_NS6detail17trampoline_kernelINS0_14default_configENS1_38merge_sort_block_merge_config_selectorIjjEEZZNS1_27merge_sort_block_merge_implIS3_N6thrust23THRUST_200600_302600_NS6detail15normal_iteratorINS8_10device_ptrIjEEEESD_jNS1_19radix_merge_compareILb0ELb1EjNS0_19identity_decomposerEEEEE10hipError_tT0_T1_T2_jT3_P12ihipStream_tbPNSt15iterator_traitsISI_E10value_typeEPNSO_ISJ_E10value_typeEPSK_NS1_7vsmem_tEENKUlT_SI_SJ_SK_E_clIPjSD_S10_SD_EESH_SX_SI_SJ_SK_EUlSX_E0_NS1_11comp_targetILNS1_3genE2ELNS1_11target_archE906ELNS1_3gpuE6ELNS1_3repE0EEENS1_38merge_mergepath_config_static_selectorELNS0_4arch9wavefront6targetE1EEEvSJ_,"axG",@progbits,_ZN7rocprim17ROCPRIM_400000_NS6detail17trampoline_kernelINS0_14default_configENS1_38merge_sort_block_merge_config_selectorIjjEEZZNS1_27merge_sort_block_merge_implIS3_N6thrust23THRUST_200600_302600_NS6detail15normal_iteratorINS8_10device_ptrIjEEEESD_jNS1_19radix_merge_compareILb0ELb1EjNS0_19identity_decomposerEEEEE10hipError_tT0_T1_T2_jT3_P12ihipStream_tbPNSt15iterator_traitsISI_E10value_typeEPNSO_ISJ_E10value_typeEPSK_NS1_7vsmem_tEENKUlT_SI_SJ_SK_E_clIPjSD_S10_SD_EESH_SX_SI_SJ_SK_EUlSX_E0_NS1_11comp_targetILNS1_3genE2ELNS1_11target_archE906ELNS1_3gpuE6ELNS1_3repE0EEENS1_38merge_mergepath_config_static_selectorELNS0_4arch9wavefront6targetE1EEEvSJ_,comdat
.Lfunc_end689:
	.size	_ZN7rocprim17ROCPRIM_400000_NS6detail17trampoline_kernelINS0_14default_configENS1_38merge_sort_block_merge_config_selectorIjjEEZZNS1_27merge_sort_block_merge_implIS3_N6thrust23THRUST_200600_302600_NS6detail15normal_iteratorINS8_10device_ptrIjEEEESD_jNS1_19radix_merge_compareILb0ELb1EjNS0_19identity_decomposerEEEEE10hipError_tT0_T1_T2_jT3_P12ihipStream_tbPNSt15iterator_traitsISI_E10value_typeEPNSO_ISJ_E10value_typeEPSK_NS1_7vsmem_tEENKUlT_SI_SJ_SK_E_clIPjSD_S10_SD_EESH_SX_SI_SJ_SK_EUlSX_E0_NS1_11comp_targetILNS1_3genE2ELNS1_11target_archE906ELNS1_3gpuE6ELNS1_3repE0EEENS1_38merge_mergepath_config_static_selectorELNS0_4arch9wavefront6targetE1EEEvSJ_, .Lfunc_end689-_ZN7rocprim17ROCPRIM_400000_NS6detail17trampoline_kernelINS0_14default_configENS1_38merge_sort_block_merge_config_selectorIjjEEZZNS1_27merge_sort_block_merge_implIS3_N6thrust23THRUST_200600_302600_NS6detail15normal_iteratorINS8_10device_ptrIjEEEESD_jNS1_19radix_merge_compareILb0ELb1EjNS0_19identity_decomposerEEEEE10hipError_tT0_T1_T2_jT3_P12ihipStream_tbPNSt15iterator_traitsISI_E10value_typeEPNSO_ISJ_E10value_typeEPSK_NS1_7vsmem_tEENKUlT_SI_SJ_SK_E_clIPjSD_S10_SD_EESH_SX_SI_SJ_SK_EUlSX_E0_NS1_11comp_targetILNS1_3genE2ELNS1_11target_archE906ELNS1_3gpuE6ELNS1_3repE0EEENS1_38merge_mergepath_config_static_selectorELNS0_4arch9wavefront6targetE1EEEvSJ_
                                        ; -- End function
	.set _ZN7rocprim17ROCPRIM_400000_NS6detail17trampoline_kernelINS0_14default_configENS1_38merge_sort_block_merge_config_selectorIjjEEZZNS1_27merge_sort_block_merge_implIS3_N6thrust23THRUST_200600_302600_NS6detail15normal_iteratorINS8_10device_ptrIjEEEESD_jNS1_19radix_merge_compareILb0ELb1EjNS0_19identity_decomposerEEEEE10hipError_tT0_T1_T2_jT3_P12ihipStream_tbPNSt15iterator_traitsISI_E10value_typeEPNSO_ISJ_E10value_typeEPSK_NS1_7vsmem_tEENKUlT_SI_SJ_SK_E_clIPjSD_S10_SD_EESH_SX_SI_SJ_SK_EUlSX_E0_NS1_11comp_targetILNS1_3genE2ELNS1_11target_archE906ELNS1_3gpuE6ELNS1_3repE0EEENS1_38merge_mergepath_config_static_selectorELNS0_4arch9wavefront6targetE1EEEvSJ_.num_vgpr, 0
	.set _ZN7rocprim17ROCPRIM_400000_NS6detail17trampoline_kernelINS0_14default_configENS1_38merge_sort_block_merge_config_selectorIjjEEZZNS1_27merge_sort_block_merge_implIS3_N6thrust23THRUST_200600_302600_NS6detail15normal_iteratorINS8_10device_ptrIjEEEESD_jNS1_19radix_merge_compareILb0ELb1EjNS0_19identity_decomposerEEEEE10hipError_tT0_T1_T2_jT3_P12ihipStream_tbPNSt15iterator_traitsISI_E10value_typeEPNSO_ISJ_E10value_typeEPSK_NS1_7vsmem_tEENKUlT_SI_SJ_SK_E_clIPjSD_S10_SD_EESH_SX_SI_SJ_SK_EUlSX_E0_NS1_11comp_targetILNS1_3genE2ELNS1_11target_archE906ELNS1_3gpuE6ELNS1_3repE0EEENS1_38merge_mergepath_config_static_selectorELNS0_4arch9wavefront6targetE1EEEvSJ_.num_agpr, 0
	.set _ZN7rocprim17ROCPRIM_400000_NS6detail17trampoline_kernelINS0_14default_configENS1_38merge_sort_block_merge_config_selectorIjjEEZZNS1_27merge_sort_block_merge_implIS3_N6thrust23THRUST_200600_302600_NS6detail15normal_iteratorINS8_10device_ptrIjEEEESD_jNS1_19radix_merge_compareILb0ELb1EjNS0_19identity_decomposerEEEEE10hipError_tT0_T1_T2_jT3_P12ihipStream_tbPNSt15iterator_traitsISI_E10value_typeEPNSO_ISJ_E10value_typeEPSK_NS1_7vsmem_tEENKUlT_SI_SJ_SK_E_clIPjSD_S10_SD_EESH_SX_SI_SJ_SK_EUlSX_E0_NS1_11comp_targetILNS1_3genE2ELNS1_11target_archE906ELNS1_3gpuE6ELNS1_3repE0EEENS1_38merge_mergepath_config_static_selectorELNS0_4arch9wavefront6targetE1EEEvSJ_.numbered_sgpr, 0
	.set _ZN7rocprim17ROCPRIM_400000_NS6detail17trampoline_kernelINS0_14default_configENS1_38merge_sort_block_merge_config_selectorIjjEEZZNS1_27merge_sort_block_merge_implIS3_N6thrust23THRUST_200600_302600_NS6detail15normal_iteratorINS8_10device_ptrIjEEEESD_jNS1_19radix_merge_compareILb0ELb1EjNS0_19identity_decomposerEEEEE10hipError_tT0_T1_T2_jT3_P12ihipStream_tbPNSt15iterator_traitsISI_E10value_typeEPNSO_ISJ_E10value_typeEPSK_NS1_7vsmem_tEENKUlT_SI_SJ_SK_E_clIPjSD_S10_SD_EESH_SX_SI_SJ_SK_EUlSX_E0_NS1_11comp_targetILNS1_3genE2ELNS1_11target_archE906ELNS1_3gpuE6ELNS1_3repE0EEENS1_38merge_mergepath_config_static_selectorELNS0_4arch9wavefront6targetE1EEEvSJ_.num_named_barrier, 0
	.set _ZN7rocprim17ROCPRIM_400000_NS6detail17trampoline_kernelINS0_14default_configENS1_38merge_sort_block_merge_config_selectorIjjEEZZNS1_27merge_sort_block_merge_implIS3_N6thrust23THRUST_200600_302600_NS6detail15normal_iteratorINS8_10device_ptrIjEEEESD_jNS1_19radix_merge_compareILb0ELb1EjNS0_19identity_decomposerEEEEE10hipError_tT0_T1_T2_jT3_P12ihipStream_tbPNSt15iterator_traitsISI_E10value_typeEPNSO_ISJ_E10value_typeEPSK_NS1_7vsmem_tEENKUlT_SI_SJ_SK_E_clIPjSD_S10_SD_EESH_SX_SI_SJ_SK_EUlSX_E0_NS1_11comp_targetILNS1_3genE2ELNS1_11target_archE906ELNS1_3gpuE6ELNS1_3repE0EEENS1_38merge_mergepath_config_static_selectorELNS0_4arch9wavefront6targetE1EEEvSJ_.private_seg_size, 0
	.set _ZN7rocprim17ROCPRIM_400000_NS6detail17trampoline_kernelINS0_14default_configENS1_38merge_sort_block_merge_config_selectorIjjEEZZNS1_27merge_sort_block_merge_implIS3_N6thrust23THRUST_200600_302600_NS6detail15normal_iteratorINS8_10device_ptrIjEEEESD_jNS1_19radix_merge_compareILb0ELb1EjNS0_19identity_decomposerEEEEE10hipError_tT0_T1_T2_jT3_P12ihipStream_tbPNSt15iterator_traitsISI_E10value_typeEPNSO_ISJ_E10value_typeEPSK_NS1_7vsmem_tEENKUlT_SI_SJ_SK_E_clIPjSD_S10_SD_EESH_SX_SI_SJ_SK_EUlSX_E0_NS1_11comp_targetILNS1_3genE2ELNS1_11target_archE906ELNS1_3gpuE6ELNS1_3repE0EEENS1_38merge_mergepath_config_static_selectorELNS0_4arch9wavefront6targetE1EEEvSJ_.uses_vcc, 0
	.set _ZN7rocprim17ROCPRIM_400000_NS6detail17trampoline_kernelINS0_14default_configENS1_38merge_sort_block_merge_config_selectorIjjEEZZNS1_27merge_sort_block_merge_implIS3_N6thrust23THRUST_200600_302600_NS6detail15normal_iteratorINS8_10device_ptrIjEEEESD_jNS1_19radix_merge_compareILb0ELb1EjNS0_19identity_decomposerEEEEE10hipError_tT0_T1_T2_jT3_P12ihipStream_tbPNSt15iterator_traitsISI_E10value_typeEPNSO_ISJ_E10value_typeEPSK_NS1_7vsmem_tEENKUlT_SI_SJ_SK_E_clIPjSD_S10_SD_EESH_SX_SI_SJ_SK_EUlSX_E0_NS1_11comp_targetILNS1_3genE2ELNS1_11target_archE906ELNS1_3gpuE6ELNS1_3repE0EEENS1_38merge_mergepath_config_static_selectorELNS0_4arch9wavefront6targetE1EEEvSJ_.uses_flat_scratch, 0
	.set _ZN7rocprim17ROCPRIM_400000_NS6detail17trampoline_kernelINS0_14default_configENS1_38merge_sort_block_merge_config_selectorIjjEEZZNS1_27merge_sort_block_merge_implIS3_N6thrust23THRUST_200600_302600_NS6detail15normal_iteratorINS8_10device_ptrIjEEEESD_jNS1_19radix_merge_compareILb0ELb1EjNS0_19identity_decomposerEEEEE10hipError_tT0_T1_T2_jT3_P12ihipStream_tbPNSt15iterator_traitsISI_E10value_typeEPNSO_ISJ_E10value_typeEPSK_NS1_7vsmem_tEENKUlT_SI_SJ_SK_E_clIPjSD_S10_SD_EESH_SX_SI_SJ_SK_EUlSX_E0_NS1_11comp_targetILNS1_3genE2ELNS1_11target_archE906ELNS1_3gpuE6ELNS1_3repE0EEENS1_38merge_mergepath_config_static_selectorELNS0_4arch9wavefront6targetE1EEEvSJ_.has_dyn_sized_stack, 0
	.set _ZN7rocprim17ROCPRIM_400000_NS6detail17trampoline_kernelINS0_14default_configENS1_38merge_sort_block_merge_config_selectorIjjEEZZNS1_27merge_sort_block_merge_implIS3_N6thrust23THRUST_200600_302600_NS6detail15normal_iteratorINS8_10device_ptrIjEEEESD_jNS1_19radix_merge_compareILb0ELb1EjNS0_19identity_decomposerEEEEE10hipError_tT0_T1_T2_jT3_P12ihipStream_tbPNSt15iterator_traitsISI_E10value_typeEPNSO_ISJ_E10value_typeEPSK_NS1_7vsmem_tEENKUlT_SI_SJ_SK_E_clIPjSD_S10_SD_EESH_SX_SI_SJ_SK_EUlSX_E0_NS1_11comp_targetILNS1_3genE2ELNS1_11target_archE906ELNS1_3gpuE6ELNS1_3repE0EEENS1_38merge_mergepath_config_static_selectorELNS0_4arch9wavefront6targetE1EEEvSJ_.has_recursion, 0
	.set _ZN7rocprim17ROCPRIM_400000_NS6detail17trampoline_kernelINS0_14default_configENS1_38merge_sort_block_merge_config_selectorIjjEEZZNS1_27merge_sort_block_merge_implIS3_N6thrust23THRUST_200600_302600_NS6detail15normal_iteratorINS8_10device_ptrIjEEEESD_jNS1_19radix_merge_compareILb0ELb1EjNS0_19identity_decomposerEEEEE10hipError_tT0_T1_T2_jT3_P12ihipStream_tbPNSt15iterator_traitsISI_E10value_typeEPNSO_ISJ_E10value_typeEPSK_NS1_7vsmem_tEENKUlT_SI_SJ_SK_E_clIPjSD_S10_SD_EESH_SX_SI_SJ_SK_EUlSX_E0_NS1_11comp_targetILNS1_3genE2ELNS1_11target_archE906ELNS1_3gpuE6ELNS1_3repE0EEENS1_38merge_mergepath_config_static_selectorELNS0_4arch9wavefront6targetE1EEEvSJ_.has_indirect_call, 0
	.section	.AMDGPU.csdata,"",@progbits
; Kernel info:
; codeLenInByte = 0
; TotalNumSgprs: 6
; NumVgprs: 0
; NumAgprs: 0
; TotalNumVgprs: 0
; ScratchSize: 0
; MemoryBound: 0
; FloatMode: 240
; IeeeMode: 1
; LDSByteSize: 0 bytes/workgroup (compile time only)
; SGPRBlocks: 0
; VGPRBlocks: 0
; NumSGPRsForWavesPerEU: 6
; NumVGPRsForWavesPerEU: 1
; AccumOffset: 4
; Occupancy: 8
; WaveLimiterHint : 0
; COMPUTE_PGM_RSRC2:SCRATCH_EN: 0
; COMPUTE_PGM_RSRC2:USER_SGPR: 2
; COMPUTE_PGM_RSRC2:TRAP_HANDLER: 0
; COMPUTE_PGM_RSRC2:TGID_X_EN: 1
; COMPUTE_PGM_RSRC2:TGID_Y_EN: 0
; COMPUTE_PGM_RSRC2:TGID_Z_EN: 0
; COMPUTE_PGM_RSRC2:TIDIG_COMP_CNT: 0
; COMPUTE_PGM_RSRC3_GFX90A:ACCUM_OFFSET: 0
; COMPUTE_PGM_RSRC3_GFX90A:TG_SPLIT: 0
	.section	.text._ZN7rocprim17ROCPRIM_400000_NS6detail17trampoline_kernelINS0_14default_configENS1_38merge_sort_block_merge_config_selectorIjjEEZZNS1_27merge_sort_block_merge_implIS3_N6thrust23THRUST_200600_302600_NS6detail15normal_iteratorINS8_10device_ptrIjEEEESD_jNS1_19radix_merge_compareILb0ELb1EjNS0_19identity_decomposerEEEEE10hipError_tT0_T1_T2_jT3_P12ihipStream_tbPNSt15iterator_traitsISI_E10value_typeEPNSO_ISJ_E10value_typeEPSK_NS1_7vsmem_tEENKUlT_SI_SJ_SK_E_clIPjSD_S10_SD_EESH_SX_SI_SJ_SK_EUlSX_E0_NS1_11comp_targetILNS1_3genE9ELNS1_11target_archE1100ELNS1_3gpuE3ELNS1_3repE0EEENS1_38merge_mergepath_config_static_selectorELNS0_4arch9wavefront6targetE1EEEvSJ_,"axG",@progbits,_ZN7rocprim17ROCPRIM_400000_NS6detail17trampoline_kernelINS0_14default_configENS1_38merge_sort_block_merge_config_selectorIjjEEZZNS1_27merge_sort_block_merge_implIS3_N6thrust23THRUST_200600_302600_NS6detail15normal_iteratorINS8_10device_ptrIjEEEESD_jNS1_19radix_merge_compareILb0ELb1EjNS0_19identity_decomposerEEEEE10hipError_tT0_T1_T2_jT3_P12ihipStream_tbPNSt15iterator_traitsISI_E10value_typeEPNSO_ISJ_E10value_typeEPSK_NS1_7vsmem_tEENKUlT_SI_SJ_SK_E_clIPjSD_S10_SD_EESH_SX_SI_SJ_SK_EUlSX_E0_NS1_11comp_targetILNS1_3genE9ELNS1_11target_archE1100ELNS1_3gpuE3ELNS1_3repE0EEENS1_38merge_mergepath_config_static_selectorELNS0_4arch9wavefront6targetE1EEEvSJ_,comdat
	.protected	_ZN7rocprim17ROCPRIM_400000_NS6detail17trampoline_kernelINS0_14default_configENS1_38merge_sort_block_merge_config_selectorIjjEEZZNS1_27merge_sort_block_merge_implIS3_N6thrust23THRUST_200600_302600_NS6detail15normal_iteratorINS8_10device_ptrIjEEEESD_jNS1_19radix_merge_compareILb0ELb1EjNS0_19identity_decomposerEEEEE10hipError_tT0_T1_T2_jT3_P12ihipStream_tbPNSt15iterator_traitsISI_E10value_typeEPNSO_ISJ_E10value_typeEPSK_NS1_7vsmem_tEENKUlT_SI_SJ_SK_E_clIPjSD_S10_SD_EESH_SX_SI_SJ_SK_EUlSX_E0_NS1_11comp_targetILNS1_3genE9ELNS1_11target_archE1100ELNS1_3gpuE3ELNS1_3repE0EEENS1_38merge_mergepath_config_static_selectorELNS0_4arch9wavefront6targetE1EEEvSJ_ ; -- Begin function _ZN7rocprim17ROCPRIM_400000_NS6detail17trampoline_kernelINS0_14default_configENS1_38merge_sort_block_merge_config_selectorIjjEEZZNS1_27merge_sort_block_merge_implIS3_N6thrust23THRUST_200600_302600_NS6detail15normal_iteratorINS8_10device_ptrIjEEEESD_jNS1_19radix_merge_compareILb0ELb1EjNS0_19identity_decomposerEEEEE10hipError_tT0_T1_T2_jT3_P12ihipStream_tbPNSt15iterator_traitsISI_E10value_typeEPNSO_ISJ_E10value_typeEPSK_NS1_7vsmem_tEENKUlT_SI_SJ_SK_E_clIPjSD_S10_SD_EESH_SX_SI_SJ_SK_EUlSX_E0_NS1_11comp_targetILNS1_3genE9ELNS1_11target_archE1100ELNS1_3gpuE3ELNS1_3repE0EEENS1_38merge_mergepath_config_static_selectorELNS0_4arch9wavefront6targetE1EEEvSJ_
	.globl	_ZN7rocprim17ROCPRIM_400000_NS6detail17trampoline_kernelINS0_14default_configENS1_38merge_sort_block_merge_config_selectorIjjEEZZNS1_27merge_sort_block_merge_implIS3_N6thrust23THRUST_200600_302600_NS6detail15normal_iteratorINS8_10device_ptrIjEEEESD_jNS1_19radix_merge_compareILb0ELb1EjNS0_19identity_decomposerEEEEE10hipError_tT0_T1_T2_jT3_P12ihipStream_tbPNSt15iterator_traitsISI_E10value_typeEPNSO_ISJ_E10value_typeEPSK_NS1_7vsmem_tEENKUlT_SI_SJ_SK_E_clIPjSD_S10_SD_EESH_SX_SI_SJ_SK_EUlSX_E0_NS1_11comp_targetILNS1_3genE9ELNS1_11target_archE1100ELNS1_3gpuE3ELNS1_3repE0EEENS1_38merge_mergepath_config_static_selectorELNS0_4arch9wavefront6targetE1EEEvSJ_
	.p2align	8
	.type	_ZN7rocprim17ROCPRIM_400000_NS6detail17trampoline_kernelINS0_14default_configENS1_38merge_sort_block_merge_config_selectorIjjEEZZNS1_27merge_sort_block_merge_implIS3_N6thrust23THRUST_200600_302600_NS6detail15normal_iteratorINS8_10device_ptrIjEEEESD_jNS1_19radix_merge_compareILb0ELb1EjNS0_19identity_decomposerEEEEE10hipError_tT0_T1_T2_jT3_P12ihipStream_tbPNSt15iterator_traitsISI_E10value_typeEPNSO_ISJ_E10value_typeEPSK_NS1_7vsmem_tEENKUlT_SI_SJ_SK_E_clIPjSD_S10_SD_EESH_SX_SI_SJ_SK_EUlSX_E0_NS1_11comp_targetILNS1_3genE9ELNS1_11target_archE1100ELNS1_3gpuE3ELNS1_3repE0EEENS1_38merge_mergepath_config_static_selectorELNS0_4arch9wavefront6targetE1EEEvSJ_,@function
_ZN7rocprim17ROCPRIM_400000_NS6detail17trampoline_kernelINS0_14default_configENS1_38merge_sort_block_merge_config_selectorIjjEEZZNS1_27merge_sort_block_merge_implIS3_N6thrust23THRUST_200600_302600_NS6detail15normal_iteratorINS8_10device_ptrIjEEEESD_jNS1_19radix_merge_compareILb0ELb1EjNS0_19identity_decomposerEEEEE10hipError_tT0_T1_T2_jT3_P12ihipStream_tbPNSt15iterator_traitsISI_E10value_typeEPNSO_ISJ_E10value_typeEPSK_NS1_7vsmem_tEENKUlT_SI_SJ_SK_E_clIPjSD_S10_SD_EESH_SX_SI_SJ_SK_EUlSX_E0_NS1_11comp_targetILNS1_3genE9ELNS1_11target_archE1100ELNS1_3gpuE3ELNS1_3repE0EEENS1_38merge_mergepath_config_static_selectorELNS0_4arch9wavefront6targetE1EEEvSJ_: ; @_ZN7rocprim17ROCPRIM_400000_NS6detail17trampoline_kernelINS0_14default_configENS1_38merge_sort_block_merge_config_selectorIjjEEZZNS1_27merge_sort_block_merge_implIS3_N6thrust23THRUST_200600_302600_NS6detail15normal_iteratorINS8_10device_ptrIjEEEESD_jNS1_19radix_merge_compareILb0ELb1EjNS0_19identity_decomposerEEEEE10hipError_tT0_T1_T2_jT3_P12ihipStream_tbPNSt15iterator_traitsISI_E10value_typeEPNSO_ISJ_E10value_typeEPSK_NS1_7vsmem_tEENKUlT_SI_SJ_SK_E_clIPjSD_S10_SD_EESH_SX_SI_SJ_SK_EUlSX_E0_NS1_11comp_targetILNS1_3genE9ELNS1_11target_archE1100ELNS1_3gpuE3ELNS1_3repE0EEENS1_38merge_mergepath_config_static_selectorELNS0_4arch9wavefront6targetE1EEEvSJ_
; %bb.0:
	.section	.rodata,"a",@progbits
	.p2align	6, 0x0
	.amdhsa_kernel _ZN7rocprim17ROCPRIM_400000_NS6detail17trampoline_kernelINS0_14default_configENS1_38merge_sort_block_merge_config_selectorIjjEEZZNS1_27merge_sort_block_merge_implIS3_N6thrust23THRUST_200600_302600_NS6detail15normal_iteratorINS8_10device_ptrIjEEEESD_jNS1_19radix_merge_compareILb0ELb1EjNS0_19identity_decomposerEEEEE10hipError_tT0_T1_T2_jT3_P12ihipStream_tbPNSt15iterator_traitsISI_E10value_typeEPNSO_ISJ_E10value_typeEPSK_NS1_7vsmem_tEENKUlT_SI_SJ_SK_E_clIPjSD_S10_SD_EESH_SX_SI_SJ_SK_EUlSX_E0_NS1_11comp_targetILNS1_3genE9ELNS1_11target_archE1100ELNS1_3gpuE3ELNS1_3repE0EEENS1_38merge_mergepath_config_static_selectorELNS0_4arch9wavefront6targetE1EEEvSJ_
		.amdhsa_group_segment_fixed_size 0
		.amdhsa_private_segment_fixed_size 0
		.amdhsa_kernarg_size 64
		.amdhsa_user_sgpr_count 2
		.amdhsa_user_sgpr_dispatch_ptr 0
		.amdhsa_user_sgpr_queue_ptr 0
		.amdhsa_user_sgpr_kernarg_segment_ptr 1
		.amdhsa_user_sgpr_dispatch_id 0
		.amdhsa_user_sgpr_kernarg_preload_length 0
		.amdhsa_user_sgpr_kernarg_preload_offset 0
		.amdhsa_user_sgpr_private_segment_size 0
		.amdhsa_uses_dynamic_stack 0
		.amdhsa_enable_private_segment 0
		.amdhsa_system_sgpr_workgroup_id_x 1
		.amdhsa_system_sgpr_workgroup_id_y 0
		.amdhsa_system_sgpr_workgroup_id_z 0
		.amdhsa_system_sgpr_workgroup_info 0
		.amdhsa_system_vgpr_workitem_id 0
		.amdhsa_next_free_vgpr 1
		.amdhsa_next_free_sgpr 0
		.amdhsa_accum_offset 4
		.amdhsa_reserve_vcc 0
		.amdhsa_float_round_mode_32 0
		.amdhsa_float_round_mode_16_64 0
		.amdhsa_float_denorm_mode_32 3
		.amdhsa_float_denorm_mode_16_64 3
		.amdhsa_dx10_clamp 1
		.amdhsa_ieee_mode 1
		.amdhsa_fp16_overflow 0
		.amdhsa_tg_split 0
		.amdhsa_exception_fp_ieee_invalid_op 0
		.amdhsa_exception_fp_denorm_src 0
		.amdhsa_exception_fp_ieee_div_zero 0
		.amdhsa_exception_fp_ieee_overflow 0
		.amdhsa_exception_fp_ieee_underflow 0
		.amdhsa_exception_fp_ieee_inexact 0
		.amdhsa_exception_int_div_zero 0
	.end_amdhsa_kernel
	.section	.text._ZN7rocprim17ROCPRIM_400000_NS6detail17trampoline_kernelINS0_14default_configENS1_38merge_sort_block_merge_config_selectorIjjEEZZNS1_27merge_sort_block_merge_implIS3_N6thrust23THRUST_200600_302600_NS6detail15normal_iteratorINS8_10device_ptrIjEEEESD_jNS1_19radix_merge_compareILb0ELb1EjNS0_19identity_decomposerEEEEE10hipError_tT0_T1_T2_jT3_P12ihipStream_tbPNSt15iterator_traitsISI_E10value_typeEPNSO_ISJ_E10value_typeEPSK_NS1_7vsmem_tEENKUlT_SI_SJ_SK_E_clIPjSD_S10_SD_EESH_SX_SI_SJ_SK_EUlSX_E0_NS1_11comp_targetILNS1_3genE9ELNS1_11target_archE1100ELNS1_3gpuE3ELNS1_3repE0EEENS1_38merge_mergepath_config_static_selectorELNS0_4arch9wavefront6targetE1EEEvSJ_,"axG",@progbits,_ZN7rocprim17ROCPRIM_400000_NS6detail17trampoline_kernelINS0_14default_configENS1_38merge_sort_block_merge_config_selectorIjjEEZZNS1_27merge_sort_block_merge_implIS3_N6thrust23THRUST_200600_302600_NS6detail15normal_iteratorINS8_10device_ptrIjEEEESD_jNS1_19radix_merge_compareILb0ELb1EjNS0_19identity_decomposerEEEEE10hipError_tT0_T1_T2_jT3_P12ihipStream_tbPNSt15iterator_traitsISI_E10value_typeEPNSO_ISJ_E10value_typeEPSK_NS1_7vsmem_tEENKUlT_SI_SJ_SK_E_clIPjSD_S10_SD_EESH_SX_SI_SJ_SK_EUlSX_E0_NS1_11comp_targetILNS1_3genE9ELNS1_11target_archE1100ELNS1_3gpuE3ELNS1_3repE0EEENS1_38merge_mergepath_config_static_selectorELNS0_4arch9wavefront6targetE1EEEvSJ_,comdat
.Lfunc_end690:
	.size	_ZN7rocprim17ROCPRIM_400000_NS6detail17trampoline_kernelINS0_14default_configENS1_38merge_sort_block_merge_config_selectorIjjEEZZNS1_27merge_sort_block_merge_implIS3_N6thrust23THRUST_200600_302600_NS6detail15normal_iteratorINS8_10device_ptrIjEEEESD_jNS1_19radix_merge_compareILb0ELb1EjNS0_19identity_decomposerEEEEE10hipError_tT0_T1_T2_jT3_P12ihipStream_tbPNSt15iterator_traitsISI_E10value_typeEPNSO_ISJ_E10value_typeEPSK_NS1_7vsmem_tEENKUlT_SI_SJ_SK_E_clIPjSD_S10_SD_EESH_SX_SI_SJ_SK_EUlSX_E0_NS1_11comp_targetILNS1_3genE9ELNS1_11target_archE1100ELNS1_3gpuE3ELNS1_3repE0EEENS1_38merge_mergepath_config_static_selectorELNS0_4arch9wavefront6targetE1EEEvSJ_, .Lfunc_end690-_ZN7rocprim17ROCPRIM_400000_NS6detail17trampoline_kernelINS0_14default_configENS1_38merge_sort_block_merge_config_selectorIjjEEZZNS1_27merge_sort_block_merge_implIS3_N6thrust23THRUST_200600_302600_NS6detail15normal_iteratorINS8_10device_ptrIjEEEESD_jNS1_19radix_merge_compareILb0ELb1EjNS0_19identity_decomposerEEEEE10hipError_tT0_T1_T2_jT3_P12ihipStream_tbPNSt15iterator_traitsISI_E10value_typeEPNSO_ISJ_E10value_typeEPSK_NS1_7vsmem_tEENKUlT_SI_SJ_SK_E_clIPjSD_S10_SD_EESH_SX_SI_SJ_SK_EUlSX_E0_NS1_11comp_targetILNS1_3genE9ELNS1_11target_archE1100ELNS1_3gpuE3ELNS1_3repE0EEENS1_38merge_mergepath_config_static_selectorELNS0_4arch9wavefront6targetE1EEEvSJ_
                                        ; -- End function
	.set _ZN7rocprim17ROCPRIM_400000_NS6detail17trampoline_kernelINS0_14default_configENS1_38merge_sort_block_merge_config_selectorIjjEEZZNS1_27merge_sort_block_merge_implIS3_N6thrust23THRUST_200600_302600_NS6detail15normal_iteratorINS8_10device_ptrIjEEEESD_jNS1_19radix_merge_compareILb0ELb1EjNS0_19identity_decomposerEEEEE10hipError_tT0_T1_T2_jT3_P12ihipStream_tbPNSt15iterator_traitsISI_E10value_typeEPNSO_ISJ_E10value_typeEPSK_NS1_7vsmem_tEENKUlT_SI_SJ_SK_E_clIPjSD_S10_SD_EESH_SX_SI_SJ_SK_EUlSX_E0_NS1_11comp_targetILNS1_3genE9ELNS1_11target_archE1100ELNS1_3gpuE3ELNS1_3repE0EEENS1_38merge_mergepath_config_static_selectorELNS0_4arch9wavefront6targetE1EEEvSJ_.num_vgpr, 0
	.set _ZN7rocprim17ROCPRIM_400000_NS6detail17trampoline_kernelINS0_14default_configENS1_38merge_sort_block_merge_config_selectorIjjEEZZNS1_27merge_sort_block_merge_implIS3_N6thrust23THRUST_200600_302600_NS6detail15normal_iteratorINS8_10device_ptrIjEEEESD_jNS1_19radix_merge_compareILb0ELb1EjNS0_19identity_decomposerEEEEE10hipError_tT0_T1_T2_jT3_P12ihipStream_tbPNSt15iterator_traitsISI_E10value_typeEPNSO_ISJ_E10value_typeEPSK_NS1_7vsmem_tEENKUlT_SI_SJ_SK_E_clIPjSD_S10_SD_EESH_SX_SI_SJ_SK_EUlSX_E0_NS1_11comp_targetILNS1_3genE9ELNS1_11target_archE1100ELNS1_3gpuE3ELNS1_3repE0EEENS1_38merge_mergepath_config_static_selectorELNS0_4arch9wavefront6targetE1EEEvSJ_.num_agpr, 0
	.set _ZN7rocprim17ROCPRIM_400000_NS6detail17trampoline_kernelINS0_14default_configENS1_38merge_sort_block_merge_config_selectorIjjEEZZNS1_27merge_sort_block_merge_implIS3_N6thrust23THRUST_200600_302600_NS6detail15normal_iteratorINS8_10device_ptrIjEEEESD_jNS1_19radix_merge_compareILb0ELb1EjNS0_19identity_decomposerEEEEE10hipError_tT0_T1_T2_jT3_P12ihipStream_tbPNSt15iterator_traitsISI_E10value_typeEPNSO_ISJ_E10value_typeEPSK_NS1_7vsmem_tEENKUlT_SI_SJ_SK_E_clIPjSD_S10_SD_EESH_SX_SI_SJ_SK_EUlSX_E0_NS1_11comp_targetILNS1_3genE9ELNS1_11target_archE1100ELNS1_3gpuE3ELNS1_3repE0EEENS1_38merge_mergepath_config_static_selectorELNS0_4arch9wavefront6targetE1EEEvSJ_.numbered_sgpr, 0
	.set _ZN7rocprim17ROCPRIM_400000_NS6detail17trampoline_kernelINS0_14default_configENS1_38merge_sort_block_merge_config_selectorIjjEEZZNS1_27merge_sort_block_merge_implIS3_N6thrust23THRUST_200600_302600_NS6detail15normal_iteratorINS8_10device_ptrIjEEEESD_jNS1_19radix_merge_compareILb0ELb1EjNS0_19identity_decomposerEEEEE10hipError_tT0_T1_T2_jT3_P12ihipStream_tbPNSt15iterator_traitsISI_E10value_typeEPNSO_ISJ_E10value_typeEPSK_NS1_7vsmem_tEENKUlT_SI_SJ_SK_E_clIPjSD_S10_SD_EESH_SX_SI_SJ_SK_EUlSX_E0_NS1_11comp_targetILNS1_3genE9ELNS1_11target_archE1100ELNS1_3gpuE3ELNS1_3repE0EEENS1_38merge_mergepath_config_static_selectorELNS0_4arch9wavefront6targetE1EEEvSJ_.num_named_barrier, 0
	.set _ZN7rocprim17ROCPRIM_400000_NS6detail17trampoline_kernelINS0_14default_configENS1_38merge_sort_block_merge_config_selectorIjjEEZZNS1_27merge_sort_block_merge_implIS3_N6thrust23THRUST_200600_302600_NS6detail15normal_iteratorINS8_10device_ptrIjEEEESD_jNS1_19radix_merge_compareILb0ELb1EjNS0_19identity_decomposerEEEEE10hipError_tT0_T1_T2_jT3_P12ihipStream_tbPNSt15iterator_traitsISI_E10value_typeEPNSO_ISJ_E10value_typeEPSK_NS1_7vsmem_tEENKUlT_SI_SJ_SK_E_clIPjSD_S10_SD_EESH_SX_SI_SJ_SK_EUlSX_E0_NS1_11comp_targetILNS1_3genE9ELNS1_11target_archE1100ELNS1_3gpuE3ELNS1_3repE0EEENS1_38merge_mergepath_config_static_selectorELNS0_4arch9wavefront6targetE1EEEvSJ_.private_seg_size, 0
	.set _ZN7rocprim17ROCPRIM_400000_NS6detail17trampoline_kernelINS0_14default_configENS1_38merge_sort_block_merge_config_selectorIjjEEZZNS1_27merge_sort_block_merge_implIS3_N6thrust23THRUST_200600_302600_NS6detail15normal_iteratorINS8_10device_ptrIjEEEESD_jNS1_19radix_merge_compareILb0ELb1EjNS0_19identity_decomposerEEEEE10hipError_tT0_T1_T2_jT3_P12ihipStream_tbPNSt15iterator_traitsISI_E10value_typeEPNSO_ISJ_E10value_typeEPSK_NS1_7vsmem_tEENKUlT_SI_SJ_SK_E_clIPjSD_S10_SD_EESH_SX_SI_SJ_SK_EUlSX_E0_NS1_11comp_targetILNS1_3genE9ELNS1_11target_archE1100ELNS1_3gpuE3ELNS1_3repE0EEENS1_38merge_mergepath_config_static_selectorELNS0_4arch9wavefront6targetE1EEEvSJ_.uses_vcc, 0
	.set _ZN7rocprim17ROCPRIM_400000_NS6detail17trampoline_kernelINS0_14default_configENS1_38merge_sort_block_merge_config_selectorIjjEEZZNS1_27merge_sort_block_merge_implIS3_N6thrust23THRUST_200600_302600_NS6detail15normal_iteratorINS8_10device_ptrIjEEEESD_jNS1_19radix_merge_compareILb0ELb1EjNS0_19identity_decomposerEEEEE10hipError_tT0_T1_T2_jT3_P12ihipStream_tbPNSt15iterator_traitsISI_E10value_typeEPNSO_ISJ_E10value_typeEPSK_NS1_7vsmem_tEENKUlT_SI_SJ_SK_E_clIPjSD_S10_SD_EESH_SX_SI_SJ_SK_EUlSX_E0_NS1_11comp_targetILNS1_3genE9ELNS1_11target_archE1100ELNS1_3gpuE3ELNS1_3repE0EEENS1_38merge_mergepath_config_static_selectorELNS0_4arch9wavefront6targetE1EEEvSJ_.uses_flat_scratch, 0
	.set _ZN7rocprim17ROCPRIM_400000_NS6detail17trampoline_kernelINS0_14default_configENS1_38merge_sort_block_merge_config_selectorIjjEEZZNS1_27merge_sort_block_merge_implIS3_N6thrust23THRUST_200600_302600_NS6detail15normal_iteratorINS8_10device_ptrIjEEEESD_jNS1_19radix_merge_compareILb0ELb1EjNS0_19identity_decomposerEEEEE10hipError_tT0_T1_T2_jT3_P12ihipStream_tbPNSt15iterator_traitsISI_E10value_typeEPNSO_ISJ_E10value_typeEPSK_NS1_7vsmem_tEENKUlT_SI_SJ_SK_E_clIPjSD_S10_SD_EESH_SX_SI_SJ_SK_EUlSX_E0_NS1_11comp_targetILNS1_3genE9ELNS1_11target_archE1100ELNS1_3gpuE3ELNS1_3repE0EEENS1_38merge_mergepath_config_static_selectorELNS0_4arch9wavefront6targetE1EEEvSJ_.has_dyn_sized_stack, 0
	.set _ZN7rocprim17ROCPRIM_400000_NS6detail17trampoline_kernelINS0_14default_configENS1_38merge_sort_block_merge_config_selectorIjjEEZZNS1_27merge_sort_block_merge_implIS3_N6thrust23THRUST_200600_302600_NS6detail15normal_iteratorINS8_10device_ptrIjEEEESD_jNS1_19radix_merge_compareILb0ELb1EjNS0_19identity_decomposerEEEEE10hipError_tT0_T1_T2_jT3_P12ihipStream_tbPNSt15iterator_traitsISI_E10value_typeEPNSO_ISJ_E10value_typeEPSK_NS1_7vsmem_tEENKUlT_SI_SJ_SK_E_clIPjSD_S10_SD_EESH_SX_SI_SJ_SK_EUlSX_E0_NS1_11comp_targetILNS1_3genE9ELNS1_11target_archE1100ELNS1_3gpuE3ELNS1_3repE0EEENS1_38merge_mergepath_config_static_selectorELNS0_4arch9wavefront6targetE1EEEvSJ_.has_recursion, 0
	.set _ZN7rocprim17ROCPRIM_400000_NS6detail17trampoline_kernelINS0_14default_configENS1_38merge_sort_block_merge_config_selectorIjjEEZZNS1_27merge_sort_block_merge_implIS3_N6thrust23THRUST_200600_302600_NS6detail15normal_iteratorINS8_10device_ptrIjEEEESD_jNS1_19radix_merge_compareILb0ELb1EjNS0_19identity_decomposerEEEEE10hipError_tT0_T1_T2_jT3_P12ihipStream_tbPNSt15iterator_traitsISI_E10value_typeEPNSO_ISJ_E10value_typeEPSK_NS1_7vsmem_tEENKUlT_SI_SJ_SK_E_clIPjSD_S10_SD_EESH_SX_SI_SJ_SK_EUlSX_E0_NS1_11comp_targetILNS1_3genE9ELNS1_11target_archE1100ELNS1_3gpuE3ELNS1_3repE0EEENS1_38merge_mergepath_config_static_selectorELNS0_4arch9wavefront6targetE1EEEvSJ_.has_indirect_call, 0
	.section	.AMDGPU.csdata,"",@progbits
; Kernel info:
; codeLenInByte = 0
; TotalNumSgprs: 6
; NumVgprs: 0
; NumAgprs: 0
; TotalNumVgprs: 0
; ScratchSize: 0
; MemoryBound: 0
; FloatMode: 240
; IeeeMode: 1
; LDSByteSize: 0 bytes/workgroup (compile time only)
; SGPRBlocks: 0
; VGPRBlocks: 0
; NumSGPRsForWavesPerEU: 6
; NumVGPRsForWavesPerEU: 1
; AccumOffset: 4
; Occupancy: 8
; WaveLimiterHint : 0
; COMPUTE_PGM_RSRC2:SCRATCH_EN: 0
; COMPUTE_PGM_RSRC2:USER_SGPR: 2
; COMPUTE_PGM_RSRC2:TRAP_HANDLER: 0
; COMPUTE_PGM_RSRC2:TGID_X_EN: 1
; COMPUTE_PGM_RSRC2:TGID_Y_EN: 0
; COMPUTE_PGM_RSRC2:TGID_Z_EN: 0
; COMPUTE_PGM_RSRC2:TIDIG_COMP_CNT: 0
; COMPUTE_PGM_RSRC3_GFX90A:ACCUM_OFFSET: 0
; COMPUTE_PGM_RSRC3_GFX90A:TG_SPLIT: 0
	.section	.text._ZN7rocprim17ROCPRIM_400000_NS6detail17trampoline_kernelINS0_14default_configENS1_38merge_sort_block_merge_config_selectorIjjEEZZNS1_27merge_sort_block_merge_implIS3_N6thrust23THRUST_200600_302600_NS6detail15normal_iteratorINS8_10device_ptrIjEEEESD_jNS1_19radix_merge_compareILb0ELb1EjNS0_19identity_decomposerEEEEE10hipError_tT0_T1_T2_jT3_P12ihipStream_tbPNSt15iterator_traitsISI_E10value_typeEPNSO_ISJ_E10value_typeEPSK_NS1_7vsmem_tEENKUlT_SI_SJ_SK_E_clIPjSD_S10_SD_EESH_SX_SI_SJ_SK_EUlSX_E0_NS1_11comp_targetILNS1_3genE8ELNS1_11target_archE1030ELNS1_3gpuE2ELNS1_3repE0EEENS1_38merge_mergepath_config_static_selectorELNS0_4arch9wavefront6targetE1EEEvSJ_,"axG",@progbits,_ZN7rocprim17ROCPRIM_400000_NS6detail17trampoline_kernelINS0_14default_configENS1_38merge_sort_block_merge_config_selectorIjjEEZZNS1_27merge_sort_block_merge_implIS3_N6thrust23THRUST_200600_302600_NS6detail15normal_iteratorINS8_10device_ptrIjEEEESD_jNS1_19radix_merge_compareILb0ELb1EjNS0_19identity_decomposerEEEEE10hipError_tT0_T1_T2_jT3_P12ihipStream_tbPNSt15iterator_traitsISI_E10value_typeEPNSO_ISJ_E10value_typeEPSK_NS1_7vsmem_tEENKUlT_SI_SJ_SK_E_clIPjSD_S10_SD_EESH_SX_SI_SJ_SK_EUlSX_E0_NS1_11comp_targetILNS1_3genE8ELNS1_11target_archE1030ELNS1_3gpuE2ELNS1_3repE0EEENS1_38merge_mergepath_config_static_selectorELNS0_4arch9wavefront6targetE1EEEvSJ_,comdat
	.protected	_ZN7rocprim17ROCPRIM_400000_NS6detail17trampoline_kernelINS0_14default_configENS1_38merge_sort_block_merge_config_selectorIjjEEZZNS1_27merge_sort_block_merge_implIS3_N6thrust23THRUST_200600_302600_NS6detail15normal_iteratorINS8_10device_ptrIjEEEESD_jNS1_19radix_merge_compareILb0ELb1EjNS0_19identity_decomposerEEEEE10hipError_tT0_T1_T2_jT3_P12ihipStream_tbPNSt15iterator_traitsISI_E10value_typeEPNSO_ISJ_E10value_typeEPSK_NS1_7vsmem_tEENKUlT_SI_SJ_SK_E_clIPjSD_S10_SD_EESH_SX_SI_SJ_SK_EUlSX_E0_NS1_11comp_targetILNS1_3genE8ELNS1_11target_archE1030ELNS1_3gpuE2ELNS1_3repE0EEENS1_38merge_mergepath_config_static_selectorELNS0_4arch9wavefront6targetE1EEEvSJ_ ; -- Begin function _ZN7rocprim17ROCPRIM_400000_NS6detail17trampoline_kernelINS0_14default_configENS1_38merge_sort_block_merge_config_selectorIjjEEZZNS1_27merge_sort_block_merge_implIS3_N6thrust23THRUST_200600_302600_NS6detail15normal_iteratorINS8_10device_ptrIjEEEESD_jNS1_19radix_merge_compareILb0ELb1EjNS0_19identity_decomposerEEEEE10hipError_tT0_T1_T2_jT3_P12ihipStream_tbPNSt15iterator_traitsISI_E10value_typeEPNSO_ISJ_E10value_typeEPSK_NS1_7vsmem_tEENKUlT_SI_SJ_SK_E_clIPjSD_S10_SD_EESH_SX_SI_SJ_SK_EUlSX_E0_NS1_11comp_targetILNS1_3genE8ELNS1_11target_archE1030ELNS1_3gpuE2ELNS1_3repE0EEENS1_38merge_mergepath_config_static_selectorELNS0_4arch9wavefront6targetE1EEEvSJ_
	.globl	_ZN7rocprim17ROCPRIM_400000_NS6detail17trampoline_kernelINS0_14default_configENS1_38merge_sort_block_merge_config_selectorIjjEEZZNS1_27merge_sort_block_merge_implIS3_N6thrust23THRUST_200600_302600_NS6detail15normal_iteratorINS8_10device_ptrIjEEEESD_jNS1_19radix_merge_compareILb0ELb1EjNS0_19identity_decomposerEEEEE10hipError_tT0_T1_T2_jT3_P12ihipStream_tbPNSt15iterator_traitsISI_E10value_typeEPNSO_ISJ_E10value_typeEPSK_NS1_7vsmem_tEENKUlT_SI_SJ_SK_E_clIPjSD_S10_SD_EESH_SX_SI_SJ_SK_EUlSX_E0_NS1_11comp_targetILNS1_3genE8ELNS1_11target_archE1030ELNS1_3gpuE2ELNS1_3repE0EEENS1_38merge_mergepath_config_static_selectorELNS0_4arch9wavefront6targetE1EEEvSJ_
	.p2align	8
	.type	_ZN7rocprim17ROCPRIM_400000_NS6detail17trampoline_kernelINS0_14default_configENS1_38merge_sort_block_merge_config_selectorIjjEEZZNS1_27merge_sort_block_merge_implIS3_N6thrust23THRUST_200600_302600_NS6detail15normal_iteratorINS8_10device_ptrIjEEEESD_jNS1_19radix_merge_compareILb0ELb1EjNS0_19identity_decomposerEEEEE10hipError_tT0_T1_T2_jT3_P12ihipStream_tbPNSt15iterator_traitsISI_E10value_typeEPNSO_ISJ_E10value_typeEPSK_NS1_7vsmem_tEENKUlT_SI_SJ_SK_E_clIPjSD_S10_SD_EESH_SX_SI_SJ_SK_EUlSX_E0_NS1_11comp_targetILNS1_3genE8ELNS1_11target_archE1030ELNS1_3gpuE2ELNS1_3repE0EEENS1_38merge_mergepath_config_static_selectorELNS0_4arch9wavefront6targetE1EEEvSJ_,@function
_ZN7rocprim17ROCPRIM_400000_NS6detail17trampoline_kernelINS0_14default_configENS1_38merge_sort_block_merge_config_selectorIjjEEZZNS1_27merge_sort_block_merge_implIS3_N6thrust23THRUST_200600_302600_NS6detail15normal_iteratorINS8_10device_ptrIjEEEESD_jNS1_19radix_merge_compareILb0ELb1EjNS0_19identity_decomposerEEEEE10hipError_tT0_T1_T2_jT3_P12ihipStream_tbPNSt15iterator_traitsISI_E10value_typeEPNSO_ISJ_E10value_typeEPSK_NS1_7vsmem_tEENKUlT_SI_SJ_SK_E_clIPjSD_S10_SD_EESH_SX_SI_SJ_SK_EUlSX_E0_NS1_11comp_targetILNS1_3genE8ELNS1_11target_archE1030ELNS1_3gpuE2ELNS1_3repE0EEENS1_38merge_mergepath_config_static_selectorELNS0_4arch9wavefront6targetE1EEEvSJ_: ; @_ZN7rocprim17ROCPRIM_400000_NS6detail17trampoline_kernelINS0_14default_configENS1_38merge_sort_block_merge_config_selectorIjjEEZZNS1_27merge_sort_block_merge_implIS3_N6thrust23THRUST_200600_302600_NS6detail15normal_iteratorINS8_10device_ptrIjEEEESD_jNS1_19radix_merge_compareILb0ELb1EjNS0_19identity_decomposerEEEEE10hipError_tT0_T1_T2_jT3_P12ihipStream_tbPNSt15iterator_traitsISI_E10value_typeEPNSO_ISJ_E10value_typeEPSK_NS1_7vsmem_tEENKUlT_SI_SJ_SK_E_clIPjSD_S10_SD_EESH_SX_SI_SJ_SK_EUlSX_E0_NS1_11comp_targetILNS1_3genE8ELNS1_11target_archE1030ELNS1_3gpuE2ELNS1_3repE0EEENS1_38merge_mergepath_config_static_selectorELNS0_4arch9wavefront6targetE1EEEvSJ_
; %bb.0:
	.section	.rodata,"a",@progbits
	.p2align	6, 0x0
	.amdhsa_kernel _ZN7rocprim17ROCPRIM_400000_NS6detail17trampoline_kernelINS0_14default_configENS1_38merge_sort_block_merge_config_selectorIjjEEZZNS1_27merge_sort_block_merge_implIS3_N6thrust23THRUST_200600_302600_NS6detail15normal_iteratorINS8_10device_ptrIjEEEESD_jNS1_19radix_merge_compareILb0ELb1EjNS0_19identity_decomposerEEEEE10hipError_tT0_T1_T2_jT3_P12ihipStream_tbPNSt15iterator_traitsISI_E10value_typeEPNSO_ISJ_E10value_typeEPSK_NS1_7vsmem_tEENKUlT_SI_SJ_SK_E_clIPjSD_S10_SD_EESH_SX_SI_SJ_SK_EUlSX_E0_NS1_11comp_targetILNS1_3genE8ELNS1_11target_archE1030ELNS1_3gpuE2ELNS1_3repE0EEENS1_38merge_mergepath_config_static_selectorELNS0_4arch9wavefront6targetE1EEEvSJ_
		.amdhsa_group_segment_fixed_size 0
		.amdhsa_private_segment_fixed_size 0
		.amdhsa_kernarg_size 64
		.amdhsa_user_sgpr_count 2
		.amdhsa_user_sgpr_dispatch_ptr 0
		.amdhsa_user_sgpr_queue_ptr 0
		.amdhsa_user_sgpr_kernarg_segment_ptr 1
		.amdhsa_user_sgpr_dispatch_id 0
		.amdhsa_user_sgpr_kernarg_preload_length 0
		.amdhsa_user_sgpr_kernarg_preload_offset 0
		.amdhsa_user_sgpr_private_segment_size 0
		.amdhsa_uses_dynamic_stack 0
		.amdhsa_enable_private_segment 0
		.amdhsa_system_sgpr_workgroup_id_x 1
		.amdhsa_system_sgpr_workgroup_id_y 0
		.amdhsa_system_sgpr_workgroup_id_z 0
		.amdhsa_system_sgpr_workgroup_info 0
		.amdhsa_system_vgpr_workitem_id 0
		.amdhsa_next_free_vgpr 1
		.amdhsa_next_free_sgpr 0
		.amdhsa_accum_offset 4
		.amdhsa_reserve_vcc 0
		.amdhsa_float_round_mode_32 0
		.amdhsa_float_round_mode_16_64 0
		.amdhsa_float_denorm_mode_32 3
		.amdhsa_float_denorm_mode_16_64 3
		.amdhsa_dx10_clamp 1
		.amdhsa_ieee_mode 1
		.amdhsa_fp16_overflow 0
		.amdhsa_tg_split 0
		.amdhsa_exception_fp_ieee_invalid_op 0
		.amdhsa_exception_fp_denorm_src 0
		.amdhsa_exception_fp_ieee_div_zero 0
		.amdhsa_exception_fp_ieee_overflow 0
		.amdhsa_exception_fp_ieee_underflow 0
		.amdhsa_exception_fp_ieee_inexact 0
		.amdhsa_exception_int_div_zero 0
	.end_amdhsa_kernel
	.section	.text._ZN7rocprim17ROCPRIM_400000_NS6detail17trampoline_kernelINS0_14default_configENS1_38merge_sort_block_merge_config_selectorIjjEEZZNS1_27merge_sort_block_merge_implIS3_N6thrust23THRUST_200600_302600_NS6detail15normal_iteratorINS8_10device_ptrIjEEEESD_jNS1_19radix_merge_compareILb0ELb1EjNS0_19identity_decomposerEEEEE10hipError_tT0_T1_T2_jT3_P12ihipStream_tbPNSt15iterator_traitsISI_E10value_typeEPNSO_ISJ_E10value_typeEPSK_NS1_7vsmem_tEENKUlT_SI_SJ_SK_E_clIPjSD_S10_SD_EESH_SX_SI_SJ_SK_EUlSX_E0_NS1_11comp_targetILNS1_3genE8ELNS1_11target_archE1030ELNS1_3gpuE2ELNS1_3repE0EEENS1_38merge_mergepath_config_static_selectorELNS0_4arch9wavefront6targetE1EEEvSJ_,"axG",@progbits,_ZN7rocprim17ROCPRIM_400000_NS6detail17trampoline_kernelINS0_14default_configENS1_38merge_sort_block_merge_config_selectorIjjEEZZNS1_27merge_sort_block_merge_implIS3_N6thrust23THRUST_200600_302600_NS6detail15normal_iteratorINS8_10device_ptrIjEEEESD_jNS1_19radix_merge_compareILb0ELb1EjNS0_19identity_decomposerEEEEE10hipError_tT0_T1_T2_jT3_P12ihipStream_tbPNSt15iterator_traitsISI_E10value_typeEPNSO_ISJ_E10value_typeEPSK_NS1_7vsmem_tEENKUlT_SI_SJ_SK_E_clIPjSD_S10_SD_EESH_SX_SI_SJ_SK_EUlSX_E0_NS1_11comp_targetILNS1_3genE8ELNS1_11target_archE1030ELNS1_3gpuE2ELNS1_3repE0EEENS1_38merge_mergepath_config_static_selectorELNS0_4arch9wavefront6targetE1EEEvSJ_,comdat
.Lfunc_end691:
	.size	_ZN7rocprim17ROCPRIM_400000_NS6detail17trampoline_kernelINS0_14default_configENS1_38merge_sort_block_merge_config_selectorIjjEEZZNS1_27merge_sort_block_merge_implIS3_N6thrust23THRUST_200600_302600_NS6detail15normal_iteratorINS8_10device_ptrIjEEEESD_jNS1_19radix_merge_compareILb0ELb1EjNS0_19identity_decomposerEEEEE10hipError_tT0_T1_T2_jT3_P12ihipStream_tbPNSt15iterator_traitsISI_E10value_typeEPNSO_ISJ_E10value_typeEPSK_NS1_7vsmem_tEENKUlT_SI_SJ_SK_E_clIPjSD_S10_SD_EESH_SX_SI_SJ_SK_EUlSX_E0_NS1_11comp_targetILNS1_3genE8ELNS1_11target_archE1030ELNS1_3gpuE2ELNS1_3repE0EEENS1_38merge_mergepath_config_static_selectorELNS0_4arch9wavefront6targetE1EEEvSJ_, .Lfunc_end691-_ZN7rocprim17ROCPRIM_400000_NS6detail17trampoline_kernelINS0_14default_configENS1_38merge_sort_block_merge_config_selectorIjjEEZZNS1_27merge_sort_block_merge_implIS3_N6thrust23THRUST_200600_302600_NS6detail15normal_iteratorINS8_10device_ptrIjEEEESD_jNS1_19radix_merge_compareILb0ELb1EjNS0_19identity_decomposerEEEEE10hipError_tT0_T1_T2_jT3_P12ihipStream_tbPNSt15iterator_traitsISI_E10value_typeEPNSO_ISJ_E10value_typeEPSK_NS1_7vsmem_tEENKUlT_SI_SJ_SK_E_clIPjSD_S10_SD_EESH_SX_SI_SJ_SK_EUlSX_E0_NS1_11comp_targetILNS1_3genE8ELNS1_11target_archE1030ELNS1_3gpuE2ELNS1_3repE0EEENS1_38merge_mergepath_config_static_selectorELNS0_4arch9wavefront6targetE1EEEvSJ_
                                        ; -- End function
	.set _ZN7rocprim17ROCPRIM_400000_NS6detail17trampoline_kernelINS0_14default_configENS1_38merge_sort_block_merge_config_selectorIjjEEZZNS1_27merge_sort_block_merge_implIS3_N6thrust23THRUST_200600_302600_NS6detail15normal_iteratorINS8_10device_ptrIjEEEESD_jNS1_19radix_merge_compareILb0ELb1EjNS0_19identity_decomposerEEEEE10hipError_tT0_T1_T2_jT3_P12ihipStream_tbPNSt15iterator_traitsISI_E10value_typeEPNSO_ISJ_E10value_typeEPSK_NS1_7vsmem_tEENKUlT_SI_SJ_SK_E_clIPjSD_S10_SD_EESH_SX_SI_SJ_SK_EUlSX_E0_NS1_11comp_targetILNS1_3genE8ELNS1_11target_archE1030ELNS1_3gpuE2ELNS1_3repE0EEENS1_38merge_mergepath_config_static_selectorELNS0_4arch9wavefront6targetE1EEEvSJ_.num_vgpr, 0
	.set _ZN7rocprim17ROCPRIM_400000_NS6detail17trampoline_kernelINS0_14default_configENS1_38merge_sort_block_merge_config_selectorIjjEEZZNS1_27merge_sort_block_merge_implIS3_N6thrust23THRUST_200600_302600_NS6detail15normal_iteratorINS8_10device_ptrIjEEEESD_jNS1_19radix_merge_compareILb0ELb1EjNS0_19identity_decomposerEEEEE10hipError_tT0_T1_T2_jT3_P12ihipStream_tbPNSt15iterator_traitsISI_E10value_typeEPNSO_ISJ_E10value_typeEPSK_NS1_7vsmem_tEENKUlT_SI_SJ_SK_E_clIPjSD_S10_SD_EESH_SX_SI_SJ_SK_EUlSX_E0_NS1_11comp_targetILNS1_3genE8ELNS1_11target_archE1030ELNS1_3gpuE2ELNS1_3repE0EEENS1_38merge_mergepath_config_static_selectorELNS0_4arch9wavefront6targetE1EEEvSJ_.num_agpr, 0
	.set _ZN7rocprim17ROCPRIM_400000_NS6detail17trampoline_kernelINS0_14default_configENS1_38merge_sort_block_merge_config_selectorIjjEEZZNS1_27merge_sort_block_merge_implIS3_N6thrust23THRUST_200600_302600_NS6detail15normal_iteratorINS8_10device_ptrIjEEEESD_jNS1_19radix_merge_compareILb0ELb1EjNS0_19identity_decomposerEEEEE10hipError_tT0_T1_T2_jT3_P12ihipStream_tbPNSt15iterator_traitsISI_E10value_typeEPNSO_ISJ_E10value_typeEPSK_NS1_7vsmem_tEENKUlT_SI_SJ_SK_E_clIPjSD_S10_SD_EESH_SX_SI_SJ_SK_EUlSX_E0_NS1_11comp_targetILNS1_3genE8ELNS1_11target_archE1030ELNS1_3gpuE2ELNS1_3repE0EEENS1_38merge_mergepath_config_static_selectorELNS0_4arch9wavefront6targetE1EEEvSJ_.numbered_sgpr, 0
	.set _ZN7rocprim17ROCPRIM_400000_NS6detail17trampoline_kernelINS0_14default_configENS1_38merge_sort_block_merge_config_selectorIjjEEZZNS1_27merge_sort_block_merge_implIS3_N6thrust23THRUST_200600_302600_NS6detail15normal_iteratorINS8_10device_ptrIjEEEESD_jNS1_19radix_merge_compareILb0ELb1EjNS0_19identity_decomposerEEEEE10hipError_tT0_T1_T2_jT3_P12ihipStream_tbPNSt15iterator_traitsISI_E10value_typeEPNSO_ISJ_E10value_typeEPSK_NS1_7vsmem_tEENKUlT_SI_SJ_SK_E_clIPjSD_S10_SD_EESH_SX_SI_SJ_SK_EUlSX_E0_NS1_11comp_targetILNS1_3genE8ELNS1_11target_archE1030ELNS1_3gpuE2ELNS1_3repE0EEENS1_38merge_mergepath_config_static_selectorELNS0_4arch9wavefront6targetE1EEEvSJ_.num_named_barrier, 0
	.set _ZN7rocprim17ROCPRIM_400000_NS6detail17trampoline_kernelINS0_14default_configENS1_38merge_sort_block_merge_config_selectorIjjEEZZNS1_27merge_sort_block_merge_implIS3_N6thrust23THRUST_200600_302600_NS6detail15normal_iteratorINS8_10device_ptrIjEEEESD_jNS1_19radix_merge_compareILb0ELb1EjNS0_19identity_decomposerEEEEE10hipError_tT0_T1_T2_jT3_P12ihipStream_tbPNSt15iterator_traitsISI_E10value_typeEPNSO_ISJ_E10value_typeEPSK_NS1_7vsmem_tEENKUlT_SI_SJ_SK_E_clIPjSD_S10_SD_EESH_SX_SI_SJ_SK_EUlSX_E0_NS1_11comp_targetILNS1_3genE8ELNS1_11target_archE1030ELNS1_3gpuE2ELNS1_3repE0EEENS1_38merge_mergepath_config_static_selectorELNS0_4arch9wavefront6targetE1EEEvSJ_.private_seg_size, 0
	.set _ZN7rocprim17ROCPRIM_400000_NS6detail17trampoline_kernelINS0_14default_configENS1_38merge_sort_block_merge_config_selectorIjjEEZZNS1_27merge_sort_block_merge_implIS3_N6thrust23THRUST_200600_302600_NS6detail15normal_iteratorINS8_10device_ptrIjEEEESD_jNS1_19radix_merge_compareILb0ELb1EjNS0_19identity_decomposerEEEEE10hipError_tT0_T1_T2_jT3_P12ihipStream_tbPNSt15iterator_traitsISI_E10value_typeEPNSO_ISJ_E10value_typeEPSK_NS1_7vsmem_tEENKUlT_SI_SJ_SK_E_clIPjSD_S10_SD_EESH_SX_SI_SJ_SK_EUlSX_E0_NS1_11comp_targetILNS1_3genE8ELNS1_11target_archE1030ELNS1_3gpuE2ELNS1_3repE0EEENS1_38merge_mergepath_config_static_selectorELNS0_4arch9wavefront6targetE1EEEvSJ_.uses_vcc, 0
	.set _ZN7rocprim17ROCPRIM_400000_NS6detail17trampoline_kernelINS0_14default_configENS1_38merge_sort_block_merge_config_selectorIjjEEZZNS1_27merge_sort_block_merge_implIS3_N6thrust23THRUST_200600_302600_NS6detail15normal_iteratorINS8_10device_ptrIjEEEESD_jNS1_19radix_merge_compareILb0ELb1EjNS0_19identity_decomposerEEEEE10hipError_tT0_T1_T2_jT3_P12ihipStream_tbPNSt15iterator_traitsISI_E10value_typeEPNSO_ISJ_E10value_typeEPSK_NS1_7vsmem_tEENKUlT_SI_SJ_SK_E_clIPjSD_S10_SD_EESH_SX_SI_SJ_SK_EUlSX_E0_NS1_11comp_targetILNS1_3genE8ELNS1_11target_archE1030ELNS1_3gpuE2ELNS1_3repE0EEENS1_38merge_mergepath_config_static_selectorELNS0_4arch9wavefront6targetE1EEEvSJ_.uses_flat_scratch, 0
	.set _ZN7rocprim17ROCPRIM_400000_NS6detail17trampoline_kernelINS0_14default_configENS1_38merge_sort_block_merge_config_selectorIjjEEZZNS1_27merge_sort_block_merge_implIS3_N6thrust23THRUST_200600_302600_NS6detail15normal_iteratorINS8_10device_ptrIjEEEESD_jNS1_19radix_merge_compareILb0ELb1EjNS0_19identity_decomposerEEEEE10hipError_tT0_T1_T2_jT3_P12ihipStream_tbPNSt15iterator_traitsISI_E10value_typeEPNSO_ISJ_E10value_typeEPSK_NS1_7vsmem_tEENKUlT_SI_SJ_SK_E_clIPjSD_S10_SD_EESH_SX_SI_SJ_SK_EUlSX_E0_NS1_11comp_targetILNS1_3genE8ELNS1_11target_archE1030ELNS1_3gpuE2ELNS1_3repE0EEENS1_38merge_mergepath_config_static_selectorELNS0_4arch9wavefront6targetE1EEEvSJ_.has_dyn_sized_stack, 0
	.set _ZN7rocprim17ROCPRIM_400000_NS6detail17trampoline_kernelINS0_14default_configENS1_38merge_sort_block_merge_config_selectorIjjEEZZNS1_27merge_sort_block_merge_implIS3_N6thrust23THRUST_200600_302600_NS6detail15normal_iteratorINS8_10device_ptrIjEEEESD_jNS1_19radix_merge_compareILb0ELb1EjNS0_19identity_decomposerEEEEE10hipError_tT0_T1_T2_jT3_P12ihipStream_tbPNSt15iterator_traitsISI_E10value_typeEPNSO_ISJ_E10value_typeEPSK_NS1_7vsmem_tEENKUlT_SI_SJ_SK_E_clIPjSD_S10_SD_EESH_SX_SI_SJ_SK_EUlSX_E0_NS1_11comp_targetILNS1_3genE8ELNS1_11target_archE1030ELNS1_3gpuE2ELNS1_3repE0EEENS1_38merge_mergepath_config_static_selectorELNS0_4arch9wavefront6targetE1EEEvSJ_.has_recursion, 0
	.set _ZN7rocprim17ROCPRIM_400000_NS6detail17trampoline_kernelINS0_14default_configENS1_38merge_sort_block_merge_config_selectorIjjEEZZNS1_27merge_sort_block_merge_implIS3_N6thrust23THRUST_200600_302600_NS6detail15normal_iteratorINS8_10device_ptrIjEEEESD_jNS1_19radix_merge_compareILb0ELb1EjNS0_19identity_decomposerEEEEE10hipError_tT0_T1_T2_jT3_P12ihipStream_tbPNSt15iterator_traitsISI_E10value_typeEPNSO_ISJ_E10value_typeEPSK_NS1_7vsmem_tEENKUlT_SI_SJ_SK_E_clIPjSD_S10_SD_EESH_SX_SI_SJ_SK_EUlSX_E0_NS1_11comp_targetILNS1_3genE8ELNS1_11target_archE1030ELNS1_3gpuE2ELNS1_3repE0EEENS1_38merge_mergepath_config_static_selectorELNS0_4arch9wavefront6targetE1EEEvSJ_.has_indirect_call, 0
	.section	.AMDGPU.csdata,"",@progbits
; Kernel info:
; codeLenInByte = 0
; TotalNumSgprs: 6
; NumVgprs: 0
; NumAgprs: 0
; TotalNumVgprs: 0
; ScratchSize: 0
; MemoryBound: 0
; FloatMode: 240
; IeeeMode: 1
; LDSByteSize: 0 bytes/workgroup (compile time only)
; SGPRBlocks: 0
; VGPRBlocks: 0
; NumSGPRsForWavesPerEU: 6
; NumVGPRsForWavesPerEU: 1
; AccumOffset: 4
; Occupancy: 8
; WaveLimiterHint : 0
; COMPUTE_PGM_RSRC2:SCRATCH_EN: 0
; COMPUTE_PGM_RSRC2:USER_SGPR: 2
; COMPUTE_PGM_RSRC2:TRAP_HANDLER: 0
; COMPUTE_PGM_RSRC2:TGID_X_EN: 1
; COMPUTE_PGM_RSRC2:TGID_Y_EN: 0
; COMPUTE_PGM_RSRC2:TGID_Z_EN: 0
; COMPUTE_PGM_RSRC2:TIDIG_COMP_CNT: 0
; COMPUTE_PGM_RSRC3_GFX90A:ACCUM_OFFSET: 0
; COMPUTE_PGM_RSRC3_GFX90A:TG_SPLIT: 0
	.section	.text._ZN7rocprim17ROCPRIM_400000_NS6detail17trampoline_kernelINS0_14default_configENS1_38merge_sort_block_merge_config_selectorIjjEEZZNS1_27merge_sort_block_merge_implIS3_N6thrust23THRUST_200600_302600_NS6detail15normal_iteratorINS8_10device_ptrIjEEEESD_jNS1_19radix_merge_compareILb0ELb1EjNS0_19identity_decomposerEEEEE10hipError_tT0_T1_T2_jT3_P12ihipStream_tbPNSt15iterator_traitsISI_E10value_typeEPNSO_ISJ_E10value_typeEPSK_NS1_7vsmem_tEENKUlT_SI_SJ_SK_E_clIPjSD_S10_SD_EESH_SX_SI_SJ_SK_EUlSX_E1_NS1_11comp_targetILNS1_3genE0ELNS1_11target_archE4294967295ELNS1_3gpuE0ELNS1_3repE0EEENS1_36merge_oddeven_config_static_selectorELNS0_4arch9wavefront6targetE1EEEvSJ_,"axG",@progbits,_ZN7rocprim17ROCPRIM_400000_NS6detail17trampoline_kernelINS0_14default_configENS1_38merge_sort_block_merge_config_selectorIjjEEZZNS1_27merge_sort_block_merge_implIS3_N6thrust23THRUST_200600_302600_NS6detail15normal_iteratorINS8_10device_ptrIjEEEESD_jNS1_19radix_merge_compareILb0ELb1EjNS0_19identity_decomposerEEEEE10hipError_tT0_T1_T2_jT3_P12ihipStream_tbPNSt15iterator_traitsISI_E10value_typeEPNSO_ISJ_E10value_typeEPSK_NS1_7vsmem_tEENKUlT_SI_SJ_SK_E_clIPjSD_S10_SD_EESH_SX_SI_SJ_SK_EUlSX_E1_NS1_11comp_targetILNS1_3genE0ELNS1_11target_archE4294967295ELNS1_3gpuE0ELNS1_3repE0EEENS1_36merge_oddeven_config_static_selectorELNS0_4arch9wavefront6targetE1EEEvSJ_,comdat
	.protected	_ZN7rocprim17ROCPRIM_400000_NS6detail17trampoline_kernelINS0_14default_configENS1_38merge_sort_block_merge_config_selectorIjjEEZZNS1_27merge_sort_block_merge_implIS3_N6thrust23THRUST_200600_302600_NS6detail15normal_iteratorINS8_10device_ptrIjEEEESD_jNS1_19radix_merge_compareILb0ELb1EjNS0_19identity_decomposerEEEEE10hipError_tT0_T1_T2_jT3_P12ihipStream_tbPNSt15iterator_traitsISI_E10value_typeEPNSO_ISJ_E10value_typeEPSK_NS1_7vsmem_tEENKUlT_SI_SJ_SK_E_clIPjSD_S10_SD_EESH_SX_SI_SJ_SK_EUlSX_E1_NS1_11comp_targetILNS1_3genE0ELNS1_11target_archE4294967295ELNS1_3gpuE0ELNS1_3repE0EEENS1_36merge_oddeven_config_static_selectorELNS0_4arch9wavefront6targetE1EEEvSJ_ ; -- Begin function _ZN7rocprim17ROCPRIM_400000_NS6detail17trampoline_kernelINS0_14default_configENS1_38merge_sort_block_merge_config_selectorIjjEEZZNS1_27merge_sort_block_merge_implIS3_N6thrust23THRUST_200600_302600_NS6detail15normal_iteratorINS8_10device_ptrIjEEEESD_jNS1_19radix_merge_compareILb0ELb1EjNS0_19identity_decomposerEEEEE10hipError_tT0_T1_T2_jT3_P12ihipStream_tbPNSt15iterator_traitsISI_E10value_typeEPNSO_ISJ_E10value_typeEPSK_NS1_7vsmem_tEENKUlT_SI_SJ_SK_E_clIPjSD_S10_SD_EESH_SX_SI_SJ_SK_EUlSX_E1_NS1_11comp_targetILNS1_3genE0ELNS1_11target_archE4294967295ELNS1_3gpuE0ELNS1_3repE0EEENS1_36merge_oddeven_config_static_selectorELNS0_4arch9wavefront6targetE1EEEvSJ_
	.globl	_ZN7rocprim17ROCPRIM_400000_NS6detail17trampoline_kernelINS0_14default_configENS1_38merge_sort_block_merge_config_selectorIjjEEZZNS1_27merge_sort_block_merge_implIS3_N6thrust23THRUST_200600_302600_NS6detail15normal_iteratorINS8_10device_ptrIjEEEESD_jNS1_19radix_merge_compareILb0ELb1EjNS0_19identity_decomposerEEEEE10hipError_tT0_T1_T2_jT3_P12ihipStream_tbPNSt15iterator_traitsISI_E10value_typeEPNSO_ISJ_E10value_typeEPSK_NS1_7vsmem_tEENKUlT_SI_SJ_SK_E_clIPjSD_S10_SD_EESH_SX_SI_SJ_SK_EUlSX_E1_NS1_11comp_targetILNS1_3genE0ELNS1_11target_archE4294967295ELNS1_3gpuE0ELNS1_3repE0EEENS1_36merge_oddeven_config_static_selectorELNS0_4arch9wavefront6targetE1EEEvSJ_
	.p2align	8
	.type	_ZN7rocprim17ROCPRIM_400000_NS6detail17trampoline_kernelINS0_14default_configENS1_38merge_sort_block_merge_config_selectorIjjEEZZNS1_27merge_sort_block_merge_implIS3_N6thrust23THRUST_200600_302600_NS6detail15normal_iteratorINS8_10device_ptrIjEEEESD_jNS1_19radix_merge_compareILb0ELb1EjNS0_19identity_decomposerEEEEE10hipError_tT0_T1_T2_jT3_P12ihipStream_tbPNSt15iterator_traitsISI_E10value_typeEPNSO_ISJ_E10value_typeEPSK_NS1_7vsmem_tEENKUlT_SI_SJ_SK_E_clIPjSD_S10_SD_EESH_SX_SI_SJ_SK_EUlSX_E1_NS1_11comp_targetILNS1_3genE0ELNS1_11target_archE4294967295ELNS1_3gpuE0ELNS1_3repE0EEENS1_36merge_oddeven_config_static_selectorELNS0_4arch9wavefront6targetE1EEEvSJ_,@function
_ZN7rocprim17ROCPRIM_400000_NS6detail17trampoline_kernelINS0_14default_configENS1_38merge_sort_block_merge_config_selectorIjjEEZZNS1_27merge_sort_block_merge_implIS3_N6thrust23THRUST_200600_302600_NS6detail15normal_iteratorINS8_10device_ptrIjEEEESD_jNS1_19radix_merge_compareILb0ELb1EjNS0_19identity_decomposerEEEEE10hipError_tT0_T1_T2_jT3_P12ihipStream_tbPNSt15iterator_traitsISI_E10value_typeEPNSO_ISJ_E10value_typeEPSK_NS1_7vsmem_tEENKUlT_SI_SJ_SK_E_clIPjSD_S10_SD_EESH_SX_SI_SJ_SK_EUlSX_E1_NS1_11comp_targetILNS1_3genE0ELNS1_11target_archE4294967295ELNS1_3gpuE0ELNS1_3repE0EEENS1_36merge_oddeven_config_static_selectorELNS0_4arch9wavefront6targetE1EEEvSJ_: ; @_ZN7rocprim17ROCPRIM_400000_NS6detail17trampoline_kernelINS0_14default_configENS1_38merge_sort_block_merge_config_selectorIjjEEZZNS1_27merge_sort_block_merge_implIS3_N6thrust23THRUST_200600_302600_NS6detail15normal_iteratorINS8_10device_ptrIjEEEESD_jNS1_19radix_merge_compareILb0ELb1EjNS0_19identity_decomposerEEEEE10hipError_tT0_T1_T2_jT3_P12ihipStream_tbPNSt15iterator_traitsISI_E10value_typeEPNSO_ISJ_E10value_typeEPSK_NS1_7vsmem_tEENKUlT_SI_SJ_SK_E_clIPjSD_S10_SD_EESH_SX_SI_SJ_SK_EUlSX_E1_NS1_11comp_targetILNS1_3genE0ELNS1_11target_archE4294967295ELNS1_3gpuE0ELNS1_3repE0EEENS1_36merge_oddeven_config_static_selectorELNS0_4arch9wavefront6targetE1EEEvSJ_
; %bb.0:
	s_load_dword s20, s[0:1], 0x20
	s_waitcnt lgkmcnt(0)
	s_lshr_b32 s3, s20, 8
	s_cmp_eq_u32 s2, s3
	s_cselect_b64 s[16:17], -1, 0
	s_cmp_lg_u32 s2, s3
	s_cselect_b64 s[4:5], -1, 0
	s_lshl_b32 s18, s2, 8
	s_sub_i32 s3, s20, s18
	v_cmp_gt_u32_e64 s[6:7], s3, v0
	s_or_b64 s[4:5], s[4:5], s[6:7]
	s_and_saveexec_b64 s[8:9], s[4:5]
	s_cbranch_execz .LBB692_24
; %bb.1:
	s_load_dwordx8 s[8:15], s[0:1], 0x0
	s_mov_b32 s19, 0
	s_lshl_b64 s[4:5], s[18:19], 2
	v_lshlrev_b32_e32 v1, 2, v0
	s_load_dword s19, s[0:1], 0x24
	s_waitcnt lgkmcnt(0)
	s_add_u32 s22, s8, s4
	s_addc_u32 s23, s9, s5
	s_add_u32 s4, s12, s4
	s_addc_u32 s5, s13, s5
	global_load_dword v2, v1, s[4:5]
	global_load_dword v3, v1, s[22:23]
	s_lshr_b32 s3, s19, 8
	s_sub_i32 s4, 0, s3
	s_and_b32 s2, s2, s4
	s_and_b32 s3, s2, s3
	s_lshl_b32 s21, s2, 8
	s_sub_i32 s12, 0, s19
	s_cmp_eq_u32 s3, 0
	s_cselect_b64 s[4:5], -1, 0
	s_and_b64 s[2:3], s[4:5], exec
	s_cselect_b32 s12, s19, s12
	s_add_i32 s12, s12, s21
	s_mov_b64 s[2:3], -1
	s_cmp_gt_u32 s20, s12
	v_add_u32_e32 v0, s18, v0
	s_cbranch_scc1 .LBB692_9
; %bb.2:
	s_and_b64 vcc, exec, s[16:17]
	s_cbranch_vccz .LBB692_6
; %bb.3:
	v_cmp_gt_u32_e32 vcc, s20, v0
	s_and_saveexec_b64 s[2:3], vcc
	s_cbranch_execz .LBB692_5
; %bb.4:
	v_mov_b32_e32 v1, 0
	v_lshlrev_b64 v[4:5], 2, v[0:1]
	v_lshl_add_u64 v[6:7], s[10:11], 0, v[4:5]
	v_lshl_add_u64 v[4:5], s[14:15], 0, v[4:5]
	s_waitcnt vmcnt(0)
	global_store_dword v[6:7], v3, off
	global_store_dword v[4:5], v2, off
.LBB692_5:
	s_or_b64 exec, exec, s[2:3]
	s_mov_b64 s[2:3], 0
.LBB692_6:
	s_andn2_b64 vcc, exec, s[2:3]
	s_cbranch_vccnz .LBB692_8
; %bb.7:
	v_mov_b32_e32 v1, 0
	v_lshlrev_b64 v[4:5], 2, v[0:1]
	v_lshl_add_u64 v[6:7], s[10:11], 0, v[4:5]
	v_lshl_add_u64 v[4:5], s[14:15], 0, v[4:5]
	s_waitcnt vmcnt(0)
	global_store_dword v[6:7], v3, off
	global_store_dword v[4:5], v2, off
.LBB692_8:
	s_mov_b64 s[2:3], 0
.LBB692_9:
	s_andn2_b64 vcc, exec, s[2:3]
	s_cbranch_vccnz .LBB692_24
; %bb.10:
	s_load_dword s13, s[0:1], 0x28
	s_min_u32 s18, s12, s20
	s_add_i32 s0, s18, s19
	s_min_u32 s19, s0, s20
	s_min_u32 s0, s21, s18
	s_add_i32 s21, s21, s18
	v_subrev_u32_e32 v0, s21, v0
	v_add_u32_e32 v4, s0, v0
	s_waitcnt vmcnt(0) lgkmcnt(0)
	v_and_b32_e32 v5, s13, v3
	s_mov_b64 s[0:1], -1
	s_and_b64 vcc, exec, s[16:17]
	s_cbranch_vccz .LBB692_18
; %bb.11:
	s_and_saveexec_b64 s[0:1], s[6:7]
	s_cbranch_execz .LBB692_17
; %bb.12:
	s_cmp_ge_u32 s12, s19
	v_mov_b32_e32 v6, s18
	s_cbranch_scc1 .LBB692_16
; %bb.13:
	s_mov_b64 s[2:3], 0
	v_mov_b32_e32 v7, s19
	v_mov_b32_e32 v6, s18
	;; [unrolled: 1-line block ×3, first 2 shown]
.LBB692_14:                             ; =>This Inner Loop Header: Depth=1
	v_add_u32_e32 v0, v6, v7
	v_lshrrev_b32_e32 v0, 1, v0
	v_lshl_add_u64 v[8:9], v[0:1], 2, s[8:9]
	global_load_dword v8, v[8:9], off
	v_add_u32_e32 v9, 1, v0
	s_waitcnt vmcnt(0)
	v_and_b32_e32 v8, s13, v8
	v_cmp_gt_u32_e32 vcc, v5, v8
	s_nop 1
	v_cndmask_b32_e64 v10, 0, 1, vcc
	v_cmp_le_u32_e32 vcc, v8, v5
	s_nop 1
	v_cndmask_b32_e64 v8, 0, 1, vcc
	v_cndmask_b32_e64 v8, v8, v10, s[4:5]
	v_and_b32_e32 v8, 1, v8
	v_cmp_eq_u32_e32 vcc, 1, v8
	s_nop 1
	v_cndmask_b32_e32 v7, v0, v7, vcc
	v_cndmask_b32_e32 v6, v6, v9, vcc
	v_cmp_ge_u32_e32 vcc, v6, v7
	s_or_b64 s[2:3], vcc, s[2:3]
	s_andn2_b64 exec, exec, s[2:3]
	s_cbranch_execnz .LBB692_14
; %bb.15:
	s_or_b64 exec, exec, s[2:3]
.LBB692_16:
	v_add_u32_e32 v0, v6, v4
	v_mov_b32_e32 v1, 0
	v_lshlrev_b64 v[0:1], 2, v[0:1]
	v_lshl_add_u64 v[6:7], s[10:11], 0, v[0:1]
	v_lshl_add_u64 v[0:1], s[14:15], 0, v[0:1]
	global_store_dword v[6:7], v3, off
	global_store_dword v[0:1], v2, off
.LBB692_17:
	s_or_b64 exec, exec, s[0:1]
	s_mov_b64 s[0:1], 0
.LBB692_18:
	s_andn2_b64 vcc, exec, s[0:1]
	s_cbranch_vccnz .LBB692_24
; %bb.19:
	s_cmp_ge_u32 s12, s19
	v_mov_b32_e32 v6, s18
	s_cbranch_scc1 .LBB692_23
; %bb.20:
	s_mov_b64 s[0:1], 0
	v_mov_b32_e32 v7, s19
	v_mov_b32_e32 v6, s18
	;; [unrolled: 1-line block ×3, first 2 shown]
.LBB692_21:                             ; =>This Inner Loop Header: Depth=1
	v_add_u32_e32 v0, v6, v7
	v_lshrrev_b32_e32 v0, 1, v0
	v_lshl_add_u64 v[8:9], v[0:1], 2, s[8:9]
	global_load_dword v8, v[8:9], off
	v_add_u32_e32 v9, 1, v0
	s_waitcnt vmcnt(0)
	v_and_b32_e32 v8, s13, v8
	v_cmp_gt_u32_e32 vcc, v5, v8
	s_nop 1
	v_cndmask_b32_e64 v10, 0, 1, vcc
	v_cmp_le_u32_e32 vcc, v8, v5
	s_nop 1
	v_cndmask_b32_e64 v8, 0, 1, vcc
	v_cndmask_b32_e64 v8, v8, v10, s[4:5]
	v_and_b32_e32 v8, 1, v8
	v_cmp_eq_u32_e32 vcc, 1, v8
	s_nop 1
	v_cndmask_b32_e32 v7, v0, v7, vcc
	v_cndmask_b32_e32 v6, v6, v9, vcc
	v_cmp_ge_u32_e32 vcc, v6, v7
	s_or_b64 s[0:1], vcc, s[0:1]
	s_andn2_b64 exec, exec, s[0:1]
	s_cbranch_execnz .LBB692_21
; %bb.22:
	s_or_b64 exec, exec, s[0:1]
.LBB692_23:
	v_add_u32_e32 v0, v6, v4
	v_mov_b32_e32 v1, 0
	v_lshlrev_b64 v[0:1], 2, v[0:1]
	v_lshl_add_u64 v[4:5], s[10:11], 0, v[0:1]
	v_lshl_add_u64 v[0:1], s[14:15], 0, v[0:1]
	global_store_dword v[4:5], v3, off
	global_store_dword v[0:1], v2, off
.LBB692_24:
	s_endpgm
	.section	.rodata,"a",@progbits
	.p2align	6, 0x0
	.amdhsa_kernel _ZN7rocprim17ROCPRIM_400000_NS6detail17trampoline_kernelINS0_14default_configENS1_38merge_sort_block_merge_config_selectorIjjEEZZNS1_27merge_sort_block_merge_implIS3_N6thrust23THRUST_200600_302600_NS6detail15normal_iteratorINS8_10device_ptrIjEEEESD_jNS1_19radix_merge_compareILb0ELb1EjNS0_19identity_decomposerEEEEE10hipError_tT0_T1_T2_jT3_P12ihipStream_tbPNSt15iterator_traitsISI_E10value_typeEPNSO_ISJ_E10value_typeEPSK_NS1_7vsmem_tEENKUlT_SI_SJ_SK_E_clIPjSD_S10_SD_EESH_SX_SI_SJ_SK_EUlSX_E1_NS1_11comp_targetILNS1_3genE0ELNS1_11target_archE4294967295ELNS1_3gpuE0ELNS1_3repE0EEENS1_36merge_oddeven_config_static_selectorELNS0_4arch9wavefront6targetE1EEEvSJ_
		.amdhsa_group_segment_fixed_size 0
		.amdhsa_private_segment_fixed_size 0
		.amdhsa_kernarg_size 48
		.amdhsa_user_sgpr_count 2
		.amdhsa_user_sgpr_dispatch_ptr 0
		.amdhsa_user_sgpr_queue_ptr 0
		.amdhsa_user_sgpr_kernarg_segment_ptr 1
		.amdhsa_user_sgpr_dispatch_id 0
		.amdhsa_user_sgpr_kernarg_preload_length 0
		.amdhsa_user_sgpr_kernarg_preload_offset 0
		.amdhsa_user_sgpr_private_segment_size 0
		.amdhsa_uses_dynamic_stack 0
		.amdhsa_enable_private_segment 0
		.amdhsa_system_sgpr_workgroup_id_x 1
		.amdhsa_system_sgpr_workgroup_id_y 0
		.amdhsa_system_sgpr_workgroup_id_z 0
		.amdhsa_system_sgpr_workgroup_info 0
		.amdhsa_system_vgpr_workitem_id 0
		.amdhsa_next_free_vgpr 11
		.amdhsa_next_free_sgpr 24
		.amdhsa_accum_offset 12
		.amdhsa_reserve_vcc 1
		.amdhsa_float_round_mode_32 0
		.amdhsa_float_round_mode_16_64 0
		.amdhsa_float_denorm_mode_32 3
		.amdhsa_float_denorm_mode_16_64 3
		.amdhsa_dx10_clamp 1
		.amdhsa_ieee_mode 1
		.amdhsa_fp16_overflow 0
		.amdhsa_tg_split 0
		.amdhsa_exception_fp_ieee_invalid_op 0
		.amdhsa_exception_fp_denorm_src 0
		.amdhsa_exception_fp_ieee_div_zero 0
		.amdhsa_exception_fp_ieee_overflow 0
		.amdhsa_exception_fp_ieee_underflow 0
		.amdhsa_exception_fp_ieee_inexact 0
		.amdhsa_exception_int_div_zero 0
	.end_amdhsa_kernel
	.section	.text._ZN7rocprim17ROCPRIM_400000_NS6detail17trampoline_kernelINS0_14default_configENS1_38merge_sort_block_merge_config_selectorIjjEEZZNS1_27merge_sort_block_merge_implIS3_N6thrust23THRUST_200600_302600_NS6detail15normal_iteratorINS8_10device_ptrIjEEEESD_jNS1_19radix_merge_compareILb0ELb1EjNS0_19identity_decomposerEEEEE10hipError_tT0_T1_T2_jT3_P12ihipStream_tbPNSt15iterator_traitsISI_E10value_typeEPNSO_ISJ_E10value_typeEPSK_NS1_7vsmem_tEENKUlT_SI_SJ_SK_E_clIPjSD_S10_SD_EESH_SX_SI_SJ_SK_EUlSX_E1_NS1_11comp_targetILNS1_3genE0ELNS1_11target_archE4294967295ELNS1_3gpuE0ELNS1_3repE0EEENS1_36merge_oddeven_config_static_selectorELNS0_4arch9wavefront6targetE1EEEvSJ_,"axG",@progbits,_ZN7rocprim17ROCPRIM_400000_NS6detail17trampoline_kernelINS0_14default_configENS1_38merge_sort_block_merge_config_selectorIjjEEZZNS1_27merge_sort_block_merge_implIS3_N6thrust23THRUST_200600_302600_NS6detail15normal_iteratorINS8_10device_ptrIjEEEESD_jNS1_19radix_merge_compareILb0ELb1EjNS0_19identity_decomposerEEEEE10hipError_tT0_T1_T2_jT3_P12ihipStream_tbPNSt15iterator_traitsISI_E10value_typeEPNSO_ISJ_E10value_typeEPSK_NS1_7vsmem_tEENKUlT_SI_SJ_SK_E_clIPjSD_S10_SD_EESH_SX_SI_SJ_SK_EUlSX_E1_NS1_11comp_targetILNS1_3genE0ELNS1_11target_archE4294967295ELNS1_3gpuE0ELNS1_3repE0EEENS1_36merge_oddeven_config_static_selectorELNS0_4arch9wavefront6targetE1EEEvSJ_,comdat
.Lfunc_end692:
	.size	_ZN7rocprim17ROCPRIM_400000_NS6detail17trampoline_kernelINS0_14default_configENS1_38merge_sort_block_merge_config_selectorIjjEEZZNS1_27merge_sort_block_merge_implIS3_N6thrust23THRUST_200600_302600_NS6detail15normal_iteratorINS8_10device_ptrIjEEEESD_jNS1_19radix_merge_compareILb0ELb1EjNS0_19identity_decomposerEEEEE10hipError_tT0_T1_T2_jT3_P12ihipStream_tbPNSt15iterator_traitsISI_E10value_typeEPNSO_ISJ_E10value_typeEPSK_NS1_7vsmem_tEENKUlT_SI_SJ_SK_E_clIPjSD_S10_SD_EESH_SX_SI_SJ_SK_EUlSX_E1_NS1_11comp_targetILNS1_3genE0ELNS1_11target_archE4294967295ELNS1_3gpuE0ELNS1_3repE0EEENS1_36merge_oddeven_config_static_selectorELNS0_4arch9wavefront6targetE1EEEvSJ_, .Lfunc_end692-_ZN7rocprim17ROCPRIM_400000_NS6detail17trampoline_kernelINS0_14default_configENS1_38merge_sort_block_merge_config_selectorIjjEEZZNS1_27merge_sort_block_merge_implIS3_N6thrust23THRUST_200600_302600_NS6detail15normal_iteratorINS8_10device_ptrIjEEEESD_jNS1_19radix_merge_compareILb0ELb1EjNS0_19identity_decomposerEEEEE10hipError_tT0_T1_T2_jT3_P12ihipStream_tbPNSt15iterator_traitsISI_E10value_typeEPNSO_ISJ_E10value_typeEPSK_NS1_7vsmem_tEENKUlT_SI_SJ_SK_E_clIPjSD_S10_SD_EESH_SX_SI_SJ_SK_EUlSX_E1_NS1_11comp_targetILNS1_3genE0ELNS1_11target_archE4294967295ELNS1_3gpuE0ELNS1_3repE0EEENS1_36merge_oddeven_config_static_selectorELNS0_4arch9wavefront6targetE1EEEvSJ_
                                        ; -- End function
	.set _ZN7rocprim17ROCPRIM_400000_NS6detail17trampoline_kernelINS0_14default_configENS1_38merge_sort_block_merge_config_selectorIjjEEZZNS1_27merge_sort_block_merge_implIS3_N6thrust23THRUST_200600_302600_NS6detail15normal_iteratorINS8_10device_ptrIjEEEESD_jNS1_19radix_merge_compareILb0ELb1EjNS0_19identity_decomposerEEEEE10hipError_tT0_T1_T2_jT3_P12ihipStream_tbPNSt15iterator_traitsISI_E10value_typeEPNSO_ISJ_E10value_typeEPSK_NS1_7vsmem_tEENKUlT_SI_SJ_SK_E_clIPjSD_S10_SD_EESH_SX_SI_SJ_SK_EUlSX_E1_NS1_11comp_targetILNS1_3genE0ELNS1_11target_archE4294967295ELNS1_3gpuE0ELNS1_3repE0EEENS1_36merge_oddeven_config_static_selectorELNS0_4arch9wavefront6targetE1EEEvSJ_.num_vgpr, 11
	.set _ZN7rocprim17ROCPRIM_400000_NS6detail17trampoline_kernelINS0_14default_configENS1_38merge_sort_block_merge_config_selectorIjjEEZZNS1_27merge_sort_block_merge_implIS3_N6thrust23THRUST_200600_302600_NS6detail15normal_iteratorINS8_10device_ptrIjEEEESD_jNS1_19radix_merge_compareILb0ELb1EjNS0_19identity_decomposerEEEEE10hipError_tT0_T1_T2_jT3_P12ihipStream_tbPNSt15iterator_traitsISI_E10value_typeEPNSO_ISJ_E10value_typeEPSK_NS1_7vsmem_tEENKUlT_SI_SJ_SK_E_clIPjSD_S10_SD_EESH_SX_SI_SJ_SK_EUlSX_E1_NS1_11comp_targetILNS1_3genE0ELNS1_11target_archE4294967295ELNS1_3gpuE0ELNS1_3repE0EEENS1_36merge_oddeven_config_static_selectorELNS0_4arch9wavefront6targetE1EEEvSJ_.num_agpr, 0
	.set _ZN7rocprim17ROCPRIM_400000_NS6detail17trampoline_kernelINS0_14default_configENS1_38merge_sort_block_merge_config_selectorIjjEEZZNS1_27merge_sort_block_merge_implIS3_N6thrust23THRUST_200600_302600_NS6detail15normal_iteratorINS8_10device_ptrIjEEEESD_jNS1_19radix_merge_compareILb0ELb1EjNS0_19identity_decomposerEEEEE10hipError_tT0_T1_T2_jT3_P12ihipStream_tbPNSt15iterator_traitsISI_E10value_typeEPNSO_ISJ_E10value_typeEPSK_NS1_7vsmem_tEENKUlT_SI_SJ_SK_E_clIPjSD_S10_SD_EESH_SX_SI_SJ_SK_EUlSX_E1_NS1_11comp_targetILNS1_3genE0ELNS1_11target_archE4294967295ELNS1_3gpuE0ELNS1_3repE0EEENS1_36merge_oddeven_config_static_selectorELNS0_4arch9wavefront6targetE1EEEvSJ_.numbered_sgpr, 24
	.set _ZN7rocprim17ROCPRIM_400000_NS6detail17trampoline_kernelINS0_14default_configENS1_38merge_sort_block_merge_config_selectorIjjEEZZNS1_27merge_sort_block_merge_implIS3_N6thrust23THRUST_200600_302600_NS6detail15normal_iteratorINS8_10device_ptrIjEEEESD_jNS1_19radix_merge_compareILb0ELb1EjNS0_19identity_decomposerEEEEE10hipError_tT0_T1_T2_jT3_P12ihipStream_tbPNSt15iterator_traitsISI_E10value_typeEPNSO_ISJ_E10value_typeEPSK_NS1_7vsmem_tEENKUlT_SI_SJ_SK_E_clIPjSD_S10_SD_EESH_SX_SI_SJ_SK_EUlSX_E1_NS1_11comp_targetILNS1_3genE0ELNS1_11target_archE4294967295ELNS1_3gpuE0ELNS1_3repE0EEENS1_36merge_oddeven_config_static_selectorELNS0_4arch9wavefront6targetE1EEEvSJ_.num_named_barrier, 0
	.set _ZN7rocprim17ROCPRIM_400000_NS6detail17trampoline_kernelINS0_14default_configENS1_38merge_sort_block_merge_config_selectorIjjEEZZNS1_27merge_sort_block_merge_implIS3_N6thrust23THRUST_200600_302600_NS6detail15normal_iteratorINS8_10device_ptrIjEEEESD_jNS1_19radix_merge_compareILb0ELb1EjNS0_19identity_decomposerEEEEE10hipError_tT0_T1_T2_jT3_P12ihipStream_tbPNSt15iterator_traitsISI_E10value_typeEPNSO_ISJ_E10value_typeEPSK_NS1_7vsmem_tEENKUlT_SI_SJ_SK_E_clIPjSD_S10_SD_EESH_SX_SI_SJ_SK_EUlSX_E1_NS1_11comp_targetILNS1_3genE0ELNS1_11target_archE4294967295ELNS1_3gpuE0ELNS1_3repE0EEENS1_36merge_oddeven_config_static_selectorELNS0_4arch9wavefront6targetE1EEEvSJ_.private_seg_size, 0
	.set _ZN7rocprim17ROCPRIM_400000_NS6detail17trampoline_kernelINS0_14default_configENS1_38merge_sort_block_merge_config_selectorIjjEEZZNS1_27merge_sort_block_merge_implIS3_N6thrust23THRUST_200600_302600_NS6detail15normal_iteratorINS8_10device_ptrIjEEEESD_jNS1_19radix_merge_compareILb0ELb1EjNS0_19identity_decomposerEEEEE10hipError_tT0_T1_T2_jT3_P12ihipStream_tbPNSt15iterator_traitsISI_E10value_typeEPNSO_ISJ_E10value_typeEPSK_NS1_7vsmem_tEENKUlT_SI_SJ_SK_E_clIPjSD_S10_SD_EESH_SX_SI_SJ_SK_EUlSX_E1_NS1_11comp_targetILNS1_3genE0ELNS1_11target_archE4294967295ELNS1_3gpuE0ELNS1_3repE0EEENS1_36merge_oddeven_config_static_selectorELNS0_4arch9wavefront6targetE1EEEvSJ_.uses_vcc, 1
	.set _ZN7rocprim17ROCPRIM_400000_NS6detail17trampoline_kernelINS0_14default_configENS1_38merge_sort_block_merge_config_selectorIjjEEZZNS1_27merge_sort_block_merge_implIS3_N6thrust23THRUST_200600_302600_NS6detail15normal_iteratorINS8_10device_ptrIjEEEESD_jNS1_19radix_merge_compareILb0ELb1EjNS0_19identity_decomposerEEEEE10hipError_tT0_T1_T2_jT3_P12ihipStream_tbPNSt15iterator_traitsISI_E10value_typeEPNSO_ISJ_E10value_typeEPSK_NS1_7vsmem_tEENKUlT_SI_SJ_SK_E_clIPjSD_S10_SD_EESH_SX_SI_SJ_SK_EUlSX_E1_NS1_11comp_targetILNS1_3genE0ELNS1_11target_archE4294967295ELNS1_3gpuE0ELNS1_3repE0EEENS1_36merge_oddeven_config_static_selectorELNS0_4arch9wavefront6targetE1EEEvSJ_.uses_flat_scratch, 0
	.set _ZN7rocprim17ROCPRIM_400000_NS6detail17trampoline_kernelINS0_14default_configENS1_38merge_sort_block_merge_config_selectorIjjEEZZNS1_27merge_sort_block_merge_implIS3_N6thrust23THRUST_200600_302600_NS6detail15normal_iteratorINS8_10device_ptrIjEEEESD_jNS1_19radix_merge_compareILb0ELb1EjNS0_19identity_decomposerEEEEE10hipError_tT0_T1_T2_jT3_P12ihipStream_tbPNSt15iterator_traitsISI_E10value_typeEPNSO_ISJ_E10value_typeEPSK_NS1_7vsmem_tEENKUlT_SI_SJ_SK_E_clIPjSD_S10_SD_EESH_SX_SI_SJ_SK_EUlSX_E1_NS1_11comp_targetILNS1_3genE0ELNS1_11target_archE4294967295ELNS1_3gpuE0ELNS1_3repE0EEENS1_36merge_oddeven_config_static_selectorELNS0_4arch9wavefront6targetE1EEEvSJ_.has_dyn_sized_stack, 0
	.set _ZN7rocprim17ROCPRIM_400000_NS6detail17trampoline_kernelINS0_14default_configENS1_38merge_sort_block_merge_config_selectorIjjEEZZNS1_27merge_sort_block_merge_implIS3_N6thrust23THRUST_200600_302600_NS6detail15normal_iteratorINS8_10device_ptrIjEEEESD_jNS1_19radix_merge_compareILb0ELb1EjNS0_19identity_decomposerEEEEE10hipError_tT0_T1_T2_jT3_P12ihipStream_tbPNSt15iterator_traitsISI_E10value_typeEPNSO_ISJ_E10value_typeEPSK_NS1_7vsmem_tEENKUlT_SI_SJ_SK_E_clIPjSD_S10_SD_EESH_SX_SI_SJ_SK_EUlSX_E1_NS1_11comp_targetILNS1_3genE0ELNS1_11target_archE4294967295ELNS1_3gpuE0ELNS1_3repE0EEENS1_36merge_oddeven_config_static_selectorELNS0_4arch9wavefront6targetE1EEEvSJ_.has_recursion, 0
	.set _ZN7rocprim17ROCPRIM_400000_NS6detail17trampoline_kernelINS0_14default_configENS1_38merge_sort_block_merge_config_selectorIjjEEZZNS1_27merge_sort_block_merge_implIS3_N6thrust23THRUST_200600_302600_NS6detail15normal_iteratorINS8_10device_ptrIjEEEESD_jNS1_19radix_merge_compareILb0ELb1EjNS0_19identity_decomposerEEEEE10hipError_tT0_T1_T2_jT3_P12ihipStream_tbPNSt15iterator_traitsISI_E10value_typeEPNSO_ISJ_E10value_typeEPSK_NS1_7vsmem_tEENKUlT_SI_SJ_SK_E_clIPjSD_S10_SD_EESH_SX_SI_SJ_SK_EUlSX_E1_NS1_11comp_targetILNS1_3genE0ELNS1_11target_archE4294967295ELNS1_3gpuE0ELNS1_3repE0EEENS1_36merge_oddeven_config_static_selectorELNS0_4arch9wavefront6targetE1EEEvSJ_.has_indirect_call, 0
	.section	.AMDGPU.csdata,"",@progbits
; Kernel info:
; codeLenInByte = 796
; TotalNumSgprs: 30
; NumVgprs: 11
; NumAgprs: 0
; TotalNumVgprs: 11
; ScratchSize: 0
; MemoryBound: 0
; FloatMode: 240
; IeeeMode: 1
; LDSByteSize: 0 bytes/workgroup (compile time only)
; SGPRBlocks: 3
; VGPRBlocks: 1
; NumSGPRsForWavesPerEU: 30
; NumVGPRsForWavesPerEU: 11
; AccumOffset: 12
; Occupancy: 8
; WaveLimiterHint : 0
; COMPUTE_PGM_RSRC2:SCRATCH_EN: 0
; COMPUTE_PGM_RSRC2:USER_SGPR: 2
; COMPUTE_PGM_RSRC2:TRAP_HANDLER: 0
; COMPUTE_PGM_RSRC2:TGID_X_EN: 1
; COMPUTE_PGM_RSRC2:TGID_Y_EN: 0
; COMPUTE_PGM_RSRC2:TGID_Z_EN: 0
; COMPUTE_PGM_RSRC2:TIDIG_COMP_CNT: 0
; COMPUTE_PGM_RSRC3_GFX90A:ACCUM_OFFSET: 2
; COMPUTE_PGM_RSRC3_GFX90A:TG_SPLIT: 0
	.section	.text._ZN7rocprim17ROCPRIM_400000_NS6detail17trampoline_kernelINS0_14default_configENS1_38merge_sort_block_merge_config_selectorIjjEEZZNS1_27merge_sort_block_merge_implIS3_N6thrust23THRUST_200600_302600_NS6detail15normal_iteratorINS8_10device_ptrIjEEEESD_jNS1_19radix_merge_compareILb0ELb1EjNS0_19identity_decomposerEEEEE10hipError_tT0_T1_T2_jT3_P12ihipStream_tbPNSt15iterator_traitsISI_E10value_typeEPNSO_ISJ_E10value_typeEPSK_NS1_7vsmem_tEENKUlT_SI_SJ_SK_E_clIPjSD_S10_SD_EESH_SX_SI_SJ_SK_EUlSX_E1_NS1_11comp_targetILNS1_3genE10ELNS1_11target_archE1201ELNS1_3gpuE5ELNS1_3repE0EEENS1_36merge_oddeven_config_static_selectorELNS0_4arch9wavefront6targetE1EEEvSJ_,"axG",@progbits,_ZN7rocprim17ROCPRIM_400000_NS6detail17trampoline_kernelINS0_14default_configENS1_38merge_sort_block_merge_config_selectorIjjEEZZNS1_27merge_sort_block_merge_implIS3_N6thrust23THRUST_200600_302600_NS6detail15normal_iteratorINS8_10device_ptrIjEEEESD_jNS1_19radix_merge_compareILb0ELb1EjNS0_19identity_decomposerEEEEE10hipError_tT0_T1_T2_jT3_P12ihipStream_tbPNSt15iterator_traitsISI_E10value_typeEPNSO_ISJ_E10value_typeEPSK_NS1_7vsmem_tEENKUlT_SI_SJ_SK_E_clIPjSD_S10_SD_EESH_SX_SI_SJ_SK_EUlSX_E1_NS1_11comp_targetILNS1_3genE10ELNS1_11target_archE1201ELNS1_3gpuE5ELNS1_3repE0EEENS1_36merge_oddeven_config_static_selectorELNS0_4arch9wavefront6targetE1EEEvSJ_,comdat
	.protected	_ZN7rocprim17ROCPRIM_400000_NS6detail17trampoline_kernelINS0_14default_configENS1_38merge_sort_block_merge_config_selectorIjjEEZZNS1_27merge_sort_block_merge_implIS3_N6thrust23THRUST_200600_302600_NS6detail15normal_iteratorINS8_10device_ptrIjEEEESD_jNS1_19radix_merge_compareILb0ELb1EjNS0_19identity_decomposerEEEEE10hipError_tT0_T1_T2_jT3_P12ihipStream_tbPNSt15iterator_traitsISI_E10value_typeEPNSO_ISJ_E10value_typeEPSK_NS1_7vsmem_tEENKUlT_SI_SJ_SK_E_clIPjSD_S10_SD_EESH_SX_SI_SJ_SK_EUlSX_E1_NS1_11comp_targetILNS1_3genE10ELNS1_11target_archE1201ELNS1_3gpuE5ELNS1_3repE0EEENS1_36merge_oddeven_config_static_selectorELNS0_4arch9wavefront6targetE1EEEvSJ_ ; -- Begin function _ZN7rocprim17ROCPRIM_400000_NS6detail17trampoline_kernelINS0_14default_configENS1_38merge_sort_block_merge_config_selectorIjjEEZZNS1_27merge_sort_block_merge_implIS3_N6thrust23THRUST_200600_302600_NS6detail15normal_iteratorINS8_10device_ptrIjEEEESD_jNS1_19radix_merge_compareILb0ELb1EjNS0_19identity_decomposerEEEEE10hipError_tT0_T1_T2_jT3_P12ihipStream_tbPNSt15iterator_traitsISI_E10value_typeEPNSO_ISJ_E10value_typeEPSK_NS1_7vsmem_tEENKUlT_SI_SJ_SK_E_clIPjSD_S10_SD_EESH_SX_SI_SJ_SK_EUlSX_E1_NS1_11comp_targetILNS1_3genE10ELNS1_11target_archE1201ELNS1_3gpuE5ELNS1_3repE0EEENS1_36merge_oddeven_config_static_selectorELNS0_4arch9wavefront6targetE1EEEvSJ_
	.globl	_ZN7rocprim17ROCPRIM_400000_NS6detail17trampoline_kernelINS0_14default_configENS1_38merge_sort_block_merge_config_selectorIjjEEZZNS1_27merge_sort_block_merge_implIS3_N6thrust23THRUST_200600_302600_NS6detail15normal_iteratorINS8_10device_ptrIjEEEESD_jNS1_19radix_merge_compareILb0ELb1EjNS0_19identity_decomposerEEEEE10hipError_tT0_T1_T2_jT3_P12ihipStream_tbPNSt15iterator_traitsISI_E10value_typeEPNSO_ISJ_E10value_typeEPSK_NS1_7vsmem_tEENKUlT_SI_SJ_SK_E_clIPjSD_S10_SD_EESH_SX_SI_SJ_SK_EUlSX_E1_NS1_11comp_targetILNS1_3genE10ELNS1_11target_archE1201ELNS1_3gpuE5ELNS1_3repE0EEENS1_36merge_oddeven_config_static_selectorELNS0_4arch9wavefront6targetE1EEEvSJ_
	.p2align	8
	.type	_ZN7rocprim17ROCPRIM_400000_NS6detail17trampoline_kernelINS0_14default_configENS1_38merge_sort_block_merge_config_selectorIjjEEZZNS1_27merge_sort_block_merge_implIS3_N6thrust23THRUST_200600_302600_NS6detail15normal_iteratorINS8_10device_ptrIjEEEESD_jNS1_19radix_merge_compareILb0ELb1EjNS0_19identity_decomposerEEEEE10hipError_tT0_T1_T2_jT3_P12ihipStream_tbPNSt15iterator_traitsISI_E10value_typeEPNSO_ISJ_E10value_typeEPSK_NS1_7vsmem_tEENKUlT_SI_SJ_SK_E_clIPjSD_S10_SD_EESH_SX_SI_SJ_SK_EUlSX_E1_NS1_11comp_targetILNS1_3genE10ELNS1_11target_archE1201ELNS1_3gpuE5ELNS1_3repE0EEENS1_36merge_oddeven_config_static_selectorELNS0_4arch9wavefront6targetE1EEEvSJ_,@function
_ZN7rocprim17ROCPRIM_400000_NS6detail17trampoline_kernelINS0_14default_configENS1_38merge_sort_block_merge_config_selectorIjjEEZZNS1_27merge_sort_block_merge_implIS3_N6thrust23THRUST_200600_302600_NS6detail15normal_iteratorINS8_10device_ptrIjEEEESD_jNS1_19radix_merge_compareILb0ELb1EjNS0_19identity_decomposerEEEEE10hipError_tT0_T1_T2_jT3_P12ihipStream_tbPNSt15iterator_traitsISI_E10value_typeEPNSO_ISJ_E10value_typeEPSK_NS1_7vsmem_tEENKUlT_SI_SJ_SK_E_clIPjSD_S10_SD_EESH_SX_SI_SJ_SK_EUlSX_E1_NS1_11comp_targetILNS1_3genE10ELNS1_11target_archE1201ELNS1_3gpuE5ELNS1_3repE0EEENS1_36merge_oddeven_config_static_selectorELNS0_4arch9wavefront6targetE1EEEvSJ_: ; @_ZN7rocprim17ROCPRIM_400000_NS6detail17trampoline_kernelINS0_14default_configENS1_38merge_sort_block_merge_config_selectorIjjEEZZNS1_27merge_sort_block_merge_implIS3_N6thrust23THRUST_200600_302600_NS6detail15normal_iteratorINS8_10device_ptrIjEEEESD_jNS1_19radix_merge_compareILb0ELb1EjNS0_19identity_decomposerEEEEE10hipError_tT0_T1_T2_jT3_P12ihipStream_tbPNSt15iterator_traitsISI_E10value_typeEPNSO_ISJ_E10value_typeEPSK_NS1_7vsmem_tEENKUlT_SI_SJ_SK_E_clIPjSD_S10_SD_EESH_SX_SI_SJ_SK_EUlSX_E1_NS1_11comp_targetILNS1_3genE10ELNS1_11target_archE1201ELNS1_3gpuE5ELNS1_3repE0EEENS1_36merge_oddeven_config_static_selectorELNS0_4arch9wavefront6targetE1EEEvSJ_
; %bb.0:
	.section	.rodata,"a",@progbits
	.p2align	6, 0x0
	.amdhsa_kernel _ZN7rocprim17ROCPRIM_400000_NS6detail17trampoline_kernelINS0_14default_configENS1_38merge_sort_block_merge_config_selectorIjjEEZZNS1_27merge_sort_block_merge_implIS3_N6thrust23THRUST_200600_302600_NS6detail15normal_iteratorINS8_10device_ptrIjEEEESD_jNS1_19radix_merge_compareILb0ELb1EjNS0_19identity_decomposerEEEEE10hipError_tT0_T1_T2_jT3_P12ihipStream_tbPNSt15iterator_traitsISI_E10value_typeEPNSO_ISJ_E10value_typeEPSK_NS1_7vsmem_tEENKUlT_SI_SJ_SK_E_clIPjSD_S10_SD_EESH_SX_SI_SJ_SK_EUlSX_E1_NS1_11comp_targetILNS1_3genE10ELNS1_11target_archE1201ELNS1_3gpuE5ELNS1_3repE0EEENS1_36merge_oddeven_config_static_selectorELNS0_4arch9wavefront6targetE1EEEvSJ_
		.amdhsa_group_segment_fixed_size 0
		.amdhsa_private_segment_fixed_size 0
		.amdhsa_kernarg_size 48
		.amdhsa_user_sgpr_count 2
		.amdhsa_user_sgpr_dispatch_ptr 0
		.amdhsa_user_sgpr_queue_ptr 0
		.amdhsa_user_sgpr_kernarg_segment_ptr 1
		.amdhsa_user_sgpr_dispatch_id 0
		.amdhsa_user_sgpr_kernarg_preload_length 0
		.amdhsa_user_sgpr_kernarg_preload_offset 0
		.amdhsa_user_sgpr_private_segment_size 0
		.amdhsa_uses_dynamic_stack 0
		.amdhsa_enable_private_segment 0
		.amdhsa_system_sgpr_workgroup_id_x 1
		.amdhsa_system_sgpr_workgroup_id_y 0
		.amdhsa_system_sgpr_workgroup_id_z 0
		.amdhsa_system_sgpr_workgroup_info 0
		.amdhsa_system_vgpr_workitem_id 0
		.amdhsa_next_free_vgpr 1
		.amdhsa_next_free_sgpr 0
		.amdhsa_accum_offset 4
		.amdhsa_reserve_vcc 0
		.amdhsa_float_round_mode_32 0
		.amdhsa_float_round_mode_16_64 0
		.amdhsa_float_denorm_mode_32 3
		.amdhsa_float_denorm_mode_16_64 3
		.amdhsa_dx10_clamp 1
		.amdhsa_ieee_mode 1
		.amdhsa_fp16_overflow 0
		.amdhsa_tg_split 0
		.amdhsa_exception_fp_ieee_invalid_op 0
		.amdhsa_exception_fp_denorm_src 0
		.amdhsa_exception_fp_ieee_div_zero 0
		.amdhsa_exception_fp_ieee_overflow 0
		.amdhsa_exception_fp_ieee_underflow 0
		.amdhsa_exception_fp_ieee_inexact 0
		.amdhsa_exception_int_div_zero 0
	.end_amdhsa_kernel
	.section	.text._ZN7rocprim17ROCPRIM_400000_NS6detail17trampoline_kernelINS0_14default_configENS1_38merge_sort_block_merge_config_selectorIjjEEZZNS1_27merge_sort_block_merge_implIS3_N6thrust23THRUST_200600_302600_NS6detail15normal_iteratorINS8_10device_ptrIjEEEESD_jNS1_19radix_merge_compareILb0ELb1EjNS0_19identity_decomposerEEEEE10hipError_tT0_T1_T2_jT3_P12ihipStream_tbPNSt15iterator_traitsISI_E10value_typeEPNSO_ISJ_E10value_typeEPSK_NS1_7vsmem_tEENKUlT_SI_SJ_SK_E_clIPjSD_S10_SD_EESH_SX_SI_SJ_SK_EUlSX_E1_NS1_11comp_targetILNS1_3genE10ELNS1_11target_archE1201ELNS1_3gpuE5ELNS1_3repE0EEENS1_36merge_oddeven_config_static_selectorELNS0_4arch9wavefront6targetE1EEEvSJ_,"axG",@progbits,_ZN7rocprim17ROCPRIM_400000_NS6detail17trampoline_kernelINS0_14default_configENS1_38merge_sort_block_merge_config_selectorIjjEEZZNS1_27merge_sort_block_merge_implIS3_N6thrust23THRUST_200600_302600_NS6detail15normal_iteratorINS8_10device_ptrIjEEEESD_jNS1_19radix_merge_compareILb0ELb1EjNS0_19identity_decomposerEEEEE10hipError_tT0_T1_T2_jT3_P12ihipStream_tbPNSt15iterator_traitsISI_E10value_typeEPNSO_ISJ_E10value_typeEPSK_NS1_7vsmem_tEENKUlT_SI_SJ_SK_E_clIPjSD_S10_SD_EESH_SX_SI_SJ_SK_EUlSX_E1_NS1_11comp_targetILNS1_3genE10ELNS1_11target_archE1201ELNS1_3gpuE5ELNS1_3repE0EEENS1_36merge_oddeven_config_static_selectorELNS0_4arch9wavefront6targetE1EEEvSJ_,comdat
.Lfunc_end693:
	.size	_ZN7rocprim17ROCPRIM_400000_NS6detail17trampoline_kernelINS0_14default_configENS1_38merge_sort_block_merge_config_selectorIjjEEZZNS1_27merge_sort_block_merge_implIS3_N6thrust23THRUST_200600_302600_NS6detail15normal_iteratorINS8_10device_ptrIjEEEESD_jNS1_19radix_merge_compareILb0ELb1EjNS0_19identity_decomposerEEEEE10hipError_tT0_T1_T2_jT3_P12ihipStream_tbPNSt15iterator_traitsISI_E10value_typeEPNSO_ISJ_E10value_typeEPSK_NS1_7vsmem_tEENKUlT_SI_SJ_SK_E_clIPjSD_S10_SD_EESH_SX_SI_SJ_SK_EUlSX_E1_NS1_11comp_targetILNS1_3genE10ELNS1_11target_archE1201ELNS1_3gpuE5ELNS1_3repE0EEENS1_36merge_oddeven_config_static_selectorELNS0_4arch9wavefront6targetE1EEEvSJ_, .Lfunc_end693-_ZN7rocprim17ROCPRIM_400000_NS6detail17trampoline_kernelINS0_14default_configENS1_38merge_sort_block_merge_config_selectorIjjEEZZNS1_27merge_sort_block_merge_implIS3_N6thrust23THRUST_200600_302600_NS6detail15normal_iteratorINS8_10device_ptrIjEEEESD_jNS1_19radix_merge_compareILb0ELb1EjNS0_19identity_decomposerEEEEE10hipError_tT0_T1_T2_jT3_P12ihipStream_tbPNSt15iterator_traitsISI_E10value_typeEPNSO_ISJ_E10value_typeEPSK_NS1_7vsmem_tEENKUlT_SI_SJ_SK_E_clIPjSD_S10_SD_EESH_SX_SI_SJ_SK_EUlSX_E1_NS1_11comp_targetILNS1_3genE10ELNS1_11target_archE1201ELNS1_3gpuE5ELNS1_3repE0EEENS1_36merge_oddeven_config_static_selectorELNS0_4arch9wavefront6targetE1EEEvSJ_
                                        ; -- End function
	.set _ZN7rocprim17ROCPRIM_400000_NS6detail17trampoline_kernelINS0_14default_configENS1_38merge_sort_block_merge_config_selectorIjjEEZZNS1_27merge_sort_block_merge_implIS3_N6thrust23THRUST_200600_302600_NS6detail15normal_iteratorINS8_10device_ptrIjEEEESD_jNS1_19radix_merge_compareILb0ELb1EjNS0_19identity_decomposerEEEEE10hipError_tT0_T1_T2_jT3_P12ihipStream_tbPNSt15iterator_traitsISI_E10value_typeEPNSO_ISJ_E10value_typeEPSK_NS1_7vsmem_tEENKUlT_SI_SJ_SK_E_clIPjSD_S10_SD_EESH_SX_SI_SJ_SK_EUlSX_E1_NS1_11comp_targetILNS1_3genE10ELNS1_11target_archE1201ELNS1_3gpuE5ELNS1_3repE0EEENS1_36merge_oddeven_config_static_selectorELNS0_4arch9wavefront6targetE1EEEvSJ_.num_vgpr, 0
	.set _ZN7rocprim17ROCPRIM_400000_NS6detail17trampoline_kernelINS0_14default_configENS1_38merge_sort_block_merge_config_selectorIjjEEZZNS1_27merge_sort_block_merge_implIS3_N6thrust23THRUST_200600_302600_NS6detail15normal_iteratorINS8_10device_ptrIjEEEESD_jNS1_19radix_merge_compareILb0ELb1EjNS0_19identity_decomposerEEEEE10hipError_tT0_T1_T2_jT3_P12ihipStream_tbPNSt15iterator_traitsISI_E10value_typeEPNSO_ISJ_E10value_typeEPSK_NS1_7vsmem_tEENKUlT_SI_SJ_SK_E_clIPjSD_S10_SD_EESH_SX_SI_SJ_SK_EUlSX_E1_NS1_11comp_targetILNS1_3genE10ELNS1_11target_archE1201ELNS1_3gpuE5ELNS1_3repE0EEENS1_36merge_oddeven_config_static_selectorELNS0_4arch9wavefront6targetE1EEEvSJ_.num_agpr, 0
	.set _ZN7rocprim17ROCPRIM_400000_NS6detail17trampoline_kernelINS0_14default_configENS1_38merge_sort_block_merge_config_selectorIjjEEZZNS1_27merge_sort_block_merge_implIS3_N6thrust23THRUST_200600_302600_NS6detail15normal_iteratorINS8_10device_ptrIjEEEESD_jNS1_19radix_merge_compareILb0ELb1EjNS0_19identity_decomposerEEEEE10hipError_tT0_T1_T2_jT3_P12ihipStream_tbPNSt15iterator_traitsISI_E10value_typeEPNSO_ISJ_E10value_typeEPSK_NS1_7vsmem_tEENKUlT_SI_SJ_SK_E_clIPjSD_S10_SD_EESH_SX_SI_SJ_SK_EUlSX_E1_NS1_11comp_targetILNS1_3genE10ELNS1_11target_archE1201ELNS1_3gpuE5ELNS1_3repE0EEENS1_36merge_oddeven_config_static_selectorELNS0_4arch9wavefront6targetE1EEEvSJ_.numbered_sgpr, 0
	.set _ZN7rocprim17ROCPRIM_400000_NS6detail17trampoline_kernelINS0_14default_configENS1_38merge_sort_block_merge_config_selectorIjjEEZZNS1_27merge_sort_block_merge_implIS3_N6thrust23THRUST_200600_302600_NS6detail15normal_iteratorINS8_10device_ptrIjEEEESD_jNS1_19radix_merge_compareILb0ELb1EjNS0_19identity_decomposerEEEEE10hipError_tT0_T1_T2_jT3_P12ihipStream_tbPNSt15iterator_traitsISI_E10value_typeEPNSO_ISJ_E10value_typeEPSK_NS1_7vsmem_tEENKUlT_SI_SJ_SK_E_clIPjSD_S10_SD_EESH_SX_SI_SJ_SK_EUlSX_E1_NS1_11comp_targetILNS1_3genE10ELNS1_11target_archE1201ELNS1_3gpuE5ELNS1_3repE0EEENS1_36merge_oddeven_config_static_selectorELNS0_4arch9wavefront6targetE1EEEvSJ_.num_named_barrier, 0
	.set _ZN7rocprim17ROCPRIM_400000_NS6detail17trampoline_kernelINS0_14default_configENS1_38merge_sort_block_merge_config_selectorIjjEEZZNS1_27merge_sort_block_merge_implIS3_N6thrust23THRUST_200600_302600_NS6detail15normal_iteratorINS8_10device_ptrIjEEEESD_jNS1_19radix_merge_compareILb0ELb1EjNS0_19identity_decomposerEEEEE10hipError_tT0_T1_T2_jT3_P12ihipStream_tbPNSt15iterator_traitsISI_E10value_typeEPNSO_ISJ_E10value_typeEPSK_NS1_7vsmem_tEENKUlT_SI_SJ_SK_E_clIPjSD_S10_SD_EESH_SX_SI_SJ_SK_EUlSX_E1_NS1_11comp_targetILNS1_3genE10ELNS1_11target_archE1201ELNS1_3gpuE5ELNS1_3repE0EEENS1_36merge_oddeven_config_static_selectorELNS0_4arch9wavefront6targetE1EEEvSJ_.private_seg_size, 0
	.set _ZN7rocprim17ROCPRIM_400000_NS6detail17trampoline_kernelINS0_14default_configENS1_38merge_sort_block_merge_config_selectorIjjEEZZNS1_27merge_sort_block_merge_implIS3_N6thrust23THRUST_200600_302600_NS6detail15normal_iteratorINS8_10device_ptrIjEEEESD_jNS1_19radix_merge_compareILb0ELb1EjNS0_19identity_decomposerEEEEE10hipError_tT0_T1_T2_jT3_P12ihipStream_tbPNSt15iterator_traitsISI_E10value_typeEPNSO_ISJ_E10value_typeEPSK_NS1_7vsmem_tEENKUlT_SI_SJ_SK_E_clIPjSD_S10_SD_EESH_SX_SI_SJ_SK_EUlSX_E1_NS1_11comp_targetILNS1_3genE10ELNS1_11target_archE1201ELNS1_3gpuE5ELNS1_3repE0EEENS1_36merge_oddeven_config_static_selectorELNS0_4arch9wavefront6targetE1EEEvSJ_.uses_vcc, 0
	.set _ZN7rocprim17ROCPRIM_400000_NS6detail17trampoline_kernelINS0_14default_configENS1_38merge_sort_block_merge_config_selectorIjjEEZZNS1_27merge_sort_block_merge_implIS3_N6thrust23THRUST_200600_302600_NS6detail15normal_iteratorINS8_10device_ptrIjEEEESD_jNS1_19radix_merge_compareILb0ELb1EjNS0_19identity_decomposerEEEEE10hipError_tT0_T1_T2_jT3_P12ihipStream_tbPNSt15iterator_traitsISI_E10value_typeEPNSO_ISJ_E10value_typeEPSK_NS1_7vsmem_tEENKUlT_SI_SJ_SK_E_clIPjSD_S10_SD_EESH_SX_SI_SJ_SK_EUlSX_E1_NS1_11comp_targetILNS1_3genE10ELNS1_11target_archE1201ELNS1_3gpuE5ELNS1_3repE0EEENS1_36merge_oddeven_config_static_selectorELNS0_4arch9wavefront6targetE1EEEvSJ_.uses_flat_scratch, 0
	.set _ZN7rocprim17ROCPRIM_400000_NS6detail17trampoline_kernelINS0_14default_configENS1_38merge_sort_block_merge_config_selectorIjjEEZZNS1_27merge_sort_block_merge_implIS3_N6thrust23THRUST_200600_302600_NS6detail15normal_iteratorINS8_10device_ptrIjEEEESD_jNS1_19radix_merge_compareILb0ELb1EjNS0_19identity_decomposerEEEEE10hipError_tT0_T1_T2_jT3_P12ihipStream_tbPNSt15iterator_traitsISI_E10value_typeEPNSO_ISJ_E10value_typeEPSK_NS1_7vsmem_tEENKUlT_SI_SJ_SK_E_clIPjSD_S10_SD_EESH_SX_SI_SJ_SK_EUlSX_E1_NS1_11comp_targetILNS1_3genE10ELNS1_11target_archE1201ELNS1_3gpuE5ELNS1_3repE0EEENS1_36merge_oddeven_config_static_selectorELNS0_4arch9wavefront6targetE1EEEvSJ_.has_dyn_sized_stack, 0
	.set _ZN7rocprim17ROCPRIM_400000_NS6detail17trampoline_kernelINS0_14default_configENS1_38merge_sort_block_merge_config_selectorIjjEEZZNS1_27merge_sort_block_merge_implIS3_N6thrust23THRUST_200600_302600_NS6detail15normal_iteratorINS8_10device_ptrIjEEEESD_jNS1_19radix_merge_compareILb0ELb1EjNS0_19identity_decomposerEEEEE10hipError_tT0_T1_T2_jT3_P12ihipStream_tbPNSt15iterator_traitsISI_E10value_typeEPNSO_ISJ_E10value_typeEPSK_NS1_7vsmem_tEENKUlT_SI_SJ_SK_E_clIPjSD_S10_SD_EESH_SX_SI_SJ_SK_EUlSX_E1_NS1_11comp_targetILNS1_3genE10ELNS1_11target_archE1201ELNS1_3gpuE5ELNS1_3repE0EEENS1_36merge_oddeven_config_static_selectorELNS0_4arch9wavefront6targetE1EEEvSJ_.has_recursion, 0
	.set _ZN7rocprim17ROCPRIM_400000_NS6detail17trampoline_kernelINS0_14default_configENS1_38merge_sort_block_merge_config_selectorIjjEEZZNS1_27merge_sort_block_merge_implIS3_N6thrust23THRUST_200600_302600_NS6detail15normal_iteratorINS8_10device_ptrIjEEEESD_jNS1_19radix_merge_compareILb0ELb1EjNS0_19identity_decomposerEEEEE10hipError_tT0_T1_T2_jT3_P12ihipStream_tbPNSt15iterator_traitsISI_E10value_typeEPNSO_ISJ_E10value_typeEPSK_NS1_7vsmem_tEENKUlT_SI_SJ_SK_E_clIPjSD_S10_SD_EESH_SX_SI_SJ_SK_EUlSX_E1_NS1_11comp_targetILNS1_3genE10ELNS1_11target_archE1201ELNS1_3gpuE5ELNS1_3repE0EEENS1_36merge_oddeven_config_static_selectorELNS0_4arch9wavefront6targetE1EEEvSJ_.has_indirect_call, 0
	.section	.AMDGPU.csdata,"",@progbits
; Kernel info:
; codeLenInByte = 0
; TotalNumSgprs: 6
; NumVgprs: 0
; NumAgprs: 0
; TotalNumVgprs: 0
; ScratchSize: 0
; MemoryBound: 0
; FloatMode: 240
; IeeeMode: 1
; LDSByteSize: 0 bytes/workgroup (compile time only)
; SGPRBlocks: 0
; VGPRBlocks: 0
; NumSGPRsForWavesPerEU: 6
; NumVGPRsForWavesPerEU: 1
; AccumOffset: 4
; Occupancy: 8
; WaveLimiterHint : 0
; COMPUTE_PGM_RSRC2:SCRATCH_EN: 0
; COMPUTE_PGM_RSRC2:USER_SGPR: 2
; COMPUTE_PGM_RSRC2:TRAP_HANDLER: 0
; COMPUTE_PGM_RSRC2:TGID_X_EN: 1
; COMPUTE_PGM_RSRC2:TGID_Y_EN: 0
; COMPUTE_PGM_RSRC2:TGID_Z_EN: 0
; COMPUTE_PGM_RSRC2:TIDIG_COMP_CNT: 0
; COMPUTE_PGM_RSRC3_GFX90A:ACCUM_OFFSET: 0
; COMPUTE_PGM_RSRC3_GFX90A:TG_SPLIT: 0
	.section	.text._ZN7rocprim17ROCPRIM_400000_NS6detail17trampoline_kernelINS0_14default_configENS1_38merge_sort_block_merge_config_selectorIjjEEZZNS1_27merge_sort_block_merge_implIS3_N6thrust23THRUST_200600_302600_NS6detail15normal_iteratorINS8_10device_ptrIjEEEESD_jNS1_19radix_merge_compareILb0ELb1EjNS0_19identity_decomposerEEEEE10hipError_tT0_T1_T2_jT3_P12ihipStream_tbPNSt15iterator_traitsISI_E10value_typeEPNSO_ISJ_E10value_typeEPSK_NS1_7vsmem_tEENKUlT_SI_SJ_SK_E_clIPjSD_S10_SD_EESH_SX_SI_SJ_SK_EUlSX_E1_NS1_11comp_targetILNS1_3genE5ELNS1_11target_archE942ELNS1_3gpuE9ELNS1_3repE0EEENS1_36merge_oddeven_config_static_selectorELNS0_4arch9wavefront6targetE1EEEvSJ_,"axG",@progbits,_ZN7rocprim17ROCPRIM_400000_NS6detail17trampoline_kernelINS0_14default_configENS1_38merge_sort_block_merge_config_selectorIjjEEZZNS1_27merge_sort_block_merge_implIS3_N6thrust23THRUST_200600_302600_NS6detail15normal_iteratorINS8_10device_ptrIjEEEESD_jNS1_19radix_merge_compareILb0ELb1EjNS0_19identity_decomposerEEEEE10hipError_tT0_T1_T2_jT3_P12ihipStream_tbPNSt15iterator_traitsISI_E10value_typeEPNSO_ISJ_E10value_typeEPSK_NS1_7vsmem_tEENKUlT_SI_SJ_SK_E_clIPjSD_S10_SD_EESH_SX_SI_SJ_SK_EUlSX_E1_NS1_11comp_targetILNS1_3genE5ELNS1_11target_archE942ELNS1_3gpuE9ELNS1_3repE0EEENS1_36merge_oddeven_config_static_selectorELNS0_4arch9wavefront6targetE1EEEvSJ_,comdat
	.protected	_ZN7rocprim17ROCPRIM_400000_NS6detail17trampoline_kernelINS0_14default_configENS1_38merge_sort_block_merge_config_selectorIjjEEZZNS1_27merge_sort_block_merge_implIS3_N6thrust23THRUST_200600_302600_NS6detail15normal_iteratorINS8_10device_ptrIjEEEESD_jNS1_19radix_merge_compareILb0ELb1EjNS0_19identity_decomposerEEEEE10hipError_tT0_T1_T2_jT3_P12ihipStream_tbPNSt15iterator_traitsISI_E10value_typeEPNSO_ISJ_E10value_typeEPSK_NS1_7vsmem_tEENKUlT_SI_SJ_SK_E_clIPjSD_S10_SD_EESH_SX_SI_SJ_SK_EUlSX_E1_NS1_11comp_targetILNS1_3genE5ELNS1_11target_archE942ELNS1_3gpuE9ELNS1_3repE0EEENS1_36merge_oddeven_config_static_selectorELNS0_4arch9wavefront6targetE1EEEvSJ_ ; -- Begin function _ZN7rocprim17ROCPRIM_400000_NS6detail17trampoline_kernelINS0_14default_configENS1_38merge_sort_block_merge_config_selectorIjjEEZZNS1_27merge_sort_block_merge_implIS3_N6thrust23THRUST_200600_302600_NS6detail15normal_iteratorINS8_10device_ptrIjEEEESD_jNS1_19radix_merge_compareILb0ELb1EjNS0_19identity_decomposerEEEEE10hipError_tT0_T1_T2_jT3_P12ihipStream_tbPNSt15iterator_traitsISI_E10value_typeEPNSO_ISJ_E10value_typeEPSK_NS1_7vsmem_tEENKUlT_SI_SJ_SK_E_clIPjSD_S10_SD_EESH_SX_SI_SJ_SK_EUlSX_E1_NS1_11comp_targetILNS1_3genE5ELNS1_11target_archE942ELNS1_3gpuE9ELNS1_3repE0EEENS1_36merge_oddeven_config_static_selectorELNS0_4arch9wavefront6targetE1EEEvSJ_
	.globl	_ZN7rocprim17ROCPRIM_400000_NS6detail17trampoline_kernelINS0_14default_configENS1_38merge_sort_block_merge_config_selectorIjjEEZZNS1_27merge_sort_block_merge_implIS3_N6thrust23THRUST_200600_302600_NS6detail15normal_iteratorINS8_10device_ptrIjEEEESD_jNS1_19radix_merge_compareILb0ELb1EjNS0_19identity_decomposerEEEEE10hipError_tT0_T1_T2_jT3_P12ihipStream_tbPNSt15iterator_traitsISI_E10value_typeEPNSO_ISJ_E10value_typeEPSK_NS1_7vsmem_tEENKUlT_SI_SJ_SK_E_clIPjSD_S10_SD_EESH_SX_SI_SJ_SK_EUlSX_E1_NS1_11comp_targetILNS1_3genE5ELNS1_11target_archE942ELNS1_3gpuE9ELNS1_3repE0EEENS1_36merge_oddeven_config_static_selectorELNS0_4arch9wavefront6targetE1EEEvSJ_
	.p2align	8
	.type	_ZN7rocprim17ROCPRIM_400000_NS6detail17trampoline_kernelINS0_14default_configENS1_38merge_sort_block_merge_config_selectorIjjEEZZNS1_27merge_sort_block_merge_implIS3_N6thrust23THRUST_200600_302600_NS6detail15normal_iteratorINS8_10device_ptrIjEEEESD_jNS1_19radix_merge_compareILb0ELb1EjNS0_19identity_decomposerEEEEE10hipError_tT0_T1_T2_jT3_P12ihipStream_tbPNSt15iterator_traitsISI_E10value_typeEPNSO_ISJ_E10value_typeEPSK_NS1_7vsmem_tEENKUlT_SI_SJ_SK_E_clIPjSD_S10_SD_EESH_SX_SI_SJ_SK_EUlSX_E1_NS1_11comp_targetILNS1_3genE5ELNS1_11target_archE942ELNS1_3gpuE9ELNS1_3repE0EEENS1_36merge_oddeven_config_static_selectorELNS0_4arch9wavefront6targetE1EEEvSJ_,@function
_ZN7rocprim17ROCPRIM_400000_NS6detail17trampoline_kernelINS0_14default_configENS1_38merge_sort_block_merge_config_selectorIjjEEZZNS1_27merge_sort_block_merge_implIS3_N6thrust23THRUST_200600_302600_NS6detail15normal_iteratorINS8_10device_ptrIjEEEESD_jNS1_19radix_merge_compareILb0ELb1EjNS0_19identity_decomposerEEEEE10hipError_tT0_T1_T2_jT3_P12ihipStream_tbPNSt15iterator_traitsISI_E10value_typeEPNSO_ISJ_E10value_typeEPSK_NS1_7vsmem_tEENKUlT_SI_SJ_SK_E_clIPjSD_S10_SD_EESH_SX_SI_SJ_SK_EUlSX_E1_NS1_11comp_targetILNS1_3genE5ELNS1_11target_archE942ELNS1_3gpuE9ELNS1_3repE0EEENS1_36merge_oddeven_config_static_selectorELNS0_4arch9wavefront6targetE1EEEvSJ_: ; @_ZN7rocprim17ROCPRIM_400000_NS6detail17trampoline_kernelINS0_14default_configENS1_38merge_sort_block_merge_config_selectorIjjEEZZNS1_27merge_sort_block_merge_implIS3_N6thrust23THRUST_200600_302600_NS6detail15normal_iteratorINS8_10device_ptrIjEEEESD_jNS1_19radix_merge_compareILb0ELb1EjNS0_19identity_decomposerEEEEE10hipError_tT0_T1_T2_jT3_P12ihipStream_tbPNSt15iterator_traitsISI_E10value_typeEPNSO_ISJ_E10value_typeEPSK_NS1_7vsmem_tEENKUlT_SI_SJ_SK_E_clIPjSD_S10_SD_EESH_SX_SI_SJ_SK_EUlSX_E1_NS1_11comp_targetILNS1_3genE5ELNS1_11target_archE942ELNS1_3gpuE9ELNS1_3repE0EEENS1_36merge_oddeven_config_static_selectorELNS0_4arch9wavefront6targetE1EEEvSJ_
; %bb.0:
	.section	.rodata,"a",@progbits
	.p2align	6, 0x0
	.amdhsa_kernel _ZN7rocprim17ROCPRIM_400000_NS6detail17trampoline_kernelINS0_14default_configENS1_38merge_sort_block_merge_config_selectorIjjEEZZNS1_27merge_sort_block_merge_implIS3_N6thrust23THRUST_200600_302600_NS6detail15normal_iteratorINS8_10device_ptrIjEEEESD_jNS1_19radix_merge_compareILb0ELb1EjNS0_19identity_decomposerEEEEE10hipError_tT0_T1_T2_jT3_P12ihipStream_tbPNSt15iterator_traitsISI_E10value_typeEPNSO_ISJ_E10value_typeEPSK_NS1_7vsmem_tEENKUlT_SI_SJ_SK_E_clIPjSD_S10_SD_EESH_SX_SI_SJ_SK_EUlSX_E1_NS1_11comp_targetILNS1_3genE5ELNS1_11target_archE942ELNS1_3gpuE9ELNS1_3repE0EEENS1_36merge_oddeven_config_static_selectorELNS0_4arch9wavefront6targetE1EEEvSJ_
		.amdhsa_group_segment_fixed_size 0
		.amdhsa_private_segment_fixed_size 0
		.amdhsa_kernarg_size 48
		.amdhsa_user_sgpr_count 2
		.amdhsa_user_sgpr_dispatch_ptr 0
		.amdhsa_user_sgpr_queue_ptr 0
		.amdhsa_user_sgpr_kernarg_segment_ptr 1
		.amdhsa_user_sgpr_dispatch_id 0
		.amdhsa_user_sgpr_kernarg_preload_length 0
		.amdhsa_user_sgpr_kernarg_preload_offset 0
		.amdhsa_user_sgpr_private_segment_size 0
		.amdhsa_uses_dynamic_stack 0
		.amdhsa_enable_private_segment 0
		.amdhsa_system_sgpr_workgroup_id_x 1
		.amdhsa_system_sgpr_workgroup_id_y 0
		.amdhsa_system_sgpr_workgroup_id_z 0
		.amdhsa_system_sgpr_workgroup_info 0
		.amdhsa_system_vgpr_workitem_id 0
		.amdhsa_next_free_vgpr 1
		.amdhsa_next_free_sgpr 0
		.amdhsa_accum_offset 4
		.amdhsa_reserve_vcc 0
		.amdhsa_float_round_mode_32 0
		.amdhsa_float_round_mode_16_64 0
		.amdhsa_float_denorm_mode_32 3
		.amdhsa_float_denorm_mode_16_64 3
		.amdhsa_dx10_clamp 1
		.amdhsa_ieee_mode 1
		.amdhsa_fp16_overflow 0
		.amdhsa_tg_split 0
		.amdhsa_exception_fp_ieee_invalid_op 0
		.amdhsa_exception_fp_denorm_src 0
		.amdhsa_exception_fp_ieee_div_zero 0
		.amdhsa_exception_fp_ieee_overflow 0
		.amdhsa_exception_fp_ieee_underflow 0
		.amdhsa_exception_fp_ieee_inexact 0
		.amdhsa_exception_int_div_zero 0
	.end_amdhsa_kernel
	.section	.text._ZN7rocprim17ROCPRIM_400000_NS6detail17trampoline_kernelINS0_14default_configENS1_38merge_sort_block_merge_config_selectorIjjEEZZNS1_27merge_sort_block_merge_implIS3_N6thrust23THRUST_200600_302600_NS6detail15normal_iteratorINS8_10device_ptrIjEEEESD_jNS1_19radix_merge_compareILb0ELb1EjNS0_19identity_decomposerEEEEE10hipError_tT0_T1_T2_jT3_P12ihipStream_tbPNSt15iterator_traitsISI_E10value_typeEPNSO_ISJ_E10value_typeEPSK_NS1_7vsmem_tEENKUlT_SI_SJ_SK_E_clIPjSD_S10_SD_EESH_SX_SI_SJ_SK_EUlSX_E1_NS1_11comp_targetILNS1_3genE5ELNS1_11target_archE942ELNS1_3gpuE9ELNS1_3repE0EEENS1_36merge_oddeven_config_static_selectorELNS0_4arch9wavefront6targetE1EEEvSJ_,"axG",@progbits,_ZN7rocprim17ROCPRIM_400000_NS6detail17trampoline_kernelINS0_14default_configENS1_38merge_sort_block_merge_config_selectorIjjEEZZNS1_27merge_sort_block_merge_implIS3_N6thrust23THRUST_200600_302600_NS6detail15normal_iteratorINS8_10device_ptrIjEEEESD_jNS1_19radix_merge_compareILb0ELb1EjNS0_19identity_decomposerEEEEE10hipError_tT0_T1_T2_jT3_P12ihipStream_tbPNSt15iterator_traitsISI_E10value_typeEPNSO_ISJ_E10value_typeEPSK_NS1_7vsmem_tEENKUlT_SI_SJ_SK_E_clIPjSD_S10_SD_EESH_SX_SI_SJ_SK_EUlSX_E1_NS1_11comp_targetILNS1_3genE5ELNS1_11target_archE942ELNS1_3gpuE9ELNS1_3repE0EEENS1_36merge_oddeven_config_static_selectorELNS0_4arch9wavefront6targetE1EEEvSJ_,comdat
.Lfunc_end694:
	.size	_ZN7rocprim17ROCPRIM_400000_NS6detail17trampoline_kernelINS0_14default_configENS1_38merge_sort_block_merge_config_selectorIjjEEZZNS1_27merge_sort_block_merge_implIS3_N6thrust23THRUST_200600_302600_NS6detail15normal_iteratorINS8_10device_ptrIjEEEESD_jNS1_19radix_merge_compareILb0ELb1EjNS0_19identity_decomposerEEEEE10hipError_tT0_T1_T2_jT3_P12ihipStream_tbPNSt15iterator_traitsISI_E10value_typeEPNSO_ISJ_E10value_typeEPSK_NS1_7vsmem_tEENKUlT_SI_SJ_SK_E_clIPjSD_S10_SD_EESH_SX_SI_SJ_SK_EUlSX_E1_NS1_11comp_targetILNS1_3genE5ELNS1_11target_archE942ELNS1_3gpuE9ELNS1_3repE0EEENS1_36merge_oddeven_config_static_selectorELNS0_4arch9wavefront6targetE1EEEvSJ_, .Lfunc_end694-_ZN7rocprim17ROCPRIM_400000_NS6detail17trampoline_kernelINS0_14default_configENS1_38merge_sort_block_merge_config_selectorIjjEEZZNS1_27merge_sort_block_merge_implIS3_N6thrust23THRUST_200600_302600_NS6detail15normal_iteratorINS8_10device_ptrIjEEEESD_jNS1_19radix_merge_compareILb0ELb1EjNS0_19identity_decomposerEEEEE10hipError_tT0_T1_T2_jT3_P12ihipStream_tbPNSt15iterator_traitsISI_E10value_typeEPNSO_ISJ_E10value_typeEPSK_NS1_7vsmem_tEENKUlT_SI_SJ_SK_E_clIPjSD_S10_SD_EESH_SX_SI_SJ_SK_EUlSX_E1_NS1_11comp_targetILNS1_3genE5ELNS1_11target_archE942ELNS1_3gpuE9ELNS1_3repE0EEENS1_36merge_oddeven_config_static_selectorELNS0_4arch9wavefront6targetE1EEEvSJ_
                                        ; -- End function
	.set _ZN7rocprim17ROCPRIM_400000_NS6detail17trampoline_kernelINS0_14default_configENS1_38merge_sort_block_merge_config_selectorIjjEEZZNS1_27merge_sort_block_merge_implIS3_N6thrust23THRUST_200600_302600_NS6detail15normal_iteratorINS8_10device_ptrIjEEEESD_jNS1_19radix_merge_compareILb0ELb1EjNS0_19identity_decomposerEEEEE10hipError_tT0_T1_T2_jT3_P12ihipStream_tbPNSt15iterator_traitsISI_E10value_typeEPNSO_ISJ_E10value_typeEPSK_NS1_7vsmem_tEENKUlT_SI_SJ_SK_E_clIPjSD_S10_SD_EESH_SX_SI_SJ_SK_EUlSX_E1_NS1_11comp_targetILNS1_3genE5ELNS1_11target_archE942ELNS1_3gpuE9ELNS1_3repE0EEENS1_36merge_oddeven_config_static_selectorELNS0_4arch9wavefront6targetE1EEEvSJ_.num_vgpr, 0
	.set _ZN7rocprim17ROCPRIM_400000_NS6detail17trampoline_kernelINS0_14default_configENS1_38merge_sort_block_merge_config_selectorIjjEEZZNS1_27merge_sort_block_merge_implIS3_N6thrust23THRUST_200600_302600_NS6detail15normal_iteratorINS8_10device_ptrIjEEEESD_jNS1_19radix_merge_compareILb0ELb1EjNS0_19identity_decomposerEEEEE10hipError_tT0_T1_T2_jT3_P12ihipStream_tbPNSt15iterator_traitsISI_E10value_typeEPNSO_ISJ_E10value_typeEPSK_NS1_7vsmem_tEENKUlT_SI_SJ_SK_E_clIPjSD_S10_SD_EESH_SX_SI_SJ_SK_EUlSX_E1_NS1_11comp_targetILNS1_3genE5ELNS1_11target_archE942ELNS1_3gpuE9ELNS1_3repE0EEENS1_36merge_oddeven_config_static_selectorELNS0_4arch9wavefront6targetE1EEEvSJ_.num_agpr, 0
	.set _ZN7rocprim17ROCPRIM_400000_NS6detail17trampoline_kernelINS0_14default_configENS1_38merge_sort_block_merge_config_selectorIjjEEZZNS1_27merge_sort_block_merge_implIS3_N6thrust23THRUST_200600_302600_NS6detail15normal_iteratorINS8_10device_ptrIjEEEESD_jNS1_19radix_merge_compareILb0ELb1EjNS0_19identity_decomposerEEEEE10hipError_tT0_T1_T2_jT3_P12ihipStream_tbPNSt15iterator_traitsISI_E10value_typeEPNSO_ISJ_E10value_typeEPSK_NS1_7vsmem_tEENKUlT_SI_SJ_SK_E_clIPjSD_S10_SD_EESH_SX_SI_SJ_SK_EUlSX_E1_NS1_11comp_targetILNS1_3genE5ELNS1_11target_archE942ELNS1_3gpuE9ELNS1_3repE0EEENS1_36merge_oddeven_config_static_selectorELNS0_4arch9wavefront6targetE1EEEvSJ_.numbered_sgpr, 0
	.set _ZN7rocprim17ROCPRIM_400000_NS6detail17trampoline_kernelINS0_14default_configENS1_38merge_sort_block_merge_config_selectorIjjEEZZNS1_27merge_sort_block_merge_implIS3_N6thrust23THRUST_200600_302600_NS6detail15normal_iteratorINS8_10device_ptrIjEEEESD_jNS1_19radix_merge_compareILb0ELb1EjNS0_19identity_decomposerEEEEE10hipError_tT0_T1_T2_jT3_P12ihipStream_tbPNSt15iterator_traitsISI_E10value_typeEPNSO_ISJ_E10value_typeEPSK_NS1_7vsmem_tEENKUlT_SI_SJ_SK_E_clIPjSD_S10_SD_EESH_SX_SI_SJ_SK_EUlSX_E1_NS1_11comp_targetILNS1_3genE5ELNS1_11target_archE942ELNS1_3gpuE9ELNS1_3repE0EEENS1_36merge_oddeven_config_static_selectorELNS0_4arch9wavefront6targetE1EEEvSJ_.num_named_barrier, 0
	.set _ZN7rocprim17ROCPRIM_400000_NS6detail17trampoline_kernelINS0_14default_configENS1_38merge_sort_block_merge_config_selectorIjjEEZZNS1_27merge_sort_block_merge_implIS3_N6thrust23THRUST_200600_302600_NS6detail15normal_iteratorINS8_10device_ptrIjEEEESD_jNS1_19radix_merge_compareILb0ELb1EjNS0_19identity_decomposerEEEEE10hipError_tT0_T1_T2_jT3_P12ihipStream_tbPNSt15iterator_traitsISI_E10value_typeEPNSO_ISJ_E10value_typeEPSK_NS1_7vsmem_tEENKUlT_SI_SJ_SK_E_clIPjSD_S10_SD_EESH_SX_SI_SJ_SK_EUlSX_E1_NS1_11comp_targetILNS1_3genE5ELNS1_11target_archE942ELNS1_3gpuE9ELNS1_3repE0EEENS1_36merge_oddeven_config_static_selectorELNS0_4arch9wavefront6targetE1EEEvSJ_.private_seg_size, 0
	.set _ZN7rocprim17ROCPRIM_400000_NS6detail17trampoline_kernelINS0_14default_configENS1_38merge_sort_block_merge_config_selectorIjjEEZZNS1_27merge_sort_block_merge_implIS3_N6thrust23THRUST_200600_302600_NS6detail15normal_iteratorINS8_10device_ptrIjEEEESD_jNS1_19radix_merge_compareILb0ELb1EjNS0_19identity_decomposerEEEEE10hipError_tT0_T1_T2_jT3_P12ihipStream_tbPNSt15iterator_traitsISI_E10value_typeEPNSO_ISJ_E10value_typeEPSK_NS1_7vsmem_tEENKUlT_SI_SJ_SK_E_clIPjSD_S10_SD_EESH_SX_SI_SJ_SK_EUlSX_E1_NS1_11comp_targetILNS1_3genE5ELNS1_11target_archE942ELNS1_3gpuE9ELNS1_3repE0EEENS1_36merge_oddeven_config_static_selectorELNS0_4arch9wavefront6targetE1EEEvSJ_.uses_vcc, 0
	.set _ZN7rocprim17ROCPRIM_400000_NS6detail17trampoline_kernelINS0_14default_configENS1_38merge_sort_block_merge_config_selectorIjjEEZZNS1_27merge_sort_block_merge_implIS3_N6thrust23THRUST_200600_302600_NS6detail15normal_iteratorINS8_10device_ptrIjEEEESD_jNS1_19radix_merge_compareILb0ELb1EjNS0_19identity_decomposerEEEEE10hipError_tT0_T1_T2_jT3_P12ihipStream_tbPNSt15iterator_traitsISI_E10value_typeEPNSO_ISJ_E10value_typeEPSK_NS1_7vsmem_tEENKUlT_SI_SJ_SK_E_clIPjSD_S10_SD_EESH_SX_SI_SJ_SK_EUlSX_E1_NS1_11comp_targetILNS1_3genE5ELNS1_11target_archE942ELNS1_3gpuE9ELNS1_3repE0EEENS1_36merge_oddeven_config_static_selectorELNS0_4arch9wavefront6targetE1EEEvSJ_.uses_flat_scratch, 0
	.set _ZN7rocprim17ROCPRIM_400000_NS6detail17trampoline_kernelINS0_14default_configENS1_38merge_sort_block_merge_config_selectorIjjEEZZNS1_27merge_sort_block_merge_implIS3_N6thrust23THRUST_200600_302600_NS6detail15normal_iteratorINS8_10device_ptrIjEEEESD_jNS1_19radix_merge_compareILb0ELb1EjNS0_19identity_decomposerEEEEE10hipError_tT0_T1_T2_jT3_P12ihipStream_tbPNSt15iterator_traitsISI_E10value_typeEPNSO_ISJ_E10value_typeEPSK_NS1_7vsmem_tEENKUlT_SI_SJ_SK_E_clIPjSD_S10_SD_EESH_SX_SI_SJ_SK_EUlSX_E1_NS1_11comp_targetILNS1_3genE5ELNS1_11target_archE942ELNS1_3gpuE9ELNS1_3repE0EEENS1_36merge_oddeven_config_static_selectorELNS0_4arch9wavefront6targetE1EEEvSJ_.has_dyn_sized_stack, 0
	.set _ZN7rocprim17ROCPRIM_400000_NS6detail17trampoline_kernelINS0_14default_configENS1_38merge_sort_block_merge_config_selectorIjjEEZZNS1_27merge_sort_block_merge_implIS3_N6thrust23THRUST_200600_302600_NS6detail15normal_iteratorINS8_10device_ptrIjEEEESD_jNS1_19radix_merge_compareILb0ELb1EjNS0_19identity_decomposerEEEEE10hipError_tT0_T1_T2_jT3_P12ihipStream_tbPNSt15iterator_traitsISI_E10value_typeEPNSO_ISJ_E10value_typeEPSK_NS1_7vsmem_tEENKUlT_SI_SJ_SK_E_clIPjSD_S10_SD_EESH_SX_SI_SJ_SK_EUlSX_E1_NS1_11comp_targetILNS1_3genE5ELNS1_11target_archE942ELNS1_3gpuE9ELNS1_3repE0EEENS1_36merge_oddeven_config_static_selectorELNS0_4arch9wavefront6targetE1EEEvSJ_.has_recursion, 0
	.set _ZN7rocprim17ROCPRIM_400000_NS6detail17trampoline_kernelINS0_14default_configENS1_38merge_sort_block_merge_config_selectorIjjEEZZNS1_27merge_sort_block_merge_implIS3_N6thrust23THRUST_200600_302600_NS6detail15normal_iteratorINS8_10device_ptrIjEEEESD_jNS1_19radix_merge_compareILb0ELb1EjNS0_19identity_decomposerEEEEE10hipError_tT0_T1_T2_jT3_P12ihipStream_tbPNSt15iterator_traitsISI_E10value_typeEPNSO_ISJ_E10value_typeEPSK_NS1_7vsmem_tEENKUlT_SI_SJ_SK_E_clIPjSD_S10_SD_EESH_SX_SI_SJ_SK_EUlSX_E1_NS1_11comp_targetILNS1_3genE5ELNS1_11target_archE942ELNS1_3gpuE9ELNS1_3repE0EEENS1_36merge_oddeven_config_static_selectorELNS0_4arch9wavefront6targetE1EEEvSJ_.has_indirect_call, 0
	.section	.AMDGPU.csdata,"",@progbits
; Kernel info:
; codeLenInByte = 0
; TotalNumSgprs: 6
; NumVgprs: 0
; NumAgprs: 0
; TotalNumVgprs: 0
; ScratchSize: 0
; MemoryBound: 0
; FloatMode: 240
; IeeeMode: 1
; LDSByteSize: 0 bytes/workgroup (compile time only)
; SGPRBlocks: 0
; VGPRBlocks: 0
; NumSGPRsForWavesPerEU: 6
; NumVGPRsForWavesPerEU: 1
; AccumOffset: 4
; Occupancy: 8
; WaveLimiterHint : 0
; COMPUTE_PGM_RSRC2:SCRATCH_EN: 0
; COMPUTE_PGM_RSRC2:USER_SGPR: 2
; COMPUTE_PGM_RSRC2:TRAP_HANDLER: 0
; COMPUTE_PGM_RSRC2:TGID_X_EN: 1
; COMPUTE_PGM_RSRC2:TGID_Y_EN: 0
; COMPUTE_PGM_RSRC2:TGID_Z_EN: 0
; COMPUTE_PGM_RSRC2:TIDIG_COMP_CNT: 0
; COMPUTE_PGM_RSRC3_GFX90A:ACCUM_OFFSET: 0
; COMPUTE_PGM_RSRC3_GFX90A:TG_SPLIT: 0
	.section	.text._ZN7rocprim17ROCPRIM_400000_NS6detail17trampoline_kernelINS0_14default_configENS1_38merge_sort_block_merge_config_selectorIjjEEZZNS1_27merge_sort_block_merge_implIS3_N6thrust23THRUST_200600_302600_NS6detail15normal_iteratorINS8_10device_ptrIjEEEESD_jNS1_19radix_merge_compareILb0ELb1EjNS0_19identity_decomposerEEEEE10hipError_tT0_T1_T2_jT3_P12ihipStream_tbPNSt15iterator_traitsISI_E10value_typeEPNSO_ISJ_E10value_typeEPSK_NS1_7vsmem_tEENKUlT_SI_SJ_SK_E_clIPjSD_S10_SD_EESH_SX_SI_SJ_SK_EUlSX_E1_NS1_11comp_targetILNS1_3genE4ELNS1_11target_archE910ELNS1_3gpuE8ELNS1_3repE0EEENS1_36merge_oddeven_config_static_selectorELNS0_4arch9wavefront6targetE1EEEvSJ_,"axG",@progbits,_ZN7rocprim17ROCPRIM_400000_NS6detail17trampoline_kernelINS0_14default_configENS1_38merge_sort_block_merge_config_selectorIjjEEZZNS1_27merge_sort_block_merge_implIS3_N6thrust23THRUST_200600_302600_NS6detail15normal_iteratorINS8_10device_ptrIjEEEESD_jNS1_19radix_merge_compareILb0ELb1EjNS0_19identity_decomposerEEEEE10hipError_tT0_T1_T2_jT3_P12ihipStream_tbPNSt15iterator_traitsISI_E10value_typeEPNSO_ISJ_E10value_typeEPSK_NS1_7vsmem_tEENKUlT_SI_SJ_SK_E_clIPjSD_S10_SD_EESH_SX_SI_SJ_SK_EUlSX_E1_NS1_11comp_targetILNS1_3genE4ELNS1_11target_archE910ELNS1_3gpuE8ELNS1_3repE0EEENS1_36merge_oddeven_config_static_selectorELNS0_4arch9wavefront6targetE1EEEvSJ_,comdat
	.protected	_ZN7rocprim17ROCPRIM_400000_NS6detail17trampoline_kernelINS0_14default_configENS1_38merge_sort_block_merge_config_selectorIjjEEZZNS1_27merge_sort_block_merge_implIS3_N6thrust23THRUST_200600_302600_NS6detail15normal_iteratorINS8_10device_ptrIjEEEESD_jNS1_19radix_merge_compareILb0ELb1EjNS0_19identity_decomposerEEEEE10hipError_tT0_T1_T2_jT3_P12ihipStream_tbPNSt15iterator_traitsISI_E10value_typeEPNSO_ISJ_E10value_typeEPSK_NS1_7vsmem_tEENKUlT_SI_SJ_SK_E_clIPjSD_S10_SD_EESH_SX_SI_SJ_SK_EUlSX_E1_NS1_11comp_targetILNS1_3genE4ELNS1_11target_archE910ELNS1_3gpuE8ELNS1_3repE0EEENS1_36merge_oddeven_config_static_selectorELNS0_4arch9wavefront6targetE1EEEvSJ_ ; -- Begin function _ZN7rocprim17ROCPRIM_400000_NS6detail17trampoline_kernelINS0_14default_configENS1_38merge_sort_block_merge_config_selectorIjjEEZZNS1_27merge_sort_block_merge_implIS3_N6thrust23THRUST_200600_302600_NS6detail15normal_iteratorINS8_10device_ptrIjEEEESD_jNS1_19radix_merge_compareILb0ELb1EjNS0_19identity_decomposerEEEEE10hipError_tT0_T1_T2_jT3_P12ihipStream_tbPNSt15iterator_traitsISI_E10value_typeEPNSO_ISJ_E10value_typeEPSK_NS1_7vsmem_tEENKUlT_SI_SJ_SK_E_clIPjSD_S10_SD_EESH_SX_SI_SJ_SK_EUlSX_E1_NS1_11comp_targetILNS1_3genE4ELNS1_11target_archE910ELNS1_3gpuE8ELNS1_3repE0EEENS1_36merge_oddeven_config_static_selectorELNS0_4arch9wavefront6targetE1EEEvSJ_
	.globl	_ZN7rocprim17ROCPRIM_400000_NS6detail17trampoline_kernelINS0_14default_configENS1_38merge_sort_block_merge_config_selectorIjjEEZZNS1_27merge_sort_block_merge_implIS3_N6thrust23THRUST_200600_302600_NS6detail15normal_iteratorINS8_10device_ptrIjEEEESD_jNS1_19radix_merge_compareILb0ELb1EjNS0_19identity_decomposerEEEEE10hipError_tT0_T1_T2_jT3_P12ihipStream_tbPNSt15iterator_traitsISI_E10value_typeEPNSO_ISJ_E10value_typeEPSK_NS1_7vsmem_tEENKUlT_SI_SJ_SK_E_clIPjSD_S10_SD_EESH_SX_SI_SJ_SK_EUlSX_E1_NS1_11comp_targetILNS1_3genE4ELNS1_11target_archE910ELNS1_3gpuE8ELNS1_3repE0EEENS1_36merge_oddeven_config_static_selectorELNS0_4arch9wavefront6targetE1EEEvSJ_
	.p2align	8
	.type	_ZN7rocprim17ROCPRIM_400000_NS6detail17trampoline_kernelINS0_14default_configENS1_38merge_sort_block_merge_config_selectorIjjEEZZNS1_27merge_sort_block_merge_implIS3_N6thrust23THRUST_200600_302600_NS6detail15normal_iteratorINS8_10device_ptrIjEEEESD_jNS1_19radix_merge_compareILb0ELb1EjNS0_19identity_decomposerEEEEE10hipError_tT0_T1_T2_jT3_P12ihipStream_tbPNSt15iterator_traitsISI_E10value_typeEPNSO_ISJ_E10value_typeEPSK_NS1_7vsmem_tEENKUlT_SI_SJ_SK_E_clIPjSD_S10_SD_EESH_SX_SI_SJ_SK_EUlSX_E1_NS1_11comp_targetILNS1_3genE4ELNS1_11target_archE910ELNS1_3gpuE8ELNS1_3repE0EEENS1_36merge_oddeven_config_static_selectorELNS0_4arch9wavefront6targetE1EEEvSJ_,@function
_ZN7rocprim17ROCPRIM_400000_NS6detail17trampoline_kernelINS0_14default_configENS1_38merge_sort_block_merge_config_selectorIjjEEZZNS1_27merge_sort_block_merge_implIS3_N6thrust23THRUST_200600_302600_NS6detail15normal_iteratorINS8_10device_ptrIjEEEESD_jNS1_19radix_merge_compareILb0ELb1EjNS0_19identity_decomposerEEEEE10hipError_tT0_T1_T2_jT3_P12ihipStream_tbPNSt15iterator_traitsISI_E10value_typeEPNSO_ISJ_E10value_typeEPSK_NS1_7vsmem_tEENKUlT_SI_SJ_SK_E_clIPjSD_S10_SD_EESH_SX_SI_SJ_SK_EUlSX_E1_NS1_11comp_targetILNS1_3genE4ELNS1_11target_archE910ELNS1_3gpuE8ELNS1_3repE0EEENS1_36merge_oddeven_config_static_selectorELNS0_4arch9wavefront6targetE1EEEvSJ_: ; @_ZN7rocprim17ROCPRIM_400000_NS6detail17trampoline_kernelINS0_14default_configENS1_38merge_sort_block_merge_config_selectorIjjEEZZNS1_27merge_sort_block_merge_implIS3_N6thrust23THRUST_200600_302600_NS6detail15normal_iteratorINS8_10device_ptrIjEEEESD_jNS1_19radix_merge_compareILb0ELb1EjNS0_19identity_decomposerEEEEE10hipError_tT0_T1_T2_jT3_P12ihipStream_tbPNSt15iterator_traitsISI_E10value_typeEPNSO_ISJ_E10value_typeEPSK_NS1_7vsmem_tEENKUlT_SI_SJ_SK_E_clIPjSD_S10_SD_EESH_SX_SI_SJ_SK_EUlSX_E1_NS1_11comp_targetILNS1_3genE4ELNS1_11target_archE910ELNS1_3gpuE8ELNS1_3repE0EEENS1_36merge_oddeven_config_static_selectorELNS0_4arch9wavefront6targetE1EEEvSJ_
; %bb.0:
	.section	.rodata,"a",@progbits
	.p2align	6, 0x0
	.amdhsa_kernel _ZN7rocprim17ROCPRIM_400000_NS6detail17trampoline_kernelINS0_14default_configENS1_38merge_sort_block_merge_config_selectorIjjEEZZNS1_27merge_sort_block_merge_implIS3_N6thrust23THRUST_200600_302600_NS6detail15normal_iteratorINS8_10device_ptrIjEEEESD_jNS1_19radix_merge_compareILb0ELb1EjNS0_19identity_decomposerEEEEE10hipError_tT0_T1_T2_jT3_P12ihipStream_tbPNSt15iterator_traitsISI_E10value_typeEPNSO_ISJ_E10value_typeEPSK_NS1_7vsmem_tEENKUlT_SI_SJ_SK_E_clIPjSD_S10_SD_EESH_SX_SI_SJ_SK_EUlSX_E1_NS1_11comp_targetILNS1_3genE4ELNS1_11target_archE910ELNS1_3gpuE8ELNS1_3repE0EEENS1_36merge_oddeven_config_static_selectorELNS0_4arch9wavefront6targetE1EEEvSJ_
		.amdhsa_group_segment_fixed_size 0
		.amdhsa_private_segment_fixed_size 0
		.amdhsa_kernarg_size 48
		.amdhsa_user_sgpr_count 2
		.amdhsa_user_sgpr_dispatch_ptr 0
		.amdhsa_user_sgpr_queue_ptr 0
		.amdhsa_user_sgpr_kernarg_segment_ptr 1
		.amdhsa_user_sgpr_dispatch_id 0
		.amdhsa_user_sgpr_kernarg_preload_length 0
		.amdhsa_user_sgpr_kernarg_preload_offset 0
		.amdhsa_user_sgpr_private_segment_size 0
		.amdhsa_uses_dynamic_stack 0
		.amdhsa_enable_private_segment 0
		.amdhsa_system_sgpr_workgroup_id_x 1
		.amdhsa_system_sgpr_workgroup_id_y 0
		.amdhsa_system_sgpr_workgroup_id_z 0
		.amdhsa_system_sgpr_workgroup_info 0
		.amdhsa_system_vgpr_workitem_id 0
		.amdhsa_next_free_vgpr 1
		.amdhsa_next_free_sgpr 0
		.amdhsa_accum_offset 4
		.amdhsa_reserve_vcc 0
		.amdhsa_float_round_mode_32 0
		.amdhsa_float_round_mode_16_64 0
		.amdhsa_float_denorm_mode_32 3
		.amdhsa_float_denorm_mode_16_64 3
		.amdhsa_dx10_clamp 1
		.amdhsa_ieee_mode 1
		.amdhsa_fp16_overflow 0
		.amdhsa_tg_split 0
		.amdhsa_exception_fp_ieee_invalid_op 0
		.amdhsa_exception_fp_denorm_src 0
		.amdhsa_exception_fp_ieee_div_zero 0
		.amdhsa_exception_fp_ieee_overflow 0
		.amdhsa_exception_fp_ieee_underflow 0
		.amdhsa_exception_fp_ieee_inexact 0
		.amdhsa_exception_int_div_zero 0
	.end_amdhsa_kernel
	.section	.text._ZN7rocprim17ROCPRIM_400000_NS6detail17trampoline_kernelINS0_14default_configENS1_38merge_sort_block_merge_config_selectorIjjEEZZNS1_27merge_sort_block_merge_implIS3_N6thrust23THRUST_200600_302600_NS6detail15normal_iteratorINS8_10device_ptrIjEEEESD_jNS1_19radix_merge_compareILb0ELb1EjNS0_19identity_decomposerEEEEE10hipError_tT0_T1_T2_jT3_P12ihipStream_tbPNSt15iterator_traitsISI_E10value_typeEPNSO_ISJ_E10value_typeEPSK_NS1_7vsmem_tEENKUlT_SI_SJ_SK_E_clIPjSD_S10_SD_EESH_SX_SI_SJ_SK_EUlSX_E1_NS1_11comp_targetILNS1_3genE4ELNS1_11target_archE910ELNS1_3gpuE8ELNS1_3repE0EEENS1_36merge_oddeven_config_static_selectorELNS0_4arch9wavefront6targetE1EEEvSJ_,"axG",@progbits,_ZN7rocprim17ROCPRIM_400000_NS6detail17trampoline_kernelINS0_14default_configENS1_38merge_sort_block_merge_config_selectorIjjEEZZNS1_27merge_sort_block_merge_implIS3_N6thrust23THRUST_200600_302600_NS6detail15normal_iteratorINS8_10device_ptrIjEEEESD_jNS1_19radix_merge_compareILb0ELb1EjNS0_19identity_decomposerEEEEE10hipError_tT0_T1_T2_jT3_P12ihipStream_tbPNSt15iterator_traitsISI_E10value_typeEPNSO_ISJ_E10value_typeEPSK_NS1_7vsmem_tEENKUlT_SI_SJ_SK_E_clIPjSD_S10_SD_EESH_SX_SI_SJ_SK_EUlSX_E1_NS1_11comp_targetILNS1_3genE4ELNS1_11target_archE910ELNS1_3gpuE8ELNS1_3repE0EEENS1_36merge_oddeven_config_static_selectorELNS0_4arch9wavefront6targetE1EEEvSJ_,comdat
.Lfunc_end695:
	.size	_ZN7rocprim17ROCPRIM_400000_NS6detail17trampoline_kernelINS0_14default_configENS1_38merge_sort_block_merge_config_selectorIjjEEZZNS1_27merge_sort_block_merge_implIS3_N6thrust23THRUST_200600_302600_NS6detail15normal_iteratorINS8_10device_ptrIjEEEESD_jNS1_19radix_merge_compareILb0ELb1EjNS0_19identity_decomposerEEEEE10hipError_tT0_T1_T2_jT3_P12ihipStream_tbPNSt15iterator_traitsISI_E10value_typeEPNSO_ISJ_E10value_typeEPSK_NS1_7vsmem_tEENKUlT_SI_SJ_SK_E_clIPjSD_S10_SD_EESH_SX_SI_SJ_SK_EUlSX_E1_NS1_11comp_targetILNS1_3genE4ELNS1_11target_archE910ELNS1_3gpuE8ELNS1_3repE0EEENS1_36merge_oddeven_config_static_selectorELNS0_4arch9wavefront6targetE1EEEvSJ_, .Lfunc_end695-_ZN7rocprim17ROCPRIM_400000_NS6detail17trampoline_kernelINS0_14default_configENS1_38merge_sort_block_merge_config_selectorIjjEEZZNS1_27merge_sort_block_merge_implIS3_N6thrust23THRUST_200600_302600_NS6detail15normal_iteratorINS8_10device_ptrIjEEEESD_jNS1_19radix_merge_compareILb0ELb1EjNS0_19identity_decomposerEEEEE10hipError_tT0_T1_T2_jT3_P12ihipStream_tbPNSt15iterator_traitsISI_E10value_typeEPNSO_ISJ_E10value_typeEPSK_NS1_7vsmem_tEENKUlT_SI_SJ_SK_E_clIPjSD_S10_SD_EESH_SX_SI_SJ_SK_EUlSX_E1_NS1_11comp_targetILNS1_3genE4ELNS1_11target_archE910ELNS1_3gpuE8ELNS1_3repE0EEENS1_36merge_oddeven_config_static_selectorELNS0_4arch9wavefront6targetE1EEEvSJ_
                                        ; -- End function
	.set _ZN7rocprim17ROCPRIM_400000_NS6detail17trampoline_kernelINS0_14default_configENS1_38merge_sort_block_merge_config_selectorIjjEEZZNS1_27merge_sort_block_merge_implIS3_N6thrust23THRUST_200600_302600_NS6detail15normal_iteratorINS8_10device_ptrIjEEEESD_jNS1_19radix_merge_compareILb0ELb1EjNS0_19identity_decomposerEEEEE10hipError_tT0_T1_T2_jT3_P12ihipStream_tbPNSt15iterator_traitsISI_E10value_typeEPNSO_ISJ_E10value_typeEPSK_NS1_7vsmem_tEENKUlT_SI_SJ_SK_E_clIPjSD_S10_SD_EESH_SX_SI_SJ_SK_EUlSX_E1_NS1_11comp_targetILNS1_3genE4ELNS1_11target_archE910ELNS1_3gpuE8ELNS1_3repE0EEENS1_36merge_oddeven_config_static_selectorELNS0_4arch9wavefront6targetE1EEEvSJ_.num_vgpr, 0
	.set _ZN7rocprim17ROCPRIM_400000_NS6detail17trampoline_kernelINS0_14default_configENS1_38merge_sort_block_merge_config_selectorIjjEEZZNS1_27merge_sort_block_merge_implIS3_N6thrust23THRUST_200600_302600_NS6detail15normal_iteratorINS8_10device_ptrIjEEEESD_jNS1_19radix_merge_compareILb0ELb1EjNS0_19identity_decomposerEEEEE10hipError_tT0_T1_T2_jT3_P12ihipStream_tbPNSt15iterator_traitsISI_E10value_typeEPNSO_ISJ_E10value_typeEPSK_NS1_7vsmem_tEENKUlT_SI_SJ_SK_E_clIPjSD_S10_SD_EESH_SX_SI_SJ_SK_EUlSX_E1_NS1_11comp_targetILNS1_3genE4ELNS1_11target_archE910ELNS1_3gpuE8ELNS1_3repE0EEENS1_36merge_oddeven_config_static_selectorELNS0_4arch9wavefront6targetE1EEEvSJ_.num_agpr, 0
	.set _ZN7rocprim17ROCPRIM_400000_NS6detail17trampoline_kernelINS0_14default_configENS1_38merge_sort_block_merge_config_selectorIjjEEZZNS1_27merge_sort_block_merge_implIS3_N6thrust23THRUST_200600_302600_NS6detail15normal_iteratorINS8_10device_ptrIjEEEESD_jNS1_19radix_merge_compareILb0ELb1EjNS0_19identity_decomposerEEEEE10hipError_tT0_T1_T2_jT3_P12ihipStream_tbPNSt15iterator_traitsISI_E10value_typeEPNSO_ISJ_E10value_typeEPSK_NS1_7vsmem_tEENKUlT_SI_SJ_SK_E_clIPjSD_S10_SD_EESH_SX_SI_SJ_SK_EUlSX_E1_NS1_11comp_targetILNS1_3genE4ELNS1_11target_archE910ELNS1_3gpuE8ELNS1_3repE0EEENS1_36merge_oddeven_config_static_selectorELNS0_4arch9wavefront6targetE1EEEvSJ_.numbered_sgpr, 0
	.set _ZN7rocprim17ROCPRIM_400000_NS6detail17trampoline_kernelINS0_14default_configENS1_38merge_sort_block_merge_config_selectorIjjEEZZNS1_27merge_sort_block_merge_implIS3_N6thrust23THRUST_200600_302600_NS6detail15normal_iteratorINS8_10device_ptrIjEEEESD_jNS1_19radix_merge_compareILb0ELb1EjNS0_19identity_decomposerEEEEE10hipError_tT0_T1_T2_jT3_P12ihipStream_tbPNSt15iterator_traitsISI_E10value_typeEPNSO_ISJ_E10value_typeEPSK_NS1_7vsmem_tEENKUlT_SI_SJ_SK_E_clIPjSD_S10_SD_EESH_SX_SI_SJ_SK_EUlSX_E1_NS1_11comp_targetILNS1_3genE4ELNS1_11target_archE910ELNS1_3gpuE8ELNS1_3repE0EEENS1_36merge_oddeven_config_static_selectorELNS0_4arch9wavefront6targetE1EEEvSJ_.num_named_barrier, 0
	.set _ZN7rocprim17ROCPRIM_400000_NS6detail17trampoline_kernelINS0_14default_configENS1_38merge_sort_block_merge_config_selectorIjjEEZZNS1_27merge_sort_block_merge_implIS3_N6thrust23THRUST_200600_302600_NS6detail15normal_iteratorINS8_10device_ptrIjEEEESD_jNS1_19radix_merge_compareILb0ELb1EjNS0_19identity_decomposerEEEEE10hipError_tT0_T1_T2_jT3_P12ihipStream_tbPNSt15iterator_traitsISI_E10value_typeEPNSO_ISJ_E10value_typeEPSK_NS1_7vsmem_tEENKUlT_SI_SJ_SK_E_clIPjSD_S10_SD_EESH_SX_SI_SJ_SK_EUlSX_E1_NS1_11comp_targetILNS1_3genE4ELNS1_11target_archE910ELNS1_3gpuE8ELNS1_3repE0EEENS1_36merge_oddeven_config_static_selectorELNS0_4arch9wavefront6targetE1EEEvSJ_.private_seg_size, 0
	.set _ZN7rocprim17ROCPRIM_400000_NS6detail17trampoline_kernelINS0_14default_configENS1_38merge_sort_block_merge_config_selectorIjjEEZZNS1_27merge_sort_block_merge_implIS3_N6thrust23THRUST_200600_302600_NS6detail15normal_iteratorINS8_10device_ptrIjEEEESD_jNS1_19radix_merge_compareILb0ELb1EjNS0_19identity_decomposerEEEEE10hipError_tT0_T1_T2_jT3_P12ihipStream_tbPNSt15iterator_traitsISI_E10value_typeEPNSO_ISJ_E10value_typeEPSK_NS1_7vsmem_tEENKUlT_SI_SJ_SK_E_clIPjSD_S10_SD_EESH_SX_SI_SJ_SK_EUlSX_E1_NS1_11comp_targetILNS1_3genE4ELNS1_11target_archE910ELNS1_3gpuE8ELNS1_3repE0EEENS1_36merge_oddeven_config_static_selectorELNS0_4arch9wavefront6targetE1EEEvSJ_.uses_vcc, 0
	.set _ZN7rocprim17ROCPRIM_400000_NS6detail17trampoline_kernelINS0_14default_configENS1_38merge_sort_block_merge_config_selectorIjjEEZZNS1_27merge_sort_block_merge_implIS3_N6thrust23THRUST_200600_302600_NS6detail15normal_iteratorINS8_10device_ptrIjEEEESD_jNS1_19radix_merge_compareILb0ELb1EjNS0_19identity_decomposerEEEEE10hipError_tT0_T1_T2_jT3_P12ihipStream_tbPNSt15iterator_traitsISI_E10value_typeEPNSO_ISJ_E10value_typeEPSK_NS1_7vsmem_tEENKUlT_SI_SJ_SK_E_clIPjSD_S10_SD_EESH_SX_SI_SJ_SK_EUlSX_E1_NS1_11comp_targetILNS1_3genE4ELNS1_11target_archE910ELNS1_3gpuE8ELNS1_3repE0EEENS1_36merge_oddeven_config_static_selectorELNS0_4arch9wavefront6targetE1EEEvSJ_.uses_flat_scratch, 0
	.set _ZN7rocprim17ROCPRIM_400000_NS6detail17trampoline_kernelINS0_14default_configENS1_38merge_sort_block_merge_config_selectorIjjEEZZNS1_27merge_sort_block_merge_implIS3_N6thrust23THRUST_200600_302600_NS6detail15normal_iteratorINS8_10device_ptrIjEEEESD_jNS1_19radix_merge_compareILb0ELb1EjNS0_19identity_decomposerEEEEE10hipError_tT0_T1_T2_jT3_P12ihipStream_tbPNSt15iterator_traitsISI_E10value_typeEPNSO_ISJ_E10value_typeEPSK_NS1_7vsmem_tEENKUlT_SI_SJ_SK_E_clIPjSD_S10_SD_EESH_SX_SI_SJ_SK_EUlSX_E1_NS1_11comp_targetILNS1_3genE4ELNS1_11target_archE910ELNS1_3gpuE8ELNS1_3repE0EEENS1_36merge_oddeven_config_static_selectorELNS0_4arch9wavefront6targetE1EEEvSJ_.has_dyn_sized_stack, 0
	.set _ZN7rocprim17ROCPRIM_400000_NS6detail17trampoline_kernelINS0_14default_configENS1_38merge_sort_block_merge_config_selectorIjjEEZZNS1_27merge_sort_block_merge_implIS3_N6thrust23THRUST_200600_302600_NS6detail15normal_iteratorINS8_10device_ptrIjEEEESD_jNS1_19radix_merge_compareILb0ELb1EjNS0_19identity_decomposerEEEEE10hipError_tT0_T1_T2_jT3_P12ihipStream_tbPNSt15iterator_traitsISI_E10value_typeEPNSO_ISJ_E10value_typeEPSK_NS1_7vsmem_tEENKUlT_SI_SJ_SK_E_clIPjSD_S10_SD_EESH_SX_SI_SJ_SK_EUlSX_E1_NS1_11comp_targetILNS1_3genE4ELNS1_11target_archE910ELNS1_3gpuE8ELNS1_3repE0EEENS1_36merge_oddeven_config_static_selectorELNS0_4arch9wavefront6targetE1EEEvSJ_.has_recursion, 0
	.set _ZN7rocprim17ROCPRIM_400000_NS6detail17trampoline_kernelINS0_14default_configENS1_38merge_sort_block_merge_config_selectorIjjEEZZNS1_27merge_sort_block_merge_implIS3_N6thrust23THRUST_200600_302600_NS6detail15normal_iteratorINS8_10device_ptrIjEEEESD_jNS1_19radix_merge_compareILb0ELb1EjNS0_19identity_decomposerEEEEE10hipError_tT0_T1_T2_jT3_P12ihipStream_tbPNSt15iterator_traitsISI_E10value_typeEPNSO_ISJ_E10value_typeEPSK_NS1_7vsmem_tEENKUlT_SI_SJ_SK_E_clIPjSD_S10_SD_EESH_SX_SI_SJ_SK_EUlSX_E1_NS1_11comp_targetILNS1_3genE4ELNS1_11target_archE910ELNS1_3gpuE8ELNS1_3repE0EEENS1_36merge_oddeven_config_static_selectorELNS0_4arch9wavefront6targetE1EEEvSJ_.has_indirect_call, 0
	.section	.AMDGPU.csdata,"",@progbits
; Kernel info:
; codeLenInByte = 0
; TotalNumSgprs: 6
; NumVgprs: 0
; NumAgprs: 0
; TotalNumVgprs: 0
; ScratchSize: 0
; MemoryBound: 0
; FloatMode: 240
; IeeeMode: 1
; LDSByteSize: 0 bytes/workgroup (compile time only)
; SGPRBlocks: 0
; VGPRBlocks: 0
; NumSGPRsForWavesPerEU: 6
; NumVGPRsForWavesPerEU: 1
; AccumOffset: 4
; Occupancy: 8
; WaveLimiterHint : 0
; COMPUTE_PGM_RSRC2:SCRATCH_EN: 0
; COMPUTE_PGM_RSRC2:USER_SGPR: 2
; COMPUTE_PGM_RSRC2:TRAP_HANDLER: 0
; COMPUTE_PGM_RSRC2:TGID_X_EN: 1
; COMPUTE_PGM_RSRC2:TGID_Y_EN: 0
; COMPUTE_PGM_RSRC2:TGID_Z_EN: 0
; COMPUTE_PGM_RSRC2:TIDIG_COMP_CNT: 0
; COMPUTE_PGM_RSRC3_GFX90A:ACCUM_OFFSET: 0
; COMPUTE_PGM_RSRC3_GFX90A:TG_SPLIT: 0
	.section	.text._ZN7rocprim17ROCPRIM_400000_NS6detail17trampoline_kernelINS0_14default_configENS1_38merge_sort_block_merge_config_selectorIjjEEZZNS1_27merge_sort_block_merge_implIS3_N6thrust23THRUST_200600_302600_NS6detail15normal_iteratorINS8_10device_ptrIjEEEESD_jNS1_19radix_merge_compareILb0ELb1EjNS0_19identity_decomposerEEEEE10hipError_tT0_T1_T2_jT3_P12ihipStream_tbPNSt15iterator_traitsISI_E10value_typeEPNSO_ISJ_E10value_typeEPSK_NS1_7vsmem_tEENKUlT_SI_SJ_SK_E_clIPjSD_S10_SD_EESH_SX_SI_SJ_SK_EUlSX_E1_NS1_11comp_targetILNS1_3genE3ELNS1_11target_archE908ELNS1_3gpuE7ELNS1_3repE0EEENS1_36merge_oddeven_config_static_selectorELNS0_4arch9wavefront6targetE1EEEvSJ_,"axG",@progbits,_ZN7rocprim17ROCPRIM_400000_NS6detail17trampoline_kernelINS0_14default_configENS1_38merge_sort_block_merge_config_selectorIjjEEZZNS1_27merge_sort_block_merge_implIS3_N6thrust23THRUST_200600_302600_NS6detail15normal_iteratorINS8_10device_ptrIjEEEESD_jNS1_19radix_merge_compareILb0ELb1EjNS0_19identity_decomposerEEEEE10hipError_tT0_T1_T2_jT3_P12ihipStream_tbPNSt15iterator_traitsISI_E10value_typeEPNSO_ISJ_E10value_typeEPSK_NS1_7vsmem_tEENKUlT_SI_SJ_SK_E_clIPjSD_S10_SD_EESH_SX_SI_SJ_SK_EUlSX_E1_NS1_11comp_targetILNS1_3genE3ELNS1_11target_archE908ELNS1_3gpuE7ELNS1_3repE0EEENS1_36merge_oddeven_config_static_selectorELNS0_4arch9wavefront6targetE1EEEvSJ_,comdat
	.protected	_ZN7rocprim17ROCPRIM_400000_NS6detail17trampoline_kernelINS0_14default_configENS1_38merge_sort_block_merge_config_selectorIjjEEZZNS1_27merge_sort_block_merge_implIS3_N6thrust23THRUST_200600_302600_NS6detail15normal_iteratorINS8_10device_ptrIjEEEESD_jNS1_19radix_merge_compareILb0ELb1EjNS0_19identity_decomposerEEEEE10hipError_tT0_T1_T2_jT3_P12ihipStream_tbPNSt15iterator_traitsISI_E10value_typeEPNSO_ISJ_E10value_typeEPSK_NS1_7vsmem_tEENKUlT_SI_SJ_SK_E_clIPjSD_S10_SD_EESH_SX_SI_SJ_SK_EUlSX_E1_NS1_11comp_targetILNS1_3genE3ELNS1_11target_archE908ELNS1_3gpuE7ELNS1_3repE0EEENS1_36merge_oddeven_config_static_selectorELNS0_4arch9wavefront6targetE1EEEvSJ_ ; -- Begin function _ZN7rocprim17ROCPRIM_400000_NS6detail17trampoline_kernelINS0_14default_configENS1_38merge_sort_block_merge_config_selectorIjjEEZZNS1_27merge_sort_block_merge_implIS3_N6thrust23THRUST_200600_302600_NS6detail15normal_iteratorINS8_10device_ptrIjEEEESD_jNS1_19radix_merge_compareILb0ELb1EjNS0_19identity_decomposerEEEEE10hipError_tT0_T1_T2_jT3_P12ihipStream_tbPNSt15iterator_traitsISI_E10value_typeEPNSO_ISJ_E10value_typeEPSK_NS1_7vsmem_tEENKUlT_SI_SJ_SK_E_clIPjSD_S10_SD_EESH_SX_SI_SJ_SK_EUlSX_E1_NS1_11comp_targetILNS1_3genE3ELNS1_11target_archE908ELNS1_3gpuE7ELNS1_3repE0EEENS1_36merge_oddeven_config_static_selectorELNS0_4arch9wavefront6targetE1EEEvSJ_
	.globl	_ZN7rocprim17ROCPRIM_400000_NS6detail17trampoline_kernelINS0_14default_configENS1_38merge_sort_block_merge_config_selectorIjjEEZZNS1_27merge_sort_block_merge_implIS3_N6thrust23THRUST_200600_302600_NS6detail15normal_iteratorINS8_10device_ptrIjEEEESD_jNS1_19radix_merge_compareILb0ELb1EjNS0_19identity_decomposerEEEEE10hipError_tT0_T1_T2_jT3_P12ihipStream_tbPNSt15iterator_traitsISI_E10value_typeEPNSO_ISJ_E10value_typeEPSK_NS1_7vsmem_tEENKUlT_SI_SJ_SK_E_clIPjSD_S10_SD_EESH_SX_SI_SJ_SK_EUlSX_E1_NS1_11comp_targetILNS1_3genE3ELNS1_11target_archE908ELNS1_3gpuE7ELNS1_3repE0EEENS1_36merge_oddeven_config_static_selectorELNS0_4arch9wavefront6targetE1EEEvSJ_
	.p2align	8
	.type	_ZN7rocprim17ROCPRIM_400000_NS6detail17trampoline_kernelINS0_14default_configENS1_38merge_sort_block_merge_config_selectorIjjEEZZNS1_27merge_sort_block_merge_implIS3_N6thrust23THRUST_200600_302600_NS6detail15normal_iteratorINS8_10device_ptrIjEEEESD_jNS1_19radix_merge_compareILb0ELb1EjNS0_19identity_decomposerEEEEE10hipError_tT0_T1_T2_jT3_P12ihipStream_tbPNSt15iterator_traitsISI_E10value_typeEPNSO_ISJ_E10value_typeEPSK_NS1_7vsmem_tEENKUlT_SI_SJ_SK_E_clIPjSD_S10_SD_EESH_SX_SI_SJ_SK_EUlSX_E1_NS1_11comp_targetILNS1_3genE3ELNS1_11target_archE908ELNS1_3gpuE7ELNS1_3repE0EEENS1_36merge_oddeven_config_static_selectorELNS0_4arch9wavefront6targetE1EEEvSJ_,@function
_ZN7rocprim17ROCPRIM_400000_NS6detail17trampoline_kernelINS0_14default_configENS1_38merge_sort_block_merge_config_selectorIjjEEZZNS1_27merge_sort_block_merge_implIS3_N6thrust23THRUST_200600_302600_NS6detail15normal_iteratorINS8_10device_ptrIjEEEESD_jNS1_19radix_merge_compareILb0ELb1EjNS0_19identity_decomposerEEEEE10hipError_tT0_T1_T2_jT3_P12ihipStream_tbPNSt15iterator_traitsISI_E10value_typeEPNSO_ISJ_E10value_typeEPSK_NS1_7vsmem_tEENKUlT_SI_SJ_SK_E_clIPjSD_S10_SD_EESH_SX_SI_SJ_SK_EUlSX_E1_NS1_11comp_targetILNS1_3genE3ELNS1_11target_archE908ELNS1_3gpuE7ELNS1_3repE0EEENS1_36merge_oddeven_config_static_selectorELNS0_4arch9wavefront6targetE1EEEvSJ_: ; @_ZN7rocprim17ROCPRIM_400000_NS6detail17trampoline_kernelINS0_14default_configENS1_38merge_sort_block_merge_config_selectorIjjEEZZNS1_27merge_sort_block_merge_implIS3_N6thrust23THRUST_200600_302600_NS6detail15normal_iteratorINS8_10device_ptrIjEEEESD_jNS1_19radix_merge_compareILb0ELb1EjNS0_19identity_decomposerEEEEE10hipError_tT0_T1_T2_jT3_P12ihipStream_tbPNSt15iterator_traitsISI_E10value_typeEPNSO_ISJ_E10value_typeEPSK_NS1_7vsmem_tEENKUlT_SI_SJ_SK_E_clIPjSD_S10_SD_EESH_SX_SI_SJ_SK_EUlSX_E1_NS1_11comp_targetILNS1_3genE3ELNS1_11target_archE908ELNS1_3gpuE7ELNS1_3repE0EEENS1_36merge_oddeven_config_static_selectorELNS0_4arch9wavefront6targetE1EEEvSJ_
; %bb.0:
	.section	.rodata,"a",@progbits
	.p2align	6, 0x0
	.amdhsa_kernel _ZN7rocprim17ROCPRIM_400000_NS6detail17trampoline_kernelINS0_14default_configENS1_38merge_sort_block_merge_config_selectorIjjEEZZNS1_27merge_sort_block_merge_implIS3_N6thrust23THRUST_200600_302600_NS6detail15normal_iteratorINS8_10device_ptrIjEEEESD_jNS1_19radix_merge_compareILb0ELb1EjNS0_19identity_decomposerEEEEE10hipError_tT0_T1_T2_jT3_P12ihipStream_tbPNSt15iterator_traitsISI_E10value_typeEPNSO_ISJ_E10value_typeEPSK_NS1_7vsmem_tEENKUlT_SI_SJ_SK_E_clIPjSD_S10_SD_EESH_SX_SI_SJ_SK_EUlSX_E1_NS1_11comp_targetILNS1_3genE3ELNS1_11target_archE908ELNS1_3gpuE7ELNS1_3repE0EEENS1_36merge_oddeven_config_static_selectorELNS0_4arch9wavefront6targetE1EEEvSJ_
		.amdhsa_group_segment_fixed_size 0
		.amdhsa_private_segment_fixed_size 0
		.amdhsa_kernarg_size 48
		.amdhsa_user_sgpr_count 2
		.amdhsa_user_sgpr_dispatch_ptr 0
		.amdhsa_user_sgpr_queue_ptr 0
		.amdhsa_user_sgpr_kernarg_segment_ptr 1
		.amdhsa_user_sgpr_dispatch_id 0
		.amdhsa_user_sgpr_kernarg_preload_length 0
		.amdhsa_user_sgpr_kernarg_preload_offset 0
		.amdhsa_user_sgpr_private_segment_size 0
		.amdhsa_uses_dynamic_stack 0
		.amdhsa_enable_private_segment 0
		.amdhsa_system_sgpr_workgroup_id_x 1
		.amdhsa_system_sgpr_workgroup_id_y 0
		.amdhsa_system_sgpr_workgroup_id_z 0
		.amdhsa_system_sgpr_workgroup_info 0
		.amdhsa_system_vgpr_workitem_id 0
		.amdhsa_next_free_vgpr 1
		.amdhsa_next_free_sgpr 0
		.amdhsa_accum_offset 4
		.amdhsa_reserve_vcc 0
		.amdhsa_float_round_mode_32 0
		.amdhsa_float_round_mode_16_64 0
		.amdhsa_float_denorm_mode_32 3
		.amdhsa_float_denorm_mode_16_64 3
		.amdhsa_dx10_clamp 1
		.amdhsa_ieee_mode 1
		.amdhsa_fp16_overflow 0
		.amdhsa_tg_split 0
		.amdhsa_exception_fp_ieee_invalid_op 0
		.amdhsa_exception_fp_denorm_src 0
		.amdhsa_exception_fp_ieee_div_zero 0
		.amdhsa_exception_fp_ieee_overflow 0
		.amdhsa_exception_fp_ieee_underflow 0
		.amdhsa_exception_fp_ieee_inexact 0
		.amdhsa_exception_int_div_zero 0
	.end_amdhsa_kernel
	.section	.text._ZN7rocprim17ROCPRIM_400000_NS6detail17trampoline_kernelINS0_14default_configENS1_38merge_sort_block_merge_config_selectorIjjEEZZNS1_27merge_sort_block_merge_implIS3_N6thrust23THRUST_200600_302600_NS6detail15normal_iteratorINS8_10device_ptrIjEEEESD_jNS1_19radix_merge_compareILb0ELb1EjNS0_19identity_decomposerEEEEE10hipError_tT0_T1_T2_jT3_P12ihipStream_tbPNSt15iterator_traitsISI_E10value_typeEPNSO_ISJ_E10value_typeEPSK_NS1_7vsmem_tEENKUlT_SI_SJ_SK_E_clIPjSD_S10_SD_EESH_SX_SI_SJ_SK_EUlSX_E1_NS1_11comp_targetILNS1_3genE3ELNS1_11target_archE908ELNS1_3gpuE7ELNS1_3repE0EEENS1_36merge_oddeven_config_static_selectorELNS0_4arch9wavefront6targetE1EEEvSJ_,"axG",@progbits,_ZN7rocprim17ROCPRIM_400000_NS6detail17trampoline_kernelINS0_14default_configENS1_38merge_sort_block_merge_config_selectorIjjEEZZNS1_27merge_sort_block_merge_implIS3_N6thrust23THRUST_200600_302600_NS6detail15normal_iteratorINS8_10device_ptrIjEEEESD_jNS1_19radix_merge_compareILb0ELb1EjNS0_19identity_decomposerEEEEE10hipError_tT0_T1_T2_jT3_P12ihipStream_tbPNSt15iterator_traitsISI_E10value_typeEPNSO_ISJ_E10value_typeEPSK_NS1_7vsmem_tEENKUlT_SI_SJ_SK_E_clIPjSD_S10_SD_EESH_SX_SI_SJ_SK_EUlSX_E1_NS1_11comp_targetILNS1_3genE3ELNS1_11target_archE908ELNS1_3gpuE7ELNS1_3repE0EEENS1_36merge_oddeven_config_static_selectorELNS0_4arch9wavefront6targetE1EEEvSJ_,comdat
.Lfunc_end696:
	.size	_ZN7rocprim17ROCPRIM_400000_NS6detail17trampoline_kernelINS0_14default_configENS1_38merge_sort_block_merge_config_selectorIjjEEZZNS1_27merge_sort_block_merge_implIS3_N6thrust23THRUST_200600_302600_NS6detail15normal_iteratorINS8_10device_ptrIjEEEESD_jNS1_19radix_merge_compareILb0ELb1EjNS0_19identity_decomposerEEEEE10hipError_tT0_T1_T2_jT3_P12ihipStream_tbPNSt15iterator_traitsISI_E10value_typeEPNSO_ISJ_E10value_typeEPSK_NS1_7vsmem_tEENKUlT_SI_SJ_SK_E_clIPjSD_S10_SD_EESH_SX_SI_SJ_SK_EUlSX_E1_NS1_11comp_targetILNS1_3genE3ELNS1_11target_archE908ELNS1_3gpuE7ELNS1_3repE0EEENS1_36merge_oddeven_config_static_selectorELNS0_4arch9wavefront6targetE1EEEvSJ_, .Lfunc_end696-_ZN7rocprim17ROCPRIM_400000_NS6detail17trampoline_kernelINS0_14default_configENS1_38merge_sort_block_merge_config_selectorIjjEEZZNS1_27merge_sort_block_merge_implIS3_N6thrust23THRUST_200600_302600_NS6detail15normal_iteratorINS8_10device_ptrIjEEEESD_jNS1_19radix_merge_compareILb0ELb1EjNS0_19identity_decomposerEEEEE10hipError_tT0_T1_T2_jT3_P12ihipStream_tbPNSt15iterator_traitsISI_E10value_typeEPNSO_ISJ_E10value_typeEPSK_NS1_7vsmem_tEENKUlT_SI_SJ_SK_E_clIPjSD_S10_SD_EESH_SX_SI_SJ_SK_EUlSX_E1_NS1_11comp_targetILNS1_3genE3ELNS1_11target_archE908ELNS1_3gpuE7ELNS1_3repE0EEENS1_36merge_oddeven_config_static_selectorELNS0_4arch9wavefront6targetE1EEEvSJ_
                                        ; -- End function
	.set _ZN7rocprim17ROCPRIM_400000_NS6detail17trampoline_kernelINS0_14default_configENS1_38merge_sort_block_merge_config_selectorIjjEEZZNS1_27merge_sort_block_merge_implIS3_N6thrust23THRUST_200600_302600_NS6detail15normal_iteratorINS8_10device_ptrIjEEEESD_jNS1_19radix_merge_compareILb0ELb1EjNS0_19identity_decomposerEEEEE10hipError_tT0_T1_T2_jT3_P12ihipStream_tbPNSt15iterator_traitsISI_E10value_typeEPNSO_ISJ_E10value_typeEPSK_NS1_7vsmem_tEENKUlT_SI_SJ_SK_E_clIPjSD_S10_SD_EESH_SX_SI_SJ_SK_EUlSX_E1_NS1_11comp_targetILNS1_3genE3ELNS1_11target_archE908ELNS1_3gpuE7ELNS1_3repE0EEENS1_36merge_oddeven_config_static_selectorELNS0_4arch9wavefront6targetE1EEEvSJ_.num_vgpr, 0
	.set _ZN7rocprim17ROCPRIM_400000_NS6detail17trampoline_kernelINS0_14default_configENS1_38merge_sort_block_merge_config_selectorIjjEEZZNS1_27merge_sort_block_merge_implIS3_N6thrust23THRUST_200600_302600_NS6detail15normal_iteratorINS8_10device_ptrIjEEEESD_jNS1_19radix_merge_compareILb0ELb1EjNS0_19identity_decomposerEEEEE10hipError_tT0_T1_T2_jT3_P12ihipStream_tbPNSt15iterator_traitsISI_E10value_typeEPNSO_ISJ_E10value_typeEPSK_NS1_7vsmem_tEENKUlT_SI_SJ_SK_E_clIPjSD_S10_SD_EESH_SX_SI_SJ_SK_EUlSX_E1_NS1_11comp_targetILNS1_3genE3ELNS1_11target_archE908ELNS1_3gpuE7ELNS1_3repE0EEENS1_36merge_oddeven_config_static_selectorELNS0_4arch9wavefront6targetE1EEEvSJ_.num_agpr, 0
	.set _ZN7rocprim17ROCPRIM_400000_NS6detail17trampoline_kernelINS0_14default_configENS1_38merge_sort_block_merge_config_selectorIjjEEZZNS1_27merge_sort_block_merge_implIS3_N6thrust23THRUST_200600_302600_NS6detail15normal_iteratorINS8_10device_ptrIjEEEESD_jNS1_19radix_merge_compareILb0ELb1EjNS0_19identity_decomposerEEEEE10hipError_tT0_T1_T2_jT3_P12ihipStream_tbPNSt15iterator_traitsISI_E10value_typeEPNSO_ISJ_E10value_typeEPSK_NS1_7vsmem_tEENKUlT_SI_SJ_SK_E_clIPjSD_S10_SD_EESH_SX_SI_SJ_SK_EUlSX_E1_NS1_11comp_targetILNS1_3genE3ELNS1_11target_archE908ELNS1_3gpuE7ELNS1_3repE0EEENS1_36merge_oddeven_config_static_selectorELNS0_4arch9wavefront6targetE1EEEvSJ_.numbered_sgpr, 0
	.set _ZN7rocprim17ROCPRIM_400000_NS6detail17trampoline_kernelINS0_14default_configENS1_38merge_sort_block_merge_config_selectorIjjEEZZNS1_27merge_sort_block_merge_implIS3_N6thrust23THRUST_200600_302600_NS6detail15normal_iteratorINS8_10device_ptrIjEEEESD_jNS1_19radix_merge_compareILb0ELb1EjNS0_19identity_decomposerEEEEE10hipError_tT0_T1_T2_jT3_P12ihipStream_tbPNSt15iterator_traitsISI_E10value_typeEPNSO_ISJ_E10value_typeEPSK_NS1_7vsmem_tEENKUlT_SI_SJ_SK_E_clIPjSD_S10_SD_EESH_SX_SI_SJ_SK_EUlSX_E1_NS1_11comp_targetILNS1_3genE3ELNS1_11target_archE908ELNS1_3gpuE7ELNS1_3repE0EEENS1_36merge_oddeven_config_static_selectorELNS0_4arch9wavefront6targetE1EEEvSJ_.num_named_barrier, 0
	.set _ZN7rocprim17ROCPRIM_400000_NS6detail17trampoline_kernelINS0_14default_configENS1_38merge_sort_block_merge_config_selectorIjjEEZZNS1_27merge_sort_block_merge_implIS3_N6thrust23THRUST_200600_302600_NS6detail15normal_iteratorINS8_10device_ptrIjEEEESD_jNS1_19radix_merge_compareILb0ELb1EjNS0_19identity_decomposerEEEEE10hipError_tT0_T1_T2_jT3_P12ihipStream_tbPNSt15iterator_traitsISI_E10value_typeEPNSO_ISJ_E10value_typeEPSK_NS1_7vsmem_tEENKUlT_SI_SJ_SK_E_clIPjSD_S10_SD_EESH_SX_SI_SJ_SK_EUlSX_E1_NS1_11comp_targetILNS1_3genE3ELNS1_11target_archE908ELNS1_3gpuE7ELNS1_3repE0EEENS1_36merge_oddeven_config_static_selectorELNS0_4arch9wavefront6targetE1EEEvSJ_.private_seg_size, 0
	.set _ZN7rocprim17ROCPRIM_400000_NS6detail17trampoline_kernelINS0_14default_configENS1_38merge_sort_block_merge_config_selectorIjjEEZZNS1_27merge_sort_block_merge_implIS3_N6thrust23THRUST_200600_302600_NS6detail15normal_iteratorINS8_10device_ptrIjEEEESD_jNS1_19radix_merge_compareILb0ELb1EjNS0_19identity_decomposerEEEEE10hipError_tT0_T1_T2_jT3_P12ihipStream_tbPNSt15iterator_traitsISI_E10value_typeEPNSO_ISJ_E10value_typeEPSK_NS1_7vsmem_tEENKUlT_SI_SJ_SK_E_clIPjSD_S10_SD_EESH_SX_SI_SJ_SK_EUlSX_E1_NS1_11comp_targetILNS1_3genE3ELNS1_11target_archE908ELNS1_3gpuE7ELNS1_3repE0EEENS1_36merge_oddeven_config_static_selectorELNS0_4arch9wavefront6targetE1EEEvSJ_.uses_vcc, 0
	.set _ZN7rocprim17ROCPRIM_400000_NS6detail17trampoline_kernelINS0_14default_configENS1_38merge_sort_block_merge_config_selectorIjjEEZZNS1_27merge_sort_block_merge_implIS3_N6thrust23THRUST_200600_302600_NS6detail15normal_iteratorINS8_10device_ptrIjEEEESD_jNS1_19radix_merge_compareILb0ELb1EjNS0_19identity_decomposerEEEEE10hipError_tT0_T1_T2_jT3_P12ihipStream_tbPNSt15iterator_traitsISI_E10value_typeEPNSO_ISJ_E10value_typeEPSK_NS1_7vsmem_tEENKUlT_SI_SJ_SK_E_clIPjSD_S10_SD_EESH_SX_SI_SJ_SK_EUlSX_E1_NS1_11comp_targetILNS1_3genE3ELNS1_11target_archE908ELNS1_3gpuE7ELNS1_3repE0EEENS1_36merge_oddeven_config_static_selectorELNS0_4arch9wavefront6targetE1EEEvSJ_.uses_flat_scratch, 0
	.set _ZN7rocprim17ROCPRIM_400000_NS6detail17trampoline_kernelINS0_14default_configENS1_38merge_sort_block_merge_config_selectorIjjEEZZNS1_27merge_sort_block_merge_implIS3_N6thrust23THRUST_200600_302600_NS6detail15normal_iteratorINS8_10device_ptrIjEEEESD_jNS1_19radix_merge_compareILb0ELb1EjNS0_19identity_decomposerEEEEE10hipError_tT0_T1_T2_jT3_P12ihipStream_tbPNSt15iterator_traitsISI_E10value_typeEPNSO_ISJ_E10value_typeEPSK_NS1_7vsmem_tEENKUlT_SI_SJ_SK_E_clIPjSD_S10_SD_EESH_SX_SI_SJ_SK_EUlSX_E1_NS1_11comp_targetILNS1_3genE3ELNS1_11target_archE908ELNS1_3gpuE7ELNS1_3repE0EEENS1_36merge_oddeven_config_static_selectorELNS0_4arch9wavefront6targetE1EEEvSJ_.has_dyn_sized_stack, 0
	.set _ZN7rocprim17ROCPRIM_400000_NS6detail17trampoline_kernelINS0_14default_configENS1_38merge_sort_block_merge_config_selectorIjjEEZZNS1_27merge_sort_block_merge_implIS3_N6thrust23THRUST_200600_302600_NS6detail15normal_iteratorINS8_10device_ptrIjEEEESD_jNS1_19radix_merge_compareILb0ELb1EjNS0_19identity_decomposerEEEEE10hipError_tT0_T1_T2_jT3_P12ihipStream_tbPNSt15iterator_traitsISI_E10value_typeEPNSO_ISJ_E10value_typeEPSK_NS1_7vsmem_tEENKUlT_SI_SJ_SK_E_clIPjSD_S10_SD_EESH_SX_SI_SJ_SK_EUlSX_E1_NS1_11comp_targetILNS1_3genE3ELNS1_11target_archE908ELNS1_3gpuE7ELNS1_3repE0EEENS1_36merge_oddeven_config_static_selectorELNS0_4arch9wavefront6targetE1EEEvSJ_.has_recursion, 0
	.set _ZN7rocprim17ROCPRIM_400000_NS6detail17trampoline_kernelINS0_14default_configENS1_38merge_sort_block_merge_config_selectorIjjEEZZNS1_27merge_sort_block_merge_implIS3_N6thrust23THRUST_200600_302600_NS6detail15normal_iteratorINS8_10device_ptrIjEEEESD_jNS1_19radix_merge_compareILb0ELb1EjNS0_19identity_decomposerEEEEE10hipError_tT0_T1_T2_jT3_P12ihipStream_tbPNSt15iterator_traitsISI_E10value_typeEPNSO_ISJ_E10value_typeEPSK_NS1_7vsmem_tEENKUlT_SI_SJ_SK_E_clIPjSD_S10_SD_EESH_SX_SI_SJ_SK_EUlSX_E1_NS1_11comp_targetILNS1_3genE3ELNS1_11target_archE908ELNS1_3gpuE7ELNS1_3repE0EEENS1_36merge_oddeven_config_static_selectorELNS0_4arch9wavefront6targetE1EEEvSJ_.has_indirect_call, 0
	.section	.AMDGPU.csdata,"",@progbits
; Kernel info:
; codeLenInByte = 0
; TotalNumSgprs: 6
; NumVgprs: 0
; NumAgprs: 0
; TotalNumVgprs: 0
; ScratchSize: 0
; MemoryBound: 0
; FloatMode: 240
; IeeeMode: 1
; LDSByteSize: 0 bytes/workgroup (compile time only)
; SGPRBlocks: 0
; VGPRBlocks: 0
; NumSGPRsForWavesPerEU: 6
; NumVGPRsForWavesPerEU: 1
; AccumOffset: 4
; Occupancy: 8
; WaveLimiterHint : 0
; COMPUTE_PGM_RSRC2:SCRATCH_EN: 0
; COMPUTE_PGM_RSRC2:USER_SGPR: 2
; COMPUTE_PGM_RSRC2:TRAP_HANDLER: 0
; COMPUTE_PGM_RSRC2:TGID_X_EN: 1
; COMPUTE_PGM_RSRC2:TGID_Y_EN: 0
; COMPUTE_PGM_RSRC2:TGID_Z_EN: 0
; COMPUTE_PGM_RSRC2:TIDIG_COMP_CNT: 0
; COMPUTE_PGM_RSRC3_GFX90A:ACCUM_OFFSET: 0
; COMPUTE_PGM_RSRC3_GFX90A:TG_SPLIT: 0
	.section	.text._ZN7rocprim17ROCPRIM_400000_NS6detail17trampoline_kernelINS0_14default_configENS1_38merge_sort_block_merge_config_selectorIjjEEZZNS1_27merge_sort_block_merge_implIS3_N6thrust23THRUST_200600_302600_NS6detail15normal_iteratorINS8_10device_ptrIjEEEESD_jNS1_19radix_merge_compareILb0ELb1EjNS0_19identity_decomposerEEEEE10hipError_tT0_T1_T2_jT3_P12ihipStream_tbPNSt15iterator_traitsISI_E10value_typeEPNSO_ISJ_E10value_typeEPSK_NS1_7vsmem_tEENKUlT_SI_SJ_SK_E_clIPjSD_S10_SD_EESH_SX_SI_SJ_SK_EUlSX_E1_NS1_11comp_targetILNS1_3genE2ELNS1_11target_archE906ELNS1_3gpuE6ELNS1_3repE0EEENS1_36merge_oddeven_config_static_selectorELNS0_4arch9wavefront6targetE1EEEvSJ_,"axG",@progbits,_ZN7rocprim17ROCPRIM_400000_NS6detail17trampoline_kernelINS0_14default_configENS1_38merge_sort_block_merge_config_selectorIjjEEZZNS1_27merge_sort_block_merge_implIS3_N6thrust23THRUST_200600_302600_NS6detail15normal_iteratorINS8_10device_ptrIjEEEESD_jNS1_19radix_merge_compareILb0ELb1EjNS0_19identity_decomposerEEEEE10hipError_tT0_T1_T2_jT3_P12ihipStream_tbPNSt15iterator_traitsISI_E10value_typeEPNSO_ISJ_E10value_typeEPSK_NS1_7vsmem_tEENKUlT_SI_SJ_SK_E_clIPjSD_S10_SD_EESH_SX_SI_SJ_SK_EUlSX_E1_NS1_11comp_targetILNS1_3genE2ELNS1_11target_archE906ELNS1_3gpuE6ELNS1_3repE0EEENS1_36merge_oddeven_config_static_selectorELNS0_4arch9wavefront6targetE1EEEvSJ_,comdat
	.protected	_ZN7rocprim17ROCPRIM_400000_NS6detail17trampoline_kernelINS0_14default_configENS1_38merge_sort_block_merge_config_selectorIjjEEZZNS1_27merge_sort_block_merge_implIS3_N6thrust23THRUST_200600_302600_NS6detail15normal_iteratorINS8_10device_ptrIjEEEESD_jNS1_19radix_merge_compareILb0ELb1EjNS0_19identity_decomposerEEEEE10hipError_tT0_T1_T2_jT3_P12ihipStream_tbPNSt15iterator_traitsISI_E10value_typeEPNSO_ISJ_E10value_typeEPSK_NS1_7vsmem_tEENKUlT_SI_SJ_SK_E_clIPjSD_S10_SD_EESH_SX_SI_SJ_SK_EUlSX_E1_NS1_11comp_targetILNS1_3genE2ELNS1_11target_archE906ELNS1_3gpuE6ELNS1_3repE0EEENS1_36merge_oddeven_config_static_selectorELNS0_4arch9wavefront6targetE1EEEvSJ_ ; -- Begin function _ZN7rocprim17ROCPRIM_400000_NS6detail17trampoline_kernelINS0_14default_configENS1_38merge_sort_block_merge_config_selectorIjjEEZZNS1_27merge_sort_block_merge_implIS3_N6thrust23THRUST_200600_302600_NS6detail15normal_iteratorINS8_10device_ptrIjEEEESD_jNS1_19radix_merge_compareILb0ELb1EjNS0_19identity_decomposerEEEEE10hipError_tT0_T1_T2_jT3_P12ihipStream_tbPNSt15iterator_traitsISI_E10value_typeEPNSO_ISJ_E10value_typeEPSK_NS1_7vsmem_tEENKUlT_SI_SJ_SK_E_clIPjSD_S10_SD_EESH_SX_SI_SJ_SK_EUlSX_E1_NS1_11comp_targetILNS1_3genE2ELNS1_11target_archE906ELNS1_3gpuE6ELNS1_3repE0EEENS1_36merge_oddeven_config_static_selectorELNS0_4arch9wavefront6targetE1EEEvSJ_
	.globl	_ZN7rocprim17ROCPRIM_400000_NS6detail17trampoline_kernelINS0_14default_configENS1_38merge_sort_block_merge_config_selectorIjjEEZZNS1_27merge_sort_block_merge_implIS3_N6thrust23THRUST_200600_302600_NS6detail15normal_iteratorINS8_10device_ptrIjEEEESD_jNS1_19radix_merge_compareILb0ELb1EjNS0_19identity_decomposerEEEEE10hipError_tT0_T1_T2_jT3_P12ihipStream_tbPNSt15iterator_traitsISI_E10value_typeEPNSO_ISJ_E10value_typeEPSK_NS1_7vsmem_tEENKUlT_SI_SJ_SK_E_clIPjSD_S10_SD_EESH_SX_SI_SJ_SK_EUlSX_E1_NS1_11comp_targetILNS1_3genE2ELNS1_11target_archE906ELNS1_3gpuE6ELNS1_3repE0EEENS1_36merge_oddeven_config_static_selectorELNS0_4arch9wavefront6targetE1EEEvSJ_
	.p2align	8
	.type	_ZN7rocprim17ROCPRIM_400000_NS6detail17trampoline_kernelINS0_14default_configENS1_38merge_sort_block_merge_config_selectorIjjEEZZNS1_27merge_sort_block_merge_implIS3_N6thrust23THRUST_200600_302600_NS6detail15normal_iteratorINS8_10device_ptrIjEEEESD_jNS1_19radix_merge_compareILb0ELb1EjNS0_19identity_decomposerEEEEE10hipError_tT0_T1_T2_jT3_P12ihipStream_tbPNSt15iterator_traitsISI_E10value_typeEPNSO_ISJ_E10value_typeEPSK_NS1_7vsmem_tEENKUlT_SI_SJ_SK_E_clIPjSD_S10_SD_EESH_SX_SI_SJ_SK_EUlSX_E1_NS1_11comp_targetILNS1_3genE2ELNS1_11target_archE906ELNS1_3gpuE6ELNS1_3repE0EEENS1_36merge_oddeven_config_static_selectorELNS0_4arch9wavefront6targetE1EEEvSJ_,@function
_ZN7rocprim17ROCPRIM_400000_NS6detail17trampoline_kernelINS0_14default_configENS1_38merge_sort_block_merge_config_selectorIjjEEZZNS1_27merge_sort_block_merge_implIS3_N6thrust23THRUST_200600_302600_NS6detail15normal_iteratorINS8_10device_ptrIjEEEESD_jNS1_19radix_merge_compareILb0ELb1EjNS0_19identity_decomposerEEEEE10hipError_tT0_T1_T2_jT3_P12ihipStream_tbPNSt15iterator_traitsISI_E10value_typeEPNSO_ISJ_E10value_typeEPSK_NS1_7vsmem_tEENKUlT_SI_SJ_SK_E_clIPjSD_S10_SD_EESH_SX_SI_SJ_SK_EUlSX_E1_NS1_11comp_targetILNS1_3genE2ELNS1_11target_archE906ELNS1_3gpuE6ELNS1_3repE0EEENS1_36merge_oddeven_config_static_selectorELNS0_4arch9wavefront6targetE1EEEvSJ_: ; @_ZN7rocprim17ROCPRIM_400000_NS6detail17trampoline_kernelINS0_14default_configENS1_38merge_sort_block_merge_config_selectorIjjEEZZNS1_27merge_sort_block_merge_implIS3_N6thrust23THRUST_200600_302600_NS6detail15normal_iteratorINS8_10device_ptrIjEEEESD_jNS1_19radix_merge_compareILb0ELb1EjNS0_19identity_decomposerEEEEE10hipError_tT0_T1_T2_jT3_P12ihipStream_tbPNSt15iterator_traitsISI_E10value_typeEPNSO_ISJ_E10value_typeEPSK_NS1_7vsmem_tEENKUlT_SI_SJ_SK_E_clIPjSD_S10_SD_EESH_SX_SI_SJ_SK_EUlSX_E1_NS1_11comp_targetILNS1_3genE2ELNS1_11target_archE906ELNS1_3gpuE6ELNS1_3repE0EEENS1_36merge_oddeven_config_static_selectorELNS0_4arch9wavefront6targetE1EEEvSJ_
; %bb.0:
	.section	.rodata,"a",@progbits
	.p2align	6, 0x0
	.amdhsa_kernel _ZN7rocprim17ROCPRIM_400000_NS6detail17trampoline_kernelINS0_14default_configENS1_38merge_sort_block_merge_config_selectorIjjEEZZNS1_27merge_sort_block_merge_implIS3_N6thrust23THRUST_200600_302600_NS6detail15normal_iteratorINS8_10device_ptrIjEEEESD_jNS1_19radix_merge_compareILb0ELb1EjNS0_19identity_decomposerEEEEE10hipError_tT0_T1_T2_jT3_P12ihipStream_tbPNSt15iterator_traitsISI_E10value_typeEPNSO_ISJ_E10value_typeEPSK_NS1_7vsmem_tEENKUlT_SI_SJ_SK_E_clIPjSD_S10_SD_EESH_SX_SI_SJ_SK_EUlSX_E1_NS1_11comp_targetILNS1_3genE2ELNS1_11target_archE906ELNS1_3gpuE6ELNS1_3repE0EEENS1_36merge_oddeven_config_static_selectorELNS0_4arch9wavefront6targetE1EEEvSJ_
		.amdhsa_group_segment_fixed_size 0
		.amdhsa_private_segment_fixed_size 0
		.amdhsa_kernarg_size 48
		.amdhsa_user_sgpr_count 2
		.amdhsa_user_sgpr_dispatch_ptr 0
		.amdhsa_user_sgpr_queue_ptr 0
		.amdhsa_user_sgpr_kernarg_segment_ptr 1
		.amdhsa_user_sgpr_dispatch_id 0
		.amdhsa_user_sgpr_kernarg_preload_length 0
		.amdhsa_user_sgpr_kernarg_preload_offset 0
		.amdhsa_user_sgpr_private_segment_size 0
		.amdhsa_uses_dynamic_stack 0
		.amdhsa_enable_private_segment 0
		.amdhsa_system_sgpr_workgroup_id_x 1
		.amdhsa_system_sgpr_workgroup_id_y 0
		.amdhsa_system_sgpr_workgroup_id_z 0
		.amdhsa_system_sgpr_workgroup_info 0
		.amdhsa_system_vgpr_workitem_id 0
		.amdhsa_next_free_vgpr 1
		.amdhsa_next_free_sgpr 0
		.amdhsa_accum_offset 4
		.amdhsa_reserve_vcc 0
		.amdhsa_float_round_mode_32 0
		.amdhsa_float_round_mode_16_64 0
		.amdhsa_float_denorm_mode_32 3
		.amdhsa_float_denorm_mode_16_64 3
		.amdhsa_dx10_clamp 1
		.amdhsa_ieee_mode 1
		.amdhsa_fp16_overflow 0
		.amdhsa_tg_split 0
		.amdhsa_exception_fp_ieee_invalid_op 0
		.amdhsa_exception_fp_denorm_src 0
		.amdhsa_exception_fp_ieee_div_zero 0
		.amdhsa_exception_fp_ieee_overflow 0
		.amdhsa_exception_fp_ieee_underflow 0
		.amdhsa_exception_fp_ieee_inexact 0
		.amdhsa_exception_int_div_zero 0
	.end_amdhsa_kernel
	.section	.text._ZN7rocprim17ROCPRIM_400000_NS6detail17trampoline_kernelINS0_14default_configENS1_38merge_sort_block_merge_config_selectorIjjEEZZNS1_27merge_sort_block_merge_implIS3_N6thrust23THRUST_200600_302600_NS6detail15normal_iteratorINS8_10device_ptrIjEEEESD_jNS1_19radix_merge_compareILb0ELb1EjNS0_19identity_decomposerEEEEE10hipError_tT0_T1_T2_jT3_P12ihipStream_tbPNSt15iterator_traitsISI_E10value_typeEPNSO_ISJ_E10value_typeEPSK_NS1_7vsmem_tEENKUlT_SI_SJ_SK_E_clIPjSD_S10_SD_EESH_SX_SI_SJ_SK_EUlSX_E1_NS1_11comp_targetILNS1_3genE2ELNS1_11target_archE906ELNS1_3gpuE6ELNS1_3repE0EEENS1_36merge_oddeven_config_static_selectorELNS0_4arch9wavefront6targetE1EEEvSJ_,"axG",@progbits,_ZN7rocprim17ROCPRIM_400000_NS6detail17trampoline_kernelINS0_14default_configENS1_38merge_sort_block_merge_config_selectorIjjEEZZNS1_27merge_sort_block_merge_implIS3_N6thrust23THRUST_200600_302600_NS6detail15normal_iteratorINS8_10device_ptrIjEEEESD_jNS1_19radix_merge_compareILb0ELb1EjNS0_19identity_decomposerEEEEE10hipError_tT0_T1_T2_jT3_P12ihipStream_tbPNSt15iterator_traitsISI_E10value_typeEPNSO_ISJ_E10value_typeEPSK_NS1_7vsmem_tEENKUlT_SI_SJ_SK_E_clIPjSD_S10_SD_EESH_SX_SI_SJ_SK_EUlSX_E1_NS1_11comp_targetILNS1_3genE2ELNS1_11target_archE906ELNS1_3gpuE6ELNS1_3repE0EEENS1_36merge_oddeven_config_static_selectorELNS0_4arch9wavefront6targetE1EEEvSJ_,comdat
.Lfunc_end697:
	.size	_ZN7rocprim17ROCPRIM_400000_NS6detail17trampoline_kernelINS0_14default_configENS1_38merge_sort_block_merge_config_selectorIjjEEZZNS1_27merge_sort_block_merge_implIS3_N6thrust23THRUST_200600_302600_NS6detail15normal_iteratorINS8_10device_ptrIjEEEESD_jNS1_19radix_merge_compareILb0ELb1EjNS0_19identity_decomposerEEEEE10hipError_tT0_T1_T2_jT3_P12ihipStream_tbPNSt15iterator_traitsISI_E10value_typeEPNSO_ISJ_E10value_typeEPSK_NS1_7vsmem_tEENKUlT_SI_SJ_SK_E_clIPjSD_S10_SD_EESH_SX_SI_SJ_SK_EUlSX_E1_NS1_11comp_targetILNS1_3genE2ELNS1_11target_archE906ELNS1_3gpuE6ELNS1_3repE0EEENS1_36merge_oddeven_config_static_selectorELNS0_4arch9wavefront6targetE1EEEvSJ_, .Lfunc_end697-_ZN7rocprim17ROCPRIM_400000_NS6detail17trampoline_kernelINS0_14default_configENS1_38merge_sort_block_merge_config_selectorIjjEEZZNS1_27merge_sort_block_merge_implIS3_N6thrust23THRUST_200600_302600_NS6detail15normal_iteratorINS8_10device_ptrIjEEEESD_jNS1_19radix_merge_compareILb0ELb1EjNS0_19identity_decomposerEEEEE10hipError_tT0_T1_T2_jT3_P12ihipStream_tbPNSt15iterator_traitsISI_E10value_typeEPNSO_ISJ_E10value_typeEPSK_NS1_7vsmem_tEENKUlT_SI_SJ_SK_E_clIPjSD_S10_SD_EESH_SX_SI_SJ_SK_EUlSX_E1_NS1_11comp_targetILNS1_3genE2ELNS1_11target_archE906ELNS1_3gpuE6ELNS1_3repE0EEENS1_36merge_oddeven_config_static_selectorELNS0_4arch9wavefront6targetE1EEEvSJ_
                                        ; -- End function
	.set _ZN7rocprim17ROCPRIM_400000_NS6detail17trampoline_kernelINS0_14default_configENS1_38merge_sort_block_merge_config_selectorIjjEEZZNS1_27merge_sort_block_merge_implIS3_N6thrust23THRUST_200600_302600_NS6detail15normal_iteratorINS8_10device_ptrIjEEEESD_jNS1_19radix_merge_compareILb0ELb1EjNS0_19identity_decomposerEEEEE10hipError_tT0_T1_T2_jT3_P12ihipStream_tbPNSt15iterator_traitsISI_E10value_typeEPNSO_ISJ_E10value_typeEPSK_NS1_7vsmem_tEENKUlT_SI_SJ_SK_E_clIPjSD_S10_SD_EESH_SX_SI_SJ_SK_EUlSX_E1_NS1_11comp_targetILNS1_3genE2ELNS1_11target_archE906ELNS1_3gpuE6ELNS1_3repE0EEENS1_36merge_oddeven_config_static_selectorELNS0_4arch9wavefront6targetE1EEEvSJ_.num_vgpr, 0
	.set _ZN7rocprim17ROCPRIM_400000_NS6detail17trampoline_kernelINS0_14default_configENS1_38merge_sort_block_merge_config_selectorIjjEEZZNS1_27merge_sort_block_merge_implIS3_N6thrust23THRUST_200600_302600_NS6detail15normal_iteratorINS8_10device_ptrIjEEEESD_jNS1_19radix_merge_compareILb0ELb1EjNS0_19identity_decomposerEEEEE10hipError_tT0_T1_T2_jT3_P12ihipStream_tbPNSt15iterator_traitsISI_E10value_typeEPNSO_ISJ_E10value_typeEPSK_NS1_7vsmem_tEENKUlT_SI_SJ_SK_E_clIPjSD_S10_SD_EESH_SX_SI_SJ_SK_EUlSX_E1_NS1_11comp_targetILNS1_3genE2ELNS1_11target_archE906ELNS1_3gpuE6ELNS1_3repE0EEENS1_36merge_oddeven_config_static_selectorELNS0_4arch9wavefront6targetE1EEEvSJ_.num_agpr, 0
	.set _ZN7rocprim17ROCPRIM_400000_NS6detail17trampoline_kernelINS0_14default_configENS1_38merge_sort_block_merge_config_selectorIjjEEZZNS1_27merge_sort_block_merge_implIS3_N6thrust23THRUST_200600_302600_NS6detail15normal_iteratorINS8_10device_ptrIjEEEESD_jNS1_19radix_merge_compareILb0ELb1EjNS0_19identity_decomposerEEEEE10hipError_tT0_T1_T2_jT3_P12ihipStream_tbPNSt15iterator_traitsISI_E10value_typeEPNSO_ISJ_E10value_typeEPSK_NS1_7vsmem_tEENKUlT_SI_SJ_SK_E_clIPjSD_S10_SD_EESH_SX_SI_SJ_SK_EUlSX_E1_NS1_11comp_targetILNS1_3genE2ELNS1_11target_archE906ELNS1_3gpuE6ELNS1_3repE0EEENS1_36merge_oddeven_config_static_selectorELNS0_4arch9wavefront6targetE1EEEvSJ_.numbered_sgpr, 0
	.set _ZN7rocprim17ROCPRIM_400000_NS6detail17trampoline_kernelINS0_14default_configENS1_38merge_sort_block_merge_config_selectorIjjEEZZNS1_27merge_sort_block_merge_implIS3_N6thrust23THRUST_200600_302600_NS6detail15normal_iteratorINS8_10device_ptrIjEEEESD_jNS1_19radix_merge_compareILb0ELb1EjNS0_19identity_decomposerEEEEE10hipError_tT0_T1_T2_jT3_P12ihipStream_tbPNSt15iterator_traitsISI_E10value_typeEPNSO_ISJ_E10value_typeEPSK_NS1_7vsmem_tEENKUlT_SI_SJ_SK_E_clIPjSD_S10_SD_EESH_SX_SI_SJ_SK_EUlSX_E1_NS1_11comp_targetILNS1_3genE2ELNS1_11target_archE906ELNS1_3gpuE6ELNS1_3repE0EEENS1_36merge_oddeven_config_static_selectorELNS0_4arch9wavefront6targetE1EEEvSJ_.num_named_barrier, 0
	.set _ZN7rocprim17ROCPRIM_400000_NS6detail17trampoline_kernelINS0_14default_configENS1_38merge_sort_block_merge_config_selectorIjjEEZZNS1_27merge_sort_block_merge_implIS3_N6thrust23THRUST_200600_302600_NS6detail15normal_iteratorINS8_10device_ptrIjEEEESD_jNS1_19radix_merge_compareILb0ELb1EjNS0_19identity_decomposerEEEEE10hipError_tT0_T1_T2_jT3_P12ihipStream_tbPNSt15iterator_traitsISI_E10value_typeEPNSO_ISJ_E10value_typeEPSK_NS1_7vsmem_tEENKUlT_SI_SJ_SK_E_clIPjSD_S10_SD_EESH_SX_SI_SJ_SK_EUlSX_E1_NS1_11comp_targetILNS1_3genE2ELNS1_11target_archE906ELNS1_3gpuE6ELNS1_3repE0EEENS1_36merge_oddeven_config_static_selectorELNS0_4arch9wavefront6targetE1EEEvSJ_.private_seg_size, 0
	.set _ZN7rocprim17ROCPRIM_400000_NS6detail17trampoline_kernelINS0_14default_configENS1_38merge_sort_block_merge_config_selectorIjjEEZZNS1_27merge_sort_block_merge_implIS3_N6thrust23THRUST_200600_302600_NS6detail15normal_iteratorINS8_10device_ptrIjEEEESD_jNS1_19radix_merge_compareILb0ELb1EjNS0_19identity_decomposerEEEEE10hipError_tT0_T1_T2_jT3_P12ihipStream_tbPNSt15iterator_traitsISI_E10value_typeEPNSO_ISJ_E10value_typeEPSK_NS1_7vsmem_tEENKUlT_SI_SJ_SK_E_clIPjSD_S10_SD_EESH_SX_SI_SJ_SK_EUlSX_E1_NS1_11comp_targetILNS1_3genE2ELNS1_11target_archE906ELNS1_3gpuE6ELNS1_3repE0EEENS1_36merge_oddeven_config_static_selectorELNS0_4arch9wavefront6targetE1EEEvSJ_.uses_vcc, 0
	.set _ZN7rocprim17ROCPRIM_400000_NS6detail17trampoline_kernelINS0_14default_configENS1_38merge_sort_block_merge_config_selectorIjjEEZZNS1_27merge_sort_block_merge_implIS3_N6thrust23THRUST_200600_302600_NS6detail15normal_iteratorINS8_10device_ptrIjEEEESD_jNS1_19radix_merge_compareILb0ELb1EjNS0_19identity_decomposerEEEEE10hipError_tT0_T1_T2_jT3_P12ihipStream_tbPNSt15iterator_traitsISI_E10value_typeEPNSO_ISJ_E10value_typeEPSK_NS1_7vsmem_tEENKUlT_SI_SJ_SK_E_clIPjSD_S10_SD_EESH_SX_SI_SJ_SK_EUlSX_E1_NS1_11comp_targetILNS1_3genE2ELNS1_11target_archE906ELNS1_3gpuE6ELNS1_3repE0EEENS1_36merge_oddeven_config_static_selectorELNS0_4arch9wavefront6targetE1EEEvSJ_.uses_flat_scratch, 0
	.set _ZN7rocprim17ROCPRIM_400000_NS6detail17trampoline_kernelINS0_14default_configENS1_38merge_sort_block_merge_config_selectorIjjEEZZNS1_27merge_sort_block_merge_implIS3_N6thrust23THRUST_200600_302600_NS6detail15normal_iteratorINS8_10device_ptrIjEEEESD_jNS1_19radix_merge_compareILb0ELb1EjNS0_19identity_decomposerEEEEE10hipError_tT0_T1_T2_jT3_P12ihipStream_tbPNSt15iterator_traitsISI_E10value_typeEPNSO_ISJ_E10value_typeEPSK_NS1_7vsmem_tEENKUlT_SI_SJ_SK_E_clIPjSD_S10_SD_EESH_SX_SI_SJ_SK_EUlSX_E1_NS1_11comp_targetILNS1_3genE2ELNS1_11target_archE906ELNS1_3gpuE6ELNS1_3repE0EEENS1_36merge_oddeven_config_static_selectorELNS0_4arch9wavefront6targetE1EEEvSJ_.has_dyn_sized_stack, 0
	.set _ZN7rocprim17ROCPRIM_400000_NS6detail17trampoline_kernelINS0_14default_configENS1_38merge_sort_block_merge_config_selectorIjjEEZZNS1_27merge_sort_block_merge_implIS3_N6thrust23THRUST_200600_302600_NS6detail15normal_iteratorINS8_10device_ptrIjEEEESD_jNS1_19radix_merge_compareILb0ELb1EjNS0_19identity_decomposerEEEEE10hipError_tT0_T1_T2_jT3_P12ihipStream_tbPNSt15iterator_traitsISI_E10value_typeEPNSO_ISJ_E10value_typeEPSK_NS1_7vsmem_tEENKUlT_SI_SJ_SK_E_clIPjSD_S10_SD_EESH_SX_SI_SJ_SK_EUlSX_E1_NS1_11comp_targetILNS1_3genE2ELNS1_11target_archE906ELNS1_3gpuE6ELNS1_3repE0EEENS1_36merge_oddeven_config_static_selectorELNS0_4arch9wavefront6targetE1EEEvSJ_.has_recursion, 0
	.set _ZN7rocprim17ROCPRIM_400000_NS6detail17trampoline_kernelINS0_14default_configENS1_38merge_sort_block_merge_config_selectorIjjEEZZNS1_27merge_sort_block_merge_implIS3_N6thrust23THRUST_200600_302600_NS6detail15normal_iteratorINS8_10device_ptrIjEEEESD_jNS1_19radix_merge_compareILb0ELb1EjNS0_19identity_decomposerEEEEE10hipError_tT0_T1_T2_jT3_P12ihipStream_tbPNSt15iterator_traitsISI_E10value_typeEPNSO_ISJ_E10value_typeEPSK_NS1_7vsmem_tEENKUlT_SI_SJ_SK_E_clIPjSD_S10_SD_EESH_SX_SI_SJ_SK_EUlSX_E1_NS1_11comp_targetILNS1_3genE2ELNS1_11target_archE906ELNS1_3gpuE6ELNS1_3repE0EEENS1_36merge_oddeven_config_static_selectorELNS0_4arch9wavefront6targetE1EEEvSJ_.has_indirect_call, 0
	.section	.AMDGPU.csdata,"",@progbits
; Kernel info:
; codeLenInByte = 0
; TotalNumSgprs: 6
; NumVgprs: 0
; NumAgprs: 0
; TotalNumVgprs: 0
; ScratchSize: 0
; MemoryBound: 0
; FloatMode: 240
; IeeeMode: 1
; LDSByteSize: 0 bytes/workgroup (compile time only)
; SGPRBlocks: 0
; VGPRBlocks: 0
; NumSGPRsForWavesPerEU: 6
; NumVGPRsForWavesPerEU: 1
; AccumOffset: 4
; Occupancy: 8
; WaveLimiterHint : 0
; COMPUTE_PGM_RSRC2:SCRATCH_EN: 0
; COMPUTE_PGM_RSRC2:USER_SGPR: 2
; COMPUTE_PGM_RSRC2:TRAP_HANDLER: 0
; COMPUTE_PGM_RSRC2:TGID_X_EN: 1
; COMPUTE_PGM_RSRC2:TGID_Y_EN: 0
; COMPUTE_PGM_RSRC2:TGID_Z_EN: 0
; COMPUTE_PGM_RSRC2:TIDIG_COMP_CNT: 0
; COMPUTE_PGM_RSRC3_GFX90A:ACCUM_OFFSET: 0
; COMPUTE_PGM_RSRC3_GFX90A:TG_SPLIT: 0
	.section	.text._ZN7rocprim17ROCPRIM_400000_NS6detail17trampoline_kernelINS0_14default_configENS1_38merge_sort_block_merge_config_selectorIjjEEZZNS1_27merge_sort_block_merge_implIS3_N6thrust23THRUST_200600_302600_NS6detail15normal_iteratorINS8_10device_ptrIjEEEESD_jNS1_19radix_merge_compareILb0ELb1EjNS0_19identity_decomposerEEEEE10hipError_tT0_T1_T2_jT3_P12ihipStream_tbPNSt15iterator_traitsISI_E10value_typeEPNSO_ISJ_E10value_typeEPSK_NS1_7vsmem_tEENKUlT_SI_SJ_SK_E_clIPjSD_S10_SD_EESH_SX_SI_SJ_SK_EUlSX_E1_NS1_11comp_targetILNS1_3genE9ELNS1_11target_archE1100ELNS1_3gpuE3ELNS1_3repE0EEENS1_36merge_oddeven_config_static_selectorELNS0_4arch9wavefront6targetE1EEEvSJ_,"axG",@progbits,_ZN7rocprim17ROCPRIM_400000_NS6detail17trampoline_kernelINS0_14default_configENS1_38merge_sort_block_merge_config_selectorIjjEEZZNS1_27merge_sort_block_merge_implIS3_N6thrust23THRUST_200600_302600_NS6detail15normal_iteratorINS8_10device_ptrIjEEEESD_jNS1_19radix_merge_compareILb0ELb1EjNS0_19identity_decomposerEEEEE10hipError_tT0_T1_T2_jT3_P12ihipStream_tbPNSt15iterator_traitsISI_E10value_typeEPNSO_ISJ_E10value_typeEPSK_NS1_7vsmem_tEENKUlT_SI_SJ_SK_E_clIPjSD_S10_SD_EESH_SX_SI_SJ_SK_EUlSX_E1_NS1_11comp_targetILNS1_3genE9ELNS1_11target_archE1100ELNS1_3gpuE3ELNS1_3repE0EEENS1_36merge_oddeven_config_static_selectorELNS0_4arch9wavefront6targetE1EEEvSJ_,comdat
	.protected	_ZN7rocprim17ROCPRIM_400000_NS6detail17trampoline_kernelINS0_14default_configENS1_38merge_sort_block_merge_config_selectorIjjEEZZNS1_27merge_sort_block_merge_implIS3_N6thrust23THRUST_200600_302600_NS6detail15normal_iteratorINS8_10device_ptrIjEEEESD_jNS1_19radix_merge_compareILb0ELb1EjNS0_19identity_decomposerEEEEE10hipError_tT0_T1_T2_jT3_P12ihipStream_tbPNSt15iterator_traitsISI_E10value_typeEPNSO_ISJ_E10value_typeEPSK_NS1_7vsmem_tEENKUlT_SI_SJ_SK_E_clIPjSD_S10_SD_EESH_SX_SI_SJ_SK_EUlSX_E1_NS1_11comp_targetILNS1_3genE9ELNS1_11target_archE1100ELNS1_3gpuE3ELNS1_3repE0EEENS1_36merge_oddeven_config_static_selectorELNS0_4arch9wavefront6targetE1EEEvSJ_ ; -- Begin function _ZN7rocprim17ROCPRIM_400000_NS6detail17trampoline_kernelINS0_14default_configENS1_38merge_sort_block_merge_config_selectorIjjEEZZNS1_27merge_sort_block_merge_implIS3_N6thrust23THRUST_200600_302600_NS6detail15normal_iteratorINS8_10device_ptrIjEEEESD_jNS1_19radix_merge_compareILb0ELb1EjNS0_19identity_decomposerEEEEE10hipError_tT0_T1_T2_jT3_P12ihipStream_tbPNSt15iterator_traitsISI_E10value_typeEPNSO_ISJ_E10value_typeEPSK_NS1_7vsmem_tEENKUlT_SI_SJ_SK_E_clIPjSD_S10_SD_EESH_SX_SI_SJ_SK_EUlSX_E1_NS1_11comp_targetILNS1_3genE9ELNS1_11target_archE1100ELNS1_3gpuE3ELNS1_3repE0EEENS1_36merge_oddeven_config_static_selectorELNS0_4arch9wavefront6targetE1EEEvSJ_
	.globl	_ZN7rocprim17ROCPRIM_400000_NS6detail17trampoline_kernelINS0_14default_configENS1_38merge_sort_block_merge_config_selectorIjjEEZZNS1_27merge_sort_block_merge_implIS3_N6thrust23THRUST_200600_302600_NS6detail15normal_iteratorINS8_10device_ptrIjEEEESD_jNS1_19radix_merge_compareILb0ELb1EjNS0_19identity_decomposerEEEEE10hipError_tT0_T1_T2_jT3_P12ihipStream_tbPNSt15iterator_traitsISI_E10value_typeEPNSO_ISJ_E10value_typeEPSK_NS1_7vsmem_tEENKUlT_SI_SJ_SK_E_clIPjSD_S10_SD_EESH_SX_SI_SJ_SK_EUlSX_E1_NS1_11comp_targetILNS1_3genE9ELNS1_11target_archE1100ELNS1_3gpuE3ELNS1_3repE0EEENS1_36merge_oddeven_config_static_selectorELNS0_4arch9wavefront6targetE1EEEvSJ_
	.p2align	8
	.type	_ZN7rocprim17ROCPRIM_400000_NS6detail17trampoline_kernelINS0_14default_configENS1_38merge_sort_block_merge_config_selectorIjjEEZZNS1_27merge_sort_block_merge_implIS3_N6thrust23THRUST_200600_302600_NS6detail15normal_iteratorINS8_10device_ptrIjEEEESD_jNS1_19radix_merge_compareILb0ELb1EjNS0_19identity_decomposerEEEEE10hipError_tT0_T1_T2_jT3_P12ihipStream_tbPNSt15iterator_traitsISI_E10value_typeEPNSO_ISJ_E10value_typeEPSK_NS1_7vsmem_tEENKUlT_SI_SJ_SK_E_clIPjSD_S10_SD_EESH_SX_SI_SJ_SK_EUlSX_E1_NS1_11comp_targetILNS1_3genE9ELNS1_11target_archE1100ELNS1_3gpuE3ELNS1_3repE0EEENS1_36merge_oddeven_config_static_selectorELNS0_4arch9wavefront6targetE1EEEvSJ_,@function
_ZN7rocprim17ROCPRIM_400000_NS6detail17trampoline_kernelINS0_14default_configENS1_38merge_sort_block_merge_config_selectorIjjEEZZNS1_27merge_sort_block_merge_implIS3_N6thrust23THRUST_200600_302600_NS6detail15normal_iteratorINS8_10device_ptrIjEEEESD_jNS1_19radix_merge_compareILb0ELb1EjNS0_19identity_decomposerEEEEE10hipError_tT0_T1_T2_jT3_P12ihipStream_tbPNSt15iterator_traitsISI_E10value_typeEPNSO_ISJ_E10value_typeEPSK_NS1_7vsmem_tEENKUlT_SI_SJ_SK_E_clIPjSD_S10_SD_EESH_SX_SI_SJ_SK_EUlSX_E1_NS1_11comp_targetILNS1_3genE9ELNS1_11target_archE1100ELNS1_3gpuE3ELNS1_3repE0EEENS1_36merge_oddeven_config_static_selectorELNS0_4arch9wavefront6targetE1EEEvSJ_: ; @_ZN7rocprim17ROCPRIM_400000_NS6detail17trampoline_kernelINS0_14default_configENS1_38merge_sort_block_merge_config_selectorIjjEEZZNS1_27merge_sort_block_merge_implIS3_N6thrust23THRUST_200600_302600_NS6detail15normal_iteratorINS8_10device_ptrIjEEEESD_jNS1_19radix_merge_compareILb0ELb1EjNS0_19identity_decomposerEEEEE10hipError_tT0_T1_T2_jT3_P12ihipStream_tbPNSt15iterator_traitsISI_E10value_typeEPNSO_ISJ_E10value_typeEPSK_NS1_7vsmem_tEENKUlT_SI_SJ_SK_E_clIPjSD_S10_SD_EESH_SX_SI_SJ_SK_EUlSX_E1_NS1_11comp_targetILNS1_3genE9ELNS1_11target_archE1100ELNS1_3gpuE3ELNS1_3repE0EEENS1_36merge_oddeven_config_static_selectorELNS0_4arch9wavefront6targetE1EEEvSJ_
; %bb.0:
	.section	.rodata,"a",@progbits
	.p2align	6, 0x0
	.amdhsa_kernel _ZN7rocprim17ROCPRIM_400000_NS6detail17trampoline_kernelINS0_14default_configENS1_38merge_sort_block_merge_config_selectorIjjEEZZNS1_27merge_sort_block_merge_implIS3_N6thrust23THRUST_200600_302600_NS6detail15normal_iteratorINS8_10device_ptrIjEEEESD_jNS1_19radix_merge_compareILb0ELb1EjNS0_19identity_decomposerEEEEE10hipError_tT0_T1_T2_jT3_P12ihipStream_tbPNSt15iterator_traitsISI_E10value_typeEPNSO_ISJ_E10value_typeEPSK_NS1_7vsmem_tEENKUlT_SI_SJ_SK_E_clIPjSD_S10_SD_EESH_SX_SI_SJ_SK_EUlSX_E1_NS1_11comp_targetILNS1_3genE9ELNS1_11target_archE1100ELNS1_3gpuE3ELNS1_3repE0EEENS1_36merge_oddeven_config_static_selectorELNS0_4arch9wavefront6targetE1EEEvSJ_
		.amdhsa_group_segment_fixed_size 0
		.amdhsa_private_segment_fixed_size 0
		.amdhsa_kernarg_size 48
		.amdhsa_user_sgpr_count 2
		.amdhsa_user_sgpr_dispatch_ptr 0
		.amdhsa_user_sgpr_queue_ptr 0
		.amdhsa_user_sgpr_kernarg_segment_ptr 1
		.amdhsa_user_sgpr_dispatch_id 0
		.amdhsa_user_sgpr_kernarg_preload_length 0
		.amdhsa_user_sgpr_kernarg_preload_offset 0
		.amdhsa_user_sgpr_private_segment_size 0
		.amdhsa_uses_dynamic_stack 0
		.amdhsa_enable_private_segment 0
		.amdhsa_system_sgpr_workgroup_id_x 1
		.amdhsa_system_sgpr_workgroup_id_y 0
		.amdhsa_system_sgpr_workgroup_id_z 0
		.amdhsa_system_sgpr_workgroup_info 0
		.amdhsa_system_vgpr_workitem_id 0
		.amdhsa_next_free_vgpr 1
		.amdhsa_next_free_sgpr 0
		.amdhsa_accum_offset 4
		.amdhsa_reserve_vcc 0
		.amdhsa_float_round_mode_32 0
		.amdhsa_float_round_mode_16_64 0
		.amdhsa_float_denorm_mode_32 3
		.amdhsa_float_denorm_mode_16_64 3
		.amdhsa_dx10_clamp 1
		.amdhsa_ieee_mode 1
		.amdhsa_fp16_overflow 0
		.amdhsa_tg_split 0
		.amdhsa_exception_fp_ieee_invalid_op 0
		.amdhsa_exception_fp_denorm_src 0
		.amdhsa_exception_fp_ieee_div_zero 0
		.amdhsa_exception_fp_ieee_overflow 0
		.amdhsa_exception_fp_ieee_underflow 0
		.amdhsa_exception_fp_ieee_inexact 0
		.amdhsa_exception_int_div_zero 0
	.end_amdhsa_kernel
	.section	.text._ZN7rocprim17ROCPRIM_400000_NS6detail17trampoline_kernelINS0_14default_configENS1_38merge_sort_block_merge_config_selectorIjjEEZZNS1_27merge_sort_block_merge_implIS3_N6thrust23THRUST_200600_302600_NS6detail15normal_iteratorINS8_10device_ptrIjEEEESD_jNS1_19radix_merge_compareILb0ELb1EjNS0_19identity_decomposerEEEEE10hipError_tT0_T1_T2_jT3_P12ihipStream_tbPNSt15iterator_traitsISI_E10value_typeEPNSO_ISJ_E10value_typeEPSK_NS1_7vsmem_tEENKUlT_SI_SJ_SK_E_clIPjSD_S10_SD_EESH_SX_SI_SJ_SK_EUlSX_E1_NS1_11comp_targetILNS1_3genE9ELNS1_11target_archE1100ELNS1_3gpuE3ELNS1_3repE0EEENS1_36merge_oddeven_config_static_selectorELNS0_4arch9wavefront6targetE1EEEvSJ_,"axG",@progbits,_ZN7rocprim17ROCPRIM_400000_NS6detail17trampoline_kernelINS0_14default_configENS1_38merge_sort_block_merge_config_selectorIjjEEZZNS1_27merge_sort_block_merge_implIS3_N6thrust23THRUST_200600_302600_NS6detail15normal_iteratorINS8_10device_ptrIjEEEESD_jNS1_19radix_merge_compareILb0ELb1EjNS0_19identity_decomposerEEEEE10hipError_tT0_T1_T2_jT3_P12ihipStream_tbPNSt15iterator_traitsISI_E10value_typeEPNSO_ISJ_E10value_typeEPSK_NS1_7vsmem_tEENKUlT_SI_SJ_SK_E_clIPjSD_S10_SD_EESH_SX_SI_SJ_SK_EUlSX_E1_NS1_11comp_targetILNS1_3genE9ELNS1_11target_archE1100ELNS1_3gpuE3ELNS1_3repE0EEENS1_36merge_oddeven_config_static_selectorELNS0_4arch9wavefront6targetE1EEEvSJ_,comdat
.Lfunc_end698:
	.size	_ZN7rocprim17ROCPRIM_400000_NS6detail17trampoline_kernelINS0_14default_configENS1_38merge_sort_block_merge_config_selectorIjjEEZZNS1_27merge_sort_block_merge_implIS3_N6thrust23THRUST_200600_302600_NS6detail15normal_iteratorINS8_10device_ptrIjEEEESD_jNS1_19radix_merge_compareILb0ELb1EjNS0_19identity_decomposerEEEEE10hipError_tT0_T1_T2_jT3_P12ihipStream_tbPNSt15iterator_traitsISI_E10value_typeEPNSO_ISJ_E10value_typeEPSK_NS1_7vsmem_tEENKUlT_SI_SJ_SK_E_clIPjSD_S10_SD_EESH_SX_SI_SJ_SK_EUlSX_E1_NS1_11comp_targetILNS1_3genE9ELNS1_11target_archE1100ELNS1_3gpuE3ELNS1_3repE0EEENS1_36merge_oddeven_config_static_selectorELNS0_4arch9wavefront6targetE1EEEvSJ_, .Lfunc_end698-_ZN7rocprim17ROCPRIM_400000_NS6detail17trampoline_kernelINS0_14default_configENS1_38merge_sort_block_merge_config_selectorIjjEEZZNS1_27merge_sort_block_merge_implIS3_N6thrust23THRUST_200600_302600_NS6detail15normal_iteratorINS8_10device_ptrIjEEEESD_jNS1_19radix_merge_compareILb0ELb1EjNS0_19identity_decomposerEEEEE10hipError_tT0_T1_T2_jT3_P12ihipStream_tbPNSt15iterator_traitsISI_E10value_typeEPNSO_ISJ_E10value_typeEPSK_NS1_7vsmem_tEENKUlT_SI_SJ_SK_E_clIPjSD_S10_SD_EESH_SX_SI_SJ_SK_EUlSX_E1_NS1_11comp_targetILNS1_3genE9ELNS1_11target_archE1100ELNS1_3gpuE3ELNS1_3repE0EEENS1_36merge_oddeven_config_static_selectorELNS0_4arch9wavefront6targetE1EEEvSJ_
                                        ; -- End function
	.set _ZN7rocprim17ROCPRIM_400000_NS6detail17trampoline_kernelINS0_14default_configENS1_38merge_sort_block_merge_config_selectorIjjEEZZNS1_27merge_sort_block_merge_implIS3_N6thrust23THRUST_200600_302600_NS6detail15normal_iteratorINS8_10device_ptrIjEEEESD_jNS1_19radix_merge_compareILb0ELb1EjNS0_19identity_decomposerEEEEE10hipError_tT0_T1_T2_jT3_P12ihipStream_tbPNSt15iterator_traitsISI_E10value_typeEPNSO_ISJ_E10value_typeEPSK_NS1_7vsmem_tEENKUlT_SI_SJ_SK_E_clIPjSD_S10_SD_EESH_SX_SI_SJ_SK_EUlSX_E1_NS1_11comp_targetILNS1_3genE9ELNS1_11target_archE1100ELNS1_3gpuE3ELNS1_3repE0EEENS1_36merge_oddeven_config_static_selectorELNS0_4arch9wavefront6targetE1EEEvSJ_.num_vgpr, 0
	.set _ZN7rocprim17ROCPRIM_400000_NS6detail17trampoline_kernelINS0_14default_configENS1_38merge_sort_block_merge_config_selectorIjjEEZZNS1_27merge_sort_block_merge_implIS3_N6thrust23THRUST_200600_302600_NS6detail15normal_iteratorINS8_10device_ptrIjEEEESD_jNS1_19radix_merge_compareILb0ELb1EjNS0_19identity_decomposerEEEEE10hipError_tT0_T1_T2_jT3_P12ihipStream_tbPNSt15iterator_traitsISI_E10value_typeEPNSO_ISJ_E10value_typeEPSK_NS1_7vsmem_tEENKUlT_SI_SJ_SK_E_clIPjSD_S10_SD_EESH_SX_SI_SJ_SK_EUlSX_E1_NS1_11comp_targetILNS1_3genE9ELNS1_11target_archE1100ELNS1_3gpuE3ELNS1_3repE0EEENS1_36merge_oddeven_config_static_selectorELNS0_4arch9wavefront6targetE1EEEvSJ_.num_agpr, 0
	.set _ZN7rocprim17ROCPRIM_400000_NS6detail17trampoline_kernelINS0_14default_configENS1_38merge_sort_block_merge_config_selectorIjjEEZZNS1_27merge_sort_block_merge_implIS3_N6thrust23THRUST_200600_302600_NS6detail15normal_iteratorINS8_10device_ptrIjEEEESD_jNS1_19radix_merge_compareILb0ELb1EjNS0_19identity_decomposerEEEEE10hipError_tT0_T1_T2_jT3_P12ihipStream_tbPNSt15iterator_traitsISI_E10value_typeEPNSO_ISJ_E10value_typeEPSK_NS1_7vsmem_tEENKUlT_SI_SJ_SK_E_clIPjSD_S10_SD_EESH_SX_SI_SJ_SK_EUlSX_E1_NS1_11comp_targetILNS1_3genE9ELNS1_11target_archE1100ELNS1_3gpuE3ELNS1_3repE0EEENS1_36merge_oddeven_config_static_selectorELNS0_4arch9wavefront6targetE1EEEvSJ_.numbered_sgpr, 0
	.set _ZN7rocprim17ROCPRIM_400000_NS6detail17trampoline_kernelINS0_14default_configENS1_38merge_sort_block_merge_config_selectorIjjEEZZNS1_27merge_sort_block_merge_implIS3_N6thrust23THRUST_200600_302600_NS6detail15normal_iteratorINS8_10device_ptrIjEEEESD_jNS1_19radix_merge_compareILb0ELb1EjNS0_19identity_decomposerEEEEE10hipError_tT0_T1_T2_jT3_P12ihipStream_tbPNSt15iterator_traitsISI_E10value_typeEPNSO_ISJ_E10value_typeEPSK_NS1_7vsmem_tEENKUlT_SI_SJ_SK_E_clIPjSD_S10_SD_EESH_SX_SI_SJ_SK_EUlSX_E1_NS1_11comp_targetILNS1_3genE9ELNS1_11target_archE1100ELNS1_3gpuE3ELNS1_3repE0EEENS1_36merge_oddeven_config_static_selectorELNS0_4arch9wavefront6targetE1EEEvSJ_.num_named_barrier, 0
	.set _ZN7rocprim17ROCPRIM_400000_NS6detail17trampoline_kernelINS0_14default_configENS1_38merge_sort_block_merge_config_selectorIjjEEZZNS1_27merge_sort_block_merge_implIS3_N6thrust23THRUST_200600_302600_NS6detail15normal_iteratorINS8_10device_ptrIjEEEESD_jNS1_19radix_merge_compareILb0ELb1EjNS0_19identity_decomposerEEEEE10hipError_tT0_T1_T2_jT3_P12ihipStream_tbPNSt15iterator_traitsISI_E10value_typeEPNSO_ISJ_E10value_typeEPSK_NS1_7vsmem_tEENKUlT_SI_SJ_SK_E_clIPjSD_S10_SD_EESH_SX_SI_SJ_SK_EUlSX_E1_NS1_11comp_targetILNS1_3genE9ELNS1_11target_archE1100ELNS1_3gpuE3ELNS1_3repE0EEENS1_36merge_oddeven_config_static_selectorELNS0_4arch9wavefront6targetE1EEEvSJ_.private_seg_size, 0
	.set _ZN7rocprim17ROCPRIM_400000_NS6detail17trampoline_kernelINS0_14default_configENS1_38merge_sort_block_merge_config_selectorIjjEEZZNS1_27merge_sort_block_merge_implIS3_N6thrust23THRUST_200600_302600_NS6detail15normal_iteratorINS8_10device_ptrIjEEEESD_jNS1_19radix_merge_compareILb0ELb1EjNS0_19identity_decomposerEEEEE10hipError_tT0_T1_T2_jT3_P12ihipStream_tbPNSt15iterator_traitsISI_E10value_typeEPNSO_ISJ_E10value_typeEPSK_NS1_7vsmem_tEENKUlT_SI_SJ_SK_E_clIPjSD_S10_SD_EESH_SX_SI_SJ_SK_EUlSX_E1_NS1_11comp_targetILNS1_3genE9ELNS1_11target_archE1100ELNS1_3gpuE3ELNS1_3repE0EEENS1_36merge_oddeven_config_static_selectorELNS0_4arch9wavefront6targetE1EEEvSJ_.uses_vcc, 0
	.set _ZN7rocprim17ROCPRIM_400000_NS6detail17trampoline_kernelINS0_14default_configENS1_38merge_sort_block_merge_config_selectorIjjEEZZNS1_27merge_sort_block_merge_implIS3_N6thrust23THRUST_200600_302600_NS6detail15normal_iteratorINS8_10device_ptrIjEEEESD_jNS1_19radix_merge_compareILb0ELb1EjNS0_19identity_decomposerEEEEE10hipError_tT0_T1_T2_jT3_P12ihipStream_tbPNSt15iterator_traitsISI_E10value_typeEPNSO_ISJ_E10value_typeEPSK_NS1_7vsmem_tEENKUlT_SI_SJ_SK_E_clIPjSD_S10_SD_EESH_SX_SI_SJ_SK_EUlSX_E1_NS1_11comp_targetILNS1_3genE9ELNS1_11target_archE1100ELNS1_3gpuE3ELNS1_3repE0EEENS1_36merge_oddeven_config_static_selectorELNS0_4arch9wavefront6targetE1EEEvSJ_.uses_flat_scratch, 0
	.set _ZN7rocprim17ROCPRIM_400000_NS6detail17trampoline_kernelINS0_14default_configENS1_38merge_sort_block_merge_config_selectorIjjEEZZNS1_27merge_sort_block_merge_implIS3_N6thrust23THRUST_200600_302600_NS6detail15normal_iteratorINS8_10device_ptrIjEEEESD_jNS1_19radix_merge_compareILb0ELb1EjNS0_19identity_decomposerEEEEE10hipError_tT0_T1_T2_jT3_P12ihipStream_tbPNSt15iterator_traitsISI_E10value_typeEPNSO_ISJ_E10value_typeEPSK_NS1_7vsmem_tEENKUlT_SI_SJ_SK_E_clIPjSD_S10_SD_EESH_SX_SI_SJ_SK_EUlSX_E1_NS1_11comp_targetILNS1_3genE9ELNS1_11target_archE1100ELNS1_3gpuE3ELNS1_3repE0EEENS1_36merge_oddeven_config_static_selectorELNS0_4arch9wavefront6targetE1EEEvSJ_.has_dyn_sized_stack, 0
	.set _ZN7rocprim17ROCPRIM_400000_NS6detail17trampoline_kernelINS0_14default_configENS1_38merge_sort_block_merge_config_selectorIjjEEZZNS1_27merge_sort_block_merge_implIS3_N6thrust23THRUST_200600_302600_NS6detail15normal_iteratorINS8_10device_ptrIjEEEESD_jNS1_19radix_merge_compareILb0ELb1EjNS0_19identity_decomposerEEEEE10hipError_tT0_T1_T2_jT3_P12ihipStream_tbPNSt15iterator_traitsISI_E10value_typeEPNSO_ISJ_E10value_typeEPSK_NS1_7vsmem_tEENKUlT_SI_SJ_SK_E_clIPjSD_S10_SD_EESH_SX_SI_SJ_SK_EUlSX_E1_NS1_11comp_targetILNS1_3genE9ELNS1_11target_archE1100ELNS1_3gpuE3ELNS1_3repE0EEENS1_36merge_oddeven_config_static_selectorELNS0_4arch9wavefront6targetE1EEEvSJ_.has_recursion, 0
	.set _ZN7rocprim17ROCPRIM_400000_NS6detail17trampoline_kernelINS0_14default_configENS1_38merge_sort_block_merge_config_selectorIjjEEZZNS1_27merge_sort_block_merge_implIS3_N6thrust23THRUST_200600_302600_NS6detail15normal_iteratorINS8_10device_ptrIjEEEESD_jNS1_19radix_merge_compareILb0ELb1EjNS0_19identity_decomposerEEEEE10hipError_tT0_T1_T2_jT3_P12ihipStream_tbPNSt15iterator_traitsISI_E10value_typeEPNSO_ISJ_E10value_typeEPSK_NS1_7vsmem_tEENKUlT_SI_SJ_SK_E_clIPjSD_S10_SD_EESH_SX_SI_SJ_SK_EUlSX_E1_NS1_11comp_targetILNS1_3genE9ELNS1_11target_archE1100ELNS1_3gpuE3ELNS1_3repE0EEENS1_36merge_oddeven_config_static_selectorELNS0_4arch9wavefront6targetE1EEEvSJ_.has_indirect_call, 0
	.section	.AMDGPU.csdata,"",@progbits
; Kernel info:
; codeLenInByte = 0
; TotalNumSgprs: 6
; NumVgprs: 0
; NumAgprs: 0
; TotalNumVgprs: 0
; ScratchSize: 0
; MemoryBound: 0
; FloatMode: 240
; IeeeMode: 1
; LDSByteSize: 0 bytes/workgroup (compile time only)
; SGPRBlocks: 0
; VGPRBlocks: 0
; NumSGPRsForWavesPerEU: 6
; NumVGPRsForWavesPerEU: 1
; AccumOffset: 4
; Occupancy: 8
; WaveLimiterHint : 0
; COMPUTE_PGM_RSRC2:SCRATCH_EN: 0
; COMPUTE_PGM_RSRC2:USER_SGPR: 2
; COMPUTE_PGM_RSRC2:TRAP_HANDLER: 0
; COMPUTE_PGM_RSRC2:TGID_X_EN: 1
; COMPUTE_PGM_RSRC2:TGID_Y_EN: 0
; COMPUTE_PGM_RSRC2:TGID_Z_EN: 0
; COMPUTE_PGM_RSRC2:TIDIG_COMP_CNT: 0
; COMPUTE_PGM_RSRC3_GFX90A:ACCUM_OFFSET: 0
; COMPUTE_PGM_RSRC3_GFX90A:TG_SPLIT: 0
	.section	.text._ZN7rocprim17ROCPRIM_400000_NS6detail17trampoline_kernelINS0_14default_configENS1_38merge_sort_block_merge_config_selectorIjjEEZZNS1_27merge_sort_block_merge_implIS3_N6thrust23THRUST_200600_302600_NS6detail15normal_iteratorINS8_10device_ptrIjEEEESD_jNS1_19radix_merge_compareILb0ELb1EjNS0_19identity_decomposerEEEEE10hipError_tT0_T1_T2_jT3_P12ihipStream_tbPNSt15iterator_traitsISI_E10value_typeEPNSO_ISJ_E10value_typeEPSK_NS1_7vsmem_tEENKUlT_SI_SJ_SK_E_clIPjSD_S10_SD_EESH_SX_SI_SJ_SK_EUlSX_E1_NS1_11comp_targetILNS1_3genE8ELNS1_11target_archE1030ELNS1_3gpuE2ELNS1_3repE0EEENS1_36merge_oddeven_config_static_selectorELNS0_4arch9wavefront6targetE1EEEvSJ_,"axG",@progbits,_ZN7rocprim17ROCPRIM_400000_NS6detail17trampoline_kernelINS0_14default_configENS1_38merge_sort_block_merge_config_selectorIjjEEZZNS1_27merge_sort_block_merge_implIS3_N6thrust23THRUST_200600_302600_NS6detail15normal_iteratorINS8_10device_ptrIjEEEESD_jNS1_19radix_merge_compareILb0ELb1EjNS0_19identity_decomposerEEEEE10hipError_tT0_T1_T2_jT3_P12ihipStream_tbPNSt15iterator_traitsISI_E10value_typeEPNSO_ISJ_E10value_typeEPSK_NS1_7vsmem_tEENKUlT_SI_SJ_SK_E_clIPjSD_S10_SD_EESH_SX_SI_SJ_SK_EUlSX_E1_NS1_11comp_targetILNS1_3genE8ELNS1_11target_archE1030ELNS1_3gpuE2ELNS1_3repE0EEENS1_36merge_oddeven_config_static_selectorELNS0_4arch9wavefront6targetE1EEEvSJ_,comdat
	.protected	_ZN7rocprim17ROCPRIM_400000_NS6detail17trampoline_kernelINS0_14default_configENS1_38merge_sort_block_merge_config_selectorIjjEEZZNS1_27merge_sort_block_merge_implIS3_N6thrust23THRUST_200600_302600_NS6detail15normal_iteratorINS8_10device_ptrIjEEEESD_jNS1_19radix_merge_compareILb0ELb1EjNS0_19identity_decomposerEEEEE10hipError_tT0_T1_T2_jT3_P12ihipStream_tbPNSt15iterator_traitsISI_E10value_typeEPNSO_ISJ_E10value_typeEPSK_NS1_7vsmem_tEENKUlT_SI_SJ_SK_E_clIPjSD_S10_SD_EESH_SX_SI_SJ_SK_EUlSX_E1_NS1_11comp_targetILNS1_3genE8ELNS1_11target_archE1030ELNS1_3gpuE2ELNS1_3repE0EEENS1_36merge_oddeven_config_static_selectorELNS0_4arch9wavefront6targetE1EEEvSJ_ ; -- Begin function _ZN7rocprim17ROCPRIM_400000_NS6detail17trampoline_kernelINS0_14default_configENS1_38merge_sort_block_merge_config_selectorIjjEEZZNS1_27merge_sort_block_merge_implIS3_N6thrust23THRUST_200600_302600_NS6detail15normal_iteratorINS8_10device_ptrIjEEEESD_jNS1_19radix_merge_compareILb0ELb1EjNS0_19identity_decomposerEEEEE10hipError_tT0_T1_T2_jT3_P12ihipStream_tbPNSt15iterator_traitsISI_E10value_typeEPNSO_ISJ_E10value_typeEPSK_NS1_7vsmem_tEENKUlT_SI_SJ_SK_E_clIPjSD_S10_SD_EESH_SX_SI_SJ_SK_EUlSX_E1_NS1_11comp_targetILNS1_3genE8ELNS1_11target_archE1030ELNS1_3gpuE2ELNS1_3repE0EEENS1_36merge_oddeven_config_static_selectorELNS0_4arch9wavefront6targetE1EEEvSJ_
	.globl	_ZN7rocprim17ROCPRIM_400000_NS6detail17trampoline_kernelINS0_14default_configENS1_38merge_sort_block_merge_config_selectorIjjEEZZNS1_27merge_sort_block_merge_implIS3_N6thrust23THRUST_200600_302600_NS6detail15normal_iteratorINS8_10device_ptrIjEEEESD_jNS1_19radix_merge_compareILb0ELb1EjNS0_19identity_decomposerEEEEE10hipError_tT0_T1_T2_jT3_P12ihipStream_tbPNSt15iterator_traitsISI_E10value_typeEPNSO_ISJ_E10value_typeEPSK_NS1_7vsmem_tEENKUlT_SI_SJ_SK_E_clIPjSD_S10_SD_EESH_SX_SI_SJ_SK_EUlSX_E1_NS1_11comp_targetILNS1_3genE8ELNS1_11target_archE1030ELNS1_3gpuE2ELNS1_3repE0EEENS1_36merge_oddeven_config_static_selectorELNS0_4arch9wavefront6targetE1EEEvSJ_
	.p2align	8
	.type	_ZN7rocprim17ROCPRIM_400000_NS6detail17trampoline_kernelINS0_14default_configENS1_38merge_sort_block_merge_config_selectorIjjEEZZNS1_27merge_sort_block_merge_implIS3_N6thrust23THRUST_200600_302600_NS6detail15normal_iteratorINS8_10device_ptrIjEEEESD_jNS1_19radix_merge_compareILb0ELb1EjNS0_19identity_decomposerEEEEE10hipError_tT0_T1_T2_jT3_P12ihipStream_tbPNSt15iterator_traitsISI_E10value_typeEPNSO_ISJ_E10value_typeEPSK_NS1_7vsmem_tEENKUlT_SI_SJ_SK_E_clIPjSD_S10_SD_EESH_SX_SI_SJ_SK_EUlSX_E1_NS1_11comp_targetILNS1_3genE8ELNS1_11target_archE1030ELNS1_3gpuE2ELNS1_3repE0EEENS1_36merge_oddeven_config_static_selectorELNS0_4arch9wavefront6targetE1EEEvSJ_,@function
_ZN7rocprim17ROCPRIM_400000_NS6detail17trampoline_kernelINS0_14default_configENS1_38merge_sort_block_merge_config_selectorIjjEEZZNS1_27merge_sort_block_merge_implIS3_N6thrust23THRUST_200600_302600_NS6detail15normal_iteratorINS8_10device_ptrIjEEEESD_jNS1_19radix_merge_compareILb0ELb1EjNS0_19identity_decomposerEEEEE10hipError_tT0_T1_T2_jT3_P12ihipStream_tbPNSt15iterator_traitsISI_E10value_typeEPNSO_ISJ_E10value_typeEPSK_NS1_7vsmem_tEENKUlT_SI_SJ_SK_E_clIPjSD_S10_SD_EESH_SX_SI_SJ_SK_EUlSX_E1_NS1_11comp_targetILNS1_3genE8ELNS1_11target_archE1030ELNS1_3gpuE2ELNS1_3repE0EEENS1_36merge_oddeven_config_static_selectorELNS0_4arch9wavefront6targetE1EEEvSJ_: ; @_ZN7rocprim17ROCPRIM_400000_NS6detail17trampoline_kernelINS0_14default_configENS1_38merge_sort_block_merge_config_selectorIjjEEZZNS1_27merge_sort_block_merge_implIS3_N6thrust23THRUST_200600_302600_NS6detail15normal_iteratorINS8_10device_ptrIjEEEESD_jNS1_19radix_merge_compareILb0ELb1EjNS0_19identity_decomposerEEEEE10hipError_tT0_T1_T2_jT3_P12ihipStream_tbPNSt15iterator_traitsISI_E10value_typeEPNSO_ISJ_E10value_typeEPSK_NS1_7vsmem_tEENKUlT_SI_SJ_SK_E_clIPjSD_S10_SD_EESH_SX_SI_SJ_SK_EUlSX_E1_NS1_11comp_targetILNS1_3genE8ELNS1_11target_archE1030ELNS1_3gpuE2ELNS1_3repE0EEENS1_36merge_oddeven_config_static_selectorELNS0_4arch9wavefront6targetE1EEEvSJ_
; %bb.0:
	.section	.rodata,"a",@progbits
	.p2align	6, 0x0
	.amdhsa_kernel _ZN7rocprim17ROCPRIM_400000_NS6detail17trampoline_kernelINS0_14default_configENS1_38merge_sort_block_merge_config_selectorIjjEEZZNS1_27merge_sort_block_merge_implIS3_N6thrust23THRUST_200600_302600_NS6detail15normal_iteratorINS8_10device_ptrIjEEEESD_jNS1_19radix_merge_compareILb0ELb1EjNS0_19identity_decomposerEEEEE10hipError_tT0_T1_T2_jT3_P12ihipStream_tbPNSt15iterator_traitsISI_E10value_typeEPNSO_ISJ_E10value_typeEPSK_NS1_7vsmem_tEENKUlT_SI_SJ_SK_E_clIPjSD_S10_SD_EESH_SX_SI_SJ_SK_EUlSX_E1_NS1_11comp_targetILNS1_3genE8ELNS1_11target_archE1030ELNS1_3gpuE2ELNS1_3repE0EEENS1_36merge_oddeven_config_static_selectorELNS0_4arch9wavefront6targetE1EEEvSJ_
		.amdhsa_group_segment_fixed_size 0
		.amdhsa_private_segment_fixed_size 0
		.amdhsa_kernarg_size 48
		.amdhsa_user_sgpr_count 2
		.amdhsa_user_sgpr_dispatch_ptr 0
		.amdhsa_user_sgpr_queue_ptr 0
		.amdhsa_user_sgpr_kernarg_segment_ptr 1
		.amdhsa_user_sgpr_dispatch_id 0
		.amdhsa_user_sgpr_kernarg_preload_length 0
		.amdhsa_user_sgpr_kernarg_preload_offset 0
		.amdhsa_user_sgpr_private_segment_size 0
		.amdhsa_uses_dynamic_stack 0
		.amdhsa_enable_private_segment 0
		.amdhsa_system_sgpr_workgroup_id_x 1
		.amdhsa_system_sgpr_workgroup_id_y 0
		.amdhsa_system_sgpr_workgroup_id_z 0
		.amdhsa_system_sgpr_workgroup_info 0
		.amdhsa_system_vgpr_workitem_id 0
		.amdhsa_next_free_vgpr 1
		.amdhsa_next_free_sgpr 0
		.amdhsa_accum_offset 4
		.amdhsa_reserve_vcc 0
		.amdhsa_float_round_mode_32 0
		.amdhsa_float_round_mode_16_64 0
		.amdhsa_float_denorm_mode_32 3
		.amdhsa_float_denorm_mode_16_64 3
		.amdhsa_dx10_clamp 1
		.amdhsa_ieee_mode 1
		.amdhsa_fp16_overflow 0
		.amdhsa_tg_split 0
		.amdhsa_exception_fp_ieee_invalid_op 0
		.amdhsa_exception_fp_denorm_src 0
		.amdhsa_exception_fp_ieee_div_zero 0
		.amdhsa_exception_fp_ieee_overflow 0
		.amdhsa_exception_fp_ieee_underflow 0
		.amdhsa_exception_fp_ieee_inexact 0
		.amdhsa_exception_int_div_zero 0
	.end_amdhsa_kernel
	.section	.text._ZN7rocprim17ROCPRIM_400000_NS6detail17trampoline_kernelINS0_14default_configENS1_38merge_sort_block_merge_config_selectorIjjEEZZNS1_27merge_sort_block_merge_implIS3_N6thrust23THRUST_200600_302600_NS6detail15normal_iteratorINS8_10device_ptrIjEEEESD_jNS1_19radix_merge_compareILb0ELb1EjNS0_19identity_decomposerEEEEE10hipError_tT0_T1_T2_jT3_P12ihipStream_tbPNSt15iterator_traitsISI_E10value_typeEPNSO_ISJ_E10value_typeEPSK_NS1_7vsmem_tEENKUlT_SI_SJ_SK_E_clIPjSD_S10_SD_EESH_SX_SI_SJ_SK_EUlSX_E1_NS1_11comp_targetILNS1_3genE8ELNS1_11target_archE1030ELNS1_3gpuE2ELNS1_3repE0EEENS1_36merge_oddeven_config_static_selectorELNS0_4arch9wavefront6targetE1EEEvSJ_,"axG",@progbits,_ZN7rocprim17ROCPRIM_400000_NS6detail17trampoline_kernelINS0_14default_configENS1_38merge_sort_block_merge_config_selectorIjjEEZZNS1_27merge_sort_block_merge_implIS3_N6thrust23THRUST_200600_302600_NS6detail15normal_iteratorINS8_10device_ptrIjEEEESD_jNS1_19radix_merge_compareILb0ELb1EjNS0_19identity_decomposerEEEEE10hipError_tT0_T1_T2_jT3_P12ihipStream_tbPNSt15iterator_traitsISI_E10value_typeEPNSO_ISJ_E10value_typeEPSK_NS1_7vsmem_tEENKUlT_SI_SJ_SK_E_clIPjSD_S10_SD_EESH_SX_SI_SJ_SK_EUlSX_E1_NS1_11comp_targetILNS1_3genE8ELNS1_11target_archE1030ELNS1_3gpuE2ELNS1_3repE0EEENS1_36merge_oddeven_config_static_selectorELNS0_4arch9wavefront6targetE1EEEvSJ_,comdat
.Lfunc_end699:
	.size	_ZN7rocprim17ROCPRIM_400000_NS6detail17trampoline_kernelINS0_14default_configENS1_38merge_sort_block_merge_config_selectorIjjEEZZNS1_27merge_sort_block_merge_implIS3_N6thrust23THRUST_200600_302600_NS6detail15normal_iteratorINS8_10device_ptrIjEEEESD_jNS1_19radix_merge_compareILb0ELb1EjNS0_19identity_decomposerEEEEE10hipError_tT0_T1_T2_jT3_P12ihipStream_tbPNSt15iterator_traitsISI_E10value_typeEPNSO_ISJ_E10value_typeEPSK_NS1_7vsmem_tEENKUlT_SI_SJ_SK_E_clIPjSD_S10_SD_EESH_SX_SI_SJ_SK_EUlSX_E1_NS1_11comp_targetILNS1_3genE8ELNS1_11target_archE1030ELNS1_3gpuE2ELNS1_3repE0EEENS1_36merge_oddeven_config_static_selectorELNS0_4arch9wavefront6targetE1EEEvSJ_, .Lfunc_end699-_ZN7rocprim17ROCPRIM_400000_NS6detail17trampoline_kernelINS0_14default_configENS1_38merge_sort_block_merge_config_selectorIjjEEZZNS1_27merge_sort_block_merge_implIS3_N6thrust23THRUST_200600_302600_NS6detail15normal_iteratorINS8_10device_ptrIjEEEESD_jNS1_19radix_merge_compareILb0ELb1EjNS0_19identity_decomposerEEEEE10hipError_tT0_T1_T2_jT3_P12ihipStream_tbPNSt15iterator_traitsISI_E10value_typeEPNSO_ISJ_E10value_typeEPSK_NS1_7vsmem_tEENKUlT_SI_SJ_SK_E_clIPjSD_S10_SD_EESH_SX_SI_SJ_SK_EUlSX_E1_NS1_11comp_targetILNS1_3genE8ELNS1_11target_archE1030ELNS1_3gpuE2ELNS1_3repE0EEENS1_36merge_oddeven_config_static_selectorELNS0_4arch9wavefront6targetE1EEEvSJ_
                                        ; -- End function
	.set _ZN7rocprim17ROCPRIM_400000_NS6detail17trampoline_kernelINS0_14default_configENS1_38merge_sort_block_merge_config_selectorIjjEEZZNS1_27merge_sort_block_merge_implIS3_N6thrust23THRUST_200600_302600_NS6detail15normal_iteratorINS8_10device_ptrIjEEEESD_jNS1_19radix_merge_compareILb0ELb1EjNS0_19identity_decomposerEEEEE10hipError_tT0_T1_T2_jT3_P12ihipStream_tbPNSt15iterator_traitsISI_E10value_typeEPNSO_ISJ_E10value_typeEPSK_NS1_7vsmem_tEENKUlT_SI_SJ_SK_E_clIPjSD_S10_SD_EESH_SX_SI_SJ_SK_EUlSX_E1_NS1_11comp_targetILNS1_3genE8ELNS1_11target_archE1030ELNS1_3gpuE2ELNS1_3repE0EEENS1_36merge_oddeven_config_static_selectorELNS0_4arch9wavefront6targetE1EEEvSJ_.num_vgpr, 0
	.set _ZN7rocprim17ROCPRIM_400000_NS6detail17trampoline_kernelINS0_14default_configENS1_38merge_sort_block_merge_config_selectorIjjEEZZNS1_27merge_sort_block_merge_implIS3_N6thrust23THRUST_200600_302600_NS6detail15normal_iteratorINS8_10device_ptrIjEEEESD_jNS1_19radix_merge_compareILb0ELb1EjNS0_19identity_decomposerEEEEE10hipError_tT0_T1_T2_jT3_P12ihipStream_tbPNSt15iterator_traitsISI_E10value_typeEPNSO_ISJ_E10value_typeEPSK_NS1_7vsmem_tEENKUlT_SI_SJ_SK_E_clIPjSD_S10_SD_EESH_SX_SI_SJ_SK_EUlSX_E1_NS1_11comp_targetILNS1_3genE8ELNS1_11target_archE1030ELNS1_3gpuE2ELNS1_3repE0EEENS1_36merge_oddeven_config_static_selectorELNS0_4arch9wavefront6targetE1EEEvSJ_.num_agpr, 0
	.set _ZN7rocprim17ROCPRIM_400000_NS6detail17trampoline_kernelINS0_14default_configENS1_38merge_sort_block_merge_config_selectorIjjEEZZNS1_27merge_sort_block_merge_implIS3_N6thrust23THRUST_200600_302600_NS6detail15normal_iteratorINS8_10device_ptrIjEEEESD_jNS1_19radix_merge_compareILb0ELb1EjNS0_19identity_decomposerEEEEE10hipError_tT0_T1_T2_jT3_P12ihipStream_tbPNSt15iterator_traitsISI_E10value_typeEPNSO_ISJ_E10value_typeEPSK_NS1_7vsmem_tEENKUlT_SI_SJ_SK_E_clIPjSD_S10_SD_EESH_SX_SI_SJ_SK_EUlSX_E1_NS1_11comp_targetILNS1_3genE8ELNS1_11target_archE1030ELNS1_3gpuE2ELNS1_3repE0EEENS1_36merge_oddeven_config_static_selectorELNS0_4arch9wavefront6targetE1EEEvSJ_.numbered_sgpr, 0
	.set _ZN7rocprim17ROCPRIM_400000_NS6detail17trampoline_kernelINS0_14default_configENS1_38merge_sort_block_merge_config_selectorIjjEEZZNS1_27merge_sort_block_merge_implIS3_N6thrust23THRUST_200600_302600_NS6detail15normal_iteratorINS8_10device_ptrIjEEEESD_jNS1_19radix_merge_compareILb0ELb1EjNS0_19identity_decomposerEEEEE10hipError_tT0_T1_T2_jT3_P12ihipStream_tbPNSt15iterator_traitsISI_E10value_typeEPNSO_ISJ_E10value_typeEPSK_NS1_7vsmem_tEENKUlT_SI_SJ_SK_E_clIPjSD_S10_SD_EESH_SX_SI_SJ_SK_EUlSX_E1_NS1_11comp_targetILNS1_3genE8ELNS1_11target_archE1030ELNS1_3gpuE2ELNS1_3repE0EEENS1_36merge_oddeven_config_static_selectorELNS0_4arch9wavefront6targetE1EEEvSJ_.num_named_barrier, 0
	.set _ZN7rocprim17ROCPRIM_400000_NS6detail17trampoline_kernelINS0_14default_configENS1_38merge_sort_block_merge_config_selectorIjjEEZZNS1_27merge_sort_block_merge_implIS3_N6thrust23THRUST_200600_302600_NS6detail15normal_iteratorINS8_10device_ptrIjEEEESD_jNS1_19radix_merge_compareILb0ELb1EjNS0_19identity_decomposerEEEEE10hipError_tT0_T1_T2_jT3_P12ihipStream_tbPNSt15iterator_traitsISI_E10value_typeEPNSO_ISJ_E10value_typeEPSK_NS1_7vsmem_tEENKUlT_SI_SJ_SK_E_clIPjSD_S10_SD_EESH_SX_SI_SJ_SK_EUlSX_E1_NS1_11comp_targetILNS1_3genE8ELNS1_11target_archE1030ELNS1_3gpuE2ELNS1_3repE0EEENS1_36merge_oddeven_config_static_selectorELNS0_4arch9wavefront6targetE1EEEvSJ_.private_seg_size, 0
	.set _ZN7rocprim17ROCPRIM_400000_NS6detail17trampoline_kernelINS0_14default_configENS1_38merge_sort_block_merge_config_selectorIjjEEZZNS1_27merge_sort_block_merge_implIS3_N6thrust23THRUST_200600_302600_NS6detail15normal_iteratorINS8_10device_ptrIjEEEESD_jNS1_19radix_merge_compareILb0ELb1EjNS0_19identity_decomposerEEEEE10hipError_tT0_T1_T2_jT3_P12ihipStream_tbPNSt15iterator_traitsISI_E10value_typeEPNSO_ISJ_E10value_typeEPSK_NS1_7vsmem_tEENKUlT_SI_SJ_SK_E_clIPjSD_S10_SD_EESH_SX_SI_SJ_SK_EUlSX_E1_NS1_11comp_targetILNS1_3genE8ELNS1_11target_archE1030ELNS1_3gpuE2ELNS1_3repE0EEENS1_36merge_oddeven_config_static_selectorELNS0_4arch9wavefront6targetE1EEEvSJ_.uses_vcc, 0
	.set _ZN7rocprim17ROCPRIM_400000_NS6detail17trampoline_kernelINS0_14default_configENS1_38merge_sort_block_merge_config_selectorIjjEEZZNS1_27merge_sort_block_merge_implIS3_N6thrust23THRUST_200600_302600_NS6detail15normal_iteratorINS8_10device_ptrIjEEEESD_jNS1_19radix_merge_compareILb0ELb1EjNS0_19identity_decomposerEEEEE10hipError_tT0_T1_T2_jT3_P12ihipStream_tbPNSt15iterator_traitsISI_E10value_typeEPNSO_ISJ_E10value_typeEPSK_NS1_7vsmem_tEENKUlT_SI_SJ_SK_E_clIPjSD_S10_SD_EESH_SX_SI_SJ_SK_EUlSX_E1_NS1_11comp_targetILNS1_3genE8ELNS1_11target_archE1030ELNS1_3gpuE2ELNS1_3repE0EEENS1_36merge_oddeven_config_static_selectorELNS0_4arch9wavefront6targetE1EEEvSJ_.uses_flat_scratch, 0
	.set _ZN7rocprim17ROCPRIM_400000_NS6detail17trampoline_kernelINS0_14default_configENS1_38merge_sort_block_merge_config_selectorIjjEEZZNS1_27merge_sort_block_merge_implIS3_N6thrust23THRUST_200600_302600_NS6detail15normal_iteratorINS8_10device_ptrIjEEEESD_jNS1_19radix_merge_compareILb0ELb1EjNS0_19identity_decomposerEEEEE10hipError_tT0_T1_T2_jT3_P12ihipStream_tbPNSt15iterator_traitsISI_E10value_typeEPNSO_ISJ_E10value_typeEPSK_NS1_7vsmem_tEENKUlT_SI_SJ_SK_E_clIPjSD_S10_SD_EESH_SX_SI_SJ_SK_EUlSX_E1_NS1_11comp_targetILNS1_3genE8ELNS1_11target_archE1030ELNS1_3gpuE2ELNS1_3repE0EEENS1_36merge_oddeven_config_static_selectorELNS0_4arch9wavefront6targetE1EEEvSJ_.has_dyn_sized_stack, 0
	.set _ZN7rocprim17ROCPRIM_400000_NS6detail17trampoline_kernelINS0_14default_configENS1_38merge_sort_block_merge_config_selectorIjjEEZZNS1_27merge_sort_block_merge_implIS3_N6thrust23THRUST_200600_302600_NS6detail15normal_iteratorINS8_10device_ptrIjEEEESD_jNS1_19radix_merge_compareILb0ELb1EjNS0_19identity_decomposerEEEEE10hipError_tT0_T1_T2_jT3_P12ihipStream_tbPNSt15iterator_traitsISI_E10value_typeEPNSO_ISJ_E10value_typeEPSK_NS1_7vsmem_tEENKUlT_SI_SJ_SK_E_clIPjSD_S10_SD_EESH_SX_SI_SJ_SK_EUlSX_E1_NS1_11comp_targetILNS1_3genE8ELNS1_11target_archE1030ELNS1_3gpuE2ELNS1_3repE0EEENS1_36merge_oddeven_config_static_selectorELNS0_4arch9wavefront6targetE1EEEvSJ_.has_recursion, 0
	.set _ZN7rocprim17ROCPRIM_400000_NS6detail17trampoline_kernelINS0_14default_configENS1_38merge_sort_block_merge_config_selectorIjjEEZZNS1_27merge_sort_block_merge_implIS3_N6thrust23THRUST_200600_302600_NS6detail15normal_iteratorINS8_10device_ptrIjEEEESD_jNS1_19radix_merge_compareILb0ELb1EjNS0_19identity_decomposerEEEEE10hipError_tT0_T1_T2_jT3_P12ihipStream_tbPNSt15iterator_traitsISI_E10value_typeEPNSO_ISJ_E10value_typeEPSK_NS1_7vsmem_tEENKUlT_SI_SJ_SK_E_clIPjSD_S10_SD_EESH_SX_SI_SJ_SK_EUlSX_E1_NS1_11comp_targetILNS1_3genE8ELNS1_11target_archE1030ELNS1_3gpuE2ELNS1_3repE0EEENS1_36merge_oddeven_config_static_selectorELNS0_4arch9wavefront6targetE1EEEvSJ_.has_indirect_call, 0
	.section	.AMDGPU.csdata,"",@progbits
; Kernel info:
; codeLenInByte = 0
; TotalNumSgprs: 6
; NumVgprs: 0
; NumAgprs: 0
; TotalNumVgprs: 0
; ScratchSize: 0
; MemoryBound: 0
; FloatMode: 240
; IeeeMode: 1
; LDSByteSize: 0 bytes/workgroup (compile time only)
; SGPRBlocks: 0
; VGPRBlocks: 0
; NumSGPRsForWavesPerEU: 6
; NumVGPRsForWavesPerEU: 1
; AccumOffset: 4
; Occupancy: 8
; WaveLimiterHint : 0
; COMPUTE_PGM_RSRC2:SCRATCH_EN: 0
; COMPUTE_PGM_RSRC2:USER_SGPR: 2
; COMPUTE_PGM_RSRC2:TRAP_HANDLER: 0
; COMPUTE_PGM_RSRC2:TGID_X_EN: 1
; COMPUTE_PGM_RSRC2:TGID_Y_EN: 0
; COMPUTE_PGM_RSRC2:TGID_Z_EN: 0
; COMPUTE_PGM_RSRC2:TIDIG_COMP_CNT: 0
; COMPUTE_PGM_RSRC3_GFX90A:ACCUM_OFFSET: 0
; COMPUTE_PGM_RSRC3_GFX90A:TG_SPLIT: 0
	.section	.text._ZN7rocprim17ROCPRIM_400000_NS6detail17trampoline_kernelINS0_14default_configENS1_38merge_sort_block_merge_config_selectorIjjEEZZNS1_27merge_sort_block_merge_implIS3_N6thrust23THRUST_200600_302600_NS6detail15normal_iteratorINS8_10device_ptrIjEEEESD_jNS1_19radix_merge_compareILb0ELb1EjNS0_19identity_decomposerEEEEE10hipError_tT0_T1_T2_jT3_P12ihipStream_tbPNSt15iterator_traitsISI_E10value_typeEPNSO_ISJ_E10value_typeEPSK_NS1_7vsmem_tEENKUlT_SI_SJ_SK_E_clISD_PjSD_S10_EESH_SX_SI_SJ_SK_EUlSX_E_NS1_11comp_targetILNS1_3genE0ELNS1_11target_archE4294967295ELNS1_3gpuE0ELNS1_3repE0EEENS1_48merge_mergepath_partition_config_static_selectorELNS0_4arch9wavefront6targetE1EEEvSJ_,"axG",@progbits,_ZN7rocprim17ROCPRIM_400000_NS6detail17trampoline_kernelINS0_14default_configENS1_38merge_sort_block_merge_config_selectorIjjEEZZNS1_27merge_sort_block_merge_implIS3_N6thrust23THRUST_200600_302600_NS6detail15normal_iteratorINS8_10device_ptrIjEEEESD_jNS1_19radix_merge_compareILb0ELb1EjNS0_19identity_decomposerEEEEE10hipError_tT0_T1_T2_jT3_P12ihipStream_tbPNSt15iterator_traitsISI_E10value_typeEPNSO_ISJ_E10value_typeEPSK_NS1_7vsmem_tEENKUlT_SI_SJ_SK_E_clISD_PjSD_S10_EESH_SX_SI_SJ_SK_EUlSX_E_NS1_11comp_targetILNS1_3genE0ELNS1_11target_archE4294967295ELNS1_3gpuE0ELNS1_3repE0EEENS1_48merge_mergepath_partition_config_static_selectorELNS0_4arch9wavefront6targetE1EEEvSJ_,comdat
	.protected	_ZN7rocprim17ROCPRIM_400000_NS6detail17trampoline_kernelINS0_14default_configENS1_38merge_sort_block_merge_config_selectorIjjEEZZNS1_27merge_sort_block_merge_implIS3_N6thrust23THRUST_200600_302600_NS6detail15normal_iteratorINS8_10device_ptrIjEEEESD_jNS1_19radix_merge_compareILb0ELb1EjNS0_19identity_decomposerEEEEE10hipError_tT0_T1_T2_jT3_P12ihipStream_tbPNSt15iterator_traitsISI_E10value_typeEPNSO_ISJ_E10value_typeEPSK_NS1_7vsmem_tEENKUlT_SI_SJ_SK_E_clISD_PjSD_S10_EESH_SX_SI_SJ_SK_EUlSX_E_NS1_11comp_targetILNS1_3genE0ELNS1_11target_archE4294967295ELNS1_3gpuE0ELNS1_3repE0EEENS1_48merge_mergepath_partition_config_static_selectorELNS0_4arch9wavefront6targetE1EEEvSJ_ ; -- Begin function _ZN7rocprim17ROCPRIM_400000_NS6detail17trampoline_kernelINS0_14default_configENS1_38merge_sort_block_merge_config_selectorIjjEEZZNS1_27merge_sort_block_merge_implIS3_N6thrust23THRUST_200600_302600_NS6detail15normal_iteratorINS8_10device_ptrIjEEEESD_jNS1_19radix_merge_compareILb0ELb1EjNS0_19identity_decomposerEEEEE10hipError_tT0_T1_T2_jT3_P12ihipStream_tbPNSt15iterator_traitsISI_E10value_typeEPNSO_ISJ_E10value_typeEPSK_NS1_7vsmem_tEENKUlT_SI_SJ_SK_E_clISD_PjSD_S10_EESH_SX_SI_SJ_SK_EUlSX_E_NS1_11comp_targetILNS1_3genE0ELNS1_11target_archE4294967295ELNS1_3gpuE0ELNS1_3repE0EEENS1_48merge_mergepath_partition_config_static_selectorELNS0_4arch9wavefront6targetE1EEEvSJ_
	.globl	_ZN7rocprim17ROCPRIM_400000_NS6detail17trampoline_kernelINS0_14default_configENS1_38merge_sort_block_merge_config_selectorIjjEEZZNS1_27merge_sort_block_merge_implIS3_N6thrust23THRUST_200600_302600_NS6detail15normal_iteratorINS8_10device_ptrIjEEEESD_jNS1_19radix_merge_compareILb0ELb1EjNS0_19identity_decomposerEEEEE10hipError_tT0_T1_T2_jT3_P12ihipStream_tbPNSt15iterator_traitsISI_E10value_typeEPNSO_ISJ_E10value_typeEPSK_NS1_7vsmem_tEENKUlT_SI_SJ_SK_E_clISD_PjSD_S10_EESH_SX_SI_SJ_SK_EUlSX_E_NS1_11comp_targetILNS1_3genE0ELNS1_11target_archE4294967295ELNS1_3gpuE0ELNS1_3repE0EEENS1_48merge_mergepath_partition_config_static_selectorELNS0_4arch9wavefront6targetE1EEEvSJ_
	.p2align	8
	.type	_ZN7rocprim17ROCPRIM_400000_NS6detail17trampoline_kernelINS0_14default_configENS1_38merge_sort_block_merge_config_selectorIjjEEZZNS1_27merge_sort_block_merge_implIS3_N6thrust23THRUST_200600_302600_NS6detail15normal_iteratorINS8_10device_ptrIjEEEESD_jNS1_19radix_merge_compareILb0ELb1EjNS0_19identity_decomposerEEEEE10hipError_tT0_T1_T2_jT3_P12ihipStream_tbPNSt15iterator_traitsISI_E10value_typeEPNSO_ISJ_E10value_typeEPSK_NS1_7vsmem_tEENKUlT_SI_SJ_SK_E_clISD_PjSD_S10_EESH_SX_SI_SJ_SK_EUlSX_E_NS1_11comp_targetILNS1_3genE0ELNS1_11target_archE4294967295ELNS1_3gpuE0ELNS1_3repE0EEENS1_48merge_mergepath_partition_config_static_selectorELNS0_4arch9wavefront6targetE1EEEvSJ_,@function
_ZN7rocprim17ROCPRIM_400000_NS6detail17trampoline_kernelINS0_14default_configENS1_38merge_sort_block_merge_config_selectorIjjEEZZNS1_27merge_sort_block_merge_implIS3_N6thrust23THRUST_200600_302600_NS6detail15normal_iteratorINS8_10device_ptrIjEEEESD_jNS1_19radix_merge_compareILb0ELb1EjNS0_19identity_decomposerEEEEE10hipError_tT0_T1_T2_jT3_P12ihipStream_tbPNSt15iterator_traitsISI_E10value_typeEPNSO_ISJ_E10value_typeEPSK_NS1_7vsmem_tEENKUlT_SI_SJ_SK_E_clISD_PjSD_S10_EESH_SX_SI_SJ_SK_EUlSX_E_NS1_11comp_targetILNS1_3genE0ELNS1_11target_archE4294967295ELNS1_3gpuE0ELNS1_3repE0EEENS1_48merge_mergepath_partition_config_static_selectorELNS0_4arch9wavefront6targetE1EEEvSJ_: ; @_ZN7rocprim17ROCPRIM_400000_NS6detail17trampoline_kernelINS0_14default_configENS1_38merge_sort_block_merge_config_selectorIjjEEZZNS1_27merge_sort_block_merge_implIS3_N6thrust23THRUST_200600_302600_NS6detail15normal_iteratorINS8_10device_ptrIjEEEESD_jNS1_19radix_merge_compareILb0ELb1EjNS0_19identity_decomposerEEEEE10hipError_tT0_T1_T2_jT3_P12ihipStream_tbPNSt15iterator_traitsISI_E10value_typeEPNSO_ISJ_E10value_typeEPSK_NS1_7vsmem_tEENKUlT_SI_SJ_SK_E_clISD_PjSD_S10_EESH_SX_SI_SJ_SK_EUlSX_E_NS1_11comp_targetILNS1_3genE0ELNS1_11target_archE4294967295ELNS1_3gpuE0ELNS1_3repE0EEENS1_48merge_mergepath_partition_config_static_selectorELNS0_4arch9wavefront6targetE1EEEvSJ_
; %bb.0:
	s_load_dword s3, s[0:1], 0x0
	v_lshl_or_b32 v0, s2, 7, v0
	s_waitcnt lgkmcnt(0)
	v_cmp_gt_u32_e32 vcc, s3, v0
	s_and_saveexec_b64 s[2:3], vcc
	s_cbranch_execz .LBB700_6
; %bb.1:
	s_load_dwordx2 s[4:5], s[0:1], 0x4
	s_load_dwordx2 s[2:3], s[0:1], 0x20
	s_waitcnt lgkmcnt(0)
	s_lshr_b32 s6, s4, 9
	s_and_b32 s6, s6, 0x7ffffe
	s_add_i32 s7, s6, -1
	s_sub_i32 s6, 0, s6
	v_and_b32_e32 v1, s6, v0
	v_lshlrev_b32_e32 v1, 10, v1
	v_min_u32_e32 v2, s5, v1
	v_add_u32_e32 v1, s4, v1
	v_min_u32_e32 v4, s5, v1
	v_add_u32_e32 v1, s4, v4
	v_and_b32_e32 v3, s7, v0
	v_min_u32_e32 v1, s5, v1
	v_sub_u32_e32 v5, v1, v2
	v_lshlrev_b32_e32 v3, 10, v3
	v_min_u32_e32 v10, v5, v3
	v_sub_u32_e32 v3, v4, v2
	v_sub_u32_e32 v1, v1, v4
	v_sub_u32_e64 v1, v10, v1 clamp
	v_min_u32_e32 v11, v10, v3
	v_cmp_lt_u32_e32 vcc, v1, v11
	s_and_saveexec_b64 s[4:5], vcc
	s_cbranch_execz .LBB700_5
; %bb.2:
	s_load_dwordx2 s[8:9], s[0:1], 0x10
	s_load_dword s6, s[0:1], 0x18
	v_mov_b32_e32 v5, 0
	v_mov_b32_e32 v3, v5
	s_mov_b64 s[0:1], 0
	s_waitcnt lgkmcnt(0)
	v_lshl_add_u64 v[6:7], v[2:3], 2, s[8:9]
	v_lshl_add_u64 v[8:9], v[4:5], 2, s[8:9]
.LBB700_3:                              ; =>This Inner Loop Header: Depth=1
	v_add_u32_e32 v3, v11, v1
	v_lshrrev_b32_e32 v4, 1, v3
	v_mov_b32_e32 v13, v5
	v_xad_u32 v12, v4, -1, v10
	v_lshl_add_u64 v[14:15], v[4:5], 2, v[6:7]
	v_lshl_add_u64 v[12:13], v[12:13], 2, v[8:9]
	flat_load_dword v3, v[14:15]
	flat_load_dword v16, v[12:13]
	v_add_u32_e32 v12, 1, v4
	s_waitcnt vmcnt(0) lgkmcnt(0)
	v_and_b32_e32 v3, s6, v3
	v_and_b32_e32 v13, s6, v16
	v_cmp_gt_u32_e32 vcc, v3, v13
	s_nop 1
	v_cndmask_b32_e32 v11, v11, v4, vcc
	v_cndmask_b32_e32 v1, v12, v1, vcc
	v_cmp_ge_u32_e32 vcc, v1, v11
	s_or_b64 s[0:1], vcc, s[0:1]
	s_andn2_b64 exec, exec, s[0:1]
	s_cbranch_execnz .LBB700_3
; %bb.4:
	s_or_b64 exec, exec, s[0:1]
.LBB700_5:
	s_or_b64 exec, exec, s[4:5]
	v_add_u32_e32 v2, v1, v2
	v_mov_b32_e32 v1, 0
	v_lshl_add_u64 v[0:1], v[0:1], 2, s[2:3]
	global_store_dword v[0:1], v2, off
.LBB700_6:
	s_endpgm
	.section	.rodata,"a",@progbits
	.p2align	6, 0x0
	.amdhsa_kernel _ZN7rocprim17ROCPRIM_400000_NS6detail17trampoline_kernelINS0_14default_configENS1_38merge_sort_block_merge_config_selectorIjjEEZZNS1_27merge_sort_block_merge_implIS3_N6thrust23THRUST_200600_302600_NS6detail15normal_iteratorINS8_10device_ptrIjEEEESD_jNS1_19radix_merge_compareILb0ELb1EjNS0_19identity_decomposerEEEEE10hipError_tT0_T1_T2_jT3_P12ihipStream_tbPNSt15iterator_traitsISI_E10value_typeEPNSO_ISJ_E10value_typeEPSK_NS1_7vsmem_tEENKUlT_SI_SJ_SK_E_clISD_PjSD_S10_EESH_SX_SI_SJ_SK_EUlSX_E_NS1_11comp_targetILNS1_3genE0ELNS1_11target_archE4294967295ELNS1_3gpuE0ELNS1_3repE0EEENS1_48merge_mergepath_partition_config_static_selectorELNS0_4arch9wavefront6targetE1EEEvSJ_
		.amdhsa_group_segment_fixed_size 0
		.amdhsa_private_segment_fixed_size 0
		.amdhsa_kernarg_size 40
		.amdhsa_user_sgpr_count 2
		.amdhsa_user_sgpr_dispatch_ptr 0
		.amdhsa_user_sgpr_queue_ptr 0
		.amdhsa_user_sgpr_kernarg_segment_ptr 1
		.amdhsa_user_sgpr_dispatch_id 0
		.amdhsa_user_sgpr_kernarg_preload_length 0
		.amdhsa_user_sgpr_kernarg_preload_offset 0
		.amdhsa_user_sgpr_private_segment_size 0
		.amdhsa_uses_dynamic_stack 0
		.amdhsa_enable_private_segment 0
		.amdhsa_system_sgpr_workgroup_id_x 1
		.amdhsa_system_sgpr_workgroup_id_y 0
		.amdhsa_system_sgpr_workgroup_id_z 0
		.amdhsa_system_sgpr_workgroup_info 0
		.amdhsa_system_vgpr_workitem_id 0
		.amdhsa_next_free_vgpr 17
		.amdhsa_next_free_sgpr 10
		.amdhsa_accum_offset 20
		.amdhsa_reserve_vcc 1
		.amdhsa_float_round_mode_32 0
		.amdhsa_float_round_mode_16_64 0
		.amdhsa_float_denorm_mode_32 3
		.amdhsa_float_denorm_mode_16_64 3
		.amdhsa_dx10_clamp 1
		.amdhsa_ieee_mode 1
		.amdhsa_fp16_overflow 0
		.amdhsa_tg_split 0
		.amdhsa_exception_fp_ieee_invalid_op 0
		.amdhsa_exception_fp_denorm_src 0
		.amdhsa_exception_fp_ieee_div_zero 0
		.amdhsa_exception_fp_ieee_overflow 0
		.amdhsa_exception_fp_ieee_underflow 0
		.amdhsa_exception_fp_ieee_inexact 0
		.amdhsa_exception_int_div_zero 0
	.end_amdhsa_kernel
	.section	.text._ZN7rocprim17ROCPRIM_400000_NS6detail17trampoline_kernelINS0_14default_configENS1_38merge_sort_block_merge_config_selectorIjjEEZZNS1_27merge_sort_block_merge_implIS3_N6thrust23THRUST_200600_302600_NS6detail15normal_iteratorINS8_10device_ptrIjEEEESD_jNS1_19radix_merge_compareILb0ELb1EjNS0_19identity_decomposerEEEEE10hipError_tT0_T1_T2_jT3_P12ihipStream_tbPNSt15iterator_traitsISI_E10value_typeEPNSO_ISJ_E10value_typeEPSK_NS1_7vsmem_tEENKUlT_SI_SJ_SK_E_clISD_PjSD_S10_EESH_SX_SI_SJ_SK_EUlSX_E_NS1_11comp_targetILNS1_3genE0ELNS1_11target_archE4294967295ELNS1_3gpuE0ELNS1_3repE0EEENS1_48merge_mergepath_partition_config_static_selectorELNS0_4arch9wavefront6targetE1EEEvSJ_,"axG",@progbits,_ZN7rocprim17ROCPRIM_400000_NS6detail17trampoline_kernelINS0_14default_configENS1_38merge_sort_block_merge_config_selectorIjjEEZZNS1_27merge_sort_block_merge_implIS3_N6thrust23THRUST_200600_302600_NS6detail15normal_iteratorINS8_10device_ptrIjEEEESD_jNS1_19radix_merge_compareILb0ELb1EjNS0_19identity_decomposerEEEEE10hipError_tT0_T1_T2_jT3_P12ihipStream_tbPNSt15iterator_traitsISI_E10value_typeEPNSO_ISJ_E10value_typeEPSK_NS1_7vsmem_tEENKUlT_SI_SJ_SK_E_clISD_PjSD_S10_EESH_SX_SI_SJ_SK_EUlSX_E_NS1_11comp_targetILNS1_3genE0ELNS1_11target_archE4294967295ELNS1_3gpuE0ELNS1_3repE0EEENS1_48merge_mergepath_partition_config_static_selectorELNS0_4arch9wavefront6targetE1EEEvSJ_,comdat
.Lfunc_end700:
	.size	_ZN7rocprim17ROCPRIM_400000_NS6detail17trampoline_kernelINS0_14default_configENS1_38merge_sort_block_merge_config_selectorIjjEEZZNS1_27merge_sort_block_merge_implIS3_N6thrust23THRUST_200600_302600_NS6detail15normal_iteratorINS8_10device_ptrIjEEEESD_jNS1_19radix_merge_compareILb0ELb1EjNS0_19identity_decomposerEEEEE10hipError_tT0_T1_T2_jT3_P12ihipStream_tbPNSt15iterator_traitsISI_E10value_typeEPNSO_ISJ_E10value_typeEPSK_NS1_7vsmem_tEENKUlT_SI_SJ_SK_E_clISD_PjSD_S10_EESH_SX_SI_SJ_SK_EUlSX_E_NS1_11comp_targetILNS1_3genE0ELNS1_11target_archE4294967295ELNS1_3gpuE0ELNS1_3repE0EEENS1_48merge_mergepath_partition_config_static_selectorELNS0_4arch9wavefront6targetE1EEEvSJ_, .Lfunc_end700-_ZN7rocprim17ROCPRIM_400000_NS6detail17trampoline_kernelINS0_14default_configENS1_38merge_sort_block_merge_config_selectorIjjEEZZNS1_27merge_sort_block_merge_implIS3_N6thrust23THRUST_200600_302600_NS6detail15normal_iteratorINS8_10device_ptrIjEEEESD_jNS1_19radix_merge_compareILb0ELb1EjNS0_19identity_decomposerEEEEE10hipError_tT0_T1_T2_jT3_P12ihipStream_tbPNSt15iterator_traitsISI_E10value_typeEPNSO_ISJ_E10value_typeEPSK_NS1_7vsmem_tEENKUlT_SI_SJ_SK_E_clISD_PjSD_S10_EESH_SX_SI_SJ_SK_EUlSX_E_NS1_11comp_targetILNS1_3genE0ELNS1_11target_archE4294967295ELNS1_3gpuE0ELNS1_3repE0EEENS1_48merge_mergepath_partition_config_static_selectorELNS0_4arch9wavefront6targetE1EEEvSJ_
                                        ; -- End function
	.set _ZN7rocprim17ROCPRIM_400000_NS6detail17trampoline_kernelINS0_14default_configENS1_38merge_sort_block_merge_config_selectorIjjEEZZNS1_27merge_sort_block_merge_implIS3_N6thrust23THRUST_200600_302600_NS6detail15normal_iteratorINS8_10device_ptrIjEEEESD_jNS1_19radix_merge_compareILb0ELb1EjNS0_19identity_decomposerEEEEE10hipError_tT0_T1_T2_jT3_P12ihipStream_tbPNSt15iterator_traitsISI_E10value_typeEPNSO_ISJ_E10value_typeEPSK_NS1_7vsmem_tEENKUlT_SI_SJ_SK_E_clISD_PjSD_S10_EESH_SX_SI_SJ_SK_EUlSX_E_NS1_11comp_targetILNS1_3genE0ELNS1_11target_archE4294967295ELNS1_3gpuE0ELNS1_3repE0EEENS1_48merge_mergepath_partition_config_static_selectorELNS0_4arch9wavefront6targetE1EEEvSJ_.num_vgpr, 17
	.set _ZN7rocprim17ROCPRIM_400000_NS6detail17trampoline_kernelINS0_14default_configENS1_38merge_sort_block_merge_config_selectorIjjEEZZNS1_27merge_sort_block_merge_implIS3_N6thrust23THRUST_200600_302600_NS6detail15normal_iteratorINS8_10device_ptrIjEEEESD_jNS1_19radix_merge_compareILb0ELb1EjNS0_19identity_decomposerEEEEE10hipError_tT0_T1_T2_jT3_P12ihipStream_tbPNSt15iterator_traitsISI_E10value_typeEPNSO_ISJ_E10value_typeEPSK_NS1_7vsmem_tEENKUlT_SI_SJ_SK_E_clISD_PjSD_S10_EESH_SX_SI_SJ_SK_EUlSX_E_NS1_11comp_targetILNS1_3genE0ELNS1_11target_archE4294967295ELNS1_3gpuE0ELNS1_3repE0EEENS1_48merge_mergepath_partition_config_static_selectorELNS0_4arch9wavefront6targetE1EEEvSJ_.num_agpr, 0
	.set _ZN7rocprim17ROCPRIM_400000_NS6detail17trampoline_kernelINS0_14default_configENS1_38merge_sort_block_merge_config_selectorIjjEEZZNS1_27merge_sort_block_merge_implIS3_N6thrust23THRUST_200600_302600_NS6detail15normal_iteratorINS8_10device_ptrIjEEEESD_jNS1_19radix_merge_compareILb0ELb1EjNS0_19identity_decomposerEEEEE10hipError_tT0_T1_T2_jT3_P12ihipStream_tbPNSt15iterator_traitsISI_E10value_typeEPNSO_ISJ_E10value_typeEPSK_NS1_7vsmem_tEENKUlT_SI_SJ_SK_E_clISD_PjSD_S10_EESH_SX_SI_SJ_SK_EUlSX_E_NS1_11comp_targetILNS1_3genE0ELNS1_11target_archE4294967295ELNS1_3gpuE0ELNS1_3repE0EEENS1_48merge_mergepath_partition_config_static_selectorELNS0_4arch9wavefront6targetE1EEEvSJ_.numbered_sgpr, 10
	.set _ZN7rocprim17ROCPRIM_400000_NS6detail17trampoline_kernelINS0_14default_configENS1_38merge_sort_block_merge_config_selectorIjjEEZZNS1_27merge_sort_block_merge_implIS3_N6thrust23THRUST_200600_302600_NS6detail15normal_iteratorINS8_10device_ptrIjEEEESD_jNS1_19radix_merge_compareILb0ELb1EjNS0_19identity_decomposerEEEEE10hipError_tT0_T1_T2_jT3_P12ihipStream_tbPNSt15iterator_traitsISI_E10value_typeEPNSO_ISJ_E10value_typeEPSK_NS1_7vsmem_tEENKUlT_SI_SJ_SK_E_clISD_PjSD_S10_EESH_SX_SI_SJ_SK_EUlSX_E_NS1_11comp_targetILNS1_3genE0ELNS1_11target_archE4294967295ELNS1_3gpuE0ELNS1_3repE0EEENS1_48merge_mergepath_partition_config_static_selectorELNS0_4arch9wavefront6targetE1EEEvSJ_.num_named_barrier, 0
	.set _ZN7rocprim17ROCPRIM_400000_NS6detail17trampoline_kernelINS0_14default_configENS1_38merge_sort_block_merge_config_selectorIjjEEZZNS1_27merge_sort_block_merge_implIS3_N6thrust23THRUST_200600_302600_NS6detail15normal_iteratorINS8_10device_ptrIjEEEESD_jNS1_19radix_merge_compareILb0ELb1EjNS0_19identity_decomposerEEEEE10hipError_tT0_T1_T2_jT3_P12ihipStream_tbPNSt15iterator_traitsISI_E10value_typeEPNSO_ISJ_E10value_typeEPSK_NS1_7vsmem_tEENKUlT_SI_SJ_SK_E_clISD_PjSD_S10_EESH_SX_SI_SJ_SK_EUlSX_E_NS1_11comp_targetILNS1_3genE0ELNS1_11target_archE4294967295ELNS1_3gpuE0ELNS1_3repE0EEENS1_48merge_mergepath_partition_config_static_selectorELNS0_4arch9wavefront6targetE1EEEvSJ_.private_seg_size, 0
	.set _ZN7rocprim17ROCPRIM_400000_NS6detail17trampoline_kernelINS0_14default_configENS1_38merge_sort_block_merge_config_selectorIjjEEZZNS1_27merge_sort_block_merge_implIS3_N6thrust23THRUST_200600_302600_NS6detail15normal_iteratorINS8_10device_ptrIjEEEESD_jNS1_19radix_merge_compareILb0ELb1EjNS0_19identity_decomposerEEEEE10hipError_tT0_T1_T2_jT3_P12ihipStream_tbPNSt15iterator_traitsISI_E10value_typeEPNSO_ISJ_E10value_typeEPSK_NS1_7vsmem_tEENKUlT_SI_SJ_SK_E_clISD_PjSD_S10_EESH_SX_SI_SJ_SK_EUlSX_E_NS1_11comp_targetILNS1_3genE0ELNS1_11target_archE4294967295ELNS1_3gpuE0ELNS1_3repE0EEENS1_48merge_mergepath_partition_config_static_selectorELNS0_4arch9wavefront6targetE1EEEvSJ_.uses_vcc, 1
	.set _ZN7rocprim17ROCPRIM_400000_NS6detail17trampoline_kernelINS0_14default_configENS1_38merge_sort_block_merge_config_selectorIjjEEZZNS1_27merge_sort_block_merge_implIS3_N6thrust23THRUST_200600_302600_NS6detail15normal_iteratorINS8_10device_ptrIjEEEESD_jNS1_19radix_merge_compareILb0ELb1EjNS0_19identity_decomposerEEEEE10hipError_tT0_T1_T2_jT3_P12ihipStream_tbPNSt15iterator_traitsISI_E10value_typeEPNSO_ISJ_E10value_typeEPSK_NS1_7vsmem_tEENKUlT_SI_SJ_SK_E_clISD_PjSD_S10_EESH_SX_SI_SJ_SK_EUlSX_E_NS1_11comp_targetILNS1_3genE0ELNS1_11target_archE4294967295ELNS1_3gpuE0ELNS1_3repE0EEENS1_48merge_mergepath_partition_config_static_selectorELNS0_4arch9wavefront6targetE1EEEvSJ_.uses_flat_scratch, 0
	.set _ZN7rocprim17ROCPRIM_400000_NS6detail17trampoline_kernelINS0_14default_configENS1_38merge_sort_block_merge_config_selectorIjjEEZZNS1_27merge_sort_block_merge_implIS3_N6thrust23THRUST_200600_302600_NS6detail15normal_iteratorINS8_10device_ptrIjEEEESD_jNS1_19radix_merge_compareILb0ELb1EjNS0_19identity_decomposerEEEEE10hipError_tT0_T1_T2_jT3_P12ihipStream_tbPNSt15iterator_traitsISI_E10value_typeEPNSO_ISJ_E10value_typeEPSK_NS1_7vsmem_tEENKUlT_SI_SJ_SK_E_clISD_PjSD_S10_EESH_SX_SI_SJ_SK_EUlSX_E_NS1_11comp_targetILNS1_3genE0ELNS1_11target_archE4294967295ELNS1_3gpuE0ELNS1_3repE0EEENS1_48merge_mergepath_partition_config_static_selectorELNS0_4arch9wavefront6targetE1EEEvSJ_.has_dyn_sized_stack, 0
	.set _ZN7rocprim17ROCPRIM_400000_NS6detail17trampoline_kernelINS0_14default_configENS1_38merge_sort_block_merge_config_selectorIjjEEZZNS1_27merge_sort_block_merge_implIS3_N6thrust23THRUST_200600_302600_NS6detail15normal_iteratorINS8_10device_ptrIjEEEESD_jNS1_19radix_merge_compareILb0ELb1EjNS0_19identity_decomposerEEEEE10hipError_tT0_T1_T2_jT3_P12ihipStream_tbPNSt15iterator_traitsISI_E10value_typeEPNSO_ISJ_E10value_typeEPSK_NS1_7vsmem_tEENKUlT_SI_SJ_SK_E_clISD_PjSD_S10_EESH_SX_SI_SJ_SK_EUlSX_E_NS1_11comp_targetILNS1_3genE0ELNS1_11target_archE4294967295ELNS1_3gpuE0ELNS1_3repE0EEENS1_48merge_mergepath_partition_config_static_selectorELNS0_4arch9wavefront6targetE1EEEvSJ_.has_recursion, 0
	.set _ZN7rocprim17ROCPRIM_400000_NS6detail17trampoline_kernelINS0_14default_configENS1_38merge_sort_block_merge_config_selectorIjjEEZZNS1_27merge_sort_block_merge_implIS3_N6thrust23THRUST_200600_302600_NS6detail15normal_iteratorINS8_10device_ptrIjEEEESD_jNS1_19radix_merge_compareILb0ELb1EjNS0_19identity_decomposerEEEEE10hipError_tT0_T1_T2_jT3_P12ihipStream_tbPNSt15iterator_traitsISI_E10value_typeEPNSO_ISJ_E10value_typeEPSK_NS1_7vsmem_tEENKUlT_SI_SJ_SK_E_clISD_PjSD_S10_EESH_SX_SI_SJ_SK_EUlSX_E_NS1_11comp_targetILNS1_3genE0ELNS1_11target_archE4294967295ELNS1_3gpuE0ELNS1_3repE0EEENS1_48merge_mergepath_partition_config_static_selectorELNS0_4arch9wavefront6targetE1EEEvSJ_.has_indirect_call, 0
	.section	.AMDGPU.csdata,"",@progbits
; Kernel info:
; codeLenInByte = 332
; TotalNumSgprs: 16
; NumVgprs: 17
; NumAgprs: 0
; TotalNumVgprs: 17
; ScratchSize: 0
; MemoryBound: 0
; FloatMode: 240
; IeeeMode: 1
; LDSByteSize: 0 bytes/workgroup (compile time only)
; SGPRBlocks: 1
; VGPRBlocks: 2
; NumSGPRsForWavesPerEU: 16
; NumVGPRsForWavesPerEU: 17
; AccumOffset: 20
; Occupancy: 8
; WaveLimiterHint : 0
; COMPUTE_PGM_RSRC2:SCRATCH_EN: 0
; COMPUTE_PGM_RSRC2:USER_SGPR: 2
; COMPUTE_PGM_RSRC2:TRAP_HANDLER: 0
; COMPUTE_PGM_RSRC2:TGID_X_EN: 1
; COMPUTE_PGM_RSRC2:TGID_Y_EN: 0
; COMPUTE_PGM_RSRC2:TGID_Z_EN: 0
; COMPUTE_PGM_RSRC2:TIDIG_COMP_CNT: 0
; COMPUTE_PGM_RSRC3_GFX90A:ACCUM_OFFSET: 4
; COMPUTE_PGM_RSRC3_GFX90A:TG_SPLIT: 0
	.section	.text._ZN7rocprim17ROCPRIM_400000_NS6detail17trampoline_kernelINS0_14default_configENS1_38merge_sort_block_merge_config_selectorIjjEEZZNS1_27merge_sort_block_merge_implIS3_N6thrust23THRUST_200600_302600_NS6detail15normal_iteratorINS8_10device_ptrIjEEEESD_jNS1_19radix_merge_compareILb0ELb1EjNS0_19identity_decomposerEEEEE10hipError_tT0_T1_T2_jT3_P12ihipStream_tbPNSt15iterator_traitsISI_E10value_typeEPNSO_ISJ_E10value_typeEPSK_NS1_7vsmem_tEENKUlT_SI_SJ_SK_E_clISD_PjSD_S10_EESH_SX_SI_SJ_SK_EUlSX_E_NS1_11comp_targetILNS1_3genE10ELNS1_11target_archE1201ELNS1_3gpuE5ELNS1_3repE0EEENS1_48merge_mergepath_partition_config_static_selectorELNS0_4arch9wavefront6targetE1EEEvSJ_,"axG",@progbits,_ZN7rocprim17ROCPRIM_400000_NS6detail17trampoline_kernelINS0_14default_configENS1_38merge_sort_block_merge_config_selectorIjjEEZZNS1_27merge_sort_block_merge_implIS3_N6thrust23THRUST_200600_302600_NS6detail15normal_iteratorINS8_10device_ptrIjEEEESD_jNS1_19radix_merge_compareILb0ELb1EjNS0_19identity_decomposerEEEEE10hipError_tT0_T1_T2_jT3_P12ihipStream_tbPNSt15iterator_traitsISI_E10value_typeEPNSO_ISJ_E10value_typeEPSK_NS1_7vsmem_tEENKUlT_SI_SJ_SK_E_clISD_PjSD_S10_EESH_SX_SI_SJ_SK_EUlSX_E_NS1_11comp_targetILNS1_3genE10ELNS1_11target_archE1201ELNS1_3gpuE5ELNS1_3repE0EEENS1_48merge_mergepath_partition_config_static_selectorELNS0_4arch9wavefront6targetE1EEEvSJ_,comdat
	.protected	_ZN7rocprim17ROCPRIM_400000_NS6detail17trampoline_kernelINS0_14default_configENS1_38merge_sort_block_merge_config_selectorIjjEEZZNS1_27merge_sort_block_merge_implIS3_N6thrust23THRUST_200600_302600_NS6detail15normal_iteratorINS8_10device_ptrIjEEEESD_jNS1_19radix_merge_compareILb0ELb1EjNS0_19identity_decomposerEEEEE10hipError_tT0_T1_T2_jT3_P12ihipStream_tbPNSt15iterator_traitsISI_E10value_typeEPNSO_ISJ_E10value_typeEPSK_NS1_7vsmem_tEENKUlT_SI_SJ_SK_E_clISD_PjSD_S10_EESH_SX_SI_SJ_SK_EUlSX_E_NS1_11comp_targetILNS1_3genE10ELNS1_11target_archE1201ELNS1_3gpuE5ELNS1_3repE0EEENS1_48merge_mergepath_partition_config_static_selectorELNS0_4arch9wavefront6targetE1EEEvSJ_ ; -- Begin function _ZN7rocprim17ROCPRIM_400000_NS6detail17trampoline_kernelINS0_14default_configENS1_38merge_sort_block_merge_config_selectorIjjEEZZNS1_27merge_sort_block_merge_implIS3_N6thrust23THRUST_200600_302600_NS6detail15normal_iteratorINS8_10device_ptrIjEEEESD_jNS1_19radix_merge_compareILb0ELb1EjNS0_19identity_decomposerEEEEE10hipError_tT0_T1_T2_jT3_P12ihipStream_tbPNSt15iterator_traitsISI_E10value_typeEPNSO_ISJ_E10value_typeEPSK_NS1_7vsmem_tEENKUlT_SI_SJ_SK_E_clISD_PjSD_S10_EESH_SX_SI_SJ_SK_EUlSX_E_NS1_11comp_targetILNS1_3genE10ELNS1_11target_archE1201ELNS1_3gpuE5ELNS1_3repE0EEENS1_48merge_mergepath_partition_config_static_selectorELNS0_4arch9wavefront6targetE1EEEvSJ_
	.globl	_ZN7rocprim17ROCPRIM_400000_NS6detail17trampoline_kernelINS0_14default_configENS1_38merge_sort_block_merge_config_selectorIjjEEZZNS1_27merge_sort_block_merge_implIS3_N6thrust23THRUST_200600_302600_NS6detail15normal_iteratorINS8_10device_ptrIjEEEESD_jNS1_19radix_merge_compareILb0ELb1EjNS0_19identity_decomposerEEEEE10hipError_tT0_T1_T2_jT3_P12ihipStream_tbPNSt15iterator_traitsISI_E10value_typeEPNSO_ISJ_E10value_typeEPSK_NS1_7vsmem_tEENKUlT_SI_SJ_SK_E_clISD_PjSD_S10_EESH_SX_SI_SJ_SK_EUlSX_E_NS1_11comp_targetILNS1_3genE10ELNS1_11target_archE1201ELNS1_3gpuE5ELNS1_3repE0EEENS1_48merge_mergepath_partition_config_static_selectorELNS0_4arch9wavefront6targetE1EEEvSJ_
	.p2align	8
	.type	_ZN7rocprim17ROCPRIM_400000_NS6detail17trampoline_kernelINS0_14default_configENS1_38merge_sort_block_merge_config_selectorIjjEEZZNS1_27merge_sort_block_merge_implIS3_N6thrust23THRUST_200600_302600_NS6detail15normal_iteratorINS8_10device_ptrIjEEEESD_jNS1_19radix_merge_compareILb0ELb1EjNS0_19identity_decomposerEEEEE10hipError_tT0_T1_T2_jT3_P12ihipStream_tbPNSt15iterator_traitsISI_E10value_typeEPNSO_ISJ_E10value_typeEPSK_NS1_7vsmem_tEENKUlT_SI_SJ_SK_E_clISD_PjSD_S10_EESH_SX_SI_SJ_SK_EUlSX_E_NS1_11comp_targetILNS1_3genE10ELNS1_11target_archE1201ELNS1_3gpuE5ELNS1_3repE0EEENS1_48merge_mergepath_partition_config_static_selectorELNS0_4arch9wavefront6targetE1EEEvSJ_,@function
_ZN7rocprim17ROCPRIM_400000_NS6detail17trampoline_kernelINS0_14default_configENS1_38merge_sort_block_merge_config_selectorIjjEEZZNS1_27merge_sort_block_merge_implIS3_N6thrust23THRUST_200600_302600_NS6detail15normal_iteratorINS8_10device_ptrIjEEEESD_jNS1_19radix_merge_compareILb0ELb1EjNS0_19identity_decomposerEEEEE10hipError_tT0_T1_T2_jT3_P12ihipStream_tbPNSt15iterator_traitsISI_E10value_typeEPNSO_ISJ_E10value_typeEPSK_NS1_7vsmem_tEENKUlT_SI_SJ_SK_E_clISD_PjSD_S10_EESH_SX_SI_SJ_SK_EUlSX_E_NS1_11comp_targetILNS1_3genE10ELNS1_11target_archE1201ELNS1_3gpuE5ELNS1_3repE0EEENS1_48merge_mergepath_partition_config_static_selectorELNS0_4arch9wavefront6targetE1EEEvSJ_: ; @_ZN7rocprim17ROCPRIM_400000_NS6detail17trampoline_kernelINS0_14default_configENS1_38merge_sort_block_merge_config_selectorIjjEEZZNS1_27merge_sort_block_merge_implIS3_N6thrust23THRUST_200600_302600_NS6detail15normal_iteratorINS8_10device_ptrIjEEEESD_jNS1_19radix_merge_compareILb0ELb1EjNS0_19identity_decomposerEEEEE10hipError_tT0_T1_T2_jT3_P12ihipStream_tbPNSt15iterator_traitsISI_E10value_typeEPNSO_ISJ_E10value_typeEPSK_NS1_7vsmem_tEENKUlT_SI_SJ_SK_E_clISD_PjSD_S10_EESH_SX_SI_SJ_SK_EUlSX_E_NS1_11comp_targetILNS1_3genE10ELNS1_11target_archE1201ELNS1_3gpuE5ELNS1_3repE0EEENS1_48merge_mergepath_partition_config_static_selectorELNS0_4arch9wavefront6targetE1EEEvSJ_
; %bb.0:
	.section	.rodata,"a",@progbits
	.p2align	6, 0x0
	.amdhsa_kernel _ZN7rocprim17ROCPRIM_400000_NS6detail17trampoline_kernelINS0_14default_configENS1_38merge_sort_block_merge_config_selectorIjjEEZZNS1_27merge_sort_block_merge_implIS3_N6thrust23THRUST_200600_302600_NS6detail15normal_iteratorINS8_10device_ptrIjEEEESD_jNS1_19radix_merge_compareILb0ELb1EjNS0_19identity_decomposerEEEEE10hipError_tT0_T1_T2_jT3_P12ihipStream_tbPNSt15iterator_traitsISI_E10value_typeEPNSO_ISJ_E10value_typeEPSK_NS1_7vsmem_tEENKUlT_SI_SJ_SK_E_clISD_PjSD_S10_EESH_SX_SI_SJ_SK_EUlSX_E_NS1_11comp_targetILNS1_3genE10ELNS1_11target_archE1201ELNS1_3gpuE5ELNS1_3repE0EEENS1_48merge_mergepath_partition_config_static_selectorELNS0_4arch9wavefront6targetE1EEEvSJ_
		.amdhsa_group_segment_fixed_size 0
		.amdhsa_private_segment_fixed_size 0
		.amdhsa_kernarg_size 40
		.amdhsa_user_sgpr_count 2
		.amdhsa_user_sgpr_dispatch_ptr 0
		.amdhsa_user_sgpr_queue_ptr 0
		.amdhsa_user_sgpr_kernarg_segment_ptr 1
		.amdhsa_user_sgpr_dispatch_id 0
		.amdhsa_user_sgpr_kernarg_preload_length 0
		.amdhsa_user_sgpr_kernarg_preload_offset 0
		.amdhsa_user_sgpr_private_segment_size 0
		.amdhsa_uses_dynamic_stack 0
		.amdhsa_enable_private_segment 0
		.amdhsa_system_sgpr_workgroup_id_x 1
		.amdhsa_system_sgpr_workgroup_id_y 0
		.amdhsa_system_sgpr_workgroup_id_z 0
		.amdhsa_system_sgpr_workgroup_info 0
		.amdhsa_system_vgpr_workitem_id 0
		.amdhsa_next_free_vgpr 1
		.amdhsa_next_free_sgpr 0
		.amdhsa_accum_offset 4
		.amdhsa_reserve_vcc 0
		.amdhsa_float_round_mode_32 0
		.amdhsa_float_round_mode_16_64 0
		.amdhsa_float_denorm_mode_32 3
		.amdhsa_float_denorm_mode_16_64 3
		.amdhsa_dx10_clamp 1
		.amdhsa_ieee_mode 1
		.amdhsa_fp16_overflow 0
		.amdhsa_tg_split 0
		.amdhsa_exception_fp_ieee_invalid_op 0
		.amdhsa_exception_fp_denorm_src 0
		.amdhsa_exception_fp_ieee_div_zero 0
		.amdhsa_exception_fp_ieee_overflow 0
		.amdhsa_exception_fp_ieee_underflow 0
		.amdhsa_exception_fp_ieee_inexact 0
		.amdhsa_exception_int_div_zero 0
	.end_amdhsa_kernel
	.section	.text._ZN7rocprim17ROCPRIM_400000_NS6detail17trampoline_kernelINS0_14default_configENS1_38merge_sort_block_merge_config_selectorIjjEEZZNS1_27merge_sort_block_merge_implIS3_N6thrust23THRUST_200600_302600_NS6detail15normal_iteratorINS8_10device_ptrIjEEEESD_jNS1_19radix_merge_compareILb0ELb1EjNS0_19identity_decomposerEEEEE10hipError_tT0_T1_T2_jT3_P12ihipStream_tbPNSt15iterator_traitsISI_E10value_typeEPNSO_ISJ_E10value_typeEPSK_NS1_7vsmem_tEENKUlT_SI_SJ_SK_E_clISD_PjSD_S10_EESH_SX_SI_SJ_SK_EUlSX_E_NS1_11comp_targetILNS1_3genE10ELNS1_11target_archE1201ELNS1_3gpuE5ELNS1_3repE0EEENS1_48merge_mergepath_partition_config_static_selectorELNS0_4arch9wavefront6targetE1EEEvSJ_,"axG",@progbits,_ZN7rocprim17ROCPRIM_400000_NS6detail17trampoline_kernelINS0_14default_configENS1_38merge_sort_block_merge_config_selectorIjjEEZZNS1_27merge_sort_block_merge_implIS3_N6thrust23THRUST_200600_302600_NS6detail15normal_iteratorINS8_10device_ptrIjEEEESD_jNS1_19radix_merge_compareILb0ELb1EjNS0_19identity_decomposerEEEEE10hipError_tT0_T1_T2_jT3_P12ihipStream_tbPNSt15iterator_traitsISI_E10value_typeEPNSO_ISJ_E10value_typeEPSK_NS1_7vsmem_tEENKUlT_SI_SJ_SK_E_clISD_PjSD_S10_EESH_SX_SI_SJ_SK_EUlSX_E_NS1_11comp_targetILNS1_3genE10ELNS1_11target_archE1201ELNS1_3gpuE5ELNS1_3repE0EEENS1_48merge_mergepath_partition_config_static_selectorELNS0_4arch9wavefront6targetE1EEEvSJ_,comdat
.Lfunc_end701:
	.size	_ZN7rocprim17ROCPRIM_400000_NS6detail17trampoline_kernelINS0_14default_configENS1_38merge_sort_block_merge_config_selectorIjjEEZZNS1_27merge_sort_block_merge_implIS3_N6thrust23THRUST_200600_302600_NS6detail15normal_iteratorINS8_10device_ptrIjEEEESD_jNS1_19radix_merge_compareILb0ELb1EjNS0_19identity_decomposerEEEEE10hipError_tT0_T1_T2_jT3_P12ihipStream_tbPNSt15iterator_traitsISI_E10value_typeEPNSO_ISJ_E10value_typeEPSK_NS1_7vsmem_tEENKUlT_SI_SJ_SK_E_clISD_PjSD_S10_EESH_SX_SI_SJ_SK_EUlSX_E_NS1_11comp_targetILNS1_3genE10ELNS1_11target_archE1201ELNS1_3gpuE5ELNS1_3repE0EEENS1_48merge_mergepath_partition_config_static_selectorELNS0_4arch9wavefront6targetE1EEEvSJ_, .Lfunc_end701-_ZN7rocprim17ROCPRIM_400000_NS6detail17trampoline_kernelINS0_14default_configENS1_38merge_sort_block_merge_config_selectorIjjEEZZNS1_27merge_sort_block_merge_implIS3_N6thrust23THRUST_200600_302600_NS6detail15normal_iteratorINS8_10device_ptrIjEEEESD_jNS1_19radix_merge_compareILb0ELb1EjNS0_19identity_decomposerEEEEE10hipError_tT0_T1_T2_jT3_P12ihipStream_tbPNSt15iterator_traitsISI_E10value_typeEPNSO_ISJ_E10value_typeEPSK_NS1_7vsmem_tEENKUlT_SI_SJ_SK_E_clISD_PjSD_S10_EESH_SX_SI_SJ_SK_EUlSX_E_NS1_11comp_targetILNS1_3genE10ELNS1_11target_archE1201ELNS1_3gpuE5ELNS1_3repE0EEENS1_48merge_mergepath_partition_config_static_selectorELNS0_4arch9wavefront6targetE1EEEvSJ_
                                        ; -- End function
	.set _ZN7rocprim17ROCPRIM_400000_NS6detail17trampoline_kernelINS0_14default_configENS1_38merge_sort_block_merge_config_selectorIjjEEZZNS1_27merge_sort_block_merge_implIS3_N6thrust23THRUST_200600_302600_NS6detail15normal_iteratorINS8_10device_ptrIjEEEESD_jNS1_19radix_merge_compareILb0ELb1EjNS0_19identity_decomposerEEEEE10hipError_tT0_T1_T2_jT3_P12ihipStream_tbPNSt15iterator_traitsISI_E10value_typeEPNSO_ISJ_E10value_typeEPSK_NS1_7vsmem_tEENKUlT_SI_SJ_SK_E_clISD_PjSD_S10_EESH_SX_SI_SJ_SK_EUlSX_E_NS1_11comp_targetILNS1_3genE10ELNS1_11target_archE1201ELNS1_3gpuE5ELNS1_3repE0EEENS1_48merge_mergepath_partition_config_static_selectorELNS0_4arch9wavefront6targetE1EEEvSJ_.num_vgpr, 0
	.set _ZN7rocprim17ROCPRIM_400000_NS6detail17trampoline_kernelINS0_14default_configENS1_38merge_sort_block_merge_config_selectorIjjEEZZNS1_27merge_sort_block_merge_implIS3_N6thrust23THRUST_200600_302600_NS6detail15normal_iteratorINS8_10device_ptrIjEEEESD_jNS1_19radix_merge_compareILb0ELb1EjNS0_19identity_decomposerEEEEE10hipError_tT0_T1_T2_jT3_P12ihipStream_tbPNSt15iterator_traitsISI_E10value_typeEPNSO_ISJ_E10value_typeEPSK_NS1_7vsmem_tEENKUlT_SI_SJ_SK_E_clISD_PjSD_S10_EESH_SX_SI_SJ_SK_EUlSX_E_NS1_11comp_targetILNS1_3genE10ELNS1_11target_archE1201ELNS1_3gpuE5ELNS1_3repE0EEENS1_48merge_mergepath_partition_config_static_selectorELNS0_4arch9wavefront6targetE1EEEvSJ_.num_agpr, 0
	.set _ZN7rocprim17ROCPRIM_400000_NS6detail17trampoline_kernelINS0_14default_configENS1_38merge_sort_block_merge_config_selectorIjjEEZZNS1_27merge_sort_block_merge_implIS3_N6thrust23THRUST_200600_302600_NS6detail15normal_iteratorINS8_10device_ptrIjEEEESD_jNS1_19radix_merge_compareILb0ELb1EjNS0_19identity_decomposerEEEEE10hipError_tT0_T1_T2_jT3_P12ihipStream_tbPNSt15iterator_traitsISI_E10value_typeEPNSO_ISJ_E10value_typeEPSK_NS1_7vsmem_tEENKUlT_SI_SJ_SK_E_clISD_PjSD_S10_EESH_SX_SI_SJ_SK_EUlSX_E_NS1_11comp_targetILNS1_3genE10ELNS1_11target_archE1201ELNS1_3gpuE5ELNS1_3repE0EEENS1_48merge_mergepath_partition_config_static_selectorELNS0_4arch9wavefront6targetE1EEEvSJ_.numbered_sgpr, 0
	.set _ZN7rocprim17ROCPRIM_400000_NS6detail17trampoline_kernelINS0_14default_configENS1_38merge_sort_block_merge_config_selectorIjjEEZZNS1_27merge_sort_block_merge_implIS3_N6thrust23THRUST_200600_302600_NS6detail15normal_iteratorINS8_10device_ptrIjEEEESD_jNS1_19radix_merge_compareILb0ELb1EjNS0_19identity_decomposerEEEEE10hipError_tT0_T1_T2_jT3_P12ihipStream_tbPNSt15iterator_traitsISI_E10value_typeEPNSO_ISJ_E10value_typeEPSK_NS1_7vsmem_tEENKUlT_SI_SJ_SK_E_clISD_PjSD_S10_EESH_SX_SI_SJ_SK_EUlSX_E_NS1_11comp_targetILNS1_3genE10ELNS1_11target_archE1201ELNS1_3gpuE5ELNS1_3repE0EEENS1_48merge_mergepath_partition_config_static_selectorELNS0_4arch9wavefront6targetE1EEEvSJ_.num_named_barrier, 0
	.set _ZN7rocprim17ROCPRIM_400000_NS6detail17trampoline_kernelINS0_14default_configENS1_38merge_sort_block_merge_config_selectorIjjEEZZNS1_27merge_sort_block_merge_implIS3_N6thrust23THRUST_200600_302600_NS6detail15normal_iteratorINS8_10device_ptrIjEEEESD_jNS1_19radix_merge_compareILb0ELb1EjNS0_19identity_decomposerEEEEE10hipError_tT0_T1_T2_jT3_P12ihipStream_tbPNSt15iterator_traitsISI_E10value_typeEPNSO_ISJ_E10value_typeEPSK_NS1_7vsmem_tEENKUlT_SI_SJ_SK_E_clISD_PjSD_S10_EESH_SX_SI_SJ_SK_EUlSX_E_NS1_11comp_targetILNS1_3genE10ELNS1_11target_archE1201ELNS1_3gpuE5ELNS1_3repE0EEENS1_48merge_mergepath_partition_config_static_selectorELNS0_4arch9wavefront6targetE1EEEvSJ_.private_seg_size, 0
	.set _ZN7rocprim17ROCPRIM_400000_NS6detail17trampoline_kernelINS0_14default_configENS1_38merge_sort_block_merge_config_selectorIjjEEZZNS1_27merge_sort_block_merge_implIS3_N6thrust23THRUST_200600_302600_NS6detail15normal_iteratorINS8_10device_ptrIjEEEESD_jNS1_19radix_merge_compareILb0ELb1EjNS0_19identity_decomposerEEEEE10hipError_tT0_T1_T2_jT3_P12ihipStream_tbPNSt15iterator_traitsISI_E10value_typeEPNSO_ISJ_E10value_typeEPSK_NS1_7vsmem_tEENKUlT_SI_SJ_SK_E_clISD_PjSD_S10_EESH_SX_SI_SJ_SK_EUlSX_E_NS1_11comp_targetILNS1_3genE10ELNS1_11target_archE1201ELNS1_3gpuE5ELNS1_3repE0EEENS1_48merge_mergepath_partition_config_static_selectorELNS0_4arch9wavefront6targetE1EEEvSJ_.uses_vcc, 0
	.set _ZN7rocprim17ROCPRIM_400000_NS6detail17trampoline_kernelINS0_14default_configENS1_38merge_sort_block_merge_config_selectorIjjEEZZNS1_27merge_sort_block_merge_implIS3_N6thrust23THRUST_200600_302600_NS6detail15normal_iteratorINS8_10device_ptrIjEEEESD_jNS1_19radix_merge_compareILb0ELb1EjNS0_19identity_decomposerEEEEE10hipError_tT0_T1_T2_jT3_P12ihipStream_tbPNSt15iterator_traitsISI_E10value_typeEPNSO_ISJ_E10value_typeEPSK_NS1_7vsmem_tEENKUlT_SI_SJ_SK_E_clISD_PjSD_S10_EESH_SX_SI_SJ_SK_EUlSX_E_NS1_11comp_targetILNS1_3genE10ELNS1_11target_archE1201ELNS1_3gpuE5ELNS1_3repE0EEENS1_48merge_mergepath_partition_config_static_selectorELNS0_4arch9wavefront6targetE1EEEvSJ_.uses_flat_scratch, 0
	.set _ZN7rocprim17ROCPRIM_400000_NS6detail17trampoline_kernelINS0_14default_configENS1_38merge_sort_block_merge_config_selectorIjjEEZZNS1_27merge_sort_block_merge_implIS3_N6thrust23THRUST_200600_302600_NS6detail15normal_iteratorINS8_10device_ptrIjEEEESD_jNS1_19radix_merge_compareILb0ELb1EjNS0_19identity_decomposerEEEEE10hipError_tT0_T1_T2_jT3_P12ihipStream_tbPNSt15iterator_traitsISI_E10value_typeEPNSO_ISJ_E10value_typeEPSK_NS1_7vsmem_tEENKUlT_SI_SJ_SK_E_clISD_PjSD_S10_EESH_SX_SI_SJ_SK_EUlSX_E_NS1_11comp_targetILNS1_3genE10ELNS1_11target_archE1201ELNS1_3gpuE5ELNS1_3repE0EEENS1_48merge_mergepath_partition_config_static_selectorELNS0_4arch9wavefront6targetE1EEEvSJ_.has_dyn_sized_stack, 0
	.set _ZN7rocprim17ROCPRIM_400000_NS6detail17trampoline_kernelINS0_14default_configENS1_38merge_sort_block_merge_config_selectorIjjEEZZNS1_27merge_sort_block_merge_implIS3_N6thrust23THRUST_200600_302600_NS6detail15normal_iteratorINS8_10device_ptrIjEEEESD_jNS1_19radix_merge_compareILb0ELb1EjNS0_19identity_decomposerEEEEE10hipError_tT0_T1_T2_jT3_P12ihipStream_tbPNSt15iterator_traitsISI_E10value_typeEPNSO_ISJ_E10value_typeEPSK_NS1_7vsmem_tEENKUlT_SI_SJ_SK_E_clISD_PjSD_S10_EESH_SX_SI_SJ_SK_EUlSX_E_NS1_11comp_targetILNS1_3genE10ELNS1_11target_archE1201ELNS1_3gpuE5ELNS1_3repE0EEENS1_48merge_mergepath_partition_config_static_selectorELNS0_4arch9wavefront6targetE1EEEvSJ_.has_recursion, 0
	.set _ZN7rocprim17ROCPRIM_400000_NS6detail17trampoline_kernelINS0_14default_configENS1_38merge_sort_block_merge_config_selectorIjjEEZZNS1_27merge_sort_block_merge_implIS3_N6thrust23THRUST_200600_302600_NS6detail15normal_iteratorINS8_10device_ptrIjEEEESD_jNS1_19radix_merge_compareILb0ELb1EjNS0_19identity_decomposerEEEEE10hipError_tT0_T1_T2_jT3_P12ihipStream_tbPNSt15iterator_traitsISI_E10value_typeEPNSO_ISJ_E10value_typeEPSK_NS1_7vsmem_tEENKUlT_SI_SJ_SK_E_clISD_PjSD_S10_EESH_SX_SI_SJ_SK_EUlSX_E_NS1_11comp_targetILNS1_3genE10ELNS1_11target_archE1201ELNS1_3gpuE5ELNS1_3repE0EEENS1_48merge_mergepath_partition_config_static_selectorELNS0_4arch9wavefront6targetE1EEEvSJ_.has_indirect_call, 0
	.section	.AMDGPU.csdata,"",@progbits
; Kernel info:
; codeLenInByte = 0
; TotalNumSgprs: 6
; NumVgprs: 0
; NumAgprs: 0
; TotalNumVgprs: 0
; ScratchSize: 0
; MemoryBound: 0
; FloatMode: 240
; IeeeMode: 1
; LDSByteSize: 0 bytes/workgroup (compile time only)
; SGPRBlocks: 0
; VGPRBlocks: 0
; NumSGPRsForWavesPerEU: 6
; NumVGPRsForWavesPerEU: 1
; AccumOffset: 4
; Occupancy: 8
; WaveLimiterHint : 0
; COMPUTE_PGM_RSRC2:SCRATCH_EN: 0
; COMPUTE_PGM_RSRC2:USER_SGPR: 2
; COMPUTE_PGM_RSRC2:TRAP_HANDLER: 0
; COMPUTE_PGM_RSRC2:TGID_X_EN: 1
; COMPUTE_PGM_RSRC2:TGID_Y_EN: 0
; COMPUTE_PGM_RSRC2:TGID_Z_EN: 0
; COMPUTE_PGM_RSRC2:TIDIG_COMP_CNT: 0
; COMPUTE_PGM_RSRC3_GFX90A:ACCUM_OFFSET: 0
; COMPUTE_PGM_RSRC3_GFX90A:TG_SPLIT: 0
	.section	.text._ZN7rocprim17ROCPRIM_400000_NS6detail17trampoline_kernelINS0_14default_configENS1_38merge_sort_block_merge_config_selectorIjjEEZZNS1_27merge_sort_block_merge_implIS3_N6thrust23THRUST_200600_302600_NS6detail15normal_iteratorINS8_10device_ptrIjEEEESD_jNS1_19radix_merge_compareILb0ELb1EjNS0_19identity_decomposerEEEEE10hipError_tT0_T1_T2_jT3_P12ihipStream_tbPNSt15iterator_traitsISI_E10value_typeEPNSO_ISJ_E10value_typeEPSK_NS1_7vsmem_tEENKUlT_SI_SJ_SK_E_clISD_PjSD_S10_EESH_SX_SI_SJ_SK_EUlSX_E_NS1_11comp_targetILNS1_3genE5ELNS1_11target_archE942ELNS1_3gpuE9ELNS1_3repE0EEENS1_48merge_mergepath_partition_config_static_selectorELNS0_4arch9wavefront6targetE1EEEvSJ_,"axG",@progbits,_ZN7rocprim17ROCPRIM_400000_NS6detail17trampoline_kernelINS0_14default_configENS1_38merge_sort_block_merge_config_selectorIjjEEZZNS1_27merge_sort_block_merge_implIS3_N6thrust23THRUST_200600_302600_NS6detail15normal_iteratorINS8_10device_ptrIjEEEESD_jNS1_19radix_merge_compareILb0ELb1EjNS0_19identity_decomposerEEEEE10hipError_tT0_T1_T2_jT3_P12ihipStream_tbPNSt15iterator_traitsISI_E10value_typeEPNSO_ISJ_E10value_typeEPSK_NS1_7vsmem_tEENKUlT_SI_SJ_SK_E_clISD_PjSD_S10_EESH_SX_SI_SJ_SK_EUlSX_E_NS1_11comp_targetILNS1_3genE5ELNS1_11target_archE942ELNS1_3gpuE9ELNS1_3repE0EEENS1_48merge_mergepath_partition_config_static_selectorELNS0_4arch9wavefront6targetE1EEEvSJ_,comdat
	.protected	_ZN7rocprim17ROCPRIM_400000_NS6detail17trampoline_kernelINS0_14default_configENS1_38merge_sort_block_merge_config_selectorIjjEEZZNS1_27merge_sort_block_merge_implIS3_N6thrust23THRUST_200600_302600_NS6detail15normal_iteratorINS8_10device_ptrIjEEEESD_jNS1_19radix_merge_compareILb0ELb1EjNS0_19identity_decomposerEEEEE10hipError_tT0_T1_T2_jT3_P12ihipStream_tbPNSt15iterator_traitsISI_E10value_typeEPNSO_ISJ_E10value_typeEPSK_NS1_7vsmem_tEENKUlT_SI_SJ_SK_E_clISD_PjSD_S10_EESH_SX_SI_SJ_SK_EUlSX_E_NS1_11comp_targetILNS1_3genE5ELNS1_11target_archE942ELNS1_3gpuE9ELNS1_3repE0EEENS1_48merge_mergepath_partition_config_static_selectorELNS0_4arch9wavefront6targetE1EEEvSJ_ ; -- Begin function _ZN7rocprim17ROCPRIM_400000_NS6detail17trampoline_kernelINS0_14default_configENS1_38merge_sort_block_merge_config_selectorIjjEEZZNS1_27merge_sort_block_merge_implIS3_N6thrust23THRUST_200600_302600_NS6detail15normal_iteratorINS8_10device_ptrIjEEEESD_jNS1_19radix_merge_compareILb0ELb1EjNS0_19identity_decomposerEEEEE10hipError_tT0_T1_T2_jT3_P12ihipStream_tbPNSt15iterator_traitsISI_E10value_typeEPNSO_ISJ_E10value_typeEPSK_NS1_7vsmem_tEENKUlT_SI_SJ_SK_E_clISD_PjSD_S10_EESH_SX_SI_SJ_SK_EUlSX_E_NS1_11comp_targetILNS1_3genE5ELNS1_11target_archE942ELNS1_3gpuE9ELNS1_3repE0EEENS1_48merge_mergepath_partition_config_static_selectorELNS0_4arch9wavefront6targetE1EEEvSJ_
	.globl	_ZN7rocprim17ROCPRIM_400000_NS6detail17trampoline_kernelINS0_14default_configENS1_38merge_sort_block_merge_config_selectorIjjEEZZNS1_27merge_sort_block_merge_implIS3_N6thrust23THRUST_200600_302600_NS6detail15normal_iteratorINS8_10device_ptrIjEEEESD_jNS1_19radix_merge_compareILb0ELb1EjNS0_19identity_decomposerEEEEE10hipError_tT0_T1_T2_jT3_P12ihipStream_tbPNSt15iterator_traitsISI_E10value_typeEPNSO_ISJ_E10value_typeEPSK_NS1_7vsmem_tEENKUlT_SI_SJ_SK_E_clISD_PjSD_S10_EESH_SX_SI_SJ_SK_EUlSX_E_NS1_11comp_targetILNS1_3genE5ELNS1_11target_archE942ELNS1_3gpuE9ELNS1_3repE0EEENS1_48merge_mergepath_partition_config_static_selectorELNS0_4arch9wavefront6targetE1EEEvSJ_
	.p2align	8
	.type	_ZN7rocprim17ROCPRIM_400000_NS6detail17trampoline_kernelINS0_14default_configENS1_38merge_sort_block_merge_config_selectorIjjEEZZNS1_27merge_sort_block_merge_implIS3_N6thrust23THRUST_200600_302600_NS6detail15normal_iteratorINS8_10device_ptrIjEEEESD_jNS1_19radix_merge_compareILb0ELb1EjNS0_19identity_decomposerEEEEE10hipError_tT0_T1_T2_jT3_P12ihipStream_tbPNSt15iterator_traitsISI_E10value_typeEPNSO_ISJ_E10value_typeEPSK_NS1_7vsmem_tEENKUlT_SI_SJ_SK_E_clISD_PjSD_S10_EESH_SX_SI_SJ_SK_EUlSX_E_NS1_11comp_targetILNS1_3genE5ELNS1_11target_archE942ELNS1_3gpuE9ELNS1_3repE0EEENS1_48merge_mergepath_partition_config_static_selectorELNS0_4arch9wavefront6targetE1EEEvSJ_,@function
_ZN7rocprim17ROCPRIM_400000_NS6detail17trampoline_kernelINS0_14default_configENS1_38merge_sort_block_merge_config_selectorIjjEEZZNS1_27merge_sort_block_merge_implIS3_N6thrust23THRUST_200600_302600_NS6detail15normal_iteratorINS8_10device_ptrIjEEEESD_jNS1_19radix_merge_compareILb0ELb1EjNS0_19identity_decomposerEEEEE10hipError_tT0_T1_T2_jT3_P12ihipStream_tbPNSt15iterator_traitsISI_E10value_typeEPNSO_ISJ_E10value_typeEPSK_NS1_7vsmem_tEENKUlT_SI_SJ_SK_E_clISD_PjSD_S10_EESH_SX_SI_SJ_SK_EUlSX_E_NS1_11comp_targetILNS1_3genE5ELNS1_11target_archE942ELNS1_3gpuE9ELNS1_3repE0EEENS1_48merge_mergepath_partition_config_static_selectorELNS0_4arch9wavefront6targetE1EEEvSJ_: ; @_ZN7rocprim17ROCPRIM_400000_NS6detail17trampoline_kernelINS0_14default_configENS1_38merge_sort_block_merge_config_selectorIjjEEZZNS1_27merge_sort_block_merge_implIS3_N6thrust23THRUST_200600_302600_NS6detail15normal_iteratorINS8_10device_ptrIjEEEESD_jNS1_19radix_merge_compareILb0ELb1EjNS0_19identity_decomposerEEEEE10hipError_tT0_T1_T2_jT3_P12ihipStream_tbPNSt15iterator_traitsISI_E10value_typeEPNSO_ISJ_E10value_typeEPSK_NS1_7vsmem_tEENKUlT_SI_SJ_SK_E_clISD_PjSD_S10_EESH_SX_SI_SJ_SK_EUlSX_E_NS1_11comp_targetILNS1_3genE5ELNS1_11target_archE942ELNS1_3gpuE9ELNS1_3repE0EEENS1_48merge_mergepath_partition_config_static_selectorELNS0_4arch9wavefront6targetE1EEEvSJ_
; %bb.0:
	.section	.rodata,"a",@progbits
	.p2align	6, 0x0
	.amdhsa_kernel _ZN7rocprim17ROCPRIM_400000_NS6detail17trampoline_kernelINS0_14default_configENS1_38merge_sort_block_merge_config_selectorIjjEEZZNS1_27merge_sort_block_merge_implIS3_N6thrust23THRUST_200600_302600_NS6detail15normal_iteratorINS8_10device_ptrIjEEEESD_jNS1_19radix_merge_compareILb0ELb1EjNS0_19identity_decomposerEEEEE10hipError_tT0_T1_T2_jT3_P12ihipStream_tbPNSt15iterator_traitsISI_E10value_typeEPNSO_ISJ_E10value_typeEPSK_NS1_7vsmem_tEENKUlT_SI_SJ_SK_E_clISD_PjSD_S10_EESH_SX_SI_SJ_SK_EUlSX_E_NS1_11comp_targetILNS1_3genE5ELNS1_11target_archE942ELNS1_3gpuE9ELNS1_3repE0EEENS1_48merge_mergepath_partition_config_static_selectorELNS0_4arch9wavefront6targetE1EEEvSJ_
		.amdhsa_group_segment_fixed_size 0
		.amdhsa_private_segment_fixed_size 0
		.amdhsa_kernarg_size 40
		.amdhsa_user_sgpr_count 2
		.amdhsa_user_sgpr_dispatch_ptr 0
		.amdhsa_user_sgpr_queue_ptr 0
		.amdhsa_user_sgpr_kernarg_segment_ptr 1
		.amdhsa_user_sgpr_dispatch_id 0
		.amdhsa_user_sgpr_kernarg_preload_length 0
		.amdhsa_user_sgpr_kernarg_preload_offset 0
		.amdhsa_user_sgpr_private_segment_size 0
		.amdhsa_uses_dynamic_stack 0
		.amdhsa_enable_private_segment 0
		.amdhsa_system_sgpr_workgroup_id_x 1
		.amdhsa_system_sgpr_workgroup_id_y 0
		.amdhsa_system_sgpr_workgroup_id_z 0
		.amdhsa_system_sgpr_workgroup_info 0
		.amdhsa_system_vgpr_workitem_id 0
		.amdhsa_next_free_vgpr 1
		.amdhsa_next_free_sgpr 0
		.amdhsa_accum_offset 4
		.amdhsa_reserve_vcc 0
		.amdhsa_float_round_mode_32 0
		.amdhsa_float_round_mode_16_64 0
		.amdhsa_float_denorm_mode_32 3
		.amdhsa_float_denorm_mode_16_64 3
		.amdhsa_dx10_clamp 1
		.amdhsa_ieee_mode 1
		.amdhsa_fp16_overflow 0
		.amdhsa_tg_split 0
		.amdhsa_exception_fp_ieee_invalid_op 0
		.amdhsa_exception_fp_denorm_src 0
		.amdhsa_exception_fp_ieee_div_zero 0
		.amdhsa_exception_fp_ieee_overflow 0
		.amdhsa_exception_fp_ieee_underflow 0
		.amdhsa_exception_fp_ieee_inexact 0
		.amdhsa_exception_int_div_zero 0
	.end_amdhsa_kernel
	.section	.text._ZN7rocprim17ROCPRIM_400000_NS6detail17trampoline_kernelINS0_14default_configENS1_38merge_sort_block_merge_config_selectorIjjEEZZNS1_27merge_sort_block_merge_implIS3_N6thrust23THRUST_200600_302600_NS6detail15normal_iteratorINS8_10device_ptrIjEEEESD_jNS1_19radix_merge_compareILb0ELb1EjNS0_19identity_decomposerEEEEE10hipError_tT0_T1_T2_jT3_P12ihipStream_tbPNSt15iterator_traitsISI_E10value_typeEPNSO_ISJ_E10value_typeEPSK_NS1_7vsmem_tEENKUlT_SI_SJ_SK_E_clISD_PjSD_S10_EESH_SX_SI_SJ_SK_EUlSX_E_NS1_11comp_targetILNS1_3genE5ELNS1_11target_archE942ELNS1_3gpuE9ELNS1_3repE0EEENS1_48merge_mergepath_partition_config_static_selectorELNS0_4arch9wavefront6targetE1EEEvSJ_,"axG",@progbits,_ZN7rocprim17ROCPRIM_400000_NS6detail17trampoline_kernelINS0_14default_configENS1_38merge_sort_block_merge_config_selectorIjjEEZZNS1_27merge_sort_block_merge_implIS3_N6thrust23THRUST_200600_302600_NS6detail15normal_iteratorINS8_10device_ptrIjEEEESD_jNS1_19radix_merge_compareILb0ELb1EjNS0_19identity_decomposerEEEEE10hipError_tT0_T1_T2_jT3_P12ihipStream_tbPNSt15iterator_traitsISI_E10value_typeEPNSO_ISJ_E10value_typeEPSK_NS1_7vsmem_tEENKUlT_SI_SJ_SK_E_clISD_PjSD_S10_EESH_SX_SI_SJ_SK_EUlSX_E_NS1_11comp_targetILNS1_3genE5ELNS1_11target_archE942ELNS1_3gpuE9ELNS1_3repE0EEENS1_48merge_mergepath_partition_config_static_selectorELNS0_4arch9wavefront6targetE1EEEvSJ_,comdat
.Lfunc_end702:
	.size	_ZN7rocprim17ROCPRIM_400000_NS6detail17trampoline_kernelINS0_14default_configENS1_38merge_sort_block_merge_config_selectorIjjEEZZNS1_27merge_sort_block_merge_implIS3_N6thrust23THRUST_200600_302600_NS6detail15normal_iteratorINS8_10device_ptrIjEEEESD_jNS1_19radix_merge_compareILb0ELb1EjNS0_19identity_decomposerEEEEE10hipError_tT0_T1_T2_jT3_P12ihipStream_tbPNSt15iterator_traitsISI_E10value_typeEPNSO_ISJ_E10value_typeEPSK_NS1_7vsmem_tEENKUlT_SI_SJ_SK_E_clISD_PjSD_S10_EESH_SX_SI_SJ_SK_EUlSX_E_NS1_11comp_targetILNS1_3genE5ELNS1_11target_archE942ELNS1_3gpuE9ELNS1_3repE0EEENS1_48merge_mergepath_partition_config_static_selectorELNS0_4arch9wavefront6targetE1EEEvSJ_, .Lfunc_end702-_ZN7rocprim17ROCPRIM_400000_NS6detail17trampoline_kernelINS0_14default_configENS1_38merge_sort_block_merge_config_selectorIjjEEZZNS1_27merge_sort_block_merge_implIS3_N6thrust23THRUST_200600_302600_NS6detail15normal_iteratorINS8_10device_ptrIjEEEESD_jNS1_19radix_merge_compareILb0ELb1EjNS0_19identity_decomposerEEEEE10hipError_tT0_T1_T2_jT3_P12ihipStream_tbPNSt15iterator_traitsISI_E10value_typeEPNSO_ISJ_E10value_typeEPSK_NS1_7vsmem_tEENKUlT_SI_SJ_SK_E_clISD_PjSD_S10_EESH_SX_SI_SJ_SK_EUlSX_E_NS1_11comp_targetILNS1_3genE5ELNS1_11target_archE942ELNS1_3gpuE9ELNS1_3repE0EEENS1_48merge_mergepath_partition_config_static_selectorELNS0_4arch9wavefront6targetE1EEEvSJ_
                                        ; -- End function
	.set _ZN7rocprim17ROCPRIM_400000_NS6detail17trampoline_kernelINS0_14default_configENS1_38merge_sort_block_merge_config_selectorIjjEEZZNS1_27merge_sort_block_merge_implIS3_N6thrust23THRUST_200600_302600_NS6detail15normal_iteratorINS8_10device_ptrIjEEEESD_jNS1_19radix_merge_compareILb0ELb1EjNS0_19identity_decomposerEEEEE10hipError_tT0_T1_T2_jT3_P12ihipStream_tbPNSt15iterator_traitsISI_E10value_typeEPNSO_ISJ_E10value_typeEPSK_NS1_7vsmem_tEENKUlT_SI_SJ_SK_E_clISD_PjSD_S10_EESH_SX_SI_SJ_SK_EUlSX_E_NS1_11comp_targetILNS1_3genE5ELNS1_11target_archE942ELNS1_3gpuE9ELNS1_3repE0EEENS1_48merge_mergepath_partition_config_static_selectorELNS0_4arch9wavefront6targetE1EEEvSJ_.num_vgpr, 0
	.set _ZN7rocprim17ROCPRIM_400000_NS6detail17trampoline_kernelINS0_14default_configENS1_38merge_sort_block_merge_config_selectorIjjEEZZNS1_27merge_sort_block_merge_implIS3_N6thrust23THRUST_200600_302600_NS6detail15normal_iteratorINS8_10device_ptrIjEEEESD_jNS1_19radix_merge_compareILb0ELb1EjNS0_19identity_decomposerEEEEE10hipError_tT0_T1_T2_jT3_P12ihipStream_tbPNSt15iterator_traitsISI_E10value_typeEPNSO_ISJ_E10value_typeEPSK_NS1_7vsmem_tEENKUlT_SI_SJ_SK_E_clISD_PjSD_S10_EESH_SX_SI_SJ_SK_EUlSX_E_NS1_11comp_targetILNS1_3genE5ELNS1_11target_archE942ELNS1_3gpuE9ELNS1_3repE0EEENS1_48merge_mergepath_partition_config_static_selectorELNS0_4arch9wavefront6targetE1EEEvSJ_.num_agpr, 0
	.set _ZN7rocprim17ROCPRIM_400000_NS6detail17trampoline_kernelINS0_14default_configENS1_38merge_sort_block_merge_config_selectorIjjEEZZNS1_27merge_sort_block_merge_implIS3_N6thrust23THRUST_200600_302600_NS6detail15normal_iteratorINS8_10device_ptrIjEEEESD_jNS1_19radix_merge_compareILb0ELb1EjNS0_19identity_decomposerEEEEE10hipError_tT0_T1_T2_jT3_P12ihipStream_tbPNSt15iterator_traitsISI_E10value_typeEPNSO_ISJ_E10value_typeEPSK_NS1_7vsmem_tEENKUlT_SI_SJ_SK_E_clISD_PjSD_S10_EESH_SX_SI_SJ_SK_EUlSX_E_NS1_11comp_targetILNS1_3genE5ELNS1_11target_archE942ELNS1_3gpuE9ELNS1_3repE0EEENS1_48merge_mergepath_partition_config_static_selectorELNS0_4arch9wavefront6targetE1EEEvSJ_.numbered_sgpr, 0
	.set _ZN7rocprim17ROCPRIM_400000_NS6detail17trampoline_kernelINS0_14default_configENS1_38merge_sort_block_merge_config_selectorIjjEEZZNS1_27merge_sort_block_merge_implIS3_N6thrust23THRUST_200600_302600_NS6detail15normal_iteratorINS8_10device_ptrIjEEEESD_jNS1_19radix_merge_compareILb0ELb1EjNS0_19identity_decomposerEEEEE10hipError_tT0_T1_T2_jT3_P12ihipStream_tbPNSt15iterator_traitsISI_E10value_typeEPNSO_ISJ_E10value_typeEPSK_NS1_7vsmem_tEENKUlT_SI_SJ_SK_E_clISD_PjSD_S10_EESH_SX_SI_SJ_SK_EUlSX_E_NS1_11comp_targetILNS1_3genE5ELNS1_11target_archE942ELNS1_3gpuE9ELNS1_3repE0EEENS1_48merge_mergepath_partition_config_static_selectorELNS0_4arch9wavefront6targetE1EEEvSJ_.num_named_barrier, 0
	.set _ZN7rocprim17ROCPRIM_400000_NS6detail17trampoline_kernelINS0_14default_configENS1_38merge_sort_block_merge_config_selectorIjjEEZZNS1_27merge_sort_block_merge_implIS3_N6thrust23THRUST_200600_302600_NS6detail15normal_iteratorINS8_10device_ptrIjEEEESD_jNS1_19radix_merge_compareILb0ELb1EjNS0_19identity_decomposerEEEEE10hipError_tT0_T1_T2_jT3_P12ihipStream_tbPNSt15iterator_traitsISI_E10value_typeEPNSO_ISJ_E10value_typeEPSK_NS1_7vsmem_tEENKUlT_SI_SJ_SK_E_clISD_PjSD_S10_EESH_SX_SI_SJ_SK_EUlSX_E_NS1_11comp_targetILNS1_3genE5ELNS1_11target_archE942ELNS1_3gpuE9ELNS1_3repE0EEENS1_48merge_mergepath_partition_config_static_selectorELNS0_4arch9wavefront6targetE1EEEvSJ_.private_seg_size, 0
	.set _ZN7rocprim17ROCPRIM_400000_NS6detail17trampoline_kernelINS0_14default_configENS1_38merge_sort_block_merge_config_selectorIjjEEZZNS1_27merge_sort_block_merge_implIS3_N6thrust23THRUST_200600_302600_NS6detail15normal_iteratorINS8_10device_ptrIjEEEESD_jNS1_19radix_merge_compareILb0ELb1EjNS0_19identity_decomposerEEEEE10hipError_tT0_T1_T2_jT3_P12ihipStream_tbPNSt15iterator_traitsISI_E10value_typeEPNSO_ISJ_E10value_typeEPSK_NS1_7vsmem_tEENKUlT_SI_SJ_SK_E_clISD_PjSD_S10_EESH_SX_SI_SJ_SK_EUlSX_E_NS1_11comp_targetILNS1_3genE5ELNS1_11target_archE942ELNS1_3gpuE9ELNS1_3repE0EEENS1_48merge_mergepath_partition_config_static_selectorELNS0_4arch9wavefront6targetE1EEEvSJ_.uses_vcc, 0
	.set _ZN7rocprim17ROCPRIM_400000_NS6detail17trampoline_kernelINS0_14default_configENS1_38merge_sort_block_merge_config_selectorIjjEEZZNS1_27merge_sort_block_merge_implIS3_N6thrust23THRUST_200600_302600_NS6detail15normal_iteratorINS8_10device_ptrIjEEEESD_jNS1_19radix_merge_compareILb0ELb1EjNS0_19identity_decomposerEEEEE10hipError_tT0_T1_T2_jT3_P12ihipStream_tbPNSt15iterator_traitsISI_E10value_typeEPNSO_ISJ_E10value_typeEPSK_NS1_7vsmem_tEENKUlT_SI_SJ_SK_E_clISD_PjSD_S10_EESH_SX_SI_SJ_SK_EUlSX_E_NS1_11comp_targetILNS1_3genE5ELNS1_11target_archE942ELNS1_3gpuE9ELNS1_3repE0EEENS1_48merge_mergepath_partition_config_static_selectorELNS0_4arch9wavefront6targetE1EEEvSJ_.uses_flat_scratch, 0
	.set _ZN7rocprim17ROCPRIM_400000_NS6detail17trampoline_kernelINS0_14default_configENS1_38merge_sort_block_merge_config_selectorIjjEEZZNS1_27merge_sort_block_merge_implIS3_N6thrust23THRUST_200600_302600_NS6detail15normal_iteratorINS8_10device_ptrIjEEEESD_jNS1_19radix_merge_compareILb0ELb1EjNS0_19identity_decomposerEEEEE10hipError_tT0_T1_T2_jT3_P12ihipStream_tbPNSt15iterator_traitsISI_E10value_typeEPNSO_ISJ_E10value_typeEPSK_NS1_7vsmem_tEENKUlT_SI_SJ_SK_E_clISD_PjSD_S10_EESH_SX_SI_SJ_SK_EUlSX_E_NS1_11comp_targetILNS1_3genE5ELNS1_11target_archE942ELNS1_3gpuE9ELNS1_3repE0EEENS1_48merge_mergepath_partition_config_static_selectorELNS0_4arch9wavefront6targetE1EEEvSJ_.has_dyn_sized_stack, 0
	.set _ZN7rocprim17ROCPRIM_400000_NS6detail17trampoline_kernelINS0_14default_configENS1_38merge_sort_block_merge_config_selectorIjjEEZZNS1_27merge_sort_block_merge_implIS3_N6thrust23THRUST_200600_302600_NS6detail15normal_iteratorINS8_10device_ptrIjEEEESD_jNS1_19radix_merge_compareILb0ELb1EjNS0_19identity_decomposerEEEEE10hipError_tT0_T1_T2_jT3_P12ihipStream_tbPNSt15iterator_traitsISI_E10value_typeEPNSO_ISJ_E10value_typeEPSK_NS1_7vsmem_tEENKUlT_SI_SJ_SK_E_clISD_PjSD_S10_EESH_SX_SI_SJ_SK_EUlSX_E_NS1_11comp_targetILNS1_3genE5ELNS1_11target_archE942ELNS1_3gpuE9ELNS1_3repE0EEENS1_48merge_mergepath_partition_config_static_selectorELNS0_4arch9wavefront6targetE1EEEvSJ_.has_recursion, 0
	.set _ZN7rocprim17ROCPRIM_400000_NS6detail17trampoline_kernelINS0_14default_configENS1_38merge_sort_block_merge_config_selectorIjjEEZZNS1_27merge_sort_block_merge_implIS3_N6thrust23THRUST_200600_302600_NS6detail15normal_iteratorINS8_10device_ptrIjEEEESD_jNS1_19radix_merge_compareILb0ELb1EjNS0_19identity_decomposerEEEEE10hipError_tT0_T1_T2_jT3_P12ihipStream_tbPNSt15iterator_traitsISI_E10value_typeEPNSO_ISJ_E10value_typeEPSK_NS1_7vsmem_tEENKUlT_SI_SJ_SK_E_clISD_PjSD_S10_EESH_SX_SI_SJ_SK_EUlSX_E_NS1_11comp_targetILNS1_3genE5ELNS1_11target_archE942ELNS1_3gpuE9ELNS1_3repE0EEENS1_48merge_mergepath_partition_config_static_selectorELNS0_4arch9wavefront6targetE1EEEvSJ_.has_indirect_call, 0
	.section	.AMDGPU.csdata,"",@progbits
; Kernel info:
; codeLenInByte = 0
; TotalNumSgprs: 6
; NumVgprs: 0
; NumAgprs: 0
; TotalNumVgprs: 0
; ScratchSize: 0
; MemoryBound: 0
; FloatMode: 240
; IeeeMode: 1
; LDSByteSize: 0 bytes/workgroup (compile time only)
; SGPRBlocks: 0
; VGPRBlocks: 0
; NumSGPRsForWavesPerEU: 6
; NumVGPRsForWavesPerEU: 1
; AccumOffset: 4
; Occupancy: 8
; WaveLimiterHint : 0
; COMPUTE_PGM_RSRC2:SCRATCH_EN: 0
; COMPUTE_PGM_RSRC2:USER_SGPR: 2
; COMPUTE_PGM_RSRC2:TRAP_HANDLER: 0
; COMPUTE_PGM_RSRC2:TGID_X_EN: 1
; COMPUTE_PGM_RSRC2:TGID_Y_EN: 0
; COMPUTE_PGM_RSRC2:TGID_Z_EN: 0
; COMPUTE_PGM_RSRC2:TIDIG_COMP_CNT: 0
; COMPUTE_PGM_RSRC3_GFX90A:ACCUM_OFFSET: 0
; COMPUTE_PGM_RSRC3_GFX90A:TG_SPLIT: 0
	.section	.text._ZN7rocprim17ROCPRIM_400000_NS6detail17trampoline_kernelINS0_14default_configENS1_38merge_sort_block_merge_config_selectorIjjEEZZNS1_27merge_sort_block_merge_implIS3_N6thrust23THRUST_200600_302600_NS6detail15normal_iteratorINS8_10device_ptrIjEEEESD_jNS1_19radix_merge_compareILb0ELb1EjNS0_19identity_decomposerEEEEE10hipError_tT0_T1_T2_jT3_P12ihipStream_tbPNSt15iterator_traitsISI_E10value_typeEPNSO_ISJ_E10value_typeEPSK_NS1_7vsmem_tEENKUlT_SI_SJ_SK_E_clISD_PjSD_S10_EESH_SX_SI_SJ_SK_EUlSX_E_NS1_11comp_targetILNS1_3genE4ELNS1_11target_archE910ELNS1_3gpuE8ELNS1_3repE0EEENS1_48merge_mergepath_partition_config_static_selectorELNS0_4arch9wavefront6targetE1EEEvSJ_,"axG",@progbits,_ZN7rocprim17ROCPRIM_400000_NS6detail17trampoline_kernelINS0_14default_configENS1_38merge_sort_block_merge_config_selectorIjjEEZZNS1_27merge_sort_block_merge_implIS3_N6thrust23THRUST_200600_302600_NS6detail15normal_iteratorINS8_10device_ptrIjEEEESD_jNS1_19radix_merge_compareILb0ELb1EjNS0_19identity_decomposerEEEEE10hipError_tT0_T1_T2_jT3_P12ihipStream_tbPNSt15iterator_traitsISI_E10value_typeEPNSO_ISJ_E10value_typeEPSK_NS1_7vsmem_tEENKUlT_SI_SJ_SK_E_clISD_PjSD_S10_EESH_SX_SI_SJ_SK_EUlSX_E_NS1_11comp_targetILNS1_3genE4ELNS1_11target_archE910ELNS1_3gpuE8ELNS1_3repE0EEENS1_48merge_mergepath_partition_config_static_selectorELNS0_4arch9wavefront6targetE1EEEvSJ_,comdat
	.protected	_ZN7rocprim17ROCPRIM_400000_NS6detail17trampoline_kernelINS0_14default_configENS1_38merge_sort_block_merge_config_selectorIjjEEZZNS1_27merge_sort_block_merge_implIS3_N6thrust23THRUST_200600_302600_NS6detail15normal_iteratorINS8_10device_ptrIjEEEESD_jNS1_19radix_merge_compareILb0ELb1EjNS0_19identity_decomposerEEEEE10hipError_tT0_T1_T2_jT3_P12ihipStream_tbPNSt15iterator_traitsISI_E10value_typeEPNSO_ISJ_E10value_typeEPSK_NS1_7vsmem_tEENKUlT_SI_SJ_SK_E_clISD_PjSD_S10_EESH_SX_SI_SJ_SK_EUlSX_E_NS1_11comp_targetILNS1_3genE4ELNS1_11target_archE910ELNS1_3gpuE8ELNS1_3repE0EEENS1_48merge_mergepath_partition_config_static_selectorELNS0_4arch9wavefront6targetE1EEEvSJ_ ; -- Begin function _ZN7rocprim17ROCPRIM_400000_NS6detail17trampoline_kernelINS0_14default_configENS1_38merge_sort_block_merge_config_selectorIjjEEZZNS1_27merge_sort_block_merge_implIS3_N6thrust23THRUST_200600_302600_NS6detail15normal_iteratorINS8_10device_ptrIjEEEESD_jNS1_19radix_merge_compareILb0ELb1EjNS0_19identity_decomposerEEEEE10hipError_tT0_T1_T2_jT3_P12ihipStream_tbPNSt15iterator_traitsISI_E10value_typeEPNSO_ISJ_E10value_typeEPSK_NS1_7vsmem_tEENKUlT_SI_SJ_SK_E_clISD_PjSD_S10_EESH_SX_SI_SJ_SK_EUlSX_E_NS1_11comp_targetILNS1_3genE4ELNS1_11target_archE910ELNS1_3gpuE8ELNS1_3repE0EEENS1_48merge_mergepath_partition_config_static_selectorELNS0_4arch9wavefront6targetE1EEEvSJ_
	.globl	_ZN7rocprim17ROCPRIM_400000_NS6detail17trampoline_kernelINS0_14default_configENS1_38merge_sort_block_merge_config_selectorIjjEEZZNS1_27merge_sort_block_merge_implIS3_N6thrust23THRUST_200600_302600_NS6detail15normal_iteratorINS8_10device_ptrIjEEEESD_jNS1_19radix_merge_compareILb0ELb1EjNS0_19identity_decomposerEEEEE10hipError_tT0_T1_T2_jT3_P12ihipStream_tbPNSt15iterator_traitsISI_E10value_typeEPNSO_ISJ_E10value_typeEPSK_NS1_7vsmem_tEENKUlT_SI_SJ_SK_E_clISD_PjSD_S10_EESH_SX_SI_SJ_SK_EUlSX_E_NS1_11comp_targetILNS1_3genE4ELNS1_11target_archE910ELNS1_3gpuE8ELNS1_3repE0EEENS1_48merge_mergepath_partition_config_static_selectorELNS0_4arch9wavefront6targetE1EEEvSJ_
	.p2align	8
	.type	_ZN7rocprim17ROCPRIM_400000_NS6detail17trampoline_kernelINS0_14default_configENS1_38merge_sort_block_merge_config_selectorIjjEEZZNS1_27merge_sort_block_merge_implIS3_N6thrust23THRUST_200600_302600_NS6detail15normal_iteratorINS8_10device_ptrIjEEEESD_jNS1_19radix_merge_compareILb0ELb1EjNS0_19identity_decomposerEEEEE10hipError_tT0_T1_T2_jT3_P12ihipStream_tbPNSt15iterator_traitsISI_E10value_typeEPNSO_ISJ_E10value_typeEPSK_NS1_7vsmem_tEENKUlT_SI_SJ_SK_E_clISD_PjSD_S10_EESH_SX_SI_SJ_SK_EUlSX_E_NS1_11comp_targetILNS1_3genE4ELNS1_11target_archE910ELNS1_3gpuE8ELNS1_3repE0EEENS1_48merge_mergepath_partition_config_static_selectorELNS0_4arch9wavefront6targetE1EEEvSJ_,@function
_ZN7rocprim17ROCPRIM_400000_NS6detail17trampoline_kernelINS0_14default_configENS1_38merge_sort_block_merge_config_selectorIjjEEZZNS1_27merge_sort_block_merge_implIS3_N6thrust23THRUST_200600_302600_NS6detail15normal_iteratorINS8_10device_ptrIjEEEESD_jNS1_19radix_merge_compareILb0ELb1EjNS0_19identity_decomposerEEEEE10hipError_tT0_T1_T2_jT3_P12ihipStream_tbPNSt15iterator_traitsISI_E10value_typeEPNSO_ISJ_E10value_typeEPSK_NS1_7vsmem_tEENKUlT_SI_SJ_SK_E_clISD_PjSD_S10_EESH_SX_SI_SJ_SK_EUlSX_E_NS1_11comp_targetILNS1_3genE4ELNS1_11target_archE910ELNS1_3gpuE8ELNS1_3repE0EEENS1_48merge_mergepath_partition_config_static_selectorELNS0_4arch9wavefront6targetE1EEEvSJ_: ; @_ZN7rocprim17ROCPRIM_400000_NS6detail17trampoline_kernelINS0_14default_configENS1_38merge_sort_block_merge_config_selectorIjjEEZZNS1_27merge_sort_block_merge_implIS3_N6thrust23THRUST_200600_302600_NS6detail15normal_iteratorINS8_10device_ptrIjEEEESD_jNS1_19radix_merge_compareILb0ELb1EjNS0_19identity_decomposerEEEEE10hipError_tT0_T1_T2_jT3_P12ihipStream_tbPNSt15iterator_traitsISI_E10value_typeEPNSO_ISJ_E10value_typeEPSK_NS1_7vsmem_tEENKUlT_SI_SJ_SK_E_clISD_PjSD_S10_EESH_SX_SI_SJ_SK_EUlSX_E_NS1_11comp_targetILNS1_3genE4ELNS1_11target_archE910ELNS1_3gpuE8ELNS1_3repE0EEENS1_48merge_mergepath_partition_config_static_selectorELNS0_4arch9wavefront6targetE1EEEvSJ_
; %bb.0:
	.section	.rodata,"a",@progbits
	.p2align	6, 0x0
	.amdhsa_kernel _ZN7rocprim17ROCPRIM_400000_NS6detail17trampoline_kernelINS0_14default_configENS1_38merge_sort_block_merge_config_selectorIjjEEZZNS1_27merge_sort_block_merge_implIS3_N6thrust23THRUST_200600_302600_NS6detail15normal_iteratorINS8_10device_ptrIjEEEESD_jNS1_19radix_merge_compareILb0ELb1EjNS0_19identity_decomposerEEEEE10hipError_tT0_T1_T2_jT3_P12ihipStream_tbPNSt15iterator_traitsISI_E10value_typeEPNSO_ISJ_E10value_typeEPSK_NS1_7vsmem_tEENKUlT_SI_SJ_SK_E_clISD_PjSD_S10_EESH_SX_SI_SJ_SK_EUlSX_E_NS1_11comp_targetILNS1_3genE4ELNS1_11target_archE910ELNS1_3gpuE8ELNS1_3repE0EEENS1_48merge_mergepath_partition_config_static_selectorELNS0_4arch9wavefront6targetE1EEEvSJ_
		.amdhsa_group_segment_fixed_size 0
		.amdhsa_private_segment_fixed_size 0
		.amdhsa_kernarg_size 40
		.amdhsa_user_sgpr_count 2
		.amdhsa_user_sgpr_dispatch_ptr 0
		.amdhsa_user_sgpr_queue_ptr 0
		.amdhsa_user_sgpr_kernarg_segment_ptr 1
		.amdhsa_user_sgpr_dispatch_id 0
		.amdhsa_user_sgpr_kernarg_preload_length 0
		.amdhsa_user_sgpr_kernarg_preload_offset 0
		.amdhsa_user_sgpr_private_segment_size 0
		.amdhsa_uses_dynamic_stack 0
		.amdhsa_enable_private_segment 0
		.amdhsa_system_sgpr_workgroup_id_x 1
		.amdhsa_system_sgpr_workgroup_id_y 0
		.amdhsa_system_sgpr_workgroup_id_z 0
		.amdhsa_system_sgpr_workgroup_info 0
		.amdhsa_system_vgpr_workitem_id 0
		.amdhsa_next_free_vgpr 1
		.amdhsa_next_free_sgpr 0
		.amdhsa_accum_offset 4
		.amdhsa_reserve_vcc 0
		.amdhsa_float_round_mode_32 0
		.amdhsa_float_round_mode_16_64 0
		.amdhsa_float_denorm_mode_32 3
		.amdhsa_float_denorm_mode_16_64 3
		.amdhsa_dx10_clamp 1
		.amdhsa_ieee_mode 1
		.amdhsa_fp16_overflow 0
		.amdhsa_tg_split 0
		.amdhsa_exception_fp_ieee_invalid_op 0
		.amdhsa_exception_fp_denorm_src 0
		.amdhsa_exception_fp_ieee_div_zero 0
		.amdhsa_exception_fp_ieee_overflow 0
		.amdhsa_exception_fp_ieee_underflow 0
		.amdhsa_exception_fp_ieee_inexact 0
		.amdhsa_exception_int_div_zero 0
	.end_amdhsa_kernel
	.section	.text._ZN7rocprim17ROCPRIM_400000_NS6detail17trampoline_kernelINS0_14default_configENS1_38merge_sort_block_merge_config_selectorIjjEEZZNS1_27merge_sort_block_merge_implIS3_N6thrust23THRUST_200600_302600_NS6detail15normal_iteratorINS8_10device_ptrIjEEEESD_jNS1_19radix_merge_compareILb0ELb1EjNS0_19identity_decomposerEEEEE10hipError_tT0_T1_T2_jT3_P12ihipStream_tbPNSt15iterator_traitsISI_E10value_typeEPNSO_ISJ_E10value_typeEPSK_NS1_7vsmem_tEENKUlT_SI_SJ_SK_E_clISD_PjSD_S10_EESH_SX_SI_SJ_SK_EUlSX_E_NS1_11comp_targetILNS1_3genE4ELNS1_11target_archE910ELNS1_3gpuE8ELNS1_3repE0EEENS1_48merge_mergepath_partition_config_static_selectorELNS0_4arch9wavefront6targetE1EEEvSJ_,"axG",@progbits,_ZN7rocprim17ROCPRIM_400000_NS6detail17trampoline_kernelINS0_14default_configENS1_38merge_sort_block_merge_config_selectorIjjEEZZNS1_27merge_sort_block_merge_implIS3_N6thrust23THRUST_200600_302600_NS6detail15normal_iteratorINS8_10device_ptrIjEEEESD_jNS1_19radix_merge_compareILb0ELb1EjNS0_19identity_decomposerEEEEE10hipError_tT0_T1_T2_jT3_P12ihipStream_tbPNSt15iterator_traitsISI_E10value_typeEPNSO_ISJ_E10value_typeEPSK_NS1_7vsmem_tEENKUlT_SI_SJ_SK_E_clISD_PjSD_S10_EESH_SX_SI_SJ_SK_EUlSX_E_NS1_11comp_targetILNS1_3genE4ELNS1_11target_archE910ELNS1_3gpuE8ELNS1_3repE0EEENS1_48merge_mergepath_partition_config_static_selectorELNS0_4arch9wavefront6targetE1EEEvSJ_,comdat
.Lfunc_end703:
	.size	_ZN7rocprim17ROCPRIM_400000_NS6detail17trampoline_kernelINS0_14default_configENS1_38merge_sort_block_merge_config_selectorIjjEEZZNS1_27merge_sort_block_merge_implIS3_N6thrust23THRUST_200600_302600_NS6detail15normal_iteratorINS8_10device_ptrIjEEEESD_jNS1_19radix_merge_compareILb0ELb1EjNS0_19identity_decomposerEEEEE10hipError_tT0_T1_T2_jT3_P12ihipStream_tbPNSt15iterator_traitsISI_E10value_typeEPNSO_ISJ_E10value_typeEPSK_NS1_7vsmem_tEENKUlT_SI_SJ_SK_E_clISD_PjSD_S10_EESH_SX_SI_SJ_SK_EUlSX_E_NS1_11comp_targetILNS1_3genE4ELNS1_11target_archE910ELNS1_3gpuE8ELNS1_3repE0EEENS1_48merge_mergepath_partition_config_static_selectorELNS0_4arch9wavefront6targetE1EEEvSJ_, .Lfunc_end703-_ZN7rocprim17ROCPRIM_400000_NS6detail17trampoline_kernelINS0_14default_configENS1_38merge_sort_block_merge_config_selectorIjjEEZZNS1_27merge_sort_block_merge_implIS3_N6thrust23THRUST_200600_302600_NS6detail15normal_iteratorINS8_10device_ptrIjEEEESD_jNS1_19radix_merge_compareILb0ELb1EjNS0_19identity_decomposerEEEEE10hipError_tT0_T1_T2_jT3_P12ihipStream_tbPNSt15iterator_traitsISI_E10value_typeEPNSO_ISJ_E10value_typeEPSK_NS1_7vsmem_tEENKUlT_SI_SJ_SK_E_clISD_PjSD_S10_EESH_SX_SI_SJ_SK_EUlSX_E_NS1_11comp_targetILNS1_3genE4ELNS1_11target_archE910ELNS1_3gpuE8ELNS1_3repE0EEENS1_48merge_mergepath_partition_config_static_selectorELNS0_4arch9wavefront6targetE1EEEvSJ_
                                        ; -- End function
	.set _ZN7rocprim17ROCPRIM_400000_NS6detail17trampoline_kernelINS0_14default_configENS1_38merge_sort_block_merge_config_selectorIjjEEZZNS1_27merge_sort_block_merge_implIS3_N6thrust23THRUST_200600_302600_NS6detail15normal_iteratorINS8_10device_ptrIjEEEESD_jNS1_19radix_merge_compareILb0ELb1EjNS0_19identity_decomposerEEEEE10hipError_tT0_T1_T2_jT3_P12ihipStream_tbPNSt15iterator_traitsISI_E10value_typeEPNSO_ISJ_E10value_typeEPSK_NS1_7vsmem_tEENKUlT_SI_SJ_SK_E_clISD_PjSD_S10_EESH_SX_SI_SJ_SK_EUlSX_E_NS1_11comp_targetILNS1_3genE4ELNS1_11target_archE910ELNS1_3gpuE8ELNS1_3repE0EEENS1_48merge_mergepath_partition_config_static_selectorELNS0_4arch9wavefront6targetE1EEEvSJ_.num_vgpr, 0
	.set _ZN7rocprim17ROCPRIM_400000_NS6detail17trampoline_kernelINS0_14default_configENS1_38merge_sort_block_merge_config_selectorIjjEEZZNS1_27merge_sort_block_merge_implIS3_N6thrust23THRUST_200600_302600_NS6detail15normal_iteratorINS8_10device_ptrIjEEEESD_jNS1_19radix_merge_compareILb0ELb1EjNS0_19identity_decomposerEEEEE10hipError_tT0_T1_T2_jT3_P12ihipStream_tbPNSt15iterator_traitsISI_E10value_typeEPNSO_ISJ_E10value_typeEPSK_NS1_7vsmem_tEENKUlT_SI_SJ_SK_E_clISD_PjSD_S10_EESH_SX_SI_SJ_SK_EUlSX_E_NS1_11comp_targetILNS1_3genE4ELNS1_11target_archE910ELNS1_3gpuE8ELNS1_3repE0EEENS1_48merge_mergepath_partition_config_static_selectorELNS0_4arch9wavefront6targetE1EEEvSJ_.num_agpr, 0
	.set _ZN7rocprim17ROCPRIM_400000_NS6detail17trampoline_kernelINS0_14default_configENS1_38merge_sort_block_merge_config_selectorIjjEEZZNS1_27merge_sort_block_merge_implIS3_N6thrust23THRUST_200600_302600_NS6detail15normal_iteratorINS8_10device_ptrIjEEEESD_jNS1_19radix_merge_compareILb0ELb1EjNS0_19identity_decomposerEEEEE10hipError_tT0_T1_T2_jT3_P12ihipStream_tbPNSt15iterator_traitsISI_E10value_typeEPNSO_ISJ_E10value_typeEPSK_NS1_7vsmem_tEENKUlT_SI_SJ_SK_E_clISD_PjSD_S10_EESH_SX_SI_SJ_SK_EUlSX_E_NS1_11comp_targetILNS1_3genE4ELNS1_11target_archE910ELNS1_3gpuE8ELNS1_3repE0EEENS1_48merge_mergepath_partition_config_static_selectorELNS0_4arch9wavefront6targetE1EEEvSJ_.numbered_sgpr, 0
	.set _ZN7rocprim17ROCPRIM_400000_NS6detail17trampoline_kernelINS0_14default_configENS1_38merge_sort_block_merge_config_selectorIjjEEZZNS1_27merge_sort_block_merge_implIS3_N6thrust23THRUST_200600_302600_NS6detail15normal_iteratorINS8_10device_ptrIjEEEESD_jNS1_19radix_merge_compareILb0ELb1EjNS0_19identity_decomposerEEEEE10hipError_tT0_T1_T2_jT3_P12ihipStream_tbPNSt15iterator_traitsISI_E10value_typeEPNSO_ISJ_E10value_typeEPSK_NS1_7vsmem_tEENKUlT_SI_SJ_SK_E_clISD_PjSD_S10_EESH_SX_SI_SJ_SK_EUlSX_E_NS1_11comp_targetILNS1_3genE4ELNS1_11target_archE910ELNS1_3gpuE8ELNS1_3repE0EEENS1_48merge_mergepath_partition_config_static_selectorELNS0_4arch9wavefront6targetE1EEEvSJ_.num_named_barrier, 0
	.set _ZN7rocprim17ROCPRIM_400000_NS6detail17trampoline_kernelINS0_14default_configENS1_38merge_sort_block_merge_config_selectorIjjEEZZNS1_27merge_sort_block_merge_implIS3_N6thrust23THRUST_200600_302600_NS6detail15normal_iteratorINS8_10device_ptrIjEEEESD_jNS1_19radix_merge_compareILb0ELb1EjNS0_19identity_decomposerEEEEE10hipError_tT0_T1_T2_jT3_P12ihipStream_tbPNSt15iterator_traitsISI_E10value_typeEPNSO_ISJ_E10value_typeEPSK_NS1_7vsmem_tEENKUlT_SI_SJ_SK_E_clISD_PjSD_S10_EESH_SX_SI_SJ_SK_EUlSX_E_NS1_11comp_targetILNS1_3genE4ELNS1_11target_archE910ELNS1_3gpuE8ELNS1_3repE0EEENS1_48merge_mergepath_partition_config_static_selectorELNS0_4arch9wavefront6targetE1EEEvSJ_.private_seg_size, 0
	.set _ZN7rocprim17ROCPRIM_400000_NS6detail17trampoline_kernelINS0_14default_configENS1_38merge_sort_block_merge_config_selectorIjjEEZZNS1_27merge_sort_block_merge_implIS3_N6thrust23THRUST_200600_302600_NS6detail15normal_iteratorINS8_10device_ptrIjEEEESD_jNS1_19radix_merge_compareILb0ELb1EjNS0_19identity_decomposerEEEEE10hipError_tT0_T1_T2_jT3_P12ihipStream_tbPNSt15iterator_traitsISI_E10value_typeEPNSO_ISJ_E10value_typeEPSK_NS1_7vsmem_tEENKUlT_SI_SJ_SK_E_clISD_PjSD_S10_EESH_SX_SI_SJ_SK_EUlSX_E_NS1_11comp_targetILNS1_3genE4ELNS1_11target_archE910ELNS1_3gpuE8ELNS1_3repE0EEENS1_48merge_mergepath_partition_config_static_selectorELNS0_4arch9wavefront6targetE1EEEvSJ_.uses_vcc, 0
	.set _ZN7rocprim17ROCPRIM_400000_NS6detail17trampoline_kernelINS0_14default_configENS1_38merge_sort_block_merge_config_selectorIjjEEZZNS1_27merge_sort_block_merge_implIS3_N6thrust23THRUST_200600_302600_NS6detail15normal_iteratorINS8_10device_ptrIjEEEESD_jNS1_19radix_merge_compareILb0ELb1EjNS0_19identity_decomposerEEEEE10hipError_tT0_T1_T2_jT3_P12ihipStream_tbPNSt15iterator_traitsISI_E10value_typeEPNSO_ISJ_E10value_typeEPSK_NS1_7vsmem_tEENKUlT_SI_SJ_SK_E_clISD_PjSD_S10_EESH_SX_SI_SJ_SK_EUlSX_E_NS1_11comp_targetILNS1_3genE4ELNS1_11target_archE910ELNS1_3gpuE8ELNS1_3repE0EEENS1_48merge_mergepath_partition_config_static_selectorELNS0_4arch9wavefront6targetE1EEEvSJ_.uses_flat_scratch, 0
	.set _ZN7rocprim17ROCPRIM_400000_NS6detail17trampoline_kernelINS0_14default_configENS1_38merge_sort_block_merge_config_selectorIjjEEZZNS1_27merge_sort_block_merge_implIS3_N6thrust23THRUST_200600_302600_NS6detail15normal_iteratorINS8_10device_ptrIjEEEESD_jNS1_19radix_merge_compareILb0ELb1EjNS0_19identity_decomposerEEEEE10hipError_tT0_T1_T2_jT3_P12ihipStream_tbPNSt15iterator_traitsISI_E10value_typeEPNSO_ISJ_E10value_typeEPSK_NS1_7vsmem_tEENKUlT_SI_SJ_SK_E_clISD_PjSD_S10_EESH_SX_SI_SJ_SK_EUlSX_E_NS1_11comp_targetILNS1_3genE4ELNS1_11target_archE910ELNS1_3gpuE8ELNS1_3repE0EEENS1_48merge_mergepath_partition_config_static_selectorELNS0_4arch9wavefront6targetE1EEEvSJ_.has_dyn_sized_stack, 0
	.set _ZN7rocprim17ROCPRIM_400000_NS6detail17trampoline_kernelINS0_14default_configENS1_38merge_sort_block_merge_config_selectorIjjEEZZNS1_27merge_sort_block_merge_implIS3_N6thrust23THRUST_200600_302600_NS6detail15normal_iteratorINS8_10device_ptrIjEEEESD_jNS1_19radix_merge_compareILb0ELb1EjNS0_19identity_decomposerEEEEE10hipError_tT0_T1_T2_jT3_P12ihipStream_tbPNSt15iterator_traitsISI_E10value_typeEPNSO_ISJ_E10value_typeEPSK_NS1_7vsmem_tEENKUlT_SI_SJ_SK_E_clISD_PjSD_S10_EESH_SX_SI_SJ_SK_EUlSX_E_NS1_11comp_targetILNS1_3genE4ELNS1_11target_archE910ELNS1_3gpuE8ELNS1_3repE0EEENS1_48merge_mergepath_partition_config_static_selectorELNS0_4arch9wavefront6targetE1EEEvSJ_.has_recursion, 0
	.set _ZN7rocprim17ROCPRIM_400000_NS6detail17trampoline_kernelINS0_14default_configENS1_38merge_sort_block_merge_config_selectorIjjEEZZNS1_27merge_sort_block_merge_implIS3_N6thrust23THRUST_200600_302600_NS6detail15normal_iteratorINS8_10device_ptrIjEEEESD_jNS1_19radix_merge_compareILb0ELb1EjNS0_19identity_decomposerEEEEE10hipError_tT0_T1_T2_jT3_P12ihipStream_tbPNSt15iterator_traitsISI_E10value_typeEPNSO_ISJ_E10value_typeEPSK_NS1_7vsmem_tEENKUlT_SI_SJ_SK_E_clISD_PjSD_S10_EESH_SX_SI_SJ_SK_EUlSX_E_NS1_11comp_targetILNS1_3genE4ELNS1_11target_archE910ELNS1_3gpuE8ELNS1_3repE0EEENS1_48merge_mergepath_partition_config_static_selectorELNS0_4arch9wavefront6targetE1EEEvSJ_.has_indirect_call, 0
	.section	.AMDGPU.csdata,"",@progbits
; Kernel info:
; codeLenInByte = 0
; TotalNumSgprs: 6
; NumVgprs: 0
; NumAgprs: 0
; TotalNumVgprs: 0
; ScratchSize: 0
; MemoryBound: 0
; FloatMode: 240
; IeeeMode: 1
; LDSByteSize: 0 bytes/workgroup (compile time only)
; SGPRBlocks: 0
; VGPRBlocks: 0
; NumSGPRsForWavesPerEU: 6
; NumVGPRsForWavesPerEU: 1
; AccumOffset: 4
; Occupancy: 8
; WaveLimiterHint : 0
; COMPUTE_PGM_RSRC2:SCRATCH_EN: 0
; COMPUTE_PGM_RSRC2:USER_SGPR: 2
; COMPUTE_PGM_RSRC2:TRAP_HANDLER: 0
; COMPUTE_PGM_RSRC2:TGID_X_EN: 1
; COMPUTE_PGM_RSRC2:TGID_Y_EN: 0
; COMPUTE_PGM_RSRC2:TGID_Z_EN: 0
; COMPUTE_PGM_RSRC2:TIDIG_COMP_CNT: 0
; COMPUTE_PGM_RSRC3_GFX90A:ACCUM_OFFSET: 0
; COMPUTE_PGM_RSRC3_GFX90A:TG_SPLIT: 0
	.section	.text._ZN7rocprim17ROCPRIM_400000_NS6detail17trampoline_kernelINS0_14default_configENS1_38merge_sort_block_merge_config_selectorIjjEEZZNS1_27merge_sort_block_merge_implIS3_N6thrust23THRUST_200600_302600_NS6detail15normal_iteratorINS8_10device_ptrIjEEEESD_jNS1_19radix_merge_compareILb0ELb1EjNS0_19identity_decomposerEEEEE10hipError_tT0_T1_T2_jT3_P12ihipStream_tbPNSt15iterator_traitsISI_E10value_typeEPNSO_ISJ_E10value_typeEPSK_NS1_7vsmem_tEENKUlT_SI_SJ_SK_E_clISD_PjSD_S10_EESH_SX_SI_SJ_SK_EUlSX_E_NS1_11comp_targetILNS1_3genE3ELNS1_11target_archE908ELNS1_3gpuE7ELNS1_3repE0EEENS1_48merge_mergepath_partition_config_static_selectorELNS0_4arch9wavefront6targetE1EEEvSJ_,"axG",@progbits,_ZN7rocprim17ROCPRIM_400000_NS6detail17trampoline_kernelINS0_14default_configENS1_38merge_sort_block_merge_config_selectorIjjEEZZNS1_27merge_sort_block_merge_implIS3_N6thrust23THRUST_200600_302600_NS6detail15normal_iteratorINS8_10device_ptrIjEEEESD_jNS1_19radix_merge_compareILb0ELb1EjNS0_19identity_decomposerEEEEE10hipError_tT0_T1_T2_jT3_P12ihipStream_tbPNSt15iterator_traitsISI_E10value_typeEPNSO_ISJ_E10value_typeEPSK_NS1_7vsmem_tEENKUlT_SI_SJ_SK_E_clISD_PjSD_S10_EESH_SX_SI_SJ_SK_EUlSX_E_NS1_11comp_targetILNS1_3genE3ELNS1_11target_archE908ELNS1_3gpuE7ELNS1_3repE0EEENS1_48merge_mergepath_partition_config_static_selectorELNS0_4arch9wavefront6targetE1EEEvSJ_,comdat
	.protected	_ZN7rocprim17ROCPRIM_400000_NS6detail17trampoline_kernelINS0_14default_configENS1_38merge_sort_block_merge_config_selectorIjjEEZZNS1_27merge_sort_block_merge_implIS3_N6thrust23THRUST_200600_302600_NS6detail15normal_iteratorINS8_10device_ptrIjEEEESD_jNS1_19radix_merge_compareILb0ELb1EjNS0_19identity_decomposerEEEEE10hipError_tT0_T1_T2_jT3_P12ihipStream_tbPNSt15iterator_traitsISI_E10value_typeEPNSO_ISJ_E10value_typeEPSK_NS1_7vsmem_tEENKUlT_SI_SJ_SK_E_clISD_PjSD_S10_EESH_SX_SI_SJ_SK_EUlSX_E_NS1_11comp_targetILNS1_3genE3ELNS1_11target_archE908ELNS1_3gpuE7ELNS1_3repE0EEENS1_48merge_mergepath_partition_config_static_selectorELNS0_4arch9wavefront6targetE1EEEvSJ_ ; -- Begin function _ZN7rocprim17ROCPRIM_400000_NS6detail17trampoline_kernelINS0_14default_configENS1_38merge_sort_block_merge_config_selectorIjjEEZZNS1_27merge_sort_block_merge_implIS3_N6thrust23THRUST_200600_302600_NS6detail15normal_iteratorINS8_10device_ptrIjEEEESD_jNS1_19radix_merge_compareILb0ELb1EjNS0_19identity_decomposerEEEEE10hipError_tT0_T1_T2_jT3_P12ihipStream_tbPNSt15iterator_traitsISI_E10value_typeEPNSO_ISJ_E10value_typeEPSK_NS1_7vsmem_tEENKUlT_SI_SJ_SK_E_clISD_PjSD_S10_EESH_SX_SI_SJ_SK_EUlSX_E_NS1_11comp_targetILNS1_3genE3ELNS1_11target_archE908ELNS1_3gpuE7ELNS1_3repE0EEENS1_48merge_mergepath_partition_config_static_selectorELNS0_4arch9wavefront6targetE1EEEvSJ_
	.globl	_ZN7rocprim17ROCPRIM_400000_NS6detail17trampoline_kernelINS0_14default_configENS1_38merge_sort_block_merge_config_selectorIjjEEZZNS1_27merge_sort_block_merge_implIS3_N6thrust23THRUST_200600_302600_NS6detail15normal_iteratorINS8_10device_ptrIjEEEESD_jNS1_19radix_merge_compareILb0ELb1EjNS0_19identity_decomposerEEEEE10hipError_tT0_T1_T2_jT3_P12ihipStream_tbPNSt15iterator_traitsISI_E10value_typeEPNSO_ISJ_E10value_typeEPSK_NS1_7vsmem_tEENKUlT_SI_SJ_SK_E_clISD_PjSD_S10_EESH_SX_SI_SJ_SK_EUlSX_E_NS1_11comp_targetILNS1_3genE3ELNS1_11target_archE908ELNS1_3gpuE7ELNS1_3repE0EEENS1_48merge_mergepath_partition_config_static_selectorELNS0_4arch9wavefront6targetE1EEEvSJ_
	.p2align	8
	.type	_ZN7rocprim17ROCPRIM_400000_NS6detail17trampoline_kernelINS0_14default_configENS1_38merge_sort_block_merge_config_selectorIjjEEZZNS1_27merge_sort_block_merge_implIS3_N6thrust23THRUST_200600_302600_NS6detail15normal_iteratorINS8_10device_ptrIjEEEESD_jNS1_19radix_merge_compareILb0ELb1EjNS0_19identity_decomposerEEEEE10hipError_tT0_T1_T2_jT3_P12ihipStream_tbPNSt15iterator_traitsISI_E10value_typeEPNSO_ISJ_E10value_typeEPSK_NS1_7vsmem_tEENKUlT_SI_SJ_SK_E_clISD_PjSD_S10_EESH_SX_SI_SJ_SK_EUlSX_E_NS1_11comp_targetILNS1_3genE3ELNS1_11target_archE908ELNS1_3gpuE7ELNS1_3repE0EEENS1_48merge_mergepath_partition_config_static_selectorELNS0_4arch9wavefront6targetE1EEEvSJ_,@function
_ZN7rocprim17ROCPRIM_400000_NS6detail17trampoline_kernelINS0_14default_configENS1_38merge_sort_block_merge_config_selectorIjjEEZZNS1_27merge_sort_block_merge_implIS3_N6thrust23THRUST_200600_302600_NS6detail15normal_iteratorINS8_10device_ptrIjEEEESD_jNS1_19radix_merge_compareILb0ELb1EjNS0_19identity_decomposerEEEEE10hipError_tT0_T1_T2_jT3_P12ihipStream_tbPNSt15iterator_traitsISI_E10value_typeEPNSO_ISJ_E10value_typeEPSK_NS1_7vsmem_tEENKUlT_SI_SJ_SK_E_clISD_PjSD_S10_EESH_SX_SI_SJ_SK_EUlSX_E_NS1_11comp_targetILNS1_3genE3ELNS1_11target_archE908ELNS1_3gpuE7ELNS1_3repE0EEENS1_48merge_mergepath_partition_config_static_selectorELNS0_4arch9wavefront6targetE1EEEvSJ_: ; @_ZN7rocprim17ROCPRIM_400000_NS6detail17trampoline_kernelINS0_14default_configENS1_38merge_sort_block_merge_config_selectorIjjEEZZNS1_27merge_sort_block_merge_implIS3_N6thrust23THRUST_200600_302600_NS6detail15normal_iteratorINS8_10device_ptrIjEEEESD_jNS1_19radix_merge_compareILb0ELb1EjNS0_19identity_decomposerEEEEE10hipError_tT0_T1_T2_jT3_P12ihipStream_tbPNSt15iterator_traitsISI_E10value_typeEPNSO_ISJ_E10value_typeEPSK_NS1_7vsmem_tEENKUlT_SI_SJ_SK_E_clISD_PjSD_S10_EESH_SX_SI_SJ_SK_EUlSX_E_NS1_11comp_targetILNS1_3genE3ELNS1_11target_archE908ELNS1_3gpuE7ELNS1_3repE0EEENS1_48merge_mergepath_partition_config_static_selectorELNS0_4arch9wavefront6targetE1EEEvSJ_
; %bb.0:
	.section	.rodata,"a",@progbits
	.p2align	6, 0x0
	.amdhsa_kernel _ZN7rocprim17ROCPRIM_400000_NS6detail17trampoline_kernelINS0_14default_configENS1_38merge_sort_block_merge_config_selectorIjjEEZZNS1_27merge_sort_block_merge_implIS3_N6thrust23THRUST_200600_302600_NS6detail15normal_iteratorINS8_10device_ptrIjEEEESD_jNS1_19radix_merge_compareILb0ELb1EjNS0_19identity_decomposerEEEEE10hipError_tT0_T1_T2_jT3_P12ihipStream_tbPNSt15iterator_traitsISI_E10value_typeEPNSO_ISJ_E10value_typeEPSK_NS1_7vsmem_tEENKUlT_SI_SJ_SK_E_clISD_PjSD_S10_EESH_SX_SI_SJ_SK_EUlSX_E_NS1_11comp_targetILNS1_3genE3ELNS1_11target_archE908ELNS1_3gpuE7ELNS1_3repE0EEENS1_48merge_mergepath_partition_config_static_selectorELNS0_4arch9wavefront6targetE1EEEvSJ_
		.amdhsa_group_segment_fixed_size 0
		.amdhsa_private_segment_fixed_size 0
		.amdhsa_kernarg_size 40
		.amdhsa_user_sgpr_count 2
		.amdhsa_user_sgpr_dispatch_ptr 0
		.amdhsa_user_sgpr_queue_ptr 0
		.amdhsa_user_sgpr_kernarg_segment_ptr 1
		.amdhsa_user_sgpr_dispatch_id 0
		.amdhsa_user_sgpr_kernarg_preload_length 0
		.amdhsa_user_sgpr_kernarg_preload_offset 0
		.amdhsa_user_sgpr_private_segment_size 0
		.amdhsa_uses_dynamic_stack 0
		.amdhsa_enable_private_segment 0
		.amdhsa_system_sgpr_workgroup_id_x 1
		.amdhsa_system_sgpr_workgroup_id_y 0
		.amdhsa_system_sgpr_workgroup_id_z 0
		.amdhsa_system_sgpr_workgroup_info 0
		.amdhsa_system_vgpr_workitem_id 0
		.amdhsa_next_free_vgpr 1
		.amdhsa_next_free_sgpr 0
		.amdhsa_accum_offset 4
		.amdhsa_reserve_vcc 0
		.amdhsa_float_round_mode_32 0
		.amdhsa_float_round_mode_16_64 0
		.amdhsa_float_denorm_mode_32 3
		.amdhsa_float_denorm_mode_16_64 3
		.amdhsa_dx10_clamp 1
		.amdhsa_ieee_mode 1
		.amdhsa_fp16_overflow 0
		.amdhsa_tg_split 0
		.amdhsa_exception_fp_ieee_invalid_op 0
		.amdhsa_exception_fp_denorm_src 0
		.amdhsa_exception_fp_ieee_div_zero 0
		.amdhsa_exception_fp_ieee_overflow 0
		.amdhsa_exception_fp_ieee_underflow 0
		.amdhsa_exception_fp_ieee_inexact 0
		.amdhsa_exception_int_div_zero 0
	.end_amdhsa_kernel
	.section	.text._ZN7rocprim17ROCPRIM_400000_NS6detail17trampoline_kernelINS0_14default_configENS1_38merge_sort_block_merge_config_selectorIjjEEZZNS1_27merge_sort_block_merge_implIS3_N6thrust23THRUST_200600_302600_NS6detail15normal_iteratorINS8_10device_ptrIjEEEESD_jNS1_19radix_merge_compareILb0ELb1EjNS0_19identity_decomposerEEEEE10hipError_tT0_T1_T2_jT3_P12ihipStream_tbPNSt15iterator_traitsISI_E10value_typeEPNSO_ISJ_E10value_typeEPSK_NS1_7vsmem_tEENKUlT_SI_SJ_SK_E_clISD_PjSD_S10_EESH_SX_SI_SJ_SK_EUlSX_E_NS1_11comp_targetILNS1_3genE3ELNS1_11target_archE908ELNS1_3gpuE7ELNS1_3repE0EEENS1_48merge_mergepath_partition_config_static_selectorELNS0_4arch9wavefront6targetE1EEEvSJ_,"axG",@progbits,_ZN7rocprim17ROCPRIM_400000_NS6detail17trampoline_kernelINS0_14default_configENS1_38merge_sort_block_merge_config_selectorIjjEEZZNS1_27merge_sort_block_merge_implIS3_N6thrust23THRUST_200600_302600_NS6detail15normal_iteratorINS8_10device_ptrIjEEEESD_jNS1_19radix_merge_compareILb0ELb1EjNS0_19identity_decomposerEEEEE10hipError_tT0_T1_T2_jT3_P12ihipStream_tbPNSt15iterator_traitsISI_E10value_typeEPNSO_ISJ_E10value_typeEPSK_NS1_7vsmem_tEENKUlT_SI_SJ_SK_E_clISD_PjSD_S10_EESH_SX_SI_SJ_SK_EUlSX_E_NS1_11comp_targetILNS1_3genE3ELNS1_11target_archE908ELNS1_3gpuE7ELNS1_3repE0EEENS1_48merge_mergepath_partition_config_static_selectorELNS0_4arch9wavefront6targetE1EEEvSJ_,comdat
.Lfunc_end704:
	.size	_ZN7rocprim17ROCPRIM_400000_NS6detail17trampoline_kernelINS0_14default_configENS1_38merge_sort_block_merge_config_selectorIjjEEZZNS1_27merge_sort_block_merge_implIS3_N6thrust23THRUST_200600_302600_NS6detail15normal_iteratorINS8_10device_ptrIjEEEESD_jNS1_19radix_merge_compareILb0ELb1EjNS0_19identity_decomposerEEEEE10hipError_tT0_T1_T2_jT3_P12ihipStream_tbPNSt15iterator_traitsISI_E10value_typeEPNSO_ISJ_E10value_typeEPSK_NS1_7vsmem_tEENKUlT_SI_SJ_SK_E_clISD_PjSD_S10_EESH_SX_SI_SJ_SK_EUlSX_E_NS1_11comp_targetILNS1_3genE3ELNS1_11target_archE908ELNS1_3gpuE7ELNS1_3repE0EEENS1_48merge_mergepath_partition_config_static_selectorELNS0_4arch9wavefront6targetE1EEEvSJ_, .Lfunc_end704-_ZN7rocprim17ROCPRIM_400000_NS6detail17trampoline_kernelINS0_14default_configENS1_38merge_sort_block_merge_config_selectorIjjEEZZNS1_27merge_sort_block_merge_implIS3_N6thrust23THRUST_200600_302600_NS6detail15normal_iteratorINS8_10device_ptrIjEEEESD_jNS1_19radix_merge_compareILb0ELb1EjNS0_19identity_decomposerEEEEE10hipError_tT0_T1_T2_jT3_P12ihipStream_tbPNSt15iterator_traitsISI_E10value_typeEPNSO_ISJ_E10value_typeEPSK_NS1_7vsmem_tEENKUlT_SI_SJ_SK_E_clISD_PjSD_S10_EESH_SX_SI_SJ_SK_EUlSX_E_NS1_11comp_targetILNS1_3genE3ELNS1_11target_archE908ELNS1_3gpuE7ELNS1_3repE0EEENS1_48merge_mergepath_partition_config_static_selectorELNS0_4arch9wavefront6targetE1EEEvSJ_
                                        ; -- End function
	.set _ZN7rocprim17ROCPRIM_400000_NS6detail17trampoline_kernelINS0_14default_configENS1_38merge_sort_block_merge_config_selectorIjjEEZZNS1_27merge_sort_block_merge_implIS3_N6thrust23THRUST_200600_302600_NS6detail15normal_iteratorINS8_10device_ptrIjEEEESD_jNS1_19radix_merge_compareILb0ELb1EjNS0_19identity_decomposerEEEEE10hipError_tT0_T1_T2_jT3_P12ihipStream_tbPNSt15iterator_traitsISI_E10value_typeEPNSO_ISJ_E10value_typeEPSK_NS1_7vsmem_tEENKUlT_SI_SJ_SK_E_clISD_PjSD_S10_EESH_SX_SI_SJ_SK_EUlSX_E_NS1_11comp_targetILNS1_3genE3ELNS1_11target_archE908ELNS1_3gpuE7ELNS1_3repE0EEENS1_48merge_mergepath_partition_config_static_selectorELNS0_4arch9wavefront6targetE1EEEvSJ_.num_vgpr, 0
	.set _ZN7rocprim17ROCPRIM_400000_NS6detail17trampoline_kernelINS0_14default_configENS1_38merge_sort_block_merge_config_selectorIjjEEZZNS1_27merge_sort_block_merge_implIS3_N6thrust23THRUST_200600_302600_NS6detail15normal_iteratorINS8_10device_ptrIjEEEESD_jNS1_19radix_merge_compareILb0ELb1EjNS0_19identity_decomposerEEEEE10hipError_tT0_T1_T2_jT3_P12ihipStream_tbPNSt15iterator_traitsISI_E10value_typeEPNSO_ISJ_E10value_typeEPSK_NS1_7vsmem_tEENKUlT_SI_SJ_SK_E_clISD_PjSD_S10_EESH_SX_SI_SJ_SK_EUlSX_E_NS1_11comp_targetILNS1_3genE3ELNS1_11target_archE908ELNS1_3gpuE7ELNS1_3repE0EEENS1_48merge_mergepath_partition_config_static_selectorELNS0_4arch9wavefront6targetE1EEEvSJ_.num_agpr, 0
	.set _ZN7rocprim17ROCPRIM_400000_NS6detail17trampoline_kernelINS0_14default_configENS1_38merge_sort_block_merge_config_selectorIjjEEZZNS1_27merge_sort_block_merge_implIS3_N6thrust23THRUST_200600_302600_NS6detail15normal_iteratorINS8_10device_ptrIjEEEESD_jNS1_19radix_merge_compareILb0ELb1EjNS0_19identity_decomposerEEEEE10hipError_tT0_T1_T2_jT3_P12ihipStream_tbPNSt15iterator_traitsISI_E10value_typeEPNSO_ISJ_E10value_typeEPSK_NS1_7vsmem_tEENKUlT_SI_SJ_SK_E_clISD_PjSD_S10_EESH_SX_SI_SJ_SK_EUlSX_E_NS1_11comp_targetILNS1_3genE3ELNS1_11target_archE908ELNS1_3gpuE7ELNS1_3repE0EEENS1_48merge_mergepath_partition_config_static_selectorELNS0_4arch9wavefront6targetE1EEEvSJ_.numbered_sgpr, 0
	.set _ZN7rocprim17ROCPRIM_400000_NS6detail17trampoline_kernelINS0_14default_configENS1_38merge_sort_block_merge_config_selectorIjjEEZZNS1_27merge_sort_block_merge_implIS3_N6thrust23THRUST_200600_302600_NS6detail15normal_iteratorINS8_10device_ptrIjEEEESD_jNS1_19radix_merge_compareILb0ELb1EjNS0_19identity_decomposerEEEEE10hipError_tT0_T1_T2_jT3_P12ihipStream_tbPNSt15iterator_traitsISI_E10value_typeEPNSO_ISJ_E10value_typeEPSK_NS1_7vsmem_tEENKUlT_SI_SJ_SK_E_clISD_PjSD_S10_EESH_SX_SI_SJ_SK_EUlSX_E_NS1_11comp_targetILNS1_3genE3ELNS1_11target_archE908ELNS1_3gpuE7ELNS1_3repE0EEENS1_48merge_mergepath_partition_config_static_selectorELNS0_4arch9wavefront6targetE1EEEvSJ_.num_named_barrier, 0
	.set _ZN7rocprim17ROCPRIM_400000_NS6detail17trampoline_kernelINS0_14default_configENS1_38merge_sort_block_merge_config_selectorIjjEEZZNS1_27merge_sort_block_merge_implIS3_N6thrust23THRUST_200600_302600_NS6detail15normal_iteratorINS8_10device_ptrIjEEEESD_jNS1_19radix_merge_compareILb0ELb1EjNS0_19identity_decomposerEEEEE10hipError_tT0_T1_T2_jT3_P12ihipStream_tbPNSt15iterator_traitsISI_E10value_typeEPNSO_ISJ_E10value_typeEPSK_NS1_7vsmem_tEENKUlT_SI_SJ_SK_E_clISD_PjSD_S10_EESH_SX_SI_SJ_SK_EUlSX_E_NS1_11comp_targetILNS1_3genE3ELNS1_11target_archE908ELNS1_3gpuE7ELNS1_3repE0EEENS1_48merge_mergepath_partition_config_static_selectorELNS0_4arch9wavefront6targetE1EEEvSJ_.private_seg_size, 0
	.set _ZN7rocprim17ROCPRIM_400000_NS6detail17trampoline_kernelINS0_14default_configENS1_38merge_sort_block_merge_config_selectorIjjEEZZNS1_27merge_sort_block_merge_implIS3_N6thrust23THRUST_200600_302600_NS6detail15normal_iteratorINS8_10device_ptrIjEEEESD_jNS1_19radix_merge_compareILb0ELb1EjNS0_19identity_decomposerEEEEE10hipError_tT0_T1_T2_jT3_P12ihipStream_tbPNSt15iterator_traitsISI_E10value_typeEPNSO_ISJ_E10value_typeEPSK_NS1_7vsmem_tEENKUlT_SI_SJ_SK_E_clISD_PjSD_S10_EESH_SX_SI_SJ_SK_EUlSX_E_NS1_11comp_targetILNS1_3genE3ELNS1_11target_archE908ELNS1_3gpuE7ELNS1_3repE0EEENS1_48merge_mergepath_partition_config_static_selectorELNS0_4arch9wavefront6targetE1EEEvSJ_.uses_vcc, 0
	.set _ZN7rocprim17ROCPRIM_400000_NS6detail17trampoline_kernelINS0_14default_configENS1_38merge_sort_block_merge_config_selectorIjjEEZZNS1_27merge_sort_block_merge_implIS3_N6thrust23THRUST_200600_302600_NS6detail15normal_iteratorINS8_10device_ptrIjEEEESD_jNS1_19radix_merge_compareILb0ELb1EjNS0_19identity_decomposerEEEEE10hipError_tT0_T1_T2_jT3_P12ihipStream_tbPNSt15iterator_traitsISI_E10value_typeEPNSO_ISJ_E10value_typeEPSK_NS1_7vsmem_tEENKUlT_SI_SJ_SK_E_clISD_PjSD_S10_EESH_SX_SI_SJ_SK_EUlSX_E_NS1_11comp_targetILNS1_3genE3ELNS1_11target_archE908ELNS1_3gpuE7ELNS1_3repE0EEENS1_48merge_mergepath_partition_config_static_selectorELNS0_4arch9wavefront6targetE1EEEvSJ_.uses_flat_scratch, 0
	.set _ZN7rocprim17ROCPRIM_400000_NS6detail17trampoline_kernelINS0_14default_configENS1_38merge_sort_block_merge_config_selectorIjjEEZZNS1_27merge_sort_block_merge_implIS3_N6thrust23THRUST_200600_302600_NS6detail15normal_iteratorINS8_10device_ptrIjEEEESD_jNS1_19radix_merge_compareILb0ELb1EjNS0_19identity_decomposerEEEEE10hipError_tT0_T1_T2_jT3_P12ihipStream_tbPNSt15iterator_traitsISI_E10value_typeEPNSO_ISJ_E10value_typeEPSK_NS1_7vsmem_tEENKUlT_SI_SJ_SK_E_clISD_PjSD_S10_EESH_SX_SI_SJ_SK_EUlSX_E_NS1_11comp_targetILNS1_3genE3ELNS1_11target_archE908ELNS1_3gpuE7ELNS1_3repE0EEENS1_48merge_mergepath_partition_config_static_selectorELNS0_4arch9wavefront6targetE1EEEvSJ_.has_dyn_sized_stack, 0
	.set _ZN7rocprim17ROCPRIM_400000_NS6detail17trampoline_kernelINS0_14default_configENS1_38merge_sort_block_merge_config_selectorIjjEEZZNS1_27merge_sort_block_merge_implIS3_N6thrust23THRUST_200600_302600_NS6detail15normal_iteratorINS8_10device_ptrIjEEEESD_jNS1_19radix_merge_compareILb0ELb1EjNS0_19identity_decomposerEEEEE10hipError_tT0_T1_T2_jT3_P12ihipStream_tbPNSt15iterator_traitsISI_E10value_typeEPNSO_ISJ_E10value_typeEPSK_NS1_7vsmem_tEENKUlT_SI_SJ_SK_E_clISD_PjSD_S10_EESH_SX_SI_SJ_SK_EUlSX_E_NS1_11comp_targetILNS1_3genE3ELNS1_11target_archE908ELNS1_3gpuE7ELNS1_3repE0EEENS1_48merge_mergepath_partition_config_static_selectorELNS0_4arch9wavefront6targetE1EEEvSJ_.has_recursion, 0
	.set _ZN7rocprim17ROCPRIM_400000_NS6detail17trampoline_kernelINS0_14default_configENS1_38merge_sort_block_merge_config_selectorIjjEEZZNS1_27merge_sort_block_merge_implIS3_N6thrust23THRUST_200600_302600_NS6detail15normal_iteratorINS8_10device_ptrIjEEEESD_jNS1_19radix_merge_compareILb0ELb1EjNS0_19identity_decomposerEEEEE10hipError_tT0_T1_T2_jT3_P12ihipStream_tbPNSt15iterator_traitsISI_E10value_typeEPNSO_ISJ_E10value_typeEPSK_NS1_7vsmem_tEENKUlT_SI_SJ_SK_E_clISD_PjSD_S10_EESH_SX_SI_SJ_SK_EUlSX_E_NS1_11comp_targetILNS1_3genE3ELNS1_11target_archE908ELNS1_3gpuE7ELNS1_3repE0EEENS1_48merge_mergepath_partition_config_static_selectorELNS0_4arch9wavefront6targetE1EEEvSJ_.has_indirect_call, 0
	.section	.AMDGPU.csdata,"",@progbits
; Kernel info:
; codeLenInByte = 0
; TotalNumSgprs: 6
; NumVgprs: 0
; NumAgprs: 0
; TotalNumVgprs: 0
; ScratchSize: 0
; MemoryBound: 0
; FloatMode: 240
; IeeeMode: 1
; LDSByteSize: 0 bytes/workgroup (compile time only)
; SGPRBlocks: 0
; VGPRBlocks: 0
; NumSGPRsForWavesPerEU: 6
; NumVGPRsForWavesPerEU: 1
; AccumOffset: 4
; Occupancy: 8
; WaveLimiterHint : 0
; COMPUTE_PGM_RSRC2:SCRATCH_EN: 0
; COMPUTE_PGM_RSRC2:USER_SGPR: 2
; COMPUTE_PGM_RSRC2:TRAP_HANDLER: 0
; COMPUTE_PGM_RSRC2:TGID_X_EN: 1
; COMPUTE_PGM_RSRC2:TGID_Y_EN: 0
; COMPUTE_PGM_RSRC2:TGID_Z_EN: 0
; COMPUTE_PGM_RSRC2:TIDIG_COMP_CNT: 0
; COMPUTE_PGM_RSRC3_GFX90A:ACCUM_OFFSET: 0
; COMPUTE_PGM_RSRC3_GFX90A:TG_SPLIT: 0
	.section	.text._ZN7rocprim17ROCPRIM_400000_NS6detail17trampoline_kernelINS0_14default_configENS1_38merge_sort_block_merge_config_selectorIjjEEZZNS1_27merge_sort_block_merge_implIS3_N6thrust23THRUST_200600_302600_NS6detail15normal_iteratorINS8_10device_ptrIjEEEESD_jNS1_19radix_merge_compareILb0ELb1EjNS0_19identity_decomposerEEEEE10hipError_tT0_T1_T2_jT3_P12ihipStream_tbPNSt15iterator_traitsISI_E10value_typeEPNSO_ISJ_E10value_typeEPSK_NS1_7vsmem_tEENKUlT_SI_SJ_SK_E_clISD_PjSD_S10_EESH_SX_SI_SJ_SK_EUlSX_E_NS1_11comp_targetILNS1_3genE2ELNS1_11target_archE906ELNS1_3gpuE6ELNS1_3repE0EEENS1_48merge_mergepath_partition_config_static_selectorELNS0_4arch9wavefront6targetE1EEEvSJ_,"axG",@progbits,_ZN7rocprim17ROCPRIM_400000_NS6detail17trampoline_kernelINS0_14default_configENS1_38merge_sort_block_merge_config_selectorIjjEEZZNS1_27merge_sort_block_merge_implIS3_N6thrust23THRUST_200600_302600_NS6detail15normal_iteratorINS8_10device_ptrIjEEEESD_jNS1_19radix_merge_compareILb0ELb1EjNS0_19identity_decomposerEEEEE10hipError_tT0_T1_T2_jT3_P12ihipStream_tbPNSt15iterator_traitsISI_E10value_typeEPNSO_ISJ_E10value_typeEPSK_NS1_7vsmem_tEENKUlT_SI_SJ_SK_E_clISD_PjSD_S10_EESH_SX_SI_SJ_SK_EUlSX_E_NS1_11comp_targetILNS1_3genE2ELNS1_11target_archE906ELNS1_3gpuE6ELNS1_3repE0EEENS1_48merge_mergepath_partition_config_static_selectorELNS0_4arch9wavefront6targetE1EEEvSJ_,comdat
	.protected	_ZN7rocprim17ROCPRIM_400000_NS6detail17trampoline_kernelINS0_14default_configENS1_38merge_sort_block_merge_config_selectorIjjEEZZNS1_27merge_sort_block_merge_implIS3_N6thrust23THRUST_200600_302600_NS6detail15normal_iteratorINS8_10device_ptrIjEEEESD_jNS1_19radix_merge_compareILb0ELb1EjNS0_19identity_decomposerEEEEE10hipError_tT0_T1_T2_jT3_P12ihipStream_tbPNSt15iterator_traitsISI_E10value_typeEPNSO_ISJ_E10value_typeEPSK_NS1_7vsmem_tEENKUlT_SI_SJ_SK_E_clISD_PjSD_S10_EESH_SX_SI_SJ_SK_EUlSX_E_NS1_11comp_targetILNS1_3genE2ELNS1_11target_archE906ELNS1_3gpuE6ELNS1_3repE0EEENS1_48merge_mergepath_partition_config_static_selectorELNS0_4arch9wavefront6targetE1EEEvSJ_ ; -- Begin function _ZN7rocprim17ROCPRIM_400000_NS6detail17trampoline_kernelINS0_14default_configENS1_38merge_sort_block_merge_config_selectorIjjEEZZNS1_27merge_sort_block_merge_implIS3_N6thrust23THRUST_200600_302600_NS6detail15normal_iteratorINS8_10device_ptrIjEEEESD_jNS1_19radix_merge_compareILb0ELb1EjNS0_19identity_decomposerEEEEE10hipError_tT0_T1_T2_jT3_P12ihipStream_tbPNSt15iterator_traitsISI_E10value_typeEPNSO_ISJ_E10value_typeEPSK_NS1_7vsmem_tEENKUlT_SI_SJ_SK_E_clISD_PjSD_S10_EESH_SX_SI_SJ_SK_EUlSX_E_NS1_11comp_targetILNS1_3genE2ELNS1_11target_archE906ELNS1_3gpuE6ELNS1_3repE0EEENS1_48merge_mergepath_partition_config_static_selectorELNS0_4arch9wavefront6targetE1EEEvSJ_
	.globl	_ZN7rocprim17ROCPRIM_400000_NS6detail17trampoline_kernelINS0_14default_configENS1_38merge_sort_block_merge_config_selectorIjjEEZZNS1_27merge_sort_block_merge_implIS3_N6thrust23THRUST_200600_302600_NS6detail15normal_iteratorINS8_10device_ptrIjEEEESD_jNS1_19radix_merge_compareILb0ELb1EjNS0_19identity_decomposerEEEEE10hipError_tT0_T1_T2_jT3_P12ihipStream_tbPNSt15iterator_traitsISI_E10value_typeEPNSO_ISJ_E10value_typeEPSK_NS1_7vsmem_tEENKUlT_SI_SJ_SK_E_clISD_PjSD_S10_EESH_SX_SI_SJ_SK_EUlSX_E_NS1_11comp_targetILNS1_3genE2ELNS1_11target_archE906ELNS1_3gpuE6ELNS1_3repE0EEENS1_48merge_mergepath_partition_config_static_selectorELNS0_4arch9wavefront6targetE1EEEvSJ_
	.p2align	8
	.type	_ZN7rocprim17ROCPRIM_400000_NS6detail17trampoline_kernelINS0_14default_configENS1_38merge_sort_block_merge_config_selectorIjjEEZZNS1_27merge_sort_block_merge_implIS3_N6thrust23THRUST_200600_302600_NS6detail15normal_iteratorINS8_10device_ptrIjEEEESD_jNS1_19radix_merge_compareILb0ELb1EjNS0_19identity_decomposerEEEEE10hipError_tT0_T1_T2_jT3_P12ihipStream_tbPNSt15iterator_traitsISI_E10value_typeEPNSO_ISJ_E10value_typeEPSK_NS1_7vsmem_tEENKUlT_SI_SJ_SK_E_clISD_PjSD_S10_EESH_SX_SI_SJ_SK_EUlSX_E_NS1_11comp_targetILNS1_3genE2ELNS1_11target_archE906ELNS1_3gpuE6ELNS1_3repE0EEENS1_48merge_mergepath_partition_config_static_selectorELNS0_4arch9wavefront6targetE1EEEvSJ_,@function
_ZN7rocprim17ROCPRIM_400000_NS6detail17trampoline_kernelINS0_14default_configENS1_38merge_sort_block_merge_config_selectorIjjEEZZNS1_27merge_sort_block_merge_implIS3_N6thrust23THRUST_200600_302600_NS6detail15normal_iteratorINS8_10device_ptrIjEEEESD_jNS1_19radix_merge_compareILb0ELb1EjNS0_19identity_decomposerEEEEE10hipError_tT0_T1_T2_jT3_P12ihipStream_tbPNSt15iterator_traitsISI_E10value_typeEPNSO_ISJ_E10value_typeEPSK_NS1_7vsmem_tEENKUlT_SI_SJ_SK_E_clISD_PjSD_S10_EESH_SX_SI_SJ_SK_EUlSX_E_NS1_11comp_targetILNS1_3genE2ELNS1_11target_archE906ELNS1_3gpuE6ELNS1_3repE0EEENS1_48merge_mergepath_partition_config_static_selectorELNS0_4arch9wavefront6targetE1EEEvSJ_: ; @_ZN7rocprim17ROCPRIM_400000_NS6detail17trampoline_kernelINS0_14default_configENS1_38merge_sort_block_merge_config_selectorIjjEEZZNS1_27merge_sort_block_merge_implIS3_N6thrust23THRUST_200600_302600_NS6detail15normal_iteratorINS8_10device_ptrIjEEEESD_jNS1_19radix_merge_compareILb0ELb1EjNS0_19identity_decomposerEEEEE10hipError_tT0_T1_T2_jT3_P12ihipStream_tbPNSt15iterator_traitsISI_E10value_typeEPNSO_ISJ_E10value_typeEPSK_NS1_7vsmem_tEENKUlT_SI_SJ_SK_E_clISD_PjSD_S10_EESH_SX_SI_SJ_SK_EUlSX_E_NS1_11comp_targetILNS1_3genE2ELNS1_11target_archE906ELNS1_3gpuE6ELNS1_3repE0EEENS1_48merge_mergepath_partition_config_static_selectorELNS0_4arch9wavefront6targetE1EEEvSJ_
; %bb.0:
	.section	.rodata,"a",@progbits
	.p2align	6, 0x0
	.amdhsa_kernel _ZN7rocprim17ROCPRIM_400000_NS6detail17trampoline_kernelINS0_14default_configENS1_38merge_sort_block_merge_config_selectorIjjEEZZNS1_27merge_sort_block_merge_implIS3_N6thrust23THRUST_200600_302600_NS6detail15normal_iteratorINS8_10device_ptrIjEEEESD_jNS1_19radix_merge_compareILb0ELb1EjNS0_19identity_decomposerEEEEE10hipError_tT0_T1_T2_jT3_P12ihipStream_tbPNSt15iterator_traitsISI_E10value_typeEPNSO_ISJ_E10value_typeEPSK_NS1_7vsmem_tEENKUlT_SI_SJ_SK_E_clISD_PjSD_S10_EESH_SX_SI_SJ_SK_EUlSX_E_NS1_11comp_targetILNS1_3genE2ELNS1_11target_archE906ELNS1_3gpuE6ELNS1_3repE0EEENS1_48merge_mergepath_partition_config_static_selectorELNS0_4arch9wavefront6targetE1EEEvSJ_
		.amdhsa_group_segment_fixed_size 0
		.amdhsa_private_segment_fixed_size 0
		.amdhsa_kernarg_size 40
		.amdhsa_user_sgpr_count 2
		.amdhsa_user_sgpr_dispatch_ptr 0
		.amdhsa_user_sgpr_queue_ptr 0
		.amdhsa_user_sgpr_kernarg_segment_ptr 1
		.amdhsa_user_sgpr_dispatch_id 0
		.amdhsa_user_sgpr_kernarg_preload_length 0
		.amdhsa_user_sgpr_kernarg_preload_offset 0
		.amdhsa_user_sgpr_private_segment_size 0
		.amdhsa_uses_dynamic_stack 0
		.amdhsa_enable_private_segment 0
		.amdhsa_system_sgpr_workgroup_id_x 1
		.amdhsa_system_sgpr_workgroup_id_y 0
		.amdhsa_system_sgpr_workgroup_id_z 0
		.amdhsa_system_sgpr_workgroup_info 0
		.amdhsa_system_vgpr_workitem_id 0
		.amdhsa_next_free_vgpr 1
		.amdhsa_next_free_sgpr 0
		.amdhsa_accum_offset 4
		.amdhsa_reserve_vcc 0
		.amdhsa_float_round_mode_32 0
		.amdhsa_float_round_mode_16_64 0
		.amdhsa_float_denorm_mode_32 3
		.amdhsa_float_denorm_mode_16_64 3
		.amdhsa_dx10_clamp 1
		.amdhsa_ieee_mode 1
		.amdhsa_fp16_overflow 0
		.amdhsa_tg_split 0
		.amdhsa_exception_fp_ieee_invalid_op 0
		.amdhsa_exception_fp_denorm_src 0
		.amdhsa_exception_fp_ieee_div_zero 0
		.amdhsa_exception_fp_ieee_overflow 0
		.amdhsa_exception_fp_ieee_underflow 0
		.amdhsa_exception_fp_ieee_inexact 0
		.amdhsa_exception_int_div_zero 0
	.end_amdhsa_kernel
	.section	.text._ZN7rocprim17ROCPRIM_400000_NS6detail17trampoline_kernelINS0_14default_configENS1_38merge_sort_block_merge_config_selectorIjjEEZZNS1_27merge_sort_block_merge_implIS3_N6thrust23THRUST_200600_302600_NS6detail15normal_iteratorINS8_10device_ptrIjEEEESD_jNS1_19radix_merge_compareILb0ELb1EjNS0_19identity_decomposerEEEEE10hipError_tT0_T1_T2_jT3_P12ihipStream_tbPNSt15iterator_traitsISI_E10value_typeEPNSO_ISJ_E10value_typeEPSK_NS1_7vsmem_tEENKUlT_SI_SJ_SK_E_clISD_PjSD_S10_EESH_SX_SI_SJ_SK_EUlSX_E_NS1_11comp_targetILNS1_3genE2ELNS1_11target_archE906ELNS1_3gpuE6ELNS1_3repE0EEENS1_48merge_mergepath_partition_config_static_selectorELNS0_4arch9wavefront6targetE1EEEvSJ_,"axG",@progbits,_ZN7rocprim17ROCPRIM_400000_NS6detail17trampoline_kernelINS0_14default_configENS1_38merge_sort_block_merge_config_selectorIjjEEZZNS1_27merge_sort_block_merge_implIS3_N6thrust23THRUST_200600_302600_NS6detail15normal_iteratorINS8_10device_ptrIjEEEESD_jNS1_19radix_merge_compareILb0ELb1EjNS0_19identity_decomposerEEEEE10hipError_tT0_T1_T2_jT3_P12ihipStream_tbPNSt15iterator_traitsISI_E10value_typeEPNSO_ISJ_E10value_typeEPSK_NS1_7vsmem_tEENKUlT_SI_SJ_SK_E_clISD_PjSD_S10_EESH_SX_SI_SJ_SK_EUlSX_E_NS1_11comp_targetILNS1_3genE2ELNS1_11target_archE906ELNS1_3gpuE6ELNS1_3repE0EEENS1_48merge_mergepath_partition_config_static_selectorELNS0_4arch9wavefront6targetE1EEEvSJ_,comdat
.Lfunc_end705:
	.size	_ZN7rocprim17ROCPRIM_400000_NS6detail17trampoline_kernelINS0_14default_configENS1_38merge_sort_block_merge_config_selectorIjjEEZZNS1_27merge_sort_block_merge_implIS3_N6thrust23THRUST_200600_302600_NS6detail15normal_iteratorINS8_10device_ptrIjEEEESD_jNS1_19radix_merge_compareILb0ELb1EjNS0_19identity_decomposerEEEEE10hipError_tT0_T1_T2_jT3_P12ihipStream_tbPNSt15iterator_traitsISI_E10value_typeEPNSO_ISJ_E10value_typeEPSK_NS1_7vsmem_tEENKUlT_SI_SJ_SK_E_clISD_PjSD_S10_EESH_SX_SI_SJ_SK_EUlSX_E_NS1_11comp_targetILNS1_3genE2ELNS1_11target_archE906ELNS1_3gpuE6ELNS1_3repE0EEENS1_48merge_mergepath_partition_config_static_selectorELNS0_4arch9wavefront6targetE1EEEvSJ_, .Lfunc_end705-_ZN7rocprim17ROCPRIM_400000_NS6detail17trampoline_kernelINS0_14default_configENS1_38merge_sort_block_merge_config_selectorIjjEEZZNS1_27merge_sort_block_merge_implIS3_N6thrust23THRUST_200600_302600_NS6detail15normal_iteratorINS8_10device_ptrIjEEEESD_jNS1_19radix_merge_compareILb0ELb1EjNS0_19identity_decomposerEEEEE10hipError_tT0_T1_T2_jT3_P12ihipStream_tbPNSt15iterator_traitsISI_E10value_typeEPNSO_ISJ_E10value_typeEPSK_NS1_7vsmem_tEENKUlT_SI_SJ_SK_E_clISD_PjSD_S10_EESH_SX_SI_SJ_SK_EUlSX_E_NS1_11comp_targetILNS1_3genE2ELNS1_11target_archE906ELNS1_3gpuE6ELNS1_3repE0EEENS1_48merge_mergepath_partition_config_static_selectorELNS0_4arch9wavefront6targetE1EEEvSJ_
                                        ; -- End function
	.set _ZN7rocprim17ROCPRIM_400000_NS6detail17trampoline_kernelINS0_14default_configENS1_38merge_sort_block_merge_config_selectorIjjEEZZNS1_27merge_sort_block_merge_implIS3_N6thrust23THRUST_200600_302600_NS6detail15normal_iteratorINS8_10device_ptrIjEEEESD_jNS1_19radix_merge_compareILb0ELb1EjNS0_19identity_decomposerEEEEE10hipError_tT0_T1_T2_jT3_P12ihipStream_tbPNSt15iterator_traitsISI_E10value_typeEPNSO_ISJ_E10value_typeEPSK_NS1_7vsmem_tEENKUlT_SI_SJ_SK_E_clISD_PjSD_S10_EESH_SX_SI_SJ_SK_EUlSX_E_NS1_11comp_targetILNS1_3genE2ELNS1_11target_archE906ELNS1_3gpuE6ELNS1_3repE0EEENS1_48merge_mergepath_partition_config_static_selectorELNS0_4arch9wavefront6targetE1EEEvSJ_.num_vgpr, 0
	.set _ZN7rocprim17ROCPRIM_400000_NS6detail17trampoline_kernelINS0_14default_configENS1_38merge_sort_block_merge_config_selectorIjjEEZZNS1_27merge_sort_block_merge_implIS3_N6thrust23THRUST_200600_302600_NS6detail15normal_iteratorINS8_10device_ptrIjEEEESD_jNS1_19radix_merge_compareILb0ELb1EjNS0_19identity_decomposerEEEEE10hipError_tT0_T1_T2_jT3_P12ihipStream_tbPNSt15iterator_traitsISI_E10value_typeEPNSO_ISJ_E10value_typeEPSK_NS1_7vsmem_tEENKUlT_SI_SJ_SK_E_clISD_PjSD_S10_EESH_SX_SI_SJ_SK_EUlSX_E_NS1_11comp_targetILNS1_3genE2ELNS1_11target_archE906ELNS1_3gpuE6ELNS1_3repE0EEENS1_48merge_mergepath_partition_config_static_selectorELNS0_4arch9wavefront6targetE1EEEvSJ_.num_agpr, 0
	.set _ZN7rocprim17ROCPRIM_400000_NS6detail17trampoline_kernelINS0_14default_configENS1_38merge_sort_block_merge_config_selectorIjjEEZZNS1_27merge_sort_block_merge_implIS3_N6thrust23THRUST_200600_302600_NS6detail15normal_iteratorINS8_10device_ptrIjEEEESD_jNS1_19radix_merge_compareILb0ELb1EjNS0_19identity_decomposerEEEEE10hipError_tT0_T1_T2_jT3_P12ihipStream_tbPNSt15iterator_traitsISI_E10value_typeEPNSO_ISJ_E10value_typeEPSK_NS1_7vsmem_tEENKUlT_SI_SJ_SK_E_clISD_PjSD_S10_EESH_SX_SI_SJ_SK_EUlSX_E_NS1_11comp_targetILNS1_3genE2ELNS1_11target_archE906ELNS1_3gpuE6ELNS1_3repE0EEENS1_48merge_mergepath_partition_config_static_selectorELNS0_4arch9wavefront6targetE1EEEvSJ_.numbered_sgpr, 0
	.set _ZN7rocprim17ROCPRIM_400000_NS6detail17trampoline_kernelINS0_14default_configENS1_38merge_sort_block_merge_config_selectorIjjEEZZNS1_27merge_sort_block_merge_implIS3_N6thrust23THRUST_200600_302600_NS6detail15normal_iteratorINS8_10device_ptrIjEEEESD_jNS1_19radix_merge_compareILb0ELb1EjNS0_19identity_decomposerEEEEE10hipError_tT0_T1_T2_jT3_P12ihipStream_tbPNSt15iterator_traitsISI_E10value_typeEPNSO_ISJ_E10value_typeEPSK_NS1_7vsmem_tEENKUlT_SI_SJ_SK_E_clISD_PjSD_S10_EESH_SX_SI_SJ_SK_EUlSX_E_NS1_11comp_targetILNS1_3genE2ELNS1_11target_archE906ELNS1_3gpuE6ELNS1_3repE0EEENS1_48merge_mergepath_partition_config_static_selectorELNS0_4arch9wavefront6targetE1EEEvSJ_.num_named_barrier, 0
	.set _ZN7rocprim17ROCPRIM_400000_NS6detail17trampoline_kernelINS0_14default_configENS1_38merge_sort_block_merge_config_selectorIjjEEZZNS1_27merge_sort_block_merge_implIS3_N6thrust23THRUST_200600_302600_NS6detail15normal_iteratorINS8_10device_ptrIjEEEESD_jNS1_19radix_merge_compareILb0ELb1EjNS0_19identity_decomposerEEEEE10hipError_tT0_T1_T2_jT3_P12ihipStream_tbPNSt15iterator_traitsISI_E10value_typeEPNSO_ISJ_E10value_typeEPSK_NS1_7vsmem_tEENKUlT_SI_SJ_SK_E_clISD_PjSD_S10_EESH_SX_SI_SJ_SK_EUlSX_E_NS1_11comp_targetILNS1_3genE2ELNS1_11target_archE906ELNS1_3gpuE6ELNS1_3repE0EEENS1_48merge_mergepath_partition_config_static_selectorELNS0_4arch9wavefront6targetE1EEEvSJ_.private_seg_size, 0
	.set _ZN7rocprim17ROCPRIM_400000_NS6detail17trampoline_kernelINS0_14default_configENS1_38merge_sort_block_merge_config_selectorIjjEEZZNS1_27merge_sort_block_merge_implIS3_N6thrust23THRUST_200600_302600_NS6detail15normal_iteratorINS8_10device_ptrIjEEEESD_jNS1_19radix_merge_compareILb0ELb1EjNS0_19identity_decomposerEEEEE10hipError_tT0_T1_T2_jT3_P12ihipStream_tbPNSt15iterator_traitsISI_E10value_typeEPNSO_ISJ_E10value_typeEPSK_NS1_7vsmem_tEENKUlT_SI_SJ_SK_E_clISD_PjSD_S10_EESH_SX_SI_SJ_SK_EUlSX_E_NS1_11comp_targetILNS1_3genE2ELNS1_11target_archE906ELNS1_3gpuE6ELNS1_3repE0EEENS1_48merge_mergepath_partition_config_static_selectorELNS0_4arch9wavefront6targetE1EEEvSJ_.uses_vcc, 0
	.set _ZN7rocprim17ROCPRIM_400000_NS6detail17trampoline_kernelINS0_14default_configENS1_38merge_sort_block_merge_config_selectorIjjEEZZNS1_27merge_sort_block_merge_implIS3_N6thrust23THRUST_200600_302600_NS6detail15normal_iteratorINS8_10device_ptrIjEEEESD_jNS1_19radix_merge_compareILb0ELb1EjNS0_19identity_decomposerEEEEE10hipError_tT0_T1_T2_jT3_P12ihipStream_tbPNSt15iterator_traitsISI_E10value_typeEPNSO_ISJ_E10value_typeEPSK_NS1_7vsmem_tEENKUlT_SI_SJ_SK_E_clISD_PjSD_S10_EESH_SX_SI_SJ_SK_EUlSX_E_NS1_11comp_targetILNS1_3genE2ELNS1_11target_archE906ELNS1_3gpuE6ELNS1_3repE0EEENS1_48merge_mergepath_partition_config_static_selectorELNS0_4arch9wavefront6targetE1EEEvSJ_.uses_flat_scratch, 0
	.set _ZN7rocprim17ROCPRIM_400000_NS6detail17trampoline_kernelINS0_14default_configENS1_38merge_sort_block_merge_config_selectorIjjEEZZNS1_27merge_sort_block_merge_implIS3_N6thrust23THRUST_200600_302600_NS6detail15normal_iteratorINS8_10device_ptrIjEEEESD_jNS1_19radix_merge_compareILb0ELb1EjNS0_19identity_decomposerEEEEE10hipError_tT0_T1_T2_jT3_P12ihipStream_tbPNSt15iterator_traitsISI_E10value_typeEPNSO_ISJ_E10value_typeEPSK_NS1_7vsmem_tEENKUlT_SI_SJ_SK_E_clISD_PjSD_S10_EESH_SX_SI_SJ_SK_EUlSX_E_NS1_11comp_targetILNS1_3genE2ELNS1_11target_archE906ELNS1_3gpuE6ELNS1_3repE0EEENS1_48merge_mergepath_partition_config_static_selectorELNS0_4arch9wavefront6targetE1EEEvSJ_.has_dyn_sized_stack, 0
	.set _ZN7rocprim17ROCPRIM_400000_NS6detail17trampoline_kernelINS0_14default_configENS1_38merge_sort_block_merge_config_selectorIjjEEZZNS1_27merge_sort_block_merge_implIS3_N6thrust23THRUST_200600_302600_NS6detail15normal_iteratorINS8_10device_ptrIjEEEESD_jNS1_19radix_merge_compareILb0ELb1EjNS0_19identity_decomposerEEEEE10hipError_tT0_T1_T2_jT3_P12ihipStream_tbPNSt15iterator_traitsISI_E10value_typeEPNSO_ISJ_E10value_typeEPSK_NS1_7vsmem_tEENKUlT_SI_SJ_SK_E_clISD_PjSD_S10_EESH_SX_SI_SJ_SK_EUlSX_E_NS1_11comp_targetILNS1_3genE2ELNS1_11target_archE906ELNS1_3gpuE6ELNS1_3repE0EEENS1_48merge_mergepath_partition_config_static_selectorELNS0_4arch9wavefront6targetE1EEEvSJ_.has_recursion, 0
	.set _ZN7rocprim17ROCPRIM_400000_NS6detail17trampoline_kernelINS0_14default_configENS1_38merge_sort_block_merge_config_selectorIjjEEZZNS1_27merge_sort_block_merge_implIS3_N6thrust23THRUST_200600_302600_NS6detail15normal_iteratorINS8_10device_ptrIjEEEESD_jNS1_19radix_merge_compareILb0ELb1EjNS0_19identity_decomposerEEEEE10hipError_tT0_T1_T2_jT3_P12ihipStream_tbPNSt15iterator_traitsISI_E10value_typeEPNSO_ISJ_E10value_typeEPSK_NS1_7vsmem_tEENKUlT_SI_SJ_SK_E_clISD_PjSD_S10_EESH_SX_SI_SJ_SK_EUlSX_E_NS1_11comp_targetILNS1_3genE2ELNS1_11target_archE906ELNS1_3gpuE6ELNS1_3repE0EEENS1_48merge_mergepath_partition_config_static_selectorELNS0_4arch9wavefront6targetE1EEEvSJ_.has_indirect_call, 0
	.section	.AMDGPU.csdata,"",@progbits
; Kernel info:
; codeLenInByte = 0
; TotalNumSgprs: 6
; NumVgprs: 0
; NumAgprs: 0
; TotalNumVgprs: 0
; ScratchSize: 0
; MemoryBound: 0
; FloatMode: 240
; IeeeMode: 1
; LDSByteSize: 0 bytes/workgroup (compile time only)
; SGPRBlocks: 0
; VGPRBlocks: 0
; NumSGPRsForWavesPerEU: 6
; NumVGPRsForWavesPerEU: 1
; AccumOffset: 4
; Occupancy: 8
; WaveLimiterHint : 0
; COMPUTE_PGM_RSRC2:SCRATCH_EN: 0
; COMPUTE_PGM_RSRC2:USER_SGPR: 2
; COMPUTE_PGM_RSRC2:TRAP_HANDLER: 0
; COMPUTE_PGM_RSRC2:TGID_X_EN: 1
; COMPUTE_PGM_RSRC2:TGID_Y_EN: 0
; COMPUTE_PGM_RSRC2:TGID_Z_EN: 0
; COMPUTE_PGM_RSRC2:TIDIG_COMP_CNT: 0
; COMPUTE_PGM_RSRC3_GFX90A:ACCUM_OFFSET: 0
; COMPUTE_PGM_RSRC3_GFX90A:TG_SPLIT: 0
	.section	.text._ZN7rocprim17ROCPRIM_400000_NS6detail17trampoline_kernelINS0_14default_configENS1_38merge_sort_block_merge_config_selectorIjjEEZZNS1_27merge_sort_block_merge_implIS3_N6thrust23THRUST_200600_302600_NS6detail15normal_iteratorINS8_10device_ptrIjEEEESD_jNS1_19radix_merge_compareILb0ELb1EjNS0_19identity_decomposerEEEEE10hipError_tT0_T1_T2_jT3_P12ihipStream_tbPNSt15iterator_traitsISI_E10value_typeEPNSO_ISJ_E10value_typeEPSK_NS1_7vsmem_tEENKUlT_SI_SJ_SK_E_clISD_PjSD_S10_EESH_SX_SI_SJ_SK_EUlSX_E_NS1_11comp_targetILNS1_3genE9ELNS1_11target_archE1100ELNS1_3gpuE3ELNS1_3repE0EEENS1_48merge_mergepath_partition_config_static_selectorELNS0_4arch9wavefront6targetE1EEEvSJ_,"axG",@progbits,_ZN7rocprim17ROCPRIM_400000_NS6detail17trampoline_kernelINS0_14default_configENS1_38merge_sort_block_merge_config_selectorIjjEEZZNS1_27merge_sort_block_merge_implIS3_N6thrust23THRUST_200600_302600_NS6detail15normal_iteratorINS8_10device_ptrIjEEEESD_jNS1_19radix_merge_compareILb0ELb1EjNS0_19identity_decomposerEEEEE10hipError_tT0_T1_T2_jT3_P12ihipStream_tbPNSt15iterator_traitsISI_E10value_typeEPNSO_ISJ_E10value_typeEPSK_NS1_7vsmem_tEENKUlT_SI_SJ_SK_E_clISD_PjSD_S10_EESH_SX_SI_SJ_SK_EUlSX_E_NS1_11comp_targetILNS1_3genE9ELNS1_11target_archE1100ELNS1_3gpuE3ELNS1_3repE0EEENS1_48merge_mergepath_partition_config_static_selectorELNS0_4arch9wavefront6targetE1EEEvSJ_,comdat
	.protected	_ZN7rocprim17ROCPRIM_400000_NS6detail17trampoline_kernelINS0_14default_configENS1_38merge_sort_block_merge_config_selectorIjjEEZZNS1_27merge_sort_block_merge_implIS3_N6thrust23THRUST_200600_302600_NS6detail15normal_iteratorINS8_10device_ptrIjEEEESD_jNS1_19radix_merge_compareILb0ELb1EjNS0_19identity_decomposerEEEEE10hipError_tT0_T1_T2_jT3_P12ihipStream_tbPNSt15iterator_traitsISI_E10value_typeEPNSO_ISJ_E10value_typeEPSK_NS1_7vsmem_tEENKUlT_SI_SJ_SK_E_clISD_PjSD_S10_EESH_SX_SI_SJ_SK_EUlSX_E_NS1_11comp_targetILNS1_3genE9ELNS1_11target_archE1100ELNS1_3gpuE3ELNS1_3repE0EEENS1_48merge_mergepath_partition_config_static_selectorELNS0_4arch9wavefront6targetE1EEEvSJ_ ; -- Begin function _ZN7rocprim17ROCPRIM_400000_NS6detail17trampoline_kernelINS0_14default_configENS1_38merge_sort_block_merge_config_selectorIjjEEZZNS1_27merge_sort_block_merge_implIS3_N6thrust23THRUST_200600_302600_NS6detail15normal_iteratorINS8_10device_ptrIjEEEESD_jNS1_19radix_merge_compareILb0ELb1EjNS0_19identity_decomposerEEEEE10hipError_tT0_T1_T2_jT3_P12ihipStream_tbPNSt15iterator_traitsISI_E10value_typeEPNSO_ISJ_E10value_typeEPSK_NS1_7vsmem_tEENKUlT_SI_SJ_SK_E_clISD_PjSD_S10_EESH_SX_SI_SJ_SK_EUlSX_E_NS1_11comp_targetILNS1_3genE9ELNS1_11target_archE1100ELNS1_3gpuE3ELNS1_3repE0EEENS1_48merge_mergepath_partition_config_static_selectorELNS0_4arch9wavefront6targetE1EEEvSJ_
	.globl	_ZN7rocprim17ROCPRIM_400000_NS6detail17trampoline_kernelINS0_14default_configENS1_38merge_sort_block_merge_config_selectorIjjEEZZNS1_27merge_sort_block_merge_implIS3_N6thrust23THRUST_200600_302600_NS6detail15normal_iteratorINS8_10device_ptrIjEEEESD_jNS1_19radix_merge_compareILb0ELb1EjNS0_19identity_decomposerEEEEE10hipError_tT0_T1_T2_jT3_P12ihipStream_tbPNSt15iterator_traitsISI_E10value_typeEPNSO_ISJ_E10value_typeEPSK_NS1_7vsmem_tEENKUlT_SI_SJ_SK_E_clISD_PjSD_S10_EESH_SX_SI_SJ_SK_EUlSX_E_NS1_11comp_targetILNS1_3genE9ELNS1_11target_archE1100ELNS1_3gpuE3ELNS1_3repE0EEENS1_48merge_mergepath_partition_config_static_selectorELNS0_4arch9wavefront6targetE1EEEvSJ_
	.p2align	8
	.type	_ZN7rocprim17ROCPRIM_400000_NS6detail17trampoline_kernelINS0_14default_configENS1_38merge_sort_block_merge_config_selectorIjjEEZZNS1_27merge_sort_block_merge_implIS3_N6thrust23THRUST_200600_302600_NS6detail15normal_iteratorINS8_10device_ptrIjEEEESD_jNS1_19radix_merge_compareILb0ELb1EjNS0_19identity_decomposerEEEEE10hipError_tT0_T1_T2_jT3_P12ihipStream_tbPNSt15iterator_traitsISI_E10value_typeEPNSO_ISJ_E10value_typeEPSK_NS1_7vsmem_tEENKUlT_SI_SJ_SK_E_clISD_PjSD_S10_EESH_SX_SI_SJ_SK_EUlSX_E_NS1_11comp_targetILNS1_3genE9ELNS1_11target_archE1100ELNS1_3gpuE3ELNS1_3repE0EEENS1_48merge_mergepath_partition_config_static_selectorELNS0_4arch9wavefront6targetE1EEEvSJ_,@function
_ZN7rocprim17ROCPRIM_400000_NS6detail17trampoline_kernelINS0_14default_configENS1_38merge_sort_block_merge_config_selectorIjjEEZZNS1_27merge_sort_block_merge_implIS3_N6thrust23THRUST_200600_302600_NS6detail15normal_iteratorINS8_10device_ptrIjEEEESD_jNS1_19radix_merge_compareILb0ELb1EjNS0_19identity_decomposerEEEEE10hipError_tT0_T1_T2_jT3_P12ihipStream_tbPNSt15iterator_traitsISI_E10value_typeEPNSO_ISJ_E10value_typeEPSK_NS1_7vsmem_tEENKUlT_SI_SJ_SK_E_clISD_PjSD_S10_EESH_SX_SI_SJ_SK_EUlSX_E_NS1_11comp_targetILNS1_3genE9ELNS1_11target_archE1100ELNS1_3gpuE3ELNS1_3repE0EEENS1_48merge_mergepath_partition_config_static_selectorELNS0_4arch9wavefront6targetE1EEEvSJ_: ; @_ZN7rocprim17ROCPRIM_400000_NS6detail17trampoline_kernelINS0_14default_configENS1_38merge_sort_block_merge_config_selectorIjjEEZZNS1_27merge_sort_block_merge_implIS3_N6thrust23THRUST_200600_302600_NS6detail15normal_iteratorINS8_10device_ptrIjEEEESD_jNS1_19radix_merge_compareILb0ELb1EjNS0_19identity_decomposerEEEEE10hipError_tT0_T1_T2_jT3_P12ihipStream_tbPNSt15iterator_traitsISI_E10value_typeEPNSO_ISJ_E10value_typeEPSK_NS1_7vsmem_tEENKUlT_SI_SJ_SK_E_clISD_PjSD_S10_EESH_SX_SI_SJ_SK_EUlSX_E_NS1_11comp_targetILNS1_3genE9ELNS1_11target_archE1100ELNS1_3gpuE3ELNS1_3repE0EEENS1_48merge_mergepath_partition_config_static_selectorELNS0_4arch9wavefront6targetE1EEEvSJ_
; %bb.0:
	.section	.rodata,"a",@progbits
	.p2align	6, 0x0
	.amdhsa_kernel _ZN7rocprim17ROCPRIM_400000_NS6detail17trampoline_kernelINS0_14default_configENS1_38merge_sort_block_merge_config_selectorIjjEEZZNS1_27merge_sort_block_merge_implIS3_N6thrust23THRUST_200600_302600_NS6detail15normal_iteratorINS8_10device_ptrIjEEEESD_jNS1_19radix_merge_compareILb0ELb1EjNS0_19identity_decomposerEEEEE10hipError_tT0_T1_T2_jT3_P12ihipStream_tbPNSt15iterator_traitsISI_E10value_typeEPNSO_ISJ_E10value_typeEPSK_NS1_7vsmem_tEENKUlT_SI_SJ_SK_E_clISD_PjSD_S10_EESH_SX_SI_SJ_SK_EUlSX_E_NS1_11comp_targetILNS1_3genE9ELNS1_11target_archE1100ELNS1_3gpuE3ELNS1_3repE0EEENS1_48merge_mergepath_partition_config_static_selectorELNS0_4arch9wavefront6targetE1EEEvSJ_
		.amdhsa_group_segment_fixed_size 0
		.amdhsa_private_segment_fixed_size 0
		.amdhsa_kernarg_size 40
		.amdhsa_user_sgpr_count 2
		.amdhsa_user_sgpr_dispatch_ptr 0
		.amdhsa_user_sgpr_queue_ptr 0
		.amdhsa_user_sgpr_kernarg_segment_ptr 1
		.amdhsa_user_sgpr_dispatch_id 0
		.amdhsa_user_sgpr_kernarg_preload_length 0
		.amdhsa_user_sgpr_kernarg_preload_offset 0
		.amdhsa_user_sgpr_private_segment_size 0
		.amdhsa_uses_dynamic_stack 0
		.amdhsa_enable_private_segment 0
		.amdhsa_system_sgpr_workgroup_id_x 1
		.amdhsa_system_sgpr_workgroup_id_y 0
		.amdhsa_system_sgpr_workgroup_id_z 0
		.amdhsa_system_sgpr_workgroup_info 0
		.amdhsa_system_vgpr_workitem_id 0
		.amdhsa_next_free_vgpr 1
		.amdhsa_next_free_sgpr 0
		.amdhsa_accum_offset 4
		.amdhsa_reserve_vcc 0
		.amdhsa_float_round_mode_32 0
		.amdhsa_float_round_mode_16_64 0
		.amdhsa_float_denorm_mode_32 3
		.amdhsa_float_denorm_mode_16_64 3
		.amdhsa_dx10_clamp 1
		.amdhsa_ieee_mode 1
		.amdhsa_fp16_overflow 0
		.amdhsa_tg_split 0
		.amdhsa_exception_fp_ieee_invalid_op 0
		.amdhsa_exception_fp_denorm_src 0
		.amdhsa_exception_fp_ieee_div_zero 0
		.amdhsa_exception_fp_ieee_overflow 0
		.amdhsa_exception_fp_ieee_underflow 0
		.amdhsa_exception_fp_ieee_inexact 0
		.amdhsa_exception_int_div_zero 0
	.end_amdhsa_kernel
	.section	.text._ZN7rocprim17ROCPRIM_400000_NS6detail17trampoline_kernelINS0_14default_configENS1_38merge_sort_block_merge_config_selectorIjjEEZZNS1_27merge_sort_block_merge_implIS3_N6thrust23THRUST_200600_302600_NS6detail15normal_iteratorINS8_10device_ptrIjEEEESD_jNS1_19radix_merge_compareILb0ELb1EjNS0_19identity_decomposerEEEEE10hipError_tT0_T1_T2_jT3_P12ihipStream_tbPNSt15iterator_traitsISI_E10value_typeEPNSO_ISJ_E10value_typeEPSK_NS1_7vsmem_tEENKUlT_SI_SJ_SK_E_clISD_PjSD_S10_EESH_SX_SI_SJ_SK_EUlSX_E_NS1_11comp_targetILNS1_3genE9ELNS1_11target_archE1100ELNS1_3gpuE3ELNS1_3repE0EEENS1_48merge_mergepath_partition_config_static_selectorELNS0_4arch9wavefront6targetE1EEEvSJ_,"axG",@progbits,_ZN7rocprim17ROCPRIM_400000_NS6detail17trampoline_kernelINS0_14default_configENS1_38merge_sort_block_merge_config_selectorIjjEEZZNS1_27merge_sort_block_merge_implIS3_N6thrust23THRUST_200600_302600_NS6detail15normal_iteratorINS8_10device_ptrIjEEEESD_jNS1_19radix_merge_compareILb0ELb1EjNS0_19identity_decomposerEEEEE10hipError_tT0_T1_T2_jT3_P12ihipStream_tbPNSt15iterator_traitsISI_E10value_typeEPNSO_ISJ_E10value_typeEPSK_NS1_7vsmem_tEENKUlT_SI_SJ_SK_E_clISD_PjSD_S10_EESH_SX_SI_SJ_SK_EUlSX_E_NS1_11comp_targetILNS1_3genE9ELNS1_11target_archE1100ELNS1_3gpuE3ELNS1_3repE0EEENS1_48merge_mergepath_partition_config_static_selectorELNS0_4arch9wavefront6targetE1EEEvSJ_,comdat
.Lfunc_end706:
	.size	_ZN7rocprim17ROCPRIM_400000_NS6detail17trampoline_kernelINS0_14default_configENS1_38merge_sort_block_merge_config_selectorIjjEEZZNS1_27merge_sort_block_merge_implIS3_N6thrust23THRUST_200600_302600_NS6detail15normal_iteratorINS8_10device_ptrIjEEEESD_jNS1_19radix_merge_compareILb0ELb1EjNS0_19identity_decomposerEEEEE10hipError_tT0_T1_T2_jT3_P12ihipStream_tbPNSt15iterator_traitsISI_E10value_typeEPNSO_ISJ_E10value_typeEPSK_NS1_7vsmem_tEENKUlT_SI_SJ_SK_E_clISD_PjSD_S10_EESH_SX_SI_SJ_SK_EUlSX_E_NS1_11comp_targetILNS1_3genE9ELNS1_11target_archE1100ELNS1_3gpuE3ELNS1_3repE0EEENS1_48merge_mergepath_partition_config_static_selectorELNS0_4arch9wavefront6targetE1EEEvSJ_, .Lfunc_end706-_ZN7rocprim17ROCPRIM_400000_NS6detail17trampoline_kernelINS0_14default_configENS1_38merge_sort_block_merge_config_selectorIjjEEZZNS1_27merge_sort_block_merge_implIS3_N6thrust23THRUST_200600_302600_NS6detail15normal_iteratorINS8_10device_ptrIjEEEESD_jNS1_19radix_merge_compareILb0ELb1EjNS0_19identity_decomposerEEEEE10hipError_tT0_T1_T2_jT3_P12ihipStream_tbPNSt15iterator_traitsISI_E10value_typeEPNSO_ISJ_E10value_typeEPSK_NS1_7vsmem_tEENKUlT_SI_SJ_SK_E_clISD_PjSD_S10_EESH_SX_SI_SJ_SK_EUlSX_E_NS1_11comp_targetILNS1_3genE9ELNS1_11target_archE1100ELNS1_3gpuE3ELNS1_3repE0EEENS1_48merge_mergepath_partition_config_static_selectorELNS0_4arch9wavefront6targetE1EEEvSJ_
                                        ; -- End function
	.set _ZN7rocprim17ROCPRIM_400000_NS6detail17trampoline_kernelINS0_14default_configENS1_38merge_sort_block_merge_config_selectorIjjEEZZNS1_27merge_sort_block_merge_implIS3_N6thrust23THRUST_200600_302600_NS6detail15normal_iteratorINS8_10device_ptrIjEEEESD_jNS1_19radix_merge_compareILb0ELb1EjNS0_19identity_decomposerEEEEE10hipError_tT0_T1_T2_jT3_P12ihipStream_tbPNSt15iterator_traitsISI_E10value_typeEPNSO_ISJ_E10value_typeEPSK_NS1_7vsmem_tEENKUlT_SI_SJ_SK_E_clISD_PjSD_S10_EESH_SX_SI_SJ_SK_EUlSX_E_NS1_11comp_targetILNS1_3genE9ELNS1_11target_archE1100ELNS1_3gpuE3ELNS1_3repE0EEENS1_48merge_mergepath_partition_config_static_selectorELNS0_4arch9wavefront6targetE1EEEvSJ_.num_vgpr, 0
	.set _ZN7rocprim17ROCPRIM_400000_NS6detail17trampoline_kernelINS0_14default_configENS1_38merge_sort_block_merge_config_selectorIjjEEZZNS1_27merge_sort_block_merge_implIS3_N6thrust23THRUST_200600_302600_NS6detail15normal_iteratorINS8_10device_ptrIjEEEESD_jNS1_19radix_merge_compareILb0ELb1EjNS0_19identity_decomposerEEEEE10hipError_tT0_T1_T2_jT3_P12ihipStream_tbPNSt15iterator_traitsISI_E10value_typeEPNSO_ISJ_E10value_typeEPSK_NS1_7vsmem_tEENKUlT_SI_SJ_SK_E_clISD_PjSD_S10_EESH_SX_SI_SJ_SK_EUlSX_E_NS1_11comp_targetILNS1_3genE9ELNS1_11target_archE1100ELNS1_3gpuE3ELNS1_3repE0EEENS1_48merge_mergepath_partition_config_static_selectorELNS0_4arch9wavefront6targetE1EEEvSJ_.num_agpr, 0
	.set _ZN7rocprim17ROCPRIM_400000_NS6detail17trampoline_kernelINS0_14default_configENS1_38merge_sort_block_merge_config_selectorIjjEEZZNS1_27merge_sort_block_merge_implIS3_N6thrust23THRUST_200600_302600_NS6detail15normal_iteratorINS8_10device_ptrIjEEEESD_jNS1_19radix_merge_compareILb0ELb1EjNS0_19identity_decomposerEEEEE10hipError_tT0_T1_T2_jT3_P12ihipStream_tbPNSt15iterator_traitsISI_E10value_typeEPNSO_ISJ_E10value_typeEPSK_NS1_7vsmem_tEENKUlT_SI_SJ_SK_E_clISD_PjSD_S10_EESH_SX_SI_SJ_SK_EUlSX_E_NS1_11comp_targetILNS1_3genE9ELNS1_11target_archE1100ELNS1_3gpuE3ELNS1_3repE0EEENS1_48merge_mergepath_partition_config_static_selectorELNS0_4arch9wavefront6targetE1EEEvSJ_.numbered_sgpr, 0
	.set _ZN7rocprim17ROCPRIM_400000_NS6detail17trampoline_kernelINS0_14default_configENS1_38merge_sort_block_merge_config_selectorIjjEEZZNS1_27merge_sort_block_merge_implIS3_N6thrust23THRUST_200600_302600_NS6detail15normal_iteratorINS8_10device_ptrIjEEEESD_jNS1_19radix_merge_compareILb0ELb1EjNS0_19identity_decomposerEEEEE10hipError_tT0_T1_T2_jT3_P12ihipStream_tbPNSt15iterator_traitsISI_E10value_typeEPNSO_ISJ_E10value_typeEPSK_NS1_7vsmem_tEENKUlT_SI_SJ_SK_E_clISD_PjSD_S10_EESH_SX_SI_SJ_SK_EUlSX_E_NS1_11comp_targetILNS1_3genE9ELNS1_11target_archE1100ELNS1_3gpuE3ELNS1_3repE0EEENS1_48merge_mergepath_partition_config_static_selectorELNS0_4arch9wavefront6targetE1EEEvSJ_.num_named_barrier, 0
	.set _ZN7rocprim17ROCPRIM_400000_NS6detail17trampoline_kernelINS0_14default_configENS1_38merge_sort_block_merge_config_selectorIjjEEZZNS1_27merge_sort_block_merge_implIS3_N6thrust23THRUST_200600_302600_NS6detail15normal_iteratorINS8_10device_ptrIjEEEESD_jNS1_19radix_merge_compareILb0ELb1EjNS0_19identity_decomposerEEEEE10hipError_tT0_T1_T2_jT3_P12ihipStream_tbPNSt15iterator_traitsISI_E10value_typeEPNSO_ISJ_E10value_typeEPSK_NS1_7vsmem_tEENKUlT_SI_SJ_SK_E_clISD_PjSD_S10_EESH_SX_SI_SJ_SK_EUlSX_E_NS1_11comp_targetILNS1_3genE9ELNS1_11target_archE1100ELNS1_3gpuE3ELNS1_3repE0EEENS1_48merge_mergepath_partition_config_static_selectorELNS0_4arch9wavefront6targetE1EEEvSJ_.private_seg_size, 0
	.set _ZN7rocprim17ROCPRIM_400000_NS6detail17trampoline_kernelINS0_14default_configENS1_38merge_sort_block_merge_config_selectorIjjEEZZNS1_27merge_sort_block_merge_implIS3_N6thrust23THRUST_200600_302600_NS6detail15normal_iteratorINS8_10device_ptrIjEEEESD_jNS1_19radix_merge_compareILb0ELb1EjNS0_19identity_decomposerEEEEE10hipError_tT0_T1_T2_jT3_P12ihipStream_tbPNSt15iterator_traitsISI_E10value_typeEPNSO_ISJ_E10value_typeEPSK_NS1_7vsmem_tEENKUlT_SI_SJ_SK_E_clISD_PjSD_S10_EESH_SX_SI_SJ_SK_EUlSX_E_NS1_11comp_targetILNS1_3genE9ELNS1_11target_archE1100ELNS1_3gpuE3ELNS1_3repE0EEENS1_48merge_mergepath_partition_config_static_selectorELNS0_4arch9wavefront6targetE1EEEvSJ_.uses_vcc, 0
	.set _ZN7rocprim17ROCPRIM_400000_NS6detail17trampoline_kernelINS0_14default_configENS1_38merge_sort_block_merge_config_selectorIjjEEZZNS1_27merge_sort_block_merge_implIS3_N6thrust23THRUST_200600_302600_NS6detail15normal_iteratorINS8_10device_ptrIjEEEESD_jNS1_19radix_merge_compareILb0ELb1EjNS0_19identity_decomposerEEEEE10hipError_tT0_T1_T2_jT3_P12ihipStream_tbPNSt15iterator_traitsISI_E10value_typeEPNSO_ISJ_E10value_typeEPSK_NS1_7vsmem_tEENKUlT_SI_SJ_SK_E_clISD_PjSD_S10_EESH_SX_SI_SJ_SK_EUlSX_E_NS1_11comp_targetILNS1_3genE9ELNS1_11target_archE1100ELNS1_3gpuE3ELNS1_3repE0EEENS1_48merge_mergepath_partition_config_static_selectorELNS0_4arch9wavefront6targetE1EEEvSJ_.uses_flat_scratch, 0
	.set _ZN7rocprim17ROCPRIM_400000_NS6detail17trampoline_kernelINS0_14default_configENS1_38merge_sort_block_merge_config_selectorIjjEEZZNS1_27merge_sort_block_merge_implIS3_N6thrust23THRUST_200600_302600_NS6detail15normal_iteratorINS8_10device_ptrIjEEEESD_jNS1_19radix_merge_compareILb0ELb1EjNS0_19identity_decomposerEEEEE10hipError_tT0_T1_T2_jT3_P12ihipStream_tbPNSt15iterator_traitsISI_E10value_typeEPNSO_ISJ_E10value_typeEPSK_NS1_7vsmem_tEENKUlT_SI_SJ_SK_E_clISD_PjSD_S10_EESH_SX_SI_SJ_SK_EUlSX_E_NS1_11comp_targetILNS1_3genE9ELNS1_11target_archE1100ELNS1_3gpuE3ELNS1_3repE0EEENS1_48merge_mergepath_partition_config_static_selectorELNS0_4arch9wavefront6targetE1EEEvSJ_.has_dyn_sized_stack, 0
	.set _ZN7rocprim17ROCPRIM_400000_NS6detail17trampoline_kernelINS0_14default_configENS1_38merge_sort_block_merge_config_selectorIjjEEZZNS1_27merge_sort_block_merge_implIS3_N6thrust23THRUST_200600_302600_NS6detail15normal_iteratorINS8_10device_ptrIjEEEESD_jNS1_19radix_merge_compareILb0ELb1EjNS0_19identity_decomposerEEEEE10hipError_tT0_T1_T2_jT3_P12ihipStream_tbPNSt15iterator_traitsISI_E10value_typeEPNSO_ISJ_E10value_typeEPSK_NS1_7vsmem_tEENKUlT_SI_SJ_SK_E_clISD_PjSD_S10_EESH_SX_SI_SJ_SK_EUlSX_E_NS1_11comp_targetILNS1_3genE9ELNS1_11target_archE1100ELNS1_3gpuE3ELNS1_3repE0EEENS1_48merge_mergepath_partition_config_static_selectorELNS0_4arch9wavefront6targetE1EEEvSJ_.has_recursion, 0
	.set _ZN7rocprim17ROCPRIM_400000_NS6detail17trampoline_kernelINS0_14default_configENS1_38merge_sort_block_merge_config_selectorIjjEEZZNS1_27merge_sort_block_merge_implIS3_N6thrust23THRUST_200600_302600_NS6detail15normal_iteratorINS8_10device_ptrIjEEEESD_jNS1_19radix_merge_compareILb0ELb1EjNS0_19identity_decomposerEEEEE10hipError_tT0_T1_T2_jT3_P12ihipStream_tbPNSt15iterator_traitsISI_E10value_typeEPNSO_ISJ_E10value_typeEPSK_NS1_7vsmem_tEENKUlT_SI_SJ_SK_E_clISD_PjSD_S10_EESH_SX_SI_SJ_SK_EUlSX_E_NS1_11comp_targetILNS1_3genE9ELNS1_11target_archE1100ELNS1_3gpuE3ELNS1_3repE0EEENS1_48merge_mergepath_partition_config_static_selectorELNS0_4arch9wavefront6targetE1EEEvSJ_.has_indirect_call, 0
	.section	.AMDGPU.csdata,"",@progbits
; Kernel info:
; codeLenInByte = 0
; TotalNumSgprs: 6
; NumVgprs: 0
; NumAgprs: 0
; TotalNumVgprs: 0
; ScratchSize: 0
; MemoryBound: 0
; FloatMode: 240
; IeeeMode: 1
; LDSByteSize: 0 bytes/workgroup (compile time only)
; SGPRBlocks: 0
; VGPRBlocks: 0
; NumSGPRsForWavesPerEU: 6
; NumVGPRsForWavesPerEU: 1
; AccumOffset: 4
; Occupancy: 8
; WaveLimiterHint : 0
; COMPUTE_PGM_RSRC2:SCRATCH_EN: 0
; COMPUTE_PGM_RSRC2:USER_SGPR: 2
; COMPUTE_PGM_RSRC2:TRAP_HANDLER: 0
; COMPUTE_PGM_RSRC2:TGID_X_EN: 1
; COMPUTE_PGM_RSRC2:TGID_Y_EN: 0
; COMPUTE_PGM_RSRC2:TGID_Z_EN: 0
; COMPUTE_PGM_RSRC2:TIDIG_COMP_CNT: 0
; COMPUTE_PGM_RSRC3_GFX90A:ACCUM_OFFSET: 0
; COMPUTE_PGM_RSRC3_GFX90A:TG_SPLIT: 0
	.section	.text._ZN7rocprim17ROCPRIM_400000_NS6detail17trampoline_kernelINS0_14default_configENS1_38merge_sort_block_merge_config_selectorIjjEEZZNS1_27merge_sort_block_merge_implIS3_N6thrust23THRUST_200600_302600_NS6detail15normal_iteratorINS8_10device_ptrIjEEEESD_jNS1_19radix_merge_compareILb0ELb1EjNS0_19identity_decomposerEEEEE10hipError_tT0_T1_T2_jT3_P12ihipStream_tbPNSt15iterator_traitsISI_E10value_typeEPNSO_ISJ_E10value_typeEPSK_NS1_7vsmem_tEENKUlT_SI_SJ_SK_E_clISD_PjSD_S10_EESH_SX_SI_SJ_SK_EUlSX_E_NS1_11comp_targetILNS1_3genE8ELNS1_11target_archE1030ELNS1_3gpuE2ELNS1_3repE0EEENS1_48merge_mergepath_partition_config_static_selectorELNS0_4arch9wavefront6targetE1EEEvSJ_,"axG",@progbits,_ZN7rocprim17ROCPRIM_400000_NS6detail17trampoline_kernelINS0_14default_configENS1_38merge_sort_block_merge_config_selectorIjjEEZZNS1_27merge_sort_block_merge_implIS3_N6thrust23THRUST_200600_302600_NS6detail15normal_iteratorINS8_10device_ptrIjEEEESD_jNS1_19radix_merge_compareILb0ELb1EjNS0_19identity_decomposerEEEEE10hipError_tT0_T1_T2_jT3_P12ihipStream_tbPNSt15iterator_traitsISI_E10value_typeEPNSO_ISJ_E10value_typeEPSK_NS1_7vsmem_tEENKUlT_SI_SJ_SK_E_clISD_PjSD_S10_EESH_SX_SI_SJ_SK_EUlSX_E_NS1_11comp_targetILNS1_3genE8ELNS1_11target_archE1030ELNS1_3gpuE2ELNS1_3repE0EEENS1_48merge_mergepath_partition_config_static_selectorELNS0_4arch9wavefront6targetE1EEEvSJ_,comdat
	.protected	_ZN7rocprim17ROCPRIM_400000_NS6detail17trampoline_kernelINS0_14default_configENS1_38merge_sort_block_merge_config_selectorIjjEEZZNS1_27merge_sort_block_merge_implIS3_N6thrust23THRUST_200600_302600_NS6detail15normal_iteratorINS8_10device_ptrIjEEEESD_jNS1_19radix_merge_compareILb0ELb1EjNS0_19identity_decomposerEEEEE10hipError_tT0_T1_T2_jT3_P12ihipStream_tbPNSt15iterator_traitsISI_E10value_typeEPNSO_ISJ_E10value_typeEPSK_NS1_7vsmem_tEENKUlT_SI_SJ_SK_E_clISD_PjSD_S10_EESH_SX_SI_SJ_SK_EUlSX_E_NS1_11comp_targetILNS1_3genE8ELNS1_11target_archE1030ELNS1_3gpuE2ELNS1_3repE0EEENS1_48merge_mergepath_partition_config_static_selectorELNS0_4arch9wavefront6targetE1EEEvSJ_ ; -- Begin function _ZN7rocprim17ROCPRIM_400000_NS6detail17trampoline_kernelINS0_14default_configENS1_38merge_sort_block_merge_config_selectorIjjEEZZNS1_27merge_sort_block_merge_implIS3_N6thrust23THRUST_200600_302600_NS6detail15normal_iteratorINS8_10device_ptrIjEEEESD_jNS1_19radix_merge_compareILb0ELb1EjNS0_19identity_decomposerEEEEE10hipError_tT0_T1_T2_jT3_P12ihipStream_tbPNSt15iterator_traitsISI_E10value_typeEPNSO_ISJ_E10value_typeEPSK_NS1_7vsmem_tEENKUlT_SI_SJ_SK_E_clISD_PjSD_S10_EESH_SX_SI_SJ_SK_EUlSX_E_NS1_11comp_targetILNS1_3genE8ELNS1_11target_archE1030ELNS1_3gpuE2ELNS1_3repE0EEENS1_48merge_mergepath_partition_config_static_selectorELNS0_4arch9wavefront6targetE1EEEvSJ_
	.globl	_ZN7rocprim17ROCPRIM_400000_NS6detail17trampoline_kernelINS0_14default_configENS1_38merge_sort_block_merge_config_selectorIjjEEZZNS1_27merge_sort_block_merge_implIS3_N6thrust23THRUST_200600_302600_NS6detail15normal_iteratorINS8_10device_ptrIjEEEESD_jNS1_19radix_merge_compareILb0ELb1EjNS0_19identity_decomposerEEEEE10hipError_tT0_T1_T2_jT3_P12ihipStream_tbPNSt15iterator_traitsISI_E10value_typeEPNSO_ISJ_E10value_typeEPSK_NS1_7vsmem_tEENKUlT_SI_SJ_SK_E_clISD_PjSD_S10_EESH_SX_SI_SJ_SK_EUlSX_E_NS1_11comp_targetILNS1_3genE8ELNS1_11target_archE1030ELNS1_3gpuE2ELNS1_3repE0EEENS1_48merge_mergepath_partition_config_static_selectorELNS0_4arch9wavefront6targetE1EEEvSJ_
	.p2align	8
	.type	_ZN7rocprim17ROCPRIM_400000_NS6detail17trampoline_kernelINS0_14default_configENS1_38merge_sort_block_merge_config_selectorIjjEEZZNS1_27merge_sort_block_merge_implIS3_N6thrust23THRUST_200600_302600_NS6detail15normal_iteratorINS8_10device_ptrIjEEEESD_jNS1_19radix_merge_compareILb0ELb1EjNS0_19identity_decomposerEEEEE10hipError_tT0_T1_T2_jT3_P12ihipStream_tbPNSt15iterator_traitsISI_E10value_typeEPNSO_ISJ_E10value_typeEPSK_NS1_7vsmem_tEENKUlT_SI_SJ_SK_E_clISD_PjSD_S10_EESH_SX_SI_SJ_SK_EUlSX_E_NS1_11comp_targetILNS1_3genE8ELNS1_11target_archE1030ELNS1_3gpuE2ELNS1_3repE0EEENS1_48merge_mergepath_partition_config_static_selectorELNS0_4arch9wavefront6targetE1EEEvSJ_,@function
_ZN7rocprim17ROCPRIM_400000_NS6detail17trampoline_kernelINS0_14default_configENS1_38merge_sort_block_merge_config_selectorIjjEEZZNS1_27merge_sort_block_merge_implIS3_N6thrust23THRUST_200600_302600_NS6detail15normal_iteratorINS8_10device_ptrIjEEEESD_jNS1_19radix_merge_compareILb0ELb1EjNS0_19identity_decomposerEEEEE10hipError_tT0_T1_T2_jT3_P12ihipStream_tbPNSt15iterator_traitsISI_E10value_typeEPNSO_ISJ_E10value_typeEPSK_NS1_7vsmem_tEENKUlT_SI_SJ_SK_E_clISD_PjSD_S10_EESH_SX_SI_SJ_SK_EUlSX_E_NS1_11comp_targetILNS1_3genE8ELNS1_11target_archE1030ELNS1_3gpuE2ELNS1_3repE0EEENS1_48merge_mergepath_partition_config_static_selectorELNS0_4arch9wavefront6targetE1EEEvSJ_: ; @_ZN7rocprim17ROCPRIM_400000_NS6detail17trampoline_kernelINS0_14default_configENS1_38merge_sort_block_merge_config_selectorIjjEEZZNS1_27merge_sort_block_merge_implIS3_N6thrust23THRUST_200600_302600_NS6detail15normal_iteratorINS8_10device_ptrIjEEEESD_jNS1_19radix_merge_compareILb0ELb1EjNS0_19identity_decomposerEEEEE10hipError_tT0_T1_T2_jT3_P12ihipStream_tbPNSt15iterator_traitsISI_E10value_typeEPNSO_ISJ_E10value_typeEPSK_NS1_7vsmem_tEENKUlT_SI_SJ_SK_E_clISD_PjSD_S10_EESH_SX_SI_SJ_SK_EUlSX_E_NS1_11comp_targetILNS1_3genE8ELNS1_11target_archE1030ELNS1_3gpuE2ELNS1_3repE0EEENS1_48merge_mergepath_partition_config_static_selectorELNS0_4arch9wavefront6targetE1EEEvSJ_
; %bb.0:
	.section	.rodata,"a",@progbits
	.p2align	6, 0x0
	.amdhsa_kernel _ZN7rocprim17ROCPRIM_400000_NS6detail17trampoline_kernelINS0_14default_configENS1_38merge_sort_block_merge_config_selectorIjjEEZZNS1_27merge_sort_block_merge_implIS3_N6thrust23THRUST_200600_302600_NS6detail15normal_iteratorINS8_10device_ptrIjEEEESD_jNS1_19radix_merge_compareILb0ELb1EjNS0_19identity_decomposerEEEEE10hipError_tT0_T1_T2_jT3_P12ihipStream_tbPNSt15iterator_traitsISI_E10value_typeEPNSO_ISJ_E10value_typeEPSK_NS1_7vsmem_tEENKUlT_SI_SJ_SK_E_clISD_PjSD_S10_EESH_SX_SI_SJ_SK_EUlSX_E_NS1_11comp_targetILNS1_3genE8ELNS1_11target_archE1030ELNS1_3gpuE2ELNS1_3repE0EEENS1_48merge_mergepath_partition_config_static_selectorELNS0_4arch9wavefront6targetE1EEEvSJ_
		.amdhsa_group_segment_fixed_size 0
		.amdhsa_private_segment_fixed_size 0
		.amdhsa_kernarg_size 40
		.amdhsa_user_sgpr_count 2
		.amdhsa_user_sgpr_dispatch_ptr 0
		.amdhsa_user_sgpr_queue_ptr 0
		.amdhsa_user_sgpr_kernarg_segment_ptr 1
		.amdhsa_user_sgpr_dispatch_id 0
		.amdhsa_user_sgpr_kernarg_preload_length 0
		.amdhsa_user_sgpr_kernarg_preload_offset 0
		.amdhsa_user_sgpr_private_segment_size 0
		.amdhsa_uses_dynamic_stack 0
		.amdhsa_enable_private_segment 0
		.amdhsa_system_sgpr_workgroup_id_x 1
		.amdhsa_system_sgpr_workgroup_id_y 0
		.amdhsa_system_sgpr_workgroup_id_z 0
		.amdhsa_system_sgpr_workgroup_info 0
		.amdhsa_system_vgpr_workitem_id 0
		.amdhsa_next_free_vgpr 1
		.amdhsa_next_free_sgpr 0
		.amdhsa_accum_offset 4
		.amdhsa_reserve_vcc 0
		.amdhsa_float_round_mode_32 0
		.amdhsa_float_round_mode_16_64 0
		.amdhsa_float_denorm_mode_32 3
		.amdhsa_float_denorm_mode_16_64 3
		.amdhsa_dx10_clamp 1
		.amdhsa_ieee_mode 1
		.amdhsa_fp16_overflow 0
		.amdhsa_tg_split 0
		.amdhsa_exception_fp_ieee_invalid_op 0
		.amdhsa_exception_fp_denorm_src 0
		.amdhsa_exception_fp_ieee_div_zero 0
		.amdhsa_exception_fp_ieee_overflow 0
		.amdhsa_exception_fp_ieee_underflow 0
		.amdhsa_exception_fp_ieee_inexact 0
		.amdhsa_exception_int_div_zero 0
	.end_amdhsa_kernel
	.section	.text._ZN7rocprim17ROCPRIM_400000_NS6detail17trampoline_kernelINS0_14default_configENS1_38merge_sort_block_merge_config_selectorIjjEEZZNS1_27merge_sort_block_merge_implIS3_N6thrust23THRUST_200600_302600_NS6detail15normal_iteratorINS8_10device_ptrIjEEEESD_jNS1_19radix_merge_compareILb0ELb1EjNS0_19identity_decomposerEEEEE10hipError_tT0_T1_T2_jT3_P12ihipStream_tbPNSt15iterator_traitsISI_E10value_typeEPNSO_ISJ_E10value_typeEPSK_NS1_7vsmem_tEENKUlT_SI_SJ_SK_E_clISD_PjSD_S10_EESH_SX_SI_SJ_SK_EUlSX_E_NS1_11comp_targetILNS1_3genE8ELNS1_11target_archE1030ELNS1_3gpuE2ELNS1_3repE0EEENS1_48merge_mergepath_partition_config_static_selectorELNS0_4arch9wavefront6targetE1EEEvSJ_,"axG",@progbits,_ZN7rocprim17ROCPRIM_400000_NS6detail17trampoline_kernelINS0_14default_configENS1_38merge_sort_block_merge_config_selectorIjjEEZZNS1_27merge_sort_block_merge_implIS3_N6thrust23THRUST_200600_302600_NS6detail15normal_iteratorINS8_10device_ptrIjEEEESD_jNS1_19radix_merge_compareILb0ELb1EjNS0_19identity_decomposerEEEEE10hipError_tT0_T1_T2_jT3_P12ihipStream_tbPNSt15iterator_traitsISI_E10value_typeEPNSO_ISJ_E10value_typeEPSK_NS1_7vsmem_tEENKUlT_SI_SJ_SK_E_clISD_PjSD_S10_EESH_SX_SI_SJ_SK_EUlSX_E_NS1_11comp_targetILNS1_3genE8ELNS1_11target_archE1030ELNS1_3gpuE2ELNS1_3repE0EEENS1_48merge_mergepath_partition_config_static_selectorELNS0_4arch9wavefront6targetE1EEEvSJ_,comdat
.Lfunc_end707:
	.size	_ZN7rocprim17ROCPRIM_400000_NS6detail17trampoline_kernelINS0_14default_configENS1_38merge_sort_block_merge_config_selectorIjjEEZZNS1_27merge_sort_block_merge_implIS3_N6thrust23THRUST_200600_302600_NS6detail15normal_iteratorINS8_10device_ptrIjEEEESD_jNS1_19radix_merge_compareILb0ELb1EjNS0_19identity_decomposerEEEEE10hipError_tT0_T1_T2_jT3_P12ihipStream_tbPNSt15iterator_traitsISI_E10value_typeEPNSO_ISJ_E10value_typeEPSK_NS1_7vsmem_tEENKUlT_SI_SJ_SK_E_clISD_PjSD_S10_EESH_SX_SI_SJ_SK_EUlSX_E_NS1_11comp_targetILNS1_3genE8ELNS1_11target_archE1030ELNS1_3gpuE2ELNS1_3repE0EEENS1_48merge_mergepath_partition_config_static_selectorELNS0_4arch9wavefront6targetE1EEEvSJ_, .Lfunc_end707-_ZN7rocprim17ROCPRIM_400000_NS6detail17trampoline_kernelINS0_14default_configENS1_38merge_sort_block_merge_config_selectorIjjEEZZNS1_27merge_sort_block_merge_implIS3_N6thrust23THRUST_200600_302600_NS6detail15normal_iteratorINS8_10device_ptrIjEEEESD_jNS1_19radix_merge_compareILb0ELb1EjNS0_19identity_decomposerEEEEE10hipError_tT0_T1_T2_jT3_P12ihipStream_tbPNSt15iterator_traitsISI_E10value_typeEPNSO_ISJ_E10value_typeEPSK_NS1_7vsmem_tEENKUlT_SI_SJ_SK_E_clISD_PjSD_S10_EESH_SX_SI_SJ_SK_EUlSX_E_NS1_11comp_targetILNS1_3genE8ELNS1_11target_archE1030ELNS1_3gpuE2ELNS1_3repE0EEENS1_48merge_mergepath_partition_config_static_selectorELNS0_4arch9wavefront6targetE1EEEvSJ_
                                        ; -- End function
	.set _ZN7rocprim17ROCPRIM_400000_NS6detail17trampoline_kernelINS0_14default_configENS1_38merge_sort_block_merge_config_selectorIjjEEZZNS1_27merge_sort_block_merge_implIS3_N6thrust23THRUST_200600_302600_NS6detail15normal_iteratorINS8_10device_ptrIjEEEESD_jNS1_19radix_merge_compareILb0ELb1EjNS0_19identity_decomposerEEEEE10hipError_tT0_T1_T2_jT3_P12ihipStream_tbPNSt15iterator_traitsISI_E10value_typeEPNSO_ISJ_E10value_typeEPSK_NS1_7vsmem_tEENKUlT_SI_SJ_SK_E_clISD_PjSD_S10_EESH_SX_SI_SJ_SK_EUlSX_E_NS1_11comp_targetILNS1_3genE8ELNS1_11target_archE1030ELNS1_3gpuE2ELNS1_3repE0EEENS1_48merge_mergepath_partition_config_static_selectorELNS0_4arch9wavefront6targetE1EEEvSJ_.num_vgpr, 0
	.set _ZN7rocprim17ROCPRIM_400000_NS6detail17trampoline_kernelINS0_14default_configENS1_38merge_sort_block_merge_config_selectorIjjEEZZNS1_27merge_sort_block_merge_implIS3_N6thrust23THRUST_200600_302600_NS6detail15normal_iteratorINS8_10device_ptrIjEEEESD_jNS1_19radix_merge_compareILb0ELb1EjNS0_19identity_decomposerEEEEE10hipError_tT0_T1_T2_jT3_P12ihipStream_tbPNSt15iterator_traitsISI_E10value_typeEPNSO_ISJ_E10value_typeEPSK_NS1_7vsmem_tEENKUlT_SI_SJ_SK_E_clISD_PjSD_S10_EESH_SX_SI_SJ_SK_EUlSX_E_NS1_11comp_targetILNS1_3genE8ELNS1_11target_archE1030ELNS1_3gpuE2ELNS1_3repE0EEENS1_48merge_mergepath_partition_config_static_selectorELNS0_4arch9wavefront6targetE1EEEvSJ_.num_agpr, 0
	.set _ZN7rocprim17ROCPRIM_400000_NS6detail17trampoline_kernelINS0_14default_configENS1_38merge_sort_block_merge_config_selectorIjjEEZZNS1_27merge_sort_block_merge_implIS3_N6thrust23THRUST_200600_302600_NS6detail15normal_iteratorINS8_10device_ptrIjEEEESD_jNS1_19radix_merge_compareILb0ELb1EjNS0_19identity_decomposerEEEEE10hipError_tT0_T1_T2_jT3_P12ihipStream_tbPNSt15iterator_traitsISI_E10value_typeEPNSO_ISJ_E10value_typeEPSK_NS1_7vsmem_tEENKUlT_SI_SJ_SK_E_clISD_PjSD_S10_EESH_SX_SI_SJ_SK_EUlSX_E_NS1_11comp_targetILNS1_3genE8ELNS1_11target_archE1030ELNS1_3gpuE2ELNS1_3repE0EEENS1_48merge_mergepath_partition_config_static_selectorELNS0_4arch9wavefront6targetE1EEEvSJ_.numbered_sgpr, 0
	.set _ZN7rocprim17ROCPRIM_400000_NS6detail17trampoline_kernelINS0_14default_configENS1_38merge_sort_block_merge_config_selectorIjjEEZZNS1_27merge_sort_block_merge_implIS3_N6thrust23THRUST_200600_302600_NS6detail15normal_iteratorINS8_10device_ptrIjEEEESD_jNS1_19radix_merge_compareILb0ELb1EjNS0_19identity_decomposerEEEEE10hipError_tT0_T1_T2_jT3_P12ihipStream_tbPNSt15iterator_traitsISI_E10value_typeEPNSO_ISJ_E10value_typeEPSK_NS1_7vsmem_tEENKUlT_SI_SJ_SK_E_clISD_PjSD_S10_EESH_SX_SI_SJ_SK_EUlSX_E_NS1_11comp_targetILNS1_3genE8ELNS1_11target_archE1030ELNS1_3gpuE2ELNS1_3repE0EEENS1_48merge_mergepath_partition_config_static_selectorELNS0_4arch9wavefront6targetE1EEEvSJ_.num_named_barrier, 0
	.set _ZN7rocprim17ROCPRIM_400000_NS6detail17trampoline_kernelINS0_14default_configENS1_38merge_sort_block_merge_config_selectorIjjEEZZNS1_27merge_sort_block_merge_implIS3_N6thrust23THRUST_200600_302600_NS6detail15normal_iteratorINS8_10device_ptrIjEEEESD_jNS1_19radix_merge_compareILb0ELb1EjNS0_19identity_decomposerEEEEE10hipError_tT0_T1_T2_jT3_P12ihipStream_tbPNSt15iterator_traitsISI_E10value_typeEPNSO_ISJ_E10value_typeEPSK_NS1_7vsmem_tEENKUlT_SI_SJ_SK_E_clISD_PjSD_S10_EESH_SX_SI_SJ_SK_EUlSX_E_NS1_11comp_targetILNS1_3genE8ELNS1_11target_archE1030ELNS1_3gpuE2ELNS1_3repE0EEENS1_48merge_mergepath_partition_config_static_selectorELNS0_4arch9wavefront6targetE1EEEvSJ_.private_seg_size, 0
	.set _ZN7rocprim17ROCPRIM_400000_NS6detail17trampoline_kernelINS0_14default_configENS1_38merge_sort_block_merge_config_selectorIjjEEZZNS1_27merge_sort_block_merge_implIS3_N6thrust23THRUST_200600_302600_NS6detail15normal_iteratorINS8_10device_ptrIjEEEESD_jNS1_19radix_merge_compareILb0ELb1EjNS0_19identity_decomposerEEEEE10hipError_tT0_T1_T2_jT3_P12ihipStream_tbPNSt15iterator_traitsISI_E10value_typeEPNSO_ISJ_E10value_typeEPSK_NS1_7vsmem_tEENKUlT_SI_SJ_SK_E_clISD_PjSD_S10_EESH_SX_SI_SJ_SK_EUlSX_E_NS1_11comp_targetILNS1_3genE8ELNS1_11target_archE1030ELNS1_3gpuE2ELNS1_3repE0EEENS1_48merge_mergepath_partition_config_static_selectorELNS0_4arch9wavefront6targetE1EEEvSJ_.uses_vcc, 0
	.set _ZN7rocprim17ROCPRIM_400000_NS6detail17trampoline_kernelINS0_14default_configENS1_38merge_sort_block_merge_config_selectorIjjEEZZNS1_27merge_sort_block_merge_implIS3_N6thrust23THRUST_200600_302600_NS6detail15normal_iteratorINS8_10device_ptrIjEEEESD_jNS1_19radix_merge_compareILb0ELb1EjNS0_19identity_decomposerEEEEE10hipError_tT0_T1_T2_jT3_P12ihipStream_tbPNSt15iterator_traitsISI_E10value_typeEPNSO_ISJ_E10value_typeEPSK_NS1_7vsmem_tEENKUlT_SI_SJ_SK_E_clISD_PjSD_S10_EESH_SX_SI_SJ_SK_EUlSX_E_NS1_11comp_targetILNS1_3genE8ELNS1_11target_archE1030ELNS1_3gpuE2ELNS1_3repE0EEENS1_48merge_mergepath_partition_config_static_selectorELNS0_4arch9wavefront6targetE1EEEvSJ_.uses_flat_scratch, 0
	.set _ZN7rocprim17ROCPRIM_400000_NS6detail17trampoline_kernelINS0_14default_configENS1_38merge_sort_block_merge_config_selectorIjjEEZZNS1_27merge_sort_block_merge_implIS3_N6thrust23THRUST_200600_302600_NS6detail15normal_iteratorINS8_10device_ptrIjEEEESD_jNS1_19radix_merge_compareILb0ELb1EjNS0_19identity_decomposerEEEEE10hipError_tT0_T1_T2_jT3_P12ihipStream_tbPNSt15iterator_traitsISI_E10value_typeEPNSO_ISJ_E10value_typeEPSK_NS1_7vsmem_tEENKUlT_SI_SJ_SK_E_clISD_PjSD_S10_EESH_SX_SI_SJ_SK_EUlSX_E_NS1_11comp_targetILNS1_3genE8ELNS1_11target_archE1030ELNS1_3gpuE2ELNS1_3repE0EEENS1_48merge_mergepath_partition_config_static_selectorELNS0_4arch9wavefront6targetE1EEEvSJ_.has_dyn_sized_stack, 0
	.set _ZN7rocprim17ROCPRIM_400000_NS6detail17trampoline_kernelINS0_14default_configENS1_38merge_sort_block_merge_config_selectorIjjEEZZNS1_27merge_sort_block_merge_implIS3_N6thrust23THRUST_200600_302600_NS6detail15normal_iteratorINS8_10device_ptrIjEEEESD_jNS1_19radix_merge_compareILb0ELb1EjNS0_19identity_decomposerEEEEE10hipError_tT0_T1_T2_jT3_P12ihipStream_tbPNSt15iterator_traitsISI_E10value_typeEPNSO_ISJ_E10value_typeEPSK_NS1_7vsmem_tEENKUlT_SI_SJ_SK_E_clISD_PjSD_S10_EESH_SX_SI_SJ_SK_EUlSX_E_NS1_11comp_targetILNS1_3genE8ELNS1_11target_archE1030ELNS1_3gpuE2ELNS1_3repE0EEENS1_48merge_mergepath_partition_config_static_selectorELNS0_4arch9wavefront6targetE1EEEvSJ_.has_recursion, 0
	.set _ZN7rocprim17ROCPRIM_400000_NS6detail17trampoline_kernelINS0_14default_configENS1_38merge_sort_block_merge_config_selectorIjjEEZZNS1_27merge_sort_block_merge_implIS3_N6thrust23THRUST_200600_302600_NS6detail15normal_iteratorINS8_10device_ptrIjEEEESD_jNS1_19radix_merge_compareILb0ELb1EjNS0_19identity_decomposerEEEEE10hipError_tT0_T1_T2_jT3_P12ihipStream_tbPNSt15iterator_traitsISI_E10value_typeEPNSO_ISJ_E10value_typeEPSK_NS1_7vsmem_tEENKUlT_SI_SJ_SK_E_clISD_PjSD_S10_EESH_SX_SI_SJ_SK_EUlSX_E_NS1_11comp_targetILNS1_3genE8ELNS1_11target_archE1030ELNS1_3gpuE2ELNS1_3repE0EEENS1_48merge_mergepath_partition_config_static_selectorELNS0_4arch9wavefront6targetE1EEEvSJ_.has_indirect_call, 0
	.section	.AMDGPU.csdata,"",@progbits
; Kernel info:
; codeLenInByte = 0
; TotalNumSgprs: 6
; NumVgprs: 0
; NumAgprs: 0
; TotalNumVgprs: 0
; ScratchSize: 0
; MemoryBound: 0
; FloatMode: 240
; IeeeMode: 1
; LDSByteSize: 0 bytes/workgroup (compile time only)
; SGPRBlocks: 0
; VGPRBlocks: 0
; NumSGPRsForWavesPerEU: 6
; NumVGPRsForWavesPerEU: 1
; AccumOffset: 4
; Occupancy: 8
; WaveLimiterHint : 0
; COMPUTE_PGM_RSRC2:SCRATCH_EN: 0
; COMPUTE_PGM_RSRC2:USER_SGPR: 2
; COMPUTE_PGM_RSRC2:TRAP_HANDLER: 0
; COMPUTE_PGM_RSRC2:TGID_X_EN: 1
; COMPUTE_PGM_RSRC2:TGID_Y_EN: 0
; COMPUTE_PGM_RSRC2:TGID_Z_EN: 0
; COMPUTE_PGM_RSRC2:TIDIG_COMP_CNT: 0
; COMPUTE_PGM_RSRC3_GFX90A:ACCUM_OFFSET: 0
; COMPUTE_PGM_RSRC3_GFX90A:TG_SPLIT: 0
	.section	.text._ZN7rocprim17ROCPRIM_400000_NS6detail17trampoline_kernelINS0_14default_configENS1_38merge_sort_block_merge_config_selectorIjjEEZZNS1_27merge_sort_block_merge_implIS3_N6thrust23THRUST_200600_302600_NS6detail15normal_iteratorINS8_10device_ptrIjEEEESD_jNS1_19radix_merge_compareILb0ELb1EjNS0_19identity_decomposerEEEEE10hipError_tT0_T1_T2_jT3_P12ihipStream_tbPNSt15iterator_traitsISI_E10value_typeEPNSO_ISJ_E10value_typeEPSK_NS1_7vsmem_tEENKUlT_SI_SJ_SK_E_clISD_PjSD_S10_EESH_SX_SI_SJ_SK_EUlSX_E0_NS1_11comp_targetILNS1_3genE0ELNS1_11target_archE4294967295ELNS1_3gpuE0ELNS1_3repE0EEENS1_38merge_mergepath_config_static_selectorELNS0_4arch9wavefront6targetE1EEEvSJ_,"axG",@progbits,_ZN7rocprim17ROCPRIM_400000_NS6detail17trampoline_kernelINS0_14default_configENS1_38merge_sort_block_merge_config_selectorIjjEEZZNS1_27merge_sort_block_merge_implIS3_N6thrust23THRUST_200600_302600_NS6detail15normal_iteratorINS8_10device_ptrIjEEEESD_jNS1_19radix_merge_compareILb0ELb1EjNS0_19identity_decomposerEEEEE10hipError_tT0_T1_T2_jT3_P12ihipStream_tbPNSt15iterator_traitsISI_E10value_typeEPNSO_ISJ_E10value_typeEPSK_NS1_7vsmem_tEENKUlT_SI_SJ_SK_E_clISD_PjSD_S10_EESH_SX_SI_SJ_SK_EUlSX_E0_NS1_11comp_targetILNS1_3genE0ELNS1_11target_archE4294967295ELNS1_3gpuE0ELNS1_3repE0EEENS1_38merge_mergepath_config_static_selectorELNS0_4arch9wavefront6targetE1EEEvSJ_,comdat
	.protected	_ZN7rocprim17ROCPRIM_400000_NS6detail17trampoline_kernelINS0_14default_configENS1_38merge_sort_block_merge_config_selectorIjjEEZZNS1_27merge_sort_block_merge_implIS3_N6thrust23THRUST_200600_302600_NS6detail15normal_iteratorINS8_10device_ptrIjEEEESD_jNS1_19radix_merge_compareILb0ELb1EjNS0_19identity_decomposerEEEEE10hipError_tT0_T1_T2_jT3_P12ihipStream_tbPNSt15iterator_traitsISI_E10value_typeEPNSO_ISJ_E10value_typeEPSK_NS1_7vsmem_tEENKUlT_SI_SJ_SK_E_clISD_PjSD_S10_EESH_SX_SI_SJ_SK_EUlSX_E0_NS1_11comp_targetILNS1_3genE0ELNS1_11target_archE4294967295ELNS1_3gpuE0ELNS1_3repE0EEENS1_38merge_mergepath_config_static_selectorELNS0_4arch9wavefront6targetE1EEEvSJ_ ; -- Begin function _ZN7rocprim17ROCPRIM_400000_NS6detail17trampoline_kernelINS0_14default_configENS1_38merge_sort_block_merge_config_selectorIjjEEZZNS1_27merge_sort_block_merge_implIS3_N6thrust23THRUST_200600_302600_NS6detail15normal_iteratorINS8_10device_ptrIjEEEESD_jNS1_19radix_merge_compareILb0ELb1EjNS0_19identity_decomposerEEEEE10hipError_tT0_T1_T2_jT3_P12ihipStream_tbPNSt15iterator_traitsISI_E10value_typeEPNSO_ISJ_E10value_typeEPSK_NS1_7vsmem_tEENKUlT_SI_SJ_SK_E_clISD_PjSD_S10_EESH_SX_SI_SJ_SK_EUlSX_E0_NS1_11comp_targetILNS1_3genE0ELNS1_11target_archE4294967295ELNS1_3gpuE0ELNS1_3repE0EEENS1_38merge_mergepath_config_static_selectorELNS0_4arch9wavefront6targetE1EEEvSJ_
	.globl	_ZN7rocprim17ROCPRIM_400000_NS6detail17trampoline_kernelINS0_14default_configENS1_38merge_sort_block_merge_config_selectorIjjEEZZNS1_27merge_sort_block_merge_implIS3_N6thrust23THRUST_200600_302600_NS6detail15normal_iteratorINS8_10device_ptrIjEEEESD_jNS1_19radix_merge_compareILb0ELb1EjNS0_19identity_decomposerEEEEE10hipError_tT0_T1_T2_jT3_P12ihipStream_tbPNSt15iterator_traitsISI_E10value_typeEPNSO_ISJ_E10value_typeEPSK_NS1_7vsmem_tEENKUlT_SI_SJ_SK_E_clISD_PjSD_S10_EESH_SX_SI_SJ_SK_EUlSX_E0_NS1_11comp_targetILNS1_3genE0ELNS1_11target_archE4294967295ELNS1_3gpuE0ELNS1_3repE0EEENS1_38merge_mergepath_config_static_selectorELNS0_4arch9wavefront6targetE1EEEvSJ_
	.p2align	8
	.type	_ZN7rocprim17ROCPRIM_400000_NS6detail17trampoline_kernelINS0_14default_configENS1_38merge_sort_block_merge_config_selectorIjjEEZZNS1_27merge_sort_block_merge_implIS3_N6thrust23THRUST_200600_302600_NS6detail15normal_iteratorINS8_10device_ptrIjEEEESD_jNS1_19radix_merge_compareILb0ELb1EjNS0_19identity_decomposerEEEEE10hipError_tT0_T1_T2_jT3_P12ihipStream_tbPNSt15iterator_traitsISI_E10value_typeEPNSO_ISJ_E10value_typeEPSK_NS1_7vsmem_tEENKUlT_SI_SJ_SK_E_clISD_PjSD_S10_EESH_SX_SI_SJ_SK_EUlSX_E0_NS1_11comp_targetILNS1_3genE0ELNS1_11target_archE4294967295ELNS1_3gpuE0ELNS1_3repE0EEENS1_38merge_mergepath_config_static_selectorELNS0_4arch9wavefront6targetE1EEEvSJ_,@function
_ZN7rocprim17ROCPRIM_400000_NS6detail17trampoline_kernelINS0_14default_configENS1_38merge_sort_block_merge_config_selectorIjjEEZZNS1_27merge_sort_block_merge_implIS3_N6thrust23THRUST_200600_302600_NS6detail15normal_iteratorINS8_10device_ptrIjEEEESD_jNS1_19radix_merge_compareILb0ELb1EjNS0_19identity_decomposerEEEEE10hipError_tT0_T1_T2_jT3_P12ihipStream_tbPNSt15iterator_traitsISI_E10value_typeEPNSO_ISJ_E10value_typeEPSK_NS1_7vsmem_tEENKUlT_SI_SJ_SK_E_clISD_PjSD_S10_EESH_SX_SI_SJ_SK_EUlSX_E0_NS1_11comp_targetILNS1_3genE0ELNS1_11target_archE4294967295ELNS1_3gpuE0ELNS1_3repE0EEENS1_38merge_mergepath_config_static_selectorELNS0_4arch9wavefront6targetE1EEEvSJ_: ; @_ZN7rocprim17ROCPRIM_400000_NS6detail17trampoline_kernelINS0_14default_configENS1_38merge_sort_block_merge_config_selectorIjjEEZZNS1_27merge_sort_block_merge_implIS3_N6thrust23THRUST_200600_302600_NS6detail15normal_iteratorINS8_10device_ptrIjEEEESD_jNS1_19radix_merge_compareILb0ELb1EjNS0_19identity_decomposerEEEEE10hipError_tT0_T1_T2_jT3_P12ihipStream_tbPNSt15iterator_traitsISI_E10value_typeEPNSO_ISJ_E10value_typeEPSK_NS1_7vsmem_tEENKUlT_SI_SJ_SK_E_clISD_PjSD_S10_EESH_SX_SI_SJ_SK_EUlSX_E0_NS1_11comp_targetILNS1_3genE0ELNS1_11target_archE4294967295ELNS1_3gpuE0ELNS1_3repE0EEENS1_38merge_mergepath_config_static_selectorELNS0_4arch9wavefront6targetE1EEEvSJ_
; %bb.0:
	s_load_dwordx2 s[28:29], s[0:1], 0x40
	s_load_dwordx2 s[16:17], s[0:1], 0x30
	s_add_u32 s24, s0, 64
	s_addc_u32 s25, s1, 0
	s_waitcnt lgkmcnt(0)
	s_mul_i32 s4, s29, s4
	s_add_i32 s3, s4, s3
	s_mul_i32 s3, s3, s28
	s_add_i32 s26, s3, s2
	s_cmp_ge_u32 s26, s16
	s_cbranch_scc1 .LBB708_46
; %bb.1:
	s_load_dwordx8 s[8:15], s[0:1], 0x10
	s_load_dwordx2 s[20:21], s[0:1], 0x8
	s_load_dwordx2 s[4:5], s[0:1], 0x38
	s_mov_b32 s27, 0
	s_mov_b32 s23, s27
	s_waitcnt lgkmcnt(0)
	s_lshr_b32 s30, s14, 10
	s_cmp_lg_u32 s26, s30
	s_cselect_b64 s[18:19], -1, 0
	s_lshl_b64 s[0:1], s[26:27], 2
	s_add_u32 s0, s4, s0
	s_addc_u32 s1, s5, s1
	s_load_dwordx2 s[4:5], s[0:1], 0x0
	s_lshr_b32 s0, s15, 9
	s_and_b32 s0, s0, 0x7ffffe
	s_sub_i32 s0, 0, s0
	s_and_b32 s1, s26, s0
	s_lshl_b32 s3, s1, 10
	s_lshl_b32 s16, s26, 10
	;; [unrolled: 1-line block ×3, first 2 shown]
	s_sub_i32 s6, s16, s3
	s_add_i32 s1, s1, s15
	s_add_i32 s6, s1, s6
	s_waitcnt lgkmcnt(0)
	s_sub_i32 s7, s6, s4
	s_sub_i32 s6, s6, s5
	;; [unrolled: 1-line block ×3, first 2 shown]
	s_min_u32 s22, s14, s7
	s_addk_i32 s6, 0x400
	s_or_b32 s0, s26, s0
	s_min_u32 s3, s14, s1
	s_add_i32 s1, s1, s15
	s_cmp_eq_u32 s0, -1
	s_cselect_b32 s0, s1, s6
	s_cselect_b32 s1, s3, s5
	s_mov_b32 s5, s27
	s_min_u32 s29, s0, s14
	s_sub_i32 s15, s1, s4
	s_lshl_b64 s[0:1], s[4:5], 2
	s_add_u32 s6, s20, s0
	s_addc_u32 s7, s21, s1
	s_lshl_b64 s[4:5], s[22:23], 2
	s_add_u32 s20, s20, s4
	s_addc_u32 s21, s21, s5
	s_cmp_lt_u32 s2, s28
	v_mov_b32_e32 v5, 0
	s_cselect_b32 s2, 12, 18
	global_load_dword v1, v5, s[24:25] offset:14
	s_add_u32 s2, s24, s2
	s_addc_u32 s3, s25, 0
	global_load_ushort v2, v5, s[2:3]
	s_cmp_eq_u32 s26, s30
	v_lshlrev_b32_e32 v10, 2, v0
	s_waitcnt vmcnt(1)
	v_lshrrev_b32_e32 v3, 16, v1
	v_and_b32_e32 v1, 0xffff, v1
	v_mul_lo_u32 v1, v1, v3
	s_waitcnt vmcnt(0)
	v_mul_lo_u32 v1, v1, v2
	v_add_u32_e32 v14, v1, v0
	v_add_u32_e32 v12, v14, v1
	s_cbranch_scc1 .LBB708_3
; %bb.2:
	v_mov_b32_e32 v11, v5
	v_subrev_co_u32_e32 v4, vcc, s15, v0
	v_lshl_add_u64 v[2:3], s[6:7], 0, v[10:11]
	v_lshl_add_u64 v[6:7], v[4:5], 2, s[20:21]
	v_cndmask_b32_e32 v3, v7, v3, vcc
	v_cndmask_b32_e32 v2, v6, v2, vcc
	v_mov_b32_e32 v15, v5
	v_subrev_co_u32_e32 v4, vcc, s15, v14
	v_lshl_add_u64 v[6:7], v[14:15], 2, s[6:7]
	v_lshl_add_u64 v[8:9], v[4:5], 2, s[20:21]
	v_cndmask_b32_e32 v7, v9, v7, vcc
	v_cndmask_b32_e32 v6, v8, v6, vcc
	v_mov_b32_e32 v13, v5
	v_subrev_co_u32_e32 v4, vcc, s15, v12
	global_load_dword v2, v[2:3], off
	v_lshl_add_u64 v[8:9], v[4:5], 2, s[20:21]
	global_load_dword v3, v[6:7], off
	v_lshl_add_u64 v[6:7], v[12:13], 2, s[6:7]
	v_cndmask_b32_e32 v7, v9, v7, vcc
	v_cndmask_b32_e32 v6, v8, v6, vcc
	global_load_dword v4, v[6:7], off
	v_add_u32_e32 v6, v12, v1
	s_mov_b64 s[2:3], -1
	s_sub_i32 s24, s29, s22
	s_cbranch_execz .LBB708_4
	s_branch .LBB708_9
.LBB708_3:
	s_mov_b64 s[2:3], 0
                                        ; implicit-def: $vgpr6
                                        ; implicit-def: $vgpr2_vgpr3_vgpr4_vgpr5
	s_sub_i32 s24, s29, s22
.LBB708_4:
	s_add_i32 s22, s24, s15
	s_waitcnt vmcnt(2)
	v_mov_b32_e32 v2, 0
	v_cmp_gt_u32_e32 vcc, s22, v0
	s_waitcnt vmcnt(1)
	v_mov_b32_e32 v3, v2
	s_waitcnt vmcnt(0)
	v_mov_b32_e32 v4, v2
	v_mov_b32_e32 v5, v2
	s_and_saveexec_b64 s[2:3], vcc
	s_cbranch_execnz .LBB708_47
; %bb.5:
	s_or_b64 exec, exec, s[2:3]
	v_cmp_gt_u32_e32 vcc, s22, v14
	s_and_saveexec_b64 s[2:3], vcc
	s_cbranch_execnz .LBB708_48
.LBB708_6:
	s_or_b64 exec, exec, s[2:3]
	v_cmp_gt_u32_e32 vcc, s22, v12
	s_and_saveexec_b64 s[2:3], vcc
	s_cbranch_execz .LBB708_8
.LBB708_7:
	v_mov_b32_e32 v13, 0
	v_subrev_co_u32_e32 v8, vcc, s15, v12
	v_mov_b32_e32 v9, v13
	v_lshl_add_u64 v[6:7], v[12:13], 2, s[6:7]
	v_lshl_add_u64 v[8:9], v[8:9], 2, s[20:21]
	v_cndmask_b32_e32 v7, v9, v7, vcc
	v_cndmask_b32_e32 v6, v8, v6, vcc
	global_load_dword v4, v[6:7], off
.LBB708_8:
	s_or_b64 exec, exec, s[2:3]
	v_add_u32_e32 v6, v12, v1
	v_cmp_gt_u32_e64 s[2:3], s22, v6
.LBB708_9:
	s_and_saveexec_b64 s[22:23], s[2:3]
	s_cbranch_execz .LBB708_11
; %bb.10:
	v_mov_b32_e32 v9, 0
	v_mov_b32_e32 v7, v9
	v_subrev_co_u32_e32 v8, vcc, s15, v6
	v_lshl_add_u64 v[16:17], v[6:7], 2, s[6:7]
	v_lshl_add_u64 v[6:7], v[8:9], 2, s[20:21]
	v_cndmask_b32_e32 v7, v7, v17, vcc
	v_cndmask_b32_e32 v6, v6, v16, vcc
	global_load_dword v5, v[6:7], off
.LBB708_11:
	s_or_b64 exec, exec, s[22:23]
	s_add_u32 s0, s10, s0
	s_addc_u32 s1, s11, s1
	s_add_u32 s2, s10, s4
	v_mov_b32_e32 v9, 0
	s_addc_u32 s3, s11, s5
	s_andn2_b64 vcc, exec, s[18:19]
	s_waitcnt vmcnt(0)
	ds_write2st64_b32 v10, v2, v3 offset1:4
	ds_write2st64_b32 v10, v4, v5 offset0:8 offset1:12
	s_cbranch_vccnz .LBB708_13
; %bb.12:
	v_mov_b32_e32 v11, v9
	v_subrev_co_u32_e32 v8, vcc, s15, v0
	v_lshl_add_u64 v[6:7], s[0:1], 0, v[10:11]
	v_lshl_add_u64 v[16:17], v[8:9], 2, s[2:3]
	v_cndmask_b32_e32 v7, v17, v7, vcc
	v_cndmask_b32_e32 v6, v16, v6, vcc
	v_mov_b32_e32 v15, v9
	v_subrev_co_u32_e32 v8, vcc, s15, v14
	v_lshl_add_u64 v[16:17], v[14:15], 2, s[0:1]
	v_lshl_add_u64 v[18:19], v[8:9], 2, s[2:3]
	v_cndmask_b32_e32 v17, v19, v17, vcc
	v_cndmask_b32_e32 v16, v18, v16, vcc
	v_mov_b32_e32 v13, v9
	v_subrev_co_u32_e32 v8, vcc, s15, v12
	global_load_dword v6, v[6:7], off
	v_lshl_add_u64 v[18:19], v[8:9], 2, s[2:3]
	global_load_dword v7, v[16:17], off
	v_lshl_add_u64 v[16:17], v[12:13], 2, s[0:1]
	v_cndmask_b32_e32 v17, v19, v17, vcc
	v_cndmask_b32_e32 v16, v18, v16, vcc
	global_load_dword v8, v[16:17], off
	s_add_i32 s10, s24, s15
	v_add_u32_e32 v16, v12, v1
	s_mov_b64 s[4:5], -1
	v_mov_b32_e32 v11, s10
	s_cbranch_execz .LBB708_14
	s_branch .LBB708_19
.LBB708_13:
	s_mov_b64 s[4:5], 0
                                        ; implicit-def: $vgpr16
                                        ; implicit-def: $vgpr6_vgpr7_vgpr8_vgpr9
                                        ; implicit-def: $vgpr11
.LBB708_14:
	s_add_i32 s6, s24, s15
	s_waitcnt vmcnt(2)
	v_mov_b32_e32 v6, 0
	v_cmp_gt_u32_e32 vcc, s6, v0
	s_waitcnt vmcnt(1)
	v_mov_b32_e32 v7, v6
	s_waitcnt vmcnt(0)
	v_mov_b32_e32 v8, v6
	v_mov_b32_e32 v9, v6
	s_and_saveexec_b64 s[4:5], vcc
	s_cbranch_execnz .LBB708_49
; %bb.15:
	s_or_b64 exec, exec, s[4:5]
	v_cmp_gt_u32_e32 vcc, s6, v14
	s_and_saveexec_b64 s[4:5], vcc
	s_cbranch_execnz .LBB708_50
.LBB708_16:
	s_or_b64 exec, exec, s[4:5]
	v_cmp_gt_u32_e32 vcc, s6, v12
	s_and_saveexec_b64 s[4:5], vcc
	s_cbranch_execz .LBB708_18
.LBB708_17:
	v_mov_b32_e32 v13, 0
	v_subrev_co_u32_e32 v16, vcc, s15, v12
	v_mov_b32_e32 v17, v13
	v_lshl_add_u64 v[14:15], v[12:13], 2, s[0:1]
	v_lshl_add_u64 v[16:17], v[16:17], 2, s[2:3]
	v_cndmask_b32_e32 v15, v17, v15, vcc
	v_cndmask_b32_e32 v14, v16, v14, vcc
	global_load_dword v8, v[14:15], off
.LBB708_18:
	s_or_b64 exec, exec, s[4:5]
	v_add_u32_e32 v16, v12, v1
	v_cmp_gt_u32_e64 s[4:5], s6, v16
	v_mov_b32_e32 v11, s6
.LBB708_19:
	s_and_saveexec_b64 s[6:7], s[4:5]
	s_cbranch_execz .LBB708_21
; %bb.20:
	v_mov_b32_e32 v13, 0
	v_mov_b32_e32 v17, v13
	v_subrev_co_u32_e32 v12, vcc, s15, v16
	v_lshl_add_u64 v[14:15], v[16:17], 2, s[0:1]
	v_lshl_add_u64 v[12:13], v[12:13], 2, s[2:3]
	v_cndmask_b32_e32 v13, v13, v15, vcc
	v_cndmask_b32_e32 v12, v12, v14, vcc
	global_load_dword v9, v[12:13], off
.LBB708_21:
	s_or_b64 exec, exec, s[6:7]
	v_min_u32_e32 v12, v11, v10
	v_sub_u32_e64 v1, v12, s24 clamp
	v_min_u32_e32 v13, s15, v12
	v_cmp_lt_u32_e32 vcc, v1, v13
	s_waitcnt lgkmcnt(0)
	s_barrier
	s_and_saveexec_b64 s[0:1], vcc
	s_cbranch_execz .LBB708_25
; %bb.22:
	v_lshlrev_b32_e32 v14, 2, v12
	v_lshl_add_u32 v14, s15, 2, v14
	s_mov_b64 s[2:3], 0
.LBB708_23:                             ; =>This Inner Loop Header: Depth=1
	v_add_u32_e32 v15, v13, v1
	v_lshrrev_b32_e32 v15, 1, v15
	v_not_b32_e32 v16, v15
	v_lshlrev_b32_e32 v17, 2, v15
	v_lshl_add_u32 v16, v16, 2, v14
	ds_read_b32 v17, v17
	ds_read_b32 v16, v16
	v_add_u32_e32 v18, 1, v15
	s_waitcnt lgkmcnt(1)
	v_and_b32_e32 v17, s17, v17
	s_waitcnt lgkmcnt(0)
	v_and_b32_e32 v16, s17, v16
	v_cmp_gt_u32_e32 vcc, v17, v16
	s_nop 1
	v_cndmask_b32_e32 v13, v13, v15, vcc
	v_cndmask_b32_e32 v1, v18, v1, vcc
	v_cmp_ge_u32_e32 vcc, v1, v13
	s_or_b64 s[2:3], vcc, s[2:3]
	s_andn2_b64 exec, exec, s[2:3]
	s_cbranch_execnz .LBB708_23
; %bb.24:
	s_or_b64 exec, exec, s[2:3]
.LBB708_25:
	s_or_b64 exec, exec, s[0:1]
	v_sub_u32_e32 v12, v12, v1
	v_add_u32_e32 v15, s15, v12
	v_cmp_ge_u32_e32 vcc, s15, v1
	v_cmp_le_u32_e64 s[0:1], v15, v11
	s_or_b64 s[0:1], vcc, s[0:1]
	v_mov_b32_e32 v16, 0
	v_mov_b32_e32 v14, 0
	v_mov_b32_e32 v13, 0
	v_mov_b32_e32 v12, 0
	s_and_saveexec_b64 s[10:11], s[0:1]
	s_cbranch_execz .LBB708_31
; %bb.26:
	v_cmp_gt_u32_e32 vcc, s15, v1
                                        ; implicit-def: $vgpr2
	s_and_saveexec_b64 s[0:1], vcc
; %bb.27:
	v_lshlrev_b32_e32 v2, 2, v1
	ds_read_b32 v2, v2
; %bb.28:
	s_or_b64 exec, exec, s[0:1]
	v_cmp_ge_u32_e64 s[0:1], v15, v11
	v_cmp_lt_u32_e64 s[2:3], v15, v11
                                        ; implicit-def: $vgpr3
	s_and_saveexec_b64 s[4:5], s[2:3]
; %bb.29:
	v_lshlrev_b32_e32 v3, 2, v15
	ds_read_b32 v3, v3
; %bb.30:
	s_or_b64 exec, exec, s[4:5]
	s_waitcnt lgkmcnt(0)
	v_and_b32_e32 v4, s17, v3
	v_and_b32_e32 v5, s17, v2
	v_cmp_le_u32_e64 s[2:3], v5, v4
	s_and_b64 s[2:3], vcc, s[2:3]
	s_or_b64 vcc, s[0:1], s[2:3]
	v_mov_b32_e32 v4, s15
	v_cndmask_b32_e32 v12, v15, v1, vcc
	v_cndmask_b32_e32 v5, v11, v4, vcc
	v_add_u32_e32 v13, 1, v12
	v_add_u32_e32 v5, -1, v5
	v_min_u32_e32 v5, v13, v5
	v_lshlrev_b32_e32 v5, 2, v5
	ds_read_b32 v5, v5
	v_cndmask_b32_e32 v14, v13, v15, vcc
	v_cndmask_b32_e32 v1, v1, v13, vcc
	v_cmp_gt_u32_e64 s[2:3], s15, v1
	v_cmp_ge_u32_e64 s[0:1], v14, v11
	s_waitcnt lgkmcnt(0)
	v_cndmask_b32_e32 v16, v5, v3, vcc
	v_cndmask_b32_e32 v5, v2, v5, vcc
	v_and_b32_e32 v13, s17, v16
	v_and_b32_e32 v15, s17, v5
	v_cmp_le_u32_e64 s[4:5], v15, v13
	s_and_b64 s[2:3], s[2:3], s[4:5]
	s_or_b64 s[0:1], s[0:1], s[2:3]
	v_cndmask_b32_e64 v13, v14, v1, s[0:1]
	v_cndmask_b32_e64 v15, v11, v4, s[0:1]
	v_add_u32_e32 v17, 1, v13
	v_add_u32_e32 v15, -1, v15
	v_min_u32_e32 v15, v17, v15
	v_lshlrev_b32_e32 v15, 2, v15
	ds_read_b32 v15, v15
	v_cndmask_b32_e64 v19, v17, v14, s[0:1]
	v_cndmask_b32_e64 v1, v1, v17, s[0:1]
	v_cmp_gt_u32_e64 s[4:5], s15, v1
	v_cmp_ge_u32_e64 s[2:3], v19, v11
	s_waitcnt lgkmcnt(0)
	v_cndmask_b32_e64 v18, v15, v16, s[0:1]
	v_cndmask_b32_e64 v15, v5, v15, s[0:1]
	v_and_b32_e32 v14, s17, v18
	v_and_b32_e32 v17, s17, v15
	v_cmp_le_u32_e64 s[6:7], v17, v14
	s_and_b64 s[4:5], s[4:5], s[6:7]
	s_or_b64 s[2:3], s[2:3], s[4:5]
	v_cndmask_b32_e64 v14, v19, v1, s[2:3]
	v_cndmask_b32_e64 v4, v11, v4, s[2:3]
	v_add_u32_e32 v17, 1, v14
	v_add_u32_e32 v4, -1, v4
	v_min_u32_e32 v4, v17, v4
	v_lshlrev_b32_e32 v4, 2, v4
	ds_read_b32 v20, v4
	v_cndmask_b32_e32 v2, v3, v2, vcc
	v_cndmask_b32_e64 v3, v16, v5, s[0:1]
	v_cndmask_b32_e64 v4, v18, v15, s[2:3]
	;; [unrolled: 1-line block ×3, first 2 shown]
	s_waitcnt lgkmcnt(0)
	v_cndmask_b32_e64 v5, v20, v18, s[2:3]
	v_cndmask_b32_e64 v15, v15, v20, s[2:3]
	;; [unrolled: 1-line block ×3, first 2 shown]
	v_cmp_ge_u32_e32 vcc, v16, v11
	v_and_b32_e32 v11, s17, v5
	v_and_b32_e32 v17, s17, v15
	v_cmp_gt_u32_e64 s[0:1], s15, v1
	v_cmp_le_u32_e64 s[2:3], v17, v11
	s_and_b64 s[0:1], s[0:1], s[2:3]
	s_or_b64 vcc, vcc, s[0:1]
	v_cndmask_b32_e32 v16, v16, v1, vcc
	v_cndmask_b32_e32 v5, v5, v15, vcc
.LBB708_31:
	s_or_b64 exec, exec, s[10:11]
	s_barrier
	s_waitcnt vmcnt(0)
	ds_write2st64_b32 v10, v6, v7 offset1:4
	ds_write2st64_b32 v10, v8, v9 offset0:8 offset1:12
	v_lshrrev_b32_e32 v11, 3, v0
	v_lshlrev_b32_e32 v9, 2, v10
	v_lshlrev_b32_e32 v1, 2, v12
	;; [unrolled: 1-line block ×5, first 2 shown]
	v_lshl_add_u32 v9, v11, 2, v9
	s_waitcnt lgkmcnt(0)
	s_barrier
	ds_read_b32 v1, v1
	ds_read_b32 v6, v6
	;; [unrolled: 1-line block ×4, first 2 shown]
	s_waitcnt lgkmcnt(0)
	s_barrier
	s_barrier
	ds_write2_b32 v9, v2, v3 offset1:1
	ds_write2_b32 v9, v4, v5 offset0:2 offset1:3
	v_and_b32_e32 v2, 28, v11
	v_or_b32_e32 v16, 0x100, v0
	v_add_u32_e32 v4, v2, v10
	v_lshrrev_b32_e32 v2, 3, v16
	v_and_b32_e32 v2, 60, v2
	v_or_b32_e32 v15, 0x200, v0
	s_mov_b32 s17, 0
	v_add_u32_e32 v5, v2, v10
	v_lshrrev_b32_e32 v2, 3, v15
	s_lshl_b64 s[4:5], s[16:17], 2
	v_and_b32_e32 v2, 0x5c, v2
	v_or_b32_e32 v14, 0x300, v0
	s_add_u32 s0, s8, s4
	v_add_u32_e32 v12, v2, v10
	v_lshrrev_b32_e32 v2, 3, v14
	s_addc_u32 s1, s9, s5
	v_and_b32_e32 v2, 0x7c, v2
	v_mov_b32_e32 v11, 0
	v_add_u32_e32 v13, v2, v10
	v_lshl_add_u64 v[2:3], s[0:1], 0, v[10:11]
	s_and_b64 vcc, exec, s[18:19]
	s_waitcnt lgkmcnt(0)
	s_cbranch_vccz .LBB708_33
; %bb.32:
	s_barrier
	ds_read_b32 v11, v4
	ds_read_b32 v17, v5 offset:1024
	ds_read_b32 v18, v12 offset:2048
	;; [unrolled: 1-line block ×3, first 2 shown]
	s_add_u32 s0, s12, s4
	s_addc_u32 s1, s13, s5
	s_waitcnt lgkmcnt(3)
	global_store_dword v[2:3], v11, off
	s_waitcnt lgkmcnt(2)
	global_store_dword v[2:3], v17, off offset:1024
	s_waitcnt lgkmcnt(1)
	global_store_dword v[2:3], v18, off offset:2048
	;; [unrolled: 2-line block ×3, first 2 shown]
	s_barrier
	ds_write2_b32 v9, v1, v6 offset1:1
	ds_write2_b32 v9, v7, v8 offset0:2 offset1:3
	s_waitcnt lgkmcnt(0)
	s_barrier
	ds_read_b32 v11, v4
	ds_read_b32 v18, v5 offset:1024
	ds_read_b32 v19, v12 offset:2048
	;; [unrolled: 1-line block ×3, first 2 shown]
	s_waitcnt lgkmcnt(3)
	global_store_dword v10, v11, s[0:1]
	s_waitcnt lgkmcnt(2)
	global_store_dword v10, v18, s[0:1] offset:1024
	s_waitcnt lgkmcnt(1)
	global_store_dword v10, v19, s[0:1] offset:2048
	s_mov_b64 s[6:7], -1
	s_cbranch_execz .LBB708_34
	s_branch .LBB708_44
.LBB708_33:
	s_mov_b64 s[6:7], 0
                                        ; implicit-def: $vgpr17
.LBB708_34:
	s_barrier
	s_waitcnt lgkmcnt(0)
	ds_read_b32 v18, v5 offset:1024
	ds_read_b32 v17, v12 offset:2048
	;; [unrolled: 1-line block ×3, first 2 shown]
	s_sub_i32 s8, s14, s16
	v_cmp_gt_u32_e32 vcc, s8, v0
	s_and_saveexec_b64 s[0:1], vcc
	s_cbranch_execnz .LBB708_51
; %bb.35:
	s_or_b64 exec, exec, s[0:1]
	v_cmp_gt_u32_e64 s[0:1], s8, v16
	s_and_saveexec_b64 s[2:3], s[0:1]
	s_cbranch_execnz .LBB708_52
.LBB708_36:
	s_or_b64 exec, exec, s[2:3]
	v_cmp_gt_u32_e64 s[2:3], s8, v15
	s_and_saveexec_b64 s[6:7], s[2:3]
	s_cbranch_execnz .LBB708_53
.LBB708_37:
	s_or_b64 exec, exec, s[6:7]
	v_cmp_gt_u32_e64 s[6:7], s8, v14
	s_and_saveexec_b64 s[8:9], s[6:7]
	s_cbranch_execz .LBB708_39
.LBB708_38:
	s_waitcnt lgkmcnt(0)
	global_store_dword v[2:3], v11, off offset:3072
.LBB708_39:
	s_or_b64 exec, exec, s[8:9]
	s_waitcnt lgkmcnt(0)
	s_barrier
	ds_write2_b32 v9, v1, v6 offset1:1
	ds_write2_b32 v9, v7, v8 offset0:2 offset1:3
	s_waitcnt lgkmcnt(0)
	s_barrier
	ds_read_b32 v3, v5 offset:1024
	ds_read_b32 v2, v12 offset:2048
	;; [unrolled: 1-line block ×3, first 2 shown]
	s_add_u32 s8, s12, s4
	s_addc_u32 s9, s13, s5
	v_mov_b32_e32 v11, 0
	v_lshl_add_u64 v[0:1], s[8:9], 0, v[10:11]
	s_and_saveexec_b64 s[8:9], vcc
	s_cbranch_execnz .LBB708_54
; %bb.40:
	s_or_b64 exec, exec, s[8:9]
	s_and_saveexec_b64 s[8:9], s[0:1]
	s_cbranch_execnz .LBB708_55
.LBB708_41:
	s_or_b64 exec, exec, s[8:9]
	s_and_saveexec_b64 s[0:1], s[2:3]
	s_cbranch_execz .LBB708_43
.LBB708_42:
	s_waitcnt lgkmcnt(1)
	global_store_dword v[0:1], v2, off offset:2048
.LBB708_43:
	s_or_b64 exec, exec, s[0:1]
.LBB708_44:
	s_and_saveexec_b64 s[0:1], s[6:7]
	s_cbranch_execz .LBB708_46
; %bb.45:
	s_add_u32 s0, s12, s4
	s_addc_u32 s1, s13, s5
	s_waitcnt lgkmcnt(0)
	global_store_dword v10, v17, s[0:1] offset:3072
.LBB708_46:
	s_endpgm
.LBB708_47:
	v_mov_b32_e32 v11, v2
	v_subrev_co_u32_e32 v6, vcc, s15, v0
	v_mov_b32_e32 v7, v2
	v_lshl_add_u64 v[4:5], s[6:7], 0, v[10:11]
	v_lshl_add_u64 v[6:7], v[6:7], 2, s[20:21]
	v_cndmask_b32_e32 v5, v7, v5, vcc
	v_cndmask_b32_e32 v4, v6, v4, vcc
	global_load_dword v4, v[4:5], off
	v_mov_b32_e32 v5, v2
	v_mov_b32_e32 v6, v2
	;; [unrolled: 1-line block ×3, first 2 shown]
	s_waitcnt vmcnt(0)
	v_mov_b64_e32 v[2:3], v[4:5]
	v_mov_b64_e32 v[4:5], v[6:7]
	s_or_b64 exec, exec, s[2:3]
	v_cmp_gt_u32_e32 vcc, s22, v14
	s_and_saveexec_b64 s[2:3], vcc
	s_cbranch_execz .LBB708_6
.LBB708_48:
	v_mov_b32_e32 v15, 0
	v_subrev_co_u32_e32 v8, vcc, s15, v14
	v_mov_b32_e32 v9, v15
	v_lshl_add_u64 v[6:7], v[14:15], 2, s[6:7]
	v_lshl_add_u64 v[8:9], v[8:9], 2, s[20:21]
	v_cndmask_b32_e32 v7, v9, v7, vcc
	v_cndmask_b32_e32 v6, v8, v6, vcc
	global_load_dword v3, v[6:7], off
	s_or_b64 exec, exec, s[2:3]
	v_cmp_gt_u32_e32 vcc, s22, v12
	s_and_saveexec_b64 s[2:3], vcc
	s_cbranch_execnz .LBB708_7
	s_branch .LBB708_8
.LBB708_49:
	v_mov_b32_e32 v11, v6
	v_subrev_co_u32_e32 v16, vcc, s15, v0
	v_mov_b32_e32 v17, v6
	v_lshl_add_u64 v[8:9], s[0:1], 0, v[10:11]
	v_lshl_add_u64 v[16:17], v[16:17], 2, s[2:3]
	v_cndmask_b32_e32 v9, v17, v9, vcc
	v_cndmask_b32_e32 v8, v16, v8, vcc
	global_load_dword v16, v[8:9], off
	v_mov_b32_e32 v17, v6
	v_mov_b32_e32 v18, v6
	;; [unrolled: 1-line block ×3, first 2 shown]
	s_waitcnt vmcnt(0)
	v_mov_b64_e32 v[6:7], v[16:17]
	v_mov_b64_e32 v[8:9], v[18:19]
	s_or_b64 exec, exec, s[4:5]
	v_cmp_gt_u32_e32 vcc, s6, v14
	s_and_saveexec_b64 s[4:5], vcc
	s_cbranch_execz .LBB708_16
.LBB708_50:
	v_mov_b32_e32 v15, 0
	v_lshl_add_u64 v[16:17], v[14:15], 2, s[0:1]
	v_subrev_co_u32_e32 v14, vcc, s15, v14
	v_lshl_add_u64 v[14:15], v[14:15], 2, s[2:3]
	s_nop 0
	v_cndmask_b32_e32 v15, v15, v17, vcc
	v_cndmask_b32_e32 v14, v14, v16, vcc
	global_load_dword v7, v[14:15], off
	s_or_b64 exec, exec, s[4:5]
	v_cmp_gt_u32_e32 vcc, s6, v12
	s_and_saveexec_b64 s[4:5], vcc
	s_cbranch_execnz .LBB708_17
	s_branch .LBB708_18
.LBB708_51:
	ds_read_b32 v0, v4
	s_waitcnt lgkmcnt(0)
	global_store_dword v[2:3], v0, off
	s_or_b64 exec, exec, s[0:1]
	v_cmp_gt_u32_e64 s[0:1], s8, v16
	s_and_saveexec_b64 s[2:3], s[0:1]
	s_cbranch_execz .LBB708_36
.LBB708_52:
	s_waitcnt lgkmcnt(2)
	global_store_dword v[2:3], v18, off offset:1024
	s_or_b64 exec, exec, s[2:3]
	v_cmp_gt_u32_e64 s[2:3], s8, v15
	s_and_saveexec_b64 s[6:7], s[2:3]
	s_cbranch_execz .LBB708_37
.LBB708_53:
	s_waitcnt lgkmcnt(1)
	global_store_dword v[2:3], v17, off offset:2048
	s_or_b64 exec, exec, s[6:7]
	v_cmp_gt_u32_e64 s[6:7], s8, v14
	s_and_saveexec_b64 s[8:9], s[6:7]
	s_cbranch_execnz .LBB708_38
	s_branch .LBB708_39
.LBB708_54:
	ds_read_b32 v4, v4
	s_waitcnt lgkmcnt(0)
	global_store_dword v[0:1], v4, off
	s_or_b64 exec, exec, s[8:9]
	s_and_saveexec_b64 s[8:9], s[0:1]
	s_cbranch_execz .LBB708_41
.LBB708_55:
	s_waitcnt lgkmcnt(2)
	global_store_dword v[0:1], v3, off offset:1024
	s_or_b64 exec, exec, s[8:9]
	s_and_saveexec_b64 s[0:1], s[2:3]
	s_cbranch_execnz .LBB708_42
	s_branch .LBB708_43
	.section	.rodata,"a",@progbits
	.p2align	6, 0x0
	.amdhsa_kernel _ZN7rocprim17ROCPRIM_400000_NS6detail17trampoline_kernelINS0_14default_configENS1_38merge_sort_block_merge_config_selectorIjjEEZZNS1_27merge_sort_block_merge_implIS3_N6thrust23THRUST_200600_302600_NS6detail15normal_iteratorINS8_10device_ptrIjEEEESD_jNS1_19radix_merge_compareILb0ELb1EjNS0_19identity_decomposerEEEEE10hipError_tT0_T1_T2_jT3_P12ihipStream_tbPNSt15iterator_traitsISI_E10value_typeEPNSO_ISJ_E10value_typeEPSK_NS1_7vsmem_tEENKUlT_SI_SJ_SK_E_clISD_PjSD_S10_EESH_SX_SI_SJ_SK_EUlSX_E0_NS1_11comp_targetILNS1_3genE0ELNS1_11target_archE4294967295ELNS1_3gpuE0ELNS1_3repE0EEENS1_38merge_mergepath_config_static_selectorELNS0_4arch9wavefront6targetE1EEEvSJ_
		.amdhsa_group_segment_fixed_size 4224
		.amdhsa_private_segment_fixed_size 0
		.amdhsa_kernarg_size 320
		.amdhsa_user_sgpr_count 2
		.amdhsa_user_sgpr_dispatch_ptr 0
		.amdhsa_user_sgpr_queue_ptr 0
		.amdhsa_user_sgpr_kernarg_segment_ptr 1
		.amdhsa_user_sgpr_dispatch_id 0
		.amdhsa_user_sgpr_kernarg_preload_length 0
		.amdhsa_user_sgpr_kernarg_preload_offset 0
		.amdhsa_user_sgpr_private_segment_size 0
		.amdhsa_uses_dynamic_stack 0
		.amdhsa_enable_private_segment 0
		.amdhsa_system_sgpr_workgroup_id_x 1
		.amdhsa_system_sgpr_workgroup_id_y 1
		.amdhsa_system_sgpr_workgroup_id_z 1
		.amdhsa_system_sgpr_workgroup_info 0
		.amdhsa_system_vgpr_workitem_id 0
		.amdhsa_next_free_vgpr 21
		.amdhsa_next_free_sgpr 31
		.amdhsa_accum_offset 24
		.amdhsa_reserve_vcc 1
		.amdhsa_float_round_mode_32 0
		.amdhsa_float_round_mode_16_64 0
		.amdhsa_float_denorm_mode_32 3
		.amdhsa_float_denorm_mode_16_64 3
		.amdhsa_dx10_clamp 1
		.amdhsa_ieee_mode 1
		.amdhsa_fp16_overflow 0
		.amdhsa_tg_split 0
		.amdhsa_exception_fp_ieee_invalid_op 0
		.amdhsa_exception_fp_denorm_src 0
		.amdhsa_exception_fp_ieee_div_zero 0
		.amdhsa_exception_fp_ieee_overflow 0
		.amdhsa_exception_fp_ieee_underflow 0
		.amdhsa_exception_fp_ieee_inexact 0
		.amdhsa_exception_int_div_zero 0
	.end_amdhsa_kernel
	.section	.text._ZN7rocprim17ROCPRIM_400000_NS6detail17trampoline_kernelINS0_14default_configENS1_38merge_sort_block_merge_config_selectorIjjEEZZNS1_27merge_sort_block_merge_implIS3_N6thrust23THRUST_200600_302600_NS6detail15normal_iteratorINS8_10device_ptrIjEEEESD_jNS1_19radix_merge_compareILb0ELb1EjNS0_19identity_decomposerEEEEE10hipError_tT0_T1_T2_jT3_P12ihipStream_tbPNSt15iterator_traitsISI_E10value_typeEPNSO_ISJ_E10value_typeEPSK_NS1_7vsmem_tEENKUlT_SI_SJ_SK_E_clISD_PjSD_S10_EESH_SX_SI_SJ_SK_EUlSX_E0_NS1_11comp_targetILNS1_3genE0ELNS1_11target_archE4294967295ELNS1_3gpuE0ELNS1_3repE0EEENS1_38merge_mergepath_config_static_selectorELNS0_4arch9wavefront6targetE1EEEvSJ_,"axG",@progbits,_ZN7rocprim17ROCPRIM_400000_NS6detail17trampoline_kernelINS0_14default_configENS1_38merge_sort_block_merge_config_selectorIjjEEZZNS1_27merge_sort_block_merge_implIS3_N6thrust23THRUST_200600_302600_NS6detail15normal_iteratorINS8_10device_ptrIjEEEESD_jNS1_19radix_merge_compareILb0ELb1EjNS0_19identity_decomposerEEEEE10hipError_tT0_T1_T2_jT3_P12ihipStream_tbPNSt15iterator_traitsISI_E10value_typeEPNSO_ISJ_E10value_typeEPSK_NS1_7vsmem_tEENKUlT_SI_SJ_SK_E_clISD_PjSD_S10_EESH_SX_SI_SJ_SK_EUlSX_E0_NS1_11comp_targetILNS1_3genE0ELNS1_11target_archE4294967295ELNS1_3gpuE0ELNS1_3repE0EEENS1_38merge_mergepath_config_static_selectorELNS0_4arch9wavefront6targetE1EEEvSJ_,comdat
.Lfunc_end708:
	.size	_ZN7rocprim17ROCPRIM_400000_NS6detail17trampoline_kernelINS0_14default_configENS1_38merge_sort_block_merge_config_selectorIjjEEZZNS1_27merge_sort_block_merge_implIS3_N6thrust23THRUST_200600_302600_NS6detail15normal_iteratorINS8_10device_ptrIjEEEESD_jNS1_19radix_merge_compareILb0ELb1EjNS0_19identity_decomposerEEEEE10hipError_tT0_T1_T2_jT3_P12ihipStream_tbPNSt15iterator_traitsISI_E10value_typeEPNSO_ISJ_E10value_typeEPSK_NS1_7vsmem_tEENKUlT_SI_SJ_SK_E_clISD_PjSD_S10_EESH_SX_SI_SJ_SK_EUlSX_E0_NS1_11comp_targetILNS1_3genE0ELNS1_11target_archE4294967295ELNS1_3gpuE0ELNS1_3repE0EEENS1_38merge_mergepath_config_static_selectorELNS0_4arch9wavefront6targetE1EEEvSJ_, .Lfunc_end708-_ZN7rocprim17ROCPRIM_400000_NS6detail17trampoline_kernelINS0_14default_configENS1_38merge_sort_block_merge_config_selectorIjjEEZZNS1_27merge_sort_block_merge_implIS3_N6thrust23THRUST_200600_302600_NS6detail15normal_iteratorINS8_10device_ptrIjEEEESD_jNS1_19radix_merge_compareILb0ELb1EjNS0_19identity_decomposerEEEEE10hipError_tT0_T1_T2_jT3_P12ihipStream_tbPNSt15iterator_traitsISI_E10value_typeEPNSO_ISJ_E10value_typeEPSK_NS1_7vsmem_tEENKUlT_SI_SJ_SK_E_clISD_PjSD_S10_EESH_SX_SI_SJ_SK_EUlSX_E0_NS1_11comp_targetILNS1_3genE0ELNS1_11target_archE4294967295ELNS1_3gpuE0ELNS1_3repE0EEENS1_38merge_mergepath_config_static_selectorELNS0_4arch9wavefront6targetE1EEEvSJ_
                                        ; -- End function
	.set _ZN7rocprim17ROCPRIM_400000_NS6detail17trampoline_kernelINS0_14default_configENS1_38merge_sort_block_merge_config_selectorIjjEEZZNS1_27merge_sort_block_merge_implIS3_N6thrust23THRUST_200600_302600_NS6detail15normal_iteratorINS8_10device_ptrIjEEEESD_jNS1_19radix_merge_compareILb0ELb1EjNS0_19identity_decomposerEEEEE10hipError_tT0_T1_T2_jT3_P12ihipStream_tbPNSt15iterator_traitsISI_E10value_typeEPNSO_ISJ_E10value_typeEPSK_NS1_7vsmem_tEENKUlT_SI_SJ_SK_E_clISD_PjSD_S10_EESH_SX_SI_SJ_SK_EUlSX_E0_NS1_11comp_targetILNS1_3genE0ELNS1_11target_archE4294967295ELNS1_3gpuE0ELNS1_3repE0EEENS1_38merge_mergepath_config_static_selectorELNS0_4arch9wavefront6targetE1EEEvSJ_.num_vgpr, 21
	.set _ZN7rocprim17ROCPRIM_400000_NS6detail17trampoline_kernelINS0_14default_configENS1_38merge_sort_block_merge_config_selectorIjjEEZZNS1_27merge_sort_block_merge_implIS3_N6thrust23THRUST_200600_302600_NS6detail15normal_iteratorINS8_10device_ptrIjEEEESD_jNS1_19radix_merge_compareILb0ELb1EjNS0_19identity_decomposerEEEEE10hipError_tT0_T1_T2_jT3_P12ihipStream_tbPNSt15iterator_traitsISI_E10value_typeEPNSO_ISJ_E10value_typeEPSK_NS1_7vsmem_tEENKUlT_SI_SJ_SK_E_clISD_PjSD_S10_EESH_SX_SI_SJ_SK_EUlSX_E0_NS1_11comp_targetILNS1_3genE0ELNS1_11target_archE4294967295ELNS1_3gpuE0ELNS1_3repE0EEENS1_38merge_mergepath_config_static_selectorELNS0_4arch9wavefront6targetE1EEEvSJ_.num_agpr, 0
	.set _ZN7rocprim17ROCPRIM_400000_NS6detail17trampoline_kernelINS0_14default_configENS1_38merge_sort_block_merge_config_selectorIjjEEZZNS1_27merge_sort_block_merge_implIS3_N6thrust23THRUST_200600_302600_NS6detail15normal_iteratorINS8_10device_ptrIjEEEESD_jNS1_19radix_merge_compareILb0ELb1EjNS0_19identity_decomposerEEEEE10hipError_tT0_T1_T2_jT3_P12ihipStream_tbPNSt15iterator_traitsISI_E10value_typeEPNSO_ISJ_E10value_typeEPSK_NS1_7vsmem_tEENKUlT_SI_SJ_SK_E_clISD_PjSD_S10_EESH_SX_SI_SJ_SK_EUlSX_E0_NS1_11comp_targetILNS1_3genE0ELNS1_11target_archE4294967295ELNS1_3gpuE0ELNS1_3repE0EEENS1_38merge_mergepath_config_static_selectorELNS0_4arch9wavefront6targetE1EEEvSJ_.numbered_sgpr, 31
	.set _ZN7rocprim17ROCPRIM_400000_NS6detail17trampoline_kernelINS0_14default_configENS1_38merge_sort_block_merge_config_selectorIjjEEZZNS1_27merge_sort_block_merge_implIS3_N6thrust23THRUST_200600_302600_NS6detail15normal_iteratorINS8_10device_ptrIjEEEESD_jNS1_19radix_merge_compareILb0ELb1EjNS0_19identity_decomposerEEEEE10hipError_tT0_T1_T2_jT3_P12ihipStream_tbPNSt15iterator_traitsISI_E10value_typeEPNSO_ISJ_E10value_typeEPSK_NS1_7vsmem_tEENKUlT_SI_SJ_SK_E_clISD_PjSD_S10_EESH_SX_SI_SJ_SK_EUlSX_E0_NS1_11comp_targetILNS1_3genE0ELNS1_11target_archE4294967295ELNS1_3gpuE0ELNS1_3repE0EEENS1_38merge_mergepath_config_static_selectorELNS0_4arch9wavefront6targetE1EEEvSJ_.num_named_barrier, 0
	.set _ZN7rocprim17ROCPRIM_400000_NS6detail17trampoline_kernelINS0_14default_configENS1_38merge_sort_block_merge_config_selectorIjjEEZZNS1_27merge_sort_block_merge_implIS3_N6thrust23THRUST_200600_302600_NS6detail15normal_iteratorINS8_10device_ptrIjEEEESD_jNS1_19radix_merge_compareILb0ELb1EjNS0_19identity_decomposerEEEEE10hipError_tT0_T1_T2_jT3_P12ihipStream_tbPNSt15iterator_traitsISI_E10value_typeEPNSO_ISJ_E10value_typeEPSK_NS1_7vsmem_tEENKUlT_SI_SJ_SK_E_clISD_PjSD_S10_EESH_SX_SI_SJ_SK_EUlSX_E0_NS1_11comp_targetILNS1_3genE0ELNS1_11target_archE4294967295ELNS1_3gpuE0ELNS1_3repE0EEENS1_38merge_mergepath_config_static_selectorELNS0_4arch9wavefront6targetE1EEEvSJ_.private_seg_size, 0
	.set _ZN7rocprim17ROCPRIM_400000_NS6detail17trampoline_kernelINS0_14default_configENS1_38merge_sort_block_merge_config_selectorIjjEEZZNS1_27merge_sort_block_merge_implIS3_N6thrust23THRUST_200600_302600_NS6detail15normal_iteratorINS8_10device_ptrIjEEEESD_jNS1_19radix_merge_compareILb0ELb1EjNS0_19identity_decomposerEEEEE10hipError_tT0_T1_T2_jT3_P12ihipStream_tbPNSt15iterator_traitsISI_E10value_typeEPNSO_ISJ_E10value_typeEPSK_NS1_7vsmem_tEENKUlT_SI_SJ_SK_E_clISD_PjSD_S10_EESH_SX_SI_SJ_SK_EUlSX_E0_NS1_11comp_targetILNS1_3genE0ELNS1_11target_archE4294967295ELNS1_3gpuE0ELNS1_3repE0EEENS1_38merge_mergepath_config_static_selectorELNS0_4arch9wavefront6targetE1EEEvSJ_.uses_vcc, 1
	.set _ZN7rocprim17ROCPRIM_400000_NS6detail17trampoline_kernelINS0_14default_configENS1_38merge_sort_block_merge_config_selectorIjjEEZZNS1_27merge_sort_block_merge_implIS3_N6thrust23THRUST_200600_302600_NS6detail15normal_iteratorINS8_10device_ptrIjEEEESD_jNS1_19radix_merge_compareILb0ELb1EjNS0_19identity_decomposerEEEEE10hipError_tT0_T1_T2_jT3_P12ihipStream_tbPNSt15iterator_traitsISI_E10value_typeEPNSO_ISJ_E10value_typeEPSK_NS1_7vsmem_tEENKUlT_SI_SJ_SK_E_clISD_PjSD_S10_EESH_SX_SI_SJ_SK_EUlSX_E0_NS1_11comp_targetILNS1_3genE0ELNS1_11target_archE4294967295ELNS1_3gpuE0ELNS1_3repE0EEENS1_38merge_mergepath_config_static_selectorELNS0_4arch9wavefront6targetE1EEEvSJ_.uses_flat_scratch, 0
	.set _ZN7rocprim17ROCPRIM_400000_NS6detail17trampoline_kernelINS0_14default_configENS1_38merge_sort_block_merge_config_selectorIjjEEZZNS1_27merge_sort_block_merge_implIS3_N6thrust23THRUST_200600_302600_NS6detail15normal_iteratorINS8_10device_ptrIjEEEESD_jNS1_19radix_merge_compareILb0ELb1EjNS0_19identity_decomposerEEEEE10hipError_tT0_T1_T2_jT3_P12ihipStream_tbPNSt15iterator_traitsISI_E10value_typeEPNSO_ISJ_E10value_typeEPSK_NS1_7vsmem_tEENKUlT_SI_SJ_SK_E_clISD_PjSD_S10_EESH_SX_SI_SJ_SK_EUlSX_E0_NS1_11comp_targetILNS1_3genE0ELNS1_11target_archE4294967295ELNS1_3gpuE0ELNS1_3repE0EEENS1_38merge_mergepath_config_static_selectorELNS0_4arch9wavefront6targetE1EEEvSJ_.has_dyn_sized_stack, 0
	.set _ZN7rocprim17ROCPRIM_400000_NS6detail17trampoline_kernelINS0_14default_configENS1_38merge_sort_block_merge_config_selectorIjjEEZZNS1_27merge_sort_block_merge_implIS3_N6thrust23THRUST_200600_302600_NS6detail15normal_iteratorINS8_10device_ptrIjEEEESD_jNS1_19radix_merge_compareILb0ELb1EjNS0_19identity_decomposerEEEEE10hipError_tT0_T1_T2_jT3_P12ihipStream_tbPNSt15iterator_traitsISI_E10value_typeEPNSO_ISJ_E10value_typeEPSK_NS1_7vsmem_tEENKUlT_SI_SJ_SK_E_clISD_PjSD_S10_EESH_SX_SI_SJ_SK_EUlSX_E0_NS1_11comp_targetILNS1_3genE0ELNS1_11target_archE4294967295ELNS1_3gpuE0ELNS1_3repE0EEENS1_38merge_mergepath_config_static_selectorELNS0_4arch9wavefront6targetE1EEEvSJ_.has_recursion, 0
	.set _ZN7rocprim17ROCPRIM_400000_NS6detail17trampoline_kernelINS0_14default_configENS1_38merge_sort_block_merge_config_selectorIjjEEZZNS1_27merge_sort_block_merge_implIS3_N6thrust23THRUST_200600_302600_NS6detail15normal_iteratorINS8_10device_ptrIjEEEESD_jNS1_19radix_merge_compareILb0ELb1EjNS0_19identity_decomposerEEEEE10hipError_tT0_T1_T2_jT3_P12ihipStream_tbPNSt15iterator_traitsISI_E10value_typeEPNSO_ISJ_E10value_typeEPSK_NS1_7vsmem_tEENKUlT_SI_SJ_SK_E_clISD_PjSD_S10_EESH_SX_SI_SJ_SK_EUlSX_E0_NS1_11comp_targetILNS1_3genE0ELNS1_11target_archE4294967295ELNS1_3gpuE0ELNS1_3repE0EEENS1_38merge_mergepath_config_static_selectorELNS0_4arch9wavefront6targetE1EEEvSJ_.has_indirect_call, 0
	.section	.AMDGPU.csdata,"",@progbits
; Kernel info:
; codeLenInByte = 2904
; TotalNumSgprs: 37
; NumVgprs: 21
; NumAgprs: 0
; TotalNumVgprs: 21
; ScratchSize: 0
; MemoryBound: 0
; FloatMode: 240
; IeeeMode: 1
; LDSByteSize: 4224 bytes/workgroup (compile time only)
; SGPRBlocks: 4
; VGPRBlocks: 2
; NumSGPRsForWavesPerEU: 37
; NumVGPRsForWavesPerEU: 21
; AccumOffset: 24
; Occupancy: 8
; WaveLimiterHint : 1
; COMPUTE_PGM_RSRC2:SCRATCH_EN: 0
; COMPUTE_PGM_RSRC2:USER_SGPR: 2
; COMPUTE_PGM_RSRC2:TRAP_HANDLER: 0
; COMPUTE_PGM_RSRC2:TGID_X_EN: 1
; COMPUTE_PGM_RSRC2:TGID_Y_EN: 1
; COMPUTE_PGM_RSRC2:TGID_Z_EN: 1
; COMPUTE_PGM_RSRC2:TIDIG_COMP_CNT: 0
; COMPUTE_PGM_RSRC3_GFX90A:ACCUM_OFFSET: 5
; COMPUTE_PGM_RSRC3_GFX90A:TG_SPLIT: 0
	.section	.text._ZN7rocprim17ROCPRIM_400000_NS6detail17trampoline_kernelINS0_14default_configENS1_38merge_sort_block_merge_config_selectorIjjEEZZNS1_27merge_sort_block_merge_implIS3_N6thrust23THRUST_200600_302600_NS6detail15normal_iteratorINS8_10device_ptrIjEEEESD_jNS1_19radix_merge_compareILb0ELb1EjNS0_19identity_decomposerEEEEE10hipError_tT0_T1_T2_jT3_P12ihipStream_tbPNSt15iterator_traitsISI_E10value_typeEPNSO_ISJ_E10value_typeEPSK_NS1_7vsmem_tEENKUlT_SI_SJ_SK_E_clISD_PjSD_S10_EESH_SX_SI_SJ_SK_EUlSX_E0_NS1_11comp_targetILNS1_3genE10ELNS1_11target_archE1201ELNS1_3gpuE5ELNS1_3repE0EEENS1_38merge_mergepath_config_static_selectorELNS0_4arch9wavefront6targetE1EEEvSJ_,"axG",@progbits,_ZN7rocprim17ROCPRIM_400000_NS6detail17trampoline_kernelINS0_14default_configENS1_38merge_sort_block_merge_config_selectorIjjEEZZNS1_27merge_sort_block_merge_implIS3_N6thrust23THRUST_200600_302600_NS6detail15normal_iteratorINS8_10device_ptrIjEEEESD_jNS1_19radix_merge_compareILb0ELb1EjNS0_19identity_decomposerEEEEE10hipError_tT0_T1_T2_jT3_P12ihipStream_tbPNSt15iterator_traitsISI_E10value_typeEPNSO_ISJ_E10value_typeEPSK_NS1_7vsmem_tEENKUlT_SI_SJ_SK_E_clISD_PjSD_S10_EESH_SX_SI_SJ_SK_EUlSX_E0_NS1_11comp_targetILNS1_3genE10ELNS1_11target_archE1201ELNS1_3gpuE5ELNS1_3repE0EEENS1_38merge_mergepath_config_static_selectorELNS0_4arch9wavefront6targetE1EEEvSJ_,comdat
	.protected	_ZN7rocprim17ROCPRIM_400000_NS6detail17trampoline_kernelINS0_14default_configENS1_38merge_sort_block_merge_config_selectorIjjEEZZNS1_27merge_sort_block_merge_implIS3_N6thrust23THRUST_200600_302600_NS6detail15normal_iteratorINS8_10device_ptrIjEEEESD_jNS1_19radix_merge_compareILb0ELb1EjNS0_19identity_decomposerEEEEE10hipError_tT0_T1_T2_jT3_P12ihipStream_tbPNSt15iterator_traitsISI_E10value_typeEPNSO_ISJ_E10value_typeEPSK_NS1_7vsmem_tEENKUlT_SI_SJ_SK_E_clISD_PjSD_S10_EESH_SX_SI_SJ_SK_EUlSX_E0_NS1_11comp_targetILNS1_3genE10ELNS1_11target_archE1201ELNS1_3gpuE5ELNS1_3repE0EEENS1_38merge_mergepath_config_static_selectorELNS0_4arch9wavefront6targetE1EEEvSJ_ ; -- Begin function _ZN7rocprim17ROCPRIM_400000_NS6detail17trampoline_kernelINS0_14default_configENS1_38merge_sort_block_merge_config_selectorIjjEEZZNS1_27merge_sort_block_merge_implIS3_N6thrust23THRUST_200600_302600_NS6detail15normal_iteratorINS8_10device_ptrIjEEEESD_jNS1_19radix_merge_compareILb0ELb1EjNS0_19identity_decomposerEEEEE10hipError_tT0_T1_T2_jT3_P12ihipStream_tbPNSt15iterator_traitsISI_E10value_typeEPNSO_ISJ_E10value_typeEPSK_NS1_7vsmem_tEENKUlT_SI_SJ_SK_E_clISD_PjSD_S10_EESH_SX_SI_SJ_SK_EUlSX_E0_NS1_11comp_targetILNS1_3genE10ELNS1_11target_archE1201ELNS1_3gpuE5ELNS1_3repE0EEENS1_38merge_mergepath_config_static_selectorELNS0_4arch9wavefront6targetE1EEEvSJ_
	.globl	_ZN7rocprim17ROCPRIM_400000_NS6detail17trampoline_kernelINS0_14default_configENS1_38merge_sort_block_merge_config_selectorIjjEEZZNS1_27merge_sort_block_merge_implIS3_N6thrust23THRUST_200600_302600_NS6detail15normal_iteratorINS8_10device_ptrIjEEEESD_jNS1_19radix_merge_compareILb0ELb1EjNS0_19identity_decomposerEEEEE10hipError_tT0_T1_T2_jT3_P12ihipStream_tbPNSt15iterator_traitsISI_E10value_typeEPNSO_ISJ_E10value_typeEPSK_NS1_7vsmem_tEENKUlT_SI_SJ_SK_E_clISD_PjSD_S10_EESH_SX_SI_SJ_SK_EUlSX_E0_NS1_11comp_targetILNS1_3genE10ELNS1_11target_archE1201ELNS1_3gpuE5ELNS1_3repE0EEENS1_38merge_mergepath_config_static_selectorELNS0_4arch9wavefront6targetE1EEEvSJ_
	.p2align	8
	.type	_ZN7rocprim17ROCPRIM_400000_NS6detail17trampoline_kernelINS0_14default_configENS1_38merge_sort_block_merge_config_selectorIjjEEZZNS1_27merge_sort_block_merge_implIS3_N6thrust23THRUST_200600_302600_NS6detail15normal_iteratorINS8_10device_ptrIjEEEESD_jNS1_19radix_merge_compareILb0ELb1EjNS0_19identity_decomposerEEEEE10hipError_tT0_T1_T2_jT3_P12ihipStream_tbPNSt15iterator_traitsISI_E10value_typeEPNSO_ISJ_E10value_typeEPSK_NS1_7vsmem_tEENKUlT_SI_SJ_SK_E_clISD_PjSD_S10_EESH_SX_SI_SJ_SK_EUlSX_E0_NS1_11comp_targetILNS1_3genE10ELNS1_11target_archE1201ELNS1_3gpuE5ELNS1_3repE0EEENS1_38merge_mergepath_config_static_selectorELNS0_4arch9wavefront6targetE1EEEvSJ_,@function
_ZN7rocprim17ROCPRIM_400000_NS6detail17trampoline_kernelINS0_14default_configENS1_38merge_sort_block_merge_config_selectorIjjEEZZNS1_27merge_sort_block_merge_implIS3_N6thrust23THRUST_200600_302600_NS6detail15normal_iteratorINS8_10device_ptrIjEEEESD_jNS1_19radix_merge_compareILb0ELb1EjNS0_19identity_decomposerEEEEE10hipError_tT0_T1_T2_jT3_P12ihipStream_tbPNSt15iterator_traitsISI_E10value_typeEPNSO_ISJ_E10value_typeEPSK_NS1_7vsmem_tEENKUlT_SI_SJ_SK_E_clISD_PjSD_S10_EESH_SX_SI_SJ_SK_EUlSX_E0_NS1_11comp_targetILNS1_3genE10ELNS1_11target_archE1201ELNS1_3gpuE5ELNS1_3repE0EEENS1_38merge_mergepath_config_static_selectorELNS0_4arch9wavefront6targetE1EEEvSJ_: ; @_ZN7rocprim17ROCPRIM_400000_NS6detail17trampoline_kernelINS0_14default_configENS1_38merge_sort_block_merge_config_selectorIjjEEZZNS1_27merge_sort_block_merge_implIS3_N6thrust23THRUST_200600_302600_NS6detail15normal_iteratorINS8_10device_ptrIjEEEESD_jNS1_19radix_merge_compareILb0ELb1EjNS0_19identity_decomposerEEEEE10hipError_tT0_T1_T2_jT3_P12ihipStream_tbPNSt15iterator_traitsISI_E10value_typeEPNSO_ISJ_E10value_typeEPSK_NS1_7vsmem_tEENKUlT_SI_SJ_SK_E_clISD_PjSD_S10_EESH_SX_SI_SJ_SK_EUlSX_E0_NS1_11comp_targetILNS1_3genE10ELNS1_11target_archE1201ELNS1_3gpuE5ELNS1_3repE0EEENS1_38merge_mergepath_config_static_selectorELNS0_4arch9wavefront6targetE1EEEvSJ_
; %bb.0:
	.section	.rodata,"a",@progbits
	.p2align	6, 0x0
	.amdhsa_kernel _ZN7rocprim17ROCPRIM_400000_NS6detail17trampoline_kernelINS0_14default_configENS1_38merge_sort_block_merge_config_selectorIjjEEZZNS1_27merge_sort_block_merge_implIS3_N6thrust23THRUST_200600_302600_NS6detail15normal_iteratorINS8_10device_ptrIjEEEESD_jNS1_19radix_merge_compareILb0ELb1EjNS0_19identity_decomposerEEEEE10hipError_tT0_T1_T2_jT3_P12ihipStream_tbPNSt15iterator_traitsISI_E10value_typeEPNSO_ISJ_E10value_typeEPSK_NS1_7vsmem_tEENKUlT_SI_SJ_SK_E_clISD_PjSD_S10_EESH_SX_SI_SJ_SK_EUlSX_E0_NS1_11comp_targetILNS1_3genE10ELNS1_11target_archE1201ELNS1_3gpuE5ELNS1_3repE0EEENS1_38merge_mergepath_config_static_selectorELNS0_4arch9wavefront6targetE1EEEvSJ_
		.amdhsa_group_segment_fixed_size 0
		.amdhsa_private_segment_fixed_size 0
		.amdhsa_kernarg_size 64
		.amdhsa_user_sgpr_count 2
		.amdhsa_user_sgpr_dispatch_ptr 0
		.amdhsa_user_sgpr_queue_ptr 0
		.amdhsa_user_sgpr_kernarg_segment_ptr 1
		.amdhsa_user_sgpr_dispatch_id 0
		.amdhsa_user_sgpr_kernarg_preload_length 0
		.amdhsa_user_sgpr_kernarg_preload_offset 0
		.amdhsa_user_sgpr_private_segment_size 0
		.amdhsa_uses_dynamic_stack 0
		.amdhsa_enable_private_segment 0
		.amdhsa_system_sgpr_workgroup_id_x 1
		.amdhsa_system_sgpr_workgroup_id_y 0
		.amdhsa_system_sgpr_workgroup_id_z 0
		.amdhsa_system_sgpr_workgroup_info 0
		.amdhsa_system_vgpr_workitem_id 0
		.amdhsa_next_free_vgpr 1
		.amdhsa_next_free_sgpr 0
		.amdhsa_accum_offset 4
		.amdhsa_reserve_vcc 0
		.amdhsa_float_round_mode_32 0
		.amdhsa_float_round_mode_16_64 0
		.amdhsa_float_denorm_mode_32 3
		.amdhsa_float_denorm_mode_16_64 3
		.amdhsa_dx10_clamp 1
		.amdhsa_ieee_mode 1
		.amdhsa_fp16_overflow 0
		.amdhsa_tg_split 0
		.amdhsa_exception_fp_ieee_invalid_op 0
		.amdhsa_exception_fp_denorm_src 0
		.amdhsa_exception_fp_ieee_div_zero 0
		.amdhsa_exception_fp_ieee_overflow 0
		.amdhsa_exception_fp_ieee_underflow 0
		.amdhsa_exception_fp_ieee_inexact 0
		.amdhsa_exception_int_div_zero 0
	.end_amdhsa_kernel
	.section	.text._ZN7rocprim17ROCPRIM_400000_NS6detail17trampoline_kernelINS0_14default_configENS1_38merge_sort_block_merge_config_selectorIjjEEZZNS1_27merge_sort_block_merge_implIS3_N6thrust23THRUST_200600_302600_NS6detail15normal_iteratorINS8_10device_ptrIjEEEESD_jNS1_19radix_merge_compareILb0ELb1EjNS0_19identity_decomposerEEEEE10hipError_tT0_T1_T2_jT3_P12ihipStream_tbPNSt15iterator_traitsISI_E10value_typeEPNSO_ISJ_E10value_typeEPSK_NS1_7vsmem_tEENKUlT_SI_SJ_SK_E_clISD_PjSD_S10_EESH_SX_SI_SJ_SK_EUlSX_E0_NS1_11comp_targetILNS1_3genE10ELNS1_11target_archE1201ELNS1_3gpuE5ELNS1_3repE0EEENS1_38merge_mergepath_config_static_selectorELNS0_4arch9wavefront6targetE1EEEvSJ_,"axG",@progbits,_ZN7rocprim17ROCPRIM_400000_NS6detail17trampoline_kernelINS0_14default_configENS1_38merge_sort_block_merge_config_selectorIjjEEZZNS1_27merge_sort_block_merge_implIS3_N6thrust23THRUST_200600_302600_NS6detail15normal_iteratorINS8_10device_ptrIjEEEESD_jNS1_19radix_merge_compareILb0ELb1EjNS0_19identity_decomposerEEEEE10hipError_tT0_T1_T2_jT3_P12ihipStream_tbPNSt15iterator_traitsISI_E10value_typeEPNSO_ISJ_E10value_typeEPSK_NS1_7vsmem_tEENKUlT_SI_SJ_SK_E_clISD_PjSD_S10_EESH_SX_SI_SJ_SK_EUlSX_E0_NS1_11comp_targetILNS1_3genE10ELNS1_11target_archE1201ELNS1_3gpuE5ELNS1_3repE0EEENS1_38merge_mergepath_config_static_selectorELNS0_4arch9wavefront6targetE1EEEvSJ_,comdat
.Lfunc_end709:
	.size	_ZN7rocprim17ROCPRIM_400000_NS6detail17trampoline_kernelINS0_14default_configENS1_38merge_sort_block_merge_config_selectorIjjEEZZNS1_27merge_sort_block_merge_implIS3_N6thrust23THRUST_200600_302600_NS6detail15normal_iteratorINS8_10device_ptrIjEEEESD_jNS1_19radix_merge_compareILb0ELb1EjNS0_19identity_decomposerEEEEE10hipError_tT0_T1_T2_jT3_P12ihipStream_tbPNSt15iterator_traitsISI_E10value_typeEPNSO_ISJ_E10value_typeEPSK_NS1_7vsmem_tEENKUlT_SI_SJ_SK_E_clISD_PjSD_S10_EESH_SX_SI_SJ_SK_EUlSX_E0_NS1_11comp_targetILNS1_3genE10ELNS1_11target_archE1201ELNS1_3gpuE5ELNS1_3repE0EEENS1_38merge_mergepath_config_static_selectorELNS0_4arch9wavefront6targetE1EEEvSJ_, .Lfunc_end709-_ZN7rocprim17ROCPRIM_400000_NS6detail17trampoline_kernelINS0_14default_configENS1_38merge_sort_block_merge_config_selectorIjjEEZZNS1_27merge_sort_block_merge_implIS3_N6thrust23THRUST_200600_302600_NS6detail15normal_iteratorINS8_10device_ptrIjEEEESD_jNS1_19radix_merge_compareILb0ELb1EjNS0_19identity_decomposerEEEEE10hipError_tT0_T1_T2_jT3_P12ihipStream_tbPNSt15iterator_traitsISI_E10value_typeEPNSO_ISJ_E10value_typeEPSK_NS1_7vsmem_tEENKUlT_SI_SJ_SK_E_clISD_PjSD_S10_EESH_SX_SI_SJ_SK_EUlSX_E0_NS1_11comp_targetILNS1_3genE10ELNS1_11target_archE1201ELNS1_3gpuE5ELNS1_3repE0EEENS1_38merge_mergepath_config_static_selectorELNS0_4arch9wavefront6targetE1EEEvSJ_
                                        ; -- End function
	.set _ZN7rocprim17ROCPRIM_400000_NS6detail17trampoline_kernelINS0_14default_configENS1_38merge_sort_block_merge_config_selectorIjjEEZZNS1_27merge_sort_block_merge_implIS3_N6thrust23THRUST_200600_302600_NS6detail15normal_iteratorINS8_10device_ptrIjEEEESD_jNS1_19radix_merge_compareILb0ELb1EjNS0_19identity_decomposerEEEEE10hipError_tT0_T1_T2_jT3_P12ihipStream_tbPNSt15iterator_traitsISI_E10value_typeEPNSO_ISJ_E10value_typeEPSK_NS1_7vsmem_tEENKUlT_SI_SJ_SK_E_clISD_PjSD_S10_EESH_SX_SI_SJ_SK_EUlSX_E0_NS1_11comp_targetILNS1_3genE10ELNS1_11target_archE1201ELNS1_3gpuE5ELNS1_3repE0EEENS1_38merge_mergepath_config_static_selectorELNS0_4arch9wavefront6targetE1EEEvSJ_.num_vgpr, 0
	.set _ZN7rocprim17ROCPRIM_400000_NS6detail17trampoline_kernelINS0_14default_configENS1_38merge_sort_block_merge_config_selectorIjjEEZZNS1_27merge_sort_block_merge_implIS3_N6thrust23THRUST_200600_302600_NS6detail15normal_iteratorINS8_10device_ptrIjEEEESD_jNS1_19radix_merge_compareILb0ELb1EjNS0_19identity_decomposerEEEEE10hipError_tT0_T1_T2_jT3_P12ihipStream_tbPNSt15iterator_traitsISI_E10value_typeEPNSO_ISJ_E10value_typeEPSK_NS1_7vsmem_tEENKUlT_SI_SJ_SK_E_clISD_PjSD_S10_EESH_SX_SI_SJ_SK_EUlSX_E0_NS1_11comp_targetILNS1_3genE10ELNS1_11target_archE1201ELNS1_3gpuE5ELNS1_3repE0EEENS1_38merge_mergepath_config_static_selectorELNS0_4arch9wavefront6targetE1EEEvSJ_.num_agpr, 0
	.set _ZN7rocprim17ROCPRIM_400000_NS6detail17trampoline_kernelINS0_14default_configENS1_38merge_sort_block_merge_config_selectorIjjEEZZNS1_27merge_sort_block_merge_implIS3_N6thrust23THRUST_200600_302600_NS6detail15normal_iteratorINS8_10device_ptrIjEEEESD_jNS1_19radix_merge_compareILb0ELb1EjNS0_19identity_decomposerEEEEE10hipError_tT0_T1_T2_jT3_P12ihipStream_tbPNSt15iterator_traitsISI_E10value_typeEPNSO_ISJ_E10value_typeEPSK_NS1_7vsmem_tEENKUlT_SI_SJ_SK_E_clISD_PjSD_S10_EESH_SX_SI_SJ_SK_EUlSX_E0_NS1_11comp_targetILNS1_3genE10ELNS1_11target_archE1201ELNS1_3gpuE5ELNS1_3repE0EEENS1_38merge_mergepath_config_static_selectorELNS0_4arch9wavefront6targetE1EEEvSJ_.numbered_sgpr, 0
	.set _ZN7rocprim17ROCPRIM_400000_NS6detail17trampoline_kernelINS0_14default_configENS1_38merge_sort_block_merge_config_selectorIjjEEZZNS1_27merge_sort_block_merge_implIS3_N6thrust23THRUST_200600_302600_NS6detail15normal_iteratorINS8_10device_ptrIjEEEESD_jNS1_19radix_merge_compareILb0ELb1EjNS0_19identity_decomposerEEEEE10hipError_tT0_T1_T2_jT3_P12ihipStream_tbPNSt15iterator_traitsISI_E10value_typeEPNSO_ISJ_E10value_typeEPSK_NS1_7vsmem_tEENKUlT_SI_SJ_SK_E_clISD_PjSD_S10_EESH_SX_SI_SJ_SK_EUlSX_E0_NS1_11comp_targetILNS1_3genE10ELNS1_11target_archE1201ELNS1_3gpuE5ELNS1_3repE0EEENS1_38merge_mergepath_config_static_selectorELNS0_4arch9wavefront6targetE1EEEvSJ_.num_named_barrier, 0
	.set _ZN7rocprim17ROCPRIM_400000_NS6detail17trampoline_kernelINS0_14default_configENS1_38merge_sort_block_merge_config_selectorIjjEEZZNS1_27merge_sort_block_merge_implIS3_N6thrust23THRUST_200600_302600_NS6detail15normal_iteratorINS8_10device_ptrIjEEEESD_jNS1_19radix_merge_compareILb0ELb1EjNS0_19identity_decomposerEEEEE10hipError_tT0_T1_T2_jT3_P12ihipStream_tbPNSt15iterator_traitsISI_E10value_typeEPNSO_ISJ_E10value_typeEPSK_NS1_7vsmem_tEENKUlT_SI_SJ_SK_E_clISD_PjSD_S10_EESH_SX_SI_SJ_SK_EUlSX_E0_NS1_11comp_targetILNS1_3genE10ELNS1_11target_archE1201ELNS1_3gpuE5ELNS1_3repE0EEENS1_38merge_mergepath_config_static_selectorELNS0_4arch9wavefront6targetE1EEEvSJ_.private_seg_size, 0
	.set _ZN7rocprim17ROCPRIM_400000_NS6detail17trampoline_kernelINS0_14default_configENS1_38merge_sort_block_merge_config_selectorIjjEEZZNS1_27merge_sort_block_merge_implIS3_N6thrust23THRUST_200600_302600_NS6detail15normal_iteratorINS8_10device_ptrIjEEEESD_jNS1_19radix_merge_compareILb0ELb1EjNS0_19identity_decomposerEEEEE10hipError_tT0_T1_T2_jT3_P12ihipStream_tbPNSt15iterator_traitsISI_E10value_typeEPNSO_ISJ_E10value_typeEPSK_NS1_7vsmem_tEENKUlT_SI_SJ_SK_E_clISD_PjSD_S10_EESH_SX_SI_SJ_SK_EUlSX_E0_NS1_11comp_targetILNS1_3genE10ELNS1_11target_archE1201ELNS1_3gpuE5ELNS1_3repE0EEENS1_38merge_mergepath_config_static_selectorELNS0_4arch9wavefront6targetE1EEEvSJ_.uses_vcc, 0
	.set _ZN7rocprim17ROCPRIM_400000_NS6detail17trampoline_kernelINS0_14default_configENS1_38merge_sort_block_merge_config_selectorIjjEEZZNS1_27merge_sort_block_merge_implIS3_N6thrust23THRUST_200600_302600_NS6detail15normal_iteratorINS8_10device_ptrIjEEEESD_jNS1_19radix_merge_compareILb0ELb1EjNS0_19identity_decomposerEEEEE10hipError_tT0_T1_T2_jT3_P12ihipStream_tbPNSt15iterator_traitsISI_E10value_typeEPNSO_ISJ_E10value_typeEPSK_NS1_7vsmem_tEENKUlT_SI_SJ_SK_E_clISD_PjSD_S10_EESH_SX_SI_SJ_SK_EUlSX_E0_NS1_11comp_targetILNS1_3genE10ELNS1_11target_archE1201ELNS1_3gpuE5ELNS1_3repE0EEENS1_38merge_mergepath_config_static_selectorELNS0_4arch9wavefront6targetE1EEEvSJ_.uses_flat_scratch, 0
	.set _ZN7rocprim17ROCPRIM_400000_NS6detail17trampoline_kernelINS0_14default_configENS1_38merge_sort_block_merge_config_selectorIjjEEZZNS1_27merge_sort_block_merge_implIS3_N6thrust23THRUST_200600_302600_NS6detail15normal_iteratorINS8_10device_ptrIjEEEESD_jNS1_19radix_merge_compareILb0ELb1EjNS0_19identity_decomposerEEEEE10hipError_tT0_T1_T2_jT3_P12ihipStream_tbPNSt15iterator_traitsISI_E10value_typeEPNSO_ISJ_E10value_typeEPSK_NS1_7vsmem_tEENKUlT_SI_SJ_SK_E_clISD_PjSD_S10_EESH_SX_SI_SJ_SK_EUlSX_E0_NS1_11comp_targetILNS1_3genE10ELNS1_11target_archE1201ELNS1_3gpuE5ELNS1_3repE0EEENS1_38merge_mergepath_config_static_selectorELNS0_4arch9wavefront6targetE1EEEvSJ_.has_dyn_sized_stack, 0
	.set _ZN7rocprim17ROCPRIM_400000_NS6detail17trampoline_kernelINS0_14default_configENS1_38merge_sort_block_merge_config_selectorIjjEEZZNS1_27merge_sort_block_merge_implIS3_N6thrust23THRUST_200600_302600_NS6detail15normal_iteratorINS8_10device_ptrIjEEEESD_jNS1_19radix_merge_compareILb0ELb1EjNS0_19identity_decomposerEEEEE10hipError_tT0_T1_T2_jT3_P12ihipStream_tbPNSt15iterator_traitsISI_E10value_typeEPNSO_ISJ_E10value_typeEPSK_NS1_7vsmem_tEENKUlT_SI_SJ_SK_E_clISD_PjSD_S10_EESH_SX_SI_SJ_SK_EUlSX_E0_NS1_11comp_targetILNS1_3genE10ELNS1_11target_archE1201ELNS1_3gpuE5ELNS1_3repE0EEENS1_38merge_mergepath_config_static_selectorELNS0_4arch9wavefront6targetE1EEEvSJ_.has_recursion, 0
	.set _ZN7rocprim17ROCPRIM_400000_NS6detail17trampoline_kernelINS0_14default_configENS1_38merge_sort_block_merge_config_selectorIjjEEZZNS1_27merge_sort_block_merge_implIS3_N6thrust23THRUST_200600_302600_NS6detail15normal_iteratorINS8_10device_ptrIjEEEESD_jNS1_19radix_merge_compareILb0ELb1EjNS0_19identity_decomposerEEEEE10hipError_tT0_T1_T2_jT3_P12ihipStream_tbPNSt15iterator_traitsISI_E10value_typeEPNSO_ISJ_E10value_typeEPSK_NS1_7vsmem_tEENKUlT_SI_SJ_SK_E_clISD_PjSD_S10_EESH_SX_SI_SJ_SK_EUlSX_E0_NS1_11comp_targetILNS1_3genE10ELNS1_11target_archE1201ELNS1_3gpuE5ELNS1_3repE0EEENS1_38merge_mergepath_config_static_selectorELNS0_4arch9wavefront6targetE1EEEvSJ_.has_indirect_call, 0
	.section	.AMDGPU.csdata,"",@progbits
; Kernel info:
; codeLenInByte = 0
; TotalNumSgprs: 6
; NumVgprs: 0
; NumAgprs: 0
; TotalNumVgprs: 0
; ScratchSize: 0
; MemoryBound: 0
; FloatMode: 240
; IeeeMode: 1
; LDSByteSize: 0 bytes/workgroup (compile time only)
; SGPRBlocks: 0
; VGPRBlocks: 0
; NumSGPRsForWavesPerEU: 6
; NumVGPRsForWavesPerEU: 1
; AccumOffset: 4
; Occupancy: 8
; WaveLimiterHint : 0
; COMPUTE_PGM_RSRC2:SCRATCH_EN: 0
; COMPUTE_PGM_RSRC2:USER_SGPR: 2
; COMPUTE_PGM_RSRC2:TRAP_HANDLER: 0
; COMPUTE_PGM_RSRC2:TGID_X_EN: 1
; COMPUTE_PGM_RSRC2:TGID_Y_EN: 0
; COMPUTE_PGM_RSRC2:TGID_Z_EN: 0
; COMPUTE_PGM_RSRC2:TIDIG_COMP_CNT: 0
; COMPUTE_PGM_RSRC3_GFX90A:ACCUM_OFFSET: 0
; COMPUTE_PGM_RSRC3_GFX90A:TG_SPLIT: 0
	.section	.text._ZN7rocprim17ROCPRIM_400000_NS6detail17trampoline_kernelINS0_14default_configENS1_38merge_sort_block_merge_config_selectorIjjEEZZNS1_27merge_sort_block_merge_implIS3_N6thrust23THRUST_200600_302600_NS6detail15normal_iteratorINS8_10device_ptrIjEEEESD_jNS1_19radix_merge_compareILb0ELb1EjNS0_19identity_decomposerEEEEE10hipError_tT0_T1_T2_jT3_P12ihipStream_tbPNSt15iterator_traitsISI_E10value_typeEPNSO_ISJ_E10value_typeEPSK_NS1_7vsmem_tEENKUlT_SI_SJ_SK_E_clISD_PjSD_S10_EESH_SX_SI_SJ_SK_EUlSX_E0_NS1_11comp_targetILNS1_3genE5ELNS1_11target_archE942ELNS1_3gpuE9ELNS1_3repE0EEENS1_38merge_mergepath_config_static_selectorELNS0_4arch9wavefront6targetE1EEEvSJ_,"axG",@progbits,_ZN7rocprim17ROCPRIM_400000_NS6detail17trampoline_kernelINS0_14default_configENS1_38merge_sort_block_merge_config_selectorIjjEEZZNS1_27merge_sort_block_merge_implIS3_N6thrust23THRUST_200600_302600_NS6detail15normal_iteratorINS8_10device_ptrIjEEEESD_jNS1_19radix_merge_compareILb0ELb1EjNS0_19identity_decomposerEEEEE10hipError_tT0_T1_T2_jT3_P12ihipStream_tbPNSt15iterator_traitsISI_E10value_typeEPNSO_ISJ_E10value_typeEPSK_NS1_7vsmem_tEENKUlT_SI_SJ_SK_E_clISD_PjSD_S10_EESH_SX_SI_SJ_SK_EUlSX_E0_NS1_11comp_targetILNS1_3genE5ELNS1_11target_archE942ELNS1_3gpuE9ELNS1_3repE0EEENS1_38merge_mergepath_config_static_selectorELNS0_4arch9wavefront6targetE1EEEvSJ_,comdat
	.protected	_ZN7rocprim17ROCPRIM_400000_NS6detail17trampoline_kernelINS0_14default_configENS1_38merge_sort_block_merge_config_selectorIjjEEZZNS1_27merge_sort_block_merge_implIS3_N6thrust23THRUST_200600_302600_NS6detail15normal_iteratorINS8_10device_ptrIjEEEESD_jNS1_19radix_merge_compareILb0ELb1EjNS0_19identity_decomposerEEEEE10hipError_tT0_T1_T2_jT3_P12ihipStream_tbPNSt15iterator_traitsISI_E10value_typeEPNSO_ISJ_E10value_typeEPSK_NS1_7vsmem_tEENKUlT_SI_SJ_SK_E_clISD_PjSD_S10_EESH_SX_SI_SJ_SK_EUlSX_E0_NS1_11comp_targetILNS1_3genE5ELNS1_11target_archE942ELNS1_3gpuE9ELNS1_3repE0EEENS1_38merge_mergepath_config_static_selectorELNS0_4arch9wavefront6targetE1EEEvSJ_ ; -- Begin function _ZN7rocprim17ROCPRIM_400000_NS6detail17trampoline_kernelINS0_14default_configENS1_38merge_sort_block_merge_config_selectorIjjEEZZNS1_27merge_sort_block_merge_implIS3_N6thrust23THRUST_200600_302600_NS6detail15normal_iteratorINS8_10device_ptrIjEEEESD_jNS1_19radix_merge_compareILb0ELb1EjNS0_19identity_decomposerEEEEE10hipError_tT0_T1_T2_jT3_P12ihipStream_tbPNSt15iterator_traitsISI_E10value_typeEPNSO_ISJ_E10value_typeEPSK_NS1_7vsmem_tEENKUlT_SI_SJ_SK_E_clISD_PjSD_S10_EESH_SX_SI_SJ_SK_EUlSX_E0_NS1_11comp_targetILNS1_3genE5ELNS1_11target_archE942ELNS1_3gpuE9ELNS1_3repE0EEENS1_38merge_mergepath_config_static_selectorELNS0_4arch9wavefront6targetE1EEEvSJ_
	.globl	_ZN7rocprim17ROCPRIM_400000_NS6detail17trampoline_kernelINS0_14default_configENS1_38merge_sort_block_merge_config_selectorIjjEEZZNS1_27merge_sort_block_merge_implIS3_N6thrust23THRUST_200600_302600_NS6detail15normal_iteratorINS8_10device_ptrIjEEEESD_jNS1_19radix_merge_compareILb0ELb1EjNS0_19identity_decomposerEEEEE10hipError_tT0_T1_T2_jT3_P12ihipStream_tbPNSt15iterator_traitsISI_E10value_typeEPNSO_ISJ_E10value_typeEPSK_NS1_7vsmem_tEENKUlT_SI_SJ_SK_E_clISD_PjSD_S10_EESH_SX_SI_SJ_SK_EUlSX_E0_NS1_11comp_targetILNS1_3genE5ELNS1_11target_archE942ELNS1_3gpuE9ELNS1_3repE0EEENS1_38merge_mergepath_config_static_selectorELNS0_4arch9wavefront6targetE1EEEvSJ_
	.p2align	8
	.type	_ZN7rocprim17ROCPRIM_400000_NS6detail17trampoline_kernelINS0_14default_configENS1_38merge_sort_block_merge_config_selectorIjjEEZZNS1_27merge_sort_block_merge_implIS3_N6thrust23THRUST_200600_302600_NS6detail15normal_iteratorINS8_10device_ptrIjEEEESD_jNS1_19radix_merge_compareILb0ELb1EjNS0_19identity_decomposerEEEEE10hipError_tT0_T1_T2_jT3_P12ihipStream_tbPNSt15iterator_traitsISI_E10value_typeEPNSO_ISJ_E10value_typeEPSK_NS1_7vsmem_tEENKUlT_SI_SJ_SK_E_clISD_PjSD_S10_EESH_SX_SI_SJ_SK_EUlSX_E0_NS1_11comp_targetILNS1_3genE5ELNS1_11target_archE942ELNS1_3gpuE9ELNS1_3repE0EEENS1_38merge_mergepath_config_static_selectorELNS0_4arch9wavefront6targetE1EEEvSJ_,@function
_ZN7rocprim17ROCPRIM_400000_NS6detail17trampoline_kernelINS0_14default_configENS1_38merge_sort_block_merge_config_selectorIjjEEZZNS1_27merge_sort_block_merge_implIS3_N6thrust23THRUST_200600_302600_NS6detail15normal_iteratorINS8_10device_ptrIjEEEESD_jNS1_19radix_merge_compareILb0ELb1EjNS0_19identity_decomposerEEEEE10hipError_tT0_T1_T2_jT3_P12ihipStream_tbPNSt15iterator_traitsISI_E10value_typeEPNSO_ISJ_E10value_typeEPSK_NS1_7vsmem_tEENKUlT_SI_SJ_SK_E_clISD_PjSD_S10_EESH_SX_SI_SJ_SK_EUlSX_E0_NS1_11comp_targetILNS1_3genE5ELNS1_11target_archE942ELNS1_3gpuE9ELNS1_3repE0EEENS1_38merge_mergepath_config_static_selectorELNS0_4arch9wavefront6targetE1EEEvSJ_: ; @_ZN7rocprim17ROCPRIM_400000_NS6detail17trampoline_kernelINS0_14default_configENS1_38merge_sort_block_merge_config_selectorIjjEEZZNS1_27merge_sort_block_merge_implIS3_N6thrust23THRUST_200600_302600_NS6detail15normal_iteratorINS8_10device_ptrIjEEEESD_jNS1_19radix_merge_compareILb0ELb1EjNS0_19identity_decomposerEEEEE10hipError_tT0_T1_T2_jT3_P12ihipStream_tbPNSt15iterator_traitsISI_E10value_typeEPNSO_ISJ_E10value_typeEPSK_NS1_7vsmem_tEENKUlT_SI_SJ_SK_E_clISD_PjSD_S10_EESH_SX_SI_SJ_SK_EUlSX_E0_NS1_11comp_targetILNS1_3genE5ELNS1_11target_archE942ELNS1_3gpuE9ELNS1_3repE0EEENS1_38merge_mergepath_config_static_selectorELNS0_4arch9wavefront6targetE1EEEvSJ_
; %bb.0:
	.section	.rodata,"a",@progbits
	.p2align	6, 0x0
	.amdhsa_kernel _ZN7rocprim17ROCPRIM_400000_NS6detail17trampoline_kernelINS0_14default_configENS1_38merge_sort_block_merge_config_selectorIjjEEZZNS1_27merge_sort_block_merge_implIS3_N6thrust23THRUST_200600_302600_NS6detail15normal_iteratorINS8_10device_ptrIjEEEESD_jNS1_19radix_merge_compareILb0ELb1EjNS0_19identity_decomposerEEEEE10hipError_tT0_T1_T2_jT3_P12ihipStream_tbPNSt15iterator_traitsISI_E10value_typeEPNSO_ISJ_E10value_typeEPSK_NS1_7vsmem_tEENKUlT_SI_SJ_SK_E_clISD_PjSD_S10_EESH_SX_SI_SJ_SK_EUlSX_E0_NS1_11comp_targetILNS1_3genE5ELNS1_11target_archE942ELNS1_3gpuE9ELNS1_3repE0EEENS1_38merge_mergepath_config_static_selectorELNS0_4arch9wavefront6targetE1EEEvSJ_
		.amdhsa_group_segment_fixed_size 0
		.amdhsa_private_segment_fixed_size 0
		.amdhsa_kernarg_size 64
		.amdhsa_user_sgpr_count 2
		.amdhsa_user_sgpr_dispatch_ptr 0
		.amdhsa_user_sgpr_queue_ptr 0
		.amdhsa_user_sgpr_kernarg_segment_ptr 1
		.amdhsa_user_sgpr_dispatch_id 0
		.amdhsa_user_sgpr_kernarg_preload_length 0
		.amdhsa_user_sgpr_kernarg_preload_offset 0
		.amdhsa_user_sgpr_private_segment_size 0
		.amdhsa_uses_dynamic_stack 0
		.amdhsa_enable_private_segment 0
		.amdhsa_system_sgpr_workgroup_id_x 1
		.amdhsa_system_sgpr_workgroup_id_y 0
		.amdhsa_system_sgpr_workgroup_id_z 0
		.amdhsa_system_sgpr_workgroup_info 0
		.amdhsa_system_vgpr_workitem_id 0
		.amdhsa_next_free_vgpr 1
		.amdhsa_next_free_sgpr 0
		.amdhsa_accum_offset 4
		.amdhsa_reserve_vcc 0
		.amdhsa_float_round_mode_32 0
		.amdhsa_float_round_mode_16_64 0
		.amdhsa_float_denorm_mode_32 3
		.amdhsa_float_denorm_mode_16_64 3
		.amdhsa_dx10_clamp 1
		.amdhsa_ieee_mode 1
		.amdhsa_fp16_overflow 0
		.amdhsa_tg_split 0
		.amdhsa_exception_fp_ieee_invalid_op 0
		.amdhsa_exception_fp_denorm_src 0
		.amdhsa_exception_fp_ieee_div_zero 0
		.amdhsa_exception_fp_ieee_overflow 0
		.amdhsa_exception_fp_ieee_underflow 0
		.amdhsa_exception_fp_ieee_inexact 0
		.amdhsa_exception_int_div_zero 0
	.end_amdhsa_kernel
	.section	.text._ZN7rocprim17ROCPRIM_400000_NS6detail17trampoline_kernelINS0_14default_configENS1_38merge_sort_block_merge_config_selectorIjjEEZZNS1_27merge_sort_block_merge_implIS3_N6thrust23THRUST_200600_302600_NS6detail15normal_iteratorINS8_10device_ptrIjEEEESD_jNS1_19radix_merge_compareILb0ELb1EjNS0_19identity_decomposerEEEEE10hipError_tT0_T1_T2_jT3_P12ihipStream_tbPNSt15iterator_traitsISI_E10value_typeEPNSO_ISJ_E10value_typeEPSK_NS1_7vsmem_tEENKUlT_SI_SJ_SK_E_clISD_PjSD_S10_EESH_SX_SI_SJ_SK_EUlSX_E0_NS1_11comp_targetILNS1_3genE5ELNS1_11target_archE942ELNS1_3gpuE9ELNS1_3repE0EEENS1_38merge_mergepath_config_static_selectorELNS0_4arch9wavefront6targetE1EEEvSJ_,"axG",@progbits,_ZN7rocprim17ROCPRIM_400000_NS6detail17trampoline_kernelINS0_14default_configENS1_38merge_sort_block_merge_config_selectorIjjEEZZNS1_27merge_sort_block_merge_implIS3_N6thrust23THRUST_200600_302600_NS6detail15normal_iteratorINS8_10device_ptrIjEEEESD_jNS1_19radix_merge_compareILb0ELb1EjNS0_19identity_decomposerEEEEE10hipError_tT0_T1_T2_jT3_P12ihipStream_tbPNSt15iterator_traitsISI_E10value_typeEPNSO_ISJ_E10value_typeEPSK_NS1_7vsmem_tEENKUlT_SI_SJ_SK_E_clISD_PjSD_S10_EESH_SX_SI_SJ_SK_EUlSX_E0_NS1_11comp_targetILNS1_3genE5ELNS1_11target_archE942ELNS1_3gpuE9ELNS1_3repE0EEENS1_38merge_mergepath_config_static_selectorELNS0_4arch9wavefront6targetE1EEEvSJ_,comdat
.Lfunc_end710:
	.size	_ZN7rocprim17ROCPRIM_400000_NS6detail17trampoline_kernelINS0_14default_configENS1_38merge_sort_block_merge_config_selectorIjjEEZZNS1_27merge_sort_block_merge_implIS3_N6thrust23THRUST_200600_302600_NS6detail15normal_iteratorINS8_10device_ptrIjEEEESD_jNS1_19radix_merge_compareILb0ELb1EjNS0_19identity_decomposerEEEEE10hipError_tT0_T1_T2_jT3_P12ihipStream_tbPNSt15iterator_traitsISI_E10value_typeEPNSO_ISJ_E10value_typeEPSK_NS1_7vsmem_tEENKUlT_SI_SJ_SK_E_clISD_PjSD_S10_EESH_SX_SI_SJ_SK_EUlSX_E0_NS1_11comp_targetILNS1_3genE5ELNS1_11target_archE942ELNS1_3gpuE9ELNS1_3repE0EEENS1_38merge_mergepath_config_static_selectorELNS0_4arch9wavefront6targetE1EEEvSJ_, .Lfunc_end710-_ZN7rocprim17ROCPRIM_400000_NS6detail17trampoline_kernelINS0_14default_configENS1_38merge_sort_block_merge_config_selectorIjjEEZZNS1_27merge_sort_block_merge_implIS3_N6thrust23THRUST_200600_302600_NS6detail15normal_iteratorINS8_10device_ptrIjEEEESD_jNS1_19radix_merge_compareILb0ELb1EjNS0_19identity_decomposerEEEEE10hipError_tT0_T1_T2_jT3_P12ihipStream_tbPNSt15iterator_traitsISI_E10value_typeEPNSO_ISJ_E10value_typeEPSK_NS1_7vsmem_tEENKUlT_SI_SJ_SK_E_clISD_PjSD_S10_EESH_SX_SI_SJ_SK_EUlSX_E0_NS1_11comp_targetILNS1_3genE5ELNS1_11target_archE942ELNS1_3gpuE9ELNS1_3repE0EEENS1_38merge_mergepath_config_static_selectorELNS0_4arch9wavefront6targetE1EEEvSJ_
                                        ; -- End function
	.set _ZN7rocprim17ROCPRIM_400000_NS6detail17trampoline_kernelINS0_14default_configENS1_38merge_sort_block_merge_config_selectorIjjEEZZNS1_27merge_sort_block_merge_implIS3_N6thrust23THRUST_200600_302600_NS6detail15normal_iteratorINS8_10device_ptrIjEEEESD_jNS1_19radix_merge_compareILb0ELb1EjNS0_19identity_decomposerEEEEE10hipError_tT0_T1_T2_jT3_P12ihipStream_tbPNSt15iterator_traitsISI_E10value_typeEPNSO_ISJ_E10value_typeEPSK_NS1_7vsmem_tEENKUlT_SI_SJ_SK_E_clISD_PjSD_S10_EESH_SX_SI_SJ_SK_EUlSX_E0_NS1_11comp_targetILNS1_3genE5ELNS1_11target_archE942ELNS1_3gpuE9ELNS1_3repE0EEENS1_38merge_mergepath_config_static_selectorELNS0_4arch9wavefront6targetE1EEEvSJ_.num_vgpr, 0
	.set _ZN7rocprim17ROCPRIM_400000_NS6detail17trampoline_kernelINS0_14default_configENS1_38merge_sort_block_merge_config_selectorIjjEEZZNS1_27merge_sort_block_merge_implIS3_N6thrust23THRUST_200600_302600_NS6detail15normal_iteratorINS8_10device_ptrIjEEEESD_jNS1_19radix_merge_compareILb0ELb1EjNS0_19identity_decomposerEEEEE10hipError_tT0_T1_T2_jT3_P12ihipStream_tbPNSt15iterator_traitsISI_E10value_typeEPNSO_ISJ_E10value_typeEPSK_NS1_7vsmem_tEENKUlT_SI_SJ_SK_E_clISD_PjSD_S10_EESH_SX_SI_SJ_SK_EUlSX_E0_NS1_11comp_targetILNS1_3genE5ELNS1_11target_archE942ELNS1_3gpuE9ELNS1_3repE0EEENS1_38merge_mergepath_config_static_selectorELNS0_4arch9wavefront6targetE1EEEvSJ_.num_agpr, 0
	.set _ZN7rocprim17ROCPRIM_400000_NS6detail17trampoline_kernelINS0_14default_configENS1_38merge_sort_block_merge_config_selectorIjjEEZZNS1_27merge_sort_block_merge_implIS3_N6thrust23THRUST_200600_302600_NS6detail15normal_iteratorINS8_10device_ptrIjEEEESD_jNS1_19radix_merge_compareILb0ELb1EjNS0_19identity_decomposerEEEEE10hipError_tT0_T1_T2_jT3_P12ihipStream_tbPNSt15iterator_traitsISI_E10value_typeEPNSO_ISJ_E10value_typeEPSK_NS1_7vsmem_tEENKUlT_SI_SJ_SK_E_clISD_PjSD_S10_EESH_SX_SI_SJ_SK_EUlSX_E0_NS1_11comp_targetILNS1_3genE5ELNS1_11target_archE942ELNS1_3gpuE9ELNS1_3repE0EEENS1_38merge_mergepath_config_static_selectorELNS0_4arch9wavefront6targetE1EEEvSJ_.numbered_sgpr, 0
	.set _ZN7rocprim17ROCPRIM_400000_NS6detail17trampoline_kernelINS0_14default_configENS1_38merge_sort_block_merge_config_selectorIjjEEZZNS1_27merge_sort_block_merge_implIS3_N6thrust23THRUST_200600_302600_NS6detail15normal_iteratorINS8_10device_ptrIjEEEESD_jNS1_19radix_merge_compareILb0ELb1EjNS0_19identity_decomposerEEEEE10hipError_tT0_T1_T2_jT3_P12ihipStream_tbPNSt15iterator_traitsISI_E10value_typeEPNSO_ISJ_E10value_typeEPSK_NS1_7vsmem_tEENKUlT_SI_SJ_SK_E_clISD_PjSD_S10_EESH_SX_SI_SJ_SK_EUlSX_E0_NS1_11comp_targetILNS1_3genE5ELNS1_11target_archE942ELNS1_3gpuE9ELNS1_3repE0EEENS1_38merge_mergepath_config_static_selectorELNS0_4arch9wavefront6targetE1EEEvSJ_.num_named_barrier, 0
	.set _ZN7rocprim17ROCPRIM_400000_NS6detail17trampoline_kernelINS0_14default_configENS1_38merge_sort_block_merge_config_selectorIjjEEZZNS1_27merge_sort_block_merge_implIS3_N6thrust23THRUST_200600_302600_NS6detail15normal_iteratorINS8_10device_ptrIjEEEESD_jNS1_19radix_merge_compareILb0ELb1EjNS0_19identity_decomposerEEEEE10hipError_tT0_T1_T2_jT3_P12ihipStream_tbPNSt15iterator_traitsISI_E10value_typeEPNSO_ISJ_E10value_typeEPSK_NS1_7vsmem_tEENKUlT_SI_SJ_SK_E_clISD_PjSD_S10_EESH_SX_SI_SJ_SK_EUlSX_E0_NS1_11comp_targetILNS1_3genE5ELNS1_11target_archE942ELNS1_3gpuE9ELNS1_3repE0EEENS1_38merge_mergepath_config_static_selectorELNS0_4arch9wavefront6targetE1EEEvSJ_.private_seg_size, 0
	.set _ZN7rocprim17ROCPRIM_400000_NS6detail17trampoline_kernelINS0_14default_configENS1_38merge_sort_block_merge_config_selectorIjjEEZZNS1_27merge_sort_block_merge_implIS3_N6thrust23THRUST_200600_302600_NS6detail15normal_iteratorINS8_10device_ptrIjEEEESD_jNS1_19radix_merge_compareILb0ELb1EjNS0_19identity_decomposerEEEEE10hipError_tT0_T1_T2_jT3_P12ihipStream_tbPNSt15iterator_traitsISI_E10value_typeEPNSO_ISJ_E10value_typeEPSK_NS1_7vsmem_tEENKUlT_SI_SJ_SK_E_clISD_PjSD_S10_EESH_SX_SI_SJ_SK_EUlSX_E0_NS1_11comp_targetILNS1_3genE5ELNS1_11target_archE942ELNS1_3gpuE9ELNS1_3repE0EEENS1_38merge_mergepath_config_static_selectorELNS0_4arch9wavefront6targetE1EEEvSJ_.uses_vcc, 0
	.set _ZN7rocprim17ROCPRIM_400000_NS6detail17trampoline_kernelINS0_14default_configENS1_38merge_sort_block_merge_config_selectorIjjEEZZNS1_27merge_sort_block_merge_implIS3_N6thrust23THRUST_200600_302600_NS6detail15normal_iteratorINS8_10device_ptrIjEEEESD_jNS1_19radix_merge_compareILb0ELb1EjNS0_19identity_decomposerEEEEE10hipError_tT0_T1_T2_jT3_P12ihipStream_tbPNSt15iterator_traitsISI_E10value_typeEPNSO_ISJ_E10value_typeEPSK_NS1_7vsmem_tEENKUlT_SI_SJ_SK_E_clISD_PjSD_S10_EESH_SX_SI_SJ_SK_EUlSX_E0_NS1_11comp_targetILNS1_3genE5ELNS1_11target_archE942ELNS1_3gpuE9ELNS1_3repE0EEENS1_38merge_mergepath_config_static_selectorELNS0_4arch9wavefront6targetE1EEEvSJ_.uses_flat_scratch, 0
	.set _ZN7rocprim17ROCPRIM_400000_NS6detail17trampoline_kernelINS0_14default_configENS1_38merge_sort_block_merge_config_selectorIjjEEZZNS1_27merge_sort_block_merge_implIS3_N6thrust23THRUST_200600_302600_NS6detail15normal_iteratorINS8_10device_ptrIjEEEESD_jNS1_19radix_merge_compareILb0ELb1EjNS0_19identity_decomposerEEEEE10hipError_tT0_T1_T2_jT3_P12ihipStream_tbPNSt15iterator_traitsISI_E10value_typeEPNSO_ISJ_E10value_typeEPSK_NS1_7vsmem_tEENKUlT_SI_SJ_SK_E_clISD_PjSD_S10_EESH_SX_SI_SJ_SK_EUlSX_E0_NS1_11comp_targetILNS1_3genE5ELNS1_11target_archE942ELNS1_3gpuE9ELNS1_3repE0EEENS1_38merge_mergepath_config_static_selectorELNS0_4arch9wavefront6targetE1EEEvSJ_.has_dyn_sized_stack, 0
	.set _ZN7rocprim17ROCPRIM_400000_NS6detail17trampoline_kernelINS0_14default_configENS1_38merge_sort_block_merge_config_selectorIjjEEZZNS1_27merge_sort_block_merge_implIS3_N6thrust23THRUST_200600_302600_NS6detail15normal_iteratorINS8_10device_ptrIjEEEESD_jNS1_19radix_merge_compareILb0ELb1EjNS0_19identity_decomposerEEEEE10hipError_tT0_T1_T2_jT3_P12ihipStream_tbPNSt15iterator_traitsISI_E10value_typeEPNSO_ISJ_E10value_typeEPSK_NS1_7vsmem_tEENKUlT_SI_SJ_SK_E_clISD_PjSD_S10_EESH_SX_SI_SJ_SK_EUlSX_E0_NS1_11comp_targetILNS1_3genE5ELNS1_11target_archE942ELNS1_3gpuE9ELNS1_3repE0EEENS1_38merge_mergepath_config_static_selectorELNS0_4arch9wavefront6targetE1EEEvSJ_.has_recursion, 0
	.set _ZN7rocprim17ROCPRIM_400000_NS6detail17trampoline_kernelINS0_14default_configENS1_38merge_sort_block_merge_config_selectorIjjEEZZNS1_27merge_sort_block_merge_implIS3_N6thrust23THRUST_200600_302600_NS6detail15normal_iteratorINS8_10device_ptrIjEEEESD_jNS1_19radix_merge_compareILb0ELb1EjNS0_19identity_decomposerEEEEE10hipError_tT0_T1_T2_jT3_P12ihipStream_tbPNSt15iterator_traitsISI_E10value_typeEPNSO_ISJ_E10value_typeEPSK_NS1_7vsmem_tEENKUlT_SI_SJ_SK_E_clISD_PjSD_S10_EESH_SX_SI_SJ_SK_EUlSX_E0_NS1_11comp_targetILNS1_3genE5ELNS1_11target_archE942ELNS1_3gpuE9ELNS1_3repE0EEENS1_38merge_mergepath_config_static_selectorELNS0_4arch9wavefront6targetE1EEEvSJ_.has_indirect_call, 0
	.section	.AMDGPU.csdata,"",@progbits
; Kernel info:
; codeLenInByte = 0
; TotalNumSgprs: 6
; NumVgprs: 0
; NumAgprs: 0
; TotalNumVgprs: 0
; ScratchSize: 0
; MemoryBound: 0
; FloatMode: 240
; IeeeMode: 1
; LDSByteSize: 0 bytes/workgroup (compile time only)
; SGPRBlocks: 0
; VGPRBlocks: 0
; NumSGPRsForWavesPerEU: 6
; NumVGPRsForWavesPerEU: 1
; AccumOffset: 4
; Occupancy: 8
; WaveLimiterHint : 0
; COMPUTE_PGM_RSRC2:SCRATCH_EN: 0
; COMPUTE_PGM_RSRC2:USER_SGPR: 2
; COMPUTE_PGM_RSRC2:TRAP_HANDLER: 0
; COMPUTE_PGM_RSRC2:TGID_X_EN: 1
; COMPUTE_PGM_RSRC2:TGID_Y_EN: 0
; COMPUTE_PGM_RSRC2:TGID_Z_EN: 0
; COMPUTE_PGM_RSRC2:TIDIG_COMP_CNT: 0
; COMPUTE_PGM_RSRC3_GFX90A:ACCUM_OFFSET: 0
; COMPUTE_PGM_RSRC3_GFX90A:TG_SPLIT: 0
	.section	.text._ZN7rocprim17ROCPRIM_400000_NS6detail17trampoline_kernelINS0_14default_configENS1_38merge_sort_block_merge_config_selectorIjjEEZZNS1_27merge_sort_block_merge_implIS3_N6thrust23THRUST_200600_302600_NS6detail15normal_iteratorINS8_10device_ptrIjEEEESD_jNS1_19radix_merge_compareILb0ELb1EjNS0_19identity_decomposerEEEEE10hipError_tT0_T1_T2_jT3_P12ihipStream_tbPNSt15iterator_traitsISI_E10value_typeEPNSO_ISJ_E10value_typeEPSK_NS1_7vsmem_tEENKUlT_SI_SJ_SK_E_clISD_PjSD_S10_EESH_SX_SI_SJ_SK_EUlSX_E0_NS1_11comp_targetILNS1_3genE4ELNS1_11target_archE910ELNS1_3gpuE8ELNS1_3repE0EEENS1_38merge_mergepath_config_static_selectorELNS0_4arch9wavefront6targetE1EEEvSJ_,"axG",@progbits,_ZN7rocprim17ROCPRIM_400000_NS6detail17trampoline_kernelINS0_14default_configENS1_38merge_sort_block_merge_config_selectorIjjEEZZNS1_27merge_sort_block_merge_implIS3_N6thrust23THRUST_200600_302600_NS6detail15normal_iteratorINS8_10device_ptrIjEEEESD_jNS1_19radix_merge_compareILb0ELb1EjNS0_19identity_decomposerEEEEE10hipError_tT0_T1_T2_jT3_P12ihipStream_tbPNSt15iterator_traitsISI_E10value_typeEPNSO_ISJ_E10value_typeEPSK_NS1_7vsmem_tEENKUlT_SI_SJ_SK_E_clISD_PjSD_S10_EESH_SX_SI_SJ_SK_EUlSX_E0_NS1_11comp_targetILNS1_3genE4ELNS1_11target_archE910ELNS1_3gpuE8ELNS1_3repE0EEENS1_38merge_mergepath_config_static_selectorELNS0_4arch9wavefront6targetE1EEEvSJ_,comdat
	.protected	_ZN7rocprim17ROCPRIM_400000_NS6detail17trampoline_kernelINS0_14default_configENS1_38merge_sort_block_merge_config_selectorIjjEEZZNS1_27merge_sort_block_merge_implIS3_N6thrust23THRUST_200600_302600_NS6detail15normal_iteratorINS8_10device_ptrIjEEEESD_jNS1_19radix_merge_compareILb0ELb1EjNS0_19identity_decomposerEEEEE10hipError_tT0_T1_T2_jT3_P12ihipStream_tbPNSt15iterator_traitsISI_E10value_typeEPNSO_ISJ_E10value_typeEPSK_NS1_7vsmem_tEENKUlT_SI_SJ_SK_E_clISD_PjSD_S10_EESH_SX_SI_SJ_SK_EUlSX_E0_NS1_11comp_targetILNS1_3genE4ELNS1_11target_archE910ELNS1_3gpuE8ELNS1_3repE0EEENS1_38merge_mergepath_config_static_selectorELNS0_4arch9wavefront6targetE1EEEvSJ_ ; -- Begin function _ZN7rocprim17ROCPRIM_400000_NS6detail17trampoline_kernelINS0_14default_configENS1_38merge_sort_block_merge_config_selectorIjjEEZZNS1_27merge_sort_block_merge_implIS3_N6thrust23THRUST_200600_302600_NS6detail15normal_iteratorINS8_10device_ptrIjEEEESD_jNS1_19radix_merge_compareILb0ELb1EjNS0_19identity_decomposerEEEEE10hipError_tT0_T1_T2_jT3_P12ihipStream_tbPNSt15iterator_traitsISI_E10value_typeEPNSO_ISJ_E10value_typeEPSK_NS1_7vsmem_tEENKUlT_SI_SJ_SK_E_clISD_PjSD_S10_EESH_SX_SI_SJ_SK_EUlSX_E0_NS1_11comp_targetILNS1_3genE4ELNS1_11target_archE910ELNS1_3gpuE8ELNS1_3repE0EEENS1_38merge_mergepath_config_static_selectorELNS0_4arch9wavefront6targetE1EEEvSJ_
	.globl	_ZN7rocprim17ROCPRIM_400000_NS6detail17trampoline_kernelINS0_14default_configENS1_38merge_sort_block_merge_config_selectorIjjEEZZNS1_27merge_sort_block_merge_implIS3_N6thrust23THRUST_200600_302600_NS6detail15normal_iteratorINS8_10device_ptrIjEEEESD_jNS1_19radix_merge_compareILb0ELb1EjNS0_19identity_decomposerEEEEE10hipError_tT0_T1_T2_jT3_P12ihipStream_tbPNSt15iterator_traitsISI_E10value_typeEPNSO_ISJ_E10value_typeEPSK_NS1_7vsmem_tEENKUlT_SI_SJ_SK_E_clISD_PjSD_S10_EESH_SX_SI_SJ_SK_EUlSX_E0_NS1_11comp_targetILNS1_3genE4ELNS1_11target_archE910ELNS1_3gpuE8ELNS1_3repE0EEENS1_38merge_mergepath_config_static_selectorELNS0_4arch9wavefront6targetE1EEEvSJ_
	.p2align	8
	.type	_ZN7rocprim17ROCPRIM_400000_NS6detail17trampoline_kernelINS0_14default_configENS1_38merge_sort_block_merge_config_selectorIjjEEZZNS1_27merge_sort_block_merge_implIS3_N6thrust23THRUST_200600_302600_NS6detail15normal_iteratorINS8_10device_ptrIjEEEESD_jNS1_19radix_merge_compareILb0ELb1EjNS0_19identity_decomposerEEEEE10hipError_tT0_T1_T2_jT3_P12ihipStream_tbPNSt15iterator_traitsISI_E10value_typeEPNSO_ISJ_E10value_typeEPSK_NS1_7vsmem_tEENKUlT_SI_SJ_SK_E_clISD_PjSD_S10_EESH_SX_SI_SJ_SK_EUlSX_E0_NS1_11comp_targetILNS1_3genE4ELNS1_11target_archE910ELNS1_3gpuE8ELNS1_3repE0EEENS1_38merge_mergepath_config_static_selectorELNS0_4arch9wavefront6targetE1EEEvSJ_,@function
_ZN7rocprim17ROCPRIM_400000_NS6detail17trampoline_kernelINS0_14default_configENS1_38merge_sort_block_merge_config_selectorIjjEEZZNS1_27merge_sort_block_merge_implIS3_N6thrust23THRUST_200600_302600_NS6detail15normal_iteratorINS8_10device_ptrIjEEEESD_jNS1_19radix_merge_compareILb0ELb1EjNS0_19identity_decomposerEEEEE10hipError_tT0_T1_T2_jT3_P12ihipStream_tbPNSt15iterator_traitsISI_E10value_typeEPNSO_ISJ_E10value_typeEPSK_NS1_7vsmem_tEENKUlT_SI_SJ_SK_E_clISD_PjSD_S10_EESH_SX_SI_SJ_SK_EUlSX_E0_NS1_11comp_targetILNS1_3genE4ELNS1_11target_archE910ELNS1_3gpuE8ELNS1_3repE0EEENS1_38merge_mergepath_config_static_selectorELNS0_4arch9wavefront6targetE1EEEvSJ_: ; @_ZN7rocprim17ROCPRIM_400000_NS6detail17trampoline_kernelINS0_14default_configENS1_38merge_sort_block_merge_config_selectorIjjEEZZNS1_27merge_sort_block_merge_implIS3_N6thrust23THRUST_200600_302600_NS6detail15normal_iteratorINS8_10device_ptrIjEEEESD_jNS1_19radix_merge_compareILb0ELb1EjNS0_19identity_decomposerEEEEE10hipError_tT0_T1_T2_jT3_P12ihipStream_tbPNSt15iterator_traitsISI_E10value_typeEPNSO_ISJ_E10value_typeEPSK_NS1_7vsmem_tEENKUlT_SI_SJ_SK_E_clISD_PjSD_S10_EESH_SX_SI_SJ_SK_EUlSX_E0_NS1_11comp_targetILNS1_3genE4ELNS1_11target_archE910ELNS1_3gpuE8ELNS1_3repE0EEENS1_38merge_mergepath_config_static_selectorELNS0_4arch9wavefront6targetE1EEEvSJ_
; %bb.0:
	.section	.rodata,"a",@progbits
	.p2align	6, 0x0
	.amdhsa_kernel _ZN7rocprim17ROCPRIM_400000_NS6detail17trampoline_kernelINS0_14default_configENS1_38merge_sort_block_merge_config_selectorIjjEEZZNS1_27merge_sort_block_merge_implIS3_N6thrust23THRUST_200600_302600_NS6detail15normal_iteratorINS8_10device_ptrIjEEEESD_jNS1_19radix_merge_compareILb0ELb1EjNS0_19identity_decomposerEEEEE10hipError_tT0_T1_T2_jT3_P12ihipStream_tbPNSt15iterator_traitsISI_E10value_typeEPNSO_ISJ_E10value_typeEPSK_NS1_7vsmem_tEENKUlT_SI_SJ_SK_E_clISD_PjSD_S10_EESH_SX_SI_SJ_SK_EUlSX_E0_NS1_11comp_targetILNS1_3genE4ELNS1_11target_archE910ELNS1_3gpuE8ELNS1_3repE0EEENS1_38merge_mergepath_config_static_selectorELNS0_4arch9wavefront6targetE1EEEvSJ_
		.amdhsa_group_segment_fixed_size 0
		.amdhsa_private_segment_fixed_size 0
		.amdhsa_kernarg_size 64
		.amdhsa_user_sgpr_count 2
		.amdhsa_user_sgpr_dispatch_ptr 0
		.amdhsa_user_sgpr_queue_ptr 0
		.amdhsa_user_sgpr_kernarg_segment_ptr 1
		.amdhsa_user_sgpr_dispatch_id 0
		.amdhsa_user_sgpr_kernarg_preload_length 0
		.amdhsa_user_sgpr_kernarg_preload_offset 0
		.amdhsa_user_sgpr_private_segment_size 0
		.amdhsa_uses_dynamic_stack 0
		.amdhsa_enable_private_segment 0
		.amdhsa_system_sgpr_workgroup_id_x 1
		.amdhsa_system_sgpr_workgroup_id_y 0
		.amdhsa_system_sgpr_workgroup_id_z 0
		.amdhsa_system_sgpr_workgroup_info 0
		.amdhsa_system_vgpr_workitem_id 0
		.amdhsa_next_free_vgpr 1
		.amdhsa_next_free_sgpr 0
		.amdhsa_accum_offset 4
		.amdhsa_reserve_vcc 0
		.amdhsa_float_round_mode_32 0
		.amdhsa_float_round_mode_16_64 0
		.amdhsa_float_denorm_mode_32 3
		.amdhsa_float_denorm_mode_16_64 3
		.amdhsa_dx10_clamp 1
		.amdhsa_ieee_mode 1
		.amdhsa_fp16_overflow 0
		.amdhsa_tg_split 0
		.amdhsa_exception_fp_ieee_invalid_op 0
		.amdhsa_exception_fp_denorm_src 0
		.amdhsa_exception_fp_ieee_div_zero 0
		.amdhsa_exception_fp_ieee_overflow 0
		.amdhsa_exception_fp_ieee_underflow 0
		.amdhsa_exception_fp_ieee_inexact 0
		.amdhsa_exception_int_div_zero 0
	.end_amdhsa_kernel
	.section	.text._ZN7rocprim17ROCPRIM_400000_NS6detail17trampoline_kernelINS0_14default_configENS1_38merge_sort_block_merge_config_selectorIjjEEZZNS1_27merge_sort_block_merge_implIS3_N6thrust23THRUST_200600_302600_NS6detail15normal_iteratorINS8_10device_ptrIjEEEESD_jNS1_19radix_merge_compareILb0ELb1EjNS0_19identity_decomposerEEEEE10hipError_tT0_T1_T2_jT3_P12ihipStream_tbPNSt15iterator_traitsISI_E10value_typeEPNSO_ISJ_E10value_typeEPSK_NS1_7vsmem_tEENKUlT_SI_SJ_SK_E_clISD_PjSD_S10_EESH_SX_SI_SJ_SK_EUlSX_E0_NS1_11comp_targetILNS1_3genE4ELNS1_11target_archE910ELNS1_3gpuE8ELNS1_3repE0EEENS1_38merge_mergepath_config_static_selectorELNS0_4arch9wavefront6targetE1EEEvSJ_,"axG",@progbits,_ZN7rocprim17ROCPRIM_400000_NS6detail17trampoline_kernelINS0_14default_configENS1_38merge_sort_block_merge_config_selectorIjjEEZZNS1_27merge_sort_block_merge_implIS3_N6thrust23THRUST_200600_302600_NS6detail15normal_iteratorINS8_10device_ptrIjEEEESD_jNS1_19radix_merge_compareILb0ELb1EjNS0_19identity_decomposerEEEEE10hipError_tT0_T1_T2_jT3_P12ihipStream_tbPNSt15iterator_traitsISI_E10value_typeEPNSO_ISJ_E10value_typeEPSK_NS1_7vsmem_tEENKUlT_SI_SJ_SK_E_clISD_PjSD_S10_EESH_SX_SI_SJ_SK_EUlSX_E0_NS1_11comp_targetILNS1_3genE4ELNS1_11target_archE910ELNS1_3gpuE8ELNS1_3repE0EEENS1_38merge_mergepath_config_static_selectorELNS0_4arch9wavefront6targetE1EEEvSJ_,comdat
.Lfunc_end711:
	.size	_ZN7rocprim17ROCPRIM_400000_NS6detail17trampoline_kernelINS0_14default_configENS1_38merge_sort_block_merge_config_selectorIjjEEZZNS1_27merge_sort_block_merge_implIS3_N6thrust23THRUST_200600_302600_NS6detail15normal_iteratorINS8_10device_ptrIjEEEESD_jNS1_19radix_merge_compareILb0ELb1EjNS0_19identity_decomposerEEEEE10hipError_tT0_T1_T2_jT3_P12ihipStream_tbPNSt15iterator_traitsISI_E10value_typeEPNSO_ISJ_E10value_typeEPSK_NS1_7vsmem_tEENKUlT_SI_SJ_SK_E_clISD_PjSD_S10_EESH_SX_SI_SJ_SK_EUlSX_E0_NS1_11comp_targetILNS1_3genE4ELNS1_11target_archE910ELNS1_3gpuE8ELNS1_3repE0EEENS1_38merge_mergepath_config_static_selectorELNS0_4arch9wavefront6targetE1EEEvSJ_, .Lfunc_end711-_ZN7rocprim17ROCPRIM_400000_NS6detail17trampoline_kernelINS0_14default_configENS1_38merge_sort_block_merge_config_selectorIjjEEZZNS1_27merge_sort_block_merge_implIS3_N6thrust23THRUST_200600_302600_NS6detail15normal_iteratorINS8_10device_ptrIjEEEESD_jNS1_19radix_merge_compareILb0ELb1EjNS0_19identity_decomposerEEEEE10hipError_tT0_T1_T2_jT3_P12ihipStream_tbPNSt15iterator_traitsISI_E10value_typeEPNSO_ISJ_E10value_typeEPSK_NS1_7vsmem_tEENKUlT_SI_SJ_SK_E_clISD_PjSD_S10_EESH_SX_SI_SJ_SK_EUlSX_E0_NS1_11comp_targetILNS1_3genE4ELNS1_11target_archE910ELNS1_3gpuE8ELNS1_3repE0EEENS1_38merge_mergepath_config_static_selectorELNS0_4arch9wavefront6targetE1EEEvSJ_
                                        ; -- End function
	.set _ZN7rocprim17ROCPRIM_400000_NS6detail17trampoline_kernelINS0_14default_configENS1_38merge_sort_block_merge_config_selectorIjjEEZZNS1_27merge_sort_block_merge_implIS3_N6thrust23THRUST_200600_302600_NS6detail15normal_iteratorINS8_10device_ptrIjEEEESD_jNS1_19radix_merge_compareILb0ELb1EjNS0_19identity_decomposerEEEEE10hipError_tT0_T1_T2_jT3_P12ihipStream_tbPNSt15iterator_traitsISI_E10value_typeEPNSO_ISJ_E10value_typeEPSK_NS1_7vsmem_tEENKUlT_SI_SJ_SK_E_clISD_PjSD_S10_EESH_SX_SI_SJ_SK_EUlSX_E0_NS1_11comp_targetILNS1_3genE4ELNS1_11target_archE910ELNS1_3gpuE8ELNS1_3repE0EEENS1_38merge_mergepath_config_static_selectorELNS0_4arch9wavefront6targetE1EEEvSJ_.num_vgpr, 0
	.set _ZN7rocprim17ROCPRIM_400000_NS6detail17trampoline_kernelINS0_14default_configENS1_38merge_sort_block_merge_config_selectorIjjEEZZNS1_27merge_sort_block_merge_implIS3_N6thrust23THRUST_200600_302600_NS6detail15normal_iteratorINS8_10device_ptrIjEEEESD_jNS1_19radix_merge_compareILb0ELb1EjNS0_19identity_decomposerEEEEE10hipError_tT0_T1_T2_jT3_P12ihipStream_tbPNSt15iterator_traitsISI_E10value_typeEPNSO_ISJ_E10value_typeEPSK_NS1_7vsmem_tEENKUlT_SI_SJ_SK_E_clISD_PjSD_S10_EESH_SX_SI_SJ_SK_EUlSX_E0_NS1_11comp_targetILNS1_3genE4ELNS1_11target_archE910ELNS1_3gpuE8ELNS1_3repE0EEENS1_38merge_mergepath_config_static_selectorELNS0_4arch9wavefront6targetE1EEEvSJ_.num_agpr, 0
	.set _ZN7rocprim17ROCPRIM_400000_NS6detail17trampoline_kernelINS0_14default_configENS1_38merge_sort_block_merge_config_selectorIjjEEZZNS1_27merge_sort_block_merge_implIS3_N6thrust23THRUST_200600_302600_NS6detail15normal_iteratorINS8_10device_ptrIjEEEESD_jNS1_19radix_merge_compareILb0ELb1EjNS0_19identity_decomposerEEEEE10hipError_tT0_T1_T2_jT3_P12ihipStream_tbPNSt15iterator_traitsISI_E10value_typeEPNSO_ISJ_E10value_typeEPSK_NS1_7vsmem_tEENKUlT_SI_SJ_SK_E_clISD_PjSD_S10_EESH_SX_SI_SJ_SK_EUlSX_E0_NS1_11comp_targetILNS1_3genE4ELNS1_11target_archE910ELNS1_3gpuE8ELNS1_3repE0EEENS1_38merge_mergepath_config_static_selectorELNS0_4arch9wavefront6targetE1EEEvSJ_.numbered_sgpr, 0
	.set _ZN7rocprim17ROCPRIM_400000_NS6detail17trampoline_kernelINS0_14default_configENS1_38merge_sort_block_merge_config_selectorIjjEEZZNS1_27merge_sort_block_merge_implIS3_N6thrust23THRUST_200600_302600_NS6detail15normal_iteratorINS8_10device_ptrIjEEEESD_jNS1_19radix_merge_compareILb0ELb1EjNS0_19identity_decomposerEEEEE10hipError_tT0_T1_T2_jT3_P12ihipStream_tbPNSt15iterator_traitsISI_E10value_typeEPNSO_ISJ_E10value_typeEPSK_NS1_7vsmem_tEENKUlT_SI_SJ_SK_E_clISD_PjSD_S10_EESH_SX_SI_SJ_SK_EUlSX_E0_NS1_11comp_targetILNS1_3genE4ELNS1_11target_archE910ELNS1_3gpuE8ELNS1_3repE0EEENS1_38merge_mergepath_config_static_selectorELNS0_4arch9wavefront6targetE1EEEvSJ_.num_named_barrier, 0
	.set _ZN7rocprim17ROCPRIM_400000_NS6detail17trampoline_kernelINS0_14default_configENS1_38merge_sort_block_merge_config_selectorIjjEEZZNS1_27merge_sort_block_merge_implIS3_N6thrust23THRUST_200600_302600_NS6detail15normal_iteratorINS8_10device_ptrIjEEEESD_jNS1_19radix_merge_compareILb0ELb1EjNS0_19identity_decomposerEEEEE10hipError_tT0_T1_T2_jT3_P12ihipStream_tbPNSt15iterator_traitsISI_E10value_typeEPNSO_ISJ_E10value_typeEPSK_NS1_7vsmem_tEENKUlT_SI_SJ_SK_E_clISD_PjSD_S10_EESH_SX_SI_SJ_SK_EUlSX_E0_NS1_11comp_targetILNS1_3genE4ELNS1_11target_archE910ELNS1_3gpuE8ELNS1_3repE0EEENS1_38merge_mergepath_config_static_selectorELNS0_4arch9wavefront6targetE1EEEvSJ_.private_seg_size, 0
	.set _ZN7rocprim17ROCPRIM_400000_NS6detail17trampoline_kernelINS0_14default_configENS1_38merge_sort_block_merge_config_selectorIjjEEZZNS1_27merge_sort_block_merge_implIS3_N6thrust23THRUST_200600_302600_NS6detail15normal_iteratorINS8_10device_ptrIjEEEESD_jNS1_19radix_merge_compareILb0ELb1EjNS0_19identity_decomposerEEEEE10hipError_tT0_T1_T2_jT3_P12ihipStream_tbPNSt15iterator_traitsISI_E10value_typeEPNSO_ISJ_E10value_typeEPSK_NS1_7vsmem_tEENKUlT_SI_SJ_SK_E_clISD_PjSD_S10_EESH_SX_SI_SJ_SK_EUlSX_E0_NS1_11comp_targetILNS1_3genE4ELNS1_11target_archE910ELNS1_3gpuE8ELNS1_3repE0EEENS1_38merge_mergepath_config_static_selectorELNS0_4arch9wavefront6targetE1EEEvSJ_.uses_vcc, 0
	.set _ZN7rocprim17ROCPRIM_400000_NS6detail17trampoline_kernelINS0_14default_configENS1_38merge_sort_block_merge_config_selectorIjjEEZZNS1_27merge_sort_block_merge_implIS3_N6thrust23THRUST_200600_302600_NS6detail15normal_iteratorINS8_10device_ptrIjEEEESD_jNS1_19radix_merge_compareILb0ELb1EjNS0_19identity_decomposerEEEEE10hipError_tT0_T1_T2_jT3_P12ihipStream_tbPNSt15iterator_traitsISI_E10value_typeEPNSO_ISJ_E10value_typeEPSK_NS1_7vsmem_tEENKUlT_SI_SJ_SK_E_clISD_PjSD_S10_EESH_SX_SI_SJ_SK_EUlSX_E0_NS1_11comp_targetILNS1_3genE4ELNS1_11target_archE910ELNS1_3gpuE8ELNS1_3repE0EEENS1_38merge_mergepath_config_static_selectorELNS0_4arch9wavefront6targetE1EEEvSJ_.uses_flat_scratch, 0
	.set _ZN7rocprim17ROCPRIM_400000_NS6detail17trampoline_kernelINS0_14default_configENS1_38merge_sort_block_merge_config_selectorIjjEEZZNS1_27merge_sort_block_merge_implIS3_N6thrust23THRUST_200600_302600_NS6detail15normal_iteratorINS8_10device_ptrIjEEEESD_jNS1_19radix_merge_compareILb0ELb1EjNS0_19identity_decomposerEEEEE10hipError_tT0_T1_T2_jT3_P12ihipStream_tbPNSt15iterator_traitsISI_E10value_typeEPNSO_ISJ_E10value_typeEPSK_NS1_7vsmem_tEENKUlT_SI_SJ_SK_E_clISD_PjSD_S10_EESH_SX_SI_SJ_SK_EUlSX_E0_NS1_11comp_targetILNS1_3genE4ELNS1_11target_archE910ELNS1_3gpuE8ELNS1_3repE0EEENS1_38merge_mergepath_config_static_selectorELNS0_4arch9wavefront6targetE1EEEvSJ_.has_dyn_sized_stack, 0
	.set _ZN7rocprim17ROCPRIM_400000_NS6detail17trampoline_kernelINS0_14default_configENS1_38merge_sort_block_merge_config_selectorIjjEEZZNS1_27merge_sort_block_merge_implIS3_N6thrust23THRUST_200600_302600_NS6detail15normal_iteratorINS8_10device_ptrIjEEEESD_jNS1_19radix_merge_compareILb0ELb1EjNS0_19identity_decomposerEEEEE10hipError_tT0_T1_T2_jT3_P12ihipStream_tbPNSt15iterator_traitsISI_E10value_typeEPNSO_ISJ_E10value_typeEPSK_NS1_7vsmem_tEENKUlT_SI_SJ_SK_E_clISD_PjSD_S10_EESH_SX_SI_SJ_SK_EUlSX_E0_NS1_11comp_targetILNS1_3genE4ELNS1_11target_archE910ELNS1_3gpuE8ELNS1_3repE0EEENS1_38merge_mergepath_config_static_selectorELNS0_4arch9wavefront6targetE1EEEvSJ_.has_recursion, 0
	.set _ZN7rocprim17ROCPRIM_400000_NS6detail17trampoline_kernelINS0_14default_configENS1_38merge_sort_block_merge_config_selectorIjjEEZZNS1_27merge_sort_block_merge_implIS3_N6thrust23THRUST_200600_302600_NS6detail15normal_iteratorINS8_10device_ptrIjEEEESD_jNS1_19radix_merge_compareILb0ELb1EjNS0_19identity_decomposerEEEEE10hipError_tT0_T1_T2_jT3_P12ihipStream_tbPNSt15iterator_traitsISI_E10value_typeEPNSO_ISJ_E10value_typeEPSK_NS1_7vsmem_tEENKUlT_SI_SJ_SK_E_clISD_PjSD_S10_EESH_SX_SI_SJ_SK_EUlSX_E0_NS1_11comp_targetILNS1_3genE4ELNS1_11target_archE910ELNS1_3gpuE8ELNS1_3repE0EEENS1_38merge_mergepath_config_static_selectorELNS0_4arch9wavefront6targetE1EEEvSJ_.has_indirect_call, 0
	.section	.AMDGPU.csdata,"",@progbits
; Kernel info:
; codeLenInByte = 0
; TotalNumSgprs: 6
; NumVgprs: 0
; NumAgprs: 0
; TotalNumVgprs: 0
; ScratchSize: 0
; MemoryBound: 0
; FloatMode: 240
; IeeeMode: 1
; LDSByteSize: 0 bytes/workgroup (compile time only)
; SGPRBlocks: 0
; VGPRBlocks: 0
; NumSGPRsForWavesPerEU: 6
; NumVGPRsForWavesPerEU: 1
; AccumOffset: 4
; Occupancy: 8
; WaveLimiterHint : 0
; COMPUTE_PGM_RSRC2:SCRATCH_EN: 0
; COMPUTE_PGM_RSRC2:USER_SGPR: 2
; COMPUTE_PGM_RSRC2:TRAP_HANDLER: 0
; COMPUTE_PGM_RSRC2:TGID_X_EN: 1
; COMPUTE_PGM_RSRC2:TGID_Y_EN: 0
; COMPUTE_PGM_RSRC2:TGID_Z_EN: 0
; COMPUTE_PGM_RSRC2:TIDIG_COMP_CNT: 0
; COMPUTE_PGM_RSRC3_GFX90A:ACCUM_OFFSET: 0
; COMPUTE_PGM_RSRC3_GFX90A:TG_SPLIT: 0
	.section	.text._ZN7rocprim17ROCPRIM_400000_NS6detail17trampoline_kernelINS0_14default_configENS1_38merge_sort_block_merge_config_selectorIjjEEZZNS1_27merge_sort_block_merge_implIS3_N6thrust23THRUST_200600_302600_NS6detail15normal_iteratorINS8_10device_ptrIjEEEESD_jNS1_19radix_merge_compareILb0ELb1EjNS0_19identity_decomposerEEEEE10hipError_tT0_T1_T2_jT3_P12ihipStream_tbPNSt15iterator_traitsISI_E10value_typeEPNSO_ISJ_E10value_typeEPSK_NS1_7vsmem_tEENKUlT_SI_SJ_SK_E_clISD_PjSD_S10_EESH_SX_SI_SJ_SK_EUlSX_E0_NS1_11comp_targetILNS1_3genE3ELNS1_11target_archE908ELNS1_3gpuE7ELNS1_3repE0EEENS1_38merge_mergepath_config_static_selectorELNS0_4arch9wavefront6targetE1EEEvSJ_,"axG",@progbits,_ZN7rocprim17ROCPRIM_400000_NS6detail17trampoline_kernelINS0_14default_configENS1_38merge_sort_block_merge_config_selectorIjjEEZZNS1_27merge_sort_block_merge_implIS3_N6thrust23THRUST_200600_302600_NS6detail15normal_iteratorINS8_10device_ptrIjEEEESD_jNS1_19radix_merge_compareILb0ELb1EjNS0_19identity_decomposerEEEEE10hipError_tT0_T1_T2_jT3_P12ihipStream_tbPNSt15iterator_traitsISI_E10value_typeEPNSO_ISJ_E10value_typeEPSK_NS1_7vsmem_tEENKUlT_SI_SJ_SK_E_clISD_PjSD_S10_EESH_SX_SI_SJ_SK_EUlSX_E0_NS1_11comp_targetILNS1_3genE3ELNS1_11target_archE908ELNS1_3gpuE7ELNS1_3repE0EEENS1_38merge_mergepath_config_static_selectorELNS0_4arch9wavefront6targetE1EEEvSJ_,comdat
	.protected	_ZN7rocprim17ROCPRIM_400000_NS6detail17trampoline_kernelINS0_14default_configENS1_38merge_sort_block_merge_config_selectorIjjEEZZNS1_27merge_sort_block_merge_implIS3_N6thrust23THRUST_200600_302600_NS6detail15normal_iteratorINS8_10device_ptrIjEEEESD_jNS1_19radix_merge_compareILb0ELb1EjNS0_19identity_decomposerEEEEE10hipError_tT0_T1_T2_jT3_P12ihipStream_tbPNSt15iterator_traitsISI_E10value_typeEPNSO_ISJ_E10value_typeEPSK_NS1_7vsmem_tEENKUlT_SI_SJ_SK_E_clISD_PjSD_S10_EESH_SX_SI_SJ_SK_EUlSX_E0_NS1_11comp_targetILNS1_3genE3ELNS1_11target_archE908ELNS1_3gpuE7ELNS1_3repE0EEENS1_38merge_mergepath_config_static_selectorELNS0_4arch9wavefront6targetE1EEEvSJ_ ; -- Begin function _ZN7rocprim17ROCPRIM_400000_NS6detail17trampoline_kernelINS0_14default_configENS1_38merge_sort_block_merge_config_selectorIjjEEZZNS1_27merge_sort_block_merge_implIS3_N6thrust23THRUST_200600_302600_NS6detail15normal_iteratorINS8_10device_ptrIjEEEESD_jNS1_19radix_merge_compareILb0ELb1EjNS0_19identity_decomposerEEEEE10hipError_tT0_T1_T2_jT3_P12ihipStream_tbPNSt15iterator_traitsISI_E10value_typeEPNSO_ISJ_E10value_typeEPSK_NS1_7vsmem_tEENKUlT_SI_SJ_SK_E_clISD_PjSD_S10_EESH_SX_SI_SJ_SK_EUlSX_E0_NS1_11comp_targetILNS1_3genE3ELNS1_11target_archE908ELNS1_3gpuE7ELNS1_3repE0EEENS1_38merge_mergepath_config_static_selectorELNS0_4arch9wavefront6targetE1EEEvSJ_
	.globl	_ZN7rocprim17ROCPRIM_400000_NS6detail17trampoline_kernelINS0_14default_configENS1_38merge_sort_block_merge_config_selectorIjjEEZZNS1_27merge_sort_block_merge_implIS3_N6thrust23THRUST_200600_302600_NS6detail15normal_iteratorINS8_10device_ptrIjEEEESD_jNS1_19radix_merge_compareILb0ELb1EjNS0_19identity_decomposerEEEEE10hipError_tT0_T1_T2_jT3_P12ihipStream_tbPNSt15iterator_traitsISI_E10value_typeEPNSO_ISJ_E10value_typeEPSK_NS1_7vsmem_tEENKUlT_SI_SJ_SK_E_clISD_PjSD_S10_EESH_SX_SI_SJ_SK_EUlSX_E0_NS1_11comp_targetILNS1_3genE3ELNS1_11target_archE908ELNS1_3gpuE7ELNS1_3repE0EEENS1_38merge_mergepath_config_static_selectorELNS0_4arch9wavefront6targetE1EEEvSJ_
	.p2align	8
	.type	_ZN7rocprim17ROCPRIM_400000_NS6detail17trampoline_kernelINS0_14default_configENS1_38merge_sort_block_merge_config_selectorIjjEEZZNS1_27merge_sort_block_merge_implIS3_N6thrust23THRUST_200600_302600_NS6detail15normal_iteratorINS8_10device_ptrIjEEEESD_jNS1_19radix_merge_compareILb0ELb1EjNS0_19identity_decomposerEEEEE10hipError_tT0_T1_T2_jT3_P12ihipStream_tbPNSt15iterator_traitsISI_E10value_typeEPNSO_ISJ_E10value_typeEPSK_NS1_7vsmem_tEENKUlT_SI_SJ_SK_E_clISD_PjSD_S10_EESH_SX_SI_SJ_SK_EUlSX_E0_NS1_11comp_targetILNS1_3genE3ELNS1_11target_archE908ELNS1_3gpuE7ELNS1_3repE0EEENS1_38merge_mergepath_config_static_selectorELNS0_4arch9wavefront6targetE1EEEvSJ_,@function
_ZN7rocprim17ROCPRIM_400000_NS6detail17trampoline_kernelINS0_14default_configENS1_38merge_sort_block_merge_config_selectorIjjEEZZNS1_27merge_sort_block_merge_implIS3_N6thrust23THRUST_200600_302600_NS6detail15normal_iteratorINS8_10device_ptrIjEEEESD_jNS1_19radix_merge_compareILb0ELb1EjNS0_19identity_decomposerEEEEE10hipError_tT0_T1_T2_jT3_P12ihipStream_tbPNSt15iterator_traitsISI_E10value_typeEPNSO_ISJ_E10value_typeEPSK_NS1_7vsmem_tEENKUlT_SI_SJ_SK_E_clISD_PjSD_S10_EESH_SX_SI_SJ_SK_EUlSX_E0_NS1_11comp_targetILNS1_3genE3ELNS1_11target_archE908ELNS1_3gpuE7ELNS1_3repE0EEENS1_38merge_mergepath_config_static_selectorELNS0_4arch9wavefront6targetE1EEEvSJ_: ; @_ZN7rocprim17ROCPRIM_400000_NS6detail17trampoline_kernelINS0_14default_configENS1_38merge_sort_block_merge_config_selectorIjjEEZZNS1_27merge_sort_block_merge_implIS3_N6thrust23THRUST_200600_302600_NS6detail15normal_iteratorINS8_10device_ptrIjEEEESD_jNS1_19radix_merge_compareILb0ELb1EjNS0_19identity_decomposerEEEEE10hipError_tT0_T1_T2_jT3_P12ihipStream_tbPNSt15iterator_traitsISI_E10value_typeEPNSO_ISJ_E10value_typeEPSK_NS1_7vsmem_tEENKUlT_SI_SJ_SK_E_clISD_PjSD_S10_EESH_SX_SI_SJ_SK_EUlSX_E0_NS1_11comp_targetILNS1_3genE3ELNS1_11target_archE908ELNS1_3gpuE7ELNS1_3repE0EEENS1_38merge_mergepath_config_static_selectorELNS0_4arch9wavefront6targetE1EEEvSJ_
; %bb.0:
	.section	.rodata,"a",@progbits
	.p2align	6, 0x0
	.amdhsa_kernel _ZN7rocprim17ROCPRIM_400000_NS6detail17trampoline_kernelINS0_14default_configENS1_38merge_sort_block_merge_config_selectorIjjEEZZNS1_27merge_sort_block_merge_implIS3_N6thrust23THRUST_200600_302600_NS6detail15normal_iteratorINS8_10device_ptrIjEEEESD_jNS1_19radix_merge_compareILb0ELb1EjNS0_19identity_decomposerEEEEE10hipError_tT0_T1_T2_jT3_P12ihipStream_tbPNSt15iterator_traitsISI_E10value_typeEPNSO_ISJ_E10value_typeEPSK_NS1_7vsmem_tEENKUlT_SI_SJ_SK_E_clISD_PjSD_S10_EESH_SX_SI_SJ_SK_EUlSX_E0_NS1_11comp_targetILNS1_3genE3ELNS1_11target_archE908ELNS1_3gpuE7ELNS1_3repE0EEENS1_38merge_mergepath_config_static_selectorELNS0_4arch9wavefront6targetE1EEEvSJ_
		.amdhsa_group_segment_fixed_size 0
		.amdhsa_private_segment_fixed_size 0
		.amdhsa_kernarg_size 64
		.amdhsa_user_sgpr_count 2
		.amdhsa_user_sgpr_dispatch_ptr 0
		.amdhsa_user_sgpr_queue_ptr 0
		.amdhsa_user_sgpr_kernarg_segment_ptr 1
		.amdhsa_user_sgpr_dispatch_id 0
		.amdhsa_user_sgpr_kernarg_preload_length 0
		.amdhsa_user_sgpr_kernarg_preload_offset 0
		.amdhsa_user_sgpr_private_segment_size 0
		.amdhsa_uses_dynamic_stack 0
		.amdhsa_enable_private_segment 0
		.amdhsa_system_sgpr_workgroup_id_x 1
		.amdhsa_system_sgpr_workgroup_id_y 0
		.amdhsa_system_sgpr_workgroup_id_z 0
		.amdhsa_system_sgpr_workgroup_info 0
		.amdhsa_system_vgpr_workitem_id 0
		.amdhsa_next_free_vgpr 1
		.amdhsa_next_free_sgpr 0
		.amdhsa_accum_offset 4
		.amdhsa_reserve_vcc 0
		.amdhsa_float_round_mode_32 0
		.amdhsa_float_round_mode_16_64 0
		.amdhsa_float_denorm_mode_32 3
		.amdhsa_float_denorm_mode_16_64 3
		.amdhsa_dx10_clamp 1
		.amdhsa_ieee_mode 1
		.amdhsa_fp16_overflow 0
		.amdhsa_tg_split 0
		.amdhsa_exception_fp_ieee_invalid_op 0
		.amdhsa_exception_fp_denorm_src 0
		.amdhsa_exception_fp_ieee_div_zero 0
		.amdhsa_exception_fp_ieee_overflow 0
		.amdhsa_exception_fp_ieee_underflow 0
		.amdhsa_exception_fp_ieee_inexact 0
		.amdhsa_exception_int_div_zero 0
	.end_amdhsa_kernel
	.section	.text._ZN7rocprim17ROCPRIM_400000_NS6detail17trampoline_kernelINS0_14default_configENS1_38merge_sort_block_merge_config_selectorIjjEEZZNS1_27merge_sort_block_merge_implIS3_N6thrust23THRUST_200600_302600_NS6detail15normal_iteratorINS8_10device_ptrIjEEEESD_jNS1_19radix_merge_compareILb0ELb1EjNS0_19identity_decomposerEEEEE10hipError_tT0_T1_T2_jT3_P12ihipStream_tbPNSt15iterator_traitsISI_E10value_typeEPNSO_ISJ_E10value_typeEPSK_NS1_7vsmem_tEENKUlT_SI_SJ_SK_E_clISD_PjSD_S10_EESH_SX_SI_SJ_SK_EUlSX_E0_NS1_11comp_targetILNS1_3genE3ELNS1_11target_archE908ELNS1_3gpuE7ELNS1_3repE0EEENS1_38merge_mergepath_config_static_selectorELNS0_4arch9wavefront6targetE1EEEvSJ_,"axG",@progbits,_ZN7rocprim17ROCPRIM_400000_NS6detail17trampoline_kernelINS0_14default_configENS1_38merge_sort_block_merge_config_selectorIjjEEZZNS1_27merge_sort_block_merge_implIS3_N6thrust23THRUST_200600_302600_NS6detail15normal_iteratorINS8_10device_ptrIjEEEESD_jNS1_19radix_merge_compareILb0ELb1EjNS0_19identity_decomposerEEEEE10hipError_tT0_T1_T2_jT3_P12ihipStream_tbPNSt15iterator_traitsISI_E10value_typeEPNSO_ISJ_E10value_typeEPSK_NS1_7vsmem_tEENKUlT_SI_SJ_SK_E_clISD_PjSD_S10_EESH_SX_SI_SJ_SK_EUlSX_E0_NS1_11comp_targetILNS1_3genE3ELNS1_11target_archE908ELNS1_3gpuE7ELNS1_3repE0EEENS1_38merge_mergepath_config_static_selectorELNS0_4arch9wavefront6targetE1EEEvSJ_,comdat
.Lfunc_end712:
	.size	_ZN7rocprim17ROCPRIM_400000_NS6detail17trampoline_kernelINS0_14default_configENS1_38merge_sort_block_merge_config_selectorIjjEEZZNS1_27merge_sort_block_merge_implIS3_N6thrust23THRUST_200600_302600_NS6detail15normal_iteratorINS8_10device_ptrIjEEEESD_jNS1_19radix_merge_compareILb0ELb1EjNS0_19identity_decomposerEEEEE10hipError_tT0_T1_T2_jT3_P12ihipStream_tbPNSt15iterator_traitsISI_E10value_typeEPNSO_ISJ_E10value_typeEPSK_NS1_7vsmem_tEENKUlT_SI_SJ_SK_E_clISD_PjSD_S10_EESH_SX_SI_SJ_SK_EUlSX_E0_NS1_11comp_targetILNS1_3genE3ELNS1_11target_archE908ELNS1_3gpuE7ELNS1_3repE0EEENS1_38merge_mergepath_config_static_selectorELNS0_4arch9wavefront6targetE1EEEvSJ_, .Lfunc_end712-_ZN7rocprim17ROCPRIM_400000_NS6detail17trampoline_kernelINS0_14default_configENS1_38merge_sort_block_merge_config_selectorIjjEEZZNS1_27merge_sort_block_merge_implIS3_N6thrust23THRUST_200600_302600_NS6detail15normal_iteratorINS8_10device_ptrIjEEEESD_jNS1_19radix_merge_compareILb0ELb1EjNS0_19identity_decomposerEEEEE10hipError_tT0_T1_T2_jT3_P12ihipStream_tbPNSt15iterator_traitsISI_E10value_typeEPNSO_ISJ_E10value_typeEPSK_NS1_7vsmem_tEENKUlT_SI_SJ_SK_E_clISD_PjSD_S10_EESH_SX_SI_SJ_SK_EUlSX_E0_NS1_11comp_targetILNS1_3genE3ELNS1_11target_archE908ELNS1_3gpuE7ELNS1_3repE0EEENS1_38merge_mergepath_config_static_selectorELNS0_4arch9wavefront6targetE1EEEvSJ_
                                        ; -- End function
	.set _ZN7rocprim17ROCPRIM_400000_NS6detail17trampoline_kernelINS0_14default_configENS1_38merge_sort_block_merge_config_selectorIjjEEZZNS1_27merge_sort_block_merge_implIS3_N6thrust23THRUST_200600_302600_NS6detail15normal_iteratorINS8_10device_ptrIjEEEESD_jNS1_19radix_merge_compareILb0ELb1EjNS0_19identity_decomposerEEEEE10hipError_tT0_T1_T2_jT3_P12ihipStream_tbPNSt15iterator_traitsISI_E10value_typeEPNSO_ISJ_E10value_typeEPSK_NS1_7vsmem_tEENKUlT_SI_SJ_SK_E_clISD_PjSD_S10_EESH_SX_SI_SJ_SK_EUlSX_E0_NS1_11comp_targetILNS1_3genE3ELNS1_11target_archE908ELNS1_3gpuE7ELNS1_3repE0EEENS1_38merge_mergepath_config_static_selectorELNS0_4arch9wavefront6targetE1EEEvSJ_.num_vgpr, 0
	.set _ZN7rocprim17ROCPRIM_400000_NS6detail17trampoline_kernelINS0_14default_configENS1_38merge_sort_block_merge_config_selectorIjjEEZZNS1_27merge_sort_block_merge_implIS3_N6thrust23THRUST_200600_302600_NS6detail15normal_iteratorINS8_10device_ptrIjEEEESD_jNS1_19radix_merge_compareILb0ELb1EjNS0_19identity_decomposerEEEEE10hipError_tT0_T1_T2_jT3_P12ihipStream_tbPNSt15iterator_traitsISI_E10value_typeEPNSO_ISJ_E10value_typeEPSK_NS1_7vsmem_tEENKUlT_SI_SJ_SK_E_clISD_PjSD_S10_EESH_SX_SI_SJ_SK_EUlSX_E0_NS1_11comp_targetILNS1_3genE3ELNS1_11target_archE908ELNS1_3gpuE7ELNS1_3repE0EEENS1_38merge_mergepath_config_static_selectorELNS0_4arch9wavefront6targetE1EEEvSJ_.num_agpr, 0
	.set _ZN7rocprim17ROCPRIM_400000_NS6detail17trampoline_kernelINS0_14default_configENS1_38merge_sort_block_merge_config_selectorIjjEEZZNS1_27merge_sort_block_merge_implIS3_N6thrust23THRUST_200600_302600_NS6detail15normal_iteratorINS8_10device_ptrIjEEEESD_jNS1_19radix_merge_compareILb0ELb1EjNS0_19identity_decomposerEEEEE10hipError_tT0_T1_T2_jT3_P12ihipStream_tbPNSt15iterator_traitsISI_E10value_typeEPNSO_ISJ_E10value_typeEPSK_NS1_7vsmem_tEENKUlT_SI_SJ_SK_E_clISD_PjSD_S10_EESH_SX_SI_SJ_SK_EUlSX_E0_NS1_11comp_targetILNS1_3genE3ELNS1_11target_archE908ELNS1_3gpuE7ELNS1_3repE0EEENS1_38merge_mergepath_config_static_selectorELNS0_4arch9wavefront6targetE1EEEvSJ_.numbered_sgpr, 0
	.set _ZN7rocprim17ROCPRIM_400000_NS6detail17trampoline_kernelINS0_14default_configENS1_38merge_sort_block_merge_config_selectorIjjEEZZNS1_27merge_sort_block_merge_implIS3_N6thrust23THRUST_200600_302600_NS6detail15normal_iteratorINS8_10device_ptrIjEEEESD_jNS1_19radix_merge_compareILb0ELb1EjNS0_19identity_decomposerEEEEE10hipError_tT0_T1_T2_jT3_P12ihipStream_tbPNSt15iterator_traitsISI_E10value_typeEPNSO_ISJ_E10value_typeEPSK_NS1_7vsmem_tEENKUlT_SI_SJ_SK_E_clISD_PjSD_S10_EESH_SX_SI_SJ_SK_EUlSX_E0_NS1_11comp_targetILNS1_3genE3ELNS1_11target_archE908ELNS1_3gpuE7ELNS1_3repE0EEENS1_38merge_mergepath_config_static_selectorELNS0_4arch9wavefront6targetE1EEEvSJ_.num_named_barrier, 0
	.set _ZN7rocprim17ROCPRIM_400000_NS6detail17trampoline_kernelINS0_14default_configENS1_38merge_sort_block_merge_config_selectorIjjEEZZNS1_27merge_sort_block_merge_implIS3_N6thrust23THRUST_200600_302600_NS6detail15normal_iteratorINS8_10device_ptrIjEEEESD_jNS1_19radix_merge_compareILb0ELb1EjNS0_19identity_decomposerEEEEE10hipError_tT0_T1_T2_jT3_P12ihipStream_tbPNSt15iterator_traitsISI_E10value_typeEPNSO_ISJ_E10value_typeEPSK_NS1_7vsmem_tEENKUlT_SI_SJ_SK_E_clISD_PjSD_S10_EESH_SX_SI_SJ_SK_EUlSX_E0_NS1_11comp_targetILNS1_3genE3ELNS1_11target_archE908ELNS1_3gpuE7ELNS1_3repE0EEENS1_38merge_mergepath_config_static_selectorELNS0_4arch9wavefront6targetE1EEEvSJ_.private_seg_size, 0
	.set _ZN7rocprim17ROCPRIM_400000_NS6detail17trampoline_kernelINS0_14default_configENS1_38merge_sort_block_merge_config_selectorIjjEEZZNS1_27merge_sort_block_merge_implIS3_N6thrust23THRUST_200600_302600_NS6detail15normal_iteratorINS8_10device_ptrIjEEEESD_jNS1_19radix_merge_compareILb0ELb1EjNS0_19identity_decomposerEEEEE10hipError_tT0_T1_T2_jT3_P12ihipStream_tbPNSt15iterator_traitsISI_E10value_typeEPNSO_ISJ_E10value_typeEPSK_NS1_7vsmem_tEENKUlT_SI_SJ_SK_E_clISD_PjSD_S10_EESH_SX_SI_SJ_SK_EUlSX_E0_NS1_11comp_targetILNS1_3genE3ELNS1_11target_archE908ELNS1_3gpuE7ELNS1_3repE0EEENS1_38merge_mergepath_config_static_selectorELNS0_4arch9wavefront6targetE1EEEvSJ_.uses_vcc, 0
	.set _ZN7rocprim17ROCPRIM_400000_NS6detail17trampoline_kernelINS0_14default_configENS1_38merge_sort_block_merge_config_selectorIjjEEZZNS1_27merge_sort_block_merge_implIS3_N6thrust23THRUST_200600_302600_NS6detail15normal_iteratorINS8_10device_ptrIjEEEESD_jNS1_19radix_merge_compareILb0ELb1EjNS0_19identity_decomposerEEEEE10hipError_tT0_T1_T2_jT3_P12ihipStream_tbPNSt15iterator_traitsISI_E10value_typeEPNSO_ISJ_E10value_typeEPSK_NS1_7vsmem_tEENKUlT_SI_SJ_SK_E_clISD_PjSD_S10_EESH_SX_SI_SJ_SK_EUlSX_E0_NS1_11comp_targetILNS1_3genE3ELNS1_11target_archE908ELNS1_3gpuE7ELNS1_3repE0EEENS1_38merge_mergepath_config_static_selectorELNS0_4arch9wavefront6targetE1EEEvSJ_.uses_flat_scratch, 0
	.set _ZN7rocprim17ROCPRIM_400000_NS6detail17trampoline_kernelINS0_14default_configENS1_38merge_sort_block_merge_config_selectorIjjEEZZNS1_27merge_sort_block_merge_implIS3_N6thrust23THRUST_200600_302600_NS6detail15normal_iteratorINS8_10device_ptrIjEEEESD_jNS1_19radix_merge_compareILb0ELb1EjNS0_19identity_decomposerEEEEE10hipError_tT0_T1_T2_jT3_P12ihipStream_tbPNSt15iterator_traitsISI_E10value_typeEPNSO_ISJ_E10value_typeEPSK_NS1_7vsmem_tEENKUlT_SI_SJ_SK_E_clISD_PjSD_S10_EESH_SX_SI_SJ_SK_EUlSX_E0_NS1_11comp_targetILNS1_3genE3ELNS1_11target_archE908ELNS1_3gpuE7ELNS1_3repE0EEENS1_38merge_mergepath_config_static_selectorELNS0_4arch9wavefront6targetE1EEEvSJ_.has_dyn_sized_stack, 0
	.set _ZN7rocprim17ROCPRIM_400000_NS6detail17trampoline_kernelINS0_14default_configENS1_38merge_sort_block_merge_config_selectorIjjEEZZNS1_27merge_sort_block_merge_implIS3_N6thrust23THRUST_200600_302600_NS6detail15normal_iteratorINS8_10device_ptrIjEEEESD_jNS1_19radix_merge_compareILb0ELb1EjNS0_19identity_decomposerEEEEE10hipError_tT0_T1_T2_jT3_P12ihipStream_tbPNSt15iterator_traitsISI_E10value_typeEPNSO_ISJ_E10value_typeEPSK_NS1_7vsmem_tEENKUlT_SI_SJ_SK_E_clISD_PjSD_S10_EESH_SX_SI_SJ_SK_EUlSX_E0_NS1_11comp_targetILNS1_3genE3ELNS1_11target_archE908ELNS1_3gpuE7ELNS1_3repE0EEENS1_38merge_mergepath_config_static_selectorELNS0_4arch9wavefront6targetE1EEEvSJ_.has_recursion, 0
	.set _ZN7rocprim17ROCPRIM_400000_NS6detail17trampoline_kernelINS0_14default_configENS1_38merge_sort_block_merge_config_selectorIjjEEZZNS1_27merge_sort_block_merge_implIS3_N6thrust23THRUST_200600_302600_NS6detail15normal_iteratorINS8_10device_ptrIjEEEESD_jNS1_19radix_merge_compareILb0ELb1EjNS0_19identity_decomposerEEEEE10hipError_tT0_T1_T2_jT3_P12ihipStream_tbPNSt15iterator_traitsISI_E10value_typeEPNSO_ISJ_E10value_typeEPSK_NS1_7vsmem_tEENKUlT_SI_SJ_SK_E_clISD_PjSD_S10_EESH_SX_SI_SJ_SK_EUlSX_E0_NS1_11comp_targetILNS1_3genE3ELNS1_11target_archE908ELNS1_3gpuE7ELNS1_3repE0EEENS1_38merge_mergepath_config_static_selectorELNS0_4arch9wavefront6targetE1EEEvSJ_.has_indirect_call, 0
	.section	.AMDGPU.csdata,"",@progbits
; Kernel info:
; codeLenInByte = 0
; TotalNumSgprs: 6
; NumVgprs: 0
; NumAgprs: 0
; TotalNumVgprs: 0
; ScratchSize: 0
; MemoryBound: 0
; FloatMode: 240
; IeeeMode: 1
; LDSByteSize: 0 bytes/workgroup (compile time only)
; SGPRBlocks: 0
; VGPRBlocks: 0
; NumSGPRsForWavesPerEU: 6
; NumVGPRsForWavesPerEU: 1
; AccumOffset: 4
; Occupancy: 8
; WaveLimiterHint : 0
; COMPUTE_PGM_RSRC2:SCRATCH_EN: 0
; COMPUTE_PGM_RSRC2:USER_SGPR: 2
; COMPUTE_PGM_RSRC2:TRAP_HANDLER: 0
; COMPUTE_PGM_RSRC2:TGID_X_EN: 1
; COMPUTE_PGM_RSRC2:TGID_Y_EN: 0
; COMPUTE_PGM_RSRC2:TGID_Z_EN: 0
; COMPUTE_PGM_RSRC2:TIDIG_COMP_CNT: 0
; COMPUTE_PGM_RSRC3_GFX90A:ACCUM_OFFSET: 0
; COMPUTE_PGM_RSRC3_GFX90A:TG_SPLIT: 0
	.section	.text._ZN7rocprim17ROCPRIM_400000_NS6detail17trampoline_kernelINS0_14default_configENS1_38merge_sort_block_merge_config_selectorIjjEEZZNS1_27merge_sort_block_merge_implIS3_N6thrust23THRUST_200600_302600_NS6detail15normal_iteratorINS8_10device_ptrIjEEEESD_jNS1_19radix_merge_compareILb0ELb1EjNS0_19identity_decomposerEEEEE10hipError_tT0_T1_T2_jT3_P12ihipStream_tbPNSt15iterator_traitsISI_E10value_typeEPNSO_ISJ_E10value_typeEPSK_NS1_7vsmem_tEENKUlT_SI_SJ_SK_E_clISD_PjSD_S10_EESH_SX_SI_SJ_SK_EUlSX_E0_NS1_11comp_targetILNS1_3genE2ELNS1_11target_archE906ELNS1_3gpuE6ELNS1_3repE0EEENS1_38merge_mergepath_config_static_selectorELNS0_4arch9wavefront6targetE1EEEvSJ_,"axG",@progbits,_ZN7rocprim17ROCPRIM_400000_NS6detail17trampoline_kernelINS0_14default_configENS1_38merge_sort_block_merge_config_selectorIjjEEZZNS1_27merge_sort_block_merge_implIS3_N6thrust23THRUST_200600_302600_NS6detail15normal_iteratorINS8_10device_ptrIjEEEESD_jNS1_19radix_merge_compareILb0ELb1EjNS0_19identity_decomposerEEEEE10hipError_tT0_T1_T2_jT3_P12ihipStream_tbPNSt15iterator_traitsISI_E10value_typeEPNSO_ISJ_E10value_typeEPSK_NS1_7vsmem_tEENKUlT_SI_SJ_SK_E_clISD_PjSD_S10_EESH_SX_SI_SJ_SK_EUlSX_E0_NS1_11comp_targetILNS1_3genE2ELNS1_11target_archE906ELNS1_3gpuE6ELNS1_3repE0EEENS1_38merge_mergepath_config_static_selectorELNS0_4arch9wavefront6targetE1EEEvSJ_,comdat
	.protected	_ZN7rocprim17ROCPRIM_400000_NS6detail17trampoline_kernelINS0_14default_configENS1_38merge_sort_block_merge_config_selectorIjjEEZZNS1_27merge_sort_block_merge_implIS3_N6thrust23THRUST_200600_302600_NS6detail15normal_iteratorINS8_10device_ptrIjEEEESD_jNS1_19radix_merge_compareILb0ELb1EjNS0_19identity_decomposerEEEEE10hipError_tT0_T1_T2_jT3_P12ihipStream_tbPNSt15iterator_traitsISI_E10value_typeEPNSO_ISJ_E10value_typeEPSK_NS1_7vsmem_tEENKUlT_SI_SJ_SK_E_clISD_PjSD_S10_EESH_SX_SI_SJ_SK_EUlSX_E0_NS1_11comp_targetILNS1_3genE2ELNS1_11target_archE906ELNS1_3gpuE6ELNS1_3repE0EEENS1_38merge_mergepath_config_static_selectorELNS0_4arch9wavefront6targetE1EEEvSJ_ ; -- Begin function _ZN7rocprim17ROCPRIM_400000_NS6detail17trampoline_kernelINS0_14default_configENS1_38merge_sort_block_merge_config_selectorIjjEEZZNS1_27merge_sort_block_merge_implIS3_N6thrust23THRUST_200600_302600_NS6detail15normal_iteratorINS8_10device_ptrIjEEEESD_jNS1_19radix_merge_compareILb0ELb1EjNS0_19identity_decomposerEEEEE10hipError_tT0_T1_T2_jT3_P12ihipStream_tbPNSt15iterator_traitsISI_E10value_typeEPNSO_ISJ_E10value_typeEPSK_NS1_7vsmem_tEENKUlT_SI_SJ_SK_E_clISD_PjSD_S10_EESH_SX_SI_SJ_SK_EUlSX_E0_NS1_11comp_targetILNS1_3genE2ELNS1_11target_archE906ELNS1_3gpuE6ELNS1_3repE0EEENS1_38merge_mergepath_config_static_selectorELNS0_4arch9wavefront6targetE1EEEvSJ_
	.globl	_ZN7rocprim17ROCPRIM_400000_NS6detail17trampoline_kernelINS0_14default_configENS1_38merge_sort_block_merge_config_selectorIjjEEZZNS1_27merge_sort_block_merge_implIS3_N6thrust23THRUST_200600_302600_NS6detail15normal_iteratorINS8_10device_ptrIjEEEESD_jNS1_19radix_merge_compareILb0ELb1EjNS0_19identity_decomposerEEEEE10hipError_tT0_T1_T2_jT3_P12ihipStream_tbPNSt15iterator_traitsISI_E10value_typeEPNSO_ISJ_E10value_typeEPSK_NS1_7vsmem_tEENKUlT_SI_SJ_SK_E_clISD_PjSD_S10_EESH_SX_SI_SJ_SK_EUlSX_E0_NS1_11comp_targetILNS1_3genE2ELNS1_11target_archE906ELNS1_3gpuE6ELNS1_3repE0EEENS1_38merge_mergepath_config_static_selectorELNS0_4arch9wavefront6targetE1EEEvSJ_
	.p2align	8
	.type	_ZN7rocprim17ROCPRIM_400000_NS6detail17trampoline_kernelINS0_14default_configENS1_38merge_sort_block_merge_config_selectorIjjEEZZNS1_27merge_sort_block_merge_implIS3_N6thrust23THRUST_200600_302600_NS6detail15normal_iteratorINS8_10device_ptrIjEEEESD_jNS1_19radix_merge_compareILb0ELb1EjNS0_19identity_decomposerEEEEE10hipError_tT0_T1_T2_jT3_P12ihipStream_tbPNSt15iterator_traitsISI_E10value_typeEPNSO_ISJ_E10value_typeEPSK_NS1_7vsmem_tEENKUlT_SI_SJ_SK_E_clISD_PjSD_S10_EESH_SX_SI_SJ_SK_EUlSX_E0_NS1_11comp_targetILNS1_3genE2ELNS1_11target_archE906ELNS1_3gpuE6ELNS1_3repE0EEENS1_38merge_mergepath_config_static_selectorELNS0_4arch9wavefront6targetE1EEEvSJ_,@function
_ZN7rocprim17ROCPRIM_400000_NS6detail17trampoline_kernelINS0_14default_configENS1_38merge_sort_block_merge_config_selectorIjjEEZZNS1_27merge_sort_block_merge_implIS3_N6thrust23THRUST_200600_302600_NS6detail15normal_iteratorINS8_10device_ptrIjEEEESD_jNS1_19radix_merge_compareILb0ELb1EjNS0_19identity_decomposerEEEEE10hipError_tT0_T1_T2_jT3_P12ihipStream_tbPNSt15iterator_traitsISI_E10value_typeEPNSO_ISJ_E10value_typeEPSK_NS1_7vsmem_tEENKUlT_SI_SJ_SK_E_clISD_PjSD_S10_EESH_SX_SI_SJ_SK_EUlSX_E0_NS1_11comp_targetILNS1_3genE2ELNS1_11target_archE906ELNS1_3gpuE6ELNS1_3repE0EEENS1_38merge_mergepath_config_static_selectorELNS0_4arch9wavefront6targetE1EEEvSJ_: ; @_ZN7rocprim17ROCPRIM_400000_NS6detail17trampoline_kernelINS0_14default_configENS1_38merge_sort_block_merge_config_selectorIjjEEZZNS1_27merge_sort_block_merge_implIS3_N6thrust23THRUST_200600_302600_NS6detail15normal_iteratorINS8_10device_ptrIjEEEESD_jNS1_19radix_merge_compareILb0ELb1EjNS0_19identity_decomposerEEEEE10hipError_tT0_T1_T2_jT3_P12ihipStream_tbPNSt15iterator_traitsISI_E10value_typeEPNSO_ISJ_E10value_typeEPSK_NS1_7vsmem_tEENKUlT_SI_SJ_SK_E_clISD_PjSD_S10_EESH_SX_SI_SJ_SK_EUlSX_E0_NS1_11comp_targetILNS1_3genE2ELNS1_11target_archE906ELNS1_3gpuE6ELNS1_3repE0EEENS1_38merge_mergepath_config_static_selectorELNS0_4arch9wavefront6targetE1EEEvSJ_
; %bb.0:
	.section	.rodata,"a",@progbits
	.p2align	6, 0x0
	.amdhsa_kernel _ZN7rocprim17ROCPRIM_400000_NS6detail17trampoline_kernelINS0_14default_configENS1_38merge_sort_block_merge_config_selectorIjjEEZZNS1_27merge_sort_block_merge_implIS3_N6thrust23THRUST_200600_302600_NS6detail15normal_iteratorINS8_10device_ptrIjEEEESD_jNS1_19radix_merge_compareILb0ELb1EjNS0_19identity_decomposerEEEEE10hipError_tT0_T1_T2_jT3_P12ihipStream_tbPNSt15iterator_traitsISI_E10value_typeEPNSO_ISJ_E10value_typeEPSK_NS1_7vsmem_tEENKUlT_SI_SJ_SK_E_clISD_PjSD_S10_EESH_SX_SI_SJ_SK_EUlSX_E0_NS1_11comp_targetILNS1_3genE2ELNS1_11target_archE906ELNS1_3gpuE6ELNS1_3repE0EEENS1_38merge_mergepath_config_static_selectorELNS0_4arch9wavefront6targetE1EEEvSJ_
		.amdhsa_group_segment_fixed_size 0
		.amdhsa_private_segment_fixed_size 0
		.amdhsa_kernarg_size 64
		.amdhsa_user_sgpr_count 2
		.amdhsa_user_sgpr_dispatch_ptr 0
		.amdhsa_user_sgpr_queue_ptr 0
		.amdhsa_user_sgpr_kernarg_segment_ptr 1
		.amdhsa_user_sgpr_dispatch_id 0
		.amdhsa_user_sgpr_kernarg_preload_length 0
		.amdhsa_user_sgpr_kernarg_preload_offset 0
		.amdhsa_user_sgpr_private_segment_size 0
		.amdhsa_uses_dynamic_stack 0
		.amdhsa_enable_private_segment 0
		.amdhsa_system_sgpr_workgroup_id_x 1
		.amdhsa_system_sgpr_workgroup_id_y 0
		.amdhsa_system_sgpr_workgroup_id_z 0
		.amdhsa_system_sgpr_workgroup_info 0
		.amdhsa_system_vgpr_workitem_id 0
		.amdhsa_next_free_vgpr 1
		.amdhsa_next_free_sgpr 0
		.amdhsa_accum_offset 4
		.amdhsa_reserve_vcc 0
		.amdhsa_float_round_mode_32 0
		.amdhsa_float_round_mode_16_64 0
		.amdhsa_float_denorm_mode_32 3
		.amdhsa_float_denorm_mode_16_64 3
		.amdhsa_dx10_clamp 1
		.amdhsa_ieee_mode 1
		.amdhsa_fp16_overflow 0
		.amdhsa_tg_split 0
		.amdhsa_exception_fp_ieee_invalid_op 0
		.amdhsa_exception_fp_denorm_src 0
		.amdhsa_exception_fp_ieee_div_zero 0
		.amdhsa_exception_fp_ieee_overflow 0
		.amdhsa_exception_fp_ieee_underflow 0
		.amdhsa_exception_fp_ieee_inexact 0
		.amdhsa_exception_int_div_zero 0
	.end_amdhsa_kernel
	.section	.text._ZN7rocprim17ROCPRIM_400000_NS6detail17trampoline_kernelINS0_14default_configENS1_38merge_sort_block_merge_config_selectorIjjEEZZNS1_27merge_sort_block_merge_implIS3_N6thrust23THRUST_200600_302600_NS6detail15normal_iteratorINS8_10device_ptrIjEEEESD_jNS1_19radix_merge_compareILb0ELb1EjNS0_19identity_decomposerEEEEE10hipError_tT0_T1_T2_jT3_P12ihipStream_tbPNSt15iterator_traitsISI_E10value_typeEPNSO_ISJ_E10value_typeEPSK_NS1_7vsmem_tEENKUlT_SI_SJ_SK_E_clISD_PjSD_S10_EESH_SX_SI_SJ_SK_EUlSX_E0_NS1_11comp_targetILNS1_3genE2ELNS1_11target_archE906ELNS1_3gpuE6ELNS1_3repE0EEENS1_38merge_mergepath_config_static_selectorELNS0_4arch9wavefront6targetE1EEEvSJ_,"axG",@progbits,_ZN7rocprim17ROCPRIM_400000_NS6detail17trampoline_kernelINS0_14default_configENS1_38merge_sort_block_merge_config_selectorIjjEEZZNS1_27merge_sort_block_merge_implIS3_N6thrust23THRUST_200600_302600_NS6detail15normal_iteratorINS8_10device_ptrIjEEEESD_jNS1_19radix_merge_compareILb0ELb1EjNS0_19identity_decomposerEEEEE10hipError_tT0_T1_T2_jT3_P12ihipStream_tbPNSt15iterator_traitsISI_E10value_typeEPNSO_ISJ_E10value_typeEPSK_NS1_7vsmem_tEENKUlT_SI_SJ_SK_E_clISD_PjSD_S10_EESH_SX_SI_SJ_SK_EUlSX_E0_NS1_11comp_targetILNS1_3genE2ELNS1_11target_archE906ELNS1_3gpuE6ELNS1_3repE0EEENS1_38merge_mergepath_config_static_selectorELNS0_4arch9wavefront6targetE1EEEvSJ_,comdat
.Lfunc_end713:
	.size	_ZN7rocprim17ROCPRIM_400000_NS6detail17trampoline_kernelINS0_14default_configENS1_38merge_sort_block_merge_config_selectorIjjEEZZNS1_27merge_sort_block_merge_implIS3_N6thrust23THRUST_200600_302600_NS6detail15normal_iteratorINS8_10device_ptrIjEEEESD_jNS1_19radix_merge_compareILb0ELb1EjNS0_19identity_decomposerEEEEE10hipError_tT0_T1_T2_jT3_P12ihipStream_tbPNSt15iterator_traitsISI_E10value_typeEPNSO_ISJ_E10value_typeEPSK_NS1_7vsmem_tEENKUlT_SI_SJ_SK_E_clISD_PjSD_S10_EESH_SX_SI_SJ_SK_EUlSX_E0_NS1_11comp_targetILNS1_3genE2ELNS1_11target_archE906ELNS1_3gpuE6ELNS1_3repE0EEENS1_38merge_mergepath_config_static_selectorELNS0_4arch9wavefront6targetE1EEEvSJ_, .Lfunc_end713-_ZN7rocprim17ROCPRIM_400000_NS6detail17trampoline_kernelINS0_14default_configENS1_38merge_sort_block_merge_config_selectorIjjEEZZNS1_27merge_sort_block_merge_implIS3_N6thrust23THRUST_200600_302600_NS6detail15normal_iteratorINS8_10device_ptrIjEEEESD_jNS1_19radix_merge_compareILb0ELb1EjNS0_19identity_decomposerEEEEE10hipError_tT0_T1_T2_jT3_P12ihipStream_tbPNSt15iterator_traitsISI_E10value_typeEPNSO_ISJ_E10value_typeEPSK_NS1_7vsmem_tEENKUlT_SI_SJ_SK_E_clISD_PjSD_S10_EESH_SX_SI_SJ_SK_EUlSX_E0_NS1_11comp_targetILNS1_3genE2ELNS1_11target_archE906ELNS1_3gpuE6ELNS1_3repE0EEENS1_38merge_mergepath_config_static_selectorELNS0_4arch9wavefront6targetE1EEEvSJ_
                                        ; -- End function
	.set _ZN7rocprim17ROCPRIM_400000_NS6detail17trampoline_kernelINS0_14default_configENS1_38merge_sort_block_merge_config_selectorIjjEEZZNS1_27merge_sort_block_merge_implIS3_N6thrust23THRUST_200600_302600_NS6detail15normal_iteratorINS8_10device_ptrIjEEEESD_jNS1_19radix_merge_compareILb0ELb1EjNS0_19identity_decomposerEEEEE10hipError_tT0_T1_T2_jT3_P12ihipStream_tbPNSt15iterator_traitsISI_E10value_typeEPNSO_ISJ_E10value_typeEPSK_NS1_7vsmem_tEENKUlT_SI_SJ_SK_E_clISD_PjSD_S10_EESH_SX_SI_SJ_SK_EUlSX_E0_NS1_11comp_targetILNS1_3genE2ELNS1_11target_archE906ELNS1_3gpuE6ELNS1_3repE0EEENS1_38merge_mergepath_config_static_selectorELNS0_4arch9wavefront6targetE1EEEvSJ_.num_vgpr, 0
	.set _ZN7rocprim17ROCPRIM_400000_NS6detail17trampoline_kernelINS0_14default_configENS1_38merge_sort_block_merge_config_selectorIjjEEZZNS1_27merge_sort_block_merge_implIS3_N6thrust23THRUST_200600_302600_NS6detail15normal_iteratorINS8_10device_ptrIjEEEESD_jNS1_19radix_merge_compareILb0ELb1EjNS0_19identity_decomposerEEEEE10hipError_tT0_T1_T2_jT3_P12ihipStream_tbPNSt15iterator_traitsISI_E10value_typeEPNSO_ISJ_E10value_typeEPSK_NS1_7vsmem_tEENKUlT_SI_SJ_SK_E_clISD_PjSD_S10_EESH_SX_SI_SJ_SK_EUlSX_E0_NS1_11comp_targetILNS1_3genE2ELNS1_11target_archE906ELNS1_3gpuE6ELNS1_3repE0EEENS1_38merge_mergepath_config_static_selectorELNS0_4arch9wavefront6targetE1EEEvSJ_.num_agpr, 0
	.set _ZN7rocprim17ROCPRIM_400000_NS6detail17trampoline_kernelINS0_14default_configENS1_38merge_sort_block_merge_config_selectorIjjEEZZNS1_27merge_sort_block_merge_implIS3_N6thrust23THRUST_200600_302600_NS6detail15normal_iteratorINS8_10device_ptrIjEEEESD_jNS1_19radix_merge_compareILb0ELb1EjNS0_19identity_decomposerEEEEE10hipError_tT0_T1_T2_jT3_P12ihipStream_tbPNSt15iterator_traitsISI_E10value_typeEPNSO_ISJ_E10value_typeEPSK_NS1_7vsmem_tEENKUlT_SI_SJ_SK_E_clISD_PjSD_S10_EESH_SX_SI_SJ_SK_EUlSX_E0_NS1_11comp_targetILNS1_3genE2ELNS1_11target_archE906ELNS1_3gpuE6ELNS1_3repE0EEENS1_38merge_mergepath_config_static_selectorELNS0_4arch9wavefront6targetE1EEEvSJ_.numbered_sgpr, 0
	.set _ZN7rocprim17ROCPRIM_400000_NS6detail17trampoline_kernelINS0_14default_configENS1_38merge_sort_block_merge_config_selectorIjjEEZZNS1_27merge_sort_block_merge_implIS3_N6thrust23THRUST_200600_302600_NS6detail15normal_iteratorINS8_10device_ptrIjEEEESD_jNS1_19radix_merge_compareILb0ELb1EjNS0_19identity_decomposerEEEEE10hipError_tT0_T1_T2_jT3_P12ihipStream_tbPNSt15iterator_traitsISI_E10value_typeEPNSO_ISJ_E10value_typeEPSK_NS1_7vsmem_tEENKUlT_SI_SJ_SK_E_clISD_PjSD_S10_EESH_SX_SI_SJ_SK_EUlSX_E0_NS1_11comp_targetILNS1_3genE2ELNS1_11target_archE906ELNS1_3gpuE6ELNS1_3repE0EEENS1_38merge_mergepath_config_static_selectorELNS0_4arch9wavefront6targetE1EEEvSJ_.num_named_barrier, 0
	.set _ZN7rocprim17ROCPRIM_400000_NS6detail17trampoline_kernelINS0_14default_configENS1_38merge_sort_block_merge_config_selectorIjjEEZZNS1_27merge_sort_block_merge_implIS3_N6thrust23THRUST_200600_302600_NS6detail15normal_iteratorINS8_10device_ptrIjEEEESD_jNS1_19radix_merge_compareILb0ELb1EjNS0_19identity_decomposerEEEEE10hipError_tT0_T1_T2_jT3_P12ihipStream_tbPNSt15iterator_traitsISI_E10value_typeEPNSO_ISJ_E10value_typeEPSK_NS1_7vsmem_tEENKUlT_SI_SJ_SK_E_clISD_PjSD_S10_EESH_SX_SI_SJ_SK_EUlSX_E0_NS1_11comp_targetILNS1_3genE2ELNS1_11target_archE906ELNS1_3gpuE6ELNS1_3repE0EEENS1_38merge_mergepath_config_static_selectorELNS0_4arch9wavefront6targetE1EEEvSJ_.private_seg_size, 0
	.set _ZN7rocprim17ROCPRIM_400000_NS6detail17trampoline_kernelINS0_14default_configENS1_38merge_sort_block_merge_config_selectorIjjEEZZNS1_27merge_sort_block_merge_implIS3_N6thrust23THRUST_200600_302600_NS6detail15normal_iteratorINS8_10device_ptrIjEEEESD_jNS1_19radix_merge_compareILb0ELb1EjNS0_19identity_decomposerEEEEE10hipError_tT0_T1_T2_jT3_P12ihipStream_tbPNSt15iterator_traitsISI_E10value_typeEPNSO_ISJ_E10value_typeEPSK_NS1_7vsmem_tEENKUlT_SI_SJ_SK_E_clISD_PjSD_S10_EESH_SX_SI_SJ_SK_EUlSX_E0_NS1_11comp_targetILNS1_3genE2ELNS1_11target_archE906ELNS1_3gpuE6ELNS1_3repE0EEENS1_38merge_mergepath_config_static_selectorELNS0_4arch9wavefront6targetE1EEEvSJ_.uses_vcc, 0
	.set _ZN7rocprim17ROCPRIM_400000_NS6detail17trampoline_kernelINS0_14default_configENS1_38merge_sort_block_merge_config_selectorIjjEEZZNS1_27merge_sort_block_merge_implIS3_N6thrust23THRUST_200600_302600_NS6detail15normal_iteratorINS8_10device_ptrIjEEEESD_jNS1_19radix_merge_compareILb0ELb1EjNS0_19identity_decomposerEEEEE10hipError_tT0_T1_T2_jT3_P12ihipStream_tbPNSt15iterator_traitsISI_E10value_typeEPNSO_ISJ_E10value_typeEPSK_NS1_7vsmem_tEENKUlT_SI_SJ_SK_E_clISD_PjSD_S10_EESH_SX_SI_SJ_SK_EUlSX_E0_NS1_11comp_targetILNS1_3genE2ELNS1_11target_archE906ELNS1_3gpuE6ELNS1_3repE0EEENS1_38merge_mergepath_config_static_selectorELNS0_4arch9wavefront6targetE1EEEvSJ_.uses_flat_scratch, 0
	.set _ZN7rocprim17ROCPRIM_400000_NS6detail17trampoline_kernelINS0_14default_configENS1_38merge_sort_block_merge_config_selectorIjjEEZZNS1_27merge_sort_block_merge_implIS3_N6thrust23THRUST_200600_302600_NS6detail15normal_iteratorINS8_10device_ptrIjEEEESD_jNS1_19radix_merge_compareILb0ELb1EjNS0_19identity_decomposerEEEEE10hipError_tT0_T1_T2_jT3_P12ihipStream_tbPNSt15iterator_traitsISI_E10value_typeEPNSO_ISJ_E10value_typeEPSK_NS1_7vsmem_tEENKUlT_SI_SJ_SK_E_clISD_PjSD_S10_EESH_SX_SI_SJ_SK_EUlSX_E0_NS1_11comp_targetILNS1_3genE2ELNS1_11target_archE906ELNS1_3gpuE6ELNS1_3repE0EEENS1_38merge_mergepath_config_static_selectorELNS0_4arch9wavefront6targetE1EEEvSJ_.has_dyn_sized_stack, 0
	.set _ZN7rocprim17ROCPRIM_400000_NS6detail17trampoline_kernelINS0_14default_configENS1_38merge_sort_block_merge_config_selectorIjjEEZZNS1_27merge_sort_block_merge_implIS3_N6thrust23THRUST_200600_302600_NS6detail15normal_iteratorINS8_10device_ptrIjEEEESD_jNS1_19radix_merge_compareILb0ELb1EjNS0_19identity_decomposerEEEEE10hipError_tT0_T1_T2_jT3_P12ihipStream_tbPNSt15iterator_traitsISI_E10value_typeEPNSO_ISJ_E10value_typeEPSK_NS1_7vsmem_tEENKUlT_SI_SJ_SK_E_clISD_PjSD_S10_EESH_SX_SI_SJ_SK_EUlSX_E0_NS1_11comp_targetILNS1_3genE2ELNS1_11target_archE906ELNS1_3gpuE6ELNS1_3repE0EEENS1_38merge_mergepath_config_static_selectorELNS0_4arch9wavefront6targetE1EEEvSJ_.has_recursion, 0
	.set _ZN7rocprim17ROCPRIM_400000_NS6detail17trampoline_kernelINS0_14default_configENS1_38merge_sort_block_merge_config_selectorIjjEEZZNS1_27merge_sort_block_merge_implIS3_N6thrust23THRUST_200600_302600_NS6detail15normal_iteratorINS8_10device_ptrIjEEEESD_jNS1_19radix_merge_compareILb0ELb1EjNS0_19identity_decomposerEEEEE10hipError_tT0_T1_T2_jT3_P12ihipStream_tbPNSt15iterator_traitsISI_E10value_typeEPNSO_ISJ_E10value_typeEPSK_NS1_7vsmem_tEENKUlT_SI_SJ_SK_E_clISD_PjSD_S10_EESH_SX_SI_SJ_SK_EUlSX_E0_NS1_11comp_targetILNS1_3genE2ELNS1_11target_archE906ELNS1_3gpuE6ELNS1_3repE0EEENS1_38merge_mergepath_config_static_selectorELNS0_4arch9wavefront6targetE1EEEvSJ_.has_indirect_call, 0
	.section	.AMDGPU.csdata,"",@progbits
; Kernel info:
; codeLenInByte = 0
; TotalNumSgprs: 6
; NumVgprs: 0
; NumAgprs: 0
; TotalNumVgprs: 0
; ScratchSize: 0
; MemoryBound: 0
; FloatMode: 240
; IeeeMode: 1
; LDSByteSize: 0 bytes/workgroup (compile time only)
; SGPRBlocks: 0
; VGPRBlocks: 0
; NumSGPRsForWavesPerEU: 6
; NumVGPRsForWavesPerEU: 1
; AccumOffset: 4
; Occupancy: 8
; WaveLimiterHint : 0
; COMPUTE_PGM_RSRC2:SCRATCH_EN: 0
; COMPUTE_PGM_RSRC2:USER_SGPR: 2
; COMPUTE_PGM_RSRC2:TRAP_HANDLER: 0
; COMPUTE_PGM_RSRC2:TGID_X_EN: 1
; COMPUTE_PGM_RSRC2:TGID_Y_EN: 0
; COMPUTE_PGM_RSRC2:TGID_Z_EN: 0
; COMPUTE_PGM_RSRC2:TIDIG_COMP_CNT: 0
; COMPUTE_PGM_RSRC3_GFX90A:ACCUM_OFFSET: 0
; COMPUTE_PGM_RSRC3_GFX90A:TG_SPLIT: 0
	.section	.text._ZN7rocprim17ROCPRIM_400000_NS6detail17trampoline_kernelINS0_14default_configENS1_38merge_sort_block_merge_config_selectorIjjEEZZNS1_27merge_sort_block_merge_implIS3_N6thrust23THRUST_200600_302600_NS6detail15normal_iteratorINS8_10device_ptrIjEEEESD_jNS1_19radix_merge_compareILb0ELb1EjNS0_19identity_decomposerEEEEE10hipError_tT0_T1_T2_jT3_P12ihipStream_tbPNSt15iterator_traitsISI_E10value_typeEPNSO_ISJ_E10value_typeEPSK_NS1_7vsmem_tEENKUlT_SI_SJ_SK_E_clISD_PjSD_S10_EESH_SX_SI_SJ_SK_EUlSX_E0_NS1_11comp_targetILNS1_3genE9ELNS1_11target_archE1100ELNS1_3gpuE3ELNS1_3repE0EEENS1_38merge_mergepath_config_static_selectorELNS0_4arch9wavefront6targetE1EEEvSJ_,"axG",@progbits,_ZN7rocprim17ROCPRIM_400000_NS6detail17trampoline_kernelINS0_14default_configENS1_38merge_sort_block_merge_config_selectorIjjEEZZNS1_27merge_sort_block_merge_implIS3_N6thrust23THRUST_200600_302600_NS6detail15normal_iteratorINS8_10device_ptrIjEEEESD_jNS1_19radix_merge_compareILb0ELb1EjNS0_19identity_decomposerEEEEE10hipError_tT0_T1_T2_jT3_P12ihipStream_tbPNSt15iterator_traitsISI_E10value_typeEPNSO_ISJ_E10value_typeEPSK_NS1_7vsmem_tEENKUlT_SI_SJ_SK_E_clISD_PjSD_S10_EESH_SX_SI_SJ_SK_EUlSX_E0_NS1_11comp_targetILNS1_3genE9ELNS1_11target_archE1100ELNS1_3gpuE3ELNS1_3repE0EEENS1_38merge_mergepath_config_static_selectorELNS0_4arch9wavefront6targetE1EEEvSJ_,comdat
	.protected	_ZN7rocprim17ROCPRIM_400000_NS6detail17trampoline_kernelINS0_14default_configENS1_38merge_sort_block_merge_config_selectorIjjEEZZNS1_27merge_sort_block_merge_implIS3_N6thrust23THRUST_200600_302600_NS6detail15normal_iteratorINS8_10device_ptrIjEEEESD_jNS1_19radix_merge_compareILb0ELb1EjNS0_19identity_decomposerEEEEE10hipError_tT0_T1_T2_jT3_P12ihipStream_tbPNSt15iterator_traitsISI_E10value_typeEPNSO_ISJ_E10value_typeEPSK_NS1_7vsmem_tEENKUlT_SI_SJ_SK_E_clISD_PjSD_S10_EESH_SX_SI_SJ_SK_EUlSX_E0_NS1_11comp_targetILNS1_3genE9ELNS1_11target_archE1100ELNS1_3gpuE3ELNS1_3repE0EEENS1_38merge_mergepath_config_static_selectorELNS0_4arch9wavefront6targetE1EEEvSJ_ ; -- Begin function _ZN7rocprim17ROCPRIM_400000_NS6detail17trampoline_kernelINS0_14default_configENS1_38merge_sort_block_merge_config_selectorIjjEEZZNS1_27merge_sort_block_merge_implIS3_N6thrust23THRUST_200600_302600_NS6detail15normal_iteratorINS8_10device_ptrIjEEEESD_jNS1_19radix_merge_compareILb0ELb1EjNS0_19identity_decomposerEEEEE10hipError_tT0_T1_T2_jT3_P12ihipStream_tbPNSt15iterator_traitsISI_E10value_typeEPNSO_ISJ_E10value_typeEPSK_NS1_7vsmem_tEENKUlT_SI_SJ_SK_E_clISD_PjSD_S10_EESH_SX_SI_SJ_SK_EUlSX_E0_NS1_11comp_targetILNS1_3genE9ELNS1_11target_archE1100ELNS1_3gpuE3ELNS1_3repE0EEENS1_38merge_mergepath_config_static_selectorELNS0_4arch9wavefront6targetE1EEEvSJ_
	.globl	_ZN7rocprim17ROCPRIM_400000_NS6detail17trampoline_kernelINS0_14default_configENS1_38merge_sort_block_merge_config_selectorIjjEEZZNS1_27merge_sort_block_merge_implIS3_N6thrust23THRUST_200600_302600_NS6detail15normal_iteratorINS8_10device_ptrIjEEEESD_jNS1_19radix_merge_compareILb0ELb1EjNS0_19identity_decomposerEEEEE10hipError_tT0_T1_T2_jT3_P12ihipStream_tbPNSt15iterator_traitsISI_E10value_typeEPNSO_ISJ_E10value_typeEPSK_NS1_7vsmem_tEENKUlT_SI_SJ_SK_E_clISD_PjSD_S10_EESH_SX_SI_SJ_SK_EUlSX_E0_NS1_11comp_targetILNS1_3genE9ELNS1_11target_archE1100ELNS1_3gpuE3ELNS1_3repE0EEENS1_38merge_mergepath_config_static_selectorELNS0_4arch9wavefront6targetE1EEEvSJ_
	.p2align	8
	.type	_ZN7rocprim17ROCPRIM_400000_NS6detail17trampoline_kernelINS0_14default_configENS1_38merge_sort_block_merge_config_selectorIjjEEZZNS1_27merge_sort_block_merge_implIS3_N6thrust23THRUST_200600_302600_NS6detail15normal_iteratorINS8_10device_ptrIjEEEESD_jNS1_19radix_merge_compareILb0ELb1EjNS0_19identity_decomposerEEEEE10hipError_tT0_T1_T2_jT3_P12ihipStream_tbPNSt15iterator_traitsISI_E10value_typeEPNSO_ISJ_E10value_typeEPSK_NS1_7vsmem_tEENKUlT_SI_SJ_SK_E_clISD_PjSD_S10_EESH_SX_SI_SJ_SK_EUlSX_E0_NS1_11comp_targetILNS1_3genE9ELNS1_11target_archE1100ELNS1_3gpuE3ELNS1_3repE0EEENS1_38merge_mergepath_config_static_selectorELNS0_4arch9wavefront6targetE1EEEvSJ_,@function
_ZN7rocprim17ROCPRIM_400000_NS6detail17trampoline_kernelINS0_14default_configENS1_38merge_sort_block_merge_config_selectorIjjEEZZNS1_27merge_sort_block_merge_implIS3_N6thrust23THRUST_200600_302600_NS6detail15normal_iteratorINS8_10device_ptrIjEEEESD_jNS1_19radix_merge_compareILb0ELb1EjNS0_19identity_decomposerEEEEE10hipError_tT0_T1_T2_jT3_P12ihipStream_tbPNSt15iterator_traitsISI_E10value_typeEPNSO_ISJ_E10value_typeEPSK_NS1_7vsmem_tEENKUlT_SI_SJ_SK_E_clISD_PjSD_S10_EESH_SX_SI_SJ_SK_EUlSX_E0_NS1_11comp_targetILNS1_3genE9ELNS1_11target_archE1100ELNS1_3gpuE3ELNS1_3repE0EEENS1_38merge_mergepath_config_static_selectorELNS0_4arch9wavefront6targetE1EEEvSJ_: ; @_ZN7rocprim17ROCPRIM_400000_NS6detail17trampoline_kernelINS0_14default_configENS1_38merge_sort_block_merge_config_selectorIjjEEZZNS1_27merge_sort_block_merge_implIS3_N6thrust23THRUST_200600_302600_NS6detail15normal_iteratorINS8_10device_ptrIjEEEESD_jNS1_19radix_merge_compareILb0ELb1EjNS0_19identity_decomposerEEEEE10hipError_tT0_T1_T2_jT3_P12ihipStream_tbPNSt15iterator_traitsISI_E10value_typeEPNSO_ISJ_E10value_typeEPSK_NS1_7vsmem_tEENKUlT_SI_SJ_SK_E_clISD_PjSD_S10_EESH_SX_SI_SJ_SK_EUlSX_E0_NS1_11comp_targetILNS1_3genE9ELNS1_11target_archE1100ELNS1_3gpuE3ELNS1_3repE0EEENS1_38merge_mergepath_config_static_selectorELNS0_4arch9wavefront6targetE1EEEvSJ_
; %bb.0:
	.section	.rodata,"a",@progbits
	.p2align	6, 0x0
	.amdhsa_kernel _ZN7rocprim17ROCPRIM_400000_NS6detail17trampoline_kernelINS0_14default_configENS1_38merge_sort_block_merge_config_selectorIjjEEZZNS1_27merge_sort_block_merge_implIS3_N6thrust23THRUST_200600_302600_NS6detail15normal_iteratorINS8_10device_ptrIjEEEESD_jNS1_19radix_merge_compareILb0ELb1EjNS0_19identity_decomposerEEEEE10hipError_tT0_T1_T2_jT3_P12ihipStream_tbPNSt15iterator_traitsISI_E10value_typeEPNSO_ISJ_E10value_typeEPSK_NS1_7vsmem_tEENKUlT_SI_SJ_SK_E_clISD_PjSD_S10_EESH_SX_SI_SJ_SK_EUlSX_E0_NS1_11comp_targetILNS1_3genE9ELNS1_11target_archE1100ELNS1_3gpuE3ELNS1_3repE0EEENS1_38merge_mergepath_config_static_selectorELNS0_4arch9wavefront6targetE1EEEvSJ_
		.amdhsa_group_segment_fixed_size 0
		.amdhsa_private_segment_fixed_size 0
		.amdhsa_kernarg_size 64
		.amdhsa_user_sgpr_count 2
		.amdhsa_user_sgpr_dispatch_ptr 0
		.amdhsa_user_sgpr_queue_ptr 0
		.amdhsa_user_sgpr_kernarg_segment_ptr 1
		.amdhsa_user_sgpr_dispatch_id 0
		.amdhsa_user_sgpr_kernarg_preload_length 0
		.amdhsa_user_sgpr_kernarg_preload_offset 0
		.amdhsa_user_sgpr_private_segment_size 0
		.amdhsa_uses_dynamic_stack 0
		.amdhsa_enable_private_segment 0
		.amdhsa_system_sgpr_workgroup_id_x 1
		.amdhsa_system_sgpr_workgroup_id_y 0
		.amdhsa_system_sgpr_workgroup_id_z 0
		.amdhsa_system_sgpr_workgroup_info 0
		.amdhsa_system_vgpr_workitem_id 0
		.amdhsa_next_free_vgpr 1
		.amdhsa_next_free_sgpr 0
		.amdhsa_accum_offset 4
		.amdhsa_reserve_vcc 0
		.amdhsa_float_round_mode_32 0
		.amdhsa_float_round_mode_16_64 0
		.amdhsa_float_denorm_mode_32 3
		.amdhsa_float_denorm_mode_16_64 3
		.amdhsa_dx10_clamp 1
		.amdhsa_ieee_mode 1
		.amdhsa_fp16_overflow 0
		.amdhsa_tg_split 0
		.amdhsa_exception_fp_ieee_invalid_op 0
		.amdhsa_exception_fp_denorm_src 0
		.amdhsa_exception_fp_ieee_div_zero 0
		.amdhsa_exception_fp_ieee_overflow 0
		.amdhsa_exception_fp_ieee_underflow 0
		.amdhsa_exception_fp_ieee_inexact 0
		.amdhsa_exception_int_div_zero 0
	.end_amdhsa_kernel
	.section	.text._ZN7rocprim17ROCPRIM_400000_NS6detail17trampoline_kernelINS0_14default_configENS1_38merge_sort_block_merge_config_selectorIjjEEZZNS1_27merge_sort_block_merge_implIS3_N6thrust23THRUST_200600_302600_NS6detail15normal_iteratorINS8_10device_ptrIjEEEESD_jNS1_19radix_merge_compareILb0ELb1EjNS0_19identity_decomposerEEEEE10hipError_tT0_T1_T2_jT3_P12ihipStream_tbPNSt15iterator_traitsISI_E10value_typeEPNSO_ISJ_E10value_typeEPSK_NS1_7vsmem_tEENKUlT_SI_SJ_SK_E_clISD_PjSD_S10_EESH_SX_SI_SJ_SK_EUlSX_E0_NS1_11comp_targetILNS1_3genE9ELNS1_11target_archE1100ELNS1_3gpuE3ELNS1_3repE0EEENS1_38merge_mergepath_config_static_selectorELNS0_4arch9wavefront6targetE1EEEvSJ_,"axG",@progbits,_ZN7rocprim17ROCPRIM_400000_NS6detail17trampoline_kernelINS0_14default_configENS1_38merge_sort_block_merge_config_selectorIjjEEZZNS1_27merge_sort_block_merge_implIS3_N6thrust23THRUST_200600_302600_NS6detail15normal_iteratorINS8_10device_ptrIjEEEESD_jNS1_19radix_merge_compareILb0ELb1EjNS0_19identity_decomposerEEEEE10hipError_tT0_T1_T2_jT3_P12ihipStream_tbPNSt15iterator_traitsISI_E10value_typeEPNSO_ISJ_E10value_typeEPSK_NS1_7vsmem_tEENKUlT_SI_SJ_SK_E_clISD_PjSD_S10_EESH_SX_SI_SJ_SK_EUlSX_E0_NS1_11comp_targetILNS1_3genE9ELNS1_11target_archE1100ELNS1_3gpuE3ELNS1_3repE0EEENS1_38merge_mergepath_config_static_selectorELNS0_4arch9wavefront6targetE1EEEvSJ_,comdat
.Lfunc_end714:
	.size	_ZN7rocprim17ROCPRIM_400000_NS6detail17trampoline_kernelINS0_14default_configENS1_38merge_sort_block_merge_config_selectorIjjEEZZNS1_27merge_sort_block_merge_implIS3_N6thrust23THRUST_200600_302600_NS6detail15normal_iteratorINS8_10device_ptrIjEEEESD_jNS1_19radix_merge_compareILb0ELb1EjNS0_19identity_decomposerEEEEE10hipError_tT0_T1_T2_jT3_P12ihipStream_tbPNSt15iterator_traitsISI_E10value_typeEPNSO_ISJ_E10value_typeEPSK_NS1_7vsmem_tEENKUlT_SI_SJ_SK_E_clISD_PjSD_S10_EESH_SX_SI_SJ_SK_EUlSX_E0_NS1_11comp_targetILNS1_3genE9ELNS1_11target_archE1100ELNS1_3gpuE3ELNS1_3repE0EEENS1_38merge_mergepath_config_static_selectorELNS0_4arch9wavefront6targetE1EEEvSJ_, .Lfunc_end714-_ZN7rocprim17ROCPRIM_400000_NS6detail17trampoline_kernelINS0_14default_configENS1_38merge_sort_block_merge_config_selectorIjjEEZZNS1_27merge_sort_block_merge_implIS3_N6thrust23THRUST_200600_302600_NS6detail15normal_iteratorINS8_10device_ptrIjEEEESD_jNS1_19radix_merge_compareILb0ELb1EjNS0_19identity_decomposerEEEEE10hipError_tT0_T1_T2_jT3_P12ihipStream_tbPNSt15iterator_traitsISI_E10value_typeEPNSO_ISJ_E10value_typeEPSK_NS1_7vsmem_tEENKUlT_SI_SJ_SK_E_clISD_PjSD_S10_EESH_SX_SI_SJ_SK_EUlSX_E0_NS1_11comp_targetILNS1_3genE9ELNS1_11target_archE1100ELNS1_3gpuE3ELNS1_3repE0EEENS1_38merge_mergepath_config_static_selectorELNS0_4arch9wavefront6targetE1EEEvSJ_
                                        ; -- End function
	.set _ZN7rocprim17ROCPRIM_400000_NS6detail17trampoline_kernelINS0_14default_configENS1_38merge_sort_block_merge_config_selectorIjjEEZZNS1_27merge_sort_block_merge_implIS3_N6thrust23THRUST_200600_302600_NS6detail15normal_iteratorINS8_10device_ptrIjEEEESD_jNS1_19radix_merge_compareILb0ELb1EjNS0_19identity_decomposerEEEEE10hipError_tT0_T1_T2_jT3_P12ihipStream_tbPNSt15iterator_traitsISI_E10value_typeEPNSO_ISJ_E10value_typeEPSK_NS1_7vsmem_tEENKUlT_SI_SJ_SK_E_clISD_PjSD_S10_EESH_SX_SI_SJ_SK_EUlSX_E0_NS1_11comp_targetILNS1_3genE9ELNS1_11target_archE1100ELNS1_3gpuE3ELNS1_3repE0EEENS1_38merge_mergepath_config_static_selectorELNS0_4arch9wavefront6targetE1EEEvSJ_.num_vgpr, 0
	.set _ZN7rocprim17ROCPRIM_400000_NS6detail17trampoline_kernelINS0_14default_configENS1_38merge_sort_block_merge_config_selectorIjjEEZZNS1_27merge_sort_block_merge_implIS3_N6thrust23THRUST_200600_302600_NS6detail15normal_iteratorINS8_10device_ptrIjEEEESD_jNS1_19radix_merge_compareILb0ELb1EjNS0_19identity_decomposerEEEEE10hipError_tT0_T1_T2_jT3_P12ihipStream_tbPNSt15iterator_traitsISI_E10value_typeEPNSO_ISJ_E10value_typeEPSK_NS1_7vsmem_tEENKUlT_SI_SJ_SK_E_clISD_PjSD_S10_EESH_SX_SI_SJ_SK_EUlSX_E0_NS1_11comp_targetILNS1_3genE9ELNS1_11target_archE1100ELNS1_3gpuE3ELNS1_3repE0EEENS1_38merge_mergepath_config_static_selectorELNS0_4arch9wavefront6targetE1EEEvSJ_.num_agpr, 0
	.set _ZN7rocprim17ROCPRIM_400000_NS6detail17trampoline_kernelINS0_14default_configENS1_38merge_sort_block_merge_config_selectorIjjEEZZNS1_27merge_sort_block_merge_implIS3_N6thrust23THRUST_200600_302600_NS6detail15normal_iteratorINS8_10device_ptrIjEEEESD_jNS1_19radix_merge_compareILb0ELb1EjNS0_19identity_decomposerEEEEE10hipError_tT0_T1_T2_jT3_P12ihipStream_tbPNSt15iterator_traitsISI_E10value_typeEPNSO_ISJ_E10value_typeEPSK_NS1_7vsmem_tEENKUlT_SI_SJ_SK_E_clISD_PjSD_S10_EESH_SX_SI_SJ_SK_EUlSX_E0_NS1_11comp_targetILNS1_3genE9ELNS1_11target_archE1100ELNS1_3gpuE3ELNS1_3repE0EEENS1_38merge_mergepath_config_static_selectorELNS0_4arch9wavefront6targetE1EEEvSJ_.numbered_sgpr, 0
	.set _ZN7rocprim17ROCPRIM_400000_NS6detail17trampoline_kernelINS0_14default_configENS1_38merge_sort_block_merge_config_selectorIjjEEZZNS1_27merge_sort_block_merge_implIS3_N6thrust23THRUST_200600_302600_NS6detail15normal_iteratorINS8_10device_ptrIjEEEESD_jNS1_19radix_merge_compareILb0ELb1EjNS0_19identity_decomposerEEEEE10hipError_tT0_T1_T2_jT3_P12ihipStream_tbPNSt15iterator_traitsISI_E10value_typeEPNSO_ISJ_E10value_typeEPSK_NS1_7vsmem_tEENKUlT_SI_SJ_SK_E_clISD_PjSD_S10_EESH_SX_SI_SJ_SK_EUlSX_E0_NS1_11comp_targetILNS1_3genE9ELNS1_11target_archE1100ELNS1_3gpuE3ELNS1_3repE0EEENS1_38merge_mergepath_config_static_selectorELNS0_4arch9wavefront6targetE1EEEvSJ_.num_named_barrier, 0
	.set _ZN7rocprim17ROCPRIM_400000_NS6detail17trampoline_kernelINS0_14default_configENS1_38merge_sort_block_merge_config_selectorIjjEEZZNS1_27merge_sort_block_merge_implIS3_N6thrust23THRUST_200600_302600_NS6detail15normal_iteratorINS8_10device_ptrIjEEEESD_jNS1_19radix_merge_compareILb0ELb1EjNS0_19identity_decomposerEEEEE10hipError_tT0_T1_T2_jT3_P12ihipStream_tbPNSt15iterator_traitsISI_E10value_typeEPNSO_ISJ_E10value_typeEPSK_NS1_7vsmem_tEENKUlT_SI_SJ_SK_E_clISD_PjSD_S10_EESH_SX_SI_SJ_SK_EUlSX_E0_NS1_11comp_targetILNS1_3genE9ELNS1_11target_archE1100ELNS1_3gpuE3ELNS1_3repE0EEENS1_38merge_mergepath_config_static_selectorELNS0_4arch9wavefront6targetE1EEEvSJ_.private_seg_size, 0
	.set _ZN7rocprim17ROCPRIM_400000_NS6detail17trampoline_kernelINS0_14default_configENS1_38merge_sort_block_merge_config_selectorIjjEEZZNS1_27merge_sort_block_merge_implIS3_N6thrust23THRUST_200600_302600_NS6detail15normal_iteratorINS8_10device_ptrIjEEEESD_jNS1_19radix_merge_compareILb0ELb1EjNS0_19identity_decomposerEEEEE10hipError_tT0_T1_T2_jT3_P12ihipStream_tbPNSt15iterator_traitsISI_E10value_typeEPNSO_ISJ_E10value_typeEPSK_NS1_7vsmem_tEENKUlT_SI_SJ_SK_E_clISD_PjSD_S10_EESH_SX_SI_SJ_SK_EUlSX_E0_NS1_11comp_targetILNS1_3genE9ELNS1_11target_archE1100ELNS1_3gpuE3ELNS1_3repE0EEENS1_38merge_mergepath_config_static_selectorELNS0_4arch9wavefront6targetE1EEEvSJ_.uses_vcc, 0
	.set _ZN7rocprim17ROCPRIM_400000_NS6detail17trampoline_kernelINS0_14default_configENS1_38merge_sort_block_merge_config_selectorIjjEEZZNS1_27merge_sort_block_merge_implIS3_N6thrust23THRUST_200600_302600_NS6detail15normal_iteratorINS8_10device_ptrIjEEEESD_jNS1_19radix_merge_compareILb0ELb1EjNS0_19identity_decomposerEEEEE10hipError_tT0_T1_T2_jT3_P12ihipStream_tbPNSt15iterator_traitsISI_E10value_typeEPNSO_ISJ_E10value_typeEPSK_NS1_7vsmem_tEENKUlT_SI_SJ_SK_E_clISD_PjSD_S10_EESH_SX_SI_SJ_SK_EUlSX_E0_NS1_11comp_targetILNS1_3genE9ELNS1_11target_archE1100ELNS1_3gpuE3ELNS1_3repE0EEENS1_38merge_mergepath_config_static_selectorELNS0_4arch9wavefront6targetE1EEEvSJ_.uses_flat_scratch, 0
	.set _ZN7rocprim17ROCPRIM_400000_NS6detail17trampoline_kernelINS0_14default_configENS1_38merge_sort_block_merge_config_selectorIjjEEZZNS1_27merge_sort_block_merge_implIS3_N6thrust23THRUST_200600_302600_NS6detail15normal_iteratorINS8_10device_ptrIjEEEESD_jNS1_19radix_merge_compareILb0ELb1EjNS0_19identity_decomposerEEEEE10hipError_tT0_T1_T2_jT3_P12ihipStream_tbPNSt15iterator_traitsISI_E10value_typeEPNSO_ISJ_E10value_typeEPSK_NS1_7vsmem_tEENKUlT_SI_SJ_SK_E_clISD_PjSD_S10_EESH_SX_SI_SJ_SK_EUlSX_E0_NS1_11comp_targetILNS1_3genE9ELNS1_11target_archE1100ELNS1_3gpuE3ELNS1_3repE0EEENS1_38merge_mergepath_config_static_selectorELNS0_4arch9wavefront6targetE1EEEvSJ_.has_dyn_sized_stack, 0
	.set _ZN7rocprim17ROCPRIM_400000_NS6detail17trampoline_kernelINS0_14default_configENS1_38merge_sort_block_merge_config_selectorIjjEEZZNS1_27merge_sort_block_merge_implIS3_N6thrust23THRUST_200600_302600_NS6detail15normal_iteratorINS8_10device_ptrIjEEEESD_jNS1_19radix_merge_compareILb0ELb1EjNS0_19identity_decomposerEEEEE10hipError_tT0_T1_T2_jT3_P12ihipStream_tbPNSt15iterator_traitsISI_E10value_typeEPNSO_ISJ_E10value_typeEPSK_NS1_7vsmem_tEENKUlT_SI_SJ_SK_E_clISD_PjSD_S10_EESH_SX_SI_SJ_SK_EUlSX_E0_NS1_11comp_targetILNS1_3genE9ELNS1_11target_archE1100ELNS1_3gpuE3ELNS1_3repE0EEENS1_38merge_mergepath_config_static_selectorELNS0_4arch9wavefront6targetE1EEEvSJ_.has_recursion, 0
	.set _ZN7rocprim17ROCPRIM_400000_NS6detail17trampoline_kernelINS0_14default_configENS1_38merge_sort_block_merge_config_selectorIjjEEZZNS1_27merge_sort_block_merge_implIS3_N6thrust23THRUST_200600_302600_NS6detail15normal_iteratorINS8_10device_ptrIjEEEESD_jNS1_19radix_merge_compareILb0ELb1EjNS0_19identity_decomposerEEEEE10hipError_tT0_T1_T2_jT3_P12ihipStream_tbPNSt15iterator_traitsISI_E10value_typeEPNSO_ISJ_E10value_typeEPSK_NS1_7vsmem_tEENKUlT_SI_SJ_SK_E_clISD_PjSD_S10_EESH_SX_SI_SJ_SK_EUlSX_E0_NS1_11comp_targetILNS1_3genE9ELNS1_11target_archE1100ELNS1_3gpuE3ELNS1_3repE0EEENS1_38merge_mergepath_config_static_selectorELNS0_4arch9wavefront6targetE1EEEvSJ_.has_indirect_call, 0
	.section	.AMDGPU.csdata,"",@progbits
; Kernel info:
; codeLenInByte = 0
; TotalNumSgprs: 6
; NumVgprs: 0
; NumAgprs: 0
; TotalNumVgprs: 0
; ScratchSize: 0
; MemoryBound: 0
; FloatMode: 240
; IeeeMode: 1
; LDSByteSize: 0 bytes/workgroup (compile time only)
; SGPRBlocks: 0
; VGPRBlocks: 0
; NumSGPRsForWavesPerEU: 6
; NumVGPRsForWavesPerEU: 1
; AccumOffset: 4
; Occupancy: 8
; WaveLimiterHint : 0
; COMPUTE_PGM_RSRC2:SCRATCH_EN: 0
; COMPUTE_PGM_RSRC2:USER_SGPR: 2
; COMPUTE_PGM_RSRC2:TRAP_HANDLER: 0
; COMPUTE_PGM_RSRC2:TGID_X_EN: 1
; COMPUTE_PGM_RSRC2:TGID_Y_EN: 0
; COMPUTE_PGM_RSRC2:TGID_Z_EN: 0
; COMPUTE_PGM_RSRC2:TIDIG_COMP_CNT: 0
; COMPUTE_PGM_RSRC3_GFX90A:ACCUM_OFFSET: 0
; COMPUTE_PGM_RSRC3_GFX90A:TG_SPLIT: 0
	.section	.text._ZN7rocprim17ROCPRIM_400000_NS6detail17trampoline_kernelINS0_14default_configENS1_38merge_sort_block_merge_config_selectorIjjEEZZNS1_27merge_sort_block_merge_implIS3_N6thrust23THRUST_200600_302600_NS6detail15normal_iteratorINS8_10device_ptrIjEEEESD_jNS1_19radix_merge_compareILb0ELb1EjNS0_19identity_decomposerEEEEE10hipError_tT0_T1_T2_jT3_P12ihipStream_tbPNSt15iterator_traitsISI_E10value_typeEPNSO_ISJ_E10value_typeEPSK_NS1_7vsmem_tEENKUlT_SI_SJ_SK_E_clISD_PjSD_S10_EESH_SX_SI_SJ_SK_EUlSX_E0_NS1_11comp_targetILNS1_3genE8ELNS1_11target_archE1030ELNS1_3gpuE2ELNS1_3repE0EEENS1_38merge_mergepath_config_static_selectorELNS0_4arch9wavefront6targetE1EEEvSJ_,"axG",@progbits,_ZN7rocprim17ROCPRIM_400000_NS6detail17trampoline_kernelINS0_14default_configENS1_38merge_sort_block_merge_config_selectorIjjEEZZNS1_27merge_sort_block_merge_implIS3_N6thrust23THRUST_200600_302600_NS6detail15normal_iteratorINS8_10device_ptrIjEEEESD_jNS1_19radix_merge_compareILb0ELb1EjNS0_19identity_decomposerEEEEE10hipError_tT0_T1_T2_jT3_P12ihipStream_tbPNSt15iterator_traitsISI_E10value_typeEPNSO_ISJ_E10value_typeEPSK_NS1_7vsmem_tEENKUlT_SI_SJ_SK_E_clISD_PjSD_S10_EESH_SX_SI_SJ_SK_EUlSX_E0_NS1_11comp_targetILNS1_3genE8ELNS1_11target_archE1030ELNS1_3gpuE2ELNS1_3repE0EEENS1_38merge_mergepath_config_static_selectorELNS0_4arch9wavefront6targetE1EEEvSJ_,comdat
	.protected	_ZN7rocprim17ROCPRIM_400000_NS6detail17trampoline_kernelINS0_14default_configENS1_38merge_sort_block_merge_config_selectorIjjEEZZNS1_27merge_sort_block_merge_implIS3_N6thrust23THRUST_200600_302600_NS6detail15normal_iteratorINS8_10device_ptrIjEEEESD_jNS1_19radix_merge_compareILb0ELb1EjNS0_19identity_decomposerEEEEE10hipError_tT0_T1_T2_jT3_P12ihipStream_tbPNSt15iterator_traitsISI_E10value_typeEPNSO_ISJ_E10value_typeEPSK_NS1_7vsmem_tEENKUlT_SI_SJ_SK_E_clISD_PjSD_S10_EESH_SX_SI_SJ_SK_EUlSX_E0_NS1_11comp_targetILNS1_3genE8ELNS1_11target_archE1030ELNS1_3gpuE2ELNS1_3repE0EEENS1_38merge_mergepath_config_static_selectorELNS0_4arch9wavefront6targetE1EEEvSJ_ ; -- Begin function _ZN7rocprim17ROCPRIM_400000_NS6detail17trampoline_kernelINS0_14default_configENS1_38merge_sort_block_merge_config_selectorIjjEEZZNS1_27merge_sort_block_merge_implIS3_N6thrust23THRUST_200600_302600_NS6detail15normal_iteratorINS8_10device_ptrIjEEEESD_jNS1_19radix_merge_compareILb0ELb1EjNS0_19identity_decomposerEEEEE10hipError_tT0_T1_T2_jT3_P12ihipStream_tbPNSt15iterator_traitsISI_E10value_typeEPNSO_ISJ_E10value_typeEPSK_NS1_7vsmem_tEENKUlT_SI_SJ_SK_E_clISD_PjSD_S10_EESH_SX_SI_SJ_SK_EUlSX_E0_NS1_11comp_targetILNS1_3genE8ELNS1_11target_archE1030ELNS1_3gpuE2ELNS1_3repE0EEENS1_38merge_mergepath_config_static_selectorELNS0_4arch9wavefront6targetE1EEEvSJ_
	.globl	_ZN7rocprim17ROCPRIM_400000_NS6detail17trampoline_kernelINS0_14default_configENS1_38merge_sort_block_merge_config_selectorIjjEEZZNS1_27merge_sort_block_merge_implIS3_N6thrust23THRUST_200600_302600_NS6detail15normal_iteratorINS8_10device_ptrIjEEEESD_jNS1_19radix_merge_compareILb0ELb1EjNS0_19identity_decomposerEEEEE10hipError_tT0_T1_T2_jT3_P12ihipStream_tbPNSt15iterator_traitsISI_E10value_typeEPNSO_ISJ_E10value_typeEPSK_NS1_7vsmem_tEENKUlT_SI_SJ_SK_E_clISD_PjSD_S10_EESH_SX_SI_SJ_SK_EUlSX_E0_NS1_11comp_targetILNS1_3genE8ELNS1_11target_archE1030ELNS1_3gpuE2ELNS1_3repE0EEENS1_38merge_mergepath_config_static_selectorELNS0_4arch9wavefront6targetE1EEEvSJ_
	.p2align	8
	.type	_ZN7rocprim17ROCPRIM_400000_NS6detail17trampoline_kernelINS0_14default_configENS1_38merge_sort_block_merge_config_selectorIjjEEZZNS1_27merge_sort_block_merge_implIS3_N6thrust23THRUST_200600_302600_NS6detail15normal_iteratorINS8_10device_ptrIjEEEESD_jNS1_19radix_merge_compareILb0ELb1EjNS0_19identity_decomposerEEEEE10hipError_tT0_T1_T2_jT3_P12ihipStream_tbPNSt15iterator_traitsISI_E10value_typeEPNSO_ISJ_E10value_typeEPSK_NS1_7vsmem_tEENKUlT_SI_SJ_SK_E_clISD_PjSD_S10_EESH_SX_SI_SJ_SK_EUlSX_E0_NS1_11comp_targetILNS1_3genE8ELNS1_11target_archE1030ELNS1_3gpuE2ELNS1_3repE0EEENS1_38merge_mergepath_config_static_selectorELNS0_4arch9wavefront6targetE1EEEvSJ_,@function
_ZN7rocprim17ROCPRIM_400000_NS6detail17trampoline_kernelINS0_14default_configENS1_38merge_sort_block_merge_config_selectorIjjEEZZNS1_27merge_sort_block_merge_implIS3_N6thrust23THRUST_200600_302600_NS6detail15normal_iteratorINS8_10device_ptrIjEEEESD_jNS1_19radix_merge_compareILb0ELb1EjNS0_19identity_decomposerEEEEE10hipError_tT0_T1_T2_jT3_P12ihipStream_tbPNSt15iterator_traitsISI_E10value_typeEPNSO_ISJ_E10value_typeEPSK_NS1_7vsmem_tEENKUlT_SI_SJ_SK_E_clISD_PjSD_S10_EESH_SX_SI_SJ_SK_EUlSX_E0_NS1_11comp_targetILNS1_3genE8ELNS1_11target_archE1030ELNS1_3gpuE2ELNS1_3repE0EEENS1_38merge_mergepath_config_static_selectorELNS0_4arch9wavefront6targetE1EEEvSJ_: ; @_ZN7rocprim17ROCPRIM_400000_NS6detail17trampoline_kernelINS0_14default_configENS1_38merge_sort_block_merge_config_selectorIjjEEZZNS1_27merge_sort_block_merge_implIS3_N6thrust23THRUST_200600_302600_NS6detail15normal_iteratorINS8_10device_ptrIjEEEESD_jNS1_19radix_merge_compareILb0ELb1EjNS0_19identity_decomposerEEEEE10hipError_tT0_T1_T2_jT3_P12ihipStream_tbPNSt15iterator_traitsISI_E10value_typeEPNSO_ISJ_E10value_typeEPSK_NS1_7vsmem_tEENKUlT_SI_SJ_SK_E_clISD_PjSD_S10_EESH_SX_SI_SJ_SK_EUlSX_E0_NS1_11comp_targetILNS1_3genE8ELNS1_11target_archE1030ELNS1_3gpuE2ELNS1_3repE0EEENS1_38merge_mergepath_config_static_selectorELNS0_4arch9wavefront6targetE1EEEvSJ_
; %bb.0:
	.section	.rodata,"a",@progbits
	.p2align	6, 0x0
	.amdhsa_kernel _ZN7rocprim17ROCPRIM_400000_NS6detail17trampoline_kernelINS0_14default_configENS1_38merge_sort_block_merge_config_selectorIjjEEZZNS1_27merge_sort_block_merge_implIS3_N6thrust23THRUST_200600_302600_NS6detail15normal_iteratorINS8_10device_ptrIjEEEESD_jNS1_19radix_merge_compareILb0ELb1EjNS0_19identity_decomposerEEEEE10hipError_tT0_T1_T2_jT3_P12ihipStream_tbPNSt15iterator_traitsISI_E10value_typeEPNSO_ISJ_E10value_typeEPSK_NS1_7vsmem_tEENKUlT_SI_SJ_SK_E_clISD_PjSD_S10_EESH_SX_SI_SJ_SK_EUlSX_E0_NS1_11comp_targetILNS1_3genE8ELNS1_11target_archE1030ELNS1_3gpuE2ELNS1_3repE0EEENS1_38merge_mergepath_config_static_selectorELNS0_4arch9wavefront6targetE1EEEvSJ_
		.amdhsa_group_segment_fixed_size 0
		.amdhsa_private_segment_fixed_size 0
		.amdhsa_kernarg_size 64
		.amdhsa_user_sgpr_count 2
		.amdhsa_user_sgpr_dispatch_ptr 0
		.amdhsa_user_sgpr_queue_ptr 0
		.amdhsa_user_sgpr_kernarg_segment_ptr 1
		.amdhsa_user_sgpr_dispatch_id 0
		.amdhsa_user_sgpr_kernarg_preload_length 0
		.amdhsa_user_sgpr_kernarg_preload_offset 0
		.amdhsa_user_sgpr_private_segment_size 0
		.amdhsa_uses_dynamic_stack 0
		.amdhsa_enable_private_segment 0
		.amdhsa_system_sgpr_workgroup_id_x 1
		.amdhsa_system_sgpr_workgroup_id_y 0
		.amdhsa_system_sgpr_workgroup_id_z 0
		.amdhsa_system_sgpr_workgroup_info 0
		.amdhsa_system_vgpr_workitem_id 0
		.amdhsa_next_free_vgpr 1
		.amdhsa_next_free_sgpr 0
		.amdhsa_accum_offset 4
		.amdhsa_reserve_vcc 0
		.amdhsa_float_round_mode_32 0
		.amdhsa_float_round_mode_16_64 0
		.amdhsa_float_denorm_mode_32 3
		.amdhsa_float_denorm_mode_16_64 3
		.amdhsa_dx10_clamp 1
		.amdhsa_ieee_mode 1
		.amdhsa_fp16_overflow 0
		.amdhsa_tg_split 0
		.amdhsa_exception_fp_ieee_invalid_op 0
		.amdhsa_exception_fp_denorm_src 0
		.amdhsa_exception_fp_ieee_div_zero 0
		.amdhsa_exception_fp_ieee_overflow 0
		.amdhsa_exception_fp_ieee_underflow 0
		.amdhsa_exception_fp_ieee_inexact 0
		.amdhsa_exception_int_div_zero 0
	.end_amdhsa_kernel
	.section	.text._ZN7rocprim17ROCPRIM_400000_NS6detail17trampoline_kernelINS0_14default_configENS1_38merge_sort_block_merge_config_selectorIjjEEZZNS1_27merge_sort_block_merge_implIS3_N6thrust23THRUST_200600_302600_NS6detail15normal_iteratorINS8_10device_ptrIjEEEESD_jNS1_19radix_merge_compareILb0ELb1EjNS0_19identity_decomposerEEEEE10hipError_tT0_T1_T2_jT3_P12ihipStream_tbPNSt15iterator_traitsISI_E10value_typeEPNSO_ISJ_E10value_typeEPSK_NS1_7vsmem_tEENKUlT_SI_SJ_SK_E_clISD_PjSD_S10_EESH_SX_SI_SJ_SK_EUlSX_E0_NS1_11comp_targetILNS1_3genE8ELNS1_11target_archE1030ELNS1_3gpuE2ELNS1_3repE0EEENS1_38merge_mergepath_config_static_selectorELNS0_4arch9wavefront6targetE1EEEvSJ_,"axG",@progbits,_ZN7rocprim17ROCPRIM_400000_NS6detail17trampoline_kernelINS0_14default_configENS1_38merge_sort_block_merge_config_selectorIjjEEZZNS1_27merge_sort_block_merge_implIS3_N6thrust23THRUST_200600_302600_NS6detail15normal_iteratorINS8_10device_ptrIjEEEESD_jNS1_19radix_merge_compareILb0ELb1EjNS0_19identity_decomposerEEEEE10hipError_tT0_T1_T2_jT3_P12ihipStream_tbPNSt15iterator_traitsISI_E10value_typeEPNSO_ISJ_E10value_typeEPSK_NS1_7vsmem_tEENKUlT_SI_SJ_SK_E_clISD_PjSD_S10_EESH_SX_SI_SJ_SK_EUlSX_E0_NS1_11comp_targetILNS1_3genE8ELNS1_11target_archE1030ELNS1_3gpuE2ELNS1_3repE0EEENS1_38merge_mergepath_config_static_selectorELNS0_4arch9wavefront6targetE1EEEvSJ_,comdat
.Lfunc_end715:
	.size	_ZN7rocprim17ROCPRIM_400000_NS6detail17trampoline_kernelINS0_14default_configENS1_38merge_sort_block_merge_config_selectorIjjEEZZNS1_27merge_sort_block_merge_implIS3_N6thrust23THRUST_200600_302600_NS6detail15normal_iteratorINS8_10device_ptrIjEEEESD_jNS1_19radix_merge_compareILb0ELb1EjNS0_19identity_decomposerEEEEE10hipError_tT0_T1_T2_jT3_P12ihipStream_tbPNSt15iterator_traitsISI_E10value_typeEPNSO_ISJ_E10value_typeEPSK_NS1_7vsmem_tEENKUlT_SI_SJ_SK_E_clISD_PjSD_S10_EESH_SX_SI_SJ_SK_EUlSX_E0_NS1_11comp_targetILNS1_3genE8ELNS1_11target_archE1030ELNS1_3gpuE2ELNS1_3repE0EEENS1_38merge_mergepath_config_static_selectorELNS0_4arch9wavefront6targetE1EEEvSJ_, .Lfunc_end715-_ZN7rocprim17ROCPRIM_400000_NS6detail17trampoline_kernelINS0_14default_configENS1_38merge_sort_block_merge_config_selectorIjjEEZZNS1_27merge_sort_block_merge_implIS3_N6thrust23THRUST_200600_302600_NS6detail15normal_iteratorINS8_10device_ptrIjEEEESD_jNS1_19radix_merge_compareILb0ELb1EjNS0_19identity_decomposerEEEEE10hipError_tT0_T1_T2_jT3_P12ihipStream_tbPNSt15iterator_traitsISI_E10value_typeEPNSO_ISJ_E10value_typeEPSK_NS1_7vsmem_tEENKUlT_SI_SJ_SK_E_clISD_PjSD_S10_EESH_SX_SI_SJ_SK_EUlSX_E0_NS1_11comp_targetILNS1_3genE8ELNS1_11target_archE1030ELNS1_3gpuE2ELNS1_3repE0EEENS1_38merge_mergepath_config_static_selectorELNS0_4arch9wavefront6targetE1EEEvSJ_
                                        ; -- End function
	.set _ZN7rocprim17ROCPRIM_400000_NS6detail17trampoline_kernelINS0_14default_configENS1_38merge_sort_block_merge_config_selectorIjjEEZZNS1_27merge_sort_block_merge_implIS3_N6thrust23THRUST_200600_302600_NS6detail15normal_iteratorINS8_10device_ptrIjEEEESD_jNS1_19radix_merge_compareILb0ELb1EjNS0_19identity_decomposerEEEEE10hipError_tT0_T1_T2_jT3_P12ihipStream_tbPNSt15iterator_traitsISI_E10value_typeEPNSO_ISJ_E10value_typeEPSK_NS1_7vsmem_tEENKUlT_SI_SJ_SK_E_clISD_PjSD_S10_EESH_SX_SI_SJ_SK_EUlSX_E0_NS1_11comp_targetILNS1_3genE8ELNS1_11target_archE1030ELNS1_3gpuE2ELNS1_3repE0EEENS1_38merge_mergepath_config_static_selectorELNS0_4arch9wavefront6targetE1EEEvSJ_.num_vgpr, 0
	.set _ZN7rocprim17ROCPRIM_400000_NS6detail17trampoline_kernelINS0_14default_configENS1_38merge_sort_block_merge_config_selectorIjjEEZZNS1_27merge_sort_block_merge_implIS3_N6thrust23THRUST_200600_302600_NS6detail15normal_iteratorINS8_10device_ptrIjEEEESD_jNS1_19radix_merge_compareILb0ELb1EjNS0_19identity_decomposerEEEEE10hipError_tT0_T1_T2_jT3_P12ihipStream_tbPNSt15iterator_traitsISI_E10value_typeEPNSO_ISJ_E10value_typeEPSK_NS1_7vsmem_tEENKUlT_SI_SJ_SK_E_clISD_PjSD_S10_EESH_SX_SI_SJ_SK_EUlSX_E0_NS1_11comp_targetILNS1_3genE8ELNS1_11target_archE1030ELNS1_3gpuE2ELNS1_3repE0EEENS1_38merge_mergepath_config_static_selectorELNS0_4arch9wavefront6targetE1EEEvSJ_.num_agpr, 0
	.set _ZN7rocprim17ROCPRIM_400000_NS6detail17trampoline_kernelINS0_14default_configENS1_38merge_sort_block_merge_config_selectorIjjEEZZNS1_27merge_sort_block_merge_implIS3_N6thrust23THRUST_200600_302600_NS6detail15normal_iteratorINS8_10device_ptrIjEEEESD_jNS1_19radix_merge_compareILb0ELb1EjNS0_19identity_decomposerEEEEE10hipError_tT0_T1_T2_jT3_P12ihipStream_tbPNSt15iterator_traitsISI_E10value_typeEPNSO_ISJ_E10value_typeEPSK_NS1_7vsmem_tEENKUlT_SI_SJ_SK_E_clISD_PjSD_S10_EESH_SX_SI_SJ_SK_EUlSX_E0_NS1_11comp_targetILNS1_3genE8ELNS1_11target_archE1030ELNS1_3gpuE2ELNS1_3repE0EEENS1_38merge_mergepath_config_static_selectorELNS0_4arch9wavefront6targetE1EEEvSJ_.numbered_sgpr, 0
	.set _ZN7rocprim17ROCPRIM_400000_NS6detail17trampoline_kernelINS0_14default_configENS1_38merge_sort_block_merge_config_selectorIjjEEZZNS1_27merge_sort_block_merge_implIS3_N6thrust23THRUST_200600_302600_NS6detail15normal_iteratorINS8_10device_ptrIjEEEESD_jNS1_19radix_merge_compareILb0ELb1EjNS0_19identity_decomposerEEEEE10hipError_tT0_T1_T2_jT3_P12ihipStream_tbPNSt15iterator_traitsISI_E10value_typeEPNSO_ISJ_E10value_typeEPSK_NS1_7vsmem_tEENKUlT_SI_SJ_SK_E_clISD_PjSD_S10_EESH_SX_SI_SJ_SK_EUlSX_E0_NS1_11comp_targetILNS1_3genE8ELNS1_11target_archE1030ELNS1_3gpuE2ELNS1_3repE0EEENS1_38merge_mergepath_config_static_selectorELNS0_4arch9wavefront6targetE1EEEvSJ_.num_named_barrier, 0
	.set _ZN7rocprim17ROCPRIM_400000_NS6detail17trampoline_kernelINS0_14default_configENS1_38merge_sort_block_merge_config_selectorIjjEEZZNS1_27merge_sort_block_merge_implIS3_N6thrust23THRUST_200600_302600_NS6detail15normal_iteratorINS8_10device_ptrIjEEEESD_jNS1_19radix_merge_compareILb0ELb1EjNS0_19identity_decomposerEEEEE10hipError_tT0_T1_T2_jT3_P12ihipStream_tbPNSt15iterator_traitsISI_E10value_typeEPNSO_ISJ_E10value_typeEPSK_NS1_7vsmem_tEENKUlT_SI_SJ_SK_E_clISD_PjSD_S10_EESH_SX_SI_SJ_SK_EUlSX_E0_NS1_11comp_targetILNS1_3genE8ELNS1_11target_archE1030ELNS1_3gpuE2ELNS1_3repE0EEENS1_38merge_mergepath_config_static_selectorELNS0_4arch9wavefront6targetE1EEEvSJ_.private_seg_size, 0
	.set _ZN7rocprim17ROCPRIM_400000_NS6detail17trampoline_kernelINS0_14default_configENS1_38merge_sort_block_merge_config_selectorIjjEEZZNS1_27merge_sort_block_merge_implIS3_N6thrust23THRUST_200600_302600_NS6detail15normal_iteratorINS8_10device_ptrIjEEEESD_jNS1_19radix_merge_compareILb0ELb1EjNS0_19identity_decomposerEEEEE10hipError_tT0_T1_T2_jT3_P12ihipStream_tbPNSt15iterator_traitsISI_E10value_typeEPNSO_ISJ_E10value_typeEPSK_NS1_7vsmem_tEENKUlT_SI_SJ_SK_E_clISD_PjSD_S10_EESH_SX_SI_SJ_SK_EUlSX_E0_NS1_11comp_targetILNS1_3genE8ELNS1_11target_archE1030ELNS1_3gpuE2ELNS1_3repE0EEENS1_38merge_mergepath_config_static_selectorELNS0_4arch9wavefront6targetE1EEEvSJ_.uses_vcc, 0
	.set _ZN7rocprim17ROCPRIM_400000_NS6detail17trampoline_kernelINS0_14default_configENS1_38merge_sort_block_merge_config_selectorIjjEEZZNS1_27merge_sort_block_merge_implIS3_N6thrust23THRUST_200600_302600_NS6detail15normal_iteratorINS8_10device_ptrIjEEEESD_jNS1_19radix_merge_compareILb0ELb1EjNS0_19identity_decomposerEEEEE10hipError_tT0_T1_T2_jT3_P12ihipStream_tbPNSt15iterator_traitsISI_E10value_typeEPNSO_ISJ_E10value_typeEPSK_NS1_7vsmem_tEENKUlT_SI_SJ_SK_E_clISD_PjSD_S10_EESH_SX_SI_SJ_SK_EUlSX_E0_NS1_11comp_targetILNS1_3genE8ELNS1_11target_archE1030ELNS1_3gpuE2ELNS1_3repE0EEENS1_38merge_mergepath_config_static_selectorELNS0_4arch9wavefront6targetE1EEEvSJ_.uses_flat_scratch, 0
	.set _ZN7rocprim17ROCPRIM_400000_NS6detail17trampoline_kernelINS0_14default_configENS1_38merge_sort_block_merge_config_selectorIjjEEZZNS1_27merge_sort_block_merge_implIS3_N6thrust23THRUST_200600_302600_NS6detail15normal_iteratorINS8_10device_ptrIjEEEESD_jNS1_19radix_merge_compareILb0ELb1EjNS0_19identity_decomposerEEEEE10hipError_tT0_T1_T2_jT3_P12ihipStream_tbPNSt15iterator_traitsISI_E10value_typeEPNSO_ISJ_E10value_typeEPSK_NS1_7vsmem_tEENKUlT_SI_SJ_SK_E_clISD_PjSD_S10_EESH_SX_SI_SJ_SK_EUlSX_E0_NS1_11comp_targetILNS1_3genE8ELNS1_11target_archE1030ELNS1_3gpuE2ELNS1_3repE0EEENS1_38merge_mergepath_config_static_selectorELNS0_4arch9wavefront6targetE1EEEvSJ_.has_dyn_sized_stack, 0
	.set _ZN7rocprim17ROCPRIM_400000_NS6detail17trampoline_kernelINS0_14default_configENS1_38merge_sort_block_merge_config_selectorIjjEEZZNS1_27merge_sort_block_merge_implIS3_N6thrust23THRUST_200600_302600_NS6detail15normal_iteratorINS8_10device_ptrIjEEEESD_jNS1_19radix_merge_compareILb0ELb1EjNS0_19identity_decomposerEEEEE10hipError_tT0_T1_T2_jT3_P12ihipStream_tbPNSt15iterator_traitsISI_E10value_typeEPNSO_ISJ_E10value_typeEPSK_NS1_7vsmem_tEENKUlT_SI_SJ_SK_E_clISD_PjSD_S10_EESH_SX_SI_SJ_SK_EUlSX_E0_NS1_11comp_targetILNS1_3genE8ELNS1_11target_archE1030ELNS1_3gpuE2ELNS1_3repE0EEENS1_38merge_mergepath_config_static_selectorELNS0_4arch9wavefront6targetE1EEEvSJ_.has_recursion, 0
	.set _ZN7rocprim17ROCPRIM_400000_NS6detail17trampoline_kernelINS0_14default_configENS1_38merge_sort_block_merge_config_selectorIjjEEZZNS1_27merge_sort_block_merge_implIS3_N6thrust23THRUST_200600_302600_NS6detail15normal_iteratorINS8_10device_ptrIjEEEESD_jNS1_19radix_merge_compareILb0ELb1EjNS0_19identity_decomposerEEEEE10hipError_tT0_T1_T2_jT3_P12ihipStream_tbPNSt15iterator_traitsISI_E10value_typeEPNSO_ISJ_E10value_typeEPSK_NS1_7vsmem_tEENKUlT_SI_SJ_SK_E_clISD_PjSD_S10_EESH_SX_SI_SJ_SK_EUlSX_E0_NS1_11comp_targetILNS1_3genE8ELNS1_11target_archE1030ELNS1_3gpuE2ELNS1_3repE0EEENS1_38merge_mergepath_config_static_selectorELNS0_4arch9wavefront6targetE1EEEvSJ_.has_indirect_call, 0
	.section	.AMDGPU.csdata,"",@progbits
; Kernel info:
; codeLenInByte = 0
; TotalNumSgprs: 6
; NumVgprs: 0
; NumAgprs: 0
; TotalNumVgprs: 0
; ScratchSize: 0
; MemoryBound: 0
; FloatMode: 240
; IeeeMode: 1
; LDSByteSize: 0 bytes/workgroup (compile time only)
; SGPRBlocks: 0
; VGPRBlocks: 0
; NumSGPRsForWavesPerEU: 6
; NumVGPRsForWavesPerEU: 1
; AccumOffset: 4
; Occupancy: 8
; WaveLimiterHint : 0
; COMPUTE_PGM_RSRC2:SCRATCH_EN: 0
; COMPUTE_PGM_RSRC2:USER_SGPR: 2
; COMPUTE_PGM_RSRC2:TRAP_HANDLER: 0
; COMPUTE_PGM_RSRC2:TGID_X_EN: 1
; COMPUTE_PGM_RSRC2:TGID_Y_EN: 0
; COMPUTE_PGM_RSRC2:TGID_Z_EN: 0
; COMPUTE_PGM_RSRC2:TIDIG_COMP_CNT: 0
; COMPUTE_PGM_RSRC3_GFX90A:ACCUM_OFFSET: 0
; COMPUTE_PGM_RSRC3_GFX90A:TG_SPLIT: 0
	.section	.text._ZN7rocprim17ROCPRIM_400000_NS6detail17trampoline_kernelINS0_14default_configENS1_38merge_sort_block_merge_config_selectorIjjEEZZNS1_27merge_sort_block_merge_implIS3_N6thrust23THRUST_200600_302600_NS6detail15normal_iteratorINS8_10device_ptrIjEEEESD_jNS1_19radix_merge_compareILb0ELb1EjNS0_19identity_decomposerEEEEE10hipError_tT0_T1_T2_jT3_P12ihipStream_tbPNSt15iterator_traitsISI_E10value_typeEPNSO_ISJ_E10value_typeEPSK_NS1_7vsmem_tEENKUlT_SI_SJ_SK_E_clISD_PjSD_S10_EESH_SX_SI_SJ_SK_EUlSX_E1_NS1_11comp_targetILNS1_3genE0ELNS1_11target_archE4294967295ELNS1_3gpuE0ELNS1_3repE0EEENS1_36merge_oddeven_config_static_selectorELNS0_4arch9wavefront6targetE1EEEvSJ_,"axG",@progbits,_ZN7rocprim17ROCPRIM_400000_NS6detail17trampoline_kernelINS0_14default_configENS1_38merge_sort_block_merge_config_selectorIjjEEZZNS1_27merge_sort_block_merge_implIS3_N6thrust23THRUST_200600_302600_NS6detail15normal_iteratorINS8_10device_ptrIjEEEESD_jNS1_19radix_merge_compareILb0ELb1EjNS0_19identity_decomposerEEEEE10hipError_tT0_T1_T2_jT3_P12ihipStream_tbPNSt15iterator_traitsISI_E10value_typeEPNSO_ISJ_E10value_typeEPSK_NS1_7vsmem_tEENKUlT_SI_SJ_SK_E_clISD_PjSD_S10_EESH_SX_SI_SJ_SK_EUlSX_E1_NS1_11comp_targetILNS1_3genE0ELNS1_11target_archE4294967295ELNS1_3gpuE0ELNS1_3repE0EEENS1_36merge_oddeven_config_static_selectorELNS0_4arch9wavefront6targetE1EEEvSJ_,comdat
	.protected	_ZN7rocprim17ROCPRIM_400000_NS6detail17trampoline_kernelINS0_14default_configENS1_38merge_sort_block_merge_config_selectorIjjEEZZNS1_27merge_sort_block_merge_implIS3_N6thrust23THRUST_200600_302600_NS6detail15normal_iteratorINS8_10device_ptrIjEEEESD_jNS1_19radix_merge_compareILb0ELb1EjNS0_19identity_decomposerEEEEE10hipError_tT0_T1_T2_jT3_P12ihipStream_tbPNSt15iterator_traitsISI_E10value_typeEPNSO_ISJ_E10value_typeEPSK_NS1_7vsmem_tEENKUlT_SI_SJ_SK_E_clISD_PjSD_S10_EESH_SX_SI_SJ_SK_EUlSX_E1_NS1_11comp_targetILNS1_3genE0ELNS1_11target_archE4294967295ELNS1_3gpuE0ELNS1_3repE0EEENS1_36merge_oddeven_config_static_selectorELNS0_4arch9wavefront6targetE1EEEvSJ_ ; -- Begin function _ZN7rocprim17ROCPRIM_400000_NS6detail17trampoline_kernelINS0_14default_configENS1_38merge_sort_block_merge_config_selectorIjjEEZZNS1_27merge_sort_block_merge_implIS3_N6thrust23THRUST_200600_302600_NS6detail15normal_iteratorINS8_10device_ptrIjEEEESD_jNS1_19radix_merge_compareILb0ELb1EjNS0_19identity_decomposerEEEEE10hipError_tT0_T1_T2_jT3_P12ihipStream_tbPNSt15iterator_traitsISI_E10value_typeEPNSO_ISJ_E10value_typeEPSK_NS1_7vsmem_tEENKUlT_SI_SJ_SK_E_clISD_PjSD_S10_EESH_SX_SI_SJ_SK_EUlSX_E1_NS1_11comp_targetILNS1_3genE0ELNS1_11target_archE4294967295ELNS1_3gpuE0ELNS1_3repE0EEENS1_36merge_oddeven_config_static_selectorELNS0_4arch9wavefront6targetE1EEEvSJ_
	.globl	_ZN7rocprim17ROCPRIM_400000_NS6detail17trampoline_kernelINS0_14default_configENS1_38merge_sort_block_merge_config_selectorIjjEEZZNS1_27merge_sort_block_merge_implIS3_N6thrust23THRUST_200600_302600_NS6detail15normal_iteratorINS8_10device_ptrIjEEEESD_jNS1_19radix_merge_compareILb0ELb1EjNS0_19identity_decomposerEEEEE10hipError_tT0_T1_T2_jT3_P12ihipStream_tbPNSt15iterator_traitsISI_E10value_typeEPNSO_ISJ_E10value_typeEPSK_NS1_7vsmem_tEENKUlT_SI_SJ_SK_E_clISD_PjSD_S10_EESH_SX_SI_SJ_SK_EUlSX_E1_NS1_11comp_targetILNS1_3genE0ELNS1_11target_archE4294967295ELNS1_3gpuE0ELNS1_3repE0EEENS1_36merge_oddeven_config_static_selectorELNS0_4arch9wavefront6targetE1EEEvSJ_
	.p2align	8
	.type	_ZN7rocprim17ROCPRIM_400000_NS6detail17trampoline_kernelINS0_14default_configENS1_38merge_sort_block_merge_config_selectorIjjEEZZNS1_27merge_sort_block_merge_implIS3_N6thrust23THRUST_200600_302600_NS6detail15normal_iteratorINS8_10device_ptrIjEEEESD_jNS1_19radix_merge_compareILb0ELb1EjNS0_19identity_decomposerEEEEE10hipError_tT0_T1_T2_jT3_P12ihipStream_tbPNSt15iterator_traitsISI_E10value_typeEPNSO_ISJ_E10value_typeEPSK_NS1_7vsmem_tEENKUlT_SI_SJ_SK_E_clISD_PjSD_S10_EESH_SX_SI_SJ_SK_EUlSX_E1_NS1_11comp_targetILNS1_3genE0ELNS1_11target_archE4294967295ELNS1_3gpuE0ELNS1_3repE0EEENS1_36merge_oddeven_config_static_selectorELNS0_4arch9wavefront6targetE1EEEvSJ_,@function
_ZN7rocprim17ROCPRIM_400000_NS6detail17trampoline_kernelINS0_14default_configENS1_38merge_sort_block_merge_config_selectorIjjEEZZNS1_27merge_sort_block_merge_implIS3_N6thrust23THRUST_200600_302600_NS6detail15normal_iteratorINS8_10device_ptrIjEEEESD_jNS1_19radix_merge_compareILb0ELb1EjNS0_19identity_decomposerEEEEE10hipError_tT0_T1_T2_jT3_P12ihipStream_tbPNSt15iterator_traitsISI_E10value_typeEPNSO_ISJ_E10value_typeEPSK_NS1_7vsmem_tEENKUlT_SI_SJ_SK_E_clISD_PjSD_S10_EESH_SX_SI_SJ_SK_EUlSX_E1_NS1_11comp_targetILNS1_3genE0ELNS1_11target_archE4294967295ELNS1_3gpuE0ELNS1_3repE0EEENS1_36merge_oddeven_config_static_selectorELNS0_4arch9wavefront6targetE1EEEvSJ_: ; @_ZN7rocprim17ROCPRIM_400000_NS6detail17trampoline_kernelINS0_14default_configENS1_38merge_sort_block_merge_config_selectorIjjEEZZNS1_27merge_sort_block_merge_implIS3_N6thrust23THRUST_200600_302600_NS6detail15normal_iteratorINS8_10device_ptrIjEEEESD_jNS1_19radix_merge_compareILb0ELb1EjNS0_19identity_decomposerEEEEE10hipError_tT0_T1_T2_jT3_P12ihipStream_tbPNSt15iterator_traitsISI_E10value_typeEPNSO_ISJ_E10value_typeEPSK_NS1_7vsmem_tEENKUlT_SI_SJ_SK_E_clISD_PjSD_S10_EESH_SX_SI_SJ_SK_EUlSX_E1_NS1_11comp_targetILNS1_3genE0ELNS1_11target_archE4294967295ELNS1_3gpuE0ELNS1_3repE0EEENS1_36merge_oddeven_config_static_selectorELNS0_4arch9wavefront6targetE1EEEvSJ_
; %bb.0:
	s_load_dword s20, s[0:1], 0x20
	s_waitcnt lgkmcnt(0)
	s_lshr_b32 s3, s20, 8
	s_cmp_eq_u32 s2, s3
	s_cselect_b64 s[16:17], -1, 0
	s_cmp_lg_u32 s2, s3
	s_cselect_b64 s[4:5], -1, 0
	s_lshl_b32 s18, s2, 8
	s_sub_i32 s3, s20, s18
	v_cmp_gt_u32_e64 s[6:7], s3, v0
	s_or_b64 s[4:5], s[4:5], s[6:7]
	s_and_saveexec_b64 s[8:9], s[4:5]
	s_cbranch_execz .LBB716_24
; %bb.1:
	s_load_dwordx8 s[8:15], s[0:1], 0x0
	s_mov_b32 s19, 0
	s_lshl_b64 s[4:5], s[18:19], 2
	v_lshlrev_b32_e32 v1, 2, v0
	s_load_dword s19, s[0:1], 0x24
	s_waitcnt lgkmcnt(0)
	s_add_u32 s22, s8, s4
	s_addc_u32 s23, s9, s5
	s_add_u32 s4, s12, s4
	s_addc_u32 s5, s13, s5
	global_load_dword v2, v1, s[4:5]
	global_load_dword v3, v1, s[22:23]
	s_lshr_b32 s3, s19, 8
	s_sub_i32 s4, 0, s3
	s_and_b32 s2, s2, s4
	s_and_b32 s3, s2, s3
	s_lshl_b32 s21, s2, 8
	s_sub_i32 s12, 0, s19
	s_cmp_eq_u32 s3, 0
	s_cselect_b64 s[4:5], -1, 0
	s_and_b64 s[2:3], s[4:5], exec
	s_cselect_b32 s12, s19, s12
	s_add_i32 s12, s12, s21
	s_mov_b64 s[2:3], -1
	s_cmp_gt_u32 s20, s12
	v_add_u32_e32 v0, s18, v0
	s_cbranch_scc1 .LBB716_9
; %bb.2:
	s_and_b64 vcc, exec, s[16:17]
	s_cbranch_vccz .LBB716_6
; %bb.3:
	v_cmp_gt_u32_e32 vcc, s20, v0
	s_and_saveexec_b64 s[2:3], vcc
	s_cbranch_execz .LBB716_5
; %bb.4:
	v_mov_b32_e32 v1, 0
	v_lshlrev_b64 v[4:5], 2, v[0:1]
	v_lshl_add_u64 v[6:7], s[10:11], 0, v[4:5]
	v_lshl_add_u64 v[4:5], s[14:15], 0, v[4:5]
	s_waitcnt vmcnt(0)
	global_store_dword v[6:7], v3, off
	global_store_dword v[4:5], v2, off
.LBB716_5:
	s_or_b64 exec, exec, s[2:3]
	s_mov_b64 s[2:3], 0
.LBB716_6:
	s_andn2_b64 vcc, exec, s[2:3]
	s_cbranch_vccnz .LBB716_8
; %bb.7:
	v_mov_b32_e32 v1, 0
	v_lshlrev_b64 v[4:5], 2, v[0:1]
	v_lshl_add_u64 v[6:7], s[10:11], 0, v[4:5]
	v_lshl_add_u64 v[4:5], s[14:15], 0, v[4:5]
	s_waitcnt vmcnt(0)
	global_store_dword v[6:7], v3, off
	global_store_dword v[4:5], v2, off
.LBB716_8:
	s_mov_b64 s[2:3], 0
.LBB716_9:
	s_andn2_b64 vcc, exec, s[2:3]
	s_cbranch_vccnz .LBB716_24
; %bb.10:
	s_load_dword s13, s[0:1], 0x28
	s_min_u32 s18, s12, s20
	s_add_i32 s0, s18, s19
	s_min_u32 s19, s0, s20
	s_min_u32 s0, s21, s18
	s_add_i32 s21, s21, s18
	v_subrev_u32_e32 v0, s21, v0
	v_add_u32_e32 v4, s0, v0
	s_waitcnt vmcnt(0) lgkmcnt(0)
	v_and_b32_e32 v5, s13, v3
	s_mov_b64 s[0:1], -1
	s_and_b64 vcc, exec, s[16:17]
	s_cbranch_vccz .LBB716_18
; %bb.11:
	s_and_saveexec_b64 s[0:1], s[6:7]
	s_cbranch_execz .LBB716_17
; %bb.12:
	s_cmp_ge_u32 s12, s19
	v_mov_b32_e32 v6, s18
	s_cbranch_scc1 .LBB716_16
; %bb.13:
	s_mov_b64 s[2:3], 0
	v_mov_b32_e32 v7, s19
	v_mov_b32_e32 v6, s18
	;; [unrolled: 1-line block ×3, first 2 shown]
.LBB716_14:                             ; =>This Inner Loop Header: Depth=1
	v_add_u32_e32 v0, v6, v7
	v_lshrrev_b32_e32 v0, 1, v0
	v_lshl_add_u64 v[8:9], v[0:1], 2, s[8:9]
	global_load_dword v8, v[8:9], off
	v_add_u32_e32 v9, 1, v0
	s_waitcnt vmcnt(0)
	v_and_b32_e32 v8, s13, v8
	v_cmp_gt_u32_e32 vcc, v5, v8
	s_nop 1
	v_cndmask_b32_e64 v10, 0, 1, vcc
	v_cmp_le_u32_e32 vcc, v8, v5
	s_nop 1
	v_cndmask_b32_e64 v8, 0, 1, vcc
	v_cndmask_b32_e64 v8, v8, v10, s[4:5]
	v_and_b32_e32 v8, 1, v8
	v_cmp_eq_u32_e32 vcc, 1, v8
	s_nop 1
	v_cndmask_b32_e32 v7, v0, v7, vcc
	v_cndmask_b32_e32 v6, v6, v9, vcc
	v_cmp_ge_u32_e32 vcc, v6, v7
	s_or_b64 s[2:3], vcc, s[2:3]
	s_andn2_b64 exec, exec, s[2:3]
	s_cbranch_execnz .LBB716_14
; %bb.15:
	s_or_b64 exec, exec, s[2:3]
.LBB716_16:
	v_add_u32_e32 v0, v6, v4
	v_mov_b32_e32 v1, 0
	v_lshlrev_b64 v[0:1], 2, v[0:1]
	v_lshl_add_u64 v[6:7], s[10:11], 0, v[0:1]
	v_lshl_add_u64 v[0:1], s[14:15], 0, v[0:1]
	global_store_dword v[6:7], v3, off
	global_store_dword v[0:1], v2, off
.LBB716_17:
	s_or_b64 exec, exec, s[0:1]
	s_mov_b64 s[0:1], 0
.LBB716_18:
	s_andn2_b64 vcc, exec, s[0:1]
	s_cbranch_vccnz .LBB716_24
; %bb.19:
	s_cmp_ge_u32 s12, s19
	v_mov_b32_e32 v6, s18
	s_cbranch_scc1 .LBB716_23
; %bb.20:
	s_mov_b64 s[0:1], 0
	v_mov_b32_e32 v7, s19
	v_mov_b32_e32 v6, s18
	;; [unrolled: 1-line block ×3, first 2 shown]
.LBB716_21:                             ; =>This Inner Loop Header: Depth=1
	v_add_u32_e32 v0, v6, v7
	v_lshrrev_b32_e32 v0, 1, v0
	v_lshl_add_u64 v[8:9], v[0:1], 2, s[8:9]
	global_load_dword v8, v[8:9], off
	v_add_u32_e32 v9, 1, v0
	s_waitcnt vmcnt(0)
	v_and_b32_e32 v8, s13, v8
	v_cmp_gt_u32_e32 vcc, v5, v8
	s_nop 1
	v_cndmask_b32_e64 v10, 0, 1, vcc
	v_cmp_le_u32_e32 vcc, v8, v5
	s_nop 1
	v_cndmask_b32_e64 v8, 0, 1, vcc
	v_cndmask_b32_e64 v8, v8, v10, s[4:5]
	v_and_b32_e32 v8, 1, v8
	v_cmp_eq_u32_e32 vcc, 1, v8
	s_nop 1
	v_cndmask_b32_e32 v7, v0, v7, vcc
	v_cndmask_b32_e32 v6, v6, v9, vcc
	v_cmp_ge_u32_e32 vcc, v6, v7
	s_or_b64 s[0:1], vcc, s[0:1]
	s_andn2_b64 exec, exec, s[0:1]
	s_cbranch_execnz .LBB716_21
; %bb.22:
	s_or_b64 exec, exec, s[0:1]
.LBB716_23:
	v_add_u32_e32 v0, v6, v4
	v_mov_b32_e32 v1, 0
	v_lshlrev_b64 v[0:1], 2, v[0:1]
	v_lshl_add_u64 v[4:5], s[10:11], 0, v[0:1]
	v_lshl_add_u64 v[0:1], s[14:15], 0, v[0:1]
	global_store_dword v[4:5], v3, off
	global_store_dword v[0:1], v2, off
.LBB716_24:
	s_endpgm
	.section	.rodata,"a",@progbits
	.p2align	6, 0x0
	.amdhsa_kernel _ZN7rocprim17ROCPRIM_400000_NS6detail17trampoline_kernelINS0_14default_configENS1_38merge_sort_block_merge_config_selectorIjjEEZZNS1_27merge_sort_block_merge_implIS3_N6thrust23THRUST_200600_302600_NS6detail15normal_iteratorINS8_10device_ptrIjEEEESD_jNS1_19radix_merge_compareILb0ELb1EjNS0_19identity_decomposerEEEEE10hipError_tT0_T1_T2_jT3_P12ihipStream_tbPNSt15iterator_traitsISI_E10value_typeEPNSO_ISJ_E10value_typeEPSK_NS1_7vsmem_tEENKUlT_SI_SJ_SK_E_clISD_PjSD_S10_EESH_SX_SI_SJ_SK_EUlSX_E1_NS1_11comp_targetILNS1_3genE0ELNS1_11target_archE4294967295ELNS1_3gpuE0ELNS1_3repE0EEENS1_36merge_oddeven_config_static_selectorELNS0_4arch9wavefront6targetE1EEEvSJ_
		.amdhsa_group_segment_fixed_size 0
		.amdhsa_private_segment_fixed_size 0
		.amdhsa_kernarg_size 48
		.amdhsa_user_sgpr_count 2
		.amdhsa_user_sgpr_dispatch_ptr 0
		.amdhsa_user_sgpr_queue_ptr 0
		.amdhsa_user_sgpr_kernarg_segment_ptr 1
		.amdhsa_user_sgpr_dispatch_id 0
		.amdhsa_user_sgpr_kernarg_preload_length 0
		.amdhsa_user_sgpr_kernarg_preload_offset 0
		.amdhsa_user_sgpr_private_segment_size 0
		.amdhsa_uses_dynamic_stack 0
		.amdhsa_enable_private_segment 0
		.amdhsa_system_sgpr_workgroup_id_x 1
		.amdhsa_system_sgpr_workgroup_id_y 0
		.amdhsa_system_sgpr_workgroup_id_z 0
		.amdhsa_system_sgpr_workgroup_info 0
		.amdhsa_system_vgpr_workitem_id 0
		.amdhsa_next_free_vgpr 11
		.amdhsa_next_free_sgpr 24
		.amdhsa_accum_offset 12
		.amdhsa_reserve_vcc 1
		.amdhsa_float_round_mode_32 0
		.amdhsa_float_round_mode_16_64 0
		.amdhsa_float_denorm_mode_32 3
		.amdhsa_float_denorm_mode_16_64 3
		.amdhsa_dx10_clamp 1
		.amdhsa_ieee_mode 1
		.amdhsa_fp16_overflow 0
		.amdhsa_tg_split 0
		.amdhsa_exception_fp_ieee_invalid_op 0
		.amdhsa_exception_fp_denorm_src 0
		.amdhsa_exception_fp_ieee_div_zero 0
		.amdhsa_exception_fp_ieee_overflow 0
		.amdhsa_exception_fp_ieee_underflow 0
		.amdhsa_exception_fp_ieee_inexact 0
		.amdhsa_exception_int_div_zero 0
	.end_amdhsa_kernel
	.section	.text._ZN7rocprim17ROCPRIM_400000_NS6detail17trampoline_kernelINS0_14default_configENS1_38merge_sort_block_merge_config_selectorIjjEEZZNS1_27merge_sort_block_merge_implIS3_N6thrust23THRUST_200600_302600_NS6detail15normal_iteratorINS8_10device_ptrIjEEEESD_jNS1_19radix_merge_compareILb0ELb1EjNS0_19identity_decomposerEEEEE10hipError_tT0_T1_T2_jT3_P12ihipStream_tbPNSt15iterator_traitsISI_E10value_typeEPNSO_ISJ_E10value_typeEPSK_NS1_7vsmem_tEENKUlT_SI_SJ_SK_E_clISD_PjSD_S10_EESH_SX_SI_SJ_SK_EUlSX_E1_NS1_11comp_targetILNS1_3genE0ELNS1_11target_archE4294967295ELNS1_3gpuE0ELNS1_3repE0EEENS1_36merge_oddeven_config_static_selectorELNS0_4arch9wavefront6targetE1EEEvSJ_,"axG",@progbits,_ZN7rocprim17ROCPRIM_400000_NS6detail17trampoline_kernelINS0_14default_configENS1_38merge_sort_block_merge_config_selectorIjjEEZZNS1_27merge_sort_block_merge_implIS3_N6thrust23THRUST_200600_302600_NS6detail15normal_iteratorINS8_10device_ptrIjEEEESD_jNS1_19radix_merge_compareILb0ELb1EjNS0_19identity_decomposerEEEEE10hipError_tT0_T1_T2_jT3_P12ihipStream_tbPNSt15iterator_traitsISI_E10value_typeEPNSO_ISJ_E10value_typeEPSK_NS1_7vsmem_tEENKUlT_SI_SJ_SK_E_clISD_PjSD_S10_EESH_SX_SI_SJ_SK_EUlSX_E1_NS1_11comp_targetILNS1_3genE0ELNS1_11target_archE4294967295ELNS1_3gpuE0ELNS1_3repE0EEENS1_36merge_oddeven_config_static_selectorELNS0_4arch9wavefront6targetE1EEEvSJ_,comdat
.Lfunc_end716:
	.size	_ZN7rocprim17ROCPRIM_400000_NS6detail17trampoline_kernelINS0_14default_configENS1_38merge_sort_block_merge_config_selectorIjjEEZZNS1_27merge_sort_block_merge_implIS3_N6thrust23THRUST_200600_302600_NS6detail15normal_iteratorINS8_10device_ptrIjEEEESD_jNS1_19radix_merge_compareILb0ELb1EjNS0_19identity_decomposerEEEEE10hipError_tT0_T1_T2_jT3_P12ihipStream_tbPNSt15iterator_traitsISI_E10value_typeEPNSO_ISJ_E10value_typeEPSK_NS1_7vsmem_tEENKUlT_SI_SJ_SK_E_clISD_PjSD_S10_EESH_SX_SI_SJ_SK_EUlSX_E1_NS1_11comp_targetILNS1_3genE0ELNS1_11target_archE4294967295ELNS1_3gpuE0ELNS1_3repE0EEENS1_36merge_oddeven_config_static_selectorELNS0_4arch9wavefront6targetE1EEEvSJ_, .Lfunc_end716-_ZN7rocprim17ROCPRIM_400000_NS6detail17trampoline_kernelINS0_14default_configENS1_38merge_sort_block_merge_config_selectorIjjEEZZNS1_27merge_sort_block_merge_implIS3_N6thrust23THRUST_200600_302600_NS6detail15normal_iteratorINS8_10device_ptrIjEEEESD_jNS1_19radix_merge_compareILb0ELb1EjNS0_19identity_decomposerEEEEE10hipError_tT0_T1_T2_jT3_P12ihipStream_tbPNSt15iterator_traitsISI_E10value_typeEPNSO_ISJ_E10value_typeEPSK_NS1_7vsmem_tEENKUlT_SI_SJ_SK_E_clISD_PjSD_S10_EESH_SX_SI_SJ_SK_EUlSX_E1_NS1_11comp_targetILNS1_3genE0ELNS1_11target_archE4294967295ELNS1_3gpuE0ELNS1_3repE0EEENS1_36merge_oddeven_config_static_selectorELNS0_4arch9wavefront6targetE1EEEvSJ_
                                        ; -- End function
	.set _ZN7rocprim17ROCPRIM_400000_NS6detail17trampoline_kernelINS0_14default_configENS1_38merge_sort_block_merge_config_selectorIjjEEZZNS1_27merge_sort_block_merge_implIS3_N6thrust23THRUST_200600_302600_NS6detail15normal_iteratorINS8_10device_ptrIjEEEESD_jNS1_19radix_merge_compareILb0ELb1EjNS0_19identity_decomposerEEEEE10hipError_tT0_T1_T2_jT3_P12ihipStream_tbPNSt15iterator_traitsISI_E10value_typeEPNSO_ISJ_E10value_typeEPSK_NS1_7vsmem_tEENKUlT_SI_SJ_SK_E_clISD_PjSD_S10_EESH_SX_SI_SJ_SK_EUlSX_E1_NS1_11comp_targetILNS1_3genE0ELNS1_11target_archE4294967295ELNS1_3gpuE0ELNS1_3repE0EEENS1_36merge_oddeven_config_static_selectorELNS0_4arch9wavefront6targetE1EEEvSJ_.num_vgpr, 11
	.set _ZN7rocprim17ROCPRIM_400000_NS6detail17trampoline_kernelINS0_14default_configENS1_38merge_sort_block_merge_config_selectorIjjEEZZNS1_27merge_sort_block_merge_implIS3_N6thrust23THRUST_200600_302600_NS6detail15normal_iteratorINS8_10device_ptrIjEEEESD_jNS1_19radix_merge_compareILb0ELb1EjNS0_19identity_decomposerEEEEE10hipError_tT0_T1_T2_jT3_P12ihipStream_tbPNSt15iterator_traitsISI_E10value_typeEPNSO_ISJ_E10value_typeEPSK_NS1_7vsmem_tEENKUlT_SI_SJ_SK_E_clISD_PjSD_S10_EESH_SX_SI_SJ_SK_EUlSX_E1_NS1_11comp_targetILNS1_3genE0ELNS1_11target_archE4294967295ELNS1_3gpuE0ELNS1_3repE0EEENS1_36merge_oddeven_config_static_selectorELNS0_4arch9wavefront6targetE1EEEvSJ_.num_agpr, 0
	.set _ZN7rocprim17ROCPRIM_400000_NS6detail17trampoline_kernelINS0_14default_configENS1_38merge_sort_block_merge_config_selectorIjjEEZZNS1_27merge_sort_block_merge_implIS3_N6thrust23THRUST_200600_302600_NS6detail15normal_iteratorINS8_10device_ptrIjEEEESD_jNS1_19radix_merge_compareILb0ELb1EjNS0_19identity_decomposerEEEEE10hipError_tT0_T1_T2_jT3_P12ihipStream_tbPNSt15iterator_traitsISI_E10value_typeEPNSO_ISJ_E10value_typeEPSK_NS1_7vsmem_tEENKUlT_SI_SJ_SK_E_clISD_PjSD_S10_EESH_SX_SI_SJ_SK_EUlSX_E1_NS1_11comp_targetILNS1_3genE0ELNS1_11target_archE4294967295ELNS1_3gpuE0ELNS1_3repE0EEENS1_36merge_oddeven_config_static_selectorELNS0_4arch9wavefront6targetE1EEEvSJ_.numbered_sgpr, 24
	.set _ZN7rocprim17ROCPRIM_400000_NS6detail17trampoline_kernelINS0_14default_configENS1_38merge_sort_block_merge_config_selectorIjjEEZZNS1_27merge_sort_block_merge_implIS3_N6thrust23THRUST_200600_302600_NS6detail15normal_iteratorINS8_10device_ptrIjEEEESD_jNS1_19radix_merge_compareILb0ELb1EjNS0_19identity_decomposerEEEEE10hipError_tT0_T1_T2_jT3_P12ihipStream_tbPNSt15iterator_traitsISI_E10value_typeEPNSO_ISJ_E10value_typeEPSK_NS1_7vsmem_tEENKUlT_SI_SJ_SK_E_clISD_PjSD_S10_EESH_SX_SI_SJ_SK_EUlSX_E1_NS1_11comp_targetILNS1_3genE0ELNS1_11target_archE4294967295ELNS1_3gpuE0ELNS1_3repE0EEENS1_36merge_oddeven_config_static_selectorELNS0_4arch9wavefront6targetE1EEEvSJ_.num_named_barrier, 0
	.set _ZN7rocprim17ROCPRIM_400000_NS6detail17trampoline_kernelINS0_14default_configENS1_38merge_sort_block_merge_config_selectorIjjEEZZNS1_27merge_sort_block_merge_implIS3_N6thrust23THRUST_200600_302600_NS6detail15normal_iteratorINS8_10device_ptrIjEEEESD_jNS1_19radix_merge_compareILb0ELb1EjNS0_19identity_decomposerEEEEE10hipError_tT0_T1_T2_jT3_P12ihipStream_tbPNSt15iterator_traitsISI_E10value_typeEPNSO_ISJ_E10value_typeEPSK_NS1_7vsmem_tEENKUlT_SI_SJ_SK_E_clISD_PjSD_S10_EESH_SX_SI_SJ_SK_EUlSX_E1_NS1_11comp_targetILNS1_3genE0ELNS1_11target_archE4294967295ELNS1_3gpuE0ELNS1_3repE0EEENS1_36merge_oddeven_config_static_selectorELNS0_4arch9wavefront6targetE1EEEvSJ_.private_seg_size, 0
	.set _ZN7rocprim17ROCPRIM_400000_NS6detail17trampoline_kernelINS0_14default_configENS1_38merge_sort_block_merge_config_selectorIjjEEZZNS1_27merge_sort_block_merge_implIS3_N6thrust23THRUST_200600_302600_NS6detail15normal_iteratorINS8_10device_ptrIjEEEESD_jNS1_19radix_merge_compareILb0ELb1EjNS0_19identity_decomposerEEEEE10hipError_tT0_T1_T2_jT3_P12ihipStream_tbPNSt15iterator_traitsISI_E10value_typeEPNSO_ISJ_E10value_typeEPSK_NS1_7vsmem_tEENKUlT_SI_SJ_SK_E_clISD_PjSD_S10_EESH_SX_SI_SJ_SK_EUlSX_E1_NS1_11comp_targetILNS1_3genE0ELNS1_11target_archE4294967295ELNS1_3gpuE0ELNS1_3repE0EEENS1_36merge_oddeven_config_static_selectorELNS0_4arch9wavefront6targetE1EEEvSJ_.uses_vcc, 1
	.set _ZN7rocprim17ROCPRIM_400000_NS6detail17trampoline_kernelINS0_14default_configENS1_38merge_sort_block_merge_config_selectorIjjEEZZNS1_27merge_sort_block_merge_implIS3_N6thrust23THRUST_200600_302600_NS6detail15normal_iteratorINS8_10device_ptrIjEEEESD_jNS1_19radix_merge_compareILb0ELb1EjNS0_19identity_decomposerEEEEE10hipError_tT0_T1_T2_jT3_P12ihipStream_tbPNSt15iterator_traitsISI_E10value_typeEPNSO_ISJ_E10value_typeEPSK_NS1_7vsmem_tEENKUlT_SI_SJ_SK_E_clISD_PjSD_S10_EESH_SX_SI_SJ_SK_EUlSX_E1_NS1_11comp_targetILNS1_3genE0ELNS1_11target_archE4294967295ELNS1_3gpuE0ELNS1_3repE0EEENS1_36merge_oddeven_config_static_selectorELNS0_4arch9wavefront6targetE1EEEvSJ_.uses_flat_scratch, 0
	.set _ZN7rocprim17ROCPRIM_400000_NS6detail17trampoline_kernelINS0_14default_configENS1_38merge_sort_block_merge_config_selectorIjjEEZZNS1_27merge_sort_block_merge_implIS3_N6thrust23THRUST_200600_302600_NS6detail15normal_iteratorINS8_10device_ptrIjEEEESD_jNS1_19radix_merge_compareILb0ELb1EjNS0_19identity_decomposerEEEEE10hipError_tT0_T1_T2_jT3_P12ihipStream_tbPNSt15iterator_traitsISI_E10value_typeEPNSO_ISJ_E10value_typeEPSK_NS1_7vsmem_tEENKUlT_SI_SJ_SK_E_clISD_PjSD_S10_EESH_SX_SI_SJ_SK_EUlSX_E1_NS1_11comp_targetILNS1_3genE0ELNS1_11target_archE4294967295ELNS1_3gpuE0ELNS1_3repE0EEENS1_36merge_oddeven_config_static_selectorELNS0_4arch9wavefront6targetE1EEEvSJ_.has_dyn_sized_stack, 0
	.set _ZN7rocprim17ROCPRIM_400000_NS6detail17trampoline_kernelINS0_14default_configENS1_38merge_sort_block_merge_config_selectorIjjEEZZNS1_27merge_sort_block_merge_implIS3_N6thrust23THRUST_200600_302600_NS6detail15normal_iteratorINS8_10device_ptrIjEEEESD_jNS1_19radix_merge_compareILb0ELb1EjNS0_19identity_decomposerEEEEE10hipError_tT0_T1_T2_jT3_P12ihipStream_tbPNSt15iterator_traitsISI_E10value_typeEPNSO_ISJ_E10value_typeEPSK_NS1_7vsmem_tEENKUlT_SI_SJ_SK_E_clISD_PjSD_S10_EESH_SX_SI_SJ_SK_EUlSX_E1_NS1_11comp_targetILNS1_3genE0ELNS1_11target_archE4294967295ELNS1_3gpuE0ELNS1_3repE0EEENS1_36merge_oddeven_config_static_selectorELNS0_4arch9wavefront6targetE1EEEvSJ_.has_recursion, 0
	.set _ZN7rocprim17ROCPRIM_400000_NS6detail17trampoline_kernelINS0_14default_configENS1_38merge_sort_block_merge_config_selectorIjjEEZZNS1_27merge_sort_block_merge_implIS3_N6thrust23THRUST_200600_302600_NS6detail15normal_iteratorINS8_10device_ptrIjEEEESD_jNS1_19radix_merge_compareILb0ELb1EjNS0_19identity_decomposerEEEEE10hipError_tT0_T1_T2_jT3_P12ihipStream_tbPNSt15iterator_traitsISI_E10value_typeEPNSO_ISJ_E10value_typeEPSK_NS1_7vsmem_tEENKUlT_SI_SJ_SK_E_clISD_PjSD_S10_EESH_SX_SI_SJ_SK_EUlSX_E1_NS1_11comp_targetILNS1_3genE0ELNS1_11target_archE4294967295ELNS1_3gpuE0ELNS1_3repE0EEENS1_36merge_oddeven_config_static_selectorELNS0_4arch9wavefront6targetE1EEEvSJ_.has_indirect_call, 0
	.section	.AMDGPU.csdata,"",@progbits
; Kernel info:
; codeLenInByte = 796
; TotalNumSgprs: 30
; NumVgprs: 11
; NumAgprs: 0
; TotalNumVgprs: 11
; ScratchSize: 0
; MemoryBound: 0
; FloatMode: 240
; IeeeMode: 1
; LDSByteSize: 0 bytes/workgroup (compile time only)
; SGPRBlocks: 3
; VGPRBlocks: 1
; NumSGPRsForWavesPerEU: 30
; NumVGPRsForWavesPerEU: 11
; AccumOffset: 12
; Occupancy: 8
; WaveLimiterHint : 0
; COMPUTE_PGM_RSRC2:SCRATCH_EN: 0
; COMPUTE_PGM_RSRC2:USER_SGPR: 2
; COMPUTE_PGM_RSRC2:TRAP_HANDLER: 0
; COMPUTE_PGM_RSRC2:TGID_X_EN: 1
; COMPUTE_PGM_RSRC2:TGID_Y_EN: 0
; COMPUTE_PGM_RSRC2:TGID_Z_EN: 0
; COMPUTE_PGM_RSRC2:TIDIG_COMP_CNT: 0
; COMPUTE_PGM_RSRC3_GFX90A:ACCUM_OFFSET: 2
; COMPUTE_PGM_RSRC3_GFX90A:TG_SPLIT: 0
	.section	.text._ZN7rocprim17ROCPRIM_400000_NS6detail17trampoline_kernelINS0_14default_configENS1_38merge_sort_block_merge_config_selectorIjjEEZZNS1_27merge_sort_block_merge_implIS3_N6thrust23THRUST_200600_302600_NS6detail15normal_iteratorINS8_10device_ptrIjEEEESD_jNS1_19radix_merge_compareILb0ELb1EjNS0_19identity_decomposerEEEEE10hipError_tT0_T1_T2_jT3_P12ihipStream_tbPNSt15iterator_traitsISI_E10value_typeEPNSO_ISJ_E10value_typeEPSK_NS1_7vsmem_tEENKUlT_SI_SJ_SK_E_clISD_PjSD_S10_EESH_SX_SI_SJ_SK_EUlSX_E1_NS1_11comp_targetILNS1_3genE10ELNS1_11target_archE1201ELNS1_3gpuE5ELNS1_3repE0EEENS1_36merge_oddeven_config_static_selectorELNS0_4arch9wavefront6targetE1EEEvSJ_,"axG",@progbits,_ZN7rocprim17ROCPRIM_400000_NS6detail17trampoline_kernelINS0_14default_configENS1_38merge_sort_block_merge_config_selectorIjjEEZZNS1_27merge_sort_block_merge_implIS3_N6thrust23THRUST_200600_302600_NS6detail15normal_iteratorINS8_10device_ptrIjEEEESD_jNS1_19radix_merge_compareILb0ELb1EjNS0_19identity_decomposerEEEEE10hipError_tT0_T1_T2_jT3_P12ihipStream_tbPNSt15iterator_traitsISI_E10value_typeEPNSO_ISJ_E10value_typeEPSK_NS1_7vsmem_tEENKUlT_SI_SJ_SK_E_clISD_PjSD_S10_EESH_SX_SI_SJ_SK_EUlSX_E1_NS1_11comp_targetILNS1_3genE10ELNS1_11target_archE1201ELNS1_3gpuE5ELNS1_3repE0EEENS1_36merge_oddeven_config_static_selectorELNS0_4arch9wavefront6targetE1EEEvSJ_,comdat
	.protected	_ZN7rocprim17ROCPRIM_400000_NS6detail17trampoline_kernelINS0_14default_configENS1_38merge_sort_block_merge_config_selectorIjjEEZZNS1_27merge_sort_block_merge_implIS3_N6thrust23THRUST_200600_302600_NS6detail15normal_iteratorINS8_10device_ptrIjEEEESD_jNS1_19radix_merge_compareILb0ELb1EjNS0_19identity_decomposerEEEEE10hipError_tT0_T1_T2_jT3_P12ihipStream_tbPNSt15iterator_traitsISI_E10value_typeEPNSO_ISJ_E10value_typeEPSK_NS1_7vsmem_tEENKUlT_SI_SJ_SK_E_clISD_PjSD_S10_EESH_SX_SI_SJ_SK_EUlSX_E1_NS1_11comp_targetILNS1_3genE10ELNS1_11target_archE1201ELNS1_3gpuE5ELNS1_3repE0EEENS1_36merge_oddeven_config_static_selectorELNS0_4arch9wavefront6targetE1EEEvSJ_ ; -- Begin function _ZN7rocprim17ROCPRIM_400000_NS6detail17trampoline_kernelINS0_14default_configENS1_38merge_sort_block_merge_config_selectorIjjEEZZNS1_27merge_sort_block_merge_implIS3_N6thrust23THRUST_200600_302600_NS6detail15normal_iteratorINS8_10device_ptrIjEEEESD_jNS1_19radix_merge_compareILb0ELb1EjNS0_19identity_decomposerEEEEE10hipError_tT0_T1_T2_jT3_P12ihipStream_tbPNSt15iterator_traitsISI_E10value_typeEPNSO_ISJ_E10value_typeEPSK_NS1_7vsmem_tEENKUlT_SI_SJ_SK_E_clISD_PjSD_S10_EESH_SX_SI_SJ_SK_EUlSX_E1_NS1_11comp_targetILNS1_3genE10ELNS1_11target_archE1201ELNS1_3gpuE5ELNS1_3repE0EEENS1_36merge_oddeven_config_static_selectorELNS0_4arch9wavefront6targetE1EEEvSJ_
	.globl	_ZN7rocprim17ROCPRIM_400000_NS6detail17trampoline_kernelINS0_14default_configENS1_38merge_sort_block_merge_config_selectorIjjEEZZNS1_27merge_sort_block_merge_implIS3_N6thrust23THRUST_200600_302600_NS6detail15normal_iteratorINS8_10device_ptrIjEEEESD_jNS1_19radix_merge_compareILb0ELb1EjNS0_19identity_decomposerEEEEE10hipError_tT0_T1_T2_jT3_P12ihipStream_tbPNSt15iterator_traitsISI_E10value_typeEPNSO_ISJ_E10value_typeEPSK_NS1_7vsmem_tEENKUlT_SI_SJ_SK_E_clISD_PjSD_S10_EESH_SX_SI_SJ_SK_EUlSX_E1_NS1_11comp_targetILNS1_3genE10ELNS1_11target_archE1201ELNS1_3gpuE5ELNS1_3repE0EEENS1_36merge_oddeven_config_static_selectorELNS0_4arch9wavefront6targetE1EEEvSJ_
	.p2align	8
	.type	_ZN7rocprim17ROCPRIM_400000_NS6detail17trampoline_kernelINS0_14default_configENS1_38merge_sort_block_merge_config_selectorIjjEEZZNS1_27merge_sort_block_merge_implIS3_N6thrust23THRUST_200600_302600_NS6detail15normal_iteratorINS8_10device_ptrIjEEEESD_jNS1_19radix_merge_compareILb0ELb1EjNS0_19identity_decomposerEEEEE10hipError_tT0_T1_T2_jT3_P12ihipStream_tbPNSt15iterator_traitsISI_E10value_typeEPNSO_ISJ_E10value_typeEPSK_NS1_7vsmem_tEENKUlT_SI_SJ_SK_E_clISD_PjSD_S10_EESH_SX_SI_SJ_SK_EUlSX_E1_NS1_11comp_targetILNS1_3genE10ELNS1_11target_archE1201ELNS1_3gpuE5ELNS1_3repE0EEENS1_36merge_oddeven_config_static_selectorELNS0_4arch9wavefront6targetE1EEEvSJ_,@function
_ZN7rocprim17ROCPRIM_400000_NS6detail17trampoline_kernelINS0_14default_configENS1_38merge_sort_block_merge_config_selectorIjjEEZZNS1_27merge_sort_block_merge_implIS3_N6thrust23THRUST_200600_302600_NS6detail15normal_iteratorINS8_10device_ptrIjEEEESD_jNS1_19radix_merge_compareILb0ELb1EjNS0_19identity_decomposerEEEEE10hipError_tT0_T1_T2_jT3_P12ihipStream_tbPNSt15iterator_traitsISI_E10value_typeEPNSO_ISJ_E10value_typeEPSK_NS1_7vsmem_tEENKUlT_SI_SJ_SK_E_clISD_PjSD_S10_EESH_SX_SI_SJ_SK_EUlSX_E1_NS1_11comp_targetILNS1_3genE10ELNS1_11target_archE1201ELNS1_3gpuE5ELNS1_3repE0EEENS1_36merge_oddeven_config_static_selectorELNS0_4arch9wavefront6targetE1EEEvSJ_: ; @_ZN7rocprim17ROCPRIM_400000_NS6detail17trampoline_kernelINS0_14default_configENS1_38merge_sort_block_merge_config_selectorIjjEEZZNS1_27merge_sort_block_merge_implIS3_N6thrust23THRUST_200600_302600_NS6detail15normal_iteratorINS8_10device_ptrIjEEEESD_jNS1_19radix_merge_compareILb0ELb1EjNS0_19identity_decomposerEEEEE10hipError_tT0_T1_T2_jT3_P12ihipStream_tbPNSt15iterator_traitsISI_E10value_typeEPNSO_ISJ_E10value_typeEPSK_NS1_7vsmem_tEENKUlT_SI_SJ_SK_E_clISD_PjSD_S10_EESH_SX_SI_SJ_SK_EUlSX_E1_NS1_11comp_targetILNS1_3genE10ELNS1_11target_archE1201ELNS1_3gpuE5ELNS1_3repE0EEENS1_36merge_oddeven_config_static_selectorELNS0_4arch9wavefront6targetE1EEEvSJ_
; %bb.0:
	.section	.rodata,"a",@progbits
	.p2align	6, 0x0
	.amdhsa_kernel _ZN7rocprim17ROCPRIM_400000_NS6detail17trampoline_kernelINS0_14default_configENS1_38merge_sort_block_merge_config_selectorIjjEEZZNS1_27merge_sort_block_merge_implIS3_N6thrust23THRUST_200600_302600_NS6detail15normal_iteratorINS8_10device_ptrIjEEEESD_jNS1_19radix_merge_compareILb0ELb1EjNS0_19identity_decomposerEEEEE10hipError_tT0_T1_T2_jT3_P12ihipStream_tbPNSt15iterator_traitsISI_E10value_typeEPNSO_ISJ_E10value_typeEPSK_NS1_7vsmem_tEENKUlT_SI_SJ_SK_E_clISD_PjSD_S10_EESH_SX_SI_SJ_SK_EUlSX_E1_NS1_11comp_targetILNS1_3genE10ELNS1_11target_archE1201ELNS1_3gpuE5ELNS1_3repE0EEENS1_36merge_oddeven_config_static_selectorELNS0_4arch9wavefront6targetE1EEEvSJ_
		.amdhsa_group_segment_fixed_size 0
		.amdhsa_private_segment_fixed_size 0
		.amdhsa_kernarg_size 48
		.amdhsa_user_sgpr_count 2
		.amdhsa_user_sgpr_dispatch_ptr 0
		.amdhsa_user_sgpr_queue_ptr 0
		.amdhsa_user_sgpr_kernarg_segment_ptr 1
		.amdhsa_user_sgpr_dispatch_id 0
		.amdhsa_user_sgpr_kernarg_preload_length 0
		.amdhsa_user_sgpr_kernarg_preload_offset 0
		.amdhsa_user_sgpr_private_segment_size 0
		.amdhsa_uses_dynamic_stack 0
		.amdhsa_enable_private_segment 0
		.amdhsa_system_sgpr_workgroup_id_x 1
		.amdhsa_system_sgpr_workgroup_id_y 0
		.amdhsa_system_sgpr_workgroup_id_z 0
		.amdhsa_system_sgpr_workgroup_info 0
		.amdhsa_system_vgpr_workitem_id 0
		.amdhsa_next_free_vgpr 1
		.amdhsa_next_free_sgpr 0
		.amdhsa_accum_offset 4
		.amdhsa_reserve_vcc 0
		.amdhsa_float_round_mode_32 0
		.amdhsa_float_round_mode_16_64 0
		.amdhsa_float_denorm_mode_32 3
		.amdhsa_float_denorm_mode_16_64 3
		.amdhsa_dx10_clamp 1
		.amdhsa_ieee_mode 1
		.amdhsa_fp16_overflow 0
		.amdhsa_tg_split 0
		.amdhsa_exception_fp_ieee_invalid_op 0
		.amdhsa_exception_fp_denorm_src 0
		.amdhsa_exception_fp_ieee_div_zero 0
		.amdhsa_exception_fp_ieee_overflow 0
		.amdhsa_exception_fp_ieee_underflow 0
		.amdhsa_exception_fp_ieee_inexact 0
		.amdhsa_exception_int_div_zero 0
	.end_amdhsa_kernel
	.section	.text._ZN7rocprim17ROCPRIM_400000_NS6detail17trampoline_kernelINS0_14default_configENS1_38merge_sort_block_merge_config_selectorIjjEEZZNS1_27merge_sort_block_merge_implIS3_N6thrust23THRUST_200600_302600_NS6detail15normal_iteratorINS8_10device_ptrIjEEEESD_jNS1_19radix_merge_compareILb0ELb1EjNS0_19identity_decomposerEEEEE10hipError_tT0_T1_T2_jT3_P12ihipStream_tbPNSt15iterator_traitsISI_E10value_typeEPNSO_ISJ_E10value_typeEPSK_NS1_7vsmem_tEENKUlT_SI_SJ_SK_E_clISD_PjSD_S10_EESH_SX_SI_SJ_SK_EUlSX_E1_NS1_11comp_targetILNS1_3genE10ELNS1_11target_archE1201ELNS1_3gpuE5ELNS1_3repE0EEENS1_36merge_oddeven_config_static_selectorELNS0_4arch9wavefront6targetE1EEEvSJ_,"axG",@progbits,_ZN7rocprim17ROCPRIM_400000_NS6detail17trampoline_kernelINS0_14default_configENS1_38merge_sort_block_merge_config_selectorIjjEEZZNS1_27merge_sort_block_merge_implIS3_N6thrust23THRUST_200600_302600_NS6detail15normal_iteratorINS8_10device_ptrIjEEEESD_jNS1_19radix_merge_compareILb0ELb1EjNS0_19identity_decomposerEEEEE10hipError_tT0_T1_T2_jT3_P12ihipStream_tbPNSt15iterator_traitsISI_E10value_typeEPNSO_ISJ_E10value_typeEPSK_NS1_7vsmem_tEENKUlT_SI_SJ_SK_E_clISD_PjSD_S10_EESH_SX_SI_SJ_SK_EUlSX_E1_NS1_11comp_targetILNS1_3genE10ELNS1_11target_archE1201ELNS1_3gpuE5ELNS1_3repE0EEENS1_36merge_oddeven_config_static_selectorELNS0_4arch9wavefront6targetE1EEEvSJ_,comdat
.Lfunc_end717:
	.size	_ZN7rocprim17ROCPRIM_400000_NS6detail17trampoline_kernelINS0_14default_configENS1_38merge_sort_block_merge_config_selectorIjjEEZZNS1_27merge_sort_block_merge_implIS3_N6thrust23THRUST_200600_302600_NS6detail15normal_iteratorINS8_10device_ptrIjEEEESD_jNS1_19radix_merge_compareILb0ELb1EjNS0_19identity_decomposerEEEEE10hipError_tT0_T1_T2_jT3_P12ihipStream_tbPNSt15iterator_traitsISI_E10value_typeEPNSO_ISJ_E10value_typeEPSK_NS1_7vsmem_tEENKUlT_SI_SJ_SK_E_clISD_PjSD_S10_EESH_SX_SI_SJ_SK_EUlSX_E1_NS1_11comp_targetILNS1_3genE10ELNS1_11target_archE1201ELNS1_3gpuE5ELNS1_3repE0EEENS1_36merge_oddeven_config_static_selectorELNS0_4arch9wavefront6targetE1EEEvSJ_, .Lfunc_end717-_ZN7rocprim17ROCPRIM_400000_NS6detail17trampoline_kernelINS0_14default_configENS1_38merge_sort_block_merge_config_selectorIjjEEZZNS1_27merge_sort_block_merge_implIS3_N6thrust23THRUST_200600_302600_NS6detail15normal_iteratorINS8_10device_ptrIjEEEESD_jNS1_19radix_merge_compareILb0ELb1EjNS0_19identity_decomposerEEEEE10hipError_tT0_T1_T2_jT3_P12ihipStream_tbPNSt15iterator_traitsISI_E10value_typeEPNSO_ISJ_E10value_typeEPSK_NS1_7vsmem_tEENKUlT_SI_SJ_SK_E_clISD_PjSD_S10_EESH_SX_SI_SJ_SK_EUlSX_E1_NS1_11comp_targetILNS1_3genE10ELNS1_11target_archE1201ELNS1_3gpuE5ELNS1_3repE0EEENS1_36merge_oddeven_config_static_selectorELNS0_4arch9wavefront6targetE1EEEvSJ_
                                        ; -- End function
	.set _ZN7rocprim17ROCPRIM_400000_NS6detail17trampoline_kernelINS0_14default_configENS1_38merge_sort_block_merge_config_selectorIjjEEZZNS1_27merge_sort_block_merge_implIS3_N6thrust23THRUST_200600_302600_NS6detail15normal_iteratorINS8_10device_ptrIjEEEESD_jNS1_19radix_merge_compareILb0ELb1EjNS0_19identity_decomposerEEEEE10hipError_tT0_T1_T2_jT3_P12ihipStream_tbPNSt15iterator_traitsISI_E10value_typeEPNSO_ISJ_E10value_typeEPSK_NS1_7vsmem_tEENKUlT_SI_SJ_SK_E_clISD_PjSD_S10_EESH_SX_SI_SJ_SK_EUlSX_E1_NS1_11comp_targetILNS1_3genE10ELNS1_11target_archE1201ELNS1_3gpuE5ELNS1_3repE0EEENS1_36merge_oddeven_config_static_selectorELNS0_4arch9wavefront6targetE1EEEvSJ_.num_vgpr, 0
	.set _ZN7rocprim17ROCPRIM_400000_NS6detail17trampoline_kernelINS0_14default_configENS1_38merge_sort_block_merge_config_selectorIjjEEZZNS1_27merge_sort_block_merge_implIS3_N6thrust23THRUST_200600_302600_NS6detail15normal_iteratorINS8_10device_ptrIjEEEESD_jNS1_19radix_merge_compareILb0ELb1EjNS0_19identity_decomposerEEEEE10hipError_tT0_T1_T2_jT3_P12ihipStream_tbPNSt15iterator_traitsISI_E10value_typeEPNSO_ISJ_E10value_typeEPSK_NS1_7vsmem_tEENKUlT_SI_SJ_SK_E_clISD_PjSD_S10_EESH_SX_SI_SJ_SK_EUlSX_E1_NS1_11comp_targetILNS1_3genE10ELNS1_11target_archE1201ELNS1_3gpuE5ELNS1_3repE0EEENS1_36merge_oddeven_config_static_selectorELNS0_4arch9wavefront6targetE1EEEvSJ_.num_agpr, 0
	.set _ZN7rocprim17ROCPRIM_400000_NS6detail17trampoline_kernelINS0_14default_configENS1_38merge_sort_block_merge_config_selectorIjjEEZZNS1_27merge_sort_block_merge_implIS3_N6thrust23THRUST_200600_302600_NS6detail15normal_iteratorINS8_10device_ptrIjEEEESD_jNS1_19radix_merge_compareILb0ELb1EjNS0_19identity_decomposerEEEEE10hipError_tT0_T1_T2_jT3_P12ihipStream_tbPNSt15iterator_traitsISI_E10value_typeEPNSO_ISJ_E10value_typeEPSK_NS1_7vsmem_tEENKUlT_SI_SJ_SK_E_clISD_PjSD_S10_EESH_SX_SI_SJ_SK_EUlSX_E1_NS1_11comp_targetILNS1_3genE10ELNS1_11target_archE1201ELNS1_3gpuE5ELNS1_3repE0EEENS1_36merge_oddeven_config_static_selectorELNS0_4arch9wavefront6targetE1EEEvSJ_.numbered_sgpr, 0
	.set _ZN7rocprim17ROCPRIM_400000_NS6detail17trampoline_kernelINS0_14default_configENS1_38merge_sort_block_merge_config_selectorIjjEEZZNS1_27merge_sort_block_merge_implIS3_N6thrust23THRUST_200600_302600_NS6detail15normal_iteratorINS8_10device_ptrIjEEEESD_jNS1_19radix_merge_compareILb0ELb1EjNS0_19identity_decomposerEEEEE10hipError_tT0_T1_T2_jT3_P12ihipStream_tbPNSt15iterator_traitsISI_E10value_typeEPNSO_ISJ_E10value_typeEPSK_NS1_7vsmem_tEENKUlT_SI_SJ_SK_E_clISD_PjSD_S10_EESH_SX_SI_SJ_SK_EUlSX_E1_NS1_11comp_targetILNS1_3genE10ELNS1_11target_archE1201ELNS1_3gpuE5ELNS1_3repE0EEENS1_36merge_oddeven_config_static_selectorELNS0_4arch9wavefront6targetE1EEEvSJ_.num_named_barrier, 0
	.set _ZN7rocprim17ROCPRIM_400000_NS6detail17trampoline_kernelINS0_14default_configENS1_38merge_sort_block_merge_config_selectorIjjEEZZNS1_27merge_sort_block_merge_implIS3_N6thrust23THRUST_200600_302600_NS6detail15normal_iteratorINS8_10device_ptrIjEEEESD_jNS1_19radix_merge_compareILb0ELb1EjNS0_19identity_decomposerEEEEE10hipError_tT0_T1_T2_jT3_P12ihipStream_tbPNSt15iterator_traitsISI_E10value_typeEPNSO_ISJ_E10value_typeEPSK_NS1_7vsmem_tEENKUlT_SI_SJ_SK_E_clISD_PjSD_S10_EESH_SX_SI_SJ_SK_EUlSX_E1_NS1_11comp_targetILNS1_3genE10ELNS1_11target_archE1201ELNS1_3gpuE5ELNS1_3repE0EEENS1_36merge_oddeven_config_static_selectorELNS0_4arch9wavefront6targetE1EEEvSJ_.private_seg_size, 0
	.set _ZN7rocprim17ROCPRIM_400000_NS6detail17trampoline_kernelINS0_14default_configENS1_38merge_sort_block_merge_config_selectorIjjEEZZNS1_27merge_sort_block_merge_implIS3_N6thrust23THRUST_200600_302600_NS6detail15normal_iteratorINS8_10device_ptrIjEEEESD_jNS1_19radix_merge_compareILb0ELb1EjNS0_19identity_decomposerEEEEE10hipError_tT0_T1_T2_jT3_P12ihipStream_tbPNSt15iterator_traitsISI_E10value_typeEPNSO_ISJ_E10value_typeEPSK_NS1_7vsmem_tEENKUlT_SI_SJ_SK_E_clISD_PjSD_S10_EESH_SX_SI_SJ_SK_EUlSX_E1_NS1_11comp_targetILNS1_3genE10ELNS1_11target_archE1201ELNS1_3gpuE5ELNS1_3repE0EEENS1_36merge_oddeven_config_static_selectorELNS0_4arch9wavefront6targetE1EEEvSJ_.uses_vcc, 0
	.set _ZN7rocprim17ROCPRIM_400000_NS6detail17trampoline_kernelINS0_14default_configENS1_38merge_sort_block_merge_config_selectorIjjEEZZNS1_27merge_sort_block_merge_implIS3_N6thrust23THRUST_200600_302600_NS6detail15normal_iteratorINS8_10device_ptrIjEEEESD_jNS1_19radix_merge_compareILb0ELb1EjNS0_19identity_decomposerEEEEE10hipError_tT0_T1_T2_jT3_P12ihipStream_tbPNSt15iterator_traitsISI_E10value_typeEPNSO_ISJ_E10value_typeEPSK_NS1_7vsmem_tEENKUlT_SI_SJ_SK_E_clISD_PjSD_S10_EESH_SX_SI_SJ_SK_EUlSX_E1_NS1_11comp_targetILNS1_3genE10ELNS1_11target_archE1201ELNS1_3gpuE5ELNS1_3repE0EEENS1_36merge_oddeven_config_static_selectorELNS0_4arch9wavefront6targetE1EEEvSJ_.uses_flat_scratch, 0
	.set _ZN7rocprim17ROCPRIM_400000_NS6detail17trampoline_kernelINS0_14default_configENS1_38merge_sort_block_merge_config_selectorIjjEEZZNS1_27merge_sort_block_merge_implIS3_N6thrust23THRUST_200600_302600_NS6detail15normal_iteratorINS8_10device_ptrIjEEEESD_jNS1_19radix_merge_compareILb0ELb1EjNS0_19identity_decomposerEEEEE10hipError_tT0_T1_T2_jT3_P12ihipStream_tbPNSt15iterator_traitsISI_E10value_typeEPNSO_ISJ_E10value_typeEPSK_NS1_7vsmem_tEENKUlT_SI_SJ_SK_E_clISD_PjSD_S10_EESH_SX_SI_SJ_SK_EUlSX_E1_NS1_11comp_targetILNS1_3genE10ELNS1_11target_archE1201ELNS1_3gpuE5ELNS1_3repE0EEENS1_36merge_oddeven_config_static_selectorELNS0_4arch9wavefront6targetE1EEEvSJ_.has_dyn_sized_stack, 0
	.set _ZN7rocprim17ROCPRIM_400000_NS6detail17trampoline_kernelINS0_14default_configENS1_38merge_sort_block_merge_config_selectorIjjEEZZNS1_27merge_sort_block_merge_implIS3_N6thrust23THRUST_200600_302600_NS6detail15normal_iteratorINS8_10device_ptrIjEEEESD_jNS1_19radix_merge_compareILb0ELb1EjNS0_19identity_decomposerEEEEE10hipError_tT0_T1_T2_jT3_P12ihipStream_tbPNSt15iterator_traitsISI_E10value_typeEPNSO_ISJ_E10value_typeEPSK_NS1_7vsmem_tEENKUlT_SI_SJ_SK_E_clISD_PjSD_S10_EESH_SX_SI_SJ_SK_EUlSX_E1_NS1_11comp_targetILNS1_3genE10ELNS1_11target_archE1201ELNS1_3gpuE5ELNS1_3repE0EEENS1_36merge_oddeven_config_static_selectorELNS0_4arch9wavefront6targetE1EEEvSJ_.has_recursion, 0
	.set _ZN7rocprim17ROCPRIM_400000_NS6detail17trampoline_kernelINS0_14default_configENS1_38merge_sort_block_merge_config_selectorIjjEEZZNS1_27merge_sort_block_merge_implIS3_N6thrust23THRUST_200600_302600_NS6detail15normal_iteratorINS8_10device_ptrIjEEEESD_jNS1_19radix_merge_compareILb0ELb1EjNS0_19identity_decomposerEEEEE10hipError_tT0_T1_T2_jT3_P12ihipStream_tbPNSt15iterator_traitsISI_E10value_typeEPNSO_ISJ_E10value_typeEPSK_NS1_7vsmem_tEENKUlT_SI_SJ_SK_E_clISD_PjSD_S10_EESH_SX_SI_SJ_SK_EUlSX_E1_NS1_11comp_targetILNS1_3genE10ELNS1_11target_archE1201ELNS1_3gpuE5ELNS1_3repE0EEENS1_36merge_oddeven_config_static_selectorELNS0_4arch9wavefront6targetE1EEEvSJ_.has_indirect_call, 0
	.section	.AMDGPU.csdata,"",@progbits
; Kernel info:
; codeLenInByte = 0
; TotalNumSgprs: 6
; NumVgprs: 0
; NumAgprs: 0
; TotalNumVgprs: 0
; ScratchSize: 0
; MemoryBound: 0
; FloatMode: 240
; IeeeMode: 1
; LDSByteSize: 0 bytes/workgroup (compile time only)
; SGPRBlocks: 0
; VGPRBlocks: 0
; NumSGPRsForWavesPerEU: 6
; NumVGPRsForWavesPerEU: 1
; AccumOffset: 4
; Occupancy: 8
; WaveLimiterHint : 0
; COMPUTE_PGM_RSRC2:SCRATCH_EN: 0
; COMPUTE_PGM_RSRC2:USER_SGPR: 2
; COMPUTE_PGM_RSRC2:TRAP_HANDLER: 0
; COMPUTE_PGM_RSRC2:TGID_X_EN: 1
; COMPUTE_PGM_RSRC2:TGID_Y_EN: 0
; COMPUTE_PGM_RSRC2:TGID_Z_EN: 0
; COMPUTE_PGM_RSRC2:TIDIG_COMP_CNT: 0
; COMPUTE_PGM_RSRC3_GFX90A:ACCUM_OFFSET: 0
; COMPUTE_PGM_RSRC3_GFX90A:TG_SPLIT: 0
	.section	.text._ZN7rocprim17ROCPRIM_400000_NS6detail17trampoline_kernelINS0_14default_configENS1_38merge_sort_block_merge_config_selectorIjjEEZZNS1_27merge_sort_block_merge_implIS3_N6thrust23THRUST_200600_302600_NS6detail15normal_iteratorINS8_10device_ptrIjEEEESD_jNS1_19radix_merge_compareILb0ELb1EjNS0_19identity_decomposerEEEEE10hipError_tT0_T1_T2_jT3_P12ihipStream_tbPNSt15iterator_traitsISI_E10value_typeEPNSO_ISJ_E10value_typeEPSK_NS1_7vsmem_tEENKUlT_SI_SJ_SK_E_clISD_PjSD_S10_EESH_SX_SI_SJ_SK_EUlSX_E1_NS1_11comp_targetILNS1_3genE5ELNS1_11target_archE942ELNS1_3gpuE9ELNS1_3repE0EEENS1_36merge_oddeven_config_static_selectorELNS0_4arch9wavefront6targetE1EEEvSJ_,"axG",@progbits,_ZN7rocprim17ROCPRIM_400000_NS6detail17trampoline_kernelINS0_14default_configENS1_38merge_sort_block_merge_config_selectorIjjEEZZNS1_27merge_sort_block_merge_implIS3_N6thrust23THRUST_200600_302600_NS6detail15normal_iteratorINS8_10device_ptrIjEEEESD_jNS1_19radix_merge_compareILb0ELb1EjNS0_19identity_decomposerEEEEE10hipError_tT0_T1_T2_jT3_P12ihipStream_tbPNSt15iterator_traitsISI_E10value_typeEPNSO_ISJ_E10value_typeEPSK_NS1_7vsmem_tEENKUlT_SI_SJ_SK_E_clISD_PjSD_S10_EESH_SX_SI_SJ_SK_EUlSX_E1_NS1_11comp_targetILNS1_3genE5ELNS1_11target_archE942ELNS1_3gpuE9ELNS1_3repE0EEENS1_36merge_oddeven_config_static_selectorELNS0_4arch9wavefront6targetE1EEEvSJ_,comdat
	.protected	_ZN7rocprim17ROCPRIM_400000_NS6detail17trampoline_kernelINS0_14default_configENS1_38merge_sort_block_merge_config_selectorIjjEEZZNS1_27merge_sort_block_merge_implIS3_N6thrust23THRUST_200600_302600_NS6detail15normal_iteratorINS8_10device_ptrIjEEEESD_jNS1_19radix_merge_compareILb0ELb1EjNS0_19identity_decomposerEEEEE10hipError_tT0_T1_T2_jT3_P12ihipStream_tbPNSt15iterator_traitsISI_E10value_typeEPNSO_ISJ_E10value_typeEPSK_NS1_7vsmem_tEENKUlT_SI_SJ_SK_E_clISD_PjSD_S10_EESH_SX_SI_SJ_SK_EUlSX_E1_NS1_11comp_targetILNS1_3genE5ELNS1_11target_archE942ELNS1_3gpuE9ELNS1_3repE0EEENS1_36merge_oddeven_config_static_selectorELNS0_4arch9wavefront6targetE1EEEvSJ_ ; -- Begin function _ZN7rocprim17ROCPRIM_400000_NS6detail17trampoline_kernelINS0_14default_configENS1_38merge_sort_block_merge_config_selectorIjjEEZZNS1_27merge_sort_block_merge_implIS3_N6thrust23THRUST_200600_302600_NS6detail15normal_iteratorINS8_10device_ptrIjEEEESD_jNS1_19radix_merge_compareILb0ELb1EjNS0_19identity_decomposerEEEEE10hipError_tT0_T1_T2_jT3_P12ihipStream_tbPNSt15iterator_traitsISI_E10value_typeEPNSO_ISJ_E10value_typeEPSK_NS1_7vsmem_tEENKUlT_SI_SJ_SK_E_clISD_PjSD_S10_EESH_SX_SI_SJ_SK_EUlSX_E1_NS1_11comp_targetILNS1_3genE5ELNS1_11target_archE942ELNS1_3gpuE9ELNS1_3repE0EEENS1_36merge_oddeven_config_static_selectorELNS0_4arch9wavefront6targetE1EEEvSJ_
	.globl	_ZN7rocprim17ROCPRIM_400000_NS6detail17trampoline_kernelINS0_14default_configENS1_38merge_sort_block_merge_config_selectorIjjEEZZNS1_27merge_sort_block_merge_implIS3_N6thrust23THRUST_200600_302600_NS6detail15normal_iteratorINS8_10device_ptrIjEEEESD_jNS1_19radix_merge_compareILb0ELb1EjNS0_19identity_decomposerEEEEE10hipError_tT0_T1_T2_jT3_P12ihipStream_tbPNSt15iterator_traitsISI_E10value_typeEPNSO_ISJ_E10value_typeEPSK_NS1_7vsmem_tEENKUlT_SI_SJ_SK_E_clISD_PjSD_S10_EESH_SX_SI_SJ_SK_EUlSX_E1_NS1_11comp_targetILNS1_3genE5ELNS1_11target_archE942ELNS1_3gpuE9ELNS1_3repE0EEENS1_36merge_oddeven_config_static_selectorELNS0_4arch9wavefront6targetE1EEEvSJ_
	.p2align	8
	.type	_ZN7rocprim17ROCPRIM_400000_NS6detail17trampoline_kernelINS0_14default_configENS1_38merge_sort_block_merge_config_selectorIjjEEZZNS1_27merge_sort_block_merge_implIS3_N6thrust23THRUST_200600_302600_NS6detail15normal_iteratorINS8_10device_ptrIjEEEESD_jNS1_19radix_merge_compareILb0ELb1EjNS0_19identity_decomposerEEEEE10hipError_tT0_T1_T2_jT3_P12ihipStream_tbPNSt15iterator_traitsISI_E10value_typeEPNSO_ISJ_E10value_typeEPSK_NS1_7vsmem_tEENKUlT_SI_SJ_SK_E_clISD_PjSD_S10_EESH_SX_SI_SJ_SK_EUlSX_E1_NS1_11comp_targetILNS1_3genE5ELNS1_11target_archE942ELNS1_3gpuE9ELNS1_3repE0EEENS1_36merge_oddeven_config_static_selectorELNS0_4arch9wavefront6targetE1EEEvSJ_,@function
_ZN7rocprim17ROCPRIM_400000_NS6detail17trampoline_kernelINS0_14default_configENS1_38merge_sort_block_merge_config_selectorIjjEEZZNS1_27merge_sort_block_merge_implIS3_N6thrust23THRUST_200600_302600_NS6detail15normal_iteratorINS8_10device_ptrIjEEEESD_jNS1_19radix_merge_compareILb0ELb1EjNS0_19identity_decomposerEEEEE10hipError_tT0_T1_T2_jT3_P12ihipStream_tbPNSt15iterator_traitsISI_E10value_typeEPNSO_ISJ_E10value_typeEPSK_NS1_7vsmem_tEENKUlT_SI_SJ_SK_E_clISD_PjSD_S10_EESH_SX_SI_SJ_SK_EUlSX_E1_NS1_11comp_targetILNS1_3genE5ELNS1_11target_archE942ELNS1_3gpuE9ELNS1_3repE0EEENS1_36merge_oddeven_config_static_selectorELNS0_4arch9wavefront6targetE1EEEvSJ_: ; @_ZN7rocprim17ROCPRIM_400000_NS6detail17trampoline_kernelINS0_14default_configENS1_38merge_sort_block_merge_config_selectorIjjEEZZNS1_27merge_sort_block_merge_implIS3_N6thrust23THRUST_200600_302600_NS6detail15normal_iteratorINS8_10device_ptrIjEEEESD_jNS1_19radix_merge_compareILb0ELb1EjNS0_19identity_decomposerEEEEE10hipError_tT0_T1_T2_jT3_P12ihipStream_tbPNSt15iterator_traitsISI_E10value_typeEPNSO_ISJ_E10value_typeEPSK_NS1_7vsmem_tEENKUlT_SI_SJ_SK_E_clISD_PjSD_S10_EESH_SX_SI_SJ_SK_EUlSX_E1_NS1_11comp_targetILNS1_3genE5ELNS1_11target_archE942ELNS1_3gpuE9ELNS1_3repE0EEENS1_36merge_oddeven_config_static_selectorELNS0_4arch9wavefront6targetE1EEEvSJ_
; %bb.0:
	.section	.rodata,"a",@progbits
	.p2align	6, 0x0
	.amdhsa_kernel _ZN7rocprim17ROCPRIM_400000_NS6detail17trampoline_kernelINS0_14default_configENS1_38merge_sort_block_merge_config_selectorIjjEEZZNS1_27merge_sort_block_merge_implIS3_N6thrust23THRUST_200600_302600_NS6detail15normal_iteratorINS8_10device_ptrIjEEEESD_jNS1_19radix_merge_compareILb0ELb1EjNS0_19identity_decomposerEEEEE10hipError_tT0_T1_T2_jT3_P12ihipStream_tbPNSt15iterator_traitsISI_E10value_typeEPNSO_ISJ_E10value_typeEPSK_NS1_7vsmem_tEENKUlT_SI_SJ_SK_E_clISD_PjSD_S10_EESH_SX_SI_SJ_SK_EUlSX_E1_NS1_11comp_targetILNS1_3genE5ELNS1_11target_archE942ELNS1_3gpuE9ELNS1_3repE0EEENS1_36merge_oddeven_config_static_selectorELNS0_4arch9wavefront6targetE1EEEvSJ_
		.amdhsa_group_segment_fixed_size 0
		.amdhsa_private_segment_fixed_size 0
		.amdhsa_kernarg_size 48
		.amdhsa_user_sgpr_count 2
		.amdhsa_user_sgpr_dispatch_ptr 0
		.amdhsa_user_sgpr_queue_ptr 0
		.amdhsa_user_sgpr_kernarg_segment_ptr 1
		.amdhsa_user_sgpr_dispatch_id 0
		.amdhsa_user_sgpr_kernarg_preload_length 0
		.amdhsa_user_sgpr_kernarg_preload_offset 0
		.amdhsa_user_sgpr_private_segment_size 0
		.amdhsa_uses_dynamic_stack 0
		.amdhsa_enable_private_segment 0
		.amdhsa_system_sgpr_workgroup_id_x 1
		.amdhsa_system_sgpr_workgroup_id_y 0
		.amdhsa_system_sgpr_workgroup_id_z 0
		.amdhsa_system_sgpr_workgroup_info 0
		.amdhsa_system_vgpr_workitem_id 0
		.amdhsa_next_free_vgpr 1
		.amdhsa_next_free_sgpr 0
		.amdhsa_accum_offset 4
		.amdhsa_reserve_vcc 0
		.amdhsa_float_round_mode_32 0
		.amdhsa_float_round_mode_16_64 0
		.amdhsa_float_denorm_mode_32 3
		.amdhsa_float_denorm_mode_16_64 3
		.amdhsa_dx10_clamp 1
		.amdhsa_ieee_mode 1
		.amdhsa_fp16_overflow 0
		.amdhsa_tg_split 0
		.amdhsa_exception_fp_ieee_invalid_op 0
		.amdhsa_exception_fp_denorm_src 0
		.amdhsa_exception_fp_ieee_div_zero 0
		.amdhsa_exception_fp_ieee_overflow 0
		.amdhsa_exception_fp_ieee_underflow 0
		.amdhsa_exception_fp_ieee_inexact 0
		.amdhsa_exception_int_div_zero 0
	.end_amdhsa_kernel
	.section	.text._ZN7rocprim17ROCPRIM_400000_NS6detail17trampoline_kernelINS0_14default_configENS1_38merge_sort_block_merge_config_selectorIjjEEZZNS1_27merge_sort_block_merge_implIS3_N6thrust23THRUST_200600_302600_NS6detail15normal_iteratorINS8_10device_ptrIjEEEESD_jNS1_19radix_merge_compareILb0ELb1EjNS0_19identity_decomposerEEEEE10hipError_tT0_T1_T2_jT3_P12ihipStream_tbPNSt15iterator_traitsISI_E10value_typeEPNSO_ISJ_E10value_typeEPSK_NS1_7vsmem_tEENKUlT_SI_SJ_SK_E_clISD_PjSD_S10_EESH_SX_SI_SJ_SK_EUlSX_E1_NS1_11comp_targetILNS1_3genE5ELNS1_11target_archE942ELNS1_3gpuE9ELNS1_3repE0EEENS1_36merge_oddeven_config_static_selectorELNS0_4arch9wavefront6targetE1EEEvSJ_,"axG",@progbits,_ZN7rocprim17ROCPRIM_400000_NS6detail17trampoline_kernelINS0_14default_configENS1_38merge_sort_block_merge_config_selectorIjjEEZZNS1_27merge_sort_block_merge_implIS3_N6thrust23THRUST_200600_302600_NS6detail15normal_iteratorINS8_10device_ptrIjEEEESD_jNS1_19radix_merge_compareILb0ELb1EjNS0_19identity_decomposerEEEEE10hipError_tT0_T1_T2_jT3_P12ihipStream_tbPNSt15iterator_traitsISI_E10value_typeEPNSO_ISJ_E10value_typeEPSK_NS1_7vsmem_tEENKUlT_SI_SJ_SK_E_clISD_PjSD_S10_EESH_SX_SI_SJ_SK_EUlSX_E1_NS1_11comp_targetILNS1_3genE5ELNS1_11target_archE942ELNS1_3gpuE9ELNS1_3repE0EEENS1_36merge_oddeven_config_static_selectorELNS0_4arch9wavefront6targetE1EEEvSJ_,comdat
.Lfunc_end718:
	.size	_ZN7rocprim17ROCPRIM_400000_NS6detail17trampoline_kernelINS0_14default_configENS1_38merge_sort_block_merge_config_selectorIjjEEZZNS1_27merge_sort_block_merge_implIS3_N6thrust23THRUST_200600_302600_NS6detail15normal_iteratorINS8_10device_ptrIjEEEESD_jNS1_19radix_merge_compareILb0ELb1EjNS0_19identity_decomposerEEEEE10hipError_tT0_T1_T2_jT3_P12ihipStream_tbPNSt15iterator_traitsISI_E10value_typeEPNSO_ISJ_E10value_typeEPSK_NS1_7vsmem_tEENKUlT_SI_SJ_SK_E_clISD_PjSD_S10_EESH_SX_SI_SJ_SK_EUlSX_E1_NS1_11comp_targetILNS1_3genE5ELNS1_11target_archE942ELNS1_3gpuE9ELNS1_3repE0EEENS1_36merge_oddeven_config_static_selectorELNS0_4arch9wavefront6targetE1EEEvSJ_, .Lfunc_end718-_ZN7rocprim17ROCPRIM_400000_NS6detail17trampoline_kernelINS0_14default_configENS1_38merge_sort_block_merge_config_selectorIjjEEZZNS1_27merge_sort_block_merge_implIS3_N6thrust23THRUST_200600_302600_NS6detail15normal_iteratorINS8_10device_ptrIjEEEESD_jNS1_19radix_merge_compareILb0ELb1EjNS0_19identity_decomposerEEEEE10hipError_tT0_T1_T2_jT3_P12ihipStream_tbPNSt15iterator_traitsISI_E10value_typeEPNSO_ISJ_E10value_typeEPSK_NS1_7vsmem_tEENKUlT_SI_SJ_SK_E_clISD_PjSD_S10_EESH_SX_SI_SJ_SK_EUlSX_E1_NS1_11comp_targetILNS1_3genE5ELNS1_11target_archE942ELNS1_3gpuE9ELNS1_3repE0EEENS1_36merge_oddeven_config_static_selectorELNS0_4arch9wavefront6targetE1EEEvSJ_
                                        ; -- End function
	.set _ZN7rocprim17ROCPRIM_400000_NS6detail17trampoline_kernelINS0_14default_configENS1_38merge_sort_block_merge_config_selectorIjjEEZZNS1_27merge_sort_block_merge_implIS3_N6thrust23THRUST_200600_302600_NS6detail15normal_iteratorINS8_10device_ptrIjEEEESD_jNS1_19radix_merge_compareILb0ELb1EjNS0_19identity_decomposerEEEEE10hipError_tT0_T1_T2_jT3_P12ihipStream_tbPNSt15iterator_traitsISI_E10value_typeEPNSO_ISJ_E10value_typeEPSK_NS1_7vsmem_tEENKUlT_SI_SJ_SK_E_clISD_PjSD_S10_EESH_SX_SI_SJ_SK_EUlSX_E1_NS1_11comp_targetILNS1_3genE5ELNS1_11target_archE942ELNS1_3gpuE9ELNS1_3repE0EEENS1_36merge_oddeven_config_static_selectorELNS0_4arch9wavefront6targetE1EEEvSJ_.num_vgpr, 0
	.set _ZN7rocprim17ROCPRIM_400000_NS6detail17trampoline_kernelINS0_14default_configENS1_38merge_sort_block_merge_config_selectorIjjEEZZNS1_27merge_sort_block_merge_implIS3_N6thrust23THRUST_200600_302600_NS6detail15normal_iteratorINS8_10device_ptrIjEEEESD_jNS1_19radix_merge_compareILb0ELb1EjNS0_19identity_decomposerEEEEE10hipError_tT0_T1_T2_jT3_P12ihipStream_tbPNSt15iterator_traitsISI_E10value_typeEPNSO_ISJ_E10value_typeEPSK_NS1_7vsmem_tEENKUlT_SI_SJ_SK_E_clISD_PjSD_S10_EESH_SX_SI_SJ_SK_EUlSX_E1_NS1_11comp_targetILNS1_3genE5ELNS1_11target_archE942ELNS1_3gpuE9ELNS1_3repE0EEENS1_36merge_oddeven_config_static_selectorELNS0_4arch9wavefront6targetE1EEEvSJ_.num_agpr, 0
	.set _ZN7rocprim17ROCPRIM_400000_NS6detail17trampoline_kernelINS0_14default_configENS1_38merge_sort_block_merge_config_selectorIjjEEZZNS1_27merge_sort_block_merge_implIS3_N6thrust23THRUST_200600_302600_NS6detail15normal_iteratorINS8_10device_ptrIjEEEESD_jNS1_19radix_merge_compareILb0ELb1EjNS0_19identity_decomposerEEEEE10hipError_tT0_T1_T2_jT3_P12ihipStream_tbPNSt15iterator_traitsISI_E10value_typeEPNSO_ISJ_E10value_typeEPSK_NS1_7vsmem_tEENKUlT_SI_SJ_SK_E_clISD_PjSD_S10_EESH_SX_SI_SJ_SK_EUlSX_E1_NS1_11comp_targetILNS1_3genE5ELNS1_11target_archE942ELNS1_3gpuE9ELNS1_3repE0EEENS1_36merge_oddeven_config_static_selectorELNS0_4arch9wavefront6targetE1EEEvSJ_.numbered_sgpr, 0
	.set _ZN7rocprim17ROCPRIM_400000_NS6detail17trampoline_kernelINS0_14default_configENS1_38merge_sort_block_merge_config_selectorIjjEEZZNS1_27merge_sort_block_merge_implIS3_N6thrust23THRUST_200600_302600_NS6detail15normal_iteratorINS8_10device_ptrIjEEEESD_jNS1_19radix_merge_compareILb0ELb1EjNS0_19identity_decomposerEEEEE10hipError_tT0_T1_T2_jT3_P12ihipStream_tbPNSt15iterator_traitsISI_E10value_typeEPNSO_ISJ_E10value_typeEPSK_NS1_7vsmem_tEENKUlT_SI_SJ_SK_E_clISD_PjSD_S10_EESH_SX_SI_SJ_SK_EUlSX_E1_NS1_11comp_targetILNS1_3genE5ELNS1_11target_archE942ELNS1_3gpuE9ELNS1_3repE0EEENS1_36merge_oddeven_config_static_selectorELNS0_4arch9wavefront6targetE1EEEvSJ_.num_named_barrier, 0
	.set _ZN7rocprim17ROCPRIM_400000_NS6detail17trampoline_kernelINS0_14default_configENS1_38merge_sort_block_merge_config_selectorIjjEEZZNS1_27merge_sort_block_merge_implIS3_N6thrust23THRUST_200600_302600_NS6detail15normal_iteratorINS8_10device_ptrIjEEEESD_jNS1_19radix_merge_compareILb0ELb1EjNS0_19identity_decomposerEEEEE10hipError_tT0_T1_T2_jT3_P12ihipStream_tbPNSt15iterator_traitsISI_E10value_typeEPNSO_ISJ_E10value_typeEPSK_NS1_7vsmem_tEENKUlT_SI_SJ_SK_E_clISD_PjSD_S10_EESH_SX_SI_SJ_SK_EUlSX_E1_NS1_11comp_targetILNS1_3genE5ELNS1_11target_archE942ELNS1_3gpuE9ELNS1_3repE0EEENS1_36merge_oddeven_config_static_selectorELNS0_4arch9wavefront6targetE1EEEvSJ_.private_seg_size, 0
	.set _ZN7rocprim17ROCPRIM_400000_NS6detail17trampoline_kernelINS0_14default_configENS1_38merge_sort_block_merge_config_selectorIjjEEZZNS1_27merge_sort_block_merge_implIS3_N6thrust23THRUST_200600_302600_NS6detail15normal_iteratorINS8_10device_ptrIjEEEESD_jNS1_19radix_merge_compareILb0ELb1EjNS0_19identity_decomposerEEEEE10hipError_tT0_T1_T2_jT3_P12ihipStream_tbPNSt15iterator_traitsISI_E10value_typeEPNSO_ISJ_E10value_typeEPSK_NS1_7vsmem_tEENKUlT_SI_SJ_SK_E_clISD_PjSD_S10_EESH_SX_SI_SJ_SK_EUlSX_E1_NS1_11comp_targetILNS1_3genE5ELNS1_11target_archE942ELNS1_3gpuE9ELNS1_3repE0EEENS1_36merge_oddeven_config_static_selectorELNS0_4arch9wavefront6targetE1EEEvSJ_.uses_vcc, 0
	.set _ZN7rocprim17ROCPRIM_400000_NS6detail17trampoline_kernelINS0_14default_configENS1_38merge_sort_block_merge_config_selectorIjjEEZZNS1_27merge_sort_block_merge_implIS3_N6thrust23THRUST_200600_302600_NS6detail15normal_iteratorINS8_10device_ptrIjEEEESD_jNS1_19radix_merge_compareILb0ELb1EjNS0_19identity_decomposerEEEEE10hipError_tT0_T1_T2_jT3_P12ihipStream_tbPNSt15iterator_traitsISI_E10value_typeEPNSO_ISJ_E10value_typeEPSK_NS1_7vsmem_tEENKUlT_SI_SJ_SK_E_clISD_PjSD_S10_EESH_SX_SI_SJ_SK_EUlSX_E1_NS1_11comp_targetILNS1_3genE5ELNS1_11target_archE942ELNS1_3gpuE9ELNS1_3repE0EEENS1_36merge_oddeven_config_static_selectorELNS0_4arch9wavefront6targetE1EEEvSJ_.uses_flat_scratch, 0
	.set _ZN7rocprim17ROCPRIM_400000_NS6detail17trampoline_kernelINS0_14default_configENS1_38merge_sort_block_merge_config_selectorIjjEEZZNS1_27merge_sort_block_merge_implIS3_N6thrust23THRUST_200600_302600_NS6detail15normal_iteratorINS8_10device_ptrIjEEEESD_jNS1_19radix_merge_compareILb0ELb1EjNS0_19identity_decomposerEEEEE10hipError_tT0_T1_T2_jT3_P12ihipStream_tbPNSt15iterator_traitsISI_E10value_typeEPNSO_ISJ_E10value_typeEPSK_NS1_7vsmem_tEENKUlT_SI_SJ_SK_E_clISD_PjSD_S10_EESH_SX_SI_SJ_SK_EUlSX_E1_NS1_11comp_targetILNS1_3genE5ELNS1_11target_archE942ELNS1_3gpuE9ELNS1_3repE0EEENS1_36merge_oddeven_config_static_selectorELNS0_4arch9wavefront6targetE1EEEvSJ_.has_dyn_sized_stack, 0
	.set _ZN7rocprim17ROCPRIM_400000_NS6detail17trampoline_kernelINS0_14default_configENS1_38merge_sort_block_merge_config_selectorIjjEEZZNS1_27merge_sort_block_merge_implIS3_N6thrust23THRUST_200600_302600_NS6detail15normal_iteratorINS8_10device_ptrIjEEEESD_jNS1_19radix_merge_compareILb0ELb1EjNS0_19identity_decomposerEEEEE10hipError_tT0_T1_T2_jT3_P12ihipStream_tbPNSt15iterator_traitsISI_E10value_typeEPNSO_ISJ_E10value_typeEPSK_NS1_7vsmem_tEENKUlT_SI_SJ_SK_E_clISD_PjSD_S10_EESH_SX_SI_SJ_SK_EUlSX_E1_NS1_11comp_targetILNS1_3genE5ELNS1_11target_archE942ELNS1_3gpuE9ELNS1_3repE0EEENS1_36merge_oddeven_config_static_selectorELNS0_4arch9wavefront6targetE1EEEvSJ_.has_recursion, 0
	.set _ZN7rocprim17ROCPRIM_400000_NS6detail17trampoline_kernelINS0_14default_configENS1_38merge_sort_block_merge_config_selectorIjjEEZZNS1_27merge_sort_block_merge_implIS3_N6thrust23THRUST_200600_302600_NS6detail15normal_iteratorINS8_10device_ptrIjEEEESD_jNS1_19radix_merge_compareILb0ELb1EjNS0_19identity_decomposerEEEEE10hipError_tT0_T1_T2_jT3_P12ihipStream_tbPNSt15iterator_traitsISI_E10value_typeEPNSO_ISJ_E10value_typeEPSK_NS1_7vsmem_tEENKUlT_SI_SJ_SK_E_clISD_PjSD_S10_EESH_SX_SI_SJ_SK_EUlSX_E1_NS1_11comp_targetILNS1_3genE5ELNS1_11target_archE942ELNS1_3gpuE9ELNS1_3repE0EEENS1_36merge_oddeven_config_static_selectorELNS0_4arch9wavefront6targetE1EEEvSJ_.has_indirect_call, 0
	.section	.AMDGPU.csdata,"",@progbits
; Kernel info:
; codeLenInByte = 0
; TotalNumSgprs: 6
; NumVgprs: 0
; NumAgprs: 0
; TotalNumVgprs: 0
; ScratchSize: 0
; MemoryBound: 0
; FloatMode: 240
; IeeeMode: 1
; LDSByteSize: 0 bytes/workgroup (compile time only)
; SGPRBlocks: 0
; VGPRBlocks: 0
; NumSGPRsForWavesPerEU: 6
; NumVGPRsForWavesPerEU: 1
; AccumOffset: 4
; Occupancy: 8
; WaveLimiterHint : 0
; COMPUTE_PGM_RSRC2:SCRATCH_EN: 0
; COMPUTE_PGM_RSRC2:USER_SGPR: 2
; COMPUTE_PGM_RSRC2:TRAP_HANDLER: 0
; COMPUTE_PGM_RSRC2:TGID_X_EN: 1
; COMPUTE_PGM_RSRC2:TGID_Y_EN: 0
; COMPUTE_PGM_RSRC2:TGID_Z_EN: 0
; COMPUTE_PGM_RSRC2:TIDIG_COMP_CNT: 0
; COMPUTE_PGM_RSRC3_GFX90A:ACCUM_OFFSET: 0
; COMPUTE_PGM_RSRC3_GFX90A:TG_SPLIT: 0
	.section	.text._ZN7rocprim17ROCPRIM_400000_NS6detail17trampoline_kernelINS0_14default_configENS1_38merge_sort_block_merge_config_selectorIjjEEZZNS1_27merge_sort_block_merge_implIS3_N6thrust23THRUST_200600_302600_NS6detail15normal_iteratorINS8_10device_ptrIjEEEESD_jNS1_19radix_merge_compareILb0ELb1EjNS0_19identity_decomposerEEEEE10hipError_tT0_T1_T2_jT3_P12ihipStream_tbPNSt15iterator_traitsISI_E10value_typeEPNSO_ISJ_E10value_typeEPSK_NS1_7vsmem_tEENKUlT_SI_SJ_SK_E_clISD_PjSD_S10_EESH_SX_SI_SJ_SK_EUlSX_E1_NS1_11comp_targetILNS1_3genE4ELNS1_11target_archE910ELNS1_3gpuE8ELNS1_3repE0EEENS1_36merge_oddeven_config_static_selectorELNS0_4arch9wavefront6targetE1EEEvSJ_,"axG",@progbits,_ZN7rocprim17ROCPRIM_400000_NS6detail17trampoline_kernelINS0_14default_configENS1_38merge_sort_block_merge_config_selectorIjjEEZZNS1_27merge_sort_block_merge_implIS3_N6thrust23THRUST_200600_302600_NS6detail15normal_iteratorINS8_10device_ptrIjEEEESD_jNS1_19radix_merge_compareILb0ELb1EjNS0_19identity_decomposerEEEEE10hipError_tT0_T1_T2_jT3_P12ihipStream_tbPNSt15iterator_traitsISI_E10value_typeEPNSO_ISJ_E10value_typeEPSK_NS1_7vsmem_tEENKUlT_SI_SJ_SK_E_clISD_PjSD_S10_EESH_SX_SI_SJ_SK_EUlSX_E1_NS1_11comp_targetILNS1_3genE4ELNS1_11target_archE910ELNS1_3gpuE8ELNS1_3repE0EEENS1_36merge_oddeven_config_static_selectorELNS0_4arch9wavefront6targetE1EEEvSJ_,comdat
	.protected	_ZN7rocprim17ROCPRIM_400000_NS6detail17trampoline_kernelINS0_14default_configENS1_38merge_sort_block_merge_config_selectorIjjEEZZNS1_27merge_sort_block_merge_implIS3_N6thrust23THRUST_200600_302600_NS6detail15normal_iteratorINS8_10device_ptrIjEEEESD_jNS1_19radix_merge_compareILb0ELb1EjNS0_19identity_decomposerEEEEE10hipError_tT0_T1_T2_jT3_P12ihipStream_tbPNSt15iterator_traitsISI_E10value_typeEPNSO_ISJ_E10value_typeEPSK_NS1_7vsmem_tEENKUlT_SI_SJ_SK_E_clISD_PjSD_S10_EESH_SX_SI_SJ_SK_EUlSX_E1_NS1_11comp_targetILNS1_3genE4ELNS1_11target_archE910ELNS1_3gpuE8ELNS1_3repE0EEENS1_36merge_oddeven_config_static_selectorELNS0_4arch9wavefront6targetE1EEEvSJ_ ; -- Begin function _ZN7rocprim17ROCPRIM_400000_NS6detail17trampoline_kernelINS0_14default_configENS1_38merge_sort_block_merge_config_selectorIjjEEZZNS1_27merge_sort_block_merge_implIS3_N6thrust23THRUST_200600_302600_NS6detail15normal_iteratorINS8_10device_ptrIjEEEESD_jNS1_19radix_merge_compareILb0ELb1EjNS0_19identity_decomposerEEEEE10hipError_tT0_T1_T2_jT3_P12ihipStream_tbPNSt15iterator_traitsISI_E10value_typeEPNSO_ISJ_E10value_typeEPSK_NS1_7vsmem_tEENKUlT_SI_SJ_SK_E_clISD_PjSD_S10_EESH_SX_SI_SJ_SK_EUlSX_E1_NS1_11comp_targetILNS1_3genE4ELNS1_11target_archE910ELNS1_3gpuE8ELNS1_3repE0EEENS1_36merge_oddeven_config_static_selectorELNS0_4arch9wavefront6targetE1EEEvSJ_
	.globl	_ZN7rocprim17ROCPRIM_400000_NS6detail17trampoline_kernelINS0_14default_configENS1_38merge_sort_block_merge_config_selectorIjjEEZZNS1_27merge_sort_block_merge_implIS3_N6thrust23THRUST_200600_302600_NS6detail15normal_iteratorINS8_10device_ptrIjEEEESD_jNS1_19radix_merge_compareILb0ELb1EjNS0_19identity_decomposerEEEEE10hipError_tT0_T1_T2_jT3_P12ihipStream_tbPNSt15iterator_traitsISI_E10value_typeEPNSO_ISJ_E10value_typeEPSK_NS1_7vsmem_tEENKUlT_SI_SJ_SK_E_clISD_PjSD_S10_EESH_SX_SI_SJ_SK_EUlSX_E1_NS1_11comp_targetILNS1_3genE4ELNS1_11target_archE910ELNS1_3gpuE8ELNS1_3repE0EEENS1_36merge_oddeven_config_static_selectorELNS0_4arch9wavefront6targetE1EEEvSJ_
	.p2align	8
	.type	_ZN7rocprim17ROCPRIM_400000_NS6detail17trampoline_kernelINS0_14default_configENS1_38merge_sort_block_merge_config_selectorIjjEEZZNS1_27merge_sort_block_merge_implIS3_N6thrust23THRUST_200600_302600_NS6detail15normal_iteratorINS8_10device_ptrIjEEEESD_jNS1_19radix_merge_compareILb0ELb1EjNS0_19identity_decomposerEEEEE10hipError_tT0_T1_T2_jT3_P12ihipStream_tbPNSt15iterator_traitsISI_E10value_typeEPNSO_ISJ_E10value_typeEPSK_NS1_7vsmem_tEENKUlT_SI_SJ_SK_E_clISD_PjSD_S10_EESH_SX_SI_SJ_SK_EUlSX_E1_NS1_11comp_targetILNS1_3genE4ELNS1_11target_archE910ELNS1_3gpuE8ELNS1_3repE0EEENS1_36merge_oddeven_config_static_selectorELNS0_4arch9wavefront6targetE1EEEvSJ_,@function
_ZN7rocprim17ROCPRIM_400000_NS6detail17trampoline_kernelINS0_14default_configENS1_38merge_sort_block_merge_config_selectorIjjEEZZNS1_27merge_sort_block_merge_implIS3_N6thrust23THRUST_200600_302600_NS6detail15normal_iteratorINS8_10device_ptrIjEEEESD_jNS1_19radix_merge_compareILb0ELb1EjNS0_19identity_decomposerEEEEE10hipError_tT0_T1_T2_jT3_P12ihipStream_tbPNSt15iterator_traitsISI_E10value_typeEPNSO_ISJ_E10value_typeEPSK_NS1_7vsmem_tEENKUlT_SI_SJ_SK_E_clISD_PjSD_S10_EESH_SX_SI_SJ_SK_EUlSX_E1_NS1_11comp_targetILNS1_3genE4ELNS1_11target_archE910ELNS1_3gpuE8ELNS1_3repE0EEENS1_36merge_oddeven_config_static_selectorELNS0_4arch9wavefront6targetE1EEEvSJ_: ; @_ZN7rocprim17ROCPRIM_400000_NS6detail17trampoline_kernelINS0_14default_configENS1_38merge_sort_block_merge_config_selectorIjjEEZZNS1_27merge_sort_block_merge_implIS3_N6thrust23THRUST_200600_302600_NS6detail15normal_iteratorINS8_10device_ptrIjEEEESD_jNS1_19radix_merge_compareILb0ELb1EjNS0_19identity_decomposerEEEEE10hipError_tT0_T1_T2_jT3_P12ihipStream_tbPNSt15iterator_traitsISI_E10value_typeEPNSO_ISJ_E10value_typeEPSK_NS1_7vsmem_tEENKUlT_SI_SJ_SK_E_clISD_PjSD_S10_EESH_SX_SI_SJ_SK_EUlSX_E1_NS1_11comp_targetILNS1_3genE4ELNS1_11target_archE910ELNS1_3gpuE8ELNS1_3repE0EEENS1_36merge_oddeven_config_static_selectorELNS0_4arch9wavefront6targetE1EEEvSJ_
; %bb.0:
	.section	.rodata,"a",@progbits
	.p2align	6, 0x0
	.amdhsa_kernel _ZN7rocprim17ROCPRIM_400000_NS6detail17trampoline_kernelINS0_14default_configENS1_38merge_sort_block_merge_config_selectorIjjEEZZNS1_27merge_sort_block_merge_implIS3_N6thrust23THRUST_200600_302600_NS6detail15normal_iteratorINS8_10device_ptrIjEEEESD_jNS1_19radix_merge_compareILb0ELb1EjNS0_19identity_decomposerEEEEE10hipError_tT0_T1_T2_jT3_P12ihipStream_tbPNSt15iterator_traitsISI_E10value_typeEPNSO_ISJ_E10value_typeEPSK_NS1_7vsmem_tEENKUlT_SI_SJ_SK_E_clISD_PjSD_S10_EESH_SX_SI_SJ_SK_EUlSX_E1_NS1_11comp_targetILNS1_3genE4ELNS1_11target_archE910ELNS1_3gpuE8ELNS1_3repE0EEENS1_36merge_oddeven_config_static_selectorELNS0_4arch9wavefront6targetE1EEEvSJ_
		.amdhsa_group_segment_fixed_size 0
		.amdhsa_private_segment_fixed_size 0
		.amdhsa_kernarg_size 48
		.amdhsa_user_sgpr_count 2
		.amdhsa_user_sgpr_dispatch_ptr 0
		.amdhsa_user_sgpr_queue_ptr 0
		.amdhsa_user_sgpr_kernarg_segment_ptr 1
		.amdhsa_user_sgpr_dispatch_id 0
		.amdhsa_user_sgpr_kernarg_preload_length 0
		.amdhsa_user_sgpr_kernarg_preload_offset 0
		.amdhsa_user_sgpr_private_segment_size 0
		.amdhsa_uses_dynamic_stack 0
		.amdhsa_enable_private_segment 0
		.amdhsa_system_sgpr_workgroup_id_x 1
		.amdhsa_system_sgpr_workgroup_id_y 0
		.amdhsa_system_sgpr_workgroup_id_z 0
		.amdhsa_system_sgpr_workgroup_info 0
		.amdhsa_system_vgpr_workitem_id 0
		.amdhsa_next_free_vgpr 1
		.amdhsa_next_free_sgpr 0
		.amdhsa_accum_offset 4
		.amdhsa_reserve_vcc 0
		.amdhsa_float_round_mode_32 0
		.amdhsa_float_round_mode_16_64 0
		.amdhsa_float_denorm_mode_32 3
		.amdhsa_float_denorm_mode_16_64 3
		.amdhsa_dx10_clamp 1
		.amdhsa_ieee_mode 1
		.amdhsa_fp16_overflow 0
		.amdhsa_tg_split 0
		.amdhsa_exception_fp_ieee_invalid_op 0
		.amdhsa_exception_fp_denorm_src 0
		.amdhsa_exception_fp_ieee_div_zero 0
		.amdhsa_exception_fp_ieee_overflow 0
		.amdhsa_exception_fp_ieee_underflow 0
		.amdhsa_exception_fp_ieee_inexact 0
		.amdhsa_exception_int_div_zero 0
	.end_amdhsa_kernel
	.section	.text._ZN7rocprim17ROCPRIM_400000_NS6detail17trampoline_kernelINS0_14default_configENS1_38merge_sort_block_merge_config_selectorIjjEEZZNS1_27merge_sort_block_merge_implIS3_N6thrust23THRUST_200600_302600_NS6detail15normal_iteratorINS8_10device_ptrIjEEEESD_jNS1_19radix_merge_compareILb0ELb1EjNS0_19identity_decomposerEEEEE10hipError_tT0_T1_T2_jT3_P12ihipStream_tbPNSt15iterator_traitsISI_E10value_typeEPNSO_ISJ_E10value_typeEPSK_NS1_7vsmem_tEENKUlT_SI_SJ_SK_E_clISD_PjSD_S10_EESH_SX_SI_SJ_SK_EUlSX_E1_NS1_11comp_targetILNS1_3genE4ELNS1_11target_archE910ELNS1_3gpuE8ELNS1_3repE0EEENS1_36merge_oddeven_config_static_selectorELNS0_4arch9wavefront6targetE1EEEvSJ_,"axG",@progbits,_ZN7rocprim17ROCPRIM_400000_NS6detail17trampoline_kernelINS0_14default_configENS1_38merge_sort_block_merge_config_selectorIjjEEZZNS1_27merge_sort_block_merge_implIS3_N6thrust23THRUST_200600_302600_NS6detail15normal_iteratorINS8_10device_ptrIjEEEESD_jNS1_19radix_merge_compareILb0ELb1EjNS0_19identity_decomposerEEEEE10hipError_tT0_T1_T2_jT3_P12ihipStream_tbPNSt15iterator_traitsISI_E10value_typeEPNSO_ISJ_E10value_typeEPSK_NS1_7vsmem_tEENKUlT_SI_SJ_SK_E_clISD_PjSD_S10_EESH_SX_SI_SJ_SK_EUlSX_E1_NS1_11comp_targetILNS1_3genE4ELNS1_11target_archE910ELNS1_3gpuE8ELNS1_3repE0EEENS1_36merge_oddeven_config_static_selectorELNS0_4arch9wavefront6targetE1EEEvSJ_,comdat
.Lfunc_end719:
	.size	_ZN7rocprim17ROCPRIM_400000_NS6detail17trampoline_kernelINS0_14default_configENS1_38merge_sort_block_merge_config_selectorIjjEEZZNS1_27merge_sort_block_merge_implIS3_N6thrust23THRUST_200600_302600_NS6detail15normal_iteratorINS8_10device_ptrIjEEEESD_jNS1_19radix_merge_compareILb0ELb1EjNS0_19identity_decomposerEEEEE10hipError_tT0_T1_T2_jT3_P12ihipStream_tbPNSt15iterator_traitsISI_E10value_typeEPNSO_ISJ_E10value_typeEPSK_NS1_7vsmem_tEENKUlT_SI_SJ_SK_E_clISD_PjSD_S10_EESH_SX_SI_SJ_SK_EUlSX_E1_NS1_11comp_targetILNS1_3genE4ELNS1_11target_archE910ELNS1_3gpuE8ELNS1_3repE0EEENS1_36merge_oddeven_config_static_selectorELNS0_4arch9wavefront6targetE1EEEvSJ_, .Lfunc_end719-_ZN7rocprim17ROCPRIM_400000_NS6detail17trampoline_kernelINS0_14default_configENS1_38merge_sort_block_merge_config_selectorIjjEEZZNS1_27merge_sort_block_merge_implIS3_N6thrust23THRUST_200600_302600_NS6detail15normal_iteratorINS8_10device_ptrIjEEEESD_jNS1_19radix_merge_compareILb0ELb1EjNS0_19identity_decomposerEEEEE10hipError_tT0_T1_T2_jT3_P12ihipStream_tbPNSt15iterator_traitsISI_E10value_typeEPNSO_ISJ_E10value_typeEPSK_NS1_7vsmem_tEENKUlT_SI_SJ_SK_E_clISD_PjSD_S10_EESH_SX_SI_SJ_SK_EUlSX_E1_NS1_11comp_targetILNS1_3genE4ELNS1_11target_archE910ELNS1_3gpuE8ELNS1_3repE0EEENS1_36merge_oddeven_config_static_selectorELNS0_4arch9wavefront6targetE1EEEvSJ_
                                        ; -- End function
	.set _ZN7rocprim17ROCPRIM_400000_NS6detail17trampoline_kernelINS0_14default_configENS1_38merge_sort_block_merge_config_selectorIjjEEZZNS1_27merge_sort_block_merge_implIS3_N6thrust23THRUST_200600_302600_NS6detail15normal_iteratorINS8_10device_ptrIjEEEESD_jNS1_19radix_merge_compareILb0ELb1EjNS0_19identity_decomposerEEEEE10hipError_tT0_T1_T2_jT3_P12ihipStream_tbPNSt15iterator_traitsISI_E10value_typeEPNSO_ISJ_E10value_typeEPSK_NS1_7vsmem_tEENKUlT_SI_SJ_SK_E_clISD_PjSD_S10_EESH_SX_SI_SJ_SK_EUlSX_E1_NS1_11comp_targetILNS1_3genE4ELNS1_11target_archE910ELNS1_3gpuE8ELNS1_3repE0EEENS1_36merge_oddeven_config_static_selectorELNS0_4arch9wavefront6targetE1EEEvSJ_.num_vgpr, 0
	.set _ZN7rocprim17ROCPRIM_400000_NS6detail17trampoline_kernelINS0_14default_configENS1_38merge_sort_block_merge_config_selectorIjjEEZZNS1_27merge_sort_block_merge_implIS3_N6thrust23THRUST_200600_302600_NS6detail15normal_iteratorINS8_10device_ptrIjEEEESD_jNS1_19radix_merge_compareILb0ELb1EjNS0_19identity_decomposerEEEEE10hipError_tT0_T1_T2_jT3_P12ihipStream_tbPNSt15iterator_traitsISI_E10value_typeEPNSO_ISJ_E10value_typeEPSK_NS1_7vsmem_tEENKUlT_SI_SJ_SK_E_clISD_PjSD_S10_EESH_SX_SI_SJ_SK_EUlSX_E1_NS1_11comp_targetILNS1_3genE4ELNS1_11target_archE910ELNS1_3gpuE8ELNS1_3repE0EEENS1_36merge_oddeven_config_static_selectorELNS0_4arch9wavefront6targetE1EEEvSJ_.num_agpr, 0
	.set _ZN7rocprim17ROCPRIM_400000_NS6detail17trampoline_kernelINS0_14default_configENS1_38merge_sort_block_merge_config_selectorIjjEEZZNS1_27merge_sort_block_merge_implIS3_N6thrust23THRUST_200600_302600_NS6detail15normal_iteratorINS8_10device_ptrIjEEEESD_jNS1_19radix_merge_compareILb0ELb1EjNS0_19identity_decomposerEEEEE10hipError_tT0_T1_T2_jT3_P12ihipStream_tbPNSt15iterator_traitsISI_E10value_typeEPNSO_ISJ_E10value_typeEPSK_NS1_7vsmem_tEENKUlT_SI_SJ_SK_E_clISD_PjSD_S10_EESH_SX_SI_SJ_SK_EUlSX_E1_NS1_11comp_targetILNS1_3genE4ELNS1_11target_archE910ELNS1_3gpuE8ELNS1_3repE0EEENS1_36merge_oddeven_config_static_selectorELNS0_4arch9wavefront6targetE1EEEvSJ_.numbered_sgpr, 0
	.set _ZN7rocprim17ROCPRIM_400000_NS6detail17trampoline_kernelINS0_14default_configENS1_38merge_sort_block_merge_config_selectorIjjEEZZNS1_27merge_sort_block_merge_implIS3_N6thrust23THRUST_200600_302600_NS6detail15normal_iteratorINS8_10device_ptrIjEEEESD_jNS1_19radix_merge_compareILb0ELb1EjNS0_19identity_decomposerEEEEE10hipError_tT0_T1_T2_jT3_P12ihipStream_tbPNSt15iterator_traitsISI_E10value_typeEPNSO_ISJ_E10value_typeEPSK_NS1_7vsmem_tEENKUlT_SI_SJ_SK_E_clISD_PjSD_S10_EESH_SX_SI_SJ_SK_EUlSX_E1_NS1_11comp_targetILNS1_3genE4ELNS1_11target_archE910ELNS1_3gpuE8ELNS1_3repE0EEENS1_36merge_oddeven_config_static_selectorELNS0_4arch9wavefront6targetE1EEEvSJ_.num_named_barrier, 0
	.set _ZN7rocprim17ROCPRIM_400000_NS6detail17trampoline_kernelINS0_14default_configENS1_38merge_sort_block_merge_config_selectorIjjEEZZNS1_27merge_sort_block_merge_implIS3_N6thrust23THRUST_200600_302600_NS6detail15normal_iteratorINS8_10device_ptrIjEEEESD_jNS1_19radix_merge_compareILb0ELb1EjNS0_19identity_decomposerEEEEE10hipError_tT0_T1_T2_jT3_P12ihipStream_tbPNSt15iterator_traitsISI_E10value_typeEPNSO_ISJ_E10value_typeEPSK_NS1_7vsmem_tEENKUlT_SI_SJ_SK_E_clISD_PjSD_S10_EESH_SX_SI_SJ_SK_EUlSX_E1_NS1_11comp_targetILNS1_3genE4ELNS1_11target_archE910ELNS1_3gpuE8ELNS1_3repE0EEENS1_36merge_oddeven_config_static_selectorELNS0_4arch9wavefront6targetE1EEEvSJ_.private_seg_size, 0
	.set _ZN7rocprim17ROCPRIM_400000_NS6detail17trampoline_kernelINS0_14default_configENS1_38merge_sort_block_merge_config_selectorIjjEEZZNS1_27merge_sort_block_merge_implIS3_N6thrust23THRUST_200600_302600_NS6detail15normal_iteratorINS8_10device_ptrIjEEEESD_jNS1_19radix_merge_compareILb0ELb1EjNS0_19identity_decomposerEEEEE10hipError_tT0_T1_T2_jT3_P12ihipStream_tbPNSt15iterator_traitsISI_E10value_typeEPNSO_ISJ_E10value_typeEPSK_NS1_7vsmem_tEENKUlT_SI_SJ_SK_E_clISD_PjSD_S10_EESH_SX_SI_SJ_SK_EUlSX_E1_NS1_11comp_targetILNS1_3genE4ELNS1_11target_archE910ELNS1_3gpuE8ELNS1_3repE0EEENS1_36merge_oddeven_config_static_selectorELNS0_4arch9wavefront6targetE1EEEvSJ_.uses_vcc, 0
	.set _ZN7rocprim17ROCPRIM_400000_NS6detail17trampoline_kernelINS0_14default_configENS1_38merge_sort_block_merge_config_selectorIjjEEZZNS1_27merge_sort_block_merge_implIS3_N6thrust23THRUST_200600_302600_NS6detail15normal_iteratorINS8_10device_ptrIjEEEESD_jNS1_19radix_merge_compareILb0ELb1EjNS0_19identity_decomposerEEEEE10hipError_tT0_T1_T2_jT3_P12ihipStream_tbPNSt15iterator_traitsISI_E10value_typeEPNSO_ISJ_E10value_typeEPSK_NS1_7vsmem_tEENKUlT_SI_SJ_SK_E_clISD_PjSD_S10_EESH_SX_SI_SJ_SK_EUlSX_E1_NS1_11comp_targetILNS1_3genE4ELNS1_11target_archE910ELNS1_3gpuE8ELNS1_3repE0EEENS1_36merge_oddeven_config_static_selectorELNS0_4arch9wavefront6targetE1EEEvSJ_.uses_flat_scratch, 0
	.set _ZN7rocprim17ROCPRIM_400000_NS6detail17trampoline_kernelINS0_14default_configENS1_38merge_sort_block_merge_config_selectorIjjEEZZNS1_27merge_sort_block_merge_implIS3_N6thrust23THRUST_200600_302600_NS6detail15normal_iteratorINS8_10device_ptrIjEEEESD_jNS1_19radix_merge_compareILb0ELb1EjNS0_19identity_decomposerEEEEE10hipError_tT0_T1_T2_jT3_P12ihipStream_tbPNSt15iterator_traitsISI_E10value_typeEPNSO_ISJ_E10value_typeEPSK_NS1_7vsmem_tEENKUlT_SI_SJ_SK_E_clISD_PjSD_S10_EESH_SX_SI_SJ_SK_EUlSX_E1_NS1_11comp_targetILNS1_3genE4ELNS1_11target_archE910ELNS1_3gpuE8ELNS1_3repE0EEENS1_36merge_oddeven_config_static_selectorELNS0_4arch9wavefront6targetE1EEEvSJ_.has_dyn_sized_stack, 0
	.set _ZN7rocprim17ROCPRIM_400000_NS6detail17trampoline_kernelINS0_14default_configENS1_38merge_sort_block_merge_config_selectorIjjEEZZNS1_27merge_sort_block_merge_implIS3_N6thrust23THRUST_200600_302600_NS6detail15normal_iteratorINS8_10device_ptrIjEEEESD_jNS1_19radix_merge_compareILb0ELb1EjNS0_19identity_decomposerEEEEE10hipError_tT0_T1_T2_jT3_P12ihipStream_tbPNSt15iterator_traitsISI_E10value_typeEPNSO_ISJ_E10value_typeEPSK_NS1_7vsmem_tEENKUlT_SI_SJ_SK_E_clISD_PjSD_S10_EESH_SX_SI_SJ_SK_EUlSX_E1_NS1_11comp_targetILNS1_3genE4ELNS1_11target_archE910ELNS1_3gpuE8ELNS1_3repE0EEENS1_36merge_oddeven_config_static_selectorELNS0_4arch9wavefront6targetE1EEEvSJ_.has_recursion, 0
	.set _ZN7rocprim17ROCPRIM_400000_NS6detail17trampoline_kernelINS0_14default_configENS1_38merge_sort_block_merge_config_selectorIjjEEZZNS1_27merge_sort_block_merge_implIS3_N6thrust23THRUST_200600_302600_NS6detail15normal_iteratorINS8_10device_ptrIjEEEESD_jNS1_19radix_merge_compareILb0ELb1EjNS0_19identity_decomposerEEEEE10hipError_tT0_T1_T2_jT3_P12ihipStream_tbPNSt15iterator_traitsISI_E10value_typeEPNSO_ISJ_E10value_typeEPSK_NS1_7vsmem_tEENKUlT_SI_SJ_SK_E_clISD_PjSD_S10_EESH_SX_SI_SJ_SK_EUlSX_E1_NS1_11comp_targetILNS1_3genE4ELNS1_11target_archE910ELNS1_3gpuE8ELNS1_3repE0EEENS1_36merge_oddeven_config_static_selectorELNS0_4arch9wavefront6targetE1EEEvSJ_.has_indirect_call, 0
	.section	.AMDGPU.csdata,"",@progbits
; Kernel info:
; codeLenInByte = 0
; TotalNumSgprs: 6
; NumVgprs: 0
; NumAgprs: 0
; TotalNumVgprs: 0
; ScratchSize: 0
; MemoryBound: 0
; FloatMode: 240
; IeeeMode: 1
; LDSByteSize: 0 bytes/workgroup (compile time only)
; SGPRBlocks: 0
; VGPRBlocks: 0
; NumSGPRsForWavesPerEU: 6
; NumVGPRsForWavesPerEU: 1
; AccumOffset: 4
; Occupancy: 8
; WaveLimiterHint : 0
; COMPUTE_PGM_RSRC2:SCRATCH_EN: 0
; COMPUTE_PGM_RSRC2:USER_SGPR: 2
; COMPUTE_PGM_RSRC2:TRAP_HANDLER: 0
; COMPUTE_PGM_RSRC2:TGID_X_EN: 1
; COMPUTE_PGM_RSRC2:TGID_Y_EN: 0
; COMPUTE_PGM_RSRC2:TGID_Z_EN: 0
; COMPUTE_PGM_RSRC2:TIDIG_COMP_CNT: 0
; COMPUTE_PGM_RSRC3_GFX90A:ACCUM_OFFSET: 0
; COMPUTE_PGM_RSRC3_GFX90A:TG_SPLIT: 0
	.section	.text._ZN7rocprim17ROCPRIM_400000_NS6detail17trampoline_kernelINS0_14default_configENS1_38merge_sort_block_merge_config_selectorIjjEEZZNS1_27merge_sort_block_merge_implIS3_N6thrust23THRUST_200600_302600_NS6detail15normal_iteratorINS8_10device_ptrIjEEEESD_jNS1_19radix_merge_compareILb0ELb1EjNS0_19identity_decomposerEEEEE10hipError_tT0_T1_T2_jT3_P12ihipStream_tbPNSt15iterator_traitsISI_E10value_typeEPNSO_ISJ_E10value_typeEPSK_NS1_7vsmem_tEENKUlT_SI_SJ_SK_E_clISD_PjSD_S10_EESH_SX_SI_SJ_SK_EUlSX_E1_NS1_11comp_targetILNS1_3genE3ELNS1_11target_archE908ELNS1_3gpuE7ELNS1_3repE0EEENS1_36merge_oddeven_config_static_selectorELNS0_4arch9wavefront6targetE1EEEvSJ_,"axG",@progbits,_ZN7rocprim17ROCPRIM_400000_NS6detail17trampoline_kernelINS0_14default_configENS1_38merge_sort_block_merge_config_selectorIjjEEZZNS1_27merge_sort_block_merge_implIS3_N6thrust23THRUST_200600_302600_NS6detail15normal_iteratorINS8_10device_ptrIjEEEESD_jNS1_19radix_merge_compareILb0ELb1EjNS0_19identity_decomposerEEEEE10hipError_tT0_T1_T2_jT3_P12ihipStream_tbPNSt15iterator_traitsISI_E10value_typeEPNSO_ISJ_E10value_typeEPSK_NS1_7vsmem_tEENKUlT_SI_SJ_SK_E_clISD_PjSD_S10_EESH_SX_SI_SJ_SK_EUlSX_E1_NS1_11comp_targetILNS1_3genE3ELNS1_11target_archE908ELNS1_3gpuE7ELNS1_3repE0EEENS1_36merge_oddeven_config_static_selectorELNS0_4arch9wavefront6targetE1EEEvSJ_,comdat
	.protected	_ZN7rocprim17ROCPRIM_400000_NS6detail17trampoline_kernelINS0_14default_configENS1_38merge_sort_block_merge_config_selectorIjjEEZZNS1_27merge_sort_block_merge_implIS3_N6thrust23THRUST_200600_302600_NS6detail15normal_iteratorINS8_10device_ptrIjEEEESD_jNS1_19radix_merge_compareILb0ELb1EjNS0_19identity_decomposerEEEEE10hipError_tT0_T1_T2_jT3_P12ihipStream_tbPNSt15iterator_traitsISI_E10value_typeEPNSO_ISJ_E10value_typeEPSK_NS1_7vsmem_tEENKUlT_SI_SJ_SK_E_clISD_PjSD_S10_EESH_SX_SI_SJ_SK_EUlSX_E1_NS1_11comp_targetILNS1_3genE3ELNS1_11target_archE908ELNS1_3gpuE7ELNS1_3repE0EEENS1_36merge_oddeven_config_static_selectorELNS0_4arch9wavefront6targetE1EEEvSJ_ ; -- Begin function _ZN7rocprim17ROCPRIM_400000_NS6detail17trampoline_kernelINS0_14default_configENS1_38merge_sort_block_merge_config_selectorIjjEEZZNS1_27merge_sort_block_merge_implIS3_N6thrust23THRUST_200600_302600_NS6detail15normal_iteratorINS8_10device_ptrIjEEEESD_jNS1_19radix_merge_compareILb0ELb1EjNS0_19identity_decomposerEEEEE10hipError_tT0_T1_T2_jT3_P12ihipStream_tbPNSt15iterator_traitsISI_E10value_typeEPNSO_ISJ_E10value_typeEPSK_NS1_7vsmem_tEENKUlT_SI_SJ_SK_E_clISD_PjSD_S10_EESH_SX_SI_SJ_SK_EUlSX_E1_NS1_11comp_targetILNS1_3genE3ELNS1_11target_archE908ELNS1_3gpuE7ELNS1_3repE0EEENS1_36merge_oddeven_config_static_selectorELNS0_4arch9wavefront6targetE1EEEvSJ_
	.globl	_ZN7rocprim17ROCPRIM_400000_NS6detail17trampoline_kernelINS0_14default_configENS1_38merge_sort_block_merge_config_selectorIjjEEZZNS1_27merge_sort_block_merge_implIS3_N6thrust23THRUST_200600_302600_NS6detail15normal_iteratorINS8_10device_ptrIjEEEESD_jNS1_19radix_merge_compareILb0ELb1EjNS0_19identity_decomposerEEEEE10hipError_tT0_T1_T2_jT3_P12ihipStream_tbPNSt15iterator_traitsISI_E10value_typeEPNSO_ISJ_E10value_typeEPSK_NS1_7vsmem_tEENKUlT_SI_SJ_SK_E_clISD_PjSD_S10_EESH_SX_SI_SJ_SK_EUlSX_E1_NS1_11comp_targetILNS1_3genE3ELNS1_11target_archE908ELNS1_3gpuE7ELNS1_3repE0EEENS1_36merge_oddeven_config_static_selectorELNS0_4arch9wavefront6targetE1EEEvSJ_
	.p2align	8
	.type	_ZN7rocprim17ROCPRIM_400000_NS6detail17trampoline_kernelINS0_14default_configENS1_38merge_sort_block_merge_config_selectorIjjEEZZNS1_27merge_sort_block_merge_implIS3_N6thrust23THRUST_200600_302600_NS6detail15normal_iteratorINS8_10device_ptrIjEEEESD_jNS1_19radix_merge_compareILb0ELb1EjNS0_19identity_decomposerEEEEE10hipError_tT0_T1_T2_jT3_P12ihipStream_tbPNSt15iterator_traitsISI_E10value_typeEPNSO_ISJ_E10value_typeEPSK_NS1_7vsmem_tEENKUlT_SI_SJ_SK_E_clISD_PjSD_S10_EESH_SX_SI_SJ_SK_EUlSX_E1_NS1_11comp_targetILNS1_3genE3ELNS1_11target_archE908ELNS1_3gpuE7ELNS1_3repE0EEENS1_36merge_oddeven_config_static_selectorELNS0_4arch9wavefront6targetE1EEEvSJ_,@function
_ZN7rocprim17ROCPRIM_400000_NS6detail17trampoline_kernelINS0_14default_configENS1_38merge_sort_block_merge_config_selectorIjjEEZZNS1_27merge_sort_block_merge_implIS3_N6thrust23THRUST_200600_302600_NS6detail15normal_iteratorINS8_10device_ptrIjEEEESD_jNS1_19radix_merge_compareILb0ELb1EjNS0_19identity_decomposerEEEEE10hipError_tT0_T1_T2_jT3_P12ihipStream_tbPNSt15iterator_traitsISI_E10value_typeEPNSO_ISJ_E10value_typeEPSK_NS1_7vsmem_tEENKUlT_SI_SJ_SK_E_clISD_PjSD_S10_EESH_SX_SI_SJ_SK_EUlSX_E1_NS1_11comp_targetILNS1_3genE3ELNS1_11target_archE908ELNS1_3gpuE7ELNS1_3repE0EEENS1_36merge_oddeven_config_static_selectorELNS0_4arch9wavefront6targetE1EEEvSJ_: ; @_ZN7rocprim17ROCPRIM_400000_NS6detail17trampoline_kernelINS0_14default_configENS1_38merge_sort_block_merge_config_selectorIjjEEZZNS1_27merge_sort_block_merge_implIS3_N6thrust23THRUST_200600_302600_NS6detail15normal_iteratorINS8_10device_ptrIjEEEESD_jNS1_19radix_merge_compareILb0ELb1EjNS0_19identity_decomposerEEEEE10hipError_tT0_T1_T2_jT3_P12ihipStream_tbPNSt15iterator_traitsISI_E10value_typeEPNSO_ISJ_E10value_typeEPSK_NS1_7vsmem_tEENKUlT_SI_SJ_SK_E_clISD_PjSD_S10_EESH_SX_SI_SJ_SK_EUlSX_E1_NS1_11comp_targetILNS1_3genE3ELNS1_11target_archE908ELNS1_3gpuE7ELNS1_3repE0EEENS1_36merge_oddeven_config_static_selectorELNS0_4arch9wavefront6targetE1EEEvSJ_
; %bb.0:
	.section	.rodata,"a",@progbits
	.p2align	6, 0x0
	.amdhsa_kernel _ZN7rocprim17ROCPRIM_400000_NS6detail17trampoline_kernelINS0_14default_configENS1_38merge_sort_block_merge_config_selectorIjjEEZZNS1_27merge_sort_block_merge_implIS3_N6thrust23THRUST_200600_302600_NS6detail15normal_iteratorINS8_10device_ptrIjEEEESD_jNS1_19radix_merge_compareILb0ELb1EjNS0_19identity_decomposerEEEEE10hipError_tT0_T1_T2_jT3_P12ihipStream_tbPNSt15iterator_traitsISI_E10value_typeEPNSO_ISJ_E10value_typeEPSK_NS1_7vsmem_tEENKUlT_SI_SJ_SK_E_clISD_PjSD_S10_EESH_SX_SI_SJ_SK_EUlSX_E1_NS1_11comp_targetILNS1_3genE3ELNS1_11target_archE908ELNS1_3gpuE7ELNS1_3repE0EEENS1_36merge_oddeven_config_static_selectorELNS0_4arch9wavefront6targetE1EEEvSJ_
		.amdhsa_group_segment_fixed_size 0
		.amdhsa_private_segment_fixed_size 0
		.amdhsa_kernarg_size 48
		.amdhsa_user_sgpr_count 2
		.amdhsa_user_sgpr_dispatch_ptr 0
		.amdhsa_user_sgpr_queue_ptr 0
		.amdhsa_user_sgpr_kernarg_segment_ptr 1
		.amdhsa_user_sgpr_dispatch_id 0
		.amdhsa_user_sgpr_kernarg_preload_length 0
		.amdhsa_user_sgpr_kernarg_preload_offset 0
		.amdhsa_user_sgpr_private_segment_size 0
		.amdhsa_uses_dynamic_stack 0
		.amdhsa_enable_private_segment 0
		.amdhsa_system_sgpr_workgroup_id_x 1
		.amdhsa_system_sgpr_workgroup_id_y 0
		.amdhsa_system_sgpr_workgroup_id_z 0
		.amdhsa_system_sgpr_workgroup_info 0
		.amdhsa_system_vgpr_workitem_id 0
		.amdhsa_next_free_vgpr 1
		.amdhsa_next_free_sgpr 0
		.amdhsa_accum_offset 4
		.amdhsa_reserve_vcc 0
		.amdhsa_float_round_mode_32 0
		.amdhsa_float_round_mode_16_64 0
		.amdhsa_float_denorm_mode_32 3
		.amdhsa_float_denorm_mode_16_64 3
		.amdhsa_dx10_clamp 1
		.amdhsa_ieee_mode 1
		.amdhsa_fp16_overflow 0
		.amdhsa_tg_split 0
		.amdhsa_exception_fp_ieee_invalid_op 0
		.amdhsa_exception_fp_denorm_src 0
		.amdhsa_exception_fp_ieee_div_zero 0
		.amdhsa_exception_fp_ieee_overflow 0
		.amdhsa_exception_fp_ieee_underflow 0
		.amdhsa_exception_fp_ieee_inexact 0
		.amdhsa_exception_int_div_zero 0
	.end_amdhsa_kernel
	.section	.text._ZN7rocprim17ROCPRIM_400000_NS6detail17trampoline_kernelINS0_14default_configENS1_38merge_sort_block_merge_config_selectorIjjEEZZNS1_27merge_sort_block_merge_implIS3_N6thrust23THRUST_200600_302600_NS6detail15normal_iteratorINS8_10device_ptrIjEEEESD_jNS1_19radix_merge_compareILb0ELb1EjNS0_19identity_decomposerEEEEE10hipError_tT0_T1_T2_jT3_P12ihipStream_tbPNSt15iterator_traitsISI_E10value_typeEPNSO_ISJ_E10value_typeEPSK_NS1_7vsmem_tEENKUlT_SI_SJ_SK_E_clISD_PjSD_S10_EESH_SX_SI_SJ_SK_EUlSX_E1_NS1_11comp_targetILNS1_3genE3ELNS1_11target_archE908ELNS1_3gpuE7ELNS1_3repE0EEENS1_36merge_oddeven_config_static_selectorELNS0_4arch9wavefront6targetE1EEEvSJ_,"axG",@progbits,_ZN7rocprim17ROCPRIM_400000_NS6detail17trampoline_kernelINS0_14default_configENS1_38merge_sort_block_merge_config_selectorIjjEEZZNS1_27merge_sort_block_merge_implIS3_N6thrust23THRUST_200600_302600_NS6detail15normal_iteratorINS8_10device_ptrIjEEEESD_jNS1_19radix_merge_compareILb0ELb1EjNS0_19identity_decomposerEEEEE10hipError_tT0_T1_T2_jT3_P12ihipStream_tbPNSt15iterator_traitsISI_E10value_typeEPNSO_ISJ_E10value_typeEPSK_NS1_7vsmem_tEENKUlT_SI_SJ_SK_E_clISD_PjSD_S10_EESH_SX_SI_SJ_SK_EUlSX_E1_NS1_11comp_targetILNS1_3genE3ELNS1_11target_archE908ELNS1_3gpuE7ELNS1_3repE0EEENS1_36merge_oddeven_config_static_selectorELNS0_4arch9wavefront6targetE1EEEvSJ_,comdat
.Lfunc_end720:
	.size	_ZN7rocprim17ROCPRIM_400000_NS6detail17trampoline_kernelINS0_14default_configENS1_38merge_sort_block_merge_config_selectorIjjEEZZNS1_27merge_sort_block_merge_implIS3_N6thrust23THRUST_200600_302600_NS6detail15normal_iteratorINS8_10device_ptrIjEEEESD_jNS1_19radix_merge_compareILb0ELb1EjNS0_19identity_decomposerEEEEE10hipError_tT0_T1_T2_jT3_P12ihipStream_tbPNSt15iterator_traitsISI_E10value_typeEPNSO_ISJ_E10value_typeEPSK_NS1_7vsmem_tEENKUlT_SI_SJ_SK_E_clISD_PjSD_S10_EESH_SX_SI_SJ_SK_EUlSX_E1_NS1_11comp_targetILNS1_3genE3ELNS1_11target_archE908ELNS1_3gpuE7ELNS1_3repE0EEENS1_36merge_oddeven_config_static_selectorELNS0_4arch9wavefront6targetE1EEEvSJ_, .Lfunc_end720-_ZN7rocprim17ROCPRIM_400000_NS6detail17trampoline_kernelINS0_14default_configENS1_38merge_sort_block_merge_config_selectorIjjEEZZNS1_27merge_sort_block_merge_implIS3_N6thrust23THRUST_200600_302600_NS6detail15normal_iteratorINS8_10device_ptrIjEEEESD_jNS1_19radix_merge_compareILb0ELb1EjNS0_19identity_decomposerEEEEE10hipError_tT0_T1_T2_jT3_P12ihipStream_tbPNSt15iterator_traitsISI_E10value_typeEPNSO_ISJ_E10value_typeEPSK_NS1_7vsmem_tEENKUlT_SI_SJ_SK_E_clISD_PjSD_S10_EESH_SX_SI_SJ_SK_EUlSX_E1_NS1_11comp_targetILNS1_3genE3ELNS1_11target_archE908ELNS1_3gpuE7ELNS1_3repE0EEENS1_36merge_oddeven_config_static_selectorELNS0_4arch9wavefront6targetE1EEEvSJ_
                                        ; -- End function
	.set _ZN7rocprim17ROCPRIM_400000_NS6detail17trampoline_kernelINS0_14default_configENS1_38merge_sort_block_merge_config_selectorIjjEEZZNS1_27merge_sort_block_merge_implIS3_N6thrust23THRUST_200600_302600_NS6detail15normal_iteratorINS8_10device_ptrIjEEEESD_jNS1_19radix_merge_compareILb0ELb1EjNS0_19identity_decomposerEEEEE10hipError_tT0_T1_T2_jT3_P12ihipStream_tbPNSt15iterator_traitsISI_E10value_typeEPNSO_ISJ_E10value_typeEPSK_NS1_7vsmem_tEENKUlT_SI_SJ_SK_E_clISD_PjSD_S10_EESH_SX_SI_SJ_SK_EUlSX_E1_NS1_11comp_targetILNS1_3genE3ELNS1_11target_archE908ELNS1_3gpuE7ELNS1_3repE0EEENS1_36merge_oddeven_config_static_selectorELNS0_4arch9wavefront6targetE1EEEvSJ_.num_vgpr, 0
	.set _ZN7rocprim17ROCPRIM_400000_NS6detail17trampoline_kernelINS0_14default_configENS1_38merge_sort_block_merge_config_selectorIjjEEZZNS1_27merge_sort_block_merge_implIS3_N6thrust23THRUST_200600_302600_NS6detail15normal_iteratorINS8_10device_ptrIjEEEESD_jNS1_19radix_merge_compareILb0ELb1EjNS0_19identity_decomposerEEEEE10hipError_tT0_T1_T2_jT3_P12ihipStream_tbPNSt15iterator_traitsISI_E10value_typeEPNSO_ISJ_E10value_typeEPSK_NS1_7vsmem_tEENKUlT_SI_SJ_SK_E_clISD_PjSD_S10_EESH_SX_SI_SJ_SK_EUlSX_E1_NS1_11comp_targetILNS1_3genE3ELNS1_11target_archE908ELNS1_3gpuE7ELNS1_3repE0EEENS1_36merge_oddeven_config_static_selectorELNS0_4arch9wavefront6targetE1EEEvSJ_.num_agpr, 0
	.set _ZN7rocprim17ROCPRIM_400000_NS6detail17trampoline_kernelINS0_14default_configENS1_38merge_sort_block_merge_config_selectorIjjEEZZNS1_27merge_sort_block_merge_implIS3_N6thrust23THRUST_200600_302600_NS6detail15normal_iteratorINS8_10device_ptrIjEEEESD_jNS1_19radix_merge_compareILb0ELb1EjNS0_19identity_decomposerEEEEE10hipError_tT0_T1_T2_jT3_P12ihipStream_tbPNSt15iterator_traitsISI_E10value_typeEPNSO_ISJ_E10value_typeEPSK_NS1_7vsmem_tEENKUlT_SI_SJ_SK_E_clISD_PjSD_S10_EESH_SX_SI_SJ_SK_EUlSX_E1_NS1_11comp_targetILNS1_3genE3ELNS1_11target_archE908ELNS1_3gpuE7ELNS1_3repE0EEENS1_36merge_oddeven_config_static_selectorELNS0_4arch9wavefront6targetE1EEEvSJ_.numbered_sgpr, 0
	.set _ZN7rocprim17ROCPRIM_400000_NS6detail17trampoline_kernelINS0_14default_configENS1_38merge_sort_block_merge_config_selectorIjjEEZZNS1_27merge_sort_block_merge_implIS3_N6thrust23THRUST_200600_302600_NS6detail15normal_iteratorINS8_10device_ptrIjEEEESD_jNS1_19radix_merge_compareILb0ELb1EjNS0_19identity_decomposerEEEEE10hipError_tT0_T1_T2_jT3_P12ihipStream_tbPNSt15iterator_traitsISI_E10value_typeEPNSO_ISJ_E10value_typeEPSK_NS1_7vsmem_tEENKUlT_SI_SJ_SK_E_clISD_PjSD_S10_EESH_SX_SI_SJ_SK_EUlSX_E1_NS1_11comp_targetILNS1_3genE3ELNS1_11target_archE908ELNS1_3gpuE7ELNS1_3repE0EEENS1_36merge_oddeven_config_static_selectorELNS0_4arch9wavefront6targetE1EEEvSJ_.num_named_barrier, 0
	.set _ZN7rocprim17ROCPRIM_400000_NS6detail17trampoline_kernelINS0_14default_configENS1_38merge_sort_block_merge_config_selectorIjjEEZZNS1_27merge_sort_block_merge_implIS3_N6thrust23THRUST_200600_302600_NS6detail15normal_iteratorINS8_10device_ptrIjEEEESD_jNS1_19radix_merge_compareILb0ELb1EjNS0_19identity_decomposerEEEEE10hipError_tT0_T1_T2_jT3_P12ihipStream_tbPNSt15iterator_traitsISI_E10value_typeEPNSO_ISJ_E10value_typeEPSK_NS1_7vsmem_tEENKUlT_SI_SJ_SK_E_clISD_PjSD_S10_EESH_SX_SI_SJ_SK_EUlSX_E1_NS1_11comp_targetILNS1_3genE3ELNS1_11target_archE908ELNS1_3gpuE7ELNS1_3repE0EEENS1_36merge_oddeven_config_static_selectorELNS0_4arch9wavefront6targetE1EEEvSJ_.private_seg_size, 0
	.set _ZN7rocprim17ROCPRIM_400000_NS6detail17trampoline_kernelINS0_14default_configENS1_38merge_sort_block_merge_config_selectorIjjEEZZNS1_27merge_sort_block_merge_implIS3_N6thrust23THRUST_200600_302600_NS6detail15normal_iteratorINS8_10device_ptrIjEEEESD_jNS1_19radix_merge_compareILb0ELb1EjNS0_19identity_decomposerEEEEE10hipError_tT0_T1_T2_jT3_P12ihipStream_tbPNSt15iterator_traitsISI_E10value_typeEPNSO_ISJ_E10value_typeEPSK_NS1_7vsmem_tEENKUlT_SI_SJ_SK_E_clISD_PjSD_S10_EESH_SX_SI_SJ_SK_EUlSX_E1_NS1_11comp_targetILNS1_3genE3ELNS1_11target_archE908ELNS1_3gpuE7ELNS1_3repE0EEENS1_36merge_oddeven_config_static_selectorELNS0_4arch9wavefront6targetE1EEEvSJ_.uses_vcc, 0
	.set _ZN7rocprim17ROCPRIM_400000_NS6detail17trampoline_kernelINS0_14default_configENS1_38merge_sort_block_merge_config_selectorIjjEEZZNS1_27merge_sort_block_merge_implIS3_N6thrust23THRUST_200600_302600_NS6detail15normal_iteratorINS8_10device_ptrIjEEEESD_jNS1_19radix_merge_compareILb0ELb1EjNS0_19identity_decomposerEEEEE10hipError_tT0_T1_T2_jT3_P12ihipStream_tbPNSt15iterator_traitsISI_E10value_typeEPNSO_ISJ_E10value_typeEPSK_NS1_7vsmem_tEENKUlT_SI_SJ_SK_E_clISD_PjSD_S10_EESH_SX_SI_SJ_SK_EUlSX_E1_NS1_11comp_targetILNS1_3genE3ELNS1_11target_archE908ELNS1_3gpuE7ELNS1_3repE0EEENS1_36merge_oddeven_config_static_selectorELNS0_4arch9wavefront6targetE1EEEvSJ_.uses_flat_scratch, 0
	.set _ZN7rocprim17ROCPRIM_400000_NS6detail17trampoline_kernelINS0_14default_configENS1_38merge_sort_block_merge_config_selectorIjjEEZZNS1_27merge_sort_block_merge_implIS3_N6thrust23THRUST_200600_302600_NS6detail15normal_iteratorINS8_10device_ptrIjEEEESD_jNS1_19radix_merge_compareILb0ELb1EjNS0_19identity_decomposerEEEEE10hipError_tT0_T1_T2_jT3_P12ihipStream_tbPNSt15iterator_traitsISI_E10value_typeEPNSO_ISJ_E10value_typeEPSK_NS1_7vsmem_tEENKUlT_SI_SJ_SK_E_clISD_PjSD_S10_EESH_SX_SI_SJ_SK_EUlSX_E1_NS1_11comp_targetILNS1_3genE3ELNS1_11target_archE908ELNS1_3gpuE7ELNS1_3repE0EEENS1_36merge_oddeven_config_static_selectorELNS0_4arch9wavefront6targetE1EEEvSJ_.has_dyn_sized_stack, 0
	.set _ZN7rocprim17ROCPRIM_400000_NS6detail17trampoline_kernelINS0_14default_configENS1_38merge_sort_block_merge_config_selectorIjjEEZZNS1_27merge_sort_block_merge_implIS3_N6thrust23THRUST_200600_302600_NS6detail15normal_iteratorINS8_10device_ptrIjEEEESD_jNS1_19radix_merge_compareILb0ELb1EjNS0_19identity_decomposerEEEEE10hipError_tT0_T1_T2_jT3_P12ihipStream_tbPNSt15iterator_traitsISI_E10value_typeEPNSO_ISJ_E10value_typeEPSK_NS1_7vsmem_tEENKUlT_SI_SJ_SK_E_clISD_PjSD_S10_EESH_SX_SI_SJ_SK_EUlSX_E1_NS1_11comp_targetILNS1_3genE3ELNS1_11target_archE908ELNS1_3gpuE7ELNS1_3repE0EEENS1_36merge_oddeven_config_static_selectorELNS0_4arch9wavefront6targetE1EEEvSJ_.has_recursion, 0
	.set _ZN7rocprim17ROCPRIM_400000_NS6detail17trampoline_kernelINS0_14default_configENS1_38merge_sort_block_merge_config_selectorIjjEEZZNS1_27merge_sort_block_merge_implIS3_N6thrust23THRUST_200600_302600_NS6detail15normal_iteratorINS8_10device_ptrIjEEEESD_jNS1_19radix_merge_compareILb0ELb1EjNS0_19identity_decomposerEEEEE10hipError_tT0_T1_T2_jT3_P12ihipStream_tbPNSt15iterator_traitsISI_E10value_typeEPNSO_ISJ_E10value_typeEPSK_NS1_7vsmem_tEENKUlT_SI_SJ_SK_E_clISD_PjSD_S10_EESH_SX_SI_SJ_SK_EUlSX_E1_NS1_11comp_targetILNS1_3genE3ELNS1_11target_archE908ELNS1_3gpuE7ELNS1_3repE0EEENS1_36merge_oddeven_config_static_selectorELNS0_4arch9wavefront6targetE1EEEvSJ_.has_indirect_call, 0
	.section	.AMDGPU.csdata,"",@progbits
; Kernel info:
; codeLenInByte = 0
; TotalNumSgprs: 6
; NumVgprs: 0
; NumAgprs: 0
; TotalNumVgprs: 0
; ScratchSize: 0
; MemoryBound: 0
; FloatMode: 240
; IeeeMode: 1
; LDSByteSize: 0 bytes/workgroup (compile time only)
; SGPRBlocks: 0
; VGPRBlocks: 0
; NumSGPRsForWavesPerEU: 6
; NumVGPRsForWavesPerEU: 1
; AccumOffset: 4
; Occupancy: 8
; WaveLimiterHint : 0
; COMPUTE_PGM_RSRC2:SCRATCH_EN: 0
; COMPUTE_PGM_RSRC2:USER_SGPR: 2
; COMPUTE_PGM_RSRC2:TRAP_HANDLER: 0
; COMPUTE_PGM_RSRC2:TGID_X_EN: 1
; COMPUTE_PGM_RSRC2:TGID_Y_EN: 0
; COMPUTE_PGM_RSRC2:TGID_Z_EN: 0
; COMPUTE_PGM_RSRC2:TIDIG_COMP_CNT: 0
; COMPUTE_PGM_RSRC3_GFX90A:ACCUM_OFFSET: 0
; COMPUTE_PGM_RSRC3_GFX90A:TG_SPLIT: 0
	.section	.text._ZN7rocprim17ROCPRIM_400000_NS6detail17trampoline_kernelINS0_14default_configENS1_38merge_sort_block_merge_config_selectorIjjEEZZNS1_27merge_sort_block_merge_implIS3_N6thrust23THRUST_200600_302600_NS6detail15normal_iteratorINS8_10device_ptrIjEEEESD_jNS1_19radix_merge_compareILb0ELb1EjNS0_19identity_decomposerEEEEE10hipError_tT0_T1_T2_jT3_P12ihipStream_tbPNSt15iterator_traitsISI_E10value_typeEPNSO_ISJ_E10value_typeEPSK_NS1_7vsmem_tEENKUlT_SI_SJ_SK_E_clISD_PjSD_S10_EESH_SX_SI_SJ_SK_EUlSX_E1_NS1_11comp_targetILNS1_3genE2ELNS1_11target_archE906ELNS1_3gpuE6ELNS1_3repE0EEENS1_36merge_oddeven_config_static_selectorELNS0_4arch9wavefront6targetE1EEEvSJ_,"axG",@progbits,_ZN7rocprim17ROCPRIM_400000_NS6detail17trampoline_kernelINS0_14default_configENS1_38merge_sort_block_merge_config_selectorIjjEEZZNS1_27merge_sort_block_merge_implIS3_N6thrust23THRUST_200600_302600_NS6detail15normal_iteratorINS8_10device_ptrIjEEEESD_jNS1_19radix_merge_compareILb0ELb1EjNS0_19identity_decomposerEEEEE10hipError_tT0_T1_T2_jT3_P12ihipStream_tbPNSt15iterator_traitsISI_E10value_typeEPNSO_ISJ_E10value_typeEPSK_NS1_7vsmem_tEENKUlT_SI_SJ_SK_E_clISD_PjSD_S10_EESH_SX_SI_SJ_SK_EUlSX_E1_NS1_11comp_targetILNS1_3genE2ELNS1_11target_archE906ELNS1_3gpuE6ELNS1_3repE0EEENS1_36merge_oddeven_config_static_selectorELNS0_4arch9wavefront6targetE1EEEvSJ_,comdat
	.protected	_ZN7rocprim17ROCPRIM_400000_NS6detail17trampoline_kernelINS0_14default_configENS1_38merge_sort_block_merge_config_selectorIjjEEZZNS1_27merge_sort_block_merge_implIS3_N6thrust23THRUST_200600_302600_NS6detail15normal_iteratorINS8_10device_ptrIjEEEESD_jNS1_19radix_merge_compareILb0ELb1EjNS0_19identity_decomposerEEEEE10hipError_tT0_T1_T2_jT3_P12ihipStream_tbPNSt15iterator_traitsISI_E10value_typeEPNSO_ISJ_E10value_typeEPSK_NS1_7vsmem_tEENKUlT_SI_SJ_SK_E_clISD_PjSD_S10_EESH_SX_SI_SJ_SK_EUlSX_E1_NS1_11comp_targetILNS1_3genE2ELNS1_11target_archE906ELNS1_3gpuE6ELNS1_3repE0EEENS1_36merge_oddeven_config_static_selectorELNS0_4arch9wavefront6targetE1EEEvSJ_ ; -- Begin function _ZN7rocprim17ROCPRIM_400000_NS6detail17trampoline_kernelINS0_14default_configENS1_38merge_sort_block_merge_config_selectorIjjEEZZNS1_27merge_sort_block_merge_implIS3_N6thrust23THRUST_200600_302600_NS6detail15normal_iteratorINS8_10device_ptrIjEEEESD_jNS1_19radix_merge_compareILb0ELb1EjNS0_19identity_decomposerEEEEE10hipError_tT0_T1_T2_jT3_P12ihipStream_tbPNSt15iterator_traitsISI_E10value_typeEPNSO_ISJ_E10value_typeEPSK_NS1_7vsmem_tEENKUlT_SI_SJ_SK_E_clISD_PjSD_S10_EESH_SX_SI_SJ_SK_EUlSX_E1_NS1_11comp_targetILNS1_3genE2ELNS1_11target_archE906ELNS1_3gpuE6ELNS1_3repE0EEENS1_36merge_oddeven_config_static_selectorELNS0_4arch9wavefront6targetE1EEEvSJ_
	.globl	_ZN7rocprim17ROCPRIM_400000_NS6detail17trampoline_kernelINS0_14default_configENS1_38merge_sort_block_merge_config_selectorIjjEEZZNS1_27merge_sort_block_merge_implIS3_N6thrust23THRUST_200600_302600_NS6detail15normal_iteratorINS8_10device_ptrIjEEEESD_jNS1_19radix_merge_compareILb0ELb1EjNS0_19identity_decomposerEEEEE10hipError_tT0_T1_T2_jT3_P12ihipStream_tbPNSt15iterator_traitsISI_E10value_typeEPNSO_ISJ_E10value_typeEPSK_NS1_7vsmem_tEENKUlT_SI_SJ_SK_E_clISD_PjSD_S10_EESH_SX_SI_SJ_SK_EUlSX_E1_NS1_11comp_targetILNS1_3genE2ELNS1_11target_archE906ELNS1_3gpuE6ELNS1_3repE0EEENS1_36merge_oddeven_config_static_selectorELNS0_4arch9wavefront6targetE1EEEvSJ_
	.p2align	8
	.type	_ZN7rocprim17ROCPRIM_400000_NS6detail17trampoline_kernelINS0_14default_configENS1_38merge_sort_block_merge_config_selectorIjjEEZZNS1_27merge_sort_block_merge_implIS3_N6thrust23THRUST_200600_302600_NS6detail15normal_iteratorINS8_10device_ptrIjEEEESD_jNS1_19radix_merge_compareILb0ELb1EjNS0_19identity_decomposerEEEEE10hipError_tT0_T1_T2_jT3_P12ihipStream_tbPNSt15iterator_traitsISI_E10value_typeEPNSO_ISJ_E10value_typeEPSK_NS1_7vsmem_tEENKUlT_SI_SJ_SK_E_clISD_PjSD_S10_EESH_SX_SI_SJ_SK_EUlSX_E1_NS1_11comp_targetILNS1_3genE2ELNS1_11target_archE906ELNS1_3gpuE6ELNS1_3repE0EEENS1_36merge_oddeven_config_static_selectorELNS0_4arch9wavefront6targetE1EEEvSJ_,@function
_ZN7rocprim17ROCPRIM_400000_NS6detail17trampoline_kernelINS0_14default_configENS1_38merge_sort_block_merge_config_selectorIjjEEZZNS1_27merge_sort_block_merge_implIS3_N6thrust23THRUST_200600_302600_NS6detail15normal_iteratorINS8_10device_ptrIjEEEESD_jNS1_19radix_merge_compareILb0ELb1EjNS0_19identity_decomposerEEEEE10hipError_tT0_T1_T2_jT3_P12ihipStream_tbPNSt15iterator_traitsISI_E10value_typeEPNSO_ISJ_E10value_typeEPSK_NS1_7vsmem_tEENKUlT_SI_SJ_SK_E_clISD_PjSD_S10_EESH_SX_SI_SJ_SK_EUlSX_E1_NS1_11comp_targetILNS1_3genE2ELNS1_11target_archE906ELNS1_3gpuE6ELNS1_3repE0EEENS1_36merge_oddeven_config_static_selectorELNS0_4arch9wavefront6targetE1EEEvSJ_: ; @_ZN7rocprim17ROCPRIM_400000_NS6detail17trampoline_kernelINS0_14default_configENS1_38merge_sort_block_merge_config_selectorIjjEEZZNS1_27merge_sort_block_merge_implIS3_N6thrust23THRUST_200600_302600_NS6detail15normal_iteratorINS8_10device_ptrIjEEEESD_jNS1_19radix_merge_compareILb0ELb1EjNS0_19identity_decomposerEEEEE10hipError_tT0_T1_T2_jT3_P12ihipStream_tbPNSt15iterator_traitsISI_E10value_typeEPNSO_ISJ_E10value_typeEPSK_NS1_7vsmem_tEENKUlT_SI_SJ_SK_E_clISD_PjSD_S10_EESH_SX_SI_SJ_SK_EUlSX_E1_NS1_11comp_targetILNS1_3genE2ELNS1_11target_archE906ELNS1_3gpuE6ELNS1_3repE0EEENS1_36merge_oddeven_config_static_selectorELNS0_4arch9wavefront6targetE1EEEvSJ_
; %bb.0:
	.section	.rodata,"a",@progbits
	.p2align	6, 0x0
	.amdhsa_kernel _ZN7rocprim17ROCPRIM_400000_NS6detail17trampoline_kernelINS0_14default_configENS1_38merge_sort_block_merge_config_selectorIjjEEZZNS1_27merge_sort_block_merge_implIS3_N6thrust23THRUST_200600_302600_NS6detail15normal_iteratorINS8_10device_ptrIjEEEESD_jNS1_19radix_merge_compareILb0ELb1EjNS0_19identity_decomposerEEEEE10hipError_tT0_T1_T2_jT3_P12ihipStream_tbPNSt15iterator_traitsISI_E10value_typeEPNSO_ISJ_E10value_typeEPSK_NS1_7vsmem_tEENKUlT_SI_SJ_SK_E_clISD_PjSD_S10_EESH_SX_SI_SJ_SK_EUlSX_E1_NS1_11comp_targetILNS1_3genE2ELNS1_11target_archE906ELNS1_3gpuE6ELNS1_3repE0EEENS1_36merge_oddeven_config_static_selectorELNS0_4arch9wavefront6targetE1EEEvSJ_
		.amdhsa_group_segment_fixed_size 0
		.amdhsa_private_segment_fixed_size 0
		.amdhsa_kernarg_size 48
		.amdhsa_user_sgpr_count 2
		.amdhsa_user_sgpr_dispatch_ptr 0
		.amdhsa_user_sgpr_queue_ptr 0
		.amdhsa_user_sgpr_kernarg_segment_ptr 1
		.amdhsa_user_sgpr_dispatch_id 0
		.amdhsa_user_sgpr_kernarg_preload_length 0
		.amdhsa_user_sgpr_kernarg_preload_offset 0
		.amdhsa_user_sgpr_private_segment_size 0
		.amdhsa_uses_dynamic_stack 0
		.amdhsa_enable_private_segment 0
		.amdhsa_system_sgpr_workgroup_id_x 1
		.amdhsa_system_sgpr_workgroup_id_y 0
		.amdhsa_system_sgpr_workgroup_id_z 0
		.amdhsa_system_sgpr_workgroup_info 0
		.amdhsa_system_vgpr_workitem_id 0
		.amdhsa_next_free_vgpr 1
		.amdhsa_next_free_sgpr 0
		.amdhsa_accum_offset 4
		.amdhsa_reserve_vcc 0
		.amdhsa_float_round_mode_32 0
		.amdhsa_float_round_mode_16_64 0
		.amdhsa_float_denorm_mode_32 3
		.amdhsa_float_denorm_mode_16_64 3
		.amdhsa_dx10_clamp 1
		.amdhsa_ieee_mode 1
		.amdhsa_fp16_overflow 0
		.amdhsa_tg_split 0
		.amdhsa_exception_fp_ieee_invalid_op 0
		.amdhsa_exception_fp_denorm_src 0
		.amdhsa_exception_fp_ieee_div_zero 0
		.amdhsa_exception_fp_ieee_overflow 0
		.amdhsa_exception_fp_ieee_underflow 0
		.amdhsa_exception_fp_ieee_inexact 0
		.amdhsa_exception_int_div_zero 0
	.end_amdhsa_kernel
	.section	.text._ZN7rocprim17ROCPRIM_400000_NS6detail17trampoline_kernelINS0_14default_configENS1_38merge_sort_block_merge_config_selectorIjjEEZZNS1_27merge_sort_block_merge_implIS3_N6thrust23THRUST_200600_302600_NS6detail15normal_iteratorINS8_10device_ptrIjEEEESD_jNS1_19radix_merge_compareILb0ELb1EjNS0_19identity_decomposerEEEEE10hipError_tT0_T1_T2_jT3_P12ihipStream_tbPNSt15iterator_traitsISI_E10value_typeEPNSO_ISJ_E10value_typeEPSK_NS1_7vsmem_tEENKUlT_SI_SJ_SK_E_clISD_PjSD_S10_EESH_SX_SI_SJ_SK_EUlSX_E1_NS1_11comp_targetILNS1_3genE2ELNS1_11target_archE906ELNS1_3gpuE6ELNS1_3repE0EEENS1_36merge_oddeven_config_static_selectorELNS0_4arch9wavefront6targetE1EEEvSJ_,"axG",@progbits,_ZN7rocprim17ROCPRIM_400000_NS6detail17trampoline_kernelINS0_14default_configENS1_38merge_sort_block_merge_config_selectorIjjEEZZNS1_27merge_sort_block_merge_implIS3_N6thrust23THRUST_200600_302600_NS6detail15normal_iteratorINS8_10device_ptrIjEEEESD_jNS1_19radix_merge_compareILb0ELb1EjNS0_19identity_decomposerEEEEE10hipError_tT0_T1_T2_jT3_P12ihipStream_tbPNSt15iterator_traitsISI_E10value_typeEPNSO_ISJ_E10value_typeEPSK_NS1_7vsmem_tEENKUlT_SI_SJ_SK_E_clISD_PjSD_S10_EESH_SX_SI_SJ_SK_EUlSX_E1_NS1_11comp_targetILNS1_3genE2ELNS1_11target_archE906ELNS1_3gpuE6ELNS1_3repE0EEENS1_36merge_oddeven_config_static_selectorELNS0_4arch9wavefront6targetE1EEEvSJ_,comdat
.Lfunc_end721:
	.size	_ZN7rocprim17ROCPRIM_400000_NS6detail17trampoline_kernelINS0_14default_configENS1_38merge_sort_block_merge_config_selectorIjjEEZZNS1_27merge_sort_block_merge_implIS3_N6thrust23THRUST_200600_302600_NS6detail15normal_iteratorINS8_10device_ptrIjEEEESD_jNS1_19radix_merge_compareILb0ELb1EjNS0_19identity_decomposerEEEEE10hipError_tT0_T1_T2_jT3_P12ihipStream_tbPNSt15iterator_traitsISI_E10value_typeEPNSO_ISJ_E10value_typeEPSK_NS1_7vsmem_tEENKUlT_SI_SJ_SK_E_clISD_PjSD_S10_EESH_SX_SI_SJ_SK_EUlSX_E1_NS1_11comp_targetILNS1_3genE2ELNS1_11target_archE906ELNS1_3gpuE6ELNS1_3repE0EEENS1_36merge_oddeven_config_static_selectorELNS0_4arch9wavefront6targetE1EEEvSJ_, .Lfunc_end721-_ZN7rocprim17ROCPRIM_400000_NS6detail17trampoline_kernelINS0_14default_configENS1_38merge_sort_block_merge_config_selectorIjjEEZZNS1_27merge_sort_block_merge_implIS3_N6thrust23THRUST_200600_302600_NS6detail15normal_iteratorINS8_10device_ptrIjEEEESD_jNS1_19radix_merge_compareILb0ELb1EjNS0_19identity_decomposerEEEEE10hipError_tT0_T1_T2_jT3_P12ihipStream_tbPNSt15iterator_traitsISI_E10value_typeEPNSO_ISJ_E10value_typeEPSK_NS1_7vsmem_tEENKUlT_SI_SJ_SK_E_clISD_PjSD_S10_EESH_SX_SI_SJ_SK_EUlSX_E1_NS1_11comp_targetILNS1_3genE2ELNS1_11target_archE906ELNS1_3gpuE6ELNS1_3repE0EEENS1_36merge_oddeven_config_static_selectorELNS0_4arch9wavefront6targetE1EEEvSJ_
                                        ; -- End function
	.set _ZN7rocprim17ROCPRIM_400000_NS6detail17trampoline_kernelINS0_14default_configENS1_38merge_sort_block_merge_config_selectorIjjEEZZNS1_27merge_sort_block_merge_implIS3_N6thrust23THRUST_200600_302600_NS6detail15normal_iteratorINS8_10device_ptrIjEEEESD_jNS1_19radix_merge_compareILb0ELb1EjNS0_19identity_decomposerEEEEE10hipError_tT0_T1_T2_jT3_P12ihipStream_tbPNSt15iterator_traitsISI_E10value_typeEPNSO_ISJ_E10value_typeEPSK_NS1_7vsmem_tEENKUlT_SI_SJ_SK_E_clISD_PjSD_S10_EESH_SX_SI_SJ_SK_EUlSX_E1_NS1_11comp_targetILNS1_3genE2ELNS1_11target_archE906ELNS1_3gpuE6ELNS1_3repE0EEENS1_36merge_oddeven_config_static_selectorELNS0_4arch9wavefront6targetE1EEEvSJ_.num_vgpr, 0
	.set _ZN7rocprim17ROCPRIM_400000_NS6detail17trampoline_kernelINS0_14default_configENS1_38merge_sort_block_merge_config_selectorIjjEEZZNS1_27merge_sort_block_merge_implIS3_N6thrust23THRUST_200600_302600_NS6detail15normal_iteratorINS8_10device_ptrIjEEEESD_jNS1_19radix_merge_compareILb0ELb1EjNS0_19identity_decomposerEEEEE10hipError_tT0_T1_T2_jT3_P12ihipStream_tbPNSt15iterator_traitsISI_E10value_typeEPNSO_ISJ_E10value_typeEPSK_NS1_7vsmem_tEENKUlT_SI_SJ_SK_E_clISD_PjSD_S10_EESH_SX_SI_SJ_SK_EUlSX_E1_NS1_11comp_targetILNS1_3genE2ELNS1_11target_archE906ELNS1_3gpuE6ELNS1_3repE0EEENS1_36merge_oddeven_config_static_selectorELNS0_4arch9wavefront6targetE1EEEvSJ_.num_agpr, 0
	.set _ZN7rocprim17ROCPRIM_400000_NS6detail17trampoline_kernelINS0_14default_configENS1_38merge_sort_block_merge_config_selectorIjjEEZZNS1_27merge_sort_block_merge_implIS3_N6thrust23THRUST_200600_302600_NS6detail15normal_iteratorINS8_10device_ptrIjEEEESD_jNS1_19radix_merge_compareILb0ELb1EjNS0_19identity_decomposerEEEEE10hipError_tT0_T1_T2_jT3_P12ihipStream_tbPNSt15iterator_traitsISI_E10value_typeEPNSO_ISJ_E10value_typeEPSK_NS1_7vsmem_tEENKUlT_SI_SJ_SK_E_clISD_PjSD_S10_EESH_SX_SI_SJ_SK_EUlSX_E1_NS1_11comp_targetILNS1_3genE2ELNS1_11target_archE906ELNS1_3gpuE6ELNS1_3repE0EEENS1_36merge_oddeven_config_static_selectorELNS0_4arch9wavefront6targetE1EEEvSJ_.numbered_sgpr, 0
	.set _ZN7rocprim17ROCPRIM_400000_NS6detail17trampoline_kernelINS0_14default_configENS1_38merge_sort_block_merge_config_selectorIjjEEZZNS1_27merge_sort_block_merge_implIS3_N6thrust23THRUST_200600_302600_NS6detail15normal_iteratorINS8_10device_ptrIjEEEESD_jNS1_19radix_merge_compareILb0ELb1EjNS0_19identity_decomposerEEEEE10hipError_tT0_T1_T2_jT3_P12ihipStream_tbPNSt15iterator_traitsISI_E10value_typeEPNSO_ISJ_E10value_typeEPSK_NS1_7vsmem_tEENKUlT_SI_SJ_SK_E_clISD_PjSD_S10_EESH_SX_SI_SJ_SK_EUlSX_E1_NS1_11comp_targetILNS1_3genE2ELNS1_11target_archE906ELNS1_3gpuE6ELNS1_3repE0EEENS1_36merge_oddeven_config_static_selectorELNS0_4arch9wavefront6targetE1EEEvSJ_.num_named_barrier, 0
	.set _ZN7rocprim17ROCPRIM_400000_NS6detail17trampoline_kernelINS0_14default_configENS1_38merge_sort_block_merge_config_selectorIjjEEZZNS1_27merge_sort_block_merge_implIS3_N6thrust23THRUST_200600_302600_NS6detail15normal_iteratorINS8_10device_ptrIjEEEESD_jNS1_19radix_merge_compareILb0ELb1EjNS0_19identity_decomposerEEEEE10hipError_tT0_T1_T2_jT3_P12ihipStream_tbPNSt15iterator_traitsISI_E10value_typeEPNSO_ISJ_E10value_typeEPSK_NS1_7vsmem_tEENKUlT_SI_SJ_SK_E_clISD_PjSD_S10_EESH_SX_SI_SJ_SK_EUlSX_E1_NS1_11comp_targetILNS1_3genE2ELNS1_11target_archE906ELNS1_3gpuE6ELNS1_3repE0EEENS1_36merge_oddeven_config_static_selectorELNS0_4arch9wavefront6targetE1EEEvSJ_.private_seg_size, 0
	.set _ZN7rocprim17ROCPRIM_400000_NS6detail17trampoline_kernelINS0_14default_configENS1_38merge_sort_block_merge_config_selectorIjjEEZZNS1_27merge_sort_block_merge_implIS3_N6thrust23THRUST_200600_302600_NS6detail15normal_iteratorINS8_10device_ptrIjEEEESD_jNS1_19radix_merge_compareILb0ELb1EjNS0_19identity_decomposerEEEEE10hipError_tT0_T1_T2_jT3_P12ihipStream_tbPNSt15iterator_traitsISI_E10value_typeEPNSO_ISJ_E10value_typeEPSK_NS1_7vsmem_tEENKUlT_SI_SJ_SK_E_clISD_PjSD_S10_EESH_SX_SI_SJ_SK_EUlSX_E1_NS1_11comp_targetILNS1_3genE2ELNS1_11target_archE906ELNS1_3gpuE6ELNS1_3repE0EEENS1_36merge_oddeven_config_static_selectorELNS0_4arch9wavefront6targetE1EEEvSJ_.uses_vcc, 0
	.set _ZN7rocprim17ROCPRIM_400000_NS6detail17trampoline_kernelINS0_14default_configENS1_38merge_sort_block_merge_config_selectorIjjEEZZNS1_27merge_sort_block_merge_implIS3_N6thrust23THRUST_200600_302600_NS6detail15normal_iteratorINS8_10device_ptrIjEEEESD_jNS1_19radix_merge_compareILb0ELb1EjNS0_19identity_decomposerEEEEE10hipError_tT0_T1_T2_jT3_P12ihipStream_tbPNSt15iterator_traitsISI_E10value_typeEPNSO_ISJ_E10value_typeEPSK_NS1_7vsmem_tEENKUlT_SI_SJ_SK_E_clISD_PjSD_S10_EESH_SX_SI_SJ_SK_EUlSX_E1_NS1_11comp_targetILNS1_3genE2ELNS1_11target_archE906ELNS1_3gpuE6ELNS1_3repE0EEENS1_36merge_oddeven_config_static_selectorELNS0_4arch9wavefront6targetE1EEEvSJ_.uses_flat_scratch, 0
	.set _ZN7rocprim17ROCPRIM_400000_NS6detail17trampoline_kernelINS0_14default_configENS1_38merge_sort_block_merge_config_selectorIjjEEZZNS1_27merge_sort_block_merge_implIS3_N6thrust23THRUST_200600_302600_NS6detail15normal_iteratorINS8_10device_ptrIjEEEESD_jNS1_19radix_merge_compareILb0ELb1EjNS0_19identity_decomposerEEEEE10hipError_tT0_T1_T2_jT3_P12ihipStream_tbPNSt15iterator_traitsISI_E10value_typeEPNSO_ISJ_E10value_typeEPSK_NS1_7vsmem_tEENKUlT_SI_SJ_SK_E_clISD_PjSD_S10_EESH_SX_SI_SJ_SK_EUlSX_E1_NS1_11comp_targetILNS1_3genE2ELNS1_11target_archE906ELNS1_3gpuE6ELNS1_3repE0EEENS1_36merge_oddeven_config_static_selectorELNS0_4arch9wavefront6targetE1EEEvSJ_.has_dyn_sized_stack, 0
	.set _ZN7rocprim17ROCPRIM_400000_NS6detail17trampoline_kernelINS0_14default_configENS1_38merge_sort_block_merge_config_selectorIjjEEZZNS1_27merge_sort_block_merge_implIS3_N6thrust23THRUST_200600_302600_NS6detail15normal_iteratorINS8_10device_ptrIjEEEESD_jNS1_19radix_merge_compareILb0ELb1EjNS0_19identity_decomposerEEEEE10hipError_tT0_T1_T2_jT3_P12ihipStream_tbPNSt15iterator_traitsISI_E10value_typeEPNSO_ISJ_E10value_typeEPSK_NS1_7vsmem_tEENKUlT_SI_SJ_SK_E_clISD_PjSD_S10_EESH_SX_SI_SJ_SK_EUlSX_E1_NS1_11comp_targetILNS1_3genE2ELNS1_11target_archE906ELNS1_3gpuE6ELNS1_3repE0EEENS1_36merge_oddeven_config_static_selectorELNS0_4arch9wavefront6targetE1EEEvSJ_.has_recursion, 0
	.set _ZN7rocprim17ROCPRIM_400000_NS6detail17trampoline_kernelINS0_14default_configENS1_38merge_sort_block_merge_config_selectorIjjEEZZNS1_27merge_sort_block_merge_implIS3_N6thrust23THRUST_200600_302600_NS6detail15normal_iteratorINS8_10device_ptrIjEEEESD_jNS1_19radix_merge_compareILb0ELb1EjNS0_19identity_decomposerEEEEE10hipError_tT0_T1_T2_jT3_P12ihipStream_tbPNSt15iterator_traitsISI_E10value_typeEPNSO_ISJ_E10value_typeEPSK_NS1_7vsmem_tEENKUlT_SI_SJ_SK_E_clISD_PjSD_S10_EESH_SX_SI_SJ_SK_EUlSX_E1_NS1_11comp_targetILNS1_3genE2ELNS1_11target_archE906ELNS1_3gpuE6ELNS1_3repE0EEENS1_36merge_oddeven_config_static_selectorELNS0_4arch9wavefront6targetE1EEEvSJ_.has_indirect_call, 0
	.section	.AMDGPU.csdata,"",@progbits
; Kernel info:
; codeLenInByte = 0
; TotalNumSgprs: 6
; NumVgprs: 0
; NumAgprs: 0
; TotalNumVgprs: 0
; ScratchSize: 0
; MemoryBound: 0
; FloatMode: 240
; IeeeMode: 1
; LDSByteSize: 0 bytes/workgroup (compile time only)
; SGPRBlocks: 0
; VGPRBlocks: 0
; NumSGPRsForWavesPerEU: 6
; NumVGPRsForWavesPerEU: 1
; AccumOffset: 4
; Occupancy: 8
; WaveLimiterHint : 0
; COMPUTE_PGM_RSRC2:SCRATCH_EN: 0
; COMPUTE_PGM_RSRC2:USER_SGPR: 2
; COMPUTE_PGM_RSRC2:TRAP_HANDLER: 0
; COMPUTE_PGM_RSRC2:TGID_X_EN: 1
; COMPUTE_PGM_RSRC2:TGID_Y_EN: 0
; COMPUTE_PGM_RSRC2:TGID_Z_EN: 0
; COMPUTE_PGM_RSRC2:TIDIG_COMP_CNT: 0
; COMPUTE_PGM_RSRC3_GFX90A:ACCUM_OFFSET: 0
; COMPUTE_PGM_RSRC3_GFX90A:TG_SPLIT: 0
	.section	.text._ZN7rocprim17ROCPRIM_400000_NS6detail17trampoline_kernelINS0_14default_configENS1_38merge_sort_block_merge_config_selectorIjjEEZZNS1_27merge_sort_block_merge_implIS3_N6thrust23THRUST_200600_302600_NS6detail15normal_iteratorINS8_10device_ptrIjEEEESD_jNS1_19radix_merge_compareILb0ELb1EjNS0_19identity_decomposerEEEEE10hipError_tT0_T1_T2_jT3_P12ihipStream_tbPNSt15iterator_traitsISI_E10value_typeEPNSO_ISJ_E10value_typeEPSK_NS1_7vsmem_tEENKUlT_SI_SJ_SK_E_clISD_PjSD_S10_EESH_SX_SI_SJ_SK_EUlSX_E1_NS1_11comp_targetILNS1_3genE9ELNS1_11target_archE1100ELNS1_3gpuE3ELNS1_3repE0EEENS1_36merge_oddeven_config_static_selectorELNS0_4arch9wavefront6targetE1EEEvSJ_,"axG",@progbits,_ZN7rocprim17ROCPRIM_400000_NS6detail17trampoline_kernelINS0_14default_configENS1_38merge_sort_block_merge_config_selectorIjjEEZZNS1_27merge_sort_block_merge_implIS3_N6thrust23THRUST_200600_302600_NS6detail15normal_iteratorINS8_10device_ptrIjEEEESD_jNS1_19radix_merge_compareILb0ELb1EjNS0_19identity_decomposerEEEEE10hipError_tT0_T1_T2_jT3_P12ihipStream_tbPNSt15iterator_traitsISI_E10value_typeEPNSO_ISJ_E10value_typeEPSK_NS1_7vsmem_tEENKUlT_SI_SJ_SK_E_clISD_PjSD_S10_EESH_SX_SI_SJ_SK_EUlSX_E1_NS1_11comp_targetILNS1_3genE9ELNS1_11target_archE1100ELNS1_3gpuE3ELNS1_3repE0EEENS1_36merge_oddeven_config_static_selectorELNS0_4arch9wavefront6targetE1EEEvSJ_,comdat
	.protected	_ZN7rocprim17ROCPRIM_400000_NS6detail17trampoline_kernelINS0_14default_configENS1_38merge_sort_block_merge_config_selectorIjjEEZZNS1_27merge_sort_block_merge_implIS3_N6thrust23THRUST_200600_302600_NS6detail15normal_iteratorINS8_10device_ptrIjEEEESD_jNS1_19radix_merge_compareILb0ELb1EjNS0_19identity_decomposerEEEEE10hipError_tT0_T1_T2_jT3_P12ihipStream_tbPNSt15iterator_traitsISI_E10value_typeEPNSO_ISJ_E10value_typeEPSK_NS1_7vsmem_tEENKUlT_SI_SJ_SK_E_clISD_PjSD_S10_EESH_SX_SI_SJ_SK_EUlSX_E1_NS1_11comp_targetILNS1_3genE9ELNS1_11target_archE1100ELNS1_3gpuE3ELNS1_3repE0EEENS1_36merge_oddeven_config_static_selectorELNS0_4arch9wavefront6targetE1EEEvSJ_ ; -- Begin function _ZN7rocprim17ROCPRIM_400000_NS6detail17trampoline_kernelINS0_14default_configENS1_38merge_sort_block_merge_config_selectorIjjEEZZNS1_27merge_sort_block_merge_implIS3_N6thrust23THRUST_200600_302600_NS6detail15normal_iteratorINS8_10device_ptrIjEEEESD_jNS1_19radix_merge_compareILb0ELb1EjNS0_19identity_decomposerEEEEE10hipError_tT0_T1_T2_jT3_P12ihipStream_tbPNSt15iterator_traitsISI_E10value_typeEPNSO_ISJ_E10value_typeEPSK_NS1_7vsmem_tEENKUlT_SI_SJ_SK_E_clISD_PjSD_S10_EESH_SX_SI_SJ_SK_EUlSX_E1_NS1_11comp_targetILNS1_3genE9ELNS1_11target_archE1100ELNS1_3gpuE3ELNS1_3repE0EEENS1_36merge_oddeven_config_static_selectorELNS0_4arch9wavefront6targetE1EEEvSJ_
	.globl	_ZN7rocprim17ROCPRIM_400000_NS6detail17trampoline_kernelINS0_14default_configENS1_38merge_sort_block_merge_config_selectorIjjEEZZNS1_27merge_sort_block_merge_implIS3_N6thrust23THRUST_200600_302600_NS6detail15normal_iteratorINS8_10device_ptrIjEEEESD_jNS1_19radix_merge_compareILb0ELb1EjNS0_19identity_decomposerEEEEE10hipError_tT0_T1_T2_jT3_P12ihipStream_tbPNSt15iterator_traitsISI_E10value_typeEPNSO_ISJ_E10value_typeEPSK_NS1_7vsmem_tEENKUlT_SI_SJ_SK_E_clISD_PjSD_S10_EESH_SX_SI_SJ_SK_EUlSX_E1_NS1_11comp_targetILNS1_3genE9ELNS1_11target_archE1100ELNS1_3gpuE3ELNS1_3repE0EEENS1_36merge_oddeven_config_static_selectorELNS0_4arch9wavefront6targetE1EEEvSJ_
	.p2align	8
	.type	_ZN7rocprim17ROCPRIM_400000_NS6detail17trampoline_kernelINS0_14default_configENS1_38merge_sort_block_merge_config_selectorIjjEEZZNS1_27merge_sort_block_merge_implIS3_N6thrust23THRUST_200600_302600_NS6detail15normal_iteratorINS8_10device_ptrIjEEEESD_jNS1_19radix_merge_compareILb0ELb1EjNS0_19identity_decomposerEEEEE10hipError_tT0_T1_T2_jT3_P12ihipStream_tbPNSt15iterator_traitsISI_E10value_typeEPNSO_ISJ_E10value_typeEPSK_NS1_7vsmem_tEENKUlT_SI_SJ_SK_E_clISD_PjSD_S10_EESH_SX_SI_SJ_SK_EUlSX_E1_NS1_11comp_targetILNS1_3genE9ELNS1_11target_archE1100ELNS1_3gpuE3ELNS1_3repE0EEENS1_36merge_oddeven_config_static_selectorELNS0_4arch9wavefront6targetE1EEEvSJ_,@function
_ZN7rocprim17ROCPRIM_400000_NS6detail17trampoline_kernelINS0_14default_configENS1_38merge_sort_block_merge_config_selectorIjjEEZZNS1_27merge_sort_block_merge_implIS3_N6thrust23THRUST_200600_302600_NS6detail15normal_iteratorINS8_10device_ptrIjEEEESD_jNS1_19radix_merge_compareILb0ELb1EjNS0_19identity_decomposerEEEEE10hipError_tT0_T1_T2_jT3_P12ihipStream_tbPNSt15iterator_traitsISI_E10value_typeEPNSO_ISJ_E10value_typeEPSK_NS1_7vsmem_tEENKUlT_SI_SJ_SK_E_clISD_PjSD_S10_EESH_SX_SI_SJ_SK_EUlSX_E1_NS1_11comp_targetILNS1_3genE9ELNS1_11target_archE1100ELNS1_3gpuE3ELNS1_3repE0EEENS1_36merge_oddeven_config_static_selectorELNS0_4arch9wavefront6targetE1EEEvSJ_: ; @_ZN7rocprim17ROCPRIM_400000_NS6detail17trampoline_kernelINS0_14default_configENS1_38merge_sort_block_merge_config_selectorIjjEEZZNS1_27merge_sort_block_merge_implIS3_N6thrust23THRUST_200600_302600_NS6detail15normal_iteratorINS8_10device_ptrIjEEEESD_jNS1_19radix_merge_compareILb0ELb1EjNS0_19identity_decomposerEEEEE10hipError_tT0_T1_T2_jT3_P12ihipStream_tbPNSt15iterator_traitsISI_E10value_typeEPNSO_ISJ_E10value_typeEPSK_NS1_7vsmem_tEENKUlT_SI_SJ_SK_E_clISD_PjSD_S10_EESH_SX_SI_SJ_SK_EUlSX_E1_NS1_11comp_targetILNS1_3genE9ELNS1_11target_archE1100ELNS1_3gpuE3ELNS1_3repE0EEENS1_36merge_oddeven_config_static_selectorELNS0_4arch9wavefront6targetE1EEEvSJ_
; %bb.0:
	.section	.rodata,"a",@progbits
	.p2align	6, 0x0
	.amdhsa_kernel _ZN7rocprim17ROCPRIM_400000_NS6detail17trampoline_kernelINS0_14default_configENS1_38merge_sort_block_merge_config_selectorIjjEEZZNS1_27merge_sort_block_merge_implIS3_N6thrust23THRUST_200600_302600_NS6detail15normal_iteratorINS8_10device_ptrIjEEEESD_jNS1_19radix_merge_compareILb0ELb1EjNS0_19identity_decomposerEEEEE10hipError_tT0_T1_T2_jT3_P12ihipStream_tbPNSt15iterator_traitsISI_E10value_typeEPNSO_ISJ_E10value_typeEPSK_NS1_7vsmem_tEENKUlT_SI_SJ_SK_E_clISD_PjSD_S10_EESH_SX_SI_SJ_SK_EUlSX_E1_NS1_11comp_targetILNS1_3genE9ELNS1_11target_archE1100ELNS1_3gpuE3ELNS1_3repE0EEENS1_36merge_oddeven_config_static_selectorELNS0_4arch9wavefront6targetE1EEEvSJ_
		.amdhsa_group_segment_fixed_size 0
		.amdhsa_private_segment_fixed_size 0
		.amdhsa_kernarg_size 48
		.amdhsa_user_sgpr_count 2
		.amdhsa_user_sgpr_dispatch_ptr 0
		.amdhsa_user_sgpr_queue_ptr 0
		.amdhsa_user_sgpr_kernarg_segment_ptr 1
		.amdhsa_user_sgpr_dispatch_id 0
		.amdhsa_user_sgpr_kernarg_preload_length 0
		.amdhsa_user_sgpr_kernarg_preload_offset 0
		.amdhsa_user_sgpr_private_segment_size 0
		.amdhsa_uses_dynamic_stack 0
		.amdhsa_enable_private_segment 0
		.amdhsa_system_sgpr_workgroup_id_x 1
		.amdhsa_system_sgpr_workgroup_id_y 0
		.amdhsa_system_sgpr_workgroup_id_z 0
		.amdhsa_system_sgpr_workgroup_info 0
		.amdhsa_system_vgpr_workitem_id 0
		.amdhsa_next_free_vgpr 1
		.amdhsa_next_free_sgpr 0
		.amdhsa_accum_offset 4
		.amdhsa_reserve_vcc 0
		.amdhsa_float_round_mode_32 0
		.amdhsa_float_round_mode_16_64 0
		.amdhsa_float_denorm_mode_32 3
		.amdhsa_float_denorm_mode_16_64 3
		.amdhsa_dx10_clamp 1
		.amdhsa_ieee_mode 1
		.amdhsa_fp16_overflow 0
		.amdhsa_tg_split 0
		.amdhsa_exception_fp_ieee_invalid_op 0
		.amdhsa_exception_fp_denorm_src 0
		.amdhsa_exception_fp_ieee_div_zero 0
		.amdhsa_exception_fp_ieee_overflow 0
		.amdhsa_exception_fp_ieee_underflow 0
		.amdhsa_exception_fp_ieee_inexact 0
		.amdhsa_exception_int_div_zero 0
	.end_amdhsa_kernel
	.section	.text._ZN7rocprim17ROCPRIM_400000_NS6detail17trampoline_kernelINS0_14default_configENS1_38merge_sort_block_merge_config_selectorIjjEEZZNS1_27merge_sort_block_merge_implIS3_N6thrust23THRUST_200600_302600_NS6detail15normal_iteratorINS8_10device_ptrIjEEEESD_jNS1_19radix_merge_compareILb0ELb1EjNS0_19identity_decomposerEEEEE10hipError_tT0_T1_T2_jT3_P12ihipStream_tbPNSt15iterator_traitsISI_E10value_typeEPNSO_ISJ_E10value_typeEPSK_NS1_7vsmem_tEENKUlT_SI_SJ_SK_E_clISD_PjSD_S10_EESH_SX_SI_SJ_SK_EUlSX_E1_NS1_11comp_targetILNS1_3genE9ELNS1_11target_archE1100ELNS1_3gpuE3ELNS1_3repE0EEENS1_36merge_oddeven_config_static_selectorELNS0_4arch9wavefront6targetE1EEEvSJ_,"axG",@progbits,_ZN7rocprim17ROCPRIM_400000_NS6detail17trampoline_kernelINS0_14default_configENS1_38merge_sort_block_merge_config_selectorIjjEEZZNS1_27merge_sort_block_merge_implIS3_N6thrust23THRUST_200600_302600_NS6detail15normal_iteratorINS8_10device_ptrIjEEEESD_jNS1_19radix_merge_compareILb0ELb1EjNS0_19identity_decomposerEEEEE10hipError_tT0_T1_T2_jT3_P12ihipStream_tbPNSt15iterator_traitsISI_E10value_typeEPNSO_ISJ_E10value_typeEPSK_NS1_7vsmem_tEENKUlT_SI_SJ_SK_E_clISD_PjSD_S10_EESH_SX_SI_SJ_SK_EUlSX_E1_NS1_11comp_targetILNS1_3genE9ELNS1_11target_archE1100ELNS1_3gpuE3ELNS1_3repE0EEENS1_36merge_oddeven_config_static_selectorELNS0_4arch9wavefront6targetE1EEEvSJ_,comdat
.Lfunc_end722:
	.size	_ZN7rocprim17ROCPRIM_400000_NS6detail17trampoline_kernelINS0_14default_configENS1_38merge_sort_block_merge_config_selectorIjjEEZZNS1_27merge_sort_block_merge_implIS3_N6thrust23THRUST_200600_302600_NS6detail15normal_iteratorINS8_10device_ptrIjEEEESD_jNS1_19radix_merge_compareILb0ELb1EjNS0_19identity_decomposerEEEEE10hipError_tT0_T1_T2_jT3_P12ihipStream_tbPNSt15iterator_traitsISI_E10value_typeEPNSO_ISJ_E10value_typeEPSK_NS1_7vsmem_tEENKUlT_SI_SJ_SK_E_clISD_PjSD_S10_EESH_SX_SI_SJ_SK_EUlSX_E1_NS1_11comp_targetILNS1_3genE9ELNS1_11target_archE1100ELNS1_3gpuE3ELNS1_3repE0EEENS1_36merge_oddeven_config_static_selectorELNS0_4arch9wavefront6targetE1EEEvSJ_, .Lfunc_end722-_ZN7rocprim17ROCPRIM_400000_NS6detail17trampoline_kernelINS0_14default_configENS1_38merge_sort_block_merge_config_selectorIjjEEZZNS1_27merge_sort_block_merge_implIS3_N6thrust23THRUST_200600_302600_NS6detail15normal_iteratorINS8_10device_ptrIjEEEESD_jNS1_19radix_merge_compareILb0ELb1EjNS0_19identity_decomposerEEEEE10hipError_tT0_T1_T2_jT3_P12ihipStream_tbPNSt15iterator_traitsISI_E10value_typeEPNSO_ISJ_E10value_typeEPSK_NS1_7vsmem_tEENKUlT_SI_SJ_SK_E_clISD_PjSD_S10_EESH_SX_SI_SJ_SK_EUlSX_E1_NS1_11comp_targetILNS1_3genE9ELNS1_11target_archE1100ELNS1_3gpuE3ELNS1_3repE0EEENS1_36merge_oddeven_config_static_selectorELNS0_4arch9wavefront6targetE1EEEvSJ_
                                        ; -- End function
	.set _ZN7rocprim17ROCPRIM_400000_NS6detail17trampoline_kernelINS0_14default_configENS1_38merge_sort_block_merge_config_selectorIjjEEZZNS1_27merge_sort_block_merge_implIS3_N6thrust23THRUST_200600_302600_NS6detail15normal_iteratorINS8_10device_ptrIjEEEESD_jNS1_19radix_merge_compareILb0ELb1EjNS0_19identity_decomposerEEEEE10hipError_tT0_T1_T2_jT3_P12ihipStream_tbPNSt15iterator_traitsISI_E10value_typeEPNSO_ISJ_E10value_typeEPSK_NS1_7vsmem_tEENKUlT_SI_SJ_SK_E_clISD_PjSD_S10_EESH_SX_SI_SJ_SK_EUlSX_E1_NS1_11comp_targetILNS1_3genE9ELNS1_11target_archE1100ELNS1_3gpuE3ELNS1_3repE0EEENS1_36merge_oddeven_config_static_selectorELNS0_4arch9wavefront6targetE1EEEvSJ_.num_vgpr, 0
	.set _ZN7rocprim17ROCPRIM_400000_NS6detail17trampoline_kernelINS0_14default_configENS1_38merge_sort_block_merge_config_selectorIjjEEZZNS1_27merge_sort_block_merge_implIS3_N6thrust23THRUST_200600_302600_NS6detail15normal_iteratorINS8_10device_ptrIjEEEESD_jNS1_19radix_merge_compareILb0ELb1EjNS0_19identity_decomposerEEEEE10hipError_tT0_T1_T2_jT3_P12ihipStream_tbPNSt15iterator_traitsISI_E10value_typeEPNSO_ISJ_E10value_typeEPSK_NS1_7vsmem_tEENKUlT_SI_SJ_SK_E_clISD_PjSD_S10_EESH_SX_SI_SJ_SK_EUlSX_E1_NS1_11comp_targetILNS1_3genE9ELNS1_11target_archE1100ELNS1_3gpuE3ELNS1_3repE0EEENS1_36merge_oddeven_config_static_selectorELNS0_4arch9wavefront6targetE1EEEvSJ_.num_agpr, 0
	.set _ZN7rocprim17ROCPRIM_400000_NS6detail17trampoline_kernelINS0_14default_configENS1_38merge_sort_block_merge_config_selectorIjjEEZZNS1_27merge_sort_block_merge_implIS3_N6thrust23THRUST_200600_302600_NS6detail15normal_iteratorINS8_10device_ptrIjEEEESD_jNS1_19radix_merge_compareILb0ELb1EjNS0_19identity_decomposerEEEEE10hipError_tT0_T1_T2_jT3_P12ihipStream_tbPNSt15iterator_traitsISI_E10value_typeEPNSO_ISJ_E10value_typeEPSK_NS1_7vsmem_tEENKUlT_SI_SJ_SK_E_clISD_PjSD_S10_EESH_SX_SI_SJ_SK_EUlSX_E1_NS1_11comp_targetILNS1_3genE9ELNS1_11target_archE1100ELNS1_3gpuE3ELNS1_3repE0EEENS1_36merge_oddeven_config_static_selectorELNS0_4arch9wavefront6targetE1EEEvSJ_.numbered_sgpr, 0
	.set _ZN7rocprim17ROCPRIM_400000_NS6detail17trampoline_kernelINS0_14default_configENS1_38merge_sort_block_merge_config_selectorIjjEEZZNS1_27merge_sort_block_merge_implIS3_N6thrust23THRUST_200600_302600_NS6detail15normal_iteratorINS8_10device_ptrIjEEEESD_jNS1_19radix_merge_compareILb0ELb1EjNS0_19identity_decomposerEEEEE10hipError_tT0_T1_T2_jT3_P12ihipStream_tbPNSt15iterator_traitsISI_E10value_typeEPNSO_ISJ_E10value_typeEPSK_NS1_7vsmem_tEENKUlT_SI_SJ_SK_E_clISD_PjSD_S10_EESH_SX_SI_SJ_SK_EUlSX_E1_NS1_11comp_targetILNS1_3genE9ELNS1_11target_archE1100ELNS1_3gpuE3ELNS1_3repE0EEENS1_36merge_oddeven_config_static_selectorELNS0_4arch9wavefront6targetE1EEEvSJ_.num_named_barrier, 0
	.set _ZN7rocprim17ROCPRIM_400000_NS6detail17trampoline_kernelINS0_14default_configENS1_38merge_sort_block_merge_config_selectorIjjEEZZNS1_27merge_sort_block_merge_implIS3_N6thrust23THRUST_200600_302600_NS6detail15normal_iteratorINS8_10device_ptrIjEEEESD_jNS1_19radix_merge_compareILb0ELb1EjNS0_19identity_decomposerEEEEE10hipError_tT0_T1_T2_jT3_P12ihipStream_tbPNSt15iterator_traitsISI_E10value_typeEPNSO_ISJ_E10value_typeEPSK_NS1_7vsmem_tEENKUlT_SI_SJ_SK_E_clISD_PjSD_S10_EESH_SX_SI_SJ_SK_EUlSX_E1_NS1_11comp_targetILNS1_3genE9ELNS1_11target_archE1100ELNS1_3gpuE3ELNS1_3repE0EEENS1_36merge_oddeven_config_static_selectorELNS0_4arch9wavefront6targetE1EEEvSJ_.private_seg_size, 0
	.set _ZN7rocprim17ROCPRIM_400000_NS6detail17trampoline_kernelINS0_14default_configENS1_38merge_sort_block_merge_config_selectorIjjEEZZNS1_27merge_sort_block_merge_implIS3_N6thrust23THRUST_200600_302600_NS6detail15normal_iteratorINS8_10device_ptrIjEEEESD_jNS1_19radix_merge_compareILb0ELb1EjNS0_19identity_decomposerEEEEE10hipError_tT0_T1_T2_jT3_P12ihipStream_tbPNSt15iterator_traitsISI_E10value_typeEPNSO_ISJ_E10value_typeEPSK_NS1_7vsmem_tEENKUlT_SI_SJ_SK_E_clISD_PjSD_S10_EESH_SX_SI_SJ_SK_EUlSX_E1_NS1_11comp_targetILNS1_3genE9ELNS1_11target_archE1100ELNS1_3gpuE3ELNS1_3repE0EEENS1_36merge_oddeven_config_static_selectorELNS0_4arch9wavefront6targetE1EEEvSJ_.uses_vcc, 0
	.set _ZN7rocprim17ROCPRIM_400000_NS6detail17trampoline_kernelINS0_14default_configENS1_38merge_sort_block_merge_config_selectorIjjEEZZNS1_27merge_sort_block_merge_implIS3_N6thrust23THRUST_200600_302600_NS6detail15normal_iteratorINS8_10device_ptrIjEEEESD_jNS1_19radix_merge_compareILb0ELb1EjNS0_19identity_decomposerEEEEE10hipError_tT0_T1_T2_jT3_P12ihipStream_tbPNSt15iterator_traitsISI_E10value_typeEPNSO_ISJ_E10value_typeEPSK_NS1_7vsmem_tEENKUlT_SI_SJ_SK_E_clISD_PjSD_S10_EESH_SX_SI_SJ_SK_EUlSX_E1_NS1_11comp_targetILNS1_3genE9ELNS1_11target_archE1100ELNS1_3gpuE3ELNS1_3repE0EEENS1_36merge_oddeven_config_static_selectorELNS0_4arch9wavefront6targetE1EEEvSJ_.uses_flat_scratch, 0
	.set _ZN7rocprim17ROCPRIM_400000_NS6detail17trampoline_kernelINS0_14default_configENS1_38merge_sort_block_merge_config_selectorIjjEEZZNS1_27merge_sort_block_merge_implIS3_N6thrust23THRUST_200600_302600_NS6detail15normal_iteratorINS8_10device_ptrIjEEEESD_jNS1_19radix_merge_compareILb0ELb1EjNS0_19identity_decomposerEEEEE10hipError_tT0_T1_T2_jT3_P12ihipStream_tbPNSt15iterator_traitsISI_E10value_typeEPNSO_ISJ_E10value_typeEPSK_NS1_7vsmem_tEENKUlT_SI_SJ_SK_E_clISD_PjSD_S10_EESH_SX_SI_SJ_SK_EUlSX_E1_NS1_11comp_targetILNS1_3genE9ELNS1_11target_archE1100ELNS1_3gpuE3ELNS1_3repE0EEENS1_36merge_oddeven_config_static_selectorELNS0_4arch9wavefront6targetE1EEEvSJ_.has_dyn_sized_stack, 0
	.set _ZN7rocprim17ROCPRIM_400000_NS6detail17trampoline_kernelINS0_14default_configENS1_38merge_sort_block_merge_config_selectorIjjEEZZNS1_27merge_sort_block_merge_implIS3_N6thrust23THRUST_200600_302600_NS6detail15normal_iteratorINS8_10device_ptrIjEEEESD_jNS1_19radix_merge_compareILb0ELb1EjNS0_19identity_decomposerEEEEE10hipError_tT0_T1_T2_jT3_P12ihipStream_tbPNSt15iterator_traitsISI_E10value_typeEPNSO_ISJ_E10value_typeEPSK_NS1_7vsmem_tEENKUlT_SI_SJ_SK_E_clISD_PjSD_S10_EESH_SX_SI_SJ_SK_EUlSX_E1_NS1_11comp_targetILNS1_3genE9ELNS1_11target_archE1100ELNS1_3gpuE3ELNS1_3repE0EEENS1_36merge_oddeven_config_static_selectorELNS0_4arch9wavefront6targetE1EEEvSJ_.has_recursion, 0
	.set _ZN7rocprim17ROCPRIM_400000_NS6detail17trampoline_kernelINS0_14default_configENS1_38merge_sort_block_merge_config_selectorIjjEEZZNS1_27merge_sort_block_merge_implIS3_N6thrust23THRUST_200600_302600_NS6detail15normal_iteratorINS8_10device_ptrIjEEEESD_jNS1_19radix_merge_compareILb0ELb1EjNS0_19identity_decomposerEEEEE10hipError_tT0_T1_T2_jT3_P12ihipStream_tbPNSt15iterator_traitsISI_E10value_typeEPNSO_ISJ_E10value_typeEPSK_NS1_7vsmem_tEENKUlT_SI_SJ_SK_E_clISD_PjSD_S10_EESH_SX_SI_SJ_SK_EUlSX_E1_NS1_11comp_targetILNS1_3genE9ELNS1_11target_archE1100ELNS1_3gpuE3ELNS1_3repE0EEENS1_36merge_oddeven_config_static_selectorELNS0_4arch9wavefront6targetE1EEEvSJ_.has_indirect_call, 0
	.section	.AMDGPU.csdata,"",@progbits
; Kernel info:
; codeLenInByte = 0
; TotalNumSgprs: 6
; NumVgprs: 0
; NumAgprs: 0
; TotalNumVgprs: 0
; ScratchSize: 0
; MemoryBound: 0
; FloatMode: 240
; IeeeMode: 1
; LDSByteSize: 0 bytes/workgroup (compile time only)
; SGPRBlocks: 0
; VGPRBlocks: 0
; NumSGPRsForWavesPerEU: 6
; NumVGPRsForWavesPerEU: 1
; AccumOffset: 4
; Occupancy: 8
; WaveLimiterHint : 0
; COMPUTE_PGM_RSRC2:SCRATCH_EN: 0
; COMPUTE_PGM_RSRC2:USER_SGPR: 2
; COMPUTE_PGM_RSRC2:TRAP_HANDLER: 0
; COMPUTE_PGM_RSRC2:TGID_X_EN: 1
; COMPUTE_PGM_RSRC2:TGID_Y_EN: 0
; COMPUTE_PGM_RSRC2:TGID_Z_EN: 0
; COMPUTE_PGM_RSRC2:TIDIG_COMP_CNT: 0
; COMPUTE_PGM_RSRC3_GFX90A:ACCUM_OFFSET: 0
; COMPUTE_PGM_RSRC3_GFX90A:TG_SPLIT: 0
	.section	.text._ZN7rocprim17ROCPRIM_400000_NS6detail17trampoline_kernelINS0_14default_configENS1_38merge_sort_block_merge_config_selectorIjjEEZZNS1_27merge_sort_block_merge_implIS3_N6thrust23THRUST_200600_302600_NS6detail15normal_iteratorINS8_10device_ptrIjEEEESD_jNS1_19radix_merge_compareILb0ELb1EjNS0_19identity_decomposerEEEEE10hipError_tT0_T1_T2_jT3_P12ihipStream_tbPNSt15iterator_traitsISI_E10value_typeEPNSO_ISJ_E10value_typeEPSK_NS1_7vsmem_tEENKUlT_SI_SJ_SK_E_clISD_PjSD_S10_EESH_SX_SI_SJ_SK_EUlSX_E1_NS1_11comp_targetILNS1_3genE8ELNS1_11target_archE1030ELNS1_3gpuE2ELNS1_3repE0EEENS1_36merge_oddeven_config_static_selectorELNS0_4arch9wavefront6targetE1EEEvSJ_,"axG",@progbits,_ZN7rocprim17ROCPRIM_400000_NS6detail17trampoline_kernelINS0_14default_configENS1_38merge_sort_block_merge_config_selectorIjjEEZZNS1_27merge_sort_block_merge_implIS3_N6thrust23THRUST_200600_302600_NS6detail15normal_iteratorINS8_10device_ptrIjEEEESD_jNS1_19radix_merge_compareILb0ELb1EjNS0_19identity_decomposerEEEEE10hipError_tT0_T1_T2_jT3_P12ihipStream_tbPNSt15iterator_traitsISI_E10value_typeEPNSO_ISJ_E10value_typeEPSK_NS1_7vsmem_tEENKUlT_SI_SJ_SK_E_clISD_PjSD_S10_EESH_SX_SI_SJ_SK_EUlSX_E1_NS1_11comp_targetILNS1_3genE8ELNS1_11target_archE1030ELNS1_3gpuE2ELNS1_3repE0EEENS1_36merge_oddeven_config_static_selectorELNS0_4arch9wavefront6targetE1EEEvSJ_,comdat
	.protected	_ZN7rocprim17ROCPRIM_400000_NS6detail17trampoline_kernelINS0_14default_configENS1_38merge_sort_block_merge_config_selectorIjjEEZZNS1_27merge_sort_block_merge_implIS3_N6thrust23THRUST_200600_302600_NS6detail15normal_iteratorINS8_10device_ptrIjEEEESD_jNS1_19radix_merge_compareILb0ELb1EjNS0_19identity_decomposerEEEEE10hipError_tT0_T1_T2_jT3_P12ihipStream_tbPNSt15iterator_traitsISI_E10value_typeEPNSO_ISJ_E10value_typeEPSK_NS1_7vsmem_tEENKUlT_SI_SJ_SK_E_clISD_PjSD_S10_EESH_SX_SI_SJ_SK_EUlSX_E1_NS1_11comp_targetILNS1_3genE8ELNS1_11target_archE1030ELNS1_3gpuE2ELNS1_3repE0EEENS1_36merge_oddeven_config_static_selectorELNS0_4arch9wavefront6targetE1EEEvSJ_ ; -- Begin function _ZN7rocprim17ROCPRIM_400000_NS6detail17trampoline_kernelINS0_14default_configENS1_38merge_sort_block_merge_config_selectorIjjEEZZNS1_27merge_sort_block_merge_implIS3_N6thrust23THRUST_200600_302600_NS6detail15normal_iteratorINS8_10device_ptrIjEEEESD_jNS1_19radix_merge_compareILb0ELb1EjNS0_19identity_decomposerEEEEE10hipError_tT0_T1_T2_jT3_P12ihipStream_tbPNSt15iterator_traitsISI_E10value_typeEPNSO_ISJ_E10value_typeEPSK_NS1_7vsmem_tEENKUlT_SI_SJ_SK_E_clISD_PjSD_S10_EESH_SX_SI_SJ_SK_EUlSX_E1_NS1_11comp_targetILNS1_3genE8ELNS1_11target_archE1030ELNS1_3gpuE2ELNS1_3repE0EEENS1_36merge_oddeven_config_static_selectorELNS0_4arch9wavefront6targetE1EEEvSJ_
	.globl	_ZN7rocprim17ROCPRIM_400000_NS6detail17trampoline_kernelINS0_14default_configENS1_38merge_sort_block_merge_config_selectorIjjEEZZNS1_27merge_sort_block_merge_implIS3_N6thrust23THRUST_200600_302600_NS6detail15normal_iteratorINS8_10device_ptrIjEEEESD_jNS1_19radix_merge_compareILb0ELb1EjNS0_19identity_decomposerEEEEE10hipError_tT0_T1_T2_jT3_P12ihipStream_tbPNSt15iterator_traitsISI_E10value_typeEPNSO_ISJ_E10value_typeEPSK_NS1_7vsmem_tEENKUlT_SI_SJ_SK_E_clISD_PjSD_S10_EESH_SX_SI_SJ_SK_EUlSX_E1_NS1_11comp_targetILNS1_3genE8ELNS1_11target_archE1030ELNS1_3gpuE2ELNS1_3repE0EEENS1_36merge_oddeven_config_static_selectorELNS0_4arch9wavefront6targetE1EEEvSJ_
	.p2align	8
	.type	_ZN7rocprim17ROCPRIM_400000_NS6detail17trampoline_kernelINS0_14default_configENS1_38merge_sort_block_merge_config_selectorIjjEEZZNS1_27merge_sort_block_merge_implIS3_N6thrust23THRUST_200600_302600_NS6detail15normal_iteratorINS8_10device_ptrIjEEEESD_jNS1_19radix_merge_compareILb0ELb1EjNS0_19identity_decomposerEEEEE10hipError_tT0_T1_T2_jT3_P12ihipStream_tbPNSt15iterator_traitsISI_E10value_typeEPNSO_ISJ_E10value_typeEPSK_NS1_7vsmem_tEENKUlT_SI_SJ_SK_E_clISD_PjSD_S10_EESH_SX_SI_SJ_SK_EUlSX_E1_NS1_11comp_targetILNS1_3genE8ELNS1_11target_archE1030ELNS1_3gpuE2ELNS1_3repE0EEENS1_36merge_oddeven_config_static_selectorELNS0_4arch9wavefront6targetE1EEEvSJ_,@function
_ZN7rocprim17ROCPRIM_400000_NS6detail17trampoline_kernelINS0_14default_configENS1_38merge_sort_block_merge_config_selectorIjjEEZZNS1_27merge_sort_block_merge_implIS3_N6thrust23THRUST_200600_302600_NS6detail15normal_iteratorINS8_10device_ptrIjEEEESD_jNS1_19radix_merge_compareILb0ELb1EjNS0_19identity_decomposerEEEEE10hipError_tT0_T1_T2_jT3_P12ihipStream_tbPNSt15iterator_traitsISI_E10value_typeEPNSO_ISJ_E10value_typeEPSK_NS1_7vsmem_tEENKUlT_SI_SJ_SK_E_clISD_PjSD_S10_EESH_SX_SI_SJ_SK_EUlSX_E1_NS1_11comp_targetILNS1_3genE8ELNS1_11target_archE1030ELNS1_3gpuE2ELNS1_3repE0EEENS1_36merge_oddeven_config_static_selectorELNS0_4arch9wavefront6targetE1EEEvSJ_: ; @_ZN7rocprim17ROCPRIM_400000_NS6detail17trampoline_kernelINS0_14default_configENS1_38merge_sort_block_merge_config_selectorIjjEEZZNS1_27merge_sort_block_merge_implIS3_N6thrust23THRUST_200600_302600_NS6detail15normal_iteratorINS8_10device_ptrIjEEEESD_jNS1_19radix_merge_compareILb0ELb1EjNS0_19identity_decomposerEEEEE10hipError_tT0_T1_T2_jT3_P12ihipStream_tbPNSt15iterator_traitsISI_E10value_typeEPNSO_ISJ_E10value_typeEPSK_NS1_7vsmem_tEENKUlT_SI_SJ_SK_E_clISD_PjSD_S10_EESH_SX_SI_SJ_SK_EUlSX_E1_NS1_11comp_targetILNS1_3genE8ELNS1_11target_archE1030ELNS1_3gpuE2ELNS1_3repE0EEENS1_36merge_oddeven_config_static_selectorELNS0_4arch9wavefront6targetE1EEEvSJ_
; %bb.0:
	.section	.rodata,"a",@progbits
	.p2align	6, 0x0
	.amdhsa_kernel _ZN7rocprim17ROCPRIM_400000_NS6detail17trampoline_kernelINS0_14default_configENS1_38merge_sort_block_merge_config_selectorIjjEEZZNS1_27merge_sort_block_merge_implIS3_N6thrust23THRUST_200600_302600_NS6detail15normal_iteratorINS8_10device_ptrIjEEEESD_jNS1_19radix_merge_compareILb0ELb1EjNS0_19identity_decomposerEEEEE10hipError_tT0_T1_T2_jT3_P12ihipStream_tbPNSt15iterator_traitsISI_E10value_typeEPNSO_ISJ_E10value_typeEPSK_NS1_7vsmem_tEENKUlT_SI_SJ_SK_E_clISD_PjSD_S10_EESH_SX_SI_SJ_SK_EUlSX_E1_NS1_11comp_targetILNS1_3genE8ELNS1_11target_archE1030ELNS1_3gpuE2ELNS1_3repE0EEENS1_36merge_oddeven_config_static_selectorELNS0_4arch9wavefront6targetE1EEEvSJ_
		.amdhsa_group_segment_fixed_size 0
		.amdhsa_private_segment_fixed_size 0
		.amdhsa_kernarg_size 48
		.amdhsa_user_sgpr_count 2
		.amdhsa_user_sgpr_dispatch_ptr 0
		.amdhsa_user_sgpr_queue_ptr 0
		.amdhsa_user_sgpr_kernarg_segment_ptr 1
		.amdhsa_user_sgpr_dispatch_id 0
		.amdhsa_user_sgpr_kernarg_preload_length 0
		.amdhsa_user_sgpr_kernarg_preload_offset 0
		.amdhsa_user_sgpr_private_segment_size 0
		.amdhsa_uses_dynamic_stack 0
		.amdhsa_enable_private_segment 0
		.amdhsa_system_sgpr_workgroup_id_x 1
		.amdhsa_system_sgpr_workgroup_id_y 0
		.amdhsa_system_sgpr_workgroup_id_z 0
		.amdhsa_system_sgpr_workgroup_info 0
		.amdhsa_system_vgpr_workitem_id 0
		.amdhsa_next_free_vgpr 1
		.amdhsa_next_free_sgpr 0
		.amdhsa_accum_offset 4
		.amdhsa_reserve_vcc 0
		.amdhsa_float_round_mode_32 0
		.amdhsa_float_round_mode_16_64 0
		.amdhsa_float_denorm_mode_32 3
		.amdhsa_float_denorm_mode_16_64 3
		.amdhsa_dx10_clamp 1
		.amdhsa_ieee_mode 1
		.amdhsa_fp16_overflow 0
		.amdhsa_tg_split 0
		.amdhsa_exception_fp_ieee_invalid_op 0
		.amdhsa_exception_fp_denorm_src 0
		.amdhsa_exception_fp_ieee_div_zero 0
		.amdhsa_exception_fp_ieee_overflow 0
		.amdhsa_exception_fp_ieee_underflow 0
		.amdhsa_exception_fp_ieee_inexact 0
		.amdhsa_exception_int_div_zero 0
	.end_amdhsa_kernel
	.section	.text._ZN7rocprim17ROCPRIM_400000_NS6detail17trampoline_kernelINS0_14default_configENS1_38merge_sort_block_merge_config_selectorIjjEEZZNS1_27merge_sort_block_merge_implIS3_N6thrust23THRUST_200600_302600_NS6detail15normal_iteratorINS8_10device_ptrIjEEEESD_jNS1_19radix_merge_compareILb0ELb1EjNS0_19identity_decomposerEEEEE10hipError_tT0_T1_T2_jT3_P12ihipStream_tbPNSt15iterator_traitsISI_E10value_typeEPNSO_ISJ_E10value_typeEPSK_NS1_7vsmem_tEENKUlT_SI_SJ_SK_E_clISD_PjSD_S10_EESH_SX_SI_SJ_SK_EUlSX_E1_NS1_11comp_targetILNS1_3genE8ELNS1_11target_archE1030ELNS1_3gpuE2ELNS1_3repE0EEENS1_36merge_oddeven_config_static_selectorELNS0_4arch9wavefront6targetE1EEEvSJ_,"axG",@progbits,_ZN7rocprim17ROCPRIM_400000_NS6detail17trampoline_kernelINS0_14default_configENS1_38merge_sort_block_merge_config_selectorIjjEEZZNS1_27merge_sort_block_merge_implIS3_N6thrust23THRUST_200600_302600_NS6detail15normal_iteratorINS8_10device_ptrIjEEEESD_jNS1_19radix_merge_compareILb0ELb1EjNS0_19identity_decomposerEEEEE10hipError_tT0_T1_T2_jT3_P12ihipStream_tbPNSt15iterator_traitsISI_E10value_typeEPNSO_ISJ_E10value_typeEPSK_NS1_7vsmem_tEENKUlT_SI_SJ_SK_E_clISD_PjSD_S10_EESH_SX_SI_SJ_SK_EUlSX_E1_NS1_11comp_targetILNS1_3genE8ELNS1_11target_archE1030ELNS1_3gpuE2ELNS1_3repE0EEENS1_36merge_oddeven_config_static_selectorELNS0_4arch9wavefront6targetE1EEEvSJ_,comdat
.Lfunc_end723:
	.size	_ZN7rocprim17ROCPRIM_400000_NS6detail17trampoline_kernelINS0_14default_configENS1_38merge_sort_block_merge_config_selectorIjjEEZZNS1_27merge_sort_block_merge_implIS3_N6thrust23THRUST_200600_302600_NS6detail15normal_iteratorINS8_10device_ptrIjEEEESD_jNS1_19radix_merge_compareILb0ELb1EjNS0_19identity_decomposerEEEEE10hipError_tT0_T1_T2_jT3_P12ihipStream_tbPNSt15iterator_traitsISI_E10value_typeEPNSO_ISJ_E10value_typeEPSK_NS1_7vsmem_tEENKUlT_SI_SJ_SK_E_clISD_PjSD_S10_EESH_SX_SI_SJ_SK_EUlSX_E1_NS1_11comp_targetILNS1_3genE8ELNS1_11target_archE1030ELNS1_3gpuE2ELNS1_3repE0EEENS1_36merge_oddeven_config_static_selectorELNS0_4arch9wavefront6targetE1EEEvSJ_, .Lfunc_end723-_ZN7rocprim17ROCPRIM_400000_NS6detail17trampoline_kernelINS0_14default_configENS1_38merge_sort_block_merge_config_selectorIjjEEZZNS1_27merge_sort_block_merge_implIS3_N6thrust23THRUST_200600_302600_NS6detail15normal_iteratorINS8_10device_ptrIjEEEESD_jNS1_19radix_merge_compareILb0ELb1EjNS0_19identity_decomposerEEEEE10hipError_tT0_T1_T2_jT3_P12ihipStream_tbPNSt15iterator_traitsISI_E10value_typeEPNSO_ISJ_E10value_typeEPSK_NS1_7vsmem_tEENKUlT_SI_SJ_SK_E_clISD_PjSD_S10_EESH_SX_SI_SJ_SK_EUlSX_E1_NS1_11comp_targetILNS1_3genE8ELNS1_11target_archE1030ELNS1_3gpuE2ELNS1_3repE0EEENS1_36merge_oddeven_config_static_selectorELNS0_4arch9wavefront6targetE1EEEvSJ_
                                        ; -- End function
	.set _ZN7rocprim17ROCPRIM_400000_NS6detail17trampoline_kernelINS0_14default_configENS1_38merge_sort_block_merge_config_selectorIjjEEZZNS1_27merge_sort_block_merge_implIS3_N6thrust23THRUST_200600_302600_NS6detail15normal_iteratorINS8_10device_ptrIjEEEESD_jNS1_19radix_merge_compareILb0ELb1EjNS0_19identity_decomposerEEEEE10hipError_tT0_T1_T2_jT3_P12ihipStream_tbPNSt15iterator_traitsISI_E10value_typeEPNSO_ISJ_E10value_typeEPSK_NS1_7vsmem_tEENKUlT_SI_SJ_SK_E_clISD_PjSD_S10_EESH_SX_SI_SJ_SK_EUlSX_E1_NS1_11comp_targetILNS1_3genE8ELNS1_11target_archE1030ELNS1_3gpuE2ELNS1_3repE0EEENS1_36merge_oddeven_config_static_selectorELNS0_4arch9wavefront6targetE1EEEvSJ_.num_vgpr, 0
	.set _ZN7rocprim17ROCPRIM_400000_NS6detail17trampoline_kernelINS0_14default_configENS1_38merge_sort_block_merge_config_selectorIjjEEZZNS1_27merge_sort_block_merge_implIS3_N6thrust23THRUST_200600_302600_NS6detail15normal_iteratorINS8_10device_ptrIjEEEESD_jNS1_19radix_merge_compareILb0ELb1EjNS0_19identity_decomposerEEEEE10hipError_tT0_T1_T2_jT3_P12ihipStream_tbPNSt15iterator_traitsISI_E10value_typeEPNSO_ISJ_E10value_typeEPSK_NS1_7vsmem_tEENKUlT_SI_SJ_SK_E_clISD_PjSD_S10_EESH_SX_SI_SJ_SK_EUlSX_E1_NS1_11comp_targetILNS1_3genE8ELNS1_11target_archE1030ELNS1_3gpuE2ELNS1_3repE0EEENS1_36merge_oddeven_config_static_selectorELNS0_4arch9wavefront6targetE1EEEvSJ_.num_agpr, 0
	.set _ZN7rocprim17ROCPRIM_400000_NS6detail17trampoline_kernelINS0_14default_configENS1_38merge_sort_block_merge_config_selectorIjjEEZZNS1_27merge_sort_block_merge_implIS3_N6thrust23THRUST_200600_302600_NS6detail15normal_iteratorINS8_10device_ptrIjEEEESD_jNS1_19radix_merge_compareILb0ELb1EjNS0_19identity_decomposerEEEEE10hipError_tT0_T1_T2_jT3_P12ihipStream_tbPNSt15iterator_traitsISI_E10value_typeEPNSO_ISJ_E10value_typeEPSK_NS1_7vsmem_tEENKUlT_SI_SJ_SK_E_clISD_PjSD_S10_EESH_SX_SI_SJ_SK_EUlSX_E1_NS1_11comp_targetILNS1_3genE8ELNS1_11target_archE1030ELNS1_3gpuE2ELNS1_3repE0EEENS1_36merge_oddeven_config_static_selectorELNS0_4arch9wavefront6targetE1EEEvSJ_.numbered_sgpr, 0
	.set _ZN7rocprim17ROCPRIM_400000_NS6detail17trampoline_kernelINS0_14default_configENS1_38merge_sort_block_merge_config_selectorIjjEEZZNS1_27merge_sort_block_merge_implIS3_N6thrust23THRUST_200600_302600_NS6detail15normal_iteratorINS8_10device_ptrIjEEEESD_jNS1_19radix_merge_compareILb0ELb1EjNS0_19identity_decomposerEEEEE10hipError_tT0_T1_T2_jT3_P12ihipStream_tbPNSt15iterator_traitsISI_E10value_typeEPNSO_ISJ_E10value_typeEPSK_NS1_7vsmem_tEENKUlT_SI_SJ_SK_E_clISD_PjSD_S10_EESH_SX_SI_SJ_SK_EUlSX_E1_NS1_11comp_targetILNS1_3genE8ELNS1_11target_archE1030ELNS1_3gpuE2ELNS1_3repE0EEENS1_36merge_oddeven_config_static_selectorELNS0_4arch9wavefront6targetE1EEEvSJ_.num_named_barrier, 0
	.set _ZN7rocprim17ROCPRIM_400000_NS6detail17trampoline_kernelINS0_14default_configENS1_38merge_sort_block_merge_config_selectorIjjEEZZNS1_27merge_sort_block_merge_implIS3_N6thrust23THRUST_200600_302600_NS6detail15normal_iteratorINS8_10device_ptrIjEEEESD_jNS1_19radix_merge_compareILb0ELb1EjNS0_19identity_decomposerEEEEE10hipError_tT0_T1_T2_jT3_P12ihipStream_tbPNSt15iterator_traitsISI_E10value_typeEPNSO_ISJ_E10value_typeEPSK_NS1_7vsmem_tEENKUlT_SI_SJ_SK_E_clISD_PjSD_S10_EESH_SX_SI_SJ_SK_EUlSX_E1_NS1_11comp_targetILNS1_3genE8ELNS1_11target_archE1030ELNS1_3gpuE2ELNS1_3repE0EEENS1_36merge_oddeven_config_static_selectorELNS0_4arch9wavefront6targetE1EEEvSJ_.private_seg_size, 0
	.set _ZN7rocprim17ROCPRIM_400000_NS6detail17trampoline_kernelINS0_14default_configENS1_38merge_sort_block_merge_config_selectorIjjEEZZNS1_27merge_sort_block_merge_implIS3_N6thrust23THRUST_200600_302600_NS6detail15normal_iteratorINS8_10device_ptrIjEEEESD_jNS1_19radix_merge_compareILb0ELb1EjNS0_19identity_decomposerEEEEE10hipError_tT0_T1_T2_jT3_P12ihipStream_tbPNSt15iterator_traitsISI_E10value_typeEPNSO_ISJ_E10value_typeEPSK_NS1_7vsmem_tEENKUlT_SI_SJ_SK_E_clISD_PjSD_S10_EESH_SX_SI_SJ_SK_EUlSX_E1_NS1_11comp_targetILNS1_3genE8ELNS1_11target_archE1030ELNS1_3gpuE2ELNS1_3repE0EEENS1_36merge_oddeven_config_static_selectorELNS0_4arch9wavefront6targetE1EEEvSJ_.uses_vcc, 0
	.set _ZN7rocprim17ROCPRIM_400000_NS6detail17trampoline_kernelINS0_14default_configENS1_38merge_sort_block_merge_config_selectorIjjEEZZNS1_27merge_sort_block_merge_implIS3_N6thrust23THRUST_200600_302600_NS6detail15normal_iteratorINS8_10device_ptrIjEEEESD_jNS1_19radix_merge_compareILb0ELb1EjNS0_19identity_decomposerEEEEE10hipError_tT0_T1_T2_jT3_P12ihipStream_tbPNSt15iterator_traitsISI_E10value_typeEPNSO_ISJ_E10value_typeEPSK_NS1_7vsmem_tEENKUlT_SI_SJ_SK_E_clISD_PjSD_S10_EESH_SX_SI_SJ_SK_EUlSX_E1_NS1_11comp_targetILNS1_3genE8ELNS1_11target_archE1030ELNS1_3gpuE2ELNS1_3repE0EEENS1_36merge_oddeven_config_static_selectorELNS0_4arch9wavefront6targetE1EEEvSJ_.uses_flat_scratch, 0
	.set _ZN7rocprim17ROCPRIM_400000_NS6detail17trampoline_kernelINS0_14default_configENS1_38merge_sort_block_merge_config_selectorIjjEEZZNS1_27merge_sort_block_merge_implIS3_N6thrust23THRUST_200600_302600_NS6detail15normal_iteratorINS8_10device_ptrIjEEEESD_jNS1_19radix_merge_compareILb0ELb1EjNS0_19identity_decomposerEEEEE10hipError_tT0_T1_T2_jT3_P12ihipStream_tbPNSt15iterator_traitsISI_E10value_typeEPNSO_ISJ_E10value_typeEPSK_NS1_7vsmem_tEENKUlT_SI_SJ_SK_E_clISD_PjSD_S10_EESH_SX_SI_SJ_SK_EUlSX_E1_NS1_11comp_targetILNS1_3genE8ELNS1_11target_archE1030ELNS1_3gpuE2ELNS1_3repE0EEENS1_36merge_oddeven_config_static_selectorELNS0_4arch9wavefront6targetE1EEEvSJ_.has_dyn_sized_stack, 0
	.set _ZN7rocprim17ROCPRIM_400000_NS6detail17trampoline_kernelINS0_14default_configENS1_38merge_sort_block_merge_config_selectorIjjEEZZNS1_27merge_sort_block_merge_implIS3_N6thrust23THRUST_200600_302600_NS6detail15normal_iteratorINS8_10device_ptrIjEEEESD_jNS1_19radix_merge_compareILb0ELb1EjNS0_19identity_decomposerEEEEE10hipError_tT0_T1_T2_jT3_P12ihipStream_tbPNSt15iterator_traitsISI_E10value_typeEPNSO_ISJ_E10value_typeEPSK_NS1_7vsmem_tEENKUlT_SI_SJ_SK_E_clISD_PjSD_S10_EESH_SX_SI_SJ_SK_EUlSX_E1_NS1_11comp_targetILNS1_3genE8ELNS1_11target_archE1030ELNS1_3gpuE2ELNS1_3repE0EEENS1_36merge_oddeven_config_static_selectorELNS0_4arch9wavefront6targetE1EEEvSJ_.has_recursion, 0
	.set _ZN7rocprim17ROCPRIM_400000_NS6detail17trampoline_kernelINS0_14default_configENS1_38merge_sort_block_merge_config_selectorIjjEEZZNS1_27merge_sort_block_merge_implIS3_N6thrust23THRUST_200600_302600_NS6detail15normal_iteratorINS8_10device_ptrIjEEEESD_jNS1_19radix_merge_compareILb0ELb1EjNS0_19identity_decomposerEEEEE10hipError_tT0_T1_T2_jT3_P12ihipStream_tbPNSt15iterator_traitsISI_E10value_typeEPNSO_ISJ_E10value_typeEPSK_NS1_7vsmem_tEENKUlT_SI_SJ_SK_E_clISD_PjSD_S10_EESH_SX_SI_SJ_SK_EUlSX_E1_NS1_11comp_targetILNS1_3genE8ELNS1_11target_archE1030ELNS1_3gpuE2ELNS1_3repE0EEENS1_36merge_oddeven_config_static_selectorELNS0_4arch9wavefront6targetE1EEEvSJ_.has_indirect_call, 0
	.section	.AMDGPU.csdata,"",@progbits
; Kernel info:
; codeLenInByte = 0
; TotalNumSgprs: 6
; NumVgprs: 0
; NumAgprs: 0
; TotalNumVgprs: 0
; ScratchSize: 0
; MemoryBound: 0
; FloatMode: 240
; IeeeMode: 1
; LDSByteSize: 0 bytes/workgroup (compile time only)
; SGPRBlocks: 0
; VGPRBlocks: 0
; NumSGPRsForWavesPerEU: 6
; NumVGPRsForWavesPerEU: 1
; AccumOffset: 4
; Occupancy: 8
; WaveLimiterHint : 0
; COMPUTE_PGM_RSRC2:SCRATCH_EN: 0
; COMPUTE_PGM_RSRC2:USER_SGPR: 2
; COMPUTE_PGM_RSRC2:TRAP_HANDLER: 0
; COMPUTE_PGM_RSRC2:TGID_X_EN: 1
; COMPUTE_PGM_RSRC2:TGID_Y_EN: 0
; COMPUTE_PGM_RSRC2:TGID_Z_EN: 0
; COMPUTE_PGM_RSRC2:TIDIG_COMP_CNT: 0
; COMPUTE_PGM_RSRC3_GFX90A:ACCUM_OFFSET: 0
; COMPUTE_PGM_RSRC3_GFX90A:TG_SPLIT: 0
	.section	.text._ZN7rocprim17ROCPRIM_400000_NS6detail17trampoline_kernelINS0_14default_configENS1_35radix_sort_onesweep_config_selectorIjjEEZNS1_34radix_sort_onesweep_global_offsetsIS3_Lb0EN6thrust23THRUST_200600_302600_NS6detail15normal_iteratorINS8_10device_ptrIjEEEESD_jNS0_19identity_decomposerEEE10hipError_tT1_T2_PT3_SI_jT4_jjP12ihipStream_tbEUlT_E_NS1_11comp_targetILNS1_3genE0ELNS1_11target_archE4294967295ELNS1_3gpuE0ELNS1_3repE0EEENS1_52radix_sort_onesweep_histogram_config_static_selectorELNS0_4arch9wavefront6targetE1EEEvSG_,"axG",@progbits,_ZN7rocprim17ROCPRIM_400000_NS6detail17trampoline_kernelINS0_14default_configENS1_35radix_sort_onesweep_config_selectorIjjEEZNS1_34radix_sort_onesweep_global_offsetsIS3_Lb0EN6thrust23THRUST_200600_302600_NS6detail15normal_iteratorINS8_10device_ptrIjEEEESD_jNS0_19identity_decomposerEEE10hipError_tT1_T2_PT3_SI_jT4_jjP12ihipStream_tbEUlT_E_NS1_11comp_targetILNS1_3genE0ELNS1_11target_archE4294967295ELNS1_3gpuE0ELNS1_3repE0EEENS1_52radix_sort_onesweep_histogram_config_static_selectorELNS0_4arch9wavefront6targetE1EEEvSG_,comdat
	.protected	_ZN7rocprim17ROCPRIM_400000_NS6detail17trampoline_kernelINS0_14default_configENS1_35radix_sort_onesweep_config_selectorIjjEEZNS1_34radix_sort_onesweep_global_offsetsIS3_Lb0EN6thrust23THRUST_200600_302600_NS6detail15normal_iteratorINS8_10device_ptrIjEEEESD_jNS0_19identity_decomposerEEE10hipError_tT1_T2_PT3_SI_jT4_jjP12ihipStream_tbEUlT_E_NS1_11comp_targetILNS1_3genE0ELNS1_11target_archE4294967295ELNS1_3gpuE0ELNS1_3repE0EEENS1_52radix_sort_onesweep_histogram_config_static_selectorELNS0_4arch9wavefront6targetE1EEEvSG_ ; -- Begin function _ZN7rocprim17ROCPRIM_400000_NS6detail17trampoline_kernelINS0_14default_configENS1_35radix_sort_onesweep_config_selectorIjjEEZNS1_34radix_sort_onesweep_global_offsetsIS3_Lb0EN6thrust23THRUST_200600_302600_NS6detail15normal_iteratorINS8_10device_ptrIjEEEESD_jNS0_19identity_decomposerEEE10hipError_tT1_T2_PT3_SI_jT4_jjP12ihipStream_tbEUlT_E_NS1_11comp_targetILNS1_3genE0ELNS1_11target_archE4294967295ELNS1_3gpuE0ELNS1_3repE0EEENS1_52radix_sort_onesweep_histogram_config_static_selectorELNS0_4arch9wavefront6targetE1EEEvSG_
	.globl	_ZN7rocprim17ROCPRIM_400000_NS6detail17trampoline_kernelINS0_14default_configENS1_35radix_sort_onesweep_config_selectorIjjEEZNS1_34radix_sort_onesweep_global_offsetsIS3_Lb0EN6thrust23THRUST_200600_302600_NS6detail15normal_iteratorINS8_10device_ptrIjEEEESD_jNS0_19identity_decomposerEEE10hipError_tT1_T2_PT3_SI_jT4_jjP12ihipStream_tbEUlT_E_NS1_11comp_targetILNS1_3genE0ELNS1_11target_archE4294967295ELNS1_3gpuE0ELNS1_3repE0EEENS1_52radix_sort_onesweep_histogram_config_static_selectorELNS0_4arch9wavefront6targetE1EEEvSG_
	.p2align	8
	.type	_ZN7rocprim17ROCPRIM_400000_NS6detail17trampoline_kernelINS0_14default_configENS1_35radix_sort_onesweep_config_selectorIjjEEZNS1_34radix_sort_onesweep_global_offsetsIS3_Lb0EN6thrust23THRUST_200600_302600_NS6detail15normal_iteratorINS8_10device_ptrIjEEEESD_jNS0_19identity_decomposerEEE10hipError_tT1_T2_PT3_SI_jT4_jjP12ihipStream_tbEUlT_E_NS1_11comp_targetILNS1_3genE0ELNS1_11target_archE4294967295ELNS1_3gpuE0ELNS1_3repE0EEENS1_52radix_sort_onesweep_histogram_config_static_selectorELNS0_4arch9wavefront6targetE1EEEvSG_,@function
_ZN7rocprim17ROCPRIM_400000_NS6detail17trampoline_kernelINS0_14default_configENS1_35radix_sort_onesweep_config_selectorIjjEEZNS1_34radix_sort_onesweep_global_offsetsIS3_Lb0EN6thrust23THRUST_200600_302600_NS6detail15normal_iteratorINS8_10device_ptrIjEEEESD_jNS0_19identity_decomposerEEE10hipError_tT1_T2_PT3_SI_jT4_jjP12ihipStream_tbEUlT_E_NS1_11comp_targetILNS1_3genE0ELNS1_11target_archE4294967295ELNS1_3gpuE0ELNS1_3repE0EEENS1_52radix_sort_onesweep_histogram_config_static_selectorELNS0_4arch9wavefront6targetE1EEEvSG_: ; @_ZN7rocprim17ROCPRIM_400000_NS6detail17trampoline_kernelINS0_14default_configENS1_35radix_sort_onesweep_config_selectorIjjEEZNS1_34radix_sort_onesweep_global_offsetsIS3_Lb0EN6thrust23THRUST_200600_302600_NS6detail15normal_iteratorINS8_10device_ptrIjEEEESD_jNS0_19identity_decomposerEEE10hipError_tT1_T2_PT3_SI_jT4_jjP12ihipStream_tbEUlT_E_NS1_11comp_targetILNS1_3genE0ELNS1_11target_archE4294967295ELNS1_3gpuE0ELNS1_3repE0EEENS1_52radix_sort_onesweep_histogram_config_static_selectorELNS0_4arch9wavefront6targetE1EEEvSG_
; %bb.0:
	.section	.rodata,"a",@progbits
	.p2align	6, 0x0
	.amdhsa_kernel _ZN7rocprim17ROCPRIM_400000_NS6detail17trampoline_kernelINS0_14default_configENS1_35radix_sort_onesweep_config_selectorIjjEEZNS1_34radix_sort_onesweep_global_offsetsIS3_Lb0EN6thrust23THRUST_200600_302600_NS6detail15normal_iteratorINS8_10device_ptrIjEEEESD_jNS0_19identity_decomposerEEE10hipError_tT1_T2_PT3_SI_jT4_jjP12ihipStream_tbEUlT_E_NS1_11comp_targetILNS1_3genE0ELNS1_11target_archE4294967295ELNS1_3gpuE0ELNS1_3repE0EEENS1_52radix_sort_onesweep_histogram_config_static_selectorELNS0_4arch9wavefront6targetE1EEEvSG_
		.amdhsa_group_segment_fixed_size 0
		.amdhsa_private_segment_fixed_size 0
		.amdhsa_kernarg_size 40
		.amdhsa_user_sgpr_count 2
		.amdhsa_user_sgpr_dispatch_ptr 0
		.amdhsa_user_sgpr_queue_ptr 0
		.amdhsa_user_sgpr_kernarg_segment_ptr 1
		.amdhsa_user_sgpr_dispatch_id 0
		.amdhsa_user_sgpr_kernarg_preload_length 0
		.amdhsa_user_sgpr_kernarg_preload_offset 0
		.amdhsa_user_sgpr_private_segment_size 0
		.amdhsa_uses_dynamic_stack 0
		.amdhsa_enable_private_segment 0
		.amdhsa_system_sgpr_workgroup_id_x 1
		.amdhsa_system_sgpr_workgroup_id_y 0
		.amdhsa_system_sgpr_workgroup_id_z 0
		.amdhsa_system_sgpr_workgroup_info 0
		.amdhsa_system_vgpr_workitem_id 0
		.amdhsa_next_free_vgpr 1
		.amdhsa_next_free_sgpr 0
		.amdhsa_accum_offset 4
		.amdhsa_reserve_vcc 0
		.amdhsa_float_round_mode_32 0
		.amdhsa_float_round_mode_16_64 0
		.amdhsa_float_denorm_mode_32 3
		.amdhsa_float_denorm_mode_16_64 3
		.amdhsa_dx10_clamp 1
		.amdhsa_ieee_mode 1
		.amdhsa_fp16_overflow 0
		.amdhsa_tg_split 0
		.amdhsa_exception_fp_ieee_invalid_op 0
		.amdhsa_exception_fp_denorm_src 0
		.amdhsa_exception_fp_ieee_div_zero 0
		.amdhsa_exception_fp_ieee_overflow 0
		.amdhsa_exception_fp_ieee_underflow 0
		.amdhsa_exception_fp_ieee_inexact 0
		.amdhsa_exception_int_div_zero 0
	.end_amdhsa_kernel
	.section	.text._ZN7rocprim17ROCPRIM_400000_NS6detail17trampoline_kernelINS0_14default_configENS1_35radix_sort_onesweep_config_selectorIjjEEZNS1_34radix_sort_onesweep_global_offsetsIS3_Lb0EN6thrust23THRUST_200600_302600_NS6detail15normal_iteratorINS8_10device_ptrIjEEEESD_jNS0_19identity_decomposerEEE10hipError_tT1_T2_PT3_SI_jT4_jjP12ihipStream_tbEUlT_E_NS1_11comp_targetILNS1_3genE0ELNS1_11target_archE4294967295ELNS1_3gpuE0ELNS1_3repE0EEENS1_52radix_sort_onesweep_histogram_config_static_selectorELNS0_4arch9wavefront6targetE1EEEvSG_,"axG",@progbits,_ZN7rocprim17ROCPRIM_400000_NS6detail17trampoline_kernelINS0_14default_configENS1_35radix_sort_onesweep_config_selectorIjjEEZNS1_34radix_sort_onesweep_global_offsetsIS3_Lb0EN6thrust23THRUST_200600_302600_NS6detail15normal_iteratorINS8_10device_ptrIjEEEESD_jNS0_19identity_decomposerEEE10hipError_tT1_T2_PT3_SI_jT4_jjP12ihipStream_tbEUlT_E_NS1_11comp_targetILNS1_3genE0ELNS1_11target_archE4294967295ELNS1_3gpuE0ELNS1_3repE0EEENS1_52radix_sort_onesweep_histogram_config_static_selectorELNS0_4arch9wavefront6targetE1EEEvSG_,comdat
.Lfunc_end724:
	.size	_ZN7rocprim17ROCPRIM_400000_NS6detail17trampoline_kernelINS0_14default_configENS1_35radix_sort_onesweep_config_selectorIjjEEZNS1_34radix_sort_onesweep_global_offsetsIS3_Lb0EN6thrust23THRUST_200600_302600_NS6detail15normal_iteratorINS8_10device_ptrIjEEEESD_jNS0_19identity_decomposerEEE10hipError_tT1_T2_PT3_SI_jT4_jjP12ihipStream_tbEUlT_E_NS1_11comp_targetILNS1_3genE0ELNS1_11target_archE4294967295ELNS1_3gpuE0ELNS1_3repE0EEENS1_52radix_sort_onesweep_histogram_config_static_selectorELNS0_4arch9wavefront6targetE1EEEvSG_, .Lfunc_end724-_ZN7rocprim17ROCPRIM_400000_NS6detail17trampoline_kernelINS0_14default_configENS1_35radix_sort_onesweep_config_selectorIjjEEZNS1_34radix_sort_onesweep_global_offsetsIS3_Lb0EN6thrust23THRUST_200600_302600_NS6detail15normal_iteratorINS8_10device_ptrIjEEEESD_jNS0_19identity_decomposerEEE10hipError_tT1_T2_PT3_SI_jT4_jjP12ihipStream_tbEUlT_E_NS1_11comp_targetILNS1_3genE0ELNS1_11target_archE4294967295ELNS1_3gpuE0ELNS1_3repE0EEENS1_52radix_sort_onesweep_histogram_config_static_selectorELNS0_4arch9wavefront6targetE1EEEvSG_
                                        ; -- End function
	.set _ZN7rocprim17ROCPRIM_400000_NS6detail17trampoline_kernelINS0_14default_configENS1_35radix_sort_onesweep_config_selectorIjjEEZNS1_34radix_sort_onesweep_global_offsetsIS3_Lb0EN6thrust23THRUST_200600_302600_NS6detail15normal_iteratorINS8_10device_ptrIjEEEESD_jNS0_19identity_decomposerEEE10hipError_tT1_T2_PT3_SI_jT4_jjP12ihipStream_tbEUlT_E_NS1_11comp_targetILNS1_3genE0ELNS1_11target_archE4294967295ELNS1_3gpuE0ELNS1_3repE0EEENS1_52radix_sort_onesweep_histogram_config_static_selectorELNS0_4arch9wavefront6targetE1EEEvSG_.num_vgpr, 0
	.set _ZN7rocprim17ROCPRIM_400000_NS6detail17trampoline_kernelINS0_14default_configENS1_35radix_sort_onesweep_config_selectorIjjEEZNS1_34radix_sort_onesweep_global_offsetsIS3_Lb0EN6thrust23THRUST_200600_302600_NS6detail15normal_iteratorINS8_10device_ptrIjEEEESD_jNS0_19identity_decomposerEEE10hipError_tT1_T2_PT3_SI_jT4_jjP12ihipStream_tbEUlT_E_NS1_11comp_targetILNS1_3genE0ELNS1_11target_archE4294967295ELNS1_3gpuE0ELNS1_3repE0EEENS1_52radix_sort_onesweep_histogram_config_static_selectorELNS0_4arch9wavefront6targetE1EEEvSG_.num_agpr, 0
	.set _ZN7rocprim17ROCPRIM_400000_NS6detail17trampoline_kernelINS0_14default_configENS1_35radix_sort_onesweep_config_selectorIjjEEZNS1_34radix_sort_onesweep_global_offsetsIS3_Lb0EN6thrust23THRUST_200600_302600_NS6detail15normal_iteratorINS8_10device_ptrIjEEEESD_jNS0_19identity_decomposerEEE10hipError_tT1_T2_PT3_SI_jT4_jjP12ihipStream_tbEUlT_E_NS1_11comp_targetILNS1_3genE0ELNS1_11target_archE4294967295ELNS1_3gpuE0ELNS1_3repE0EEENS1_52radix_sort_onesweep_histogram_config_static_selectorELNS0_4arch9wavefront6targetE1EEEvSG_.numbered_sgpr, 0
	.set _ZN7rocprim17ROCPRIM_400000_NS6detail17trampoline_kernelINS0_14default_configENS1_35radix_sort_onesweep_config_selectorIjjEEZNS1_34radix_sort_onesweep_global_offsetsIS3_Lb0EN6thrust23THRUST_200600_302600_NS6detail15normal_iteratorINS8_10device_ptrIjEEEESD_jNS0_19identity_decomposerEEE10hipError_tT1_T2_PT3_SI_jT4_jjP12ihipStream_tbEUlT_E_NS1_11comp_targetILNS1_3genE0ELNS1_11target_archE4294967295ELNS1_3gpuE0ELNS1_3repE0EEENS1_52radix_sort_onesweep_histogram_config_static_selectorELNS0_4arch9wavefront6targetE1EEEvSG_.num_named_barrier, 0
	.set _ZN7rocprim17ROCPRIM_400000_NS6detail17trampoline_kernelINS0_14default_configENS1_35radix_sort_onesweep_config_selectorIjjEEZNS1_34radix_sort_onesweep_global_offsetsIS3_Lb0EN6thrust23THRUST_200600_302600_NS6detail15normal_iteratorINS8_10device_ptrIjEEEESD_jNS0_19identity_decomposerEEE10hipError_tT1_T2_PT3_SI_jT4_jjP12ihipStream_tbEUlT_E_NS1_11comp_targetILNS1_3genE0ELNS1_11target_archE4294967295ELNS1_3gpuE0ELNS1_3repE0EEENS1_52radix_sort_onesweep_histogram_config_static_selectorELNS0_4arch9wavefront6targetE1EEEvSG_.private_seg_size, 0
	.set _ZN7rocprim17ROCPRIM_400000_NS6detail17trampoline_kernelINS0_14default_configENS1_35radix_sort_onesweep_config_selectorIjjEEZNS1_34radix_sort_onesweep_global_offsetsIS3_Lb0EN6thrust23THRUST_200600_302600_NS6detail15normal_iteratorINS8_10device_ptrIjEEEESD_jNS0_19identity_decomposerEEE10hipError_tT1_T2_PT3_SI_jT4_jjP12ihipStream_tbEUlT_E_NS1_11comp_targetILNS1_3genE0ELNS1_11target_archE4294967295ELNS1_3gpuE0ELNS1_3repE0EEENS1_52radix_sort_onesweep_histogram_config_static_selectorELNS0_4arch9wavefront6targetE1EEEvSG_.uses_vcc, 0
	.set _ZN7rocprim17ROCPRIM_400000_NS6detail17trampoline_kernelINS0_14default_configENS1_35radix_sort_onesweep_config_selectorIjjEEZNS1_34radix_sort_onesweep_global_offsetsIS3_Lb0EN6thrust23THRUST_200600_302600_NS6detail15normal_iteratorINS8_10device_ptrIjEEEESD_jNS0_19identity_decomposerEEE10hipError_tT1_T2_PT3_SI_jT4_jjP12ihipStream_tbEUlT_E_NS1_11comp_targetILNS1_3genE0ELNS1_11target_archE4294967295ELNS1_3gpuE0ELNS1_3repE0EEENS1_52radix_sort_onesweep_histogram_config_static_selectorELNS0_4arch9wavefront6targetE1EEEvSG_.uses_flat_scratch, 0
	.set _ZN7rocprim17ROCPRIM_400000_NS6detail17trampoline_kernelINS0_14default_configENS1_35radix_sort_onesweep_config_selectorIjjEEZNS1_34radix_sort_onesweep_global_offsetsIS3_Lb0EN6thrust23THRUST_200600_302600_NS6detail15normal_iteratorINS8_10device_ptrIjEEEESD_jNS0_19identity_decomposerEEE10hipError_tT1_T2_PT3_SI_jT4_jjP12ihipStream_tbEUlT_E_NS1_11comp_targetILNS1_3genE0ELNS1_11target_archE4294967295ELNS1_3gpuE0ELNS1_3repE0EEENS1_52radix_sort_onesweep_histogram_config_static_selectorELNS0_4arch9wavefront6targetE1EEEvSG_.has_dyn_sized_stack, 0
	.set _ZN7rocprim17ROCPRIM_400000_NS6detail17trampoline_kernelINS0_14default_configENS1_35radix_sort_onesweep_config_selectorIjjEEZNS1_34radix_sort_onesweep_global_offsetsIS3_Lb0EN6thrust23THRUST_200600_302600_NS6detail15normal_iteratorINS8_10device_ptrIjEEEESD_jNS0_19identity_decomposerEEE10hipError_tT1_T2_PT3_SI_jT4_jjP12ihipStream_tbEUlT_E_NS1_11comp_targetILNS1_3genE0ELNS1_11target_archE4294967295ELNS1_3gpuE0ELNS1_3repE0EEENS1_52radix_sort_onesweep_histogram_config_static_selectorELNS0_4arch9wavefront6targetE1EEEvSG_.has_recursion, 0
	.set _ZN7rocprim17ROCPRIM_400000_NS6detail17trampoline_kernelINS0_14default_configENS1_35radix_sort_onesweep_config_selectorIjjEEZNS1_34radix_sort_onesweep_global_offsetsIS3_Lb0EN6thrust23THRUST_200600_302600_NS6detail15normal_iteratorINS8_10device_ptrIjEEEESD_jNS0_19identity_decomposerEEE10hipError_tT1_T2_PT3_SI_jT4_jjP12ihipStream_tbEUlT_E_NS1_11comp_targetILNS1_3genE0ELNS1_11target_archE4294967295ELNS1_3gpuE0ELNS1_3repE0EEENS1_52radix_sort_onesweep_histogram_config_static_selectorELNS0_4arch9wavefront6targetE1EEEvSG_.has_indirect_call, 0
	.section	.AMDGPU.csdata,"",@progbits
; Kernel info:
; codeLenInByte = 0
; TotalNumSgprs: 6
; NumVgprs: 0
; NumAgprs: 0
; TotalNumVgprs: 0
; ScratchSize: 0
; MemoryBound: 0
; FloatMode: 240
; IeeeMode: 1
; LDSByteSize: 0 bytes/workgroup (compile time only)
; SGPRBlocks: 0
; VGPRBlocks: 0
; NumSGPRsForWavesPerEU: 6
; NumVGPRsForWavesPerEU: 1
; AccumOffset: 4
; Occupancy: 8
; WaveLimiterHint : 0
; COMPUTE_PGM_RSRC2:SCRATCH_EN: 0
; COMPUTE_PGM_RSRC2:USER_SGPR: 2
; COMPUTE_PGM_RSRC2:TRAP_HANDLER: 0
; COMPUTE_PGM_RSRC2:TGID_X_EN: 1
; COMPUTE_PGM_RSRC2:TGID_Y_EN: 0
; COMPUTE_PGM_RSRC2:TGID_Z_EN: 0
; COMPUTE_PGM_RSRC2:TIDIG_COMP_CNT: 0
; COMPUTE_PGM_RSRC3_GFX90A:ACCUM_OFFSET: 0
; COMPUTE_PGM_RSRC3_GFX90A:TG_SPLIT: 0
	.section	.text._ZN7rocprim17ROCPRIM_400000_NS6detail17trampoline_kernelINS0_14default_configENS1_35radix_sort_onesweep_config_selectorIjjEEZNS1_34radix_sort_onesweep_global_offsetsIS3_Lb0EN6thrust23THRUST_200600_302600_NS6detail15normal_iteratorINS8_10device_ptrIjEEEESD_jNS0_19identity_decomposerEEE10hipError_tT1_T2_PT3_SI_jT4_jjP12ihipStream_tbEUlT_E_NS1_11comp_targetILNS1_3genE6ELNS1_11target_archE950ELNS1_3gpuE13ELNS1_3repE0EEENS1_52radix_sort_onesweep_histogram_config_static_selectorELNS0_4arch9wavefront6targetE1EEEvSG_,"axG",@progbits,_ZN7rocprim17ROCPRIM_400000_NS6detail17trampoline_kernelINS0_14default_configENS1_35radix_sort_onesweep_config_selectorIjjEEZNS1_34radix_sort_onesweep_global_offsetsIS3_Lb0EN6thrust23THRUST_200600_302600_NS6detail15normal_iteratorINS8_10device_ptrIjEEEESD_jNS0_19identity_decomposerEEE10hipError_tT1_T2_PT3_SI_jT4_jjP12ihipStream_tbEUlT_E_NS1_11comp_targetILNS1_3genE6ELNS1_11target_archE950ELNS1_3gpuE13ELNS1_3repE0EEENS1_52radix_sort_onesweep_histogram_config_static_selectorELNS0_4arch9wavefront6targetE1EEEvSG_,comdat
	.protected	_ZN7rocprim17ROCPRIM_400000_NS6detail17trampoline_kernelINS0_14default_configENS1_35radix_sort_onesweep_config_selectorIjjEEZNS1_34radix_sort_onesweep_global_offsetsIS3_Lb0EN6thrust23THRUST_200600_302600_NS6detail15normal_iteratorINS8_10device_ptrIjEEEESD_jNS0_19identity_decomposerEEE10hipError_tT1_T2_PT3_SI_jT4_jjP12ihipStream_tbEUlT_E_NS1_11comp_targetILNS1_3genE6ELNS1_11target_archE950ELNS1_3gpuE13ELNS1_3repE0EEENS1_52radix_sort_onesweep_histogram_config_static_selectorELNS0_4arch9wavefront6targetE1EEEvSG_ ; -- Begin function _ZN7rocprim17ROCPRIM_400000_NS6detail17trampoline_kernelINS0_14default_configENS1_35radix_sort_onesweep_config_selectorIjjEEZNS1_34radix_sort_onesweep_global_offsetsIS3_Lb0EN6thrust23THRUST_200600_302600_NS6detail15normal_iteratorINS8_10device_ptrIjEEEESD_jNS0_19identity_decomposerEEE10hipError_tT1_T2_PT3_SI_jT4_jjP12ihipStream_tbEUlT_E_NS1_11comp_targetILNS1_3genE6ELNS1_11target_archE950ELNS1_3gpuE13ELNS1_3repE0EEENS1_52radix_sort_onesweep_histogram_config_static_selectorELNS0_4arch9wavefront6targetE1EEEvSG_
	.globl	_ZN7rocprim17ROCPRIM_400000_NS6detail17trampoline_kernelINS0_14default_configENS1_35radix_sort_onesweep_config_selectorIjjEEZNS1_34radix_sort_onesweep_global_offsetsIS3_Lb0EN6thrust23THRUST_200600_302600_NS6detail15normal_iteratorINS8_10device_ptrIjEEEESD_jNS0_19identity_decomposerEEE10hipError_tT1_T2_PT3_SI_jT4_jjP12ihipStream_tbEUlT_E_NS1_11comp_targetILNS1_3genE6ELNS1_11target_archE950ELNS1_3gpuE13ELNS1_3repE0EEENS1_52radix_sort_onesweep_histogram_config_static_selectorELNS0_4arch9wavefront6targetE1EEEvSG_
	.p2align	8
	.type	_ZN7rocprim17ROCPRIM_400000_NS6detail17trampoline_kernelINS0_14default_configENS1_35radix_sort_onesweep_config_selectorIjjEEZNS1_34radix_sort_onesweep_global_offsetsIS3_Lb0EN6thrust23THRUST_200600_302600_NS6detail15normal_iteratorINS8_10device_ptrIjEEEESD_jNS0_19identity_decomposerEEE10hipError_tT1_T2_PT3_SI_jT4_jjP12ihipStream_tbEUlT_E_NS1_11comp_targetILNS1_3genE6ELNS1_11target_archE950ELNS1_3gpuE13ELNS1_3repE0EEENS1_52radix_sort_onesweep_histogram_config_static_selectorELNS0_4arch9wavefront6targetE1EEEvSG_,@function
_ZN7rocprim17ROCPRIM_400000_NS6detail17trampoline_kernelINS0_14default_configENS1_35radix_sort_onesweep_config_selectorIjjEEZNS1_34radix_sort_onesweep_global_offsetsIS3_Lb0EN6thrust23THRUST_200600_302600_NS6detail15normal_iteratorINS8_10device_ptrIjEEEESD_jNS0_19identity_decomposerEEE10hipError_tT1_T2_PT3_SI_jT4_jjP12ihipStream_tbEUlT_E_NS1_11comp_targetILNS1_3genE6ELNS1_11target_archE950ELNS1_3gpuE13ELNS1_3repE0EEENS1_52radix_sort_onesweep_histogram_config_static_selectorELNS0_4arch9wavefront6targetE1EEEvSG_: ; @_ZN7rocprim17ROCPRIM_400000_NS6detail17trampoline_kernelINS0_14default_configENS1_35radix_sort_onesweep_config_selectorIjjEEZNS1_34radix_sort_onesweep_global_offsetsIS3_Lb0EN6thrust23THRUST_200600_302600_NS6detail15normal_iteratorINS8_10device_ptrIjEEEESD_jNS0_19identity_decomposerEEE10hipError_tT1_T2_PT3_SI_jT4_jjP12ihipStream_tbEUlT_E_NS1_11comp_targetILNS1_3genE6ELNS1_11target_archE950ELNS1_3gpuE13ELNS1_3repE0EEENS1_52radix_sort_onesweep_histogram_config_static_selectorELNS0_4arch9wavefront6targetE1EEEvSG_
; %bb.0:
	s_load_dword s11, s[0:1], 0x14
	s_load_dwordx4 s[4:7], s[0:1], 0x0
	s_load_dwordx2 s[8:9], s[0:1], 0x1c
	s_lshl_b32 s10, s2, 14
	s_waitcnt lgkmcnt(0)
	s_cmp_ge_u32 s2, s11
	s_mov_b64 s[2:3], -1
	s_cbranch_scc0 .LBB725_311
; %bb.1:
	s_load_dword s2, s[0:1], 0x10
	s_lshl_b32 s3, s11, 14
	s_mov_b32 s11, 0
	s_lshl_b64 s[0:1], s[10:11], 2
                                        ; implicit-def: $vgpr32
	s_waitcnt lgkmcnt(0)
	s_sub_i32 s11, s2, s3
	s_add_u32 s0, s4, s0
	s_addc_u32 s1, s5, s1
	v_cmp_gt_u32_e32 vcc, s11, v0
	s_and_saveexec_b64 s[2:3], vcc
	s_cbranch_execz .LBB725_3
; %bb.2:
	v_lshlrev_b32_e32 v1, 2, v0
	global_load_dword v32, v1, s[0:1]
.LBB725_3:
	s_or_b64 exec, exec, s[2:3]
	v_or_b32_e32 v33, 0x400, v0
	v_cmp_gt_u32_e32 vcc, s11, v33
                                        ; implicit-def: $vgpr31
	s_and_saveexec_b64 s[2:3], vcc
	s_cbranch_execz .LBB725_5
; %bb.4:
	v_lshlrev_b32_e32 v1, 2, v33
	global_load_dword v31, v1, s[0:1]
.LBB725_5:
	s_or_b64 exec, exec, s[2:3]
	v_or_b32_e32 v30, 0x800, v0
	v_cmp_gt_u32_e32 vcc, s11, v30
                                        ; implicit-def: $vgpr29
	s_and_saveexec_b64 s[2:3], vcc
	s_cbranch_execz .LBB725_7
; %bb.6:
	v_lshlrev_b32_e32 v1, 2, v30
	global_load_dword v29, v1, s[0:1]
.LBB725_7:
	s_or_b64 exec, exec, s[2:3]
	v_or_b32_e32 v28, 0xc00, v0
	v_cmp_gt_u32_e32 vcc, s11, v28
                                        ; implicit-def: $vgpr27
	s_and_saveexec_b64 s[2:3], vcc
	s_cbranch_execz .LBB725_9
; %bb.8:
	v_lshlrev_b32_e32 v1, 2, v28
	global_load_dword v27, v1, s[0:1]
.LBB725_9:
	s_or_b64 exec, exec, s[2:3]
	v_or_b32_e32 v26, 0x1000, v0
	v_cmp_gt_u32_e32 vcc, s11, v26
                                        ; implicit-def: $vgpr25
	s_and_saveexec_b64 s[2:3], vcc
	s_cbranch_execz .LBB725_11
; %bb.10:
	v_lshlrev_b32_e32 v1, 2, v26
	global_load_dword v25, v1, s[0:1]
.LBB725_11:
	s_or_b64 exec, exec, s[2:3]
	v_or_b32_e32 v24, 0x1400, v0
	v_cmp_gt_u32_e32 vcc, s11, v24
                                        ; implicit-def: $vgpr23
	s_and_saveexec_b64 s[2:3], vcc
	s_cbranch_execz .LBB725_13
; %bb.12:
	v_lshlrev_b32_e32 v1, 2, v24
	global_load_dword v23, v1, s[0:1]
.LBB725_13:
	s_or_b64 exec, exec, s[2:3]
	v_or_b32_e32 v22, 0x1800, v0
	v_cmp_gt_u32_e32 vcc, s11, v22
                                        ; implicit-def: $vgpr21
	s_and_saveexec_b64 s[2:3], vcc
	s_cbranch_execz .LBB725_15
; %bb.14:
	v_lshlrev_b32_e32 v1, 2, v22
	global_load_dword v21, v1, s[0:1]
.LBB725_15:
	s_or_b64 exec, exec, s[2:3]
	v_or_b32_e32 v20, 0x1c00, v0
	v_cmp_gt_u32_e32 vcc, s11, v20
                                        ; implicit-def: $vgpr19
	s_and_saveexec_b64 s[2:3], vcc
	s_cbranch_execz .LBB725_17
; %bb.16:
	v_lshlrev_b32_e32 v1, 2, v20
	global_load_dword v19, v1, s[0:1]
.LBB725_17:
	s_or_b64 exec, exec, s[2:3]
	v_or_b32_e32 v18, 0x2000, v0
	v_cmp_gt_u32_e32 vcc, s11, v18
                                        ; implicit-def: $vgpr17
	s_and_saveexec_b64 s[2:3], vcc
	s_cbranch_execz .LBB725_19
; %bb.18:
	v_lshlrev_b32_e32 v1, 2, v18
	global_load_dword v17, v1, s[0:1]
.LBB725_19:
	s_or_b64 exec, exec, s[2:3]
	v_or_b32_e32 v16, 0x2400, v0
	v_cmp_gt_u32_e32 vcc, s11, v16
                                        ; implicit-def: $vgpr15
	s_and_saveexec_b64 s[2:3], vcc
	s_cbranch_execz .LBB725_21
; %bb.20:
	v_lshlrev_b32_e32 v1, 2, v16
	global_load_dword v15, v1, s[0:1]
.LBB725_21:
	s_or_b64 exec, exec, s[2:3]
	v_or_b32_e32 v14, 0x2800, v0
	v_cmp_gt_u32_e32 vcc, s11, v14
                                        ; implicit-def: $vgpr13
	s_and_saveexec_b64 s[2:3], vcc
	s_cbranch_execz .LBB725_23
; %bb.22:
	v_lshlrev_b32_e32 v1, 2, v14
	global_load_dword v13, v1, s[0:1]
.LBB725_23:
	s_or_b64 exec, exec, s[2:3]
	v_or_b32_e32 v12, 0x2c00, v0
	v_cmp_gt_u32_e32 vcc, s11, v12
                                        ; implicit-def: $vgpr11
	s_and_saveexec_b64 s[2:3], vcc
	s_cbranch_execz .LBB725_25
; %bb.24:
	v_lshlrev_b32_e32 v1, 2, v12
	global_load_dword v11, v1, s[0:1]
.LBB725_25:
	s_or_b64 exec, exec, s[2:3]
	v_or_b32_e32 v10, 0x3000, v0
	v_cmp_gt_u32_e32 vcc, s11, v10
                                        ; implicit-def: $vgpr9
	s_and_saveexec_b64 s[2:3], vcc
	s_cbranch_execz .LBB725_27
; %bb.26:
	v_lshlrev_b32_e32 v1, 2, v10
	global_load_dword v9, v1, s[0:1]
.LBB725_27:
	s_or_b64 exec, exec, s[2:3]
	v_or_b32_e32 v8, 0x3400, v0
	v_cmp_gt_u32_e32 vcc, s11, v8
                                        ; implicit-def: $vgpr7
	s_and_saveexec_b64 s[2:3], vcc
	s_cbranch_execz .LBB725_29
; %bb.28:
	v_lshlrev_b32_e32 v1, 2, v8
	global_load_dword v7, v1, s[0:1]
.LBB725_29:
	s_or_b64 exec, exec, s[2:3]
	v_or_b32_e32 v6, 0x3800, v0
	v_cmp_gt_u32_e32 vcc, s11, v6
                                        ; implicit-def: $vgpr5
	s_and_saveexec_b64 s[2:3], vcc
	s_cbranch_execz .LBB725_31
; %bb.30:
	v_lshlrev_b32_e32 v1, 2, v6
	global_load_dword v5, v1, s[0:1]
.LBB725_31:
	s_or_b64 exec, exec, s[2:3]
	v_or_b32_e32 v4, 0x3c00, v0
	v_cmp_gt_u32_e32 vcc, s11, v4
                                        ; implicit-def: $vgpr2
	s_and_saveexec_b64 s[2:3], vcc
	s_cbranch_execz .LBB725_33
; %bb.32:
	v_lshlrev_b32_e32 v1, 2, v4
	global_load_dword v2, v1, s[0:1]
.LBB725_33:
	s_or_b64 exec, exec, s[2:3]
	s_cmp_ge_u32 s8, s9
	s_cselect_b64 s[2:3], -1, 0
	s_and_b64 s[0:1], s[2:3], exec
	v_lshlrev_b32_e32 v1, 2, v0
	v_mov_b32_e32 v34, 0
	v_cmp_le_u32_e32 vcc, s11, v0
	s_cselect_b32 s18, 8, 10
	v_and_b32_e32 v3, 3, v0
	ds_write2st64_b32 v1, v34, v34 offset1:16
	ds_write2st64_b32 v1, v34, v34 offset0:32 offset1:48
	s_nor_b64 s[12:13], s[2:3], vcc
	v_mov_b32_e32 v34, s18
	s_waitcnt lgkmcnt(0)
	s_barrier
	s_and_saveexec_b64 s[0:1], s[12:13]
	s_cbranch_execz .LBB725_35
; %bb.34:
	s_sub_i32 s12, s9, s8
	s_min_u32 s12, s12, 8
	s_waitcnt vmcnt(0)
	v_lshrrev_b32_e32 v34, s8, v32
	v_bfe_u32 v34, v34, 0, s12
	v_lshlrev_b32_e32 v35, 2, v3
	v_lshl_or_b32 v34, v34, 4, v35
	v_mov_b32_e32 v35, 1
	ds_add_u32 v34, v35
	v_mov_b32_e32 v34, 0
.LBB725_35:
	s_or_b64 exec, exec, s[0:1]
	v_cmp_gt_i32_e64 s[0:1], 10, v34
	s_mov_b64 s[14:15], -1
	s_and_saveexec_b64 s[12:13], s[0:1]
; %bb.36:
	v_cmp_eq_u32_e64 s[0:1], 0, v34
	s_orn2_b64 s[14:15], s[0:1], exec
; %bb.37:
	s_or_b64 exec, exec, s[12:13]
	s_and_saveexec_b64 s[12:13], s[14:15]
	s_cbranch_execz .LBB725_50
; %bb.38:
	s_add_i32 s14, s8, 8
	s_cmp_le_u32 s9, s14
	s_cselect_b64 s[0:1], -1, 0
	s_and_b64 s[16:17], s[0:1], exec
	s_cselect_b32 s15, 8, 10
	s_nor_b64 s[16:17], s[0:1], vcc
	v_mov_b32_e32 v34, s15
	s_and_saveexec_b64 s[0:1], s[16:17]
	s_cbranch_execz .LBB725_40
; %bb.39:
	s_sub_i32 s15, s9, s14
	s_min_u32 s15, s15, 8
	s_waitcnt vmcnt(0)
	v_lshrrev_b32_e32 v34, s14, v32
	v_bfe_u32 v34, v34, 0, s15
	v_lshlrev_b32_e32 v35, 2, v3
	v_lshl_or_b32 v34, v34, 4, v35
	v_mov_b32_e32 v35, 1
	ds_add_u32 v34, v35 offset:4096
	v_mov_b32_e32 v34, 0
.LBB725_40:
	s_or_b64 exec, exec, s[0:1]
	v_cmp_gt_i32_e64 s[0:1], 10, v34
	s_mov_b64 s[14:15], -1
	s_and_saveexec_b64 s[16:17], s[0:1]
; %bb.41:
	v_cmp_eq_u32_e64 s[0:1], 0, v34
	s_orn2_b64 s[14:15], s[0:1], exec
; %bb.42:
	s_or_b64 exec, exec, s[16:17]
	s_and_b64 exec, exec, s[14:15]
	s_cbranch_execz .LBB725_50
; %bb.43:
	s_add_i32 s14, s8, 16
	s_cmp_le_u32 s9, s14
	s_cselect_b64 s[0:1], -1, 0
	s_and_b64 s[16:17], s[0:1], exec
	s_cselect_b32 s15, 8, 10
	s_nor_b64 s[16:17], s[0:1], vcc
	v_mov_b32_e32 v34, s15
	s_and_saveexec_b64 s[0:1], s[16:17]
	s_cbranch_execz .LBB725_45
; %bb.44:
	s_sub_i32 s15, s9, s14
	s_min_u32 s15, s15, 8
	s_waitcnt vmcnt(0)
	v_lshrrev_b32_e32 v34, s14, v32
	v_bfe_u32 v34, v34, 0, s15
	v_lshlrev_b32_e32 v35, 2, v3
	v_lshl_or_b32 v34, v34, 4, v35
	v_mov_b32_e32 v35, 1
	ds_add_u32 v34, v35 offset:8192
	v_mov_b32_e32 v34, 0
.LBB725_45:
	s_or_b64 exec, exec, s[0:1]
	v_cmp_gt_i32_e64 s[0:1], 10, v34
	s_mov_b64 s[14:15], -1
	s_and_saveexec_b64 s[16:17], s[0:1]
; %bb.46:
	v_cmp_eq_u32_e64 s[0:1], 0, v34
	s_orn2_b64 s[14:15], s[0:1], exec
; %bb.47:
	s_or_b64 exec, exec, s[16:17]
	s_and_b64 exec, exec, s[14:15]
	s_cbranch_execz .LBB725_50
; %bb.48:
	s_add_i32 s0, s8, 24
	s_cmp_gt_u32 s9, s0
	s_cselect_b64 s[14:15], -1, 0
	s_xor_b64 s[16:17], vcc, -1
	s_and_b64 s[14:15], s[14:15], s[16:17]
	s_and_b64 exec, exec, s[14:15]
	s_cbranch_execz .LBB725_50
; %bb.49:
	s_sub_i32 s1, s9, s0
	s_min_u32 s1, s1, 8
	s_waitcnt vmcnt(0)
	v_lshrrev_b32_e32 v32, s0, v32
	v_bfe_u32 v32, v32, 0, s1
	v_lshlrev_b32_e32 v34, 2, v3
	v_lshl_or_b32 v32, v32, 4, v34
	v_mov_b32_e32 v34, 1
	ds_add_u32 v32, v34 offset:12288
.LBB725_50:
	s_or_b64 exec, exec, s[12:13]
	v_cmp_le_u32_e32 vcc, s11, v33
	s_nor_b64 s[12:13], s[2:3], vcc
	s_waitcnt vmcnt(0)
	v_mov_b32_e32 v32, s18
	s_and_saveexec_b64 s[0:1], s[12:13]
	s_cbranch_execz .LBB725_52
; %bb.51:
	s_sub_i32 s12, s9, s8
	s_min_u32 s12, s12, 8
	v_lshrrev_b32_e32 v32, s8, v31
	v_bfe_u32 v32, v32, 0, s12
	v_lshlrev_b32_e32 v33, 2, v3
	v_lshl_or_b32 v32, v32, 4, v33
	v_mov_b32_e32 v33, 1
	ds_add_u32 v32, v33
	v_mov_b32_e32 v32, 0
.LBB725_52:
	s_or_b64 exec, exec, s[0:1]
	v_cmp_gt_i32_e64 s[0:1], 10, v32
	s_mov_b64 s[14:15], -1
	s_and_saveexec_b64 s[12:13], s[0:1]
; %bb.53:
	v_cmp_eq_u32_e64 s[0:1], 0, v32
	s_orn2_b64 s[14:15], s[0:1], exec
; %bb.54:
	s_or_b64 exec, exec, s[12:13]
	s_and_saveexec_b64 s[12:13], s[14:15]
	s_cbranch_execz .LBB725_67
; %bb.55:
	s_add_i32 s14, s8, 8
	s_cmp_le_u32 s9, s14
	s_cselect_b64 s[0:1], -1, 0
	s_and_b64 s[16:17], s[0:1], exec
	s_cselect_b32 s15, 8, 10
	s_nor_b64 s[16:17], s[0:1], vcc
	v_mov_b32_e32 v32, s15
	s_and_saveexec_b64 s[0:1], s[16:17]
	s_cbranch_execz .LBB725_57
; %bb.56:
	s_sub_i32 s15, s9, s14
	s_min_u32 s15, s15, 8
	v_lshrrev_b32_e32 v32, s14, v31
	v_bfe_u32 v32, v32, 0, s15
	v_lshlrev_b32_e32 v33, 2, v3
	v_lshl_or_b32 v32, v32, 4, v33
	v_mov_b32_e32 v33, 1
	ds_add_u32 v32, v33 offset:4096
	v_mov_b32_e32 v32, 0
.LBB725_57:
	s_or_b64 exec, exec, s[0:1]
	v_cmp_gt_i32_e64 s[0:1], 10, v32
	s_mov_b64 s[14:15], -1
	s_and_saveexec_b64 s[16:17], s[0:1]
; %bb.58:
	v_cmp_eq_u32_e64 s[0:1], 0, v32
	s_orn2_b64 s[14:15], s[0:1], exec
; %bb.59:
	s_or_b64 exec, exec, s[16:17]
	s_and_b64 exec, exec, s[14:15]
	s_cbranch_execz .LBB725_67
; %bb.60:
	s_add_i32 s14, s8, 16
	s_cmp_le_u32 s9, s14
	s_cselect_b64 s[0:1], -1, 0
	s_and_b64 s[16:17], s[0:1], exec
	s_cselect_b32 s15, 8, 10
	s_nor_b64 s[16:17], s[0:1], vcc
	v_mov_b32_e32 v32, s15
	s_and_saveexec_b64 s[0:1], s[16:17]
	s_cbranch_execz .LBB725_62
; %bb.61:
	s_sub_i32 s15, s9, s14
	s_min_u32 s15, s15, 8
	v_lshrrev_b32_e32 v32, s14, v31
	v_bfe_u32 v32, v32, 0, s15
	v_lshlrev_b32_e32 v33, 2, v3
	v_lshl_or_b32 v32, v32, 4, v33
	v_mov_b32_e32 v33, 1
	ds_add_u32 v32, v33 offset:8192
	v_mov_b32_e32 v32, 0
.LBB725_62:
	s_or_b64 exec, exec, s[0:1]
	v_cmp_gt_i32_e64 s[0:1], 10, v32
	s_mov_b64 s[14:15], -1
	s_and_saveexec_b64 s[16:17], s[0:1]
; %bb.63:
	v_cmp_eq_u32_e64 s[0:1], 0, v32
	s_orn2_b64 s[14:15], s[0:1], exec
; %bb.64:
	s_or_b64 exec, exec, s[16:17]
	s_and_b64 exec, exec, s[14:15]
	s_cbranch_execz .LBB725_67
; %bb.65:
	s_add_i32 s0, s8, 24
	s_cmp_gt_u32 s9, s0
	s_cselect_b64 s[14:15], -1, 0
	s_xor_b64 s[16:17], vcc, -1
	s_and_b64 s[14:15], s[14:15], s[16:17]
	s_and_b64 exec, exec, s[14:15]
	s_cbranch_execz .LBB725_67
; %bb.66:
	s_sub_i32 s1, s9, s0
	s_min_u32 s1, s1, 8
	v_lshrrev_b32_e32 v31, s0, v31
	v_bfe_u32 v31, v31, 0, s1
	v_lshlrev_b32_e32 v32, 2, v3
	v_lshl_or_b32 v31, v31, 4, v32
	v_mov_b32_e32 v32, 1
	ds_add_u32 v31, v32 offset:12288
.LBB725_67:
	s_or_b64 exec, exec, s[12:13]
	v_cmp_le_u32_e32 vcc, s11, v30
	s_nor_b64 s[12:13], s[2:3], vcc
	v_mov_b32_e32 v30, s18
	s_and_saveexec_b64 s[0:1], s[12:13]
	s_cbranch_execz .LBB725_69
; %bb.68:
	s_sub_i32 s12, s9, s8
	s_min_u32 s12, s12, 8
	v_lshrrev_b32_e32 v30, s8, v29
	v_bfe_u32 v30, v30, 0, s12
	v_lshlrev_b32_e32 v31, 2, v3
	v_lshl_or_b32 v30, v30, 4, v31
	v_mov_b32_e32 v31, 1
	ds_add_u32 v30, v31
	v_mov_b32_e32 v30, 0
.LBB725_69:
	s_or_b64 exec, exec, s[0:1]
	v_cmp_gt_i32_e64 s[0:1], 10, v30
	s_mov_b64 s[14:15], -1
	s_and_saveexec_b64 s[12:13], s[0:1]
; %bb.70:
	v_cmp_eq_u32_e64 s[0:1], 0, v30
	s_orn2_b64 s[14:15], s[0:1], exec
; %bb.71:
	s_or_b64 exec, exec, s[12:13]
	s_and_saveexec_b64 s[12:13], s[14:15]
	s_cbranch_execz .LBB725_84
; %bb.72:
	s_add_i32 s14, s8, 8
	s_cmp_le_u32 s9, s14
	s_cselect_b64 s[0:1], -1, 0
	s_and_b64 s[16:17], s[0:1], exec
	s_cselect_b32 s15, 8, 10
	s_nor_b64 s[16:17], s[0:1], vcc
	v_mov_b32_e32 v30, s15
	s_and_saveexec_b64 s[0:1], s[16:17]
	s_cbranch_execz .LBB725_74
; %bb.73:
	s_sub_i32 s15, s9, s14
	s_min_u32 s15, s15, 8
	v_lshrrev_b32_e32 v30, s14, v29
	v_bfe_u32 v30, v30, 0, s15
	v_lshlrev_b32_e32 v31, 2, v3
	v_lshl_or_b32 v30, v30, 4, v31
	v_mov_b32_e32 v31, 1
	ds_add_u32 v30, v31 offset:4096
	v_mov_b32_e32 v30, 0
.LBB725_74:
	s_or_b64 exec, exec, s[0:1]
	v_cmp_gt_i32_e64 s[0:1], 10, v30
	s_mov_b64 s[14:15], -1
	s_and_saveexec_b64 s[16:17], s[0:1]
; %bb.75:
	v_cmp_eq_u32_e64 s[0:1], 0, v30
	s_orn2_b64 s[14:15], s[0:1], exec
; %bb.76:
	s_or_b64 exec, exec, s[16:17]
	s_and_b64 exec, exec, s[14:15]
	s_cbranch_execz .LBB725_84
; %bb.77:
	s_add_i32 s14, s8, 16
	s_cmp_le_u32 s9, s14
	s_cselect_b64 s[0:1], -1, 0
	s_and_b64 s[16:17], s[0:1], exec
	s_cselect_b32 s15, 8, 10
	s_nor_b64 s[16:17], s[0:1], vcc
	v_mov_b32_e32 v30, s15
	s_and_saveexec_b64 s[0:1], s[16:17]
	s_cbranch_execz .LBB725_79
; %bb.78:
	s_sub_i32 s15, s9, s14
	s_min_u32 s15, s15, 8
	v_lshrrev_b32_e32 v30, s14, v29
	v_bfe_u32 v30, v30, 0, s15
	v_lshlrev_b32_e32 v31, 2, v3
	v_lshl_or_b32 v30, v30, 4, v31
	v_mov_b32_e32 v31, 1
	ds_add_u32 v30, v31 offset:8192
	v_mov_b32_e32 v30, 0
.LBB725_79:
	s_or_b64 exec, exec, s[0:1]
	v_cmp_gt_i32_e64 s[0:1], 10, v30
	s_mov_b64 s[14:15], -1
	s_and_saveexec_b64 s[16:17], s[0:1]
; %bb.80:
	v_cmp_eq_u32_e64 s[0:1], 0, v30
	s_orn2_b64 s[14:15], s[0:1], exec
; %bb.81:
	s_or_b64 exec, exec, s[16:17]
	s_and_b64 exec, exec, s[14:15]
	s_cbranch_execz .LBB725_84
; %bb.82:
	s_add_i32 s0, s8, 24
	s_cmp_gt_u32 s9, s0
	s_cselect_b64 s[14:15], -1, 0
	s_xor_b64 s[16:17], vcc, -1
	s_and_b64 s[14:15], s[14:15], s[16:17]
	s_and_b64 exec, exec, s[14:15]
	s_cbranch_execz .LBB725_84
; %bb.83:
	s_sub_i32 s1, s9, s0
	s_min_u32 s1, s1, 8
	v_lshrrev_b32_e32 v29, s0, v29
	v_bfe_u32 v29, v29, 0, s1
	v_lshlrev_b32_e32 v30, 2, v3
	v_lshl_or_b32 v29, v29, 4, v30
	v_mov_b32_e32 v30, 1
	ds_add_u32 v29, v30 offset:12288
.LBB725_84:
	s_or_b64 exec, exec, s[12:13]
	v_cmp_le_u32_e32 vcc, s11, v28
	s_nor_b64 s[12:13], s[2:3], vcc
	v_mov_b32_e32 v28, s18
	s_and_saveexec_b64 s[0:1], s[12:13]
	s_cbranch_execz .LBB725_86
; %bb.85:
	s_sub_i32 s12, s9, s8
	s_min_u32 s12, s12, 8
	v_lshrrev_b32_e32 v28, s8, v27
	v_bfe_u32 v28, v28, 0, s12
	v_lshlrev_b32_e32 v29, 2, v3
	v_lshl_or_b32 v28, v28, 4, v29
	v_mov_b32_e32 v29, 1
	ds_add_u32 v28, v29
	v_mov_b32_e32 v28, 0
.LBB725_86:
	s_or_b64 exec, exec, s[0:1]
	v_cmp_gt_i32_e64 s[0:1], 10, v28
	s_mov_b64 s[14:15], -1
	s_and_saveexec_b64 s[12:13], s[0:1]
; %bb.87:
	v_cmp_eq_u32_e64 s[0:1], 0, v28
	s_orn2_b64 s[14:15], s[0:1], exec
; %bb.88:
	s_or_b64 exec, exec, s[12:13]
	s_and_saveexec_b64 s[12:13], s[14:15]
	s_cbranch_execz .LBB725_101
; %bb.89:
	s_add_i32 s14, s8, 8
	s_cmp_le_u32 s9, s14
	s_cselect_b64 s[0:1], -1, 0
	s_and_b64 s[16:17], s[0:1], exec
	s_cselect_b32 s15, 8, 10
	s_nor_b64 s[16:17], s[0:1], vcc
	v_mov_b32_e32 v28, s15
	s_and_saveexec_b64 s[0:1], s[16:17]
	s_cbranch_execz .LBB725_91
; %bb.90:
	s_sub_i32 s15, s9, s14
	s_min_u32 s15, s15, 8
	v_lshrrev_b32_e32 v28, s14, v27
	v_bfe_u32 v28, v28, 0, s15
	v_lshlrev_b32_e32 v29, 2, v3
	v_lshl_or_b32 v28, v28, 4, v29
	v_mov_b32_e32 v29, 1
	ds_add_u32 v28, v29 offset:4096
	v_mov_b32_e32 v28, 0
.LBB725_91:
	s_or_b64 exec, exec, s[0:1]
	v_cmp_gt_i32_e64 s[0:1], 10, v28
	s_mov_b64 s[14:15], -1
	s_and_saveexec_b64 s[16:17], s[0:1]
; %bb.92:
	v_cmp_eq_u32_e64 s[0:1], 0, v28
	s_orn2_b64 s[14:15], s[0:1], exec
; %bb.93:
	s_or_b64 exec, exec, s[16:17]
	s_and_b64 exec, exec, s[14:15]
	s_cbranch_execz .LBB725_101
; %bb.94:
	s_add_i32 s14, s8, 16
	s_cmp_le_u32 s9, s14
	s_cselect_b64 s[0:1], -1, 0
	s_and_b64 s[16:17], s[0:1], exec
	s_cselect_b32 s15, 8, 10
	s_nor_b64 s[16:17], s[0:1], vcc
	v_mov_b32_e32 v28, s15
	s_and_saveexec_b64 s[0:1], s[16:17]
	s_cbranch_execz .LBB725_96
; %bb.95:
	s_sub_i32 s15, s9, s14
	s_min_u32 s15, s15, 8
	v_lshrrev_b32_e32 v28, s14, v27
	v_bfe_u32 v28, v28, 0, s15
	v_lshlrev_b32_e32 v29, 2, v3
	v_lshl_or_b32 v28, v28, 4, v29
	v_mov_b32_e32 v29, 1
	ds_add_u32 v28, v29 offset:8192
	v_mov_b32_e32 v28, 0
.LBB725_96:
	s_or_b64 exec, exec, s[0:1]
	v_cmp_gt_i32_e64 s[0:1], 10, v28
	s_mov_b64 s[14:15], -1
	s_and_saveexec_b64 s[16:17], s[0:1]
; %bb.97:
	v_cmp_eq_u32_e64 s[0:1], 0, v28
	s_orn2_b64 s[14:15], s[0:1], exec
; %bb.98:
	s_or_b64 exec, exec, s[16:17]
	s_and_b64 exec, exec, s[14:15]
	s_cbranch_execz .LBB725_101
; %bb.99:
	s_add_i32 s0, s8, 24
	s_cmp_gt_u32 s9, s0
	s_cselect_b64 s[14:15], -1, 0
	s_xor_b64 s[16:17], vcc, -1
	s_and_b64 s[14:15], s[14:15], s[16:17]
	s_and_b64 exec, exec, s[14:15]
	s_cbranch_execz .LBB725_101
; %bb.100:
	s_sub_i32 s1, s9, s0
	s_min_u32 s1, s1, 8
	v_lshrrev_b32_e32 v27, s0, v27
	v_bfe_u32 v27, v27, 0, s1
	v_lshlrev_b32_e32 v28, 2, v3
	v_lshl_or_b32 v27, v27, 4, v28
	v_mov_b32_e32 v28, 1
	ds_add_u32 v27, v28 offset:12288
.LBB725_101:
	s_or_b64 exec, exec, s[12:13]
	v_cmp_le_u32_e32 vcc, s11, v26
	s_nor_b64 s[12:13], s[2:3], vcc
	v_mov_b32_e32 v26, s18
	s_and_saveexec_b64 s[0:1], s[12:13]
	s_cbranch_execz .LBB725_103
; %bb.102:
	s_sub_i32 s12, s9, s8
	s_min_u32 s12, s12, 8
	v_lshrrev_b32_e32 v26, s8, v25
	v_bfe_u32 v26, v26, 0, s12
	v_lshlrev_b32_e32 v27, 2, v3
	v_lshl_or_b32 v26, v26, 4, v27
	v_mov_b32_e32 v27, 1
	ds_add_u32 v26, v27
	v_mov_b32_e32 v26, 0
.LBB725_103:
	s_or_b64 exec, exec, s[0:1]
	v_cmp_gt_i32_e64 s[0:1], 10, v26
	s_mov_b64 s[14:15], -1
	s_and_saveexec_b64 s[12:13], s[0:1]
; %bb.104:
	v_cmp_eq_u32_e64 s[0:1], 0, v26
	s_orn2_b64 s[14:15], s[0:1], exec
; %bb.105:
	s_or_b64 exec, exec, s[12:13]
	s_and_saveexec_b64 s[12:13], s[14:15]
	s_cbranch_execz .LBB725_118
; %bb.106:
	s_add_i32 s14, s8, 8
	s_cmp_le_u32 s9, s14
	s_cselect_b64 s[0:1], -1, 0
	s_and_b64 s[16:17], s[0:1], exec
	s_cselect_b32 s15, 8, 10
	s_nor_b64 s[16:17], s[0:1], vcc
	v_mov_b32_e32 v26, s15
	s_and_saveexec_b64 s[0:1], s[16:17]
	s_cbranch_execz .LBB725_108
; %bb.107:
	s_sub_i32 s15, s9, s14
	s_min_u32 s15, s15, 8
	v_lshrrev_b32_e32 v26, s14, v25
	v_bfe_u32 v26, v26, 0, s15
	v_lshlrev_b32_e32 v27, 2, v3
	v_lshl_or_b32 v26, v26, 4, v27
	v_mov_b32_e32 v27, 1
	ds_add_u32 v26, v27 offset:4096
	v_mov_b32_e32 v26, 0
.LBB725_108:
	s_or_b64 exec, exec, s[0:1]
	v_cmp_gt_i32_e64 s[0:1], 10, v26
	s_mov_b64 s[14:15], -1
	s_and_saveexec_b64 s[16:17], s[0:1]
; %bb.109:
	v_cmp_eq_u32_e64 s[0:1], 0, v26
	s_orn2_b64 s[14:15], s[0:1], exec
; %bb.110:
	s_or_b64 exec, exec, s[16:17]
	s_and_b64 exec, exec, s[14:15]
	s_cbranch_execz .LBB725_118
; %bb.111:
	s_add_i32 s14, s8, 16
	s_cmp_le_u32 s9, s14
	s_cselect_b64 s[0:1], -1, 0
	s_and_b64 s[16:17], s[0:1], exec
	s_cselect_b32 s15, 8, 10
	s_nor_b64 s[16:17], s[0:1], vcc
	v_mov_b32_e32 v26, s15
	s_and_saveexec_b64 s[0:1], s[16:17]
	s_cbranch_execz .LBB725_113
; %bb.112:
	s_sub_i32 s15, s9, s14
	s_min_u32 s15, s15, 8
	v_lshrrev_b32_e32 v26, s14, v25
	v_bfe_u32 v26, v26, 0, s15
	v_lshlrev_b32_e32 v27, 2, v3
	v_lshl_or_b32 v26, v26, 4, v27
	v_mov_b32_e32 v27, 1
	ds_add_u32 v26, v27 offset:8192
	v_mov_b32_e32 v26, 0
.LBB725_113:
	s_or_b64 exec, exec, s[0:1]
	v_cmp_gt_i32_e64 s[0:1], 10, v26
	s_mov_b64 s[14:15], -1
	s_and_saveexec_b64 s[16:17], s[0:1]
; %bb.114:
	v_cmp_eq_u32_e64 s[0:1], 0, v26
	s_orn2_b64 s[14:15], s[0:1], exec
; %bb.115:
	s_or_b64 exec, exec, s[16:17]
	s_and_b64 exec, exec, s[14:15]
	s_cbranch_execz .LBB725_118
; %bb.116:
	s_add_i32 s0, s8, 24
	s_cmp_gt_u32 s9, s0
	s_cselect_b64 s[14:15], -1, 0
	s_xor_b64 s[16:17], vcc, -1
	s_and_b64 s[14:15], s[14:15], s[16:17]
	s_and_b64 exec, exec, s[14:15]
	s_cbranch_execz .LBB725_118
; %bb.117:
	s_sub_i32 s1, s9, s0
	s_min_u32 s1, s1, 8
	v_lshrrev_b32_e32 v25, s0, v25
	v_bfe_u32 v25, v25, 0, s1
	v_lshlrev_b32_e32 v26, 2, v3
	v_lshl_or_b32 v25, v25, 4, v26
	v_mov_b32_e32 v26, 1
	ds_add_u32 v25, v26 offset:12288
.LBB725_118:
	s_or_b64 exec, exec, s[12:13]
	v_cmp_le_u32_e32 vcc, s11, v24
	s_nor_b64 s[12:13], s[2:3], vcc
	v_mov_b32_e32 v24, s18
	s_and_saveexec_b64 s[0:1], s[12:13]
	s_cbranch_execz .LBB725_120
; %bb.119:
	s_sub_i32 s12, s9, s8
	s_min_u32 s12, s12, 8
	v_lshrrev_b32_e32 v24, s8, v23
	v_bfe_u32 v24, v24, 0, s12
	v_lshlrev_b32_e32 v25, 2, v3
	v_lshl_or_b32 v24, v24, 4, v25
	v_mov_b32_e32 v25, 1
	ds_add_u32 v24, v25
	v_mov_b32_e32 v24, 0
.LBB725_120:
	s_or_b64 exec, exec, s[0:1]
	v_cmp_gt_i32_e64 s[0:1], 10, v24
	s_mov_b64 s[14:15], -1
	s_and_saveexec_b64 s[12:13], s[0:1]
; %bb.121:
	v_cmp_eq_u32_e64 s[0:1], 0, v24
	s_orn2_b64 s[14:15], s[0:1], exec
; %bb.122:
	s_or_b64 exec, exec, s[12:13]
	s_and_saveexec_b64 s[12:13], s[14:15]
	s_cbranch_execz .LBB725_135
; %bb.123:
	s_add_i32 s14, s8, 8
	s_cmp_le_u32 s9, s14
	s_cselect_b64 s[0:1], -1, 0
	s_and_b64 s[16:17], s[0:1], exec
	s_cselect_b32 s15, 8, 10
	s_nor_b64 s[16:17], s[0:1], vcc
	v_mov_b32_e32 v24, s15
	s_and_saveexec_b64 s[0:1], s[16:17]
	s_cbranch_execz .LBB725_125
; %bb.124:
	s_sub_i32 s15, s9, s14
	s_min_u32 s15, s15, 8
	v_lshrrev_b32_e32 v24, s14, v23
	v_bfe_u32 v24, v24, 0, s15
	v_lshlrev_b32_e32 v25, 2, v3
	v_lshl_or_b32 v24, v24, 4, v25
	v_mov_b32_e32 v25, 1
	ds_add_u32 v24, v25 offset:4096
	v_mov_b32_e32 v24, 0
.LBB725_125:
	s_or_b64 exec, exec, s[0:1]
	v_cmp_gt_i32_e64 s[0:1], 10, v24
	s_mov_b64 s[14:15], -1
	s_and_saveexec_b64 s[16:17], s[0:1]
; %bb.126:
	v_cmp_eq_u32_e64 s[0:1], 0, v24
	s_orn2_b64 s[14:15], s[0:1], exec
; %bb.127:
	s_or_b64 exec, exec, s[16:17]
	s_and_b64 exec, exec, s[14:15]
	s_cbranch_execz .LBB725_135
; %bb.128:
	s_add_i32 s14, s8, 16
	s_cmp_le_u32 s9, s14
	s_cselect_b64 s[0:1], -1, 0
	s_and_b64 s[16:17], s[0:1], exec
	s_cselect_b32 s15, 8, 10
	s_nor_b64 s[16:17], s[0:1], vcc
	v_mov_b32_e32 v24, s15
	s_and_saveexec_b64 s[0:1], s[16:17]
	s_cbranch_execz .LBB725_130
; %bb.129:
	s_sub_i32 s15, s9, s14
	s_min_u32 s15, s15, 8
	v_lshrrev_b32_e32 v24, s14, v23
	v_bfe_u32 v24, v24, 0, s15
	v_lshlrev_b32_e32 v25, 2, v3
	v_lshl_or_b32 v24, v24, 4, v25
	v_mov_b32_e32 v25, 1
	ds_add_u32 v24, v25 offset:8192
	v_mov_b32_e32 v24, 0
.LBB725_130:
	s_or_b64 exec, exec, s[0:1]
	v_cmp_gt_i32_e64 s[0:1], 10, v24
	s_mov_b64 s[14:15], -1
	s_and_saveexec_b64 s[16:17], s[0:1]
; %bb.131:
	v_cmp_eq_u32_e64 s[0:1], 0, v24
	s_orn2_b64 s[14:15], s[0:1], exec
; %bb.132:
	s_or_b64 exec, exec, s[16:17]
	s_and_b64 exec, exec, s[14:15]
	s_cbranch_execz .LBB725_135
; %bb.133:
	s_add_i32 s0, s8, 24
	s_cmp_gt_u32 s9, s0
	s_cselect_b64 s[14:15], -1, 0
	s_xor_b64 s[16:17], vcc, -1
	s_and_b64 s[14:15], s[14:15], s[16:17]
	s_and_b64 exec, exec, s[14:15]
	s_cbranch_execz .LBB725_135
; %bb.134:
	s_sub_i32 s1, s9, s0
	s_min_u32 s1, s1, 8
	v_lshrrev_b32_e32 v23, s0, v23
	v_bfe_u32 v23, v23, 0, s1
	v_lshlrev_b32_e32 v24, 2, v3
	v_lshl_or_b32 v23, v23, 4, v24
	v_mov_b32_e32 v24, 1
	ds_add_u32 v23, v24 offset:12288
.LBB725_135:
	s_or_b64 exec, exec, s[12:13]
	v_cmp_le_u32_e32 vcc, s11, v22
	s_nor_b64 s[12:13], s[2:3], vcc
	v_mov_b32_e32 v22, s18
	s_and_saveexec_b64 s[0:1], s[12:13]
	s_cbranch_execz .LBB725_137
; %bb.136:
	s_sub_i32 s12, s9, s8
	s_min_u32 s12, s12, 8
	v_lshrrev_b32_e32 v22, s8, v21
	v_bfe_u32 v22, v22, 0, s12
	v_lshlrev_b32_e32 v23, 2, v3
	v_lshl_or_b32 v22, v22, 4, v23
	v_mov_b32_e32 v23, 1
	ds_add_u32 v22, v23
	v_mov_b32_e32 v22, 0
.LBB725_137:
	s_or_b64 exec, exec, s[0:1]
	v_cmp_gt_i32_e64 s[0:1], 10, v22
	s_mov_b64 s[14:15], -1
	s_and_saveexec_b64 s[12:13], s[0:1]
; %bb.138:
	v_cmp_eq_u32_e64 s[0:1], 0, v22
	s_orn2_b64 s[14:15], s[0:1], exec
; %bb.139:
	s_or_b64 exec, exec, s[12:13]
	s_and_saveexec_b64 s[12:13], s[14:15]
	s_cbranch_execz .LBB725_152
; %bb.140:
	s_add_i32 s14, s8, 8
	s_cmp_le_u32 s9, s14
	s_cselect_b64 s[0:1], -1, 0
	s_and_b64 s[16:17], s[0:1], exec
	s_cselect_b32 s15, 8, 10
	s_nor_b64 s[16:17], s[0:1], vcc
	v_mov_b32_e32 v22, s15
	s_and_saveexec_b64 s[0:1], s[16:17]
	s_cbranch_execz .LBB725_142
; %bb.141:
	s_sub_i32 s15, s9, s14
	s_min_u32 s15, s15, 8
	v_lshrrev_b32_e32 v22, s14, v21
	v_bfe_u32 v22, v22, 0, s15
	v_lshlrev_b32_e32 v23, 2, v3
	v_lshl_or_b32 v22, v22, 4, v23
	v_mov_b32_e32 v23, 1
	ds_add_u32 v22, v23 offset:4096
	v_mov_b32_e32 v22, 0
.LBB725_142:
	s_or_b64 exec, exec, s[0:1]
	v_cmp_gt_i32_e64 s[0:1], 10, v22
	s_mov_b64 s[14:15], -1
	s_and_saveexec_b64 s[16:17], s[0:1]
; %bb.143:
	v_cmp_eq_u32_e64 s[0:1], 0, v22
	s_orn2_b64 s[14:15], s[0:1], exec
; %bb.144:
	s_or_b64 exec, exec, s[16:17]
	s_and_b64 exec, exec, s[14:15]
	s_cbranch_execz .LBB725_152
; %bb.145:
	s_add_i32 s14, s8, 16
	s_cmp_le_u32 s9, s14
	s_cselect_b64 s[0:1], -1, 0
	s_and_b64 s[16:17], s[0:1], exec
	s_cselect_b32 s15, 8, 10
	s_nor_b64 s[16:17], s[0:1], vcc
	v_mov_b32_e32 v22, s15
	s_and_saveexec_b64 s[0:1], s[16:17]
	s_cbranch_execz .LBB725_147
; %bb.146:
	s_sub_i32 s15, s9, s14
	s_min_u32 s15, s15, 8
	v_lshrrev_b32_e32 v22, s14, v21
	v_bfe_u32 v22, v22, 0, s15
	v_lshlrev_b32_e32 v23, 2, v3
	v_lshl_or_b32 v22, v22, 4, v23
	v_mov_b32_e32 v23, 1
	ds_add_u32 v22, v23 offset:8192
	v_mov_b32_e32 v22, 0
.LBB725_147:
	s_or_b64 exec, exec, s[0:1]
	v_cmp_gt_i32_e64 s[0:1], 10, v22
	s_mov_b64 s[14:15], -1
	s_and_saveexec_b64 s[16:17], s[0:1]
; %bb.148:
	v_cmp_eq_u32_e64 s[0:1], 0, v22
	s_orn2_b64 s[14:15], s[0:1], exec
; %bb.149:
	s_or_b64 exec, exec, s[16:17]
	s_and_b64 exec, exec, s[14:15]
	s_cbranch_execz .LBB725_152
; %bb.150:
	s_add_i32 s0, s8, 24
	s_cmp_gt_u32 s9, s0
	s_cselect_b64 s[14:15], -1, 0
	s_xor_b64 s[16:17], vcc, -1
	s_and_b64 s[14:15], s[14:15], s[16:17]
	s_and_b64 exec, exec, s[14:15]
	s_cbranch_execz .LBB725_152
; %bb.151:
	s_sub_i32 s1, s9, s0
	s_min_u32 s1, s1, 8
	v_lshrrev_b32_e32 v21, s0, v21
	v_bfe_u32 v21, v21, 0, s1
	v_lshlrev_b32_e32 v22, 2, v3
	v_lshl_or_b32 v21, v21, 4, v22
	v_mov_b32_e32 v22, 1
	ds_add_u32 v21, v22 offset:12288
.LBB725_152:
	s_or_b64 exec, exec, s[12:13]
	v_cmp_le_u32_e32 vcc, s11, v20
	s_nor_b64 s[12:13], s[2:3], vcc
	v_mov_b32_e32 v20, s18
	s_and_saveexec_b64 s[0:1], s[12:13]
	s_cbranch_execz .LBB725_154
; %bb.153:
	s_sub_i32 s12, s9, s8
	s_min_u32 s12, s12, 8
	v_lshrrev_b32_e32 v20, s8, v19
	v_bfe_u32 v20, v20, 0, s12
	v_lshlrev_b32_e32 v21, 2, v3
	v_lshl_or_b32 v20, v20, 4, v21
	v_mov_b32_e32 v21, 1
	ds_add_u32 v20, v21
	v_mov_b32_e32 v20, 0
.LBB725_154:
	s_or_b64 exec, exec, s[0:1]
	v_cmp_gt_i32_e64 s[0:1], 10, v20
	s_mov_b64 s[14:15], -1
	s_and_saveexec_b64 s[12:13], s[0:1]
; %bb.155:
	v_cmp_eq_u32_e64 s[0:1], 0, v20
	s_orn2_b64 s[14:15], s[0:1], exec
; %bb.156:
	s_or_b64 exec, exec, s[12:13]
	s_and_saveexec_b64 s[12:13], s[14:15]
	s_cbranch_execz .LBB725_169
; %bb.157:
	s_add_i32 s14, s8, 8
	s_cmp_le_u32 s9, s14
	s_cselect_b64 s[0:1], -1, 0
	s_and_b64 s[16:17], s[0:1], exec
	s_cselect_b32 s15, 8, 10
	s_nor_b64 s[16:17], s[0:1], vcc
	v_mov_b32_e32 v20, s15
	s_and_saveexec_b64 s[0:1], s[16:17]
	s_cbranch_execz .LBB725_159
; %bb.158:
	s_sub_i32 s15, s9, s14
	s_min_u32 s15, s15, 8
	v_lshrrev_b32_e32 v20, s14, v19
	v_bfe_u32 v20, v20, 0, s15
	v_lshlrev_b32_e32 v21, 2, v3
	v_lshl_or_b32 v20, v20, 4, v21
	v_mov_b32_e32 v21, 1
	ds_add_u32 v20, v21 offset:4096
	v_mov_b32_e32 v20, 0
.LBB725_159:
	s_or_b64 exec, exec, s[0:1]
	v_cmp_gt_i32_e64 s[0:1], 10, v20
	s_mov_b64 s[14:15], -1
	s_and_saveexec_b64 s[16:17], s[0:1]
; %bb.160:
	v_cmp_eq_u32_e64 s[0:1], 0, v20
	s_orn2_b64 s[14:15], s[0:1], exec
; %bb.161:
	s_or_b64 exec, exec, s[16:17]
	s_and_b64 exec, exec, s[14:15]
	s_cbranch_execz .LBB725_169
; %bb.162:
	s_add_i32 s14, s8, 16
	s_cmp_le_u32 s9, s14
	s_cselect_b64 s[0:1], -1, 0
	s_and_b64 s[16:17], s[0:1], exec
	s_cselect_b32 s15, 8, 10
	s_nor_b64 s[16:17], s[0:1], vcc
	v_mov_b32_e32 v20, s15
	s_and_saveexec_b64 s[0:1], s[16:17]
	s_cbranch_execz .LBB725_164
; %bb.163:
	s_sub_i32 s15, s9, s14
	s_min_u32 s15, s15, 8
	v_lshrrev_b32_e32 v20, s14, v19
	v_bfe_u32 v20, v20, 0, s15
	v_lshlrev_b32_e32 v21, 2, v3
	v_lshl_or_b32 v20, v20, 4, v21
	v_mov_b32_e32 v21, 1
	ds_add_u32 v20, v21 offset:8192
	v_mov_b32_e32 v20, 0
.LBB725_164:
	s_or_b64 exec, exec, s[0:1]
	v_cmp_gt_i32_e64 s[0:1], 10, v20
	s_mov_b64 s[14:15], -1
	s_and_saveexec_b64 s[16:17], s[0:1]
; %bb.165:
	v_cmp_eq_u32_e64 s[0:1], 0, v20
	s_orn2_b64 s[14:15], s[0:1], exec
; %bb.166:
	s_or_b64 exec, exec, s[16:17]
	s_and_b64 exec, exec, s[14:15]
	s_cbranch_execz .LBB725_169
; %bb.167:
	s_add_i32 s0, s8, 24
	s_cmp_gt_u32 s9, s0
	s_cselect_b64 s[14:15], -1, 0
	s_xor_b64 s[16:17], vcc, -1
	s_and_b64 s[14:15], s[14:15], s[16:17]
	s_and_b64 exec, exec, s[14:15]
	s_cbranch_execz .LBB725_169
; %bb.168:
	s_sub_i32 s1, s9, s0
	s_min_u32 s1, s1, 8
	v_lshrrev_b32_e32 v19, s0, v19
	v_bfe_u32 v19, v19, 0, s1
	v_lshlrev_b32_e32 v20, 2, v3
	v_lshl_or_b32 v19, v19, 4, v20
	v_mov_b32_e32 v20, 1
	ds_add_u32 v19, v20 offset:12288
.LBB725_169:
	s_or_b64 exec, exec, s[12:13]
	v_cmp_le_u32_e32 vcc, s11, v18
	s_nor_b64 s[12:13], s[2:3], vcc
	v_mov_b32_e32 v18, s18
	s_and_saveexec_b64 s[0:1], s[12:13]
	s_cbranch_execz .LBB725_171
; %bb.170:
	s_sub_i32 s12, s9, s8
	s_min_u32 s12, s12, 8
	v_lshrrev_b32_e32 v18, s8, v17
	v_bfe_u32 v18, v18, 0, s12
	v_lshlrev_b32_e32 v19, 2, v3
	v_lshl_or_b32 v18, v18, 4, v19
	v_mov_b32_e32 v19, 1
	ds_add_u32 v18, v19
	v_mov_b32_e32 v18, 0
.LBB725_171:
	s_or_b64 exec, exec, s[0:1]
	v_cmp_gt_i32_e64 s[0:1], 10, v18
	s_mov_b64 s[14:15], -1
	s_and_saveexec_b64 s[12:13], s[0:1]
; %bb.172:
	v_cmp_eq_u32_e64 s[0:1], 0, v18
	s_orn2_b64 s[14:15], s[0:1], exec
; %bb.173:
	s_or_b64 exec, exec, s[12:13]
	s_and_saveexec_b64 s[12:13], s[14:15]
	s_cbranch_execz .LBB725_186
; %bb.174:
	s_add_i32 s14, s8, 8
	s_cmp_le_u32 s9, s14
	s_cselect_b64 s[0:1], -1, 0
	s_and_b64 s[16:17], s[0:1], exec
	s_cselect_b32 s15, 8, 10
	s_nor_b64 s[16:17], s[0:1], vcc
	v_mov_b32_e32 v18, s15
	s_and_saveexec_b64 s[0:1], s[16:17]
	s_cbranch_execz .LBB725_176
; %bb.175:
	s_sub_i32 s15, s9, s14
	s_min_u32 s15, s15, 8
	v_lshrrev_b32_e32 v18, s14, v17
	v_bfe_u32 v18, v18, 0, s15
	v_lshlrev_b32_e32 v19, 2, v3
	v_lshl_or_b32 v18, v18, 4, v19
	v_mov_b32_e32 v19, 1
	ds_add_u32 v18, v19 offset:4096
	v_mov_b32_e32 v18, 0
.LBB725_176:
	s_or_b64 exec, exec, s[0:1]
	v_cmp_gt_i32_e64 s[0:1], 10, v18
	s_mov_b64 s[14:15], -1
	s_and_saveexec_b64 s[16:17], s[0:1]
; %bb.177:
	v_cmp_eq_u32_e64 s[0:1], 0, v18
	s_orn2_b64 s[14:15], s[0:1], exec
; %bb.178:
	s_or_b64 exec, exec, s[16:17]
	s_and_b64 exec, exec, s[14:15]
	s_cbranch_execz .LBB725_186
; %bb.179:
	s_add_i32 s14, s8, 16
	s_cmp_le_u32 s9, s14
	s_cselect_b64 s[0:1], -1, 0
	s_and_b64 s[16:17], s[0:1], exec
	s_cselect_b32 s15, 8, 10
	s_nor_b64 s[16:17], s[0:1], vcc
	v_mov_b32_e32 v18, s15
	s_and_saveexec_b64 s[0:1], s[16:17]
	s_cbranch_execz .LBB725_181
; %bb.180:
	s_sub_i32 s15, s9, s14
	s_min_u32 s15, s15, 8
	v_lshrrev_b32_e32 v18, s14, v17
	v_bfe_u32 v18, v18, 0, s15
	v_lshlrev_b32_e32 v19, 2, v3
	v_lshl_or_b32 v18, v18, 4, v19
	v_mov_b32_e32 v19, 1
	ds_add_u32 v18, v19 offset:8192
	v_mov_b32_e32 v18, 0
.LBB725_181:
	s_or_b64 exec, exec, s[0:1]
	v_cmp_gt_i32_e64 s[0:1], 10, v18
	s_mov_b64 s[14:15], -1
	s_and_saveexec_b64 s[16:17], s[0:1]
; %bb.182:
	v_cmp_eq_u32_e64 s[0:1], 0, v18
	s_orn2_b64 s[14:15], s[0:1], exec
; %bb.183:
	s_or_b64 exec, exec, s[16:17]
	s_and_b64 exec, exec, s[14:15]
	s_cbranch_execz .LBB725_186
; %bb.184:
	s_add_i32 s0, s8, 24
	s_cmp_gt_u32 s9, s0
	s_cselect_b64 s[14:15], -1, 0
	s_xor_b64 s[16:17], vcc, -1
	s_and_b64 s[14:15], s[14:15], s[16:17]
	s_and_b64 exec, exec, s[14:15]
	s_cbranch_execz .LBB725_186
; %bb.185:
	s_sub_i32 s1, s9, s0
	s_min_u32 s1, s1, 8
	v_lshrrev_b32_e32 v17, s0, v17
	v_bfe_u32 v17, v17, 0, s1
	v_lshlrev_b32_e32 v18, 2, v3
	v_lshl_or_b32 v17, v17, 4, v18
	v_mov_b32_e32 v18, 1
	ds_add_u32 v17, v18 offset:12288
.LBB725_186:
	s_or_b64 exec, exec, s[12:13]
	v_cmp_le_u32_e32 vcc, s11, v16
	s_nor_b64 s[12:13], s[2:3], vcc
	v_mov_b32_e32 v16, s18
	s_and_saveexec_b64 s[0:1], s[12:13]
	s_cbranch_execz .LBB725_188
; %bb.187:
	s_sub_i32 s12, s9, s8
	s_min_u32 s12, s12, 8
	v_lshrrev_b32_e32 v16, s8, v15
	v_bfe_u32 v16, v16, 0, s12
	v_lshlrev_b32_e32 v17, 2, v3
	v_lshl_or_b32 v16, v16, 4, v17
	v_mov_b32_e32 v17, 1
	ds_add_u32 v16, v17
	v_mov_b32_e32 v16, 0
.LBB725_188:
	s_or_b64 exec, exec, s[0:1]
	v_cmp_gt_i32_e64 s[0:1], 10, v16
	s_mov_b64 s[14:15], -1
	s_and_saveexec_b64 s[12:13], s[0:1]
; %bb.189:
	v_cmp_eq_u32_e64 s[0:1], 0, v16
	s_orn2_b64 s[14:15], s[0:1], exec
; %bb.190:
	s_or_b64 exec, exec, s[12:13]
	s_and_saveexec_b64 s[12:13], s[14:15]
	s_cbranch_execz .LBB725_203
; %bb.191:
	s_add_i32 s14, s8, 8
	s_cmp_le_u32 s9, s14
	s_cselect_b64 s[0:1], -1, 0
	s_and_b64 s[16:17], s[0:1], exec
	s_cselect_b32 s15, 8, 10
	s_nor_b64 s[16:17], s[0:1], vcc
	v_mov_b32_e32 v16, s15
	s_and_saveexec_b64 s[0:1], s[16:17]
	s_cbranch_execz .LBB725_193
; %bb.192:
	s_sub_i32 s15, s9, s14
	s_min_u32 s15, s15, 8
	v_lshrrev_b32_e32 v16, s14, v15
	v_bfe_u32 v16, v16, 0, s15
	v_lshlrev_b32_e32 v17, 2, v3
	v_lshl_or_b32 v16, v16, 4, v17
	v_mov_b32_e32 v17, 1
	ds_add_u32 v16, v17 offset:4096
	v_mov_b32_e32 v16, 0
.LBB725_193:
	s_or_b64 exec, exec, s[0:1]
	v_cmp_gt_i32_e64 s[0:1], 10, v16
	s_mov_b64 s[14:15], -1
	s_and_saveexec_b64 s[16:17], s[0:1]
; %bb.194:
	v_cmp_eq_u32_e64 s[0:1], 0, v16
	s_orn2_b64 s[14:15], s[0:1], exec
; %bb.195:
	s_or_b64 exec, exec, s[16:17]
	s_and_b64 exec, exec, s[14:15]
	s_cbranch_execz .LBB725_203
; %bb.196:
	s_add_i32 s14, s8, 16
	s_cmp_le_u32 s9, s14
	s_cselect_b64 s[0:1], -1, 0
	s_and_b64 s[16:17], s[0:1], exec
	s_cselect_b32 s15, 8, 10
	s_nor_b64 s[16:17], s[0:1], vcc
	v_mov_b32_e32 v16, s15
	s_and_saveexec_b64 s[0:1], s[16:17]
	s_cbranch_execz .LBB725_198
; %bb.197:
	s_sub_i32 s15, s9, s14
	s_min_u32 s15, s15, 8
	v_lshrrev_b32_e32 v16, s14, v15
	v_bfe_u32 v16, v16, 0, s15
	v_lshlrev_b32_e32 v17, 2, v3
	v_lshl_or_b32 v16, v16, 4, v17
	v_mov_b32_e32 v17, 1
	ds_add_u32 v16, v17 offset:8192
	v_mov_b32_e32 v16, 0
.LBB725_198:
	s_or_b64 exec, exec, s[0:1]
	v_cmp_gt_i32_e64 s[0:1], 10, v16
	s_mov_b64 s[14:15], -1
	s_and_saveexec_b64 s[16:17], s[0:1]
; %bb.199:
	v_cmp_eq_u32_e64 s[0:1], 0, v16
	s_orn2_b64 s[14:15], s[0:1], exec
; %bb.200:
	s_or_b64 exec, exec, s[16:17]
	s_and_b64 exec, exec, s[14:15]
	s_cbranch_execz .LBB725_203
; %bb.201:
	s_add_i32 s0, s8, 24
	s_cmp_gt_u32 s9, s0
	s_cselect_b64 s[14:15], -1, 0
	s_xor_b64 s[16:17], vcc, -1
	s_and_b64 s[14:15], s[14:15], s[16:17]
	s_and_b64 exec, exec, s[14:15]
	s_cbranch_execz .LBB725_203
; %bb.202:
	s_sub_i32 s1, s9, s0
	s_min_u32 s1, s1, 8
	v_lshrrev_b32_e32 v15, s0, v15
	v_bfe_u32 v15, v15, 0, s1
	v_lshlrev_b32_e32 v16, 2, v3
	v_lshl_or_b32 v15, v15, 4, v16
	v_mov_b32_e32 v16, 1
	ds_add_u32 v15, v16 offset:12288
.LBB725_203:
	s_or_b64 exec, exec, s[12:13]
	v_cmp_le_u32_e32 vcc, s11, v14
	s_nor_b64 s[12:13], s[2:3], vcc
	v_mov_b32_e32 v14, s18
	s_and_saveexec_b64 s[0:1], s[12:13]
	s_cbranch_execz .LBB725_205
; %bb.204:
	s_sub_i32 s12, s9, s8
	s_min_u32 s12, s12, 8
	v_lshrrev_b32_e32 v14, s8, v13
	v_bfe_u32 v14, v14, 0, s12
	v_lshlrev_b32_e32 v15, 2, v3
	v_lshl_or_b32 v14, v14, 4, v15
	v_mov_b32_e32 v15, 1
	ds_add_u32 v14, v15
	v_mov_b32_e32 v14, 0
.LBB725_205:
	s_or_b64 exec, exec, s[0:1]
	v_cmp_gt_i32_e64 s[0:1], 10, v14
	s_mov_b64 s[14:15], -1
	s_and_saveexec_b64 s[12:13], s[0:1]
; %bb.206:
	v_cmp_eq_u32_e64 s[0:1], 0, v14
	s_orn2_b64 s[14:15], s[0:1], exec
; %bb.207:
	s_or_b64 exec, exec, s[12:13]
	s_and_saveexec_b64 s[12:13], s[14:15]
	s_cbranch_execz .LBB725_220
; %bb.208:
	s_add_i32 s14, s8, 8
	s_cmp_le_u32 s9, s14
	s_cselect_b64 s[0:1], -1, 0
	s_and_b64 s[16:17], s[0:1], exec
	s_cselect_b32 s15, 8, 10
	s_nor_b64 s[16:17], s[0:1], vcc
	v_mov_b32_e32 v14, s15
	s_and_saveexec_b64 s[0:1], s[16:17]
	s_cbranch_execz .LBB725_210
; %bb.209:
	s_sub_i32 s15, s9, s14
	s_min_u32 s15, s15, 8
	v_lshrrev_b32_e32 v14, s14, v13
	v_bfe_u32 v14, v14, 0, s15
	v_lshlrev_b32_e32 v15, 2, v3
	v_lshl_or_b32 v14, v14, 4, v15
	v_mov_b32_e32 v15, 1
	ds_add_u32 v14, v15 offset:4096
	v_mov_b32_e32 v14, 0
.LBB725_210:
	s_or_b64 exec, exec, s[0:1]
	v_cmp_gt_i32_e64 s[0:1], 10, v14
	s_mov_b64 s[14:15], -1
	s_and_saveexec_b64 s[16:17], s[0:1]
; %bb.211:
	v_cmp_eq_u32_e64 s[0:1], 0, v14
	s_orn2_b64 s[14:15], s[0:1], exec
; %bb.212:
	s_or_b64 exec, exec, s[16:17]
	s_and_b64 exec, exec, s[14:15]
	s_cbranch_execz .LBB725_220
; %bb.213:
	s_add_i32 s14, s8, 16
	s_cmp_le_u32 s9, s14
	s_cselect_b64 s[0:1], -1, 0
	s_and_b64 s[16:17], s[0:1], exec
	s_cselect_b32 s15, 8, 10
	s_nor_b64 s[16:17], s[0:1], vcc
	v_mov_b32_e32 v14, s15
	s_and_saveexec_b64 s[0:1], s[16:17]
	s_cbranch_execz .LBB725_215
; %bb.214:
	s_sub_i32 s15, s9, s14
	s_min_u32 s15, s15, 8
	v_lshrrev_b32_e32 v14, s14, v13
	v_bfe_u32 v14, v14, 0, s15
	v_lshlrev_b32_e32 v15, 2, v3
	v_lshl_or_b32 v14, v14, 4, v15
	v_mov_b32_e32 v15, 1
	ds_add_u32 v14, v15 offset:8192
	v_mov_b32_e32 v14, 0
.LBB725_215:
	s_or_b64 exec, exec, s[0:1]
	v_cmp_gt_i32_e64 s[0:1], 10, v14
	s_mov_b64 s[14:15], -1
	s_and_saveexec_b64 s[16:17], s[0:1]
; %bb.216:
	v_cmp_eq_u32_e64 s[0:1], 0, v14
	s_orn2_b64 s[14:15], s[0:1], exec
; %bb.217:
	s_or_b64 exec, exec, s[16:17]
	s_and_b64 exec, exec, s[14:15]
	s_cbranch_execz .LBB725_220
; %bb.218:
	s_add_i32 s0, s8, 24
	s_cmp_gt_u32 s9, s0
	s_cselect_b64 s[14:15], -1, 0
	s_xor_b64 s[16:17], vcc, -1
	s_and_b64 s[14:15], s[14:15], s[16:17]
	s_and_b64 exec, exec, s[14:15]
	s_cbranch_execz .LBB725_220
; %bb.219:
	s_sub_i32 s1, s9, s0
	s_min_u32 s1, s1, 8
	v_lshrrev_b32_e32 v13, s0, v13
	v_bfe_u32 v13, v13, 0, s1
	v_lshlrev_b32_e32 v14, 2, v3
	v_lshl_or_b32 v13, v13, 4, v14
	v_mov_b32_e32 v14, 1
	ds_add_u32 v13, v14 offset:12288
.LBB725_220:
	s_or_b64 exec, exec, s[12:13]
	v_cmp_le_u32_e32 vcc, s11, v12
	s_nor_b64 s[12:13], s[2:3], vcc
	v_mov_b32_e32 v12, s18
	s_and_saveexec_b64 s[0:1], s[12:13]
	s_cbranch_execz .LBB725_222
; %bb.221:
	s_sub_i32 s12, s9, s8
	s_min_u32 s12, s12, 8
	v_lshrrev_b32_e32 v12, s8, v11
	v_bfe_u32 v12, v12, 0, s12
	v_lshlrev_b32_e32 v13, 2, v3
	v_lshl_or_b32 v12, v12, 4, v13
	v_mov_b32_e32 v13, 1
	ds_add_u32 v12, v13
	v_mov_b32_e32 v12, 0
.LBB725_222:
	s_or_b64 exec, exec, s[0:1]
	v_cmp_gt_i32_e64 s[0:1], 10, v12
	s_mov_b64 s[14:15], -1
	s_and_saveexec_b64 s[12:13], s[0:1]
; %bb.223:
	v_cmp_eq_u32_e64 s[0:1], 0, v12
	s_orn2_b64 s[14:15], s[0:1], exec
; %bb.224:
	s_or_b64 exec, exec, s[12:13]
	s_and_saveexec_b64 s[12:13], s[14:15]
	s_cbranch_execz .LBB725_237
; %bb.225:
	s_add_i32 s14, s8, 8
	s_cmp_le_u32 s9, s14
	s_cselect_b64 s[0:1], -1, 0
	s_and_b64 s[16:17], s[0:1], exec
	s_cselect_b32 s15, 8, 10
	s_nor_b64 s[16:17], s[0:1], vcc
	v_mov_b32_e32 v12, s15
	s_and_saveexec_b64 s[0:1], s[16:17]
	s_cbranch_execz .LBB725_227
; %bb.226:
	s_sub_i32 s15, s9, s14
	s_min_u32 s15, s15, 8
	v_lshrrev_b32_e32 v12, s14, v11
	v_bfe_u32 v12, v12, 0, s15
	v_lshlrev_b32_e32 v13, 2, v3
	v_lshl_or_b32 v12, v12, 4, v13
	v_mov_b32_e32 v13, 1
	ds_add_u32 v12, v13 offset:4096
	v_mov_b32_e32 v12, 0
.LBB725_227:
	s_or_b64 exec, exec, s[0:1]
	v_cmp_gt_i32_e64 s[0:1], 10, v12
	s_mov_b64 s[14:15], -1
	s_and_saveexec_b64 s[16:17], s[0:1]
; %bb.228:
	v_cmp_eq_u32_e64 s[0:1], 0, v12
	s_orn2_b64 s[14:15], s[0:1], exec
; %bb.229:
	s_or_b64 exec, exec, s[16:17]
	s_and_b64 exec, exec, s[14:15]
	s_cbranch_execz .LBB725_237
; %bb.230:
	s_add_i32 s14, s8, 16
	s_cmp_le_u32 s9, s14
	s_cselect_b64 s[0:1], -1, 0
	s_and_b64 s[16:17], s[0:1], exec
	s_cselect_b32 s15, 8, 10
	s_nor_b64 s[16:17], s[0:1], vcc
	v_mov_b32_e32 v12, s15
	s_and_saveexec_b64 s[0:1], s[16:17]
	s_cbranch_execz .LBB725_232
; %bb.231:
	s_sub_i32 s15, s9, s14
	s_min_u32 s15, s15, 8
	v_lshrrev_b32_e32 v12, s14, v11
	v_bfe_u32 v12, v12, 0, s15
	v_lshlrev_b32_e32 v13, 2, v3
	v_lshl_or_b32 v12, v12, 4, v13
	v_mov_b32_e32 v13, 1
	ds_add_u32 v12, v13 offset:8192
	v_mov_b32_e32 v12, 0
.LBB725_232:
	s_or_b64 exec, exec, s[0:1]
	v_cmp_gt_i32_e64 s[0:1], 10, v12
	s_mov_b64 s[14:15], -1
	s_and_saveexec_b64 s[16:17], s[0:1]
; %bb.233:
	v_cmp_eq_u32_e64 s[0:1], 0, v12
	s_orn2_b64 s[14:15], s[0:1], exec
; %bb.234:
	s_or_b64 exec, exec, s[16:17]
	s_and_b64 exec, exec, s[14:15]
	s_cbranch_execz .LBB725_237
; %bb.235:
	s_add_i32 s0, s8, 24
	s_cmp_gt_u32 s9, s0
	s_cselect_b64 s[14:15], -1, 0
	s_xor_b64 s[16:17], vcc, -1
	s_and_b64 s[14:15], s[14:15], s[16:17]
	s_and_b64 exec, exec, s[14:15]
	s_cbranch_execz .LBB725_237
; %bb.236:
	s_sub_i32 s1, s9, s0
	s_min_u32 s1, s1, 8
	v_lshrrev_b32_e32 v11, s0, v11
	v_bfe_u32 v11, v11, 0, s1
	v_lshlrev_b32_e32 v12, 2, v3
	v_lshl_or_b32 v11, v11, 4, v12
	v_mov_b32_e32 v12, 1
	ds_add_u32 v11, v12 offset:12288
.LBB725_237:
	s_or_b64 exec, exec, s[12:13]
	v_cmp_le_u32_e32 vcc, s11, v10
	s_nor_b64 s[12:13], s[2:3], vcc
	v_mov_b32_e32 v10, s18
	s_and_saveexec_b64 s[0:1], s[12:13]
	s_cbranch_execz .LBB725_239
; %bb.238:
	s_sub_i32 s12, s9, s8
	s_min_u32 s12, s12, 8
	v_lshrrev_b32_e32 v10, s8, v9
	v_bfe_u32 v10, v10, 0, s12
	v_lshlrev_b32_e32 v11, 2, v3
	v_lshl_or_b32 v10, v10, 4, v11
	v_mov_b32_e32 v11, 1
	ds_add_u32 v10, v11
	v_mov_b32_e32 v10, 0
.LBB725_239:
	s_or_b64 exec, exec, s[0:1]
	v_cmp_gt_i32_e64 s[0:1], 10, v10
	s_mov_b64 s[14:15], -1
	s_and_saveexec_b64 s[12:13], s[0:1]
; %bb.240:
	v_cmp_eq_u32_e64 s[0:1], 0, v10
	s_orn2_b64 s[14:15], s[0:1], exec
; %bb.241:
	s_or_b64 exec, exec, s[12:13]
	s_and_saveexec_b64 s[12:13], s[14:15]
	s_cbranch_execz .LBB725_254
; %bb.242:
	s_add_i32 s14, s8, 8
	s_cmp_le_u32 s9, s14
	s_cselect_b64 s[0:1], -1, 0
	s_and_b64 s[16:17], s[0:1], exec
	s_cselect_b32 s15, 8, 10
	s_nor_b64 s[16:17], s[0:1], vcc
	v_mov_b32_e32 v10, s15
	s_and_saveexec_b64 s[0:1], s[16:17]
	s_cbranch_execz .LBB725_244
; %bb.243:
	s_sub_i32 s15, s9, s14
	s_min_u32 s15, s15, 8
	v_lshrrev_b32_e32 v10, s14, v9
	v_bfe_u32 v10, v10, 0, s15
	v_lshlrev_b32_e32 v11, 2, v3
	v_lshl_or_b32 v10, v10, 4, v11
	v_mov_b32_e32 v11, 1
	ds_add_u32 v10, v11 offset:4096
	v_mov_b32_e32 v10, 0
.LBB725_244:
	s_or_b64 exec, exec, s[0:1]
	v_cmp_gt_i32_e64 s[0:1], 10, v10
	s_mov_b64 s[14:15], -1
	s_and_saveexec_b64 s[16:17], s[0:1]
; %bb.245:
	v_cmp_eq_u32_e64 s[0:1], 0, v10
	s_orn2_b64 s[14:15], s[0:1], exec
; %bb.246:
	s_or_b64 exec, exec, s[16:17]
	s_and_b64 exec, exec, s[14:15]
	s_cbranch_execz .LBB725_254
; %bb.247:
	s_add_i32 s14, s8, 16
	s_cmp_le_u32 s9, s14
	s_cselect_b64 s[0:1], -1, 0
	s_and_b64 s[16:17], s[0:1], exec
	s_cselect_b32 s15, 8, 10
	s_nor_b64 s[16:17], s[0:1], vcc
	v_mov_b32_e32 v10, s15
	s_and_saveexec_b64 s[0:1], s[16:17]
	s_cbranch_execz .LBB725_249
; %bb.248:
	s_sub_i32 s15, s9, s14
	s_min_u32 s15, s15, 8
	v_lshrrev_b32_e32 v10, s14, v9
	v_bfe_u32 v10, v10, 0, s15
	v_lshlrev_b32_e32 v11, 2, v3
	v_lshl_or_b32 v10, v10, 4, v11
	v_mov_b32_e32 v11, 1
	ds_add_u32 v10, v11 offset:8192
	v_mov_b32_e32 v10, 0
.LBB725_249:
	s_or_b64 exec, exec, s[0:1]
	v_cmp_gt_i32_e64 s[0:1], 10, v10
	s_mov_b64 s[14:15], -1
	s_and_saveexec_b64 s[16:17], s[0:1]
; %bb.250:
	v_cmp_eq_u32_e64 s[0:1], 0, v10
	s_orn2_b64 s[14:15], s[0:1], exec
; %bb.251:
	s_or_b64 exec, exec, s[16:17]
	s_and_b64 exec, exec, s[14:15]
	s_cbranch_execz .LBB725_254
; %bb.252:
	s_add_i32 s0, s8, 24
	s_cmp_gt_u32 s9, s0
	s_cselect_b64 s[14:15], -1, 0
	s_xor_b64 s[16:17], vcc, -1
	s_and_b64 s[14:15], s[14:15], s[16:17]
	s_and_b64 exec, exec, s[14:15]
	s_cbranch_execz .LBB725_254
; %bb.253:
	s_sub_i32 s1, s9, s0
	s_min_u32 s1, s1, 8
	v_lshrrev_b32_e32 v9, s0, v9
	v_bfe_u32 v9, v9, 0, s1
	v_lshlrev_b32_e32 v10, 2, v3
	v_lshl_or_b32 v9, v9, 4, v10
	v_mov_b32_e32 v10, 1
	ds_add_u32 v9, v10 offset:12288
.LBB725_254:
	s_or_b64 exec, exec, s[12:13]
	v_cmp_le_u32_e32 vcc, s11, v8
	s_nor_b64 s[12:13], s[2:3], vcc
	v_mov_b32_e32 v8, s18
	s_and_saveexec_b64 s[0:1], s[12:13]
	s_cbranch_execz .LBB725_256
; %bb.255:
	s_sub_i32 s12, s9, s8
	s_min_u32 s12, s12, 8
	v_lshrrev_b32_e32 v8, s8, v7
	v_bfe_u32 v8, v8, 0, s12
	v_lshlrev_b32_e32 v9, 2, v3
	v_lshl_or_b32 v8, v8, 4, v9
	v_mov_b32_e32 v9, 1
	ds_add_u32 v8, v9
	v_mov_b32_e32 v8, 0
.LBB725_256:
	s_or_b64 exec, exec, s[0:1]
	v_cmp_gt_i32_e64 s[0:1], 10, v8
	s_mov_b64 s[14:15], -1
	s_and_saveexec_b64 s[12:13], s[0:1]
; %bb.257:
	v_cmp_eq_u32_e64 s[0:1], 0, v8
	s_orn2_b64 s[14:15], s[0:1], exec
; %bb.258:
	s_or_b64 exec, exec, s[12:13]
	s_and_saveexec_b64 s[12:13], s[14:15]
	s_cbranch_execz .LBB725_271
; %bb.259:
	s_add_i32 s14, s8, 8
	s_cmp_le_u32 s9, s14
	s_cselect_b64 s[0:1], -1, 0
	s_and_b64 s[16:17], s[0:1], exec
	s_cselect_b32 s15, 8, 10
	s_nor_b64 s[16:17], s[0:1], vcc
	v_mov_b32_e32 v8, s15
	s_and_saveexec_b64 s[0:1], s[16:17]
	s_cbranch_execz .LBB725_261
; %bb.260:
	s_sub_i32 s15, s9, s14
	s_min_u32 s15, s15, 8
	v_lshrrev_b32_e32 v8, s14, v7
	v_bfe_u32 v8, v8, 0, s15
	v_lshlrev_b32_e32 v9, 2, v3
	v_lshl_or_b32 v8, v8, 4, v9
	v_mov_b32_e32 v9, 1
	ds_add_u32 v8, v9 offset:4096
	v_mov_b32_e32 v8, 0
.LBB725_261:
	s_or_b64 exec, exec, s[0:1]
	v_cmp_gt_i32_e64 s[0:1], 10, v8
	s_mov_b64 s[14:15], -1
	s_and_saveexec_b64 s[16:17], s[0:1]
; %bb.262:
	v_cmp_eq_u32_e64 s[0:1], 0, v8
	s_orn2_b64 s[14:15], s[0:1], exec
; %bb.263:
	s_or_b64 exec, exec, s[16:17]
	s_and_b64 exec, exec, s[14:15]
	s_cbranch_execz .LBB725_271
; %bb.264:
	s_add_i32 s14, s8, 16
	s_cmp_le_u32 s9, s14
	s_cselect_b64 s[0:1], -1, 0
	s_and_b64 s[16:17], s[0:1], exec
	s_cselect_b32 s15, 8, 10
	s_nor_b64 s[16:17], s[0:1], vcc
	v_mov_b32_e32 v8, s15
	s_and_saveexec_b64 s[0:1], s[16:17]
	s_cbranch_execz .LBB725_266
; %bb.265:
	s_sub_i32 s15, s9, s14
	s_min_u32 s15, s15, 8
	v_lshrrev_b32_e32 v8, s14, v7
	v_bfe_u32 v8, v8, 0, s15
	v_lshlrev_b32_e32 v9, 2, v3
	v_lshl_or_b32 v8, v8, 4, v9
	v_mov_b32_e32 v9, 1
	ds_add_u32 v8, v9 offset:8192
	v_mov_b32_e32 v8, 0
.LBB725_266:
	s_or_b64 exec, exec, s[0:1]
	v_cmp_gt_i32_e64 s[0:1], 10, v8
	s_mov_b64 s[14:15], -1
	s_and_saveexec_b64 s[16:17], s[0:1]
; %bb.267:
	v_cmp_eq_u32_e64 s[0:1], 0, v8
	s_orn2_b64 s[14:15], s[0:1], exec
; %bb.268:
	s_or_b64 exec, exec, s[16:17]
	s_and_b64 exec, exec, s[14:15]
	s_cbranch_execz .LBB725_271
; %bb.269:
	s_add_i32 s0, s8, 24
	s_cmp_gt_u32 s9, s0
	s_cselect_b64 s[14:15], -1, 0
	s_xor_b64 s[16:17], vcc, -1
	s_and_b64 s[14:15], s[14:15], s[16:17]
	s_and_b64 exec, exec, s[14:15]
	s_cbranch_execz .LBB725_271
; %bb.270:
	s_sub_i32 s1, s9, s0
	s_min_u32 s1, s1, 8
	v_lshrrev_b32_e32 v7, s0, v7
	v_bfe_u32 v7, v7, 0, s1
	v_lshlrev_b32_e32 v8, 2, v3
	v_lshl_or_b32 v7, v7, 4, v8
	v_mov_b32_e32 v8, 1
	ds_add_u32 v7, v8 offset:12288
.LBB725_271:
	s_or_b64 exec, exec, s[12:13]
	v_cmp_le_u32_e32 vcc, s11, v6
	s_nor_b64 s[12:13], s[2:3], vcc
	v_mov_b32_e32 v6, s18
	s_and_saveexec_b64 s[0:1], s[12:13]
	s_cbranch_execz .LBB725_273
; %bb.272:
	s_sub_i32 s12, s9, s8
	s_min_u32 s12, s12, 8
	v_lshrrev_b32_e32 v6, s8, v5
	v_bfe_u32 v6, v6, 0, s12
	v_lshlrev_b32_e32 v7, 2, v3
	v_lshl_or_b32 v6, v6, 4, v7
	v_mov_b32_e32 v7, 1
	ds_add_u32 v6, v7
	v_mov_b32_e32 v6, 0
.LBB725_273:
	s_or_b64 exec, exec, s[0:1]
	v_cmp_gt_i32_e64 s[0:1], 10, v6
	s_mov_b64 s[14:15], -1
	s_and_saveexec_b64 s[12:13], s[0:1]
; %bb.274:
	v_cmp_eq_u32_e64 s[0:1], 0, v6
	s_orn2_b64 s[14:15], s[0:1], exec
; %bb.275:
	s_or_b64 exec, exec, s[12:13]
	s_and_saveexec_b64 s[12:13], s[14:15]
	s_cbranch_execz .LBB725_288
; %bb.276:
	s_add_i32 s14, s8, 8
	s_cmp_le_u32 s9, s14
	s_cselect_b64 s[0:1], -1, 0
	s_and_b64 s[16:17], s[0:1], exec
	s_cselect_b32 s15, 8, 10
	s_nor_b64 s[16:17], s[0:1], vcc
	v_mov_b32_e32 v6, s15
	s_and_saveexec_b64 s[0:1], s[16:17]
	s_cbranch_execz .LBB725_278
; %bb.277:
	s_sub_i32 s15, s9, s14
	s_min_u32 s15, s15, 8
	v_lshrrev_b32_e32 v6, s14, v5
	v_bfe_u32 v6, v6, 0, s15
	v_lshlrev_b32_e32 v7, 2, v3
	v_lshl_or_b32 v6, v6, 4, v7
	v_mov_b32_e32 v7, 1
	ds_add_u32 v6, v7 offset:4096
	v_mov_b32_e32 v6, 0
.LBB725_278:
	s_or_b64 exec, exec, s[0:1]
	v_cmp_gt_i32_e64 s[0:1], 10, v6
	s_mov_b64 s[14:15], -1
	s_and_saveexec_b64 s[16:17], s[0:1]
; %bb.279:
	v_cmp_eq_u32_e64 s[0:1], 0, v6
	s_orn2_b64 s[14:15], s[0:1], exec
; %bb.280:
	s_or_b64 exec, exec, s[16:17]
	s_and_b64 exec, exec, s[14:15]
	s_cbranch_execz .LBB725_288
; %bb.281:
	s_add_i32 s14, s8, 16
	s_cmp_le_u32 s9, s14
	s_cselect_b64 s[0:1], -1, 0
	s_and_b64 s[16:17], s[0:1], exec
	s_cselect_b32 s15, 8, 10
	s_nor_b64 s[16:17], s[0:1], vcc
	v_mov_b32_e32 v6, s15
	s_and_saveexec_b64 s[0:1], s[16:17]
	s_cbranch_execz .LBB725_283
; %bb.282:
	s_sub_i32 s15, s9, s14
	s_min_u32 s15, s15, 8
	v_lshrrev_b32_e32 v6, s14, v5
	v_bfe_u32 v6, v6, 0, s15
	v_lshlrev_b32_e32 v7, 2, v3
	v_lshl_or_b32 v6, v6, 4, v7
	v_mov_b32_e32 v7, 1
	ds_add_u32 v6, v7 offset:8192
	v_mov_b32_e32 v6, 0
.LBB725_283:
	s_or_b64 exec, exec, s[0:1]
	v_cmp_gt_i32_e64 s[0:1], 10, v6
	s_mov_b64 s[14:15], -1
	s_and_saveexec_b64 s[16:17], s[0:1]
; %bb.284:
	v_cmp_eq_u32_e64 s[0:1], 0, v6
	s_orn2_b64 s[14:15], s[0:1], exec
; %bb.285:
	s_or_b64 exec, exec, s[16:17]
	s_and_b64 exec, exec, s[14:15]
	s_cbranch_execz .LBB725_288
; %bb.286:
	s_add_i32 s0, s8, 24
	s_cmp_gt_u32 s9, s0
	s_cselect_b64 s[14:15], -1, 0
	s_xor_b64 s[16:17], vcc, -1
	s_and_b64 s[14:15], s[14:15], s[16:17]
	s_and_b64 exec, exec, s[14:15]
	s_cbranch_execz .LBB725_288
; %bb.287:
	s_sub_i32 s1, s9, s0
	s_min_u32 s1, s1, 8
	v_lshrrev_b32_e32 v5, s0, v5
	v_bfe_u32 v5, v5, 0, s1
	v_lshlrev_b32_e32 v6, 2, v3
	v_lshl_or_b32 v5, v5, 4, v6
	v_mov_b32_e32 v6, 1
	ds_add_u32 v5, v6 offset:12288
.LBB725_288:
	s_or_b64 exec, exec, s[12:13]
	v_cmp_le_u32_e32 vcc, s11, v4
	s_nor_b64 s[2:3], s[2:3], vcc
	v_mov_b32_e32 v4, s18
	s_and_saveexec_b64 s[0:1], s[2:3]
	s_cbranch_execz .LBB725_290
; %bb.289:
	s_sub_i32 s2, s9, s8
	s_min_u32 s2, s2, 8
	v_lshrrev_b32_e32 v4, s8, v2
	v_bfe_u32 v4, v4, 0, s2
	v_lshlrev_b32_e32 v5, 2, v3
	v_lshl_or_b32 v4, v4, 4, v5
	v_mov_b32_e32 v5, 1
	ds_add_u32 v4, v5
	v_mov_b32_e32 v4, 0
.LBB725_290:
	s_or_b64 exec, exec, s[0:1]
	v_cmp_gt_i32_e64 s[0:1], 10, v4
	s_mov_b64 s[12:13], -1
	s_and_saveexec_b64 s[2:3], s[0:1]
; %bb.291:
	v_cmp_eq_u32_e64 s[0:1], 0, v4
	s_orn2_b64 s[12:13], s[0:1], exec
; %bb.292:
	s_or_b64 exec, exec, s[2:3]
	s_and_saveexec_b64 s[2:3], s[12:13]
	s_cbranch_execz .LBB725_305
; %bb.293:
	s_add_i32 s11, s8, 8
	s_cmp_le_u32 s9, s11
	s_cselect_b64 s[0:1], -1, 0
	s_and_b64 s[12:13], s[0:1], exec
	s_cselect_b32 s14, 8, 10
	s_nor_b64 s[12:13], s[0:1], vcc
	v_mov_b32_e32 v4, s14
	s_and_saveexec_b64 s[0:1], s[12:13]
	s_cbranch_execz .LBB725_295
; %bb.294:
	s_sub_i32 s12, s9, s11
	s_min_u32 s12, s12, 8
	v_lshrrev_b32_e32 v4, s11, v2
	v_bfe_u32 v4, v4, 0, s12
	v_lshlrev_b32_e32 v5, 2, v3
	v_lshl_or_b32 v4, v4, 4, v5
	v_mov_b32_e32 v5, 1
	ds_add_u32 v4, v5 offset:4096
	v_mov_b32_e32 v4, 0
.LBB725_295:
	s_or_b64 exec, exec, s[0:1]
	v_cmp_gt_i32_e64 s[0:1], 10, v4
	s_mov_b64 s[12:13], -1
	s_and_saveexec_b64 s[14:15], s[0:1]
; %bb.296:
	v_cmp_eq_u32_e64 s[0:1], 0, v4
	s_orn2_b64 s[12:13], s[0:1], exec
; %bb.297:
	s_or_b64 exec, exec, s[14:15]
	s_and_b64 exec, exec, s[12:13]
	s_cbranch_execz .LBB725_305
; %bb.298:
	s_add_i32 s11, s8, 16
	s_cmp_le_u32 s9, s11
	s_cselect_b64 s[0:1], -1, 0
	s_and_b64 s[12:13], s[0:1], exec
	s_cselect_b32 s14, 8, 10
	s_nor_b64 s[12:13], s[0:1], vcc
	v_mov_b32_e32 v4, s14
	s_and_saveexec_b64 s[0:1], s[12:13]
	s_cbranch_execz .LBB725_300
; %bb.299:
	s_sub_i32 s12, s9, s11
	s_min_u32 s12, s12, 8
	v_lshrrev_b32_e32 v4, s11, v2
	v_bfe_u32 v4, v4, 0, s12
	v_lshlrev_b32_e32 v5, 2, v3
	v_lshl_or_b32 v4, v4, 4, v5
	v_mov_b32_e32 v5, 1
	ds_add_u32 v4, v5 offset:8192
	v_mov_b32_e32 v4, 0
.LBB725_300:
	s_or_b64 exec, exec, s[0:1]
	v_cmp_gt_i32_e64 s[0:1], 10, v4
	s_mov_b64 s[12:13], -1
	s_and_saveexec_b64 s[14:15], s[0:1]
; %bb.301:
	v_cmp_eq_u32_e64 s[0:1], 0, v4
	s_orn2_b64 s[12:13], s[0:1], exec
; %bb.302:
	s_or_b64 exec, exec, s[14:15]
	s_and_b64 exec, exec, s[12:13]
	s_cbranch_execz .LBB725_305
; %bb.303:
	s_add_i32 s0, s8, 24
	s_cmp_gt_u32 s9, s0
	s_cselect_b64 s[12:13], -1, 0
	s_xor_b64 s[14:15], vcc, -1
	s_and_b64 s[12:13], s[12:13], s[14:15]
	s_and_b64 exec, exec, s[12:13]
	s_cbranch_execz .LBB725_305
; %bb.304:
	s_sub_i32 s1, s9, s0
	s_min_u32 s1, s1, 8
	v_lshrrev_b32_e32 v2, s0, v2
	v_bfe_u32 v2, v2, 0, s1
	v_lshlrev_b32_e32 v3, 2, v3
	v_lshl_or_b32 v2, v2, 4, v3
	v_mov_b32_e32 v3, 1
	ds_add_u32 v2, v3 offset:12288
.LBB725_305:
	s_or_b64 exec, exec, s[2:3]
	s_cmp_lt_u32 s8, s9
	s_waitcnt lgkmcnt(0)
	s_barrier
	s_cbranch_scc0 .LBB725_310
; %bb.306:
	s_movk_i32 s0, 0x100
	v_cmp_gt_u32_e32 vcc, s0, v0
	v_mad_u32_u24 v1, v0, 12, v1
	v_mov_b32_e32 v3, 0
	v_mov_b32_e32 v2, v0
	s_mov_b32 s2, s8
	s_branch .LBB725_308
.LBB725_307:                            ;   in Loop: Header=BB725_308 Depth=1
	s_or_b64 exec, exec, s[0:1]
	s_add_i32 s2, s2, 8
	v_add_u32_e32 v2, 0x100, v2
	s_cmp_lt_u32 s2, s9
	v_add_u32_e32 v1, 0x1000, v1
	s_cbranch_scc0 .LBB725_310
.LBB725_308:                            ; =>This Inner Loop Header: Depth=1
	s_and_saveexec_b64 s[0:1], vcc
	s_cbranch_execz .LBB725_307
; %bb.309:                              ;   in Loop: Header=BB725_308 Depth=1
	ds_read2_b32 v[4:5], v1 offset1:1
	ds_read2_b32 v[6:7], v1 offset0:2 offset1:3
	s_waitcnt lgkmcnt(1)
	v_add_u32_e32 v4, v5, v4
	s_waitcnt lgkmcnt(0)
	v_add3_u32 v6, v4, v6, v7
	v_lshl_add_u64 v[4:5], v[2:3], 2, s[6:7]
	global_atomic_add v[4:5], v6, off
	s_branch .LBB725_307
.LBB725_310:
	s_mov_b64 s[2:3], 0
.LBB725_311:
	s_and_b64 vcc, exec, s[2:3]
	s_cbranch_vccz .LBB725_419
; %bb.312:
	s_cmp_eq_u32 s8, 0
	s_cselect_b64 s[0:1], -1, 0
	s_cmp_eq_u32 s9, 32
	s_mov_b32 s11, 0
	s_cselect_b64 s[2:3], -1, 0
	s_and_b64 s[2:3], s[0:1], s[2:3]
	s_lshl_b64 s[0:1], s[10:11], 2
	s_add_u32 s0, s4, s0
	s_addc_u32 s1, s5, s1
	v_mov_b32_e32 v3, 0
	v_lshlrev_b32_e32 v2, 2, v0
	v_lshl_add_u64 v[4:5], s[0:1], 0, v[2:3]
	s_movk_i32 s4, 0x2000
	v_add_co_u32_e32 v22, vcc, s4, v4
	s_movk_i32 s4, 0x4000
	s_nop 0
	v_addc_co_u32_e32 v23, vcc, 0, v5, vcc
	v_add_co_u32_e32 v24, vcc, s4, v4
	s_movk_i32 s4, 0x6000
	s_nop 0
	v_addc_co_u32_e32 v25, vcc, 0, v5, vcc
	v_add_co_u32_e32 v16, vcc, s4, v4
	s_mov_b32 s4, 0x8000
	s_nop 0
	v_addc_co_u32_e32 v17, vcc, 0, v5, vcc
	v_add_co_u32_e32 v18, vcc, s4, v4
	s_mov_b32 s4, 0xa000
	;; [unrolled: 4-line block ×4, first 2 shown]
	s_nop 0
	v_addc_co_u32_e32 v27, vcc, 0, v5, vcc
	global_load_dword v15, v[16:17], off offset:-4096
	global_load_dword v14, v[16:17], off
	global_load_dword v13, v[18:19], off offset:-4096
	global_load_dword v12, v[18:19], off
	;; [unrolled: 2-line block ×4, first 2 shown]
	v_add_co_u32_e32 v26, vcc, s4, v4
	s_nop 1
	v_addc_co_u32_e32 v27, vcc, 0, v5, vcc
	v_add_co_u32_e32 v28, vcc, 0xe000, v4
	s_nop 1
	v_addc_co_u32_e32 v29, vcc, 0, v5, vcc
	;; [unrolled: 3-line block ×3, first 2 shown]
	global_load_dword v20, v2, s[0:1]
	global_load_dword v19, v[22:23], off offset:-4096
	global_load_dword v18, v[22:23], off
	global_load_dword v17, v[24:25], off offset:-4096
	global_load_dword v16, v[24:25], off
	global_load_dword v9, v[26:27], off
	;; [unrolled: 1-line block ×4, first 2 shown]
	s_mov_b64 s[0:1], -1
	s_and_b64 vcc, exec, s[2:3]
	s_cbranch_vccnz .LBB725_416
; %bb.313:
	s_cmp_lt_u32 s8, s9
	s_cselect_b64 s[0:1], -1, 0
	s_and_b64 vcc, exec, s[0:1]
	ds_write2st64_b32 v2, v3, v3 offset1:16
	ds_write2st64_b32 v2, v3, v3 offset0:32 offset1:48
	s_waitcnt lgkmcnt(0)
	s_barrier
	s_cbranch_vccz .LBB725_410
; %bb.314:
	s_sub_i32 s2, s9, s8
	s_min_u32 s2, s2, 8
	v_and_b32_e32 v3, 3, v0
	s_lshl_b32 s2, -1, s2
	s_waitcnt vmcnt(7)
	v_lshrrev_b32_e32 v4, s8, v20
	v_bitop3_b32 v5, v4, s2, v4 bitop3:0x30
	v_lshlrev_b32_e32 v4, 2, v3
	v_lshl_or_b32 v5, v5, 4, v4
	v_mov_b32_e32 v21, 1
	s_not_b32 s13, s2
	ds_add_u32 v5, v21
	s_add_i32 s12, s8, 8
	s_cmp_le_u32 s9, s12
	s_cselect_b64 s[2:3], -1, 0
	s_waitcnt vmcnt(6)
	v_lshrrev_b32_e32 v5, s8, v19
	s_and_b64 vcc, exec, s[2:3]
	v_and_b32_e32 v5, s13, v5
	s_cbranch_vccz .LBB725_316
; %bb.315:
	v_lshlrev_b32_e32 v21, 4, v5
	s_mov_b64 s[4:5], -1
	s_cbranch_execz .LBB725_317
	s_branch .LBB725_324
.LBB725_316:
	s_mov_b64 s[4:5], 0
                                        ; implicit-def: $vgpr21
.LBB725_317:
	s_sub_i32 s10, s9, s12
	s_min_u32 s10, s10, 8
	s_lshl_b32 s10, -1, s10
	v_lshrrev_b32_e32 v21, s12, v20
	v_bitop3_b32 v21, v21, s10, v21 bitop3:0x30
	v_lshl_or_b32 v22, v21, 4, v4
	v_mov_b32_e32 v21, 1
	ds_add_u32 v22, v21 offset:4096
	s_not_b32 s15, s10
	s_add_i32 s14, s8, 16
	s_cmp_gt_u32 s9, s14
	s_cselect_b64 s[10:11], -1, 0
	s_cmp_le_u32 s9, s14
	s_cbranch_scc1 .LBB725_320
; %bb.318:
	s_sub_i32 s16, s9, s14
	s_min_u32 s16, s16, 8
	v_lshrrev_b32_e32 v22, s14, v20
	v_bfe_u32 v22, v22, 0, s16
	v_lshl_or_b32 v22, v22, 4, v4
	ds_add_u32 v22, v21 offset:8192
	s_add_i32 s16, s8, 24
	s_cmp_le_u32 s9, s16
	s_cbranch_scc1 .LBB725_320
; %bb.319:
	s_sub_i32 s17, s9, s16
	s_min_u32 s17, s17, 8
	v_lshrrev_b32_e32 v22, s16, v20
	v_bfe_u32 v22, v22, 0, s17
	v_lshl_or_b32 v22, v22, 4, v4
	v_mov_b32_e32 v23, 1
	ds_add_u32 v22, v23 offset:12288
.LBB725_320:
	v_lshl_or_b32 v5, v5, 4, v4
	ds_add_u32 v5, v21
	v_lshrrev_b32_e32 v5, s12, v19
	v_and_b32_e32 v5, s15, v5
	v_lshl_or_b32 v5, v5, 4, v4
	ds_add_u32 v5, v21 offset:4096
	s_andn2_b64 vcc, exec, s[10:11]
	s_cbranch_vccnz .LBB725_323
; %bb.321:
	s_sub_i32 s10, s9, s14
	s_min_u32 s10, s10, 8
	v_lshrrev_b32_e32 v5, s14, v19
	v_bfe_u32 v5, v5, 0, s10
	v_lshl_or_b32 v5, v5, 4, v4
	v_mov_b32_e32 v21, 1
	ds_add_u32 v5, v21 offset:8192
	s_add_i32 s10, s8, 24
	s_cmp_gt_u32 s9, s10
                                        ; implicit-def: $vgpr21
	s_cbranch_scc0 .LBB725_324
; %bb.322:
	s_sub_i32 s4, s9, s10
	s_min_u32 s4, s4, 8
	v_lshrrev_b32_e32 v5, s10, v19
	v_bfe_u32 v5, v5, 0, s4
	v_mov_b32_e32 v21, 0x3000
	v_lshl_add_u32 v21, v5, 4, v21
	s_mov_b64 s[4:5], -1
	s_branch .LBB725_324
.LBB725_323:
                                        ; implicit-def: $vgpr21
.LBB725_324:
	s_and_b64 vcc, exec, s[4:5]
	s_cbranch_vccz .LBB725_326
; %bb.325:
	v_lshl_add_u32 v5, v3, 2, v21
	v_mov_b32_e32 v21, 1
	ds_add_u32 v5, v21
.LBB725_326:
	s_waitcnt vmcnt(5)
	v_lshrrev_b32_e32 v5, s8, v18
	v_and_b32_e32 v5, s13, v5
	v_lshl_or_b32 v5, v5, 4, v4
	v_mov_b32_e32 v21, 1
	ds_add_u32 v5, v21
	s_waitcnt vmcnt(4)
	v_lshrrev_b32_e32 v5, s8, v17
	s_and_b64 vcc, exec, s[2:3]
	v_and_b32_e32 v5, s13, v5
	s_cbranch_vccz .LBB725_328
; %bb.327:
	v_lshlrev_b32_e32 v21, 4, v5
	s_mov_b64 s[4:5], -1
	s_cbranch_execz .LBB725_329
	s_branch .LBB725_336
.LBB725_328:
	s_mov_b64 s[4:5], 0
                                        ; implicit-def: $vgpr21
.LBB725_329:
	s_sub_i32 s10, s9, s12
	s_min_u32 s10, s10, 8
	s_lshl_b32 s10, -1, s10
	v_lshrrev_b32_e32 v21, s12, v18
	v_bitop3_b32 v21, v21, s10, v21 bitop3:0x30
	v_lshl_or_b32 v22, v21, 4, v4
	v_mov_b32_e32 v21, 1
	ds_add_u32 v22, v21 offset:4096
	s_not_b32 s15, s10
	s_add_i32 s14, s8, 16
	s_cmp_gt_u32 s9, s14
	s_cselect_b64 s[10:11], -1, 0
	s_cmp_le_u32 s9, s14
	s_cbranch_scc1 .LBB725_332
; %bb.330:
	s_sub_i32 s16, s9, s14
	s_min_u32 s16, s16, 8
	v_lshrrev_b32_e32 v22, s14, v18
	v_bfe_u32 v22, v22, 0, s16
	v_lshl_or_b32 v22, v22, 4, v4
	ds_add_u32 v22, v21 offset:8192
	s_add_i32 s16, s8, 24
	s_cmp_le_u32 s9, s16
	s_cbranch_scc1 .LBB725_332
; %bb.331:
	s_sub_i32 s17, s9, s16
	s_min_u32 s17, s17, 8
	v_lshrrev_b32_e32 v22, s16, v18
	v_bfe_u32 v22, v22, 0, s17
	v_lshl_or_b32 v22, v22, 4, v4
	v_mov_b32_e32 v23, 1
	ds_add_u32 v22, v23 offset:12288
.LBB725_332:
	v_lshl_or_b32 v5, v5, 4, v4
	ds_add_u32 v5, v21
	v_lshrrev_b32_e32 v5, s12, v17
	v_and_b32_e32 v5, s15, v5
	v_lshl_or_b32 v5, v5, 4, v4
	ds_add_u32 v5, v21 offset:4096
	s_andn2_b64 vcc, exec, s[10:11]
	s_cbranch_vccnz .LBB725_335
; %bb.333:
	s_sub_i32 s10, s9, s14
	s_min_u32 s10, s10, 8
	v_lshrrev_b32_e32 v5, s14, v17
	v_bfe_u32 v5, v5, 0, s10
	v_lshl_or_b32 v5, v5, 4, v4
	v_mov_b32_e32 v21, 1
	ds_add_u32 v5, v21 offset:8192
	s_add_i32 s10, s8, 24
	s_cmp_gt_u32 s9, s10
                                        ; implicit-def: $vgpr21
	s_cbranch_scc0 .LBB725_336
; %bb.334:
	s_sub_i32 s4, s9, s10
	s_min_u32 s4, s4, 8
	v_lshrrev_b32_e32 v5, s10, v17
	v_bfe_u32 v5, v5, 0, s4
	v_mov_b32_e32 v21, 0x3000
	v_lshl_add_u32 v21, v5, 4, v21
	s_mov_b64 s[4:5], -1
	s_branch .LBB725_336
.LBB725_335:
                                        ; implicit-def: $vgpr21
.LBB725_336:
	s_and_b64 vcc, exec, s[4:5]
	s_cbranch_vccz .LBB725_338
; %bb.337:
	v_lshl_add_u32 v5, v3, 2, v21
	v_mov_b32_e32 v21, 1
	ds_add_u32 v5, v21
.LBB725_338:
	s_waitcnt vmcnt(3)
	v_lshrrev_b32_e32 v5, s8, v16
	v_and_b32_e32 v5, s13, v5
	v_lshl_or_b32 v5, v5, 4, v4
	v_mov_b32_e32 v21, 1
	ds_add_u32 v5, v21
	v_lshrrev_b32_e32 v5, s8, v15
	s_and_b64 vcc, exec, s[2:3]
	v_and_b32_e32 v5, s13, v5
	s_cbranch_vccz .LBB725_340
; %bb.339:
	v_lshlrev_b32_e32 v21, 4, v5
	s_mov_b64 s[4:5], -1
	s_cbranch_execz .LBB725_341
	s_branch .LBB725_348
.LBB725_340:
	s_mov_b64 s[4:5], 0
                                        ; implicit-def: $vgpr21
.LBB725_341:
	s_sub_i32 s10, s9, s12
	s_min_u32 s10, s10, 8
	s_lshl_b32 s10, -1, s10
	v_lshrrev_b32_e32 v21, s12, v16
	v_bitop3_b32 v21, v21, s10, v21 bitop3:0x30
	v_lshl_or_b32 v22, v21, 4, v4
	v_mov_b32_e32 v21, 1
	ds_add_u32 v22, v21 offset:4096
	s_not_b32 s15, s10
	s_add_i32 s14, s8, 16
	s_cmp_gt_u32 s9, s14
	s_cselect_b64 s[10:11], -1, 0
	s_cmp_le_u32 s9, s14
	s_cbranch_scc1 .LBB725_344
; %bb.342:
	s_sub_i32 s16, s9, s14
	s_min_u32 s16, s16, 8
	v_lshrrev_b32_e32 v22, s14, v16
	v_bfe_u32 v22, v22, 0, s16
	v_lshl_or_b32 v22, v22, 4, v4
	ds_add_u32 v22, v21 offset:8192
	s_add_i32 s16, s8, 24
	s_cmp_le_u32 s9, s16
	s_cbranch_scc1 .LBB725_344
; %bb.343:
	s_sub_i32 s17, s9, s16
	s_min_u32 s17, s17, 8
	v_lshrrev_b32_e32 v22, s16, v16
	v_bfe_u32 v22, v22, 0, s17
	v_lshl_or_b32 v22, v22, 4, v4
	v_mov_b32_e32 v23, 1
	ds_add_u32 v22, v23 offset:12288
.LBB725_344:
	v_lshl_or_b32 v5, v5, 4, v4
	ds_add_u32 v5, v21
	v_lshrrev_b32_e32 v5, s12, v15
	v_and_b32_e32 v5, s15, v5
	v_lshl_or_b32 v5, v5, 4, v4
	ds_add_u32 v5, v21 offset:4096
	s_andn2_b64 vcc, exec, s[10:11]
	s_cbranch_vccnz .LBB725_347
; %bb.345:
	s_sub_i32 s10, s9, s14
	s_min_u32 s10, s10, 8
	v_lshrrev_b32_e32 v5, s14, v15
	v_bfe_u32 v5, v5, 0, s10
	v_lshl_or_b32 v5, v5, 4, v4
	v_mov_b32_e32 v21, 1
	ds_add_u32 v5, v21 offset:8192
	s_add_i32 s10, s8, 24
	s_cmp_gt_u32 s9, s10
                                        ; implicit-def: $vgpr21
	s_cbranch_scc0 .LBB725_348
; %bb.346:
	s_sub_i32 s4, s9, s10
	s_min_u32 s4, s4, 8
	v_lshrrev_b32_e32 v5, s10, v15
	v_bfe_u32 v5, v5, 0, s4
	v_mov_b32_e32 v21, 0x3000
	v_lshl_add_u32 v21, v5, 4, v21
	s_mov_b64 s[4:5], -1
	s_branch .LBB725_348
.LBB725_347:
                                        ; implicit-def: $vgpr21
.LBB725_348:
	s_and_b64 vcc, exec, s[4:5]
	s_cbranch_vccz .LBB725_350
; %bb.349:
	v_lshl_add_u32 v5, v3, 2, v21
	v_mov_b32_e32 v21, 1
	ds_add_u32 v5, v21
.LBB725_350:
	v_lshrrev_b32_e32 v5, s8, v14
	v_and_b32_e32 v5, s13, v5
	v_lshl_or_b32 v5, v5, 4, v4
	v_mov_b32_e32 v21, 1
	ds_add_u32 v5, v21
	v_lshrrev_b32_e32 v5, s8, v13
	s_and_b64 vcc, exec, s[2:3]
	v_and_b32_e32 v5, s13, v5
	s_cbranch_vccz .LBB725_352
; %bb.351:
	v_lshlrev_b32_e32 v21, 4, v5
	s_mov_b64 s[4:5], -1
	s_cbranch_execz .LBB725_353
	s_branch .LBB725_360
.LBB725_352:
	s_mov_b64 s[4:5], 0
                                        ; implicit-def: $vgpr21
.LBB725_353:
	s_sub_i32 s10, s9, s12
	s_min_u32 s10, s10, 8
	s_lshl_b32 s10, -1, s10
	v_lshrrev_b32_e32 v21, s12, v14
	v_bitop3_b32 v21, v21, s10, v21 bitop3:0x30
	v_lshl_or_b32 v22, v21, 4, v4
	v_mov_b32_e32 v21, 1
	ds_add_u32 v22, v21 offset:4096
	s_not_b32 s15, s10
	s_add_i32 s14, s8, 16
	s_cmp_gt_u32 s9, s14
	s_cselect_b64 s[10:11], -1, 0
	s_cmp_le_u32 s9, s14
	s_cbranch_scc1 .LBB725_356
; %bb.354:
	s_sub_i32 s16, s9, s14
	s_min_u32 s16, s16, 8
	v_lshrrev_b32_e32 v22, s14, v14
	v_bfe_u32 v22, v22, 0, s16
	v_lshl_or_b32 v22, v22, 4, v4
	ds_add_u32 v22, v21 offset:8192
	s_add_i32 s16, s8, 24
	s_cmp_le_u32 s9, s16
	s_cbranch_scc1 .LBB725_356
; %bb.355:
	s_sub_i32 s17, s9, s16
	s_min_u32 s17, s17, 8
	v_lshrrev_b32_e32 v22, s16, v14
	v_bfe_u32 v22, v22, 0, s17
	v_lshl_or_b32 v22, v22, 4, v4
	v_mov_b32_e32 v23, 1
	ds_add_u32 v22, v23 offset:12288
.LBB725_356:
	v_lshl_or_b32 v5, v5, 4, v4
	ds_add_u32 v5, v21
	v_lshrrev_b32_e32 v5, s12, v13
	v_and_b32_e32 v5, s15, v5
	v_lshl_or_b32 v5, v5, 4, v4
	ds_add_u32 v5, v21 offset:4096
	s_andn2_b64 vcc, exec, s[10:11]
	s_cbranch_vccnz .LBB725_359
; %bb.357:
	s_sub_i32 s10, s9, s14
	s_min_u32 s10, s10, 8
	v_lshrrev_b32_e32 v5, s14, v13
	v_bfe_u32 v5, v5, 0, s10
	v_lshl_or_b32 v5, v5, 4, v4
	v_mov_b32_e32 v21, 1
	ds_add_u32 v5, v21 offset:8192
	s_add_i32 s10, s8, 24
	s_cmp_gt_u32 s9, s10
                                        ; implicit-def: $vgpr21
	s_cbranch_scc0 .LBB725_360
; %bb.358:
	s_sub_i32 s4, s9, s10
	s_min_u32 s4, s4, 8
	v_lshrrev_b32_e32 v5, s10, v13
	v_bfe_u32 v5, v5, 0, s4
	v_mov_b32_e32 v21, 0x3000
	v_lshl_add_u32 v21, v5, 4, v21
	s_mov_b64 s[4:5], -1
	s_branch .LBB725_360
.LBB725_359:
                                        ; implicit-def: $vgpr21
.LBB725_360:
	s_and_b64 vcc, exec, s[4:5]
	s_cbranch_vccz .LBB725_362
; %bb.361:
	v_lshl_add_u32 v5, v3, 2, v21
	v_mov_b32_e32 v21, 1
	ds_add_u32 v5, v21
.LBB725_362:
	v_lshrrev_b32_e32 v5, s8, v12
	v_and_b32_e32 v5, s13, v5
	v_lshl_or_b32 v5, v5, 4, v4
	v_mov_b32_e32 v21, 1
	ds_add_u32 v5, v21
	v_lshrrev_b32_e32 v5, s8, v11
	s_and_b64 vcc, exec, s[2:3]
	v_and_b32_e32 v5, s13, v5
	s_cbranch_vccz .LBB725_364
; %bb.363:
	v_lshlrev_b32_e32 v21, 4, v5
	s_mov_b64 s[4:5], -1
	s_cbranch_execz .LBB725_365
	s_branch .LBB725_372
.LBB725_364:
	s_mov_b64 s[4:5], 0
                                        ; implicit-def: $vgpr21
.LBB725_365:
	s_sub_i32 s10, s9, s12
	s_min_u32 s10, s10, 8
	s_lshl_b32 s10, -1, s10
	v_lshrrev_b32_e32 v21, s12, v12
	v_bitop3_b32 v21, v21, s10, v21 bitop3:0x30
	v_lshl_or_b32 v22, v21, 4, v4
	v_mov_b32_e32 v21, 1
	ds_add_u32 v22, v21 offset:4096
	s_not_b32 s15, s10
	s_add_i32 s14, s8, 16
	s_cmp_gt_u32 s9, s14
	s_cselect_b64 s[10:11], -1, 0
	s_cmp_le_u32 s9, s14
	s_cbranch_scc1 .LBB725_368
; %bb.366:
	s_sub_i32 s16, s9, s14
	s_min_u32 s16, s16, 8
	v_lshrrev_b32_e32 v22, s14, v12
	v_bfe_u32 v22, v22, 0, s16
	v_lshl_or_b32 v22, v22, 4, v4
	ds_add_u32 v22, v21 offset:8192
	s_add_i32 s16, s8, 24
	s_cmp_le_u32 s9, s16
	s_cbranch_scc1 .LBB725_368
; %bb.367:
	s_sub_i32 s17, s9, s16
	s_min_u32 s17, s17, 8
	v_lshrrev_b32_e32 v22, s16, v12
	v_bfe_u32 v22, v22, 0, s17
	v_lshl_or_b32 v22, v22, 4, v4
	v_mov_b32_e32 v23, 1
	ds_add_u32 v22, v23 offset:12288
.LBB725_368:
	v_lshl_or_b32 v5, v5, 4, v4
	ds_add_u32 v5, v21
	v_lshrrev_b32_e32 v5, s12, v11
	v_and_b32_e32 v5, s15, v5
	v_lshl_or_b32 v5, v5, 4, v4
	ds_add_u32 v5, v21 offset:4096
	s_andn2_b64 vcc, exec, s[10:11]
	s_cbranch_vccnz .LBB725_371
; %bb.369:
	s_sub_i32 s10, s9, s14
	s_min_u32 s10, s10, 8
	v_lshrrev_b32_e32 v5, s14, v11
	v_bfe_u32 v5, v5, 0, s10
	v_lshl_or_b32 v5, v5, 4, v4
	v_mov_b32_e32 v21, 1
	ds_add_u32 v5, v21 offset:8192
	s_add_i32 s10, s8, 24
	s_cmp_gt_u32 s9, s10
                                        ; implicit-def: $vgpr21
	s_cbranch_scc0 .LBB725_372
; %bb.370:
	s_sub_i32 s4, s9, s10
	s_min_u32 s4, s4, 8
	v_lshrrev_b32_e32 v5, s10, v11
	v_bfe_u32 v5, v5, 0, s4
	v_mov_b32_e32 v21, 0x3000
	v_lshl_add_u32 v21, v5, 4, v21
	s_mov_b64 s[4:5], -1
	s_branch .LBB725_372
.LBB725_371:
                                        ; implicit-def: $vgpr21
.LBB725_372:
	s_and_b64 vcc, exec, s[4:5]
	s_cbranch_vccz .LBB725_374
; %bb.373:
	v_lshl_add_u32 v5, v3, 2, v21
	v_mov_b32_e32 v21, 1
	ds_add_u32 v5, v21
.LBB725_374:
	v_lshrrev_b32_e32 v5, s8, v10
	v_and_b32_e32 v5, s13, v5
	v_lshl_or_b32 v5, v5, 4, v4
	v_mov_b32_e32 v21, 1
	ds_add_u32 v5, v21
	v_lshrrev_b32_e32 v5, s8, v8
	s_and_b64 vcc, exec, s[2:3]
	v_and_b32_e32 v5, s13, v5
	s_cbranch_vccz .LBB725_376
; %bb.375:
	v_lshlrev_b32_e32 v21, 4, v5
	s_mov_b64 s[4:5], -1
	s_cbranch_execz .LBB725_377
	s_branch .LBB725_384
.LBB725_376:
	s_mov_b64 s[4:5], 0
                                        ; implicit-def: $vgpr21
.LBB725_377:
	s_sub_i32 s10, s9, s12
	s_min_u32 s10, s10, 8
	s_lshl_b32 s10, -1, s10
	v_lshrrev_b32_e32 v21, s12, v10
	v_bitop3_b32 v21, v21, s10, v21 bitop3:0x30
	v_lshl_or_b32 v22, v21, 4, v4
	v_mov_b32_e32 v21, 1
	ds_add_u32 v22, v21 offset:4096
	s_not_b32 s15, s10
	s_add_i32 s14, s8, 16
	s_cmp_gt_u32 s9, s14
	s_cselect_b64 s[10:11], -1, 0
	s_cmp_le_u32 s9, s14
	s_cbranch_scc1 .LBB725_380
; %bb.378:
	s_sub_i32 s16, s9, s14
	s_min_u32 s16, s16, 8
	v_lshrrev_b32_e32 v22, s14, v10
	v_bfe_u32 v22, v22, 0, s16
	v_lshl_or_b32 v22, v22, 4, v4
	ds_add_u32 v22, v21 offset:8192
	s_add_i32 s16, s8, 24
	s_cmp_le_u32 s9, s16
	s_cbranch_scc1 .LBB725_380
; %bb.379:
	s_sub_i32 s17, s9, s16
	s_min_u32 s17, s17, 8
	v_lshrrev_b32_e32 v22, s16, v10
	v_bfe_u32 v22, v22, 0, s17
	v_lshl_or_b32 v22, v22, 4, v4
	v_mov_b32_e32 v23, 1
	ds_add_u32 v22, v23 offset:12288
.LBB725_380:
	v_lshl_or_b32 v5, v5, 4, v4
	ds_add_u32 v5, v21
	v_lshrrev_b32_e32 v5, s12, v8
	v_and_b32_e32 v5, s15, v5
	v_lshl_or_b32 v5, v5, 4, v4
	ds_add_u32 v5, v21 offset:4096
	s_andn2_b64 vcc, exec, s[10:11]
	s_cbranch_vccnz .LBB725_383
; %bb.381:
	s_sub_i32 s10, s9, s14
	s_min_u32 s10, s10, 8
	v_lshrrev_b32_e32 v5, s14, v8
	v_bfe_u32 v5, v5, 0, s10
	v_lshl_or_b32 v5, v5, 4, v4
	v_mov_b32_e32 v21, 1
	ds_add_u32 v5, v21 offset:8192
	s_add_i32 s10, s8, 24
	s_cmp_gt_u32 s9, s10
                                        ; implicit-def: $vgpr21
	s_cbranch_scc0 .LBB725_384
; %bb.382:
	s_sub_i32 s4, s9, s10
	s_min_u32 s4, s4, 8
	v_lshrrev_b32_e32 v5, s10, v8
	v_bfe_u32 v5, v5, 0, s4
	v_mov_b32_e32 v21, 0x3000
	v_lshl_add_u32 v21, v5, 4, v21
	s_mov_b64 s[4:5], -1
	s_branch .LBB725_384
.LBB725_383:
                                        ; implicit-def: $vgpr21
.LBB725_384:
	s_and_b64 vcc, exec, s[4:5]
	s_cbranch_vccz .LBB725_386
; %bb.385:
	v_lshl_add_u32 v5, v3, 2, v21
	v_mov_b32_e32 v21, 1
	ds_add_u32 v5, v21
.LBB725_386:
	v_lshrrev_b32_e32 v5, s8, v6
	v_and_b32_e32 v5, s13, v5
	v_lshl_or_b32 v5, v5, 4, v4
	v_mov_b32_e32 v21, 1
	ds_add_u32 v5, v21
	s_waitcnt vmcnt(2)
	v_lshrrev_b32_e32 v5, s8, v9
	s_and_b64 vcc, exec, s[2:3]
	v_and_b32_e32 v5, s13, v5
	s_cbranch_vccz .LBB725_388
; %bb.387:
	v_lshlrev_b32_e32 v21, 4, v5
	s_mov_b64 s[4:5], -1
	s_cbranch_execz .LBB725_389
	s_branch .LBB725_396
.LBB725_388:
	s_mov_b64 s[4:5], 0
                                        ; implicit-def: $vgpr21
.LBB725_389:
	s_sub_i32 s10, s9, s12
	s_min_u32 s10, s10, 8
	s_lshl_b32 s10, -1, s10
	v_lshrrev_b32_e32 v21, s12, v6
	v_bitop3_b32 v21, v21, s10, v21 bitop3:0x30
	v_lshl_or_b32 v22, v21, 4, v4
	v_mov_b32_e32 v21, 1
	ds_add_u32 v22, v21 offset:4096
	s_not_b32 s15, s10
	s_add_i32 s14, s8, 16
	s_cmp_gt_u32 s9, s14
	s_cselect_b64 s[10:11], -1, 0
	s_cmp_le_u32 s9, s14
	s_cbranch_scc1 .LBB725_392
; %bb.390:
	s_sub_i32 s16, s9, s14
	s_min_u32 s16, s16, 8
	v_lshrrev_b32_e32 v22, s14, v6
	v_bfe_u32 v22, v22, 0, s16
	v_lshl_or_b32 v22, v22, 4, v4
	ds_add_u32 v22, v21 offset:8192
	s_add_i32 s16, s8, 24
	s_cmp_le_u32 s9, s16
	s_cbranch_scc1 .LBB725_392
; %bb.391:
	s_sub_i32 s17, s9, s16
	s_min_u32 s17, s17, 8
	v_lshrrev_b32_e32 v22, s16, v6
	v_bfe_u32 v22, v22, 0, s17
	v_lshl_or_b32 v22, v22, 4, v4
	v_mov_b32_e32 v23, 1
	ds_add_u32 v22, v23 offset:12288
.LBB725_392:
	v_lshl_or_b32 v5, v5, 4, v4
	ds_add_u32 v5, v21
	v_lshrrev_b32_e32 v5, s12, v9
	v_and_b32_e32 v5, s15, v5
	v_lshl_or_b32 v5, v5, 4, v4
	ds_add_u32 v5, v21 offset:4096
	s_andn2_b64 vcc, exec, s[10:11]
	s_cbranch_vccnz .LBB725_395
; %bb.393:
	s_sub_i32 s10, s9, s14
	s_min_u32 s10, s10, 8
	v_lshrrev_b32_e32 v5, s14, v9
	v_bfe_u32 v5, v5, 0, s10
	v_lshl_or_b32 v5, v5, 4, v4
	v_mov_b32_e32 v21, 1
	ds_add_u32 v5, v21 offset:8192
	s_add_i32 s10, s8, 24
	s_cmp_gt_u32 s9, s10
                                        ; implicit-def: $vgpr21
	s_cbranch_scc0 .LBB725_396
; %bb.394:
	s_sub_i32 s4, s9, s10
	s_min_u32 s4, s4, 8
	v_lshrrev_b32_e32 v5, s10, v9
	v_bfe_u32 v5, v5, 0, s4
	v_mov_b32_e32 v21, 0x3000
	v_lshl_add_u32 v21, v5, 4, v21
	s_mov_b64 s[4:5], -1
	s_branch .LBB725_396
.LBB725_395:
                                        ; implicit-def: $vgpr21
.LBB725_396:
	s_and_b64 vcc, exec, s[4:5]
	s_cbranch_vccz .LBB725_398
; %bb.397:
	v_lshl_add_u32 v5, v3, 2, v21
	v_mov_b32_e32 v21, 1
	ds_add_u32 v5, v21
.LBB725_398:
	s_waitcnt vmcnt(1)
	v_lshrrev_b32_e32 v5, s8, v7
	v_and_b32_e32 v5, s13, v5
	v_lshl_or_b32 v5, v5, 4, v4
	v_mov_b32_e32 v21, 1
	ds_add_u32 v5, v21
	s_waitcnt vmcnt(0)
	v_lshrrev_b32_e32 v5, s8, v1
	s_and_b64 vcc, exec, s[2:3]
	v_and_b32_e32 v5, s13, v5
	s_cbranch_vccz .LBB725_400
; %bb.399:
	v_lshlrev_b32_e32 v21, 4, v5
	s_mov_b64 s[2:3], -1
	s_cbranch_execz .LBB725_401
	s_branch .LBB725_408
.LBB725_400:
	s_mov_b64 s[2:3], 0
                                        ; implicit-def: $vgpr21
.LBB725_401:
	s_sub_i32 s4, s9, s12
	s_min_u32 s4, s4, 8
	s_lshl_b32 s4, -1, s4
	v_lshrrev_b32_e32 v21, s12, v7
	v_bitop3_b32 v21, v21, s4, v21 bitop3:0x30
	v_lshl_or_b32 v22, v21, 4, v4
	v_mov_b32_e32 v21, 1
	ds_add_u32 v22, v21 offset:4096
	s_not_b32 s11, s4
	s_add_i32 s10, s8, 16
	s_cmp_gt_u32 s9, s10
	s_cselect_b64 s[4:5], -1, 0
	s_cmp_le_u32 s9, s10
	s_cbranch_scc1 .LBB725_404
; %bb.402:
	s_sub_i32 s13, s9, s10
	s_min_u32 s13, s13, 8
	v_lshrrev_b32_e32 v22, s10, v7
	v_bfe_u32 v22, v22, 0, s13
	v_lshl_or_b32 v22, v22, 4, v4
	ds_add_u32 v22, v21 offset:8192
	s_add_i32 s13, s8, 24
	s_cmp_le_u32 s9, s13
	s_cbranch_scc1 .LBB725_404
; %bb.403:
	s_sub_i32 s14, s9, s13
	s_min_u32 s14, s14, 8
	v_lshrrev_b32_e32 v22, s13, v7
	v_bfe_u32 v22, v22, 0, s14
	v_lshl_or_b32 v22, v22, 4, v4
	v_mov_b32_e32 v23, 1
	ds_add_u32 v22, v23 offset:12288
.LBB725_404:
	v_lshl_or_b32 v5, v5, 4, v4
	ds_add_u32 v5, v21
	v_lshrrev_b32_e32 v5, s12, v1
	v_and_b32_e32 v5, s11, v5
	v_lshl_or_b32 v5, v5, 4, v4
	ds_add_u32 v5, v21 offset:4096
	s_andn2_b64 vcc, exec, s[4:5]
	s_cbranch_vccnz .LBB725_407
; %bb.405:
	s_sub_i32 s4, s9, s10
	s_min_u32 s4, s4, 8
	v_lshrrev_b32_e32 v5, s10, v1
	v_bfe_u32 v5, v5, 0, s4
	v_lshl_or_b32 v4, v5, 4, v4
	v_mov_b32_e32 v5, 1
	ds_add_u32 v4, v5 offset:8192
	s_add_i32 s4, s8, 24
	s_cmp_gt_u32 s9, s4
                                        ; implicit-def: $vgpr21
	s_cbranch_scc0 .LBB725_408
; %bb.406:
	s_sub_i32 s2, s9, s4
	s_min_u32 s2, s2, 8
	v_lshrrev_b32_e32 v4, s4, v1
	v_bfe_u32 v4, v4, 0, s2
	v_mov_b32_e32 v5, 0x3000
	v_lshl_add_u32 v21, v4, 4, v5
	s_mov_b64 s[2:3], -1
	s_branch .LBB725_408
.LBB725_407:
                                        ; implicit-def: $vgpr21
.LBB725_408:
	s_and_b64 vcc, exec, s[2:3]
	s_cbranch_vccz .LBB725_410
; %bb.409:
	v_lshl_add_u32 v3, v3, 2, v21
	v_mov_b32_e32 v4, 1
	ds_add_u32 v3, v4
.LBB725_410:
	s_and_b64 vcc, exec, s[0:1]
	s_waitcnt lgkmcnt(0)
	s_barrier
	s_cbranch_vccz .LBB725_415
; %bb.411:
	s_movk_i32 s0, 0x100
	v_cmp_gt_u32_e32 vcc, s0, v0
	v_lshlrev_b32_e32 v3, 4, v0
	v_mov_b32_e32 v5, 0
	v_mov_b32_e32 v4, v0
	s_branch .LBB725_413
.LBB725_412:                            ;   in Loop: Header=BB725_413 Depth=1
	s_or_b64 exec, exec, s[0:1]
	s_add_i32 s8, s8, 8
	v_add_u32_e32 v4, 0x100, v4
	s_cmp_ge_u32 s8, s9
	v_add_u32_e32 v3, 0x1000, v3
	s_cbranch_scc1 .LBB725_415
.LBB725_413:                            ; =>This Inner Loop Header: Depth=1
	s_and_saveexec_b64 s[0:1], vcc
	s_cbranch_execz .LBB725_412
; %bb.414:                              ;   in Loop: Header=BB725_413 Depth=1
	ds_read2_b32 v[22:23], v3 offset1:1
	ds_read2_b32 v[24:25], v3 offset0:2 offset1:3
	s_waitcnt lgkmcnt(1)
	v_add_u32_e32 v21, v23, v22
	s_waitcnt lgkmcnt(0)
	v_add3_u32 v21, v21, v24, v25
	v_lshl_add_u64 v[22:23], v[4:5], 2, s[6:7]
	global_atomic_add v[22:23], v21, off
	s_branch .LBB725_412
.LBB725_415:
	s_mov_b64 s[0:1], 0
.LBB725_416:
	s_and_b64 vcc, exec, s[0:1]
	s_cbranch_vccz .LBB725_419
; %bb.417:
	v_mov_b32_e32 v3, 0
	ds_write2st64_b32 v2, v3, v3 offset1:16
	ds_write2st64_b32 v2, v3, v3 offset0:32 offset1:48
	v_and_b32_e32 v3, 3, v0
	s_waitcnt vmcnt(7)
	v_lshlrev_b32_e32 v4, 4, v20
	v_lshlrev_b32_e32 v3, 2, v3
	s_movk_i32 s0, 0xff0
	v_and_or_b32 v4, v4, s0, v3
	v_mov_b32_e32 v5, 1
	s_waitcnt lgkmcnt(0)
	s_barrier
	ds_add_u32 v4, v5
	v_bfe_u32 v4, v20, 8, 8
	v_lshl_or_b32 v4, v4, 4, v3
	ds_add_u32 v4, v5 offset:4096
	v_bfe_u32 v4, v20, 16, 8
	v_lshl_or_b32 v4, v4, 4, v3
	ds_add_u32 v4, v5 offset:8192
	v_lshrrev_b32_e32 v4, 24, v20
	v_lshl_or_b32 v4, v4, 4, v3
	ds_add_u32 v4, v5 offset:12288
	s_waitcnt vmcnt(6)
	v_lshlrev_b32_e32 v4, 4, v19
	v_and_or_b32 v4, v4, s0, v3
	ds_add_u32 v4, v5
	v_bfe_u32 v4, v19, 8, 8
	v_lshl_or_b32 v4, v4, 4, v3
	ds_add_u32 v4, v5 offset:4096
	v_bfe_u32 v4, v19, 16, 8
	v_lshl_or_b32 v4, v4, 4, v3
	ds_add_u32 v4, v5 offset:8192
	v_lshrrev_b32_e32 v4, 24, v19
	v_lshl_or_b32 v4, v4, 4, v3
	ds_add_u32 v4, v5 offset:12288
	s_waitcnt vmcnt(5)
	v_lshlrev_b32_e32 v4, 4, v18
	v_and_or_b32 v4, v4, s0, v3
	;; [unrolled: 13-line block ×4, first 2 shown]
	ds_add_u32 v4, v5
	v_bfe_u32 v4, v16, 8, 8
	v_lshl_or_b32 v4, v4, 4, v3
	ds_add_u32 v4, v5 offset:4096
	v_bfe_u32 v4, v16, 16, 8
	v_lshl_or_b32 v4, v4, 4, v3
	ds_add_u32 v4, v5 offset:8192
	v_lshrrev_b32_e32 v4, 24, v16
	v_lshl_or_b32 v4, v4, 4, v3
	ds_add_u32 v4, v5 offset:12288
	v_lshlrev_b32_e32 v4, 4, v15
	v_and_or_b32 v4, v4, s0, v3
	ds_add_u32 v4, v5
	v_bfe_u32 v4, v15, 8, 8
	v_lshl_or_b32 v4, v4, 4, v3
	ds_add_u32 v4, v5 offset:4096
	v_bfe_u32 v4, v15, 16, 8
	v_lshl_or_b32 v4, v4, 4, v3
	ds_add_u32 v4, v5 offset:8192
	v_lshrrev_b32_e32 v4, 24, v15
	v_lshl_or_b32 v4, v4, 4, v3
	ds_add_u32 v4, v5 offset:12288
	v_lshlrev_b32_e32 v4, 4, v14
	v_and_or_b32 v4, v4, s0, v3
	;; [unrolled: 12-line block ×8, first 2 shown]
	ds_add_u32 v4, v5
	v_bfe_u32 v4, v6, 8, 8
	v_lshl_or_b32 v4, v4, 4, v3
	ds_add_u32 v4, v5 offset:4096
	v_bfe_u32 v4, v6, 16, 8
	v_lshl_or_b32 v4, v4, 4, v3
	ds_add_u32 v4, v5 offset:8192
	v_lshrrev_b32_e32 v4, 24, v6
	v_lshl_or_b32 v4, v4, 4, v3
	ds_add_u32 v4, v5 offset:12288
	s_waitcnt vmcnt(2)
	v_lshlrev_b32_e32 v4, 4, v9
	v_and_or_b32 v4, v4, s0, v3
	ds_add_u32 v4, v5
	v_bfe_u32 v4, v9, 8, 8
	v_lshl_or_b32 v4, v4, 4, v3
	ds_add_u32 v4, v5 offset:4096
	v_bfe_u32 v4, v9, 16, 8
	v_lshl_or_b32 v4, v4, 4, v3
	ds_add_u32 v4, v5 offset:8192
	v_lshrrev_b32_e32 v4, 24, v9
	v_lshl_or_b32 v4, v4, 4, v3
	ds_add_u32 v4, v5 offset:12288
	s_waitcnt vmcnt(1)
	v_lshlrev_b32_e32 v4, 4, v7
	v_and_or_b32 v4, v4, s0, v3
	;; [unrolled: 13-line block ×3, first 2 shown]
	ds_add_u32 v4, v5
	v_bfe_u32 v4, v1, 8, 8
	v_lshl_or_b32 v4, v4, 4, v3
	ds_add_u32 v4, v5 offset:4096
	v_bfe_u32 v4, v1, 16, 8
	v_lshl_or_b32 v4, v4, 4, v3
	v_lshrrev_b32_e32 v1, 24, v1
	ds_add_u32 v4, v5 offset:8192
	v_lshl_or_b32 v1, v1, 4, v3
	ds_add_u32 v1, v5 offset:12288
	s_movk_i32 s0, 0x100
	v_cmp_gt_u32_e32 vcc, s0, v0
	s_waitcnt lgkmcnt(0)
	s_barrier
	s_and_saveexec_b64 s[0:1], vcc
	s_cbranch_execz .LBB725_419
; %bb.418:
	v_lshlrev_b32_e32 v3, 4, v0
	ds_read2_b32 v[0:1], v3 offset1:1
	ds_read2_b32 v[4:5], v3 offset0:2 offset1:3
	v_add_u32_e32 v6, 0x1000, v3
	v_add_u32_e32 v7, 0x1008, v3
	s_waitcnt lgkmcnt(1)
	v_add_u32_e32 v0, v1, v0
	s_waitcnt lgkmcnt(0)
	v_add3_u32 v0, v0, v4, v5
	global_atomic_add v2, v0, s[6:7]
	ds_read2_b32 v[0:1], v6 offset1:1
	ds_read2_b32 v[4:5], v7 offset1:1
	v_add_u32_e32 v6, 0x2000, v3
	v_add_u32_e32 v7, 0x2008, v3
	s_waitcnt lgkmcnt(1)
	v_add_u32_e32 v0, v1, v0
	s_waitcnt lgkmcnt(0)
	v_add3_u32 v0, v0, v4, v5
	global_atomic_add v2, v0, s[6:7] offset:1024
	ds_read2_b32 v[0:1], v6 offset1:1
	ds_read2_b32 v[4:5], v7 offset1:1
	v_add_u32_e32 v6, 0x3000, v3
	v_add_u32_e32 v3, 0x3008, v3
	s_waitcnt lgkmcnt(1)
	v_add_u32_e32 v0, v1, v0
	s_waitcnt lgkmcnt(0)
	v_add3_u32 v0, v0, v4, v5
	global_atomic_add v2, v0, s[6:7] offset:2048
	ds_read2_b32 v[0:1], v6 offset1:1
	ds_read2_b32 v[4:5], v3 offset1:1
	s_waitcnt lgkmcnt(1)
	v_add_u32_e32 v0, v1, v0
	s_waitcnt lgkmcnt(0)
	v_add3_u32 v0, v0, v4, v5
	global_atomic_add v2, v0, s[6:7] offset:3072
.LBB725_419:
	s_endpgm
	.section	.rodata,"a",@progbits
	.p2align	6, 0x0
	.amdhsa_kernel _ZN7rocprim17ROCPRIM_400000_NS6detail17trampoline_kernelINS0_14default_configENS1_35radix_sort_onesweep_config_selectorIjjEEZNS1_34radix_sort_onesweep_global_offsetsIS3_Lb0EN6thrust23THRUST_200600_302600_NS6detail15normal_iteratorINS8_10device_ptrIjEEEESD_jNS0_19identity_decomposerEEE10hipError_tT1_T2_PT3_SI_jT4_jjP12ihipStream_tbEUlT_E_NS1_11comp_targetILNS1_3genE6ELNS1_11target_archE950ELNS1_3gpuE13ELNS1_3repE0EEENS1_52radix_sort_onesweep_histogram_config_static_selectorELNS0_4arch9wavefront6targetE1EEEvSG_
		.amdhsa_group_segment_fixed_size 16384
		.amdhsa_private_segment_fixed_size 0
		.amdhsa_kernarg_size 40
		.amdhsa_user_sgpr_count 2
		.amdhsa_user_sgpr_dispatch_ptr 0
		.amdhsa_user_sgpr_queue_ptr 0
		.amdhsa_user_sgpr_kernarg_segment_ptr 1
		.amdhsa_user_sgpr_dispatch_id 0
		.amdhsa_user_sgpr_kernarg_preload_length 0
		.amdhsa_user_sgpr_kernarg_preload_offset 0
		.amdhsa_user_sgpr_private_segment_size 0
		.amdhsa_uses_dynamic_stack 0
		.amdhsa_enable_private_segment 0
		.amdhsa_system_sgpr_workgroup_id_x 1
		.amdhsa_system_sgpr_workgroup_id_y 0
		.amdhsa_system_sgpr_workgroup_id_z 0
		.amdhsa_system_sgpr_workgroup_info 0
		.amdhsa_system_vgpr_workitem_id 0
		.amdhsa_next_free_vgpr 36
		.amdhsa_next_free_sgpr 19
		.amdhsa_accum_offset 36
		.amdhsa_reserve_vcc 1
		.amdhsa_float_round_mode_32 0
		.amdhsa_float_round_mode_16_64 0
		.amdhsa_float_denorm_mode_32 3
		.amdhsa_float_denorm_mode_16_64 3
		.amdhsa_dx10_clamp 1
		.amdhsa_ieee_mode 1
		.amdhsa_fp16_overflow 0
		.amdhsa_tg_split 0
		.amdhsa_exception_fp_ieee_invalid_op 0
		.amdhsa_exception_fp_denorm_src 0
		.amdhsa_exception_fp_ieee_div_zero 0
		.amdhsa_exception_fp_ieee_overflow 0
		.amdhsa_exception_fp_ieee_underflow 0
		.amdhsa_exception_fp_ieee_inexact 0
		.amdhsa_exception_int_div_zero 0
	.end_amdhsa_kernel
	.section	.text._ZN7rocprim17ROCPRIM_400000_NS6detail17trampoline_kernelINS0_14default_configENS1_35radix_sort_onesweep_config_selectorIjjEEZNS1_34radix_sort_onesweep_global_offsetsIS3_Lb0EN6thrust23THRUST_200600_302600_NS6detail15normal_iteratorINS8_10device_ptrIjEEEESD_jNS0_19identity_decomposerEEE10hipError_tT1_T2_PT3_SI_jT4_jjP12ihipStream_tbEUlT_E_NS1_11comp_targetILNS1_3genE6ELNS1_11target_archE950ELNS1_3gpuE13ELNS1_3repE0EEENS1_52radix_sort_onesweep_histogram_config_static_selectorELNS0_4arch9wavefront6targetE1EEEvSG_,"axG",@progbits,_ZN7rocprim17ROCPRIM_400000_NS6detail17trampoline_kernelINS0_14default_configENS1_35radix_sort_onesweep_config_selectorIjjEEZNS1_34radix_sort_onesweep_global_offsetsIS3_Lb0EN6thrust23THRUST_200600_302600_NS6detail15normal_iteratorINS8_10device_ptrIjEEEESD_jNS0_19identity_decomposerEEE10hipError_tT1_T2_PT3_SI_jT4_jjP12ihipStream_tbEUlT_E_NS1_11comp_targetILNS1_3genE6ELNS1_11target_archE950ELNS1_3gpuE13ELNS1_3repE0EEENS1_52radix_sort_onesweep_histogram_config_static_selectorELNS0_4arch9wavefront6targetE1EEEvSG_,comdat
.Lfunc_end725:
	.size	_ZN7rocprim17ROCPRIM_400000_NS6detail17trampoline_kernelINS0_14default_configENS1_35radix_sort_onesweep_config_selectorIjjEEZNS1_34radix_sort_onesweep_global_offsetsIS3_Lb0EN6thrust23THRUST_200600_302600_NS6detail15normal_iteratorINS8_10device_ptrIjEEEESD_jNS0_19identity_decomposerEEE10hipError_tT1_T2_PT3_SI_jT4_jjP12ihipStream_tbEUlT_E_NS1_11comp_targetILNS1_3genE6ELNS1_11target_archE950ELNS1_3gpuE13ELNS1_3repE0EEENS1_52radix_sort_onesweep_histogram_config_static_selectorELNS0_4arch9wavefront6targetE1EEEvSG_, .Lfunc_end725-_ZN7rocprim17ROCPRIM_400000_NS6detail17trampoline_kernelINS0_14default_configENS1_35radix_sort_onesweep_config_selectorIjjEEZNS1_34radix_sort_onesweep_global_offsetsIS3_Lb0EN6thrust23THRUST_200600_302600_NS6detail15normal_iteratorINS8_10device_ptrIjEEEESD_jNS0_19identity_decomposerEEE10hipError_tT1_T2_PT3_SI_jT4_jjP12ihipStream_tbEUlT_E_NS1_11comp_targetILNS1_3genE6ELNS1_11target_archE950ELNS1_3gpuE13ELNS1_3repE0EEENS1_52radix_sort_onesweep_histogram_config_static_selectorELNS0_4arch9wavefront6targetE1EEEvSG_
                                        ; -- End function
	.set _ZN7rocprim17ROCPRIM_400000_NS6detail17trampoline_kernelINS0_14default_configENS1_35radix_sort_onesweep_config_selectorIjjEEZNS1_34radix_sort_onesweep_global_offsetsIS3_Lb0EN6thrust23THRUST_200600_302600_NS6detail15normal_iteratorINS8_10device_ptrIjEEEESD_jNS0_19identity_decomposerEEE10hipError_tT1_T2_PT3_SI_jT4_jjP12ihipStream_tbEUlT_E_NS1_11comp_targetILNS1_3genE6ELNS1_11target_archE950ELNS1_3gpuE13ELNS1_3repE0EEENS1_52radix_sort_onesweep_histogram_config_static_selectorELNS0_4arch9wavefront6targetE1EEEvSG_.num_vgpr, 36
	.set _ZN7rocprim17ROCPRIM_400000_NS6detail17trampoline_kernelINS0_14default_configENS1_35radix_sort_onesweep_config_selectorIjjEEZNS1_34radix_sort_onesweep_global_offsetsIS3_Lb0EN6thrust23THRUST_200600_302600_NS6detail15normal_iteratorINS8_10device_ptrIjEEEESD_jNS0_19identity_decomposerEEE10hipError_tT1_T2_PT3_SI_jT4_jjP12ihipStream_tbEUlT_E_NS1_11comp_targetILNS1_3genE6ELNS1_11target_archE950ELNS1_3gpuE13ELNS1_3repE0EEENS1_52radix_sort_onesweep_histogram_config_static_selectorELNS0_4arch9wavefront6targetE1EEEvSG_.num_agpr, 0
	.set _ZN7rocprim17ROCPRIM_400000_NS6detail17trampoline_kernelINS0_14default_configENS1_35radix_sort_onesweep_config_selectorIjjEEZNS1_34radix_sort_onesweep_global_offsetsIS3_Lb0EN6thrust23THRUST_200600_302600_NS6detail15normal_iteratorINS8_10device_ptrIjEEEESD_jNS0_19identity_decomposerEEE10hipError_tT1_T2_PT3_SI_jT4_jjP12ihipStream_tbEUlT_E_NS1_11comp_targetILNS1_3genE6ELNS1_11target_archE950ELNS1_3gpuE13ELNS1_3repE0EEENS1_52radix_sort_onesweep_histogram_config_static_selectorELNS0_4arch9wavefront6targetE1EEEvSG_.numbered_sgpr, 19
	.set _ZN7rocprim17ROCPRIM_400000_NS6detail17trampoline_kernelINS0_14default_configENS1_35radix_sort_onesweep_config_selectorIjjEEZNS1_34radix_sort_onesweep_global_offsetsIS3_Lb0EN6thrust23THRUST_200600_302600_NS6detail15normal_iteratorINS8_10device_ptrIjEEEESD_jNS0_19identity_decomposerEEE10hipError_tT1_T2_PT3_SI_jT4_jjP12ihipStream_tbEUlT_E_NS1_11comp_targetILNS1_3genE6ELNS1_11target_archE950ELNS1_3gpuE13ELNS1_3repE0EEENS1_52radix_sort_onesweep_histogram_config_static_selectorELNS0_4arch9wavefront6targetE1EEEvSG_.num_named_barrier, 0
	.set _ZN7rocprim17ROCPRIM_400000_NS6detail17trampoline_kernelINS0_14default_configENS1_35radix_sort_onesweep_config_selectorIjjEEZNS1_34radix_sort_onesweep_global_offsetsIS3_Lb0EN6thrust23THRUST_200600_302600_NS6detail15normal_iteratorINS8_10device_ptrIjEEEESD_jNS0_19identity_decomposerEEE10hipError_tT1_T2_PT3_SI_jT4_jjP12ihipStream_tbEUlT_E_NS1_11comp_targetILNS1_3genE6ELNS1_11target_archE950ELNS1_3gpuE13ELNS1_3repE0EEENS1_52radix_sort_onesweep_histogram_config_static_selectorELNS0_4arch9wavefront6targetE1EEEvSG_.private_seg_size, 0
	.set _ZN7rocprim17ROCPRIM_400000_NS6detail17trampoline_kernelINS0_14default_configENS1_35radix_sort_onesweep_config_selectorIjjEEZNS1_34radix_sort_onesweep_global_offsetsIS3_Lb0EN6thrust23THRUST_200600_302600_NS6detail15normal_iteratorINS8_10device_ptrIjEEEESD_jNS0_19identity_decomposerEEE10hipError_tT1_T2_PT3_SI_jT4_jjP12ihipStream_tbEUlT_E_NS1_11comp_targetILNS1_3genE6ELNS1_11target_archE950ELNS1_3gpuE13ELNS1_3repE0EEENS1_52radix_sort_onesweep_histogram_config_static_selectorELNS0_4arch9wavefront6targetE1EEEvSG_.uses_vcc, 1
	.set _ZN7rocprim17ROCPRIM_400000_NS6detail17trampoline_kernelINS0_14default_configENS1_35radix_sort_onesweep_config_selectorIjjEEZNS1_34radix_sort_onesweep_global_offsetsIS3_Lb0EN6thrust23THRUST_200600_302600_NS6detail15normal_iteratorINS8_10device_ptrIjEEEESD_jNS0_19identity_decomposerEEE10hipError_tT1_T2_PT3_SI_jT4_jjP12ihipStream_tbEUlT_E_NS1_11comp_targetILNS1_3genE6ELNS1_11target_archE950ELNS1_3gpuE13ELNS1_3repE0EEENS1_52radix_sort_onesweep_histogram_config_static_selectorELNS0_4arch9wavefront6targetE1EEEvSG_.uses_flat_scratch, 0
	.set _ZN7rocprim17ROCPRIM_400000_NS6detail17trampoline_kernelINS0_14default_configENS1_35radix_sort_onesweep_config_selectorIjjEEZNS1_34radix_sort_onesweep_global_offsetsIS3_Lb0EN6thrust23THRUST_200600_302600_NS6detail15normal_iteratorINS8_10device_ptrIjEEEESD_jNS0_19identity_decomposerEEE10hipError_tT1_T2_PT3_SI_jT4_jjP12ihipStream_tbEUlT_E_NS1_11comp_targetILNS1_3genE6ELNS1_11target_archE950ELNS1_3gpuE13ELNS1_3repE0EEENS1_52radix_sort_onesweep_histogram_config_static_selectorELNS0_4arch9wavefront6targetE1EEEvSG_.has_dyn_sized_stack, 0
	.set _ZN7rocprim17ROCPRIM_400000_NS6detail17trampoline_kernelINS0_14default_configENS1_35radix_sort_onesweep_config_selectorIjjEEZNS1_34radix_sort_onesweep_global_offsetsIS3_Lb0EN6thrust23THRUST_200600_302600_NS6detail15normal_iteratorINS8_10device_ptrIjEEEESD_jNS0_19identity_decomposerEEE10hipError_tT1_T2_PT3_SI_jT4_jjP12ihipStream_tbEUlT_E_NS1_11comp_targetILNS1_3genE6ELNS1_11target_archE950ELNS1_3gpuE13ELNS1_3repE0EEENS1_52radix_sort_onesweep_histogram_config_static_selectorELNS0_4arch9wavefront6targetE1EEEvSG_.has_recursion, 0
	.set _ZN7rocprim17ROCPRIM_400000_NS6detail17trampoline_kernelINS0_14default_configENS1_35radix_sort_onesweep_config_selectorIjjEEZNS1_34radix_sort_onesweep_global_offsetsIS3_Lb0EN6thrust23THRUST_200600_302600_NS6detail15normal_iteratorINS8_10device_ptrIjEEEESD_jNS0_19identity_decomposerEEE10hipError_tT1_T2_PT3_SI_jT4_jjP12ihipStream_tbEUlT_E_NS1_11comp_targetILNS1_3genE6ELNS1_11target_archE950ELNS1_3gpuE13ELNS1_3repE0EEENS1_52radix_sort_onesweep_histogram_config_static_selectorELNS0_4arch9wavefront6targetE1EEEvSG_.has_indirect_call, 0
	.section	.AMDGPU.csdata,"",@progbits
; Kernel info:
; codeLenInByte = 13468
; TotalNumSgprs: 25
; NumVgprs: 36
; NumAgprs: 0
; TotalNumVgprs: 36
; ScratchSize: 0
; MemoryBound: 0
; FloatMode: 240
; IeeeMode: 1
; LDSByteSize: 16384 bytes/workgroup (compile time only)
; SGPRBlocks: 3
; VGPRBlocks: 4
; NumSGPRsForWavesPerEU: 25
; NumVGPRsForWavesPerEU: 36
; AccumOffset: 36
; Occupancy: 8
; WaveLimiterHint : 1
; COMPUTE_PGM_RSRC2:SCRATCH_EN: 0
; COMPUTE_PGM_RSRC2:USER_SGPR: 2
; COMPUTE_PGM_RSRC2:TRAP_HANDLER: 0
; COMPUTE_PGM_RSRC2:TGID_X_EN: 1
; COMPUTE_PGM_RSRC2:TGID_Y_EN: 0
; COMPUTE_PGM_RSRC2:TGID_Z_EN: 0
; COMPUTE_PGM_RSRC2:TIDIG_COMP_CNT: 0
; COMPUTE_PGM_RSRC3_GFX90A:ACCUM_OFFSET: 8
; COMPUTE_PGM_RSRC3_GFX90A:TG_SPLIT: 0
	.section	.text._ZN7rocprim17ROCPRIM_400000_NS6detail17trampoline_kernelINS0_14default_configENS1_35radix_sort_onesweep_config_selectorIjjEEZNS1_34radix_sort_onesweep_global_offsetsIS3_Lb0EN6thrust23THRUST_200600_302600_NS6detail15normal_iteratorINS8_10device_ptrIjEEEESD_jNS0_19identity_decomposerEEE10hipError_tT1_T2_PT3_SI_jT4_jjP12ihipStream_tbEUlT_E_NS1_11comp_targetILNS1_3genE5ELNS1_11target_archE942ELNS1_3gpuE9ELNS1_3repE0EEENS1_52radix_sort_onesweep_histogram_config_static_selectorELNS0_4arch9wavefront6targetE1EEEvSG_,"axG",@progbits,_ZN7rocprim17ROCPRIM_400000_NS6detail17trampoline_kernelINS0_14default_configENS1_35radix_sort_onesweep_config_selectorIjjEEZNS1_34radix_sort_onesweep_global_offsetsIS3_Lb0EN6thrust23THRUST_200600_302600_NS6detail15normal_iteratorINS8_10device_ptrIjEEEESD_jNS0_19identity_decomposerEEE10hipError_tT1_T2_PT3_SI_jT4_jjP12ihipStream_tbEUlT_E_NS1_11comp_targetILNS1_3genE5ELNS1_11target_archE942ELNS1_3gpuE9ELNS1_3repE0EEENS1_52radix_sort_onesweep_histogram_config_static_selectorELNS0_4arch9wavefront6targetE1EEEvSG_,comdat
	.protected	_ZN7rocprim17ROCPRIM_400000_NS6detail17trampoline_kernelINS0_14default_configENS1_35radix_sort_onesweep_config_selectorIjjEEZNS1_34radix_sort_onesweep_global_offsetsIS3_Lb0EN6thrust23THRUST_200600_302600_NS6detail15normal_iteratorINS8_10device_ptrIjEEEESD_jNS0_19identity_decomposerEEE10hipError_tT1_T2_PT3_SI_jT4_jjP12ihipStream_tbEUlT_E_NS1_11comp_targetILNS1_3genE5ELNS1_11target_archE942ELNS1_3gpuE9ELNS1_3repE0EEENS1_52radix_sort_onesweep_histogram_config_static_selectorELNS0_4arch9wavefront6targetE1EEEvSG_ ; -- Begin function _ZN7rocprim17ROCPRIM_400000_NS6detail17trampoline_kernelINS0_14default_configENS1_35radix_sort_onesweep_config_selectorIjjEEZNS1_34radix_sort_onesweep_global_offsetsIS3_Lb0EN6thrust23THRUST_200600_302600_NS6detail15normal_iteratorINS8_10device_ptrIjEEEESD_jNS0_19identity_decomposerEEE10hipError_tT1_T2_PT3_SI_jT4_jjP12ihipStream_tbEUlT_E_NS1_11comp_targetILNS1_3genE5ELNS1_11target_archE942ELNS1_3gpuE9ELNS1_3repE0EEENS1_52radix_sort_onesweep_histogram_config_static_selectorELNS0_4arch9wavefront6targetE1EEEvSG_
	.globl	_ZN7rocprim17ROCPRIM_400000_NS6detail17trampoline_kernelINS0_14default_configENS1_35radix_sort_onesweep_config_selectorIjjEEZNS1_34radix_sort_onesweep_global_offsetsIS3_Lb0EN6thrust23THRUST_200600_302600_NS6detail15normal_iteratorINS8_10device_ptrIjEEEESD_jNS0_19identity_decomposerEEE10hipError_tT1_T2_PT3_SI_jT4_jjP12ihipStream_tbEUlT_E_NS1_11comp_targetILNS1_3genE5ELNS1_11target_archE942ELNS1_3gpuE9ELNS1_3repE0EEENS1_52radix_sort_onesweep_histogram_config_static_selectorELNS0_4arch9wavefront6targetE1EEEvSG_
	.p2align	8
	.type	_ZN7rocprim17ROCPRIM_400000_NS6detail17trampoline_kernelINS0_14default_configENS1_35radix_sort_onesweep_config_selectorIjjEEZNS1_34radix_sort_onesweep_global_offsetsIS3_Lb0EN6thrust23THRUST_200600_302600_NS6detail15normal_iteratorINS8_10device_ptrIjEEEESD_jNS0_19identity_decomposerEEE10hipError_tT1_T2_PT3_SI_jT4_jjP12ihipStream_tbEUlT_E_NS1_11comp_targetILNS1_3genE5ELNS1_11target_archE942ELNS1_3gpuE9ELNS1_3repE0EEENS1_52radix_sort_onesweep_histogram_config_static_selectorELNS0_4arch9wavefront6targetE1EEEvSG_,@function
_ZN7rocprim17ROCPRIM_400000_NS6detail17trampoline_kernelINS0_14default_configENS1_35radix_sort_onesweep_config_selectorIjjEEZNS1_34radix_sort_onesweep_global_offsetsIS3_Lb0EN6thrust23THRUST_200600_302600_NS6detail15normal_iteratorINS8_10device_ptrIjEEEESD_jNS0_19identity_decomposerEEE10hipError_tT1_T2_PT3_SI_jT4_jjP12ihipStream_tbEUlT_E_NS1_11comp_targetILNS1_3genE5ELNS1_11target_archE942ELNS1_3gpuE9ELNS1_3repE0EEENS1_52radix_sort_onesweep_histogram_config_static_selectorELNS0_4arch9wavefront6targetE1EEEvSG_: ; @_ZN7rocprim17ROCPRIM_400000_NS6detail17trampoline_kernelINS0_14default_configENS1_35radix_sort_onesweep_config_selectorIjjEEZNS1_34radix_sort_onesweep_global_offsetsIS3_Lb0EN6thrust23THRUST_200600_302600_NS6detail15normal_iteratorINS8_10device_ptrIjEEEESD_jNS0_19identity_decomposerEEE10hipError_tT1_T2_PT3_SI_jT4_jjP12ihipStream_tbEUlT_E_NS1_11comp_targetILNS1_3genE5ELNS1_11target_archE942ELNS1_3gpuE9ELNS1_3repE0EEENS1_52radix_sort_onesweep_histogram_config_static_selectorELNS0_4arch9wavefront6targetE1EEEvSG_
; %bb.0:
	.section	.rodata,"a",@progbits
	.p2align	6, 0x0
	.amdhsa_kernel _ZN7rocprim17ROCPRIM_400000_NS6detail17trampoline_kernelINS0_14default_configENS1_35radix_sort_onesweep_config_selectorIjjEEZNS1_34radix_sort_onesweep_global_offsetsIS3_Lb0EN6thrust23THRUST_200600_302600_NS6detail15normal_iteratorINS8_10device_ptrIjEEEESD_jNS0_19identity_decomposerEEE10hipError_tT1_T2_PT3_SI_jT4_jjP12ihipStream_tbEUlT_E_NS1_11comp_targetILNS1_3genE5ELNS1_11target_archE942ELNS1_3gpuE9ELNS1_3repE0EEENS1_52radix_sort_onesweep_histogram_config_static_selectorELNS0_4arch9wavefront6targetE1EEEvSG_
		.amdhsa_group_segment_fixed_size 0
		.amdhsa_private_segment_fixed_size 0
		.amdhsa_kernarg_size 40
		.amdhsa_user_sgpr_count 2
		.amdhsa_user_sgpr_dispatch_ptr 0
		.amdhsa_user_sgpr_queue_ptr 0
		.amdhsa_user_sgpr_kernarg_segment_ptr 1
		.amdhsa_user_sgpr_dispatch_id 0
		.amdhsa_user_sgpr_kernarg_preload_length 0
		.amdhsa_user_sgpr_kernarg_preload_offset 0
		.amdhsa_user_sgpr_private_segment_size 0
		.amdhsa_uses_dynamic_stack 0
		.amdhsa_enable_private_segment 0
		.amdhsa_system_sgpr_workgroup_id_x 1
		.amdhsa_system_sgpr_workgroup_id_y 0
		.amdhsa_system_sgpr_workgroup_id_z 0
		.amdhsa_system_sgpr_workgroup_info 0
		.amdhsa_system_vgpr_workitem_id 0
		.amdhsa_next_free_vgpr 1
		.amdhsa_next_free_sgpr 0
		.amdhsa_accum_offset 4
		.amdhsa_reserve_vcc 0
		.amdhsa_float_round_mode_32 0
		.amdhsa_float_round_mode_16_64 0
		.amdhsa_float_denorm_mode_32 3
		.amdhsa_float_denorm_mode_16_64 3
		.amdhsa_dx10_clamp 1
		.amdhsa_ieee_mode 1
		.amdhsa_fp16_overflow 0
		.amdhsa_tg_split 0
		.amdhsa_exception_fp_ieee_invalid_op 0
		.amdhsa_exception_fp_denorm_src 0
		.amdhsa_exception_fp_ieee_div_zero 0
		.amdhsa_exception_fp_ieee_overflow 0
		.amdhsa_exception_fp_ieee_underflow 0
		.amdhsa_exception_fp_ieee_inexact 0
		.amdhsa_exception_int_div_zero 0
	.end_amdhsa_kernel
	.section	.text._ZN7rocprim17ROCPRIM_400000_NS6detail17trampoline_kernelINS0_14default_configENS1_35radix_sort_onesweep_config_selectorIjjEEZNS1_34radix_sort_onesweep_global_offsetsIS3_Lb0EN6thrust23THRUST_200600_302600_NS6detail15normal_iteratorINS8_10device_ptrIjEEEESD_jNS0_19identity_decomposerEEE10hipError_tT1_T2_PT3_SI_jT4_jjP12ihipStream_tbEUlT_E_NS1_11comp_targetILNS1_3genE5ELNS1_11target_archE942ELNS1_3gpuE9ELNS1_3repE0EEENS1_52radix_sort_onesweep_histogram_config_static_selectorELNS0_4arch9wavefront6targetE1EEEvSG_,"axG",@progbits,_ZN7rocprim17ROCPRIM_400000_NS6detail17trampoline_kernelINS0_14default_configENS1_35radix_sort_onesweep_config_selectorIjjEEZNS1_34radix_sort_onesweep_global_offsetsIS3_Lb0EN6thrust23THRUST_200600_302600_NS6detail15normal_iteratorINS8_10device_ptrIjEEEESD_jNS0_19identity_decomposerEEE10hipError_tT1_T2_PT3_SI_jT4_jjP12ihipStream_tbEUlT_E_NS1_11comp_targetILNS1_3genE5ELNS1_11target_archE942ELNS1_3gpuE9ELNS1_3repE0EEENS1_52radix_sort_onesweep_histogram_config_static_selectorELNS0_4arch9wavefront6targetE1EEEvSG_,comdat
.Lfunc_end726:
	.size	_ZN7rocprim17ROCPRIM_400000_NS6detail17trampoline_kernelINS0_14default_configENS1_35radix_sort_onesweep_config_selectorIjjEEZNS1_34radix_sort_onesweep_global_offsetsIS3_Lb0EN6thrust23THRUST_200600_302600_NS6detail15normal_iteratorINS8_10device_ptrIjEEEESD_jNS0_19identity_decomposerEEE10hipError_tT1_T2_PT3_SI_jT4_jjP12ihipStream_tbEUlT_E_NS1_11comp_targetILNS1_3genE5ELNS1_11target_archE942ELNS1_3gpuE9ELNS1_3repE0EEENS1_52radix_sort_onesweep_histogram_config_static_selectorELNS0_4arch9wavefront6targetE1EEEvSG_, .Lfunc_end726-_ZN7rocprim17ROCPRIM_400000_NS6detail17trampoline_kernelINS0_14default_configENS1_35radix_sort_onesweep_config_selectorIjjEEZNS1_34radix_sort_onesweep_global_offsetsIS3_Lb0EN6thrust23THRUST_200600_302600_NS6detail15normal_iteratorINS8_10device_ptrIjEEEESD_jNS0_19identity_decomposerEEE10hipError_tT1_T2_PT3_SI_jT4_jjP12ihipStream_tbEUlT_E_NS1_11comp_targetILNS1_3genE5ELNS1_11target_archE942ELNS1_3gpuE9ELNS1_3repE0EEENS1_52radix_sort_onesweep_histogram_config_static_selectorELNS0_4arch9wavefront6targetE1EEEvSG_
                                        ; -- End function
	.set _ZN7rocprim17ROCPRIM_400000_NS6detail17trampoline_kernelINS0_14default_configENS1_35radix_sort_onesweep_config_selectorIjjEEZNS1_34radix_sort_onesweep_global_offsetsIS3_Lb0EN6thrust23THRUST_200600_302600_NS6detail15normal_iteratorINS8_10device_ptrIjEEEESD_jNS0_19identity_decomposerEEE10hipError_tT1_T2_PT3_SI_jT4_jjP12ihipStream_tbEUlT_E_NS1_11comp_targetILNS1_3genE5ELNS1_11target_archE942ELNS1_3gpuE9ELNS1_3repE0EEENS1_52radix_sort_onesweep_histogram_config_static_selectorELNS0_4arch9wavefront6targetE1EEEvSG_.num_vgpr, 0
	.set _ZN7rocprim17ROCPRIM_400000_NS6detail17trampoline_kernelINS0_14default_configENS1_35radix_sort_onesweep_config_selectorIjjEEZNS1_34radix_sort_onesweep_global_offsetsIS3_Lb0EN6thrust23THRUST_200600_302600_NS6detail15normal_iteratorINS8_10device_ptrIjEEEESD_jNS0_19identity_decomposerEEE10hipError_tT1_T2_PT3_SI_jT4_jjP12ihipStream_tbEUlT_E_NS1_11comp_targetILNS1_3genE5ELNS1_11target_archE942ELNS1_3gpuE9ELNS1_3repE0EEENS1_52radix_sort_onesweep_histogram_config_static_selectorELNS0_4arch9wavefront6targetE1EEEvSG_.num_agpr, 0
	.set _ZN7rocprim17ROCPRIM_400000_NS6detail17trampoline_kernelINS0_14default_configENS1_35radix_sort_onesweep_config_selectorIjjEEZNS1_34radix_sort_onesweep_global_offsetsIS3_Lb0EN6thrust23THRUST_200600_302600_NS6detail15normal_iteratorINS8_10device_ptrIjEEEESD_jNS0_19identity_decomposerEEE10hipError_tT1_T2_PT3_SI_jT4_jjP12ihipStream_tbEUlT_E_NS1_11comp_targetILNS1_3genE5ELNS1_11target_archE942ELNS1_3gpuE9ELNS1_3repE0EEENS1_52radix_sort_onesweep_histogram_config_static_selectorELNS0_4arch9wavefront6targetE1EEEvSG_.numbered_sgpr, 0
	.set _ZN7rocprim17ROCPRIM_400000_NS6detail17trampoline_kernelINS0_14default_configENS1_35radix_sort_onesweep_config_selectorIjjEEZNS1_34radix_sort_onesweep_global_offsetsIS3_Lb0EN6thrust23THRUST_200600_302600_NS6detail15normal_iteratorINS8_10device_ptrIjEEEESD_jNS0_19identity_decomposerEEE10hipError_tT1_T2_PT3_SI_jT4_jjP12ihipStream_tbEUlT_E_NS1_11comp_targetILNS1_3genE5ELNS1_11target_archE942ELNS1_3gpuE9ELNS1_3repE0EEENS1_52radix_sort_onesweep_histogram_config_static_selectorELNS0_4arch9wavefront6targetE1EEEvSG_.num_named_barrier, 0
	.set _ZN7rocprim17ROCPRIM_400000_NS6detail17trampoline_kernelINS0_14default_configENS1_35radix_sort_onesweep_config_selectorIjjEEZNS1_34radix_sort_onesweep_global_offsetsIS3_Lb0EN6thrust23THRUST_200600_302600_NS6detail15normal_iteratorINS8_10device_ptrIjEEEESD_jNS0_19identity_decomposerEEE10hipError_tT1_T2_PT3_SI_jT4_jjP12ihipStream_tbEUlT_E_NS1_11comp_targetILNS1_3genE5ELNS1_11target_archE942ELNS1_3gpuE9ELNS1_3repE0EEENS1_52radix_sort_onesweep_histogram_config_static_selectorELNS0_4arch9wavefront6targetE1EEEvSG_.private_seg_size, 0
	.set _ZN7rocprim17ROCPRIM_400000_NS6detail17trampoline_kernelINS0_14default_configENS1_35radix_sort_onesweep_config_selectorIjjEEZNS1_34radix_sort_onesweep_global_offsetsIS3_Lb0EN6thrust23THRUST_200600_302600_NS6detail15normal_iteratorINS8_10device_ptrIjEEEESD_jNS0_19identity_decomposerEEE10hipError_tT1_T2_PT3_SI_jT4_jjP12ihipStream_tbEUlT_E_NS1_11comp_targetILNS1_3genE5ELNS1_11target_archE942ELNS1_3gpuE9ELNS1_3repE0EEENS1_52radix_sort_onesweep_histogram_config_static_selectorELNS0_4arch9wavefront6targetE1EEEvSG_.uses_vcc, 0
	.set _ZN7rocprim17ROCPRIM_400000_NS6detail17trampoline_kernelINS0_14default_configENS1_35radix_sort_onesweep_config_selectorIjjEEZNS1_34radix_sort_onesweep_global_offsetsIS3_Lb0EN6thrust23THRUST_200600_302600_NS6detail15normal_iteratorINS8_10device_ptrIjEEEESD_jNS0_19identity_decomposerEEE10hipError_tT1_T2_PT3_SI_jT4_jjP12ihipStream_tbEUlT_E_NS1_11comp_targetILNS1_3genE5ELNS1_11target_archE942ELNS1_3gpuE9ELNS1_3repE0EEENS1_52radix_sort_onesweep_histogram_config_static_selectorELNS0_4arch9wavefront6targetE1EEEvSG_.uses_flat_scratch, 0
	.set _ZN7rocprim17ROCPRIM_400000_NS6detail17trampoline_kernelINS0_14default_configENS1_35radix_sort_onesweep_config_selectorIjjEEZNS1_34radix_sort_onesweep_global_offsetsIS3_Lb0EN6thrust23THRUST_200600_302600_NS6detail15normal_iteratorINS8_10device_ptrIjEEEESD_jNS0_19identity_decomposerEEE10hipError_tT1_T2_PT3_SI_jT4_jjP12ihipStream_tbEUlT_E_NS1_11comp_targetILNS1_3genE5ELNS1_11target_archE942ELNS1_3gpuE9ELNS1_3repE0EEENS1_52radix_sort_onesweep_histogram_config_static_selectorELNS0_4arch9wavefront6targetE1EEEvSG_.has_dyn_sized_stack, 0
	.set _ZN7rocprim17ROCPRIM_400000_NS6detail17trampoline_kernelINS0_14default_configENS1_35radix_sort_onesweep_config_selectorIjjEEZNS1_34radix_sort_onesweep_global_offsetsIS3_Lb0EN6thrust23THRUST_200600_302600_NS6detail15normal_iteratorINS8_10device_ptrIjEEEESD_jNS0_19identity_decomposerEEE10hipError_tT1_T2_PT3_SI_jT4_jjP12ihipStream_tbEUlT_E_NS1_11comp_targetILNS1_3genE5ELNS1_11target_archE942ELNS1_3gpuE9ELNS1_3repE0EEENS1_52radix_sort_onesweep_histogram_config_static_selectorELNS0_4arch9wavefront6targetE1EEEvSG_.has_recursion, 0
	.set _ZN7rocprim17ROCPRIM_400000_NS6detail17trampoline_kernelINS0_14default_configENS1_35radix_sort_onesweep_config_selectorIjjEEZNS1_34radix_sort_onesweep_global_offsetsIS3_Lb0EN6thrust23THRUST_200600_302600_NS6detail15normal_iteratorINS8_10device_ptrIjEEEESD_jNS0_19identity_decomposerEEE10hipError_tT1_T2_PT3_SI_jT4_jjP12ihipStream_tbEUlT_E_NS1_11comp_targetILNS1_3genE5ELNS1_11target_archE942ELNS1_3gpuE9ELNS1_3repE0EEENS1_52radix_sort_onesweep_histogram_config_static_selectorELNS0_4arch9wavefront6targetE1EEEvSG_.has_indirect_call, 0
	.section	.AMDGPU.csdata,"",@progbits
; Kernel info:
; codeLenInByte = 0
; TotalNumSgprs: 6
; NumVgprs: 0
; NumAgprs: 0
; TotalNumVgprs: 0
; ScratchSize: 0
; MemoryBound: 0
; FloatMode: 240
; IeeeMode: 1
; LDSByteSize: 0 bytes/workgroup (compile time only)
; SGPRBlocks: 0
; VGPRBlocks: 0
; NumSGPRsForWavesPerEU: 6
; NumVGPRsForWavesPerEU: 1
; AccumOffset: 4
; Occupancy: 8
; WaveLimiterHint : 0
; COMPUTE_PGM_RSRC2:SCRATCH_EN: 0
; COMPUTE_PGM_RSRC2:USER_SGPR: 2
; COMPUTE_PGM_RSRC2:TRAP_HANDLER: 0
; COMPUTE_PGM_RSRC2:TGID_X_EN: 1
; COMPUTE_PGM_RSRC2:TGID_Y_EN: 0
; COMPUTE_PGM_RSRC2:TGID_Z_EN: 0
; COMPUTE_PGM_RSRC2:TIDIG_COMP_CNT: 0
; COMPUTE_PGM_RSRC3_GFX90A:ACCUM_OFFSET: 0
; COMPUTE_PGM_RSRC3_GFX90A:TG_SPLIT: 0
	.section	.text._ZN7rocprim17ROCPRIM_400000_NS6detail17trampoline_kernelINS0_14default_configENS1_35radix_sort_onesweep_config_selectorIjjEEZNS1_34radix_sort_onesweep_global_offsetsIS3_Lb0EN6thrust23THRUST_200600_302600_NS6detail15normal_iteratorINS8_10device_ptrIjEEEESD_jNS0_19identity_decomposerEEE10hipError_tT1_T2_PT3_SI_jT4_jjP12ihipStream_tbEUlT_E_NS1_11comp_targetILNS1_3genE2ELNS1_11target_archE906ELNS1_3gpuE6ELNS1_3repE0EEENS1_52radix_sort_onesweep_histogram_config_static_selectorELNS0_4arch9wavefront6targetE1EEEvSG_,"axG",@progbits,_ZN7rocprim17ROCPRIM_400000_NS6detail17trampoline_kernelINS0_14default_configENS1_35radix_sort_onesweep_config_selectorIjjEEZNS1_34radix_sort_onesweep_global_offsetsIS3_Lb0EN6thrust23THRUST_200600_302600_NS6detail15normal_iteratorINS8_10device_ptrIjEEEESD_jNS0_19identity_decomposerEEE10hipError_tT1_T2_PT3_SI_jT4_jjP12ihipStream_tbEUlT_E_NS1_11comp_targetILNS1_3genE2ELNS1_11target_archE906ELNS1_3gpuE6ELNS1_3repE0EEENS1_52radix_sort_onesweep_histogram_config_static_selectorELNS0_4arch9wavefront6targetE1EEEvSG_,comdat
	.protected	_ZN7rocprim17ROCPRIM_400000_NS6detail17trampoline_kernelINS0_14default_configENS1_35radix_sort_onesweep_config_selectorIjjEEZNS1_34radix_sort_onesweep_global_offsetsIS3_Lb0EN6thrust23THRUST_200600_302600_NS6detail15normal_iteratorINS8_10device_ptrIjEEEESD_jNS0_19identity_decomposerEEE10hipError_tT1_T2_PT3_SI_jT4_jjP12ihipStream_tbEUlT_E_NS1_11comp_targetILNS1_3genE2ELNS1_11target_archE906ELNS1_3gpuE6ELNS1_3repE0EEENS1_52radix_sort_onesweep_histogram_config_static_selectorELNS0_4arch9wavefront6targetE1EEEvSG_ ; -- Begin function _ZN7rocprim17ROCPRIM_400000_NS6detail17trampoline_kernelINS0_14default_configENS1_35radix_sort_onesweep_config_selectorIjjEEZNS1_34radix_sort_onesweep_global_offsetsIS3_Lb0EN6thrust23THRUST_200600_302600_NS6detail15normal_iteratorINS8_10device_ptrIjEEEESD_jNS0_19identity_decomposerEEE10hipError_tT1_T2_PT3_SI_jT4_jjP12ihipStream_tbEUlT_E_NS1_11comp_targetILNS1_3genE2ELNS1_11target_archE906ELNS1_3gpuE6ELNS1_3repE0EEENS1_52radix_sort_onesweep_histogram_config_static_selectorELNS0_4arch9wavefront6targetE1EEEvSG_
	.globl	_ZN7rocprim17ROCPRIM_400000_NS6detail17trampoline_kernelINS0_14default_configENS1_35radix_sort_onesweep_config_selectorIjjEEZNS1_34radix_sort_onesweep_global_offsetsIS3_Lb0EN6thrust23THRUST_200600_302600_NS6detail15normal_iteratorINS8_10device_ptrIjEEEESD_jNS0_19identity_decomposerEEE10hipError_tT1_T2_PT3_SI_jT4_jjP12ihipStream_tbEUlT_E_NS1_11comp_targetILNS1_3genE2ELNS1_11target_archE906ELNS1_3gpuE6ELNS1_3repE0EEENS1_52radix_sort_onesweep_histogram_config_static_selectorELNS0_4arch9wavefront6targetE1EEEvSG_
	.p2align	8
	.type	_ZN7rocprim17ROCPRIM_400000_NS6detail17trampoline_kernelINS0_14default_configENS1_35radix_sort_onesweep_config_selectorIjjEEZNS1_34radix_sort_onesweep_global_offsetsIS3_Lb0EN6thrust23THRUST_200600_302600_NS6detail15normal_iteratorINS8_10device_ptrIjEEEESD_jNS0_19identity_decomposerEEE10hipError_tT1_T2_PT3_SI_jT4_jjP12ihipStream_tbEUlT_E_NS1_11comp_targetILNS1_3genE2ELNS1_11target_archE906ELNS1_3gpuE6ELNS1_3repE0EEENS1_52radix_sort_onesweep_histogram_config_static_selectorELNS0_4arch9wavefront6targetE1EEEvSG_,@function
_ZN7rocprim17ROCPRIM_400000_NS6detail17trampoline_kernelINS0_14default_configENS1_35radix_sort_onesweep_config_selectorIjjEEZNS1_34radix_sort_onesweep_global_offsetsIS3_Lb0EN6thrust23THRUST_200600_302600_NS6detail15normal_iteratorINS8_10device_ptrIjEEEESD_jNS0_19identity_decomposerEEE10hipError_tT1_T2_PT3_SI_jT4_jjP12ihipStream_tbEUlT_E_NS1_11comp_targetILNS1_3genE2ELNS1_11target_archE906ELNS1_3gpuE6ELNS1_3repE0EEENS1_52radix_sort_onesweep_histogram_config_static_selectorELNS0_4arch9wavefront6targetE1EEEvSG_: ; @_ZN7rocprim17ROCPRIM_400000_NS6detail17trampoline_kernelINS0_14default_configENS1_35radix_sort_onesweep_config_selectorIjjEEZNS1_34radix_sort_onesweep_global_offsetsIS3_Lb0EN6thrust23THRUST_200600_302600_NS6detail15normal_iteratorINS8_10device_ptrIjEEEESD_jNS0_19identity_decomposerEEE10hipError_tT1_T2_PT3_SI_jT4_jjP12ihipStream_tbEUlT_E_NS1_11comp_targetILNS1_3genE2ELNS1_11target_archE906ELNS1_3gpuE6ELNS1_3repE0EEENS1_52radix_sort_onesweep_histogram_config_static_selectorELNS0_4arch9wavefront6targetE1EEEvSG_
; %bb.0:
	.section	.rodata,"a",@progbits
	.p2align	6, 0x0
	.amdhsa_kernel _ZN7rocprim17ROCPRIM_400000_NS6detail17trampoline_kernelINS0_14default_configENS1_35radix_sort_onesweep_config_selectorIjjEEZNS1_34radix_sort_onesweep_global_offsetsIS3_Lb0EN6thrust23THRUST_200600_302600_NS6detail15normal_iteratorINS8_10device_ptrIjEEEESD_jNS0_19identity_decomposerEEE10hipError_tT1_T2_PT3_SI_jT4_jjP12ihipStream_tbEUlT_E_NS1_11comp_targetILNS1_3genE2ELNS1_11target_archE906ELNS1_3gpuE6ELNS1_3repE0EEENS1_52radix_sort_onesweep_histogram_config_static_selectorELNS0_4arch9wavefront6targetE1EEEvSG_
		.amdhsa_group_segment_fixed_size 0
		.amdhsa_private_segment_fixed_size 0
		.amdhsa_kernarg_size 40
		.amdhsa_user_sgpr_count 2
		.amdhsa_user_sgpr_dispatch_ptr 0
		.amdhsa_user_sgpr_queue_ptr 0
		.amdhsa_user_sgpr_kernarg_segment_ptr 1
		.amdhsa_user_sgpr_dispatch_id 0
		.amdhsa_user_sgpr_kernarg_preload_length 0
		.amdhsa_user_sgpr_kernarg_preload_offset 0
		.amdhsa_user_sgpr_private_segment_size 0
		.amdhsa_uses_dynamic_stack 0
		.amdhsa_enable_private_segment 0
		.amdhsa_system_sgpr_workgroup_id_x 1
		.amdhsa_system_sgpr_workgroup_id_y 0
		.amdhsa_system_sgpr_workgroup_id_z 0
		.amdhsa_system_sgpr_workgroup_info 0
		.amdhsa_system_vgpr_workitem_id 0
		.amdhsa_next_free_vgpr 1
		.amdhsa_next_free_sgpr 0
		.amdhsa_accum_offset 4
		.amdhsa_reserve_vcc 0
		.amdhsa_float_round_mode_32 0
		.amdhsa_float_round_mode_16_64 0
		.amdhsa_float_denorm_mode_32 3
		.amdhsa_float_denorm_mode_16_64 3
		.amdhsa_dx10_clamp 1
		.amdhsa_ieee_mode 1
		.amdhsa_fp16_overflow 0
		.amdhsa_tg_split 0
		.amdhsa_exception_fp_ieee_invalid_op 0
		.amdhsa_exception_fp_denorm_src 0
		.amdhsa_exception_fp_ieee_div_zero 0
		.amdhsa_exception_fp_ieee_overflow 0
		.amdhsa_exception_fp_ieee_underflow 0
		.amdhsa_exception_fp_ieee_inexact 0
		.amdhsa_exception_int_div_zero 0
	.end_amdhsa_kernel
	.section	.text._ZN7rocprim17ROCPRIM_400000_NS6detail17trampoline_kernelINS0_14default_configENS1_35radix_sort_onesweep_config_selectorIjjEEZNS1_34radix_sort_onesweep_global_offsetsIS3_Lb0EN6thrust23THRUST_200600_302600_NS6detail15normal_iteratorINS8_10device_ptrIjEEEESD_jNS0_19identity_decomposerEEE10hipError_tT1_T2_PT3_SI_jT4_jjP12ihipStream_tbEUlT_E_NS1_11comp_targetILNS1_3genE2ELNS1_11target_archE906ELNS1_3gpuE6ELNS1_3repE0EEENS1_52radix_sort_onesweep_histogram_config_static_selectorELNS0_4arch9wavefront6targetE1EEEvSG_,"axG",@progbits,_ZN7rocprim17ROCPRIM_400000_NS6detail17trampoline_kernelINS0_14default_configENS1_35radix_sort_onesweep_config_selectorIjjEEZNS1_34radix_sort_onesweep_global_offsetsIS3_Lb0EN6thrust23THRUST_200600_302600_NS6detail15normal_iteratorINS8_10device_ptrIjEEEESD_jNS0_19identity_decomposerEEE10hipError_tT1_T2_PT3_SI_jT4_jjP12ihipStream_tbEUlT_E_NS1_11comp_targetILNS1_3genE2ELNS1_11target_archE906ELNS1_3gpuE6ELNS1_3repE0EEENS1_52radix_sort_onesweep_histogram_config_static_selectorELNS0_4arch9wavefront6targetE1EEEvSG_,comdat
.Lfunc_end727:
	.size	_ZN7rocprim17ROCPRIM_400000_NS6detail17trampoline_kernelINS0_14default_configENS1_35radix_sort_onesweep_config_selectorIjjEEZNS1_34radix_sort_onesweep_global_offsetsIS3_Lb0EN6thrust23THRUST_200600_302600_NS6detail15normal_iteratorINS8_10device_ptrIjEEEESD_jNS0_19identity_decomposerEEE10hipError_tT1_T2_PT3_SI_jT4_jjP12ihipStream_tbEUlT_E_NS1_11comp_targetILNS1_3genE2ELNS1_11target_archE906ELNS1_3gpuE6ELNS1_3repE0EEENS1_52radix_sort_onesweep_histogram_config_static_selectorELNS0_4arch9wavefront6targetE1EEEvSG_, .Lfunc_end727-_ZN7rocprim17ROCPRIM_400000_NS6detail17trampoline_kernelINS0_14default_configENS1_35radix_sort_onesweep_config_selectorIjjEEZNS1_34radix_sort_onesweep_global_offsetsIS3_Lb0EN6thrust23THRUST_200600_302600_NS6detail15normal_iteratorINS8_10device_ptrIjEEEESD_jNS0_19identity_decomposerEEE10hipError_tT1_T2_PT3_SI_jT4_jjP12ihipStream_tbEUlT_E_NS1_11comp_targetILNS1_3genE2ELNS1_11target_archE906ELNS1_3gpuE6ELNS1_3repE0EEENS1_52radix_sort_onesweep_histogram_config_static_selectorELNS0_4arch9wavefront6targetE1EEEvSG_
                                        ; -- End function
	.set _ZN7rocprim17ROCPRIM_400000_NS6detail17trampoline_kernelINS0_14default_configENS1_35radix_sort_onesweep_config_selectorIjjEEZNS1_34radix_sort_onesweep_global_offsetsIS3_Lb0EN6thrust23THRUST_200600_302600_NS6detail15normal_iteratorINS8_10device_ptrIjEEEESD_jNS0_19identity_decomposerEEE10hipError_tT1_T2_PT3_SI_jT4_jjP12ihipStream_tbEUlT_E_NS1_11comp_targetILNS1_3genE2ELNS1_11target_archE906ELNS1_3gpuE6ELNS1_3repE0EEENS1_52radix_sort_onesweep_histogram_config_static_selectorELNS0_4arch9wavefront6targetE1EEEvSG_.num_vgpr, 0
	.set _ZN7rocprim17ROCPRIM_400000_NS6detail17trampoline_kernelINS0_14default_configENS1_35radix_sort_onesweep_config_selectorIjjEEZNS1_34radix_sort_onesweep_global_offsetsIS3_Lb0EN6thrust23THRUST_200600_302600_NS6detail15normal_iteratorINS8_10device_ptrIjEEEESD_jNS0_19identity_decomposerEEE10hipError_tT1_T2_PT3_SI_jT4_jjP12ihipStream_tbEUlT_E_NS1_11comp_targetILNS1_3genE2ELNS1_11target_archE906ELNS1_3gpuE6ELNS1_3repE0EEENS1_52radix_sort_onesweep_histogram_config_static_selectorELNS0_4arch9wavefront6targetE1EEEvSG_.num_agpr, 0
	.set _ZN7rocprim17ROCPRIM_400000_NS6detail17trampoline_kernelINS0_14default_configENS1_35radix_sort_onesweep_config_selectorIjjEEZNS1_34radix_sort_onesweep_global_offsetsIS3_Lb0EN6thrust23THRUST_200600_302600_NS6detail15normal_iteratorINS8_10device_ptrIjEEEESD_jNS0_19identity_decomposerEEE10hipError_tT1_T2_PT3_SI_jT4_jjP12ihipStream_tbEUlT_E_NS1_11comp_targetILNS1_3genE2ELNS1_11target_archE906ELNS1_3gpuE6ELNS1_3repE0EEENS1_52radix_sort_onesweep_histogram_config_static_selectorELNS0_4arch9wavefront6targetE1EEEvSG_.numbered_sgpr, 0
	.set _ZN7rocprim17ROCPRIM_400000_NS6detail17trampoline_kernelINS0_14default_configENS1_35radix_sort_onesweep_config_selectorIjjEEZNS1_34radix_sort_onesweep_global_offsetsIS3_Lb0EN6thrust23THRUST_200600_302600_NS6detail15normal_iteratorINS8_10device_ptrIjEEEESD_jNS0_19identity_decomposerEEE10hipError_tT1_T2_PT3_SI_jT4_jjP12ihipStream_tbEUlT_E_NS1_11comp_targetILNS1_3genE2ELNS1_11target_archE906ELNS1_3gpuE6ELNS1_3repE0EEENS1_52radix_sort_onesweep_histogram_config_static_selectorELNS0_4arch9wavefront6targetE1EEEvSG_.num_named_barrier, 0
	.set _ZN7rocprim17ROCPRIM_400000_NS6detail17trampoline_kernelINS0_14default_configENS1_35radix_sort_onesweep_config_selectorIjjEEZNS1_34radix_sort_onesweep_global_offsetsIS3_Lb0EN6thrust23THRUST_200600_302600_NS6detail15normal_iteratorINS8_10device_ptrIjEEEESD_jNS0_19identity_decomposerEEE10hipError_tT1_T2_PT3_SI_jT4_jjP12ihipStream_tbEUlT_E_NS1_11comp_targetILNS1_3genE2ELNS1_11target_archE906ELNS1_3gpuE6ELNS1_3repE0EEENS1_52radix_sort_onesweep_histogram_config_static_selectorELNS0_4arch9wavefront6targetE1EEEvSG_.private_seg_size, 0
	.set _ZN7rocprim17ROCPRIM_400000_NS6detail17trampoline_kernelINS0_14default_configENS1_35radix_sort_onesweep_config_selectorIjjEEZNS1_34radix_sort_onesweep_global_offsetsIS3_Lb0EN6thrust23THRUST_200600_302600_NS6detail15normal_iteratorINS8_10device_ptrIjEEEESD_jNS0_19identity_decomposerEEE10hipError_tT1_T2_PT3_SI_jT4_jjP12ihipStream_tbEUlT_E_NS1_11comp_targetILNS1_3genE2ELNS1_11target_archE906ELNS1_3gpuE6ELNS1_3repE0EEENS1_52radix_sort_onesweep_histogram_config_static_selectorELNS0_4arch9wavefront6targetE1EEEvSG_.uses_vcc, 0
	.set _ZN7rocprim17ROCPRIM_400000_NS6detail17trampoline_kernelINS0_14default_configENS1_35radix_sort_onesweep_config_selectorIjjEEZNS1_34radix_sort_onesweep_global_offsetsIS3_Lb0EN6thrust23THRUST_200600_302600_NS6detail15normal_iteratorINS8_10device_ptrIjEEEESD_jNS0_19identity_decomposerEEE10hipError_tT1_T2_PT3_SI_jT4_jjP12ihipStream_tbEUlT_E_NS1_11comp_targetILNS1_3genE2ELNS1_11target_archE906ELNS1_3gpuE6ELNS1_3repE0EEENS1_52radix_sort_onesweep_histogram_config_static_selectorELNS0_4arch9wavefront6targetE1EEEvSG_.uses_flat_scratch, 0
	.set _ZN7rocprim17ROCPRIM_400000_NS6detail17trampoline_kernelINS0_14default_configENS1_35radix_sort_onesweep_config_selectorIjjEEZNS1_34radix_sort_onesweep_global_offsetsIS3_Lb0EN6thrust23THRUST_200600_302600_NS6detail15normal_iteratorINS8_10device_ptrIjEEEESD_jNS0_19identity_decomposerEEE10hipError_tT1_T2_PT3_SI_jT4_jjP12ihipStream_tbEUlT_E_NS1_11comp_targetILNS1_3genE2ELNS1_11target_archE906ELNS1_3gpuE6ELNS1_3repE0EEENS1_52radix_sort_onesweep_histogram_config_static_selectorELNS0_4arch9wavefront6targetE1EEEvSG_.has_dyn_sized_stack, 0
	.set _ZN7rocprim17ROCPRIM_400000_NS6detail17trampoline_kernelINS0_14default_configENS1_35radix_sort_onesweep_config_selectorIjjEEZNS1_34radix_sort_onesweep_global_offsetsIS3_Lb0EN6thrust23THRUST_200600_302600_NS6detail15normal_iteratorINS8_10device_ptrIjEEEESD_jNS0_19identity_decomposerEEE10hipError_tT1_T2_PT3_SI_jT4_jjP12ihipStream_tbEUlT_E_NS1_11comp_targetILNS1_3genE2ELNS1_11target_archE906ELNS1_3gpuE6ELNS1_3repE0EEENS1_52radix_sort_onesweep_histogram_config_static_selectorELNS0_4arch9wavefront6targetE1EEEvSG_.has_recursion, 0
	.set _ZN7rocprim17ROCPRIM_400000_NS6detail17trampoline_kernelINS0_14default_configENS1_35radix_sort_onesweep_config_selectorIjjEEZNS1_34radix_sort_onesweep_global_offsetsIS3_Lb0EN6thrust23THRUST_200600_302600_NS6detail15normal_iteratorINS8_10device_ptrIjEEEESD_jNS0_19identity_decomposerEEE10hipError_tT1_T2_PT3_SI_jT4_jjP12ihipStream_tbEUlT_E_NS1_11comp_targetILNS1_3genE2ELNS1_11target_archE906ELNS1_3gpuE6ELNS1_3repE0EEENS1_52radix_sort_onesweep_histogram_config_static_selectorELNS0_4arch9wavefront6targetE1EEEvSG_.has_indirect_call, 0
	.section	.AMDGPU.csdata,"",@progbits
; Kernel info:
; codeLenInByte = 0
; TotalNumSgprs: 6
; NumVgprs: 0
; NumAgprs: 0
; TotalNumVgprs: 0
; ScratchSize: 0
; MemoryBound: 0
; FloatMode: 240
; IeeeMode: 1
; LDSByteSize: 0 bytes/workgroup (compile time only)
; SGPRBlocks: 0
; VGPRBlocks: 0
; NumSGPRsForWavesPerEU: 6
; NumVGPRsForWavesPerEU: 1
; AccumOffset: 4
; Occupancy: 8
; WaveLimiterHint : 0
; COMPUTE_PGM_RSRC2:SCRATCH_EN: 0
; COMPUTE_PGM_RSRC2:USER_SGPR: 2
; COMPUTE_PGM_RSRC2:TRAP_HANDLER: 0
; COMPUTE_PGM_RSRC2:TGID_X_EN: 1
; COMPUTE_PGM_RSRC2:TGID_Y_EN: 0
; COMPUTE_PGM_RSRC2:TGID_Z_EN: 0
; COMPUTE_PGM_RSRC2:TIDIG_COMP_CNT: 0
; COMPUTE_PGM_RSRC3_GFX90A:ACCUM_OFFSET: 0
; COMPUTE_PGM_RSRC3_GFX90A:TG_SPLIT: 0
	.section	.text._ZN7rocprim17ROCPRIM_400000_NS6detail17trampoline_kernelINS0_14default_configENS1_35radix_sort_onesweep_config_selectorIjjEEZNS1_34radix_sort_onesweep_global_offsetsIS3_Lb0EN6thrust23THRUST_200600_302600_NS6detail15normal_iteratorINS8_10device_ptrIjEEEESD_jNS0_19identity_decomposerEEE10hipError_tT1_T2_PT3_SI_jT4_jjP12ihipStream_tbEUlT_E_NS1_11comp_targetILNS1_3genE4ELNS1_11target_archE910ELNS1_3gpuE8ELNS1_3repE0EEENS1_52radix_sort_onesweep_histogram_config_static_selectorELNS0_4arch9wavefront6targetE1EEEvSG_,"axG",@progbits,_ZN7rocprim17ROCPRIM_400000_NS6detail17trampoline_kernelINS0_14default_configENS1_35radix_sort_onesweep_config_selectorIjjEEZNS1_34radix_sort_onesweep_global_offsetsIS3_Lb0EN6thrust23THRUST_200600_302600_NS6detail15normal_iteratorINS8_10device_ptrIjEEEESD_jNS0_19identity_decomposerEEE10hipError_tT1_T2_PT3_SI_jT4_jjP12ihipStream_tbEUlT_E_NS1_11comp_targetILNS1_3genE4ELNS1_11target_archE910ELNS1_3gpuE8ELNS1_3repE0EEENS1_52radix_sort_onesweep_histogram_config_static_selectorELNS0_4arch9wavefront6targetE1EEEvSG_,comdat
	.protected	_ZN7rocprim17ROCPRIM_400000_NS6detail17trampoline_kernelINS0_14default_configENS1_35radix_sort_onesweep_config_selectorIjjEEZNS1_34radix_sort_onesweep_global_offsetsIS3_Lb0EN6thrust23THRUST_200600_302600_NS6detail15normal_iteratorINS8_10device_ptrIjEEEESD_jNS0_19identity_decomposerEEE10hipError_tT1_T2_PT3_SI_jT4_jjP12ihipStream_tbEUlT_E_NS1_11comp_targetILNS1_3genE4ELNS1_11target_archE910ELNS1_3gpuE8ELNS1_3repE0EEENS1_52radix_sort_onesweep_histogram_config_static_selectorELNS0_4arch9wavefront6targetE1EEEvSG_ ; -- Begin function _ZN7rocprim17ROCPRIM_400000_NS6detail17trampoline_kernelINS0_14default_configENS1_35radix_sort_onesweep_config_selectorIjjEEZNS1_34radix_sort_onesweep_global_offsetsIS3_Lb0EN6thrust23THRUST_200600_302600_NS6detail15normal_iteratorINS8_10device_ptrIjEEEESD_jNS0_19identity_decomposerEEE10hipError_tT1_T2_PT3_SI_jT4_jjP12ihipStream_tbEUlT_E_NS1_11comp_targetILNS1_3genE4ELNS1_11target_archE910ELNS1_3gpuE8ELNS1_3repE0EEENS1_52radix_sort_onesweep_histogram_config_static_selectorELNS0_4arch9wavefront6targetE1EEEvSG_
	.globl	_ZN7rocprim17ROCPRIM_400000_NS6detail17trampoline_kernelINS0_14default_configENS1_35radix_sort_onesweep_config_selectorIjjEEZNS1_34radix_sort_onesweep_global_offsetsIS3_Lb0EN6thrust23THRUST_200600_302600_NS6detail15normal_iteratorINS8_10device_ptrIjEEEESD_jNS0_19identity_decomposerEEE10hipError_tT1_T2_PT3_SI_jT4_jjP12ihipStream_tbEUlT_E_NS1_11comp_targetILNS1_3genE4ELNS1_11target_archE910ELNS1_3gpuE8ELNS1_3repE0EEENS1_52radix_sort_onesweep_histogram_config_static_selectorELNS0_4arch9wavefront6targetE1EEEvSG_
	.p2align	8
	.type	_ZN7rocprim17ROCPRIM_400000_NS6detail17trampoline_kernelINS0_14default_configENS1_35radix_sort_onesweep_config_selectorIjjEEZNS1_34radix_sort_onesweep_global_offsetsIS3_Lb0EN6thrust23THRUST_200600_302600_NS6detail15normal_iteratorINS8_10device_ptrIjEEEESD_jNS0_19identity_decomposerEEE10hipError_tT1_T2_PT3_SI_jT4_jjP12ihipStream_tbEUlT_E_NS1_11comp_targetILNS1_3genE4ELNS1_11target_archE910ELNS1_3gpuE8ELNS1_3repE0EEENS1_52radix_sort_onesweep_histogram_config_static_selectorELNS0_4arch9wavefront6targetE1EEEvSG_,@function
_ZN7rocprim17ROCPRIM_400000_NS6detail17trampoline_kernelINS0_14default_configENS1_35radix_sort_onesweep_config_selectorIjjEEZNS1_34radix_sort_onesweep_global_offsetsIS3_Lb0EN6thrust23THRUST_200600_302600_NS6detail15normal_iteratorINS8_10device_ptrIjEEEESD_jNS0_19identity_decomposerEEE10hipError_tT1_T2_PT3_SI_jT4_jjP12ihipStream_tbEUlT_E_NS1_11comp_targetILNS1_3genE4ELNS1_11target_archE910ELNS1_3gpuE8ELNS1_3repE0EEENS1_52radix_sort_onesweep_histogram_config_static_selectorELNS0_4arch9wavefront6targetE1EEEvSG_: ; @_ZN7rocprim17ROCPRIM_400000_NS6detail17trampoline_kernelINS0_14default_configENS1_35radix_sort_onesweep_config_selectorIjjEEZNS1_34radix_sort_onesweep_global_offsetsIS3_Lb0EN6thrust23THRUST_200600_302600_NS6detail15normal_iteratorINS8_10device_ptrIjEEEESD_jNS0_19identity_decomposerEEE10hipError_tT1_T2_PT3_SI_jT4_jjP12ihipStream_tbEUlT_E_NS1_11comp_targetILNS1_3genE4ELNS1_11target_archE910ELNS1_3gpuE8ELNS1_3repE0EEENS1_52radix_sort_onesweep_histogram_config_static_selectorELNS0_4arch9wavefront6targetE1EEEvSG_
; %bb.0:
	.section	.rodata,"a",@progbits
	.p2align	6, 0x0
	.amdhsa_kernel _ZN7rocprim17ROCPRIM_400000_NS6detail17trampoline_kernelINS0_14default_configENS1_35radix_sort_onesweep_config_selectorIjjEEZNS1_34radix_sort_onesweep_global_offsetsIS3_Lb0EN6thrust23THRUST_200600_302600_NS6detail15normal_iteratorINS8_10device_ptrIjEEEESD_jNS0_19identity_decomposerEEE10hipError_tT1_T2_PT3_SI_jT4_jjP12ihipStream_tbEUlT_E_NS1_11comp_targetILNS1_3genE4ELNS1_11target_archE910ELNS1_3gpuE8ELNS1_3repE0EEENS1_52radix_sort_onesweep_histogram_config_static_selectorELNS0_4arch9wavefront6targetE1EEEvSG_
		.amdhsa_group_segment_fixed_size 0
		.amdhsa_private_segment_fixed_size 0
		.amdhsa_kernarg_size 40
		.amdhsa_user_sgpr_count 2
		.amdhsa_user_sgpr_dispatch_ptr 0
		.amdhsa_user_sgpr_queue_ptr 0
		.amdhsa_user_sgpr_kernarg_segment_ptr 1
		.amdhsa_user_sgpr_dispatch_id 0
		.amdhsa_user_sgpr_kernarg_preload_length 0
		.amdhsa_user_sgpr_kernarg_preload_offset 0
		.amdhsa_user_sgpr_private_segment_size 0
		.amdhsa_uses_dynamic_stack 0
		.amdhsa_enable_private_segment 0
		.amdhsa_system_sgpr_workgroup_id_x 1
		.amdhsa_system_sgpr_workgroup_id_y 0
		.amdhsa_system_sgpr_workgroup_id_z 0
		.amdhsa_system_sgpr_workgroup_info 0
		.amdhsa_system_vgpr_workitem_id 0
		.amdhsa_next_free_vgpr 1
		.amdhsa_next_free_sgpr 0
		.amdhsa_accum_offset 4
		.amdhsa_reserve_vcc 0
		.amdhsa_float_round_mode_32 0
		.amdhsa_float_round_mode_16_64 0
		.amdhsa_float_denorm_mode_32 3
		.amdhsa_float_denorm_mode_16_64 3
		.amdhsa_dx10_clamp 1
		.amdhsa_ieee_mode 1
		.amdhsa_fp16_overflow 0
		.amdhsa_tg_split 0
		.amdhsa_exception_fp_ieee_invalid_op 0
		.amdhsa_exception_fp_denorm_src 0
		.amdhsa_exception_fp_ieee_div_zero 0
		.amdhsa_exception_fp_ieee_overflow 0
		.amdhsa_exception_fp_ieee_underflow 0
		.amdhsa_exception_fp_ieee_inexact 0
		.amdhsa_exception_int_div_zero 0
	.end_amdhsa_kernel
	.section	.text._ZN7rocprim17ROCPRIM_400000_NS6detail17trampoline_kernelINS0_14default_configENS1_35radix_sort_onesweep_config_selectorIjjEEZNS1_34radix_sort_onesweep_global_offsetsIS3_Lb0EN6thrust23THRUST_200600_302600_NS6detail15normal_iteratorINS8_10device_ptrIjEEEESD_jNS0_19identity_decomposerEEE10hipError_tT1_T2_PT3_SI_jT4_jjP12ihipStream_tbEUlT_E_NS1_11comp_targetILNS1_3genE4ELNS1_11target_archE910ELNS1_3gpuE8ELNS1_3repE0EEENS1_52radix_sort_onesweep_histogram_config_static_selectorELNS0_4arch9wavefront6targetE1EEEvSG_,"axG",@progbits,_ZN7rocprim17ROCPRIM_400000_NS6detail17trampoline_kernelINS0_14default_configENS1_35radix_sort_onesweep_config_selectorIjjEEZNS1_34radix_sort_onesweep_global_offsetsIS3_Lb0EN6thrust23THRUST_200600_302600_NS6detail15normal_iteratorINS8_10device_ptrIjEEEESD_jNS0_19identity_decomposerEEE10hipError_tT1_T2_PT3_SI_jT4_jjP12ihipStream_tbEUlT_E_NS1_11comp_targetILNS1_3genE4ELNS1_11target_archE910ELNS1_3gpuE8ELNS1_3repE0EEENS1_52radix_sort_onesweep_histogram_config_static_selectorELNS0_4arch9wavefront6targetE1EEEvSG_,comdat
.Lfunc_end728:
	.size	_ZN7rocprim17ROCPRIM_400000_NS6detail17trampoline_kernelINS0_14default_configENS1_35radix_sort_onesweep_config_selectorIjjEEZNS1_34radix_sort_onesweep_global_offsetsIS3_Lb0EN6thrust23THRUST_200600_302600_NS6detail15normal_iteratorINS8_10device_ptrIjEEEESD_jNS0_19identity_decomposerEEE10hipError_tT1_T2_PT3_SI_jT4_jjP12ihipStream_tbEUlT_E_NS1_11comp_targetILNS1_3genE4ELNS1_11target_archE910ELNS1_3gpuE8ELNS1_3repE0EEENS1_52radix_sort_onesweep_histogram_config_static_selectorELNS0_4arch9wavefront6targetE1EEEvSG_, .Lfunc_end728-_ZN7rocprim17ROCPRIM_400000_NS6detail17trampoline_kernelINS0_14default_configENS1_35radix_sort_onesweep_config_selectorIjjEEZNS1_34radix_sort_onesweep_global_offsetsIS3_Lb0EN6thrust23THRUST_200600_302600_NS6detail15normal_iteratorINS8_10device_ptrIjEEEESD_jNS0_19identity_decomposerEEE10hipError_tT1_T2_PT3_SI_jT4_jjP12ihipStream_tbEUlT_E_NS1_11comp_targetILNS1_3genE4ELNS1_11target_archE910ELNS1_3gpuE8ELNS1_3repE0EEENS1_52radix_sort_onesweep_histogram_config_static_selectorELNS0_4arch9wavefront6targetE1EEEvSG_
                                        ; -- End function
	.set _ZN7rocprim17ROCPRIM_400000_NS6detail17trampoline_kernelINS0_14default_configENS1_35radix_sort_onesweep_config_selectorIjjEEZNS1_34radix_sort_onesweep_global_offsetsIS3_Lb0EN6thrust23THRUST_200600_302600_NS6detail15normal_iteratorINS8_10device_ptrIjEEEESD_jNS0_19identity_decomposerEEE10hipError_tT1_T2_PT3_SI_jT4_jjP12ihipStream_tbEUlT_E_NS1_11comp_targetILNS1_3genE4ELNS1_11target_archE910ELNS1_3gpuE8ELNS1_3repE0EEENS1_52radix_sort_onesweep_histogram_config_static_selectorELNS0_4arch9wavefront6targetE1EEEvSG_.num_vgpr, 0
	.set _ZN7rocprim17ROCPRIM_400000_NS6detail17trampoline_kernelINS0_14default_configENS1_35radix_sort_onesweep_config_selectorIjjEEZNS1_34radix_sort_onesweep_global_offsetsIS3_Lb0EN6thrust23THRUST_200600_302600_NS6detail15normal_iteratorINS8_10device_ptrIjEEEESD_jNS0_19identity_decomposerEEE10hipError_tT1_T2_PT3_SI_jT4_jjP12ihipStream_tbEUlT_E_NS1_11comp_targetILNS1_3genE4ELNS1_11target_archE910ELNS1_3gpuE8ELNS1_3repE0EEENS1_52radix_sort_onesweep_histogram_config_static_selectorELNS0_4arch9wavefront6targetE1EEEvSG_.num_agpr, 0
	.set _ZN7rocprim17ROCPRIM_400000_NS6detail17trampoline_kernelINS0_14default_configENS1_35radix_sort_onesweep_config_selectorIjjEEZNS1_34radix_sort_onesweep_global_offsetsIS3_Lb0EN6thrust23THRUST_200600_302600_NS6detail15normal_iteratorINS8_10device_ptrIjEEEESD_jNS0_19identity_decomposerEEE10hipError_tT1_T2_PT3_SI_jT4_jjP12ihipStream_tbEUlT_E_NS1_11comp_targetILNS1_3genE4ELNS1_11target_archE910ELNS1_3gpuE8ELNS1_3repE0EEENS1_52radix_sort_onesweep_histogram_config_static_selectorELNS0_4arch9wavefront6targetE1EEEvSG_.numbered_sgpr, 0
	.set _ZN7rocprim17ROCPRIM_400000_NS6detail17trampoline_kernelINS0_14default_configENS1_35radix_sort_onesweep_config_selectorIjjEEZNS1_34radix_sort_onesweep_global_offsetsIS3_Lb0EN6thrust23THRUST_200600_302600_NS6detail15normal_iteratorINS8_10device_ptrIjEEEESD_jNS0_19identity_decomposerEEE10hipError_tT1_T2_PT3_SI_jT4_jjP12ihipStream_tbEUlT_E_NS1_11comp_targetILNS1_3genE4ELNS1_11target_archE910ELNS1_3gpuE8ELNS1_3repE0EEENS1_52radix_sort_onesweep_histogram_config_static_selectorELNS0_4arch9wavefront6targetE1EEEvSG_.num_named_barrier, 0
	.set _ZN7rocprim17ROCPRIM_400000_NS6detail17trampoline_kernelINS0_14default_configENS1_35radix_sort_onesweep_config_selectorIjjEEZNS1_34radix_sort_onesweep_global_offsetsIS3_Lb0EN6thrust23THRUST_200600_302600_NS6detail15normal_iteratorINS8_10device_ptrIjEEEESD_jNS0_19identity_decomposerEEE10hipError_tT1_T2_PT3_SI_jT4_jjP12ihipStream_tbEUlT_E_NS1_11comp_targetILNS1_3genE4ELNS1_11target_archE910ELNS1_3gpuE8ELNS1_3repE0EEENS1_52radix_sort_onesweep_histogram_config_static_selectorELNS0_4arch9wavefront6targetE1EEEvSG_.private_seg_size, 0
	.set _ZN7rocprim17ROCPRIM_400000_NS6detail17trampoline_kernelINS0_14default_configENS1_35radix_sort_onesweep_config_selectorIjjEEZNS1_34radix_sort_onesweep_global_offsetsIS3_Lb0EN6thrust23THRUST_200600_302600_NS6detail15normal_iteratorINS8_10device_ptrIjEEEESD_jNS0_19identity_decomposerEEE10hipError_tT1_T2_PT3_SI_jT4_jjP12ihipStream_tbEUlT_E_NS1_11comp_targetILNS1_3genE4ELNS1_11target_archE910ELNS1_3gpuE8ELNS1_3repE0EEENS1_52radix_sort_onesweep_histogram_config_static_selectorELNS0_4arch9wavefront6targetE1EEEvSG_.uses_vcc, 0
	.set _ZN7rocprim17ROCPRIM_400000_NS6detail17trampoline_kernelINS0_14default_configENS1_35radix_sort_onesweep_config_selectorIjjEEZNS1_34radix_sort_onesweep_global_offsetsIS3_Lb0EN6thrust23THRUST_200600_302600_NS6detail15normal_iteratorINS8_10device_ptrIjEEEESD_jNS0_19identity_decomposerEEE10hipError_tT1_T2_PT3_SI_jT4_jjP12ihipStream_tbEUlT_E_NS1_11comp_targetILNS1_3genE4ELNS1_11target_archE910ELNS1_3gpuE8ELNS1_3repE0EEENS1_52radix_sort_onesweep_histogram_config_static_selectorELNS0_4arch9wavefront6targetE1EEEvSG_.uses_flat_scratch, 0
	.set _ZN7rocprim17ROCPRIM_400000_NS6detail17trampoline_kernelINS0_14default_configENS1_35radix_sort_onesweep_config_selectorIjjEEZNS1_34radix_sort_onesweep_global_offsetsIS3_Lb0EN6thrust23THRUST_200600_302600_NS6detail15normal_iteratorINS8_10device_ptrIjEEEESD_jNS0_19identity_decomposerEEE10hipError_tT1_T2_PT3_SI_jT4_jjP12ihipStream_tbEUlT_E_NS1_11comp_targetILNS1_3genE4ELNS1_11target_archE910ELNS1_3gpuE8ELNS1_3repE0EEENS1_52radix_sort_onesweep_histogram_config_static_selectorELNS0_4arch9wavefront6targetE1EEEvSG_.has_dyn_sized_stack, 0
	.set _ZN7rocprim17ROCPRIM_400000_NS6detail17trampoline_kernelINS0_14default_configENS1_35radix_sort_onesweep_config_selectorIjjEEZNS1_34radix_sort_onesweep_global_offsetsIS3_Lb0EN6thrust23THRUST_200600_302600_NS6detail15normal_iteratorINS8_10device_ptrIjEEEESD_jNS0_19identity_decomposerEEE10hipError_tT1_T2_PT3_SI_jT4_jjP12ihipStream_tbEUlT_E_NS1_11comp_targetILNS1_3genE4ELNS1_11target_archE910ELNS1_3gpuE8ELNS1_3repE0EEENS1_52radix_sort_onesweep_histogram_config_static_selectorELNS0_4arch9wavefront6targetE1EEEvSG_.has_recursion, 0
	.set _ZN7rocprim17ROCPRIM_400000_NS6detail17trampoline_kernelINS0_14default_configENS1_35radix_sort_onesweep_config_selectorIjjEEZNS1_34radix_sort_onesweep_global_offsetsIS3_Lb0EN6thrust23THRUST_200600_302600_NS6detail15normal_iteratorINS8_10device_ptrIjEEEESD_jNS0_19identity_decomposerEEE10hipError_tT1_T2_PT3_SI_jT4_jjP12ihipStream_tbEUlT_E_NS1_11comp_targetILNS1_3genE4ELNS1_11target_archE910ELNS1_3gpuE8ELNS1_3repE0EEENS1_52radix_sort_onesweep_histogram_config_static_selectorELNS0_4arch9wavefront6targetE1EEEvSG_.has_indirect_call, 0
	.section	.AMDGPU.csdata,"",@progbits
; Kernel info:
; codeLenInByte = 0
; TotalNumSgprs: 6
; NumVgprs: 0
; NumAgprs: 0
; TotalNumVgprs: 0
; ScratchSize: 0
; MemoryBound: 0
; FloatMode: 240
; IeeeMode: 1
; LDSByteSize: 0 bytes/workgroup (compile time only)
; SGPRBlocks: 0
; VGPRBlocks: 0
; NumSGPRsForWavesPerEU: 6
; NumVGPRsForWavesPerEU: 1
; AccumOffset: 4
; Occupancy: 8
; WaveLimiterHint : 0
; COMPUTE_PGM_RSRC2:SCRATCH_EN: 0
; COMPUTE_PGM_RSRC2:USER_SGPR: 2
; COMPUTE_PGM_RSRC2:TRAP_HANDLER: 0
; COMPUTE_PGM_RSRC2:TGID_X_EN: 1
; COMPUTE_PGM_RSRC2:TGID_Y_EN: 0
; COMPUTE_PGM_RSRC2:TGID_Z_EN: 0
; COMPUTE_PGM_RSRC2:TIDIG_COMP_CNT: 0
; COMPUTE_PGM_RSRC3_GFX90A:ACCUM_OFFSET: 0
; COMPUTE_PGM_RSRC3_GFX90A:TG_SPLIT: 0
	.section	.text._ZN7rocprim17ROCPRIM_400000_NS6detail17trampoline_kernelINS0_14default_configENS1_35radix_sort_onesweep_config_selectorIjjEEZNS1_34radix_sort_onesweep_global_offsetsIS3_Lb0EN6thrust23THRUST_200600_302600_NS6detail15normal_iteratorINS8_10device_ptrIjEEEESD_jNS0_19identity_decomposerEEE10hipError_tT1_T2_PT3_SI_jT4_jjP12ihipStream_tbEUlT_E_NS1_11comp_targetILNS1_3genE3ELNS1_11target_archE908ELNS1_3gpuE7ELNS1_3repE0EEENS1_52radix_sort_onesweep_histogram_config_static_selectorELNS0_4arch9wavefront6targetE1EEEvSG_,"axG",@progbits,_ZN7rocprim17ROCPRIM_400000_NS6detail17trampoline_kernelINS0_14default_configENS1_35radix_sort_onesweep_config_selectorIjjEEZNS1_34radix_sort_onesweep_global_offsetsIS3_Lb0EN6thrust23THRUST_200600_302600_NS6detail15normal_iteratorINS8_10device_ptrIjEEEESD_jNS0_19identity_decomposerEEE10hipError_tT1_T2_PT3_SI_jT4_jjP12ihipStream_tbEUlT_E_NS1_11comp_targetILNS1_3genE3ELNS1_11target_archE908ELNS1_3gpuE7ELNS1_3repE0EEENS1_52radix_sort_onesweep_histogram_config_static_selectorELNS0_4arch9wavefront6targetE1EEEvSG_,comdat
	.protected	_ZN7rocprim17ROCPRIM_400000_NS6detail17trampoline_kernelINS0_14default_configENS1_35radix_sort_onesweep_config_selectorIjjEEZNS1_34radix_sort_onesweep_global_offsetsIS3_Lb0EN6thrust23THRUST_200600_302600_NS6detail15normal_iteratorINS8_10device_ptrIjEEEESD_jNS0_19identity_decomposerEEE10hipError_tT1_T2_PT3_SI_jT4_jjP12ihipStream_tbEUlT_E_NS1_11comp_targetILNS1_3genE3ELNS1_11target_archE908ELNS1_3gpuE7ELNS1_3repE0EEENS1_52radix_sort_onesweep_histogram_config_static_selectorELNS0_4arch9wavefront6targetE1EEEvSG_ ; -- Begin function _ZN7rocprim17ROCPRIM_400000_NS6detail17trampoline_kernelINS0_14default_configENS1_35radix_sort_onesweep_config_selectorIjjEEZNS1_34radix_sort_onesweep_global_offsetsIS3_Lb0EN6thrust23THRUST_200600_302600_NS6detail15normal_iteratorINS8_10device_ptrIjEEEESD_jNS0_19identity_decomposerEEE10hipError_tT1_T2_PT3_SI_jT4_jjP12ihipStream_tbEUlT_E_NS1_11comp_targetILNS1_3genE3ELNS1_11target_archE908ELNS1_3gpuE7ELNS1_3repE0EEENS1_52radix_sort_onesweep_histogram_config_static_selectorELNS0_4arch9wavefront6targetE1EEEvSG_
	.globl	_ZN7rocprim17ROCPRIM_400000_NS6detail17trampoline_kernelINS0_14default_configENS1_35radix_sort_onesweep_config_selectorIjjEEZNS1_34radix_sort_onesweep_global_offsetsIS3_Lb0EN6thrust23THRUST_200600_302600_NS6detail15normal_iteratorINS8_10device_ptrIjEEEESD_jNS0_19identity_decomposerEEE10hipError_tT1_T2_PT3_SI_jT4_jjP12ihipStream_tbEUlT_E_NS1_11comp_targetILNS1_3genE3ELNS1_11target_archE908ELNS1_3gpuE7ELNS1_3repE0EEENS1_52radix_sort_onesweep_histogram_config_static_selectorELNS0_4arch9wavefront6targetE1EEEvSG_
	.p2align	8
	.type	_ZN7rocprim17ROCPRIM_400000_NS6detail17trampoline_kernelINS0_14default_configENS1_35radix_sort_onesweep_config_selectorIjjEEZNS1_34radix_sort_onesweep_global_offsetsIS3_Lb0EN6thrust23THRUST_200600_302600_NS6detail15normal_iteratorINS8_10device_ptrIjEEEESD_jNS0_19identity_decomposerEEE10hipError_tT1_T2_PT3_SI_jT4_jjP12ihipStream_tbEUlT_E_NS1_11comp_targetILNS1_3genE3ELNS1_11target_archE908ELNS1_3gpuE7ELNS1_3repE0EEENS1_52radix_sort_onesweep_histogram_config_static_selectorELNS0_4arch9wavefront6targetE1EEEvSG_,@function
_ZN7rocprim17ROCPRIM_400000_NS6detail17trampoline_kernelINS0_14default_configENS1_35radix_sort_onesweep_config_selectorIjjEEZNS1_34radix_sort_onesweep_global_offsetsIS3_Lb0EN6thrust23THRUST_200600_302600_NS6detail15normal_iteratorINS8_10device_ptrIjEEEESD_jNS0_19identity_decomposerEEE10hipError_tT1_T2_PT3_SI_jT4_jjP12ihipStream_tbEUlT_E_NS1_11comp_targetILNS1_3genE3ELNS1_11target_archE908ELNS1_3gpuE7ELNS1_3repE0EEENS1_52radix_sort_onesweep_histogram_config_static_selectorELNS0_4arch9wavefront6targetE1EEEvSG_: ; @_ZN7rocprim17ROCPRIM_400000_NS6detail17trampoline_kernelINS0_14default_configENS1_35radix_sort_onesweep_config_selectorIjjEEZNS1_34radix_sort_onesweep_global_offsetsIS3_Lb0EN6thrust23THRUST_200600_302600_NS6detail15normal_iteratorINS8_10device_ptrIjEEEESD_jNS0_19identity_decomposerEEE10hipError_tT1_T2_PT3_SI_jT4_jjP12ihipStream_tbEUlT_E_NS1_11comp_targetILNS1_3genE3ELNS1_11target_archE908ELNS1_3gpuE7ELNS1_3repE0EEENS1_52radix_sort_onesweep_histogram_config_static_selectorELNS0_4arch9wavefront6targetE1EEEvSG_
; %bb.0:
	.section	.rodata,"a",@progbits
	.p2align	6, 0x0
	.amdhsa_kernel _ZN7rocprim17ROCPRIM_400000_NS6detail17trampoline_kernelINS0_14default_configENS1_35radix_sort_onesweep_config_selectorIjjEEZNS1_34radix_sort_onesweep_global_offsetsIS3_Lb0EN6thrust23THRUST_200600_302600_NS6detail15normal_iteratorINS8_10device_ptrIjEEEESD_jNS0_19identity_decomposerEEE10hipError_tT1_T2_PT3_SI_jT4_jjP12ihipStream_tbEUlT_E_NS1_11comp_targetILNS1_3genE3ELNS1_11target_archE908ELNS1_3gpuE7ELNS1_3repE0EEENS1_52radix_sort_onesweep_histogram_config_static_selectorELNS0_4arch9wavefront6targetE1EEEvSG_
		.amdhsa_group_segment_fixed_size 0
		.amdhsa_private_segment_fixed_size 0
		.amdhsa_kernarg_size 40
		.amdhsa_user_sgpr_count 2
		.amdhsa_user_sgpr_dispatch_ptr 0
		.amdhsa_user_sgpr_queue_ptr 0
		.amdhsa_user_sgpr_kernarg_segment_ptr 1
		.amdhsa_user_sgpr_dispatch_id 0
		.amdhsa_user_sgpr_kernarg_preload_length 0
		.amdhsa_user_sgpr_kernarg_preload_offset 0
		.amdhsa_user_sgpr_private_segment_size 0
		.amdhsa_uses_dynamic_stack 0
		.amdhsa_enable_private_segment 0
		.amdhsa_system_sgpr_workgroup_id_x 1
		.amdhsa_system_sgpr_workgroup_id_y 0
		.amdhsa_system_sgpr_workgroup_id_z 0
		.amdhsa_system_sgpr_workgroup_info 0
		.amdhsa_system_vgpr_workitem_id 0
		.amdhsa_next_free_vgpr 1
		.amdhsa_next_free_sgpr 0
		.amdhsa_accum_offset 4
		.amdhsa_reserve_vcc 0
		.amdhsa_float_round_mode_32 0
		.amdhsa_float_round_mode_16_64 0
		.amdhsa_float_denorm_mode_32 3
		.amdhsa_float_denorm_mode_16_64 3
		.amdhsa_dx10_clamp 1
		.amdhsa_ieee_mode 1
		.amdhsa_fp16_overflow 0
		.amdhsa_tg_split 0
		.amdhsa_exception_fp_ieee_invalid_op 0
		.amdhsa_exception_fp_denorm_src 0
		.amdhsa_exception_fp_ieee_div_zero 0
		.amdhsa_exception_fp_ieee_overflow 0
		.amdhsa_exception_fp_ieee_underflow 0
		.amdhsa_exception_fp_ieee_inexact 0
		.amdhsa_exception_int_div_zero 0
	.end_amdhsa_kernel
	.section	.text._ZN7rocprim17ROCPRIM_400000_NS6detail17trampoline_kernelINS0_14default_configENS1_35radix_sort_onesweep_config_selectorIjjEEZNS1_34radix_sort_onesweep_global_offsetsIS3_Lb0EN6thrust23THRUST_200600_302600_NS6detail15normal_iteratorINS8_10device_ptrIjEEEESD_jNS0_19identity_decomposerEEE10hipError_tT1_T2_PT3_SI_jT4_jjP12ihipStream_tbEUlT_E_NS1_11comp_targetILNS1_3genE3ELNS1_11target_archE908ELNS1_3gpuE7ELNS1_3repE0EEENS1_52radix_sort_onesweep_histogram_config_static_selectorELNS0_4arch9wavefront6targetE1EEEvSG_,"axG",@progbits,_ZN7rocprim17ROCPRIM_400000_NS6detail17trampoline_kernelINS0_14default_configENS1_35radix_sort_onesweep_config_selectorIjjEEZNS1_34radix_sort_onesweep_global_offsetsIS3_Lb0EN6thrust23THRUST_200600_302600_NS6detail15normal_iteratorINS8_10device_ptrIjEEEESD_jNS0_19identity_decomposerEEE10hipError_tT1_T2_PT3_SI_jT4_jjP12ihipStream_tbEUlT_E_NS1_11comp_targetILNS1_3genE3ELNS1_11target_archE908ELNS1_3gpuE7ELNS1_3repE0EEENS1_52radix_sort_onesweep_histogram_config_static_selectorELNS0_4arch9wavefront6targetE1EEEvSG_,comdat
.Lfunc_end729:
	.size	_ZN7rocprim17ROCPRIM_400000_NS6detail17trampoline_kernelINS0_14default_configENS1_35radix_sort_onesweep_config_selectorIjjEEZNS1_34radix_sort_onesweep_global_offsetsIS3_Lb0EN6thrust23THRUST_200600_302600_NS6detail15normal_iteratorINS8_10device_ptrIjEEEESD_jNS0_19identity_decomposerEEE10hipError_tT1_T2_PT3_SI_jT4_jjP12ihipStream_tbEUlT_E_NS1_11comp_targetILNS1_3genE3ELNS1_11target_archE908ELNS1_3gpuE7ELNS1_3repE0EEENS1_52radix_sort_onesweep_histogram_config_static_selectorELNS0_4arch9wavefront6targetE1EEEvSG_, .Lfunc_end729-_ZN7rocprim17ROCPRIM_400000_NS6detail17trampoline_kernelINS0_14default_configENS1_35radix_sort_onesweep_config_selectorIjjEEZNS1_34radix_sort_onesweep_global_offsetsIS3_Lb0EN6thrust23THRUST_200600_302600_NS6detail15normal_iteratorINS8_10device_ptrIjEEEESD_jNS0_19identity_decomposerEEE10hipError_tT1_T2_PT3_SI_jT4_jjP12ihipStream_tbEUlT_E_NS1_11comp_targetILNS1_3genE3ELNS1_11target_archE908ELNS1_3gpuE7ELNS1_3repE0EEENS1_52radix_sort_onesweep_histogram_config_static_selectorELNS0_4arch9wavefront6targetE1EEEvSG_
                                        ; -- End function
	.set _ZN7rocprim17ROCPRIM_400000_NS6detail17trampoline_kernelINS0_14default_configENS1_35radix_sort_onesweep_config_selectorIjjEEZNS1_34radix_sort_onesweep_global_offsetsIS3_Lb0EN6thrust23THRUST_200600_302600_NS6detail15normal_iteratorINS8_10device_ptrIjEEEESD_jNS0_19identity_decomposerEEE10hipError_tT1_T2_PT3_SI_jT4_jjP12ihipStream_tbEUlT_E_NS1_11comp_targetILNS1_3genE3ELNS1_11target_archE908ELNS1_3gpuE7ELNS1_3repE0EEENS1_52radix_sort_onesweep_histogram_config_static_selectorELNS0_4arch9wavefront6targetE1EEEvSG_.num_vgpr, 0
	.set _ZN7rocprim17ROCPRIM_400000_NS6detail17trampoline_kernelINS0_14default_configENS1_35radix_sort_onesweep_config_selectorIjjEEZNS1_34radix_sort_onesweep_global_offsetsIS3_Lb0EN6thrust23THRUST_200600_302600_NS6detail15normal_iteratorINS8_10device_ptrIjEEEESD_jNS0_19identity_decomposerEEE10hipError_tT1_T2_PT3_SI_jT4_jjP12ihipStream_tbEUlT_E_NS1_11comp_targetILNS1_3genE3ELNS1_11target_archE908ELNS1_3gpuE7ELNS1_3repE0EEENS1_52radix_sort_onesweep_histogram_config_static_selectorELNS0_4arch9wavefront6targetE1EEEvSG_.num_agpr, 0
	.set _ZN7rocprim17ROCPRIM_400000_NS6detail17trampoline_kernelINS0_14default_configENS1_35radix_sort_onesweep_config_selectorIjjEEZNS1_34radix_sort_onesweep_global_offsetsIS3_Lb0EN6thrust23THRUST_200600_302600_NS6detail15normal_iteratorINS8_10device_ptrIjEEEESD_jNS0_19identity_decomposerEEE10hipError_tT1_T2_PT3_SI_jT4_jjP12ihipStream_tbEUlT_E_NS1_11comp_targetILNS1_3genE3ELNS1_11target_archE908ELNS1_3gpuE7ELNS1_3repE0EEENS1_52radix_sort_onesweep_histogram_config_static_selectorELNS0_4arch9wavefront6targetE1EEEvSG_.numbered_sgpr, 0
	.set _ZN7rocprim17ROCPRIM_400000_NS6detail17trampoline_kernelINS0_14default_configENS1_35radix_sort_onesweep_config_selectorIjjEEZNS1_34radix_sort_onesweep_global_offsetsIS3_Lb0EN6thrust23THRUST_200600_302600_NS6detail15normal_iteratorINS8_10device_ptrIjEEEESD_jNS0_19identity_decomposerEEE10hipError_tT1_T2_PT3_SI_jT4_jjP12ihipStream_tbEUlT_E_NS1_11comp_targetILNS1_3genE3ELNS1_11target_archE908ELNS1_3gpuE7ELNS1_3repE0EEENS1_52radix_sort_onesweep_histogram_config_static_selectorELNS0_4arch9wavefront6targetE1EEEvSG_.num_named_barrier, 0
	.set _ZN7rocprim17ROCPRIM_400000_NS6detail17trampoline_kernelINS0_14default_configENS1_35radix_sort_onesweep_config_selectorIjjEEZNS1_34radix_sort_onesweep_global_offsetsIS3_Lb0EN6thrust23THRUST_200600_302600_NS6detail15normal_iteratorINS8_10device_ptrIjEEEESD_jNS0_19identity_decomposerEEE10hipError_tT1_T2_PT3_SI_jT4_jjP12ihipStream_tbEUlT_E_NS1_11comp_targetILNS1_3genE3ELNS1_11target_archE908ELNS1_3gpuE7ELNS1_3repE0EEENS1_52radix_sort_onesweep_histogram_config_static_selectorELNS0_4arch9wavefront6targetE1EEEvSG_.private_seg_size, 0
	.set _ZN7rocprim17ROCPRIM_400000_NS6detail17trampoline_kernelINS0_14default_configENS1_35radix_sort_onesweep_config_selectorIjjEEZNS1_34radix_sort_onesweep_global_offsetsIS3_Lb0EN6thrust23THRUST_200600_302600_NS6detail15normal_iteratorINS8_10device_ptrIjEEEESD_jNS0_19identity_decomposerEEE10hipError_tT1_T2_PT3_SI_jT4_jjP12ihipStream_tbEUlT_E_NS1_11comp_targetILNS1_3genE3ELNS1_11target_archE908ELNS1_3gpuE7ELNS1_3repE0EEENS1_52radix_sort_onesweep_histogram_config_static_selectorELNS0_4arch9wavefront6targetE1EEEvSG_.uses_vcc, 0
	.set _ZN7rocprim17ROCPRIM_400000_NS6detail17trampoline_kernelINS0_14default_configENS1_35radix_sort_onesweep_config_selectorIjjEEZNS1_34radix_sort_onesweep_global_offsetsIS3_Lb0EN6thrust23THRUST_200600_302600_NS6detail15normal_iteratorINS8_10device_ptrIjEEEESD_jNS0_19identity_decomposerEEE10hipError_tT1_T2_PT3_SI_jT4_jjP12ihipStream_tbEUlT_E_NS1_11comp_targetILNS1_3genE3ELNS1_11target_archE908ELNS1_3gpuE7ELNS1_3repE0EEENS1_52radix_sort_onesweep_histogram_config_static_selectorELNS0_4arch9wavefront6targetE1EEEvSG_.uses_flat_scratch, 0
	.set _ZN7rocprim17ROCPRIM_400000_NS6detail17trampoline_kernelINS0_14default_configENS1_35radix_sort_onesweep_config_selectorIjjEEZNS1_34radix_sort_onesweep_global_offsetsIS3_Lb0EN6thrust23THRUST_200600_302600_NS6detail15normal_iteratorINS8_10device_ptrIjEEEESD_jNS0_19identity_decomposerEEE10hipError_tT1_T2_PT3_SI_jT4_jjP12ihipStream_tbEUlT_E_NS1_11comp_targetILNS1_3genE3ELNS1_11target_archE908ELNS1_3gpuE7ELNS1_3repE0EEENS1_52radix_sort_onesweep_histogram_config_static_selectorELNS0_4arch9wavefront6targetE1EEEvSG_.has_dyn_sized_stack, 0
	.set _ZN7rocprim17ROCPRIM_400000_NS6detail17trampoline_kernelINS0_14default_configENS1_35radix_sort_onesweep_config_selectorIjjEEZNS1_34radix_sort_onesweep_global_offsetsIS3_Lb0EN6thrust23THRUST_200600_302600_NS6detail15normal_iteratorINS8_10device_ptrIjEEEESD_jNS0_19identity_decomposerEEE10hipError_tT1_T2_PT3_SI_jT4_jjP12ihipStream_tbEUlT_E_NS1_11comp_targetILNS1_3genE3ELNS1_11target_archE908ELNS1_3gpuE7ELNS1_3repE0EEENS1_52radix_sort_onesweep_histogram_config_static_selectorELNS0_4arch9wavefront6targetE1EEEvSG_.has_recursion, 0
	.set _ZN7rocprim17ROCPRIM_400000_NS6detail17trampoline_kernelINS0_14default_configENS1_35radix_sort_onesweep_config_selectorIjjEEZNS1_34radix_sort_onesweep_global_offsetsIS3_Lb0EN6thrust23THRUST_200600_302600_NS6detail15normal_iteratorINS8_10device_ptrIjEEEESD_jNS0_19identity_decomposerEEE10hipError_tT1_T2_PT3_SI_jT4_jjP12ihipStream_tbEUlT_E_NS1_11comp_targetILNS1_3genE3ELNS1_11target_archE908ELNS1_3gpuE7ELNS1_3repE0EEENS1_52radix_sort_onesweep_histogram_config_static_selectorELNS0_4arch9wavefront6targetE1EEEvSG_.has_indirect_call, 0
	.section	.AMDGPU.csdata,"",@progbits
; Kernel info:
; codeLenInByte = 0
; TotalNumSgprs: 6
; NumVgprs: 0
; NumAgprs: 0
; TotalNumVgprs: 0
; ScratchSize: 0
; MemoryBound: 0
; FloatMode: 240
; IeeeMode: 1
; LDSByteSize: 0 bytes/workgroup (compile time only)
; SGPRBlocks: 0
; VGPRBlocks: 0
; NumSGPRsForWavesPerEU: 6
; NumVGPRsForWavesPerEU: 1
; AccumOffset: 4
; Occupancy: 8
; WaveLimiterHint : 0
; COMPUTE_PGM_RSRC2:SCRATCH_EN: 0
; COMPUTE_PGM_RSRC2:USER_SGPR: 2
; COMPUTE_PGM_RSRC2:TRAP_HANDLER: 0
; COMPUTE_PGM_RSRC2:TGID_X_EN: 1
; COMPUTE_PGM_RSRC2:TGID_Y_EN: 0
; COMPUTE_PGM_RSRC2:TGID_Z_EN: 0
; COMPUTE_PGM_RSRC2:TIDIG_COMP_CNT: 0
; COMPUTE_PGM_RSRC3_GFX90A:ACCUM_OFFSET: 0
; COMPUTE_PGM_RSRC3_GFX90A:TG_SPLIT: 0
	.section	.text._ZN7rocprim17ROCPRIM_400000_NS6detail17trampoline_kernelINS0_14default_configENS1_35radix_sort_onesweep_config_selectorIjjEEZNS1_34radix_sort_onesweep_global_offsetsIS3_Lb0EN6thrust23THRUST_200600_302600_NS6detail15normal_iteratorINS8_10device_ptrIjEEEESD_jNS0_19identity_decomposerEEE10hipError_tT1_T2_PT3_SI_jT4_jjP12ihipStream_tbEUlT_E_NS1_11comp_targetILNS1_3genE10ELNS1_11target_archE1201ELNS1_3gpuE5ELNS1_3repE0EEENS1_52radix_sort_onesweep_histogram_config_static_selectorELNS0_4arch9wavefront6targetE1EEEvSG_,"axG",@progbits,_ZN7rocprim17ROCPRIM_400000_NS6detail17trampoline_kernelINS0_14default_configENS1_35radix_sort_onesweep_config_selectorIjjEEZNS1_34radix_sort_onesweep_global_offsetsIS3_Lb0EN6thrust23THRUST_200600_302600_NS6detail15normal_iteratorINS8_10device_ptrIjEEEESD_jNS0_19identity_decomposerEEE10hipError_tT1_T2_PT3_SI_jT4_jjP12ihipStream_tbEUlT_E_NS1_11comp_targetILNS1_3genE10ELNS1_11target_archE1201ELNS1_3gpuE5ELNS1_3repE0EEENS1_52radix_sort_onesweep_histogram_config_static_selectorELNS0_4arch9wavefront6targetE1EEEvSG_,comdat
	.protected	_ZN7rocprim17ROCPRIM_400000_NS6detail17trampoline_kernelINS0_14default_configENS1_35radix_sort_onesweep_config_selectorIjjEEZNS1_34radix_sort_onesweep_global_offsetsIS3_Lb0EN6thrust23THRUST_200600_302600_NS6detail15normal_iteratorINS8_10device_ptrIjEEEESD_jNS0_19identity_decomposerEEE10hipError_tT1_T2_PT3_SI_jT4_jjP12ihipStream_tbEUlT_E_NS1_11comp_targetILNS1_3genE10ELNS1_11target_archE1201ELNS1_3gpuE5ELNS1_3repE0EEENS1_52radix_sort_onesweep_histogram_config_static_selectorELNS0_4arch9wavefront6targetE1EEEvSG_ ; -- Begin function _ZN7rocprim17ROCPRIM_400000_NS6detail17trampoline_kernelINS0_14default_configENS1_35radix_sort_onesweep_config_selectorIjjEEZNS1_34radix_sort_onesweep_global_offsetsIS3_Lb0EN6thrust23THRUST_200600_302600_NS6detail15normal_iteratorINS8_10device_ptrIjEEEESD_jNS0_19identity_decomposerEEE10hipError_tT1_T2_PT3_SI_jT4_jjP12ihipStream_tbEUlT_E_NS1_11comp_targetILNS1_3genE10ELNS1_11target_archE1201ELNS1_3gpuE5ELNS1_3repE0EEENS1_52radix_sort_onesweep_histogram_config_static_selectorELNS0_4arch9wavefront6targetE1EEEvSG_
	.globl	_ZN7rocprim17ROCPRIM_400000_NS6detail17trampoline_kernelINS0_14default_configENS1_35radix_sort_onesweep_config_selectorIjjEEZNS1_34radix_sort_onesweep_global_offsetsIS3_Lb0EN6thrust23THRUST_200600_302600_NS6detail15normal_iteratorINS8_10device_ptrIjEEEESD_jNS0_19identity_decomposerEEE10hipError_tT1_T2_PT3_SI_jT4_jjP12ihipStream_tbEUlT_E_NS1_11comp_targetILNS1_3genE10ELNS1_11target_archE1201ELNS1_3gpuE5ELNS1_3repE0EEENS1_52radix_sort_onesweep_histogram_config_static_selectorELNS0_4arch9wavefront6targetE1EEEvSG_
	.p2align	8
	.type	_ZN7rocprim17ROCPRIM_400000_NS6detail17trampoline_kernelINS0_14default_configENS1_35radix_sort_onesweep_config_selectorIjjEEZNS1_34radix_sort_onesweep_global_offsetsIS3_Lb0EN6thrust23THRUST_200600_302600_NS6detail15normal_iteratorINS8_10device_ptrIjEEEESD_jNS0_19identity_decomposerEEE10hipError_tT1_T2_PT3_SI_jT4_jjP12ihipStream_tbEUlT_E_NS1_11comp_targetILNS1_3genE10ELNS1_11target_archE1201ELNS1_3gpuE5ELNS1_3repE0EEENS1_52radix_sort_onesweep_histogram_config_static_selectorELNS0_4arch9wavefront6targetE1EEEvSG_,@function
_ZN7rocprim17ROCPRIM_400000_NS6detail17trampoline_kernelINS0_14default_configENS1_35radix_sort_onesweep_config_selectorIjjEEZNS1_34radix_sort_onesweep_global_offsetsIS3_Lb0EN6thrust23THRUST_200600_302600_NS6detail15normal_iteratorINS8_10device_ptrIjEEEESD_jNS0_19identity_decomposerEEE10hipError_tT1_T2_PT3_SI_jT4_jjP12ihipStream_tbEUlT_E_NS1_11comp_targetILNS1_3genE10ELNS1_11target_archE1201ELNS1_3gpuE5ELNS1_3repE0EEENS1_52radix_sort_onesweep_histogram_config_static_selectorELNS0_4arch9wavefront6targetE1EEEvSG_: ; @_ZN7rocprim17ROCPRIM_400000_NS6detail17trampoline_kernelINS0_14default_configENS1_35radix_sort_onesweep_config_selectorIjjEEZNS1_34radix_sort_onesweep_global_offsetsIS3_Lb0EN6thrust23THRUST_200600_302600_NS6detail15normal_iteratorINS8_10device_ptrIjEEEESD_jNS0_19identity_decomposerEEE10hipError_tT1_T2_PT3_SI_jT4_jjP12ihipStream_tbEUlT_E_NS1_11comp_targetILNS1_3genE10ELNS1_11target_archE1201ELNS1_3gpuE5ELNS1_3repE0EEENS1_52radix_sort_onesweep_histogram_config_static_selectorELNS0_4arch9wavefront6targetE1EEEvSG_
; %bb.0:
	.section	.rodata,"a",@progbits
	.p2align	6, 0x0
	.amdhsa_kernel _ZN7rocprim17ROCPRIM_400000_NS6detail17trampoline_kernelINS0_14default_configENS1_35radix_sort_onesweep_config_selectorIjjEEZNS1_34radix_sort_onesweep_global_offsetsIS3_Lb0EN6thrust23THRUST_200600_302600_NS6detail15normal_iteratorINS8_10device_ptrIjEEEESD_jNS0_19identity_decomposerEEE10hipError_tT1_T2_PT3_SI_jT4_jjP12ihipStream_tbEUlT_E_NS1_11comp_targetILNS1_3genE10ELNS1_11target_archE1201ELNS1_3gpuE5ELNS1_3repE0EEENS1_52radix_sort_onesweep_histogram_config_static_selectorELNS0_4arch9wavefront6targetE1EEEvSG_
		.amdhsa_group_segment_fixed_size 0
		.amdhsa_private_segment_fixed_size 0
		.amdhsa_kernarg_size 40
		.amdhsa_user_sgpr_count 2
		.amdhsa_user_sgpr_dispatch_ptr 0
		.amdhsa_user_sgpr_queue_ptr 0
		.amdhsa_user_sgpr_kernarg_segment_ptr 1
		.amdhsa_user_sgpr_dispatch_id 0
		.amdhsa_user_sgpr_kernarg_preload_length 0
		.amdhsa_user_sgpr_kernarg_preload_offset 0
		.amdhsa_user_sgpr_private_segment_size 0
		.amdhsa_uses_dynamic_stack 0
		.amdhsa_enable_private_segment 0
		.amdhsa_system_sgpr_workgroup_id_x 1
		.amdhsa_system_sgpr_workgroup_id_y 0
		.amdhsa_system_sgpr_workgroup_id_z 0
		.amdhsa_system_sgpr_workgroup_info 0
		.amdhsa_system_vgpr_workitem_id 0
		.amdhsa_next_free_vgpr 1
		.amdhsa_next_free_sgpr 0
		.amdhsa_accum_offset 4
		.amdhsa_reserve_vcc 0
		.amdhsa_float_round_mode_32 0
		.amdhsa_float_round_mode_16_64 0
		.amdhsa_float_denorm_mode_32 3
		.amdhsa_float_denorm_mode_16_64 3
		.amdhsa_dx10_clamp 1
		.amdhsa_ieee_mode 1
		.amdhsa_fp16_overflow 0
		.amdhsa_tg_split 0
		.amdhsa_exception_fp_ieee_invalid_op 0
		.amdhsa_exception_fp_denorm_src 0
		.amdhsa_exception_fp_ieee_div_zero 0
		.amdhsa_exception_fp_ieee_overflow 0
		.amdhsa_exception_fp_ieee_underflow 0
		.amdhsa_exception_fp_ieee_inexact 0
		.amdhsa_exception_int_div_zero 0
	.end_amdhsa_kernel
	.section	.text._ZN7rocprim17ROCPRIM_400000_NS6detail17trampoline_kernelINS0_14default_configENS1_35radix_sort_onesweep_config_selectorIjjEEZNS1_34radix_sort_onesweep_global_offsetsIS3_Lb0EN6thrust23THRUST_200600_302600_NS6detail15normal_iteratorINS8_10device_ptrIjEEEESD_jNS0_19identity_decomposerEEE10hipError_tT1_T2_PT3_SI_jT4_jjP12ihipStream_tbEUlT_E_NS1_11comp_targetILNS1_3genE10ELNS1_11target_archE1201ELNS1_3gpuE5ELNS1_3repE0EEENS1_52radix_sort_onesweep_histogram_config_static_selectorELNS0_4arch9wavefront6targetE1EEEvSG_,"axG",@progbits,_ZN7rocprim17ROCPRIM_400000_NS6detail17trampoline_kernelINS0_14default_configENS1_35radix_sort_onesweep_config_selectorIjjEEZNS1_34radix_sort_onesweep_global_offsetsIS3_Lb0EN6thrust23THRUST_200600_302600_NS6detail15normal_iteratorINS8_10device_ptrIjEEEESD_jNS0_19identity_decomposerEEE10hipError_tT1_T2_PT3_SI_jT4_jjP12ihipStream_tbEUlT_E_NS1_11comp_targetILNS1_3genE10ELNS1_11target_archE1201ELNS1_3gpuE5ELNS1_3repE0EEENS1_52radix_sort_onesweep_histogram_config_static_selectorELNS0_4arch9wavefront6targetE1EEEvSG_,comdat
.Lfunc_end730:
	.size	_ZN7rocprim17ROCPRIM_400000_NS6detail17trampoline_kernelINS0_14default_configENS1_35radix_sort_onesweep_config_selectorIjjEEZNS1_34radix_sort_onesweep_global_offsetsIS3_Lb0EN6thrust23THRUST_200600_302600_NS6detail15normal_iteratorINS8_10device_ptrIjEEEESD_jNS0_19identity_decomposerEEE10hipError_tT1_T2_PT3_SI_jT4_jjP12ihipStream_tbEUlT_E_NS1_11comp_targetILNS1_3genE10ELNS1_11target_archE1201ELNS1_3gpuE5ELNS1_3repE0EEENS1_52radix_sort_onesweep_histogram_config_static_selectorELNS0_4arch9wavefront6targetE1EEEvSG_, .Lfunc_end730-_ZN7rocprim17ROCPRIM_400000_NS6detail17trampoline_kernelINS0_14default_configENS1_35radix_sort_onesweep_config_selectorIjjEEZNS1_34radix_sort_onesweep_global_offsetsIS3_Lb0EN6thrust23THRUST_200600_302600_NS6detail15normal_iteratorINS8_10device_ptrIjEEEESD_jNS0_19identity_decomposerEEE10hipError_tT1_T2_PT3_SI_jT4_jjP12ihipStream_tbEUlT_E_NS1_11comp_targetILNS1_3genE10ELNS1_11target_archE1201ELNS1_3gpuE5ELNS1_3repE0EEENS1_52radix_sort_onesweep_histogram_config_static_selectorELNS0_4arch9wavefront6targetE1EEEvSG_
                                        ; -- End function
	.set _ZN7rocprim17ROCPRIM_400000_NS6detail17trampoline_kernelINS0_14default_configENS1_35radix_sort_onesweep_config_selectorIjjEEZNS1_34radix_sort_onesweep_global_offsetsIS3_Lb0EN6thrust23THRUST_200600_302600_NS6detail15normal_iteratorINS8_10device_ptrIjEEEESD_jNS0_19identity_decomposerEEE10hipError_tT1_T2_PT3_SI_jT4_jjP12ihipStream_tbEUlT_E_NS1_11comp_targetILNS1_3genE10ELNS1_11target_archE1201ELNS1_3gpuE5ELNS1_3repE0EEENS1_52radix_sort_onesweep_histogram_config_static_selectorELNS0_4arch9wavefront6targetE1EEEvSG_.num_vgpr, 0
	.set _ZN7rocprim17ROCPRIM_400000_NS6detail17trampoline_kernelINS0_14default_configENS1_35radix_sort_onesweep_config_selectorIjjEEZNS1_34radix_sort_onesweep_global_offsetsIS3_Lb0EN6thrust23THRUST_200600_302600_NS6detail15normal_iteratorINS8_10device_ptrIjEEEESD_jNS0_19identity_decomposerEEE10hipError_tT1_T2_PT3_SI_jT4_jjP12ihipStream_tbEUlT_E_NS1_11comp_targetILNS1_3genE10ELNS1_11target_archE1201ELNS1_3gpuE5ELNS1_3repE0EEENS1_52radix_sort_onesweep_histogram_config_static_selectorELNS0_4arch9wavefront6targetE1EEEvSG_.num_agpr, 0
	.set _ZN7rocprim17ROCPRIM_400000_NS6detail17trampoline_kernelINS0_14default_configENS1_35radix_sort_onesweep_config_selectorIjjEEZNS1_34radix_sort_onesweep_global_offsetsIS3_Lb0EN6thrust23THRUST_200600_302600_NS6detail15normal_iteratorINS8_10device_ptrIjEEEESD_jNS0_19identity_decomposerEEE10hipError_tT1_T2_PT3_SI_jT4_jjP12ihipStream_tbEUlT_E_NS1_11comp_targetILNS1_3genE10ELNS1_11target_archE1201ELNS1_3gpuE5ELNS1_3repE0EEENS1_52radix_sort_onesweep_histogram_config_static_selectorELNS0_4arch9wavefront6targetE1EEEvSG_.numbered_sgpr, 0
	.set _ZN7rocprim17ROCPRIM_400000_NS6detail17trampoline_kernelINS0_14default_configENS1_35radix_sort_onesweep_config_selectorIjjEEZNS1_34radix_sort_onesweep_global_offsetsIS3_Lb0EN6thrust23THRUST_200600_302600_NS6detail15normal_iteratorINS8_10device_ptrIjEEEESD_jNS0_19identity_decomposerEEE10hipError_tT1_T2_PT3_SI_jT4_jjP12ihipStream_tbEUlT_E_NS1_11comp_targetILNS1_3genE10ELNS1_11target_archE1201ELNS1_3gpuE5ELNS1_3repE0EEENS1_52radix_sort_onesweep_histogram_config_static_selectorELNS0_4arch9wavefront6targetE1EEEvSG_.num_named_barrier, 0
	.set _ZN7rocprim17ROCPRIM_400000_NS6detail17trampoline_kernelINS0_14default_configENS1_35radix_sort_onesweep_config_selectorIjjEEZNS1_34radix_sort_onesweep_global_offsetsIS3_Lb0EN6thrust23THRUST_200600_302600_NS6detail15normal_iteratorINS8_10device_ptrIjEEEESD_jNS0_19identity_decomposerEEE10hipError_tT1_T2_PT3_SI_jT4_jjP12ihipStream_tbEUlT_E_NS1_11comp_targetILNS1_3genE10ELNS1_11target_archE1201ELNS1_3gpuE5ELNS1_3repE0EEENS1_52radix_sort_onesweep_histogram_config_static_selectorELNS0_4arch9wavefront6targetE1EEEvSG_.private_seg_size, 0
	.set _ZN7rocprim17ROCPRIM_400000_NS6detail17trampoline_kernelINS0_14default_configENS1_35radix_sort_onesweep_config_selectorIjjEEZNS1_34radix_sort_onesweep_global_offsetsIS3_Lb0EN6thrust23THRUST_200600_302600_NS6detail15normal_iteratorINS8_10device_ptrIjEEEESD_jNS0_19identity_decomposerEEE10hipError_tT1_T2_PT3_SI_jT4_jjP12ihipStream_tbEUlT_E_NS1_11comp_targetILNS1_3genE10ELNS1_11target_archE1201ELNS1_3gpuE5ELNS1_3repE0EEENS1_52radix_sort_onesweep_histogram_config_static_selectorELNS0_4arch9wavefront6targetE1EEEvSG_.uses_vcc, 0
	.set _ZN7rocprim17ROCPRIM_400000_NS6detail17trampoline_kernelINS0_14default_configENS1_35radix_sort_onesweep_config_selectorIjjEEZNS1_34radix_sort_onesweep_global_offsetsIS3_Lb0EN6thrust23THRUST_200600_302600_NS6detail15normal_iteratorINS8_10device_ptrIjEEEESD_jNS0_19identity_decomposerEEE10hipError_tT1_T2_PT3_SI_jT4_jjP12ihipStream_tbEUlT_E_NS1_11comp_targetILNS1_3genE10ELNS1_11target_archE1201ELNS1_3gpuE5ELNS1_3repE0EEENS1_52radix_sort_onesweep_histogram_config_static_selectorELNS0_4arch9wavefront6targetE1EEEvSG_.uses_flat_scratch, 0
	.set _ZN7rocprim17ROCPRIM_400000_NS6detail17trampoline_kernelINS0_14default_configENS1_35radix_sort_onesweep_config_selectorIjjEEZNS1_34radix_sort_onesweep_global_offsetsIS3_Lb0EN6thrust23THRUST_200600_302600_NS6detail15normal_iteratorINS8_10device_ptrIjEEEESD_jNS0_19identity_decomposerEEE10hipError_tT1_T2_PT3_SI_jT4_jjP12ihipStream_tbEUlT_E_NS1_11comp_targetILNS1_3genE10ELNS1_11target_archE1201ELNS1_3gpuE5ELNS1_3repE0EEENS1_52radix_sort_onesweep_histogram_config_static_selectorELNS0_4arch9wavefront6targetE1EEEvSG_.has_dyn_sized_stack, 0
	.set _ZN7rocprim17ROCPRIM_400000_NS6detail17trampoline_kernelINS0_14default_configENS1_35radix_sort_onesweep_config_selectorIjjEEZNS1_34radix_sort_onesweep_global_offsetsIS3_Lb0EN6thrust23THRUST_200600_302600_NS6detail15normal_iteratorINS8_10device_ptrIjEEEESD_jNS0_19identity_decomposerEEE10hipError_tT1_T2_PT3_SI_jT4_jjP12ihipStream_tbEUlT_E_NS1_11comp_targetILNS1_3genE10ELNS1_11target_archE1201ELNS1_3gpuE5ELNS1_3repE0EEENS1_52radix_sort_onesweep_histogram_config_static_selectorELNS0_4arch9wavefront6targetE1EEEvSG_.has_recursion, 0
	.set _ZN7rocprim17ROCPRIM_400000_NS6detail17trampoline_kernelINS0_14default_configENS1_35radix_sort_onesweep_config_selectorIjjEEZNS1_34radix_sort_onesweep_global_offsetsIS3_Lb0EN6thrust23THRUST_200600_302600_NS6detail15normal_iteratorINS8_10device_ptrIjEEEESD_jNS0_19identity_decomposerEEE10hipError_tT1_T2_PT3_SI_jT4_jjP12ihipStream_tbEUlT_E_NS1_11comp_targetILNS1_3genE10ELNS1_11target_archE1201ELNS1_3gpuE5ELNS1_3repE0EEENS1_52radix_sort_onesweep_histogram_config_static_selectorELNS0_4arch9wavefront6targetE1EEEvSG_.has_indirect_call, 0
	.section	.AMDGPU.csdata,"",@progbits
; Kernel info:
; codeLenInByte = 0
; TotalNumSgprs: 6
; NumVgprs: 0
; NumAgprs: 0
; TotalNumVgprs: 0
; ScratchSize: 0
; MemoryBound: 0
; FloatMode: 240
; IeeeMode: 1
; LDSByteSize: 0 bytes/workgroup (compile time only)
; SGPRBlocks: 0
; VGPRBlocks: 0
; NumSGPRsForWavesPerEU: 6
; NumVGPRsForWavesPerEU: 1
; AccumOffset: 4
; Occupancy: 8
; WaveLimiterHint : 0
; COMPUTE_PGM_RSRC2:SCRATCH_EN: 0
; COMPUTE_PGM_RSRC2:USER_SGPR: 2
; COMPUTE_PGM_RSRC2:TRAP_HANDLER: 0
; COMPUTE_PGM_RSRC2:TGID_X_EN: 1
; COMPUTE_PGM_RSRC2:TGID_Y_EN: 0
; COMPUTE_PGM_RSRC2:TGID_Z_EN: 0
; COMPUTE_PGM_RSRC2:TIDIG_COMP_CNT: 0
; COMPUTE_PGM_RSRC3_GFX90A:ACCUM_OFFSET: 0
; COMPUTE_PGM_RSRC3_GFX90A:TG_SPLIT: 0
	.section	.text._ZN7rocprim17ROCPRIM_400000_NS6detail17trampoline_kernelINS0_14default_configENS1_35radix_sort_onesweep_config_selectorIjjEEZNS1_34radix_sort_onesweep_global_offsetsIS3_Lb0EN6thrust23THRUST_200600_302600_NS6detail15normal_iteratorINS8_10device_ptrIjEEEESD_jNS0_19identity_decomposerEEE10hipError_tT1_T2_PT3_SI_jT4_jjP12ihipStream_tbEUlT_E_NS1_11comp_targetILNS1_3genE9ELNS1_11target_archE1100ELNS1_3gpuE3ELNS1_3repE0EEENS1_52radix_sort_onesweep_histogram_config_static_selectorELNS0_4arch9wavefront6targetE1EEEvSG_,"axG",@progbits,_ZN7rocprim17ROCPRIM_400000_NS6detail17trampoline_kernelINS0_14default_configENS1_35radix_sort_onesweep_config_selectorIjjEEZNS1_34radix_sort_onesweep_global_offsetsIS3_Lb0EN6thrust23THRUST_200600_302600_NS6detail15normal_iteratorINS8_10device_ptrIjEEEESD_jNS0_19identity_decomposerEEE10hipError_tT1_T2_PT3_SI_jT4_jjP12ihipStream_tbEUlT_E_NS1_11comp_targetILNS1_3genE9ELNS1_11target_archE1100ELNS1_3gpuE3ELNS1_3repE0EEENS1_52radix_sort_onesweep_histogram_config_static_selectorELNS0_4arch9wavefront6targetE1EEEvSG_,comdat
	.protected	_ZN7rocprim17ROCPRIM_400000_NS6detail17trampoline_kernelINS0_14default_configENS1_35radix_sort_onesweep_config_selectorIjjEEZNS1_34radix_sort_onesweep_global_offsetsIS3_Lb0EN6thrust23THRUST_200600_302600_NS6detail15normal_iteratorINS8_10device_ptrIjEEEESD_jNS0_19identity_decomposerEEE10hipError_tT1_T2_PT3_SI_jT4_jjP12ihipStream_tbEUlT_E_NS1_11comp_targetILNS1_3genE9ELNS1_11target_archE1100ELNS1_3gpuE3ELNS1_3repE0EEENS1_52radix_sort_onesweep_histogram_config_static_selectorELNS0_4arch9wavefront6targetE1EEEvSG_ ; -- Begin function _ZN7rocprim17ROCPRIM_400000_NS6detail17trampoline_kernelINS0_14default_configENS1_35radix_sort_onesweep_config_selectorIjjEEZNS1_34radix_sort_onesweep_global_offsetsIS3_Lb0EN6thrust23THRUST_200600_302600_NS6detail15normal_iteratorINS8_10device_ptrIjEEEESD_jNS0_19identity_decomposerEEE10hipError_tT1_T2_PT3_SI_jT4_jjP12ihipStream_tbEUlT_E_NS1_11comp_targetILNS1_3genE9ELNS1_11target_archE1100ELNS1_3gpuE3ELNS1_3repE0EEENS1_52radix_sort_onesweep_histogram_config_static_selectorELNS0_4arch9wavefront6targetE1EEEvSG_
	.globl	_ZN7rocprim17ROCPRIM_400000_NS6detail17trampoline_kernelINS0_14default_configENS1_35radix_sort_onesweep_config_selectorIjjEEZNS1_34radix_sort_onesweep_global_offsetsIS3_Lb0EN6thrust23THRUST_200600_302600_NS6detail15normal_iteratorINS8_10device_ptrIjEEEESD_jNS0_19identity_decomposerEEE10hipError_tT1_T2_PT3_SI_jT4_jjP12ihipStream_tbEUlT_E_NS1_11comp_targetILNS1_3genE9ELNS1_11target_archE1100ELNS1_3gpuE3ELNS1_3repE0EEENS1_52radix_sort_onesweep_histogram_config_static_selectorELNS0_4arch9wavefront6targetE1EEEvSG_
	.p2align	8
	.type	_ZN7rocprim17ROCPRIM_400000_NS6detail17trampoline_kernelINS0_14default_configENS1_35radix_sort_onesweep_config_selectorIjjEEZNS1_34radix_sort_onesweep_global_offsetsIS3_Lb0EN6thrust23THRUST_200600_302600_NS6detail15normal_iteratorINS8_10device_ptrIjEEEESD_jNS0_19identity_decomposerEEE10hipError_tT1_T2_PT3_SI_jT4_jjP12ihipStream_tbEUlT_E_NS1_11comp_targetILNS1_3genE9ELNS1_11target_archE1100ELNS1_3gpuE3ELNS1_3repE0EEENS1_52radix_sort_onesweep_histogram_config_static_selectorELNS0_4arch9wavefront6targetE1EEEvSG_,@function
_ZN7rocprim17ROCPRIM_400000_NS6detail17trampoline_kernelINS0_14default_configENS1_35radix_sort_onesweep_config_selectorIjjEEZNS1_34radix_sort_onesweep_global_offsetsIS3_Lb0EN6thrust23THRUST_200600_302600_NS6detail15normal_iteratorINS8_10device_ptrIjEEEESD_jNS0_19identity_decomposerEEE10hipError_tT1_T2_PT3_SI_jT4_jjP12ihipStream_tbEUlT_E_NS1_11comp_targetILNS1_3genE9ELNS1_11target_archE1100ELNS1_3gpuE3ELNS1_3repE0EEENS1_52radix_sort_onesweep_histogram_config_static_selectorELNS0_4arch9wavefront6targetE1EEEvSG_: ; @_ZN7rocprim17ROCPRIM_400000_NS6detail17trampoline_kernelINS0_14default_configENS1_35radix_sort_onesweep_config_selectorIjjEEZNS1_34radix_sort_onesweep_global_offsetsIS3_Lb0EN6thrust23THRUST_200600_302600_NS6detail15normal_iteratorINS8_10device_ptrIjEEEESD_jNS0_19identity_decomposerEEE10hipError_tT1_T2_PT3_SI_jT4_jjP12ihipStream_tbEUlT_E_NS1_11comp_targetILNS1_3genE9ELNS1_11target_archE1100ELNS1_3gpuE3ELNS1_3repE0EEENS1_52radix_sort_onesweep_histogram_config_static_selectorELNS0_4arch9wavefront6targetE1EEEvSG_
; %bb.0:
	.section	.rodata,"a",@progbits
	.p2align	6, 0x0
	.amdhsa_kernel _ZN7rocprim17ROCPRIM_400000_NS6detail17trampoline_kernelINS0_14default_configENS1_35radix_sort_onesweep_config_selectorIjjEEZNS1_34radix_sort_onesweep_global_offsetsIS3_Lb0EN6thrust23THRUST_200600_302600_NS6detail15normal_iteratorINS8_10device_ptrIjEEEESD_jNS0_19identity_decomposerEEE10hipError_tT1_T2_PT3_SI_jT4_jjP12ihipStream_tbEUlT_E_NS1_11comp_targetILNS1_3genE9ELNS1_11target_archE1100ELNS1_3gpuE3ELNS1_3repE0EEENS1_52radix_sort_onesweep_histogram_config_static_selectorELNS0_4arch9wavefront6targetE1EEEvSG_
		.amdhsa_group_segment_fixed_size 0
		.amdhsa_private_segment_fixed_size 0
		.amdhsa_kernarg_size 40
		.amdhsa_user_sgpr_count 2
		.amdhsa_user_sgpr_dispatch_ptr 0
		.amdhsa_user_sgpr_queue_ptr 0
		.amdhsa_user_sgpr_kernarg_segment_ptr 1
		.amdhsa_user_sgpr_dispatch_id 0
		.amdhsa_user_sgpr_kernarg_preload_length 0
		.amdhsa_user_sgpr_kernarg_preload_offset 0
		.amdhsa_user_sgpr_private_segment_size 0
		.amdhsa_uses_dynamic_stack 0
		.amdhsa_enable_private_segment 0
		.amdhsa_system_sgpr_workgroup_id_x 1
		.amdhsa_system_sgpr_workgroup_id_y 0
		.amdhsa_system_sgpr_workgroup_id_z 0
		.amdhsa_system_sgpr_workgroup_info 0
		.amdhsa_system_vgpr_workitem_id 0
		.amdhsa_next_free_vgpr 1
		.amdhsa_next_free_sgpr 0
		.amdhsa_accum_offset 4
		.amdhsa_reserve_vcc 0
		.amdhsa_float_round_mode_32 0
		.amdhsa_float_round_mode_16_64 0
		.amdhsa_float_denorm_mode_32 3
		.amdhsa_float_denorm_mode_16_64 3
		.amdhsa_dx10_clamp 1
		.amdhsa_ieee_mode 1
		.amdhsa_fp16_overflow 0
		.amdhsa_tg_split 0
		.amdhsa_exception_fp_ieee_invalid_op 0
		.amdhsa_exception_fp_denorm_src 0
		.amdhsa_exception_fp_ieee_div_zero 0
		.amdhsa_exception_fp_ieee_overflow 0
		.amdhsa_exception_fp_ieee_underflow 0
		.amdhsa_exception_fp_ieee_inexact 0
		.amdhsa_exception_int_div_zero 0
	.end_amdhsa_kernel
	.section	.text._ZN7rocprim17ROCPRIM_400000_NS6detail17trampoline_kernelINS0_14default_configENS1_35radix_sort_onesweep_config_selectorIjjEEZNS1_34radix_sort_onesweep_global_offsetsIS3_Lb0EN6thrust23THRUST_200600_302600_NS6detail15normal_iteratorINS8_10device_ptrIjEEEESD_jNS0_19identity_decomposerEEE10hipError_tT1_T2_PT3_SI_jT4_jjP12ihipStream_tbEUlT_E_NS1_11comp_targetILNS1_3genE9ELNS1_11target_archE1100ELNS1_3gpuE3ELNS1_3repE0EEENS1_52radix_sort_onesweep_histogram_config_static_selectorELNS0_4arch9wavefront6targetE1EEEvSG_,"axG",@progbits,_ZN7rocprim17ROCPRIM_400000_NS6detail17trampoline_kernelINS0_14default_configENS1_35radix_sort_onesweep_config_selectorIjjEEZNS1_34radix_sort_onesweep_global_offsetsIS3_Lb0EN6thrust23THRUST_200600_302600_NS6detail15normal_iteratorINS8_10device_ptrIjEEEESD_jNS0_19identity_decomposerEEE10hipError_tT1_T2_PT3_SI_jT4_jjP12ihipStream_tbEUlT_E_NS1_11comp_targetILNS1_3genE9ELNS1_11target_archE1100ELNS1_3gpuE3ELNS1_3repE0EEENS1_52radix_sort_onesweep_histogram_config_static_selectorELNS0_4arch9wavefront6targetE1EEEvSG_,comdat
.Lfunc_end731:
	.size	_ZN7rocprim17ROCPRIM_400000_NS6detail17trampoline_kernelINS0_14default_configENS1_35radix_sort_onesweep_config_selectorIjjEEZNS1_34radix_sort_onesweep_global_offsetsIS3_Lb0EN6thrust23THRUST_200600_302600_NS6detail15normal_iteratorINS8_10device_ptrIjEEEESD_jNS0_19identity_decomposerEEE10hipError_tT1_T2_PT3_SI_jT4_jjP12ihipStream_tbEUlT_E_NS1_11comp_targetILNS1_3genE9ELNS1_11target_archE1100ELNS1_3gpuE3ELNS1_3repE0EEENS1_52radix_sort_onesweep_histogram_config_static_selectorELNS0_4arch9wavefront6targetE1EEEvSG_, .Lfunc_end731-_ZN7rocprim17ROCPRIM_400000_NS6detail17trampoline_kernelINS0_14default_configENS1_35radix_sort_onesweep_config_selectorIjjEEZNS1_34radix_sort_onesweep_global_offsetsIS3_Lb0EN6thrust23THRUST_200600_302600_NS6detail15normal_iteratorINS8_10device_ptrIjEEEESD_jNS0_19identity_decomposerEEE10hipError_tT1_T2_PT3_SI_jT4_jjP12ihipStream_tbEUlT_E_NS1_11comp_targetILNS1_3genE9ELNS1_11target_archE1100ELNS1_3gpuE3ELNS1_3repE0EEENS1_52radix_sort_onesweep_histogram_config_static_selectorELNS0_4arch9wavefront6targetE1EEEvSG_
                                        ; -- End function
	.set _ZN7rocprim17ROCPRIM_400000_NS6detail17trampoline_kernelINS0_14default_configENS1_35radix_sort_onesweep_config_selectorIjjEEZNS1_34radix_sort_onesweep_global_offsetsIS3_Lb0EN6thrust23THRUST_200600_302600_NS6detail15normal_iteratorINS8_10device_ptrIjEEEESD_jNS0_19identity_decomposerEEE10hipError_tT1_T2_PT3_SI_jT4_jjP12ihipStream_tbEUlT_E_NS1_11comp_targetILNS1_3genE9ELNS1_11target_archE1100ELNS1_3gpuE3ELNS1_3repE0EEENS1_52radix_sort_onesweep_histogram_config_static_selectorELNS0_4arch9wavefront6targetE1EEEvSG_.num_vgpr, 0
	.set _ZN7rocprim17ROCPRIM_400000_NS6detail17trampoline_kernelINS0_14default_configENS1_35radix_sort_onesweep_config_selectorIjjEEZNS1_34radix_sort_onesweep_global_offsetsIS3_Lb0EN6thrust23THRUST_200600_302600_NS6detail15normal_iteratorINS8_10device_ptrIjEEEESD_jNS0_19identity_decomposerEEE10hipError_tT1_T2_PT3_SI_jT4_jjP12ihipStream_tbEUlT_E_NS1_11comp_targetILNS1_3genE9ELNS1_11target_archE1100ELNS1_3gpuE3ELNS1_3repE0EEENS1_52radix_sort_onesweep_histogram_config_static_selectorELNS0_4arch9wavefront6targetE1EEEvSG_.num_agpr, 0
	.set _ZN7rocprim17ROCPRIM_400000_NS6detail17trampoline_kernelINS0_14default_configENS1_35radix_sort_onesweep_config_selectorIjjEEZNS1_34radix_sort_onesweep_global_offsetsIS3_Lb0EN6thrust23THRUST_200600_302600_NS6detail15normal_iteratorINS8_10device_ptrIjEEEESD_jNS0_19identity_decomposerEEE10hipError_tT1_T2_PT3_SI_jT4_jjP12ihipStream_tbEUlT_E_NS1_11comp_targetILNS1_3genE9ELNS1_11target_archE1100ELNS1_3gpuE3ELNS1_3repE0EEENS1_52radix_sort_onesweep_histogram_config_static_selectorELNS0_4arch9wavefront6targetE1EEEvSG_.numbered_sgpr, 0
	.set _ZN7rocprim17ROCPRIM_400000_NS6detail17trampoline_kernelINS0_14default_configENS1_35radix_sort_onesweep_config_selectorIjjEEZNS1_34radix_sort_onesweep_global_offsetsIS3_Lb0EN6thrust23THRUST_200600_302600_NS6detail15normal_iteratorINS8_10device_ptrIjEEEESD_jNS0_19identity_decomposerEEE10hipError_tT1_T2_PT3_SI_jT4_jjP12ihipStream_tbEUlT_E_NS1_11comp_targetILNS1_3genE9ELNS1_11target_archE1100ELNS1_3gpuE3ELNS1_3repE0EEENS1_52radix_sort_onesweep_histogram_config_static_selectorELNS0_4arch9wavefront6targetE1EEEvSG_.num_named_barrier, 0
	.set _ZN7rocprim17ROCPRIM_400000_NS6detail17trampoline_kernelINS0_14default_configENS1_35radix_sort_onesweep_config_selectorIjjEEZNS1_34radix_sort_onesweep_global_offsetsIS3_Lb0EN6thrust23THRUST_200600_302600_NS6detail15normal_iteratorINS8_10device_ptrIjEEEESD_jNS0_19identity_decomposerEEE10hipError_tT1_T2_PT3_SI_jT4_jjP12ihipStream_tbEUlT_E_NS1_11comp_targetILNS1_3genE9ELNS1_11target_archE1100ELNS1_3gpuE3ELNS1_3repE0EEENS1_52radix_sort_onesweep_histogram_config_static_selectorELNS0_4arch9wavefront6targetE1EEEvSG_.private_seg_size, 0
	.set _ZN7rocprim17ROCPRIM_400000_NS6detail17trampoline_kernelINS0_14default_configENS1_35radix_sort_onesweep_config_selectorIjjEEZNS1_34radix_sort_onesweep_global_offsetsIS3_Lb0EN6thrust23THRUST_200600_302600_NS6detail15normal_iteratorINS8_10device_ptrIjEEEESD_jNS0_19identity_decomposerEEE10hipError_tT1_T2_PT3_SI_jT4_jjP12ihipStream_tbEUlT_E_NS1_11comp_targetILNS1_3genE9ELNS1_11target_archE1100ELNS1_3gpuE3ELNS1_3repE0EEENS1_52radix_sort_onesweep_histogram_config_static_selectorELNS0_4arch9wavefront6targetE1EEEvSG_.uses_vcc, 0
	.set _ZN7rocprim17ROCPRIM_400000_NS6detail17trampoline_kernelINS0_14default_configENS1_35radix_sort_onesweep_config_selectorIjjEEZNS1_34radix_sort_onesweep_global_offsetsIS3_Lb0EN6thrust23THRUST_200600_302600_NS6detail15normal_iteratorINS8_10device_ptrIjEEEESD_jNS0_19identity_decomposerEEE10hipError_tT1_T2_PT3_SI_jT4_jjP12ihipStream_tbEUlT_E_NS1_11comp_targetILNS1_3genE9ELNS1_11target_archE1100ELNS1_3gpuE3ELNS1_3repE0EEENS1_52radix_sort_onesweep_histogram_config_static_selectorELNS0_4arch9wavefront6targetE1EEEvSG_.uses_flat_scratch, 0
	.set _ZN7rocprim17ROCPRIM_400000_NS6detail17trampoline_kernelINS0_14default_configENS1_35radix_sort_onesweep_config_selectorIjjEEZNS1_34radix_sort_onesweep_global_offsetsIS3_Lb0EN6thrust23THRUST_200600_302600_NS6detail15normal_iteratorINS8_10device_ptrIjEEEESD_jNS0_19identity_decomposerEEE10hipError_tT1_T2_PT3_SI_jT4_jjP12ihipStream_tbEUlT_E_NS1_11comp_targetILNS1_3genE9ELNS1_11target_archE1100ELNS1_3gpuE3ELNS1_3repE0EEENS1_52radix_sort_onesweep_histogram_config_static_selectorELNS0_4arch9wavefront6targetE1EEEvSG_.has_dyn_sized_stack, 0
	.set _ZN7rocprim17ROCPRIM_400000_NS6detail17trampoline_kernelINS0_14default_configENS1_35radix_sort_onesweep_config_selectorIjjEEZNS1_34radix_sort_onesweep_global_offsetsIS3_Lb0EN6thrust23THRUST_200600_302600_NS6detail15normal_iteratorINS8_10device_ptrIjEEEESD_jNS0_19identity_decomposerEEE10hipError_tT1_T2_PT3_SI_jT4_jjP12ihipStream_tbEUlT_E_NS1_11comp_targetILNS1_3genE9ELNS1_11target_archE1100ELNS1_3gpuE3ELNS1_3repE0EEENS1_52radix_sort_onesweep_histogram_config_static_selectorELNS0_4arch9wavefront6targetE1EEEvSG_.has_recursion, 0
	.set _ZN7rocprim17ROCPRIM_400000_NS6detail17trampoline_kernelINS0_14default_configENS1_35radix_sort_onesweep_config_selectorIjjEEZNS1_34radix_sort_onesweep_global_offsetsIS3_Lb0EN6thrust23THRUST_200600_302600_NS6detail15normal_iteratorINS8_10device_ptrIjEEEESD_jNS0_19identity_decomposerEEE10hipError_tT1_T2_PT3_SI_jT4_jjP12ihipStream_tbEUlT_E_NS1_11comp_targetILNS1_3genE9ELNS1_11target_archE1100ELNS1_3gpuE3ELNS1_3repE0EEENS1_52radix_sort_onesweep_histogram_config_static_selectorELNS0_4arch9wavefront6targetE1EEEvSG_.has_indirect_call, 0
	.section	.AMDGPU.csdata,"",@progbits
; Kernel info:
; codeLenInByte = 0
; TotalNumSgprs: 6
; NumVgprs: 0
; NumAgprs: 0
; TotalNumVgprs: 0
; ScratchSize: 0
; MemoryBound: 0
; FloatMode: 240
; IeeeMode: 1
; LDSByteSize: 0 bytes/workgroup (compile time only)
; SGPRBlocks: 0
; VGPRBlocks: 0
; NumSGPRsForWavesPerEU: 6
; NumVGPRsForWavesPerEU: 1
; AccumOffset: 4
; Occupancy: 8
; WaveLimiterHint : 0
; COMPUTE_PGM_RSRC2:SCRATCH_EN: 0
; COMPUTE_PGM_RSRC2:USER_SGPR: 2
; COMPUTE_PGM_RSRC2:TRAP_HANDLER: 0
; COMPUTE_PGM_RSRC2:TGID_X_EN: 1
; COMPUTE_PGM_RSRC2:TGID_Y_EN: 0
; COMPUTE_PGM_RSRC2:TGID_Z_EN: 0
; COMPUTE_PGM_RSRC2:TIDIG_COMP_CNT: 0
; COMPUTE_PGM_RSRC3_GFX90A:ACCUM_OFFSET: 0
; COMPUTE_PGM_RSRC3_GFX90A:TG_SPLIT: 0
	.section	.text._ZN7rocprim17ROCPRIM_400000_NS6detail17trampoline_kernelINS0_14default_configENS1_35radix_sort_onesweep_config_selectorIjjEEZNS1_34radix_sort_onesweep_global_offsetsIS3_Lb0EN6thrust23THRUST_200600_302600_NS6detail15normal_iteratorINS8_10device_ptrIjEEEESD_jNS0_19identity_decomposerEEE10hipError_tT1_T2_PT3_SI_jT4_jjP12ihipStream_tbEUlT_E_NS1_11comp_targetILNS1_3genE8ELNS1_11target_archE1030ELNS1_3gpuE2ELNS1_3repE0EEENS1_52radix_sort_onesweep_histogram_config_static_selectorELNS0_4arch9wavefront6targetE1EEEvSG_,"axG",@progbits,_ZN7rocprim17ROCPRIM_400000_NS6detail17trampoline_kernelINS0_14default_configENS1_35radix_sort_onesweep_config_selectorIjjEEZNS1_34radix_sort_onesweep_global_offsetsIS3_Lb0EN6thrust23THRUST_200600_302600_NS6detail15normal_iteratorINS8_10device_ptrIjEEEESD_jNS0_19identity_decomposerEEE10hipError_tT1_T2_PT3_SI_jT4_jjP12ihipStream_tbEUlT_E_NS1_11comp_targetILNS1_3genE8ELNS1_11target_archE1030ELNS1_3gpuE2ELNS1_3repE0EEENS1_52radix_sort_onesweep_histogram_config_static_selectorELNS0_4arch9wavefront6targetE1EEEvSG_,comdat
	.protected	_ZN7rocprim17ROCPRIM_400000_NS6detail17trampoline_kernelINS0_14default_configENS1_35radix_sort_onesweep_config_selectorIjjEEZNS1_34radix_sort_onesweep_global_offsetsIS3_Lb0EN6thrust23THRUST_200600_302600_NS6detail15normal_iteratorINS8_10device_ptrIjEEEESD_jNS0_19identity_decomposerEEE10hipError_tT1_T2_PT3_SI_jT4_jjP12ihipStream_tbEUlT_E_NS1_11comp_targetILNS1_3genE8ELNS1_11target_archE1030ELNS1_3gpuE2ELNS1_3repE0EEENS1_52radix_sort_onesweep_histogram_config_static_selectorELNS0_4arch9wavefront6targetE1EEEvSG_ ; -- Begin function _ZN7rocprim17ROCPRIM_400000_NS6detail17trampoline_kernelINS0_14default_configENS1_35radix_sort_onesweep_config_selectorIjjEEZNS1_34radix_sort_onesweep_global_offsetsIS3_Lb0EN6thrust23THRUST_200600_302600_NS6detail15normal_iteratorINS8_10device_ptrIjEEEESD_jNS0_19identity_decomposerEEE10hipError_tT1_T2_PT3_SI_jT4_jjP12ihipStream_tbEUlT_E_NS1_11comp_targetILNS1_3genE8ELNS1_11target_archE1030ELNS1_3gpuE2ELNS1_3repE0EEENS1_52radix_sort_onesweep_histogram_config_static_selectorELNS0_4arch9wavefront6targetE1EEEvSG_
	.globl	_ZN7rocprim17ROCPRIM_400000_NS6detail17trampoline_kernelINS0_14default_configENS1_35radix_sort_onesweep_config_selectorIjjEEZNS1_34radix_sort_onesweep_global_offsetsIS3_Lb0EN6thrust23THRUST_200600_302600_NS6detail15normal_iteratorINS8_10device_ptrIjEEEESD_jNS0_19identity_decomposerEEE10hipError_tT1_T2_PT3_SI_jT4_jjP12ihipStream_tbEUlT_E_NS1_11comp_targetILNS1_3genE8ELNS1_11target_archE1030ELNS1_3gpuE2ELNS1_3repE0EEENS1_52radix_sort_onesweep_histogram_config_static_selectorELNS0_4arch9wavefront6targetE1EEEvSG_
	.p2align	8
	.type	_ZN7rocprim17ROCPRIM_400000_NS6detail17trampoline_kernelINS0_14default_configENS1_35radix_sort_onesweep_config_selectorIjjEEZNS1_34radix_sort_onesweep_global_offsetsIS3_Lb0EN6thrust23THRUST_200600_302600_NS6detail15normal_iteratorINS8_10device_ptrIjEEEESD_jNS0_19identity_decomposerEEE10hipError_tT1_T2_PT3_SI_jT4_jjP12ihipStream_tbEUlT_E_NS1_11comp_targetILNS1_3genE8ELNS1_11target_archE1030ELNS1_3gpuE2ELNS1_3repE0EEENS1_52radix_sort_onesweep_histogram_config_static_selectorELNS0_4arch9wavefront6targetE1EEEvSG_,@function
_ZN7rocprim17ROCPRIM_400000_NS6detail17trampoline_kernelINS0_14default_configENS1_35radix_sort_onesweep_config_selectorIjjEEZNS1_34radix_sort_onesweep_global_offsetsIS3_Lb0EN6thrust23THRUST_200600_302600_NS6detail15normal_iteratorINS8_10device_ptrIjEEEESD_jNS0_19identity_decomposerEEE10hipError_tT1_T2_PT3_SI_jT4_jjP12ihipStream_tbEUlT_E_NS1_11comp_targetILNS1_3genE8ELNS1_11target_archE1030ELNS1_3gpuE2ELNS1_3repE0EEENS1_52radix_sort_onesweep_histogram_config_static_selectorELNS0_4arch9wavefront6targetE1EEEvSG_: ; @_ZN7rocprim17ROCPRIM_400000_NS6detail17trampoline_kernelINS0_14default_configENS1_35radix_sort_onesweep_config_selectorIjjEEZNS1_34radix_sort_onesweep_global_offsetsIS3_Lb0EN6thrust23THRUST_200600_302600_NS6detail15normal_iteratorINS8_10device_ptrIjEEEESD_jNS0_19identity_decomposerEEE10hipError_tT1_T2_PT3_SI_jT4_jjP12ihipStream_tbEUlT_E_NS1_11comp_targetILNS1_3genE8ELNS1_11target_archE1030ELNS1_3gpuE2ELNS1_3repE0EEENS1_52radix_sort_onesweep_histogram_config_static_selectorELNS0_4arch9wavefront6targetE1EEEvSG_
; %bb.0:
	.section	.rodata,"a",@progbits
	.p2align	6, 0x0
	.amdhsa_kernel _ZN7rocprim17ROCPRIM_400000_NS6detail17trampoline_kernelINS0_14default_configENS1_35radix_sort_onesweep_config_selectorIjjEEZNS1_34radix_sort_onesweep_global_offsetsIS3_Lb0EN6thrust23THRUST_200600_302600_NS6detail15normal_iteratorINS8_10device_ptrIjEEEESD_jNS0_19identity_decomposerEEE10hipError_tT1_T2_PT3_SI_jT4_jjP12ihipStream_tbEUlT_E_NS1_11comp_targetILNS1_3genE8ELNS1_11target_archE1030ELNS1_3gpuE2ELNS1_3repE0EEENS1_52radix_sort_onesweep_histogram_config_static_selectorELNS0_4arch9wavefront6targetE1EEEvSG_
		.amdhsa_group_segment_fixed_size 0
		.amdhsa_private_segment_fixed_size 0
		.amdhsa_kernarg_size 40
		.amdhsa_user_sgpr_count 2
		.amdhsa_user_sgpr_dispatch_ptr 0
		.amdhsa_user_sgpr_queue_ptr 0
		.amdhsa_user_sgpr_kernarg_segment_ptr 1
		.amdhsa_user_sgpr_dispatch_id 0
		.amdhsa_user_sgpr_kernarg_preload_length 0
		.amdhsa_user_sgpr_kernarg_preload_offset 0
		.amdhsa_user_sgpr_private_segment_size 0
		.amdhsa_uses_dynamic_stack 0
		.amdhsa_enable_private_segment 0
		.amdhsa_system_sgpr_workgroup_id_x 1
		.amdhsa_system_sgpr_workgroup_id_y 0
		.amdhsa_system_sgpr_workgroup_id_z 0
		.amdhsa_system_sgpr_workgroup_info 0
		.amdhsa_system_vgpr_workitem_id 0
		.amdhsa_next_free_vgpr 1
		.amdhsa_next_free_sgpr 0
		.amdhsa_accum_offset 4
		.amdhsa_reserve_vcc 0
		.amdhsa_float_round_mode_32 0
		.amdhsa_float_round_mode_16_64 0
		.amdhsa_float_denorm_mode_32 3
		.amdhsa_float_denorm_mode_16_64 3
		.amdhsa_dx10_clamp 1
		.amdhsa_ieee_mode 1
		.amdhsa_fp16_overflow 0
		.amdhsa_tg_split 0
		.amdhsa_exception_fp_ieee_invalid_op 0
		.amdhsa_exception_fp_denorm_src 0
		.amdhsa_exception_fp_ieee_div_zero 0
		.amdhsa_exception_fp_ieee_overflow 0
		.amdhsa_exception_fp_ieee_underflow 0
		.amdhsa_exception_fp_ieee_inexact 0
		.amdhsa_exception_int_div_zero 0
	.end_amdhsa_kernel
	.section	.text._ZN7rocprim17ROCPRIM_400000_NS6detail17trampoline_kernelINS0_14default_configENS1_35radix_sort_onesweep_config_selectorIjjEEZNS1_34radix_sort_onesweep_global_offsetsIS3_Lb0EN6thrust23THRUST_200600_302600_NS6detail15normal_iteratorINS8_10device_ptrIjEEEESD_jNS0_19identity_decomposerEEE10hipError_tT1_T2_PT3_SI_jT4_jjP12ihipStream_tbEUlT_E_NS1_11comp_targetILNS1_3genE8ELNS1_11target_archE1030ELNS1_3gpuE2ELNS1_3repE0EEENS1_52radix_sort_onesweep_histogram_config_static_selectorELNS0_4arch9wavefront6targetE1EEEvSG_,"axG",@progbits,_ZN7rocprim17ROCPRIM_400000_NS6detail17trampoline_kernelINS0_14default_configENS1_35radix_sort_onesweep_config_selectorIjjEEZNS1_34radix_sort_onesweep_global_offsetsIS3_Lb0EN6thrust23THRUST_200600_302600_NS6detail15normal_iteratorINS8_10device_ptrIjEEEESD_jNS0_19identity_decomposerEEE10hipError_tT1_T2_PT3_SI_jT4_jjP12ihipStream_tbEUlT_E_NS1_11comp_targetILNS1_3genE8ELNS1_11target_archE1030ELNS1_3gpuE2ELNS1_3repE0EEENS1_52radix_sort_onesweep_histogram_config_static_selectorELNS0_4arch9wavefront6targetE1EEEvSG_,comdat
.Lfunc_end732:
	.size	_ZN7rocprim17ROCPRIM_400000_NS6detail17trampoline_kernelINS0_14default_configENS1_35radix_sort_onesweep_config_selectorIjjEEZNS1_34radix_sort_onesweep_global_offsetsIS3_Lb0EN6thrust23THRUST_200600_302600_NS6detail15normal_iteratorINS8_10device_ptrIjEEEESD_jNS0_19identity_decomposerEEE10hipError_tT1_T2_PT3_SI_jT4_jjP12ihipStream_tbEUlT_E_NS1_11comp_targetILNS1_3genE8ELNS1_11target_archE1030ELNS1_3gpuE2ELNS1_3repE0EEENS1_52radix_sort_onesweep_histogram_config_static_selectorELNS0_4arch9wavefront6targetE1EEEvSG_, .Lfunc_end732-_ZN7rocprim17ROCPRIM_400000_NS6detail17trampoline_kernelINS0_14default_configENS1_35radix_sort_onesweep_config_selectorIjjEEZNS1_34radix_sort_onesweep_global_offsetsIS3_Lb0EN6thrust23THRUST_200600_302600_NS6detail15normal_iteratorINS8_10device_ptrIjEEEESD_jNS0_19identity_decomposerEEE10hipError_tT1_T2_PT3_SI_jT4_jjP12ihipStream_tbEUlT_E_NS1_11comp_targetILNS1_3genE8ELNS1_11target_archE1030ELNS1_3gpuE2ELNS1_3repE0EEENS1_52radix_sort_onesweep_histogram_config_static_selectorELNS0_4arch9wavefront6targetE1EEEvSG_
                                        ; -- End function
	.set _ZN7rocprim17ROCPRIM_400000_NS6detail17trampoline_kernelINS0_14default_configENS1_35radix_sort_onesweep_config_selectorIjjEEZNS1_34radix_sort_onesweep_global_offsetsIS3_Lb0EN6thrust23THRUST_200600_302600_NS6detail15normal_iteratorINS8_10device_ptrIjEEEESD_jNS0_19identity_decomposerEEE10hipError_tT1_T2_PT3_SI_jT4_jjP12ihipStream_tbEUlT_E_NS1_11comp_targetILNS1_3genE8ELNS1_11target_archE1030ELNS1_3gpuE2ELNS1_3repE0EEENS1_52radix_sort_onesweep_histogram_config_static_selectorELNS0_4arch9wavefront6targetE1EEEvSG_.num_vgpr, 0
	.set _ZN7rocprim17ROCPRIM_400000_NS6detail17trampoline_kernelINS0_14default_configENS1_35radix_sort_onesweep_config_selectorIjjEEZNS1_34radix_sort_onesweep_global_offsetsIS3_Lb0EN6thrust23THRUST_200600_302600_NS6detail15normal_iteratorINS8_10device_ptrIjEEEESD_jNS0_19identity_decomposerEEE10hipError_tT1_T2_PT3_SI_jT4_jjP12ihipStream_tbEUlT_E_NS1_11comp_targetILNS1_3genE8ELNS1_11target_archE1030ELNS1_3gpuE2ELNS1_3repE0EEENS1_52radix_sort_onesweep_histogram_config_static_selectorELNS0_4arch9wavefront6targetE1EEEvSG_.num_agpr, 0
	.set _ZN7rocprim17ROCPRIM_400000_NS6detail17trampoline_kernelINS0_14default_configENS1_35radix_sort_onesweep_config_selectorIjjEEZNS1_34radix_sort_onesweep_global_offsetsIS3_Lb0EN6thrust23THRUST_200600_302600_NS6detail15normal_iteratorINS8_10device_ptrIjEEEESD_jNS0_19identity_decomposerEEE10hipError_tT1_T2_PT3_SI_jT4_jjP12ihipStream_tbEUlT_E_NS1_11comp_targetILNS1_3genE8ELNS1_11target_archE1030ELNS1_3gpuE2ELNS1_3repE0EEENS1_52radix_sort_onesweep_histogram_config_static_selectorELNS0_4arch9wavefront6targetE1EEEvSG_.numbered_sgpr, 0
	.set _ZN7rocprim17ROCPRIM_400000_NS6detail17trampoline_kernelINS0_14default_configENS1_35radix_sort_onesweep_config_selectorIjjEEZNS1_34radix_sort_onesweep_global_offsetsIS3_Lb0EN6thrust23THRUST_200600_302600_NS6detail15normal_iteratorINS8_10device_ptrIjEEEESD_jNS0_19identity_decomposerEEE10hipError_tT1_T2_PT3_SI_jT4_jjP12ihipStream_tbEUlT_E_NS1_11comp_targetILNS1_3genE8ELNS1_11target_archE1030ELNS1_3gpuE2ELNS1_3repE0EEENS1_52radix_sort_onesweep_histogram_config_static_selectorELNS0_4arch9wavefront6targetE1EEEvSG_.num_named_barrier, 0
	.set _ZN7rocprim17ROCPRIM_400000_NS6detail17trampoline_kernelINS0_14default_configENS1_35radix_sort_onesweep_config_selectorIjjEEZNS1_34radix_sort_onesweep_global_offsetsIS3_Lb0EN6thrust23THRUST_200600_302600_NS6detail15normal_iteratorINS8_10device_ptrIjEEEESD_jNS0_19identity_decomposerEEE10hipError_tT1_T2_PT3_SI_jT4_jjP12ihipStream_tbEUlT_E_NS1_11comp_targetILNS1_3genE8ELNS1_11target_archE1030ELNS1_3gpuE2ELNS1_3repE0EEENS1_52radix_sort_onesweep_histogram_config_static_selectorELNS0_4arch9wavefront6targetE1EEEvSG_.private_seg_size, 0
	.set _ZN7rocprim17ROCPRIM_400000_NS6detail17trampoline_kernelINS0_14default_configENS1_35radix_sort_onesweep_config_selectorIjjEEZNS1_34radix_sort_onesweep_global_offsetsIS3_Lb0EN6thrust23THRUST_200600_302600_NS6detail15normal_iteratorINS8_10device_ptrIjEEEESD_jNS0_19identity_decomposerEEE10hipError_tT1_T2_PT3_SI_jT4_jjP12ihipStream_tbEUlT_E_NS1_11comp_targetILNS1_3genE8ELNS1_11target_archE1030ELNS1_3gpuE2ELNS1_3repE0EEENS1_52radix_sort_onesweep_histogram_config_static_selectorELNS0_4arch9wavefront6targetE1EEEvSG_.uses_vcc, 0
	.set _ZN7rocprim17ROCPRIM_400000_NS6detail17trampoline_kernelINS0_14default_configENS1_35radix_sort_onesweep_config_selectorIjjEEZNS1_34radix_sort_onesweep_global_offsetsIS3_Lb0EN6thrust23THRUST_200600_302600_NS6detail15normal_iteratorINS8_10device_ptrIjEEEESD_jNS0_19identity_decomposerEEE10hipError_tT1_T2_PT3_SI_jT4_jjP12ihipStream_tbEUlT_E_NS1_11comp_targetILNS1_3genE8ELNS1_11target_archE1030ELNS1_3gpuE2ELNS1_3repE0EEENS1_52radix_sort_onesweep_histogram_config_static_selectorELNS0_4arch9wavefront6targetE1EEEvSG_.uses_flat_scratch, 0
	.set _ZN7rocprim17ROCPRIM_400000_NS6detail17trampoline_kernelINS0_14default_configENS1_35radix_sort_onesweep_config_selectorIjjEEZNS1_34radix_sort_onesweep_global_offsetsIS3_Lb0EN6thrust23THRUST_200600_302600_NS6detail15normal_iteratorINS8_10device_ptrIjEEEESD_jNS0_19identity_decomposerEEE10hipError_tT1_T2_PT3_SI_jT4_jjP12ihipStream_tbEUlT_E_NS1_11comp_targetILNS1_3genE8ELNS1_11target_archE1030ELNS1_3gpuE2ELNS1_3repE0EEENS1_52radix_sort_onesweep_histogram_config_static_selectorELNS0_4arch9wavefront6targetE1EEEvSG_.has_dyn_sized_stack, 0
	.set _ZN7rocprim17ROCPRIM_400000_NS6detail17trampoline_kernelINS0_14default_configENS1_35radix_sort_onesweep_config_selectorIjjEEZNS1_34radix_sort_onesweep_global_offsetsIS3_Lb0EN6thrust23THRUST_200600_302600_NS6detail15normal_iteratorINS8_10device_ptrIjEEEESD_jNS0_19identity_decomposerEEE10hipError_tT1_T2_PT3_SI_jT4_jjP12ihipStream_tbEUlT_E_NS1_11comp_targetILNS1_3genE8ELNS1_11target_archE1030ELNS1_3gpuE2ELNS1_3repE0EEENS1_52radix_sort_onesweep_histogram_config_static_selectorELNS0_4arch9wavefront6targetE1EEEvSG_.has_recursion, 0
	.set _ZN7rocprim17ROCPRIM_400000_NS6detail17trampoline_kernelINS0_14default_configENS1_35radix_sort_onesweep_config_selectorIjjEEZNS1_34radix_sort_onesweep_global_offsetsIS3_Lb0EN6thrust23THRUST_200600_302600_NS6detail15normal_iteratorINS8_10device_ptrIjEEEESD_jNS0_19identity_decomposerEEE10hipError_tT1_T2_PT3_SI_jT4_jjP12ihipStream_tbEUlT_E_NS1_11comp_targetILNS1_3genE8ELNS1_11target_archE1030ELNS1_3gpuE2ELNS1_3repE0EEENS1_52radix_sort_onesweep_histogram_config_static_selectorELNS0_4arch9wavefront6targetE1EEEvSG_.has_indirect_call, 0
	.section	.AMDGPU.csdata,"",@progbits
; Kernel info:
; codeLenInByte = 0
; TotalNumSgprs: 6
; NumVgprs: 0
; NumAgprs: 0
; TotalNumVgprs: 0
; ScratchSize: 0
; MemoryBound: 0
; FloatMode: 240
; IeeeMode: 1
; LDSByteSize: 0 bytes/workgroup (compile time only)
; SGPRBlocks: 0
; VGPRBlocks: 0
; NumSGPRsForWavesPerEU: 6
; NumVGPRsForWavesPerEU: 1
; AccumOffset: 4
; Occupancy: 8
; WaveLimiterHint : 0
; COMPUTE_PGM_RSRC2:SCRATCH_EN: 0
; COMPUTE_PGM_RSRC2:USER_SGPR: 2
; COMPUTE_PGM_RSRC2:TRAP_HANDLER: 0
; COMPUTE_PGM_RSRC2:TGID_X_EN: 1
; COMPUTE_PGM_RSRC2:TGID_Y_EN: 0
; COMPUTE_PGM_RSRC2:TGID_Z_EN: 0
; COMPUTE_PGM_RSRC2:TIDIG_COMP_CNT: 0
; COMPUTE_PGM_RSRC3_GFX90A:ACCUM_OFFSET: 0
; COMPUTE_PGM_RSRC3_GFX90A:TG_SPLIT: 0
	.section	.text._ZN7rocprim17ROCPRIM_400000_NS6detail17trampoline_kernelINS0_14default_configENS1_35radix_sort_onesweep_config_selectorIjjEEZNS1_34radix_sort_onesweep_global_offsetsIS3_Lb0EN6thrust23THRUST_200600_302600_NS6detail15normal_iteratorINS8_10device_ptrIjEEEESD_jNS0_19identity_decomposerEEE10hipError_tT1_T2_PT3_SI_jT4_jjP12ihipStream_tbEUlT_E0_NS1_11comp_targetILNS1_3genE0ELNS1_11target_archE4294967295ELNS1_3gpuE0ELNS1_3repE0EEENS1_52radix_sort_onesweep_histogram_config_static_selectorELNS0_4arch9wavefront6targetE1EEEvSG_,"axG",@progbits,_ZN7rocprim17ROCPRIM_400000_NS6detail17trampoline_kernelINS0_14default_configENS1_35radix_sort_onesweep_config_selectorIjjEEZNS1_34radix_sort_onesweep_global_offsetsIS3_Lb0EN6thrust23THRUST_200600_302600_NS6detail15normal_iteratorINS8_10device_ptrIjEEEESD_jNS0_19identity_decomposerEEE10hipError_tT1_T2_PT3_SI_jT4_jjP12ihipStream_tbEUlT_E0_NS1_11comp_targetILNS1_3genE0ELNS1_11target_archE4294967295ELNS1_3gpuE0ELNS1_3repE0EEENS1_52radix_sort_onesweep_histogram_config_static_selectorELNS0_4arch9wavefront6targetE1EEEvSG_,comdat
	.protected	_ZN7rocprim17ROCPRIM_400000_NS6detail17trampoline_kernelINS0_14default_configENS1_35radix_sort_onesweep_config_selectorIjjEEZNS1_34radix_sort_onesweep_global_offsetsIS3_Lb0EN6thrust23THRUST_200600_302600_NS6detail15normal_iteratorINS8_10device_ptrIjEEEESD_jNS0_19identity_decomposerEEE10hipError_tT1_T2_PT3_SI_jT4_jjP12ihipStream_tbEUlT_E0_NS1_11comp_targetILNS1_3genE0ELNS1_11target_archE4294967295ELNS1_3gpuE0ELNS1_3repE0EEENS1_52radix_sort_onesweep_histogram_config_static_selectorELNS0_4arch9wavefront6targetE1EEEvSG_ ; -- Begin function _ZN7rocprim17ROCPRIM_400000_NS6detail17trampoline_kernelINS0_14default_configENS1_35radix_sort_onesweep_config_selectorIjjEEZNS1_34radix_sort_onesweep_global_offsetsIS3_Lb0EN6thrust23THRUST_200600_302600_NS6detail15normal_iteratorINS8_10device_ptrIjEEEESD_jNS0_19identity_decomposerEEE10hipError_tT1_T2_PT3_SI_jT4_jjP12ihipStream_tbEUlT_E0_NS1_11comp_targetILNS1_3genE0ELNS1_11target_archE4294967295ELNS1_3gpuE0ELNS1_3repE0EEENS1_52radix_sort_onesweep_histogram_config_static_selectorELNS0_4arch9wavefront6targetE1EEEvSG_
	.globl	_ZN7rocprim17ROCPRIM_400000_NS6detail17trampoline_kernelINS0_14default_configENS1_35radix_sort_onesweep_config_selectorIjjEEZNS1_34radix_sort_onesweep_global_offsetsIS3_Lb0EN6thrust23THRUST_200600_302600_NS6detail15normal_iteratorINS8_10device_ptrIjEEEESD_jNS0_19identity_decomposerEEE10hipError_tT1_T2_PT3_SI_jT4_jjP12ihipStream_tbEUlT_E0_NS1_11comp_targetILNS1_3genE0ELNS1_11target_archE4294967295ELNS1_3gpuE0ELNS1_3repE0EEENS1_52radix_sort_onesweep_histogram_config_static_selectorELNS0_4arch9wavefront6targetE1EEEvSG_
	.p2align	8
	.type	_ZN7rocprim17ROCPRIM_400000_NS6detail17trampoline_kernelINS0_14default_configENS1_35radix_sort_onesweep_config_selectorIjjEEZNS1_34radix_sort_onesweep_global_offsetsIS3_Lb0EN6thrust23THRUST_200600_302600_NS6detail15normal_iteratorINS8_10device_ptrIjEEEESD_jNS0_19identity_decomposerEEE10hipError_tT1_T2_PT3_SI_jT4_jjP12ihipStream_tbEUlT_E0_NS1_11comp_targetILNS1_3genE0ELNS1_11target_archE4294967295ELNS1_3gpuE0ELNS1_3repE0EEENS1_52radix_sort_onesweep_histogram_config_static_selectorELNS0_4arch9wavefront6targetE1EEEvSG_,@function
_ZN7rocprim17ROCPRIM_400000_NS6detail17trampoline_kernelINS0_14default_configENS1_35radix_sort_onesweep_config_selectorIjjEEZNS1_34radix_sort_onesweep_global_offsetsIS3_Lb0EN6thrust23THRUST_200600_302600_NS6detail15normal_iteratorINS8_10device_ptrIjEEEESD_jNS0_19identity_decomposerEEE10hipError_tT1_T2_PT3_SI_jT4_jjP12ihipStream_tbEUlT_E0_NS1_11comp_targetILNS1_3genE0ELNS1_11target_archE4294967295ELNS1_3gpuE0ELNS1_3repE0EEENS1_52radix_sort_onesweep_histogram_config_static_selectorELNS0_4arch9wavefront6targetE1EEEvSG_: ; @_ZN7rocprim17ROCPRIM_400000_NS6detail17trampoline_kernelINS0_14default_configENS1_35radix_sort_onesweep_config_selectorIjjEEZNS1_34radix_sort_onesweep_global_offsetsIS3_Lb0EN6thrust23THRUST_200600_302600_NS6detail15normal_iteratorINS8_10device_ptrIjEEEESD_jNS0_19identity_decomposerEEE10hipError_tT1_T2_PT3_SI_jT4_jjP12ihipStream_tbEUlT_E0_NS1_11comp_targetILNS1_3genE0ELNS1_11target_archE4294967295ELNS1_3gpuE0ELNS1_3repE0EEENS1_52radix_sort_onesweep_histogram_config_static_selectorELNS0_4arch9wavefront6targetE1EEEvSG_
; %bb.0:
	.section	.rodata,"a",@progbits
	.p2align	6, 0x0
	.amdhsa_kernel _ZN7rocprim17ROCPRIM_400000_NS6detail17trampoline_kernelINS0_14default_configENS1_35radix_sort_onesweep_config_selectorIjjEEZNS1_34radix_sort_onesweep_global_offsetsIS3_Lb0EN6thrust23THRUST_200600_302600_NS6detail15normal_iteratorINS8_10device_ptrIjEEEESD_jNS0_19identity_decomposerEEE10hipError_tT1_T2_PT3_SI_jT4_jjP12ihipStream_tbEUlT_E0_NS1_11comp_targetILNS1_3genE0ELNS1_11target_archE4294967295ELNS1_3gpuE0ELNS1_3repE0EEENS1_52radix_sort_onesweep_histogram_config_static_selectorELNS0_4arch9wavefront6targetE1EEEvSG_
		.amdhsa_group_segment_fixed_size 0
		.amdhsa_private_segment_fixed_size 0
		.amdhsa_kernarg_size 8
		.amdhsa_user_sgpr_count 2
		.amdhsa_user_sgpr_dispatch_ptr 0
		.amdhsa_user_sgpr_queue_ptr 0
		.amdhsa_user_sgpr_kernarg_segment_ptr 1
		.amdhsa_user_sgpr_dispatch_id 0
		.amdhsa_user_sgpr_kernarg_preload_length 0
		.amdhsa_user_sgpr_kernarg_preload_offset 0
		.amdhsa_user_sgpr_private_segment_size 0
		.amdhsa_uses_dynamic_stack 0
		.amdhsa_enable_private_segment 0
		.amdhsa_system_sgpr_workgroup_id_x 1
		.amdhsa_system_sgpr_workgroup_id_y 0
		.amdhsa_system_sgpr_workgroup_id_z 0
		.amdhsa_system_sgpr_workgroup_info 0
		.amdhsa_system_vgpr_workitem_id 0
		.amdhsa_next_free_vgpr 1
		.amdhsa_next_free_sgpr 0
		.amdhsa_accum_offset 4
		.amdhsa_reserve_vcc 0
		.amdhsa_float_round_mode_32 0
		.amdhsa_float_round_mode_16_64 0
		.amdhsa_float_denorm_mode_32 3
		.amdhsa_float_denorm_mode_16_64 3
		.amdhsa_dx10_clamp 1
		.amdhsa_ieee_mode 1
		.amdhsa_fp16_overflow 0
		.amdhsa_tg_split 0
		.amdhsa_exception_fp_ieee_invalid_op 0
		.amdhsa_exception_fp_denorm_src 0
		.amdhsa_exception_fp_ieee_div_zero 0
		.amdhsa_exception_fp_ieee_overflow 0
		.amdhsa_exception_fp_ieee_underflow 0
		.amdhsa_exception_fp_ieee_inexact 0
		.amdhsa_exception_int_div_zero 0
	.end_amdhsa_kernel
	.section	.text._ZN7rocprim17ROCPRIM_400000_NS6detail17trampoline_kernelINS0_14default_configENS1_35radix_sort_onesweep_config_selectorIjjEEZNS1_34radix_sort_onesweep_global_offsetsIS3_Lb0EN6thrust23THRUST_200600_302600_NS6detail15normal_iteratorINS8_10device_ptrIjEEEESD_jNS0_19identity_decomposerEEE10hipError_tT1_T2_PT3_SI_jT4_jjP12ihipStream_tbEUlT_E0_NS1_11comp_targetILNS1_3genE0ELNS1_11target_archE4294967295ELNS1_3gpuE0ELNS1_3repE0EEENS1_52radix_sort_onesweep_histogram_config_static_selectorELNS0_4arch9wavefront6targetE1EEEvSG_,"axG",@progbits,_ZN7rocprim17ROCPRIM_400000_NS6detail17trampoline_kernelINS0_14default_configENS1_35radix_sort_onesweep_config_selectorIjjEEZNS1_34radix_sort_onesweep_global_offsetsIS3_Lb0EN6thrust23THRUST_200600_302600_NS6detail15normal_iteratorINS8_10device_ptrIjEEEESD_jNS0_19identity_decomposerEEE10hipError_tT1_T2_PT3_SI_jT4_jjP12ihipStream_tbEUlT_E0_NS1_11comp_targetILNS1_3genE0ELNS1_11target_archE4294967295ELNS1_3gpuE0ELNS1_3repE0EEENS1_52radix_sort_onesweep_histogram_config_static_selectorELNS0_4arch9wavefront6targetE1EEEvSG_,comdat
.Lfunc_end733:
	.size	_ZN7rocprim17ROCPRIM_400000_NS6detail17trampoline_kernelINS0_14default_configENS1_35radix_sort_onesweep_config_selectorIjjEEZNS1_34radix_sort_onesweep_global_offsetsIS3_Lb0EN6thrust23THRUST_200600_302600_NS6detail15normal_iteratorINS8_10device_ptrIjEEEESD_jNS0_19identity_decomposerEEE10hipError_tT1_T2_PT3_SI_jT4_jjP12ihipStream_tbEUlT_E0_NS1_11comp_targetILNS1_3genE0ELNS1_11target_archE4294967295ELNS1_3gpuE0ELNS1_3repE0EEENS1_52radix_sort_onesweep_histogram_config_static_selectorELNS0_4arch9wavefront6targetE1EEEvSG_, .Lfunc_end733-_ZN7rocprim17ROCPRIM_400000_NS6detail17trampoline_kernelINS0_14default_configENS1_35radix_sort_onesweep_config_selectorIjjEEZNS1_34radix_sort_onesweep_global_offsetsIS3_Lb0EN6thrust23THRUST_200600_302600_NS6detail15normal_iteratorINS8_10device_ptrIjEEEESD_jNS0_19identity_decomposerEEE10hipError_tT1_T2_PT3_SI_jT4_jjP12ihipStream_tbEUlT_E0_NS1_11comp_targetILNS1_3genE0ELNS1_11target_archE4294967295ELNS1_3gpuE0ELNS1_3repE0EEENS1_52radix_sort_onesweep_histogram_config_static_selectorELNS0_4arch9wavefront6targetE1EEEvSG_
                                        ; -- End function
	.set _ZN7rocprim17ROCPRIM_400000_NS6detail17trampoline_kernelINS0_14default_configENS1_35radix_sort_onesweep_config_selectorIjjEEZNS1_34radix_sort_onesweep_global_offsetsIS3_Lb0EN6thrust23THRUST_200600_302600_NS6detail15normal_iteratorINS8_10device_ptrIjEEEESD_jNS0_19identity_decomposerEEE10hipError_tT1_T2_PT3_SI_jT4_jjP12ihipStream_tbEUlT_E0_NS1_11comp_targetILNS1_3genE0ELNS1_11target_archE4294967295ELNS1_3gpuE0ELNS1_3repE0EEENS1_52radix_sort_onesweep_histogram_config_static_selectorELNS0_4arch9wavefront6targetE1EEEvSG_.num_vgpr, 0
	.set _ZN7rocprim17ROCPRIM_400000_NS6detail17trampoline_kernelINS0_14default_configENS1_35radix_sort_onesweep_config_selectorIjjEEZNS1_34radix_sort_onesweep_global_offsetsIS3_Lb0EN6thrust23THRUST_200600_302600_NS6detail15normal_iteratorINS8_10device_ptrIjEEEESD_jNS0_19identity_decomposerEEE10hipError_tT1_T2_PT3_SI_jT4_jjP12ihipStream_tbEUlT_E0_NS1_11comp_targetILNS1_3genE0ELNS1_11target_archE4294967295ELNS1_3gpuE0ELNS1_3repE0EEENS1_52radix_sort_onesweep_histogram_config_static_selectorELNS0_4arch9wavefront6targetE1EEEvSG_.num_agpr, 0
	.set _ZN7rocprim17ROCPRIM_400000_NS6detail17trampoline_kernelINS0_14default_configENS1_35radix_sort_onesweep_config_selectorIjjEEZNS1_34radix_sort_onesweep_global_offsetsIS3_Lb0EN6thrust23THRUST_200600_302600_NS6detail15normal_iteratorINS8_10device_ptrIjEEEESD_jNS0_19identity_decomposerEEE10hipError_tT1_T2_PT3_SI_jT4_jjP12ihipStream_tbEUlT_E0_NS1_11comp_targetILNS1_3genE0ELNS1_11target_archE4294967295ELNS1_3gpuE0ELNS1_3repE0EEENS1_52radix_sort_onesweep_histogram_config_static_selectorELNS0_4arch9wavefront6targetE1EEEvSG_.numbered_sgpr, 0
	.set _ZN7rocprim17ROCPRIM_400000_NS6detail17trampoline_kernelINS0_14default_configENS1_35radix_sort_onesweep_config_selectorIjjEEZNS1_34radix_sort_onesweep_global_offsetsIS3_Lb0EN6thrust23THRUST_200600_302600_NS6detail15normal_iteratorINS8_10device_ptrIjEEEESD_jNS0_19identity_decomposerEEE10hipError_tT1_T2_PT3_SI_jT4_jjP12ihipStream_tbEUlT_E0_NS1_11comp_targetILNS1_3genE0ELNS1_11target_archE4294967295ELNS1_3gpuE0ELNS1_3repE0EEENS1_52radix_sort_onesweep_histogram_config_static_selectorELNS0_4arch9wavefront6targetE1EEEvSG_.num_named_barrier, 0
	.set _ZN7rocprim17ROCPRIM_400000_NS6detail17trampoline_kernelINS0_14default_configENS1_35radix_sort_onesweep_config_selectorIjjEEZNS1_34radix_sort_onesweep_global_offsetsIS3_Lb0EN6thrust23THRUST_200600_302600_NS6detail15normal_iteratorINS8_10device_ptrIjEEEESD_jNS0_19identity_decomposerEEE10hipError_tT1_T2_PT3_SI_jT4_jjP12ihipStream_tbEUlT_E0_NS1_11comp_targetILNS1_3genE0ELNS1_11target_archE4294967295ELNS1_3gpuE0ELNS1_3repE0EEENS1_52radix_sort_onesweep_histogram_config_static_selectorELNS0_4arch9wavefront6targetE1EEEvSG_.private_seg_size, 0
	.set _ZN7rocprim17ROCPRIM_400000_NS6detail17trampoline_kernelINS0_14default_configENS1_35radix_sort_onesweep_config_selectorIjjEEZNS1_34radix_sort_onesweep_global_offsetsIS3_Lb0EN6thrust23THRUST_200600_302600_NS6detail15normal_iteratorINS8_10device_ptrIjEEEESD_jNS0_19identity_decomposerEEE10hipError_tT1_T2_PT3_SI_jT4_jjP12ihipStream_tbEUlT_E0_NS1_11comp_targetILNS1_3genE0ELNS1_11target_archE4294967295ELNS1_3gpuE0ELNS1_3repE0EEENS1_52radix_sort_onesweep_histogram_config_static_selectorELNS0_4arch9wavefront6targetE1EEEvSG_.uses_vcc, 0
	.set _ZN7rocprim17ROCPRIM_400000_NS6detail17trampoline_kernelINS0_14default_configENS1_35radix_sort_onesweep_config_selectorIjjEEZNS1_34radix_sort_onesweep_global_offsetsIS3_Lb0EN6thrust23THRUST_200600_302600_NS6detail15normal_iteratorINS8_10device_ptrIjEEEESD_jNS0_19identity_decomposerEEE10hipError_tT1_T2_PT3_SI_jT4_jjP12ihipStream_tbEUlT_E0_NS1_11comp_targetILNS1_3genE0ELNS1_11target_archE4294967295ELNS1_3gpuE0ELNS1_3repE0EEENS1_52radix_sort_onesweep_histogram_config_static_selectorELNS0_4arch9wavefront6targetE1EEEvSG_.uses_flat_scratch, 0
	.set _ZN7rocprim17ROCPRIM_400000_NS6detail17trampoline_kernelINS0_14default_configENS1_35radix_sort_onesweep_config_selectorIjjEEZNS1_34radix_sort_onesweep_global_offsetsIS3_Lb0EN6thrust23THRUST_200600_302600_NS6detail15normal_iteratorINS8_10device_ptrIjEEEESD_jNS0_19identity_decomposerEEE10hipError_tT1_T2_PT3_SI_jT4_jjP12ihipStream_tbEUlT_E0_NS1_11comp_targetILNS1_3genE0ELNS1_11target_archE4294967295ELNS1_3gpuE0ELNS1_3repE0EEENS1_52radix_sort_onesweep_histogram_config_static_selectorELNS0_4arch9wavefront6targetE1EEEvSG_.has_dyn_sized_stack, 0
	.set _ZN7rocprim17ROCPRIM_400000_NS6detail17trampoline_kernelINS0_14default_configENS1_35radix_sort_onesweep_config_selectorIjjEEZNS1_34radix_sort_onesweep_global_offsetsIS3_Lb0EN6thrust23THRUST_200600_302600_NS6detail15normal_iteratorINS8_10device_ptrIjEEEESD_jNS0_19identity_decomposerEEE10hipError_tT1_T2_PT3_SI_jT4_jjP12ihipStream_tbEUlT_E0_NS1_11comp_targetILNS1_3genE0ELNS1_11target_archE4294967295ELNS1_3gpuE0ELNS1_3repE0EEENS1_52radix_sort_onesweep_histogram_config_static_selectorELNS0_4arch9wavefront6targetE1EEEvSG_.has_recursion, 0
	.set _ZN7rocprim17ROCPRIM_400000_NS6detail17trampoline_kernelINS0_14default_configENS1_35radix_sort_onesweep_config_selectorIjjEEZNS1_34radix_sort_onesweep_global_offsetsIS3_Lb0EN6thrust23THRUST_200600_302600_NS6detail15normal_iteratorINS8_10device_ptrIjEEEESD_jNS0_19identity_decomposerEEE10hipError_tT1_T2_PT3_SI_jT4_jjP12ihipStream_tbEUlT_E0_NS1_11comp_targetILNS1_3genE0ELNS1_11target_archE4294967295ELNS1_3gpuE0ELNS1_3repE0EEENS1_52radix_sort_onesweep_histogram_config_static_selectorELNS0_4arch9wavefront6targetE1EEEvSG_.has_indirect_call, 0
	.section	.AMDGPU.csdata,"",@progbits
; Kernel info:
; codeLenInByte = 0
; TotalNumSgprs: 6
; NumVgprs: 0
; NumAgprs: 0
; TotalNumVgprs: 0
; ScratchSize: 0
; MemoryBound: 0
; FloatMode: 240
; IeeeMode: 1
; LDSByteSize: 0 bytes/workgroup (compile time only)
; SGPRBlocks: 0
; VGPRBlocks: 0
; NumSGPRsForWavesPerEU: 6
; NumVGPRsForWavesPerEU: 1
; AccumOffset: 4
; Occupancy: 8
; WaveLimiterHint : 0
; COMPUTE_PGM_RSRC2:SCRATCH_EN: 0
; COMPUTE_PGM_RSRC2:USER_SGPR: 2
; COMPUTE_PGM_RSRC2:TRAP_HANDLER: 0
; COMPUTE_PGM_RSRC2:TGID_X_EN: 1
; COMPUTE_PGM_RSRC2:TGID_Y_EN: 0
; COMPUTE_PGM_RSRC2:TGID_Z_EN: 0
; COMPUTE_PGM_RSRC2:TIDIG_COMP_CNT: 0
; COMPUTE_PGM_RSRC3_GFX90A:ACCUM_OFFSET: 0
; COMPUTE_PGM_RSRC3_GFX90A:TG_SPLIT: 0
	.section	.text._ZN7rocprim17ROCPRIM_400000_NS6detail17trampoline_kernelINS0_14default_configENS1_35radix_sort_onesweep_config_selectorIjjEEZNS1_34radix_sort_onesweep_global_offsetsIS3_Lb0EN6thrust23THRUST_200600_302600_NS6detail15normal_iteratorINS8_10device_ptrIjEEEESD_jNS0_19identity_decomposerEEE10hipError_tT1_T2_PT3_SI_jT4_jjP12ihipStream_tbEUlT_E0_NS1_11comp_targetILNS1_3genE6ELNS1_11target_archE950ELNS1_3gpuE13ELNS1_3repE0EEENS1_52radix_sort_onesweep_histogram_config_static_selectorELNS0_4arch9wavefront6targetE1EEEvSG_,"axG",@progbits,_ZN7rocprim17ROCPRIM_400000_NS6detail17trampoline_kernelINS0_14default_configENS1_35radix_sort_onesweep_config_selectorIjjEEZNS1_34radix_sort_onesweep_global_offsetsIS3_Lb0EN6thrust23THRUST_200600_302600_NS6detail15normal_iteratorINS8_10device_ptrIjEEEESD_jNS0_19identity_decomposerEEE10hipError_tT1_T2_PT3_SI_jT4_jjP12ihipStream_tbEUlT_E0_NS1_11comp_targetILNS1_3genE6ELNS1_11target_archE950ELNS1_3gpuE13ELNS1_3repE0EEENS1_52radix_sort_onesweep_histogram_config_static_selectorELNS0_4arch9wavefront6targetE1EEEvSG_,comdat
	.protected	_ZN7rocprim17ROCPRIM_400000_NS6detail17trampoline_kernelINS0_14default_configENS1_35radix_sort_onesweep_config_selectorIjjEEZNS1_34radix_sort_onesweep_global_offsetsIS3_Lb0EN6thrust23THRUST_200600_302600_NS6detail15normal_iteratorINS8_10device_ptrIjEEEESD_jNS0_19identity_decomposerEEE10hipError_tT1_T2_PT3_SI_jT4_jjP12ihipStream_tbEUlT_E0_NS1_11comp_targetILNS1_3genE6ELNS1_11target_archE950ELNS1_3gpuE13ELNS1_3repE0EEENS1_52radix_sort_onesweep_histogram_config_static_selectorELNS0_4arch9wavefront6targetE1EEEvSG_ ; -- Begin function _ZN7rocprim17ROCPRIM_400000_NS6detail17trampoline_kernelINS0_14default_configENS1_35radix_sort_onesweep_config_selectorIjjEEZNS1_34radix_sort_onesweep_global_offsetsIS3_Lb0EN6thrust23THRUST_200600_302600_NS6detail15normal_iteratorINS8_10device_ptrIjEEEESD_jNS0_19identity_decomposerEEE10hipError_tT1_T2_PT3_SI_jT4_jjP12ihipStream_tbEUlT_E0_NS1_11comp_targetILNS1_3genE6ELNS1_11target_archE950ELNS1_3gpuE13ELNS1_3repE0EEENS1_52radix_sort_onesweep_histogram_config_static_selectorELNS0_4arch9wavefront6targetE1EEEvSG_
	.globl	_ZN7rocprim17ROCPRIM_400000_NS6detail17trampoline_kernelINS0_14default_configENS1_35radix_sort_onesweep_config_selectorIjjEEZNS1_34radix_sort_onesweep_global_offsetsIS3_Lb0EN6thrust23THRUST_200600_302600_NS6detail15normal_iteratorINS8_10device_ptrIjEEEESD_jNS0_19identity_decomposerEEE10hipError_tT1_T2_PT3_SI_jT4_jjP12ihipStream_tbEUlT_E0_NS1_11comp_targetILNS1_3genE6ELNS1_11target_archE950ELNS1_3gpuE13ELNS1_3repE0EEENS1_52radix_sort_onesweep_histogram_config_static_selectorELNS0_4arch9wavefront6targetE1EEEvSG_
	.p2align	8
	.type	_ZN7rocprim17ROCPRIM_400000_NS6detail17trampoline_kernelINS0_14default_configENS1_35radix_sort_onesweep_config_selectorIjjEEZNS1_34radix_sort_onesweep_global_offsetsIS3_Lb0EN6thrust23THRUST_200600_302600_NS6detail15normal_iteratorINS8_10device_ptrIjEEEESD_jNS0_19identity_decomposerEEE10hipError_tT1_T2_PT3_SI_jT4_jjP12ihipStream_tbEUlT_E0_NS1_11comp_targetILNS1_3genE6ELNS1_11target_archE950ELNS1_3gpuE13ELNS1_3repE0EEENS1_52radix_sort_onesweep_histogram_config_static_selectorELNS0_4arch9wavefront6targetE1EEEvSG_,@function
_ZN7rocprim17ROCPRIM_400000_NS6detail17trampoline_kernelINS0_14default_configENS1_35radix_sort_onesweep_config_selectorIjjEEZNS1_34radix_sort_onesweep_global_offsetsIS3_Lb0EN6thrust23THRUST_200600_302600_NS6detail15normal_iteratorINS8_10device_ptrIjEEEESD_jNS0_19identity_decomposerEEE10hipError_tT1_T2_PT3_SI_jT4_jjP12ihipStream_tbEUlT_E0_NS1_11comp_targetILNS1_3genE6ELNS1_11target_archE950ELNS1_3gpuE13ELNS1_3repE0EEENS1_52radix_sort_onesweep_histogram_config_static_selectorELNS0_4arch9wavefront6targetE1EEEvSG_: ; @_ZN7rocprim17ROCPRIM_400000_NS6detail17trampoline_kernelINS0_14default_configENS1_35radix_sort_onesweep_config_selectorIjjEEZNS1_34radix_sort_onesweep_global_offsetsIS3_Lb0EN6thrust23THRUST_200600_302600_NS6detail15normal_iteratorINS8_10device_ptrIjEEEESD_jNS0_19identity_decomposerEEE10hipError_tT1_T2_PT3_SI_jT4_jjP12ihipStream_tbEUlT_E0_NS1_11comp_targetILNS1_3genE6ELNS1_11target_archE950ELNS1_3gpuE13ELNS1_3repE0EEENS1_52radix_sort_onesweep_histogram_config_static_selectorELNS0_4arch9wavefront6targetE1EEEvSG_
; %bb.0:
	s_load_dwordx2 s[0:1], s[0:1], 0x0
	s_lshl_b32 s2, s2, 8
	s_mov_b32 s3, 0
	s_lshl_b64 s[2:3], s[2:3], 2
	v_lshlrev_b32_e32 v1, 2, v0
	s_waitcnt lgkmcnt(0)
	s_add_u32 s10, s0, s2
	s_movk_i32 s0, 0x100
	s_addc_u32 s11, s1, s3
	v_cmp_gt_u32_e32 vcc, s0, v0
                                        ; implicit-def: $vgpr3
	s_and_saveexec_b64 s[0:1], vcc
	s_cbranch_execz .LBB734_2
; %bb.1:
	global_load_dword v3, v1, s[10:11]
.LBB734_2:
	s_or_b64 exec, exec, s[0:1]
	v_mbcnt_lo_u32_b32 v2, -1, 0
	v_mbcnt_hi_u32_b32 v2, -1, v2
	v_and_b32_e32 v4, 15, v2
	s_waitcnt vmcnt(0)
	v_mov_b32_dpp v5, v3 row_shr:1 row_mask:0xf bank_mask:0xf
	v_cmp_eq_u32_e64 s[0:1], 0, v4
	v_cmp_lt_u32_e64 s[2:3], 1, v4
	v_cmp_lt_u32_e64 s[4:5], 3, v4
	v_cndmask_b32_e64 v5, v5, 0, s[0:1]
	v_add_u32_e32 v3, v5, v3
	v_cmp_lt_u32_e64 s[6:7], 7, v4
	v_cmp_lt_u32_e64 s[8:9], 31, v2
	v_mov_b32_dpp v5, v3 row_shr:2 row_mask:0xf bank_mask:0xf
	v_cndmask_b32_e64 v5, 0, v5, s[2:3]
	v_add_u32_e32 v3, v3, v5
	s_nop 1
	v_mov_b32_dpp v5, v3 row_shr:4 row_mask:0xf bank_mask:0xf
	v_cndmask_b32_e64 v5, 0, v5, s[4:5]
	v_add_u32_e32 v3, v3, v5
	s_nop 1
	v_mov_b32_dpp v5, v3 row_shr:8 row_mask:0xf bank_mask:0xf
	v_cndmask_b32_e64 v4, 0, v5, s[6:7]
	v_add_u32_e32 v3, v3, v4
	v_bfe_i32 v5, v2, 4, 1
	s_nop 0
	v_mov_b32_dpp v4, v3 row_bcast:15 row_mask:0xf bank_mask:0xf
	v_and_b32_e32 v4, v5, v4
	v_add_u32_e32 v3, v3, v4
	v_and_b32_e32 v5, 63, v0
	s_nop 0
	v_mov_b32_dpp v4, v3 row_bcast:31 row_mask:0xf bank_mask:0xf
	v_cndmask_b32_e64 v4, 0, v4, s[8:9]
	v_add_u32_e32 v3, v3, v4
	v_lshrrev_b32_e32 v4, 6, v0
	v_cmp_eq_u32_e64 s[8:9], 63, v5
	s_and_saveexec_b64 s[12:13], s[8:9]
; %bb.3:
	v_lshlrev_b32_e32 v5, 2, v4
	ds_write_b32 v5, v3
; %bb.4:
	s_or_b64 exec, exec, s[12:13]
	v_cmp_gt_u32_e64 s[8:9], 16, v0
	s_waitcnt lgkmcnt(0)
	s_barrier
	s_and_saveexec_b64 s[12:13], s[8:9]
	s_cbranch_execz .LBB734_6
; %bb.5:
	ds_read_b32 v5, v1
	s_waitcnt lgkmcnt(0)
	s_nop 0
	v_mov_b32_dpp v6, v5 row_shr:1 row_mask:0xf bank_mask:0xf
	v_cndmask_b32_e64 v6, v6, 0, s[0:1]
	v_add_u32_e32 v5, v6, v5
	s_nop 1
	v_mov_b32_dpp v6, v5 row_shr:2 row_mask:0xf bank_mask:0xf
	v_cndmask_b32_e64 v6, 0, v6, s[2:3]
	v_add_u32_e32 v5, v5, v6
	;; [unrolled: 4-line block ×4, first 2 shown]
	ds_write_b32 v1, v5
.LBB734_6:
	s_or_b64 exec, exec, s[12:13]
	v_cmp_lt_u32_e64 s[0:1], 63, v0
	v_mov_b32_e32 v0, 0
	s_waitcnt lgkmcnt(0)
	s_barrier
	s_and_saveexec_b64 s[2:3], s[0:1]
; %bb.7:
	v_lshl_add_u32 v0, v4, 2, -4
	ds_read_b32 v0, v0
; %bb.8:
	s_or_b64 exec, exec, s[2:3]
	v_add_u32_e32 v4, -1, v2
	v_and_b32_e32 v5, 64, v2
	v_cmp_lt_i32_e64 s[0:1], v4, v5
	s_waitcnt lgkmcnt(0)
	v_add_u32_e32 v3, v0, v3
	v_cndmask_b32_e64 v4, v4, v2, s[0:1]
	v_lshlrev_b32_e32 v4, 2, v4
	ds_bpermute_b32 v3, v4, v3
	s_and_saveexec_b64 s[0:1], vcc
	s_cbranch_execz .LBB734_10
; %bb.9:
	v_cmp_eq_u32_e32 vcc, 0, v2
	s_waitcnt lgkmcnt(0)
	s_nop 0
	v_cndmask_b32_e32 v0, v3, v0, vcc
	global_store_dword v1, v0, s[10:11]
.LBB734_10:
	s_endpgm
	.section	.rodata,"a",@progbits
	.p2align	6, 0x0
	.amdhsa_kernel _ZN7rocprim17ROCPRIM_400000_NS6detail17trampoline_kernelINS0_14default_configENS1_35radix_sort_onesweep_config_selectorIjjEEZNS1_34radix_sort_onesweep_global_offsetsIS3_Lb0EN6thrust23THRUST_200600_302600_NS6detail15normal_iteratorINS8_10device_ptrIjEEEESD_jNS0_19identity_decomposerEEE10hipError_tT1_T2_PT3_SI_jT4_jjP12ihipStream_tbEUlT_E0_NS1_11comp_targetILNS1_3genE6ELNS1_11target_archE950ELNS1_3gpuE13ELNS1_3repE0EEENS1_52radix_sort_onesweep_histogram_config_static_selectorELNS0_4arch9wavefront6targetE1EEEvSG_
		.amdhsa_group_segment_fixed_size 64
		.amdhsa_private_segment_fixed_size 0
		.amdhsa_kernarg_size 8
		.amdhsa_user_sgpr_count 2
		.amdhsa_user_sgpr_dispatch_ptr 0
		.amdhsa_user_sgpr_queue_ptr 0
		.amdhsa_user_sgpr_kernarg_segment_ptr 1
		.amdhsa_user_sgpr_dispatch_id 0
		.amdhsa_user_sgpr_kernarg_preload_length 0
		.amdhsa_user_sgpr_kernarg_preload_offset 0
		.amdhsa_user_sgpr_private_segment_size 0
		.amdhsa_uses_dynamic_stack 0
		.amdhsa_enable_private_segment 0
		.amdhsa_system_sgpr_workgroup_id_x 1
		.amdhsa_system_sgpr_workgroup_id_y 0
		.amdhsa_system_sgpr_workgroup_id_z 0
		.amdhsa_system_sgpr_workgroup_info 0
		.amdhsa_system_vgpr_workitem_id 0
		.amdhsa_next_free_vgpr 7
		.amdhsa_next_free_sgpr 14
		.amdhsa_accum_offset 8
		.amdhsa_reserve_vcc 1
		.amdhsa_float_round_mode_32 0
		.amdhsa_float_round_mode_16_64 0
		.amdhsa_float_denorm_mode_32 3
		.amdhsa_float_denorm_mode_16_64 3
		.amdhsa_dx10_clamp 1
		.amdhsa_ieee_mode 1
		.amdhsa_fp16_overflow 0
		.amdhsa_tg_split 0
		.amdhsa_exception_fp_ieee_invalid_op 0
		.amdhsa_exception_fp_denorm_src 0
		.amdhsa_exception_fp_ieee_div_zero 0
		.amdhsa_exception_fp_ieee_overflow 0
		.amdhsa_exception_fp_ieee_underflow 0
		.amdhsa_exception_fp_ieee_inexact 0
		.amdhsa_exception_int_div_zero 0
	.end_amdhsa_kernel
	.section	.text._ZN7rocprim17ROCPRIM_400000_NS6detail17trampoline_kernelINS0_14default_configENS1_35radix_sort_onesweep_config_selectorIjjEEZNS1_34radix_sort_onesweep_global_offsetsIS3_Lb0EN6thrust23THRUST_200600_302600_NS6detail15normal_iteratorINS8_10device_ptrIjEEEESD_jNS0_19identity_decomposerEEE10hipError_tT1_T2_PT3_SI_jT4_jjP12ihipStream_tbEUlT_E0_NS1_11comp_targetILNS1_3genE6ELNS1_11target_archE950ELNS1_3gpuE13ELNS1_3repE0EEENS1_52radix_sort_onesweep_histogram_config_static_selectorELNS0_4arch9wavefront6targetE1EEEvSG_,"axG",@progbits,_ZN7rocprim17ROCPRIM_400000_NS6detail17trampoline_kernelINS0_14default_configENS1_35radix_sort_onesweep_config_selectorIjjEEZNS1_34radix_sort_onesweep_global_offsetsIS3_Lb0EN6thrust23THRUST_200600_302600_NS6detail15normal_iteratorINS8_10device_ptrIjEEEESD_jNS0_19identity_decomposerEEE10hipError_tT1_T2_PT3_SI_jT4_jjP12ihipStream_tbEUlT_E0_NS1_11comp_targetILNS1_3genE6ELNS1_11target_archE950ELNS1_3gpuE13ELNS1_3repE0EEENS1_52radix_sort_onesweep_histogram_config_static_selectorELNS0_4arch9wavefront6targetE1EEEvSG_,comdat
.Lfunc_end734:
	.size	_ZN7rocprim17ROCPRIM_400000_NS6detail17trampoline_kernelINS0_14default_configENS1_35radix_sort_onesweep_config_selectorIjjEEZNS1_34radix_sort_onesweep_global_offsetsIS3_Lb0EN6thrust23THRUST_200600_302600_NS6detail15normal_iteratorINS8_10device_ptrIjEEEESD_jNS0_19identity_decomposerEEE10hipError_tT1_T2_PT3_SI_jT4_jjP12ihipStream_tbEUlT_E0_NS1_11comp_targetILNS1_3genE6ELNS1_11target_archE950ELNS1_3gpuE13ELNS1_3repE0EEENS1_52radix_sort_onesweep_histogram_config_static_selectorELNS0_4arch9wavefront6targetE1EEEvSG_, .Lfunc_end734-_ZN7rocprim17ROCPRIM_400000_NS6detail17trampoline_kernelINS0_14default_configENS1_35radix_sort_onesweep_config_selectorIjjEEZNS1_34radix_sort_onesweep_global_offsetsIS3_Lb0EN6thrust23THRUST_200600_302600_NS6detail15normal_iteratorINS8_10device_ptrIjEEEESD_jNS0_19identity_decomposerEEE10hipError_tT1_T2_PT3_SI_jT4_jjP12ihipStream_tbEUlT_E0_NS1_11comp_targetILNS1_3genE6ELNS1_11target_archE950ELNS1_3gpuE13ELNS1_3repE0EEENS1_52radix_sort_onesweep_histogram_config_static_selectorELNS0_4arch9wavefront6targetE1EEEvSG_
                                        ; -- End function
	.set _ZN7rocprim17ROCPRIM_400000_NS6detail17trampoline_kernelINS0_14default_configENS1_35radix_sort_onesweep_config_selectorIjjEEZNS1_34radix_sort_onesweep_global_offsetsIS3_Lb0EN6thrust23THRUST_200600_302600_NS6detail15normal_iteratorINS8_10device_ptrIjEEEESD_jNS0_19identity_decomposerEEE10hipError_tT1_T2_PT3_SI_jT4_jjP12ihipStream_tbEUlT_E0_NS1_11comp_targetILNS1_3genE6ELNS1_11target_archE950ELNS1_3gpuE13ELNS1_3repE0EEENS1_52radix_sort_onesweep_histogram_config_static_selectorELNS0_4arch9wavefront6targetE1EEEvSG_.num_vgpr, 7
	.set _ZN7rocprim17ROCPRIM_400000_NS6detail17trampoline_kernelINS0_14default_configENS1_35radix_sort_onesweep_config_selectorIjjEEZNS1_34radix_sort_onesweep_global_offsetsIS3_Lb0EN6thrust23THRUST_200600_302600_NS6detail15normal_iteratorINS8_10device_ptrIjEEEESD_jNS0_19identity_decomposerEEE10hipError_tT1_T2_PT3_SI_jT4_jjP12ihipStream_tbEUlT_E0_NS1_11comp_targetILNS1_3genE6ELNS1_11target_archE950ELNS1_3gpuE13ELNS1_3repE0EEENS1_52radix_sort_onesweep_histogram_config_static_selectorELNS0_4arch9wavefront6targetE1EEEvSG_.num_agpr, 0
	.set _ZN7rocprim17ROCPRIM_400000_NS6detail17trampoline_kernelINS0_14default_configENS1_35radix_sort_onesweep_config_selectorIjjEEZNS1_34radix_sort_onesweep_global_offsetsIS3_Lb0EN6thrust23THRUST_200600_302600_NS6detail15normal_iteratorINS8_10device_ptrIjEEEESD_jNS0_19identity_decomposerEEE10hipError_tT1_T2_PT3_SI_jT4_jjP12ihipStream_tbEUlT_E0_NS1_11comp_targetILNS1_3genE6ELNS1_11target_archE950ELNS1_3gpuE13ELNS1_3repE0EEENS1_52radix_sort_onesweep_histogram_config_static_selectorELNS0_4arch9wavefront6targetE1EEEvSG_.numbered_sgpr, 14
	.set _ZN7rocprim17ROCPRIM_400000_NS6detail17trampoline_kernelINS0_14default_configENS1_35radix_sort_onesweep_config_selectorIjjEEZNS1_34radix_sort_onesweep_global_offsetsIS3_Lb0EN6thrust23THRUST_200600_302600_NS6detail15normal_iteratorINS8_10device_ptrIjEEEESD_jNS0_19identity_decomposerEEE10hipError_tT1_T2_PT3_SI_jT4_jjP12ihipStream_tbEUlT_E0_NS1_11comp_targetILNS1_3genE6ELNS1_11target_archE950ELNS1_3gpuE13ELNS1_3repE0EEENS1_52radix_sort_onesweep_histogram_config_static_selectorELNS0_4arch9wavefront6targetE1EEEvSG_.num_named_barrier, 0
	.set _ZN7rocprim17ROCPRIM_400000_NS6detail17trampoline_kernelINS0_14default_configENS1_35radix_sort_onesweep_config_selectorIjjEEZNS1_34radix_sort_onesweep_global_offsetsIS3_Lb0EN6thrust23THRUST_200600_302600_NS6detail15normal_iteratorINS8_10device_ptrIjEEEESD_jNS0_19identity_decomposerEEE10hipError_tT1_T2_PT3_SI_jT4_jjP12ihipStream_tbEUlT_E0_NS1_11comp_targetILNS1_3genE6ELNS1_11target_archE950ELNS1_3gpuE13ELNS1_3repE0EEENS1_52radix_sort_onesweep_histogram_config_static_selectorELNS0_4arch9wavefront6targetE1EEEvSG_.private_seg_size, 0
	.set _ZN7rocprim17ROCPRIM_400000_NS6detail17trampoline_kernelINS0_14default_configENS1_35radix_sort_onesweep_config_selectorIjjEEZNS1_34radix_sort_onesweep_global_offsetsIS3_Lb0EN6thrust23THRUST_200600_302600_NS6detail15normal_iteratorINS8_10device_ptrIjEEEESD_jNS0_19identity_decomposerEEE10hipError_tT1_T2_PT3_SI_jT4_jjP12ihipStream_tbEUlT_E0_NS1_11comp_targetILNS1_3genE6ELNS1_11target_archE950ELNS1_3gpuE13ELNS1_3repE0EEENS1_52radix_sort_onesweep_histogram_config_static_selectorELNS0_4arch9wavefront6targetE1EEEvSG_.uses_vcc, 1
	.set _ZN7rocprim17ROCPRIM_400000_NS6detail17trampoline_kernelINS0_14default_configENS1_35radix_sort_onesweep_config_selectorIjjEEZNS1_34radix_sort_onesweep_global_offsetsIS3_Lb0EN6thrust23THRUST_200600_302600_NS6detail15normal_iteratorINS8_10device_ptrIjEEEESD_jNS0_19identity_decomposerEEE10hipError_tT1_T2_PT3_SI_jT4_jjP12ihipStream_tbEUlT_E0_NS1_11comp_targetILNS1_3genE6ELNS1_11target_archE950ELNS1_3gpuE13ELNS1_3repE0EEENS1_52radix_sort_onesweep_histogram_config_static_selectorELNS0_4arch9wavefront6targetE1EEEvSG_.uses_flat_scratch, 0
	.set _ZN7rocprim17ROCPRIM_400000_NS6detail17trampoline_kernelINS0_14default_configENS1_35radix_sort_onesweep_config_selectorIjjEEZNS1_34radix_sort_onesweep_global_offsetsIS3_Lb0EN6thrust23THRUST_200600_302600_NS6detail15normal_iteratorINS8_10device_ptrIjEEEESD_jNS0_19identity_decomposerEEE10hipError_tT1_T2_PT3_SI_jT4_jjP12ihipStream_tbEUlT_E0_NS1_11comp_targetILNS1_3genE6ELNS1_11target_archE950ELNS1_3gpuE13ELNS1_3repE0EEENS1_52radix_sort_onesweep_histogram_config_static_selectorELNS0_4arch9wavefront6targetE1EEEvSG_.has_dyn_sized_stack, 0
	.set _ZN7rocprim17ROCPRIM_400000_NS6detail17trampoline_kernelINS0_14default_configENS1_35radix_sort_onesweep_config_selectorIjjEEZNS1_34radix_sort_onesweep_global_offsetsIS3_Lb0EN6thrust23THRUST_200600_302600_NS6detail15normal_iteratorINS8_10device_ptrIjEEEESD_jNS0_19identity_decomposerEEE10hipError_tT1_T2_PT3_SI_jT4_jjP12ihipStream_tbEUlT_E0_NS1_11comp_targetILNS1_3genE6ELNS1_11target_archE950ELNS1_3gpuE13ELNS1_3repE0EEENS1_52radix_sort_onesweep_histogram_config_static_selectorELNS0_4arch9wavefront6targetE1EEEvSG_.has_recursion, 0
	.set _ZN7rocprim17ROCPRIM_400000_NS6detail17trampoline_kernelINS0_14default_configENS1_35radix_sort_onesweep_config_selectorIjjEEZNS1_34radix_sort_onesweep_global_offsetsIS3_Lb0EN6thrust23THRUST_200600_302600_NS6detail15normal_iteratorINS8_10device_ptrIjEEEESD_jNS0_19identity_decomposerEEE10hipError_tT1_T2_PT3_SI_jT4_jjP12ihipStream_tbEUlT_E0_NS1_11comp_targetILNS1_3genE6ELNS1_11target_archE950ELNS1_3gpuE13ELNS1_3repE0EEENS1_52radix_sort_onesweep_histogram_config_static_selectorELNS0_4arch9wavefront6targetE1EEEvSG_.has_indirect_call, 0
	.section	.AMDGPU.csdata,"",@progbits
; Kernel info:
; codeLenInByte = 572
; TotalNumSgprs: 20
; NumVgprs: 7
; NumAgprs: 0
; TotalNumVgprs: 7
; ScratchSize: 0
; MemoryBound: 0
; FloatMode: 240
; IeeeMode: 1
; LDSByteSize: 64 bytes/workgroup (compile time only)
; SGPRBlocks: 2
; VGPRBlocks: 0
; NumSGPRsForWavesPerEU: 20
; NumVGPRsForWavesPerEU: 7
; AccumOffset: 8
; Occupancy: 8
; WaveLimiterHint : 0
; COMPUTE_PGM_RSRC2:SCRATCH_EN: 0
; COMPUTE_PGM_RSRC2:USER_SGPR: 2
; COMPUTE_PGM_RSRC2:TRAP_HANDLER: 0
; COMPUTE_PGM_RSRC2:TGID_X_EN: 1
; COMPUTE_PGM_RSRC2:TGID_Y_EN: 0
; COMPUTE_PGM_RSRC2:TGID_Z_EN: 0
; COMPUTE_PGM_RSRC2:TIDIG_COMP_CNT: 0
; COMPUTE_PGM_RSRC3_GFX90A:ACCUM_OFFSET: 1
; COMPUTE_PGM_RSRC3_GFX90A:TG_SPLIT: 0
	.section	.text._ZN7rocprim17ROCPRIM_400000_NS6detail17trampoline_kernelINS0_14default_configENS1_35radix_sort_onesweep_config_selectorIjjEEZNS1_34radix_sort_onesweep_global_offsetsIS3_Lb0EN6thrust23THRUST_200600_302600_NS6detail15normal_iteratorINS8_10device_ptrIjEEEESD_jNS0_19identity_decomposerEEE10hipError_tT1_T2_PT3_SI_jT4_jjP12ihipStream_tbEUlT_E0_NS1_11comp_targetILNS1_3genE5ELNS1_11target_archE942ELNS1_3gpuE9ELNS1_3repE0EEENS1_52radix_sort_onesweep_histogram_config_static_selectorELNS0_4arch9wavefront6targetE1EEEvSG_,"axG",@progbits,_ZN7rocprim17ROCPRIM_400000_NS6detail17trampoline_kernelINS0_14default_configENS1_35radix_sort_onesweep_config_selectorIjjEEZNS1_34radix_sort_onesweep_global_offsetsIS3_Lb0EN6thrust23THRUST_200600_302600_NS6detail15normal_iteratorINS8_10device_ptrIjEEEESD_jNS0_19identity_decomposerEEE10hipError_tT1_T2_PT3_SI_jT4_jjP12ihipStream_tbEUlT_E0_NS1_11comp_targetILNS1_3genE5ELNS1_11target_archE942ELNS1_3gpuE9ELNS1_3repE0EEENS1_52radix_sort_onesweep_histogram_config_static_selectorELNS0_4arch9wavefront6targetE1EEEvSG_,comdat
	.protected	_ZN7rocprim17ROCPRIM_400000_NS6detail17trampoline_kernelINS0_14default_configENS1_35radix_sort_onesweep_config_selectorIjjEEZNS1_34radix_sort_onesweep_global_offsetsIS3_Lb0EN6thrust23THRUST_200600_302600_NS6detail15normal_iteratorINS8_10device_ptrIjEEEESD_jNS0_19identity_decomposerEEE10hipError_tT1_T2_PT3_SI_jT4_jjP12ihipStream_tbEUlT_E0_NS1_11comp_targetILNS1_3genE5ELNS1_11target_archE942ELNS1_3gpuE9ELNS1_3repE0EEENS1_52radix_sort_onesweep_histogram_config_static_selectorELNS0_4arch9wavefront6targetE1EEEvSG_ ; -- Begin function _ZN7rocprim17ROCPRIM_400000_NS6detail17trampoline_kernelINS0_14default_configENS1_35radix_sort_onesweep_config_selectorIjjEEZNS1_34radix_sort_onesweep_global_offsetsIS3_Lb0EN6thrust23THRUST_200600_302600_NS6detail15normal_iteratorINS8_10device_ptrIjEEEESD_jNS0_19identity_decomposerEEE10hipError_tT1_T2_PT3_SI_jT4_jjP12ihipStream_tbEUlT_E0_NS1_11comp_targetILNS1_3genE5ELNS1_11target_archE942ELNS1_3gpuE9ELNS1_3repE0EEENS1_52radix_sort_onesweep_histogram_config_static_selectorELNS0_4arch9wavefront6targetE1EEEvSG_
	.globl	_ZN7rocprim17ROCPRIM_400000_NS6detail17trampoline_kernelINS0_14default_configENS1_35radix_sort_onesweep_config_selectorIjjEEZNS1_34radix_sort_onesweep_global_offsetsIS3_Lb0EN6thrust23THRUST_200600_302600_NS6detail15normal_iteratorINS8_10device_ptrIjEEEESD_jNS0_19identity_decomposerEEE10hipError_tT1_T2_PT3_SI_jT4_jjP12ihipStream_tbEUlT_E0_NS1_11comp_targetILNS1_3genE5ELNS1_11target_archE942ELNS1_3gpuE9ELNS1_3repE0EEENS1_52radix_sort_onesweep_histogram_config_static_selectorELNS0_4arch9wavefront6targetE1EEEvSG_
	.p2align	8
	.type	_ZN7rocprim17ROCPRIM_400000_NS6detail17trampoline_kernelINS0_14default_configENS1_35radix_sort_onesweep_config_selectorIjjEEZNS1_34radix_sort_onesweep_global_offsetsIS3_Lb0EN6thrust23THRUST_200600_302600_NS6detail15normal_iteratorINS8_10device_ptrIjEEEESD_jNS0_19identity_decomposerEEE10hipError_tT1_T2_PT3_SI_jT4_jjP12ihipStream_tbEUlT_E0_NS1_11comp_targetILNS1_3genE5ELNS1_11target_archE942ELNS1_3gpuE9ELNS1_3repE0EEENS1_52radix_sort_onesweep_histogram_config_static_selectorELNS0_4arch9wavefront6targetE1EEEvSG_,@function
_ZN7rocprim17ROCPRIM_400000_NS6detail17trampoline_kernelINS0_14default_configENS1_35radix_sort_onesweep_config_selectorIjjEEZNS1_34radix_sort_onesweep_global_offsetsIS3_Lb0EN6thrust23THRUST_200600_302600_NS6detail15normal_iteratorINS8_10device_ptrIjEEEESD_jNS0_19identity_decomposerEEE10hipError_tT1_T2_PT3_SI_jT4_jjP12ihipStream_tbEUlT_E0_NS1_11comp_targetILNS1_3genE5ELNS1_11target_archE942ELNS1_3gpuE9ELNS1_3repE0EEENS1_52radix_sort_onesweep_histogram_config_static_selectorELNS0_4arch9wavefront6targetE1EEEvSG_: ; @_ZN7rocprim17ROCPRIM_400000_NS6detail17trampoline_kernelINS0_14default_configENS1_35radix_sort_onesweep_config_selectorIjjEEZNS1_34radix_sort_onesweep_global_offsetsIS3_Lb0EN6thrust23THRUST_200600_302600_NS6detail15normal_iteratorINS8_10device_ptrIjEEEESD_jNS0_19identity_decomposerEEE10hipError_tT1_T2_PT3_SI_jT4_jjP12ihipStream_tbEUlT_E0_NS1_11comp_targetILNS1_3genE5ELNS1_11target_archE942ELNS1_3gpuE9ELNS1_3repE0EEENS1_52radix_sort_onesweep_histogram_config_static_selectorELNS0_4arch9wavefront6targetE1EEEvSG_
; %bb.0:
	.section	.rodata,"a",@progbits
	.p2align	6, 0x0
	.amdhsa_kernel _ZN7rocprim17ROCPRIM_400000_NS6detail17trampoline_kernelINS0_14default_configENS1_35radix_sort_onesweep_config_selectorIjjEEZNS1_34radix_sort_onesweep_global_offsetsIS3_Lb0EN6thrust23THRUST_200600_302600_NS6detail15normal_iteratorINS8_10device_ptrIjEEEESD_jNS0_19identity_decomposerEEE10hipError_tT1_T2_PT3_SI_jT4_jjP12ihipStream_tbEUlT_E0_NS1_11comp_targetILNS1_3genE5ELNS1_11target_archE942ELNS1_3gpuE9ELNS1_3repE0EEENS1_52radix_sort_onesweep_histogram_config_static_selectorELNS0_4arch9wavefront6targetE1EEEvSG_
		.amdhsa_group_segment_fixed_size 0
		.amdhsa_private_segment_fixed_size 0
		.amdhsa_kernarg_size 8
		.amdhsa_user_sgpr_count 2
		.amdhsa_user_sgpr_dispatch_ptr 0
		.amdhsa_user_sgpr_queue_ptr 0
		.amdhsa_user_sgpr_kernarg_segment_ptr 1
		.amdhsa_user_sgpr_dispatch_id 0
		.amdhsa_user_sgpr_kernarg_preload_length 0
		.amdhsa_user_sgpr_kernarg_preload_offset 0
		.amdhsa_user_sgpr_private_segment_size 0
		.amdhsa_uses_dynamic_stack 0
		.amdhsa_enable_private_segment 0
		.amdhsa_system_sgpr_workgroup_id_x 1
		.amdhsa_system_sgpr_workgroup_id_y 0
		.amdhsa_system_sgpr_workgroup_id_z 0
		.amdhsa_system_sgpr_workgroup_info 0
		.amdhsa_system_vgpr_workitem_id 0
		.amdhsa_next_free_vgpr 1
		.amdhsa_next_free_sgpr 0
		.amdhsa_accum_offset 4
		.amdhsa_reserve_vcc 0
		.amdhsa_float_round_mode_32 0
		.amdhsa_float_round_mode_16_64 0
		.amdhsa_float_denorm_mode_32 3
		.amdhsa_float_denorm_mode_16_64 3
		.amdhsa_dx10_clamp 1
		.amdhsa_ieee_mode 1
		.amdhsa_fp16_overflow 0
		.amdhsa_tg_split 0
		.amdhsa_exception_fp_ieee_invalid_op 0
		.amdhsa_exception_fp_denorm_src 0
		.amdhsa_exception_fp_ieee_div_zero 0
		.amdhsa_exception_fp_ieee_overflow 0
		.amdhsa_exception_fp_ieee_underflow 0
		.amdhsa_exception_fp_ieee_inexact 0
		.amdhsa_exception_int_div_zero 0
	.end_amdhsa_kernel
	.section	.text._ZN7rocprim17ROCPRIM_400000_NS6detail17trampoline_kernelINS0_14default_configENS1_35radix_sort_onesweep_config_selectorIjjEEZNS1_34radix_sort_onesweep_global_offsetsIS3_Lb0EN6thrust23THRUST_200600_302600_NS6detail15normal_iteratorINS8_10device_ptrIjEEEESD_jNS0_19identity_decomposerEEE10hipError_tT1_T2_PT3_SI_jT4_jjP12ihipStream_tbEUlT_E0_NS1_11comp_targetILNS1_3genE5ELNS1_11target_archE942ELNS1_3gpuE9ELNS1_3repE0EEENS1_52radix_sort_onesweep_histogram_config_static_selectorELNS0_4arch9wavefront6targetE1EEEvSG_,"axG",@progbits,_ZN7rocprim17ROCPRIM_400000_NS6detail17trampoline_kernelINS0_14default_configENS1_35radix_sort_onesweep_config_selectorIjjEEZNS1_34radix_sort_onesweep_global_offsetsIS3_Lb0EN6thrust23THRUST_200600_302600_NS6detail15normal_iteratorINS8_10device_ptrIjEEEESD_jNS0_19identity_decomposerEEE10hipError_tT1_T2_PT3_SI_jT4_jjP12ihipStream_tbEUlT_E0_NS1_11comp_targetILNS1_3genE5ELNS1_11target_archE942ELNS1_3gpuE9ELNS1_3repE0EEENS1_52radix_sort_onesweep_histogram_config_static_selectorELNS0_4arch9wavefront6targetE1EEEvSG_,comdat
.Lfunc_end735:
	.size	_ZN7rocprim17ROCPRIM_400000_NS6detail17trampoline_kernelINS0_14default_configENS1_35radix_sort_onesweep_config_selectorIjjEEZNS1_34radix_sort_onesweep_global_offsetsIS3_Lb0EN6thrust23THRUST_200600_302600_NS6detail15normal_iteratorINS8_10device_ptrIjEEEESD_jNS0_19identity_decomposerEEE10hipError_tT1_T2_PT3_SI_jT4_jjP12ihipStream_tbEUlT_E0_NS1_11comp_targetILNS1_3genE5ELNS1_11target_archE942ELNS1_3gpuE9ELNS1_3repE0EEENS1_52radix_sort_onesweep_histogram_config_static_selectorELNS0_4arch9wavefront6targetE1EEEvSG_, .Lfunc_end735-_ZN7rocprim17ROCPRIM_400000_NS6detail17trampoline_kernelINS0_14default_configENS1_35radix_sort_onesweep_config_selectorIjjEEZNS1_34radix_sort_onesweep_global_offsetsIS3_Lb0EN6thrust23THRUST_200600_302600_NS6detail15normal_iteratorINS8_10device_ptrIjEEEESD_jNS0_19identity_decomposerEEE10hipError_tT1_T2_PT3_SI_jT4_jjP12ihipStream_tbEUlT_E0_NS1_11comp_targetILNS1_3genE5ELNS1_11target_archE942ELNS1_3gpuE9ELNS1_3repE0EEENS1_52radix_sort_onesweep_histogram_config_static_selectorELNS0_4arch9wavefront6targetE1EEEvSG_
                                        ; -- End function
	.set _ZN7rocprim17ROCPRIM_400000_NS6detail17trampoline_kernelINS0_14default_configENS1_35radix_sort_onesweep_config_selectorIjjEEZNS1_34radix_sort_onesweep_global_offsetsIS3_Lb0EN6thrust23THRUST_200600_302600_NS6detail15normal_iteratorINS8_10device_ptrIjEEEESD_jNS0_19identity_decomposerEEE10hipError_tT1_T2_PT3_SI_jT4_jjP12ihipStream_tbEUlT_E0_NS1_11comp_targetILNS1_3genE5ELNS1_11target_archE942ELNS1_3gpuE9ELNS1_3repE0EEENS1_52radix_sort_onesweep_histogram_config_static_selectorELNS0_4arch9wavefront6targetE1EEEvSG_.num_vgpr, 0
	.set _ZN7rocprim17ROCPRIM_400000_NS6detail17trampoline_kernelINS0_14default_configENS1_35radix_sort_onesweep_config_selectorIjjEEZNS1_34radix_sort_onesweep_global_offsetsIS3_Lb0EN6thrust23THRUST_200600_302600_NS6detail15normal_iteratorINS8_10device_ptrIjEEEESD_jNS0_19identity_decomposerEEE10hipError_tT1_T2_PT3_SI_jT4_jjP12ihipStream_tbEUlT_E0_NS1_11comp_targetILNS1_3genE5ELNS1_11target_archE942ELNS1_3gpuE9ELNS1_3repE0EEENS1_52radix_sort_onesweep_histogram_config_static_selectorELNS0_4arch9wavefront6targetE1EEEvSG_.num_agpr, 0
	.set _ZN7rocprim17ROCPRIM_400000_NS6detail17trampoline_kernelINS0_14default_configENS1_35radix_sort_onesweep_config_selectorIjjEEZNS1_34radix_sort_onesweep_global_offsetsIS3_Lb0EN6thrust23THRUST_200600_302600_NS6detail15normal_iteratorINS8_10device_ptrIjEEEESD_jNS0_19identity_decomposerEEE10hipError_tT1_T2_PT3_SI_jT4_jjP12ihipStream_tbEUlT_E0_NS1_11comp_targetILNS1_3genE5ELNS1_11target_archE942ELNS1_3gpuE9ELNS1_3repE0EEENS1_52radix_sort_onesweep_histogram_config_static_selectorELNS0_4arch9wavefront6targetE1EEEvSG_.numbered_sgpr, 0
	.set _ZN7rocprim17ROCPRIM_400000_NS6detail17trampoline_kernelINS0_14default_configENS1_35radix_sort_onesweep_config_selectorIjjEEZNS1_34radix_sort_onesweep_global_offsetsIS3_Lb0EN6thrust23THRUST_200600_302600_NS6detail15normal_iteratorINS8_10device_ptrIjEEEESD_jNS0_19identity_decomposerEEE10hipError_tT1_T2_PT3_SI_jT4_jjP12ihipStream_tbEUlT_E0_NS1_11comp_targetILNS1_3genE5ELNS1_11target_archE942ELNS1_3gpuE9ELNS1_3repE0EEENS1_52radix_sort_onesweep_histogram_config_static_selectorELNS0_4arch9wavefront6targetE1EEEvSG_.num_named_barrier, 0
	.set _ZN7rocprim17ROCPRIM_400000_NS6detail17trampoline_kernelINS0_14default_configENS1_35radix_sort_onesweep_config_selectorIjjEEZNS1_34radix_sort_onesweep_global_offsetsIS3_Lb0EN6thrust23THRUST_200600_302600_NS6detail15normal_iteratorINS8_10device_ptrIjEEEESD_jNS0_19identity_decomposerEEE10hipError_tT1_T2_PT3_SI_jT4_jjP12ihipStream_tbEUlT_E0_NS1_11comp_targetILNS1_3genE5ELNS1_11target_archE942ELNS1_3gpuE9ELNS1_3repE0EEENS1_52radix_sort_onesweep_histogram_config_static_selectorELNS0_4arch9wavefront6targetE1EEEvSG_.private_seg_size, 0
	.set _ZN7rocprim17ROCPRIM_400000_NS6detail17trampoline_kernelINS0_14default_configENS1_35radix_sort_onesweep_config_selectorIjjEEZNS1_34radix_sort_onesweep_global_offsetsIS3_Lb0EN6thrust23THRUST_200600_302600_NS6detail15normal_iteratorINS8_10device_ptrIjEEEESD_jNS0_19identity_decomposerEEE10hipError_tT1_T2_PT3_SI_jT4_jjP12ihipStream_tbEUlT_E0_NS1_11comp_targetILNS1_3genE5ELNS1_11target_archE942ELNS1_3gpuE9ELNS1_3repE0EEENS1_52radix_sort_onesweep_histogram_config_static_selectorELNS0_4arch9wavefront6targetE1EEEvSG_.uses_vcc, 0
	.set _ZN7rocprim17ROCPRIM_400000_NS6detail17trampoline_kernelINS0_14default_configENS1_35radix_sort_onesweep_config_selectorIjjEEZNS1_34radix_sort_onesweep_global_offsetsIS3_Lb0EN6thrust23THRUST_200600_302600_NS6detail15normal_iteratorINS8_10device_ptrIjEEEESD_jNS0_19identity_decomposerEEE10hipError_tT1_T2_PT3_SI_jT4_jjP12ihipStream_tbEUlT_E0_NS1_11comp_targetILNS1_3genE5ELNS1_11target_archE942ELNS1_3gpuE9ELNS1_3repE0EEENS1_52radix_sort_onesweep_histogram_config_static_selectorELNS0_4arch9wavefront6targetE1EEEvSG_.uses_flat_scratch, 0
	.set _ZN7rocprim17ROCPRIM_400000_NS6detail17trampoline_kernelINS0_14default_configENS1_35radix_sort_onesweep_config_selectorIjjEEZNS1_34radix_sort_onesweep_global_offsetsIS3_Lb0EN6thrust23THRUST_200600_302600_NS6detail15normal_iteratorINS8_10device_ptrIjEEEESD_jNS0_19identity_decomposerEEE10hipError_tT1_T2_PT3_SI_jT4_jjP12ihipStream_tbEUlT_E0_NS1_11comp_targetILNS1_3genE5ELNS1_11target_archE942ELNS1_3gpuE9ELNS1_3repE0EEENS1_52radix_sort_onesweep_histogram_config_static_selectorELNS0_4arch9wavefront6targetE1EEEvSG_.has_dyn_sized_stack, 0
	.set _ZN7rocprim17ROCPRIM_400000_NS6detail17trampoline_kernelINS0_14default_configENS1_35radix_sort_onesweep_config_selectorIjjEEZNS1_34radix_sort_onesweep_global_offsetsIS3_Lb0EN6thrust23THRUST_200600_302600_NS6detail15normal_iteratorINS8_10device_ptrIjEEEESD_jNS0_19identity_decomposerEEE10hipError_tT1_T2_PT3_SI_jT4_jjP12ihipStream_tbEUlT_E0_NS1_11comp_targetILNS1_3genE5ELNS1_11target_archE942ELNS1_3gpuE9ELNS1_3repE0EEENS1_52radix_sort_onesweep_histogram_config_static_selectorELNS0_4arch9wavefront6targetE1EEEvSG_.has_recursion, 0
	.set _ZN7rocprim17ROCPRIM_400000_NS6detail17trampoline_kernelINS0_14default_configENS1_35radix_sort_onesweep_config_selectorIjjEEZNS1_34radix_sort_onesweep_global_offsetsIS3_Lb0EN6thrust23THRUST_200600_302600_NS6detail15normal_iteratorINS8_10device_ptrIjEEEESD_jNS0_19identity_decomposerEEE10hipError_tT1_T2_PT3_SI_jT4_jjP12ihipStream_tbEUlT_E0_NS1_11comp_targetILNS1_3genE5ELNS1_11target_archE942ELNS1_3gpuE9ELNS1_3repE0EEENS1_52radix_sort_onesweep_histogram_config_static_selectorELNS0_4arch9wavefront6targetE1EEEvSG_.has_indirect_call, 0
	.section	.AMDGPU.csdata,"",@progbits
; Kernel info:
; codeLenInByte = 0
; TotalNumSgprs: 6
; NumVgprs: 0
; NumAgprs: 0
; TotalNumVgprs: 0
; ScratchSize: 0
; MemoryBound: 0
; FloatMode: 240
; IeeeMode: 1
; LDSByteSize: 0 bytes/workgroup (compile time only)
; SGPRBlocks: 0
; VGPRBlocks: 0
; NumSGPRsForWavesPerEU: 6
; NumVGPRsForWavesPerEU: 1
; AccumOffset: 4
; Occupancy: 8
; WaveLimiterHint : 0
; COMPUTE_PGM_RSRC2:SCRATCH_EN: 0
; COMPUTE_PGM_RSRC2:USER_SGPR: 2
; COMPUTE_PGM_RSRC2:TRAP_HANDLER: 0
; COMPUTE_PGM_RSRC2:TGID_X_EN: 1
; COMPUTE_PGM_RSRC2:TGID_Y_EN: 0
; COMPUTE_PGM_RSRC2:TGID_Z_EN: 0
; COMPUTE_PGM_RSRC2:TIDIG_COMP_CNT: 0
; COMPUTE_PGM_RSRC3_GFX90A:ACCUM_OFFSET: 0
; COMPUTE_PGM_RSRC3_GFX90A:TG_SPLIT: 0
	.section	.text._ZN7rocprim17ROCPRIM_400000_NS6detail17trampoline_kernelINS0_14default_configENS1_35radix_sort_onesweep_config_selectorIjjEEZNS1_34radix_sort_onesweep_global_offsetsIS3_Lb0EN6thrust23THRUST_200600_302600_NS6detail15normal_iteratorINS8_10device_ptrIjEEEESD_jNS0_19identity_decomposerEEE10hipError_tT1_T2_PT3_SI_jT4_jjP12ihipStream_tbEUlT_E0_NS1_11comp_targetILNS1_3genE2ELNS1_11target_archE906ELNS1_3gpuE6ELNS1_3repE0EEENS1_52radix_sort_onesweep_histogram_config_static_selectorELNS0_4arch9wavefront6targetE1EEEvSG_,"axG",@progbits,_ZN7rocprim17ROCPRIM_400000_NS6detail17trampoline_kernelINS0_14default_configENS1_35radix_sort_onesweep_config_selectorIjjEEZNS1_34radix_sort_onesweep_global_offsetsIS3_Lb0EN6thrust23THRUST_200600_302600_NS6detail15normal_iteratorINS8_10device_ptrIjEEEESD_jNS0_19identity_decomposerEEE10hipError_tT1_T2_PT3_SI_jT4_jjP12ihipStream_tbEUlT_E0_NS1_11comp_targetILNS1_3genE2ELNS1_11target_archE906ELNS1_3gpuE6ELNS1_3repE0EEENS1_52radix_sort_onesweep_histogram_config_static_selectorELNS0_4arch9wavefront6targetE1EEEvSG_,comdat
	.protected	_ZN7rocprim17ROCPRIM_400000_NS6detail17trampoline_kernelINS0_14default_configENS1_35radix_sort_onesweep_config_selectorIjjEEZNS1_34radix_sort_onesweep_global_offsetsIS3_Lb0EN6thrust23THRUST_200600_302600_NS6detail15normal_iteratorINS8_10device_ptrIjEEEESD_jNS0_19identity_decomposerEEE10hipError_tT1_T2_PT3_SI_jT4_jjP12ihipStream_tbEUlT_E0_NS1_11comp_targetILNS1_3genE2ELNS1_11target_archE906ELNS1_3gpuE6ELNS1_3repE0EEENS1_52radix_sort_onesweep_histogram_config_static_selectorELNS0_4arch9wavefront6targetE1EEEvSG_ ; -- Begin function _ZN7rocprim17ROCPRIM_400000_NS6detail17trampoline_kernelINS0_14default_configENS1_35radix_sort_onesweep_config_selectorIjjEEZNS1_34radix_sort_onesweep_global_offsetsIS3_Lb0EN6thrust23THRUST_200600_302600_NS6detail15normal_iteratorINS8_10device_ptrIjEEEESD_jNS0_19identity_decomposerEEE10hipError_tT1_T2_PT3_SI_jT4_jjP12ihipStream_tbEUlT_E0_NS1_11comp_targetILNS1_3genE2ELNS1_11target_archE906ELNS1_3gpuE6ELNS1_3repE0EEENS1_52radix_sort_onesweep_histogram_config_static_selectorELNS0_4arch9wavefront6targetE1EEEvSG_
	.globl	_ZN7rocprim17ROCPRIM_400000_NS6detail17trampoline_kernelINS0_14default_configENS1_35radix_sort_onesweep_config_selectorIjjEEZNS1_34radix_sort_onesweep_global_offsetsIS3_Lb0EN6thrust23THRUST_200600_302600_NS6detail15normal_iteratorINS8_10device_ptrIjEEEESD_jNS0_19identity_decomposerEEE10hipError_tT1_T2_PT3_SI_jT4_jjP12ihipStream_tbEUlT_E0_NS1_11comp_targetILNS1_3genE2ELNS1_11target_archE906ELNS1_3gpuE6ELNS1_3repE0EEENS1_52radix_sort_onesweep_histogram_config_static_selectorELNS0_4arch9wavefront6targetE1EEEvSG_
	.p2align	8
	.type	_ZN7rocprim17ROCPRIM_400000_NS6detail17trampoline_kernelINS0_14default_configENS1_35radix_sort_onesweep_config_selectorIjjEEZNS1_34radix_sort_onesweep_global_offsetsIS3_Lb0EN6thrust23THRUST_200600_302600_NS6detail15normal_iteratorINS8_10device_ptrIjEEEESD_jNS0_19identity_decomposerEEE10hipError_tT1_T2_PT3_SI_jT4_jjP12ihipStream_tbEUlT_E0_NS1_11comp_targetILNS1_3genE2ELNS1_11target_archE906ELNS1_3gpuE6ELNS1_3repE0EEENS1_52radix_sort_onesweep_histogram_config_static_selectorELNS0_4arch9wavefront6targetE1EEEvSG_,@function
_ZN7rocprim17ROCPRIM_400000_NS6detail17trampoline_kernelINS0_14default_configENS1_35radix_sort_onesweep_config_selectorIjjEEZNS1_34radix_sort_onesweep_global_offsetsIS3_Lb0EN6thrust23THRUST_200600_302600_NS6detail15normal_iteratorINS8_10device_ptrIjEEEESD_jNS0_19identity_decomposerEEE10hipError_tT1_T2_PT3_SI_jT4_jjP12ihipStream_tbEUlT_E0_NS1_11comp_targetILNS1_3genE2ELNS1_11target_archE906ELNS1_3gpuE6ELNS1_3repE0EEENS1_52radix_sort_onesweep_histogram_config_static_selectorELNS0_4arch9wavefront6targetE1EEEvSG_: ; @_ZN7rocprim17ROCPRIM_400000_NS6detail17trampoline_kernelINS0_14default_configENS1_35radix_sort_onesweep_config_selectorIjjEEZNS1_34radix_sort_onesweep_global_offsetsIS3_Lb0EN6thrust23THRUST_200600_302600_NS6detail15normal_iteratorINS8_10device_ptrIjEEEESD_jNS0_19identity_decomposerEEE10hipError_tT1_T2_PT3_SI_jT4_jjP12ihipStream_tbEUlT_E0_NS1_11comp_targetILNS1_3genE2ELNS1_11target_archE906ELNS1_3gpuE6ELNS1_3repE0EEENS1_52radix_sort_onesweep_histogram_config_static_selectorELNS0_4arch9wavefront6targetE1EEEvSG_
; %bb.0:
	.section	.rodata,"a",@progbits
	.p2align	6, 0x0
	.amdhsa_kernel _ZN7rocprim17ROCPRIM_400000_NS6detail17trampoline_kernelINS0_14default_configENS1_35radix_sort_onesweep_config_selectorIjjEEZNS1_34radix_sort_onesweep_global_offsetsIS3_Lb0EN6thrust23THRUST_200600_302600_NS6detail15normal_iteratorINS8_10device_ptrIjEEEESD_jNS0_19identity_decomposerEEE10hipError_tT1_T2_PT3_SI_jT4_jjP12ihipStream_tbEUlT_E0_NS1_11comp_targetILNS1_3genE2ELNS1_11target_archE906ELNS1_3gpuE6ELNS1_3repE0EEENS1_52radix_sort_onesweep_histogram_config_static_selectorELNS0_4arch9wavefront6targetE1EEEvSG_
		.amdhsa_group_segment_fixed_size 0
		.amdhsa_private_segment_fixed_size 0
		.amdhsa_kernarg_size 8
		.amdhsa_user_sgpr_count 2
		.amdhsa_user_sgpr_dispatch_ptr 0
		.amdhsa_user_sgpr_queue_ptr 0
		.amdhsa_user_sgpr_kernarg_segment_ptr 1
		.amdhsa_user_sgpr_dispatch_id 0
		.amdhsa_user_sgpr_kernarg_preload_length 0
		.amdhsa_user_sgpr_kernarg_preload_offset 0
		.amdhsa_user_sgpr_private_segment_size 0
		.amdhsa_uses_dynamic_stack 0
		.amdhsa_enable_private_segment 0
		.amdhsa_system_sgpr_workgroup_id_x 1
		.amdhsa_system_sgpr_workgroup_id_y 0
		.amdhsa_system_sgpr_workgroup_id_z 0
		.amdhsa_system_sgpr_workgroup_info 0
		.amdhsa_system_vgpr_workitem_id 0
		.amdhsa_next_free_vgpr 1
		.amdhsa_next_free_sgpr 0
		.amdhsa_accum_offset 4
		.amdhsa_reserve_vcc 0
		.amdhsa_float_round_mode_32 0
		.amdhsa_float_round_mode_16_64 0
		.amdhsa_float_denorm_mode_32 3
		.amdhsa_float_denorm_mode_16_64 3
		.amdhsa_dx10_clamp 1
		.amdhsa_ieee_mode 1
		.amdhsa_fp16_overflow 0
		.amdhsa_tg_split 0
		.amdhsa_exception_fp_ieee_invalid_op 0
		.amdhsa_exception_fp_denorm_src 0
		.amdhsa_exception_fp_ieee_div_zero 0
		.amdhsa_exception_fp_ieee_overflow 0
		.amdhsa_exception_fp_ieee_underflow 0
		.amdhsa_exception_fp_ieee_inexact 0
		.amdhsa_exception_int_div_zero 0
	.end_amdhsa_kernel
	.section	.text._ZN7rocprim17ROCPRIM_400000_NS6detail17trampoline_kernelINS0_14default_configENS1_35radix_sort_onesweep_config_selectorIjjEEZNS1_34radix_sort_onesweep_global_offsetsIS3_Lb0EN6thrust23THRUST_200600_302600_NS6detail15normal_iteratorINS8_10device_ptrIjEEEESD_jNS0_19identity_decomposerEEE10hipError_tT1_T2_PT3_SI_jT4_jjP12ihipStream_tbEUlT_E0_NS1_11comp_targetILNS1_3genE2ELNS1_11target_archE906ELNS1_3gpuE6ELNS1_3repE0EEENS1_52radix_sort_onesweep_histogram_config_static_selectorELNS0_4arch9wavefront6targetE1EEEvSG_,"axG",@progbits,_ZN7rocprim17ROCPRIM_400000_NS6detail17trampoline_kernelINS0_14default_configENS1_35radix_sort_onesweep_config_selectorIjjEEZNS1_34radix_sort_onesweep_global_offsetsIS3_Lb0EN6thrust23THRUST_200600_302600_NS6detail15normal_iteratorINS8_10device_ptrIjEEEESD_jNS0_19identity_decomposerEEE10hipError_tT1_T2_PT3_SI_jT4_jjP12ihipStream_tbEUlT_E0_NS1_11comp_targetILNS1_3genE2ELNS1_11target_archE906ELNS1_3gpuE6ELNS1_3repE0EEENS1_52radix_sort_onesweep_histogram_config_static_selectorELNS0_4arch9wavefront6targetE1EEEvSG_,comdat
.Lfunc_end736:
	.size	_ZN7rocprim17ROCPRIM_400000_NS6detail17trampoline_kernelINS0_14default_configENS1_35radix_sort_onesweep_config_selectorIjjEEZNS1_34radix_sort_onesweep_global_offsetsIS3_Lb0EN6thrust23THRUST_200600_302600_NS6detail15normal_iteratorINS8_10device_ptrIjEEEESD_jNS0_19identity_decomposerEEE10hipError_tT1_T2_PT3_SI_jT4_jjP12ihipStream_tbEUlT_E0_NS1_11comp_targetILNS1_3genE2ELNS1_11target_archE906ELNS1_3gpuE6ELNS1_3repE0EEENS1_52radix_sort_onesweep_histogram_config_static_selectorELNS0_4arch9wavefront6targetE1EEEvSG_, .Lfunc_end736-_ZN7rocprim17ROCPRIM_400000_NS6detail17trampoline_kernelINS0_14default_configENS1_35radix_sort_onesweep_config_selectorIjjEEZNS1_34radix_sort_onesweep_global_offsetsIS3_Lb0EN6thrust23THRUST_200600_302600_NS6detail15normal_iteratorINS8_10device_ptrIjEEEESD_jNS0_19identity_decomposerEEE10hipError_tT1_T2_PT3_SI_jT4_jjP12ihipStream_tbEUlT_E0_NS1_11comp_targetILNS1_3genE2ELNS1_11target_archE906ELNS1_3gpuE6ELNS1_3repE0EEENS1_52radix_sort_onesweep_histogram_config_static_selectorELNS0_4arch9wavefront6targetE1EEEvSG_
                                        ; -- End function
	.set _ZN7rocprim17ROCPRIM_400000_NS6detail17trampoline_kernelINS0_14default_configENS1_35radix_sort_onesweep_config_selectorIjjEEZNS1_34radix_sort_onesweep_global_offsetsIS3_Lb0EN6thrust23THRUST_200600_302600_NS6detail15normal_iteratorINS8_10device_ptrIjEEEESD_jNS0_19identity_decomposerEEE10hipError_tT1_T2_PT3_SI_jT4_jjP12ihipStream_tbEUlT_E0_NS1_11comp_targetILNS1_3genE2ELNS1_11target_archE906ELNS1_3gpuE6ELNS1_3repE0EEENS1_52radix_sort_onesweep_histogram_config_static_selectorELNS0_4arch9wavefront6targetE1EEEvSG_.num_vgpr, 0
	.set _ZN7rocprim17ROCPRIM_400000_NS6detail17trampoline_kernelINS0_14default_configENS1_35radix_sort_onesweep_config_selectorIjjEEZNS1_34radix_sort_onesweep_global_offsetsIS3_Lb0EN6thrust23THRUST_200600_302600_NS6detail15normal_iteratorINS8_10device_ptrIjEEEESD_jNS0_19identity_decomposerEEE10hipError_tT1_T2_PT3_SI_jT4_jjP12ihipStream_tbEUlT_E0_NS1_11comp_targetILNS1_3genE2ELNS1_11target_archE906ELNS1_3gpuE6ELNS1_3repE0EEENS1_52radix_sort_onesweep_histogram_config_static_selectorELNS0_4arch9wavefront6targetE1EEEvSG_.num_agpr, 0
	.set _ZN7rocprim17ROCPRIM_400000_NS6detail17trampoline_kernelINS0_14default_configENS1_35radix_sort_onesweep_config_selectorIjjEEZNS1_34radix_sort_onesweep_global_offsetsIS3_Lb0EN6thrust23THRUST_200600_302600_NS6detail15normal_iteratorINS8_10device_ptrIjEEEESD_jNS0_19identity_decomposerEEE10hipError_tT1_T2_PT3_SI_jT4_jjP12ihipStream_tbEUlT_E0_NS1_11comp_targetILNS1_3genE2ELNS1_11target_archE906ELNS1_3gpuE6ELNS1_3repE0EEENS1_52radix_sort_onesweep_histogram_config_static_selectorELNS0_4arch9wavefront6targetE1EEEvSG_.numbered_sgpr, 0
	.set _ZN7rocprim17ROCPRIM_400000_NS6detail17trampoline_kernelINS0_14default_configENS1_35radix_sort_onesweep_config_selectorIjjEEZNS1_34radix_sort_onesweep_global_offsetsIS3_Lb0EN6thrust23THRUST_200600_302600_NS6detail15normal_iteratorINS8_10device_ptrIjEEEESD_jNS0_19identity_decomposerEEE10hipError_tT1_T2_PT3_SI_jT4_jjP12ihipStream_tbEUlT_E0_NS1_11comp_targetILNS1_3genE2ELNS1_11target_archE906ELNS1_3gpuE6ELNS1_3repE0EEENS1_52radix_sort_onesweep_histogram_config_static_selectorELNS0_4arch9wavefront6targetE1EEEvSG_.num_named_barrier, 0
	.set _ZN7rocprim17ROCPRIM_400000_NS6detail17trampoline_kernelINS0_14default_configENS1_35radix_sort_onesweep_config_selectorIjjEEZNS1_34radix_sort_onesweep_global_offsetsIS3_Lb0EN6thrust23THRUST_200600_302600_NS6detail15normal_iteratorINS8_10device_ptrIjEEEESD_jNS0_19identity_decomposerEEE10hipError_tT1_T2_PT3_SI_jT4_jjP12ihipStream_tbEUlT_E0_NS1_11comp_targetILNS1_3genE2ELNS1_11target_archE906ELNS1_3gpuE6ELNS1_3repE0EEENS1_52radix_sort_onesweep_histogram_config_static_selectorELNS0_4arch9wavefront6targetE1EEEvSG_.private_seg_size, 0
	.set _ZN7rocprim17ROCPRIM_400000_NS6detail17trampoline_kernelINS0_14default_configENS1_35radix_sort_onesweep_config_selectorIjjEEZNS1_34radix_sort_onesweep_global_offsetsIS3_Lb0EN6thrust23THRUST_200600_302600_NS6detail15normal_iteratorINS8_10device_ptrIjEEEESD_jNS0_19identity_decomposerEEE10hipError_tT1_T2_PT3_SI_jT4_jjP12ihipStream_tbEUlT_E0_NS1_11comp_targetILNS1_3genE2ELNS1_11target_archE906ELNS1_3gpuE6ELNS1_3repE0EEENS1_52radix_sort_onesweep_histogram_config_static_selectorELNS0_4arch9wavefront6targetE1EEEvSG_.uses_vcc, 0
	.set _ZN7rocprim17ROCPRIM_400000_NS6detail17trampoline_kernelINS0_14default_configENS1_35radix_sort_onesweep_config_selectorIjjEEZNS1_34radix_sort_onesweep_global_offsetsIS3_Lb0EN6thrust23THRUST_200600_302600_NS6detail15normal_iteratorINS8_10device_ptrIjEEEESD_jNS0_19identity_decomposerEEE10hipError_tT1_T2_PT3_SI_jT4_jjP12ihipStream_tbEUlT_E0_NS1_11comp_targetILNS1_3genE2ELNS1_11target_archE906ELNS1_3gpuE6ELNS1_3repE0EEENS1_52radix_sort_onesweep_histogram_config_static_selectorELNS0_4arch9wavefront6targetE1EEEvSG_.uses_flat_scratch, 0
	.set _ZN7rocprim17ROCPRIM_400000_NS6detail17trampoline_kernelINS0_14default_configENS1_35radix_sort_onesweep_config_selectorIjjEEZNS1_34radix_sort_onesweep_global_offsetsIS3_Lb0EN6thrust23THRUST_200600_302600_NS6detail15normal_iteratorINS8_10device_ptrIjEEEESD_jNS0_19identity_decomposerEEE10hipError_tT1_T2_PT3_SI_jT4_jjP12ihipStream_tbEUlT_E0_NS1_11comp_targetILNS1_3genE2ELNS1_11target_archE906ELNS1_3gpuE6ELNS1_3repE0EEENS1_52radix_sort_onesweep_histogram_config_static_selectorELNS0_4arch9wavefront6targetE1EEEvSG_.has_dyn_sized_stack, 0
	.set _ZN7rocprim17ROCPRIM_400000_NS6detail17trampoline_kernelINS0_14default_configENS1_35radix_sort_onesweep_config_selectorIjjEEZNS1_34radix_sort_onesweep_global_offsetsIS3_Lb0EN6thrust23THRUST_200600_302600_NS6detail15normal_iteratorINS8_10device_ptrIjEEEESD_jNS0_19identity_decomposerEEE10hipError_tT1_T2_PT3_SI_jT4_jjP12ihipStream_tbEUlT_E0_NS1_11comp_targetILNS1_3genE2ELNS1_11target_archE906ELNS1_3gpuE6ELNS1_3repE0EEENS1_52radix_sort_onesweep_histogram_config_static_selectorELNS0_4arch9wavefront6targetE1EEEvSG_.has_recursion, 0
	.set _ZN7rocprim17ROCPRIM_400000_NS6detail17trampoline_kernelINS0_14default_configENS1_35radix_sort_onesweep_config_selectorIjjEEZNS1_34radix_sort_onesweep_global_offsetsIS3_Lb0EN6thrust23THRUST_200600_302600_NS6detail15normal_iteratorINS8_10device_ptrIjEEEESD_jNS0_19identity_decomposerEEE10hipError_tT1_T2_PT3_SI_jT4_jjP12ihipStream_tbEUlT_E0_NS1_11comp_targetILNS1_3genE2ELNS1_11target_archE906ELNS1_3gpuE6ELNS1_3repE0EEENS1_52radix_sort_onesweep_histogram_config_static_selectorELNS0_4arch9wavefront6targetE1EEEvSG_.has_indirect_call, 0
	.section	.AMDGPU.csdata,"",@progbits
; Kernel info:
; codeLenInByte = 0
; TotalNumSgprs: 6
; NumVgprs: 0
; NumAgprs: 0
; TotalNumVgprs: 0
; ScratchSize: 0
; MemoryBound: 0
; FloatMode: 240
; IeeeMode: 1
; LDSByteSize: 0 bytes/workgroup (compile time only)
; SGPRBlocks: 0
; VGPRBlocks: 0
; NumSGPRsForWavesPerEU: 6
; NumVGPRsForWavesPerEU: 1
; AccumOffset: 4
; Occupancy: 8
; WaveLimiterHint : 0
; COMPUTE_PGM_RSRC2:SCRATCH_EN: 0
; COMPUTE_PGM_RSRC2:USER_SGPR: 2
; COMPUTE_PGM_RSRC2:TRAP_HANDLER: 0
; COMPUTE_PGM_RSRC2:TGID_X_EN: 1
; COMPUTE_PGM_RSRC2:TGID_Y_EN: 0
; COMPUTE_PGM_RSRC2:TGID_Z_EN: 0
; COMPUTE_PGM_RSRC2:TIDIG_COMP_CNT: 0
; COMPUTE_PGM_RSRC3_GFX90A:ACCUM_OFFSET: 0
; COMPUTE_PGM_RSRC3_GFX90A:TG_SPLIT: 0
	.section	.text._ZN7rocprim17ROCPRIM_400000_NS6detail17trampoline_kernelINS0_14default_configENS1_35radix_sort_onesweep_config_selectorIjjEEZNS1_34radix_sort_onesweep_global_offsetsIS3_Lb0EN6thrust23THRUST_200600_302600_NS6detail15normal_iteratorINS8_10device_ptrIjEEEESD_jNS0_19identity_decomposerEEE10hipError_tT1_T2_PT3_SI_jT4_jjP12ihipStream_tbEUlT_E0_NS1_11comp_targetILNS1_3genE4ELNS1_11target_archE910ELNS1_3gpuE8ELNS1_3repE0EEENS1_52radix_sort_onesweep_histogram_config_static_selectorELNS0_4arch9wavefront6targetE1EEEvSG_,"axG",@progbits,_ZN7rocprim17ROCPRIM_400000_NS6detail17trampoline_kernelINS0_14default_configENS1_35radix_sort_onesweep_config_selectorIjjEEZNS1_34radix_sort_onesweep_global_offsetsIS3_Lb0EN6thrust23THRUST_200600_302600_NS6detail15normal_iteratorINS8_10device_ptrIjEEEESD_jNS0_19identity_decomposerEEE10hipError_tT1_T2_PT3_SI_jT4_jjP12ihipStream_tbEUlT_E0_NS1_11comp_targetILNS1_3genE4ELNS1_11target_archE910ELNS1_3gpuE8ELNS1_3repE0EEENS1_52radix_sort_onesweep_histogram_config_static_selectorELNS0_4arch9wavefront6targetE1EEEvSG_,comdat
	.protected	_ZN7rocprim17ROCPRIM_400000_NS6detail17trampoline_kernelINS0_14default_configENS1_35radix_sort_onesweep_config_selectorIjjEEZNS1_34radix_sort_onesweep_global_offsetsIS3_Lb0EN6thrust23THRUST_200600_302600_NS6detail15normal_iteratorINS8_10device_ptrIjEEEESD_jNS0_19identity_decomposerEEE10hipError_tT1_T2_PT3_SI_jT4_jjP12ihipStream_tbEUlT_E0_NS1_11comp_targetILNS1_3genE4ELNS1_11target_archE910ELNS1_3gpuE8ELNS1_3repE0EEENS1_52radix_sort_onesweep_histogram_config_static_selectorELNS0_4arch9wavefront6targetE1EEEvSG_ ; -- Begin function _ZN7rocprim17ROCPRIM_400000_NS6detail17trampoline_kernelINS0_14default_configENS1_35radix_sort_onesweep_config_selectorIjjEEZNS1_34radix_sort_onesweep_global_offsetsIS3_Lb0EN6thrust23THRUST_200600_302600_NS6detail15normal_iteratorINS8_10device_ptrIjEEEESD_jNS0_19identity_decomposerEEE10hipError_tT1_T2_PT3_SI_jT4_jjP12ihipStream_tbEUlT_E0_NS1_11comp_targetILNS1_3genE4ELNS1_11target_archE910ELNS1_3gpuE8ELNS1_3repE0EEENS1_52radix_sort_onesweep_histogram_config_static_selectorELNS0_4arch9wavefront6targetE1EEEvSG_
	.globl	_ZN7rocprim17ROCPRIM_400000_NS6detail17trampoline_kernelINS0_14default_configENS1_35radix_sort_onesweep_config_selectorIjjEEZNS1_34radix_sort_onesweep_global_offsetsIS3_Lb0EN6thrust23THRUST_200600_302600_NS6detail15normal_iteratorINS8_10device_ptrIjEEEESD_jNS0_19identity_decomposerEEE10hipError_tT1_T2_PT3_SI_jT4_jjP12ihipStream_tbEUlT_E0_NS1_11comp_targetILNS1_3genE4ELNS1_11target_archE910ELNS1_3gpuE8ELNS1_3repE0EEENS1_52radix_sort_onesweep_histogram_config_static_selectorELNS0_4arch9wavefront6targetE1EEEvSG_
	.p2align	8
	.type	_ZN7rocprim17ROCPRIM_400000_NS6detail17trampoline_kernelINS0_14default_configENS1_35radix_sort_onesweep_config_selectorIjjEEZNS1_34radix_sort_onesweep_global_offsetsIS3_Lb0EN6thrust23THRUST_200600_302600_NS6detail15normal_iteratorINS8_10device_ptrIjEEEESD_jNS0_19identity_decomposerEEE10hipError_tT1_T2_PT3_SI_jT4_jjP12ihipStream_tbEUlT_E0_NS1_11comp_targetILNS1_3genE4ELNS1_11target_archE910ELNS1_3gpuE8ELNS1_3repE0EEENS1_52radix_sort_onesweep_histogram_config_static_selectorELNS0_4arch9wavefront6targetE1EEEvSG_,@function
_ZN7rocprim17ROCPRIM_400000_NS6detail17trampoline_kernelINS0_14default_configENS1_35radix_sort_onesweep_config_selectorIjjEEZNS1_34radix_sort_onesweep_global_offsetsIS3_Lb0EN6thrust23THRUST_200600_302600_NS6detail15normal_iteratorINS8_10device_ptrIjEEEESD_jNS0_19identity_decomposerEEE10hipError_tT1_T2_PT3_SI_jT4_jjP12ihipStream_tbEUlT_E0_NS1_11comp_targetILNS1_3genE4ELNS1_11target_archE910ELNS1_3gpuE8ELNS1_3repE0EEENS1_52radix_sort_onesweep_histogram_config_static_selectorELNS0_4arch9wavefront6targetE1EEEvSG_: ; @_ZN7rocprim17ROCPRIM_400000_NS6detail17trampoline_kernelINS0_14default_configENS1_35radix_sort_onesweep_config_selectorIjjEEZNS1_34radix_sort_onesweep_global_offsetsIS3_Lb0EN6thrust23THRUST_200600_302600_NS6detail15normal_iteratorINS8_10device_ptrIjEEEESD_jNS0_19identity_decomposerEEE10hipError_tT1_T2_PT3_SI_jT4_jjP12ihipStream_tbEUlT_E0_NS1_11comp_targetILNS1_3genE4ELNS1_11target_archE910ELNS1_3gpuE8ELNS1_3repE0EEENS1_52radix_sort_onesweep_histogram_config_static_selectorELNS0_4arch9wavefront6targetE1EEEvSG_
; %bb.0:
	.section	.rodata,"a",@progbits
	.p2align	6, 0x0
	.amdhsa_kernel _ZN7rocprim17ROCPRIM_400000_NS6detail17trampoline_kernelINS0_14default_configENS1_35radix_sort_onesweep_config_selectorIjjEEZNS1_34radix_sort_onesweep_global_offsetsIS3_Lb0EN6thrust23THRUST_200600_302600_NS6detail15normal_iteratorINS8_10device_ptrIjEEEESD_jNS0_19identity_decomposerEEE10hipError_tT1_T2_PT3_SI_jT4_jjP12ihipStream_tbEUlT_E0_NS1_11comp_targetILNS1_3genE4ELNS1_11target_archE910ELNS1_3gpuE8ELNS1_3repE0EEENS1_52radix_sort_onesweep_histogram_config_static_selectorELNS0_4arch9wavefront6targetE1EEEvSG_
		.amdhsa_group_segment_fixed_size 0
		.amdhsa_private_segment_fixed_size 0
		.amdhsa_kernarg_size 8
		.amdhsa_user_sgpr_count 2
		.amdhsa_user_sgpr_dispatch_ptr 0
		.amdhsa_user_sgpr_queue_ptr 0
		.amdhsa_user_sgpr_kernarg_segment_ptr 1
		.amdhsa_user_sgpr_dispatch_id 0
		.amdhsa_user_sgpr_kernarg_preload_length 0
		.amdhsa_user_sgpr_kernarg_preload_offset 0
		.amdhsa_user_sgpr_private_segment_size 0
		.amdhsa_uses_dynamic_stack 0
		.amdhsa_enable_private_segment 0
		.amdhsa_system_sgpr_workgroup_id_x 1
		.amdhsa_system_sgpr_workgroup_id_y 0
		.amdhsa_system_sgpr_workgroup_id_z 0
		.amdhsa_system_sgpr_workgroup_info 0
		.amdhsa_system_vgpr_workitem_id 0
		.amdhsa_next_free_vgpr 1
		.amdhsa_next_free_sgpr 0
		.amdhsa_accum_offset 4
		.amdhsa_reserve_vcc 0
		.amdhsa_float_round_mode_32 0
		.amdhsa_float_round_mode_16_64 0
		.amdhsa_float_denorm_mode_32 3
		.amdhsa_float_denorm_mode_16_64 3
		.amdhsa_dx10_clamp 1
		.amdhsa_ieee_mode 1
		.amdhsa_fp16_overflow 0
		.amdhsa_tg_split 0
		.amdhsa_exception_fp_ieee_invalid_op 0
		.amdhsa_exception_fp_denorm_src 0
		.amdhsa_exception_fp_ieee_div_zero 0
		.amdhsa_exception_fp_ieee_overflow 0
		.amdhsa_exception_fp_ieee_underflow 0
		.amdhsa_exception_fp_ieee_inexact 0
		.amdhsa_exception_int_div_zero 0
	.end_amdhsa_kernel
	.section	.text._ZN7rocprim17ROCPRIM_400000_NS6detail17trampoline_kernelINS0_14default_configENS1_35radix_sort_onesweep_config_selectorIjjEEZNS1_34radix_sort_onesweep_global_offsetsIS3_Lb0EN6thrust23THRUST_200600_302600_NS6detail15normal_iteratorINS8_10device_ptrIjEEEESD_jNS0_19identity_decomposerEEE10hipError_tT1_T2_PT3_SI_jT4_jjP12ihipStream_tbEUlT_E0_NS1_11comp_targetILNS1_3genE4ELNS1_11target_archE910ELNS1_3gpuE8ELNS1_3repE0EEENS1_52radix_sort_onesweep_histogram_config_static_selectorELNS0_4arch9wavefront6targetE1EEEvSG_,"axG",@progbits,_ZN7rocprim17ROCPRIM_400000_NS6detail17trampoline_kernelINS0_14default_configENS1_35radix_sort_onesweep_config_selectorIjjEEZNS1_34radix_sort_onesweep_global_offsetsIS3_Lb0EN6thrust23THRUST_200600_302600_NS6detail15normal_iteratorINS8_10device_ptrIjEEEESD_jNS0_19identity_decomposerEEE10hipError_tT1_T2_PT3_SI_jT4_jjP12ihipStream_tbEUlT_E0_NS1_11comp_targetILNS1_3genE4ELNS1_11target_archE910ELNS1_3gpuE8ELNS1_3repE0EEENS1_52radix_sort_onesweep_histogram_config_static_selectorELNS0_4arch9wavefront6targetE1EEEvSG_,comdat
.Lfunc_end737:
	.size	_ZN7rocprim17ROCPRIM_400000_NS6detail17trampoline_kernelINS0_14default_configENS1_35radix_sort_onesweep_config_selectorIjjEEZNS1_34radix_sort_onesweep_global_offsetsIS3_Lb0EN6thrust23THRUST_200600_302600_NS6detail15normal_iteratorINS8_10device_ptrIjEEEESD_jNS0_19identity_decomposerEEE10hipError_tT1_T2_PT3_SI_jT4_jjP12ihipStream_tbEUlT_E0_NS1_11comp_targetILNS1_3genE4ELNS1_11target_archE910ELNS1_3gpuE8ELNS1_3repE0EEENS1_52radix_sort_onesweep_histogram_config_static_selectorELNS0_4arch9wavefront6targetE1EEEvSG_, .Lfunc_end737-_ZN7rocprim17ROCPRIM_400000_NS6detail17trampoline_kernelINS0_14default_configENS1_35radix_sort_onesweep_config_selectorIjjEEZNS1_34radix_sort_onesweep_global_offsetsIS3_Lb0EN6thrust23THRUST_200600_302600_NS6detail15normal_iteratorINS8_10device_ptrIjEEEESD_jNS0_19identity_decomposerEEE10hipError_tT1_T2_PT3_SI_jT4_jjP12ihipStream_tbEUlT_E0_NS1_11comp_targetILNS1_3genE4ELNS1_11target_archE910ELNS1_3gpuE8ELNS1_3repE0EEENS1_52radix_sort_onesweep_histogram_config_static_selectorELNS0_4arch9wavefront6targetE1EEEvSG_
                                        ; -- End function
	.set _ZN7rocprim17ROCPRIM_400000_NS6detail17trampoline_kernelINS0_14default_configENS1_35radix_sort_onesweep_config_selectorIjjEEZNS1_34radix_sort_onesweep_global_offsetsIS3_Lb0EN6thrust23THRUST_200600_302600_NS6detail15normal_iteratorINS8_10device_ptrIjEEEESD_jNS0_19identity_decomposerEEE10hipError_tT1_T2_PT3_SI_jT4_jjP12ihipStream_tbEUlT_E0_NS1_11comp_targetILNS1_3genE4ELNS1_11target_archE910ELNS1_3gpuE8ELNS1_3repE0EEENS1_52radix_sort_onesweep_histogram_config_static_selectorELNS0_4arch9wavefront6targetE1EEEvSG_.num_vgpr, 0
	.set _ZN7rocprim17ROCPRIM_400000_NS6detail17trampoline_kernelINS0_14default_configENS1_35radix_sort_onesweep_config_selectorIjjEEZNS1_34radix_sort_onesweep_global_offsetsIS3_Lb0EN6thrust23THRUST_200600_302600_NS6detail15normal_iteratorINS8_10device_ptrIjEEEESD_jNS0_19identity_decomposerEEE10hipError_tT1_T2_PT3_SI_jT4_jjP12ihipStream_tbEUlT_E0_NS1_11comp_targetILNS1_3genE4ELNS1_11target_archE910ELNS1_3gpuE8ELNS1_3repE0EEENS1_52radix_sort_onesweep_histogram_config_static_selectorELNS0_4arch9wavefront6targetE1EEEvSG_.num_agpr, 0
	.set _ZN7rocprim17ROCPRIM_400000_NS6detail17trampoline_kernelINS0_14default_configENS1_35radix_sort_onesweep_config_selectorIjjEEZNS1_34radix_sort_onesweep_global_offsetsIS3_Lb0EN6thrust23THRUST_200600_302600_NS6detail15normal_iteratorINS8_10device_ptrIjEEEESD_jNS0_19identity_decomposerEEE10hipError_tT1_T2_PT3_SI_jT4_jjP12ihipStream_tbEUlT_E0_NS1_11comp_targetILNS1_3genE4ELNS1_11target_archE910ELNS1_3gpuE8ELNS1_3repE0EEENS1_52radix_sort_onesweep_histogram_config_static_selectorELNS0_4arch9wavefront6targetE1EEEvSG_.numbered_sgpr, 0
	.set _ZN7rocprim17ROCPRIM_400000_NS6detail17trampoline_kernelINS0_14default_configENS1_35radix_sort_onesweep_config_selectorIjjEEZNS1_34radix_sort_onesweep_global_offsetsIS3_Lb0EN6thrust23THRUST_200600_302600_NS6detail15normal_iteratorINS8_10device_ptrIjEEEESD_jNS0_19identity_decomposerEEE10hipError_tT1_T2_PT3_SI_jT4_jjP12ihipStream_tbEUlT_E0_NS1_11comp_targetILNS1_3genE4ELNS1_11target_archE910ELNS1_3gpuE8ELNS1_3repE0EEENS1_52radix_sort_onesweep_histogram_config_static_selectorELNS0_4arch9wavefront6targetE1EEEvSG_.num_named_barrier, 0
	.set _ZN7rocprim17ROCPRIM_400000_NS6detail17trampoline_kernelINS0_14default_configENS1_35radix_sort_onesweep_config_selectorIjjEEZNS1_34radix_sort_onesweep_global_offsetsIS3_Lb0EN6thrust23THRUST_200600_302600_NS6detail15normal_iteratorINS8_10device_ptrIjEEEESD_jNS0_19identity_decomposerEEE10hipError_tT1_T2_PT3_SI_jT4_jjP12ihipStream_tbEUlT_E0_NS1_11comp_targetILNS1_3genE4ELNS1_11target_archE910ELNS1_3gpuE8ELNS1_3repE0EEENS1_52radix_sort_onesweep_histogram_config_static_selectorELNS0_4arch9wavefront6targetE1EEEvSG_.private_seg_size, 0
	.set _ZN7rocprim17ROCPRIM_400000_NS6detail17trampoline_kernelINS0_14default_configENS1_35radix_sort_onesweep_config_selectorIjjEEZNS1_34radix_sort_onesweep_global_offsetsIS3_Lb0EN6thrust23THRUST_200600_302600_NS6detail15normal_iteratorINS8_10device_ptrIjEEEESD_jNS0_19identity_decomposerEEE10hipError_tT1_T2_PT3_SI_jT4_jjP12ihipStream_tbEUlT_E0_NS1_11comp_targetILNS1_3genE4ELNS1_11target_archE910ELNS1_3gpuE8ELNS1_3repE0EEENS1_52radix_sort_onesweep_histogram_config_static_selectorELNS0_4arch9wavefront6targetE1EEEvSG_.uses_vcc, 0
	.set _ZN7rocprim17ROCPRIM_400000_NS6detail17trampoline_kernelINS0_14default_configENS1_35radix_sort_onesweep_config_selectorIjjEEZNS1_34radix_sort_onesweep_global_offsetsIS3_Lb0EN6thrust23THRUST_200600_302600_NS6detail15normal_iteratorINS8_10device_ptrIjEEEESD_jNS0_19identity_decomposerEEE10hipError_tT1_T2_PT3_SI_jT4_jjP12ihipStream_tbEUlT_E0_NS1_11comp_targetILNS1_3genE4ELNS1_11target_archE910ELNS1_3gpuE8ELNS1_3repE0EEENS1_52radix_sort_onesweep_histogram_config_static_selectorELNS0_4arch9wavefront6targetE1EEEvSG_.uses_flat_scratch, 0
	.set _ZN7rocprim17ROCPRIM_400000_NS6detail17trampoline_kernelINS0_14default_configENS1_35radix_sort_onesweep_config_selectorIjjEEZNS1_34radix_sort_onesweep_global_offsetsIS3_Lb0EN6thrust23THRUST_200600_302600_NS6detail15normal_iteratorINS8_10device_ptrIjEEEESD_jNS0_19identity_decomposerEEE10hipError_tT1_T2_PT3_SI_jT4_jjP12ihipStream_tbEUlT_E0_NS1_11comp_targetILNS1_3genE4ELNS1_11target_archE910ELNS1_3gpuE8ELNS1_3repE0EEENS1_52radix_sort_onesweep_histogram_config_static_selectorELNS0_4arch9wavefront6targetE1EEEvSG_.has_dyn_sized_stack, 0
	.set _ZN7rocprim17ROCPRIM_400000_NS6detail17trampoline_kernelINS0_14default_configENS1_35radix_sort_onesweep_config_selectorIjjEEZNS1_34radix_sort_onesweep_global_offsetsIS3_Lb0EN6thrust23THRUST_200600_302600_NS6detail15normal_iteratorINS8_10device_ptrIjEEEESD_jNS0_19identity_decomposerEEE10hipError_tT1_T2_PT3_SI_jT4_jjP12ihipStream_tbEUlT_E0_NS1_11comp_targetILNS1_3genE4ELNS1_11target_archE910ELNS1_3gpuE8ELNS1_3repE0EEENS1_52radix_sort_onesweep_histogram_config_static_selectorELNS0_4arch9wavefront6targetE1EEEvSG_.has_recursion, 0
	.set _ZN7rocprim17ROCPRIM_400000_NS6detail17trampoline_kernelINS0_14default_configENS1_35radix_sort_onesweep_config_selectorIjjEEZNS1_34radix_sort_onesweep_global_offsetsIS3_Lb0EN6thrust23THRUST_200600_302600_NS6detail15normal_iteratorINS8_10device_ptrIjEEEESD_jNS0_19identity_decomposerEEE10hipError_tT1_T2_PT3_SI_jT4_jjP12ihipStream_tbEUlT_E0_NS1_11comp_targetILNS1_3genE4ELNS1_11target_archE910ELNS1_3gpuE8ELNS1_3repE0EEENS1_52radix_sort_onesweep_histogram_config_static_selectorELNS0_4arch9wavefront6targetE1EEEvSG_.has_indirect_call, 0
	.section	.AMDGPU.csdata,"",@progbits
; Kernel info:
; codeLenInByte = 0
; TotalNumSgprs: 6
; NumVgprs: 0
; NumAgprs: 0
; TotalNumVgprs: 0
; ScratchSize: 0
; MemoryBound: 0
; FloatMode: 240
; IeeeMode: 1
; LDSByteSize: 0 bytes/workgroup (compile time only)
; SGPRBlocks: 0
; VGPRBlocks: 0
; NumSGPRsForWavesPerEU: 6
; NumVGPRsForWavesPerEU: 1
; AccumOffset: 4
; Occupancy: 8
; WaveLimiterHint : 0
; COMPUTE_PGM_RSRC2:SCRATCH_EN: 0
; COMPUTE_PGM_RSRC2:USER_SGPR: 2
; COMPUTE_PGM_RSRC2:TRAP_HANDLER: 0
; COMPUTE_PGM_RSRC2:TGID_X_EN: 1
; COMPUTE_PGM_RSRC2:TGID_Y_EN: 0
; COMPUTE_PGM_RSRC2:TGID_Z_EN: 0
; COMPUTE_PGM_RSRC2:TIDIG_COMP_CNT: 0
; COMPUTE_PGM_RSRC3_GFX90A:ACCUM_OFFSET: 0
; COMPUTE_PGM_RSRC3_GFX90A:TG_SPLIT: 0
	.section	.text._ZN7rocprim17ROCPRIM_400000_NS6detail17trampoline_kernelINS0_14default_configENS1_35radix_sort_onesweep_config_selectorIjjEEZNS1_34radix_sort_onesweep_global_offsetsIS3_Lb0EN6thrust23THRUST_200600_302600_NS6detail15normal_iteratorINS8_10device_ptrIjEEEESD_jNS0_19identity_decomposerEEE10hipError_tT1_T2_PT3_SI_jT4_jjP12ihipStream_tbEUlT_E0_NS1_11comp_targetILNS1_3genE3ELNS1_11target_archE908ELNS1_3gpuE7ELNS1_3repE0EEENS1_52radix_sort_onesweep_histogram_config_static_selectorELNS0_4arch9wavefront6targetE1EEEvSG_,"axG",@progbits,_ZN7rocprim17ROCPRIM_400000_NS6detail17trampoline_kernelINS0_14default_configENS1_35radix_sort_onesweep_config_selectorIjjEEZNS1_34radix_sort_onesweep_global_offsetsIS3_Lb0EN6thrust23THRUST_200600_302600_NS6detail15normal_iteratorINS8_10device_ptrIjEEEESD_jNS0_19identity_decomposerEEE10hipError_tT1_T2_PT3_SI_jT4_jjP12ihipStream_tbEUlT_E0_NS1_11comp_targetILNS1_3genE3ELNS1_11target_archE908ELNS1_3gpuE7ELNS1_3repE0EEENS1_52radix_sort_onesweep_histogram_config_static_selectorELNS0_4arch9wavefront6targetE1EEEvSG_,comdat
	.protected	_ZN7rocprim17ROCPRIM_400000_NS6detail17trampoline_kernelINS0_14default_configENS1_35radix_sort_onesweep_config_selectorIjjEEZNS1_34radix_sort_onesweep_global_offsetsIS3_Lb0EN6thrust23THRUST_200600_302600_NS6detail15normal_iteratorINS8_10device_ptrIjEEEESD_jNS0_19identity_decomposerEEE10hipError_tT1_T2_PT3_SI_jT4_jjP12ihipStream_tbEUlT_E0_NS1_11comp_targetILNS1_3genE3ELNS1_11target_archE908ELNS1_3gpuE7ELNS1_3repE0EEENS1_52radix_sort_onesweep_histogram_config_static_selectorELNS0_4arch9wavefront6targetE1EEEvSG_ ; -- Begin function _ZN7rocprim17ROCPRIM_400000_NS6detail17trampoline_kernelINS0_14default_configENS1_35radix_sort_onesweep_config_selectorIjjEEZNS1_34radix_sort_onesweep_global_offsetsIS3_Lb0EN6thrust23THRUST_200600_302600_NS6detail15normal_iteratorINS8_10device_ptrIjEEEESD_jNS0_19identity_decomposerEEE10hipError_tT1_T2_PT3_SI_jT4_jjP12ihipStream_tbEUlT_E0_NS1_11comp_targetILNS1_3genE3ELNS1_11target_archE908ELNS1_3gpuE7ELNS1_3repE0EEENS1_52radix_sort_onesweep_histogram_config_static_selectorELNS0_4arch9wavefront6targetE1EEEvSG_
	.globl	_ZN7rocprim17ROCPRIM_400000_NS6detail17trampoline_kernelINS0_14default_configENS1_35radix_sort_onesweep_config_selectorIjjEEZNS1_34radix_sort_onesweep_global_offsetsIS3_Lb0EN6thrust23THRUST_200600_302600_NS6detail15normal_iteratorINS8_10device_ptrIjEEEESD_jNS0_19identity_decomposerEEE10hipError_tT1_T2_PT3_SI_jT4_jjP12ihipStream_tbEUlT_E0_NS1_11comp_targetILNS1_3genE3ELNS1_11target_archE908ELNS1_3gpuE7ELNS1_3repE0EEENS1_52radix_sort_onesweep_histogram_config_static_selectorELNS0_4arch9wavefront6targetE1EEEvSG_
	.p2align	8
	.type	_ZN7rocprim17ROCPRIM_400000_NS6detail17trampoline_kernelINS0_14default_configENS1_35radix_sort_onesweep_config_selectorIjjEEZNS1_34radix_sort_onesweep_global_offsetsIS3_Lb0EN6thrust23THRUST_200600_302600_NS6detail15normal_iteratorINS8_10device_ptrIjEEEESD_jNS0_19identity_decomposerEEE10hipError_tT1_T2_PT3_SI_jT4_jjP12ihipStream_tbEUlT_E0_NS1_11comp_targetILNS1_3genE3ELNS1_11target_archE908ELNS1_3gpuE7ELNS1_3repE0EEENS1_52radix_sort_onesweep_histogram_config_static_selectorELNS0_4arch9wavefront6targetE1EEEvSG_,@function
_ZN7rocprim17ROCPRIM_400000_NS6detail17trampoline_kernelINS0_14default_configENS1_35radix_sort_onesweep_config_selectorIjjEEZNS1_34radix_sort_onesweep_global_offsetsIS3_Lb0EN6thrust23THRUST_200600_302600_NS6detail15normal_iteratorINS8_10device_ptrIjEEEESD_jNS0_19identity_decomposerEEE10hipError_tT1_T2_PT3_SI_jT4_jjP12ihipStream_tbEUlT_E0_NS1_11comp_targetILNS1_3genE3ELNS1_11target_archE908ELNS1_3gpuE7ELNS1_3repE0EEENS1_52radix_sort_onesweep_histogram_config_static_selectorELNS0_4arch9wavefront6targetE1EEEvSG_: ; @_ZN7rocprim17ROCPRIM_400000_NS6detail17trampoline_kernelINS0_14default_configENS1_35radix_sort_onesweep_config_selectorIjjEEZNS1_34radix_sort_onesweep_global_offsetsIS3_Lb0EN6thrust23THRUST_200600_302600_NS6detail15normal_iteratorINS8_10device_ptrIjEEEESD_jNS0_19identity_decomposerEEE10hipError_tT1_T2_PT3_SI_jT4_jjP12ihipStream_tbEUlT_E0_NS1_11comp_targetILNS1_3genE3ELNS1_11target_archE908ELNS1_3gpuE7ELNS1_3repE0EEENS1_52radix_sort_onesweep_histogram_config_static_selectorELNS0_4arch9wavefront6targetE1EEEvSG_
; %bb.0:
	.section	.rodata,"a",@progbits
	.p2align	6, 0x0
	.amdhsa_kernel _ZN7rocprim17ROCPRIM_400000_NS6detail17trampoline_kernelINS0_14default_configENS1_35radix_sort_onesweep_config_selectorIjjEEZNS1_34radix_sort_onesweep_global_offsetsIS3_Lb0EN6thrust23THRUST_200600_302600_NS6detail15normal_iteratorINS8_10device_ptrIjEEEESD_jNS0_19identity_decomposerEEE10hipError_tT1_T2_PT3_SI_jT4_jjP12ihipStream_tbEUlT_E0_NS1_11comp_targetILNS1_3genE3ELNS1_11target_archE908ELNS1_3gpuE7ELNS1_3repE0EEENS1_52radix_sort_onesweep_histogram_config_static_selectorELNS0_4arch9wavefront6targetE1EEEvSG_
		.amdhsa_group_segment_fixed_size 0
		.amdhsa_private_segment_fixed_size 0
		.amdhsa_kernarg_size 8
		.amdhsa_user_sgpr_count 2
		.amdhsa_user_sgpr_dispatch_ptr 0
		.amdhsa_user_sgpr_queue_ptr 0
		.amdhsa_user_sgpr_kernarg_segment_ptr 1
		.amdhsa_user_sgpr_dispatch_id 0
		.amdhsa_user_sgpr_kernarg_preload_length 0
		.amdhsa_user_sgpr_kernarg_preload_offset 0
		.amdhsa_user_sgpr_private_segment_size 0
		.amdhsa_uses_dynamic_stack 0
		.amdhsa_enable_private_segment 0
		.amdhsa_system_sgpr_workgroup_id_x 1
		.amdhsa_system_sgpr_workgroup_id_y 0
		.amdhsa_system_sgpr_workgroup_id_z 0
		.amdhsa_system_sgpr_workgroup_info 0
		.amdhsa_system_vgpr_workitem_id 0
		.amdhsa_next_free_vgpr 1
		.amdhsa_next_free_sgpr 0
		.amdhsa_accum_offset 4
		.amdhsa_reserve_vcc 0
		.amdhsa_float_round_mode_32 0
		.amdhsa_float_round_mode_16_64 0
		.amdhsa_float_denorm_mode_32 3
		.amdhsa_float_denorm_mode_16_64 3
		.amdhsa_dx10_clamp 1
		.amdhsa_ieee_mode 1
		.amdhsa_fp16_overflow 0
		.amdhsa_tg_split 0
		.amdhsa_exception_fp_ieee_invalid_op 0
		.amdhsa_exception_fp_denorm_src 0
		.amdhsa_exception_fp_ieee_div_zero 0
		.amdhsa_exception_fp_ieee_overflow 0
		.amdhsa_exception_fp_ieee_underflow 0
		.amdhsa_exception_fp_ieee_inexact 0
		.amdhsa_exception_int_div_zero 0
	.end_amdhsa_kernel
	.section	.text._ZN7rocprim17ROCPRIM_400000_NS6detail17trampoline_kernelINS0_14default_configENS1_35radix_sort_onesweep_config_selectorIjjEEZNS1_34radix_sort_onesweep_global_offsetsIS3_Lb0EN6thrust23THRUST_200600_302600_NS6detail15normal_iteratorINS8_10device_ptrIjEEEESD_jNS0_19identity_decomposerEEE10hipError_tT1_T2_PT3_SI_jT4_jjP12ihipStream_tbEUlT_E0_NS1_11comp_targetILNS1_3genE3ELNS1_11target_archE908ELNS1_3gpuE7ELNS1_3repE0EEENS1_52radix_sort_onesweep_histogram_config_static_selectorELNS0_4arch9wavefront6targetE1EEEvSG_,"axG",@progbits,_ZN7rocprim17ROCPRIM_400000_NS6detail17trampoline_kernelINS0_14default_configENS1_35radix_sort_onesweep_config_selectorIjjEEZNS1_34radix_sort_onesweep_global_offsetsIS3_Lb0EN6thrust23THRUST_200600_302600_NS6detail15normal_iteratorINS8_10device_ptrIjEEEESD_jNS0_19identity_decomposerEEE10hipError_tT1_T2_PT3_SI_jT4_jjP12ihipStream_tbEUlT_E0_NS1_11comp_targetILNS1_3genE3ELNS1_11target_archE908ELNS1_3gpuE7ELNS1_3repE0EEENS1_52radix_sort_onesweep_histogram_config_static_selectorELNS0_4arch9wavefront6targetE1EEEvSG_,comdat
.Lfunc_end738:
	.size	_ZN7rocprim17ROCPRIM_400000_NS6detail17trampoline_kernelINS0_14default_configENS1_35radix_sort_onesweep_config_selectorIjjEEZNS1_34radix_sort_onesweep_global_offsetsIS3_Lb0EN6thrust23THRUST_200600_302600_NS6detail15normal_iteratorINS8_10device_ptrIjEEEESD_jNS0_19identity_decomposerEEE10hipError_tT1_T2_PT3_SI_jT4_jjP12ihipStream_tbEUlT_E0_NS1_11comp_targetILNS1_3genE3ELNS1_11target_archE908ELNS1_3gpuE7ELNS1_3repE0EEENS1_52radix_sort_onesweep_histogram_config_static_selectorELNS0_4arch9wavefront6targetE1EEEvSG_, .Lfunc_end738-_ZN7rocprim17ROCPRIM_400000_NS6detail17trampoline_kernelINS0_14default_configENS1_35radix_sort_onesweep_config_selectorIjjEEZNS1_34radix_sort_onesweep_global_offsetsIS3_Lb0EN6thrust23THRUST_200600_302600_NS6detail15normal_iteratorINS8_10device_ptrIjEEEESD_jNS0_19identity_decomposerEEE10hipError_tT1_T2_PT3_SI_jT4_jjP12ihipStream_tbEUlT_E0_NS1_11comp_targetILNS1_3genE3ELNS1_11target_archE908ELNS1_3gpuE7ELNS1_3repE0EEENS1_52radix_sort_onesweep_histogram_config_static_selectorELNS0_4arch9wavefront6targetE1EEEvSG_
                                        ; -- End function
	.set _ZN7rocprim17ROCPRIM_400000_NS6detail17trampoline_kernelINS0_14default_configENS1_35radix_sort_onesweep_config_selectorIjjEEZNS1_34radix_sort_onesweep_global_offsetsIS3_Lb0EN6thrust23THRUST_200600_302600_NS6detail15normal_iteratorINS8_10device_ptrIjEEEESD_jNS0_19identity_decomposerEEE10hipError_tT1_T2_PT3_SI_jT4_jjP12ihipStream_tbEUlT_E0_NS1_11comp_targetILNS1_3genE3ELNS1_11target_archE908ELNS1_3gpuE7ELNS1_3repE0EEENS1_52radix_sort_onesweep_histogram_config_static_selectorELNS0_4arch9wavefront6targetE1EEEvSG_.num_vgpr, 0
	.set _ZN7rocprim17ROCPRIM_400000_NS6detail17trampoline_kernelINS0_14default_configENS1_35radix_sort_onesweep_config_selectorIjjEEZNS1_34radix_sort_onesweep_global_offsetsIS3_Lb0EN6thrust23THRUST_200600_302600_NS6detail15normal_iteratorINS8_10device_ptrIjEEEESD_jNS0_19identity_decomposerEEE10hipError_tT1_T2_PT3_SI_jT4_jjP12ihipStream_tbEUlT_E0_NS1_11comp_targetILNS1_3genE3ELNS1_11target_archE908ELNS1_3gpuE7ELNS1_3repE0EEENS1_52radix_sort_onesweep_histogram_config_static_selectorELNS0_4arch9wavefront6targetE1EEEvSG_.num_agpr, 0
	.set _ZN7rocprim17ROCPRIM_400000_NS6detail17trampoline_kernelINS0_14default_configENS1_35radix_sort_onesweep_config_selectorIjjEEZNS1_34radix_sort_onesweep_global_offsetsIS3_Lb0EN6thrust23THRUST_200600_302600_NS6detail15normal_iteratorINS8_10device_ptrIjEEEESD_jNS0_19identity_decomposerEEE10hipError_tT1_T2_PT3_SI_jT4_jjP12ihipStream_tbEUlT_E0_NS1_11comp_targetILNS1_3genE3ELNS1_11target_archE908ELNS1_3gpuE7ELNS1_3repE0EEENS1_52radix_sort_onesweep_histogram_config_static_selectorELNS0_4arch9wavefront6targetE1EEEvSG_.numbered_sgpr, 0
	.set _ZN7rocprim17ROCPRIM_400000_NS6detail17trampoline_kernelINS0_14default_configENS1_35radix_sort_onesweep_config_selectorIjjEEZNS1_34radix_sort_onesweep_global_offsetsIS3_Lb0EN6thrust23THRUST_200600_302600_NS6detail15normal_iteratorINS8_10device_ptrIjEEEESD_jNS0_19identity_decomposerEEE10hipError_tT1_T2_PT3_SI_jT4_jjP12ihipStream_tbEUlT_E0_NS1_11comp_targetILNS1_3genE3ELNS1_11target_archE908ELNS1_3gpuE7ELNS1_3repE0EEENS1_52radix_sort_onesweep_histogram_config_static_selectorELNS0_4arch9wavefront6targetE1EEEvSG_.num_named_barrier, 0
	.set _ZN7rocprim17ROCPRIM_400000_NS6detail17trampoline_kernelINS0_14default_configENS1_35radix_sort_onesweep_config_selectorIjjEEZNS1_34radix_sort_onesweep_global_offsetsIS3_Lb0EN6thrust23THRUST_200600_302600_NS6detail15normal_iteratorINS8_10device_ptrIjEEEESD_jNS0_19identity_decomposerEEE10hipError_tT1_T2_PT3_SI_jT4_jjP12ihipStream_tbEUlT_E0_NS1_11comp_targetILNS1_3genE3ELNS1_11target_archE908ELNS1_3gpuE7ELNS1_3repE0EEENS1_52radix_sort_onesweep_histogram_config_static_selectorELNS0_4arch9wavefront6targetE1EEEvSG_.private_seg_size, 0
	.set _ZN7rocprim17ROCPRIM_400000_NS6detail17trampoline_kernelINS0_14default_configENS1_35radix_sort_onesweep_config_selectorIjjEEZNS1_34radix_sort_onesweep_global_offsetsIS3_Lb0EN6thrust23THRUST_200600_302600_NS6detail15normal_iteratorINS8_10device_ptrIjEEEESD_jNS0_19identity_decomposerEEE10hipError_tT1_T2_PT3_SI_jT4_jjP12ihipStream_tbEUlT_E0_NS1_11comp_targetILNS1_3genE3ELNS1_11target_archE908ELNS1_3gpuE7ELNS1_3repE0EEENS1_52radix_sort_onesweep_histogram_config_static_selectorELNS0_4arch9wavefront6targetE1EEEvSG_.uses_vcc, 0
	.set _ZN7rocprim17ROCPRIM_400000_NS6detail17trampoline_kernelINS0_14default_configENS1_35radix_sort_onesweep_config_selectorIjjEEZNS1_34radix_sort_onesweep_global_offsetsIS3_Lb0EN6thrust23THRUST_200600_302600_NS6detail15normal_iteratorINS8_10device_ptrIjEEEESD_jNS0_19identity_decomposerEEE10hipError_tT1_T2_PT3_SI_jT4_jjP12ihipStream_tbEUlT_E0_NS1_11comp_targetILNS1_3genE3ELNS1_11target_archE908ELNS1_3gpuE7ELNS1_3repE0EEENS1_52radix_sort_onesweep_histogram_config_static_selectorELNS0_4arch9wavefront6targetE1EEEvSG_.uses_flat_scratch, 0
	.set _ZN7rocprim17ROCPRIM_400000_NS6detail17trampoline_kernelINS0_14default_configENS1_35radix_sort_onesweep_config_selectorIjjEEZNS1_34radix_sort_onesweep_global_offsetsIS3_Lb0EN6thrust23THRUST_200600_302600_NS6detail15normal_iteratorINS8_10device_ptrIjEEEESD_jNS0_19identity_decomposerEEE10hipError_tT1_T2_PT3_SI_jT4_jjP12ihipStream_tbEUlT_E0_NS1_11comp_targetILNS1_3genE3ELNS1_11target_archE908ELNS1_3gpuE7ELNS1_3repE0EEENS1_52radix_sort_onesweep_histogram_config_static_selectorELNS0_4arch9wavefront6targetE1EEEvSG_.has_dyn_sized_stack, 0
	.set _ZN7rocprim17ROCPRIM_400000_NS6detail17trampoline_kernelINS0_14default_configENS1_35radix_sort_onesweep_config_selectorIjjEEZNS1_34radix_sort_onesweep_global_offsetsIS3_Lb0EN6thrust23THRUST_200600_302600_NS6detail15normal_iteratorINS8_10device_ptrIjEEEESD_jNS0_19identity_decomposerEEE10hipError_tT1_T2_PT3_SI_jT4_jjP12ihipStream_tbEUlT_E0_NS1_11comp_targetILNS1_3genE3ELNS1_11target_archE908ELNS1_3gpuE7ELNS1_3repE0EEENS1_52radix_sort_onesweep_histogram_config_static_selectorELNS0_4arch9wavefront6targetE1EEEvSG_.has_recursion, 0
	.set _ZN7rocprim17ROCPRIM_400000_NS6detail17trampoline_kernelINS0_14default_configENS1_35radix_sort_onesweep_config_selectorIjjEEZNS1_34radix_sort_onesweep_global_offsetsIS3_Lb0EN6thrust23THRUST_200600_302600_NS6detail15normal_iteratorINS8_10device_ptrIjEEEESD_jNS0_19identity_decomposerEEE10hipError_tT1_T2_PT3_SI_jT4_jjP12ihipStream_tbEUlT_E0_NS1_11comp_targetILNS1_3genE3ELNS1_11target_archE908ELNS1_3gpuE7ELNS1_3repE0EEENS1_52radix_sort_onesweep_histogram_config_static_selectorELNS0_4arch9wavefront6targetE1EEEvSG_.has_indirect_call, 0
	.section	.AMDGPU.csdata,"",@progbits
; Kernel info:
; codeLenInByte = 0
; TotalNumSgprs: 6
; NumVgprs: 0
; NumAgprs: 0
; TotalNumVgprs: 0
; ScratchSize: 0
; MemoryBound: 0
; FloatMode: 240
; IeeeMode: 1
; LDSByteSize: 0 bytes/workgroup (compile time only)
; SGPRBlocks: 0
; VGPRBlocks: 0
; NumSGPRsForWavesPerEU: 6
; NumVGPRsForWavesPerEU: 1
; AccumOffset: 4
; Occupancy: 8
; WaveLimiterHint : 0
; COMPUTE_PGM_RSRC2:SCRATCH_EN: 0
; COMPUTE_PGM_RSRC2:USER_SGPR: 2
; COMPUTE_PGM_RSRC2:TRAP_HANDLER: 0
; COMPUTE_PGM_RSRC2:TGID_X_EN: 1
; COMPUTE_PGM_RSRC2:TGID_Y_EN: 0
; COMPUTE_PGM_RSRC2:TGID_Z_EN: 0
; COMPUTE_PGM_RSRC2:TIDIG_COMP_CNT: 0
; COMPUTE_PGM_RSRC3_GFX90A:ACCUM_OFFSET: 0
; COMPUTE_PGM_RSRC3_GFX90A:TG_SPLIT: 0
	.section	.text._ZN7rocprim17ROCPRIM_400000_NS6detail17trampoline_kernelINS0_14default_configENS1_35radix_sort_onesweep_config_selectorIjjEEZNS1_34radix_sort_onesweep_global_offsetsIS3_Lb0EN6thrust23THRUST_200600_302600_NS6detail15normal_iteratorINS8_10device_ptrIjEEEESD_jNS0_19identity_decomposerEEE10hipError_tT1_T2_PT3_SI_jT4_jjP12ihipStream_tbEUlT_E0_NS1_11comp_targetILNS1_3genE10ELNS1_11target_archE1201ELNS1_3gpuE5ELNS1_3repE0EEENS1_52radix_sort_onesweep_histogram_config_static_selectorELNS0_4arch9wavefront6targetE1EEEvSG_,"axG",@progbits,_ZN7rocprim17ROCPRIM_400000_NS6detail17trampoline_kernelINS0_14default_configENS1_35radix_sort_onesweep_config_selectorIjjEEZNS1_34radix_sort_onesweep_global_offsetsIS3_Lb0EN6thrust23THRUST_200600_302600_NS6detail15normal_iteratorINS8_10device_ptrIjEEEESD_jNS0_19identity_decomposerEEE10hipError_tT1_T2_PT3_SI_jT4_jjP12ihipStream_tbEUlT_E0_NS1_11comp_targetILNS1_3genE10ELNS1_11target_archE1201ELNS1_3gpuE5ELNS1_3repE0EEENS1_52radix_sort_onesweep_histogram_config_static_selectorELNS0_4arch9wavefront6targetE1EEEvSG_,comdat
	.protected	_ZN7rocprim17ROCPRIM_400000_NS6detail17trampoline_kernelINS0_14default_configENS1_35radix_sort_onesweep_config_selectorIjjEEZNS1_34radix_sort_onesweep_global_offsetsIS3_Lb0EN6thrust23THRUST_200600_302600_NS6detail15normal_iteratorINS8_10device_ptrIjEEEESD_jNS0_19identity_decomposerEEE10hipError_tT1_T2_PT3_SI_jT4_jjP12ihipStream_tbEUlT_E0_NS1_11comp_targetILNS1_3genE10ELNS1_11target_archE1201ELNS1_3gpuE5ELNS1_3repE0EEENS1_52radix_sort_onesweep_histogram_config_static_selectorELNS0_4arch9wavefront6targetE1EEEvSG_ ; -- Begin function _ZN7rocprim17ROCPRIM_400000_NS6detail17trampoline_kernelINS0_14default_configENS1_35radix_sort_onesweep_config_selectorIjjEEZNS1_34radix_sort_onesweep_global_offsetsIS3_Lb0EN6thrust23THRUST_200600_302600_NS6detail15normal_iteratorINS8_10device_ptrIjEEEESD_jNS0_19identity_decomposerEEE10hipError_tT1_T2_PT3_SI_jT4_jjP12ihipStream_tbEUlT_E0_NS1_11comp_targetILNS1_3genE10ELNS1_11target_archE1201ELNS1_3gpuE5ELNS1_3repE0EEENS1_52radix_sort_onesweep_histogram_config_static_selectorELNS0_4arch9wavefront6targetE1EEEvSG_
	.globl	_ZN7rocprim17ROCPRIM_400000_NS6detail17trampoline_kernelINS0_14default_configENS1_35radix_sort_onesweep_config_selectorIjjEEZNS1_34radix_sort_onesweep_global_offsetsIS3_Lb0EN6thrust23THRUST_200600_302600_NS6detail15normal_iteratorINS8_10device_ptrIjEEEESD_jNS0_19identity_decomposerEEE10hipError_tT1_T2_PT3_SI_jT4_jjP12ihipStream_tbEUlT_E0_NS1_11comp_targetILNS1_3genE10ELNS1_11target_archE1201ELNS1_3gpuE5ELNS1_3repE0EEENS1_52radix_sort_onesweep_histogram_config_static_selectorELNS0_4arch9wavefront6targetE1EEEvSG_
	.p2align	8
	.type	_ZN7rocprim17ROCPRIM_400000_NS6detail17trampoline_kernelINS0_14default_configENS1_35radix_sort_onesweep_config_selectorIjjEEZNS1_34radix_sort_onesweep_global_offsetsIS3_Lb0EN6thrust23THRUST_200600_302600_NS6detail15normal_iteratorINS8_10device_ptrIjEEEESD_jNS0_19identity_decomposerEEE10hipError_tT1_T2_PT3_SI_jT4_jjP12ihipStream_tbEUlT_E0_NS1_11comp_targetILNS1_3genE10ELNS1_11target_archE1201ELNS1_3gpuE5ELNS1_3repE0EEENS1_52radix_sort_onesweep_histogram_config_static_selectorELNS0_4arch9wavefront6targetE1EEEvSG_,@function
_ZN7rocprim17ROCPRIM_400000_NS6detail17trampoline_kernelINS0_14default_configENS1_35radix_sort_onesweep_config_selectorIjjEEZNS1_34radix_sort_onesweep_global_offsetsIS3_Lb0EN6thrust23THRUST_200600_302600_NS6detail15normal_iteratorINS8_10device_ptrIjEEEESD_jNS0_19identity_decomposerEEE10hipError_tT1_T2_PT3_SI_jT4_jjP12ihipStream_tbEUlT_E0_NS1_11comp_targetILNS1_3genE10ELNS1_11target_archE1201ELNS1_3gpuE5ELNS1_3repE0EEENS1_52radix_sort_onesweep_histogram_config_static_selectorELNS0_4arch9wavefront6targetE1EEEvSG_: ; @_ZN7rocprim17ROCPRIM_400000_NS6detail17trampoline_kernelINS0_14default_configENS1_35radix_sort_onesweep_config_selectorIjjEEZNS1_34radix_sort_onesweep_global_offsetsIS3_Lb0EN6thrust23THRUST_200600_302600_NS6detail15normal_iteratorINS8_10device_ptrIjEEEESD_jNS0_19identity_decomposerEEE10hipError_tT1_T2_PT3_SI_jT4_jjP12ihipStream_tbEUlT_E0_NS1_11comp_targetILNS1_3genE10ELNS1_11target_archE1201ELNS1_3gpuE5ELNS1_3repE0EEENS1_52radix_sort_onesweep_histogram_config_static_selectorELNS0_4arch9wavefront6targetE1EEEvSG_
; %bb.0:
	.section	.rodata,"a",@progbits
	.p2align	6, 0x0
	.amdhsa_kernel _ZN7rocprim17ROCPRIM_400000_NS6detail17trampoline_kernelINS0_14default_configENS1_35radix_sort_onesweep_config_selectorIjjEEZNS1_34radix_sort_onesweep_global_offsetsIS3_Lb0EN6thrust23THRUST_200600_302600_NS6detail15normal_iteratorINS8_10device_ptrIjEEEESD_jNS0_19identity_decomposerEEE10hipError_tT1_T2_PT3_SI_jT4_jjP12ihipStream_tbEUlT_E0_NS1_11comp_targetILNS1_3genE10ELNS1_11target_archE1201ELNS1_3gpuE5ELNS1_3repE0EEENS1_52radix_sort_onesweep_histogram_config_static_selectorELNS0_4arch9wavefront6targetE1EEEvSG_
		.amdhsa_group_segment_fixed_size 0
		.amdhsa_private_segment_fixed_size 0
		.amdhsa_kernarg_size 8
		.amdhsa_user_sgpr_count 2
		.amdhsa_user_sgpr_dispatch_ptr 0
		.amdhsa_user_sgpr_queue_ptr 0
		.amdhsa_user_sgpr_kernarg_segment_ptr 1
		.amdhsa_user_sgpr_dispatch_id 0
		.amdhsa_user_sgpr_kernarg_preload_length 0
		.amdhsa_user_sgpr_kernarg_preload_offset 0
		.amdhsa_user_sgpr_private_segment_size 0
		.amdhsa_uses_dynamic_stack 0
		.amdhsa_enable_private_segment 0
		.amdhsa_system_sgpr_workgroup_id_x 1
		.amdhsa_system_sgpr_workgroup_id_y 0
		.amdhsa_system_sgpr_workgroup_id_z 0
		.amdhsa_system_sgpr_workgroup_info 0
		.amdhsa_system_vgpr_workitem_id 0
		.amdhsa_next_free_vgpr 1
		.amdhsa_next_free_sgpr 0
		.amdhsa_accum_offset 4
		.amdhsa_reserve_vcc 0
		.amdhsa_float_round_mode_32 0
		.amdhsa_float_round_mode_16_64 0
		.amdhsa_float_denorm_mode_32 3
		.amdhsa_float_denorm_mode_16_64 3
		.amdhsa_dx10_clamp 1
		.amdhsa_ieee_mode 1
		.amdhsa_fp16_overflow 0
		.amdhsa_tg_split 0
		.amdhsa_exception_fp_ieee_invalid_op 0
		.amdhsa_exception_fp_denorm_src 0
		.amdhsa_exception_fp_ieee_div_zero 0
		.amdhsa_exception_fp_ieee_overflow 0
		.amdhsa_exception_fp_ieee_underflow 0
		.amdhsa_exception_fp_ieee_inexact 0
		.amdhsa_exception_int_div_zero 0
	.end_amdhsa_kernel
	.section	.text._ZN7rocprim17ROCPRIM_400000_NS6detail17trampoline_kernelINS0_14default_configENS1_35radix_sort_onesweep_config_selectorIjjEEZNS1_34radix_sort_onesweep_global_offsetsIS3_Lb0EN6thrust23THRUST_200600_302600_NS6detail15normal_iteratorINS8_10device_ptrIjEEEESD_jNS0_19identity_decomposerEEE10hipError_tT1_T2_PT3_SI_jT4_jjP12ihipStream_tbEUlT_E0_NS1_11comp_targetILNS1_3genE10ELNS1_11target_archE1201ELNS1_3gpuE5ELNS1_3repE0EEENS1_52radix_sort_onesweep_histogram_config_static_selectorELNS0_4arch9wavefront6targetE1EEEvSG_,"axG",@progbits,_ZN7rocprim17ROCPRIM_400000_NS6detail17trampoline_kernelINS0_14default_configENS1_35radix_sort_onesweep_config_selectorIjjEEZNS1_34radix_sort_onesweep_global_offsetsIS3_Lb0EN6thrust23THRUST_200600_302600_NS6detail15normal_iteratorINS8_10device_ptrIjEEEESD_jNS0_19identity_decomposerEEE10hipError_tT1_T2_PT3_SI_jT4_jjP12ihipStream_tbEUlT_E0_NS1_11comp_targetILNS1_3genE10ELNS1_11target_archE1201ELNS1_3gpuE5ELNS1_3repE0EEENS1_52radix_sort_onesweep_histogram_config_static_selectorELNS0_4arch9wavefront6targetE1EEEvSG_,comdat
.Lfunc_end739:
	.size	_ZN7rocprim17ROCPRIM_400000_NS6detail17trampoline_kernelINS0_14default_configENS1_35radix_sort_onesweep_config_selectorIjjEEZNS1_34radix_sort_onesweep_global_offsetsIS3_Lb0EN6thrust23THRUST_200600_302600_NS6detail15normal_iteratorINS8_10device_ptrIjEEEESD_jNS0_19identity_decomposerEEE10hipError_tT1_T2_PT3_SI_jT4_jjP12ihipStream_tbEUlT_E0_NS1_11comp_targetILNS1_3genE10ELNS1_11target_archE1201ELNS1_3gpuE5ELNS1_3repE0EEENS1_52radix_sort_onesweep_histogram_config_static_selectorELNS0_4arch9wavefront6targetE1EEEvSG_, .Lfunc_end739-_ZN7rocprim17ROCPRIM_400000_NS6detail17trampoline_kernelINS0_14default_configENS1_35radix_sort_onesweep_config_selectorIjjEEZNS1_34radix_sort_onesweep_global_offsetsIS3_Lb0EN6thrust23THRUST_200600_302600_NS6detail15normal_iteratorINS8_10device_ptrIjEEEESD_jNS0_19identity_decomposerEEE10hipError_tT1_T2_PT3_SI_jT4_jjP12ihipStream_tbEUlT_E0_NS1_11comp_targetILNS1_3genE10ELNS1_11target_archE1201ELNS1_3gpuE5ELNS1_3repE0EEENS1_52radix_sort_onesweep_histogram_config_static_selectorELNS0_4arch9wavefront6targetE1EEEvSG_
                                        ; -- End function
	.set _ZN7rocprim17ROCPRIM_400000_NS6detail17trampoline_kernelINS0_14default_configENS1_35radix_sort_onesweep_config_selectorIjjEEZNS1_34radix_sort_onesweep_global_offsetsIS3_Lb0EN6thrust23THRUST_200600_302600_NS6detail15normal_iteratorINS8_10device_ptrIjEEEESD_jNS0_19identity_decomposerEEE10hipError_tT1_T2_PT3_SI_jT4_jjP12ihipStream_tbEUlT_E0_NS1_11comp_targetILNS1_3genE10ELNS1_11target_archE1201ELNS1_3gpuE5ELNS1_3repE0EEENS1_52radix_sort_onesweep_histogram_config_static_selectorELNS0_4arch9wavefront6targetE1EEEvSG_.num_vgpr, 0
	.set _ZN7rocprim17ROCPRIM_400000_NS6detail17trampoline_kernelINS0_14default_configENS1_35radix_sort_onesweep_config_selectorIjjEEZNS1_34radix_sort_onesweep_global_offsetsIS3_Lb0EN6thrust23THRUST_200600_302600_NS6detail15normal_iteratorINS8_10device_ptrIjEEEESD_jNS0_19identity_decomposerEEE10hipError_tT1_T2_PT3_SI_jT4_jjP12ihipStream_tbEUlT_E0_NS1_11comp_targetILNS1_3genE10ELNS1_11target_archE1201ELNS1_3gpuE5ELNS1_3repE0EEENS1_52radix_sort_onesweep_histogram_config_static_selectorELNS0_4arch9wavefront6targetE1EEEvSG_.num_agpr, 0
	.set _ZN7rocprim17ROCPRIM_400000_NS6detail17trampoline_kernelINS0_14default_configENS1_35radix_sort_onesweep_config_selectorIjjEEZNS1_34radix_sort_onesweep_global_offsetsIS3_Lb0EN6thrust23THRUST_200600_302600_NS6detail15normal_iteratorINS8_10device_ptrIjEEEESD_jNS0_19identity_decomposerEEE10hipError_tT1_T2_PT3_SI_jT4_jjP12ihipStream_tbEUlT_E0_NS1_11comp_targetILNS1_3genE10ELNS1_11target_archE1201ELNS1_3gpuE5ELNS1_3repE0EEENS1_52radix_sort_onesweep_histogram_config_static_selectorELNS0_4arch9wavefront6targetE1EEEvSG_.numbered_sgpr, 0
	.set _ZN7rocprim17ROCPRIM_400000_NS6detail17trampoline_kernelINS0_14default_configENS1_35radix_sort_onesweep_config_selectorIjjEEZNS1_34radix_sort_onesweep_global_offsetsIS3_Lb0EN6thrust23THRUST_200600_302600_NS6detail15normal_iteratorINS8_10device_ptrIjEEEESD_jNS0_19identity_decomposerEEE10hipError_tT1_T2_PT3_SI_jT4_jjP12ihipStream_tbEUlT_E0_NS1_11comp_targetILNS1_3genE10ELNS1_11target_archE1201ELNS1_3gpuE5ELNS1_3repE0EEENS1_52radix_sort_onesweep_histogram_config_static_selectorELNS0_4arch9wavefront6targetE1EEEvSG_.num_named_barrier, 0
	.set _ZN7rocprim17ROCPRIM_400000_NS6detail17trampoline_kernelINS0_14default_configENS1_35radix_sort_onesweep_config_selectorIjjEEZNS1_34radix_sort_onesweep_global_offsetsIS3_Lb0EN6thrust23THRUST_200600_302600_NS6detail15normal_iteratorINS8_10device_ptrIjEEEESD_jNS0_19identity_decomposerEEE10hipError_tT1_T2_PT3_SI_jT4_jjP12ihipStream_tbEUlT_E0_NS1_11comp_targetILNS1_3genE10ELNS1_11target_archE1201ELNS1_3gpuE5ELNS1_3repE0EEENS1_52radix_sort_onesweep_histogram_config_static_selectorELNS0_4arch9wavefront6targetE1EEEvSG_.private_seg_size, 0
	.set _ZN7rocprim17ROCPRIM_400000_NS6detail17trampoline_kernelINS0_14default_configENS1_35radix_sort_onesweep_config_selectorIjjEEZNS1_34radix_sort_onesweep_global_offsetsIS3_Lb0EN6thrust23THRUST_200600_302600_NS6detail15normal_iteratorINS8_10device_ptrIjEEEESD_jNS0_19identity_decomposerEEE10hipError_tT1_T2_PT3_SI_jT4_jjP12ihipStream_tbEUlT_E0_NS1_11comp_targetILNS1_3genE10ELNS1_11target_archE1201ELNS1_3gpuE5ELNS1_3repE0EEENS1_52radix_sort_onesweep_histogram_config_static_selectorELNS0_4arch9wavefront6targetE1EEEvSG_.uses_vcc, 0
	.set _ZN7rocprim17ROCPRIM_400000_NS6detail17trampoline_kernelINS0_14default_configENS1_35radix_sort_onesweep_config_selectorIjjEEZNS1_34radix_sort_onesweep_global_offsetsIS3_Lb0EN6thrust23THRUST_200600_302600_NS6detail15normal_iteratorINS8_10device_ptrIjEEEESD_jNS0_19identity_decomposerEEE10hipError_tT1_T2_PT3_SI_jT4_jjP12ihipStream_tbEUlT_E0_NS1_11comp_targetILNS1_3genE10ELNS1_11target_archE1201ELNS1_3gpuE5ELNS1_3repE0EEENS1_52radix_sort_onesweep_histogram_config_static_selectorELNS0_4arch9wavefront6targetE1EEEvSG_.uses_flat_scratch, 0
	.set _ZN7rocprim17ROCPRIM_400000_NS6detail17trampoline_kernelINS0_14default_configENS1_35radix_sort_onesweep_config_selectorIjjEEZNS1_34radix_sort_onesweep_global_offsetsIS3_Lb0EN6thrust23THRUST_200600_302600_NS6detail15normal_iteratorINS8_10device_ptrIjEEEESD_jNS0_19identity_decomposerEEE10hipError_tT1_T2_PT3_SI_jT4_jjP12ihipStream_tbEUlT_E0_NS1_11comp_targetILNS1_3genE10ELNS1_11target_archE1201ELNS1_3gpuE5ELNS1_3repE0EEENS1_52radix_sort_onesweep_histogram_config_static_selectorELNS0_4arch9wavefront6targetE1EEEvSG_.has_dyn_sized_stack, 0
	.set _ZN7rocprim17ROCPRIM_400000_NS6detail17trampoline_kernelINS0_14default_configENS1_35radix_sort_onesweep_config_selectorIjjEEZNS1_34radix_sort_onesweep_global_offsetsIS3_Lb0EN6thrust23THRUST_200600_302600_NS6detail15normal_iteratorINS8_10device_ptrIjEEEESD_jNS0_19identity_decomposerEEE10hipError_tT1_T2_PT3_SI_jT4_jjP12ihipStream_tbEUlT_E0_NS1_11comp_targetILNS1_3genE10ELNS1_11target_archE1201ELNS1_3gpuE5ELNS1_3repE0EEENS1_52radix_sort_onesweep_histogram_config_static_selectorELNS0_4arch9wavefront6targetE1EEEvSG_.has_recursion, 0
	.set _ZN7rocprim17ROCPRIM_400000_NS6detail17trampoline_kernelINS0_14default_configENS1_35radix_sort_onesweep_config_selectorIjjEEZNS1_34radix_sort_onesweep_global_offsetsIS3_Lb0EN6thrust23THRUST_200600_302600_NS6detail15normal_iteratorINS8_10device_ptrIjEEEESD_jNS0_19identity_decomposerEEE10hipError_tT1_T2_PT3_SI_jT4_jjP12ihipStream_tbEUlT_E0_NS1_11comp_targetILNS1_3genE10ELNS1_11target_archE1201ELNS1_3gpuE5ELNS1_3repE0EEENS1_52radix_sort_onesweep_histogram_config_static_selectorELNS0_4arch9wavefront6targetE1EEEvSG_.has_indirect_call, 0
	.section	.AMDGPU.csdata,"",@progbits
; Kernel info:
; codeLenInByte = 0
; TotalNumSgprs: 6
; NumVgprs: 0
; NumAgprs: 0
; TotalNumVgprs: 0
; ScratchSize: 0
; MemoryBound: 0
; FloatMode: 240
; IeeeMode: 1
; LDSByteSize: 0 bytes/workgroup (compile time only)
; SGPRBlocks: 0
; VGPRBlocks: 0
; NumSGPRsForWavesPerEU: 6
; NumVGPRsForWavesPerEU: 1
; AccumOffset: 4
; Occupancy: 8
; WaveLimiterHint : 0
; COMPUTE_PGM_RSRC2:SCRATCH_EN: 0
; COMPUTE_PGM_RSRC2:USER_SGPR: 2
; COMPUTE_PGM_RSRC2:TRAP_HANDLER: 0
; COMPUTE_PGM_RSRC2:TGID_X_EN: 1
; COMPUTE_PGM_RSRC2:TGID_Y_EN: 0
; COMPUTE_PGM_RSRC2:TGID_Z_EN: 0
; COMPUTE_PGM_RSRC2:TIDIG_COMP_CNT: 0
; COMPUTE_PGM_RSRC3_GFX90A:ACCUM_OFFSET: 0
; COMPUTE_PGM_RSRC3_GFX90A:TG_SPLIT: 0
	.section	.text._ZN7rocprim17ROCPRIM_400000_NS6detail17trampoline_kernelINS0_14default_configENS1_35radix_sort_onesweep_config_selectorIjjEEZNS1_34radix_sort_onesweep_global_offsetsIS3_Lb0EN6thrust23THRUST_200600_302600_NS6detail15normal_iteratorINS8_10device_ptrIjEEEESD_jNS0_19identity_decomposerEEE10hipError_tT1_T2_PT3_SI_jT4_jjP12ihipStream_tbEUlT_E0_NS1_11comp_targetILNS1_3genE9ELNS1_11target_archE1100ELNS1_3gpuE3ELNS1_3repE0EEENS1_52radix_sort_onesweep_histogram_config_static_selectorELNS0_4arch9wavefront6targetE1EEEvSG_,"axG",@progbits,_ZN7rocprim17ROCPRIM_400000_NS6detail17trampoline_kernelINS0_14default_configENS1_35radix_sort_onesweep_config_selectorIjjEEZNS1_34radix_sort_onesweep_global_offsetsIS3_Lb0EN6thrust23THRUST_200600_302600_NS6detail15normal_iteratorINS8_10device_ptrIjEEEESD_jNS0_19identity_decomposerEEE10hipError_tT1_T2_PT3_SI_jT4_jjP12ihipStream_tbEUlT_E0_NS1_11comp_targetILNS1_3genE9ELNS1_11target_archE1100ELNS1_3gpuE3ELNS1_3repE0EEENS1_52radix_sort_onesweep_histogram_config_static_selectorELNS0_4arch9wavefront6targetE1EEEvSG_,comdat
	.protected	_ZN7rocprim17ROCPRIM_400000_NS6detail17trampoline_kernelINS0_14default_configENS1_35radix_sort_onesweep_config_selectorIjjEEZNS1_34radix_sort_onesweep_global_offsetsIS3_Lb0EN6thrust23THRUST_200600_302600_NS6detail15normal_iteratorINS8_10device_ptrIjEEEESD_jNS0_19identity_decomposerEEE10hipError_tT1_T2_PT3_SI_jT4_jjP12ihipStream_tbEUlT_E0_NS1_11comp_targetILNS1_3genE9ELNS1_11target_archE1100ELNS1_3gpuE3ELNS1_3repE0EEENS1_52radix_sort_onesweep_histogram_config_static_selectorELNS0_4arch9wavefront6targetE1EEEvSG_ ; -- Begin function _ZN7rocprim17ROCPRIM_400000_NS6detail17trampoline_kernelINS0_14default_configENS1_35radix_sort_onesweep_config_selectorIjjEEZNS1_34radix_sort_onesweep_global_offsetsIS3_Lb0EN6thrust23THRUST_200600_302600_NS6detail15normal_iteratorINS8_10device_ptrIjEEEESD_jNS0_19identity_decomposerEEE10hipError_tT1_T2_PT3_SI_jT4_jjP12ihipStream_tbEUlT_E0_NS1_11comp_targetILNS1_3genE9ELNS1_11target_archE1100ELNS1_3gpuE3ELNS1_3repE0EEENS1_52radix_sort_onesweep_histogram_config_static_selectorELNS0_4arch9wavefront6targetE1EEEvSG_
	.globl	_ZN7rocprim17ROCPRIM_400000_NS6detail17trampoline_kernelINS0_14default_configENS1_35radix_sort_onesweep_config_selectorIjjEEZNS1_34radix_sort_onesweep_global_offsetsIS3_Lb0EN6thrust23THRUST_200600_302600_NS6detail15normal_iteratorINS8_10device_ptrIjEEEESD_jNS0_19identity_decomposerEEE10hipError_tT1_T2_PT3_SI_jT4_jjP12ihipStream_tbEUlT_E0_NS1_11comp_targetILNS1_3genE9ELNS1_11target_archE1100ELNS1_3gpuE3ELNS1_3repE0EEENS1_52radix_sort_onesweep_histogram_config_static_selectorELNS0_4arch9wavefront6targetE1EEEvSG_
	.p2align	8
	.type	_ZN7rocprim17ROCPRIM_400000_NS6detail17trampoline_kernelINS0_14default_configENS1_35radix_sort_onesweep_config_selectorIjjEEZNS1_34radix_sort_onesweep_global_offsetsIS3_Lb0EN6thrust23THRUST_200600_302600_NS6detail15normal_iteratorINS8_10device_ptrIjEEEESD_jNS0_19identity_decomposerEEE10hipError_tT1_T2_PT3_SI_jT4_jjP12ihipStream_tbEUlT_E0_NS1_11comp_targetILNS1_3genE9ELNS1_11target_archE1100ELNS1_3gpuE3ELNS1_3repE0EEENS1_52radix_sort_onesweep_histogram_config_static_selectorELNS0_4arch9wavefront6targetE1EEEvSG_,@function
_ZN7rocprim17ROCPRIM_400000_NS6detail17trampoline_kernelINS0_14default_configENS1_35radix_sort_onesweep_config_selectorIjjEEZNS1_34radix_sort_onesweep_global_offsetsIS3_Lb0EN6thrust23THRUST_200600_302600_NS6detail15normal_iteratorINS8_10device_ptrIjEEEESD_jNS0_19identity_decomposerEEE10hipError_tT1_T2_PT3_SI_jT4_jjP12ihipStream_tbEUlT_E0_NS1_11comp_targetILNS1_3genE9ELNS1_11target_archE1100ELNS1_3gpuE3ELNS1_3repE0EEENS1_52radix_sort_onesweep_histogram_config_static_selectorELNS0_4arch9wavefront6targetE1EEEvSG_: ; @_ZN7rocprim17ROCPRIM_400000_NS6detail17trampoline_kernelINS0_14default_configENS1_35radix_sort_onesweep_config_selectorIjjEEZNS1_34radix_sort_onesweep_global_offsetsIS3_Lb0EN6thrust23THRUST_200600_302600_NS6detail15normal_iteratorINS8_10device_ptrIjEEEESD_jNS0_19identity_decomposerEEE10hipError_tT1_T2_PT3_SI_jT4_jjP12ihipStream_tbEUlT_E0_NS1_11comp_targetILNS1_3genE9ELNS1_11target_archE1100ELNS1_3gpuE3ELNS1_3repE0EEENS1_52radix_sort_onesweep_histogram_config_static_selectorELNS0_4arch9wavefront6targetE1EEEvSG_
; %bb.0:
	.section	.rodata,"a",@progbits
	.p2align	6, 0x0
	.amdhsa_kernel _ZN7rocprim17ROCPRIM_400000_NS6detail17trampoline_kernelINS0_14default_configENS1_35radix_sort_onesweep_config_selectorIjjEEZNS1_34radix_sort_onesweep_global_offsetsIS3_Lb0EN6thrust23THRUST_200600_302600_NS6detail15normal_iteratorINS8_10device_ptrIjEEEESD_jNS0_19identity_decomposerEEE10hipError_tT1_T2_PT3_SI_jT4_jjP12ihipStream_tbEUlT_E0_NS1_11comp_targetILNS1_3genE9ELNS1_11target_archE1100ELNS1_3gpuE3ELNS1_3repE0EEENS1_52radix_sort_onesweep_histogram_config_static_selectorELNS0_4arch9wavefront6targetE1EEEvSG_
		.amdhsa_group_segment_fixed_size 0
		.amdhsa_private_segment_fixed_size 0
		.amdhsa_kernarg_size 8
		.amdhsa_user_sgpr_count 2
		.amdhsa_user_sgpr_dispatch_ptr 0
		.amdhsa_user_sgpr_queue_ptr 0
		.amdhsa_user_sgpr_kernarg_segment_ptr 1
		.amdhsa_user_sgpr_dispatch_id 0
		.amdhsa_user_sgpr_kernarg_preload_length 0
		.amdhsa_user_sgpr_kernarg_preload_offset 0
		.amdhsa_user_sgpr_private_segment_size 0
		.amdhsa_uses_dynamic_stack 0
		.amdhsa_enable_private_segment 0
		.amdhsa_system_sgpr_workgroup_id_x 1
		.amdhsa_system_sgpr_workgroup_id_y 0
		.amdhsa_system_sgpr_workgroup_id_z 0
		.amdhsa_system_sgpr_workgroup_info 0
		.amdhsa_system_vgpr_workitem_id 0
		.amdhsa_next_free_vgpr 1
		.amdhsa_next_free_sgpr 0
		.amdhsa_accum_offset 4
		.amdhsa_reserve_vcc 0
		.amdhsa_float_round_mode_32 0
		.amdhsa_float_round_mode_16_64 0
		.amdhsa_float_denorm_mode_32 3
		.amdhsa_float_denorm_mode_16_64 3
		.amdhsa_dx10_clamp 1
		.amdhsa_ieee_mode 1
		.amdhsa_fp16_overflow 0
		.amdhsa_tg_split 0
		.amdhsa_exception_fp_ieee_invalid_op 0
		.amdhsa_exception_fp_denorm_src 0
		.amdhsa_exception_fp_ieee_div_zero 0
		.amdhsa_exception_fp_ieee_overflow 0
		.amdhsa_exception_fp_ieee_underflow 0
		.amdhsa_exception_fp_ieee_inexact 0
		.amdhsa_exception_int_div_zero 0
	.end_amdhsa_kernel
	.section	.text._ZN7rocprim17ROCPRIM_400000_NS6detail17trampoline_kernelINS0_14default_configENS1_35radix_sort_onesweep_config_selectorIjjEEZNS1_34radix_sort_onesweep_global_offsetsIS3_Lb0EN6thrust23THRUST_200600_302600_NS6detail15normal_iteratorINS8_10device_ptrIjEEEESD_jNS0_19identity_decomposerEEE10hipError_tT1_T2_PT3_SI_jT4_jjP12ihipStream_tbEUlT_E0_NS1_11comp_targetILNS1_3genE9ELNS1_11target_archE1100ELNS1_3gpuE3ELNS1_3repE0EEENS1_52radix_sort_onesweep_histogram_config_static_selectorELNS0_4arch9wavefront6targetE1EEEvSG_,"axG",@progbits,_ZN7rocprim17ROCPRIM_400000_NS6detail17trampoline_kernelINS0_14default_configENS1_35radix_sort_onesweep_config_selectorIjjEEZNS1_34radix_sort_onesweep_global_offsetsIS3_Lb0EN6thrust23THRUST_200600_302600_NS6detail15normal_iteratorINS8_10device_ptrIjEEEESD_jNS0_19identity_decomposerEEE10hipError_tT1_T2_PT3_SI_jT4_jjP12ihipStream_tbEUlT_E0_NS1_11comp_targetILNS1_3genE9ELNS1_11target_archE1100ELNS1_3gpuE3ELNS1_3repE0EEENS1_52radix_sort_onesweep_histogram_config_static_selectorELNS0_4arch9wavefront6targetE1EEEvSG_,comdat
.Lfunc_end740:
	.size	_ZN7rocprim17ROCPRIM_400000_NS6detail17trampoline_kernelINS0_14default_configENS1_35radix_sort_onesweep_config_selectorIjjEEZNS1_34radix_sort_onesweep_global_offsetsIS3_Lb0EN6thrust23THRUST_200600_302600_NS6detail15normal_iteratorINS8_10device_ptrIjEEEESD_jNS0_19identity_decomposerEEE10hipError_tT1_T2_PT3_SI_jT4_jjP12ihipStream_tbEUlT_E0_NS1_11comp_targetILNS1_3genE9ELNS1_11target_archE1100ELNS1_3gpuE3ELNS1_3repE0EEENS1_52radix_sort_onesweep_histogram_config_static_selectorELNS0_4arch9wavefront6targetE1EEEvSG_, .Lfunc_end740-_ZN7rocprim17ROCPRIM_400000_NS6detail17trampoline_kernelINS0_14default_configENS1_35radix_sort_onesweep_config_selectorIjjEEZNS1_34radix_sort_onesweep_global_offsetsIS3_Lb0EN6thrust23THRUST_200600_302600_NS6detail15normal_iteratorINS8_10device_ptrIjEEEESD_jNS0_19identity_decomposerEEE10hipError_tT1_T2_PT3_SI_jT4_jjP12ihipStream_tbEUlT_E0_NS1_11comp_targetILNS1_3genE9ELNS1_11target_archE1100ELNS1_3gpuE3ELNS1_3repE0EEENS1_52radix_sort_onesweep_histogram_config_static_selectorELNS0_4arch9wavefront6targetE1EEEvSG_
                                        ; -- End function
	.set _ZN7rocprim17ROCPRIM_400000_NS6detail17trampoline_kernelINS0_14default_configENS1_35radix_sort_onesweep_config_selectorIjjEEZNS1_34radix_sort_onesweep_global_offsetsIS3_Lb0EN6thrust23THRUST_200600_302600_NS6detail15normal_iteratorINS8_10device_ptrIjEEEESD_jNS0_19identity_decomposerEEE10hipError_tT1_T2_PT3_SI_jT4_jjP12ihipStream_tbEUlT_E0_NS1_11comp_targetILNS1_3genE9ELNS1_11target_archE1100ELNS1_3gpuE3ELNS1_3repE0EEENS1_52radix_sort_onesweep_histogram_config_static_selectorELNS0_4arch9wavefront6targetE1EEEvSG_.num_vgpr, 0
	.set _ZN7rocprim17ROCPRIM_400000_NS6detail17trampoline_kernelINS0_14default_configENS1_35radix_sort_onesweep_config_selectorIjjEEZNS1_34radix_sort_onesweep_global_offsetsIS3_Lb0EN6thrust23THRUST_200600_302600_NS6detail15normal_iteratorINS8_10device_ptrIjEEEESD_jNS0_19identity_decomposerEEE10hipError_tT1_T2_PT3_SI_jT4_jjP12ihipStream_tbEUlT_E0_NS1_11comp_targetILNS1_3genE9ELNS1_11target_archE1100ELNS1_3gpuE3ELNS1_3repE0EEENS1_52radix_sort_onesweep_histogram_config_static_selectorELNS0_4arch9wavefront6targetE1EEEvSG_.num_agpr, 0
	.set _ZN7rocprim17ROCPRIM_400000_NS6detail17trampoline_kernelINS0_14default_configENS1_35radix_sort_onesweep_config_selectorIjjEEZNS1_34radix_sort_onesweep_global_offsetsIS3_Lb0EN6thrust23THRUST_200600_302600_NS6detail15normal_iteratorINS8_10device_ptrIjEEEESD_jNS0_19identity_decomposerEEE10hipError_tT1_T2_PT3_SI_jT4_jjP12ihipStream_tbEUlT_E0_NS1_11comp_targetILNS1_3genE9ELNS1_11target_archE1100ELNS1_3gpuE3ELNS1_3repE0EEENS1_52radix_sort_onesweep_histogram_config_static_selectorELNS0_4arch9wavefront6targetE1EEEvSG_.numbered_sgpr, 0
	.set _ZN7rocprim17ROCPRIM_400000_NS6detail17trampoline_kernelINS0_14default_configENS1_35radix_sort_onesweep_config_selectorIjjEEZNS1_34radix_sort_onesweep_global_offsetsIS3_Lb0EN6thrust23THRUST_200600_302600_NS6detail15normal_iteratorINS8_10device_ptrIjEEEESD_jNS0_19identity_decomposerEEE10hipError_tT1_T2_PT3_SI_jT4_jjP12ihipStream_tbEUlT_E0_NS1_11comp_targetILNS1_3genE9ELNS1_11target_archE1100ELNS1_3gpuE3ELNS1_3repE0EEENS1_52radix_sort_onesweep_histogram_config_static_selectorELNS0_4arch9wavefront6targetE1EEEvSG_.num_named_barrier, 0
	.set _ZN7rocprim17ROCPRIM_400000_NS6detail17trampoline_kernelINS0_14default_configENS1_35radix_sort_onesweep_config_selectorIjjEEZNS1_34radix_sort_onesweep_global_offsetsIS3_Lb0EN6thrust23THRUST_200600_302600_NS6detail15normal_iteratorINS8_10device_ptrIjEEEESD_jNS0_19identity_decomposerEEE10hipError_tT1_T2_PT3_SI_jT4_jjP12ihipStream_tbEUlT_E0_NS1_11comp_targetILNS1_3genE9ELNS1_11target_archE1100ELNS1_3gpuE3ELNS1_3repE0EEENS1_52radix_sort_onesweep_histogram_config_static_selectorELNS0_4arch9wavefront6targetE1EEEvSG_.private_seg_size, 0
	.set _ZN7rocprim17ROCPRIM_400000_NS6detail17trampoline_kernelINS0_14default_configENS1_35radix_sort_onesweep_config_selectorIjjEEZNS1_34radix_sort_onesweep_global_offsetsIS3_Lb0EN6thrust23THRUST_200600_302600_NS6detail15normal_iteratorINS8_10device_ptrIjEEEESD_jNS0_19identity_decomposerEEE10hipError_tT1_T2_PT3_SI_jT4_jjP12ihipStream_tbEUlT_E0_NS1_11comp_targetILNS1_3genE9ELNS1_11target_archE1100ELNS1_3gpuE3ELNS1_3repE0EEENS1_52radix_sort_onesweep_histogram_config_static_selectorELNS0_4arch9wavefront6targetE1EEEvSG_.uses_vcc, 0
	.set _ZN7rocprim17ROCPRIM_400000_NS6detail17trampoline_kernelINS0_14default_configENS1_35radix_sort_onesweep_config_selectorIjjEEZNS1_34radix_sort_onesweep_global_offsetsIS3_Lb0EN6thrust23THRUST_200600_302600_NS6detail15normal_iteratorINS8_10device_ptrIjEEEESD_jNS0_19identity_decomposerEEE10hipError_tT1_T2_PT3_SI_jT4_jjP12ihipStream_tbEUlT_E0_NS1_11comp_targetILNS1_3genE9ELNS1_11target_archE1100ELNS1_3gpuE3ELNS1_3repE0EEENS1_52radix_sort_onesweep_histogram_config_static_selectorELNS0_4arch9wavefront6targetE1EEEvSG_.uses_flat_scratch, 0
	.set _ZN7rocprim17ROCPRIM_400000_NS6detail17trampoline_kernelINS0_14default_configENS1_35radix_sort_onesweep_config_selectorIjjEEZNS1_34radix_sort_onesweep_global_offsetsIS3_Lb0EN6thrust23THRUST_200600_302600_NS6detail15normal_iteratorINS8_10device_ptrIjEEEESD_jNS0_19identity_decomposerEEE10hipError_tT1_T2_PT3_SI_jT4_jjP12ihipStream_tbEUlT_E0_NS1_11comp_targetILNS1_3genE9ELNS1_11target_archE1100ELNS1_3gpuE3ELNS1_3repE0EEENS1_52radix_sort_onesweep_histogram_config_static_selectorELNS0_4arch9wavefront6targetE1EEEvSG_.has_dyn_sized_stack, 0
	.set _ZN7rocprim17ROCPRIM_400000_NS6detail17trampoline_kernelINS0_14default_configENS1_35radix_sort_onesweep_config_selectorIjjEEZNS1_34radix_sort_onesweep_global_offsetsIS3_Lb0EN6thrust23THRUST_200600_302600_NS6detail15normal_iteratorINS8_10device_ptrIjEEEESD_jNS0_19identity_decomposerEEE10hipError_tT1_T2_PT3_SI_jT4_jjP12ihipStream_tbEUlT_E0_NS1_11comp_targetILNS1_3genE9ELNS1_11target_archE1100ELNS1_3gpuE3ELNS1_3repE0EEENS1_52radix_sort_onesweep_histogram_config_static_selectorELNS0_4arch9wavefront6targetE1EEEvSG_.has_recursion, 0
	.set _ZN7rocprim17ROCPRIM_400000_NS6detail17trampoline_kernelINS0_14default_configENS1_35radix_sort_onesweep_config_selectorIjjEEZNS1_34radix_sort_onesweep_global_offsetsIS3_Lb0EN6thrust23THRUST_200600_302600_NS6detail15normal_iteratorINS8_10device_ptrIjEEEESD_jNS0_19identity_decomposerEEE10hipError_tT1_T2_PT3_SI_jT4_jjP12ihipStream_tbEUlT_E0_NS1_11comp_targetILNS1_3genE9ELNS1_11target_archE1100ELNS1_3gpuE3ELNS1_3repE0EEENS1_52radix_sort_onesweep_histogram_config_static_selectorELNS0_4arch9wavefront6targetE1EEEvSG_.has_indirect_call, 0
	.section	.AMDGPU.csdata,"",@progbits
; Kernel info:
; codeLenInByte = 0
; TotalNumSgprs: 6
; NumVgprs: 0
; NumAgprs: 0
; TotalNumVgprs: 0
; ScratchSize: 0
; MemoryBound: 0
; FloatMode: 240
; IeeeMode: 1
; LDSByteSize: 0 bytes/workgroup (compile time only)
; SGPRBlocks: 0
; VGPRBlocks: 0
; NumSGPRsForWavesPerEU: 6
; NumVGPRsForWavesPerEU: 1
; AccumOffset: 4
; Occupancy: 8
; WaveLimiterHint : 0
; COMPUTE_PGM_RSRC2:SCRATCH_EN: 0
; COMPUTE_PGM_RSRC2:USER_SGPR: 2
; COMPUTE_PGM_RSRC2:TRAP_HANDLER: 0
; COMPUTE_PGM_RSRC2:TGID_X_EN: 1
; COMPUTE_PGM_RSRC2:TGID_Y_EN: 0
; COMPUTE_PGM_RSRC2:TGID_Z_EN: 0
; COMPUTE_PGM_RSRC2:TIDIG_COMP_CNT: 0
; COMPUTE_PGM_RSRC3_GFX90A:ACCUM_OFFSET: 0
; COMPUTE_PGM_RSRC3_GFX90A:TG_SPLIT: 0
	.section	.text._ZN7rocprim17ROCPRIM_400000_NS6detail17trampoline_kernelINS0_14default_configENS1_35radix_sort_onesweep_config_selectorIjjEEZNS1_34radix_sort_onesweep_global_offsetsIS3_Lb0EN6thrust23THRUST_200600_302600_NS6detail15normal_iteratorINS8_10device_ptrIjEEEESD_jNS0_19identity_decomposerEEE10hipError_tT1_T2_PT3_SI_jT4_jjP12ihipStream_tbEUlT_E0_NS1_11comp_targetILNS1_3genE8ELNS1_11target_archE1030ELNS1_3gpuE2ELNS1_3repE0EEENS1_52radix_sort_onesweep_histogram_config_static_selectorELNS0_4arch9wavefront6targetE1EEEvSG_,"axG",@progbits,_ZN7rocprim17ROCPRIM_400000_NS6detail17trampoline_kernelINS0_14default_configENS1_35radix_sort_onesweep_config_selectorIjjEEZNS1_34radix_sort_onesweep_global_offsetsIS3_Lb0EN6thrust23THRUST_200600_302600_NS6detail15normal_iteratorINS8_10device_ptrIjEEEESD_jNS0_19identity_decomposerEEE10hipError_tT1_T2_PT3_SI_jT4_jjP12ihipStream_tbEUlT_E0_NS1_11comp_targetILNS1_3genE8ELNS1_11target_archE1030ELNS1_3gpuE2ELNS1_3repE0EEENS1_52radix_sort_onesweep_histogram_config_static_selectorELNS0_4arch9wavefront6targetE1EEEvSG_,comdat
	.protected	_ZN7rocprim17ROCPRIM_400000_NS6detail17trampoline_kernelINS0_14default_configENS1_35radix_sort_onesweep_config_selectorIjjEEZNS1_34radix_sort_onesweep_global_offsetsIS3_Lb0EN6thrust23THRUST_200600_302600_NS6detail15normal_iteratorINS8_10device_ptrIjEEEESD_jNS0_19identity_decomposerEEE10hipError_tT1_T2_PT3_SI_jT4_jjP12ihipStream_tbEUlT_E0_NS1_11comp_targetILNS1_3genE8ELNS1_11target_archE1030ELNS1_3gpuE2ELNS1_3repE0EEENS1_52radix_sort_onesweep_histogram_config_static_selectorELNS0_4arch9wavefront6targetE1EEEvSG_ ; -- Begin function _ZN7rocprim17ROCPRIM_400000_NS6detail17trampoline_kernelINS0_14default_configENS1_35radix_sort_onesweep_config_selectorIjjEEZNS1_34radix_sort_onesweep_global_offsetsIS3_Lb0EN6thrust23THRUST_200600_302600_NS6detail15normal_iteratorINS8_10device_ptrIjEEEESD_jNS0_19identity_decomposerEEE10hipError_tT1_T2_PT3_SI_jT4_jjP12ihipStream_tbEUlT_E0_NS1_11comp_targetILNS1_3genE8ELNS1_11target_archE1030ELNS1_3gpuE2ELNS1_3repE0EEENS1_52radix_sort_onesweep_histogram_config_static_selectorELNS0_4arch9wavefront6targetE1EEEvSG_
	.globl	_ZN7rocprim17ROCPRIM_400000_NS6detail17trampoline_kernelINS0_14default_configENS1_35radix_sort_onesweep_config_selectorIjjEEZNS1_34radix_sort_onesweep_global_offsetsIS3_Lb0EN6thrust23THRUST_200600_302600_NS6detail15normal_iteratorINS8_10device_ptrIjEEEESD_jNS0_19identity_decomposerEEE10hipError_tT1_T2_PT3_SI_jT4_jjP12ihipStream_tbEUlT_E0_NS1_11comp_targetILNS1_3genE8ELNS1_11target_archE1030ELNS1_3gpuE2ELNS1_3repE0EEENS1_52radix_sort_onesweep_histogram_config_static_selectorELNS0_4arch9wavefront6targetE1EEEvSG_
	.p2align	8
	.type	_ZN7rocprim17ROCPRIM_400000_NS6detail17trampoline_kernelINS0_14default_configENS1_35radix_sort_onesweep_config_selectorIjjEEZNS1_34radix_sort_onesweep_global_offsetsIS3_Lb0EN6thrust23THRUST_200600_302600_NS6detail15normal_iteratorINS8_10device_ptrIjEEEESD_jNS0_19identity_decomposerEEE10hipError_tT1_T2_PT3_SI_jT4_jjP12ihipStream_tbEUlT_E0_NS1_11comp_targetILNS1_3genE8ELNS1_11target_archE1030ELNS1_3gpuE2ELNS1_3repE0EEENS1_52radix_sort_onesweep_histogram_config_static_selectorELNS0_4arch9wavefront6targetE1EEEvSG_,@function
_ZN7rocprim17ROCPRIM_400000_NS6detail17trampoline_kernelINS0_14default_configENS1_35radix_sort_onesweep_config_selectorIjjEEZNS1_34radix_sort_onesweep_global_offsetsIS3_Lb0EN6thrust23THRUST_200600_302600_NS6detail15normal_iteratorINS8_10device_ptrIjEEEESD_jNS0_19identity_decomposerEEE10hipError_tT1_T2_PT3_SI_jT4_jjP12ihipStream_tbEUlT_E0_NS1_11comp_targetILNS1_3genE8ELNS1_11target_archE1030ELNS1_3gpuE2ELNS1_3repE0EEENS1_52radix_sort_onesweep_histogram_config_static_selectorELNS0_4arch9wavefront6targetE1EEEvSG_: ; @_ZN7rocprim17ROCPRIM_400000_NS6detail17trampoline_kernelINS0_14default_configENS1_35radix_sort_onesweep_config_selectorIjjEEZNS1_34radix_sort_onesweep_global_offsetsIS3_Lb0EN6thrust23THRUST_200600_302600_NS6detail15normal_iteratorINS8_10device_ptrIjEEEESD_jNS0_19identity_decomposerEEE10hipError_tT1_T2_PT3_SI_jT4_jjP12ihipStream_tbEUlT_E0_NS1_11comp_targetILNS1_3genE8ELNS1_11target_archE1030ELNS1_3gpuE2ELNS1_3repE0EEENS1_52radix_sort_onesweep_histogram_config_static_selectorELNS0_4arch9wavefront6targetE1EEEvSG_
; %bb.0:
	.section	.rodata,"a",@progbits
	.p2align	6, 0x0
	.amdhsa_kernel _ZN7rocprim17ROCPRIM_400000_NS6detail17trampoline_kernelINS0_14default_configENS1_35radix_sort_onesweep_config_selectorIjjEEZNS1_34radix_sort_onesweep_global_offsetsIS3_Lb0EN6thrust23THRUST_200600_302600_NS6detail15normal_iteratorINS8_10device_ptrIjEEEESD_jNS0_19identity_decomposerEEE10hipError_tT1_T2_PT3_SI_jT4_jjP12ihipStream_tbEUlT_E0_NS1_11comp_targetILNS1_3genE8ELNS1_11target_archE1030ELNS1_3gpuE2ELNS1_3repE0EEENS1_52radix_sort_onesweep_histogram_config_static_selectorELNS0_4arch9wavefront6targetE1EEEvSG_
		.amdhsa_group_segment_fixed_size 0
		.amdhsa_private_segment_fixed_size 0
		.amdhsa_kernarg_size 8
		.amdhsa_user_sgpr_count 2
		.amdhsa_user_sgpr_dispatch_ptr 0
		.amdhsa_user_sgpr_queue_ptr 0
		.amdhsa_user_sgpr_kernarg_segment_ptr 1
		.amdhsa_user_sgpr_dispatch_id 0
		.amdhsa_user_sgpr_kernarg_preload_length 0
		.amdhsa_user_sgpr_kernarg_preload_offset 0
		.amdhsa_user_sgpr_private_segment_size 0
		.amdhsa_uses_dynamic_stack 0
		.amdhsa_enable_private_segment 0
		.amdhsa_system_sgpr_workgroup_id_x 1
		.amdhsa_system_sgpr_workgroup_id_y 0
		.amdhsa_system_sgpr_workgroup_id_z 0
		.amdhsa_system_sgpr_workgroup_info 0
		.amdhsa_system_vgpr_workitem_id 0
		.amdhsa_next_free_vgpr 1
		.amdhsa_next_free_sgpr 0
		.amdhsa_accum_offset 4
		.amdhsa_reserve_vcc 0
		.amdhsa_float_round_mode_32 0
		.amdhsa_float_round_mode_16_64 0
		.amdhsa_float_denorm_mode_32 3
		.amdhsa_float_denorm_mode_16_64 3
		.amdhsa_dx10_clamp 1
		.amdhsa_ieee_mode 1
		.amdhsa_fp16_overflow 0
		.amdhsa_tg_split 0
		.amdhsa_exception_fp_ieee_invalid_op 0
		.amdhsa_exception_fp_denorm_src 0
		.amdhsa_exception_fp_ieee_div_zero 0
		.amdhsa_exception_fp_ieee_overflow 0
		.amdhsa_exception_fp_ieee_underflow 0
		.amdhsa_exception_fp_ieee_inexact 0
		.amdhsa_exception_int_div_zero 0
	.end_amdhsa_kernel
	.section	.text._ZN7rocprim17ROCPRIM_400000_NS6detail17trampoline_kernelINS0_14default_configENS1_35radix_sort_onesweep_config_selectorIjjEEZNS1_34radix_sort_onesweep_global_offsetsIS3_Lb0EN6thrust23THRUST_200600_302600_NS6detail15normal_iteratorINS8_10device_ptrIjEEEESD_jNS0_19identity_decomposerEEE10hipError_tT1_T2_PT3_SI_jT4_jjP12ihipStream_tbEUlT_E0_NS1_11comp_targetILNS1_3genE8ELNS1_11target_archE1030ELNS1_3gpuE2ELNS1_3repE0EEENS1_52radix_sort_onesweep_histogram_config_static_selectorELNS0_4arch9wavefront6targetE1EEEvSG_,"axG",@progbits,_ZN7rocprim17ROCPRIM_400000_NS6detail17trampoline_kernelINS0_14default_configENS1_35radix_sort_onesweep_config_selectorIjjEEZNS1_34radix_sort_onesweep_global_offsetsIS3_Lb0EN6thrust23THRUST_200600_302600_NS6detail15normal_iteratorINS8_10device_ptrIjEEEESD_jNS0_19identity_decomposerEEE10hipError_tT1_T2_PT3_SI_jT4_jjP12ihipStream_tbEUlT_E0_NS1_11comp_targetILNS1_3genE8ELNS1_11target_archE1030ELNS1_3gpuE2ELNS1_3repE0EEENS1_52radix_sort_onesweep_histogram_config_static_selectorELNS0_4arch9wavefront6targetE1EEEvSG_,comdat
.Lfunc_end741:
	.size	_ZN7rocprim17ROCPRIM_400000_NS6detail17trampoline_kernelINS0_14default_configENS1_35radix_sort_onesweep_config_selectorIjjEEZNS1_34radix_sort_onesweep_global_offsetsIS3_Lb0EN6thrust23THRUST_200600_302600_NS6detail15normal_iteratorINS8_10device_ptrIjEEEESD_jNS0_19identity_decomposerEEE10hipError_tT1_T2_PT3_SI_jT4_jjP12ihipStream_tbEUlT_E0_NS1_11comp_targetILNS1_3genE8ELNS1_11target_archE1030ELNS1_3gpuE2ELNS1_3repE0EEENS1_52radix_sort_onesweep_histogram_config_static_selectorELNS0_4arch9wavefront6targetE1EEEvSG_, .Lfunc_end741-_ZN7rocprim17ROCPRIM_400000_NS6detail17trampoline_kernelINS0_14default_configENS1_35radix_sort_onesweep_config_selectorIjjEEZNS1_34radix_sort_onesweep_global_offsetsIS3_Lb0EN6thrust23THRUST_200600_302600_NS6detail15normal_iteratorINS8_10device_ptrIjEEEESD_jNS0_19identity_decomposerEEE10hipError_tT1_T2_PT3_SI_jT4_jjP12ihipStream_tbEUlT_E0_NS1_11comp_targetILNS1_3genE8ELNS1_11target_archE1030ELNS1_3gpuE2ELNS1_3repE0EEENS1_52radix_sort_onesweep_histogram_config_static_selectorELNS0_4arch9wavefront6targetE1EEEvSG_
                                        ; -- End function
	.set _ZN7rocprim17ROCPRIM_400000_NS6detail17trampoline_kernelINS0_14default_configENS1_35radix_sort_onesweep_config_selectorIjjEEZNS1_34radix_sort_onesweep_global_offsetsIS3_Lb0EN6thrust23THRUST_200600_302600_NS6detail15normal_iteratorINS8_10device_ptrIjEEEESD_jNS0_19identity_decomposerEEE10hipError_tT1_T2_PT3_SI_jT4_jjP12ihipStream_tbEUlT_E0_NS1_11comp_targetILNS1_3genE8ELNS1_11target_archE1030ELNS1_3gpuE2ELNS1_3repE0EEENS1_52radix_sort_onesweep_histogram_config_static_selectorELNS0_4arch9wavefront6targetE1EEEvSG_.num_vgpr, 0
	.set _ZN7rocprim17ROCPRIM_400000_NS6detail17trampoline_kernelINS0_14default_configENS1_35radix_sort_onesweep_config_selectorIjjEEZNS1_34radix_sort_onesweep_global_offsetsIS3_Lb0EN6thrust23THRUST_200600_302600_NS6detail15normal_iteratorINS8_10device_ptrIjEEEESD_jNS0_19identity_decomposerEEE10hipError_tT1_T2_PT3_SI_jT4_jjP12ihipStream_tbEUlT_E0_NS1_11comp_targetILNS1_3genE8ELNS1_11target_archE1030ELNS1_3gpuE2ELNS1_3repE0EEENS1_52radix_sort_onesweep_histogram_config_static_selectorELNS0_4arch9wavefront6targetE1EEEvSG_.num_agpr, 0
	.set _ZN7rocprim17ROCPRIM_400000_NS6detail17trampoline_kernelINS0_14default_configENS1_35radix_sort_onesweep_config_selectorIjjEEZNS1_34radix_sort_onesweep_global_offsetsIS3_Lb0EN6thrust23THRUST_200600_302600_NS6detail15normal_iteratorINS8_10device_ptrIjEEEESD_jNS0_19identity_decomposerEEE10hipError_tT1_T2_PT3_SI_jT4_jjP12ihipStream_tbEUlT_E0_NS1_11comp_targetILNS1_3genE8ELNS1_11target_archE1030ELNS1_3gpuE2ELNS1_3repE0EEENS1_52radix_sort_onesweep_histogram_config_static_selectorELNS0_4arch9wavefront6targetE1EEEvSG_.numbered_sgpr, 0
	.set _ZN7rocprim17ROCPRIM_400000_NS6detail17trampoline_kernelINS0_14default_configENS1_35radix_sort_onesweep_config_selectorIjjEEZNS1_34radix_sort_onesweep_global_offsetsIS3_Lb0EN6thrust23THRUST_200600_302600_NS6detail15normal_iteratorINS8_10device_ptrIjEEEESD_jNS0_19identity_decomposerEEE10hipError_tT1_T2_PT3_SI_jT4_jjP12ihipStream_tbEUlT_E0_NS1_11comp_targetILNS1_3genE8ELNS1_11target_archE1030ELNS1_3gpuE2ELNS1_3repE0EEENS1_52radix_sort_onesweep_histogram_config_static_selectorELNS0_4arch9wavefront6targetE1EEEvSG_.num_named_barrier, 0
	.set _ZN7rocprim17ROCPRIM_400000_NS6detail17trampoline_kernelINS0_14default_configENS1_35radix_sort_onesweep_config_selectorIjjEEZNS1_34radix_sort_onesweep_global_offsetsIS3_Lb0EN6thrust23THRUST_200600_302600_NS6detail15normal_iteratorINS8_10device_ptrIjEEEESD_jNS0_19identity_decomposerEEE10hipError_tT1_T2_PT3_SI_jT4_jjP12ihipStream_tbEUlT_E0_NS1_11comp_targetILNS1_3genE8ELNS1_11target_archE1030ELNS1_3gpuE2ELNS1_3repE0EEENS1_52radix_sort_onesweep_histogram_config_static_selectorELNS0_4arch9wavefront6targetE1EEEvSG_.private_seg_size, 0
	.set _ZN7rocprim17ROCPRIM_400000_NS6detail17trampoline_kernelINS0_14default_configENS1_35radix_sort_onesweep_config_selectorIjjEEZNS1_34radix_sort_onesweep_global_offsetsIS3_Lb0EN6thrust23THRUST_200600_302600_NS6detail15normal_iteratorINS8_10device_ptrIjEEEESD_jNS0_19identity_decomposerEEE10hipError_tT1_T2_PT3_SI_jT4_jjP12ihipStream_tbEUlT_E0_NS1_11comp_targetILNS1_3genE8ELNS1_11target_archE1030ELNS1_3gpuE2ELNS1_3repE0EEENS1_52radix_sort_onesweep_histogram_config_static_selectorELNS0_4arch9wavefront6targetE1EEEvSG_.uses_vcc, 0
	.set _ZN7rocprim17ROCPRIM_400000_NS6detail17trampoline_kernelINS0_14default_configENS1_35radix_sort_onesweep_config_selectorIjjEEZNS1_34radix_sort_onesweep_global_offsetsIS3_Lb0EN6thrust23THRUST_200600_302600_NS6detail15normal_iteratorINS8_10device_ptrIjEEEESD_jNS0_19identity_decomposerEEE10hipError_tT1_T2_PT3_SI_jT4_jjP12ihipStream_tbEUlT_E0_NS1_11comp_targetILNS1_3genE8ELNS1_11target_archE1030ELNS1_3gpuE2ELNS1_3repE0EEENS1_52radix_sort_onesweep_histogram_config_static_selectorELNS0_4arch9wavefront6targetE1EEEvSG_.uses_flat_scratch, 0
	.set _ZN7rocprim17ROCPRIM_400000_NS6detail17trampoline_kernelINS0_14default_configENS1_35radix_sort_onesweep_config_selectorIjjEEZNS1_34radix_sort_onesweep_global_offsetsIS3_Lb0EN6thrust23THRUST_200600_302600_NS6detail15normal_iteratorINS8_10device_ptrIjEEEESD_jNS0_19identity_decomposerEEE10hipError_tT1_T2_PT3_SI_jT4_jjP12ihipStream_tbEUlT_E0_NS1_11comp_targetILNS1_3genE8ELNS1_11target_archE1030ELNS1_3gpuE2ELNS1_3repE0EEENS1_52radix_sort_onesweep_histogram_config_static_selectorELNS0_4arch9wavefront6targetE1EEEvSG_.has_dyn_sized_stack, 0
	.set _ZN7rocprim17ROCPRIM_400000_NS6detail17trampoline_kernelINS0_14default_configENS1_35radix_sort_onesweep_config_selectorIjjEEZNS1_34radix_sort_onesweep_global_offsetsIS3_Lb0EN6thrust23THRUST_200600_302600_NS6detail15normal_iteratorINS8_10device_ptrIjEEEESD_jNS0_19identity_decomposerEEE10hipError_tT1_T2_PT3_SI_jT4_jjP12ihipStream_tbEUlT_E0_NS1_11comp_targetILNS1_3genE8ELNS1_11target_archE1030ELNS1_3gpuE2ELNS1_3repE0EEENS1_52radix_sort_onesweep_histogram_config_static_selectorELNS0_4arch9wavefront6targetE1EEEvSG_.has_recursion, 0
	.set _ZN7rocprim17ROCPRIM_400000_NS6detail17trampoline_kernelINS0_14default_configENS1_35radix_sort_onesweep_config_selectorIjjEEZNS1_34radix_sort_onesweep_global_offsetsIS3_Lb0EN6thrust23THRUST_200600_302600_NS6detail15normal_iteratorINS8_10device_ptrIjEEEESD_jNS0_19identity_decomposerEEE10hipError_tT1_T2_PT3_SI_jT4_jjP12ihipStream_tbEUlT_E0_NS1_11comp_targetILNS1_3genE8ELNS1_11target_archE1030ELNS1_3gpuE2ELNS1_3repE0EEENS1_52radix_sort_onesweep_histogram_config_static_selectorELNS0_4arch9wavefront6targetE1EEEvSG_.has_indirect_call, 0
	.section	.AMDGPU.csdata,"",@progbits
; Kernel info:
; codeLenInByte = 0
; TotalNumSgprs: 6
; NumVgprs: 0
; NumAgprs: 0
; TotalNumVgprs: 0
; ScratchSize: 0
; MemoryBound: 0
; FloatMode: 240
; IeeeMode: 1
; LDSByteSize: 0 bytes/workgroup (compile time only)
; SGPRBlocks: 0
; VGPRBlocks: 0
; NumSGPRsForWavesPerEU: 6
; NumVGPRsForWavesPerEU: 1
; AccumOffset: 4
; Occupancy: 8
; WaveLimiterHint : 0
; COMPUTE_PGM_RSRC2:SCRATCH_EN: 0
; COMPUTE_PGM_RSRC2:USER_SGPR: 2
; COMPUTE_PGM_RSRC2:TRAP_HANDLER: 0
; COMPUTE_PGM_RSRC2:TGID_X_EN: 1
; COMPUTE_PGM_RSRC2:TGID_Y_EN: 0
; COMPUTE_PGM_RSRC2:TGID_Z_EN: 0
; COMPUTE_PGM_RSRC2:TIDIG_COMP_CNT: 0
; COMPUTE_PGM_RSRC3_GFX90A:ACCUM_OFFSET: 0
; COMPUTE_PGM_RSRC3_GFX90A:TG_SPLIT: 0
	.section	.text._ZN7rocprim17ROCPRIM_400000_NS6detail17trampoline_kernelINS0_14default_configENS1_25transform_config_selectorIjLb0EEEZNS1_14transform_implILb0ES3_S5_N6thrust23THRUST_200600_302600_NS6detail15normal_iteratorINS8_10device_ptrIjEEEEPjNS0_8identityIjEEEE10hipError_tT2_T3_mT4_P12ihipStream_tbEUlT_E_NS1_11comp_targetILNS1_3genE0ELNS1_11target_archE4294967295ELNS1_3gpuE0ELNS1_3repE0EEENS1_30default_config_static_selectorELNS0_4arch9wavefront6targetE1EEEvT1_,"axG",@progbits,_ZN7rocprim17ROCPRIM_400000_NS6detail17trampoline_kernelINS0_14default_configENS1_25transform_config_selectorIjLb0EEEZNS1_14transform_implILb0ES3_S5_N6thrust23THRUST_200600_302600_NS6detail15normal_iteratorINS8_10device_ptrIjEEEEPjNS0_8identityIjEEEE10hipError_tT2_T3_mT4_P12ihipStream_tbEUlT_E_NS1_11comp_targetILNS1_3genE0ELNS1_11target_archE4294967295ELNS1_3gpuE0ELNS1_3repE0EEENS1_30default_config_static_selectorELNS0_4arch9wavefront6targetE1EEEvT1_,comdat
	.protected	_ZN7rocprim17ROCPRIM_400000_NS6detail17trampoline_kernelINS0_14default_configENS1_25transform_config_selectorIjLb0EEEZNS1_14transform_implILb0ES3_S5_N6thrust23THRUST_200600_302600_NS6detail15normal_iteratorINS8_10device_ptrIjEEEEPjNS0_8identityIjEEEE10hipError_tT2_T3_mT4_P12ihipStream_tbEUlT_E_NS1_11comp_targetILNS1_3genE0ELNS1_11target_archE4294967295ELNS1_3gpuE0ELNS1_3repE0EEENS1_30default_config_static_selectorELNS0_4arch9wavefront6targetE1EEEvT1_ ; -- Begin function _ZN7rocprim17ROCPRIM_400000_NS6detail17trampoline_kernelINS0_14default_configENS1_25transform_config_selectorIjLb0EEEZNS1_14transform_implILb0ES3_S5_N6thrust23THRUST_200600_302600_NS6detail15normal_iteratorINS8_10device_ptrIjEEEEPjNS0_8identityIjEEEE10hipError_tT2_T3_mT4_P12ihipStream_tbEUlT_E_NS1_11comp_targetILNS1_3genE0ELNS1_11target_archE4294967295ELNS1_3gpuE0ELNS1_3repE0EEENS1_30default_config_static_selectorELNS0_4arch9wavefront6targetE1EEEvT1_
	.globl	_ZN7rocprim17ROCPRIM_400000_NS6detail17trampoline_kernelINS0_14default_configENS1_25transform_config_selectorIjLb0EEEZNS1_14transform_implILb0ES3_S5_N6thrust23THRUST_200600_302600_NS6detail15normal_iteratorINS8_10device_ptrIjEEEEPjNS0_8identityIjEEEE10hipError_tT2_T3_mT4_P12ihipStream_tbEUlT_E_NS1_11comp_targetILNS1_3genE0ELNS1_11target_archE4294967295ELNS1_3gpuE0ELNS1_3repE0EEENS1_30default_config_static_selectorELNS0_4arch9wavefront6targetE1EEEvT1_
	.p2align	8
	.type	_ZN7rocprim17ROCPRIM_400000_NS6detail17trampoline_kernelINS0_14default_configENS1_25transform_config_selectorIjLb0EEEZNS1_14transform_implILb0ES3_S5_N6thrust23THRUST_200600_302600_NS6detail15normal_iteratorINS8_10device_ptrIjEEEEPjNS0_8identityIjEEEE10hipError_tT2_T3_mT4_P12ihipStream_tbEUlT_E_NS1_11comp_targetILNS1_3genE0ELNS1_11target_archE4294967295ELNS1_3gpuE0ELNS1_3repE0EEENS1_30default_config_static_selectorELNS0_4arch9wavefront6targetE1EEEvT1_,@function
_ZN7rocprim17ROCPRIM_400000_NS6detail17trampoline_kernelINS0_14default_configENS1_25transform_config_selectorIjLb0EEEZNS1_14transform_implILb0ES3_S5_N6thrust23THRUST_200600_302600_NS6detail15normal_iteratorINS8_10device_ptrIjEEEEPjNS0_8identityIjEEEE10hipError_tT2_T3_mT4_P12ihipStream_tbEUlT_E_NS1_11comp_targetILNS1_3genE0ELNS1_11target_archE4294967295ELNS1_3gpuE0ELNS1_3repE0EEENS1_30default_config_static_selectorELNS0_4arch9wavefront6targetE1EEEvT1_: ; @_ZN7rocprim17ROCPRIM_400000_NS6detail17trampoline_kernelINS0_14default_configENS1_25transform_config_selectorIjLb0EEEZNS1_14transform_implILb0ES3_S5_N6thrust23THRUST_200600_302600_NS6detail15normal_iteratorINS8_10device_ptrIjEEEEPjNS0_8identityIjEEEE10hipError_tT2_T3_mT4_P12ihipStream_tbEUlT_E_NS1_11comp_targetILNS1_3genE0ELNS1_11target_archE4294967295ELNS1_3gpuE0ELNS1_3repE0EEENS1_30default_config_static_selectorELNS0_4arch9wavefront6targetE1EEEvT1_
; %bb.0:
	s_load_dwordx8 s[4:11], s[0:1], 0x0
	s_load_dword s3, s[0:1], 0x28
	s_waitcnt lgkmcnt(0)
	s_lshl_b64 s[0:1], s[6:7], 2
	s_add_u32 s4, s4, s0
	s_addc_u32 s5, s5, s1
	s_add_u32 s9, s10, s0
	s_addc_u32 s12, s11, s1
	s_lshl_b32 s0, s2, 8
	s_mov_b32 s1, 0
	s_add_i32 s3, s3, -1
	s_lshl_b64 s[6:7], s[0:1], 2
	s_add_u32 s10, s4, s6
	s_addc_u32 s11, s5, s7
	s_cmp_lg_u32 s2, s3
	s_cbranch_scc0 .LBB742_2
; %bb.1:
	v_lshlrev_b32_e32 v2, 2, v0
	v_mov_b32_e32 v3, 0
	v_lshl_add_u64 v[4:5], s[10:11], 0, v[2:3]
	flat_load_dword v6, v[4:5]
	flat_load_dword v1, v[4:5] offset:512
	s_add_u32 s4, s9, s6
	s_addc_u32 s5, s12, s7
	v_lshl_add_u64 v[4:5], s[4:5], 0, v[2:3]
	s_waitcnt vmcnt(0) lgkmcnt(0)
	global_store_dword v2, v6, s[4:5]
	s_mov_b64 s[4:5], -1
	s_cbranch_execz .LBB742_3
	s_branch .LBB742_12
.LBB742_2:
	s_mov_b64 s[4:5], 0
                                        ; implicit-def: $vgpr1
                                        ; implicit-def: $vgpr4_vgpr5
.LBB742_3:
	s_sub_i32 s2, s8, s0
	v_mov_b32_e32 v2, 0
	v_cmp_gt_u32_e32 vcc, s2, v0
	v_mov_b32_e32 v3, v2
	s_and_saveexec_b64 s[0:1], vcc
	s_cbranch_execz .LBB742_5
; %bb.4:
	v_lshlrev_b32_e32 v4, 2, v0
	v_mov_b32_e32 v5, v2
	v_lshl_add_u64 v[4:5], s[10:11], 0, v[4:5]
	flat_load_dword v4, v[4:5]
	v_mov_b32_e32 v5, v2
	s_waitcnt vmcnt(0) lgkmcnt(0)
	v_mov_b64_e32 v[2:3], v[4:5]
.LBB742_5:
	s_or_b64 exec, exec, s[0:1]
	v_or_b32_e32 v1, 0x80, v0
	v_cmp_gt_u32_e64 s[0:1], s2, v1
	v_cmp_le_u32_e64 s[2:3], s2, v1
	s_and_saveexec_b64 s[14:15], s[2:3]
	s_xor_b64 s[2:3], exec, s[14:15]
	s_andn2_saveexec_b64 s[2:3], s[2:3]
	s_cbranch_execz .LBB742_7
; %bb.6:
	v_lshlrev_b32_e32 v4, 2, v0
	v_mov_b32_e32 v5, 0
	v_lshl_add_u64 v[4:5], s[10:11], 0, v[4:5]
	flat_load_dword v3, v[4:5] offset:512
.LBB742_7:
	s_or_b64 exec, exec, s[2:3]
	s_add_u32 s2, s9, s6
	v_mov_b32_e32 v5, 0
	s_addc_u32 s3, s12, s7
	v_lshlrev_b32_e32 v4, 2, v0
	v_cndmask_b32_e32 v1, 0, v2, vcc
	v_lshl_add_u64 v[4:5], s[2:3], 0, v[4:5]
	s_and_saveexec_b64 s[2:3], vcc
	s_cbranch_execz .LBB742_9
; %bb.8:
	global_store_dword v[4:5], v1, off
.LBB742_9:
	s_or_b64 exec, exec, s[2:3]
                                        ; implicit-def: $vgpr1
	s_and_saveexec_b64 s[2:3], s[0:1]
	s_cbranch_execz .LBB742_11
; %bb.10:
	s_waitcnt vmcnt(0) lgkmcnt(0)
	v_cndmask_b32_e64 v1, 0, v3, s[0:1]
	s_or_b64 s[4:5], s[4:5], exec
.LBB742_11:
	s_or_b64 exec, exec, s[2:3]
.LBB742_12:
	s_and_saveexec_b64 s[0:1], s[4:5]
	s_cbranch_execnz .LBB742_14
; %bb.13:
	s_endpgm
.LBB742_14:
	global_store_dword v[4:5], v1, off offset:512
	s_endpgm
	.section	.rodata,"a",@progbits
	.p2align	6, 0x0
	.amdhsa_kernel _ZN7rocprim17ROCPRIM_400000_NS6detail17trampoline_kernelINS0_14default_configENS1_25transform_config_selectorIjLb0EEEZNS1_14transform_implILb0ES3_S5_N6thrust23THRUST_200600_302600_NS6detail15normal_iteratorINS8_10device_ptrIjEEEEPjNS0_8identityIjEEEE10hipError_tT2_T3_mT4_P12ihipStream_tbEUlT_E_NS1_11comp_targetILNS1_3genE0ELNS1_11target_archE4294967295ELNS1_3gpuE0ELNS1_3repE0EEENS1_30default_config_static_selectorELNS0_4arch9wavefront6targetE1EEEvT1_
		.amdhsa_group_segment_fixed_size 0
		.amdhsa_private_segment_fixed_size 0
		.amdhsa_kernarg_size 296
		.amdhsa_user_sgpr_count 2
		.amdhsa_user_sgpr_dispatch_ptr 0
		.amdhsa_user_sgpr_queue_ptr 0
		.amdhsa_user_sgpr_kernarg_segment_ptr 1
		.amdhsa_user_sgpr_dispatch_id 0
		.amdhsa_user_sgpr_kernarg_preload_length 0
		.amdhsa_user_sgpr_kernarg_preload_offset 0
		.amdhsa_user_sgpr_private_segment_size 0
		.amdhsa_uses_dynamic_stack 0
		.amdhsa_enable_private_segment 0
		.amdhsa_system_sgpr_workgroup_id_x 1
		.amdhsa_system_sgpr_workgroup_id_y 0
		.amdhsa_system_sgpr_workgroup_id_z 0
		.amdhsa_system_sgpr_workgroup_info 0
		.amdhsa_system_vgpr_workitem_id 0
		.amdhsa_next_free_vgpr 7
		.amdhsa_next_free_sgpr 16
		.amdhsa_accum_offset 8
		.amdhsa_reserve_vcc 1
		.amdhsa_float_round_mode_32 0
		.amdhsa_float_round_mode_16_64 0
		.amdhsa_float_denorm_mode_32 3
		.amdhsa_float_denorm_mode_16_64 3
		.amdhsa_dx10_clamp 1
		.amdhsa_ieee_mode 1
		.amdhsa_fp16_overflow 0
		.amdhsa_tg_split 0
		.amdhsa_exception_fp_ieee_invalid_op 0
		.amdhsa_exception_fp_denorm_src 0
		.amdhsa_exception_fp_ieee_div_zero 0
		.amdhsa_exception_fp_ieee_overflow 0
		.amdhsa_exception_fp_ieee_underflow 0
		.amdhsa_exception_fp_ieee_inexact 0
		.amdhsa_exception_int_div_zero 0
	.end_amdhsa_kernel
	.section	.text._ZN7rocprim17ROCPRIM_400000_NS6detail17trampoline_kernelINS0_14default_configENS1_25transform_config_selectorIjLb0EEEZNS1_14transform_implILb0ES3_S5_N6thrust23THRUST_200600_302600_NS6detail15normal_iteratorINS8_10device_ptrIjEEEEPjNS0_8identityIjEEEE10hipError_tT2_T3_mT4_P12ihipStream_tbEUlT_E_NS1_11comp_targetILNS1_3genE0ELNS1_11target_archE4294967295ELNS1_3gpuE0ELNS1_3repE0EEENS1_30default_config_static_selectorELNS0_4arch9wavefront6targetE1EEEvT1_,"axG",@progbits,_ZN7rocprim17ROCPRIM_400000_NS6detail17trampoline_kernelINS0_14default_configENS1_25transform_config_selectorIjLb0EEEZNS1_14transform_implILb0ES3_S5_N6thrust23THRUST_200600_302600_NS6detail15normal_iteratorINS8_10device_ptrIjEEEEPjNS0_8identityIjEEEE10hipError_tT2_T3_mT4_P12ihipStream_tbEUlT_E_NS1_11comp_targetILNS1_3genE0ELNS1_11target_archE4294967295ELNS1_3gpuE0ELNS1_3repE0EEENS1_30default_config_static_selectorELNS0_4arch9wavefront6targetE1EEEvT1_,comdat
.Lfunc_end742:
	.size	_ZN7rocprim17ROCPRIM_400000_NS6detail17trampoline_kernelINS0_14default_configENS1_25transform_config_selectorIjLb0EEEZNS1_14transform_implILb0ES3_S5_N6thrust23THRUST_200600_302600_NS6detail15normal_iteratorINS8_10device_ptrIjEEEEPjNS0_8identityIjEEEE10hipError_tT2_T3_mT4_P12ihipStream_tbEUlT_E_NS1_11comp_targetILNS1_3genE0ELNS1_11target_archE4294967295ELNS1_3gpuE0ELNS1_3repE0EEENS1_30default_config_static_selectorELNS0_4arch9wavefront6targetE1EEEvT1_, .Lfunc_end742-_ZN7rocprim17ROCPRIM_400000_NS6detail17trampoline_kernelINS0_14default_configENS1_25transform_config_selectorIjLb0EEEZNS1_14transform_implILb0ES3_S5_N6thrust23THRUST_200600_302600_NS6detail15normal_iteratorINS8_10device_ptrIjEEEEPjNS0_8identityIjEEEE10hipError_tT2_T3_mT4_P12ihipStream_tbEUlT_E_NS1_11comp_targetILNS1_3genE0ELNS1_11target_archE4294967295ELNS1_3gpuE0ELNS1_3repE0EEENS1_30default_config_static_selectorELNS0_4arch9wavefront6targetE1EEEvT1_
                                        ; -- End function
	.set _ZN7rocprim17ROCPRIM_400000_NS6detail17trampoline_kernelINS0_14default_configENS1_25transform_config_selectorIjLb0EEEZNS1_14transform_implILb0ES3_S5_N6thrust23THRUST_200600_302600_NS6detail15normal_iteratorINS8_10device_ptrIjEEEEPjNS0_8identityIjEEEE10hipError_tT2_T3_mT4_P12ihipStream_tbEUlT_E_NS1_11comp_targetILNS1_3genE0ELNS1_11target_archE4294967295ELNS1_3gpuE0ELNS1_3repE0EEENS1_30default_config_static_selectorELNS0_4arch9wavefront6targetE1EEEvT1_.num_vgpr, 7
	.set _ZN7rocprim17ROCPRIM_400000_NS6detail17trampoline_kernelINS0_14default_configENS1_25transform_config_selectorIjLb0EEEZNS1_14transform_implILb0ES3_S5_N6thrust23THRUST_200600_302600_NS6detail15normal_iteratorINS8_10device_ptrIjEEEEPjNS0_8identityIjEEEE10hipError_tT2_T3_mT4_P12ihipStream_tbEUlT_E_NS1_11comp_targetILNS1_3genE0ELNS1_11target_archE4294967295ELNS1_3gpuE0ELNS1_3repE0EEENS1_30default_config_static_selectorELNS0_4arch9wavefront6targetE1EEEvT1_.num_agpr, 0
	.set _ZN7rocprim17ROCPRIM_400000_NS6detail17trampoline_kernelINS0_14default_configENS1_25transform_config_selectorIjLb0EEEZNS1_14transform_implILb0ES3_S5_N6thrust23THRUST_200600_302600_NS6detail15normal_iteratorINS8_10device_ptrIjEEEEPjNS0_8identityIjEEEE10hipError_tT2_T3_mT4_P12ihipStream_tbEUlT_E_NS1_11comp_targetILNS1_3genE0ELNS1_11target_archE4294967295ELNS1_3gpuE0ELNS1_3repE0EEENS1_30default_config_static_selectorELNS0_4arch9wavefront6targetE1EEEvT1_.numbered_sgpr, 16
	.set _ZN7rocprim17ROCPRIM_400000_NS6detail17trampoline_kernelINS0_14default_configENS1_25transform_config_selectorIjLb0EEEZNS1_14transform_implILb0ES3_S5_N6thrust23THRUST_200600_302600_NS6detail15normal_iteratorINS8_10device_ptrIjEEEEPjNS0_8identityIjEEEE10hipError_tT2_T3_mT4_P12ihipStream_tbEUlT_E_NS1_11comp_targetILNS1_3genE0ELNS1_11target_archE4294967295ELNS1_3gpuE0ELNS1_3repE0EEENS1_30default_config_static_selectorELNS0_4arch9wavefront6targetE1EEEvT1_.num_named_barrier, 0
	.set _ZN7rocprim17ROCPRIM_400000_NS6detail17trampoline_kernelINS0_14default_configENS1_25transform_config_selectorIjLb0EEEZNS1_14transform_implILb0ES3_S5_N6thrust23THRUST_200600_302600_NS6detail15normal_iteratorINS8_10device_ptrIjEEEEPjNS0_8identityIjEEEE10hipError_tT2_T3_mT4_P12ihipStream_tbEUlT_E_NS1_11comp_targetILNS1_3genE0ELNS1_11target_archE4294967295ELNS1_3gpuE0ELNS1_3repE0EEENS1_30default_config_static_selectorELNS0_4arch9wavefront6targetE1EEEvT1_.private_seg_size, 0
	.set _ZN7rocprim17ROCPRIM_400000_NS6detail17trampoline_kernelINS0_14default_configENS1_25transform_config_selectorIjLb0EEEZNS1_14transform_implILb0ES3_S5_N6thrust23THRUST_200600_302600_NS6detail15normal_iteratorINS8_10device_ptrIjEEEEPjNS0_8identityIjEEEE10hipError_tT2_T3_mT4_P12ihipStream_tbEUlT_E_NS1_11comp_targetILNS1_3genE0ELNS1_11target_archE4294967295ELNS1_3gpuE0ELNS1_3repE0EEENS1_30default_config_static_selectorELNS0_4arch9wavefront6targetE1EEEvT1_.uses_vcc, 1
	.set _ZN7rocprim17ROCPRIM_400000_NS6detail17trampoline_kernelINS0_14default_configENS1_25transform_config_selectorIjLb0EEEZNS1_14transform_implILb0ES3_S5_N6thrust23THRUST_200600_302600_NS6detail15normal_iteratorINS8_10device_ptrIjEEEEPjNS0_8identityIjEEEE10hipError_tT2_T3_mT4_P12ihipStream_tbEUlT_E_NS1_11comp_targetILNS1_3genE0ELNS1_11target_archE4294967295ELNS1_3gpuE0ELNS1_3repE0EEENS1_30default_config_static_selectorELNS0_4arch9wavefront6targetE1EEEvT1_.uses_flat_scratch, 0
	.set _ZN7rocprim17ROCPRIM_400000_NS6detail17trampoline_kernelINS0_14default_configENS1_25transform_config_selectorIjLb0EEEZNS1_14transform_implILb0ES3_S5_N6thrust23THRUST_200600_302600_NS6detail15normal_iteratorINS8_10device_ptrIjEEEEPjNS0_8identityIjEEEE10hipError_tT2_T3_mT4_P12ihipStream_tbEUlT_E_NS1_11comp_targetILNS1_3genE0ELNS1_11target_archE4294967295ELNS1_3gpuE0ELNS1_3repE0EEENS1_30default_config_static_selectorELNS0_4arch9wavefront6targetE1EEEvT1_.has_dyn_sized_stack, 0
	.set _ZN7rocprim17ROCPRIM_400000_NS6detail17trampoline_kernelINS0_14default_configENS1_25transform_config_selectorIjLb0EEEZNS1_14transform_implILb0ES3_S5_N6thrust23THRUST_200600_302600_NS6detail15normal_iteratorINS8_10device_ptrIjEEEEPjNS0_8identityIjEEEE10hipError_tT2_T3_mT4_P12ihipStream_tbEUlT_E_NS1_11comp_targetILNS1_3genE0ELNS1_11target_archE4294967295ELNS1_3gpuE0ELNS1_3repE0EEENS1_30default_config_static_selectorELNS0_4arch9wavefront6targetE1EEEvT1_.has_recursion, 0
	.set _ZN7rocprim17ROCPRIM_400000_NS6detail17trampoline_kernelINS0_14default_configENS1_25transform_config_selectorIjLb0EEEZNS1_14transform_implILb0ES3_S5_N6thrust23THRUST_200600_302600_NS6detail15normal_iteratorINS8_10device_ptrIjEEEEPjNS0_8identityIjEEEE10hipError_tT2_T3_mT4_P12ihipStream_tbEUlT_E_NS1_11comp_targetILNS1_3genE0ELNS1_11target_archE4294967295ELNS1_3gpuE0ELNS1_3repE0EEENS1_30default_config_static_selectorELNS0_4arch9wavefront6targetE1EEEvT1_.has_indirect_call, 0
	.section	.AMDGPU.csdata,"",@progbits
; Kernel info:
; codeLenInByte = 380
; TotalNumSgprs: 22
; NumVgprs: 7
; NumAgprs: 0
; TotalNumVgprs: 7
; ScratchSize: 0
; MemoryBound: 0
; FloatMode: 240
; IeeeMode: 1
; LDSByteSize: 0 bytes/workgroup (compile time only)
; SGPRBlocks: 2
; VGPRBlocks: 0
; NumSGPRsForWavesPerEU: 22
; NumVGPRsForWavesPerEU: 7
; AccumOffset: 8
; Occupancy: 8
; WaveLimiterHint : 1
; COMPUTE_PGM_RSRC2:SCRATCH_EN: 0
; COMPUTE_PGM_RSRC2:USER_SGPR: 2
; COMPUTE_PGM_RSRC2:TRAP_HANDLER: 0
; COMPUTE_PGM_RSRC2:TGID_X_EN: 1
; COMPUTE_PGM_RSRC2:TGID_Y_EN: 0
; COMPUTE_PGM_RSRC2:TGID_Z_EN: 0
; COMPUTE_PGM_RSRC2:TIDIG_COMP_CNT: 0
; COMPUTE_PGM_RSRC3_GFX90A:ACCUM_OFFSET: 1
; COMPUTE_PGM_RSRC3_GFX90A:TG_SPLIT: 0
	.section	.text._ZN7rocprim17ROCPRIM_400000_NS6detail17trampoline_kernelINS0_14default_configENS1_25transform_config_selectorIjLb0EEEZNS1_14transform_implILb0ES3_S5_N6thrust23THRUST_200600_302600_NS6detail15normal_iteratorINS8_10device_ptrIjEEEEPjNS0_8identityIjEEEE10hipError_tT2_T3_mT4_P12ihipStream_tbEUlT_E_NS1_11comp_targetILNS1_3genE5ELNS1_11target_archE942ELNS1_3gpuE9ELNS1_3repE0EEENS1_30default_config_static_selectorELNS0_4arch9wavefront6targetE1EEEvT1_,"axG",@progbits,_ZN7rocprim17ROCPRIM_400000_NS6detail17trampoline_kernelINS0_14default_configENS1_25transform_config_selectorIjLb0EEEZNS1_14transform_implILb0ES3_S5_N6thrust23THRUST_200600_302600_NS6detail15normal_iteratorINS8_10device_ptrIjEEEEPjNS0_8identityIjEEEE10hipError_tT2_T3_mT4_P12ihipStream_tbEUlT_E_NS1_11comp_targetILNS1_3genE5ELNS1_11target_archE942ELNS1_3gpuE9ELNS1_3repE0EEENS1_30default_config_static_selectorELNS0_4arch9wavefront6targetE1EEEvT1_,comdat
	.protected	_ZN7rocprim17ROCPRIM_400000_NS6detail17trampoline_kernelINS0_14default_configENS1_25transform_config_selectorIjLb0EEEZNS1_14transform_implILb0ES3_S5_N6thrust23THRUST_200600_302600_NS6detail15normal_iteratorINS8_10device_ptrIjEEEEPjNS0_8identityIjEEEE10hipError_tT2_T3_mT4_P12ihipStream_tbEUlT_E_NS1_11comp_targetILNS1_3genE5ELNS1_11target_archE942ELNS1_3gpuE9ELNS1_3repE0EEENS1_30default_config_static_selectorELNS0_4arch9wavefront6targetE1EEEvT1_ ; -- Begin function _ZN7rocprim17ROCPRIM_400000_NS6detail17trampoline_kernelINS0_14default_configENS1_25transform_config_selectorIjLb0EEEZNS1_14transform_implILb0ES3_S5_N6thrust23THRUST_200600_302600_NS6detail15normal_iteratorINS8_10device_ptrIjEEEEPjNS0_8identityIjEEEE10hipError_tT2_T3_mT4_P12ihipStream_tbEUlT_E_NS1_11comp_targetILNS1_3genE5ELNS1_11target_archE942ELNS1_3gpuE9ELNS1_3repE0EEENS1_30default_config_static_selectorELNS0_4arch9wavefront6targetE1EEEvT1_
	.globl	_ZN7rocprim17ROCPRIM_400000_NS6detail17trampoline_kernelINS0_14default_configENS1_25transform_config_selectorIjLb0EEEZNS1_14transform_implILb0ES3_S5_N6thrust23THRUST_200600_302600_NS6detail15normal_iteratorINS8_10device_ptrIjEEEEPjNS0_8identityIjEEEE10hipError_tT2_T3_mT4_P12ihipStream_tbEUlT_E_NS1_11comp_targetILNS1_3genE5ELNS1_11target_archE942ELNS1_3gpuE9ELNS1_3repE0EEENS1_30default_config_static_selectorELNS0_4arch9wavefront6targetE1EEEvT1_
	.p2align	8
	.type	_ZN7rocprim17ROCPRIM_400000_NS6detail17trampoline_kernelINS0_14default_configENS1_25transform_config_selectorIjLb0EEEZNS1_14transform_implILb0ES3_S5_N6thrust23THRUST_200600_302600_NS6detail15normal_iteratorINS8_10device_ptrIjEEEEPjNS0_8identityIjEEEE10hipError_tT2_T3_mT4_P12ihipStream_tbEUlT_E_NS1_11comp_targetILNS1_3genE5ELNS1_11target_archE942ELNS1_3gpuE9ELNS1_3repE0EEENS1_30default_config_static_selectorELNS0_4arch9wavefront6targetE1EEEvT1_,@function
_ZN7rocprim17ROCPRIM_400000_NS6detail17trampoline_kernelINS0_14default_configENS1_25transform_config_selectorIjLb0EEEZNS1_14transform_implILb0ES3_S5_N6thrust23THRUST_200600_302600_NS6detail15normal_iteratorINS8_10device_ptrIjEEEEPjNS0_8identityIjEEEE10hipError_tT2_T3_mT4_P12ihipStream_tbEUlT_E_NS1_11comp_targetILNS1_3genE5ELNS1_11target_archE942ELNS1_3gpuE9ELNS1_3repE0EEENS1_30default_config_static_selectorELNS0_4arch9wavefront6targetE1EEEvT1_: ; @_ZN7rocprim17ROCPRIM_400000_NS6detail17trampoline_kernelINS0_14default_configENS1_25transform_config_selectorIjLb0EEEZNS1_14transform_implILb0ES3_S5_N6thrust23THRUST_200600_302600_NS6detail15normal_iteratorINS8_10device_ptrIjEEEEPjNS0_8identityIjEEEE10hipError_tT2_T3_mT4_P12ihipStream_tbEUlT_E_NS1_11comp_targetILNS1_3genE5ELNS1_11target_archE942ELNS1_3gpuE9ELNS1_3repE0EEENS1_30default_config_static_selectorELNS0_4arch9wavefront6targetE1EEEvT1_
; %bb.0:
	.section	.rodata,"a",@progbits
	.p2align	6, 0x0
	.amdhsa_kernel _ZN7rocprim17ROCPRIM_400000_NS6detail17trampoline_kernelINS0_14default_configENS1_25transform_config_selectorIjLb0EEEZNS1_14transform_implILb0ES3_S5_N6thrust23THRUST_200600_302600_NS6detail15normal_iteratorINS8_10device_ptrIjEEEEPjNS0_8identityIjEEEE10hipError_tT2_T3_mT4_P12ihipStream_tbEUlT_E_NS1_11comp_targetILNS1_3genE5ELNS1_11target_archE942ELNS1_3gpuE9ELNS1_3repE0EEENS1_30default_config_static_selectorELNS0_4arch9wavefront6targetE1EEEvT1_
		.amdhsa_group_segment_fixed_size 0
		.amdhsa_private_segment_fixed_size 0
		.amdhsa_kernarg_size 40
		.amdhsa_user_sgpr_count 2
		.amdhsa_user_sgpr_dispatch_ptr 0
		.amdhsa_user_sgpr_queue_ptr 0
		.amdhsa_user_sgpr_kernarg_segment_ptr 1
		.amdhsa_user_sgpr_dispatch_id 0
		.amdhsa_user_sgpr_kernarg_preload_length 0
		.amdhsa_user_sgpr_kernarg_preload_offset 0
		.amdhsa_user_sgpr_private_segment_size 0
		.amdhsa_uses_dynamic_stack 0
		.amdhsa_enable_private_segment 0
		.amdhsa_system_sgpr_workgroup_id_x 1
		.amdhsa_system_sgpr_workgroup_id_y 0
		.amdhsa_system_sgpr_workgroup_id_z 0
		.amdhsa_system_sgpr_workgroup_info 0
		.amdhsa_system_vgpr_workitem_id 0
		.amdhsa_next_free_vgpr 1
		.amdhsa_next_free_sgpr 0
		.amdhsa_accum_offset 4
		.amdhsa_reserve_vcc 0
		.amdhsa_float_round_mode_32 0
		.amdhsa_float_round_mode_16_64 0
		.amdhsa_float_denorm_mode_32 3
		.amdhsa_float_denorm_mode_16_64 3
		.amdhsa_dx10_clamp 1
		.amdhsa_ieee_mode 1
		.amdhsa_fp16_overflow 0
		.amdhsa_tg_split 0
		.amdhsa_exception_fp_ieee_invalid_op 0
		.amdhsa_exception_fp_denorm_src 0
		.amdhsa_exception_fp_ieee_div_zero 0
		.amdhsa_exception_fp_ieee_overflow 0
		.amdhsa_exception_fp_ieee_underflow 0
		.amdhsa_exception_fp_ieee_inexact 0
		.amdhsa_exception_int_div_zero 0
	.end_amdhsa_kernel
	.section	.text._ZN7rocprim17ROCPRIM_400000_NS6detail17trampoline_kernelINS0_14default_configENS1_25transform_config_selectorIjLb0EEEZNS1_14transform_implILb0ES3_S5_N6thrust23THRUST_200600_302600_NS6detail15normal_iteratorINS8_10device_ptrIjEEEEPjNS0_8identityIjEEEE10hipError_tT2_T3_mT4_P12ihipStream_tbEUlT_E_NS1_11comp_targetILNS1_3genE5ELNS1_11target_archE942ELNS1_3gpuE9ELNS1_3repE0EEENS1_30default_config_static_selectorELNS0_4arch9wavefront6targetE1EEEvT1_,"axG",@progbits,_ZN7rocprim17ROCPRIM_400000_NS6detail17trampoline_kernelINS0_14default_configENS1_25transform_config_selectorIjLb0EEEZNS1_14transform_implILb0ES3_S5_N6thrust23THRUST_200600_302600_NS6detail15normal_iteratorINS8_10device_ptrIjEEEEPjNS0_8identityIjEEEE10hipError_tT2_T3_mT4_P12ihipStream_tbEUlT_E_NS1_11comp_targetILNS1_3genE5ELNS1_11target_archE942ELNS1_3gpuE9ELNS1_3repE0EEENS1_30default_config_static_selectorELNS0_4arch9wavefront6targetE1EEEvT1_,comdat
.Lfunc_end743:
	.size	_ZN7rocprim17ROCPRIM_400000_NS6detail17trampoline_kernelINS0_14default_configENS1_25transform_config_selectorIjLb0EEEZNS1_14transform_implILb0ES3_S5_N6thrust23THRUST_200600_302600_NS6detail15normal_iteratorINS8_10device_ptrIjEEEEPjNS0_8identityIjEEEE10hipError_tT2_T3_mT4_P12ihipStream_tbEUlT_E_NS1_11comp_targetILNS1_3genE5ELNS1_11target_archE942ELNS1_3gpuE9ELNS1_3repE0EEENS1_30default_config_static_selectorELNS0_4arch9wavefront6targetE1EEEvT1_, .Lfunc_end743-_ZN7rocprim17ROCPRIM_400000_NS6detail17trampoline_kernelINS0_14default_configENS1_25transform_config_selectorIjLb0EEEZNS1_14transform_implILb0ES3_S5_N6thrust23THRUST_200600_302600_NS6detail15normal_iteratorINS8_10device_ptrIjEEEEPjNS0_8identityIjEEEE10hipError_tT2_T3_mT4_P12ihipStream_tbEUlT_E_NS1_11comp_targetILNS1_3genE5ELNS1_11target_archE942ELNS1_3gpuE9ELNS1_3repE0EEENS1_30default_config_static_selectorELNS0_4arch9wavefront6targetE1EEEvT1_
                                        ; -- End function
	.set _ZN7rocprim17ROCPRIM_400000_NS6detail17trampoline_kernelINS0_14default_configENS1_25transform_config_selectorIjLb0EEEZNS1_14transform_implILb0ES3_S5_N6thrust23THRUST_200600_302600_NS6detail15normal_iteratorINS8_10device_ptrIjEEEEPjNS0_8identityIjEEEE10hipError_tT2_T3_mT4_P12ihipStream_tbEUlT_E_NS1_11comp_targetILNS1_3genE5ELNS1_11target_archE942ELNS1_3gpuE9ELNS1_3repE0EEENS1_30default_config_static_selectorELNS0_4arch9wavefront6targetE1EEEvT1_.num_vgpr, 0
	.set _ZN7rocprim17ROCPRIM_400000_NS6detail17trampoline_kernelINS0_14default_configENS1_25transform_config_selectorIjLb0EEEZNS1_14transform_implILb0ES3_S5_N6thrust23THRUST_200600_302600_NS6detail15normal_iteratorINS8_10device_ptrIjEEEEPjNS0_8identityIjEEEE10hipError_tT2_T3_mT4_P12ihipStream_tbEUlT_E_NS1_11comp_targetILNS1_3genE5ELNS1_11target_archE942ELNS1_3gpuE9ELNS1_3repE0EEENS1_30default_config_static_selectorELNS0_4arch9wavefront6targetE1EEEvT1_.num_agpr, 0
	.set _ZN7rocprim17ROCPRIM_400000_NS6detail17trampoline_kernelINS0_14default_configENS1_25transform_config_selectorIjLb0EEEZNS1_14transform_implILb0ES3_S5_N6thrust23THRUST_200600_302600_NS6detail15normal_iteratorINS8_10device_ptrIjEEEEPjNS0_8identityIjEEEE10hipError_tT2_T3_mT4_P12ihipStream_tbEUlT_E_NS1_11comp_targetILNS1_3genE5ELNS1_11target_archE942ELNS1_3gpuE9ELNS1_3repE0EEENS1_30default_config_static_selectorELNS0_4arch9wavefront6targetE1EEEvT1_.numbered_sgpr, 0
	.set _ZN7rocprim17ROCPRIM_400000_NS6detail17trampoline_kernelINS0_14default_configENS1_25transform_config_selectorIjLb0EEEZNS1_14transform_implILb0ES3_S5_N6thrust23THRUST_200600_302600_NS6detail15normal_iteratorINS8_10device_ptrIjEEEEPjNS0_8identityIjEEEE10hipError_tT2_T3_mT4_P12ihipStream_tbEUlT_E_NS1_11comp_targetILNS1_3genE5ELNS1_11target_archE942ELNS1_3gpuE9ELNS1_3repE0EEENS1_30default_config_static_selectorELNS0_4arch9wavefront6targetE1EEEvT1_.num_named_barrier, 0
	.set _ZN7rocprim17ROCPRIM_400000_NS6detail17trampoline_kernelINS0_14default_configENS1_25transform_config_selectorIjLb0EEEZNS1_14transform_implILb0ES3_S5_N6thrust23THRUST_200600_302600_NS6detail15normal_iteratorINS8_10device_ptrIjEEEEPjNS0_8identityIjEEEE10hipError_tT2_T3_mT4_P12ihipStream_tbEUlT_E_NS1_11comp_targetILNS1_3genE5ELNS1_11target_archE942ELNS1_3gpuE9ELNS1_3repE0EEENS1_30default_config_static_selectorELNS0_4arch9wavefront6targetE1EEEvT1_.private_seg_size, 0
	.set _ZN7rocprim17ROCPRIM_400000_NS6detail17trampoline_kernelINS0_14default_configENS1_25transform_config_selectorIjLb0EEEZNS1_14transform_implILb0ES3_S5_N6thrust23THRUST_200600_302600_NS6detail15normal_iteratorINS8_10device_ptrIjEEEEPjNS0_8identityIjEEEE10hipError_tT2_T3_mT4_P12ihipStream_tbEUlT_E_NS1_11comp_targetILNS1_3genE5ELNS1_11target_archE942ELNS1_3gpuE9ELNS1_3repE0EEENS1_30default_config_static_selectorELNS0_4arch9wavefront6targetE1EEEvT1_.uses_vcc, 0
	.set _ZN7rocprim17ROCPRIM_400000_NS6detail17trampoline_kernelINS0_14default_configENS1_25transform_config_selectorIjLb0EEEZNS1_14transform_implILb0ES3_S5_N6thrust23THRUST_200600_302600_NS6detail15normal_iteratorINS8_10device_ptrIjEEEEPjNS0_8identityIjEEEE10hipError_tT2_T3_mT4_P12ihipStream_tbEUlT_E_NS1_11comp_targetILNS1_3genE5ELNS1_11target_archE942ELNS1_3gpuE9ELNS1_3repE0EEENS1_30default_config_static_selectorELNS0_4arch9wavefront6targetE1EEEvT1_.uses_flat_scratch, 0
	.set _ZN7rocprim17ROCPRIM_400000_NS6detail17trampoline_kernelINS0_14default_configENS1_25transform_config_selectorIjLb0EEEZNS1_14transform_implILb0ES3_S5_N6thrust23THRUST_200600_302600_NS6detail15normal_iteratorINS8_10device_ptrIjEEEEPjNS0_8identityIjEEEE10hipError_tT2_T3_mT4_P12ihipStream_tbEUlT_E_NS1_11comp_targetILNS1_3genE5ELNS1_11target_archE942ELNS1_3gpuE9ELNS1_3repE0EEENS1_30default_config_static_selectorELNS0_4arch9wavefront6targetE1EEEvT1_.has_dyn_sized_stack, 0
	.set _ZN7rocprim17ROCPRIM_400000_NS6detail17trampoline_kernelINS0_14default_configENS1_25transform_config_selectorIjLb0EEEZNS1_14transform_implILb0ES3_S5_N6thrust23THRUST_200600_302600_NS6detail15normal_iteratorINS8_10device_ptrIjEEEEPjNS0_8identityIjEEEE10hipError_tT2_T3_mT4_P12ihipStream_tbEUlT_E_NS1_11comp_targetILNS1_3genE5ELNS1_11target_archE942ELNS1_3gpuE9ELNS1_3repE0EEENS1_30default_config_static_selectorELNS0_4arch9wavefront6targetE1EEEvT1_.has_recursion, 0
	.set _ZN7rocprim17ROCPRIM_400000_NS6detail17trampoline_kernelINS0_14default_configENS1_25transform_config_selectorIjLb0EEEZNS1_14transform_implILb0ES3_S5_N6thrust23THRUST_200600_302600_NS6detail15normal_iteratorINS8_10device_ptrIjEEEEPjNS0_8identityIjEEEE10hipError_tT2_T3_mT4_P12ihipStream_tbEUlT_E_NS1_11comp_targetILNS1_3genE5ELNS1_11target_archE942ELNS1_3gpuE9ELNS1_3repE0EEENS1_30default_config_static_selectorELNS0_4arch9wavefront6targetE1EEEvT1_.has_indirect_call, 0
	.section	.AMDGPU.csdata,"",@progbits
; Kernel info:
; codeLenInByte = 0
; TotalNumSgprs: 6
; NumVgprs: 0
; NumAgprs: 0
; TotalNumVgprs: 0
; ScratchSize: 0
; MemoryBound: 0
; FloatMode: 240
; IeeeMode: 1
; LDSByteSize: 0 bytes/workgroup (compile time only)
; SGPRBlocks: 0
; VGPRBlocks: 0
; NumSGPRsForWavesPerEU: 6
; NumVGPRsForWavesPerEU: 1
; AccumOffset: 4
; Occupancy: 8
; WaveLimiterHint : 0
; COMPUTE_PGM_RSRC2:SCRATCH_EN: 0
; COMPUTE_PGM_RSRC2:USER_SGPR: 2
; COMPUTE_PGM_RSRC2:TRAP_HANDLER: 0
; COMPUTE_PGM_RSRC2:TGID_X_EN: 1
; COMPUTE_PGM_RSRC2:TGID_Y_EN: 0
; COMPUTE_PGM_RSRC2:TGID_Z_EN: 0
; COMPUTE_PGM_RSRC2:TIDIG_COMP_CNT: 0
; COMPUTE_PGM_RSRC3_GFX90A:ACCUM_OFFSET: 0
; COMPUTE_PGM_RSRC3_GFX90A:TG_SPLIT: 0
	.section	.text._ZN7rocprim17ROCPRIM_400000_NS6detail17trampoline_kernelINS0_14default_configENS1_25transform_config_selectorIjLb0EEEZNS1_14transform_implILb0ES3_S5_N6thrust23THRUST_200600_302600_NS6detail15normal_iteratorINS8_10device_ptrIjEEEEPjNS0_8identityIjEEEE10hipError_tT2_T3_mT4_P12ihipStream_tbEUlT_E_NS1_11comp_targetILNS1_3genE4ELNS1_11target_archE910ELNS1_3gpuE8ELNS1_3repE0EEENS1_30default_config_static_selectorELNS0_4arch9wavefront6targetE1EEEvT1_,"axG",@progbits,_ZN7rocprim17ROCPRIM_400000_NS6detail17trampoline_kernelINS0_14default_configENS1_25transform_config_selectorIjLb0EEEZNS1_14transform_implILb0ES3_S5_N6thrust23THRUST_200600_302600_NS6detail15normal_iteratorINS8_10device_ptrIjEEEEPjNS0_8identityIjEEEE10hipError_tT2_T3_mT4_P12ihipStream_tbEUlT_E_NS1_11comp_targetILNS1_3genE4ELNS1_11target_archE910ELNS1_3gpuE8ELNS1_3repE0EEENS1_30default_config_static_selectorELNS0_4arch9wavefront6targetE1EEEvT1_,comdat
	.protected	_ZN7rocprim17ROCPRIM_400000_NS6detail17trampoline_kernelINS0_14default_configENS1_25transform_config_selectorIjLb0EEEZNS1_14transform_implILb0ES3_S5_N6thrust23THRUST_200600_302600_NS6detail15normal_iteratorINS8_10device_ptrIjEEEEPjNS0_8identityIjEEEE10hipError_tT2_T3_mT4_P12ihipStream_tbEUlT_E_NS1_11comp_targetILNS1_3genE4ELNS1_11target_archE910ELNS1_3gpuE8ELNS1_3repE0EEENS1_30default_config_static_selectorELNS0_4arch9wavefront6targetE1EEEvT1_ ; -- Begin function _ZN7rocprim17ROCPRIM_400000_NS6detail17trampoline_kernelINS0_14default_configENS1_25transform_config_selectorIjLb0EEEZNS1_14transform_implILb0ES3_S5_N6thrust23THRUST_200600_302600_NS6detail15normal_iteratorINS8_10device_ptrIjEEEEPjNS0_8identityIjEEEE10hipError_tT2_T3_mT4_P12ihipStream_tbEUlT_E_NS1_11comp_targetILNS1_3genE4ELNS1_11target_archE910ELNS1_3gpuE8ELNS1_3repE0EEENS1_30default_config_static_selectorELNS0_4arch9wavefront6targetE1EEEvT1_
	.globl	_ZN7rocprim17ROCPRIM_400000_NS6detail17trampoline_kernelINS0_14default_configENS1_25transform_config_selectorIjLb0EEEZNS1_14transform_implILb0ES3_S5_N6thrust23THRUST_200600_302600_NS6detail15normal_iteratorINS8_10device_ptrIjEEEEPjNS0_8identityIjEEEE10hipError_tT2_T3_mT4_P12ihipStream_tbEUlT_E_NS1_11comp_targetILNS1_3genE4ELNS1_11target_archE910ELNS1_3gpuE8ELNS1_3repE0EEENS1_30default_config_static_selectorELNS0_4arch9wavefront6targetE1EEEvT1_
	.p2align	8
	.type	_ZN7rocprim17ROCPRIM_400000_NS6detail17trampoline_kernelINS0_14default_configENS1_25transform_config_selectorIjLb0EEEZNS1_14transform_implILb0ES3_S5_N6thrust23THRUST_200600_302600_NS6detail15normal_iteratorINS8_10device_ptrIjEEEEPjNS0_8identityIjEEEE10hipError_tT2_T3_mT4_P12ihipStream_tbEUlT_E_NS1_11comp_targetILNS1_3genE4ELNS1_11target_archE910ELNS1_3gpuE8ELNS1_3repE0EEENS1_30default_config_static_selectorELNS0_4arch9wavefront6targetE1EEEvT1_,@function
_ZN7rocprim17ROCPRIM_400000_NS6detail17trampoline_kernelINS0_14default_configENS1_25transform_config_selectorIjLb0EEEZNS1_14transform_implILb0ES3_S5_N6thrust23THRUST_200600_302600_NS6detail15normal_iteratorINS8_10device_ptrIjEEEEPjNS0_8identityIjEEEE10hipError_tT2_T3_mT4_P12ihipStream_tbEUlT_E_NS1_11comp_targetILNS1_3genE4ELNS1_11target_archE910ELNS1_3gpuE8ELNS1_3repE0EEENS1_30default_config_static_selectorELNS0_4arch9wavefront6targetE1EEEvT1_: ; @_ZN7rocprim17ROCPRIM_400000_NS6detail17trampoline_kernelINS0_14default_configENS1_25transform_config_selectorIjLb0EEEZNS1_14transform_implILb0ES3_S5_N6thrust23THRUST_200600_302600_NS6detail15normal_iteratorINS8_10device_ptrIjEEEEPjNS0_8identityIjEEEE10hipError_tT2_T3_mT4_P12ihipStream_tbEUlT_E_NS1_11comp_targetILNS1_3genE4ELNS1_11target_archE910ELNS1_3gpuE8ELNS1_3repE0EEENS1_30default_config_static_selectorELNS0_4arch9wavefront6targetE1EEEvT1_
; %bb.0:
	.section	.rodata,"a",@progbits
	.p2align	6, 0x0
	.amdhsa_kernel _ZN7rocprim17ROCPRIM_400000_NS6detail17trampoline_kernelINS0_14default_configENS1_25transform_config_selectorIjLb0EEEZNS1_14transform_implILb0ES3_S5_N6thrust23THRUST_200600_302600_NS6detail15normal_iteratorINS8_10device_ptrIjEEEEPjNS0_8identityIjEEEE10hipError_tT2_T3_mT4_P12ihipStream_tbEUlT_E_NS1_11comp_targetILNS1_3genE4ELNS1_11target_archE910ELNS1_3gpuE8ELNS1_3repE0EEENS1_30default_config_static_selectorELNS0_4arch9wavefront6targetE1EEEvT1_
		.amdhsa_group_segment_fixed_size 0
		.amdhsa_private_segment_fixed_size 0
		.amdhsa_kernarg_size 40
		.amdhsa_user_sgpr_count 2
		.amdhsa_user_sgpr_dispatch_ptr 0
		.amdhsa_user_sgpr_queue_ptr 0
		.amdhsa_user_sgpr_kernarg_segment_ptr 1
		.amdhsa_user_sgpr_dispatch_id 0
		.amdhsa_user_sgpr_kernarg_preload_length 0
		.amdhsa_user_sgpr_kernarg_preload_offset 0
		.amdhsa_user_sgpr_private_segment_size 0
		.amdhsa_uses_dynamic_stack 0
		.amdhsa_enable_private_segment 0
		.amdhsa_system_sgpr_workgroup_id_x 1
		.amdhsa_system_sgpr_workgroup_id_y 0
		.amdhsa_system_sgpr_workgroup_id_z 0
		.amdhsa_system_sgpr_workgroup_info 0
		.amdhsa_system_vgpr_workitem_id 0
		.amdhsa_next_free_vgpr 1
		.amdhsa_next_free_sgpr 0
		.amdhsa_accum_offset 4
		.amdhsa_reserve_vcc 0
		.amdhsa_float_round_mode_32 0
		.amdhsa_float_round_mode_16_64 0
		.amdhsa_float_denorm_mode_32 3
		.amdhsa_float_denorm_mode_16_64 3
		.amdhsa_dx10_clamp 1
		.amdhsa_ieee_mode 1
		.amdhsa_fp16_overflow 0
		.amdhsa_tg_split 0
		.amdhsa_exception_fp_ieee_invalid_op 0
		.amdhsa_exception_fp_denorm_src 0
		.amdhsa_exception_fp_ieee_div_zero 0
		.amdhsa_exception_fp_ieee_overflow 0
		.amdhsa_exception_fp_ieee_underflow 0
		.amdhsa_exception_fp_ieee_inexact 0
		.amdhsa_exception_int_div_zero 0
	.end_amdhsa_kernel
	.section	.text._ZN7rocprim17ROCPRIM_400000_NS6detail17trampoline_kernelINS0_14default_configENS1_25transform_config_selectorIjLb0EEEZNS1_14transform_implILb0ES3_S5_N6thrust23THRUST_200600_302600_NS6detail15normal_iteratorINS8_10device_ptrIjEEEEPjNS0_8identityIjEEEE10hipError_tT2_T3_mT4_P12ihipStream_tbEUlT_E_NS1_11comp_targetILNS1_3genE4ELNS1_11target_archE910ELNS1_3gpuE8ELNS1_3repE0EEENS1_30default_config_static_selectorELNS0_4arch9wavefront6targetE1EEEvT1_,"axG",@progbits,_ZN7rocprim17ROCPRIM_400000_NS6detail17trampoline_kernelINS0_14default_configENS1_25transform_config_selectorIjLb0EEEZNS1_14transform_implILb0ES3_S5_N6thrust23THRUST_200600_302600_NS6detail15normal_iteratorINS8_10device_ptrIjEEEEPjNS0_8identityIjEEEE10hipError_tT2_T3_mT4_P12ihipStream_tbEUlT_E_NS1_11comp_targetILNS1_3genE4ELNS1_11target_archE910ELNS1_3gpuE8ELNS1_3repE0EEENS1_30default_config_static_selectorELNS0_4arch9wavefront6targetE1EEEvT1_,comdat
.Lfunc_end744:
	.size	_ZN7rocprim17ROCPRIM_400000_NS6detail17trampoline_kernelINS0_14default_configENS1_25transform_config_selectorIjLb0EEEZNS1_14transform_implILb0ES3_S5_N6thrust23THRUST_200600_302600_NS6detail15normal_iteratorINS8_10device_ptrIjEEEEPjNS0_8identityIjEEEE10hipError_tT2_T3_mT4_P12ihipStream_tbEUlT_E_NS1_11comp_targetILNS1_3genE4ELNS1_11target_archE910ELNS1_3gpuE8ELNS1_3repE0EEENS1_30default_config_static_selectorELNS0_4arch9wavefront6targetE1EEEvT1_, .Lfunc_end744-_ZN7rocprim17ROCPRIM_400000_NS6detail17trampoline_kernelINS0_14default_configENS1_25transform_config_selectorIjLb0EEEZNS1_14transform_implILb0ES3_S5_N6thrust23THRUST_200600_302600_NS6detail15normal_iteratorINS8_10device_ptrIjEEEEPjNS0_8identityIjEEEE10hipError_tT2_T3_mT4_P12ihipStream_tbEUlT_E_NS1_11comp_targetILNS1_3genE4ELNS1_11target_archE910ELNS1_3gpuE8ELNS1_3repE0EEENS1_30default_config_static_selectorELNS0_4arch9wavefront6targetE1EEEvT1_
                                        ; -- End function
	.set _ZN7rocprim17ROCPRIM_400000_NS6detail17trampoline_kernelINS0_14default_configENS1_25transform_config_selectorIjLb0EEEZNS1_14transform_implILb0ES3_S5_N6thrust23THRUST_200600_302600_NS6detail15normal_iteratorINS8_10device_ptrIjEEEEPjNS0_8identityIjEEEE10hipError_tT2_T3_mT4_P12ihipStream_tbEUlT_E_NS1_11comp_targetILNS1_3genE4ELNS1_11target_archE910ELNS1_3gpuE8ELNS1_3repE0EEENS1_30default_config_static_selectorELNS0_4arch9wavefront6targetE1EEEvT1_.num_vgpr, 0
	.set _ZN7rocprim17ROCPRIM_400000_NS6detail17trampoline_kernelINS0_14default_configENS1_25transform_config_selectorIjLb0EEEZNS1_14transform_implILb0ES3_S5_N6thrust23THRUST_200600_302600_NS6detail15normal_iteratorINS8_10device_ptrIjEEEEPjNS0_8identityIjEEEE10hipError_tT2_T3_mT4_P12ihipStream_tbEUlT_E_NS1_11comp_targetILNS1_3genE4ELNS1_11target_archE910ELNS1_3gpuE8ELNS1_3repE0EEENS1_30default_config_static_selectorELNS0_4arch9wavefront6targetE1EEEvT1_.num_agpr, 0
	.set _ZN7rocprim17ROCPRIM_400000_NS6detail17trampoline_kernelINS0_14default_configENS1_25transform_config_selectorIjLb0EEEZNS1_14transform_implILb0ES3_S5_N6thrust23THRUST_200600_302600_NS6detail15normal_iteratorINS8_10device_ptrIjEEEEPjNS0_8identityIjEEEE10hipError_tT2_T3_mT4_P12ihipStream_tbEUlT_E_NS1_11comp_targetILNS1_3genE4ELNS1_11target_archE910ELNS1_3gpuE8ELNS1_3repE0EEENS1_30default_config_static_selectorELNS0_4arch9wavefront6targetE1EEEvT1_.numbered_sgpr, 0
	.set _ZN7rocprim17ROCPRIM_400000_NS6detail17trampoline_kernelINS0_14default_configENS1_25transform_config_selectorIjLb0EEEZNS1_14transform_implILb0ES3_S5_N6thrust23THRUST_200600_302600_NS6detail15normal_iteratorINS8_10device_ptrIjEEEEPjNS0_8identityIjEEEE10hipError_tT2_T3_mT4_P12ihipStream_tbEUlT_E_NS1_11comp_targetILNS1_3genE4ELNS1_11target_archE910ELNS1_3gpuE8ELNS1_3repE0EEENS1_30default_config_static_selectorELNS0_4arch9wavefront6targetE1EEEvT1_.num_named_barrier, 0
	.set _ZN7rocprim17ROCPRIM_400000_NS6detail17trampoline_kernelINS0_14default_configENS1_25transform_config_selectorIjLb0EEEZNS1_14transform_implILb0ES3_S5_N6thrust23THRUST_200600_302600_NS6detail15normal_iteratorINS8_10device_ptrIjEEEEPjNS0_8identityIjEEEE10hipError_tT2_T3_mT4_P12ihipStream_tbEUlT_E_NS1_11comp_targetILNS1_3genE4ELNS1_11target_archE910ELNS1_3gpuE8ELNS1_3repE0EEENS1_30default_config_static_selectorELNS0_4arch9wavefront6targetE1EEEvT1_.private_seg_size, 0
	.set _ZN7rocprim17ROCPRIM_400000_NS6detail17trampoline_kernelINS0_14default_configENS1_25transform_config_selectorIjLb0EEEZNS1_14transform_implILb0ES3_S5_N6thrust23THRUST_200600_302600_NS6detail15normal_iteratorINS8_10device_ptrIjEEEEPjNS0_8identityIjEEEE10hipError_tT2_T3_mT4_P12ihipStream_tbEUlT_E_NS1_11comp_targetILNS1_3genE4ELNS1_11target_archE910ELNS1_3gpuE8ELNS1_3repE0EEENS1_30default_config_static_selectorELNS0_4arch9wavefront6targetE1EEEvT1_.uses_vcc, 0
	.set _ZN7rocprim17ROCPRIM_400000_NS6detail17trampoline_kernelINS0_14default_configENS1_25transform_config_selectorIjLb0EEEZNS1_14transform_implILb0ES3_S5_N6thrust23THRUST_200600_302600_NS6detail15normal_iteratorINS8_10device_ptrIjEEEEPjNS0_8identityIjEEEE10hipError_tT2_T3_mT4_P12ihipStream_tbEUlT_E_NS1_11comp_targetILNS1_3genE4ELNS1_11target_archE910ELNS1_3gpuE8ELNS1_3repE0EEENS1_30default_config_static_selectorELNS0_4arch9wavefront6targetE1EEEvT1_.uses_flat_scratch, 0
	.set _ZN7rocprim17ROCPRIM_400000_NS6detail17trampoline_kernelINS0_14default_configENS1_25transform_config_selectorIjLb0EEEZNS1_14transform_implILb0ES3_S5_N6thrust23THRUST_200600_302600_NS6detail15normal_iteratorINS8_10device_ptrIjEEEEPjNS0_8identityIjEEEE10hipError_tT2_T3_mT4_P12ihipStream_tbEUlT_E_NS1_11comp_targetILNS1_3genE4ELNS1_11target_archE910ELNS1_3gpuE8ELNS1_3repE0EEENS1_30default_config_static_selectorELNS0_4arch9wavefront6targetE1EEEvT1_.has_dyn_sized_stack, 0
	.set _ZN7rocprim17ROCPRIM_400000_NS6detail17trampoline_kernelINS0_14default_configENS1_25transform_config_selectorIjLb0EEEZNS1_14transform_implILb0ES3_S5_N6thrust23THRUST_200600_302600_NS6detail15normal_iteratorINS8_10device_ptrIjEEEEPjNS0_8identityIjEEEE10hipError_tT2_T3_mT4_P12ihipStream_tbEUlT_E_NS1_11comp_targetILNS1_3genE4ELNS1_11target_archE910ELNS1_3gpuE8ELNS1_3repE0EEENS1_30default_config_static_selectorELNS0_4arch9wavefront6targetE1EEEvT1_.has_recursion, 0
	.set _ZN7rocprim17ROCPRIM_400000_NS6detail17trampoline_kernelINS0_14default_configENS1_25transform_config_selectorIjLb0EEEZNS1_14transform_implILb0ES3_S5_N6thrust23THRUST_200600_302600_NS6detail15normal_iteratorINS8_10device_ptrIjEEEEPjNS0_8identityIjEEEE10hipError_tT2_T3_mT4_P12ihipStream_tbEUlT_E_NS1_11comp_targetILNS1_3genE4ELNS1_11target_archE910ELNS1_3gpuE8ELNS1_3repE0EEENS1_30default_config_static_selectorELNS0_4arch9wavefront6targetE1EEEvT1_.has_indirect_call, 0
	.section	.AMDGPU.csdata,"",@progbits
; Kernel info:
; codeLenInByte = 0
; TotalNumSgprs: 6
; NumVgprs: 0
; NumAgprs: 0
; TotalNumVgprs: 0
; ScratchSize: 0
; MemoryBound: 0
; FloatMode: 240
; IeeeMode: 1
; LDSByteSize: 0 bytes/workgroup (compile time only)
; SGPRBlocks: 0
; VGPRBlocks: 0
; NumSGPRsForWavesPerEU: 6
; NumVGPRsForWavesPerEU: 1
; AccumOffset: 4
; Occupancy: 8
; WaveLimiterHint : 0
; COMPUTE_PGM_RSRC2:SCRATCH_EN: 0
; COMPUTE_PGM_RSRC2:USER_SGPR: 2
; COMPUTE_PGM_RSRC2:TRAP_HANDLER: 0
; COMPUTE_PGM_RSRC2:TGID_X_EN: 1
; COMPUTE_PGM_RSRC2:TGID_Y_EN: 0
; COMPUTE_PGM_RSRC2:TGID_Z_EN: 0
; COMPUTE_PGM_RSRC2:TIDIG_COMP_CNT: 0
; COMPUTE_PGM_RSRC3_GFX90A:ACCUM_OFFSET: 0
; COMPUTE_PGM_RSRC3_GFX90A:TG_SPLIT: 0
	.section	.text._ZN7rocprim17ROCPRIM_400000_NS6detail17trampoline_kernelINS0_14default_configENS1_25transform_config_selectorIjLb0EEEZNS1_14transform_implILb0ES3_S5_N6thrust23THRUST_200600_302600_NS6detail15normal_iteratorINS8_10device_ptrIjEEEEPjNS0_8identityIjEEEE10hipError_tT2_T3_mT4_P12ihipStream_tbEUlT_E_NS1_11comp_targetILNS1_3genE3ELNS1_11target_archE908ELNS1_3gpuE7ELNS1_3repE0EEENS1_30default_config_static_selectorELNS0_4arch9wavefront6targetE1EEEvT1_,"axG",@progbits,_ZN7rocprim17ROCPRIM_400000_NS6detail17trampoline_kernelINS0_14default_configENS1_25transform_config_selectorIjLb0EEEZNS1_14transform_implILb0ES3_S5_N6thrust23THRUST_200600_302600_NS6detail15normal_iteratorINS8_10device_ptrIjEEEEPjNS0_8identityIjEEEE10hipError_tT2_T3_mT4_P12ihipStream_tbEUlT_E_NS1_11comp_targetILNS1_3genE3ELNS1_11target_archE908ELNS1_3gpuE7ELNS1_3repE0EEENS1_30default_config_static_selectorELNS0_4arch9wavefront6targetE1EEEvT1_,comdat
	.protected	_ZN7rocprim17ROCPRIM_400000_NS6detail17trampoline_kernelINS0_14default_configENS1_25transform_config_selectorIjLb0EEEZNS1_14transform_implILb0ES3_S5_N6thrust23THRUST_200600_302600_NS6detail15normal_iteratorINS8_10device_ptrIjEEEEPjNS0_8identityIjEEEE10hipError_tT2_T3_mT4_P12ihipStream_tbEUlT_E_NS1_11comp_targetILNS1_3genE3ELNS1_11target_archE908ELNS1_3gpuE7ELNS1_3repE0EEENS1_30default_config_static_selectorELNS0_4arch9wavefront6targetE1EEEvT1_ ; -- Begin function _ZN7rocprim17ROCPRIM_400000_NS6detail17trampoline_kernelINS0_14default_configENS1_25transform_config_selectorIjLb0EEEZNS1_14transform_implILb0ES3_S5_N6thrust23THRUST_200600_302600_NS6detail15normal_iteratorINS8_10device_ptrIjEEEEPjNS0_8identityIjEEEE10hipError_tT2_T3_mT4_P12ihipStream_tbEUlT_E_NS1_11comp_targetILNS1_3genE3ELNS1_11target_archE908ELNS1_3gpuE7ELNS1_3repE0EEENS1_30default_config_static_selectorELNS0_4arch9wavefront6targetE1EEEvT1_
	.globl	_ZN7rocprim17ROCPRIM_400000_NS6detail17trampoline_kernelINS0_14default_configENS1_25transform_config_selectorIjLb0EEEZNS1_14transform_implILb0ES3_S5_N6thrust23THRUST_200600_302600_NS6detail15normal_iteratorINS8_10device_ptrIjEEEEPjNS0_8identityIjEEEE10hipError_tT2_T3_mT4_P12ihipStream_tbEUlT_E_NS1_11comp_targetILNS1_3genE3ELNS1_11target_archE908ELNS1_3gpuE7ELNS1_3repE0EEENS1_30default_config_static_selectorELNS0_4arch9wavefront6targetE1EEEvT1_
	.p2align	8
	.type	_ZN7rocprim17ROCPRIM_400000_NS6detail17trampoline_kernelINS0_14default_configENS1_25transform_config_selectorIjLb0EEEZNS1_14transform_implILb0ES3_S5_N6thrust23THRUST_200600_302600_NS6detail15normal_iteratorINS8_10device_ptrIjEEEEPjNS0_8identityIjEEEE10hipError_tT2_T3_mT4_P12ihipStream_tbEUlT_E_NS1_11comp_targetILNS1_3genE3ELNS1_11target_archE908ELNS1_3gpuE7ELNS1_3repE0EEENS1_30default_config_static_selectorELNS0_4arch9wavefront6targetE1EEEvT1_,@function
_ZN7rocprim17ROCPRIM_400000_NS6detail17trampoline_kernelINS0_14default_configENS1_25transform_config_selectorIjLb0EEEZNS1_14transform_implILb0ES3_S5_N6thrust23THRUST_200600_302600_NS6detail15normal_iteratorINS8_10device_ptrIjEEEEPjNS0_8identityIjEEEE10hipError_tT2_T3_mT4_P12ihipStream_tbEUlT_E_NS1_11comp_targetILNS1_3genE3ELNS1_11target_archE908ELNS1_3gpuE7ELNS1_3repE0EEENS1_30default_config_static_selectorELNS0_4arch9wavefront6targetE1EEEvT1_: ; @_ZN7rocprim17ROCPRIM_400000_NS6detail17trampoline_kernelINS0_14default_configENS1_25transform_config_selectorIjLb0EEEZNS1_14transform_implILb0ES3_S5_N6thrust23THRUST_200600_302600_NS6detail15normal_iteratorINS8_10device_ptrIjEEEEPjNS0_8identityIjEEEE10hipError_tT2_T3_mT4_P12ihipStream_tbEUlT_E_NS1_11comp_targetILNS1_3genE3ELNS1_11target_archE908ELNS1_3gpuE7ELNS1_3repE0EEENS1_30default_config_static_selectorELNS0_4arch9wavefront6targetE1EEEvT1_
; %bb.0:
	.section	.rodata,"a",@progbits
	.p2align	6, 0x0
	.amdhsa_kernel _ZN7rocprim17ROCPRIM_400000_NS6detail17trampoline_kernelINS0_14default_configENS1_25transform_config_selectorIjLb0EEEZNS1_14transform_implILb0ES3_S5_N6thrust23THRUST_200600_302600_NS6detail15normal_iteratorINS8_10device_ptrIjEEEEPjNS0_8identityIjEEEE10hipError_tT2_T3_mT4_P12ihipStream_tbEUlT_E_NS1_11comp_targetILNS1_3genE3ELNS1_11target_archE908ELNS1_3gpuE7ELNS1_3repE0EEENS1_30default_config_static_selectorELNS0_4arch9wavefront6targetE1EEEvT1_
		.amdhsa_group_segment_fixed_size 0
		.amdhsa_private_segment_fixed_size 0
		.amdhsa_kernarg_size 40
		.amdhsa_user_sgpr_count 2
		.amdhsa_user_sgpr_dispatch_ptr 0
		.amdhsa_user_sgpr_queue_ptr 0
		.amdhsa_user_sgpr_kernarg_segment_ptr 1
		.amdhsa_user_sgpr_dispatch_id 0
		.amdhsa_user_sgpr_kernarg_preload_length 0
		.amdhsa_user_sgpr_kernarg_preload_offset 0
		.amdhsa_user_sgpr_private_segment_size 0
		.amdhsa_uses_dynamic_stack 0
		.amdhsa_enable_private_segment 0
		.amdhsa_system_sgpr_workgroup_id_x 1
		.amdhsa_system_sgpr_workgroup_id_y 0
		.amdhsa_system_sgpr_workgroup_id_z 0
		.amdhsa_system_sgpr_workgroup_info 0
		.amdhsa_system_vgpr_workitem_id 0
		.amdhsa_next_free_vgpr 1
		.amdhsa_next_free_sgpr 0
		.amdhsa_accum_offset 4
		.amdhsa_reserve_vcc 0
		.amdhsa_float_round_mode_32 0
		.amdhsa_float_round_mode_16_64 0
		.amdhsa_float_denorm_mode_32 3
		.amdhsa_float_denorm_mode_16_64 3
		.amdhsa_dx10_clamp 1
		.amdhsa_ieee_mode 1
		.amdhsa_fp16_overflow 0
		.amdhsa_tg_split 0
		.amdhsa_exception_fp_ieee_invalid_op 0
		.amdhsa_exception_fp_denorm_src 0
		.amdhsa_exception_fp_ieee_div_zero 0
		.amdhsa_exception_fp_ieee_overflow 0
		.amdhsa_exception_fp_ieee_underflow 0
		.amdhsa_exception_fp_ieee_inexact 0
		.amdhsa_exception_int_div_zero 0
	.end_amdhsa_kernel
	.section	.text._ZN7rocprim17ROCPRIM_400000_NS6detail17trampoline_kernelINS0_14default_configENS1_25transform_config_selectorIjLb0EEEZNS1_14transform_implILb0ES3_S5_N6thrust23THRUST_200600_302600_NS6detail15normal_iteratorINS8_10device_ptrIjEEEEPjNS0_8identityIjEEEE10hipError_tT2_T3_mT4_P12ihipStream_tbEUlT_E_NS1_11comp_targetILNS1_3genE3ELNS1_11target_archE908ELNS1_3gpuE7ELNS1_3repE0EEENS1_30default_config_static_selectorELNS0_4arch9wavefront6targetE1EEEvT1_,"axG",@progbits,_ZN7rocprim17ROCPRIM_400000_NS6detail17trampoline_kernelINS0_14default_configENS1_25transform_config_selectorIjLb0EEEZNS1_14transform_implILb0ES3_S5_N6thrust23THRUST_200600_302600_NS6detail15normal_iteratorINS8_10device_ptrIjEEEEPjNS0_8identityIjEEEE10hipError_tT2_T3_mT4_P12ihipStream_tbEUlT_E_NS1_11comp_targetILNS1_3genE3ELNS1_11target_archE908ELNS1_3gpuE7ELNS1_3repE0EEENS1_30default_config_static_selectorELNS0_4arch9wavefront6targetE1EEEvT1_,comdat
.Lfunc_end745:
	.size	_ZN7rocprim17ROCPRIM_400000_NS6detail17trampoline_kernelINS0_14default_configENS1_25transform_config_selectorIjLb0EEEZNS1_14transform_implILb0ES3_S5_N6thrust23THRUST_200600_302600_NS6detail15normal_iteratorINS8_10device_ptrIjEEEEPjNS0_8identityIjEEEE10hipError_tT2_T3_mT4_P12ihipStream_tbEUlT_E_NS1_11comp_targetILNS1_3genE3ELNS1_11target_archE908ELNS1_3gpuE7ELNS1_3repE0EEENS1_30default_config_static_selectorELNS0_4arch9wavefront6targetE1EEEvT1_, .Lfunc_end745-_ZN7rocprim17ROCPRIM_400000_NS6detail17trampoline_kernelINS0_14default_configENS1_25transform_config_selectorIjLb0EEEZNS1_14transform_implILb0ES3_S5_N6thrust23THRUST_200600_302600_NS6detail15normal_iteratorINS8_10device_ptrIjEEEEPjNS0_8identityIjEEEE10hipError_tT2_T3_mT4_P12ihipStream_tbEUlT_E_NS1_11comp_targetILNS1_3genE3ELNS1_11target_archE908ELNS1_3gpuE7ELNS1_3repE0EEENS1_30default_config_static_selectorELNS0_4arch9wavefront6targetE1EEEvT1_
                                        ; -- End function
	.set _ZN7rocprim17ROCPRIM_400000_NS6detail17trampoline_kernelINS0_14default_configENS1_25transform_config_selectorIjLb0EEEZNS1_14transform_implILb0ES3_S5_N6thrust23THRUST_200600_302600_NS6detail15normal_iteratorINS8_10device_ptrIjEEEEPjNS0_8identityIjEEEE10hipError_tT2_T3_mT4_P12ihipStream_tbEUlT_E_NS1_11comp_targetILNS1_3genE3ELNS1_11target_archE908ELNS1_3gpuE7ELNS1_3repE0EEENS1_30default_config_static_selectorELNS0_4arch9wavefront6targetE1EEEvT1_.num_vgpr, 0
	.set _ZN7rocprim17ROCPRIM_400000_NS6detail17trampoline_kernelINS0_14default_configENS1_25transform_config_selectorIjLb0EEEZNS1_14transform_implILb0ES3_S5_N6thrust23THRUST_200600_302600_NS6detail15normal_iteratorINS8_10device_ptrIjEEEEPjNS0_8identityIjEEEE10hipError_tT2_T3_mT4_P12ihipStream_tbEUlT_E_NS1_11comp_targetILNS1_3genE3ELNS1_11target_archE908ELNS1_3gpuE7ELNS1_3repE0EEENS1_30default_config_static_selectorELNS0_4arch9wavefront6targetE1EEEvT1_.num_agpr, 0
	.set _ZN7rocprim17ROCPRIM_400000_NS6detail17trampoline_kernelINS0_14default_configENS1_25transform_config_selectorIjLb0EEEZNS1_14transform_implILb0ES3_S5_N6thrust23THRUST_200600_302600_NS6detail15normal_iteratorINS8_10device_ptrIjEEEEPjNS0_8identityIjEEEE10hipError_tT2_T3_mT4_P12ihipStream_tbEUlT_E_NS1_11comp_targetILNS1_3genE3ELNS1_11target_archE908ELNS1_3gpuE7ELNS1_3repE0EEENS1_30default_config_static_selectorELNS0_4arch9wavefront6targetE1EEEvT1_.numbered_sgpr, 0
	.set _ZN7rocprim17ROCPRIM_400000_NS6detail17trampoline_kernelINS0_14default_configENS1_25transform_config_selectorIjLb0EEEZNS1_14transform_implILb0ES3_S5_N6thrust23THRUST_200600_302600_NS6detail15normal_iteratorINS8_10device_ptrIjEEEEPjNS0_8identityIjEEEE10hipError_tT2_T3_mT4_P12ihipStream_tbEUlT_E_NS1_11comp_targetILNS1_3genE3ELNS1_11target_archE908ELNS1_3gpuE7ELNS1_3repE0EEENS1_30default_config_static_selectorELNS0_4arch9wavefront6targetE1EEEvT1_.num_named_barrier, 0
	.set _ZN7rocprim17ROCPRIM_400000_NS6detail17trampoline_kernelINS0_14default_configENS1_25transform_config_selectorIjLb0EEEZNS1_14transform_implILb0ES3_S5_N6thrust23THRUST_200600_302600_NS6detail15normal_iteratorINS8_10device_ptrIjEEEEPjNS0_8identityIjEEEE10hipError_tT2_T3_mT4_P12ihipStream_tbEUlT_E_NS1_11comp_targetILNS1_3genE3ELNS1_11target_archE908ELNS1_3gpuE7ELNS1_3repE0EEENS1_30default_config_static_selectorELNS0_4arch9wavefront6targetE1EEEvT1_.private_seg_size, 0
	.set _ZN7rocprim17ROCPRIM_400000_NS6detail17trampoline_kernelINS0_14default_configENS1_25transform_config_selectorIjLb0EEEZNS1_14transform_implILb0ES3_S5_N6thrust23THRUST_200600_302600_NS6detail15normal_iteratorINS8_10device_ptrIjEEEEPjNS0_8identityIjEEEE10hipError_tT2_T3_mT4_P12ihipStream_tbEUlT_E_NS1_11comp_targetILNS1_3genE3ELNS1_11target_archE908ELNS1_3gpuE7ELNS1_3repE0EEENS1_30default_config_static_selectorELNS0_4arch9wavefront6targetE1EEEvT1_.uses_vcc, 0
	.set _ZN7rocprim17ROCPRIM_400000_NS6detail17trampoline_kernelINS0_14default_configENS1_25transform_config_selectorIjLb0EEEZNS1_14transform_implILb0ES3_S5_N6thrust23THRUST_200600_302600_NS6detail15normal_iteratorINS8_10device_ptrIjEEEEPjNS0_8identityIjEEEE10hipError_tT2_T3_mT4_P12ihipStream_tbEUlT_E_NS1_11comp_targetILNS1_3genE3ELNS1_11target_archE908ELNS1_3gpuE7ELNS1_3repE0EEENS1_30default_config_static_selectorELNS0_4arch9wavefront6targetE1EEEvT1_.uses_flat_scratch, 0
	.set _ZN7rocprim17ROCPRIM_400000_NS6detail17trampoline_kernelINS0_14default_configENS1_25transform_config_selectorIjLb0EEEZNS1_14transform_implILb0ES3_S5_N6thrust23THRUST_200600_302600_NS6detail15normal_iteratorINS8_10device_ptrIjEEEEPjNS0_8identityIjEEEE10hipError_tT2_T3_mT4_P12ihipStream_tbEUlT_E_NS1_11comp_targetILNS1_3genE3ELNS1_11target_archE908ELNS1_3gpuE7ELNS1_3repE0EEENS1_30default_config_static_selectorELNS0_4arch9wavefront6targetE1EEEvT1_.has_dyn_sized_stack, 0
	.set _ZN7rocprim17ROCPRIM_400000_NS6detail17trampoline_kernelINS0_14default_configENS1_25transform_config_selectorIjLb0EEEZNS1_14transform_implILb0ES3_S5_N6thrust23THRUST_200600_302600_NS6detail15normal_iteratorINS8_10device_ptrIjEEEEPjNS0_8identityIjEEEE10hipError_tT2_T3_mT4_P12ihipStream_tbEUlT_E_NS1_11comp_targetILNS1_3genE3ELNS1_11target_archE908ELNS1_3gpuE7ELNS1_3repE0EEENS1_30default_config_static_selectorELNS0_4arch9wavefront6targetE1EEEvT1_.has_recursion, 0
	.set _ZN7rocprim17ROCPRIM_400000_NS6detail17trampoline_kernelINS0_14default_configENS1_25transform_config_selectorIjLb0EEEZNS1_14transform_implILb0ES3_S5_N6thrust23THRUST_200600_302600_NS6detail15normal_iteratorINS8_10device_ptrIjEEEEPjNS0_8identityIjEEEE10hipError_tT2_T3_mT4_P12ihipStream_tbEUlT_E_NS1_11comp_targetILNS1_3genE3ELNS1_11target_archE908ELNS1_3gpuE7ELNS1_3repE0EEENS1_30default_config_static_selectorELNS0_4arch9wavefront6targetE1EEEvT1_.has_indirect_call, 0
	.section	.AMDGPU.csdata,"",@progbits
; Kernel info:
; codeLenInByte = 0
; TotalNumSgprs: 6
; NumVgprs: 0
; NumAgprs: 0
; TotalNumVgprs: 0
; ScratchSize: 0
; MemoryBound: 0
; FloatMode: 240
; IeeeMode: 1
; LDSByteSize: 0 bytes/workgroup (compile time only)
; SGPRBlocks: 0
; VGPRBlocks: 0
; NumSGPRsForWavesPerEU: 6
; NumVGPRsForWavesPerEU: 1
; AccumOffset: 4
; Occupancy: 8
; WaveLimiterHint : 0
; COMPUTE_PGM_RSRC2:SCRATCH_EN: 0
; COMPUTE_PGM_RSRC2:USER_SGPR: 2
; COMPUTE_PGM_RSRC2:TRAP_HANDLER: 0
; COMPUTE_PGM_RSRC2:TGID_X_EN: 1
; COMPUTE_PGM_RSRC2:TGID_Y_EN: 0
; COMPUTE_PGM_RSRC2:TGID_Z_EN: 0
; COMPUTE_PGM_RSRC2:TIDIG_COMP_CNT: 0
; COMPUTE_PGM_RSRC3_GFX90A:ACCUM_OFFSET: 0
; COMPUTE_PGM_RSRC3_GFX90A:TG_SPLIT: 0
	.section	.text._ZN7rocprim17ROCPRIM_400000_NS6detail17trampoline_kernelINS0_14default_configENS1_25transform_config_selectorIjLb0EEEZNS1_14transform_implILb0ES3_S5_N6thrust23THRUST_200600_302600_NS6detail15normal_iteratorINS8_10device_ptrIjEEEEPjNS0_8identityIjEEEE10hipError_tT2_T3_mT4_P12ihipStream_tbEUlT_E_NS1_11comp_targetILNS1_3genE2ELNS1_11target_archE906ELNS1_3gpuE6ELNS1_3repE0EEENS1_30default_config_static_selectorELNS0_4arch9wavefront6targetE1EEEvT1_,"axG",@progbits,_ZN7rocprim17ROCPRIM_400000_NS6detail17trampoline_kernelINS0_14default_configENS1_25transform_config_selectorIjLb0EEEZNS1_14transform_implILb0ES3_S5_N6thrust23THRUST_200600_302600_NS6detail15normal_iteratorINS8_10device_ptrIjEEEEPjNS0_8identityIjEEEE10hipError_tT2_T3_mT4_P12ihipStream_tbEUlT_E_NS1_11comp_targetILNS1_3genE2ELNS1_11target_archE906ELNS1_3gpuE6ELNS1_3repE0EEENS1_30default_config_static_selectorELNS0_4arch9wavefront6targetE1EEEvT1_,comdat
	.protected	_ZN7rocprim17ROCPRIM_400000_NS6detail17trampoline_kernelINS0_14default_configENS1_25transform_config_selectorIjLb0EEEZNS1_14transform_implILb0ES3_S5_N6thrust23THRUST_200600_302600_NS6detail15normal_iteratorINS8_10device_ptrIjEEEEPjNS0_8identityIjEEEE10hipError_tT2_T3_mT4_P12ihipStream_tbEUlT_E_NS1_11comp_targetILNS1_3genE2ELNS1_11target_archE906ELNS1_3gpuE6ELNS1_3repE0EEENS1_30default_config_static_selectorELNS0_4arch9wavefront6targetE1EEEvT1_ ; -- Begin function _ZN7rocprim17ROCPRIM_400000_NS6detail17trampoline_kernelINS0_14default_configENS1_25transform_config_selectorIjLb0EEEZNS1_14transform_implILb0ES3_S5_N6thrust23THRUST_200600_302600_NS6detail15normal_iteratorINS8_10device_ptrIjEEEEPjNS0_8identityIjEEEE10hipError_tT2_T3_mT4_P12ihipStream_tbEUlT_E_NS1_11comp_targetILNS1_3genE2ELNS1_11target_archE906ELNS1_3gpuE6ELNS1_3repE0EEENS1_30default_config_static_selectorELNS0_4arch9wavefront6targetE1EEEvT1_
	.globl	_ZN7rocprim17ROCPRIM_400000_NS6detail17trampoline_kernelINS0_14default_configENS1_25transform_config_selectorIjLb0EEEZNS1_14transform_implILb0ES3_S5_N6thrust23THRUST_200600_302600_NS6detail15normal_iteratorINS8_10device_ptrIjEEEEPjNS0_8identityIjEEEE10hipError_tT2_T3_mT4_P12ihipStream_tbEUlT_E_NS1_11comp_targetILNS1_3genE2ELNS1_11target_archE906ELNS1_3gpuE6ELNS1_3repE0EEENS1_30default_config_static_selectorELNS0_4arch9wavefront6targetE1EEEvT1_
	.p2align	8
	.type	_ZN7rocprim17ROCPRIM_400000_NS6detail17trampoline_kernelINS0_14default_configENS1_25transform_config_selectorIjLb0EEEZNS1_14transform_implILb0ES3_S5_N6thrust23THRUST_200600_302600_NS6detail15normal_iteratorINS8_10device_ptrIjEEEEPjNS0_8identityIjEEEE10hipError_tT2_T3_mT4_P12ihipStream_tbEUlT_E_NS1_11comp_targetILNS1_3genE2ELNS1_11target_archE906ELNS1_3gpuE6ELNS1_3repE0EEENS1_30default_config_static_selectorELNS0_4arch9wavefront6targetE1EEEvT1_,@function
_ZN7rocprim17ROCPRIM_400000_NS6detail17trampoline_kernelINS0_14default_configENS1_25transform_config_selectorIjLb0EEEZNS1_14transform_implILb0ES3_S5_N6thrust23THRUST_200600_302600_NS6detail15normal_iteratorINS8_10device_ptrIjEEEEPjNS0_8identityIjEEEE10hipError_tT2_T3_mT4_P12ihipStream_tbEUlT_E_NS1_11comp_targetILNS1_3genE2ELNS1_11target_archE906ELNS1_3gpuE6ELNS1_3repE0EEENS1_30default_config_static_selectorELNS0_4arch9wavefront6targetE1EEEvT1_: ; @_ZN7rocprim17ROCPRIM_400000_NS6detail17trampoline_kernelINS0_14default_configENS1_25transform_config_selectorIjLb0EEEZNS1_14transform_implILb0ES3_S5_N6thrust23THRUST_200600_302600_NS6detail15normal_iteratorINS8_10device_ptrIjEEEEPjNS0_8identityIjEEEE10hipError_tT2_T3_mT4_P12ihipStream_tbEUlT_E_NS1_11comp_targetILNS1_3genE2ELNS1_11target_archE906ELNS1_3gpuE6ELNS1_3repE0EEENS1_30default_config_static_selectorELNS0_4arch9wavefront6targetE1EEEvT1_
; %bb.0:
	.section	.rodata,"a",@progbits
	.p2align	6, 0x0
	.amdhsa_kernel _ZN7rocprim17ROCPRIM_400000_NS6detail17trampoline_kernelINS0_14default_configENS1_25transform_config_selectorIjLb0EEEZNS1_14transform_implILb0ES3_S5_N6thrust23THRUST_200600_302600_NS6detail15normal_iteratorINS8_10device_ptrIjEEEEPjNS0_8identityIjEEEE10hipError_tT2_T3_mT4_P12ihipStream_tbEUlT_E_NS1_11comp_targetILNS1_3genE2ELNS1_11target_archE906ELNS1_3gpuE6ELNS1_3repE0EEENS1_30default_config_static_selectorELNS0_4arch9wavefront6targetE1EEEvT1_
		.amdhsa_group_segment_fixed_size 0
		.amdhsa_private_segment_fixed_size 0
		.amdhsa_kernarg_size 40
		.amdhsa_user_sgpr_count 2
		.amdhsa_user_sgpr_dispatch_ptr 0
		.amdhsa_user_sgpr_queue_ptr 0
		.amdhsa_user_sgpr_kernarg_segment_ptr 1
		.amdhsa_user_sgpr_dispatch_id 0
		.amdhsa_user_sgpr_kernarg_preload_length 0
		.amdhsa_user_sgpr_kernarg_preload_offset 0
		.amdhsa_user_sgpr_private_segment_size 0
		.amdhsa_uses_dynamic_stack 0
		.amdhsa_enable_private_segment 0
		.amdhsa_system_sgpr_workgroup_id_x 1
		.amdhsa_system_sgpr_workgroup_id_y 0
		.amdhsa_system_sgpr_workgroup_id_z 0
		.amdhsa_system_sgpr_workgroup_info 0
		.amdhsa_system_vgpr_workitem_id 0
		.amdhsa_next_free_vgpr 1
		.amdhsa_next_free_sgpr 0
		.amdhsa_accum_offset 4
		.amdhsa_reserve_vcc 0
		.amdhsa_float_round_mode_32 0
		.amdhsa_float_round_mode_16_64 0
		.amdhsa_float_denorm_mode_32 3
		.amdhsa_float_denorm_mode_16_64 3
		.amdhsa_dx10_clamp 1
		.amdhsa_ieee_mode 1
		.amdhsa_fp16_overflow 0
		.amdhsa_tg_split 0
		.amdhsa_exception_fp_ieee_invalid_op 0
		.amdhsa_exception_fp_denorm_src 0
		.amdhsa_exception_fp_ieee_div_zero 0
		.amdhsa_exception_fp_ieee_overflow 0
		.amdhsa_exception_fp_ieee_underflow 0
		.amdhsa_exception_fp_ieee_inexact 0
		.amdhsa_exception_int_div_zero 0
	.end_amdhsa_kernel
	.section	.text._ZN7rocprim17ROCPRIM_400000_NS6detail17trampoline_kernelINS0_14default_configENS1_25transform_config_selectorIjLb0EEEZNS1_14transform_implILb0ES3_S5_N6thrust23THRUST_200600_302600_NS6detail15normal_iteratorINS8_10device_ptrIjEEEEPjNS0_8identityIjEEEE10hipError_tT2_T3_mT4_P12ihipStream_tbEUlT_E_NS1_11comp_targetILNS1_3genE2ELNS1_11target_archE906ELNS1_3gpuE6ELNS1_3repE0EEENS1_30default_config_static_selectorELNS0_4arch9wavefront6targetE1EEEvT1_,"axG",@progbits,_ZN7rocprim17ROCPRIM_400000_NS6detail17trampoline_kernelINS0_14default_configENS1_25transform_config_selectorIjLb0EEEZNS1_14transform_implILb0ES3_S5_N6thrust23THRUST_200600_302600_NS6detail15normal_iteratorINS8_10device_ptrIjEEEEPjNS0_8identityIjEEEE10hipError_tT2_T3_mT4_P12ihipStream_tbEUlT_E_NS1_11comp_targetILNS1_3genE2ELNS1_11target_archE906ELNS1_3gpuE6ELNS1_3repE0EEENS1_30default_config_static_selectorELNS0_4arch9wavefront6targetE1EEEvT1_,comdat
.Lfunc_end746:
	.size	_ZN7rocprim17ROCPRIM_400000_NS6detail17trampoline_kernelINS0_14default_configENS1_25transform_config_selectorIjLb0EEEZNS1_14transform_implILb0ES3_S5_N6thrust23THRUST_200600_302600_NS6detail15normal_iteratorINS8_10device_ptrIjEEEEPjNS0_8identityIjEEEE10hipError_tT2_T3_mT4_P12ihipStream_tbEUlT_E_NS1_11comp_targetILNS1_3genE2ELNS1_11target_archE906ELNS1_3gpuE6ELNS1_3repE0EEENS1_30default_config_static_selectorELNS0_4arch9wavefront6targetE1EEEvT1_, .Lfunc_end746-_ZN7rocprim17ROCPRIM_400000_NS6detail17trampoline_kernelINS0_14default_configENS1_25transform_config_selectorIjLb0EEEZNS1_14transform_implILb0ES3_S5_N6thrust23THRUST_200600_302600_NS6detail15normal_iteratorINS8_10device_ptrIjEEEEPjNS0_8identityIjEEEE10hipError_tT2_T3_mT4_P12ihipStream_tbEUlT_E_NS1_11comp_targetILNS1_3genE2ELNS1_11target_archE906ELNS1_3gpuE6ELNS1_3repE0EEENS1_30default_config_static_selectorELNS0_4arch9wavefront6targetE1EEEvT1_
                                        ; -- End function
	.set _ZN7rocprim17ROCPRIM_400000_NS6detail17trampoline_kernelINS0_14default_configENS1_25transform_config_selectorIjLb0EEEZNS1_14transform_implILb0ES3_S5_N6thrust23THRUST_200600_302600_NS6detail15normal_iteratorINS8_10device_ptrIjEEEEPjNS0_8identityIjEEEE10hipError_tT2_T3_mT4_P12ihipStream_tbEUlT_E_NS1_11comp_targetILNS1_3genE2ELNS1_11target_archE906ELNS1_3gpuE6ELNS1_3repE0EEENS1_30default_config_static_selectorELNS0_4arch9wavefront6targetE1EEEvT1_.num_vgpr, 0
	.set _ZN7rocprim17ROCPRIM_400000_NS6detail17trampoline_kernelINS0_14default_configENS1_25transform_config_selectorIjLb0EEEZNS1_14transform_implILb0ES3_S5_N6thrust23THRUST_200600_302600_NS6detail15normal_iteratorINS8_10device_ptrIjEEEEPjNS0_8identityIjEEEE10hipError_tT2_T3_mT4_P12ihipStream_tbEUlT_E_NS1_11comp_targetILNS1_3genE2ELNS1_11target_archE906ELNS1_3gpuE6ELNS1_3repE0EEENS1_30default_config_static_selectorELNS0_4arch9wavefront6targetE1EEEvT1_.num_agpr, 0
	.set _ZN7rocprim17ROCPRIM_400000_NS6detail17trampoline_kernelINS0_14default_configENS1_25transform_config_selectorIjLb0EEEZNS1_14transform_implILb0ES3_S5_N6thrust23THRUST_200600_302600_NS6detail15normal_iteratorINS8_10device_ptrIjEEEEPjNS0_8identityIjEEEE10hipError_tT2_T3_mT4_P12ihipStream_tbEUlT_E_NS1_11comp_targetILNS1_3genE2ELNS1_11target_archE906ELNS1_3gpuE6ELNS1_3repE0EEENS1_30default_config_static_selectorELNS0_4arch9wavefront6targetE1EEEvT1_.numbered_sgpr, 0
	.set _ZN7rocprim17ROCPRIM_400000_NS6detail17trampoline_kernelINS0_14default_configENS1_25transform_config_selectorIjLb0EEEZNS1_14transform_implILb0ES3_S5_N6thrust23THRUST_200600_302600_NS6detail15normal_iteratorINS8_10device_ptrIjEEEEPjNS0_8identityIjEEEE10hipError_tT2_T3_mT4_P12ihipStream_tbEUlT_E_NS1_11comp_targetILNS1_3genE2ELNS1_11target_archE906ELNS1_3gpuE6ELNS1_3repE0EEENS1_30default_config_static_selectorELNS0_4arch9wavefront6targetE1EEEvT1_.num_named_barrier, 0
	.set _ZN7rocprim17ROCPRIM_400000_NS6detail17trampoline_kernelINS0_14default_configENS1_25transform_config_selectorIjLb0EEEZNS1_14transform_implILb0ES3_S5_N6thrust23THRUST_200600_302600_NS6detail15normal_iteratorINS8_10device_ptrIjEEEEPjNS0_8identityIjEEEE10hipError_tT2_T3_mT4_P12ihipStream_tbEUlT_E_NS1_11comp_targetILNS1_3genE2ELNS1_11target_archE906ELNS1_3gpuE6ELNS1_3repE0EEENS1_30default_config_static_selectorELNS0_4arch9wavefront6targetE1EEEvT1_.private_seg_size, 0
	.set _ZN7rocprim17ROCPRIM_400000_NS6detail17trampoline_kernelINS0_14default_configENS1_25transform_config_selectorIjLb0EEEZNS1_14transform_implILb0ES3_S5_N6thrust23THRUST_200600_302600_NS6detail15normal_iteratorINS8_10device_ptrIjEEEEPjNS0_8identityIjEEEE10hipError_tT2_T3_mT4_P12ihipStream_tbEUlT_E_NS1_11comp_targetILNS1_3genE2ELNS1_11target_archE906ELNS1_3gpuE6ELNS1_3repE0EEENS1_30default_config_static_selectorELNS0_4arch9wavefront6targetE1EEEvT1_.uses_vcc, 0
	.set _ZN7rocprim17ROCPRIM_400000_NS6detail17trampoline_kernelINS0_14default_configENS1_25transform_config_selectorIjLb0EEEZNS1_14transform_implILb0ES3_S5_N6thrust23THRUST_200600_302600_NS6detail15normal_iteratorINS8_10device_ptrIjEEEEPjNS0_8identityIjEEEE10hipError_tT2_T3_mT4_P12ihipStream_tbEUlT_E_NS1_11comp_targetILNS1_3genE2ELNS1_11target_archE906ELNS1_3gpuE6ELNS1_3repE0EEENS1_30default_config_static_selectorELNS0_4arch9wavefront6targetE1EEEvT1_.uses_flat_scratch, 0
	.set _ZN7rocprim17ROCPRIM_400000_NS6detail17trampoline_kernelINS0_14default_configENS1_25transform_config_selectorIjLb0EEEZNS1_14transform_implILb0ES3_S5_N6thrust23THRUST_200600_302600_NS6detail15normal_iteratorINS8_10device_ptrIjEEEEPjNS0_8identityIjEEEE10hipError_tT2_T3_mT4_P12ihipStream_tbEUlT_E_NS1_11comp_targetILNS1_3genE2ELNS1_11target_archE906ELNS1_3gpuE6ELNS1_3repE0EEENS1_30default_config_static_selectorELNS0_4arch9wavefront6targetE1EEEvT1_.has_dyn_sized_stack, 0
	.set _ZN7rocprim17ROCPRIM_400000_NS6detail17trampoline_kernelINS0_14default_configENS1_25transform_config_selectorIjLb0EEEZNS1_14transform_implILb0ES3_S5_N6thrust23THRUST_200600_302600_NS6detail15normal_iteratorINS8_10device_ptrIjEEEEPjNS0_8identityIjEEEE10hipError_tT2_T3_mT4_P12ihipStream_tbEUlT_E_NS1_11comp_targetILNS1_3genE2ELNS1_11target_archE906ELNS1_3gpuE6ELNS1_3repE0EEENS1_30default_config_static_selectorELNS0_4arch9wavefront6targetE1EEEvT1_.has_recursion, 0
	.set _ZN7rocprim17ROCPRIM_400000_NS6detail17trampoline_kernelINS0_14default_configENS1_25transform_config_selectorIjLb0EEEZNS1_14transform_implILb0ES3_S5_N6thrust23THRUST_200600_302600_NS6detail15normal_iteratorINS8_10device_ptrIjEEEEPjNS0_8identityIjEEEE10hipError_tT2_T3_mT4_P12ihipStream_tbEUlT_E_NS1_11comp_targetILNS1_3genE2ELNS1_11target_archE906ELNS1_3gpuE6ELNS1_3repE0EEENS1_30default_config_static_selectorELNS0_4arch9wavefront6targetE1EEEvT1_.has_indirect_call, 0
	.section	.AMDGPU.csdata,"",@progbits
; Kernel info:
; codeLenInByte = 0
; TotalNumSgprs: 6
; NumVgprs: 0
; NumAgprs: 0
; TotalNumVgprs: 0
; ScratchSize: 0
; MemoryBound: 0
; FloatMode: 240
; IeeeMode: 1
; LDSByteSize: 0 bytes/workgroup (compile time only)
; SGPRBlocks: 0
; VGPRBlocks: 0
; NumSGPRsForWavesPerEU: 6
; NumVGPRsForWavesPerEU: 1
; AccumOffset: 4
; Occupancy: 8
; WaveLimiterHint : 0
; COMPUTE_PGM_RSRC2:SCRATCH_EN: 0
; COMPUTE_PGM_RSRC2:USER_SGPR: 2
; COMPUTE_PGM_RSRC2:TRAP_HANDLER: 0
; COMPUTE_PGM_RSRC2:TGID_X_EN: 1
; COMPUTE_PGM_RSRC2:TGID_Y_EN: 0
; COMPUTE_PGM_RSRC2:TGID_Z_EN: 0
; COMPUTE_PGM_RSRC2:TIDIG_COMP_CNT: 0
; COMPUTE_PGM_RSRC3_GFX90A:ACCUM_OFFSET: 0
; COMPUTE_PGM_RSRC3_GFX90A:TG_SPLIT: 0
	.section	.text._ZN7rocprim17ROCPRIM_400000_NS6detail17trampoline_kernelINS0_14default_configENS1_25transform_config_selectorIjLb0EEEZNS1_14transform_implILb0ES3_S5_N6thrust23THRUST_200600_302600_NS6detail15normal_iteratorINS8_10device_ptrIjEEEEPjNS0_8identityIjEEEE10hipError_tT2_T3_mT4_P12ihipStream_tbEUlT_E_NS1_11comp_targetILNS1_3genE10ELNS1_11target_archE1201ELNS1_3gpuE5ELNS1_3repE0EEENS1_30default_config_static_selectorELNS0_4arch9wavefront6targetE1EEEvT1_,"axG",@progbits,_ZN7rocprim17ROCPRIM_400000_NS6detail17trampoline_kernelINS0_14default_configENS1_25transform_config_selectorIjLb0EEEZNS1_14transform_implILb0ES3_S5_N6thrust23THRUST_200600_302600_NS6detail15normal_iteratorINS8_10device_ptrIjEEEEPjNS0_8identityIjEEEE10hipError_tT2_T3_mT4_P12ihipStream_tbEUlT_E_NS1_11comp_targetILNS1_3genE10ELNS1_11target_archE1201ELNS1_3gpuE5ELNS1_3repE0EEENS1_30default_config_static_selectorELNS0_4arch9wavefront6targetE1EEEvT1_,comdat
	.protected	_ZN7rocprim17ROCPRIM_400000_NS6detail17trampoline_kernelINS0_14default_configENS1_25transform_config_selectorIjLb0EEEZNS1_14transform_implILb0ES3_S5_N6thrust23THRUST_200600_302600_NS6detail15normal_iteratorINS8_10device_ptrIjEEEEPjNS0_8identityIjEEEE10hipError_tT2_T3_mT4_P12ihipStream_tbEUlT_E_NS1_11comp_targetILNS1_3genE10ELNS1_11target_archE1201ELNS1_3gpuE5ELNS1_3repE0EEENS1_30default_config_static_selectorELNS0_4arch9wavefront6targetE1EEEvT1_ ; -- Begin function _ZN7rocprim17ROCPRIM_400000_NS6detail17trampoline_kernelINS0_14default_configENS1_25transform_config_selectorIjLb0EEEZNS1_14transform_implILb0ES3_S5_N6thrust23THRUST_200600_302600_NS6detail15normal_iteratorINS8_10device_ptrIjEEEEPjNS0_8identityIjEEEE10hipError_tT2_T3_mT4_P12ihipStream_tbEUlT_E_NS1_11comp_targetILNS1_3genE10ELNS1_11target_archE1201ELNS1_3gpuE5ELNS1_3repE0EEENS1_30default_config_static_selectorELNS0_4arch9wavefront6targetE1EEEvT1_
	.globl	_ZN7rocprim17ROCPRIM_400000_NS6detail17trampoline_kernelINS0_14default_configENS1_25transform_config_selectorIjLb0EEEZNS1_14transform_implILb0ES3_S5_N6thrust23THRUST_200600_302600_NS6detail15normal_iteratorINS8_10device_ptrIjEEEEPjNS0_8identityIjEEEE10hipError_tT2_T3_mT4_P12ihipStream_tbEUlT_E_NS1_11comp_targetILNS1_3genE10ELNS1_11target_archE1201ELNS1_3gpuE5ELNS1_3repE0EEENS1_30default_config_static_selectorELNS0_4arch9wavefront6targetE1EEEvT1_
	.p2align	8
	.type	_ZN7rocprim17ROCPRIM_400000_NS6detail17trampoline_kernelINS0_14default_configENS1_25transform_config_selectorIjLb0EEEZNS1_14transform_implILb0ES3_S5_N6thrust23THRUST_200600_302600_NS6detail15normal_iteratorINS8_10device_ptrIjEEEEPjNS0_8identityIjEEEE10hipError_tT2_T3_mT4_P12ihipStream_tbEUlT_E_NS1_11comp_targetILNS1_3genE10ELNS1_11target_archE1201ELNS1_3gpuE5ELNS1_3repE0EEENS1_30default_config_static_selectorELNS0_4arch9wavefront6targetE1EEEvT1_,@function
_ZN7rocprim17ROCPRIM_400000_NS6detail17trampoline_kernelINS0_14default_configENS1_25transform_config_selectorIjLb0EEEZNS1_14transform_implILb0ES3_S5_N6thrust23THRUST_200600_302600_NS6detail15normal_iteratorINS8_10device_ptrIjEEEEPjNS0_8identityIjEEEE10hipError_tT2_T3_mT4_P12ihipStream_tbEUlT_E_NS1_11comp_targetILNS1_3genE10ELNS1_11target_archE1201ELNS1_3gpuE5ELNS1_3repE0EEENS1_30default_config_static_selectorELNS0_4arch9wavefront6targetE1EEEvT1_: ; @_ZN7rocprim17ROCPRIM_400000_NS6detail17trampoline_kernelINS0_14default_configENS1_25transform_config_selectorIjLb0EEEZNS1_14transform_implILb0ES3_S5_N6thrust23THRUST_200600_302600_NS6detail15normal_iteratorINS8_10device_ptrIjEEEEPjNS0_8identityIjEEEE10hipError_tT2_T3_mT4_P12ihipStream_tbEUlT_E_NS1_11comp_targetILNS1_3genE10ELNS1_11target_archE1201ELNS1_3gpuE5ELNS1_3repE0EEENS1_30default_config_static_selectorELNS0_4arch9wavefront6targetE1EEEvT1_
; %bb.0:
	.section	.rodata,"a",@progbits
	.p2align	6, 0x0
	.amdhsa_kernel _ZN7rocprim17ROCPRIM_400000_NS6detail17trampoline_kernelINS0_14default_configENS1_25transform_config_selectorIjLb0EEEZNS1_14transform_implILb0ES3_S5_N6thrust23THRUST_200600_302600_NS6detail15normal_iteratorINS8_10device_ptrIjEEEEPjNS0_8identityIjEEEE10hipError_tT2_T3_mT4_P12ihipStream_tbEUlT_E_NS1_11comp_targetILNS1_3genE10ELNS1_11target_archE1201ELNS1_3gpuE5ELNS1_3repE0EEENS1_30default_config_static_selectorELNS0_4arch9wavefront6targetE1EEEvT1_
		.amdhsa_group_segment_fixed_size 0
		.amdhsa_private_segment_fixed_size 0
		.amdhsa_kernarg_size 40
		.amdhsa_user_sgpr_count 2
		.amdhsa_user_sgpr_dispatch_ptr 0
		.amdhsa_user_sgpr_queue_ptr 0
		.amdhsa_user_sgpr_kernarg_segment_ptr 1
		.amdhsa_user_sgpr_dispatch_id 0
		.amdhsa_user_sgpr_kernarg_preload_length 0
		.amdhsa_user_sgpr_kernarg_preload_offset 0
		.amdhsa_user_sgpr_private_segment_size 0
		.amdhsa_uses_dynamic_stack 0
		.amdhsa_enable_private_segment 0
		.amdhsa_system_sgpr_workgroup_id_x 1
		.amdhsa_system_sgpr_workgroup_id_y 0
		.amdhsa_system_sgpr_workgroup_id_z 0
		.amdhsa_system_sgpr_workgroup_info 0
		.amdhsa_system_vgpr_workitem_id 0
		.amdhsa_next_free_vgpr 1
		.amdhsa_next_free_sgpr 0
		.amdhsa_accum_offset 4
		.amdhsa_reserve_vcc 0
		.amdhsa_float_round_mode_32 0
		.amdhsa_float_round_mode_16_64 0
		.amdhsa_float_denorm_mode_32 3
		.amdhsa_float_denorm_mode_16_64 3
		.amdhsa_dx10_clamp 1
		.amdhsa_ieee_mode 1
		.amdhsa_fp16_overflow 0
		.amdhsa_tg_split 0
		.amdhsa_exception_fp_ieee_invalid_op 0
		.amdhsa_exception_fp_denorm_src 0
		.amdhsa_exception_fp_ieee_div_zero 0
		.amdhsa_exception_fp_ieee_overflow 0
		.amdhsa_exception_fp_ieee_underflow 0
		.amdhsa_exception_fp_ieee_inexact 0
		.amdhsa_exception_int_div_zero 0
	.end_amdhsa_kernel
	.section	.text._ZN7rocprim17ROCPRIM_400000_NS6detail17trampoline_kernelINS0_14default_configENS1_25transform_config_selectorIjLb0EEEZNS1_14transform_implILb0ES3_S5_N6thrust23THRUST_200600_302600_NS6detail15normal_iteratorINS8_10device_ptrIjEEEEPjNS0_8identityIjEEEE10hipError_tT2_T3_mT4_P12ihipStream_tbEUlT_E_NS1_11comp_targetILNS1_3genE10ELNS1_11target_archE1201ELNS1_3gpuE5ELNS1_3repE0EEENS1_30default_config_static_selectorELNS0_4arch9wavefront6targetE1EEEvT1_,"axG",@progbits,_ZN7rocprim17ROCPRIM_400000_NS6detail17trampoline_kernelINS0_14default_configENS1_25transform_config_selectorIjLb0EEEZNS1_14transform_implILb0ES3_S5_N6thrust23THRUST_200600_302600_NS6detail15normal_iteratorINS8_10device_ptrIjEEEEPjNS0_8identityIjEEEE10hipError_tT2_T3_mT4_P12ihipStream_tbEUlT_E_NS1_11comp_targetILNS1_3genE10ELNS1_11target_archE1201ELNS1_3gpuE5ELNS1_3repE0EEENS1_30default_config_static_selectorELNS0_4arch9wavefront6targetE1EEEvT1_,comdat
.Lfunc_end747:
	.size	_ZN7rocprim17ROCPRIM_400000_NS6detail17trampoline_kernelINS0_14default_configENS1_25transform_config_selectorIjLb0EEEZNS1_14transform_implILb0ES3_S5_N6thrust23THRUST_200600_302600_NS6detail15normal_iteratorINS8_10device_ptrIjEEEEPjNS0_8identityIjEEEE10hipError_tT2_T3_mT4_P12ihipStream_tbEUlT_E_NS1_11comp_targetILNS1_3genE10ELNS1_11target_archE1201ELNS1_3gpuE5ELNS1_3repE0EEENS1_30default_config_static_selectorELNS0_4arch9wavefront6targetE1EEEvT1_, .Lfunc_end747-_ZN7rocprim17ROCPRIM_400000_NS6detail17trampoline_kernelINS0_14default_configENS1_25transform_config_selectorIjLb0EEEZNS1_14transform_implILb0ES3_S5_N6thrust23THRUST_200600_302600_NS6detail15normal_iteratorINS8_10device_ptrIjEEEEPjNS0_8identityIjEEEE10hipError_tT2_T3_mT4_P12ihipStream_tbEUlT_E_NS1_11comp_targetILNS1_3genE10ELNS1_11target_archE1201ELNS1_3gpuE5ELNS1_3repE0EEENS1_30default_config_static_selectorELNS0_4arch9wavefront6targetE1EEEvT1_
                                        ; -- End function
	.set _ZN7rocprim17ROCPRIM_400000_NS6detail17trampoline_kernelINS0_14default_configENS1_25transform_config_selectorIjLb0EEEZNS1_14transform_implILb0ES3_S5_N6thrust23THRUST_200600_302600_NS6detail15normal_iteratorINS8_10device_ptrIjEEEEPjNS0_8identityIjEEEE10hipError_tT2_T3_mT4_P12ihipStream_tbEUlT_E_NS1_11comp_targetILNS1_3genE10ELNS1_11target_archE1201ELNS1_3gpuE5ELNS1_3repE0EEENS1_30default_config_static_selectorELNS0_4arch9wavefront6targetE1EEEvT1_.num_vgpr, 0
	.set _ZN7rocprim17ROCPRIM_400000_NS6detail17trampoline_kernelINS0_14default_configENS1_25transform_config_selectorIjLb0EEEZNS1_14transform_implILb0ES3_S5_N6thrust23THRUST_200600_302600_NS6detail15normal_iteratorINS8_10device_ptrIjEEEEPjNS0_8identityIjEEEE10hipError_tT2_T3_mT4_P12ihipStream_tbEUlT_E_NS1_11comp_targetILNS1_3genE10ELNS1_11target_archE1201ELNS1_3gpuE5ELNS1_3repE0EEENS1_30default_config_static_selectorELNS0_4arch9wavefront6targetE1EEEvT1_.num_agpr, 0
	.set _ZN7rocprim17ROCPRIM_400000_NS6detail17trampoline_kernelINS0_14default_configENS1_25transform_config_selectorIjLb0EEEZNS1_14transform_implILb0ES3_S5_N6thrust23THRUST_200600_302600_NS6detail15normal_iteratorINS8_10device_ptrIjEEEEPjNS0_8identityIjEEEE10hipError_tT2_T3_mT4_P12ihipStream_tbEUlT_E_NS1_11comp_targetILNS1_3genE10ELNS1_11target_archE1201ELNS1_3gpuE5ELNS1_3repE0EEENS1_30default_config_static_selectorELNS0_4arch9wavefront6targetE1EEEvT1_.numbered_sgpr, 0
	.set _ZN7rocprim17ROCPRIM_400000_NS6detail17trampoline_kernelINS0_14default_configENS1_25transform_config_selectorIjLb0EEEZNS1_14transform_implILb0ES3_S5_N6thrust23THRUST_200600_302600_NS6detail15normal_iteratorINS8_10device_ptrIjEEEEPjNS0_8identityIjEEEE10hipError_tT2_T3_mT4_P12ihipStream_tbEUlT_E_NS1_11comp_targetILNS1_3genE10ELNS1_11target_archE1201ELNS1_3gpuE5ELNS1_3repE0EEENS1_30default_config_static_selectorELNS0_4arch9wavefront6targetE1EEEvT1_.num_named_barrier, 0
	.set _ZN7rocprim17ROCPRIM_400000_NS6detail17trampoline_kernelINS0_14default_configENS1_25transform_config_selectorIjLb0EEEZNS1_14transform_implILb0ES3_S5_N6thrust23THRUST_200600_302600_NS6detail15normal_iteratorINS8_10device_ptrIjEEEEPjNS0_8identityIjEEEE10hipError_tT2_T3_mT4_P12ihipStream_tbEUlT_E_NS1_11comp_targetILNS1_3genE10ELNS1_11target_archE1201ELNS1_3gpuE5ELNS1_3repE0EEENS1_30default_config_static_selectorELNS0_4arch9wavefront6targetE1EEEvT1_.private_seg_size, 0
	.set _ZN7rocprim17ROCPRIM_400000_NS6detail17trampoline_kernelINS0_14default_configENS1_25transform_config_selectorIjLb0EEEZNS1_14transform_implILb0ES3_S5_N6thrust23THRUST_200600_302600_NS6detail15normal_iteratorINS8_10device_ptrIjEEEEPjNS0_8identityIjEEEE10hipError_tT2_T3_mT4_P12ihipStream_tbEUlT_E_NS1_11comp_targetILNS1_3genE10ELNS1_11target_archE1201ELNS1_3gpuE5ELNS1_3repE0EEENS1_30default_config_static_selectorELNS0_4arch9wavefront6targetE1EEEvT1_.uses_vcc, 0
	.set _ZN7rocprim17ROCPRIM_400000_NS6detail17trampoline_kernelINS0_14default_configENS1_25transform_config_selectorIjLb0EEEZNS1_14transform_implILb0ES3_S5_N6thrust23THRUST_200600_302600_NS6detail15normal_iteratorINS8_10device_ptrIjEEEEPjNS0_8identityIjEEEE10hipError_tT2_T3_mT4_P12ihipStream_tbEUlT_E_NS1_11comp_targetILNS1_3genE10ELNS1_11target_archE1201ELNS1_3gpuE5ELNS1_3repE0EEENS1_30default_config_static_selectorELNS0_4arch9wavefront6targetE1EEEvT1_.uses_flat_scratch, 0
	.set _ZN7rocprim17ROCPRIM_400000_NS6detail17trampoline_kernelINS0_14default_configENS1_25transform_config_selectorIjLb0EEEZNS1_14transform_implILb0ES3_S5_N6thrust23THRUST_200600_302600_NS6detail15normal_iteratorINS8_10device_ptrIjEEEEPjNS0_8identityIjEEEE10hipError_tT2_T3_mT4_P12ihipStream_tbEUlT_E_NS1_11comp_targetILNS1_3genE10ELNS1_11target_archE1201ELNS1_3gpuE5ELNS1_3repE0EEENS1_30default_config_static_selectorELNS0_4arch9wavefront6targetE1EEEvT1_.has_dyn_sized_stack, 0
	.set _ZN7rocprim17ROCPRIM_400000_NS6detail17trampoline_kernelINS0_14default_configENS1_25transform_config_selectorIjLb0EEEZNS1_14transform_implILb0ES3_S5_N6thrust23THRUST_200600_302600_NS6detail15normal_iteratorINS8_10device_ptrIjEEEEPjNS0_8identityIjEEEE10hipError_tT2_T3_mT4_P12ihipStream_tbEUlT_E_NS1_11comp_targetILNS1_3genE10ELNS1_11target_archE1201ELNS1_3gpuE5ELNS1_3repE0EEENS1_30default_config_static_selectorELNS0_4arch9wavefront6targetE1EEEvT1_.has_recursion, 0
	.set _ZN7rocprim17ROCPRIM_400000_NS6detail17trampoline_kernelINS0_14default_configENS1_25transform_config_selectorIjLb0EEEZNS1_14transform_implILb0ES3_S5_N6thrust23THRUST_200600_302600_NS6detail15normal_iteratorINS8_10device_ptrIjEEEEPjNS0_8identityIjEEEE10hipError_tT2_T3_mT4_P12ihipStream_tbEUlT_E_NS1_11comp_targetILNS1_3genE10ELNS1_11target_archE1201ELNS1_3gpuE5ELNS1_3repE0EEENS1_30default_config_static_selectorELNS0_4arch9wavefront6targetE1EEEvT1_.has_indirect_call, 0
	.section	.AMDGPU.csdata,"",@progbits
; Kernel info:
; codeLenInByte = 0
; TotalNumSgprs: 6
; NumVgprs: 0
; NumAgprs: 0
; TotalNumVgprs: 0
; ScratchSize: 0
; MemoryBound: 0
; FloatMode: 240
; IeeeMode: 1
; LDSByteSize: 0 bytes/workgroup (compile time only)
; SGPRBlocks: 0
; VGPRBlocks: 0
; NumSGPRsForWavesPerEU: 6
; NumVGPRsForWavesPerEU: 1
; AccumOffset: 4
; Occupancy: 8
; WaveLimiterHint : 0
; COMPUTE_PGM_RSRC2:SCRATCH_EN: 0
; COMPUTE_PGM_RSRC2:USER_SGPR: 2
; COMPUTE_PGM_RSRC2:TRAP_HANDLER: 0
; COMPUTE_PGM_RSRC2:TGID_X_EN: 1
; COMPUTE_PGM_RSRC2:TGID_Y_EN: 0
; COMPUTE_PGM_RSRC2:TGID_Z_EN: 0
; COMPUTE_PGM_RSRC2:TIDIG_COMP_CNT: 0
; COMPUTE_PGM_RSRC3_GFX90A:ACCUM_OFFSET: 0
; COMPUTE_PGM_RSRC3_GFX90A:TG_SPLIT: 0
	.section	.text._ZN7rocprim17ROCPRIM_400000_NS6detail17trampoline_kernelINS0_14default_configENS1_25transform_config_selectorIjLb0EEEZNS1_14transform_implILb0ES3_S5_N6thrust23THRUST_200600_302600_NS6detail15normal_iteratorINS8_10device_ptrIjEEEEPjNS0_8identityIjEEEE10hipError_tT2_T3_mT4_P12ihipStream_tbEUlT_E_NS1_11comp_targetILNS1_3genE10ELNS1_11target_archE1200ELNS1_3gpuE4ELNS1_3repE0EEENS1_30default_config_static_selectorELNS0_4arch9wavefront6targetE1EEEvT1_,"axG",@progbits,_ZN7rocprim17ROCPRIM_400000_NS6detail17trampoline_kernelINS0_14default_configENS1_25transform_config_selectorIjLb0EEEZNS1_14transform_implILb0ES3_S5_N6thrust23THRUST_200600_302600_NS6detail15normal_iteratorINS8_10device_ptrIjEEEEPjNS0_8identityIjEEEE10hipError_tT2_T3_mT4_P12ihipStream_tbEUlT_E_NS1_11comp_targetILNS1_3genE10ELNS1_11target_archE1200ELNS1_3gpuE4ELNS1_3repE0EEENS1_30default_config_static_selectorELNS0_4arch9wavefront6targetE1EEEvT1_,comdat
	.protected	_ZN7rocprim17ROCPRIM_400000_NS6detail17trampoline_kernelINS0_14default_configENS1_25transform_config_selectorIjLb0EEEZNS1_14transform_implILb0ES3_S5_N6thrust23THRUST_200600_302600_NS6detail15normal_iteratorINS8_10device_ptrIjEEEEPjNS0_8identityIjEEEE10hipError_tT2_T3_mT4_P12ihipStream_tbEUlT_E_NS1_11comp_targetILNS1_3genE10ELNS1_11target_archE1200ELNS1_3gpuE4ELNS1_3repE0EEENS1_30default_config_static_selectorELNS0_4arch9wavefront6targetE1EEEvT1_ ; -- Begin function _ZN7rocprim17ROCPRIM_400000_NS6detail17trampoline_kernelINS0_14default_configENS1_25transform_config_selectorIjLb0EEEZNS1_14transform_implILb0ES3_S5_N6thrust23THRUST_200600_302600_NS6detail15normal_iteratorINS8_10device_ptrIjEEEEPjNS0_8identityIjEEEE10hipError_tT2_T3_mT4_P12ihipStream_tbEUlT_E_NS1_11comp_targetILNS1_3genE10ELNS1_11target_archE1200ELNS1_3gpuE4ELNS1_3repE0EEENS1_30default_config_static_selectorELNS0_4arch9wavefront6targetE1EEEvT1_
	.globl	_ZN7rocprim17ROCPRIM_400000_NS6detail17trampoline_kernelINS0_14default_configENS1_25transform_config_selectorIjLb0EEEZNS1_14transform_implILb0ES3_S5_N6thrust23THRUST_200600_302600_NS6detail15normal_iteratorINS8_10device_ptrIjEEEEPjNS0_8identityIjEEEE10hipError_tT2_T3_mT4_P12ihipStream_tbEUlT_E_NS1_11comp_targetILNS1_3genE10ELNS1_11target_archE1200ELNS1_3gpuE4ELNS1_3repE0EEENS1_30default_config_static_selectorELNS0_4arch9wavefront6targetE1EEEvT1_
	.p2align	8
	.type	_ZN7rocprim17ROCPRIM_400000_NS6detail17trampoline_kernelINS0_14default_configENS1_25transform_config_selectorIjLb0EEEZNS1_14transform_implILb0ES3_S5_N6thrust23THRUST_200600_302600_NS6detail15normal_iteratorINS8_10device_ptrIjEEEEPjNS0_8identityIjEEEE10hipError_tT2_T3_mT4_P12ihipStream_tbEUlT_E_NS1_11comp_targetILNS1_3genE10ELNS1_11target_archE1200ELNS1_3gpuE4ELNS1_3repE0EEENS1_30default_config_static_selectorELNS0_4arch9wavefront6targetE1EEEvT1_,@function
_ZN7rocprim17ROCPRIM_400000_NS6detail17trampoline_kernelINS0_14default_configENS1_25transform_config_selectorIjLb0EEEZNS1_14transform_implILb0ES3_S5_N6thrust23THRUST_200600_302600_NS6detail15normal_iteratorINS8_10device_ptrIjEEEEPjNS0_8identityIjEEEE10hipError_tT2_T3_mT4_P12ihipStream_tbEUlT_E_NS1_11comp_targetILNS1_3genE10ELNS1_11target_archE1200ELNS1_3gpuE4ELNS1_3repE0EEENS1_30default_config_static_selectorELNS0_4arch9wavefront6targetE1EEEvT1_: ; @_ZN7rocprim17ROCPRIM_400000_NS6detail17trampoline_kernelINS0_14default_configENS1_25transform_config_selectorIjLb0EEEZNS1_14transform_implILb0ES3_S5_N6thrust23THRUST_200600_302600_NS6detail15normal_iteratorINS8_10device_ptrIjEEEEPjNS0_8identityIjEEEE10hipError_tT2_T3_mT4_P12ihipStream_tbEUlT_E_NS1_11comp_targetILNS1_3genE10ELNS1_11target_archE1200ELNS1_3gpuE4ELNS1_3repE0EEENS1_30default_config_static_selectorELNS0_4arch9wavefront6targetE1EEEvT1_
; %bb.0:
	.section	.rodata,"a",@progbits
	.p2align	6, 0x0
	.amdhsa_kernel _ZN7rocprim17ROCPRIM_400000_NS6detail17trampoline_kernelINS0_14default_configENS1_25transform_config_selectorIjLb0EEEZNS1_14transform_implILb0ES3_S5_N6thrust23THRUST_200600_302600_NS6detail15normal_iteratorINS8_10device_ptrIjEEEEPjNS0_8identityIjEEEE10hipError_tT2_T3_mT4_P12ihipStream_tbEUlT_E_NS1_11comp_targetILNS1_3genE10ELNS1_11target_archE1200ELNS1_3gpuE4ELNS1_3repE0EEENS1_30default_config_static_selectorELNS0_4arch9wavefront6targetE1EEEvT1_
		.amdhsa_group_segment_fixed_size 0
		.amdhsa_private_segment_fixed_size 0
		.amdhsa_kernarg_size 40
		.amdhsa_user_sgpr_count 2
		.amdhsa_user_sgpr_dispatch_ptr 0
		.amdhsa_user_sgpr_queue_ptr 0
		.amdhsa_user_sgpr_kernarg_segment_ptr 1
		.amdhsa_user_sgpr_dispatch_id 0
		.amdhsa_user_sgpr_kernarg_preload_length 0
		.amdhsa_user_sgpr_kernarg_preload_offset 0
		.amdhsa_user_sgpr_private_segment_size 0
		.amdhsa_uses_dynamic_stack 0
		.amdhsa_enable_private_segment 0
		.amdhsa_system_sgpr_workgroup_id_x 1
		.amdhsa_system_sgpr_workgroup_id_y 0
		.amdhsa_system_sgpr_workgroup_id_z 0
		.amdhsa_system_sgpr_workgroup_info 0
		.amdhsa_system_vgpr_workitem_id 0
		.amdhsa_next_free_vgpr 1
		.amdhsa_next_free_sgpr 0
		.amdhsa_accum_offset 4
		.amdhsa_reserve_vcc 0
		.amdhsa_float_round_mode_32 0
		.amdhsa_float_round_mode_16_64 0
		.amdhsa_float_denorm_mode_32 3
		.amdhsa_float_denorm_mode_16_64 3
		.amdhsa_dx10_clamp 1
		.amdhsa_ieee_mode 1
		.amdhsa_fp16_overflow 0
		.amdhsa_tg_split 0
		.amdhsa_exception_fp_ieee_invalid_op 0
		.amdhsa_exception_fp_denorm_src 0
		.amdhsa_exception_fp_ieee_div_zero 0
		.amdhsa_exception_fp_ieee_overflow 0
		.amdhsa_exception_fp_ieee_underflow 0
		.amdhsa_exception_fp_ieee_inexact 0
		.amdhsa_exception_int_div_zero 0
	.end_amdhsa_kernel
	.section	.text._ZN7rocprim17ROCPRIM_400000_NS6detail17trampoline_kernelINS0_14default_configENS1_25transform_config_selectorIjLb0EEEZNS1_14transform_implILb0ES3_S5_N6thrust23THRUST_200600_302600_NS6detail15normal_iteratorINS8_10device_ptrIjEEEEPjNS0_8identityIjEEEE10hipError_tT2_T3_mT4_P12ihipStream_tbEUlT_E_NS1_11comp_targetILNS1_3genE10ELNS1_11target_archE1200ELNS1_3gpuE4ELNS1_3repE0EEENS1_30default_config_static_selectorELNS0_4arch9wavefront6targetE1EEEvT1_,"axG",@progbits,_ZN7rocprim17ROCPRIM_400000_NS6detail17trampoline_kernelINS0_14default_configENS1_25transform_config_selectorIjLb0EEEZNS1_14transform_implILb0ES3_S5_N6thrust23THRUST_200600_302600_NS6detail15normal_iteratorINS8_10device_ptrIjEEEEPjNS0_8identityIjEEEE10hipError_tT2_T3_mT4_P12ihipStream_tbEUlT_E_NS1_11comp_targetILNS1_3genE10ELNS1_11target_archE1200ELNS1_3gpuE4ELNS1_3repE0EEENS1_30default_config_static_selectorELNS0_4arch9wavefront6targetE1EEEvT1_,comdat
.Lfunc_end748:
	.size	_ZN7rocprim17ROCPRIM_400000_NS6detail17trampoline_kernelINS0_14default_configENS1_25transform_config_selectorIjLb0EEEZNS1_14transform_implILb0ES3_S5_N6thrust23THRUST_200600_302600_NS6detail15normal_iteratorINS8_10device_ptrIjEEEEPjNS0_8identityIjEEEE10hipError_tT2_T3_mT4_P12ihipStream_tbEUlT_E_NS1_11comp_targetILNS1_3genE10ELNS1_11target_archE1200ELNS1_3gpuE4ELNS1_3repE0EEENS1_30default_config_static_selectorELNS0_4arch9wavefront6targetE1EEEvT1_, .Lfunc_end748-_ZN7rocprim17ROCPRIM_400000_NS6detail17trampoline_kernelINS0_14default_configENS1_25transform_config_selectorIjLb0EEEZNS1_14transform_implILb0ES3_S5_N6thrust23THRUST_200600_302600_NS6detail15normal_iteratorINS8_10device_ptrIjEEEEPjNS0_8identityIjEEEE10hipError_tT2_T3_mT4_P12ihipStream_tbEUlT_E_NS1_11comp_targetILNS1_3genE10ELNS1_11target_archE1200ELNS1_3gpuE4ELNS1_3repE0EEENS1_30default_config_static_selectorELNS0_4arch9wavefront6targetE1EEEvT1_
                                        ; -- End function
	.set _ZN7rocprim17ROCPRIM_400000_NS6detail17trampoline_kernelINS0_14default_configENS1_25transform_config_selectorIjLb0EEEZNS1_14transform_implILb0ES3_S5_N6thrust23THRUST_200600_302600_NS6detail15normal_iteratorINS8_10device_ptrIjEEEEPjNS0_8identityIjEEEE10hipError_tT2_T3_mT4_P12ihipStream_tbEUlT_E_NS1_11comp_targetILNS1_3genE10ELNS1_11target_archE1200ELNS1_3gpuE4ELNS1_3repE0EEENS1_30default_config_static_selectorELNS0_4arch9wavefront6targetE1EEEvT1_.num_vgpr, 0
	.set _ZN7rocprim17ROCPRIM_400000_NS6detail17trampoline_kernelINS0_14default_configENS1_25transform_config_selectorIjLb0EEEZNS1_14transform_implILb0ES3_S5_N6thrust23THRUST_200600_302600_NS6detail15normal_iteratorINS8_10device_ptrIjEEEEPjNS0_8identityIjEEEE10hipError_tT2_T3_mT4_P12ihipStream_tbEUlT_E_NS1_11comp_targetILNS1_3genE10ELNS1_11target_archE1200ELNS1_3gpuE4ELNS1_3repE0EEENS1_30default_config_static_selectorELNS0_4arch9wavefront6targetE1EEEvT1_.num_agpr, 0
	.set _ZN7rocprim17ROCPRIM_400000_NS6detail17trampoline_kernelINS0_14default_configENS1_25transform_config_selectorIjLb0EEEZNS1_14transform_implILb0ES3_S5_N6thrust23THRUST_200600_302600_NS6detail15normal_iteratorINS8_10device_ptrIjEEEEPjNS0_8identityIjEEEE10hipError_tT2_T3_mT4_P12ihipStream_tbEUlT_E_NS1_11comp_targetILNS1_3genE10ELNS1_11target_archE1200ELNS1_3gpuE4ELNS1_3repE0EEENS1_30default_config_static_selectorELNS0_4arch9wavefront6targetE1EEEvT1_.numbered_sgpr, 0
	.set _ZN7rocprim17ROCPRIM_400000_NS6detail17trampoline_kernelINS0_14default_configENS1_25transform_config_selectorIjLb0EEEZNS1_14transform_implILb0ES3_S5_N6thrust23THRUST_200600_302600_NS6detail15normal_iteratorINS8_10device_ptrIjEEEEPjNS0_8identityIjEEEE10hipError_tT2_T3_mT4_P12ihipStream_tbEUlT_E_NS1_11comp_targetILNS1_3genE10ELNS1_11target_archE1200ELNS1_3gpuE4ELNS1_3repE0EEENS1_30default_config_static_selectorELNS0_4arch9wavefront6targetE1EEEvT1_.num_named_barrier, 0
	.set _ZN7rocprim17ROCPRIM_400000_NS6detail17trampoline_kernelINS0_14default_configENS1_25transform_config_selectorIjLb0EEEZNS1_14transform_implILb0ES3_S5_N6thrust23THRUST_200600_302600_NS6detail15normal_iteratorINS8_10device_ptrIjEEEEPjNS0_8identityIjEEEE10hipError_tT2_T3_mT4_P12ihipStream_tbEUlT_E_NS1_11comp_targetILNS1_3genE10ELNS1_11target_archE1200ELNS1_3gpuE4ELNS1_3repE0EEENS1_30default_config_static_selectorELNS0_4arch9wavefront6targetE1EEEvT1_.private_seg_size, 0
	.set _ZN7rocprim17ROCPRIM_400000_NS6detail17trampoline_kernelINS0_14default_configENS1_25transform_config_selectorIjLb0EEEZNS1_14transform_implILb0ES3_S5_N6thrust23THRUST_200600_302600_NS6detail15normal_iteratorINS8_10device_ptrIjEEEEPjNS0_8identityIjEEEE10hipError_tT2_T3_mT4_P12ihipStream_tbEUlT_E_NS1_11comp_targetILNS1_3genE10ELNS1_11target_archE1200ELNS1_3gpuE4ELNS1_3repE0EEENS1_30default_config_static_selectorELNS0_4arch9wavefront6targetE1EEEvT1_.uses_vcc, 0
	.set _ZN7rocprim17ROCPRIM_400000_NS6detail17trampoline_kernelINS0_14default_configENS1_25transform_config_selectorIjLb0EEEZNS1_14transform_implILb0ES3_S5_N6thrust23THRUST_200600_302600_NS6detail15normal_iteratorINS8_10device_ptrIjEEEEPjNS0_8identityIjEEEE10hipError_tT2_T3_mT4_P12ihipStream_tbEUlT_E_NS1_11comp_targetILNS1_3genE10ELNS1_11target_archE1200ELNS1_3gpuE4ELNS1_3repE0EEENS1_30default_config_static_selectorELNS0_4arch9wavefront6targetE1EEEvT1_.uses_flat_scratch, 0
	.set _ZN7rocprim17ROCPRIM_400000_NS6detail17trampoline_kernelINS0_14default_configENS1_25transform_config_selectorIjLb0EEEZNS1_14transform_implILb0ES3_S5_N6thrust23THRUST_200600_302600_NS6detail15normal_iteratorINS8_10device_ptrIjEEEEPjNS0_8identityIjEEEE10hipError_tT2_T3_mT4_P12ihipStream_tbEUlT_E_NS1_11comp_targetILNS1_3genE10ELNS1_11target_archE1200ELNS1_3gpuE4ELNS1_3repE0EEENS1_30default_config_static_selectorELNS0_4arch9wavefront6targetE1EEEvT1_.has_dyn_sized_stack, 0
	.set _ZN7rocprim17ROCPRIM_400000_NS6detail17trampoline_kernelINS0_14default_configENS1_25transform_config_selectorIjLb0EEEZNS1_14transform_implILb0ES3_S5_N6thrust23THRUST_200600_302600_NS6detail15normal_iteratorINS8_10device_ptrIjEEEEPjNS0_8identityIjEEEE10hipError_tT2_T3_mT4_P12ihipStream_tbEUlT_E_NS1_11comp_targetILNS1_3genE10ELNS1_11target_archE1200ELNS1_3gpuE4ELNS1_3repE0EEENS1_30default_config_static_selectorELNS0_4arch9wavefront6targetE1EEEvT1_.has_recursion, 0
	.set _ZN7rocprim17ROCPRIM_400000_NS6detail17trampoline_kernelINS0_14default_configENS1_25transform_config_selectorIjLb0EEEZNS1_14transform_implILb0ES3_S5_N6thrust23THRUST_200600_302600_NS6detail15normal_iteratorINS8_10device_ptrIjEEEEPjNS0_8identityIjEEEE10hipError_tT2_T3_mT4_P12ihipStream_tbEUlT_E_NS1_11comp_targetILNS1_3genE10ELNS1_11target_archE1200ELNS1_3gpuE4ELNS1_3repE0EEENS1_30default_config_static_selectorELNS0_4arch9wavefront6targetE1EEEvT1_.has_indirect_call, 0
	.section	.AMDGPU.csdata,"",@progbits
; Kernel info:
; codeLenInByte = 0
; TotalNumSgprs: 6
; NumVgprs: 0
; NumAgprs: 0
; TotalNumVgprs: 0
; ScratchSize: 0
; MemoryBound: 0
; FloatMode: 240
; IeeeMode: 1
; LDSByteSize: 0 bytes/workgroup (compile time only)
; SGPRBlocks: 0
; VGPRBlocks: 0
; NumSGPRsForWavesPerEU: 6
; NumVGPRsForWavesPerEU: 1
; AccumOffset: 4
; Occupancy: 8
; WaveLimiterHint : 0
; COMPUTE_PGM_RSRC2:SCRATCH_EN: 0
; COMPUTE_PGM_RSRC2:USER_SGPR: 2
; COMPUTE_PGM_RSRC2:TRAP_HANDLER: 0
; COMPUTE_PGM_RSRC2:TGID_X_EN: 1
; COMPUTE_PGM_RSRC2:TGID_Y_EN: 0
; COMPUTE_PGM_RSRC2:TGID_Z_EN: 0
; COMPUTE_PGM_RSRC2:TIDIG_COMP_CNT: 0
; COMPUTE_PGM_RSRC3_GFX90A:ACCUM_OFFSET: 0
; COMPUTE_PGM_RSRC3_GFX90A:TG_SPLIT: 0
	.section	.text._ZN7rocprim17ROCPRIM_400000_NS6detail17trampoline_kernelINS0_14default_configENS1_25transform_config_selectorIjLb0EEEZNS1_14transform_implILb0ES3_S5_N6thrust23THRUST_200600_302600_NS6detail15normal_iteratorINS8_10device_ptrIjEEEEPjNS0_8identityIjEEEE10hipError_tT2_T3_mT4_P12ihipStream_tbEUlT_E_NS1_11comp_targetILNS1_3genE9ELNS1_11target_archE1100ELNS1_3gpuE3ELNS1_3repE0EEENS1_30default_config_static_selectorELNS0_4arch9wavefront6targetE1EEEvT1_,"axG",@progbits,_ZN7rocprim17ROCPRIM_400000_NS6detail17trampoline_kernelINS0_14default_configENS1_25transform_config_selectorIjLb0EEEZNS1_14transform_implILb0ES3_S5_N6thrust23THRUST_200600_302600_NS6detail15normal_iteratorINS8_10device_ptrIjEEEEPjNS0_8identityIjEEEE10hipError_tT2_T3_mT4_P12ihipStream_tbEUlT_E_NS1_11comp_targetILNS1_3genE9ELNS1_11target_archE1100ELNS1_3gpuE3ELNS1_3repE0EEENS1_30default_config_static_selectorELNS0_4arch9wavefront6targetE1EEEvT1_,comdat
	.protected	_ZN7rocprim17ROCPRIM_400000_NS6detail17trampoline_kernelINS0_14default_configENS1_25transform_config_selectorIjLb0EEEZNS1_14transform_implILb0ES3_S5_N6thrust23THRUST_200600_302600_NS6detail15normal_iteratorINS8_10device_ptrIjEEEEPjNS0_8identityIjEEEE10hipError_tT2_T3_mT4_P12ihipStream_tbEUlT_E_NS1_11comp_targetILNS1_3genE9ELNS1_11target_archE1100ELNS1_3gpuE3ELNS1_3repE0EEENS1_30default_config_static_selectorELNS0_4arch9wavefront6targetE1EEEvT1_ ; -- Begin function _ZN7rocprim17ROCPRIM_400000_NS6detail17trampoline_kernelINS0_14default_configENS1_25transform_config_selectorIjLb0EEEZNS1_14transform_implILb0ES3_S5_N6thrust23THRUST_200600_302600_NS6detail15normal_iteratorINS8_10device_ptrIjEEEEPjNS0_8identityIjEEEE10hipError_tT2_T3_mT4_P12ihipStream_tbEUlT_E_NS1_11comp_targetILNS1_3genE9ELNS1_11target_archE1100ELNS1_3gpuE3ELNS1_3repE0EEENS1_30default_config_static_selectorELNS0_4arch9wavefront6targetE1EEEvT1_
	.globl	_ZN7rocprim17ROCPRIM_400000_NS6detail17trampoline_kernelINS0_14default_configENS1_25transform_config_selectorIjLb0EEEZNS1_14transform_implILb0ES3_S5_N6thrust23THRUST_200600_302600_NS6detail15normal_iteratorINS8_10device_ptrIjEEEEPjNS0_8identityIjEEEE10hipError_tT2_T3_mT4_P12ihipStream_tbEUlT_E_NS1_11comp_targetILNS1_3genE9ELNS1_11target_archE1100ELNS1_3gpuE3ELNS1_3repE0EEENS1_30default_config_static_selectorELNS0_4arch9wavefront6targetE1EEEvT1_
	.p2align	8
	.type	_ZN7rocprim17ROCPRIM_400000_NS6detail17trampoline_kernelINS0_14default_configENS1_25transform_config_selectorIjLb0EEEZNS1_14transform_implILb0ES3_S5_N6thrust23THRUST_200600_302600_NS6detail15normal_iteratorINS8_10device_ptrIjEEEEPjNS0_8identityIjEEEE10hipError_tT2_T3_mT4_P12ihipStream_tbEUlT_E_NS1_11comp_targetILNS1_3genE9ELNS1_11target_archE1100ELNS1_3gpuE3ELNS1_3repE0EEENS1_30default_config_static_selectorELNS0_4arch9wavefront6targetE1EEEvT1_,@function
_ZN7rocprim17ROCPRIM_400000_NS6detail17trampoline_kernelINS0_14default_configENS1_25transform_config_selectorIjLb0EEEZNS1_14transform_implILb0ES3_S5_N6thrust23THRUST_200600_302600_NS6detail15normal_iteratorINS8_10device_ptrIjEEEEPjNS0_8identityIjEEEE10hipError_tT2_T3_mT4_P12ihipStream_tbEUlT_E_NS1_11comp_targetILNS1_3genE9ELNS1_11target_archE1100ELNS1_3gpuE3ELNS1_3repE0EEENS1_30default_config_static_selectorELNS0_4arch9wavefront6targetE1EEEvT1_: ; @_ZN7rocprim17ROCPRIM_400000_NS6detail17trampoline_kernelINS0_14default_configENS1_25transform_config_selectorIjLb0EEEZNS1_14transform_implILb0ES3_S5_N6thrust23THRUST_200600_302600_NS6detail15normal_iteratorINS8_10device_ptrIjEEEEPjNS0_8identityIjEEEE10hipError_tT2_T3_mT4_P12ihipStream_tbEUlT_E_NS1_11comp_targetILNS1_3genE9ELNS1_11target_archE1100ELNS1_3gpuE3ELNS1_3repE0EEENS1_30default_config_static_selectorELNS0_4arch9wavefront6targetE1EEEvT1_
; %bb.0:
	.section	.rodata,"a",@progbits
	.p2align	6, 0x0
	.amdhsa_kernel _ZN7rocprim17ROCPRIM_400000_NS6detail17trampoline_kernelINS0_14default_configENS1_25transform_config_selectorIjLb0EEEZNS1_14transform_implILb0ES3_S5_N6thrust23THRUST_200600_302600_NS6detail15normal_iteratorINS8_10device_ptrIjEEEEPjNS0_8identityIjEEEE10hipError_tT2_T3_mT4_P12ihipStream_tbEUlT_E_NS1_11comp_targetILNS1_3genE9ELNS1_11target_archE1100ELNS1_3gpuE3ELNS1_3repE0EEENS1_30default_config_static_selectorELNS0_4arch9wavefront6targetE1EEEvT1_
		.amdhsa_group_segment_fixed_size 0
		.amdhsa_private_segment_fixed_size 0
		.amdhsa_kernarg_size 40
		.amdhsa_user_sgpr_count 2
		.amdhsa_user_sgpr_dispatch_ptr 0
		.amdhsa_user_sgpr_queue_ptr 0
		.amdhsa_user_sgpr_kernarg_segment_ptr 1
		.amdhsa_user_sgpr_dispatch_id 0
		.amdhsa_user_sgpr_kernarg_preload_length 0
		.amdhsa_user_sgpr_kernarg_preload_offset 0
		.amdhsa_user_sgpr_private_segment_size 0
		.amdhsa_uses_dynamic_stack 0
		.amdhsa_enable_private_segment 0
		.amdhsa_system_sgpr_workgroup_id_x 1
		.amdhsa_system_sgpr_workgroup_id_y 0
		.amdhsa_system_sgpr_workgroup_id_z 0
		.amdhsa_system_sgpr_workgroup_info 0
		.amdhsa_system_vgpr_workitem_id 0
		.amdhsa_next_free_vgpr 1
		.amdhsa_next_free_sgpr 0
		.amdhsa_accum_offset 4
		.amdhsa_reserve_vcc 0
		.amdhsa_float_round_mode_32 0
		.amdhsa_float_round_mode_16_64 0
		.amdhsa_float_denorm_mode_32 3
		.amdhsa_float_denorm_mode_16_64 3
		.amdhsa_dx10_clamp 1
		.amdhsa_ieee_mode 1
		.amdhsa_fp16_overflow 0
		.amdhsa_tg_split 0
		.amdhsa_exception_fp_ieee_invalid_op 0
		.amdhsa_exception_fp_denorm_src 0
		.amdhsa_exception_fp_ieee_div_zero 0
		.amdhsa_exception_fp_ieee_overflow 0
		.amdhsa_exception_fp_ieee_underflow 0
		.amdhsa_exception_fp_ieee_inexact 0
		.amdhsa_exception_int_div_zero 0
	.end_amdhsa_kernel
	.section	.text._ZN7rocprim17ROCPRIM_400000_NS6detail17trampoline_kernelINS0_14default_configENS1_25transform_config_selectorIjLb0EEEZNS1_14transform_implILb0ES3_S5_N6thrust23THRUST_200600_302600_NS6detail15normal_iteratorINS8_10device_ptrIjEEEEPjNS0_8identityIjEEEE10hipError_tT2_T3_mT4_P12ihipStream_tbEUlT_E_NS1_11comp_targetILNS1_3genE9ELNS1_11target_archE1100ELNS1_3gpuE3ELNS1_3repE0EEENS1_30default_config_static_selectorELNS0_4arch9wavefront6targetE1EEEvT1_,"axG",@progbits,_ZN7rocprim17ROCPRIM_400000_NS6detail17trampoline_kernelINS0_14default_configENS1_25transform_config_selectorIjLb0EEEZNS1_14transform_implILb0ES3_S5_N6thrust23THRUST_200600_302600_NS6detail15normal_iteratorINS8_10device_ptrIjEEEEPjNS0_8identityIjEEEE10hipError_tT2_T3_mT4_P12ihipStream_tbEUlT_E_NS1_11comp_targetILNS1_3genE9ELNS1_11target_archE1100ELNS1_3gpuE3ELNS1_3repE0EEENS1_30default_config_static_selectorELNS0_4arch9wavefront6targetE1EEEvT1_,comdat
.Lfunc_end749:
	.size	_ZN7rocprim17ROCPRIM_400000_NS6detail17trampoline_kernelINS0_14default_configENS1_25transform_config_selectorIjLb0EEEZNS1_14transform_implILb0ES3_S5_N6thrust23THRUST_200600_302600_NS6detail15normal_iteratorINS8_10device_ptrIjEEEEPjNS0_8identityIjEEEE10hipError_tT2_T3_mT4_P12ihipStream_tbEUlT_E_NS1_11comp_targetILNS1_3genE9ELNS1_11target_archE1100ELNS1_3gpuE3ELNS1_3repE0EEENS1_30default_config_static_selectorELNS0_4arch9wavefront6targetE1EEEvT1_, .Lfunc_end749-_ZN7rocprim17ROCPRIM_400000_NS6detail17trampoline_kernelINS0_14default_configENS1_25transform_config_selectorIjLb0EEEZNS1_14transform_implILb0ES3_S5_N6thrust23THRUST_200600_302600_NS6detail15normal_iteratorINS8_10device_ptrIjEEEEPjNS0_8identityIjEEEE10hipError_tT2_T3_mT4_P12ihipStream_tbEUlT_E_NS1_11comp_targetILNS1_3genE9ELNS1_11target_archE1100ELNS1_3gpuE3ELNS1_3repE0EEENS1_30default_config_static_selectorELNS0_4arch9wavefront6targetE1EEEvT1_
                                        ; -- End function
	.set _ZN7rocprim17ROCPRIM_400000_NS6detail17trampoline_kernelINS0_14default_configENS1_25transform_config_selectorIjLb0EEEZNS1_14transform_implILb0ES3_S5_N6thrust23THRUST_200600_302600_NS6detail15normal_iteratorINS8_10device_ptrIjEEEEPjNS0_8identityIjEEEE10hipError_tT2_T3_mT4_P12ihipStream_tbEUlT_E_NS1_11comp_targetILNS1_3genE9ELNS1_11target_archE1100ELNS1_3gpuE3ELNS1_3repE0EEENS1_30default_config_static_selectorELNS0_4arch9wavefront6targetE1EEEvT1_.num_vgpr, 0
	.set _ZN7rocprim17ROCPRIM_400000_NS6detail17trampoline_kernelINS0_14default_configENS1_25transform_config_selectorIjLb0EEEZNS1_14transform_implILb0ES3_S5_N6thrust23THRUST_200600_302600_NS6detail15normal_iteratorINS8_10device_ptrIjEEEEPjNS0_8identityIjEEEE10hipError_tT2_T3_mT4_P12ihipStream_tbEUlT_E_NS1_11comp_targetILNS1_3genE9ELNS1_11target_archE1100ELNS1_3gpuE3ELNS1_3repE0EEENS1_30default_config_static_selectorELNS0_4arch9wavefront6targetE1EEEvT1_.num_agpr, 0
	.set _ZN7rocprim17ROCPRIM_400000_NS6detail17trampoline_kernelINS0_14default_configENS1_25transform_config_selectorIjLb0EEEZNS1_14transform_implILb0ES3_S5_N6thrust23THRUST_200600_302600_NS6detail15normal_iteratorINS8_10device_ptrIjEEEEPjNS0_8identityIjEEEE10hipError_tT2_T3_mT4_P12ihipStream_tbEUlT_E_NS1_11comp_targetILNS1_3genE9ELNS1_11target_archE1100ELNS1_3gpuE3ELNS1_3repE0EEENS1_30default_config_static_selectorELNS0_4arch9wavefront6targetE1EEEvT1_.numbered_sgpr, 0
	.set _ZN7rocprim17ROCPRIM_400000_NS6detail17trampoline_kernelINS0_14default_configENS1_25transform_config_selectorIjLb0EEEZNS1_14transform_implILb0ES3_S5_N6thrust23THRUST_200600_302600_NS6detail15normal_iteratorINS8_10device_ptrIjEEEEPjNS0_8identityIjEEEE10hipError_tT2_T3_mT4_P12ihipStream_tbEUlT_E_NS1_11comp_targetILNS1_3genE9ELNS1_11target_archE1100ELNS1_3gpuE3ELNS1_3repE0EEENS1_30default_config_static_selectorELNS0_4arch9wavefront6targetE1EEEvT1_.num_named_barrier, 0
	.set _ZN7rocprim17ROCPRIM_400000_NS6detail17trampoline_kernelINS0_14default_configENS1_25transform_config_selectorIjLb0EEEZNS1_14transform_implILb0ES3_S5_N6thrust23THRUST_200600_302600_NS6detail15normal_iteratorINS8_10device_ptrIjEEEEPjNS0_8identityIjEEEE10hipError_tT2_T3_mT4_P12ihipStream_tbEUlT_E_NS1_11comp_targetILNS1_3genE9ELNS1_11target_archE1100ELNS1_3gpuE3ELNS1_3repE0EEENS1_30default_config_static_selectorELNS0_4arch9wavefront6targetE1EEEvT1_.private_seg_size, 0
	.set _ZN7rocprim17ROCPRIM_400000_NS6detail17trampoline_kernelINS0_14default_configENS1_25transform_config_selectorIjLb0EEEZNS1_14transform_implILb0ES3_S5_N6thrust23THRUST_200600_302600_NS6detail15normal_iteratorINS8_10device_ptrIjEEEEPjNS0_8identityIjEEEE10hipError_tT2_T3_mT4_P12ihipStream_tbEUlT_E_NS1_11comp_targetILNS1_3genE9ELNS1_11target_archE1100ELNS1_3gpuE3ELNS1_3repE0EEENS1_30default_config_static_selectorELNS0_4arch9wavefront6targetE1EEEvT1_.uses_vcc, 0
	.set _ZN7rocprim17ROCPRIM_400000_NS6detail17trampoline_kernelINS0_14default_configENS1_25transform_config_selectorIjLb0EEEZNS1_14transform_implILb0ES3_S5_N6thrust23THRUST_200600_302600_NS6detail15normal_iteratorINS8_10device_ptrIjEEEEPjNS0_8identityIjEEEE10hipError_tT2_T3_mT4_P12ihipStream_tbEUlT_E_NS1_11comp_targetILNS1_3genE9ELNS1_11target_archE1100ELNS1_3gpuE3ELNS1_3repE0EEENS1_30default_config_static_selectorELNS0_4arch9wavefront6targetE1EEEvT1_.uses_flat_scratch, 0
	.set _ZN7rocprim17ROCPRIM_400000_NS6detail17trampoline_kernelINS0_14default_configENS1_25transform_config_selectorIjLb0EEEZNS1_14transform_implILb0ES3_S5_N6thrust23THRUST_200600_302600_NS6detail15normal_iteratorINS8_10device_ptrIjEEEEPjNS0_8identityIjEEEE10hipError_tT2_T3_mT4_P12ihipStream_tbEUlT_E_NS1_11comp_targetILNS1_3genE9ELNS1_11target_archE1100ELNS1_3gpuE3ELNS1_3repE0EEENS1_30default_config_static_selectorELNS0_4arch9wavefront6targetE1EEEvT1_.has_dyn_sized_stack, 0
	.set _ZN7rocprim17ROCPRIM_400000_NS6detail17trampoline_kernelINS0_14default_configENS1_25transform_config_selectorIjLb0EEEZNS1_14transform_implILb0ES3_S5_N6thrust23THRUST_200600_302600_NS6detail15normal_iteratorINS8_10device_ptrIjEEEEPjNS0_8identityIjEEEE10hipError_tT2_T3_mT4_P12ihipStream_tbEUlT_E_NS1_11comp_targetILNS1_3genE9ELNS1_11target_archE1100ELNS1_3gpuE3ELNS1_3repE0EEENS1_30default_config_static_selectorELNS0_4arch9wavefront6targetE1EEEvT1_.has_recursion, 0
	.set _ZN7rocprim17ROCPRIM_400000_NS6detail17trampoline_kernelINS0_14default_configENS1_25transform_config_selectorIjLb0EEEZNS1_14transform_implILb0ES3_S5_N6thrust23THRUST_200600_302600_NS6detail15normal_iteratorINS8_10device_ptrIjEEEEPjNS0_8identityIjEEEE10hipError_tT2_T3_mT4_P12ihipStream_tbEUlT_E_NS1_11comp_targetILNS1_3genE9ELNS1_11target_archE1100ELNS1_3gpuE3ELNS1_3repE0EEENS1_30default_config_static_selectorELNS0_4arch9wavefront6targetE1EEEvT1_.has_indirect_call, 0
	.section	.AMDGPU.csdata,"",@progbits
; Kernel info:
; codeLenInByte = 0
; TotalNumSgprs: 6
; NumVgprs: 0
; NumAgprs: 0
; TotalNumVgprs: 0
; ScratchSize: 0
; MemoryBound: 0
; FloatMode: 240
; IeeeMode: 1
; LDSByteSize: 0 bytes/workgroup (compile time only)
; SGPRBlocks: 0
; VGPRBlocks: 0
; NumSGPRsForWavesPerEU: 6
; NumVGPRsForWavesPerEU: 1
; AccumOffset: 4
; Occupancy: 8
; WaveLimiterHint : 0
; COMPUTE_PGM_RSRC2:SCRATCH_EN: 0
; COMPUTE_PGM_RSRC2:USER_SGPR: 2
; COMPUTE_PGM_RSRC2:TRAP_HANDLER: 0
; COMPUTE_PGM_RSRC2:TGID_X_EN: 1
; COMPUTE_PGM_RSRC2:TGID_Y_EN: 0
; COMPUTE_PGM_RSRC2:TGID_Z_EN: 0
; COMPUTE_PGM_RSRC2:TIDIG_COMP_CNT: 0
; COMPUTE_PGM_RSRC3_GFX90A:ACCUM_OFFSET: 0
; COMPUTE_PGM_RSRC3_GFX90A:TG_SPLIT: 0
	.section	.text._ZN7rocprim17ROCPRIM_400000_NS6detail17trampoline_kernelINS0_14default_configENS1_25transform_config_selectorIjLb0EEEZNS1_14transform_implILb0ES3_S5_N6thrust23THRUST_200600_302600_NS6detail15normal_iteratorINS8_10device_ptrIjEEEEPjNS0_8identityIjEEEE10hipError_tT2_T3_mT4_P12ihipStream_tbEUlT_E_NS1_11comp_targetILNS1_3genE8ELNS1_11target_archE1030ELNS1_3gpuE2ELNS1_3repE0EEENS1_30default_config_static_selectorELNS0_4arch9wavefront6targetE1EEEvT1_,"axG",@progbits,_ZN7rocprim17ROCPRIM_400000_NS6detail17trampoline_kernelINS0_14default_configENS1_25transform_config_selectorIjLb0EEEZNS1_14transform_implILb0ES3_S5_N6thrust23THRUST_200600_302600_NS6detail15normal_iteratorINS8_10device_ptrIjEEEEPjNS0_8identityIjEEEE10hipError_tT2_T3_mT4_P12ihipStream_tbEUlT_E_NS1_11comp_targetILNS1_3genE8ELNS1_11target_archE1030ELNS1_3gpuE2ELNS1_3repE0EEENS1_30default_config_static_selectorELNS0_4arch9wavefront6targetE1EEEvT1_,comdat
	.protected	_ZN7rocprim17ROCPRIM_400000_NS6detail17trampoline_kernelINS0_14default_configENS1_25transform_config_selectorIjLb0EEEZNS1_14transform_implILb0ES3_S5_N6thrust23THRUST_200600_302600_NS6detail15normal_iteratorINS8_10device_ptrIjEEEEPjNS0_8identityIjEEEE10hipError_tT2_T3_mT4_P12ihipStream_tbEUlT_E_NS1_11comp_targetILNS1_3genE8ELNS1_11target_archE1030ELNS1_3gpuE2ELNS1_3repE0EEENS1_30default_config_static_selectorELNS0_4arch9wavefront6targetE1EEEvT1_ ; -- Begin function _ZN7rocprim17ROCPRIM_400000_NS6detail17trampoline_kernelINS0_14default_configENS1_25transform_config_selectorIjLb0EEEZNS1_14transform_implILb0ES3_S5_N6thrust23THRUST_200600_302600_NS6detail15normal_iteratorINS8_10device_ptrIjEEEEPjNS0_8identityIjEEEE10hipError_tT2_T3_mT4_P12ihipStream_tbEUlT_E_NS1_11comp_targetILNS1_3genE8ELNS1_11target_archE1030ELNS1_3gpuE2ELNS1_3repE0EEENS1_30default_config_static_selectorELNS0_4arch9wavefront6targetE1EEEvT1_
	.globl	_ZN7rocprim17ROCPRIM_400000_NS6detail17trampoline_kernelINS0_14default_configENS1_25transform_config_selectorIjLb0EEEZNS1_14transform_implILb0ES3_S5_N6thrust23THRUST_200600_302600_NS6detail15normal_iteratorINS8_10device_ptrIjEEEEPjNS0_8identityIjEEEE10hipError_tT2_T3_mT4_P12ihipStream_tbEUlT_E_NS1_11comp_targetILNS1_3genE8ELNS1_11target_archE1030ELNS1_3gpuE2ELNS1_3repE0EEENS1_30default_config_static_selectorELNS0_4arch9wavefront6targetE1EEEvT1_
	.p2align	8
	.type	_ZN7rocprim17ROCPRIM_400000_NS6detail17trampoline_kernelINS0_14default_configENS1_25transform_config_selectorIjLb0EEEZNS1_14transform_implILb0ES3_S5_N6thrust23THRUST_200600_302600_NS6detail15normal_iteratorINS8_10device_ptrIjEEEEPjNS0_8identityIjEEEE10hipError_tT2_T3_mT4_P12ihipStream_tbEUlT_E_NS1_11comp_targetILNS1_3genE8ELNS1_11target_archE1030ELNS1_3gpuE2ELNS1_3repE0EEENS1_30default_config_static_selectorELNS0_4arch9wavefront6targetE1EEEvT1_,@function
_ZN7rocprim17ROCPRIM_400000_NS6detail17trampoline_kernelINS0_14default_configENS1_25transform_config_selectorIjLb0EEEZNS1_14transform_implILb0ES3_S5_N6thrust23THRUST_200600_302600_NS6detail15normal_iteratorINS8_10device_ptrIjEEEEPjNS0_8identityIjEEEE10hipError_tT2_T3_mT4_P12ihipStream_tbEUlT_E_NS1_11comp_targetILNS1_3genE8ELNS1_11target_archE1030ELNS1_3gpuE2ELNS1_3repE0EEENS1_30default_config_static_selectorELNS0_4arch9wavefront6targetE1EEEvT1_: ; @_ZN7rocprim17ROCPRIM_400000_NS6detail17trampoline_kernelINS0_14default_configENS1_25transform_config_selectorIjLb0EEEZNS1_14transform_implILb0ES3_S5_N6thrust23THRUST_200600_302600_NS6detail15normal_iteratorINS8_10device_ptrIjEEEEPjNS0_8identityIjEEEE10hipError_tT2_T3_mT4_P12ihipStream_tbEUlT_E_NS1_11comp_targetILNS1_3genE8ELNS1_11target_archE1030ELNS1_3gpuE2ELNS1_3repE0EEENS1_30default_config_static_selectorELNS0_4arch9wavefront6targetE1EEEvT1_
; %bb.0:
	.section	.rodata,"a",@progbits
	.p2align	6, 0x0
	.amdhsa_kernel _ZN7rocprim17ROCPRIM_400000_NS6detail17trampoline_kernelINS0_14default_configENS1_25transform_config_selectorIjLb0EEEZNS1_14transform_implILb0ES3_S5_N6thrust23THRUST_200600_302600_NS6detail15normal_iteratorINS8_10device_ptrIjEEEEPjNS0_8identityIjEEEE10hipError_tT2_T3_mT4_P12ihipStream_tbEUlT_E_NS1_11comp_targetILNS1_3genE8ELNS1_11target_archE1030ELNS1_3gpuE2ELNS1_3repE0EEENS1_30default_config_static_selectorELNS0_4arch9wavefront6targetE1EEEvT1_
		.amdhsa_group_segment_fixed_size 0
		.amdhsa_private_segment_fixed_size 0
		.amdhsa_kernarg_size 40
		.amdhsa_user_sgpr_count 2
		.amdhsa_user_sgpr_dispatch_ptr 0
		.amdhsa_user_sgpr_queue_ptr 0
		.amdhsa_user_sgpr_kernarg_segment_ptr 1
		.amdhsa_user_sgpr_dispatch_id 0
		.amdhsa_user_sgpr_kernarg_preload_length 0
		.amdhsa_user_sgpr_kernarg_preload_offset 0
		.amdhsa_user_sgpr_private_segment_size 0
		.amdhsa_uses_dynamic_stack 0
		.amdhsa_enable_private_segment 0
		.amdhsa_system_sgpr_workgroup_id_x 1
		.amdhsa_system_sgpr_workgroup_id_y 0
		.amdhsa_system_sgpr_workgroup_id_z 0
		.amdhsa_system_sgpr_workgroup_info 0
		.amdhsa_system_vgpr_workitem_id 0
		.amdhsa_next_free_vgpr 1
		.amdhsa_next_free_sgpr 0
		.amdhsa_accum_offset 4
		.amdhsa_reserve_vcc 0
		.amdhsa_float_round_mode_32 0
		.amdhsa_float_round_mode_16_64 0
		.amdhsa_float_denorm_mode_32 3
		.amdhsa_float_denorm_mode_16_64 3
		.amdhsa_dx10_clamp 1
		.amdhsa_ieee_mode 1
		.amdhsa_fp16_overflow 0
		.amdhsa_tg_split 0
		.amdhsa_exception_fp_ieee_invalid_op 0
		.amdhsa_exception_fp_denorm_src 0
		.amdhsa_exception_fp_ieee_div_zero 0
		.amdhsa_exception_fp_ieee_overflow 0
		.amdhsa_exception_fp_ieee_underflow 0
		.amdhsa_exception_fp_ieee_inexact 0
		.amdhsa_exception_int_div_zero 0
	.end_amdhsa_kernel
	.section	.text._ZN7rocprim17ROCPRIM_400000_NS6detail17trampoline_kernelINS0_14default_configENS1_25transform_config_selectorIjLb0EEEZNS1_14transform_implILb0ES3_S5_N6thrust23THRUST_200600_302600_NS6detail15normal_iteratorINS8_10device_ptrIjEEEEPjNS0_8identityIjEEEE10hipError_tT2_T3_mT4_P12ihipStream_tbEUlT_E_NS1_11comp_targetILNS1_3genE8ELNS1_11target_archE1030ELNS1_3gpuE2ELNS1_3repE0EEENS1_30default_config_static_selectorELNS0_4arch9wavefront6targetE1EEEvT1_,"axG",@progbits,_ZN7rocprim17ROCPRIM_400000_NS6detail17trampoline_kernelINS0_14default_configENS1_25transform_config_selectorIjLb0EEEZNS1_14transform_implILb0ES3_S5_N6thrust23THRUST_200600_302600_NS6detail15normal_iteratorINS8_10device_ptrIjEEEEPjNS0_8identityIjEEEE10hipError_tT2_T3_mT4_P12ihipStream_tbEUlT_E_NS1_11comp_targetILNS1_3genE8ELNS1_11target_archE1030ELNS1_3gpuE2ELNS1_3repE0EEENS1_30default_config_static_selectorELNS0_4arch9wavefront6targetE1EEEvT1_,comdat
.Lfunc_end750:
	.size	_ZN7rocprim17ROCPRIM_400000_NS6detail17trampoline_kernelINS0_14default_configENS1_25transform_config_selectorIjLb0EEEZNS1_14transform_implILb0ES3_S5_N6thrust23THRUST_200600_302600_NS6detail15normal_iteratorINS8_10device_ptrIjEEEEPjNS0_8identityIjEEEE10hipError_tT2_T3_mT4_P12ihipStream_tbEUlT_E_NS1_11comp_targetILNS1_3genE8ELNS1_11target_archE1030ELNS1_3gpuE2ELNS1_3repE0EEENS1_30default_config_static_selectorELNS0_4arch9wavefront6targetE1EEEvT1_, .Lfunc_end750-_ZN7rocprim17ROCPRIM_400000_NS6detail17trampoline_kernelINS0_14default_configENS1_25transform_config_selectorIjLb0EEEZNS1_14transform_implILb0ES3_S5_N6thrust23THRUST_200600_302600_NS6detail15normal_iteratorINS8_10device_ptrIjEEEEPjNS0_8identityIjEEEE10hipError_tT2_T3_mT4_P12ihipStream_tbEUlT_E_NS1_11comp_targetILNS1_3genE8ELNS1_11target_archE1030ELNS1_3gpuE2ELNS1_3repE0EEENS1_30default_config_static_selectorELNS0_4arch9wavefront6targetE1EEEvT1_
                                        ; -- End function
	.set _ZN7rocprim17ROCPRIM_400000_NS6detail17trampoline_kernelINS0_14default_configENS1_25transform_config_selectorIjLb0EEEZNS1_14transform_implILb0ES3_S5_N6thrust23THRUST_200600_302600_NS6detail15normal_iteratorINS8_10device_ptrIjEEEEPjNS0_8identityIjEEEE10hipError_tT2_T3_mT4_P12ihipStream_tbEUlT_E_NS1_11comp_targetILNS1_3genE8ELNS1_11target_archE1030ELNS1_3gpuE2ELNS1_3repE0EEENS1_30default_config_static_selectorELNS0_4arch9wavefront6targetE1EEEvT1_.num_vgpr, 0
	.set _ZN7rocprim17ROCPRIM_400000_NS6detail17trampoline_kernelINS0_14default_configENS1_25transform_config_selectorIjLb0EEEZNS1_14transform_implILb0ES3_S5_N6thrust23THRUST_200600_302600_NS6detail15normal_iteratorINS8_10device_ptrIjEEEEPjNS0_8identityIjEEEE10hipError_tT2_T3_mT4_P12ihipStream_tbEUlT_E_NS1_11comp_targetILNS1_3genE8ELNS1_11target_archE1030ELNS1_3gpuE2ELNS1_3repE0EEENS1_30default_config_static_selectorELNS0_4arch9wavefront6targetE1EEEvT1_.num_agpr, 0
	.set _ZN7rocprim17ROCPRIM_400000_NS6detail17trampoline_kernelINS0_14default_configENS1_25transform_config_selectorIjLb0EEEZNS1_14transform_implILb0ES3_S5_N6thrust23THRUST_200600_302600_NS6detail15normal_iteratorINS8_10device_ptrIjEEEEPjNS0_8identityIjEEEE10hipError_tT2_T3_mT4_P12ihipStream_tbEUlT_E_NS1_11comp_targetILNS1_3genE8ELNS1_11target_archE1030ELNS1_3gpuE2ELNS1_3repE0EEENS1_30default_config_static_selectorELNS0_4arch9wavefront6targetE1EEEvT1_.numbered_sgpr, 0
	.set _ZN7rocprim17ROCPRIM_400000_NS6detail17trampoline_kernelINS0_14default_configENS1_25transform_config_selectorIjLb0EEEZNS1_14transform_implILb0ES3_S5_N6thrust23THRUST_200600_302600_NS6detail15normal_iteratorINS8_10device_ptrIjEEEEPjNS0_8identityIjEEEE10hipError_tT2_T3_mT4_P12ihipStream_tbEUlT_E_NS1_11comp_targetILNS1_3genE8ELNS1_11target_archE1030ELNS1_3gpuE2ELNS1_3repE0EEENS1_30default_config_static_selectorELNS0_4arch9wavefront6targetE1EEEvT1_.num_named_barrier, 0
	.set _ZN7rocprim17ROCPRIM_400000_NS6detail17trampoline_kernelINS0_14default_configENS1_25transform_config_selectorIjLb0EEEZNS1_14transform_implILb0ES3_S5_N6thrust23THRUST_200600_302600_NS6detail15normal_iteratorINS8_10device_ptrIjEEEEPjNS0_8identityIjEEEE10hipError_tT2_T3_mT4_P12ihipStream_tbEUlT_E_NS1_11comp_targetILNS1_3genE8ELNS1_11target_archE1030ELNS1_3gpuE2ELNS1_3repE0EEENS1_30default_config_static_selectorELNS0_4arch9wavefront6targetE1EEEvT1_.private_seg_size, 0
	.set _ZN7rocprim17ROCPRIM_400000_NS6detail17trampoline_kernelINS0_14default_configENS1_25transform_config_selectorIjLb0EEEZNS1_14transform_implILb0ES3_S5_N6thrust23THRUST_200600_302600_NS6detail15normal_iteratorINS8_10device_ptrIjEEEEPjNS0_8identityIjEEEE10hipError_tT2_T3_mT4_P12ihipStream_tbEUlT_E_NS1_11comp_targetILNS1_3genE8ELNS1_11target_archE1030ELNS1_3gpuE2ELNS1_3repE0EEENS1_30default_config_static_selectorELNS0_4arch9wavefront6targetE1EEEvT1_.uses_vcc, 0
	.set _ZN7rocprim17ROCPRIM_400000_NS6detail17trampoline_kernelINS0_14default_configENS1_25transform_config_selectorIjLb0EEEZNS1_14transform_implILb0ES3_S5_N6thrust23THRUST_200600_302600_NS6detail15normal_iteratorINS8_10device_ptrIjEEEEPjNS0_8identityIjEEEE10hipError_tT2_T3_mT4_P12ihipStream_tbEUlT_E_NS1_11comp_targetILNS1_3genE8ELNS1_11target_archE1030ELNS1_3gpuE2ELNS1_3repE0EEENS1_30default_config_static_selectorELNS0_4arch9wavefront6targetE1EEEvT1_.uses_flat_scratch, 0
	.set _ZN7rocprim17ROCPRIM_400000_NS6detail17trampoline_kernelINS0_14default_configENS1_25transform_config_selectorIjLb0EEEZNS1_14transform_implILb0ES3_S5_N6thrust23THRUST_200600_302600_NS6detail15normal_iteratorINS8_10device_ptrIjEEEEPjNS0_8identityIjEEEE10hipError_tT2_T3_mT4_P12ihipStream_tbEUlT_E_NS1_11comp_targetILNS1_3genE8ELNS1_11target_archE1030ELNS1_3gpuE2ELNS1_3repE0EEENS1_30default_config_static_selectorELNS0_4arch9wavefront6targetE1EEEvT1_.has_dyn_sized_stack, 0
	.set _ZN7rocprim17ROCPRIM_400000_NS6detail17trampoline_kernelINS0_14default_configENS1_25transform_config_selectorIjLb0EEEZNS1_14transform_implILb0ES3_S5_N6thrust23THRUST_200600_302600_NS6detail15normal_iteratorINS8_10device_ptrIjEEEEPjNS0_8identityIjEEEE10hipError_tT2_T3_mT4_P12ihipStream_tbEUlT_E_NS1_11comp_targetILNS1_3genE8ELNS1_11target_archE1030ELNS1_3gpuE2ELNS1_3repE0EEENS1_30default_config_static_selectorELNS0_4arch9wavefront6targetE1EEEvT1_.has_recursion, 0
	.set _ZN7rocprim17ROCPRIM_400000_NS6detail17trampoline_kernelINS0_14default_configENS1_25transform_config_selectorIjLb0EEEZNS1_14transform_implILb0ES3_S5_N6thrust23THRUST_200600_302600_NS6detail15normal_iteratorINS8_10device_ptrIjEEEEPjNS0_8identityIjEEEE10hipError_tT2_T3_mT4_P12ihipStream_tbEUlT_E_NS1_11comp_targetILNS1_3genE8ELNS1_11target_archE1030ELNS1_3gpuE2ELNS1_3repE0EEENS1_30default_config_static_selectorELNS0_4arch9wavefront6targetE1EEEvT1_.has_indirect_call, 0
	.section	.AMDGPU.csdata,"",@progbits
; Kernel info:
; codeLenInByte = 0
; TotalNumSgprs: 6
; NumVgprs: 0
; NumAgprs: 0
; TotalNumVgprs: 0
; ScratchSize: 0
; MemoryBound: 0
; FloatMode: 240
; IeeeMode: 1
; LDSByteSize: 0 bytes/workgroup (compile time only)
; SGPRBlocks: 0
; VGPRBlocks: 0
; NumSGPRsForWavesPerEU: 6
; NumVGPRsForWavesPerEU: 1
; AccumOffset: 4
; Occupancy: 8
; WaveLimiterHint : 0
; COMPUTE_PGM_RSRC2:SCRATCH_EN: 0
; COMPUTE_PGM_RSRC2:USER_SGPR: 2
; COMPUTE_PGM_RSRC2:TRAP_HANDLER: 0
; COMPUTE_PGM_RSRC2:TGID_X_EN: 1
; COMPUTE_PGM_RSRC2:TGID_Y_EN: 0
; COMPUTE_PGM_RSRC2:TGID_Z_EN: 0
; COMPUTE_PGM_RSRC2:TIDIG_COMP_CNT: 0
; COMPUTE_PGM_RSRC3_GFX90A:ACCUM_OFFSET: 0
; COMPUTE_PGM_RSRC3_GFX90A:TG_SPLIT: 0
	.section	.text._ZN7rocprim17ROCPRIM_400000_NS6detail17trampoline_kernelINS0_14default_configENS1_35radix_sort_onesweep_config_selectorIjjEEZZNS1_29radix_sort_onesweep_iterationIS3_Lb0EN6thrust23THRUST_200600_302600_NS6detail15normal_iteratorINS8_10device_ptrIjEEEESD_SD_SD_jNS0_19identity_decomposerENS1_16block_id_wrapperIjLb1EEEEE10hipError_tT1_PNSt15iterator_traitsISI_E10value_typeET2_T3_PNSJ_ISO_E10value_typeET4_T5_PST_SU_PNS1_23onesweep_lookback_stateEbbT6_jjT7_P12ihipStream_tbENKUlT_T0_SI_SN_E_clISD_SD_SD_SD_EEDaS11_S12_SI_SN_EUlS11_E_NS1_11comp_targetILNS1_3genE0ELNS1_11target_archE4294967295ELNS1_3gpuE0ELNS1_3repE0EEENS1_47radix_sort_onesweep_sort_config_static_selectorELNS0_4arch9wavefront6targetE1EEEvSI_,"axG",@progbits,_ZN7rocprim17ROCPRIM_400000_NS6detail17trampoline_kernelINS0_14default_configENS1_35radix_sort_onesweep_config_selectorIjjEEZZNS1_29radix_sort_onesweep_iterationIS3_Lb0EN6thrust23THRUST_200600_302600_NS6detail15normal_iteratorINS8_10device_ptrIjEEEESD_SD_SD_jNS0_19identity_decomposerENS1_16block_id_wrapperIjLb1EEEEE10hipError_tT1_PNSt15iterator_traitsISI_E10value_typeET2_T3_PNSJ_ISO_E10value_typeET4_T5_PST_SU_PNS1_23onesweep_lookback_stateEbbT6_jjT7_P12ihipStream_tbENKUlT_T0_SI_SN_E_clISD_SD_SD_SD_EEDaS11_S12_SI_SN_EUlS11_E_NS1_11comp_targetILNS1_3genE0ELNS1_11target_archE4294967295ELNS1_3gpuE0ELNS1_3repE0EEENS1_47radix_sort_onesweep_sort_config_static_selectorELNS0_4arch9wavefront6targetE1EEEvSI_,comdat
	.protected	_ZN7rocprim17ROCPRIM_400000_NS6detail17trampoline_kernelINS0_14default_configENS1_35radix_sort_onesweep_config_selectorIjjEEZZNS1_29radix_sort_onesweep_iterationIS3_Lb0EN6thrust23THRUST_200600_302600_NS6detail15normal_iteratorINS8_10device_ptrIjEEEESD_SD_SD_jNS0_19identity_decomposerENS1_16block_id_wrapperIjLb1EEEEE10hipError_tT1_PNSt15iterator_traitsISI_E10value_typeET2_T3_PNSJ_ISO_E10value_typeET4_T5_PST_SU_PNS1_23onesweep_lookback_stateEbbT6_jjT7_P12ihipStream_tbENKUlT_T0_SI_SN_E_clISD_SD_SD_SD_EEDaS11_S12_SI_SN_EUlS11_E_NS1_11comp_targetILNS1_3genE0ELNS1_11target_archE4294967295ELNS1_3gpuE0ELNS1_3repE0EEENS1_47radix_sort_onesweep_sort_config_static_selectorELNS0_4arch9wavefront6targetE1EEEvSI_ ; -- Begin function _ZN7rocprim17ROCPRIM_400000_NS6detail17trampoline_kernelINS0_14default_configENS1_35radix_sort_onesweep_config_selectorIjjEEZZNS1_29radix_sort_onesweep_iterationIS3_Lb0EN6thrust23THRUST_200600_302600_NS6detail15normal_iteratorINS8_10device_ptrIjEEEESD_SD_SD_jNS0_19identity_decomposerENS1_16block_id_wrapperIjLb1EEEEE10hipError_tT1_PNSt15iterator_traitsISI_E10value_typeET2_T3_PNSJ_ISO_E10value_typeET4_T5_PST_SU_PNS1_23onesweep_lookback_stateEbbT6_jjT7_P12ihipStream_tbENKUlT_T0_SI_SN_E_clISD_SD_SD_SD_EEDaS11_S12_SI_SN_EUlS11_E_NS1_11comp_targetILNS1_3genE0ELNS1_11target_archE4294967295ELNS1_3gpuE0ELNS1_3repE0EEENS1_47radix_sort_onesweep_sort_config_static_selectorELNS0_4arch9wavefront6targetE1EEEvSI_
	.globl	_ZN7rocprim17ROCPRIM_400000_NS6detail17trampoline_kernelINS0_14default_configENS1_35radix_sort_onesweep_config_selectorIjjEEZZNS1_29radix_sort_onesweep_iterationIS3_Lb0EN6thrust23THRUST_200600_302600_NS6detail15normal_iteratorINS8_10device_ptrIjEEEESD_SD_SD_jNS0_19identity_decomposerENS1_16block_id_wrapperIjLb1EEEEE10hipError_tT1_PNSt15iterator_traitsISI_E10value_typeET2_T3_PNSJ_ISO_E10value_typeET4_T5_PST_SU_PNS1_23onesweep_lookback_stateEbbT6_jjT7_P12ihipStream_tbENKUlT_T0_SI_SN_E_clISD_SD_SD_SD_EEDaS11_S12_SI_SN_EUlS11_E_NS1_11comp_targetILNS1_3genE0ELNS1_11target_archE4294967295ELNS1_3gpuE0ELNS1_3repE0EEENS1_47radix_sort_onesweep_sort_config_static_selectorELNS0_4arch9wavefront6targetE1EEEvSI_
	.p2align	8
	.type	_ZN7rocprim17ROCPRIM_400000_NS6detail17trampoline_kernelINS0_14default_configENS1_35radix_sort_onesweep_config_selectorIjjEEZZNS1_29radix_sort_onesweep_iterationIS3_Lb0EN6thrust23THRUST_200600_302600_NS6detail15normal_iteratorINS8_10device_ptrIjEEEESD_SD_SD_jNS0_19identity_decomposerENS1_16block_id_wrapperIjLb1EEEEE10hipError_tT1_PNSt15iterator_traitsISI_E10value_typeET2_T3_PNSJ_ISO_E10value_typeET4_T5_PST_SU_PNS1_23onesweep_lookback_stateEbbT6_jjT7_P12ihipStream_tbENKUlT_T0_SI_SN_E_clISD_SD_SD_SD_EEDaS11_S12_SI_SN_EUlS11_E_NS1_11comp_targetILNS1_3genE0ELNS1_11target_archE4294967295ELNS1_3gpuE0ELNS1_3repE0EEENS1_47radix_sort_onesweep_sort_config_static_selectorELNS0_4arch9wavefront6targetE1EEEvSI_,@function
_ZN7rocprim17ROCPRIM_400000_NS6detail17trampoline_kernelINS0_14default_configENS1_35radix_sort_onesweep_config_selectorIjjEEZZNS1_29radix_sort_onesweep_iterationIS3_Lb0EN6thrust23THRUST_200600_302600_NS6detail15normal_iteratorINS8_10device_ptrIjEEEESD_SD_SD_jNS0_19identity_decomposerENS1_16block_id_wrapperIjLb1EEEEE10hipError_tT1_PNSt15iterator_traitsISI_E10value_typeET2_T3_PNSJ_ISO_E10value_typeET4_T5_PST_SU_PNS1_23onesweep_lookback_stateEbbT6_jjT7_P12ihipStream_tbENKUlT_T0_SI_SN_E_clISD_SD_SD_SD_EEDaS11_S12_SI_SN_EUlS11_E_NS1_11comp_targetILNS1_3genE0ELNS1_11target_archE4294967295ELNS1_3gpuE0ELNS1_3repE0EEENS1_47radix_sort_onesweep_sort_config_static_selectorELNS0_4arch9wavefront6targetE1EEEvSI_: ; @_ZN7rocprim17ROCPRIM_400000_NS6detail17trampoline_kernelINS0_14default_configENS1_35radix_sort_onesweep_config_selectorIjjEEZZNS1_29radix_sort_onesweep_iterationIS3_Lb0EN6thrust23THRUST_200600_302600_NS6detail15normal_iteratorINS8_10device_ptrIjEEEESD_SD_SD_jNS0_19identity_decomposerENS1_16block_id_wrapperIjLb1EEEEE10hipError_tT1_PNSt15iterator_traitsISI_E10value_typeET2_T3_PNSJ_ISO_E10value_typeET4_T5_PST_SU_PNS1_23onesweep_lookback_stateEbbT6_jjT7_P12ihipStream_tbENKUlT_T0_SI_SN_E_clISD_SD_SD_SD_EEDaS11_S12_SI_SN_EUlS11_E_NS1_11comp_targetILNS1_3genE0ELNS1_11target_archE4294967295ELNS1_3gpuE0ELNS1_3repE0EEENS1_47radix_sort_onesweep_sort_config_static_selectorELNS0_4arch9wavefront6targetE1EEEvSI_
; %bb.0:
	.section	.rodata,"a",@progbits
	.p2align	6, 0x0
	.amdhsa_kernel _ZN7rocprim17ROCPRIM_400000_NS6detail17trampoline_kernelINS0_14default_configENS1_35radix_sort_onesweep_config_selectorIjjEEZZNS1_29radix_sort_onesweep_iterationIS3_Lb0EN6thrust23THRUST_200600_302600_NS6detail15normal_iteratorINS8_10device_ptrIjEEEESD_SD_SD_jNS0_19identity_decomposerENS1_16block_id_wrapperIjLb1EEEEE10hipError_tT1_PNSt15iterator_traitsISI_E10value_typeET2_T3_PNSJ_ISO_E10value_typeET4_T5_PST_SU_PNS1_23onesweep_lookback_stateEbbT6_jjT7_P12ihipStream_tbENKUlT_T0_SI_SN_E_clISD_SD_SD_SD_EEDaS11_S12_SI_SN_EUlS11_E_NS1_11comp_targetILNS1_3genE0ELNS1_11target_archE4294967295ELNS1_3gpuE0ELNS1_3repE0EEENS1_47radix_sort_onesweep_sort_config_static_selectorELNS0_4arch9wavefront6targetE1EEEvSI_
		.amdhsa_group_segment_fixed_size 0
		.amdhsa_private_segment_fixed_size 0
		.amdhsa_kernarg_size 88
		.amdhsa_user_sgpr_count 2
		.amdhsa_user_sgpr_dispatch_ptr 0
		.amdhsa_user_sgpr_queue_ptr 0
		.amdhsa_user_sgpr_kernarg_segment_ptr 1
		.amdhsa_user_sgpr_dispatch_id 0
		.amdhsa_user_sgpr_kernarg_preload_length 0
		.amdhsa_user_sgpr_kernarg_preload_offset 0
		.amdhsa_user_sgpr_private_segment_size 0
		.amdhsa_uses_dynamic_stack 0
		.amdhsa_enable_private_segment 0
		.amdhsa_system_sgpr_workgroup_id_x 1
		.amdhsa_system_sgpr_workgroup_id_y 0
		.amdhsa_system_sgpr_workgroup_id_z 0
		.amdhsa_system_sgpr_workgroup_info 0
		.amdhsa_system_vgpr_workitem_id 0
		.amdhsa_next_free_vgpr 1
		.amdhsa_next_free_sgpr 0
		.amdhsa_accum_offset 4
		.amdhsa_reserve_vcc 0
		.amdhsa_float_round_mode_32 0
		.amdhsa_float_round_mode_16_64 0
		.amdhsa_float_denorm_mode_32 3
		.amdhsa_float_denorm_mode_16_64 3
		.amdhsa_dx10_clamp 1
		.amdhsa_ieee_mode 1
		.amdhsa_fp16_overflow 0
		.amdhsa_tg_split 0
		.amdhsa_exception_fp_ieee_invalid_op 0
		.amdhsa_exception_fp_denorm_src 0
		.amdhsa_exception_fp_ieee_div_zero 0
		.amdhsa_exception_fp_ieee_overflow 0
		.amdhsa_exception_fp_ieee_underflow 0
		.amdhsa_exception_fp_ieee_inexact 0
		.amdhsa_exception_int_div_zero 0
	.end_amdhsa_kernel
	.section	.text._ZN7rocprim17ROCPRIM_400000_NS6detail17trampoline_kernelINS0_14default_configENS1_35radix_sort_onesweep_config_selectorIjjEEZZNS1_29radix_sort_onesweep_iterationIS3_Lb0EN6thrust23THRUST_200600_302600_NS6detail15normal_iteratorINS8_10device_ptrIjEEEESD_SD_SD_jNS0_19identity_decomposerENS1_16block_id_wrapperIjLb1EEEEE10hipError_tT1_PNSt15iterator_traitsISI_E10value_typeET2_T3_PNSJ_ISO_E10value_typeET4_T5_PST_SU_PNS1_23onesweep_lookback_stateEbbT6_jjT7_P12ihipStream_tbENKUlT_T0_SI_SN_E_clISD_SD_SD_SD_EEDaS11_S12_SI_SN_EUlS11_E_NS1_11comp_targetILNS1_3genE0ELNS1_11target_archE4294967295ELNS1_3gpuE0ELNS1_3repE0EEENS1_47radix_sort_onesweep_sort_config_static_selectorELNS0_4arch9wavefront6targetE1EEEvSI_,"axG",@progbits,_ZN7rocprim17ROCPRIM_400000_NS6detail17trampoline_kernelINS0_14default_configENS1_35radix_sort_onesweep_config_selectorIjjEEZZNS1_29radix_sort_onesweep_iterationIS3_Lb0EN6thrust23THRUST_200600_302600_NS6detail15normal_iteratorINS8_10device_ptrIjEEEESD_SD_SD_jNS0_19identity_decomposerENS1_16block_id_wrapperIjLb1EEEEE10hipError_tT1_PNSt15iterator_traitsISI_E10value_typeET2_T3_PNSJ_ISO_E10value_typeET4_T5_PST_SU_PNS1_23onesweep_lookback_stateEbbT6_jjT7_P12ihipStream_tbENKUlT_T0_SI_SN_E_clISD_SD_SD_SD_EEDaS11_S12_SI_SN_EUlS11_E_NS1_11comp_targetILNS1_3genE0ELNS1_11target_archE4294967295ELNS1_3gpuE0ELNS1_3repE0EEENS1_47radix_sort_onesweep_sort_config_static_selectorELNS0_4arch9wavefront6targetE1EEEvSI_,comdat
.Lfunc_end751:
	.size	_ZN7rocprim17ROCPRIM_400000_NS6detail17trampoline_kernelINS0_14default_configENS1_35radix_sort_onesweep_config_selectorIjjEEZZNS1_29radix_sort_onesweep_iterationIS3_Lb0EN6thrust23THRUST_200600_302600_NS6detail15normal_iteratorINS8_10device_ptrIjEEEESD_SD_SD_jNS0_19identity_decomposerENS1_16block_id_wrapperIjLb1EEEEE10hipError_tT1_PNSt15iterator_traitsISI_E10value_typeET2_T3_PNSJ_ISO_E10value_typeET4_T5_PST_SU_PNS1_23onesweep_lookback_stateEbbT6_jjT7_P12ihipStream_tbENKUlT_T0_SI_SN_E_clISD_SD_SD_SD_EEDaS11_S12_SI_SN_EUlS11_E_NS1_11comp_targetILNS1_3genE0ELNS1_11target_archE4294967295ELNS1_3gpuE0ELNS1_3repE0EEENS1_47radix_sort_onesweep_sort_config_static_selectorELNS0_4arch9wavefront6targetE1EEEvSI_, .Lfunc_end751-_ZN7rocprim17ROCPRIM_400000_NS6detail17trampoline_kernelINS0_14default_configENS1_35radix_sort_onesweep_config_selectorIjjEEZZNS1_29radix_sort_onesweep_iterationIS3_Lb0EN6thrust23THRUST_200600_302600_NS6detail15normal_iteratorINS8_10device_ptrIjEEEESD_SD_SD_jNS0_19identity_decomposerENS1_16block_id_wrapperIjLb1EEEEE10hipError_tT1_PNSt15iterator_traitsISI_E10value_typeET2_T3_PNSJ_ISO_E10value_typeET4_T5_PST_SU_PNS1_23onesweep_lookback_stateEbbT6_jjT7_P12ihipStream_tbENKUlT_T0_SI_SN_E_clISD_SD_SD_SD_EEDaS11_S12_SI_SN_EUlS11_E_NS1_11comp_targetILNS1_3genE0ELNS1_11target_archE4294967295ELNS1_3gpuE0ELNS1_3repE0EEENS1_47radix_sort_onesweep_sort_config_static_selectorELNS0_4arch9wavefront6targetE1EEEvSI_
                                        ; -- End function
	.set _ZN7rocprim17ROCPRIM_400000_NS6detail17trampoline_kernelINS0_14default_configENS1_35radix_sort_onesweep_config_selectorIjjEEZZNS1_29radix_sort_onesweep_iterationIS3_Lb0EN6thrust23THRUST_200600_302600_NS6detail15normal_iteratorINS8_10device_ptrIjEEEESD_SD_SD_jNS0_19identity_decomposerENS1_16block_id_wrapperIjLb1EEEEE10hipError_tT1_PNSt15iterator_traitsISI_E10value_typeET2_T3_PNSJ_ISO_E10value_typeET4_T5_PST_SU_PNS1_23onesweep_lookback_stateEbbT6_jjT7_P12ihipStream_tbENKUlT_T0_SI_SN_E_clISD_SD_SD_SD_EEDaS11_S12_SI_SN_EUlS11_E_NS1_11comp_targetILNS1_3genE0ELNS1_11target_archE4294967295ELNS1_3gpuE0ELNS1_3repE0EEENS1_47radix_sort_onesweep_sort_config_static_selectorELNS0_4arch9wavefront6targetE1EEEvSI_.num_vgpr, 0
	.set _ZN7rocprim17ROCPRIM_400000_NS6detail17trampoline_kernelINS0_14default_configENS1_35radix_sort_onesweep_config_selectorIjjEEZZNS1_29radix_sort_onesweep_iterationIS3_Lb0EN6thrust23THRUST_200600_302600_NS6detail15normal_iteratorINS8_10device_ptrIjEEEESD_SD_SD_jNS0_19identity_decomposerENS1_16block_id_wrapperIjLb1EEEEE10hipError_tT1_PNSt15iterator_traitsISI_E10value_typeET2_T3_PNSJ_ISO_E10value_typeET4_T5_PST_SU_PNS1_23onesweep_lookback_stateEbbT6_jjT7_P12ihipStream_tbENKUlT_T0_SI_SN_E_clISD_SD_SD_SD_EEDaS11_S12_SI_SN_EUlS11_E_NS1_11comp_targetILNS1_3genE0ELNS1_11target_archE4294967295ELNS1_3gpuE0ELNS1_3repE0EEENS1_47radix_sort_onesweep_sort_config_static_selectorELNS0_4arch9wavefront6targetE1EEEvSI_.num_agpr, 0
	.set _ZN7rocprim17ROCPRIM_400000_NS6detail17trampoline_kernelINS0_14default_configENS1_35radix_sort_onesweep_config_selectorIjjEEZZNS1_29radix_sort_onesweep_iterationIS3_Lb0EN6thrust23THRUST_200600_302600_NS6detail15normal_iteratorINS8_10device_ptrIjEEEESD_SD_SD_jNS0_19identity_decomposerENS1_16block_id_wrapperIjLb1EEEEE10hipError_tT1_PNSt15iterator_traitsISI_E10value_typeET2_T3_PNSJ_ISO_E10value_typeET4_T5_PST_SU_PNS1_23onesweep_lookback_stateEbbT6_jjT7_P12ihipStream_tbENKUlT_T0_SI_SN_E_clISD_SD_SD_SD_EEDaS11_S12_SI_SN_EUlS11_E_NS1_11comp_targetILNS1_3genE0ELNS1_11target_archE4294967295ELNS1_3gpuE0ELNS1_3repE0EEENS1_47radix_sort_onesweep_sort_config_static_selectorELNS0_4arch9wavefront6targetE1EEEvSI_.numbered_sgpr, 0
	.set _ZN7rocprim17ROCPRIM_400000_NS6detail17trampoline_kernelINS0_14default_configENS1_35radix_sort_onesweep_config_selectorIjjEEZZNS1_29radix_sort_onesweep_iterationIS3_Lb0EN6thrust23THRUST_200600_302600_NS6detail15normal_iteratorINS8_10device_ptrIjEEEESD_SD_SD_jNS0_19identity_decomposerENS1_16block_id_wrapperIjLb1EEEEE10hipError_tT1_PNSt15iterator_traitsISI_E10value_typeET2_T3_PNSJ_ISO_E10value_typeET4_T5_PST_SU_PNS1_23onesweep_lookback_stateEbbT6_jjT7_P12ihipStream_tbENKUlT_T0_SI_SN_E_clISD_SD_SD_SD_EEDaS11_S12_SI_SN_EUlS11_E_NS1_11comp_targetILNS1_3genE0ELNS1_11target_archE4294967295ELNS1_3gpuE0ELNS1_3repE0EEENS1_47radix_sort_onesweep_sort_config_static_selectorELNS0_4arch9wavefront6targetE1EEEvSI_.num_named_barrier, 0
	.set _ZN7rocprim17ROCPRIM_400000_NS6detail17trampoline_kernelINS0_14default_configENS1_35radix_sort_onesweep_config_selectorIjjEEZZNS1_29radix_sort_onesweep_iterationIS3_Lb0EN6thrust23THRUST_200600_302600_NS6detail15normal_iteratorINS8_10device_ptrIjEEEESD_SD_SD_jNS0_19identity_decomposerENS1_16block_id_wrapperIjLb1EEEEE10hipError_tT1_PNSt15iterator_traitsISI_E10value_typeET2_T3_PNSJ_ISO_E10value_typeET4_T5_PST_SU_PNS1_23onesweep_lookback_stateEbbT6_jjT7_P12ihipStream_tbENKUlT_T0_SI_SN_E_clISD_SD_SD_SD_EEDaS11_S12_SI_SN_EUlS11_E_NS1_11comp_targetILNS1_3genE0ELNS1_11target_archE4294967295ELNS1_3gpuE0ELNS1_3repE0EEENS1_47radix_sort_onesweep_sort_config_static_selectorELNS0_4arch9wavefront6targetE1EEEvSI_.private_seg_size, 0
	.set _ZN7rocprim17ROCPRIM_400000_NS6detail17trampoline_kernelINS0_14default_configENS1_35radix_sort_onesweep_config_selectorIjjEEZZNS1_29radix_sort_onesweep_iterationIS3_Lb0EN6thrust23THRUST_200600_302600_NS6detail15normal_iteratorINS8_10device_ptrIjEEEESD_SD_SD_jNS0_19identity_decomposerENS1_16block_id_wrapperIjLb1EEEEE10hipError_tT1_PNSt15iterator_traitsISI_E10value_typeET2_T3_PNSJ_ISO_E10value_typeET4_T5_PST_SU_PNS1_23onesweep_lookback_stateEbbT6_jjT7_P12ihipStream_tbENKUlT_T0_SI_SN_E_clISD_SD_SD_SD_EEDaS11_S12_SI_SN_EUlS11_E_NS1_11comp_targetILNS1_3genE0ELNS1_11target_archE4294967295ELNS1_3gpuE0ELNS1_3repE0EEENS1_47radix_sort_onesweep_sort_config_static_selectorELNS0_4arch9wavefront6targetE1EEEvSI_.uses_vcc, 0
	.set _ZN7rocprim17ROCPRIM_400000_NS6detail17trampoline_kernelINS0_14default_configENS1_35radix_sort_onesweep_config_selectorIjjEEZZNS1_29radix_sort_onesweep_iterationIS3_Lb0EN6thrust23THRUST_200600_302600_NS6detail15normal_iteratorINS8_10device_ptrIjEEEESD_SD_SD_jNS0_19identity_decomposerENS1_16block_id_wrapperIjLb1EEEEE10hipError_tT1_PNSt15iterator_traitsISI_E10value_typeET2_T3_PNSJ_ISO_E10value_typeET4_T5_PST_SU_PNS1_23onesweep_lookback_stateEbbT6_jjT7_P12ihipStream_tbENKUlT_T0_SI_SN_E_clISD_SD_SD_SD_EEDaS11_S12_SI_SN_EUlS11_E_NS1_11comp_targetILNS1_3genE0ELNS1_11target_archE4294967295ELNS1_3gpuE0ELNS1_3repE0EEENS1_47radix_sort_onesweep_sort_config_static_selectorELNS0_4arch9wavefront6targetE1EEEvSI_.uses_flat_scratch, 0
	.set _ZN7rocprim17ROCPRIM_400000_NS6detail17trampoline_kernelINS0_14default_configENS1_35radix_sort_onesweep_config_selectorIjjEEZZNS1_29radix_sort_onesweep_iterationIS3_Lb0EN6thrust23THRUST_200600_302600_NS6detail15normal_iteratorINS8_10device_ptrIjEEEESD_SD_SD_jNS0_19identity_decomposerENS1_16block_id_wrapperIjLb1EEEEE10hipError_tT1_PNSt15iterator_traitsISI_E10value_typeET2_T3_PNSJ_ISO_E10value_typeET4_T5_PST_SU_PNS1_23onesweep_lookback_stateEbbT6_jjT7_P12ihipStream_tbENKUlT_T0_SI_SN_E_clISD_SD_SD_SD_EEDaS11_S12_SI_SN_EUlS11_E_NS1_11comp_targetILNS1_3genE0ELNS1_11target_archE4294967295ELNS1_3gpuE0ELNS1_3repE0EEENS1_47radix_sort_onesweep_sort_config_static_selectorELNS0_4arch9wavefront6targetE1EEEvSI_.has_dyn_sized_stack, 0
	.set _ZN7rocprim17ROCPRIM_400000_NS6detail17trampoline_kernelINS0_14default_configENS1_35radix_sort_onesweep_config_selectorIjjEEZZNS1_29radix_sort_onesweep_iterationIS3_Lb0EN6thrust23THRUST_200600_302600_NS6detail15normal_iteratorINS8_10device_ptrIjEEEESD_SD_SD_jNS0_19identity_decomposerENS1_16block_id_wrapperIjLb1EEEEE10hipError_tT1_PNSt15iterator_traitsISI_E10value_typeET2_T3_PNSJ_ISO_E10value_typeET4_T5_PST_SU_PNS1_23onesweep_lookback_stateEbbT6_jjT7_P12ihipStream_tbENKUlT_T0_SI_SN_E_clISD_SD_SD_SD_EEDaS11_S12_SI_SN_EUlS11_E_NS1_11comp_targetILNS1_3genE0ELNS1_11target_archE4294967295ELNS1_3gpuE0ELNS1_3repE0EEENS1_47radix_sort_onesweep_sort_config_static_selectorELNS0_4arch9wavefront6targetE1EEEvSI_.has_recursion, 0
	.set _ZN7rocprim17ROCPRIM_400000_NS6detail17trampoline_kernelINS0_14default_configENS1_35radix_sort_onesweep_config_selectorIjjEEZZNS1_29radix_sort_onesweep_iterationIS3_Lb0EN6thrust23THRUST_200600_302600_NS6detail15normal_iteratorINS8_10device_ptrIjEEEESD_SD_SD_jNS0_19identity_decomposerENS1_16block_id_wrapperIjLb1EEEEE10hipError_tT1_PNSt15iterator_traitsISI_E10value_typeET2_T3_PNSJ_ISO_E10value_typeET4_T5_PST_SU_PNS1_23onesweep_lookback_stateEbbT6_jjT7_P12ihipStream_tbENKUlT_T0_SI_SN_E_clISD_SD_SD_SD_EEDaS11_S12_SI_SN_EUlS11_E_NS1_11comp_targetILNS1_3genE0ELNS1_11target_archE4294967295ELNS1_3gpuE0ELNS1_3repE0EEENS1_47radix_sort_onesweep_sort_config_static_selectorELNS0_4arch9wavefront6targetE1EEEvSI_.has_indirect_call, 0
	.section	.AMDGPU.csdata,"",@progbits
; Kernel info:
; codeLenInByte = 0
; TotalNumSgprs: 6
; NumVgprs: 0
; NumAgprs: 0
; TotalNumVgprs: 0
; ScratchSize: 0
; MemoryBound: 0
; FloatMode: 240
; IeeeMode: 1
; LDSByteSize: 0 bytes/workgroup (compile time only)
; SGPRBlocks: 0
; VGPRBlocks: 0
; NumSGPRsForWavesPerEU: 6
; NumVGPRsForWavesPerEU: 1
; AccumOffset: 4
; Occupancy: 8
; WaveLimiterHint : 0
; COMPUTE_PGM_RSRC2:SCRATCH_EN: 0
; COMPUTE_PGM_RSRC2:USER_SGPR: 2
; COMPUTE_PGM_RSRC2:TRAP_HANDLER: 0
; COMPUTE_PGM_RSRC2:TGID_X_EN: 1
; COMPUTE_PGM_RSRC2:TGID_Y_EN: 0
; COMPUTE_PGM_RSRC2:TGID_Z_EN: 0
; COMPUTE_PGM_RSRC2:TIDIG_COMP_CNT: 0
; COMPUTE_PGM_RSRC3_GFX90A:ACCUM_OFFSET: 0
; COMPUTE_PGM_RSRC3_GFX90A:TG_SPLIT: 0
	.section	.text._ZN7rocprim17ROCPRIM_400000_NS6detail17trampoline_kernelINS0_14default_configENS1_35radix_sort_onesweep_config_selectorIjjEEZZNS1_29radix_sort_onesweep_iterationIS3_Lb0EN6thrust23THRUST_200600_302600_NS6detail15normal_iteratorINS8_10device_ptrIjEEEESD_SD_SD_jNS0_19identity_decomposerENS1_16block_id_wrapperIjLb1EEEEE10hipError_tT1_PNSt15iterator_traitsISI_E10value_typeET2_T3_PNSJ_ISO_E10value_typeET4_T5_PST_SU_PNS1_23onesweep_lookback_stateEbbT6_jjT7_P12ihipStream_tbENKUlT_T0_SI_SN_E_clISD_SD_SD_SD_EEDaS11_S12_SI_SN_EUlS11_E_NS1_11comp_targetILNS1_3genE6ELNS1_11target_archE950ELNS1_3gpuE13ELNS1_3repE0EEENS1_47radix_sort_onesweep_sort_config_static_selectorELNS0_4arch9wavefront6targetE1EEEvSI_,"axG",@progbits,_ZN7rocprim17ROCPRIM_400000_NS6detail17trampoline_kernelINS0_14default_configENS1_35radix_sort_onesweep_config_selectorIjjEEZZNS1_29radix_sort_onesweep_iterationIS3_Lb0EN6thrust23THRUST_200600_302600_NS6detail15normal_iteratorINS8_10device_ptrIjEEEESD_SD_SD_jNS0_19identity_decomposerENS1_16block_id_wrapperIjLb1EEEEE10hipError_tT1_PNSt15iterator_traitsISI_E10value_typeET2_T3_PNSJ_ISO_E10value_typeET4_T5_PST_SU_PNS1_23onesweep_lookback_stateEbbT6_jjT7_P12ihipStream_tbENKUlT_T0_SI_SN_E_clISD_SD_SD_SD_EEDaS11_S12_SI_SN_EUlS11_E_NS1_11comp_targetILNS1_3genE6ELNS1_11target_archE950ELNS1_3gpuE13ELNS1_3repE0EEENS1_47radix_sort_onesweep_sort_config_static_selectorELNS0_4arch9wavefront6targetE1EEEvSI_,comdat
	.protected	_ZN7rocprim17ROCPRIM_400000_NS6detail17trampoline_kernelINS0_14default_configENS1_35radix_sort_onesweep_config_selectorIjjEEZZNS1_29radix_sort_onesweep_iterationIS3_Lb0EN6thrust23THRUST_200600_302600_NS6detail15normal_iteratorINS8_10device_ptrIjEEEESD_SD_SD_jNS0_19identity_decomposerENS1_16block_id_wrapperIjLb1EEEEE10hipError_tT1_PNSt15iterator_traitsISI_E10value_typeET2_T3_PNSJ_ISO_E10value_typeET4_T5_PST_SU_PNS1_23onesweep_lookback_stateEbbT6_jjT7_P12ihipStream_tbENKUlT_T0_SI_SN_E_clISD_SD_SD_SD_EEDaS11_S12_SI_SN_EUlS11_E_NS1_11comp_targetILNS1_3genE6ELNS1_11target_archE950ELNS1_3gpuE13ELNS1_3repE0EEENS1_47radix_sort_onesweep_sort_config_static_selectorELNS0_4arch9wavefront6targetE1EEEvSI_ ; -- Begin function _ZN7rocprim17ROCPRIM_400000_NS6detail17trampoline_kernelINS0_14default_configENS1_35radix_sort_onesweep_config_selectorIjjEEZZNS1_29radix_sort_onesweep_iterationIS3_Lb0EN6thrust23THRUST_200600_302600_NS6detail15normal_iteratorINS8_10device_ptrIjEEEESD_SD_SD_jNS0_19identity_decomposerENS1_16block_id_wrapperIjLb1EEEEE10hipError_tT1_PNSt15iterator_traitsISI_E10value_typeET2_T3_PNSJ_ISO_E10value_typeET4_T5_PST_SU_PNS1_23onesweep_lookback_stateEbbT6_jjT7_P12ihipStream_tbENKUlT_T0_SI_SN_E_clISD_SD_SD_SD_EEDaS11_S12_SI_SN_EUlS11_E_NS1_11comp_targetILNS1_3genE6ELNS1_11target_archE950ELNS1_3gpuE13ELNS1_3repE0EEENS1_47radix_sort_onesweep_sort_config_static_selectorELNS0_4arch9wavefront6targetE1EEEvSI_
	.globl	_ZN7rocprim17ROCPRIM_400000_NS6detail17trampoline_kernelINS0_14default_configENS1_35radix_sort_onesweep_config_selectorIjjEEZZNS1_29radix_sort_onesweep_iterationIS3_Lb0EN6thrust23THRUST_200600_302600_NS6detail15normal_iteratorINS8_10device_ptrIjEEEESD_SD_SD_jNS0_19identity_decomposerENS1_16block_id_wrapperIjLb1EEEEE10hipError_tT1_PNSt15iterator_traitsISI_E10value_typeET2_T3_PNSJ_ISO_E10value_typeET4_T5_PST_SU_PNS1_23onesweep_lookback_stateEbbT6_jjT7_P12ihipStream_tbENKUlT_T0_SI_SN_E_clISD_SD_SD_SD_EEDaS11_S12_SI_SN_EUlS11_E_NS1_11comp_targetILNS1_3genE6ELNS1_11target_archE950ELNS1_3gpuE13ELNS1_3repE0EEENS1_47radix_sort_onesweep_sort_config_static_selectorELNS0_4arch9wavefront6targetE1EEEvSI_
	.p2align	8
	.type	_ZN7rocprim17ROCPRIM_400000_NS6detail17trampoline_kernelINS0_14default_configENS1_35radix_sort_onesweep_config_selectorIjjEEZZNS1_29radix_sort_onesweep_iterationIS3_Lb0EN6thrust23THRUST_200600_302600_NS6detail15normal_iteratorINS8_10device_ptrIjEEEESD_SD_SD_jNS0_19identity_decomposerENS1_16block_id_wrapperIjLb1EEEEE10hipError_tT1_PNSt15iterator_traitsISI_E10value_typeET2_T3_PNSJ_ISO_E10value_typeET4_T5_PST_SU_PNS1_23onesweep_lookback_stateEbbT6_jjT7_P12ihipStream_tbENKUlT_T0_SI_SN_E_clISD_SD_SD_SD_EEDaS11_S12_SI_SN_EUlS11_E_NS1_11comp_targetILNS1_3genE6ELNS1_11target_archE950ELNS1_3gpuE13ELNS1_3repE0EEENS1_47radix_sort_onesweep_sort_config_static_selectorELNS0_4arch9wavefront6targetE1EEEvSI_,@function
_ZN7rocprim17ROCPRIM_400000_NS6detail17trampoline_kernelINS0_14default_configENS1_35radix_sort_onesweep_config_selectorIjjEEZZNS1_29radix_sort_onesweep_iterationIS3_Lb0EN6thrust23THRUST_200600_302600_NS6detail15normal_iteratorINS8_10device_ptrIjEEEESD_SD_SD_jNS0_19identity_decomposerENS1_16block_id_wrapperIjLb1EEEEE10hipError_tT1_PNSt15iterator_traitsISI_E10value_typeET2_T3_PNSJ_ISO_E10value_typeET4_T5_PST_SU_PNS1_23onesweep_lookback_stateEbbT6_jjT7_P12ihipStream_tbENKUlT_T0_SI_SN_E_clISD_SD_SD_SD_EEDaS11_S12_SI_SN_EUlS11_E_NS1_11comp_targetILNS1_3genE6ELNS1_11target_archE950ELNS1_3gpuE13ELNS1_3repE0EEENS1_47radix_sort_onesweep_sort_config_static_selectorELNS0_4arch9wavefront6targetE1EEEvSI_: ; @_ZN7rocprim17ROCPRIM_400000_NS6detail17trampoline_kernelINS0_14default_configENS1_35radix_sort_onesweep_config_selectorIjjEEZZNS1_29radix_sort_onesweep_iterationIS3_Lb0EN6thrust23THRUST_200600_302600_NS6detail15normal_iteratorINS8_10device_ptrIjEEEESD_SD_SD_jNS0_19identity_decomposerENS1_16block_id_wrapperIjLb1EEEEE10hipError_tT1_PNSt15iterator_traitsISI_E10value_typeET2_T3_PNSJ_ISO_E10value_typeET4_T5_PST_SU_PNS1_23onesweep_lookback_stateEbbT6_jjT7_P12ihipStream_tbENKUlT_T0_SI_SN_E_clISD_SD_SD_SD_EEDaS11_S12_SI_SN_EUlS11_E_NS1_11comp_targetILNS1_3genE6ELNS1_11target_archE950ELNS1_3gpuE13ELNS1_3repE0EEENS1_47radix_sort_onesweep_sort_config_static_selectorELNS0_4arch9wavefront6targetE1EEEvSI_
; %bb.0:
	s_load_dwordx4 s[60:63], s[0:1], 0x28
	s_load_dwordx2 s[68:69], s[0:1], 0x38
	s_load_dwordx4 s[64:67], s[0:1], 0x44
	v_and_b32_e32 v2, 0x3ff, v0
	v_cmp_eq_u32_e64 s[44:45], 0, v2
	s_and_saveexec_b64 s[4:5], s[44:45]
	s_cbranch_execz .LBB752_4
; %bb.1:
	s_mov_b64 s[8:9], exec
	v_mbcnt_lo_u32_b32 v1, s8, 0
	v_mbcnt_hi_u32_b32 v1, s9, v1
	v_cmp_eq_u32_e32 vcc, 0, v1
                                        ; implicit-def: $vgpr3
	s_and_saveexec_b64 s[6:7], vcc
	s_cbranch_execz .LBB752_3
; %bb.2:
	s_load_dwordx2 s[10:11], s[0:1], 0x50
	s_bcnt1_i32_b64 s3, s[8:9]
	v_mov_b32_e32 v3, 0
	v_mov_b32_e32 v4, s3
	s_waitcnt lgkmcnt(0)
	global_atomic_add v3, v3, v4, s[10:11] sc0
.LBB752_3:
	s_or_b64 exec, exec, s[6:7]
	s_waitcnt vmcnt(0)
	v_readfirstlane_b32 s3, v3
	v_mov_b32_e32 v3, 0
	s_nop 0
	v_add_u32_e32 v1, s3, v1
	ds_write_b32 v3, v1 offset:20544
.LBB752_4:
	s_or_b64 exec, exec, s[4:5]
	v_mov_b32_e32 v5, 0
	s_load_dwordx8 s[52:59], s[0:1], 0x0
	s_load_dword s3, s[0:1], 0x20
	s_waitcnt lgkmcnt(0)
	s_barrier
	ds_read_b32 v1, v5 offset:20544
	s_mov_b64 s[4:5], -1
	v_mbcnt_lo_u32_b32 v3, -1, 0
	s_waitcnt lgkmcnt(0)
	s_barrier
	v_cmp_le_u32_e32 vcc, s66, v1
	v_readfirstlane_b32 s33, v1
	v_lshlrev_b32_e32 v1, 4, v2
	s_cbranch_vccz .LBB752_208
; %bb.5:
	s_lshl_b32 s4, s66, 14
	s_sub_i32 s3, s3, s4
	s_lshl_b32 s4, s33, 14
	s_mov_b32 s5, 0
	s_lshl_b64 s[66:67], s[4:5], 2
	v_mbcnt_hi_u32_b32 v12, -1, v3
	s_add_u32 s4, s52, s66
	v_and_b32_e32 v10, 63, v12
	s_addc_u32 s5, s53, s67
	v_and_b32_e32 v11, 0x3c00, v1
	v_lshlrev_b32_e32 v4, 2, v10
	v_lshl_add_u64 v[8:9], s[4:5], 0, v[4:5]
	v_lshlrev_b32_e32 v6, 2, v11
	v_mov_b32_e32 v7, v5
	v_or_b32_e32 v10, v10, v11
	v_mov_b32_e32 v14, -1
	v_lshl_add_u64 v[8:9], v[8:9], 0, v[6:7]
	v_cmp_gt_u32_e32 vcc, s3, v10
	v_mov_b32_e32 v5, -1
	s_and_saveexec_b64 s[4:5], vcc
	s_cbranch_execz .LBB752_7
; %bb.6:
	global_load_dword v5, v[8:9], off
.LBB752_7:
	s_or_b64 exec, exec, s[4:5]
	v_or_b32_e32 v7, 64, v10
	v_cmp_gt_u32_e64 s[4:5], s3, v7
	s_and_saveexec_b64 s[6:7], s[4:5]
	s_cbranch_execz .LBB752_9
; %bb.8:
	global_load_dword v14, v[8:9], off offset:256
.LBB752_9:
	s_or_b64 exec, exec, s[6:7]
	v_or_b32_e32 v7, 0x80, v10
	v_cmp_gt_u32_e64 s[6:7], s3, v7
	v_mov_b32_e32 v7, -1
	v_mov_b32_e32 v15, -1
	s_and_saveexec_b64 s[8:9], s[6:7]
	s_cbranch_execz .LBB752_11
; %bb.10:
	global_load_dword v15, v[8:9], off offset:512
.LBB752_11:
	s_or_b64 exec, exec, s[8:9]
	v_or_b32_e32 v11, 0xc0, v10
	v_cmp_gt_u32_e64 s[8:9], s3, v11
	s_and_saveexec_b64 s[10:11], s[8:9]
	s_cbranch_execz .LBB752_13
; %bb.12:
	global_load_dword v7, v[8:9], off offset:768
.LBB752_13:
	s_or_b64 exec, exec, s[10:11]
	v_or_b32_e32 v11, 0x100, v10
	v_cmp_gt_u32_e64 s[10:11], s3, v11
	v_mov_b32_e32 v16, -1
	v_mov_b32_e32 v17, -1
	s_and_saveexec_b64 s[12:13], s[10:11]
	s_cbranch_execz .LBB752_15
; %bb.14:
	global_load_dword v17, v[8:9], off offset:1024
.LBB752_15:
	;; [unrolled: 18-line block ×7, first 2 shown]
	s_or_b64 exec, exec, s[34:35]
	v_or_b32_e32 v10, 0x3c0, v10
	v_cmp_gt_u32_e64 s[34:35], s3, v10
	s_and_saveexec_b64 s[36:37], s[34:35]
	s_cbranch_execz .LBB752_37
; %bb.36:
	global_load_dword v26, v[8:9], off offset:3840
.LBB752_37:
	s_or_b64 exec, exec, s[36:37]
	s_load_dword s36, s[0:1], 0x64
	s_load_dword s70, s[0:1], 0x58
	s_add_u32 s37, s0, 0x58
	s_addc_u32 s38, s1, 0
	v_mov_b32_e32 v9, 0
	s_waitcnt lgkmcnt(0)
	s_lshr_b32 s39, s36, 16
	s_cmp_lt_u32 s2, s70
	s_cselect_b32 s36, 12, 18
	s_add_u32 s36, s37, s36
	s_addc_u32 s37, s38, 0
	global_load_ushort v40, v9, s[36:37]
	s_waitcnt vmcnt(1)
	v_lshrrev_b32_e32 v29, s64, v5
	s_lshl_b32 s36, -1, s65
	v_bfe_u32 v8, v0, 10, 10
	v_bfe_u32 v11, v0, 20, 10
	v_bitop3_b32 v38, v29, s36, v29 bitop3:0x30
	s_movk_i32 s72, 0x44
	v_mad_u32_u24 v42, v11, s39, v8
	v_and_b32_e32 v8, 1, v38
	v_lshlrev_b32_e32 v11, 30, v38
	v_mov_b32_e32 v10, v9
	v_mov_b32_e32 v30, v9
	s_not_b32 s71, s36
	v_mul_lo_u32 v43, v38, s72
	v_lshlrev_b32_e32 v29, 29, v38
	v_lshlrev_b32_e32 v31, 28, v38
	;; [unrolled: 1-line block ×6, first 2 shown]
	v_lshl_add_u64 v[38:39], v[8:9], 0, -1
	v_cmp_ne_u32_e64 s[36:37], 0, v8
	v_not_b32_e32 v8, v11
	v_mov_b32_e32 v28, v9
	v_mov_b32_e32 v32, v9
	v_cmp_gt_i64_e64 s[38:39], 0, v[10:11]
	v_not_b32_e32 v10, v29
	v_cmp_gt_i64_e64 s[42:43], 0, v[30:31]
	v_not_b32_e32 v11, v31
	v_xor_b32_e32 v31, s37, v39
	v_ashrrev_i32_e32 v8, 31, v8
	v_mov_b32_e32 v34, v9
	v_cmp_gt_i64_e64 s[40:41], 0, v[28:29]
	v_cmp_gt_i64_e64 s[46:47], 0, v[32:33]
	v_not_b32_e32 v28, v33
	v_xor_b32_e32 v32, s36, v38
	v_ashrrev_i32_e32 v10, 31, v10
	v_and_b32_e32 v31, exec_hi, v31
	v_xor_b32_e32 v33, s39, v8
	v_cmp_gt_i64_e64 s[48:49], 0, v[34:35]
	v_ashrrev_i32_e32 v11, 31, v11
	v_and_b32_e32 v32, exec_lo, v32
	v_xor_b32_e32 v8, s38, v8
	v_xor_b32_e32 v34, s41, v10
	v_and_b32_e32 v31, v31, v33
	v_mov_b32_e32 v36, v9
	v_not_b32_e32 v29, v35
	v_ashrrev_i32_e32 v28, 31, v28
	v_xor_b32_e32 v10, s40, v10
	v_xor_b32_e32 v35, s43, v11
	v_and_b32_e32 v8, v32, v8
	v_and_b32_e32 v31, v31, v34
	v_cmp_gt_i64_e64 s[50:51], 0, v[36:37]
	v_not_b32_e32 v30, v37
	v_ashrrev_i32_e32 v29, 31, v29
	v_xor_b32_e32 v36, s47, v28
	v_and_b32_e32 v8, v8, v10
	v_and_b32_e32 v10, v31, v35
	v_ashrrev_i32_e32 v30, 31, v30
	v_xor_b32_e32 v11, s42, v11
	v_xor_b32_e32 v37, s49, v29
	v_and_b32_e32 v10, v10, v36
	v_xor_b32_e32 v28, s46, v28
	v_xor_b32_e32 v38, s51, v30
	v_and_b32_e32 v8, v8, v11
	v_and_b32_e32 v10, v10, v37
	;; [unrolled: 1-line block ×4, first 2 shown]
	v_xor_b32_e32 v29, s48, v29
	v_xor_b32_e32 v30, s50, v30
	v_and_b32_e32 v8, v8, v29
	v_and_b32_e32 v8, v8, v30
	v_mul_u32_u24_e32 v13, 20, v2
	ds_write2_b32 v13, v9, v9 offset0:16 offset1:17
	ds_write2_b32 v13, v9, v9 offset0:18 offset1:19
	ds_write_b32 v13, v9 offset:80
	s_waitcnt lgkmcnt(0)
	s_barrier
	s_waitcnt vmcnt(0)
	; wave barrier
	v_mad_u64_u32 v[10:11], s[36:37], v42, v40, v[2:3]
	v_lshrrev_b32_e32 v10, 4, v10
	v_and_b32_e32 v39, 0xffffffc, v10
	v_mov_b32_e32 v40, v9
	v_not_b32_e32 v10, v41
	v_cmp_gt_i64_e64 s[36:37], 0, v[40:41]
	v_ashrrev_i32_e32 v10, 31, v10
	v_add_u32_e32 v32, v39, v43
	v_xor_b32_e32 v11, s37, v10
	v_xor_b32_e32 v10, s36, v10
	v_and_b32_e32 v10, v8, v10
	v_and_b32_e32 v11, v28, v11
	v_mbcnt_lo_u32_b32 v8, v10, 0
	v_mbcnt_hi_u32_b32 v29, v11, v8
	v_cmp_eq_u32_e64 s[36:37], 0, v29
	v_cmp_ne_u64_e64 s[38:39], 0, v[10:11]
	s_and_b64 s[38:39], s[38:39], s[36:37]
	s_and_saveexec_b64 s[36:37], s[38:39]
; %bb.38:
	v_bcnt_u32_b32 v8, v10, 0
	v_bcnt_u32_b32 v8, v11, v8
	ds_write_b32 v32, v8 offset:64
; %bb.39:
	s_or_b64 exec, exec, s[36:37]
	v_lshrrev_b32_e32 v8, s64, v14
	v_and_b32_e32 v30, s71, v8
	v_mul_lo_u32 v8, v30, s72
	v_add_u32_e32 v34, v39, v8
	v_and_b32_e32 v8, 1, v30
	v_lshl_add_u64 v[10:11], v[8:9], 0, -1
	v_cmp_ne_u32_e64 s[36:37], 0, v8
	; wave barrier
	s_nop 1
	v_xor_b32_e32 v10, s36, v10
	v_xor_b32_e32 v8, s37, v11
	v_and_b32_e32 v31, exec_lo, v10
	v_lshlrev_b32_e32 v11, 30, v30
	v_mov_b32_e32 v10, v9
	v_cmp_gt_i64_e64 s[36:37], 0, v[10:11]
	v_not_b32_e32 v10, v11
	v_ashrrev_i32_e32 v10, 31, v10
	v_and_b32_e32 v8, exec_hi, v8
	v_xor_b32_e32 v11, s37, v10
	v_xor_b32_e32 v10, s36, v10
	v_and_b32_e32 v8, v8, v11
	v_and_b32_e32 v31, v31, v10
	v_lshlrev_b32_e32 v11, 29, v30
	v_mov_b32_e32 v10, v9
	v_cmp_gt_i64_e64 s[36:37], 0, v[10:11]
	v_not_b32_e32 v10, v11
	v_ashrrev_i32_e32 v10, 31, v10
	v_xor_b32_e32 v11, s37, v10
	v_xor_b32_e32 v10, s36, v10
	v_and_b32_e32 v8, v8, v11
	v_and_b32_e32 v31, v31, v10
	v_lshlrev_b32_e32 v11, 28, v30
	v_mov_b32_e32 v10, v9
	v_cmp_gt_i64_e64 s[36:37], 0, v[10:11]
	v_not_b32_e32 v10, v11
	v_ashrrev_i32_e32 v10, 31, v10
	;; [unrolled: 9-line block ×5, first 2 shown]
	v_xor_b32_e32 v11, s37, v10
	v_xor_b32_e32 v10, s36, v10
	v_and_b32_e32 v8, v8, v11
	v_lshlrev_b32_e32 v11, 24, v30
	v_and_b32_e32 v31, v31, v10
	v_mov_b32_e32 v10, v9
	v_not_b32_e32 v9, v11
	v_cmp_gt_i64_e64 s[36:37], 0, v[10:11]
	v_ashrrev_i32_e32 v9, 31, v9
	ds_read_b32 v28, v34 offset:64
	v_xor_b32_e32 v10, s37, v9
	v_xor_b32_e32 v11, s36, v9
	v_and_b32_e32 v9, v8, v10
	v_and_b32_e32 v8, v31, v11
	v_mbcnt_lo_u32_b32 v10, v8, 0
	v_mbcnt_hi_u32_b32 v30, v9, v10
	v_cmp_eq_u32_e64 s[36:37], 0, v30
	v_cmp_ne_u64_e64 s[38:39], 0, v[8:9]
	s_and_b64 s[38:39], s[38:39], s[36:37]
	; wave barrier
	s_and_saveexec_b64 s[36:37], s[38:39]
	s_cbranch_execz .LBB752_41
; %bb.40:
	v_bcnt_u32_b32 v8, v8, 0
	v_bcnt_u32_b32 v8, v9, v8
	s_waitcnt lgkmcnt(0)
	v_add_u32_e32 v8, v28, v8
	ds_write_b32 v34, v8 offset:64
.LBB752_41:
	s_or_b64 exec, exec, s[36:37]
	v_lshrrev_b32_e32 v8, s64, v15
	v_and_b32_e32 v33, s71, v8
	s_movk_i32 s40, 0x44
	v_mul_lo_u32 v8, v33, s40
	v_add_u32_e32 v37, v39, v8
	v_and_b32_e32 v8, 1, v33
	v_mov_b32_e32 v9, 0
	v_lshl_add_u64 v[10:11], v[8:9], 0, -1
	v_cmp_ne_u32_e64 s[36:37], 0, v8
	; wave barrier
	s_nop 1
	v_xor_b32_e32 v10, s36, v10
	v_xor_b32_e32 v8, s37, v11
	v_and_b32_e32 v35, exec_lo, v10
	v_lshlrev_b32_e32 v11, 30, v33
	v_mov_b32_e32 v10, v9
	v_cmp_gt_i64_e64 s[36:37], 0, v[10:11]
	v_not_b32_e32 v10, v11
	v_ashrrev_i32_e32 v10, 31, v10
	v_and_b32_e32 v8, exec_hi, v8
	v_xor_b32_e32 v11, s37, v10
	v_xor_b32_e32 v10, s36, v10
	v_and_b32_e32 v8, v8, v11
	v_and_b32_e32 v35, v35, v10
	v_lshlrev_b32_e32 v11, 29, v33
	v_mov_b32_e32 v10, v9
	v_cmp_gt_i64_e64 s[36:37], 0, v[10:11]
	v_not_b32_e32 v10, v11
	v_ashrrev_i32_e32 v10, 31, v10
	v_xor_b32_e32 v11, s37, v10
	v_xor_b32_e32 v10, s36, v10
	v_and_b32_e32 v8, v8, v11
	v_and_b32_e32 v35, v35, v10
	v_lshlrev_b32_e32 v11, 28, v33
	v_mov_b32_e32 v10, v9
	v_cmp_gt_i64_e64 s[36:37], 0, v[10:11]
	v_not_b32_e32 v10, v11
	v_ashrrev_i32_e32 v10, 31, v10
	;; [unrolled: 9-line block ×6, first 2 shown]
	v_xor_b32_e32 v11, s37, v10
	v_xor_b32_e32 v10, s36, v10
	ds_read_b32 v31, v37 offset:64
	v_and_b32_e32 v10, v35, v10
	v_and_b32_e32 v11, v8, v11
	v_mbcnt_lo_u32_b32 v8, v10, 0
	v_mbcnt_hi_u32_b32 v33, v11, v8
	v_cmp_eq_u32_e64 s[36:37], 0, v33
	v_cmp_ne_u64_e64 s[38:39], 0, v[10:11]
	s_and_b64 s[38:39], s[38:39], s[36:37]
	; wave barrier
	s_and_saveexec_b64 s[36:37], s[38:39]
	s_cbranch_execz .LBB752_43
; %bb.42:
	v_bcnt_u32_b32 v8, v10, 0
	v_bcnt_u32_b32 v8, v11, v8
	s_waitcnt lgkmcnt(0)
	v_add_u32_e32 v8, v31, v8
	ds_write_b32 v37, v8 offset:64
.LBB752_43:
	s_or_b64 exec, exec, s[36:37]
	v_lshrrev_b32_e32 v8, s64, v7
	v_and_b32_e32 v36, s71, v8
	v_mul_lo_u32 v8, v36, s40
	v_add_u32_e32 v41, v39, v8
	v_and_b32_e32 v8, 1, v36
	v_lshl_add_u64 v[10:11], v[8:9], 0, -1
	v_cmp_ne_u32_e64 s[36:37], 0, v8
	; wave barrier
	s_nop 1
	v_xor_b32_e32 v10, s36, v10
	v_xor_b32_e32 v8, s37, v11
	v_and_b32_e32 v38, exec_lo, v10
	v_lshlrev_b32_e32 v11, 30, v36
	v_mov_b32_e32 v10, v9
	v_cmp_gt_i64_e64 s[36:37], 0, v[10:11]
	v_not_b32_e32 v10, v11
	v_ashrrev_i32_e32 v10, 31, v10
	v_and_b32_e32 v8, exec_hi, v8
	v_xor_b32_e32 v11, s37, v10
	v_xor_b32_e32 v10, s36, v10
	v_and_b32_e32 v8, v8, v11
	v_and_b32_e32 v38, v38, v10
	v_lshlrev_b32_e32 v11, 29, v36
	v_mov_b32_e32 v10, v9
	v_cmp_gt_i64_e64 s[36:37], 0, v[10:11]
	v_not_b32_e32 v10, v11
	v_ashrrev_i32_e32 v10, 31, v10
	v_xor_b32_e32 v11, s37, v10
	v_xor_b32_e32 v10, s36, v10
	v_and_b32_e32 v8, v8, v11
	v_and_b32_e32 v38, v38, v10
	v_lshlrev_b32_e32 v11, 28, v36
	v_mov_b32_e32 v10, v9
	v_cmp_gt_i64_e64 s[36:37], 0, v[10:11]
	v_not_b32_e32 v10, v11
	v_ashrrev_i32_e32 v10, 31, v10
	;; [unrolled: 9-line block ×5, first 2 shown]
	v_xor_b32_e32 v11, s37, v10
	v_xor_b32_e32 v10, s36, v10
	v_and_b32_e32 v8, v8, v11
	v_lshlrev_b32_e32 v11, 24, v36
	v_and_b32_e32 v38, v38, v10
	v_mov_b32_e32 v10, v9
	v_not_b32_e32 v9, v11
	v_cmp_gt_i64_e64 s[36:37], 0, v[10:11]
	v_ashrrev_i32_e32 v9, 31, v9
	ds_read_b32 v35, v41 offset:64
	v_xor_b32_e32 v10, s37, v9
	v_xor_b32_e32 v11, s36, v9
	v_and_b32_e32 v9, v8, v10
	v_and_b32_e32 v8, v38, v11
	v_mbcnt_lo_u32_b32 v10, v8, 0
	v_mbcnt_hi_u32_b32 v36, v9, v10
	v_cmp_eq_u32_e64 s[36:37], 0, v36
	v_cmp_ne_u64_e64 s[38:39], 0, v[8:9]
	s_and_b64 s[38:39], s[38:39], s[36:37]
	; wave barrier
	s_and_saveexec_b64 s[36:37], s[38:39]
	s_cbranch_execz .LBB752_45
; %bb.44:
	v_bcnt_u32_b32 v8, v8, 0
	v_bcnt_u32_b32 v8, v9, v8
	s_waitcnt lgkmcnt(0)
	v_add_u32_e32 v8, v35, v8
	ds_write_b32 v41, v8 offset:64
.LBB752_45:
	s_or_b64 exec, exec, s[36:37]
	v_lshrrev_b32_e32 v8, s64, v17
	v_and_b32_e32 v40, s71, v8
	v_mul_lo_u32 v8, v40, s40
	v_add_u32_e32 v44, v39, v8
	v_and_b32_e32 v8, 1, v40
	v_mov_b32_e32 v9, 0
	v_lshl_add_u64 v[10:11], v[8:9], 0, -1
	v_cmp_ne_u32_e64 s[36:37], 0, v8
	; wave barrier
	s_nop 1
	v_xor_b32_e32 v10, s36, v10
	v_xor_b32_e32 v8, s37, v11
	v_and_b32_e32 v42, exec_lo, v10
	v_lshlrev_b32_e32 v11, 30, v40
	v_mov_b32_e32 v10, v9
	v_cmp_gt_i64_e64 s[36:37], 0, v[10:11]
	v_not_b32_e32 v10, v11
	v_ashrrev_i32_e32 v10, 31, v10
	v_and_b32_e32 v8, exec_hi, v8
	v_xor_b32_e32 v11, s37, v10
	v_xor_b32_e32 v10, s36, v10
	v_and_b32_e32 v8, v8, v11
	v_and_b32_e32 v42, v42, v10
	v_lshlrev_b32_e32 v11, 29, v40
	v_mov_b32_e32 v10, v9
	v_cmp_gt_i64_e64 s[36:37], 0, v[10:11]
	v_not_b32_e32 v10, v11
	v_ashrrev_i32_e32 v10, 31, v10
	v_xor_b32_e32 v11, s37, v10
	v_xor_b32_e32 v10, s36, v10
	v_and_b32_e32 v8, v8, v11
	v_and_b32_e32 v42, v42, v10
	v_lshlrev_b32_e32 v11, 28, v40
	v_mov_b32_e32 v10, v9
	v_cmp_gt_i64_e64 s[36:37], 0, v[10:11]
	v_not_b32_e32 v10, v11
	v_ashrrev_i32_e32 v10, 31, v10
	;; [unrolled: 9-line block ×6, first 2 shown]
	v_xor_b32_e32 v11, s37, v10
	v_xor_b32_e32 v10, s36, v10
	ds_read_b32 v38, v44 offset:64
	v_and_b32_e32 v10, v42, v10
	v_and_b32_e32 v11, v8, v11
	v_mbcnt_lo_u32_b32 v8, v10, 0
	v_mbcnt_hi_u32_b32 v40, v11, v8
	v_cmp_eq_u32_e64 s[36:37], 0, v40
	v_cmp_ne_u64_e64 s[38:39], 0, v[10:11]
	s_and_b64 s[38:39], s[38:39], s[36:37]
	; wave barrier
	s_and_saveexec_b64 s[36:37], s[38:39]
	s_cbranch_execz .LBB752_47
; %bb.46:
	v_bcnt_u32_b32 v8, v10, 0
	v_bcnt_u32_b32 v8, v11, v8
	s_waitcnt lgkmcnt(0)
	v_add_u32_e32 v8, v38, v8
	ds_write_b32 v44, v8 offset:64
.LBB752_47:
	s_or_b64 exec, exec, s[36:37]
	v_lshrrev_b32_e32 v8, s64, v16
	v_and_b32_e32 v43, s71, v8
	v_mul_lo_u32 v8, v43, s40
	v_add_u32_e32 v46, v39, v8
	v_and_b32_e32 v8, 1, v43
	v_lshl_add_u64 v[10:11], v[8:9], 0, -1
	v_cmp_ne_u32_e64 s[36:37], 0, v8
	; wave barrier
	s_nop 1
	v_xor_b32_e32 v10, s36, v10
	v_xor_b32_e32 v8, s37, v11
	v_and_b32_e32 v45, exec_lo, v10
	v_lshlrev_b32_e32 v11, 30, v43
	v_mov_b32_e32 v10, v9
	v_cmp_gt_i64_e64 s[36:37], 0, v[10:11]
	v_not_b32_e32 v10, v11
	v_ashrrev_i32_e32 v10, 31, v10
	v_and_b32_e32 v8, exec_hi, v8
	v_xor_b32_e32 v11, s37, v10
	v_xor_b32_e32 v10, s36, v10
	v_and_b32_e32 v8, v8, v11
	v_and_b32_e32 v45, v45, v10
	v_lshlrev_b32_e32 v11, 29, v43
	v_mov_b32_e32 v10, v9
	v_cmp_gt_i64_e64 s[36:37], 0, v[10:11]
	v_not_b32_e32 v10, v11
	v_ashrrev_i32_e32 v10, 31, v10
	v_xor_b32_e32 v11, s37, v10
	v_xor_b32_e32 v10, s36, v10
	v_and_b32_e32 v8, v8, v11
	v_and_b32_e32 v45, v45, v10
	v_lshlrev_b32_e32 v11, 28, v43
	v_mov_b32_e32 v10, v9
	v_cmp_gt_i64_e64 s[36:37], 0, v[10:11]
	v_not_b32_e32 v10, v11
	v_ashrrev_i32_e32 v10, 31, v10
	;; [unrolled: 9-line block ×5, first 2 shown]
	v_xor_b32_e32 v11, s37, v10
	v_xor_b32_e32 v10, s36, v10
	v_and_b32_e32 v8, v8, v11
	v_lshlrev_b32_e32 v11, 24, v43
	v_and_b32_e32 v45, v45, v10
	v_mov_b32_e32 v10, v9
	v_not_b32_e32 v9, v11
	v_cmp_gt_i64_e64 s[36:37], 0, v[10:11]
	v_ashrrev_i32_e32 v9, 31, v9
	ds_read_b32 v42, v46 offset:64
	v_xor_b32_e32 v10, s37, v9
	v_xor_b32_e32 v11, s36, v9
	v_and_b32_e32 v9, v8, v10
	v_and_b32_e32 v8, v45, v11
	v_mbcnt_lo_u32_b32 v10, v8, 0
	v_mbcnt_hi_u32_b32 v43, v9, v10
	v_cmp_eq_u32_e64 s[36:37], 0, v43
	v_cmp_ne_u64_e64 s[38:39], 0, v[8:9]
	s_and_b64 s[38:39], s[38:39], s[36:37]
	; wave barrier
	s_and_saveexec_b64 s[36:37], s[38:39]
	s_cbranch_execz .LBB752_49
; %bb.48:
	v_bcnt_u32_b32 v8, v8, 0
	v_bcnt_u32_b32 v8, v9, v8
	s_waitcnt lgkmcnt(0)
	v_add_u32_e32 v8, v42, v8
	ds_write_b32 v46, v8 offset:64
.LBB752_49:
	s_or_b64 exec, exec, s[36:37]
	v_lshrrev_b32_e32 v8, s64, v19
	v_and_b32_e32 v47, s71, v8
	v_mul_lo_u32 v8, v47, s40
	v_add_u32_e32 v49, v39, v8
	v_and_b32_e32 v8, 1, v47
	v_mov_b32_e32 v9, 0
	v_lshl_add_u64 v[10:11], v[8:9], 0, -1
	v_cmp_ne_u32_e64 s[36:37], 0, v8
	; wave barrier
	s_nop 1
	v_xor_b32_e32 v10, s36, v10
	v_xor_b32_e32 v8, s37, v11
	v_and_b32_e32 v48, exec_lo, v10
	v_lshlrev_b32_e32 v11, 30, v47
	v_mov_b32_e32 v10, v9
	v_cmp_gt_i64_e64 s[36:37], 0, v[10:11]
	v_not_b32_e32 v10, v11
	v_ashrrev_i32_e32 v10, 31, v10
	v_and_b32_e32 v8, exec_hi, v8
	v_xor_b32_e32 v11, s37, v10
	v_xor_b32_e32 v10, s36, v10
	v_and_b32_e32 v8, v8, v11
	v_and_b32_e32 v48, v48, v10
	v_lshlrev_b32_e32 v11, 29, v47
	v_mov_b32_e32 v10, v9
	v_cmp_gt_i64_e64 s[36:37], 0, v[10:11]
	v_not_b32_e32 v10, v11
	v_ashrrev_i32_e32 v10, 31, v10
	v_xor_b32_e32 v11, s37, v10
	v_xor_b32_e32 v10, s36, v10
	v_and_b32_e32 v8, v8, v11
	v_and_b32_e32 v48, v48, v10
	v_lshlrev_b32_e32 v11, 28, v47
	v_mov_b32_e32 v10, v9
	v_cmp_gt_i64_e64 s[36:37], 0, v[10:11]
	v_not_b32_e32 v10, v11
	v_ashrrev_i32_e32 v10, 31, v10
	;; [unrolled: 9-line block ×6, first 2 shown]
	v_xor_b32_e32 v11, s37, v10
	v_xor_b32_e32 v10, s36, v10
	ds_read_b32 v45, v49 offset:64
	v_and_b32_e32 v10, v48, v10
	v_and_b32_e32 v11, v8, v11
	v_mbcnt_lo_u32_b32 v8, v10, 0
	v_mbcnt_hi_u32_b32 v47, v11, v8
	v_cmp_eq_u32_e64 s[36:37], 0, v47
	v_cmp_ne_u64_e64 s[38:39], 0, v[10:11]
	s_and_b64 s[38:39], s[38:39], s[36:37]
	; wave barrier
	s_and_saveexec_b64 s[36:37], s[38:39]
	s_cbranch_execz .LBB752_51
; %bb.50:
	v_bcnt_u32_b32 v8, v10, 0
	v_bcnt_u32_b32 v8, v11, v8
	s_waitcnt lgkmcnt(0)
	v_add_u32_e32 v8, v45, v8
	ds_write_b32 v49, v8 offset:64
.LBB752_51:
	s_or_b64 exec, exec, s[36:37]
	v_lshrrev_b32_e32 v8, s64, v18
	v_and_b32_e32 v50, s71, v8
	v_mul_lo_u32 v8, v50, s40
	v_add_u32_e32 v52, v39, v8
	v_and_b32_e32 v8, 1, v50
	v_lshl_add_u64 v[10:11], v[8:9], 0, -1
	v_cmp_ne_u32_e64 s[36:37], 0, v8
	; wave barrier
	s_nop 1
	v_xor_b32_e32 v10, s36, v10
	v_xor_b32_e32 v8, s37, v11
	v_and_b32_e32 v51, exec_lo, v10
	v_lshlrev_b32_e32 v11, 30, v50
	v_mov_b32_e32 v10, v9
	v_cmp_gt_i64_e64 s[36:37], 0, v[10:11]
	v_not_b32_e32 v10, v11
	v_ashrrev_i32_e32 v10, 31, v10
	v_and_b32_e32 v8, exec_hi, v8
	v_xor_b32_e32 v11, s37, v10
	v_xor_b32_e32 v10, s36, v10
	v_and_b32_e32 v8, v8, v11
	v_and_b32_e32 v51, v51, v10
	v_lshlrev_b32_e32 v11, 29, v50
	v_mov_b32_e32 v10, v9
	v_cmp_gt_i64_e64 s[36:37], 0, v[10:11]
	v_not_b32_e32 v10, v11
	v_ashrrev_i32_e32 v10, 31, v10
	v_xor_b32_e32 v11, s37, v10
	v_xor_b32_e32 v10, s36, v10
	v_and_b32_e32 v8, v8, v11
	v_and_b32_e32 v51, v51, v10
	v_lshlrev_b32_e32 v11, 28, v50
	v_mov_b32_e32 v10, v9
	v_cmp_gt_i64_e64 s[36:37], 0, v[10:11]
	v_not_b32_e32 v10, v11
	v_ashrrev_i32_e32 v10, 31, v10
	;; [unrolled: 9-line block ×5, first 2 shown]
	v_xor_b32_e32 v11, s37, v10
	v_xor_b32_e32 v10, s36, v10
	v_and_b32_e32 v8, v8, v11
	v_lshlrev_b32_e32 v11, 24, v50
	v_and_b32_e32 v51, v51, v10
	v_mov_b32_e32 v10, v9
	v_not_b32_e32 v9, v11
	v_cmp_gt_i64_e64 s[36:37], 0, v[10:11]
	v_ashrrev_i32_e32 v9, 31, v9
	ds_read_b32 v48, v52 offset:64
	v_xor_b32_e32 v10, s37, v9
	v_xor_b32_e32 v11, s36, v9
	v_and_b32_e32 v9, v8, v10
	v_and_b32_e32 v8, v51, v11
	v_mbcnt_lo_u32_b32 v10, v8, 0
	v_mbcnt_hi_u32_b32 v50, v9, v10
	v_cmp_eq_u32_e64 s[36:37], 0, v50
	v_cmp_ne_u64_e64 s[38:39], 0, v[8:9]
	s_and_b64 s[38:39], s[38:39], s[36:37]
	; wave barrier
	s_and_saveexec_b64 s[36:37], s[38:39]
	s_cbranch_execz .LBB752_53
; %bb.52:
	v_bcnt_u32_b32 v8, v8, 0
	v_bcnt_u32_b32 v8, v9, v8
	s_waitcnt lgkmcnt(0)
	v_add_u32_e32 v8, v48, v8
	ds_write_b32 v52, v8 offset:64
.LBB752_53:
	s_or_b64 exec, exec, s[36:37]
	v_lshrrev_b32_e32 v8, s64, v21
	v_and_b32_e32 v53, s71, v8
	v_mul_lo_u32 v8, v53, s40
	v_add_u32_e32 v55, v39, v8
	v_and_b32_e32 v8, 1, v53
	v_mov_b32_e32 v9, 0
	v_lshl_add_u64 v[10:11], v[8:9], 0, -1
	v_cmp_ne_u32_e64 s[36:37], 0, v8
	; wave barrier
	s_nop 1
	v_xor_b32_e32 v10, s36, v10
	v_xor_b32_e32 v8, s37, v11
	v_and_b32_e32 v54, exec_lo, v10
	v_lshlrev_b32_e32 v11, 30, v53
	v_mov_b32_e32 v10, v9
	v_cmp_gt_i64_e64 s[36:37], 0, v[10:11]
	v_not_b32_e32 v10, v11
	v_ashrrev_i32_e32 v10, 31, v10
	v_and_b32_e32 v8, exec_hi, v8
	v_xor_b32_e32 v11, s37, v10
	v_xor_b32_e32 v10, s36, v10
	v_and_b32_e32 v8, v8, v11
	v_and_b32_e32 v54, v54, v10
	v_lshlrev_b32_e32 v11, 29, v53
	v_mov_b32_e32 v10, v9
	v_cmp_gt_i64_e64 s[36:37], 0, v[10:11]
	v_not_b32_e32 v10, v11
	v_ashrrev_i32_e32 v10, 31, v10
	v_xor_b32_e32 v11, s37, v10
	v_xor_b32_e32 v10, s36, v10
	v_and_b32_e32 v8, v8, v11
	v_and_b32_e32 v54, v54, v10
	v_lshlrev_b32_e32 v11, 28, v53
	v_mov_b32_e32 v10, v9
	v_cmp_gt_i64_e64 s[36:37], 0, v[10:11]
	v_not_b32_e32 v10, v11
	v_ashrrev_i32_e32 v10, 31, v10
	;; [unrolled: 9-line block ×6, first 2 shown]
	v_xor_b32_e32 v11, s37, v10
	v_xor_b32_e32 v10, s36, v10
	ds_read_b32 v51, v55 offset:64
	v_and_b32_e32 v10, v54, v10
	v_and_b32_e32 v11, v8, v11
	v_mbcnt_lo_u32_b32 v8, v10, 0
	v_mbcnt_hi_u32_b32 v53, v11, v8
	v_cmp_eq_u32_e64 s[36:37], 0, v53
	v_cmp_ne_u64_e64 s[38:39], 0, v[10:11]
	s_and_b64 s[38:39], s[38:39], s[36:37]
	; wave barrier
	s_and_saveexec_b64 s[36:37], s[38:39]
	s_cbranch_execz .LBB752_55
; %bb.54:
	v_bcnt_u32_b32 v8, v10, 0
	v_bcnt_u32_b32 v8, v11, v8
	s_waitcnt lgkmcnt(0)
	v_add_u32_e32 v8, v51, v8
	ds_write_b32 v55, v8 offset:64
.LBB752_55:
	s_or_b64 exec, exec, s[36:37]
	v_lshrrev_b32_e32 v8, s64, v20
	v_and_b32_e32 v56, s71, v8
	v_mul_lo_u32 v8, v56, s40
	v_add_u32_e32 v58, v39, v8
	v_and_b32_e32 v8, 1, v56
	v_lshl_add_u64 v[10:11], v[8:9], 0, -1
	v_cmp_ne_u32_e64 s[36:37], 0, v8
	; wave barrier
	s_nop 1
	v_xor_b32_e32 v10, s36, v10
	v_xor_b32_e32 v8, s37, v11
	v_and_b32_e32 v57, exec_lo, v10
	v_lshlrev_b32_e32 v11, 30, v56
	v_mov_b32_e32 v10, v9
	v_cmp_gt_i64_e64 s[36:37], 0, v[10:11]
	v_not_b32_e32 v10, v11
	v_ashrrev_i32_e32 v10, 31, v10
	v_and_b32_e32 v8, exec_hi, v8
	v_xor_b32_e32 v11, s37, v10
	v_xor_b32_e32 v10, s36, v10
	v_and_b32_e32 v8, v8, v11
	v_and_b32_e32 v57, v57, v10
	v_lshlrev_b32_e32 v11, 29, v56
	v_mov_b32_e32 v10, v9
	v_cmp_gt_i64_e64 s[36:37], 0, v[10:11]
	v_not_b32_e32 v10, v11
	v_ashrrev_i32_e32 v10, 31, v10
	v_xor_b32_e32 v11, s37, v10
	v_xor_b32_e32 v10, s36, v10
	v_and_b32_e32 v8, v8, v11
	v_and_b32_e32 v57, v57, v10
	v_lshlrev_b32_e32 v11, 28, v56
	v_mov_b32_e32 v10, v9
	v_cmp_gt_i64_e64 s[36:37], 0, v[10:11]
	v_not_b32_e32 v10, v11
	v_ashrrev_i32_e32 v10, 31, v10
	;; [unrolled: 9-line block ×5, first 2 shown]
	v_xor_b32_e32 v11, s37, v10
	v_xor_b32_e32 v10, s36, v10
	v_and_b32_e32 v8, v8, v11
	v_lshlrev_b32_e32 v11, 24, v56
	v_and_b32_e32 v57, v57, v10
	v_mov_b32_e32 v10, v9
	v_not_b32_e32 v9, v11
	v_cmp_gt_i64_e64 s[36:37], 0, v[10:11]
	v_ashrrev_i32_e32 v9, 31, v9
	ds_read_b32 v54, v58 offset:64
	v_xor_b32_e32 v10, s37, v9
	v_xor_b32_e32 v11, s36, v9
	v_and_b32_e32 v9, v8, v10
	v_and_b32_e32 v8, v57, v11
	v_mbcnt_lo_u32_b32 v10, v8, 0
	v_mbcnt_hi_u32_b32 v56, v9, v10
	v_cmp_eq_u32_e64 s[36:37], 0, v56
	v_cmp_ne_u64_e64 s[38:39], 0, v[8:9]
	s_and_b64 s[38:39], s[38:39], s[36:37]
	; wave barrier
	s_and_saveexec_b64 s[36:37], s[38:39]
	s_cbranch_execz .LBB752_57
; %bb.56:
	v_bcnt_u32_b32 v8, v8, 0
	v_bcnt_u32_b32 v8, v9, v8
	s_waitcnt lgkmcnt(0)
	v_add_u32_e32 v8, v54, v8
	ds_write_b32 v58, v8 offset:64
.LBB752_57:
	s_or_b64 exec, exec, s[36:37]
	v_lshrrev_b32_e32 v8, s64, v23
	v_and_b32_e32 v59, s71, v8
	v_mul_lo_u32 v8, v59, s40
	v_add_u32_e32 v61, v39, v8
	v_and_b32_e32 v8, 1, v59
	v_mov_b32_e32 v9, 0
	v_lshl_add_u64 v[10:11], v[8:9], 0, -1
	v_cmp_ne_u32_e64 s[36:37], 0, v8
	; wave barrier
	s_nop 1
	v_xor_b32_e32 v10, s36, v10
	v_xor_b32_e32 v8, s37, v11
	v_and_b32_e32 v60, exec_lo, v10
	v_lshlrev_b32_e32 v11, 30, v59
	v_mov_b32_e32 v10, v9
	v_cmp_gt_i64_e64 s[36:37], 0, v[10:11]
	v_not_b32_e32 v10, v11
	v_ashrrev_i32_e32 v10, 31, v10
	v_and_b32_e32 v8, exec_hi, v8
	v_xor_b32_e32 v11, s37, v10
	v_xor_b32_e32 v10, s36, v10
	v_and_b32_e32 v8, v8, v11
	v_and_b32_e32 v60, v60, v10
	v_lshlrev_b32_e32 v11, 29, v59
	v_mov_b32_e32 v10, v9
	v_cmp_gt_i64_e64 s[36:37], 0, v[10:11]
	v_not_b32_e32 v10, v11
	v_ashrrev_i32_e32 v10, 31, v10
	v_xor_b32_e32 v11, s37, v10
	v_xor_b32_e32 v10, s36, v10
	v_and_b32_e32 v8, v8, v11
	v_and_b32_e32 v60, v60, v10
	v_lshlrev_b32_e32 v11, 28, v59
	v_mov_b32_e32 v10, v9
	v_cmp_gt_i64_e64 s[36:37], 0, v[10:11]
	v_not_b32_e32 v10, v11
	v_ashrrev_i32_e32 v10, 31, v10
	;; [unrolled: 9-line block ×6, first 2 shown]
	v_xor_b32_e32 v11, s37, v10
	v_xor_b32_e32 v10, s36, v10
	ds_read_b32 v57, v61 offset:64
	v_and_b32_e32 v10, v60, v10
	v_and_b32_e32 v11, v8, v11
	v_mbcnt_lo_u32_b32 v8, v10, 0
	v_mbcnt_hi_u32_b32 v59, v11, v8
	v_cmp_eq_u32_e64 s[36:37], 0, v59
	v_cmp_ne_u64_e64 s[38:39], 0, v[10:11]
	s_and_b64 s[38:39], s[38:39], s[36:37]
	; wave barrier
	s_and_saveexec_b64 s[36:37], s[38:39]
	s_cbranch_execz .LBB752_59
; %bb.58:
	v_bcnt_u32_b32 v8, v10, 0
	v_bcnt_u32_b32 v8, v11, v8
	s_waitcnt lgkmcnt(0)
	v_add_u32_e32 v8, v57, v8
	ds_write_b32 v61, v8 offset:64
.LBB752_59:
	s_or_b64 exec, exec, s[36:37]
	v_lshrrev_b32_e32 v8, s64, v22
	v_and_b32_e32 v62, s71, v8
	v_mul_lo_u32 v8, v62, s40
	v_add_u32_e32 v64, v39, v8
	v_and_b32_e32 v8, 1, v62
	v_lshl_add_u64 v[10:11], v[8:9], 0, -1
	v_cmp_ne_u32_e64 s[36:37], 0, v8
	; wave barrier
	s_nop 1
	v_xor_b32_e32 v10, s36, v10
	v_xor_b32_e32 v8, s37, v11
	v_and_b32_e32 v63, exec_lo, v10
	v_lshlrev_b32_e32 v11, 30, v62
	v_mov_b32_e32 v10, v9
	v_cmp_gt_i64_e64 s[36:37], 0, v[10:11]
	v_not_b32_e32 v10, v11
	v_ashrrev_i32_e32 v10, 31, v10
	v_and_b32_e32 v8, exec_hi, v8
	v_xor_b32_e32 v11, s37, v10
	v_xor_b32_e32 v10, s36, v10
	v_and_b32_e32 v8, v8, v11
	v_and_b32_e32 v63, v63, v10
	v_lshlrev_b32_e32 v11, 29, v62
	v_mov_b32_e32 v10, v9
	v_cmp_gt_i64_e64 s[36:37], 0, v[10:11]
	v_not_b32_e32 v10, v11
	v_ashrrev_i32_e32 v10, 31, v10
	v_xor_b32_e32 v11, s37, v10
	v_xor_b32_e32 v10, s36, v10
	v_and_b32_e32 v8, v8, v11
	v_and_b32_e32 v63, v63, v10
	v_lshlrev_b32_e32 v11, 28, v62
	v_mov_b32_e32 v10, v9
	v_cmp_gt_i64_e64 s[36:37], 0, v[10:11]
	v_not_b32_e32 v10, v11
	v_ashrrev_i32_e32 v10, 31, v10
	;; [unrolled: 9-line block ×5, first 2 shown]
	v_xor_b32_e32 v11, s37, v10
	v_xor_b32_e32 v10, s36, v10
	v_and_b32_e32 v8, v8, v11
	v_lshlrev_b32_e32 v11, 24, v62
	v_and_b32_e32 v63, v63, v10
	v_mov_b32_e32 v10, v9
	v_not_b32_e32 v9, v11
	v_cmp_gt_i64_e64 s[36:37], 0, v[10:11]
	v_ashrrev_i32_e32 v9, 31, v9
	ds_read_b32 v60, v64 offset:64
	v_xor_b32_e32 v10, s37, v9
	v_xor_b32_e32 v11, s36, v9
	v_and_b32_e32 v9, v8, v10
	v_and_b32_e32 v8, v63, v11
	v_mbcnt_lo_u32_b32 v10, v8, 0
	v_mbcnt_hi_u32_b32 v62, v9, v10
	v_cmp_eq_u32_e64 s[36:37], 0, v62
	v_cmp_ne_u64_e64 s[38:39], 0, v[8:9]
	s_and_b64 s[38:39], s[38:39], s[36:37]
	; wave barrier
	s_and_saveexec_b64 s[36:37], s[38:39]
	s_cbranch_execz .LBB752_61
; %bb.60:
	v_bcnt_u32_b32 v8, v8, 0
	v_bcnt_u32_b32 v8, v9, v8
	s_waitcnt lgkmcnt(0)
	v_add_u32_e32 v8, v60, v8
	ds_write_b32 v64, v8 offset:64
.LBB752_61:
	s_or_b64 exec, exec, s[36:37]
	v_lshrrev_b32_e32 v8, s64, v25
	v_and_b32_e32 v65, s71, v8
	v_mul_lo_u32 v8, v65, s40
	v_add_u32_e32 v67, v39, v8
	v_and_b32_e32 v8, 1, v65
	v_mov_b32_e32 v9, 0
	v_lshl_add_u64 v[10:11], v[8:9], 0, -1
	v_cmp_ne_u32_e64 s[36:37], 0, v8
	; wave barrier
	s_nop 1
	v_xor_b32_e32 v10, s36, v10
	v_xor_b32_e32 v8, s37, v11
	v_and_b32_e32 v66, exec_lo, v10
	v_lshlrev_b32_e32 v11, 30, v65
	v_mov_b32_e32 v10, v9
	v_cmp_gt_i64_e64 s[36:37], 0, v[10:11]
	v_not_b32_e32 v10, v11
	v_ashrrev_i32_e32 v10, 31, v10
	v_and_b32_e32 v8, exec_hi, v8
	v_xor_b32_e32 v11, s37, v10
	v_xor_b32_e32 v10, s36, v10
	v_and_b32_e32 v8, v8, v11
	v_and_b32_e32 v66, v66, v10
	v_lshlrev_b32_e32 v11, 29, v65
	v_mov_b32_e32 v10, v9
	v_cmp_gt_i64_e64 s[36:37], 0, v[10:11]
	v_not_b32_e32 v10, v11
	v_ashrrev_i32_e32 v10, 31, v10
	v_xor_b32_e32 v11, s37, v10
	v_xor_b32_e32 v10, s36, v10
	v_and_b32_e32 v8, v8, v11
	v_and_b32_e32 v66, v66, v10
	v_lshlrev_b32_e32 v11, 28, v65
	v_mov_b32_e32 v10, v9
	v_cmp_gt_i64_e64 s[36:37], 0, v[10:11]
	v_not_b32_e32 v10, v11
	v_ashrrev_i32_e32 v10, 31, v10
	;; [unrolled: 9-line block ×6, first 2 shown]
	v_xor_b32_e32 v11, s37, v10
	v_xor_b32_e32 v10, s36, v10
	ds_read_b32 v63, v67 offset:64
	v_and_b32_e32 v10, v66, v10
	v_and_b32_e32 v11, v8, v11
	v_mbcnt_lo_u32_b32 v8, v10, 0
	v_mbcnt_hi_u32_b32 v65, v11, v8
	v_cmp_eq_u32_e64 s[36:37], 0, v65
	v_cmp_ne_u64_e64 s[38:39], 0, v[10:11]
	s_and_b64 s[38:39], s[38:39], s[36:37]
	; wave barrier
	s_and_saveexec_b64 s[36:37], s[38:39]
	s_cbranch_execz .LBB752_63
; %bb.62:
	v_bcnt_u32_b32 v8, v10, 0
	v_bcnt_u32_b32 v8, v11, v8
	s_waitcnt lgkmcnt(0)
	v_add_u32_e32 v8, v63, v8
	ds_write_b32 v67, v8 offset:64
.LBB752_63:
	s_or_b64 exec, exec, s[36:37]
	v_lshrrev_b32_e32 v8, s64, v24
	v_and_b32_e32 v68, s71, v8
	v_mul_lo_u32 v8, v68, s40
	v_add_u32_e32 v70, v39, v8
	v_and_b32_e32 v8, 1, v68
	v_lshl_add_u64 v[10:11], v[8:9], 0, -1
	v_cmp_ne_u32_e64 s[36:37], 0, v8
	; wave barrier
	s_nop 1
	v_xor_b32_e32 v10, s36, v10
	v_xor_b32_e32 v8, s37, v11
	v_and_b32_e32 v69, exec_lo, v10
	v_lshlrev_b32_e32 v11, 30, v68
	v_mov_b32_e32 v10, v9
	v_cmp_gt_i64_e64 s[36:37], 0, v[10:11]
	v_not_b32_e32 v10, v11
	v_ashrrev_i32_e32 v10, 31, v10
	v_and_b32_e32 v8, exec_hi, v8
	v_xor_b32_e32 v11, s37, v10
	v_xor_b32_e32 v10, s36, v10
	v_and_b32_e32 v8, v8, v11
	v_and_b32_e32 v69, v69, v10
	v_lshlrev_b32_e32 v11, 29, v68
	v_mov_b32_e32 v10, v9
	v_cmp_gt_i64_e64 s[36:37], 0, v[10:11]
	v_not_b32_e32 v10, v11
	v_ashrrev_i32_e32 v10, 31, v10
	v_xor_b32_e32 v11, s37, v10
	v_xor_b32_e32 v10, s36, v10
	v_and_b32_e32 v8, v8, v11
	v_and_b32_e32 v69, v69, v10
	v_lshlrev_b32_e32 v11, 28, v68
	v_mov_b32_e32 v10, v9
	v_cmp_gt_i64_e64 s[36:37], 0, v[10:11]
	v_not_b32_e32 v10, v11
	v_ashrrev_i32_e32 v10, 31, v10
	;; [unrolled: 9-line block ×5, first 2 shown]
	v_xor_b32_e32 v11, s37, v10
	v_xor_b32_e32 v10, s36, v10
	v_and_b32_e32 v8, v8, v11
	v_lshlrev_b32_e32 v11, 24, v68
	v_and_b32_e32 v69, v69, v10
	v_mov_b32_e32 v10, v9
	v_not_b32_e32 v9, v11
	v_cmp_gt_i64_e64 s[36:37], 0, v[10:11]
	v_ashrrev_i32_e32 v9, 31, v9
	ds_read_b32 v66, v70 offset:64
	v_xor_b32_e32 v10, s37, v9
	v_xor_b32_e32 v11, s36, v9
	v_and_b32_e32 v9, v8, v10
	v_and_b32_e32 v8, v69, v11
	v_mbcnt_lo_u32_b32 v10, v8, 0
	v_mbcnt_hi_u32_b32 v68, v9, v10
	v_cmp_eq_u32_e64 s[36:37], 0, v68
	v_cmp_ne_u64_e64 s[38:39], 0, v[8:9]
	s_and_b64 s[38:39], s[38:39], s[36:37]
	; wave barrier
	s_and_saveexec_b64 s[36:37], s[38:39]
	s_cbranch_execz .LBB752_65
; %bb.64:
	v_bcnt_u32_b32 v8, v8, 0
	v_bcnt_u32_b32 v8, v9, v8
	s_waitcnt lgkmcnt(0)
	v_add_u32_e32 v8, v66, v8
	ds_write_b32 v70, v8 offset:64
.LBB752_65:
	s_or_b64 exec, exec, s[36:37]
	v_lshrrev_b32_e32 v8, s64, v27
	v_and_b32_e32 v71, s71, v8
	v_mul_lo_u32 v8, v71, s40
	v_add_u32_e32 v72, v39, v8
	v_and_b32_e32 v8, 1, v71
	v_mov_b32_e32 v9, 0
	v_lshl_add_u64 v[10:11], v[8:9], 0, -1
	v_cmp_ne_u32_e64 s[36:37], 0, v8
	; wave barrier
	s_nop 1
	v_xor_b32_e32 v10, s36, v10
	v_xor_b32_e32 v8, s37, v11
	v_and_b32_e32 v73, exec_lo, v10
	v_lshlrev_b32_e32 v11, 30, v71
	v_mov_b32_e32 v10, v9
	v_cmp_gt_i64_e64 s[36:37], 0, v[10:11]
	v_not_b32_e32 v10, v11
	v_ashrrev_i32_e32 v10, 31, v10
	v_and_b32_e32 v8, exec_hi, v8
	v_xor_b32_e32 v11, s37, v10
	v_xor_b32_e32 v10, s36, v10
	v_and_b32_e32 v8, v8, v11
	v_and_b32_e32 v73, v73, v10
	v_lshlrev_b32_e32 v11, 29, v71
	v_mov_b32_e32 v10, v9
	v_cmp_gt_i64_e64 s[36:37], 0, v[10:11]
	v_not_b32_e32 v10, v11
	v_ashrrev_i32_e32 v10, 31, v10
	v_xor_b32_e32 v11, s37, v10
	v_xor_b32_e32 v10, s36, v10
	v_and_b32_e32 v8, v8, v11
	v_and_b32_e32 v73, v73, v10
	v_lshlrev_b32_e32 v11, 28, v71
	v_mov_b32_e32 v10, v9
	v_cmp_gt_i64_e64 s[36:37], 0, v[10:11]
	v_not_b32_e32 v10, v11
	v_ashrrev_i32_e32 v10, 31, v10
	;; [unrolled: 9-line block ×6, first 2 shown]
	v_xor_b32_e32 v11, s37, v10
	v_xor_b32_e32 v10, s36, v10
	ds_read_b32 v69, v72 offset:64
	v_and_b32_e32 v10, v73, v10
	v_and_b32_e32 v11, v8, v11
	v_mbcnt_lo_u32_b32 v8, v10, 0
	v_mbcnt_hi_u32_b32 v71, v11, v8
	v_cmp_eq_u32_e64 s[36:37], 0, v71
	v_cmp_ne_u64_e64 s[38:39], 0, v[10:11]
	s_and_b64 s[38:39], s[38:39], s[36:37]
	; wave barrier
	s_and_saveexec_b64 s[36:37], s[38:39]
	s_cbranch_execz .LBB752_67
; %bb.66:
	v_bcnt_u32_b32 v8, v10, 0
	v_bcnt_u32_b32 v8, v11, v8
	s_waitcnt lgkmcnt(0)
	v_add_u32_e32 v8, v69, v8
	ds_write_b32 v72, v8 offset:64
.LBB752_67:
	s_or_b64 exec, exec, s[36:37]
	v_lshrrev_b32_e32 v8, s64, v26
	v_and_b32_e32 v73, s71, v8
	v_mul_lo_u32 v8, v73, s40
	v_add_u32_e32 v74, v39, v8
	v_and_b32_e32 v8, 1, v73
	v_lshl_add_u64 v[10:11], v[8:9], 0, -1
	v_cmp_ne_u32_e64 s[36:37], 0, v8
	; wave barrier
	s_nop 1
	v_xor_b32_e32 v10, s36, v10
	v_xor_b32_e32 v8, s37, v11
	v_and_b32_e32 v75, exec_lo, v10
	v_lshlrev_b32_e32 v11, 30, v73
	v_mov_b32_e32 v10, v9
	v_cmp_gt_i64_e64 s[36:37], 0, v[10:11]
	v_not_b32_e32 v10, v11
	v_ashrrev_i32_e32 v10, 31, v10
	v_and_b32_e32 v8, exec_hi, v8
	v_xor_b32_e32 v11, s37, v10
	v_xor_b32_e32 v10, s36, v10
	v_and_b32_e32 v8, v8, v11
	v_and_b32_e32 v75, v75, v10
	v_lshlrev_b32_e32 v11, 29, v73
	v_mov_b32_e32 v10, v9
	v_cmp_gt_i64_e64 s[36:37], 0, v[10:11]
	v_not_b32_e32 v10, v11
	v_ashrrev_i32_e32 v10, 31, v10
	v_xor_b32_e32 v11, s37, v10
	v_xor_b32_e32 v10, s36, v10
	v_and_b32_e32 v8, v8, v11
	v_and_b32_e32 v75, v75, v10
	v_lshlrev_b32_e32 v11, 28, v73
	v_mov_b32_e32 v10, v9
	v_cmp_gt_i64_e64 s[36:37], 0, v[10:11]
	v_not_b32_e32 v10, v11
	v_ashrrev_i32_e32 v10, 31, v10
	;; [unrolled: 9-line block ×5, first 2 shown]
	v_xor_b32_e32 v11, s37, v10
	v_xor_b32_e32 v10, s36, v10
	v_and_b32_e32 v8, v8, v11
	v_lshlrev_b32_e32 v11, 24, v73
	v_and_b32_e32 v75, v75, v10
	v_mov_b32_e32 v10, v9
	v_not_b32_e32 v9, v11
	v_cmp_gt_i64_e64 s[36:37], 0, v[10:11]
	v_ashrrev_i32_e32 v9, 31, v9
	ds_read_b32 v39, v74 offset:64
	v_xor_b32_e32 v10, s37, v9
	v_xor_b32_e32 v11, s36, v9
	v_and_b32_e32 v9, v8, v10
	v_and_b32_e32 v8, v75, v11
	v_mbcnt_lo_u32_b32 v10, v8, 0
	v_mbcnt_hi_u32_b32 v73, v9, v10
	v_cmp_eq_u32_e64 s[36:37], 0, v73
	v_cmp_ne_u64_e64 s[38:39], 0, v[8:9]
	s_and_b64 s[38:39], s[38:39], s[36:37]
	; wave barrier
	s_and_saveexec_b64 s[36:37], s[38:39]
	s_cbranch_execz .LBB752_69
; %bb.68:
	v_bcnt_u32_b32 v8, v8, 0
	v_bcnt_u32_b32 v8, v9, v8
	s_waitcnt lgkmcnt(0)
	v_add_u32_e32 v8, v39, v8
	ds_write_b32 v74, v8 offset:64
.LBB752_69:
	s_or_b64 exec, exec, s[36:37]
	; wave barrier
	s_waitcnt lgkmcnt(0)
	s_barrier
	ds_read2_b32 v[10:11], v13 offset0:16 offset1:17
	ds_read2_b32 v[8:9], v13 offset0:18 offset1:19
	ds_read_b32 v75, v13 offset:80
	v_cmp_lt_u32_e64 s[46:47], 31, v12
	s_waitcnt lgkmcnt(1)
	v_add3_u32 v76, v11, v10, v8
	s_waitcnt lgkmcnt(0)
	v_add3_u32 v75, v76, v9, v75
	v_and_b32_e32 v76, 15, v12
	v_cmp_eq_u32_e64 s[36:37], 0, v76
	v_mov_b32_dpp v77, v75 row_shr:1 row_mask:0xf bank_mask:0xf
	v_cmp_lt_u32_e64 s[38:39], 1, v76
	v_cndmask_b32_e64 v77, v77, 0, s[36:37]
	v_add_u32_e32 v75, v77, v75
	v_cmp_lt_u32_e64 s[40:41], 3, v76
	v_cmp_lt_u32_e64 s[42:43], 7, v76
	v_mov_b32_dpp v77, v75 row_shr:2 row_mask:0xf bank_mask:0xf
	v_cndmask_b32_e64 v77, 0, v77, s[38:39]
	v_add_u32_e32 v75, v75, v77
	s_nop 1
	v_mov_b32_dpp v77, v75 row_shr:4 row_mask:0xf bank_mask:0xf
	v_cndmask_b32_e64 v77, 0, v77, s[40:41]
	v_add_u32_e32 v75, v75, v77
	s_nop 1
	v_mov_b32_dpp v77, v75 row_shr:8 row_mask:0xf bank_mask:0xf
	v_cndmask_b32_e64 v76, 0, v77, s[42:43]
	v_add_u32_e32 v75, v75, v76
	v_bfe_i32 v77, v12, 4, 1
	s_nop 0
	v_mov_b32_dpp v76, v75 row_bcast:15 row_mask:0xf bank_mask:0xf
	v_and_b32_e32 v76, v77, v76
	v_add_u32_e32 v75, v75, v76
	v_and_b32_e32 v77, 63, v2
	s_nop 0
	v_mov_b32_dpp v76, v75 row_bcast:31 row_mask:0xf bank_mask:0xf
	v_cndmask_b32_e64 v76, 0, v76, s[46:47]
	v_add_u32_e32 v75, v75, v76
	v_lshrrev_b32_e32 v76, 6, v2
	v_cmp_eq_u32_e64 s[46:47], 63, v77
	s_and_saveexec_b64 s[48:49], s[46:47]
; %bb.70:
	v_lshlrev_b32_e32 v77, 2, v76
	ds_write_b32 v77, v75
; %bb.71:
	s_or_b64 exec, exec, s[48:49]
	v_cmp_gt_u32_e64 s[46:47], 16, v2
	s_waitcnt lgkmcnt(0)
	s_barrier
	s_and_saveexec_b64 s[48:49], s[46:47]
	s_cbranch_execz .LBB752_73
; %bb.72:
	v_lshlrev_b32_e32 v77, 2, v2
	ds_read_b32 v78, v77
	s_waitcnt lgkmcnt(0)
	s_nop 0
	v_mov_b32_dpp v79, v78 row_shr:1 row_mask:0xf bank_mask:0xf
	v_cndmask_b32_e64 v79, v79, 0, s[36:37]
	v_add_u32_e32 v78, v79, v78
	s_nop 1
	v_mov_b32_dpp v79, v78 row_shr:2 row_mask:0xf bank_mask:0xf
	v_cndmask_b32_e64 v79, 0, v79, s[38:39]
	v_add_u32_e32 v78, v78, v79
	;; [unrolled: 4-line block ×4, first 2 shown]
	ds_write_b32 v77, v78
.LBB752_73:
	s_or_b64 exec, exec, s[48:49]
	v_cmp_lt_u32_e64 s[36:37], 63, v2
	v_mov_b32_e32 v77, 0
	s_waitcnt lgkmcnt(0)
	s_barrier
	s_and_saveexec_b64 s[38:39], s[36:37]
; %bb.74:
	v_lshl_add_u32 v76, v76, 2, -4
	ds_read_b32 v77, v76
; %bb.75:
	s_or_b64 exec, exec, s[38:39]
	v_subrev_co_u32_e64 v76, s[36:37], 1, v12
	v_and_b32_e32 v78, 64, v12
	v_cmp_lt_i32_e64 s[38:39], v76, v78
	s_waitcnt lgkmcnt(0)
	v_add_u32_e32 v75, v77, v75
	s_movk_i32 s40, 0x100
	v_cndmask_b32_e64 v12, v76, v12, s[38:39]
	v_lshlrev_b32_e32 v12, 2, v12
	ds_bpermute_b32 v12, v12, v75
	v_cmp_gt_u32_e64 s[38:39], s40, v2
	s_waitcnt lgkmcnt(0)
	v_cndmask_b32_e64 v12, v12, v77, s[36:37]
	v_cndmask_b32_e64 v12, v12, 0, s[44:45]
	v_add_u32_e32 v10, v12, v10
	v_add_u32_e32 v11, v10, v11
	;; [unrolled: 1-line block ×4, first 2 shown]
	ds_write2_b32 v13, v12, v10 offset0:16 offset1:17
	ds_write2_b32 v13, v11, v8 offset0:18 offset1:19
	ds_write_b32 v13, v9 offset:80
	s_waitcnt lgkmcnt(0)
	s_barrier
	ds_read_b32 v75, v34 offset:64
	ds_read_b32 v76, v37 offset:64
	;; [unrolled: 1-line block ×16, first 2 shown]
	s_movk_i32 s36, 0xff
	v_cmp_lt_u32_e64 s[36:37], s36, v2
                                        ; implicit-def: $vgpr32
                                        ; implicit-def: $vgpr34
	s_and_saveexec_b64 s[42:43], s[38:39]
	s_cbranch_execz .LBB752_79
; %bb.76:
	v_mul_u32_u24_e32 v8, 0x44, v2
	ds_read_b32 v32, v8 offset:64
	v_add_u32_e32 v9, 1, v2
	v_cmp_ne_u32_e64 s[40:41], s40, v9
	v_mov_b32_e32 v8, 0x4000
	s_and_saveexec_b64 s[46:47], s[40:41]
; %bb.77:
	v_mul_u32_u24_e32 v8, 0x44, v9
	ds_read_b32 v8, v8 offset:64
; %bb.78:
	s_or_b64 exec, exec, s[46:47]
	s_waitcnt lgkmcnt(0)
	v_sub_u32_e32 v34, v8, v32
.LBB752_79:
	s_or_b64 exec, exec, s[42:43]
	v_mov_b32_e32 v9, 0
	v_lshlrev_b32_e32 v37, 2, v2
	s_waitcnt lgkmcnt(0)
	s_barrier
	s_and_saveexec_b64 s[40:41], s[38:39]
	s_cbranch_execz .LBB752_89
; %bb.80:
	v_lshl_add_u32 v8, s33, 8, v2
	v_lshl_add_u64 v[10:11], v[8:9], 2, s[68:69]
	v_or_b32_e32 v8, 2.0, v34
	s_mov_b64 s[42:43], 0
	s_brev_b32 s50, -4
	s_mov_b32 s51, s33
	v_mov_b32_e32 v61, 0
	global_store_dword v[10:11], v8, off sc1
                                        ; implicit-def: $sgpr38_sgpr39
	s_branch .LBB752_83
.LBB752_81:                             ;   in Loop: Header=BB752_83 Depth=1
	s_or_b64 exec, exec, s[48:49]
.LBB752_82:                             ;   in Loop: Header=BB752_83 Depth=1
	s_or_b64 exec, exec, s[46:47]
	v_and_b32_e32 v12, 0x3fffffff, v8
	v_add_u32_e32 v61, v12, v61
	v_cmp_gt_i32_e64 s[38:39], -2.0, v8
	s_and_b64 s[46:47], exec, s[38:39]
	s_or_b64 s[42:43], s[46:47], s[42:43]
	s_andn2_b64 exec, exec, s[42:43]
	s_cbranch_execz .LBB752_88
.LBB752_83:                             ; =>This Loop Header: Depth=1
                                        ;     Child Loop BB752_86 Depth 2
	s_or_b64 s[38:39], s[38:39], exec
	s_cmp_eq_u32 s51, 0
	s_cbranch_scc1 .LBB752_87
; %bb.84:                               ;   in Loop: Header=BB752_83 Depth=1
	s_add_i32 s51, s51, -1
	v_lshl_or_b32 v8, s51, 8, v2
	v_lshl_add_u64 v[12:13], v[8:9], 2, s[68:69]
	global_load_dword v8, v[12:13], off sc1
	s_waitcnt vmcnt(0)
	v_cmp_gt_u32_e64 s[38:39], 2.0, v8
	s_and_saveexec_b64 s[46:47], s[38:39]
	s_cbranch_execz .LBB752_82
; %bb.85:                               ;   in Loop: Header=BB752_83 Depth=1
	s_mov_b64 s[48:49], 0
.LBB752_86:                             ;   Parent Loop BB752_83 Depth=1
                                        ; =>  This Inner Loop Header: Depth=2
	global_load_dword v8, v[12:13], off sc1
	s_waitcnt vmcnt(0)
	v_cmp_lt_u32_e64 s[38:39], s50, v8
	s_or_b64 s[48:49], s[38:39], s[48:49]
	s_andn2_b64 exec, exec, s[48:49]
	s_cbranch_execnz .LBB752_86
	s_branch .LBB752_81
.LBB752_87:                             ;   in Loop: Header=BB752_83 Depth=1
                                        ; implicit-def: $sgpr51
	s_and_b64 s[46:47], exec, s[38:39]
	s_or_b64 s[42:43], s[46:47], s[42:43]
	s_andn2_b64 exec, exec, s[42:43]
	s_cbranch_execnz .LBB752_83
.LBB752_88:
	s_or_b64 exec, exec, s[42:43]
	v_add_u32_e32 v8, v61, v34
	v_or_b32_e32 v8, 0x80000000, v8
	global_store_dword v[10:11], v8, off sc1
	global_load_dword v8, v37, s[60:61]
	v_sub_u32_e32 v9, v61, v32
	s_waitcnt vmcnt(0)
	v_add_u32_e32 v8, v9, v8
	ds_write_b32 v37, v8
.LBB752_89:
	s_or_b64 exec, exec, s[40:41]
	v_add_u32_e32 v10, v55, v29
	v_add3_u32 v8, v30, v28, v75
	v_add3_u32 v9, v33, v31, v76
	v_add3_u32 v61, v36, v35, v77
	v_add3_u32 v64, v40, v38, v78
	v_add3_u32 v67, v43, v42, v79
	v_add3_u32 v70, v47, v45, v80
	v_add3_u32 v72, v50, v48, v81
	v_add3_u32 v74, v53, v51, v82
	v_add3_u32 v84, v56, v54, v83
	v_add3_u32 v55, v59, v57, v58
	v_add3_u32 v85, v62, v60, v52
	v_add3_u32 v86, v65, v63, v46
	v_add3_u32 v87, v68, v66, v41
	v_add3_u32 v13, v71, v69, v44
	v_add3_u32 v11, v73, v39, v49
	v_mov_b32_e32 v88, 0x400
	s_movk_i32 s42, 0x400
	v_lshl_add_u32 v11, v11, 2, v88
	v_add3_u32 v12, v73, v49, v39
	v_lshl_add_u32 v13, v13, 2, v88
	v_add3_u32 v29, v71, v44, v69
	;; [unrolled: 2-line block ×15, first 2 shown]
	v_lshl_add_u32 v30, v10, 2, v88
	s_mov_b32 s43, 0
	s_mov_b32 s46, 0
	s_movk_i32 s47, 0x1000
	v_mov_b32_e32 v9, 0
	s_movk_i32 s48, 0x800
	s_movk_i32 s49, 0xc00
	v_mov_b32_e32 v59, v2
	s_mov_b32 s50, 0
	s_branch .LBB752_91
.LBB752_90:                             ;   in Loop: Header=BB752_91 Depth=1
	s_or_b64 exec, exec, s[40:41]
	s_addk_i32 s50, 0xc000
	s_add_i32 s43, s43, 16
	s_addk_i32 s46, 0xf000
	s_cmp_eq_u32 s50, 0xffff0000
	v_add_u32_e32 v59, 0x1000, v59
	s_barrier
	s_cbranch_scc1 .LBB752_131
.LBB752_91:                             ; =>This Inner Loop Header: Depth=1
	v_add_u32_e32 v8, s46, v10
	v_cmp_gt_u32_e64 s[38:39], s47, v8
	s_and_saveexec_b64 s[40:41], s[38:39]
; %bb.92:                               ;   in Loop: Header=BB752_91 Depth=1
	v_add_u32_e32 v8, s50, v30
	ds_write_b32 v8, v5
; %bb.93:                               ;   in Loop: Header=BB752_91 Depth=1
	s_or_b64 exec, exec, s[40:41]
	v_add_u32_e32 v8, s46, v28
	v_cmp_gt_u32_e64 s[38:39], s47, v8
	s_and_saveexec_b64 s[40:41], s[38:39]
; %bb.94:                               ;   in Loop: Header=BB752_91 Depth=1
	v_add_u32_e32 v8, s50, v33
	ds_write_b32 v8, v14
; %bb.95:                               ;   in Loop: Header=BB752_91 Depth=1
	s_or_b64 exec, exec, s[40:41]
	;; [unrolled: 8-line block ×4, first 2 shown]
	v_add_u32_e32 v8, s46, v38
	v_cmp_gt_u32_e64 s[38:39], s47, v8
	s_and_saveexec_b64 s[40:41], s[38:39]
; %bb.100:                              ;   in Loop: Header=BB752_91 Depth=1
	v_add_u32_e32 v8, s50, v43
	ds_write_b32 v8, v17
; %bb.101:                              ;   in Loop: Header=BB752_91 Depth=1
	s_or_b64 exec, exec, s[40:41]
	v_add_u32_e32 v8, s46, v42
	v_cmp_gt_u32_e64 s[38:39], s47, v8
	s_and_saveexec_b64 s[40:41], s[38:39]
; %bb.102:                              ;   in Loop: Header=BB752_91 Depth=1
	v_add_u32_e32 v8, s50, v47
	ds_write_b32 v8, v16
; %bb.103:                              ;   in Loop: Header=BB752_91 Depth=1
	s_or_b64 exec, exec, s[40:41]
	;; [unrolled: 8-line block ×12, first 2 shown]
	v_cmp_gt_u32_e64 s[38:39], s3, v59
	s_waitcnt lgkmcnt(0)
	s_barrier
	s_and_saveexec_b64 s[40:41], s[38:39]
	s_cbranch_execz .LBB752_125
; %bb.124:                              ;   in Loop: Header=BB752_91 Depth=1
	ds_read_b32 v62, v37 offset:1024
	s_waitcnt lgkmcnt(0)
	v_lshrrev_b32_e32 v8, s64, v62
	v_and_b32_e32 v63, s71, v8
	v_lshlrev_b32_e32 v8, 2, v63
	ds_read_b32 v8, v8
	s_waitcnt lgkmcnt(0)
	v_add_u32_e32 v8, v59, v8
	v_lshl_add_u64 v[60:61], v[8:9], 2, s[54:55]
	global_store_dword v[60:61], v62, off
	scratch_store_dword off, v63, s43
.LBB752_125:                            ;   in Loop: Header=BB752_91 Depth=1
	s_or_b64 exec, exec, s[40:41]
	v_add_u32_e32 v8, 0x400, v59
	v_cmp_gt_u32_e64 s[38:39], s3, v8
	s_and_saveexec_b64 s[40:41], s[38:39]
	s_cbranch_execz .LBB752_127
; %bb.126:                              ;   in Loop: Header=BB752_91 Depth=1
	ds_read_b32 v62, v37 offset:5120
	s_add_i32 s38, s43, 4
	s_waitcnt lgkmcnt(0)
	v_lshrrev_b32_e32 v8, s64, v62
	v_and_b32_e32 v63, s71, v8
	v_lshlrev_b32_e32 v8, 2, v63
	ds_read_b32 v8, v8
	s_waitcnt lgkmcnt(0)
	v_add3_u32 v8, v59, v8, s42
	v_lshl_add_u64 v[60:61], v[8:9], 2, s[54:55]
	global_store_dword v[60:61], v62, off
	scratch_store_dword off, v63, s38
.LBB752_127:                            ;   in Loop: Header=BB752_91 Depth=1
	s_or_b64 exec, exec, s[40:41]
	v_add_u32_e32 v8, 0x800, v59
	v_cmp_gt_u32_e64 s[38:39], s3, v8
	s_and_saveexec_b64 s[40:41], s[38:39]
	s_cbranch_execz .LBB752_129
; %bb.128:                              ;   in Loop: Header=BB752_91 Depth=1
	ds_read_b32 v62, v37 offset:9216
	s_add_i32 s38, s43, 8
	s_waitcnt lgkmcnt(0)
	v_lshrrev_b32_e32 v8, s64, v62
	v_and_b32_e32 v63, s71, v8
	v_lshlrev_b32_e32 v8, 2, v63
	ds_read_b32 v8, v8
	s_waitcnt lgkmcnt(0)
	v_add3_u32 v8, v59, v8, s48
	v_lshl_add_u64 v[60:61], v[8:9], 2, s[54:55]
	global_store_dword v[60:61], v62, off
	scratch_store_dword off, v63, s38
.LBB752_129:                            ;   in Loop: Header=BB752_91 Depth=1
	s_or_b64 exec, exec, s[40:41]
	v_add_u32_e32 v8, 0xc00, v59
	v_cmp_gt_u32_e64 s[38:39], s3, v8
	s_and_saveexec_b64 s[40:41], s[38:39]
	s_cbranch_execz .LBB752_90
; %bb.130:                              ;   in Loop: Header=BB752_91 Depth=1
	ds_read_b32 v62, v37 offset:13312
	s_add_i32 s38, s43, 12
	s_waitcnt lgkmcnt(0)
	v_lshrrev_b32_e32 v8, s64, v62
	v_and_b32_e32 v63, s71, v8
	v_lshlrev_b32_e32 v8, 2, v63
	ds_read_b32 v8, v8
	s_waitcnt lgkmcnt(0)
	v_add3_u32 v8, v59, v8, s49
	v_lshl_add_u64 v[60:61], v[8:9], 2, s[54:55]
	global_store_dword v[60:61], v62, off
	scratch_store_dword off, v63, s38
	s_branch .LBB752_90
.LBB752_131:
	s_add_u32 s38, s56, s66
	s_addc_u32 s39, s57, s67
	v_mov_b32_e32 v5, 0
	v_lshl_add_u64 v[8:9], s[38:39], 0, v[4:5]
	v_mov_b32_e32 v7, v5
	v_lshl_add_u64 v[4:5], v[8:9], 0, v[6:7]
                                        ; implicit-def: $vgpr6
	s_and_saveexec_b64 s[38:39], vcc
	s_cbranch_execz .LBB752_147
; %bb.132:
	global_load_dword v6, v[4:5], off
	s_or_b64 exec, exec, s[38:39]
                                        ; implicit-def: $vgpr7
	s_and_saveexec_b64 s[38:39], s[4:5]
	s_cbranch_execnz .LBB752_148
.LBB752_133:
	s_or_b64 exec, exec, s[38:39]
                                        ; implicit-def: $vgpr8
	s_and_saveexec_b64 s[4:5], s[6:7]
	s_cbranch_execz .LBB752_149
.LBB752_134:
	global_load_dword v8, v[4:5], off offset:512
	s_or_b64 exec, exec, s[4:5]
                                        ; implicit-def: $vgpr9
	s_and_saveexec_b64 s[4:5], s[8:9]
	s_cbranch_execnz .LBB752_150
.LBB752_135:
	s_or_b64 exec, exec, s[4:5]
                                        ; implicit-def: $vgpr14
	s_and_saveexec_b64 s[4:5], s[10:11]
	s_cbranch_execz .LBB752_151
.LBB752_136:
	global_load_dword v14, v[4:5], off offset:1024
	s_or_b64 exec, exec, s[4:5]
                                        ; implicit-def: $vgpr15
	s_and_saveexec_b64 s[4:5], s[12:13]
	s_cbranch_execnz .LBB752_152
.LBB752_137:
	s_or_b64 exec, exec, s[4:5]
                                        ; implicit-def: $vgpr16
	s_and_saveexec_b64 s[4:5], s[14:15]
	s_cbranch_execz .LBB752_153
.LBB752_138:
	global_load_dword v16, v[4:5], off offset:1536
	s_or_b64 exec, exec, s[4:5]
                                        ; implicit-def: $vgpr17
	s_and_saveexec_b64 s[4:5], s[16:17]
	s_cbranch_execnz .LBB752_154
.LBB752_139:
	s_or_b64 exec, exec, s[4:5]
                                        ; implicit-def: $vgpr18
	s_and_saveexec_b64 s[4:5], s[18:19]
	s_cbranch_execz .LBB752_155
.LBB752_140:
	global_load_dword v18, v[4:5], off offset:2048
	s_or_b64 exec, exec, s[4:5]
                                        ; implicit-def: $vgpr19
	s_and_saveexec_b64 s[4:5], s[20:21]
	s_cbranch_execnz .LBB752_156
.LBB752_141:
	s_or_b64 exec, exec, s[4:5]
                                        ; implicit-def: $vgpr20
	s_and_saveexec_b64 s[4:5], s[22:23]
	s_cbranch_execz .LBB752_157
.LBB752_142:
	global_load_dword v20, v[4:5], off offset:2560
	s_or_b64 exec, exec, s[4:5]
                                        ; implicit-def: $vgpr21
	s_and_saveexec_b64 s[4:5], s[24:25]
	s_cbranch_execnz .LBB752_158
.LBB752_143:
	s_or_b64 exec, exec, s[4:5]
                                        ; implicit-def: $vgpr22
	s_and_saveexec_b64 s[4:5], s[26:27]
	s_cbranch_execz .LBB752_159
.LBB752_144:
	global_load_dword v22, v[4:5], off offset:3072
	s_or_b64 exec, exec, s[4:5]
                                        ; implicit-def: $vgpr23
	s_and_saveexec_b64 s[4:5], s[28:29]
	s_cbranch_execnz .LBB752_160
.LBB752_145:
	s_or_b64 exec, exec, s[4:5]
                                        ; implicit-def: $vgpr24
	s_and_saveexec_b64 s[4:5], s[30:31]
	s_cbranch_execz .LBB752_161
.LBB752_146:
	global_load_dword v24, v[4:5], off offset:3584
	s_or_b64 exec, exec, s[4:5]
                                        ; implicit-def: $vgpr25
	s_and_saveexec_b64 s[4:5], s[34:35]
	s_cbranch_execnz .LBB752_162
	s_branch .LBB752_163
.LBB752_147:
	s_or_b64 exec, exec, s[38:39]
                                        ; implicit-def: $vgpr7
	s_and_saveexec_b64 s[38:39], s[4:5]
	s_cbranch_execz .LBB752_133
.LBB752_148:
	global_load_dword v7, v[4:5], off offset:256
	s_or_b64 exec, exec, s[38:39]
                                        ; implicit-def: $vgpr8
	s_and_saveexec_b64 s[4:5], s[6:7]
	s_cbranch_execnz .LBB752_134
.LBB752_149:
	s_or_b64 exec, exec, s[4:5]
                                        ; implicit-def: $vgpr9
	s_and_saveexec_b64 s[4:5], s[8:9]
	s_cbranch_execz .LBB752_135
.LBB752_150:
	global_load_dword v9, v[4:5], off offset:768
	s_or_b64 exec, exec, s[4:5]
                                        ; implicit-def: $vgpr14
	s_and_saveexec_b64 s[4:5], s[10:11]
	s_cbranch_execnz .LBB752_136
.LBB752_151:
	s_or_b64 exec, exec, s[4:5]
                                        ; implicit-def: $vgpr15
	s_and_saveexec_b64 s[4:5], s[12:13]
	s_cbranch_execz .LBB752_137
.LBB752_152:
	global_load_dword v15, v[4:5], off offset:1280
	s_or_b64 exec, exec, s[4:5]
                                        ; implicit-def: $vgpr16
	s_and_saveexec_b64 s[4:5], s[14:15]
	s_cbranch_execnz .LBB752_138
.LBB752_153:
	s_or_b64 exec, exec, s[4:5]
                                        ; implicit-def: $vgpr17
	s_and_saveexec_b64 s[4:5], s[16:17]
	s_cbranch_execz .LBB752_139
.LBB752_154:
	global_load_dword v17, v[4:5], off offset:1792
	s_or_b64 exec, exec, s[4:5]
                                        ; implicit-def: $vgpr18
	s_and_saveexec_b64 s[4:5], s[18:19]
	s_cbranch_execnz .LBB752_140
.LBB752_155:
	s_or_b64 exec, exec, s[4:5]
                                        ; implicit-def: $vgpr19
	s_and_saveexec_b64 s[4:5], s[20:21]
	s_cbranch_execz .LBB752_141
.LBB752_156:
	global_load_dword v19, v[4:5], off offset:2304
	s_or_b64 exec, exec, s[4:5]
                                        ; implicit-def: $vgpr20
	s_and_saveexec_b64 s[4:5], s[22:23]
	s_cbranch_execnz .LBB752_142
.LBB752_157:
	s_or_b64 exec, exec, s[4:5]
                                        ; implicit-def: $vgpr21
	s_and_saveexec_b64 s[4:5], s[24:25]
	s_cbranch_execz .LBB752_143
.LBB752_158:
	global_load_dword v21, v[4:5], off offset:2816
	s_or_b64 exec, exec, s[4:5]
                                        ; implicit-def: $vgpr22
	s_and_saveexec_b64 s[4:5], s[26:27]
	s_cbranch_execnz .LBB752_144
.LBB752_159:
	s_or_b64 exec, exec, s[4:5]
                                        ; implicit-def: $vgpr23
	s_and_saveexec_b64 s[4:5], s[28:29]
	s_cbranch_execz .LBB752_145
.LBB752_160:
	global_load_dword v23, v[4:5], off offset:3328
	s_or_b64 exec, exec, s[4:5]
                                        ; implicit-def: $vgpr24
	s_and_saveexec_b64 s[4:5], s[30:31]
	s_cbranch_execnz .LBB752_146
.LBB752_161:
	s_or_b64 exec, exec, s[4:5]
                                        ; implicit-def: $vgpr25
	s_and_saveexec_b64 s[4:5], s[34:35]
	s_cbranch_execz .LBB752_163
.LBB752_162:
	global_load_dword v25, v[4:5], off offset:3840
.LBB752_163:
	s_or_b64 exec, exec, s[4:5]
	s_mov_b32 s6, 0
	s_mov_b32 s7, 0
	s_movk_i32 s8, 0x1000
	v_mov_b32_e32 v5, 0
	s_movk_i32 s9, 0x400
	s_movk_i32 s10, 0x800
	;; [unrolled: 1-line block ×3, first 2 shown]
	s_mov_b32 s12, 0
	v_mov_b32_e32 v26, v2
	s_branch .LBB752_165
.LBB752_164:                            ;   in Loop: Header=BB752_165 Depth=1
	s_or_b64 exec, exec, s[4:5]
	s_addk_i32 s12, 0xc000
	s_addk_i32 s7, 0xf000
	s_add_i32 s6, s6, 16
	s_cmp_eq_u32 s12, 0xffff0000
	v_add_u32_e32 v26, 0x1000, v26
	s_barrier
	s_cbranch_scc1 .LBB752_205
.LBB752_165:                            ; =>This Inner Loop Header: Depth=1
	v_add_u32_e32 v4, s7, v10
	v_cmp_gt_u32_e32 vcc, s8, v4
	s_and_saveexec_b64 s[4:5], vcc
	s_cbranch_execz .LBB752_167
; %bb.166:                              ;   in Loop: Header=BB752_165 Depth=1
	v_add_u32_e32 v4, s12, v30
	s_waitcnt vmcnt(0)
	ds_write_b32 v4, v6
.LBB752_167:                            ;   in Loop: Header=BB752_165 Depth=1
	s_or_b64 exec, exec, s[4:5]
	v_add_u32_e32 v4, s7, v28
	v_cmp_gt_u32_e32 vcc, s8, v4
	s_and_saveexec_b64 s[4:5], vcc
	s_cbranch_execz .LBB752_169
; %bb.168:                              ;   in Loop: Header=BB752_165 Depth=1
	v_add_u32_e32 v4, s12, v33
	s_waitcnt vmcnt(0)
	ds_write_b32 v4, v7
.LBB752_169:                            ;   in Loop: Header=BB752_165 Depth=1
	s_or_b64 exec, exec, s[4:5]
	;; [unrolled: 10-line block ×16, first 2 shown]
	v_cmp_gt_u32_e32 vcc, s3, v26
	s_waitcnt lgkmcnt(0)
	s_barrier
	s_and_saveexec_b64 s[4:5], vcc
	s_cbranch_execz .LBB752_199
; %bb.198:                              ;   in Loop: Header=BB752_165 Depth=1
	scratch_load_dword v4, off, s6
	s_waitcnt vmcnt(0)
	v_lshlrev_b32_e32 v4, 2, v4
	ds_read_b32 v4, v4
	ds_read_b32 v27, v37 offset:1024
	s_waitcnt lgkmcnt(1)
	v_add_u32_e32 v4, v26, v4
	v_lshl_add_u64 v[60:61], v[4:5], 2, s[58:59]
	s_waitcnt lgkmcnt(0)
	global_store_dword v[60:61], v27, off
.LBB752_199:                            ;   in Loop: Header=BB752_165 Depth=1
	s_or_b64 exec, exec, s[4:5]
	v_add_u32_e32 v4, 0x400, v26
	v_cmp_gt_u32_e32 vcc, s3, v4
	s_and_saveexec_b64 s[4:5], vcc
	s_cbranch_execz .LBB752_201
; %bb.200:                              ;   in Loop: Header=BB752_165 Depth=1
	s_add_i32 s13, s6, 4
	scratch_load_dword v4, off, s13
	s_waitcnt vmcnt(0)
	v_lshlrev_b32_e32 v4, 2, v4
	ds_read_b32 v4, v4
	ds_read_b32 v27, v37 offset:5120
	s_waitcnt lgkmcnt(1)
	v_add3_u32 v4, v26, v4, s9
	v_lshl_add_u64 v[60:61], v[4:5], 2, s[58:59]
	s_waitcnt lgkmcnt(0)
	global_store_dword v[60:61], v27, off
.LBB752_201:                            ;   in Loop: Header=BB752_165 Depth=1
	s_or_b64 exec, exec, s[4:5]
	v_add_u32_e32 v4, 0x800, v26
	v_cmp_gt_u32_e32 vcc, s3, v4
	s_and_saveexec_b64 s[4:5], vcc
	s_cbranch_execz .LBB752_203
; %bb.202:                              ;   in Loop: Header=BB752_165 Depth=1
	s_add_i32 s13, s6, 8
	scratch_load_dword v4, off, s13
	s_waitcnt vmcnt(0)
	v_lshlrev_b32_e32 v4, 2, v4
	ds_read_b32 v4, v4
	ds_read_b32 v27, v37 offset:9216
	s_waitcnt lgkmcnt(1)
	v_add3_u32 v4, v26, v4, s10
	v_lshl_add_u64 v[60:61], v[4:5], 2, s[58:59]
	s_waitcnt lgkmcnt(0)
	global_store_dword v[60:61], v27, off
.LBB752_203:                            ;   in Loop: Header=BB752_165 Depth=1
	s_or_b64 exec, exec, s[4:5]
	v_add_u32_e32 v4, 0xc00, v26
	v_cmp_gt_u32_e32 vcc, s3, v4
	s_and_saveexec_b64 s[4:5], vcc
	s_cbranch_execz .LBB752_164
; %bb.204:                              ;   in Loop: Header=BB752_165 Depth=1
	s_add_i32 s13, s6, 12
	scratch_load_dword v4, off, s13
	s_waitcnt vmcnt(0)
	v_lshlrev_b32_e32 v4, 2, v4
	ds_read_b32 v4, v4
	ds_read_b32 v27, v37 offset:13312
	s_waitcnt lgkmcnt(1)
	v_add3_u32 v4, v26, v4, s11
	v_lshl_add_u64 v[60:61], v[4:5], 2, s[58:59]
	s_waitcnt lgkmcnt(0)
	global_store_dword v[60:61], v27, off
	s_branch .LBB752_164
.LBB752_205:
	s_add_i32 s70, s70, -1
	s_cmp_eq_u32 s33, s70
	s_cselect_b64 s[4:5], -1, 0
	s_xor_b64 s[6:7], s[36:37], -1
	s_and_b64 s[6:7], s[6:7], s[4:5]
	s_and_saveexec_b64 s[4:5], s[6:7]
	s_cbranch_execz .LBB752_207
; %bb.206:
	ds_read_b32 v4, v37
	s_waitcnt lgkmcnt(0)
	v_add3_u32 v4, v32, v34, v4
	global_store_dword v37, v4, s[62:63]
.LBB752_207:
	s_or_b64 exec, exec, s[4:5]
	s_mov_b64 s[4:5], 0
.LBB752_208:
	s_and_b64 vcc, exec, s[4:5]
	s_cbranch_vccz .LBB752_331
; %bb.209:
	s_lshl_b32 s4, s33, 14
	s_mov_b32 s5, 0
	s_lshl_b64 s[8:9], s[4:5], 2
	v_mbcnt_hi_u32_b32 v10, -1, v3
	s_add_u32 s4, s52, s8
	v_and_b32_e32 v3, 63, v10
	s_waitcnt vmcnt(0)
	v_and_b32_e32 v6, 0x3c00, v1
	v_mov_b32_e32 v1, 0
	s_addc_u32 s5, s53, s9
	v_lshlrev_b32_e32 v4, 2, v3
	v_mov_b32_e32 v5, v1
	v_lshl_add_u64 v[8:9], s[4:5], 0, v[4:5]
	v_lshlrev_b32_e32 v6, 2, v6
	v_mov_b32_e32 v7, v1
	v_lshl_add_u64 v[8:9], v[8:9], 0, v[6:7]
	global_load_dword v3, v[8:9], off
	s_load_dword s3, s[0:1], 0x64
	s_load_dword s12, s[0:1], 0x58
	s_add_u32 s0, s0, 0x58
	s_addc_u32 s1, s1, 0
	v_mul_u32_u24_e32 v11, 20, v2
	s_waitcnt lgkmcnt(0)
	s_lshr_b32 s3, s3, 16
	s_cmp_lt_u32 s2, s12
	s_cselect_b32 s2, 12, 18
	s_add_u32 s0, s0, s2
	s_addc_u32 s1, s1, 0
	global_load_ushort v25, v1, s[0:1]
	ds_write2_b32 v11, v1, v1 offset0:16 offset1:17
	ds_write2_b32 v11, v1, v1 offset0:18 offset1:19
	ds_write_b32 v11, v1 offset:80
	global_load_dword v5, v[8:9], off offset:256
	global_load_dword v7, v[8:9], off offset:512
	;; [unrolled: 1-line block ×15, first 2 shown]
	v_bfe_u32 v27, v0, 10, 10
	v_bfe_u32 v0, v0, 20, 10
	v_mad_u32_u24 v32, v0, s3, v27
	s_lshl_b32 s0, -1, s65
	v_mov_b32_e32 v26, v1
	v_mov_b32_e32 v28, v1
	s_not_b32 s13, s0
	v_mov_b32_e32 v30, v1
	s_movk_i32 s6, 0x44
	s_waitcnt lgkmcnt(0)
	s_barrier
	s_waitcnt vmcnt(16)
	; wave barrier
	v_lshrrev_b32_e32 v0, s64, v3
	v_bitop3_b32 v33, v0, s0, v0 bitop3:0x30
	v_and_b32_e32 v0, 1, v33
	v_lshlrev_b32_e32 v27, 30, v33
	v_lshlrev_b32_e32 v29, 29, v33
	v_lshl_add_u64 v[8:9], v[0:1], 0, -1
	v_cmp_ne_u32_e32 vcc, 0, v0
	v_not_b32_e32 v0, v27
	v_lshlrev_b32_e32 v31, 28, v33
	v_cmp_gt_i64_e64 s[0:1], 0, v[26:27]
	v_cmp_gt_i64_e64 s[2:3], 0, v[28:29]
	v_not_b32_e32 v28, v29
	v_xor_b32_e32 v9, vcc_hi, v9
	v_ashrrev_i32_e32 v0, 31, v0
	v_not_b32_e32 v29, v31
	s_waitcnt vmcnt(15)
	v_mad_u64_u32 v[26:27], s[10:11], v32, v25, v[2:3]
	v_xor_b32_e32 v8, vcc_lo, v8
	v_ashrrev_i32_e32 v25, 31, v28
	v_and_b32_e32 v9, exec_hi, v9
	v_xor_b32_e32 v28, s1, v0
	v_cmp_gt_i64_e64 s[4:5], 0, v[30:31]
	v_ashrrev_i32_e32 v27, 31, v29
	v_and_b32_e32 v8, exec_lo, v8
	v_xor_b32_e32 v0, s0, v0
	v_xor_b32_e32 v29, s3, v25
	v_and_b32_e32 v9, v9, v28
	v_xor_b32_e32 v25, s2, v25
	v_xor_b32_e32 v30, s5, v27
	v_and_b32_e32 v0, v8, v0
	v_and_b32_e32 v8, v9, v29
	;; [unrolled: 1-line block ×4, first 2 shown]
	v_lshlrev_b32_e32 v9, 27, v33
	v_mov_b32_e32 v8, v1
	v_cmp_gt_i64_e32 vcc, 0, v[8:9]
	v_not_b32_e32 v8, v9
	v_xor_b32_e32 v27, s4, v27
	v_ashrrev_i32_e32 v8, 31, v8
	v_and_b32_e32 v0, v0, v27
	v_xor_b32_e32 v9, vcc_hi, v8
	v_xor_b32_e32 v8, vcc_lo, v8
	v_and_b32_e32 v25, v25, v9
	v_and_b32_e32 v0, v0, v8
	v_lshlrev_b32_e32 v9, 26, v33
	v_mov_b32_e32 v8, v1
	v_cmp_gt_i64_e32 vcc, 0, v[8:9]
	v_not_b32_e32 v8, v9
	v_ashrrev_i32_e32 v8, 31, v8
	v_xor_b32_e32 v9, vcc_hi, v8
	v_xor_b32_e32 v8, vcc_lo, v8
	v_and_b32_e32 v25, v25, v9
	v_and_b32_e32 v0, v0, v8
	v_lshlrev_b32_e32 v9, 25, v33
	v_mov_b32_e32 v8, v1
	v_cmp_gt_i64_e32 vcc, 0, v[8:9]
	v_not_b32_e32 v8, v9
	v_ashrrev_i32_e32 v8, 31, v8
	;; [unrolled: 9-line block ×3, first 2 shown]
	v_xor_b32_e32 v9, vcc_hi, v8
	v_xor_b32_e32 v8, vcc_lo, v8
	v_and_b32_e32 v8, v0, v8
	v_lshrrev_b32_e32 v26, 4, v26
	v_and_b32_e32 v9, v25, v9
	v_mbcnt_lo_u32_b32 v0, v8, 0
	v_and_b32_e32 v36, 0xffffffc, v26
	v_mbcnt_hi_u32_b32 v26, v9, v0
	v_mul_lo_u32 v34, v33, s6
	v_cmp_eq_u32_e32 vcc, 0, v26
	v_cmp_ne_u64_e64 s[0:1], 0, v[8:9]
	s_and_b64 s[2:3], s[0:1], vcc
	v_add_u32_e32 v29, v36, v34
	s_and_saveexec_b64 s[0:1], s[2:3]
; %bb.210:
	v_bcnt_u32_b32 v0, v8, 0
	v_bcnt_u32_b32 v0, v9, v0
	ds_write_b32 v29, v0 offset:64
; %bb.211:
	s_or_b64 exec, exec, s[0:1]
	s_waitcnt vmcnt(14)
	v_lshrrev_b32_e32 v0, s64, v5
	v_and_b32_e32 v27, s13, v0
	v_mul_lo_u32 v0, v27, s6
	v_add_u32_e32 v31, v36, v0
	v_and_b32_e32 v0, 1, v27
	v_lshl_add_u64 v[8:9], v[0:1], 0, -1
	v_cmp_ne_u32_e32 vcc, 0, v0
	; wave barrier
	s_nop 1
	v_xor_b32_e32 v8, vcc_lo, v8
	v_xor_b32_e32 v0, vcc_hi, v9
	v_and_b32_e32 v28, exec_lo, v8
	v_lshlrev_b32_e32 v9, 30, v27
	v_mov_b32_e32 v8, v1
	v_cmp_gt_i64_e32 vcc, 0, v[8:9]
	v_not_b32_e32 v8, v9
	v_ashrrev_i32_e32 v8, 31, v8
	v_and_b32_e32 v0, exec_hi, v0
	v_xor_b32_e32 v9, vcc_hi, v8
	v_xor_b32_e32 v8, vcc_lo, v8
	v_and_b32_e32 v0, v0, v9
	v_and_b32_e32 v28, v28, v8
	v_lshlrev_b32_e32 v9, 29, v27
	v_mov_b32_e32 v8, v1
	v_cmp_gt_i64_e32 vcc, 0, v[8:9]
	v_not_b32_e32 v8, v9
	v_ashrrev_i32_e32 v8, 31, v8
	v_xor_b32_e32 v9, vcc_hi, v8
	v_xor_b32_e32 v8, vcc_lo, v8
	v_and_b32_e32 v0, v0, v9
	v_and_b32_e32 v28, v28, v8
	v_lshlrev_b32_e32 v9, 28, v27
	v_mov_b32_e32 v8, v1
	v_cmp_gt_i64_e32 vcc, 0, v[8:9]
	v_not_b32_e32 v8, v9
	v_ashrrev_i32_e32 v8, 31, v8
	;; [unrolled: 9-line block ×5, first 2 shown]
	v_xor_b32_e32 v9, vcc_hi, v8
	v_xor_b32_e32 v8, vcc_lo, v8
	v_and_b32_e32 v0, v0, v9
	v_lshlrev_b32_e32 v9, 24, v27
	v_and_b32_e32 v28, v28, v8
	v_mov_b32_e32 v8, v1
	v_not_b32_e32 v1, v9
	v_cmp_gt_i64_e32 vcc, 0, v[8:9]
	v_ashrrev_i32_e32 v1, 31, v1
	ds_read_b32 v25, v31 offset:64
	v_xor_b32_e32 v8, vcc_hi, v1
	v_xor_b32_e32 v9, vcc_lo, v1
	v_and_b32_e32 v1, v0, v8
	v_and_b32_e32 v0, v28, v9
	v_mbcnt_lo_u32_b32 v8, v0, 0
	v_mbcnt_hi_u32_b32 v27, v1, v8
	v_cmp_eq_u32_e32 vcc, 0, v27
	v_cmp_ne_u64_e64 s[0:1], 0, v[0:1]
	s_and_b64 s[2:3], s[0:1], vcc
	; wave barrier
	s_and_saveexec_b64 s[0:1], s[2:3]
	s_cbranch_execz .LBB752_213
; %bb.212:
	v_bcnt_u32_b32 v0, v0, 0
	v_bcnt_u32_b32 v0, v1, v0
	s_waitcnt lgkmcnt(0)
	v_add_u32_e32 v0, v25, v0
	ds_write_b32 v31, v0 offset:64
.LBB752_213:
	s_or_b64 exec, exec, s[0:1]
	s_waitcnt vmcnt(13)
	v_lshrrev_b32_e32 v0, s64, v7
	v_and_b32_e32 v30, s13, v0
	s_movk_i32 s2, 0x44
	v_mul_lo_u32 v0, v30, s2
	v_add_u32_e32 v34, v36, v0
	v_and_b32_e32 v0, 1, v30
	v_mov_b32_e32 v1, 0
	v_lshl_add_u64 v[8:9], v[0:1], 0, -1
	v_cmp_ne_u32_e32 vcc, 0, v0
	; wave barrier
	s_nop 1
	v_xor_b32_e32 v8, vcc_lo, v8
	v_xor_b32_e32 v0, vcc_hi, v9
	v_and_b32_e32 v32, exec_lo, v8
	v_lshlrev_b32_e32 v9, 30, v30
	v_mov_b32_e32 v8, v1
	v_cmp_gt_i64_e32 vcc, 0, v[8:9]
	v_not_b32_e32 v8, v9
	v_ashrrev_i32_e32 v8, 31, v8
	v_and_b32_e32 v0, exec_hi, v0
	v_xor_b32_e32 v9, vcc_hi, v8
	v_xor_b32_e32 v8, vcc_lo, v8
	v_and_b32_e32 v0, v0, v9
	v_and_b32_e32 v32, v32, v8
	v_lshlrev_b32_e32 v9, 29, v30
	v_mov_b32_e32 v8, v1
	v_cmp_gt_i64_e32 vcc, 0, v[8:9]
	v_not_b32_e32 v8, v9
	v_ashrrev_i32_e32 v8, 31, v8
	v_xor_b32_e32 v9, vcc_hi, v8
	v_xor_b32_e32 v8, vcc_lo, v8
	v_and_b32_e32 v0, v0, v9
	v_and_b32_e32 v32, v32, v8
	v_lshlrev_b32_e32 v9, 28, v30
	v_mov_b32_e32 v8, v1
	v_cmp_gt_i64_e32 vcc, 0, v[8:9]
	v_not_b32_e32 v8, v9
	v_ashrrev_i32_e32 v8, 31, v8
	;; [unrolled: 9-line block ×6, first 2 shown]
	v_xor_b32_e32 v9, vcc_hi, v8
	v_xor_b32_e32 v8, vcc_lo, v8
	ds_read_b32 v28, v34 offset:64
	v_and_b32_e32 v8, v32, v8
	v_and_b32_e32 v9, v0, v9
	v_mbcnt_lo_u32_b32 v0, v8, 0
	v_mbcnt_hi_u32_b32 v30, v9, v0
	v_cmp_eq_u32_e32 vcc, 0, v30
	v_cmp_ne_u64_e64 s[0:1], 0, v[8:9]
	s_and_b64 s[4:5], s[0:1], vcc
	; wave barrier
	s_and_saveexec_b64 s[0:1], s[4:5]
	s_cbranch_execz .LBB752_215
; %bb.214:
	v_bcnt_u32_b32 v0, v8, 0
	v_bcnt_u32_b32 v0, v9, v0
	s_waitcnt lgkmcnt(0)
	v_add_u32_e32 v0, v28, v0
	ds_write_b32 v34, v0 offset:64
.LBB752_215:
	s_or_b64 exec, exec, s[0:1]
	s_waitcnt vmcnt(12)
	v_lshrrev_b32_e32 v0, s64, v12
	v_and_b32_e32 v33, s13, v0
	v_mul_lo_u32 v0, v33, s2
	v_add_u32_e32 v38, v36, v0
	v_and_b32_e32 v0, 1, v33
	v_lshl_add_u64 v[8:9], v[0:1], 0, -1
	v_cmp_ne_u32_e32 vcc, 0, v0
	; wave barrier
	s_nop 1
	v_xor_b32_e32 v8, vcc_lo, v8
	v_xor_b32_e32 v0, vcc_hi, v9
	v_and_b32_e32 v35, exec_lo, v8
	v_lshlrev_b32_e32 v9, 30, v33
	v_mov_b32_e32 v8, v1
	v_cmp_gt_i64_e32 vcc, 0, v[8:9]
	v_not_b32_e32 v8, v9
	v_ashrrev_i32_e32 v8, 31, v8
	v_and_b32_e32 v0, exec_hi, v0
	v_xor_b32_e32 v9, vcc_hi, v8
	v_xor_b32_e32 v8, vcc_lo, v8
	v_and_b32_e32 v0, v0, v9
	v_and_b32_e32 v35, v35, v8
	v_lshlrev_b32_e32 v9, 29, v33
	v_mov_b32_e32 v8, v1
	v_cmp_gt_i64_e32 vcc, 0, v[8:9]
	v_not_b32_e32 v8, v9
	v_ashrrev_i32_e32 v8, 31, v8
	v_xor_b32_e32 v9, vcc_hi, v8
	v_xor_b32_e32 v8, vcc_lo, v8
	v_and_b32_e32 v0, v0, v9
	v_and_b32_e32 v35, v35, v8
	v_lshlrev_b32_e32 v9, 28, v33
	v_mov_b32_e32 v8, v1
	v_cmp_gt_i64_e32 vcc, 0, v[8:9]
	v_not_b32_e32 v8, v9
	v_ashrrev_i32_e32 v8, 31, v8
	;; [unrolled: 9-line block ×5, first 2 shown]
	v_xor_b32_e32 v9, vcc_hi, v8
	v_xor_b32_e32 v8, vcc_lo, v8
	v_and_b32_e32 v0, v0, v9
	v_lshlrev_b32_e32 v9, 24, v33
	v_and_b32_e32 v35, v35, v8
	v_mov_b32_e32 v8, v1
	v_not_b32_e32 v1, v9
	v_cmp_gt_i64_e32 vcc, 0, v[8:9]
	v_ashrrev_i32_e32 v1, 31, v1
	ds_read_b32 v32, v38 offset:64
	v_xor_b32_e32 v8, vcc_hi, v1
	v_xor_b32_e32 v9, vcc_lo, v1
	v_and_b32_e32 v1, v0, v8
	v_and_b32_e32 v0, v35, v9
	v_mbcnt_lo_u32_b32 v8, v0, 0
	v_mbcnt_hi_u32_b32 v33, v1, v8
	v_cmp_eq_u32_e32 vcc, 0, v33
	v_cmp_ne_u64_e64 s[0:1], 0, v[0:1]
	s_and_b64 s[2:3], s[0:1], vcc
	; wave barrier
	s_and_saveexec_b64 s[0:1], s[2:3]
	s_cbranch_execz .LBB752_217
; %bb.216:
	v_bcnt_u32_b32 v0, v0, 0
	v_bcnt_u32_b32 v0, v1, v0
	s_waitcnt lgkmcnt(0)
	v_add_u32_e32 v0, v32, v0
	ds_write_b32 v38, v0 offset:64
.LBB752_217:
	s_or_b64 exec, exec, s[0:1]
	s_waitcnt vmcnt(11)
	v_lshrrev_b32_e32 v0, s64, v13
	v_and_b32_e32 v37, s13, v0
	s_movk_i32 s2, 0x44
	v_mul_lo_u32 v0, v37, s2
	v_add_u32_e32 v41, v36, v0
	v_and_b32_e32 v0, 1, v37
	v_mov_b32_e32 v1, 0
	v_lshl_add_u64 v[8:9], v[0:1], 0, -1
	v_cmp_ne_u32_e32 vcc, 0, v0
	; wave barrier
	s_nop 1
	v_xor_b32_e32 v8, vcc_lo, v8
	v_xor_b32_e32 v0, vcc_hi, v9
	v_and_b32_e32 v39, exec_lo, v8
	v_lshlrev_b32_e32 v9, 30, v37
	v_mov_b32_e32 v8, v1
	v_cmp_gt_i64_e32 vcc, 0, v[8:9]
	v_not_b32_e32 v8, v9
	v_ashrrev_i32_e32 v8, 31, v8
	v_and_b32_e32 v0, exec_hi, v0
	v_xor_b32_e32 v9, vcc_hi, v8
	v_xor_b32_e32 v8, vcc_lo, v8
	v_and_b32_e32 v0, v0, v9
	v_and_b32_e32 v39, v39, v8
	v_lshlrev_b32_e32 v9, 29, v37
	v_mov_b32_e32 v8, v1
	v_cmp_gt_i64_e32 vcc, 0, v[8:9]
	v_not_b32_e32 v8, v9
	v_ashrrev_i32_e32 v8, 31, v8
	v_xor_b32_e32 v9, vcc_hi, v8
	v_xor_b32_e32 v8, vcc_lo, v8
	v_and_b32_e32 v0, v0, v9
	v_and_b32_e32 v39, v39, v8
	v_lshlrev_b32_e32 v9, 28, v37
	v_mov_b32_e32 v8, v1
	v_cmp_gt_i64_e32 vcc, 0, v[8:9]
	v_not_b32_e32 v8, v9
	v_ashrrev_i32_e32 v8, 31, v8
	;; [unrolled: 9-line block ×6, first 2 shown]
	v_xor_b32_e32 v9, vcc_hi, v8
	v_xor_b32_e32 v8, vcc_lo, v8
	ds_read_b32 v35, v41 offset:64
	v_and_b32_e32 v8, v39, v8
	v_and_b32_e32 v9, v0, v9
	v_mbcnt_lo_u32_b32 v0, v8, 0
	v_mbcnt_hi_u32_b32 v37, v9, v0
	v_cmp_eq_u32_e32 vcc, 0, v37
	v_cmp_ne_u64_e64 s[0:1], 0, v[8:9]
	s_and_b64 s[4:5], s[0:1], vcc
	; wave barrier
	s_and_saveexec_b64 s[0:1], s[4:5]
	s_cbranch_execz .LBB752_219
; %bb.218:
	v_bcnt_u32_b32 v0, v8, 0
	v_bcnt_u32_b32 v0, v9, v0
	s_waitcnt lgkmcnt(0)
	v_add_u32_e32 v0, v35, v0
	ds_write_b32 v41, v0 offset:64
.LBB752_219:
	s_or_b64 exec, exec, s[0:1]
	s_waitcnt vmcnt(10)
	v_lshrrev_b32_e32 v0, s64, v14
	v_and_b32_e32 v40, s13, v0
	v_mul_lo_u32 v0, v40, s2
	v_add_u32_e32 v44, v36, v0
	v_and_b32_e32 v0, 1, v40
	v_lshl_add_u64 v[8:9], v[0:1], 0, -1
	v_cmp_ne_u32_e32 vcc, 0, v0
	; wave barrier
	s_nop 1
	v_xor_b32_e32 v8, vcc_lo, v8
	v_xor_b32_e32 v0, vcc_hi, v9
	v_and_b32_e32 v42, exec_lo, v8
	v_lshlrev_b32_e32 v9, 30, v40
	v_mov_b32_e32 v8, v1
	v_cmp_gt_i64_e32 vcc, 0, v[8:9]
	v_not_b32_e32 v8, v9
	v_ashrrev_i32_e32 v8, 31, v8
	v_and_b32_e32 v0, exec_hi, v0
	v_xor_b32_e32 v9, vcc_hi, v8
	v_xor_b32_e32 v8, vcc_lo, v8
	v_and_b32_e32 v0, v0, v9
	v_and_b32_e32 v42, v42, v8
	v_lshlrev_b32_e32 v9, 29, v40
	v_mov_b32_e32 v8, v1
	v_cmp_gt_i64_e32 vcc, 0, v[8:9]
	v_not_b32_e32 v8, v9
	v_ashrrev_i32_e32 v8, 31, v8
	v_xor_b32_e32 v9, vcc_hi, v8
	v_xor_b32_e32 v8, vcc_lo, v8
	v_and_b32_e32 v0, v0, v9
	v_and_b32_e32 v42, v42, v8
	v_lshlrev_b32_e32 v9, 28, v40
	v_mov_b32_e32 v8, v1
	v_cmp_gt_i64_e32 vcc, 0, v[8:9]
	v_not_b32_e32 v8, v9
	v_ashrrev_i32_e32 v8, 31, v8
	;; [unrolled: 9-line block ×5, first 2 shown]
	v_xor_b32_e32 v9, vcc_hi, v8
	v_xor_b32_e32 v8, vcc_lo, v8
	v_and_b32_e32 v0, v0, v9
	v_lshlrev_b32_e32 v9, 24, v40
	v_and_b32_e32 v42, v42, v8
	v_mov_b32_e32 v8, v1
	v_not_b32_e32 v1, v9
	v_cmp_gt_i64_e32 vcc, 0, v[8:9]
	v_ashrrev_i32_e32 v1, 31, v1
	ds_read_b32 v39, v44 offset:64
	v_xor_b32_e32 v8, vcc_hi, v1
	v_xor_b32_e32 v9, vcc_lo, v1
	v_and_b32_e32 v1, v0, v8
	v_and_b32_e32 v0, v42, v9
	v_mbcnt_lo_u32_b32 v8, v0, 0
	v_mbcnt_hi_u32_b32 v40, v1, v8
	v_cmp_eq_u32_e32 vcc, 0, v40
	v_cmp_ne_u64_e64 s[0:1], 0, v[0:1]
	s_and_b64 s[2:3], s[0:1], vcc
	; wave barrier
	s_and_saveexec_b64 s[0:1], s[2:3]
	s_cbranch_execz .LBB752_221
; %bb.220:
	v_bcnt_u32_b32 v0, v0, 0
	v_bcnt_u32_b32 v0, v1, v0
	s_waitcnt lgkmcnt(0)
	v_add_u32_e32 v0, v39, v0
	ds_write_b32 v44, v0 offset:64
.LBB752_221:
	s_or_b64 exec, exec, s[0:1]
	s_waitcnt vmcnt(9)
	v_lshrrev_b32_e32 v0, s64, v15
	v_and_b32_e32 v43, s13, v0
	s_movk_i32 s2, 0x44
	v_mul_lo_u32 v0, v43, s2
	v_add_u32_e32 v47, v36, v0
	v_and_b32_e32 v0, 1, v43
	v_mov_b32_e32 v1, 0
	v_lshl_add_u64 v[8:9], v[0:1], 0, -1
	v_cmp_ne_u32_e32 vcc, 0, v0
	; wave barrier
	s_nop 1
	v_xor_b32_e32 v8, vcc_lo, v8
	v_xor_b32_e32 v0, vcc_hi, v9
	v_and_b32_e32 v45, exec_lo, v8
	v_lshlrev_b32_e32 v9, 30, v43
	v_mov_b32_e32 v8, v1
	v_cmp_gt_i64_e32 vcc, 0, v[8:9]
	v_not_b32_e32 v8, v9
	v_ashrrev_i32_e32 v8, 31, v8
	v_and_b32_e32 v0, exec_hi, v0
	v_xor_b32_e32 v9, vcc_hi, v8
	v_xor_b32_e32 v8, vcc_lo, v8
	v_and_b32_e32 v0, v0, v9
	v_and_b32_e32 v45, v45, v8
	v_lshlrev_b32_e32 v9, 29, v43
	v_mov_b32_e32 v8, v1
	v_cmp_gt_i64_e32 vcc, 0, v[8:9]
	v_not_b32_e32 v8, v9
	v_ashrrev_i32_e32 v8, 31, v8
	v_xor_b32_e32 v9, vcc_hi, v8
	v_xor_b32_e32 v8, vcc_lo, v8
	v_and_b32_e32 v0, v0, v9
	v_and_b32_e32 v45, v45, v8
	v_lshlrev_b32_e32 v9, 28, v43
	v_mov_b32_e32 v8, v1
	v_cmp_gt_i64_e32 vcc, 0, v[8:9]
	v_not_b32_e32 v8, v9
	v_ashrrev_i32_e32 v8, 31, v8
	;; [unrolled: 9-line block ×6, first 2 shown]
	v_xor_b32_e32 v9, vcc_hi, v8
	v_xor_b32_e32 v8, vcc_lo, v8
	ds_read_b32 v42, v47 offset:64
	v_and_b32_e32 v8, v45, v8
	v_and_b32_e32 v9, v0, v9
	v_mbcnt_lo_u32_b32 v0, v8, 0
	v_mbcnt_hi_u32_b32 v43, v9, v0
	v_cmp_eq_u32_e32 vcc, 0, v43
	v_cmp_ne_u64_e64 s[0:1], 0, v[8:9]
	s_and_b64 s[4:5], s[0:1], vcc
	; wave barrier
	s_and_saveexec_b64 s[0:1], s[4:5]
	s_cbranch_execz .LBB752_223
; %bb.222:
	v_bcnt_u32_b32 v0, v8, 0
	v_bcnt_u32_b32 v0, v9, v0
	s_waitcnt lgkmcnt(0)
	v_add_u32_e32 v0, v42, v0
	ds_write_b32 v47, v0 offset:64
.LBB752_223:
	s_or_b64 exec, exec, s[0:1]
	s_waitcnt vmcnt(8)
	v_lshrrev_b32_e32 v0, s64, v16
	v_and_b32_e32 v46, s13, v0
	v_mul_lo_u32 v0, v46, s2
	v_add_u32_e32 v49, v36, v0
	v_and_b32_e32 v0, 1, v46
	v_lshl_add_u64 v[8:9], v[0:1], 0, -1
	v_cmp_ne_u32_e32 vcc, 0, v0
	; wave barrier
	s_nop 1
	v_xor_b32_e32 v8, vcc_lo, v8
	v_xor_b32_e32 v0, vcc_hi, v9
	v_and_b32_e32 v48, exec_lo, v8
	v_lshlrev_b32_e32 v9, 30, v46
	v_mov_b32_e32 v8, v1
	v_cmp_gt_i64_e32 vcc, 0, v[8:9]
	v_not_b32_e32 v8, v9
	v_ashrrev_i32_e32 v8, 31, v8
	v_and_b32_e32 v0, exec_hi, v0
	v_xor_b32_e32 v9, vcc_hi, v8
	v_xor_b32_e32 v8, vcc_lo, v8
	v_and_b32_e32 v0, v0, v9
	v_and_b32_e32 v48, v48, v8
	v_lshlrev_b32_e32 v9, 29, v46
	v_mov_b32_e32 v8, v1
	v_cmp_gt_i64_e32 vcc, 0, v[8:9]
	v_not_b32_e32 v8, v9
	v_ashrrev_i32_e32 v8, 31, v8
	v_xor_b32_e32 v9, vcc_hi, v8
	v_xor_b32_e32 v8, vcc_lo, v8
	v_and_b32_e32 v0, v0, v9
	v_and_b32_e32 v48, v48, v8
	v_lshlrev_b32_e32 v9, 28, v46
	v_mov_b32_e32 v8, v1
	v_cmp_gt_i64_e32 vcc, 0, v[8:9]
	v_not_b32_e32 v8, v9
	v_ashrrev_i32_e32 v8, 31, v8
	;; [unrolled: 9-line block ×5, first 2 shown]
	v_xor_b32_e32 v9, vcc_hi, v8
	v_xor_b32_e32 v8, vcc_lo, v8
	v_and_b32_e32 v0, v0, v9
	v_lshlrev_b32_e32 v9, 24, v46
	v_and_b32_e32 v48, v48, v8
	v_mov_b32_e32 v8, v1
	v_not_b32_e32 v1, v9
	v_cmp_gt_i64_e32 vcc, 0, v[8:9]
	v_ashrrev_i32_e32 v1, 31, v1
	ds_read_b32 v45, v49 offset:64
	v_xor_b32_e32 v8, vcc_hi, v1
	v_xor_b32_e32 v9, vcc_lo, v1
	v_and_b32_e32 v1, v0, v8
	v_and_b32_e32 v0, v48, v9
	v_mbcnt_lo_u32_b32 v8, v0, 0
	v_mbcnt_hi_u32_b32 v46, v1, v8
	v_cmp_eq_u32_e32 vcc, 0, v46
	v_cmp_ne_u64_e64 s[0:1], 0, v[0:1]
	s_and_b64 s[2:3], s[0:1], vcc
	; wave barrier
	s_and_saveexec_b64 s[0:1], s[2:3]
	s_cbranch_execz .LBB752_225
; %bb.224:
	v_bcnt_u32_b32 v0, v0, 0
	v_bcnt_u32_b32 v0, v1, v0
	s_waitcnt lgkmcnt(0)
	v_add_u32_e32 v0, v45, v0
	ds_write_b32 v49, v0 offset:64
.LBB752_225:
	s_or_b64 exec, exec, s[0:1]
	s_waitcnt vmcnt(7)
	v_lshrrev_b32_e32 v0, s64, v17
	v_and_b32_e32 v50, s13, v0
	s_movk_i32 s2, 0x44
	v_mul_lo_u32 v0, v50, s2
	v_add_u32_e32 v52, v36, v0
	v_and_b32_e32 v0, 1, v50
	v_mov_b32_e32 v1, 0
	v_lshl_add_u64 v[8:9], v[0:1], 0, -1
	v_cmp_ne_u32_e32 vcc, 0, v0
	; wave barrier
	s_nop 1
	v_xor_b32_e32 v8, vcc_lo, v8
	v_xor_b32_e32 v0, vcc_hi, v9
	v_and_b32_e32 v51, exec_lo, v8
	v_lshlrev_b32_e32 v9, 30, v50
	v_mov_b32_e32 v8, v1
	v_cmp_gt_i64_e32 vcc, 0, v[8:9]
	v_not_b32_e32 v8, v9
	v_ashrrev_i32_e32 v8, 31, v8
	v_and_b32_e32 v0, exec_hi, v0
	v_xor_b32_e32 v9, vcc_hi, v8
	v_xor_b32_e32 v8, vcc_lo, v8
	v_and_b32_e32 v0, v0, v9
	v_and_b32_e32 v51, v51, v8
	v_lshlrev_b32_e32 v9, 29, v50
	v_mov_b32_e32 v8, v1
	v_cmp_gt_i64_e32 vcc, 0, v[8:9]
	v_not_b32_e32 v8, v9
	v_ashrrev_i32_e32 v8, 31, v8
	v_xor_b32_e32 v9, vcc_hi, v8
	v_xor_b32_e32 v8, vcc_lo, v8
	v_and_b32_e32 v0, v0, v9
	v_and_b32_e32 v51, v51, v8
	v_lshlrev_b32_e32 v9, 28, v50
	v_mov_b32_e32 v8, v1
	v_cmp_gt_i64_e32 vcc, 0, v[8:9]
	v_not_b32_e32 v8, v9
	v_ashrrev_i32_e32 v8, 31, v8
	;; [unrolled: 9-line block ×6, first 2 shown]
	v_xor_b32_e32 v9, vcc_hi, v8
	v_xor_b32_e32 v8, vcc_lo, v8
	ds_read_b32 v48, v52 offset:64
	v_and_b32_e32 v8, v51, v8
	v_and_b32_e32 v9, v0, v9
	v_mbcnt_lo_u32_b32 v0, v8, 0
	v_mbcnt_hi_u32_b32 v50, v9, v0
	v_cmp_eq_u32_e32 vcc, 0, v50
	v_cmp_ne_u64_e64 s[0:1], 0, v[8:9]
	s_and_b64 s[4:5], s[0:1], vcc
	; wave barrier
	s_and_saveexec_b64 s[0:1], s[4:5]
	s_cbranch_execz .LBB752_227
; %bb.226:
	v_bcnt_u32_b32 v0, v8, 0
	v_bcnt_u32_b32 v0, v9, v0
	s_waitcnt lgkmcnt(0)
	v_add_u32_e32 v0, v48, v0
	ds_write_b32 v52, v0 offset:64
.LBB752_227:
	s_or_b64 exec, exec, s[0:1]
	s_waitcnt vmcnt(6)
	v_lshrrev_b32_e32 v0, s64, v18
	v_and_b32_e32 v53, s13, v0
	v_mul_lo_u32 v0, v53, s2
	v_add_u32_e32 v55, v36, v0
	v_and_b32_e32 v0, 1, v53
	v_lshl_add_u64 v[8:9], v[0:1], 0, -1
	v_cmp_ne_u32_e32 vcc, 0, v0
	; wave barrier
	s_nop 1
	v_xor_b32_e32 v8, vcc_lo, v8
	v_xor_b32_e32 v0, vcc_hi, v9
	v_and_b32_e32 v54, exec_lo, v8
	v_lshlrev_b32_e32 v9, 30, v53
	v_mov_b32_e32 v8, v1
	v_cmp_gt_i64_e32 vcc, 0, v[8:9]
	v_not_b32_e32 v8, v9
	v_ashrrev_i32_e32 v8, 31, v8
	v_and_b32_e32 v0, exec_hi, v0
	v_xor_b32_e32 v9, vcc_hi, v8
	v_xor_b32_e32 v8, vcc_lo, v8
	v_and_b32_e32 v0, v0, v9
	v_and_b32_e32 v54, v54, v8
	v_lshlrev_b32_e32 v9, 29, v53
	v_mov_b32_e32 v8, v1
	v_cmp_gt_i64_e32 vcc, 0, v[8:9]
	v_not_b32_e32 v8, v9
	v_ashrrev_i32_e32 v8, 31, v8
	v_xor_b32_e32 v9, vcc_hi, v8
	v_xor_b32_e32 v8, vcc_lo, v8
	v_and_b32_e32 v0, v0, v9
	v_and_b32_e32 v54, v54, v8
	v_lshlrev_b32_e32 v9, 28, v53
	v_mov_b32_e32 v8, v1
	v_cmp_gt_i64_e32 vcc, 0, v[8:9]
	v_not_b32_e32 v8, v9
	v_ashrrev_i32_e32 v8, 31, v8
	;; [unrolled: 9-line block ×5, first 2 shown]
	v_xor_b32_e32 v9, vcc_hi, v8
	v_xor_b32_e32 v8, vcc_lo, v8
	v_and_b32_e32 v0, v0, v9
	v_lshlrev_b32_e32 v9, 24, v53
	v_and_b32_e32 v54, v54, v8
	v_mov_b32_e32 v8, v1
	v_not_b32_e32 v1, v9
	v_cmp_gt_i64_e32 vcc, 0, v[8:9]
	v_ashrrev_i32_e32 v1, 31, v1
	ds_read_b32 v51, v55 offset:64
	v_xor_b32_e32 v8, vcc_hi, v1
	v_xor_b32_e32 v9, vcc_lo, v1
	v_and_b32_e32 v1, v0, v8
	v_and_b32_e32 v0, v54, v9
	v_mbcnt_lo_u32_b32 v8, v0, 0
	v_mbcnt_hi_u32_b32 v53, v1, v8
	v_cmp_eq_u32_e32 vcc, 0, v53
	v_cmp_ne_u64_e64 s[0:1], 0, v[0:1]
	s_and_b64 s[2:3], s[0:1], vcc
	; wave barrier
	s_and_saveexec_b64 s[0:1], s[2:3]
	s_cbranch_execz .LBB752_229
; %bb.228:
	v_bcnt_u32_b32 v0, v0, 0
	v_bcnt_u32_b32 v0, v1, v0
	s_waitcnt lgkmcnt(0)
	v_add_u32_e32 v0, v51, v0
	ds_write_b32 v55, v0 offset:64
.LBB752_229:
	s_or_b64 exec, exec, s[0:1]
	s_waitcnt vmcnt(5)
	v_lshrrev_b32_e32 v0, s64, v19
	v_and_b32_e32 v56, s13, v0
	s_movk_i32 s2, 0x44
	v_mul_lo_u32 v0, v56, s2
	v_add_u32_e32 v58, v36, v0
	v_and_b32_e32 v0, 1, v56
	v_mov_b32_e32 v1, 0
	v_lshl_add_u64 v[8:9], v[0:1], 0, -1
	v_cmp_ne_u32_e32 vcc, 0, v0
	; wave barrier
	s_nop 1
	v_xor_b32_e32 v8, vcc_lo, v8
	v_xor_b32_e32 v0, vcc_hi, v9
	v_and_b32_e32 v57, exec_lo, v8
	v_lshlrev_b32_e32 v9, 30, v56
	v_mov_b32_e32 v8, v1
	v_cmp_gt_i64_e32 vcc, 0, v[8:9]
	v_not_b32_e32 v8, v9
	v_ashrrev_i32_e32 v8, 31, v8
	v_and_b32_e32 v0, exec_hi, v0
	v_xor_b32_e32 v9, vcc_hi, v8
	v_xor_b32_e32 v8, vcc_lo, v8
	v_and_b32_e32 v0, v0, v9
	v_and_b32_e32 v57, v57, v8
	v_lshlrev_b32_e32 v9, 29, v56
	v_mov_b32_e32 v8, v1
	v_cmp_gt_i64_e32 vcc, 0, v[8:9]
	v_not_b32_e32 v8, v9
	v_ashrrev_i32_e32 v8, 31, v8
	v_xor_b32_e32 v9, vcc_hi, v8
	v_xor_b32_e32 v8, vcc_lo, v8
	v_and_b32_e32 v0, v0, v9
	v_and_b32_e32 v57, v57, v8
	v_lshlrev_b32_e32 v9, 28, v56
	v_mov_b32_e32 v8, v1
	v_cmp_gt_i64_e32 vcc, 0, v[8:9]
	v_not_b32_e32 v8, v9
	v_ashrrev_i32_e32 v8, 31, v8
	;; [unrolled: 9-line block ×6, first 2 shown]
	v_xor_b32_e32 v9, vcc_hi, v8
	v_xor_b32_e32 v8, vcc_lo, v8
	ds_read_b32 v54, v58 offset:64
	v_and_b32_e32 v8, v57, v8
	v_and_b32_e32 v9, v0, v9
	v_mbcnt_lo_u32_b32 v0, v8, 0
	v_mbcnt_hi_u32_b32 v56, v9, v0
	v_cmp_eq_u32_e32 vcc, 0, v56
	v_cmp_ne_u64_e64 s[0:1], 0, v[8:9]
	s_and_b64 s[4:5], s[0:1], vcc
	; wave barrier
	s_and_saveexec_b64 s[0:1], s[4:5]
	s_cbranch_execz .LBB752_231
; %bb.230:
	v_bcnt_u32_b32 v0, v8, 0
	v_bcnt_u32_b32 v0, v9, v0
	s_waitcnt lgkmcnt(0)
	v_add_u32_e32 v0, v54, v0
	ds_write_b32 v58, v0 offset:64
.LBB752_231:
	s_or_b64 exec, exec, s[0:1]
	s_waitcnt vmcnt(4)
	v_lshrrev_b32_e32 v0, s64, v20
	v_and_b32_e32 v59, s13, v0
	v_mul_lo_u32 v0, v59, s2
	v_add_u32_e32 v61, v36, v0
	v_and_b32_e32 v0, 1, v59
	v_lshl_add_u64 v[8:9], v[0:1], 0, -1
	v_cmp_ne_u32_e32 vcc, 0, v0
	; wave barrier
	s_nop 1
	v_xor_b32_e32 v8, vcc_lo, v8
	v_xor_b32_e32 v0, vcc_hi, v9
	v_and_b32_e32 v60, exec_lo, v8
	v_lshlrev_b32_e32 v9, 30, v59
	v_mov_b32_e32 v8, v1
	v_cmp_gt_i64_e32 vcc, 0, v[8:9]
	v_not_b32_e32 v8, v9
	v_ashrrev_i32_e32 v8, 31, v8
	v_and_b32_e32 v0, exec_hi, v0
	v_xor_b32_e32 v9, vcc_hi, v8
	v_xor_b32_e32 v8, vcc_lo, v8
	v_and_b32_e32 v0, v0, v9
	v_and_b32_e32 v60, v60, v8
	v_lshlrev_b32_e32 v9, 29, v59
	v_mov_b32_e32 v8, v1
	v_cmp_gt_i64_e32 vcc, 0, v[8:9]
	v_not_b32_e32 v8, v9
	v_ashrrev_i32_e32 v8, 31, v8
	v_xor_b32_e32 v9, vcc_hi, v8
	v_xor_b32_e32 v8, vcc_lo, v8
	v_and_b32_e32 v0, v0, v9
	v_and_b32_e32 v60, v60, v8
	v_lshlrev_b32_e32 v9, 28, v59
	v_mov_b32_e32 v8, v1
	v_cmp_gt_i64_e32 vcc, 0, v[8:9]
	v_not_b32_e32 v8, v9
	v_ashrrev_i32_e32 v8, 31, v8
	;; [unrolled: 9-line block ×5, first 2 shown]
	v_xor_b32_e32 v9, vcc_hi, v8
	v_xor_b32_e32 v8, vcc_lo, v8
	v_and_b32_e32 v0, v0, v9
	v_lshlrev_b32_e32 v9, 24, v59
	v_and_b32_e32 v60, v60, v8
	v_mov_b32_e32 v8, v1
	v_not_b32_e32 v1, v9
	v_cmp_gt_i64_e32 vcc, 0, v[8:9]
	v_ashrrev_i32_e32 v1, 31, v1
	ds_read_b32 v57, v61 offset:64
	v_xor_b32_e32 v8, vcc_hi, v1
	v_xor_b32_e32 v9, vcc_lo, v1
	v_and_b32_e32 v1, v0, v8
	v_and_b32_e32 v0, v60, v9
	v_mbcnt_lo_u32_b32 v8, v0, 0
	v_mbcnt_hi_u32_b32 v59, v1, v8
	v_cmp_eq_u32_e32 vcc, 0, v59
	v_cmp_ne_u64_e64 s[0:1], 0, v[0:1]
	s_and_b64 s[2:3], s[0:1], vcc
	; wave barrier
	s_and_saveexec_b64 s[0:1], s[2:3]
	s_cbranch_execz .LBB752_233
; %bb.232:
	v_bcnt_u32_b32 v0, v0, 0
	v_bcnt_u32_b32 v0, v1, v0
	s_waitcnt lgkmcnt(0)
	v_add_u32_e32 v0, v57, v0
	ds_write_b32 v61, v0 offset:64
.LBB752_233:
	s_or_b64 exec, exec, s[0:1]
	s_waitcnt vmcnt(3)
	v_lshrrev_b32_e32 v0, s64, v21
	v_and_b32_e32 v62, s13, v0
	s_movk_i32 s2, 0x44
	v_mul_lo_u32 v0, v62, s2
	v_add_u32_e32 v64, v36, v0
	v_and_b32_e32 v0, 1, v62
	v_mov_b32_e32 v1, 0
	v_lshl_add_u64 v[8:9], v[0:1], 0, -1
	v_cmp_ne_u32_e32 vcc, 0, v0
	; wave barrier
	s_nop 1
	v_xor_b32_e32 v8, vcc_lo, v8
	v_xor_b32_e32 v0, vcc_hi, v9
	v_and_b32_e32 v63, exec_lo, v8
	v_lshlrev_b32_e32 v9, 30, v62
	v_mov_b32_e32 v8, v1
	v_cmp_gt_i64_e32 vcc, 0, v[8:9]
	v_not_b32_e32 v8, v9
	v_ashrrev_i32_e32 v8, 31, v8
	v_and_b32_e32 v0, exec_hi, v0
	v_xor_b32_e32 v9, vcc_hi, v8
	v_xor_b32_e32 v8, vcc_lo, v8
	v_and_b32_e32 v0, v0, v9
	v_and_b32_e32 v63, v63, v8
	v_lshlrev_b32_e32 v9, 29, v62
	v_mov_b32_e32 v8, v1
	v_cmp_gt_i64_e32 vcc, 0, v[8:9]
	v_not_b32_e32 v8, v9
	v_ashrrev_i32_e32 v8, 31, v8
	v_xor_b32_e32 v9, vcc_hi, v8
	v_xor_b32_e32 v8, vcc_lo, v8
	v_and_b32_e32 v0, v0, v9
	v_and_b32_e32 v63, v63, v8
	v_lshlrev_b32_e32 v9, 28, v62
	v_mov_b32_e32 v8, v1
	v_cmp_gt_i64_e32 vcc, 0, v[8:9]
	v_not_b32_e32 v8, v9
	v_ashrrev_i32_e32 v8, 31, v8
	;; [unrolled: 9-line block ×6, first 2 shown]
	v_xor_b32_e32 v9, vcc_hi, v8
	v_xor_b32_e32 v8, vcc_lo, v8
	ds_read_b32 v60, v64 offset:64
	v_and_b32_e32 v8, v63, v8
	v_and_b32_e32 v9, v0, v9
	v_mbcnt_lo_u32_b32 v0, v8, 0
	v_mbcnt_hi_u32_b32 v62, v9, v0
	v_cmp_eq_u32_e32 vcc, 0, v62
	v_cmp_ne_u64_e64 s[0:1], 0, v[8:9]
	s_and_b64 s[4:5], s[0:1], vcc
	; wave barrier
	s_and_saveexec_b64 s[0:1], s[4:5]
	s_cbranch_execz .LBB752_235
; %bb.234:
	v_bcnt_u32_b32 v0, v8, 0
	v_bcnt_u32_b32 v0, v9, v0
	s_waitcnt lgkmcnt(0)
	v_add_u32_e32 v0, v60, v0
	ds_write_b32 v64, v0 offset:64
.LBB752_235:
	s_or_b64 exec, exec, s[0:1]
	s_waitcnt vmcnt(2)
	v_lshrrev_b32_e32 v0, s64, v22
	v_and_b32_e32 v65, s13, v0
	v_mul_lo_u32 v0, v65, s2
	v_add_u32_e32 v67, v36, v0
	v_and_b32_e32 v0, 1, v65
	v_lshl_add_u64 v[8:9], v[0:1], 0, -1
	v_cmp_ne_u32_e32 vcc, 0, v0
	; wave barrier
	s_nop 1
	v_xor_b32_e32 v8, vcc_lo, v8
	v_xor_b32_e32 v0, vcc_hi, v9
	v_and_b32_e32 v66, exec_lo, v8
	v_lshlrev_b32_e32 v9, 30, v65
	v_mov_b32_e32 v8, v1
	v_cmp_gt_i64_e32 vcc, 0, v[8:9]
	v_not_b32_e32 v8, v9
	v_ashrrev_i32_e32 v8, 31, v8
	v_and_b32_e32 v0, exec_hi, v0
	v_xor_b32_e32 v9, vcc_hi, v8
	v_xor_b32_e32 v8, vcc_lo, v8
	v_and_b32_e32 v0, v0, v9
	v_and_b32_e32 v66, v66, v8
	v_lshlrev_b32_e32 v9, 29, v65
	v_mov_b32_e32 v8, v1
	v_cmp_gt_i64_e32 vcc, 0, v[8:9]
	v_not_b32_e32 v8, v9
	v_ashrrev_i32_e32 v8, 31, v8
	v_xor_b32_e32 v9, vcc_hi, v8
	v_xor_b32_e32 v8, vcc_lo, v8
	v_and_b32_e32 v0, v0, v9
	v_and_b32_e32 v66, v66, v8
	v_lshlrev_b32_e32 v9, 28, v65
	v_mov_b32_e32 v8, v1
	v_cmp_gt_i64_e32 vcc, 0, v[8:9]
	v_not_b32_e32 v8, v9
	v_ashrrev_i32_e32 v8, 31, v8
	v_xor_b32_e32 v9, vcc_hi, v8
	v_xor_b32_e32 v8, vcc_lo, v8
	v_and_b32_e32 v0, v0, v9
	v_and_b32_e32 v66, v66, v8
	v_lshlrev_b32_e32 v9, 27, v65
	v_mov_b32_e32 v8, v1
	v_cmp_gt_i64_e32 vcc, 0, v[8:9]
	v_not_b32_e32 v8, v9
	v_ashrrev_i32_e32 v8, 31, v8
	v_xor_b32_e32 v9, vcc_hi, v8
	v_xor_b32_e32 v8, vcc_lo, v8
	v_and_b32_e32 v0, v0, v9
	v_and_b32_e32 v66, v66, v8
	v_lshlrev_b32_e32 v9, 26, v65
	v_mov_b32_e32 v8, v1
	v_cmp_gt_i64_e32 vcc, 0, v[8:9]
	v_not_b32_e32 v8, v9
	v_ashrrev_i32_e32 v8, 31, v8
	v_xor_b32_e32 v9, vcc_hi, v8
	v_xor_b32_e32 v8, vcc_lo, v8
	v_and_b32_e32 v0, v0, v9
	v_and_b32_e32 v66, v66, v8
	v_lshlrev_b32_e32 v9, 25, v65
	v_mov_b32_e32 v8, v1
	v_cmp_gt_i64_e32 vcc, 0, v[8:9]
	v_not_b32_e32 v8, v9
	v_ashrrev_i32_e32 v8, 31, v8
	v_xor_b32_e32 v9, vcc_hi, v8
	v_xor_b32_e32 v8, vcc_lo, v8
	v_and_b32_e32 v0, v0, v9
	v_lshlrev_b32_e32 v9, 24, v65
	v_and_b32_e32 v66, v66, v8
	v_mov_b32_e32 v8, v1
	v_not_b32_e32 v1, v9
	v_cmp_gt_i64_e32 vcc, 0, v[8:9]
	v_ashrrev_i32_e32 v1, 31, v1
	ds_read_b32 v63, v67 offset:64
	v_xor_b32_e32 v8, vcc_hi, v1
	v_xor_b32_e32 v9, vcc_lo, v1
	v_and_b32_e32 v1, v0, v8
	v_and_b32_e32 v0, v66, v9
	v_mbcnt_lo_u32_b32 v8, v0, 0
	v_mbcnt_hi_u32_b32 v65, v1, v8
	v_cmp_eq_u32_e32 vcc, 0, v65
	v_cmp_ne_u64_e64 s[0:1], 0, v[0:1]
	s_and_b64 s[2:3], s[0:1], vcc
	; wave barrier
	s_and_saveexec_b64 s[0:1], s[2:3]
	s_cbranch_execz .LBB752_237
; %bb.236:
	v_bcnt_u32_b32 v0, v0, 0
	v_bcnt_u32_b32 v0, v1, v0
	s_waitcnt lgkmcnt(0)
	v_add_u32_e32 v0, v63, v0
	ds_write_b32 v67, v0 offset:64
.LBB752_237:
	s_or_b64 exec, exec, s[0:1]
	s_waitcnt vmcnt(1)
	v_lshrrev_b32_e32 v0, s64, v23
	v_and_b32_e32 v68, s13, v0
	s_movk_i32 s2, 0x44
	v_mul_lo_u32 v0, v68, s2
	v_add_u32_e32 v70, v36, v0
	v_and_b32_e32 v0, 1, v68
	v_mov_b32_e32 v1, 0
	v_lshl_add_u64 v[8:9], v[0:1], 0, -1
	v_cmp_ne_u32_e32 vcc, 0, v0
	; wave barrier
	s_nop 1
	v_xor_b32_e32 v8, vcc_lo, v8
	v_xor_b32_e32 v0, vcc_hi, v9
	v_and_b32_e32 v69, exec_lo, v8
	v_lshlrev_b32_e32 v9, 30, v68
	v_mov_b32_e32 v8, v1
	v_cmp_gt_i64_e32 vcc, 0, v[8:9]
	v_not_b32_e32 v8, v9
	v_ashrrev_i32_e32 v8, 31, v8
	v_and_b32_e32 v0, exec_hi, v0
	v_xor_b32_e32 v9, vcc_hi, v8
	v_xor_b32_e32 v8, vcc_lo, v8
	v_and_b32_e32 v0, v0, v9
	v_and_b32_e32 v69, v69, v8
	v_lshlrev_b32_e32 v9, 29, v68
	v_mov_b32_e32 v8, v1
	v_cmp_gt_i64_e32 vcc, 0, v[8:9]
	v_not_b32_e32 v8, v9
	v_ashrrev_i32_e32 v8, 31, v8
	v_xor_b32_e32 v9, vcc_hi, v8
	v_xor_b32_e32 v8, vcc_lo, v8
	v_and_b32_e32 v0, v0, v9
	v_and_b32_e32 v69, v69, v8
	v_lshlrev_b32_e32 v9, 28, v68
	v_mov_b32_e32 v8, v1
	v_cmp_gt_i64_e32 vcc, 0, v[8:9]
	v_not_b32_e32 v8, v9
	v_ashrrev_i32_e32 v8, 31, v8
	;; [unrolled: 9-line block ×6, first 2 shown]
	v_xor_b32_e32 v9, vcc_hi, v8
	v_xor_b32_e32 v8, vcc_lo, v8
	ds_read_b32 v66, v70 offset:64
	v_and_b32_e32 v8, v69, v8
	v_and_b32_e32 v9, v0, v9
	v_mbcnt_lo_u32_b32 v0, v8, 0
	v_mbcnt_hi_u32_b32 v68, v9, v0
	v_cmp_eq_u32_e32 vcc, 0, v68
	v_cmp_ne_u64_e64 s[0:1], 0, v[8:9]
	s_and_b64 s[4:5], s[0:1], vcc
	; wave barrier
	s_and_saveexec_b64 s[0:1], s[4:5]
	s_cbranch_execz .LBB752_239
; %bb.238:
	v_bcnt_u32_b32 v0, v8, 0
	v_bcnt_u32_b32 v0, v9, v0
	s_waitcnt lgkmcnt(0)
	v_add_u32_e32 v0, v66, v0
	ds_write_b32 v70, v0 offset:64
.LBB752_239:
	s_or_b64 exec, exec, s[0:1]
	s_waitcnt vmcnt(0)
	v_lshrrev_b32_e32 v0, s64, v24
	v_and_b32_e32 v71, s13, v0
	v_mul_lo_u32 v0, v71, s2
	v_add_u32_e32 v72, v36, v0
	v_and_b32_e32 v0, 1, v71
	v_lshl_add_u64 v[8:9], v[0:1], 0, -1
	v_cmp_ne_u32_e32 vcc, 0, v0
	; wave barrier
	s_nop 1
	v_xor_b32_e32 v8, vcc_lo, v8
	v_xor_b32_e32 v0, vcc_hi, v9
	v_and_b32_e32 v36, exec_lo, v8
	v_lshlrev_b32_e32 v9, 30, v71
	v_mov_b32_e32 v8, v1
	v_cmp_gt_i64_e32 vcc, 0, v[8:9]
	v_not_b32_e32 v8, v9
	v_ashrrev_i32_e32 v8, 31, v8
	v_and_b32_e32 v0, exec_hi, v0
	v_xor_b32_e32 v9, vcc_hi, v8
	v_xor_b32_e32 v8, vcc_lo, v8
	v_and_b32_e32 v0, v0, v9
	v_and_b32_e32 v36, v36, v8
	v_lshlrev_b32_e32 v9, 29, v71
	v_mov_b32_e32 v8, v1
	v_cmp_gt_i64_e32 vcc, 0, v[8:9]
	v_not_b32_e32 v8, v9
	v_ashrrev_i32_e32 v8, 31, v8
	v_xor_b32_e32 v9, vcc_hi, v8
	v_xor_b32_e32 v8, vcc_lo, v8
	v_and_b32_e32 v0, v0, v9
	v_and_b32_e32 v36, v36, v8
	v_lshlrev_b32_e32 v9, 28, v71
	v_mov_b32_e32 v8, v1
	v_cmp_gt_i64_e32 vcc, 0, v[8:9]
	v_not_b32_e32 v8, v9
	v_ashrrev_i32_e32 v8, 31, v8
	;; [unrolled: 9-line block ×5, first 2 shown]
	v_xor_b32_e32 v9, vcc_hi, v8
	v_xor_b32_e32 v8, vcc_lo, v8
	v_and_b32_e32 v0, v0, v9
	v_lshlrev_b32_e32 v9, 24, v71
	v_and_b32_e32 v36, v36, v8
	v_mov_b32_e32 v8, v1
	v_not_b32_e32 v1, v9
	v_cmp_gt_i64_e32 vcc, 0, v[8:9]
	v_ashrrev_i32_e32 v1, 31, v1
	ds_read_b32 v69, v72 offset:64
	v_xor_b32_e32 v8, vcc_hi, v1
	v_xor_b32_e32 v9, vcc_lo, v1
	v_and_b32_e32 v1, v0, v8
	v_and_b32_e32 v0, v36, v9
	v_mbcnt_lo_u32_b32 v8, v0, 0
	v_mbcnt_hi_u32_b32 v71, v1, v8
	v_cmp_eq_u32_e32 vcc, 0, v71
	v_cmp_ne_u64_e64 s[0:1], 0, v[0:1]
	s_and_b64 s[2:3], s[0:1], vcc
	; wave barrier
	s_and_saveexec_b64 s[0:1], s[2:3]
	s_cbranch_execz .LBB752_241
; %bb.240:
	v_bcnt_u32_b32 v0, v0, 0
	v_bcnt_u32_b32 v0, v1, v0
	s_waitcnt lgkmcnt(0)
	v_add_u32_e32 v0, v69, v0
	ds_write_b32 v72, v0 offset:64
.LBB752_241:
	s_or_b64 exec, exec, s[0:1]
	; wave barrier
	s_waitcnt lgkmcnt(0)
	s_barrier
	ds_read2_b32 v[8:9], v11 offset0:16 offset1:17
	ds_read2_b32 v[0:1], v11 offset0:18 offset1:19
	ds_read_b32 v36, v11 offset:80
	v_cmp_lt_u32_e64 s[2:3], 31, v10
	s_waitcnt lgkmcnt(1)
	v_add3_u32 v73, v9, v8, v0
	s_waitcnt lgkmcnt(0)
	v_add3_u32 v36, v73, v1, v36
	v_and_b32_e32 v73, 15, v10
	v_cmp_eq_u32_e32 vcc, 0, v73
	v_mov_b32_dpp v74, v36 row_shr:1 row_mask:0xf bank_mask:0xf
	v_cmp_lt_u32_e64 s[0:1], 1, v73
	v_cndmask_b32_e64 v74, v74, 0, vcc
	v_add_u32_e32 v36, v74, v36
	v_cmp_lt_u32_e64 s[4:5], 3, v73
	v_cmp_lt_u32_e64 s[6:7], 7, v73
	v_mov_b32_dpp v74, v36 row_shr:2 row_mask:0xf bank_mask:0xf
	v_cndmask_b32_e64 v74, 0, v74, s[0:1]
	v_add_u32_e32 v36, v36, v74
	s_nop 1
	v_mov_b32_dpp v74, v36 row_shr:4 row_mask:0xf bank_mask:0xf
	v_cndmask_b32_e64 v74, 0, v74, s[4:5]
	v_add_u32_e32 v36, v36, v74
	s_nop 1
	v_mov_b32_dpp v74, v36 row_shr:8 row_mask:0xf bank_mask:0xf
	v_cndmask_b32_e64 v73, 0, v74, s[6:7]
	v_add_u32_e32 v36, v36, v73
	v_bfe_i32 v74, v10, 4, 1
	s_nop 0
	v_mov_b32_dpp v73, v36 row_bcast:15 row_mask:0xf bank_mask:0xf
	v_and_b32_e32 v73, v74, v73
	v_add_u32_e32 v36, v36, v73
	v_lshrrev_b32_e32 v74, 6, v2
	s_nop 0
	v_mov_b32_dpp v73, v36 row_bcast:31 row_mask:0xf bank_mask:0xf
	v_cndmask_b32_e64 v73, 0, v73, s[2:3]
	v_add_u32_e32 v73, v36, v73
	v_and_b32_e32 v36, 63, v2
	v_cmp_eq_u32_e64 s[2:3], 63, v36
	s_and_saveexec_b64 s[10:11], s[2:3]
; %bb.242:
	v_lshlrev_b32_e32 v36, 2, v74
	ds_write_b32 v36, v73
; %bb.243:
	s_or_b64 exec, exec, s[10:11]
	v_cmp_gt_u32_e64 s[2:3], 16, v2
	v_lshlrev_b32_e32 v36, 2, v2
	s_waitcnt lgkmcnt(0)
	s_barrier
	s_and_saveexec_b64 s[10:11], s[2:3]
	s_cbranch_execz .LBB752_245
; %bb.244:
	ds_read_b32 v75, v36
	s_waitcnt lgkmcnt(0)
	s_nop 0
	v_mov_b32_dpp v76, v75 row_shr:1 row_mask:0xf bank_mask:0xf
	v_cndmask_b32_e64 v76, v76, 0, vcc
	v_add_u32_e32 v75, v76, v75
	s_nop 1
	v_mov_b32_dpp v76, v75 row_shr:2 row_mask:0xf bank_mask:0xf
	v_cndmask_b32_e64 v76, 0, v76, s[0:1]
	v_add_u32_e32 v75, v75, v76
	s_nop 1
	v_mov_b32_dpp v76, v75 row_shr:4 row_mask:0xf bank_mask:0xf
	v_cndmask_b32_e64 v76, 0, v76, s[4:5]
	v_add_u32_e32 v75, v75, v76
	s_nop 1
	v_mov_b32_dpp v76, v75 row_shr:8 row_mask:0xf bank_mask:0xf
	v_cndmask_b32_e64 v76, 0, v76, s[6:7]
	v_add_u32_e32 v75, v75, v76
	ds_write_b32 v36, v75
.LBB752_245:
	s_or_b64 exec, exec, s[10:11]
	v_cmp_lt_u32_e32 vcc, 63, v2
	v_mov_b32_e32 v75, 0
	s_waitcnt lgkmcnt(0)
	s_barrier
	s_and_saveexec_b64 s[0:1], vcc
; %bb.246:
	v_lshl_add_u32 v74, v74, 2, -4
	ds_read_b32 v75, v74
; %bb.247:
	s_or_b64 exec, exec, s[0:1]
	v_subrev_co_u32_e32 v74, vcc, 1, v10
	v_and_b32_e32 v76, 64, v10
	v_cmp_lt_i32_e64 s[0:1], v74, v76
	s_waitcnt lgkmcnt(0)
	v_add_u32_e32 v73, v75, v73
	s_movk_i32 s2, 0x100
	v_cndmask_b32_e64 v10, v74, v10, s[0:1]
	v_lshlrev_b32_e32 v10, 2, v10
	ds_bpermute_b32 v10, v10, v73
	s_movk_i32 s0, 0xff
	s_waitcnt lgkmcnt(0)
	v_cndmask_b32_e32 v10, v10, v75, vcc
	v_cndmask_b32_e64 v10, v10, 0, s[44:45]
	v_add_u32_e32 v8, v10, v8
	v_add_u32_e32 v9, v8, v9
	;; [unrolled: 1-line block ×4, first 2 shown]
	ds_write2_b32 v11, v10, v8 offset0:16 offset1:17
	ds_write2_b32 v11, v9, v0 offset0:18 offset1:19
	ds_write_b32 v11, v1 offset:80
	s_waitcnt lgkmcnt(0)
	s_barrier
	ds_read_b32 v73, v31 offset:64
	ds_read_b32 v74, v34 offset:64
	;; [unrolled: 1-line block ×16, first 2 shown]
	v_cmp_lt_u32_e32 vcc, s0, v2
	v_cmp_gt_u32_e64 s[0:1], s2, v2
                                        ; implicit-def: $vgpr29
                                        ; implicit-def: $vgpr31
	s_and_saveexec_b64 s[4:5], s[0:1]
	s_cbranch_execz .LBB752_251
; %bb.248:
	v_mul_u32_u24_e32 v0, 0x44, v2
	ds_read_b32 v29, v0 offset:64
	v_add_u32_e32 v1, 1, v2
	v_cmp_ne_u32_e64 s[2:3], s2, v1
	v_mov_b32_e32 v0, 0x4000
	s_and_saveexec_b64 s[6:7], s[2:3]
; %bb.249:
	v_mul_u32_u24_e32 v0, 0x44, v1
	ds_read_b32 v0, v0 offset:64
; %bb.250:
	s_or_b64 exec, exec, s[6:7]
	s_waitcnt lgkmcnt(0)
	v_sub_u32_e32 v31, v0, v29
.LBB752_251:
	s_or_b64 exec, exec, s[4:5]
	v_mov_b32_e32 v1, 0
	s_waitcnt lgkmcnt(0)
	s_barrier
	s_and_saveexec_b64 s[2:3], s[0:1]
	s_cbranch_execz .LBB752_261
; %bb.252:
	v_lshl_add_u32 v0, s33, 8, v2
	v_lshl_add_u64 v[8:9], v[0:1], 2, s[68:69]
	v_or_b32_e32 v0, 2.0, v31
	s_mov_b64 s[4:5], 0
	s_brev_b32 s14, -4
	s_mov_b32 s15, s33
	v_mov_b32_e32 v52, 0
	global_store_dword v[8:9], v0, off sc1
                                        ; implicit-def: $sgpr0_sgpr1
	s_branch .LBB752_255
.LBB752_253:                            ;   in Loop: Header=BB752_255 Depth=1
	s_or_b64 exec, exec, s[10:11]
.LBB752_254:                            ;   in Loop: Header=BB752_255 Depth=1
	s_or_b64 exec, exec, s[6:7]
	v_and_b32_e32 v10, 0x3fffffff, v0
	v_add_u32_e32 v52, v10, v52
	v_cmp_gt_i32_e64 s[0:1], -2.0, v0
	s_and_b64 s[6:7], exec, s[0:1]
	s_or_b64 s[4:5], s[6:7], s[4:5]
	s_andn2_b64 exec, exec, s[4:5]
	s_cbranch_execz .LBB752_260
.LBB752_255:                            ; =>This Loop Header: Depth=1
                                        ;     Child Loop BB752_258 Depth 2
	s_or_b64 s[0:1], s[0:1], exec
	s_cmp_eq_u32 s15, 0
	s_cbranch_scc1 .LBB752_259
; %bb.256:                              ;   in Loop: Header=BB752_255 Depth=1
	s_add_i32 s15, s15, -1
	v_lshl_or_b32 v0, s15, 8, v2
	v_lshl_add_u64 v[10:11], v[0:1], 2, s[68:69]
	global_load_dword v0, v[10:11], off sc1
	s_waitcnt vmcnt(0)
	v_cmp_gt_u32_e64 s[0:1], 2.0, v0
	s_and_saveexec_b64 s[6:7], s[0:1]
	s_cbranch_execz .LBB752_254
; %bb.257:                              ;   in Loop: Header=BB752_255 Depth=1
	s_mov_b64 s[10:11], 0
.LBB752_258:                            ;   Parent Loop BB752_255 Depth=1
                                        ; =>  This Inner Loop Header: Depth=2
	global_load_dword v0, v[10:11], off sc1
	s_waitcnt vmcnt(0)
	v_cmp_lt_u32_e64 s[0:1], s14, v0
	s_or_b64 s[10:11], s[0:1], s[10:11]
	s_andn2_b64 exec, exec, s[10:11]
	s_cbranch_execnz .LBB752_258
	s_branch .LBB752_253
.LBB752_259:                            ;   in Loop: Header=BB752_255 Depth=1
                                        ; implicit-def: $sgpr15
	s_and_b64 s[6:7], exec, s[0:1]
	s_or_b64 s[4:5], s[6:7], s[4:5]
	s_andn2_b64 exec, exec, s[4:5]
	s_cbranch_execnz .LBB752_255
.LBB752_260:
	s_or_b64 exec, exec, s[4:5]
	v_add_u32_e32 v0, v52, v31
	v_or_b32_e32 v0, 0x80000000, v0
	global_store_dword v[8:9], v0, off sc1
	global_load_dword v0, v36, s[60:61]
	v_sub_u32_e32 v1, v52, v29
	s_waitcnt vmcnt(0)
	v_add_u32_e32 v0, v1, v0
	ds_write_b32 v36, v0
.LBB752_261:
	s_or_b64 exec, exec, s[2:3]
	v_add_u32_e32 v8, v47, v26
	v_add3_u32 v0, v27, v25, v73
	v_add3_u32 v1, v30, v28, v74
	;; [unrolled: 1-line block ×15, first 2 shown]
	v_mov_b32_e32 v85, 0x400
	s_mov_b32 s4, s64
	s_mov_b32 s5, s13
	s_movk_i32 s6, 0x400
	v_lshl_add_u32 v9, v9, 2, v85
	v_add3_u32 v10, v71, v41, v69
	v_lshl_add_u32 v11, v11, 2, v85
	v_add3_u32 v26, v68, v34, v66
	v_lshl_add_u32 v34, v84, 2, v85
	v_add3_u32 v38, v65, v38, v63
	v_lshl_add_u32 v41, v83, 2, v85
	v_add3_u32 v44, v62, v44, v60
	v_lshl_add_u32 v47, v47, 2, v85
	v_add3_u32 v49, v59, v49, v57
	v_lshl_add_u32 v52, v52, 2, v85
	v_add3_u32 v54, v56, v55, v54
	v_lshl_add_u32 v55, v82, 2, v85
	v_add3_u32 v51, v53, v81, v51
	v_lshl_add_u32 v53, v72, 2, v85
	v_add3_u32 v48, v50, v80, v48
	v_lshl_add_u32 v50, v70, 2, v85
	v_add3_u32 v45, v46, v79, v45
	v_lshl_add_u32 v46, v67, 2, v85
	v_add3_u32 v42, v43, v78, v42
	v_lshl_add_u32 v43, v64, 2, v85
	v_add3_u32 v39, v40, v77, v39
	v_lshl_add_u32 v40, v61, 2, v85
	v_add3_u32 v35, v37, v76, v35
	v_lshl_add_u32 v37, v58, 2, v85
	v_add3_u32 v32, v33, v75, v32
	v_lshl_add_u32 v33, v1, 2, v85
	v_add3_u32 v28, v30, v74, v28
	v_lshl_add_u32 v30, v0, 2, v85
	v_add3_u32 v25, v27, v73, v25
	v_lshl_add_u32 v27, v8, 2, v85
	s_mov_b32 s7, 0
	s_mov_b32 s10, 0
	s_movk_i32 s11, 0x1000
	v_mov_b32_e32 v1, 0
	s_movk_i32 s14, 0x800
	s_movk_i32 s15, 0xc00
	v_mov_b32_e32 v56, v2
	s_mov_b32 s16, 0
	s_branch .LBB752_263
.LBB752_262:                            ;   in Loop: Header=BB752_263 Depth=1
	s_or_b64 exec, exec, s[2:3]
	s_waitcnt lgkmcnt(0)
	s_barrier
	ds_read2st64_b32 v[62:63], v36 offset0:4 offset1:20
	ds_read2st64_b32 v[64:65], v36 offset0:36 offset1:52
	s_addk_i32 s16, 0xc000
	s_addk_i32 s10, 0xf000
	s_waitcnt lgkmcnt(1)
	v_lshrrev_b32_e32 v57, s64, v62
	v_lshrrev_b32_e32 v0, s4, v63
	v_and_b32_e32 v58, s13, v57
	v_and_b32_e32 v59, s5, v0
	v_lshlrev_b32_e32 v0, 2, v58
	ds_read_b32 v0, v0
	s_waitcnt lgkmcnt(1)
	v_lshrrev_b32_e32 v60, s4, v65
	v_lshrrev_b32_e32 v66, s64, v64
	v_lshlrev_b32_e32 v57, 2, v59
	v_and_b32_e32 v61, s5, v60
	v_and_b32_e32 v60, s13, v66
	v_lshlrev_b32_e32 v66, 2, v60
	v_lshlrev_b32_e32 v67, 2, v61
	ds_read_b32 v57, v57
	ds_read_b32 v68, v66
	;; [unrolled: 1-line block ×3, first 2 shown]
	s_waitcnt lgkmcnt(3)
	v_add_u32_e32 v0, v56, v0
	v_lshl_add_u64 v[66:67], v[0:1], 2, s[54:55]
	s_waitcnt lgkmcnt(2)
	v_add3_u32 v0, v56, v57, s6
	global_store_dword v[66:67], v62, off
	v_lshl_add_u64 v[66:67], v[0:1], 2, s[54:55]
	s_waitcnt lgkmcnt(1)
	v_add3_u32 v0, v56, v68, s14
	global_store_dword v[66:67], v63, off
	;; [unrolled: 4-line block ×3, first 2 shown]
	v_lshl_add_u64 v[62:63], v[0:1], 2, s[54:55]
	global_store_dword v[62:63], v65, off
	scratch_store_dwordx4 off, v[58:61], s7
	s_add_i32 s7, s7, 16
	s_cmp_eq_u32 s16, 0xffff0000
	v_add_u32_e32 v56, 0x1000, v56
	s_barrier
	s_cbranch_scc1 .LBB752_295
.LBB752_263:                            ; =>This Inner Loop Header: Depth=1
	v_add_u32_e32 v0, s10, v8
	v_cmp_gt_u32_e64 s[0:1], s11, v0
	s_and_saveexec_b64 s[2:3], s[0:1]
; %bb.264:                              ;   in Loop: Header=BB752_263 Depth=1
	v_add_u32_e32 v0, s16, v27
	ds_write_b32 v0, v3
; %bb.265:                              ;   in Loop: Header=BB752_263 Depth=1
	s_or_b64 exec, exec, s[2:3]
	v_add_u32_e32 v0, s10, v25
	v_cmp_gt_u32_e64 s[0:1], s11, v0
	s_and_saveexec_b64 s[2:3], s[0:1]
; %bb.266:                              ;   in Loop: Header=BB752_263 Depth=1
	v_add_u32_e32 v0, s16, v30
	ds_write_b32 v0, v5
; %bb.267:                              ;   in Loop: Header=BB752_263 Depth=1
	s_or_b64 exec, exec, s[2:3]
	;; [unrolled: 8-line block ×15, first 2 shown]
	v_add_u32_e32 v0, s10, v10
	v_cmp_gt_u32_e64 s[0:1], s11, v0
	s_and_saveexec_b64 s[2:3], s[0:1]
	s_cbranch_execz .LBB752_262
; %bb.294:                              ;   in Loop: Header=BB752_263 Depth=1
	v_add_u32_e32 v0, s16, v9
	ds_write_b32 v0, v24
	s_branch .LBB752_262
.LBB752_295:
	s_add_u32 s0, s56, s8
	s_addc_u32 s1, s57, s9
	v_mov_b32_e32 v5, 0
	v_lshl_add_u64 v[0:1], s[0:1], 0, v[4:5]
	v_mov_b32_e32 v7, v5
	v_lshl_add_u64 v[22:23], v[0:1], 0, v[6:7]
	global_load_dword v0, v[22:23], off
	global_load_dword v1, v[22:23], off offset:256
	global_load_dword v3, v[22:23], off offset:512
	;; [unrolled: 1-line block ×14, first 2 shown]
	s_nop 0
	global_load_dword v22, v[22:23], off offset:3840
	s_mov_b32 s4, 0
	s_mov_b32 s5, 0
	s_movk_i32 s6, 0x1000
	s_movk_i32 s7, 0x400
	s_movk_i32 s8, 0x800
	s_movk_i32 s9, 0xc00
	s_mov_b32 s10, 0
	s_branch .LBB752_297
.LBB752_296:                            ;   in Loop: Header=BB752_297 Depth=1
	s_or_b64 exec, exec, s[2:3]
	s_waitcnt lgkmcnt(0)
	s_barrier
	scratch_load_dwordx4 v[56:59], off, s4
	ds_read2st64_b32 v[60:61], v36 offset0:4 offset1:20
	ds_read2st64_b32 v[62:63], v36 offset0:36 offset1:52
	s_addk_i32 s10, 0xc000
	s_addk_i32 s5, 0xf000
	s_add_i32 s4, s4, 16
	s_cmp_eq_u32 s10, 0xffff0000
	s_waitcnt vmcnt(0)
	v_lshlrev_b32_e32 v4, 2, v56
	ds_read_b32 v4, v4
	v_lshlrev_b32_e32 v23, 2, v57
	v_lshlrev_b32_e32 v24, 2, v58
	;; [unrolled: 1-line block ×3, first 2 shown]
	ds_read_b32 v23, v23
	ds_read_b32 v24, v24
	;; [unrolled: 1-line block ×3, first 2 shown]
	s_waitcnt lgkmcnt(3)
	v_add_u32_e32 v4, v2, v4
	v_lshl_add_u64 v[56:57], v[4:5], 2, s[58:59]
	s_waitcnt lgkmcnt(2)
	v_add3_u32 v4, v2, v23, s7
	global_store_dword v[56:57], v60, off
	v_lshl_add_u64 v[56:57], v[4:5], 2, s[58:59]
	s_waitcnt lgkmcnt(1)
	v_add3_u32 v4, v2, v24, s8
	global_store_dword v[56:57], v61, off
	;; [unrolled: 4-line block ×3, first 2 shown]
	v_lshl_add_u64 v[56:57], v[4:5], 2, s[58:59]
	v_add_u32_e32 v2, 0x1000, v2
	global_store_dword v[56:57], v63, off
	s_barrier
	s_cbranch_scc1 .LBB752_329
.LBB752_297:                            ; =>This Inner Loop Header: Depth=1
	v_add_u32_e32 v4, s5, v8
	v_cmp_gt_u32_e64 s[0:1], s6, v4
	s_and_saveexec_b64 s[2:3], s[0:1]
	s_cbranch_execz .LBB752_299
; %bb.298:                              ;   in Loop: Header=BB752_297 Depth=1
	v_add_u32_e32 v4, s10, v27
	s_waitcnt vmcnt(15)
	ds_write_b32 v4, v0
.LBB752_299:                            ;   in Loop: Header=BB752_297 Depth=1
	s_or_b64 exec, exec, s[2:3]
	v_add_u32_e32 v4, s5, v25
	v_cmp_gt_u32_e64 s[0:1], s6, v4
	s_and_saveexec_b64 s[2:3], s[0:1]
	s_cbranch_execz .LBB752_301
; %bb.300:                              ;   in Loop: Header=BB752_297 Depth=1
	v_add_u32_e32 v4, s10, v30
	s_waitcnt vmcnt(14)
	ds_write_b32 v4, v1
.LBB752_301:                            ;   in Loop: Header=BB752_297 Depth=1
	s_or_b64 exec, exec, s[2:3]
	;; [unrolled: 10-line block ×15, first 2 shown]
	v_add_u32_e32 v4, s5, v10
	v_cmp_gt_u32_e64 s[0:1], s6, v4
	s_and_saveexec_b64 s[2:3], s[0:1]
	s_cbranch_execz .LBB752_296
; %bb.328:                              ;   in Loop: Header=BB752_297 Depth=1
	v_add_u32_e32 v4, s10, v9
	s_waitcnt vmcnt(0)
	ds_write_b32 v4, v22
	s_branch .LBB752_296
.LBB752_329:
	s_add_i32 s12, s12, -1
	s_cmp_eq_u32 s33, s12
	s_cselect_b64 s[0:1], -1, 0
	s_xor_b64 s[2:3], vcc, -1
	s_and_b64 s[0:1], s[2:3], s[0:1]
	s_and_saveexec_b64 s[2:3], s[0:1]
	s_cbranch_execz .LBB752_331
; %bb.330:
	ds_read_b32 v0, v36
	s_waitcnt lgkmcnt(0)
	v_add3_u32 v0, v29, v31, v0
	global_store_dword v36, v0, s[62:63]
.LBB752_331:
	s_endpgm
	.section	.rodata,"a",@progbits
	.p2align	6, 0x0
	.amdhsa_kernel _ZN7rocprim17ROCPRIM_400000_NS6detail17trampoline_kernelINS0_14default_configENS1_35radix_sort_onesweep_config_selectorIjjEEZZNS1_29radix_sort_onesweep_iterationIS3_Lb0EN6thrust23THRUST_200600_302600_NS6detail15normal_iteratorINS8_10device_ptrIjEEEESD_SD_SD_jNS0_19identity_decomposerENS1_16block_id_wrapperIjLb1EEEEE10hipError_tT1_PNSt15iterator_traitsISI_E10value_typeET2_T3_PNSJ_ISO_E10value_typeET4_T5_PST_SU_PNS1_23onesweep_lookback_stateEbbT6_jjT7_P12ihipStream_tbENKUlT_T0_SI_SN_E_clISD_SD_SD_SD_EEDaS11_S12_SI_SN_EUlS11_E_NS1_11comp_targetILNS1_3genE6ELNS1_11target_archE950ELNS1_3gpuE13ELNS1_3repE0EEENS1_47radix_sort_onesweep_sort_config_static_selectorELNS0_4arch9wavefront6targetE1EEEvSI_
		.amdhsa_group_segment_fixed_size 20552
		.amdhsa_private_segment_fixed_size 80
		.amdhsa_kernarg_size 344
		.amdhsa_user_sgpr_count 2
		.amdhsa_user_sgpr_dispatch_ptr 0
		.amdhsa_user_sgpr_queue_ptr 0
		.amdhsa_user_sgpr_kernarg_segment_ptr 1
		.amdhsa_user_sgpr_dispatch_id 0
		.amdhsa_user_sgpr_kernarg_preload_length 0
		.amdhsa_user_sgpr_kernarg_preload_offset 0
		.amdhsa_user_sgpr_private_segment_size 0
		.amdhsa_uses_dynamic_stack 0
		.amdhsa_enable_private_segment 1
		.amdhsa_system_sgpr_workgroup_id_x 1
		.amdhsa_system_sgpr_workgroup_id_y 0
		.amdhsa_system_sgpr_workgroup_id_z 0
		.amdhsa_system_sgpr_workgroup_info 0
		.amdhsa_system_vgpr_workitem_id 2
		.amdhsa_next_free_vgpr 89
		.amdhsa_next_free_sgpr 73
		.amdhsa_accum_offset 92
		.amdhsa_reserve_vcc 1
		.amdhsa_float_round_mode_32 0
		.amdhsa_float_round_mode_16_64 0
		.amdhsa_float_denorm_mode_32 3
		.amdhsa_float_denorm_mode_16_64 3
		.amdhsa_dx10_clamp 1
		.amdhsa_ieee_mode 1
		.amdhsa_fp16_overflow 0
		.amdhsa_tg_split 0
		.amdhsa_exception_fp_ieee_invalid_op 0
		.amdhsa_exception_fp_denorm_src 0
		.amdhsa_exception_fp_ieee_div_zero 0
		.amdhsa_exception_fp_ieee_overflow 0
		.amdhsa_exception_fp_ieee_underflow 0
		.amdhsa_exception_fp_ieee_inexact 0
		.amdhsa_exception_int_div_zero 0
	.end_amdhsa_kernel
	.section	.text._ZN7rocprim17ROCPRIM_400000_NS6detail17trampoline_kernelINS0_14default_configENS1_35radix_sort_onesweep_config_selectorIjjEEZZNS1_29radix_sort_onesweep_iterationIS3_Lb0EN6thrust23THRUST_200600_302600_NS6detail15normal_iteratorINS8_10device_ptrIjEEEESD_SD_SD_jNS0_19identity_decomposerENS1_16block_id_wrapperIjLb1EEEEE10hipError_tT1_PNSt15iterator_traitsISI_E10value_typeET2_T3_PNSJ_ISO_E10value_typeET4_T5_PST_SU_PNS1_23onesweep_lookback_stateEbbT6_jjT7_P12ihipStream_tbENKUlT_T0_SI_SN_E_clISD_SD_SD_SD_EEDaS11_S12_SI_SN_EUlS11_E_NS1_11comp_targetILNS1_3genE6ELNS1_11target_archE950ELNS1_3gpuE13ELNS1_3repE0EEENS1_47radix_sort_onesweep_sort_config_static_selectorELNS0_4arch9wavefront6targetE1EEEvSI_,"axG",@progbits,_ZN7rocprim17ROCPRIM_400000_NS6detail17trampoline_kernelINS0_14default_configENS1_35radix_sort_onesweep_config_selectorIjjEEZZNS1_29radix_sort_onesweep_iterationIS3_Lb0EN6thrust23THRUST_200600_302600_NS6detail15normal_iteratorINS8_10device_ptrIjEEEESD_SD_SD_jNS0_19identity_decomposerENS1_16block_id_wrapperIjLb1EEEEE10hipError_tT1_PNSt15iterator_traitsISI_E10value_typeET2_T3_PNSJ_ISO_E10value_typeET4_T5_PST_SU_PNS1_23onesweep_lookback_stateEbbT6_jjT7_P12ihipStream_tbENKUlT_T0_SI_SN_E_clISD_SD_SD_SD_EEDaS11_S12_SI_SN_EUlS11_E_NS1_11comp_targetILNS1_3genE6ELNS1_11target_archE950ELNS1_3gpuE13ELNS1_3repE0EEENS1_47radix_sort_onesweep_sort_config_static_selectorELNS0_4arch9wavefront6targetE1EEEvSI_,comdat
.Lfunc_end752:
	.size	_ZN7rocprim17ROCPRIM_400000_NS6detail17trampoline_kernelINS0_14default_configENS1_35radix_sort_onesweep_config_selectorIjjEEZZNS1_29radix_sort_onesweep_iterationIS3_Lb0EN6thrust23THRUST_200600_302600_NS6detail15normal_iteratorINS8_10device_ptrIjEEEESD_SD_SD_jNS0_19identity_decomposerENS1_16block_id_wrapperIjLb1EEEEE10hipError_tT1_PNSt15iterator_traitsISI_E10value_typeET2_T3_PNSJ_ISO_E10value_typeET4_T5_PST_SU_PNS1_23onesweep_lookback_stateEbbT6_jjT7_P12ihipStream_tbENKUlT_T0_SI_SN_E_clISD_SD_SD_SD_EEDaS11_S12_SI_SN_EUlS11_E_NS1_11comp_targetILNS1_3genE6ELNS1_11target_archE950ELNS1_3gpuE13ELNS1_3repE0EEENS1_47radix_sort_onesweep_sort_config_static_selectorELNS0_4arch9wavefront6targetE1EEEvSI_, .Lfunc_end752-_ZN7rocprim17ROCPRIM_400000_NS6detail17trampoline_kernelINS0_14default_configENS1_35radix_sort_onesweep_config_selectorIjjEEZZNS1_29radix_sort_onesweep_iterationIS3_Lb0EN6thrust23THRUST_200600_302600_NS6detail15normal_iteratorINS8_10device_ptrIjEEEESD_SD_SD_jNS0_19identity_decomposerENS1_16block_id_wrapperIjLb1EEEEE10hipError_tT1_PNSt15iterator_traitsISI_E10value_typeET2_T3_PNSJ_ISO_E10value_typeET4_T5_PST_SU_PNS1_23onesweep_lookback_stateEbbT6_jjT7_P12ihipStream_tbENKUlT_T0_SI_SN_E_clISD_SD_SD_SD_EEDaS11_S12_SI_SN_EUlS11_E_NS1_11comp_targetILNS1_3genE6ELNS1_11target_archE950ELNS1_3gpuE13ELNS1_3repE0EEENS1_47radix_sort_onesweep_sort_config_static_selectorELNS0_4arch9wavefront6targetE1EEEvSI_
                                        ; -- End function
	.set _ZN7rocprim17ROCPRIM_400000_NS6detail17trampoline_kernelINS0_14default_configENS1_35radix_sort_onesweep_config_selectorIjjEEZZNS1_29radix_sort_onesweep_iterationIS3_Lb0EN6thrust23THRUST_200600_302600_NS6detail15normal_iteratorINS8_10device_ptrIjEEEESD_SD_SD_jNS0_19identity_decomposerENS1_16block_id_wrapperIjLb1EEEEE10hipError_tT1_PNSt15iterator_traitsISI_E10value_typeET2_T3_PNSJ_ISO_E10value_typeET4_T5_PST_SU_PNS1_23onesweep_lookback_stateEbbT6_jjT7_P12ihipStream_tbENKUlT_T0_SI_SN_E_clISD_SD_SD_SD_EEDaS11_S12_SI_SN_EUlS11_E_NS1_11comp_targetILNS1_3genE6ELNS1_11target_archE950ELNS1_3gpuE13ELNS1_3repE0EEENS1_47radix_sort_onesweep_sort_config_static_selectorELNS0_4arch9wavefront6targetE1EEEvSI_.num_vgpr, 89
	.set _ZN7rocprim17ROCPRIM_400000_NS6detail17trampoline_kernelINS0_14default_configENS1_35radix_sort_onesweep_config_selectorIjjEEZZNS1_29radix_sort_onesweep_iterationIS3_Lb0EN6thrust23THRUST_200600_302600_NS6detail15normal_iteratorINS8_10device_ptrIjEEEESD_SD_SD_jNS0_19identity_decomposerENS1_16block_id_wrapperIjLb1EEEEE10hipError_tT1_PNSt15iterator_traitsISI_E10value_typeET2_T3_PNSJ_ISO_E10value_typeET4_T5_PST_SU_PNS1_23onesweep_lookback_stateEbbT6_jjT7_P12ihipStream_tbENKUlT_T0_SI_SN_E_clISD_SD_SD_SD_EEDaS11_S12_SI_SN_EUlS11_E_NS1_11comp_targetILNS1_3genE6ELNS1_11target_archE950ELNS1_3gpuE13ELNS1_3repE0EEENS1_47radix_sort_onesweep_sort_config_static_selectorELNS0_4arch9wavefront6targetE1EEEvSI_.num_agpr, 0
	.set _ZN7rocprim17ROCPRIM_400000_NS6detail17trampoline_kernelINS0_14default_configENS1_35radix_sort_onesweep_config_selectorIjjEEZZNS1_29radix_sort_onesweep_iterationIS3_Lb0EN6thrust23THRUST_200600_302600_NS6detail15normal_iteratorINS8_10device_ptrIjEEEESD_SD_SD_jNS0_19identity_decomposerENS1_16block_id_wrapperIjLb1EEEEE10hipError_tT1_PNSt15iterator_traitsISI_E10value_typeET2_T3_PNSJ_ISO_E10value_typeET4_T5_PST_SU_PNS1_23onesweep_lookback_stateEbbT6_jjT7_P12ihipStream_tbENKUlT_T0_SI_SN_E_clISD_SD_SD_SD_EEDaS11_S12_SI_SN_EUlS11_E_NS1_11comp_targetILNS1_3genE6ELNS1_11target_archE950ELNS1_3gpuE13ELNS1_3repE0EEENS1_47radix_sort_onesweep_sort_config_static_selectorELNS0_4arch9wavefront6targetE1EEEvSI_.numbered_sgpr, 73
	.set _ZN7rocprim17ROCPRIM_400000_NS6detail17trampoline_kernelINS0_14default_configENS1_35radix_sort_onesweep_config_selectorIjjEEZZNS1_29radix_sort_onesweep_iterationIS3_Lb0EN6thrust23THRUST_200600_302600_NS6detail15normal_iteratorINS8_10device_ptrIjEEEESD_SD_SD_jNS0_19identity_decomposerENS1_16block_id_wrapperIjLb1EEEEE10hipError_tT1_PNSt15iterator_traitsISI_E10value_typeET2_T3_PNSJ_ISO_E10value_typeET4_T5_PST_SU_PNS1_23onesweep_lookback_stateEbbT6_jjT7_P12ihipStream_tbENKUlT_T0_SI_SN_E_clISD_SD_SD_SD_EEDaS11_S12_SI_SN_EUlS11_E_NS1_11comp_targetILNS1_3genE6ELNS1_11target_archE950ELNS1_3gpuE13ELNS1_3repE0EEENS1_47radix_sort_onesweep_sort_config_static_selectorELNS0_4arch9wavefront6targetE1EEEvSI_.num_named_barrier, 0
	.set _ZN7rocprim17ROCPRIM_400000_NS6detail17trampoline_kernelINS0_14default_configENS1_35radix_sort_onesweep_config_selectorIjjEEZZNS1_29radix_sort_onesweep_iterationIS3_Lb0EN6thrust23THRUST_200600_302600_NS6detail15normal_iteratorINS8_10device_ptrIjEEEESD_SD_SD_jNS0_19identity_decomposerENS1_16block_id_wrapperIjLb1EEEEE10hipError_tT1_PNSt15iterator_traitsISI_E10value_typeET2_T3_PNSJ_ISO_E10value_typeET4_T5_PST_SU_PNS1_23onesweep_lookback_stateEbbT6_jjT7_P12ihipStream_tbENKUlT_T0_SI_SN_E_clISD_SD_SD_SD_EEDaS11_S12_SI_SN_EUlS11_E_NS1_11comp_targetILNS1_3genE6ELNS1_11target_archE950ELNS1_3gpuE13ELNS1_3repE0EEENS1_47radix_sort_onesweep_sort_config_static_selectorELNS0_4arch9wavefront6targetE1EEEvSI_.private_seg_size, 80
	.set _ZN7rocprim17ROCPRIM_400000_NS6detail17trampoline_kernelINS0_14default_configENS1_35radix_sort_onesweep_config_selectorIjjEEZZNS1_29radix_sort_onesweep_iterationIS3_Lb0EN6thrust23THRUST_200600_302600_NS6detail15normal_iteratorINS8_10device_ptrIjEEEESD_SD_SD_jNS0_19identity_decomposerENS1_16block_id_wrapperIjLb1EEEEE10hipError_tT1_PNSt15iterator_traitsISI_E10value_typeET2_T3_PNSJ_ISO_E10value_typeET4_T5_PST_SU_PNS1_23onesweep_lookback_stateEbbT6_jjT7_P12ihipStream_tbENKUlT_T0_SI_SN_E_clISD_SD_SD_SD_EEDaS11_S12_SI_SN_EUlS11_E_NS1_11comp_targetILNS1_3genE6ELNS1_11target_archE950ELNS1_3gpuE13ELNS1_3repE0EEENS1_47radix_sort_onesweep_sort_config_static_selectorELNS0_4arch9wavefront6targetE1EEEvSI_.uses_vcc, 1
	.set _ZN7rocprim17ROCPRIM_400000_NS6detail17trampoline_kernelINS0_14default_configENS1_35radix_sort_onesweep_config_selectorIjjEEZZNS1_29radix_sort_onesweep_iterationIS3_Lb0EN6thrust23THRUST_200600_302600_NS6detail15normal_iteratorINS8_10device_ptrIjEEEESD_SD_SD_jNS0_19identity_decomposerENS1_16block_id_wrapperIjLb1EEEEE10hipError_tT1_PNSt15iterator_traitsISI_E10value_typeET2_T3_PNSJ_ISO_E10value_typeET4_T5_PST_SU_PNS1_23onesweep_lookback_stateEbbT6_jjT7_P12ihipStream_tbENKUlT_T0_SI_SN_E_clISD_SD_SD_SD_EEDaS11_S12_SI_SN_EUlS11_E_NS1_11comp_targetILNS1_3genE6ELNS1_11target_archE950ELNS1_3gpuE13ELNS1_3repE0EEENS1_47radix_sort_onesweep_sort_config_static_selectorELNS0_4arch9wavefront6targetE1EEEvSI_.uses_flat_scratch, 0
	.set _ZN7rocprim17ROCPRIM_400000_NS6detail17trampoline_kernelINS0_14default_configENS1_35radix_sort_onesweep_config_selectorIjjEEZZNS1_29radix_sort_onesweep_iterationIS3_Lb0EN6thrust23THRUST_200600_302600_NS6detail15normal_iteratorINS8_10device_ptrIjEEEESD_SD_SD_jNS0_19identity_decomposerENS1_16block_id_wrapperIjLb1EEEEE10hipError_tT1_PNSt15iterator_traitsISI_E10value_typeET2_T3_PNSJ_ISO_E10value_typeET4_T5_PST_SU_PNS1_23onesweep_lookback_stateEbbT6_jjT7_P12ihipStream_tbENKUlT_T0_SI_SN_E_clISD_SD_SD_SD_EEDaS11_S12_SI_SN_EUlS11_E_NS1_11comp_targetILNS1_3genE6ELNS1_11target_archE950ELNS1_3gpuE13ELNS1_3repE0EEENS1_47radix_sort_onesweep_sort_config_static_selectorELNS0_4arch9wavefront6targetE1EEEvSI_.has_dyn_sized_stack, 0
	.set _ZN7rocprim17ROCPRIM_400000_NS6detail17trampoline_kernelINS0_14default_configENS1_35radix_sort_onesweep_config_selectorIjjEEZZNS1_29radix_sort_onesweep_iterationIS3_Lb0EN6thrust23THRUST_200600_302600_NS6detail15normal_iteratorINS8_10device_ptrIjEEEESD_SD_SD_jNS0_19identity_decomposerENS1_16block_id_wrapperIjLb1EEEEE10hipError_tT1_PNSt15iterator_traitsISI_E10value_typeET2_T3_PNSJ_ISO_E10value_typeET4_T5_PST_SU_PNS1_23onesweep_lookback_stateEbbT6_jjT7_P12ihipStream_tbENKUlT_T0_SI_SN_E_clISD_SD_SD_SD_EEDaS11_S12_SI_SN_EUlS11_E_NS1_11comp_targetILNS1_3genE6ELNS1_11target_archE950ELNS1_3gpuE13ELNS1_3repE0EEENS1_47radix_sort_onesweep_sort_config_static_selectorELNS0_4arch9wavefront6targetE1EEEvSI_.has_recursion, 0
	.set _ZN7rocprim17ROCPRIM_400000_NS6detail17trampoline_kernelINS0_14default_configENS1_35radix_sort_onesweep_config_selectorIjjEEZZNS1_29radix_sort_onesweep_iterationIS3_Lb0EN6thrust23THRUST_200600_302600_NS6detail15normal_iteratorINS8_10device_ptrIjEEEESD_SD_SD_jNS0_19identity_decomposerENS1_16block_id_wrapperIjLb1EEEEE10hipError_tT1_PNSt15iterator_traitsISI_E10value_typeET2_T3_PNSJ_ISO_E10value_typeET4_T5_PST_SU_PNS1_23onesweep_lookback_stateEbbT6_jjT7_P12ihipStream_tbENKUlT_T0_SI_SN_E_clISD_SD_SD_SD_EEDaS11_S12_SI_SN_EUlS11_E_NS1_11comp_targetILNS1_3genE6ELNS1_11target_archE950ELNS1_3gpuE13ELNS1_3repE0EEENS1_47radix_sort_onesweep_sort_config_static_selectorELNS0_4arch9wavefront6targetE1EEEvSI_.has_indirect_call, 0
	.section	.AMDGPU.csdata,"",@progbits
; Kernel info:
; codeLenInByte = 22208
; TotalNumSgprs: 79
; NumVgprs: 89
; NumAgprs: 0
; TotalNumVgprs: 89
; ScratchSize: 80
; MemoryBound: 0
; FloatMode: 240
; IeeeMode: 1
; LDSByteSize: 20552 bytes/workgroup (compile time only)
; SGPRBlocks: 9
; VGPRBlocks: 11
; NumSGPRsForWavesPerEU: 79
; NumVGPRsForWavesPerEU: 89
; AccumOffset: 92
; Occupancy: 5
; WaveLimiterHint : 1
; COMPUTE_PGM_RSRC2:SCRATCH_EN: 1
; COMPUTE_PGM_RSRC2:USER_SGPR: 2
; COMPUTE_PGM_RSRC2:TRAP_HANDLER: 0
; COMPUTE_PGM_RSRC2:TGID_X_EN: 1
; COMPUTE_PGM_RSRC2:TGID_Y_EN: 0
; COMPUTE_PGM_RSRC2:TGID_Z_EN: 0
; COMPUTE_PGM_RSRC2:TIDIG_COMP_CNT: 2
; COMPUTE_PGM_RSRC3_GFX90A:ACCUM_OFFSET: 22
; COMPUTE_PGM_RSRC3_GFX90A:TG_SPLIT: 0
	.section	.text._ZN7rocprim17ROCPRIM_400000_NS6detail17trampoline_kernelINS0_14default_configENS1_35radix_sort_onesweep_config_selectorIjjEEZZNS1_29radix_sort_onesweep_iterationIS3_Lb0EN6thrust23THRUST_200600_302600_NS6detail15normal_iteratorINS8_10device_ptrIjEEEESD_SD_SD_jNS0_19identity_decomposerENS1_16block_id_wrapperIjLb1EEEEE10hipError_tT1_PNSt15iterator_traitsISI_E10value_typeET2_T3_PNSJ_ISO_E10value_typeET4_T5_PST_SU_PNS1_23onesweep_lookback_stateEbbT6_jjT7_P12ihipStream_tbENKUlT_T0_SI_SN_E_clISD_SD_SD_SD_EEDaS11_S12_SI_SN_EUlS11_E_NS1_11comp_targetILNS1_3genE5ELNS1_11target_archE942ELNS1_3gpuE9ELNS1_3repE0EEENS1_47radix_sort_onesweep_sort_config_static_selectorELNS0_4arch9wavefront6targetE1EEEvSI_,"axG",@progbits,_ZN7rocprim17ROCPRIM_400000_NS6detail17trampoline_kernelINS0_14default_configENS1_35radix_sort_onesweep_config_selectorIjjEEZZNS1_29radix_sort_onesweep_iterationIS3_Lb0EN6thrust23THRUST_200600_302600_NS6detail15normal_iteratorINS8_10device_ptrIjEEEESD_SD_SD_jNS0_19identity_decomposerENS1_16block_id_wrapperIjLb1EEEEE10hipError_tT1_PNSt15iterator_traitsISI_E10value_typeET2_T3_PNSJ_ISO_E10value_typeET4_T5_PST_SU_PNS1_23onesweep_lookback_stateEbbT6_jjT7_P12ihipStream_tbENKUlT_T0_SI_SN_E_clISD_SD_SD_SD_EEDaS11_S12_SI_SN_EUlS11_E_NS1_11comp_targetILNS1_3genE5ELNS1_11target_archE942ELNS1_3gpuE9ELNS1_3repE0EEENS1_47radix_sort_onesweep_sort_config_static_selectorELNS0_4arch9wavefront6targetE1EEEvSI_,comdat
	.protected	_ZN7rocprim17ROCPRIM_400000_NS6detail17trampoline_kernelINS0_14default_configENS1_35radix_sort_onesweep_config_selectorIjjEEZZNS1_29radix_sort_onesweep_iterationIS3_Lb0EN6thrust23THRUST_200600_302600_NS6detail15normal_iteratorINS8_10device_ptrIjEEEESD_SD_SD_jNS0_19identity_decomposerENS1_16block_id_wrapperIjLb1EEEEE10hipError_tT1_PNSt15iterator_traitsISI_E10value_typeET2_T3_PNSJ_ISO_E10value_typeET4_T5_PST_SU_PNS1_23onesweep_lookback_stateEbbT6_jjT7_P12ihipStream_tbENKUlT_T0_SI_SN_E_clISD_SD_SD_SD_EEDaS11_S12_SI_SN_EUlS11_E_NS1_11comp_targetILNS1_3genE5ELNS1_11target_archE942ELNS1_3gpuE9ELNS1_3repE0EEENS1_47radix_sort_onesweep_sort_config_static_selectorELNS0_4arch9wavefront6targetE1EEEvSI_ ; -- Begin function _ZN7rocprim17ROCPRIM_400000_NS6detail17trampoline_kernelINS0_14default_configENS1_35radix_sort_onesweep_config_selectorIjjEEZZNS1_29radix_sort_onesweep_iterationIS3_Lb0EN6thrust23THRUST_200600_302600_NS6detail15normal_iteratorINS8_10device_ptrIjEEEESD_SD_SD_jNS0_19identity_decomposerENS1_16block_id_wrapperIjLb1EEEEE10hipError_tT1_PNSt15iterator_traitsISI_E10value_typeET2_T3_PNSJ_ISO_E10value_typeET4_T5_PST_SU_PNS1_23onesweep_lookback_stateEbbT6_jjT7_P12ihipStream_tbENKUlT_T0_SI_SN_E_clISD_SD_SD_SD_EEDaS11_S12_SI_SN_EUlS11_E_NS1_11comp_targetILNS1_3genE5ELNS1_11target_archE942ELNS1_3gpuE9ELNS1_3repE0EEENS1_47radix_sort_onesweep_sort_config_static_selectorELNS0_4arch9wavefront6targetE1EEEvSI_
	.globl	_ZN7rocprim17ROCPRIM_400000_NS6detail17trampoline_kernelINS0_14default_configENS1_35radix_sort_onesweep_config_selectorIjjEEZZNS1_29radix_sort_onesweep_iterationIS3_Lb0EN6thrust23THRUST_200600_302600_NS6detail15normal_iteratorINS8_10device_ptrIjEEEESD_SD_SD_jNS0_19identity_decomposerENS1_16block_id_wrapperIjLb1EEEEE10hipError_tT1_PNSt15iterator_traitsISI_E10value_typeET2_T3_PNSJ_ISO_E10value_typeET4_T5_PST_SU_PNS1_23onesweep_lookback_stateEbbT6_jjT7_P12ihipStream_tbENKUlT_T0_SI_SN_E_clISD_SD_SD_SD_EEDaS11_S12_SI_SN_EUlS11_E_NS1_11comp_targetILNS1_3genE5ELNS1_11target_archE942ELNS1_3gpuE9ELNS1_3repE0EEENS1_47radix_sort_onesweep_sort_config_static_selectorELNS0_4arch9wavefront6targetE1EEEvSI_
	.p2align	8
	.type	_ZN7rocprim17ROCPRIM_400000_NS6detail17trampoline_kernelINS0_14default_configENS1_35radix_sort_onesweep_config_selectorIjjEEZZNS1_29radix_sort_onesweep_iterationIS3_Lb0EN6thrust23THRUST_200600_302600_NS6detail15normal_iteratorINS8_10device_ptrIjEEEESD_SD_SD_jNS0_19identity_decomposerENS1_16block_id_wrapperIjLb1EEEEE10hipError_tT1_PNSt15iterator_traitsISI_E10value_typeET2_T3_PNSJ_ISO_E10value_typeET4_T5_PST_SU_PNS1_23onesweep_lookback_stateEbbT6_jjT7_P12ihipStream_tbENKUlT_T0_SI_SN_E_clISD_SD_SD_SD_EEDaS11_S12_SI_SN_EUlS11_E_NS1_11comp_targetILNS1_3genE5ELNS1_11target_archE942ELNS1_3gpuE9ELNS1_3repE0EEENS1_47radix_sort_onesweep_sort_config_static_selectorELNS0_4arch9wavefront6targetE1EEEvSI_,@function
_ZN7rocprim17ROCPRIM_400000_NS6detail17trampoline_kernelINS0_14default_configENS1_35radix_sort_onesweep_config_selectorIjjEEZZNS1_29radix_sort_onesweep_iterationIS3_Lb0EN6thrust23THRUST_200600_302600_NS6detail15normal_iteratorINS8_10device_ptrIjEEEESD_SD_SD_jNS0_19identity_decomposerENS1_16block_id_wrapperIjLb1EEEEE10hipError_tT1_PNSt15iterator_traitsISI_E10value_typeET2_T3_PNSJ_ISO_E10value_typeET4_T5_PST_SU_PNS1_23onesweep_lookback_stateEbbT6_jjT7_P12ihipStream_tbENKUlT_T0_SI_SN_E_clISD_SD_SD_SD_EEDaS11_S12_SI_SN_EUlS11_E_NS1_11comp_targetILNS1_3genE5ELNS1_11target_archE942ELNS1_3gpuE9ELNS1_3repE0EEENS1_47radix_sort_onesweep_sort_config_static_selectorELNS0_4arch9wavefront6targetE1EEEvSI_: ; @_ZN7rocprim17ROCPRIM_400000_NS6detail17trampoline_kernelINS0_14default_configENS1_35radix_sort_onesweep_config_selectorIjjEEZZNS1_29radix_sort_onesweep_iterationIS3_Lb0EN6thrust23THRUST_200600_302600_NS6detail15normal_iteratorINS8_10device_ptrIjEEEESD_SD_SD_jNS0_19identity_decomposerENS1_16block_id_wrapperIjLb1EEEEE10hipError_tT1_PNSt15iterator_traitsISI_E10value_typeET2_T3_PNSJ_ISO_E10value_typeET4_T5_PST_SU_PNS1_23onesweep_lookback_stateEbbT6_jjT7_P12ihipStream_tbENKUlT_T0_SI_SN_E_clISD_SD_SD_SD_EEDaS11_S12_SI_SN_EUlS11_E_NS1_11comp_targetILNS1_3genE5ELNS1_11target_archE942ELNS1_3gpuE9ELNS1_3repE0EEENS1_47radix_sort_onesweep_sort_config_static_selectorELNS0_4arch9wavefront6targetE1EEEvSI_
; %bb.0:
	.section	.rodata,"a",@progbits
	.p2align	6, 0x0
	.amdhsa_kernel _ZN7rocprim17ROCPRIM_400000_NS6detail17trampoline_kernelINS0_14default_configENS1_35radix_sort_onesweep_config_selectorIjjEEZZNS1_29radix_sort_onesweep_iterationIS3_Lb0EN6thrust23THRUST_200600_302600_NS6detail15normal_iteratorINS8_10device_ptrIjEEEESD_SD_SD_jNS0_19identity_decomposerENS1_16block_id_wrapperIjLb1EEEEE10hipError_tT1_PNSt15iterator_traitsISI_E10value_typeET2_T3_PNSJ_ISO_E10value_typeET4_T5_PST_SU_PNS1_23onesweep_lookback_stateEbbT6_jjT7_P12ihipStream_tbENKUlT_T0_SI_SN_E_clISD_SD_SD_SD_EEDaS11_S12_SI_SN_EUlS11_E_NS1_11comp_targetILNS1_3genE5ELNS1_11target_archE942ELNS1_3gpuE9ELNS1_3repE0EEENS1_47radix_sort_onesweep_sort_config_static_selectorELNS0_4arch9wavefront6targetE1EEEvSI_
		.amdhsa_group_segment_fixed_size 0
		.amdhsa_private_segment_fixed_size 0
		.amdhsa_kernarg_size 88
		.amdhsa_user_sgpr_count 2
		.amdhsa_user_sgpr_dispatch_ptr 0
		.amdhsa_user_sgpr_queue_ptr 0
		.amdhsa_user_sgpr_kernarg_segment_ptr 1
		.amdhsa_user_sgpr_dispatch_id 0
		.amdhsa_user_sgpr_kernarg_preload_length 0
		.amdhsa_user_sgpr_kernarg_preload_offset 0
		.amdhsa_user_sgpr_private_segment_size 0
		.amdhsa_uses_dynamic_stack 0
		.amdhsa_enable_private_segment 0
		.amdhsa_system_sgpr_workgroup_id_x 1
		.amdhsa_system_sgpr_workgroup_id_y 0
		.amdhsa_system_sgpr_workgroup_id_z 0
		.amdhsa_system_sgpr_workgroup_info 0
		.amdhsa_system_vgpr_workitem_id 0
		.amdhsa_next_free_vgpr 1
		.amdhsa_next_free_sgpr 0
		.amdhsa_accum_offset 4
		.amdhsa_reserve_vcc 0
		.amdhsa_float_round_mode_32 0
		.amdhsa_float_round_mode_16_64 0
		.amdhsa_float_denorm_mode_32 3
		.amdhsa_float_denorm_mode_16_64 3
		.amdhsa_dx10_clamp 1
		.amdhsa_ieee_mode 1
		.amdhsa_fp16_overflow 0
		.amdhsa_tg_split 0
		.amdhsa_exception_fp_ieee_invalid_op 0
		.amdhsa_exception_fp_denorm_src 0
		.amdhsa_exception_fp_ieee_div_zero 0
		.amdhsa_exception_fp_ieee_overflow 0
		.amdhsa_exception_fp_ieee_underflow 0
		.amdhsa_exception_fp_ieee_inexact 0
		.amdhsa_exception_int_div_zero 0
	.end_amdhsa_kernel
	.section	.text._ZN7rocprim17ROCPRIM_400000_NS6detail17trampoline_kernelINS0_14default_configENS1_35radix_sort_onesweep_config_selectorIjjEEZZNS1_29radix_sort_onesweep_iterationIS3_Lb0EN6thrust23THRUST_200600_302600_NS6detail15normal_iteratorINS8_10device_ptrIjEEEESD_SD_SD_jNS0_19identity_decomposerENS1_16block_id_wrapperIjLb1EEEEE10hipError_tT1_PNSt15iterator_traitsISI_E10value_typeET2_T3_PNSJ_ISO_E10value_typeET4_T5_PST_SU_PNS1_23onesweep_lookback_stateEbbT6_jjT7_P12ihipStream_tbENKUlT_T0_SI_SN_E_clISD_SD_SD_SD_EEDaS11_S12_SI_SN_EUlS11_E_NS1_11comp_targetILNS1_3genE5ELNS1_11target_archE942ELNS1_3gpuE9ELNS1_3repE0EEENS1_47radix_sort_onesweep_sort_config_static_selectorELNS0_4arch9wavefront6targetE1EEEvSI_,"axG",@progbits,_ZN7rocprim17ROCPRIM_400000_NS6detail17trampoline_kernelINS0_14default_configENS1_35radix_sort_onesweep_config_selectorIjjEEZZNS1_29radix_sort_onesweep_iterationIS3_Lb0EN6thrust23THRUST_200600_302600_NS6detail15normal_iteratorINS8_10device_ptrIjEEEESD_SD_SD_jNS0_19identity_decomposerENS1_16block_id_wrapperIjLb1EEEEE10hipError_tT1_PNSt15iterator_traitsISI_E10value_typeET2_T3_PNSJ_ISO_E10value_typeET4_T5_PST_SU_PNS1_23onesweep_lookback_stateEbbT6_jjT7_P12ihipStream_tbENKUlT_T0_SI_SN_E_clISD_SD_SD_SD_EEDaS11_S12_SI_SN_EUlS11_E_NS1_11comp_targetILNS1_3genE5ELNS1_11target_archE942ELNS1_3gpuE9ELNS1_3repE0EEENS1_47radix_sort_onesweep_sort_config_static_selectorELNS0_4arch9wavefront6targetE1EEEvSI_,comdat
.Lfunc_end753:
	.size	_ZN7rocprim17ROCPRIM_400000_NS6detail17trampoline_kernelINS0_14default_configENS1_35radix_sort_onesweep_config_selectorIjjEEZZNS1_29radix_sort_onesweep_iterationIS3_Lb0EN6thrust23THRUST_200600_302600_NS6detail15normal_iteratorINS8_10device_ptrIjEEEESD_SD_SD_jNS0_19identity_decomposerENS1_16block_id_wrapperIjLb1EEEEE10hipError_tT1_PNSt15iterator_traitsISI_E10value_typeET2_T3_PNSJ_ISO_E10value_typeET4_T5_PST_SU_PNS1_23onesweep_lookback_stateEbbT6_jjT7_P12ihipStream_tbENKUlT_T0_SI_SN_E_clISD_SD_SD_SD_EEDaS11_S12_SI_SN_EUlS11_E_NS1_11comp_targetILNS1_3genE5ELNS1_11target_archE942ELNS1_3gpuE9ELNS1_3repE0EEENS1_47radix_sort_onesweep_sort_config_static_selectorELNS0_4arch9wavefront6targetE1EEEvSI_, .Lfunc_end753-_ZN7rocprim17ROCPRIM_400000_NS6detail17trampoline_kernelINS0_14default_configENS1_35radix_sort_onesweep_config_selectorIjjEEZZNS1_29radix_sort_onesweep_iterationIS3_Lb0EN6thrust23THRUST_200600_302600_NS6detail15normal_iteratorINS8_10device_ptrIjEEEESD_SD_SD_jNS0_19identity_decomposerENS1_16block_id_wrapperIjLb1EEEEE10hipError_tT1_PNSt15iterator_traitsISI_E10value_typeET2_T3_PNSJ_ISO_E10value_typeET4_T5_PST_SU_PNS1_23onesweep_lookback_stateEbbT6_jjT7_P12ihipStream_tbENKUlT_T0_SI_SN_E_clISD_SD_SD_SD_EEDaS11_S12_SI_SN_EUlS11_E_NS1_11comp_targetILNS1_3genE5ELNS1_11target_archE942ELNS1_3gpuE9ELNS1_3repE0EEENS1_47radix_sort_onesweep_sort_config_static_selectorELNS0_4arch9wavefront6targetE1EEEvSI_
                                        ; -- End function
	.set _ZN7rocprim17ROCPRIM_400000_NS6detail17trampoline_kernelINS0_14default_configENS1_35radix_sort_onesweep_config_selectorIjjEEZZNS1_29radix_sort_onesweep_iterationIS3_Lb0EN6thrust23THRUST_200600_302600_NS6detail15normal_iteratorINS8_10device_ptrIjEEEESD_SD_SD_jNS0_19identity_decomposerENS1_16block_id_wrapperIjLb1EEEEE10hipError_tT1_PNSt15iterator_traitsISI_E10value_typeET2_T3_PNSJ_ISO_E10value_typeET4_T5_PST_SU_PNS1_23onesweep_lookback_stateEbbT6_jjT7_P12ihipStream_tbENKUlT_T0_SI_SN_E_clISD_SD_SD_SD_EEDaS11_S12_SI_SN_EUlS11_E_NS1_11comp_targetILNS1_3genE5ELNS1_11target_archE942ELNS1_3gpuE9ELNS1_3repE0EEENS1_47radix_sort_onesweep_sort_config_static_selectorELNS0_4arch9wavefront6targetE1EEEvSI_.num_vgpr, 0
	.set _ZN7rocprim17ROCPRIM_400000_NS6detail17trampoline_kernelINS0_14default_configENS1_35radix_sort_onesweep_config_selectorIjjEEZZNS1_29radix_sort_onesweep_iterationIS3_Lb0EN6thrust23THRUST_200600_302600_NS6detail15normal_iteratorINS8_10device_ptrIjEEEESD_SD_SD_jNS0_19identity_decomposerENS1_16block_id_wrapperIjLb1EEEEE10hipError_tT1_PNSt15iterator_traitsISI_E10value_typeET2_T3_PNSJ_ISO_E10value_typeET4_T5_PST_SU_PNS1_23onesweep_lookback_stateEbbT6_jjT7_P12ihipStream_tbENKUlT_T0_SI_SN_E_clISD_SD_SD_SD_EEDaS11_S12_SI_SN_EUlS11_E_NS1_11comp_targetILNS1_3genE5ELNS1_11target_archE942ELNS1_3gpuE9ELNS1_3repE0EEENS1_47radix_sort_onesweep_sort_config_static_selectorELNS0_4arch9wavefront6targetE1EEEvSI_.num_agpr, 0
	.set _ZN7rocprim17ROCPRIM_400000_NS6detail17trampoline_kernelINS0_14default_configENS1_35radix_sort_onesweep_config_selectorIjjEEZZNS1_29radix_sort_onesweep_iterationIS3_Lb0EN6thrust23THRUST_200600_302600_NS6detail15normal_iteratorINS8_10device_ptrIjEEEESD_SD_SD_jNS0_19identity_decomposerENS1_16block_id_wrapperIjLb1EEEEE10hipError_tT1_PNSt15iterator_traitsISI_E10value_typeET2_T3_PNSJ_ISO_E10value_typeET4_T5_PST_SU_PNS1_23onesweep_lookback_stateEbbT6_jjT7_P12ihipStream_tbENKUlT_T0_SI_SN_E_clISD_SD_SD_SD_EEDaS11_S12_SI_SN_EUlS11_E_NS1_11comp_targetILNS1_3genE5ELNS1_11target_archE942ELNS1_3gpuE9ELNS1_3repE0EEENS1_47radix_sort_onesweep_sort_config_static_selectorELNS0_4arch9wavefront6targetE1EEEvSI_.numbered_sgpr, 0
	.set _ZN7rocprim17ROCPRIM_400000_NS6detail17trampoline_kernelINS0_14default_configENS1_35radix_sort_onesweep_config_selectorIjjEEZZNS1_29radix_sort_onesweep_iterationIS3_Lb0EN6thrust23THRUST_200600_302600_NS6detail15normal_iteratorINS8_10device_ptrIjEEEESD_SD_SD_jNS0_19identity_decomposerENS1_16block_id_wrapperIjLb1EEEEE10hipError_tT1_PNSt15iterator_traitsISI_E10value_typeET2_T3_PNSJ_ISO_E10value_typeET4_T5_PST_SU_PNS1_23onesweep_lookback_stateEbbT6_jjT7_P12ihipStream_tbENKUlT_T0_SI_SN_E_clISD_SD_SD_SD_EEDaS11_S12_SI_SN_EUlS11_E_NS1_11comp_targetILNS1_3genE5ELNS1_11target_archE942ELNS1_3gpuE9ELNS1_3repE0EEENS1_47radix_sort_onesweep_sort_config_static_selectorELNS0_4arch9wavefront6targetE1EEEvSI_.num_named_barrier, 0
	.set _ZN7rocprim17ROCPRIM_400000_NS6detail17trampoline_kernelINS0_14default_configENS1_35radix_sort_onesweep_config_selectorIjjEEZZNS1_29radix_sort_onesweep_iterationIS3_Lb0EN6thrust23THRUST_200600_302600_NS6detail15normal_iteratorINS8_10device_ptrIjEEEESD_SD_SD_jNS0_19identity_decomposerENS1_16block_id_wrapperIjLb1EEEEE10hipError_tT1_PNSt15iterator_traitsISI_E10value_typeET2_T3_PNSJ_ISO_E10value_typeET4_T5_PST_SU_PNS1_23onesweep_lookback_stateEbbT6_jjT7_P12ihipStream_tbENKUlT_T0_SI_SN_E_clISD_SD_SD_SD_EEDaS11_S12_SI_SN_EUlS11_E_NS1_11comp_targetILNS1_3genE5ELNS1_11target_archE942ELNS1_3gpuE9ELNS1_3repE0EEENS1_47radix_sort_onesweep_sort_config_static_selectorELNS0_4arch9wavefront6targetE1EEEvSI_.private_seg_size, 0
	.set _ZN7rocprim17ROCPRIM_400000_NS6detail17trampoline_kernelINS0_14default_configENS1_35radix_sort_onesweep_config_selectorIjjEEZZNS1_29radix_sort_onesweep_iterationIS3_Lb0EN6thrust23THRUST_200600_302600_NS6detail15normal_iteratorINS8_10device_ptrIjEEEESD_SD_SD_jNS0_19identity_decomposerENS1_16block_id_wrapperIjLb1EEEEE10hipError_tT1_PNSt15iterator_traitsISI_E10value_typeET2_T3_PNSJ_ISO_E10value_typeET4_T5_PST_SU_PNS1_23onesweep_lookback_stateEbbT6_jjT7_P12ihipStream_tbENKUlT_T0_SI_SN_E_clISD_SD_SD_SD_EEDaS11_S12_SI_SN_EUlS11_E_NS1_11comp_targetILNS1_3genE5ELNS1_11target_archE942ELNS1_3gpuE9ELNS1_3repE0EEENS1_47radix_sort_onesweep_sort_config_static_selectorELNS0_4arch9wavefront6targetE1EEEvSI_.uses_vcc, 0
	.set _ZN7rocprim17ROCPRIM_400000_NS6detail17trampoline_kernelINS0_14default_configENS1_35radix_sort_onesweep_config_selectorIjjEEZZNS1_29radix_sort_onesweep_iterationIS3_Lb0EN6thrust23THRUST_200600_302600_NS6detail15normal_iteratorINS8_10device_ptrIjEEEESD_SD_SD_jNS0_19identity_decomposerENS1_16block_id_wrapperIjLb1EEEEE10hipError_tT1_PNSt15iterator_traitsISI_E10value_typeET2_T3_PNSJ_ISO_E10value_typeET4_T5_PST_SU_PNS1_23onesweep_lookback_stateEbbT6_jjT7_P12ihipStream_tbENKUlT_T0_SI_SN_E_clISD_SD_SD_SD_EEDaS11_S12_SI_SN_EUlS11_E_NS1_11comp_targetILNS1_3genE5ELNS1_11target_archE942ELNS1_3gpuE9ELNS1_3repE0EEENS1_47radix_sort_onesweep_sort_config_static_selectorELNS0_4arch9wavefront6targetE1EEEvSI_.uses_flat_scratch, 0
	.set _ZN7rocprim17ROCPRIM_400000_NS6detail17trampoline_kernelINS0_14default_configENS1_35radix_sort_onesweep_config_selectorIjjEEZZNS1_29radix_sort_onesweep_iterationIS3_Lb0EN6thrust23THRUST_200600_302600_NS6detail15normal_iteratorINS8_10device_ptrIjEEEESD_SD_SD_jNS0_19identity_decomposerENS1_16block_id_wrapperIjLb1EEEEE10hipError_tT1_PNSt15iterator_traitsISI_E10value_typeET2_T3_PNSJ_ISO_E10value_typeET4_T5_PST_SU_PNS1_23onesweep_lookback_stateEbbT6_jjT7_P12ihipStream_tbENKUlT_T0_SI_SN_E_clISD_SD_SD_SD_EEDaS11_S12_SI_SN_EUlS11_E_NS1_11comp_targetILNS1_3genE5ELNS1_11target_archE942ELNS1_3gpuE9ELNS1_3repE0EEENS1_47radix_sort_onesweep_sort_config_static_selectorELNS0_4arch9wavefront6targetE1EEEvSI_.has_dyn_sized_stack, 0
	.set _ZN7rocprim17ROCPRIM_400000_NS6detail17trampoline_kernelINS0_14default_configENS1_35radix_sort_onesweep_config_selectorIjjEEZZNS1_29radix_sort_onesweep_iterationIS3_Lb0EN6thrust23THRUST_200600_302600_NS6detail15normal_iteratorINS8_10device_ptrIjEEEESD_SD_SD_jNS0_19identity_decomposerENS1_16block_id_wrapperIjLb1EEEEE10hipError_tT1_PNSt15iterator_traitsISI_E10value_typeET2_T3_PNSJ_ISO_E10value_typeET4_T5_PST_SU_PNS1_23onesweep_lookback_stateEbbT6_jjT7_P12ihipStream_tbENKUlT_T0_SI_SN_E_clISD_SD_SD_SD_EEDaS11_S12_SI_SN_EUlS11_E_NS1_11comp_targetILNS1_3genE5ELNS1_11target_archE942ELNS1_3gpuE9ELNS1_3repE0EEENS1_47radix_sort_onesweep_sort_config_static_selectorELNS0_4arch9wavefront6targetE1EEEvSI_.has_recursion, 0
	.set _ZN7rocprim17ROCPRIM_400000_NS6detail17trampoline_kernelINS0_14default_configENS1_35radix_sort_onesweep_config_selectorIjjEEZZNS1_29radix_sort_onesweep_iterationIS3_Lb0EN6thrust23THRUST_200600_302600_NS6detail15normal_iteratorINS8_10device_ptrIjEEEESD_SD_SD_jNS0_19identity_decomposerENS1_16block_id_wrapperIjLb1EEEEE10hipError_tT1_PNSt15iterator_traitsISI_E10value_typeET2_T3_PNSJ_ISO_E10value_typeET4_T5_PST_SU_PNS1_23onesweep_lookback_stateEbbT6_jjT7_P12ihipStream_tbENKUlT_T0_SI_SN_E_clISD_SD_SD_SD_EEDaS11_S12_SI_SN_EUlS11_E_NS1_11comp_targetILNS1_3genE5ELNS1_11target_archE942ELNS1_3gpuE9ELNS1_3repE0EEENS1_47radix_sort_onesweep_sort_config_static_selectorELNS0_4arch9wavefront6targetE1EEEvSI_.has_indirect_call, 0
	.section	.AMDGPU.csdata,"",@progbits
; Kernel info:
; codeLenInByte = 0
; TotalNumSgprs: 6
; NumVgprs: 0
; NumAgprs: 0
; TotalNumVgprs: 0
; ScratchSize: 0
; MemoryBound: 0
; FloatMode: 240
; IeeeMode: 1
; LDSByteSize: 0 bytes/workgroup (compile time only)
; SGPRBlocks: 0
; VGPRBlocks: 0
; NumSGPRsForWavesPerEU: 6
; NumVGPRsForWavesPerEU: 1
; AccumOffset: 4
; Occupancy: 8
; WaveLimiterHint : 0
; COMPUTE_PGM_RSRC2:SCRATCH_EN: 0
; COMPUTE_PGM_RSRC2:USER_SGPR: 2
; COMPUTE_PGM_RSRC2:TRAP_HANDLER: 0
; COMPUTE_PGM_RSRC2:TGID_X_EN: 1
; COMPUTE_PGM_RSRC2:TGID_Y_EN: 0
; COMPUTE_PGM_RSRC2:TGID_Z_EN: 0
; COMPUTE_PGM_RSRC2:TIDIG_COMP_CNT: 0
; COMPUTE_PGM_RSRC3_GFX90A:ACCUM_OFFSET: 0
; COMPUTE_PGM_RSRC3_GFX90A:TG_SPLIT: 0
	.section	.text._ZN7rocprim17ROCPRIM_400000_NS6detail17trampoline_kernelINS0_14default_configENS1_35radix_sort_onesweep_config_selectorIjjEEZZNS1_29radix_sort_onesweep_iterationIS3_Lb0EN6thrust23THRUST_200600_302600_NS6detail15normal_iteratorINS8_10device_ptrIjEEEESD_SD_SD_jNS0_19identity_decomposerENS1_16block_id_wrapperIjLb1EEEEE10hipError_tT1_PNSt15iterator_traitsISI_E10value_typeET2_T3_PNSJ_ISO_E10value_typeET4_T5_PST_SU_PNS1_23onesweep_lookback_stateEbbT6_jjT7_P12ihipStream_tbENKUlT_T0_SI_SN_E_clISD_SD_SD_SD_EEDaS11_S12_SI_SN_EUlS11_E_NS1_11comp_targetILNS1_3genE2ELNS1_11target_archE906ELNS1_3gpuE6ELNS1_3repE0EEENS1_47radix_sort_onesweep_sort_config_static_selectorELNS0_4arch9wavefront6targetE1EEEvSI_,"axG",@progbits,_ZN7rocprim17ROCPRIM_400000_NS6detail17trampoline_kernelINS0_14default_configENS1_35radix_sort_onesweep_config_selectorIjjEEZZNS1_29radix_sort_onesweep_iterationIS3_Lb0EN6thrust23THRUST_200600_302600_NS6detail15normal_iteratorINS8_10device_ptrIjEEEESD_SD_SD_jNS0_19identity_decomposerENS1_16block_id_wrapperIjLb1EEEEE10hipError_tT1_PNSt15iterator_traitsISI_E10value_typeET2_T3_PNSJ_ISO_E10value_typeET4_T5_PST_SU_PNS1_23onesweep_lookback_stateEbbT6_jjT7_P12ihipStream_tbENKUlT_T0_SI_SN_E_clISD_SD_SD_SD_EEDaS11_S12_SI_SN_EUlS11_E_NS1_11comp_targetILNS1_3genE2ELNS1_11target_archE906ELNS1_3gpuE6ELNS1_3repE0EEENS1_47radix_sort_onesweep_sort_config_static_selectorELNS0_4arch9wavefront6targetE1EEEvSI_,comdat
	.protected	_ZN7rocprim17ROCPRIM_400000_NS6detail17trampoline_kernelINS0_14default_configENS1_35radix_sort_onesweep_config_selectorIjjEEZZNS1_29radix_sort_onesweep_iterationIS3_Lb0EN6thrust23THRUST_200600_302600_NS6detail15normal_iteratorINS8_10device_ptrIjEEEESD_SD_SD_jNS0_19identity_decomposerENS1_16block_id_wrapperIjLb1EEEEE10hipError_tT1_PNSt15iterator_traitsISI_E10value_typeET2_T3_PNSJ_ISO_E10value_typeET4_T5_PST_SU_PNS1_23onesweep_lookback_stateEbbT6_jjT7_P12ihipStream_tbENKUlT_T0_SI_SN_E_clISD_SD_SD_SD_EEDaS11_S12_SI_SN_EUlS11_E_NS1_11comp_targetILNS1_3genE2ELNS1_11target_archE906ELNS1_3gpuE6ELNS1_3repE0EEENS1_47radix_sort_onesweep_sort_config_static_selectorELNS0_4arch9wavefront6targetE1EEEvSI_ ; -- Begin function _ZN7rocprim17ROCPRIM_400000_NS6detail17trampoline_kernelINS0_14default_configENS1_35radix_sort_onesweep_config_selectorIjjEEZZNS1_29radix_sort_onesweep_iterationIS3_Lb0EN6thrust23THRUST_200600_302600_NS6detail15normal_iteratorINS8_10device_ptrIjEEEESD_SD_SD_jNS0_19identity_decomposerENS1_16block_id_wrapperIjLb1EEEEE10hipError_tT1_PNSt15iterator_traitsISI_E10value_typeET2_T3_PNSJ_ISO_E10value_typeET4_T5_PST_SU_PNS1_23onesweep_lookback_stateEbbT6_jjT7_P12ihipStream_tbENKUlT_T0_SI_SN_E_clISD_SD_SD_SD_EEDaS11_S12_SI_SN_EUlS11_E_NS1_11comp_targetILNS1_3genE2ELNS1_11target_archE906ELNS1_3gpuE6ELNS1_3repE0EEENS1_47radix_sort_onesweep_sort_config_static_selectorELNS0_4arch9wavefront6targetE1EEEvSI_
	.globl	_ZN7rocprim17ROCPRIM_400000_NS6detail17trampoline_kernelINS0_14default_configENS1_35radix_sort_onesweep_config_selectorIjjEEZZNS1_29radix_sort_onesweep_iterationIS3_Lb0EN6thrust23THRUST_200600_302600_NS6detail15normal_iteratorINS8_10device_ptrIjEEEESD_SD_SD_jNS0_19identity_decomposerENS1_16block_id_wrapperIjLb1EEEEE10hipError_tT1_PNSt15iterator_traitsISI_E10value_typeET2_T3_PNSJ_ISO_E10value_typeET4_T5_PST_SU_PNS1_23onesweep_lookback_stateEbbT6_jjT7_P12ihipStream_tbENKUlT_T0_SI_SN_E_clISD_SD_SD_SD_EEDaS11_S12_SI_SN_EUlS11_E_NS1_11comp_targetILNS1_3genE2ELNS1_11target_archE906ELNS1_3gpuE6ELNS1_3repE0EEENS1_47radix_sort_onesweep_sort_config_static_selectorELNS0_4arch9wavefront6targetE1EEEvSI_
	.p2align	8
	.type	_ZN7rocprim17ROCPRIM_400000_NS6detail17trampoline_kernelINS0_14default_configENS1_35radix_sort_onesweep_config_selectorIjjEEZZNS1_29radix_sort_onesweep_iterationIS3_Lb0EN6thrust23THRUST_200600_302600_NS6detail15normal_iteratorINS8_10device_ptrIjEEEESD_SD_SD_jNS0_19identity_decomposerENS1_16block_id_wrapperIjLb1EEEEE10hipError_tT1_PNSt15iterator_traitsISI_E10value_typeET2_T3_PNSJ_ISO_E10value_typeET4_T5_PST_SU_PNS1_23onesweep_lookback_stateEbbT6_jjT7_P12ihipStream_tbENKUlT_T0_SI_SN_E_clISD_SD_SD_SD_EEDaS11_S12_SI_SN_EUlS11_E_NS1_11comp_targetILNS1_3genE2ELNS1_11target_archE906ELNS1_3gpuE6ELNS1_3repE0EEENS1_47radix_sort_onesweep_sort_config_static_selectorELNS0_4arch9wavefront6targetE1EEEvSI_,@function
_ZN7rocprim17ROCPRIM_400000_NS6detail17trampoline_kernelINS0_14default_configENS1_35radix_sort_onesweep_config_selectorIjjEEZZNS1_29radix_sort_onesweep_iterationIS3_Lb0EN6thrust23THRUST_200600_302600_NS6detail15normal_iteratorINS8_10device_ptrIjEEEESD_SD_SD_jNS0_19identity_decomposerENS1_16block_id_wrapperIjLb1EEEEE10hipError_tT1_PNSt15iterator_traitsISI_E10value_typeET2_T3_PNSJ_ISO_E10value_typeET4_T5_PST_SU_PNS1_23onesweep_lookback_stateEbbT6_jjT7_P12ihipStream_tbENKUlT_T0_SI_SN_E_clISD_SD_SD_SD_EEDaS11_S12_SI_SN_EUlS11_E_NS1_11comp_targetILNS1_3genE2ELNS1_11target_archE906ELNS1_3gpuE6ELNS1_3repE0EEENS1_47radix_sort_onesweep_sort_config_static_selectorELNS0_4arch9wavefront6targetE1EEEvSI_: ; @_ZN7rocprim17ROCPRIM_400000_NS6detail17trampoline_kernelINS0_14default_configENS1_35radix_sort_onesweep_config_selectorIjjEEZZNS1_29radix_sort_onesweep_iterationIS3_Lb0EN6thrust23THRUST_200600_302600_NS6detail15normal_iteratorINS8_10device_ptrIjEEEESD_SD_SD_jNS0_19identity_decomposerENS1_16block_id_wrapperIjLb1EEEEE10hipError_tT1_PNSt15iterator_traitsISI_E10value_typeET2_T3_PNSJ_ISO_E10value_typeET4_T5_PST_SU_PNS1_23onesweep_lookback_stateEbbT6_jjT7_P12ihipStream_tbENKUlT_T0_SI_SN_E_clISD_SD_SD_SD_EEDaS11_S12_SI_SN_EUlS11_E_NS1_11comp_targetILNS1_3genE2ELNS1_11target_archE906ELNS1_3gpuE6ELNS1_3repE0EEENS1_47radix_sort_onesweep_sort_config_static_selectorELNS0_4arch9wavefront6targetE1EEEvSI_
; %bb.0:
	.section	.rodata,"a",@progbits
	.p2align	6, 0x0
	.amdhsa_kernel _ZN7rocprim17ROCPRIM_400000_NS6detail17trampoline_kernelINS0_14default_configENS1_35radix_sort_onesweep_config_selectorIjjEEZZNS1_29radix_sort_onesweep_iterationIS3_Lb0EN6thrust23THRUST_200600_302600_NS6detail15normal_iteratorINS8_10device_ptrIjEEEESD_SD_SD_jNS0_19identity_decomposerENS1_16block_id_wrapperIjLb1EEEEE10hipError_tT1_PNSt15iterator_traitsISI_E10value_typeET2_T3_PNSJ_ISO_E10value_typeET4_T5_PST_SU_PNS1_23onesweep_lookback_stateEbbT6_jjT7_P12ihipStream_tbENKUlT_T0_SI_SN_E_clISD_SD_SD_SD_EEDaS11_S12_SI_SN_EUlS11_E_NS1_11comp_targetILNS1_3genE2ELNS1_11target_archE906ELNS1_3gpuE6ELNS1_3repE0EEENS1_47radix_sort_onesweep_sort_config_static_selectorELNS0_4arch9wavefront6targetE1EEEvSI_
		.amdhsa_group_segment_fixed_size 0
		.amdhsa_private_segment_fixed_size 0
		.amdhsa_kernarg_size 88
		.amdhsa_user_sgpr_count 2
		.amdhsa_user_sgpr_dispatch_ptr 0
		.amdhsa_user_sgpr_queue_ptr 0
		.amdhsa_user_sgpr_kernarg_segment_ptr 1
		.amdhsa_user_sgpr_dispatch_id 0
		.amdhsa_user_sgpr_kernarg_preload_length 0
		.amdhsa_user_sgpr_kernarg_preload_offset 0
		.amdhsa_user_sgpr_private_segment_size 0
		.amdhsa_uses_dynamic_stack 0
		.amdhsa_enable_private_segment 0
		.amdhsa_system_sgpr_workgroup_id_x 1
		.amdhsa_system_sgpr_workgroup_id_y 0
		.amdhsa_system_sgpr_workgroup_id_z 0
		.amdhsa_system_sgpr_workgroup_info 0
		.amdhsa_system_vgpr_workitem_id 0
		.amdhsa_next_free_vgpr 1
		.amdhsa_next_free_sgpr 0
		.amdhsa_accum_offset 4
		.amdhsa_reserve_vcc 0
		.amdhsa_float_round_mode_32 0
		.amdhsa_float_round_mode_16_64 0
		.amdhsa_float_denorm_mode_32 3
		.amdhsa_float_denorm_mode_16_64 3
		.amdhsa_dx10_clamp 1
		.amdhsa_ieee_mode 1
		.amdhsa_fp16_overflow 0
		.amdhsa_tg_split 0
		.amdhsa_exception_fp_ieee_invalid_op 0
		.amdhsa_exception_fp_denorm_src 0
		.amdhsa_exception_fp_ieee_div_zero 0
		.amdhsa_exception_fp_ieee_overflow 0
		.amdhsa_exception_fp_ieee_underflow 0
		.amdhsa_exception_fp_ieee_inexact 0
		.amdhsa_exception_int_div_zero 0
	.end_amdhsa_kernel
	.section	.text._ZN7rocprim17ROCPRIM_400000_NS6detail17trampoline_kernelINS0_14default_configENS1_35radix_sort_onesweep_config_selectorIjjEEZZNS1_29radix_sort_onesweep_iterationIS3_Lb0EN6thrust23THRUST_200600_302600_NS6detail15normal_iteratorINS8_10device_ptrIjEEEESD_SD_SD_jNS0_19identity_decomposerENS1_16block_id_wrapperIjLb1EEEEE10hipError_tT1_PNSt15iterator_traitsISI_E10value_typeET2_T3_PNSJ_ISO_E10value_typeET4_T5_PST_SU_PNS1_23onesweep_lookback_stateEbbT6_jjT7_P12ihipStream_tbENKUlT_T0_SI_SN_E_clISD_SD_SD_SD_EEDaS11_S12_SI_SN_EUlS11_E_NS1_11comp_targetILNS1_3genE2ELNS1_11target_archE906ELNS1_3gpuE6ELNS1_3repE0EEENS1_47radix_sort_onesweep_sort_config_static_selectorELNS0_4arch9wavefront6targetE1EEEvSI_,"axG",@progbits,_ZN7rocprim17ROCPRIM_400000_NS6detail17trampoline_kernelINS0_14default_configENS1_35radix_sort_onesweep_config_selectorIjjEEZZNS1_29radix_sort_onesweep_iterationIS3_Lb0EN6thrust23THRUST_200600_302600_NS6detail15normal_iteratorINS8_10device_ptrIjEEEESD_SD_SD_jNS0_19identity_decomposerENS1_16block_id_wrapperIjLb1EEEEE10hipError_tT1_PNSt15iterator_traitsISI_E10value_typeET2_T3_PNSJ_ISO_E10value_typeET4_T5_PST_SU_PNS1_23onesweep_lookback_stateEbbT6_jjT7_P12ihipStream_tbENKUlT_T0_SI_SN_E_clISD_SD_SD_SD_EEDaS11_S12_SI_SN_EUlS11_E_NS1_11comp_targetILNS1_3genE2ELNS1_11target_archE906ELNS1_3gpuE6ELNS1_3repE0EEENS1_47radix_sort_onesweep_sort_config_static_selectorELNS0_4arch9wavefront6targetE1EEEvSI_,comdat
.Lfunc_end754:
	.size	_ZN7rocprim17ROCPRIM_400000_NS6detail17trampoline_kernelINS0_14default_configENS1_35radix_sort_onesweep_config_selectorIjjEEZZNS1_29radix_sort_onesweep_iterationIS3_Lb0EN6thrust23THRUST_200600_302600_NS6detail15normal_iteratorINS8_10device_ptrIjEEEESD_SD_SD_jNS0_19identity_decomposerENS1_16block_id_wrapperIjLb1EEEEE10hipError_tT1_PNSt15iterator_traitsISI_E10value_typeET2_T3_PNSJ_ISO_E10value_typeET4_T5_PST_SU_PNS1_23onesweep_lookback_stateEbbT6_jjT7_P12ihipStream_tbENKUlT_T0_SI_SN_E_clISD_SD_SD_SD_EEDaS11_S12_SI_SN_EUlS11_E_NS1_11comp_targetILNS1_3genE2ELNS1_11target_archE906ELNS1_3gpuE6ELNS1_3repE0EEENS1_47radix_sort_onesweep_sort_config_static_selectorELNS0_4arch9wavefront6targetE1EEEvSI_, .Lfunc_end754-_ZN7rocprim17ROCPRIM_400000_NS6detail17trampoline_kernelINS0_14default_configENS1_35radix_sort_onesweep_config_selectorIjjEEZZNS1_29radix_sort_onesweep_iterationIS3_Lb0EN6thrust23THRUST_200600_302600_NS6detail15normal_iteratorINS8_10device_ptrIjEEEESD_SD_SD_jNS0_19identity_decomposerENS1_16block_id_wrapperIjLb1EEEEE10hipError_tT1_PNSt15iterator_traitsISI_E10value_typeET2_T3_PNSJ_ISO_E10value_typeET4_T5_PST_SU_PNS1_23onesweep_lookback_stateEbbT6_jjT7_P12ihipStream_tbENKUlT_T0_SI_SN_E_clISD_SD_SD_SD_EEDaS11_S12_SI_SN_EUlS11_E_NS1_11comp_targetILNS1_3genE2ELNS1_11target_archE906ELNS1_3gpuE6ELNS1_3repE0EEENS1_47radix_sort_onesweep_sort_config_static_selectorELNS0_4arch9wavefront6targetE1EEEvSI_
                                        ; -- End function
	.set _ZN7rocprim17ROCPRIM_400000_NS6detail17trampoline_kernelINS0_14default_configENS1_35radix_sort_onesweep_config_selectorIjjEEZZNS1_29radix_sort_onesweep_iterationIS3_Lb0EN6thrust23THRUST_200600_302600_NS6detail15normal_iteratorINS8_10device_ptrIjEEEESD_SD_SD_jNS0_19identity_decomposerENS1_16block_id_wrapperIjLb1EEEEE10hipError_tT1_PNSt15iterator_traitsISI_E10value_typeET2_T3_PNSJ_ISO_E10value_typeET4_T5_PST_SU_PNS1_23onesweep_lookback_stateEbbT6_jjT7_P12ihipStream_tbENKUlT_T0_SI_SN_E_clISD_SD_SD_SD_EEDaS11_S12_SI_SN_EUlS11_E_NS1_11comp_targetILNS1_3genE2ELNS1_11target_archE906ELNS1_3gpuE6ELNS1_3repE0EEENS1_47radix_sort_onesweep_sort_config_static_selectorELNS0_4arch9wavefront6targetE1EEEvSI_.num_vgpr, 0
	.set _ZN7rocprim17ROCPRIM_400000_NS6detail17trampoline_kernelINS0_14default_configENS1_35radix_sort_onesweep_config_selectorIjjEEZZNS1_29radix_sort_onesweep_iterationIS3_Lb0EN6thrust23THRUST_200600_302600_NS6detail15normal_iteratorINS8_10device_ptrIjEEEESD_SD_SD_jNS0_19identity_decomposerENS1_16block_id_wrapperIjLb1EEEEE10hipError_tT1_PNSt15iterator_traitsISI_E10value_typeET2_T3_PNSJ_ISO_E10value_typeET4_T5_PST_SU_PNS1_23onesweep_lookback_stateEbbT6_jjT7_P12ihipStream_tbENKUlT_T0_SI_SN_E_clISD_SD_SD_SD_EEDaS11_S12_SI_SN_EUlS11_E_NS1_11comp_targetILNS1_3genE2ELNS1_11target_archE906ELNS1_3gpuE6ELNS1_3repE0EEENS1_47radix_sort_onesweep_sort_config_static_selectorELNS0_4arch9wavefront6targetE1EEEvSI_.num_agpr, 0
	.set _ZN7rocprim17ROCPRIM_400000_NS6detail17trampoline_kernelINS0_14default_configENS1_35radix_sort_onesweep_config_selectorIjjEEZZNS1_29radix_sort_onesweep_iterationIS3_Lb0EN6thrust23THRUST_200600_302600_NS6detail15normal_iteratorINS8_10device_ptrIjEEEESD_SD_SD_jNS0_19identity_decomposerENS1_16block_id_wrapperIjLb1EEEEE10hipError_tT1_PNSt15iterator_traitsISI_E10value_typeET2_T3_PNSJ_ISO_E10value_typeET4_T5_PST_SU_PNS1_23onesweep_lookback_stateEbbT6_jjT7_P12ihipStream_tbENKUlT_T0_SI_SN_E_clISD_SD_SD_SD_EEDaS11_S12_SI_SN_EUlS11_E_NS1_11comp_targetILNS1_3genE2ELNS1_11target_archE906ELNS1_3gpuE6ELNS1_3repE0EEENS1_47radix_sort_onesweep_sort_config_static_selectorELNS0_4arch9wavefront6targetE1EEEvSI_.numbered_sgpr, 0
	.set _ZN7rocprim17ROCPRIM_400000_NS6detail17trampoline_kernelINS0_14default_configENS1_35radix_sort_onesweep_config_selectorIjjEEZZNS1_29radix_sort_onesweep_iterationIS3_Lb0EN6thrust23THRUST_200600_302600_NS6detail15normal_iteratorINS8_10device_ptrIjEEEESD_SD_SD_jNS0_19identity_decomposerENS1_16block_id_wrapperIjLb1EEEEE10hipError_tT1_PNSt15iterator_traitsISI_E10value_typeET2_T3_PNSJ_ISO_E10value_typeET4_T5_PST_SU_PNS1_23onesweep_lookback_stateEbbT6_jjT7_P12ihipStream_tbENKUlT_T0_SI_SN_E_clISD_SD_SD_SD_EEDaS11_S12_SI_SN_EUlS11_E_NS1_11comp_targetILNS1_3genE2ELNS1_11target_archE906ELNS1_3gpuE6ELNS1_3repE0EEENS1_47radix_sort_onesweep_sort_config_static_selectorELNS0_4arch9wavefront6targetE1EEEvSI_.num_named_barrier, 0
	.set _ZN7rocprim17ROCPRIM_400000_NS6detail17trampoline_kernelINS0_14default_configENS1_35radix_sort_onesweep_config_selectorIjjEEZZNS1_29radix_sort_onesweep_iterationIS3_Lb0EN6thrust23THRUST_200600_302600_NS6detail15normal_iteratorINS8_10device_ptrIjEEEESD_SD_SD_jNS0_19identity_decomposerENS1_16block_id_wrapperIjLb1EEEEE10hipError_tT1_PNSt15iterator_traitsISI_E10value_typeET2_T3_PNSJ_ISO_E10value_typeET4_T5_PST_SU_PNS1_23onesweep_lookback_stateEbbT6_jjT7_P12ihipStream_tbENKUlT_T0_SI_SN_E_clISD_SD_SD_SD_EEDaS11_S12_SI_SN_EUlS11_E_NS1_11comp_targetILNS1_3genE2ELNS1_11target_archE906ELNS1_3gpuE6ELNS1_3repE0EEENS1_47radix_sort_onesweep_sort_config_static_selectorELNS0_4arch9wavefront6targetE1EEEvSI_.private_seg_size, 0
	.set _ZN7rocprim17ROCPRIM_400000_NS6detail17trampoline_kernelINS0_14default_configENS1_35radix_sort_onesweep_config_selectorIjjEEZZNS1_29radix_sort_onesweep_iterationIS3_Lb0EN6thrust23THRUST_200600_302600_NS6detail15normal_iteratorINS8_10device_ptrIjEEEESD_SD_SD_jNS0_19identity_decomposerENS1_16block_id_wrapperIjLb1EEEEE10hipError_tT1_PNSt15iterator_traitsISI_E10value_typeET2_T3_PNSJ_ISO_E10value_typeET4_T5_PST_SU_PNS1_23onesweep_lookback_stateEbbT6_jjT7_P12ihipStream_tbENKUlT_T0_SI_SN_E_clISD_SD_SD_SD_EEDaS11_S12_SI_SN_EUlS11_E_NS1_11comp_targetILNS1_3genE2ELNS1_11target_archE906ELNS1_3gpuE6ELNS1_3repE0EEENS1_47radix_sort_onesweep_sort_config_static_selectorELNS0_4arch9wavefront6targetE1EEEvSI_.uses_vcc, 0
	.set _ZN7rocprim17ROCPRIM_400000_NS6detail17trampoline_kernelINS0_14default_configENS1_35radix_sort_onesweep_config_selectorIjjEEZZNS1_29radix_sort_onesweep_iterationIS3_Lb0EN6thrust23THRUST_200600_302600_NS6detail15normal_iteratorINS8_10device_ptrIjEEEESD_SD_SD_jNS0_19identity_decomposerENS1_16block_id_wrapperIjLb1EEEEE10hipError_tT1_PNSt15iterator_traitsISI_E10value_typeET2_T3_PNSJ_ISO_E10value_typeET4_T5_PST_SU_PNS1_23onesweep_lookback_stateEbbT6_jjT7_P12ihipStream_tbENKUlT_T0_SI_SN_E_clISD_SD_SD_SD_EEDaS11_S12_SI_SN_EUlS11_E_NS1_11comp_targetILNS1_3genE2ELNS1_11target_archE906ELNS1_3gpuE6ELNS1_3repE0EEENS1_47radix_sort_onesweep_sort_config_static_selectorELNS0_4arch9wavefront6targetE1EEEvSI_.uses_flat_scratch, 0
	.set _ZN7rocprim17ROCPRIM_400000_NS6detail17trampoline_kernelINS0_14default_configENS1_35radix_sort_onesweep_config_selectorIjjEEZZNS1_29radix_sort_onesweep_iterationIS3_Lb0EN6thrust23THRUST_200600_302600_NS6detail15normal_iteratorINS8_10device_ptrIjEEEESD_SD_SD_jNS0_19identity_decomposerENS1_16block_id_wrapperIjLb1EEEEE10hipError_tT1_PNSt15iterator_traitsISI_E10value_typeET2_T3_PNSJ_ISO_E10value_typeET4_T5_PST_SU_PNS1_23onesweep_lookback_stateEbbT6_jjT7_P12ihipStream_tbENKUlT_T0_SI_SN_E_clISD_SD_SD_SD_EEDaS11_S12_SI_SN_EUlS11_E_NS1_11comp_targetILNS1_3genE2ELNS1_11target_archE906ELNS1_3gpuE6ELNS1_3repE0EEENS1_47radix_sort_onesweep_sort_config_static_selectorELNS0_4arch9wavefront6targetE1EEEvSI_.has_dyn_sized_stack, 0
	.set _ZN7rocprim17ROCPRIM_400000_NS6detail17trampoline_kernelINS0_14default_configENS1_35radix_sort_onesweep_config_selectorIjjEEZZNS1_29radix_sort_onesweep_iterationIS3_Lb0EN6thrust23THRUST_200600_302600_NS6detail15normal_iteratorINS8_10device_ptrIjEEEESD_SD_SD_jNS0_19identity_decomposerENS1_16block_id_wrapperIjLb1EEEEE10hipError_tT1_PNSt15iterator_traitsISI_E10value_typeET2_T3_PNSJ_ISO_E10value_typeET4_T5_PST_SU_PNS1_23onesweep_lookback_stateEbbT6_jjT7_P12ihipStream_tbENKUlT_T0_SI_SN_E_clISD_SD_SD_SD_EEDaS11_S12_SI_SN_EUlS11_E_NS1_11comp_targetILNS1_3genE2ELNS1_11target_archE906ELNS1_3gpuE6ELNS1_3repE0EEENS1_47radix_sort_onesweep_sort_config_static_selectorELNS0_4arch9wavefront6targetE1EEEvSI_.has_recursion, 0
	.set _ZN7rocprim17ROCPRIM_400000_NS6detail17trampoline_kernelINS0_14default_configENS1_35radix_sort_onesweep_config_selectorIjjEEZZNS1_29radix_sort_onesweep_iterationIS3_Lb0EN6thrust23THRUST_200600_302600_NS6detail15normal_iteratorINS8_10device_ptrIjEEEESD_SD_SD_jNS0_19identity_decomposerENS1_16block_id_wrapperIjLb1EEEEE10hipError_tT1_PNSt15iterator_traitsISI_E10value_typeET2_T3_PNSJ_ISO_E10value_typeET4_T5_PST_SU_PNS1_23onesweep_lookback_stateEbbT6_jjT7_P12ihipStream_tbENKUlT_T0_SI_SN_E_clISD_SD_SD_SD_EEDaS11_S12_SI_SN_EUlS11_E_NS1_11comp_targetILNS1_3genE2ELNS1_11target_archE906ELNS1_3gpuE6ELNS1_3repE0EEENS1_47radix_sort_onesweep_sort_config_static_selectorELNS0_4arch9wavefront6targetE1EEEvSI_.has_indirect_call, 0
	.section	.AMDGPU.csdata,"",@progbits
; Kernel info:
; codeLenInByte = 0
; TotalNumSgprs: 6
; NumVgprs: 0
; NumAgprs: 0
; TotalNumVgprs: 0
; ScratchSize: 0
; MemoryBound: 0
; FloatMode: 240
; IeeeMode: 1
; LDSByteSize: 0 bytes/workgroup (compile time only)
; SGPRBlocks: 0
; VGPRBlocks: 0
; NumSGPRsForWavesPerEU: 6
; NumVGPRsForWavesPerEU: 1
; AccumOffset: 4
; Occupancy: 8
; WaveLimiterHint : 0
; COMPUTE_PGM_RSRC2:SCRATCH_EN: 0
; COMPUTE_PGM_RSRC2:USER_SGPR: 2
; COMPUTE_PGM_RSRC2:TRAP_HANDLER: 0
; COMPUTE_PGM_RSRC2:TGID_X_EN: 1
; COMPUTE_PGM_RSRC2:TGID_Y_EN: 0
; COMPUTE_PGM_RSRC2:TGID_Z_EN: 0
; COMPUTE_PGM_RSRC2:TIDIG_COMP_CNT: 0
; COMPUTE_PGM_RSRC3_GFX90A:ACCUM_OFFSET: 0
; COMPUTE_PGM_RSRC3_GFX90A:TG_SPLIT: 0
	.section	.text._ZN7rocprim17ROCPRIM_400000_NS6detail17trampoline_kernelINS0_14default_configENS1_35radix_sort_onesweep_config_selectorIjjEEZZNS1_29radix_sort_onesweep_iterationIS3_Lb0EN6thrust23THRUST_200600_302600_NS6detail15normal_iteratorINS8_10device_ptrIjEEEESD_SD_SD_jNS0_19identity_decomposerENS1_16block_id_wrapperIjLb1EEEEE10hipError_tT1_PNSt15iterator_traitsISI_E10value_typeET2_T3_PNSJ_ISO_E10value_typeET4_T5_PST_SU_PNS1_23onesweep_lookback_stateEbbT6_jjT7_P12ihipStream_tbENKUlT_T0_SI_SN_E_clISD_SD_SD_SD_EEDaS11_S12_SI_SN_EUlS11_E_NS1_11comp_targetILNS1_3genE4ELNS1_11target_archE910ELNS1_3gpuE8ELNS1_3repE0EEENS1_47radix_sort_onesweep_sort_config_static_selectorELNS0_4arch9wavefront6targetE1EEEvSI_,"axG",@progbits,_ZN7rocprim17ROCPRIM_400000_NS6detail17trampoline_kernelINS0_14default_configENS1_35radix_sort_onesweep_config_selectorIjjEEZZNS1_29radix_sort_onesweep_iterationIS3_Lb0EN6thrust23THRUST_200600_302600_NS6detail15normal_iteratorINS8_10device_ptrIjEEEESD_SD_SD_jNS0_19identity_decomposerENS1_16block_id_wrapperIjLb1EEEEE10hipError_tT1_PNSt15iterator_traitsISI_E10value_typeET2_T3_PNSJ_ISO_E10value_typeET4_T5_PST_SU_PNS1_23onesweep_lookback_stateEbbT6_jjT7_P12ihipStream_tbENKUlT_T0_SI_SN_E_clISD_SD_SD_SD_EEDaS11_S12_SI_SN_EUlS11_E_NS1_11comp_targetILNS1_3genE4ELNS1_11target_archE910ELNS1_3gpuE8ELNS1_3repE0EEENS1_47radix_sort_onesweep_sort_config_static_selectorELNS0_4arch9wavefront6targetE1EEEvSI_,comdat
	.protected	_ZN7rocprim17ROCPRIM_400000_NS6detail17trampoline_kernelINS0_14default_configENS1_35radix_sort_onesweep_config_selectorIjjEEZZNS1_29radix_sort_onesweep_iterationIS3_Lb0EN6thrust23THRUST_200600_302600_NS6detail15normal_iteratorINS8_10device_ptrIjEEEESD_SD_SD_jNS0_19identity_decomposerENS1_16block_id_wrapperIjLb1EEEEE10hipError_tT1_PNSt15iterator_traitsISI_E10value_typeET2_T3_PNSJ_ISO_E10value_typeET4_T5_PST_SU_PNS1_23onesweep_lookback_stateEbbT6_jjT7_P12ihipStream_tbENKUlT_T0_SI_SN_E_clISD_SD_SD_SD_EEDaS11_S12_SI_SN_EUlS11_E_NS1_11comp_targetILNS1_3genE4ELNS1_11target_archE910ELNS1_3gpuE8ELNS1_3repE0EEENS1_47radix_sort_onesweep_sort_config_static_selectorELNS0_4arch9wavefront6targetE1EEEvSI_ ; -- Begin function _ZN7rocprim17ROCPRIM_400000_NS6detail17trampoline_kernelINS0_14default_configENS1_35radix_sort_onesweep_config_selectorIjjEEZZNS1_29radix_sort_onesweep_iterationIS3_Lb0EN6thrust23THRUST_200600_302600_NS6detail15normal_iteratorINS8_10device_ptrIjEEEESD_SD_SD_jNS0_19identity_decomposerENS1_16block_id_wrapperIjLb1EEEEE10hipError_tT1_PNSt15iterator_traitsISI_E10value_typeET2_T3_PNSJ_ISO_E10value_typeET4_T5_PST_SU_PNS1_23onesweep_lookback_stateEbbT6_jjT7_P12ihipStream_tbENKUlT_T0_SI_SN_E_clISD_SD_SD_SD_EEDaS11_S12_SI_SN_EUlS11_E_NS1_11comp_targetILNS1_3genE4ELNS1_11target_archE910ELNS1_3gpuE8ELNS1_3repE0EEENS1_47radix_sort_onesweep_sort_config_static_selectorELNS0_4arch9wavefront6targetE1EEEvSI_
	.globl	_ZN7rocprim17ROCPRIM_400000_NS6detail17trampoline_kernelINS0_14default_configENS1_35radix_sort_onesweep_config_selectorIjjEEZZNS1_29radix_sort_onesweep_iterationIS3_Lb0EN6thrust23THRUST_200600_302600_NS6detail15normal_iteratorINS8_10device_ptrIjEEEESD_SD_SD_jNS0_19identity_decomposerENS1_16block_id_wrapperIjLb1EEEEE10hipError_tT1_PNSt15iterator_traitsISI_E10value_typeET2_T3_PNSJ_ISO_E10value_typeET4_T5_PST_SU_PNS1_23onesweep_lookback_stateEbbT6_jjT7_P12ihipStream_tbENKUlT_T0_SI_SN_E_clISD_SD_SD_SD_EEDaS11_S12_SI_SN_EUlS11_E_NS1_11comp_targetILNS1_3genE4ELNS1_11target_archE910ELNS1_3gpuE8ELNS1_3repE0EEENS1_47radix_sort_onesweep_sort_config_static_selectorELNS0_4arch9wavefront6targetE1EEEvSI_
	.p2align	8
	.type	_ZN7rocprim17ROCPRIM_400000_NS6detail17trampoline_kernelINS0_14default_configENS1_35radix_sort_onesweep_config_selectorIjjEEZZNS1_29radix_sort_onesweep_iterationIS3_Lb0EN6thrust23THRUST_200600_302600_NS6detail15normal_iteratorINS8_10device_ptrIjEEEESD_SD_SD_jNS0_19identity_decomposerENS1_16block_id_wrapperIjLb1EEEEE10hipError_tT1_PNSt15iterator_traitsISI_E10value_typeET2_T3_PNSJ_ISO_E10value_typeET4_T5_PST_SU_PNS1_23onesweep_lookback_stateEbbT6_jjT7_P12ihipStream_tbENKUlT_T0_SI_SN_E_clISD_SD_SD_SD_EEDaS11_S12_SI_SN_EUlS11_E_NS1_11comp_targetILNS1_3genE4ELNS1_11target_archE910ELNS1_3gpuE8ELNS1_3repE0EEENS1_47radix_sort_onesweep_sort_config_static_selectorELNS0_4arch9wavefront6targetE1EEEvSI_,@function
_ZN7rocprim17ROCPRIM_400000_NS6detail17trampoline_kernelINS0_14default_configENS1_35radix_sort_onesweep_config_selectorIjjEEZZNS1_29radix_sort_onesweep_iterationIS3_Lb0EN6thrust23THRUST_200600_302600_NS6detail15normal_iteratorINS8_10device_ptrIjEEEESD_SD_SD_jNS0_19identity_decomposerENS1_16block_id_wrapperIjLb1EEEEE10hipError_tT1_PNSt15iterator_traitsISI_E10value_typeET2_T3_PNSJ_ISO_E10value_typeET4_T5_PST_SU_PNS1_23onesweep_lookback_stateEbbT6_jjT7_P12ihipStream_tbENKUlT_T0_SI_SN_E_clISD_SD_SD_SD_EEDaS11_S12_SI_SN_EUlS11_E_NS1_11comp_targetILNS1_3genE4ELNS1_11target_archE910ELNS1_3gpuE8ELNS1_3repE0EEENS1_47radix_sort_onesweep_sort_config_static_selectorELNS0_4arch9wavefront6targetE1EEEvSI_: ; @_ZN7rocprim17ROCPRIM_400000_NS6detail17trampoline_kernelINS0_14default_configENS1_35radix_sort_onesweep_config_selectorIjjEEZZNS1_29radix_sort_onesweep_iterationIS3_Lb0EN6thrust23THRUST_200600_302600_NS6detail15normal_iteratorINS8_10device_ptrIjEEEESD_SD_SD_jNS0_19identity_decomposerENS1_16block_id_wrapperIjLb1EEEEE10hipError_tT1_PNSt15iterator_traitsISI_E10value_typeET2_T3_PNSJ_ISO_E10value_typeET4_T5_PST_SU_PNS1_23onesweep_lookback_stateEbbT6_jjT7_P12ihipStream_tbENKUlT_T0_SI_SN_E_clISD_SD_SD_SD_EEDaS11_S12_SI_SN_EUlS11_E_NS1_11comp_targetILNS1_3genE4ELNS1_11target_archE910ELNS1_3gpuE8ELNS1_3repE0EEENS1_47radix_sort_onesweep_sort_config_static_selectorELNS0_4arch9wavefront6targetE1EEEvSI_
; %bb.0:
	.section	.rodata,"a",@progbits
	.p2align	6, 0x0
	.amdhsa_kernel _ZN7rocprim17ROCPRIM_400000_NS6detail17trampoline_kernelINS0_14default_configENS1_35radix_sort_onesweep_config_selectorIjjEEZZNS1_29radix_sort_onesweep_iterationIS3_Lb0EN6thrust23THRUST_200600_302600_NS6detail15normal_iteratorINS8_10device_ptrIjEEEESD_SD_SD_jNS0_19identity_decomposerENS1_16block_id_wrapperIjLb1EEEEE10hipError_tT1_PNSt15iterator_traitsISI_E10value_typeET2_T3_PNSJ_ISO_E10value_typeET4_T5_PST_SU_PNS1_23onesweep_lookback_stateEbbT6_jjT7_P12ihipStream_tbENKUlT_T0_SI_SN_E_clISD_SD_SD_SD_EEDaS11_S12_SI_SN_EUlS11_E_NS1_11comp_targetILNS1_3genE4ELNS1_11target_archE910ELNS1_3gpuE8ELNS1_3repE0EEENS1_47radix_sort_onesweep_sort_config_static_selectorELNS0_4arch9wavefront6targetE1EEEvSI_
		.amdhsa_group_segment_fixed_size 0
		.amdhsa_private_segment_fixed_size 0
		.amdhsa_kernarg_size 88
		.amdhsa_user_sgpr_count 2
		.amdhsa_user_sgpr_dispatch_ptr 0
		.amdhsa_user_sgpr_queue_ptr 0
		.amdhsa_user_sgpr_kernarg_segment_ptr 1
		.amdhsa_user_sgpr_dispatch_id 0
		.amdhsa_user_sgpr_kernarg_preload_length 0
		.amdhsa_user_sgpr_kernarg_preload_offset 0
		.amdhsa_user_sgpr_private_segment_size 0
		.amdhsa_uses_dynamic_stack 0
		.amdhsa_enable_private_segment 0
		.amdhsa_system_sgpr_workgroup_id_x 1
		.amdhsa_system_sgpr_workgroup_id_y 0
		.amdhsa_system_sgpr_workgroup_id_z 0
		.amdhsa_system_sgpr_workgroup_info 0
		.amdhsa_system_vgpr_workitem_id 0
		.amdhsa_next_free_vgpr 1
		.amdhsa_next_free_sgpr 0
		.amdhsa_accum_offset 4
		.amdhsa_reserve_vcc 0
		.amdhsa_float_round_mode_32 0
		.amdhsa_float_round_mode_16_64 0
		.amdhsa_float_denorm_mode_32 3
		.amdhsa_float_denorm_mode_16_64 3
		.amdhsa_dx10_clamp 1
		.amdhsa_ieee_mode 1
		.amdhsa_fp16_overflow 0
		.amdhsa_tg_split 0
		.amdhsa_exception_fp_ieee_invalid_op 0
		.amdhsa_exception_fp_denorm_src 0
		.amdhsa_exception_fp_ieee_div_zero 0
		.amdhsa_exception_fp_ieee_overflow 0
		.amdhsa_exception_fp_ieee_underflow 0
		.amdhsa_exception_fp_ieee_inexact 0
		.amdhsa_exception_int_div_zero 0
	.end_amdhsa_kernel
	.section	.text._ZN7rocprim17ROCPRIM_400000_NS6detail17trampoline_kernelINS0_14default_configENS1_35radix_sort_onesweep_config_selectorIjjEEZZNS1_29radix_sort_onesweep_iterationIS3_Lb0EN6thrust23THRUST_200600_302600_NS6detail15normal_iteratorINS8_10device_ptrIjEEEESD_SD_SD_jNS0_19identity_decomposerENS1_16block_id_wrapperIjLb1EEEEE10hipError_tT1_PNSt15iterator_traitsISI_E10value_typeET2_T3_PNSJ_ISO_E10value_typeET4_T5_PST_SU_PNS1_23onesweep_lookback_stateEbbT6_jjT7_P12ihipStream_tbENKUlT_T0_SI_SN_E_clISD_SD_SD_SD_EEDaS11_S12_SI_SN_EUlS11_E_NS1_11comp_targetILNS1_3genE4ELNS1_11target_archE910ELNS1_3gpuE8ELNS1_3repE0EEENS1_47radix_sort_onesweep_sort_config_static_selectorELNS0_4arch9wavefront6targetE1EEEvSI_,"axG",@progbits,_ZN7rocprim17ROCPRIM_400000_NS6detail17trampoline_kernelINS0_14default_configENS1_35radix_sort_onesweep_config_selectorIjjEEZZNS1_29radix_sort_onesweep_iterationIS3_Lb0EN6thrust23THRUST_200600_302600_NS6detail15normal_iteratorINS8_10device_ptrIjEEEESD_SD_SD_jNS0_19identity_decomposerENS1_16block_id_wrapperIjLb1EEEEE10hipError_tT1_PNSt15iterator_traitsISI_E10value_typeET2_T3_PNSJ_ISO_E10value_typeET4_T5_PST_SU_PNS1_23onesweep_lookback_stateEbbT6_jjT7_P12ihipStream_tbENKUlT_T0_SI_SN_E_clISD_SD_SD_SD_EEDaS11_S12_SI_SN_EUlS11_E_NS1_11comp_targetILNS1_3genE4ELNS1_11target_archE910ELNS1_3gpuE8ELNS1_3repE0EEENS1_47radix_sort_onesweep_sort_config_static_selectorELNS0_4arch9wavefront6targetE1EEEvSI_,comdat
.Lfunc_end755:
	.size	_ZN7rocprim17ROCPRIM_400000_NS6detail17trampoline_kernelINS0_14default_configENS1_35radix_sort_onesweep_config_selectorIjjEEZZNS1_29radix_sort_onesweep_iterationIS3_Lb0EN6thrust23THRUST_200600_302600_NS6detail15normal_iteratorINS8_10device_ptrIjEEEESD_SD_SD_jNS0_19identity_decomposerENS1_16block_id_wrapperIjLb1EEEEE10hipError_tT1_PNSt15iterator_traitsISI_E10value_typeET2_T3_PNSJ_ISO_E10value_typeET4_T5_PST_SU_PNS1_23onesweep_lookback_stateEbbT6_jjT7_P12ihipStream_tbENKUlT_T0_SI_SN_E_clISD_SD_SD_SD_EEDaS11_S12_SI_SN_EUlS11_E_NS1_11comp_targetILNS1_3genE4ELNS1_11target_archE910ELNS1_3gpuE8ELNS1_3repE0EEENS1_47radix_sort_onesweep_sort_config_static_selectorELNS0_4arch9wavefront6targetE1EEEvSI_, .Lfunc_end755-_ZN7rocprim17ROCPRIM_400000_NS6detail17trampoline_kernelINS0_14default_configENS1_35radix_sort_onesweep_config_selectorIjjEEZZNS1_29radix_sort_onesweep_iterationIS3_Lb0EN6thrust23THRUST_200600_302600_NS6detail15normal_iteratorINS8_10device_ptrIjEEEESD_SD_SD_jNS0_19identity_decomposerENS1_16block_id_wrapperIjLb1EEEEE10hipError_tT1_PNSt15iterator_traitsISI_E10value_typeET2_T3_PNSJ_ISO_E10value_typeET4_T5_PST_SU_PNS1_23onesweep_lookback_stateEbbT6_jjT7_P12ihipStream_tbENKUlT_T0_SI_SN_E_clISD_SD_SD_SD_EEDaS11_S12_SI_SN_EUlS11_E_NS1_11comp_targetILNS1_3genE4ELNS1_11target_archE910ELNS1_3gpuE8ELNS1_3repE0EEENS1_47radix_sort_onesweep_sort_config_static_selectorELNS0_4arch9wavefront6targetE1EEEvSI_
                                        ; -- End function
	.set _ZN7rocprim17ROCPRIM_400000_NS6detail17trampoline_kernelINS0_14default_configENS1_35radix_sort_onesweep_config_selectorIjjEEZZNS1_29radix_sort_onesweep_iterationIS3_Lb0EN6thrust23THRUST_200600_302600_NS6detail15normal_iteratorINS8_10device_ptrIjEEEESD_SD_SD_jNS0_19identity_decomposerENS1_16block_id_wrapperIjLb1EEEEE10hipError_tT1_PNSt15iterator_traitsISI_E10value_typeET2_T3_PNSJ_ISO_E10value_typeET4_T5_PST_SU_PNS1_23onesweep_lookback_stateEbbT6_jjT7_P12ihipStream_tbENKUlT_T0_SI_SN_E_clISD_SD_SD_SD_EEDaS11_S12_SI_SN_EUlS11_E_NS1_11comp_targetILNS1_3genE4ELNS1_11target_archE910ELNS1_3gpuE8ELNS1_3repE0EEENS1_47radix_sort_onesweep_sort_config_static_selectorELNS0_4arch9wavefront6targetE1EEEvSI_.num_vgpr, 0
	.set _ZN7rocprim17ROCPRIM_400000_NS6detail17trampoline_kernelINS0_14default_configENS1_35radix_sort_onesweep_config_selectorIjjEEZZNS1_29radix_sort_onesweep_iterationIS3_Lb0EN6thrust23THRUST_200600_302600_NS6detail15normal_iteratorINS8_10device_ptrIjEEEESD_SD_SD_jNS0_19identity_decomposerENS1_16block_id_wrapperIjLb1EEEEE10hipError_tT1_PNSt15iterator_traitsISI_E10value_typeET2_T3_PNSJ_ISO_E10value_typeET4_T5_PST_SU_PNS1_23onesweep_lookback_stateEbbT6_jjT7_P12ihipStream_tbENKUlT_T0_SI_SN_E_clISD_SD_SD_SD_EEDaS11_S12_SI_SN_EUlS11_E_NS1_11comp_targetILNS1_3genE4ELNS1_11target_archE910ELNS1_3gpuE8ELNS1_3repE0EEENS1_47radix_sort_onesweep_sort_config_static_selectorELNS0_4arch9wavefront6targetE1EEEvSI_.num_agpr, 0
	.set _ZN7rocprim17ROCPRIM_400000_NS6detail17trampoline_kernelINS0_14default_configENS1_35radix_sort_onesweep_config_selectorIjjEEZZNS1_29radix_sort_onesweep_iterationIS3_Lb0EN6thrust23THRUST_200600_302600_NS6detail15normal_iteratorINS8_10device_ptrIjEEEESD_SD_SD_jNS0_19identity_decomposerENS1_16block_id_wrapperIjLb1EEEEE10hipError_tT1_PNSt15iterator_traitsISI_E10value_typeET2_T3_PNSJ_ISO_E10value_typeET4_T5_PST_SU_PNS1_23onesweep_lookback_stateEbbT6_jjT7_P12ihipStream_tbENKUlT_T0_SI_SN_E_clISD_SD_SD_SD_EEDaS11_S12_SI_SN_EUlS11_E_NS1_11comp_targetILNS1_3genE4ELNS1_11target_archE910ELNS1_3gpuE8ELNS1_3repE0EEENS1_47radix_sort_onesweep_sort_config_static_selectorELNS0_4arch9wavefront6targetE1EEEvSI_.numbered_sgpr, 0
	.set _ZN7rocprim17ROCPRIM_400000_NS6detail17trampoline_kernelINS0_14default_configENS1_35radix_sort_onesweep_config_selectorIjjEEZZNS1_29radix_sort_onesweep_iterationIS3_Lb0EN6thrust23THRUST_200600_302600_NS6detail15normal_iteratorINS8_10device_ptrIjEEEESD_SD_SD_jNS0_19identity_decomposerENS1_16block_id_wrapperIjLb1EEEEE10hipError_tT1_PNSt15iterator_traitsISI_E10value_typeET2_T3_PNSJ_ISO_E10value_typeET4_T5_PST_SU_PNS1_23onesweep_lookback_stateEbbT6_jjT7_P12ihipStream_tbENKUlT_T0_SI_SN_E_clISD_SD_SD_SD_EEDaS11_S12_SI_SN_EUlS11_E_NS1_11comp_targetILNS1_3genE4ELNS1_11target_archE910ELNS1_3gpuE8ELNS1_3repE0EEENS1_47radix_sort_onesweep_sort_config_static_selectorELNS0_4arch9wavefront6targetE1EEEvSI_.num_named_barrier, 0
	.set _ZN7rocprim17ROCPRIM_400000_NS6detail17trampoline_kernelINS0_14default_configENS1_35radix_sort_onesweep_config_selectorIjjEEZZNS1_29radix_sort_onesweep_iterationIS3_Lb0EN6thrust23THRUST_200600_302600_NS6detail15normal_iteratorINS8_10device_ptrIjEEEESD_SD_SD_jNS0_19identity_decomposerENS1_16block_id_wrapperIjLb1EEEEE10hipError_tT1_PNSt15iterator_traitsISI_E10value_typeET2_T3_PNSJ_ISO_E10value_typeET4_T5_PST_SU_PNS1_23onesweep_lookback_stateEbbT6_jjT7_P12ihipStream_tbENKUlT_T0_SI_SN_E_clISD_SD_SD_SD_EEDaS11_S12_SI_SN_EUlS11_E_NS1_11comp_targetILNS1_3genE4ELNS1_11target_archE910ELNS1_3gpuE8ELNS1_3repE0EEENS1_47radix_sort_onesweep_sort_config_static_selectorELNS0_4arch9wavefront6targetE1EEEvSI_.private_seg_size, 0
	.set _ZN7rocprim17ROCPRIM_400000_NS6detail17trampoline_kernelINS0_14default_configENS1_35radix_sort_onesweep_config_selectorIjjEEZZNS1_29radix_sort_onesweep_iterationIS3_Lb0EN6thrust23THRUST_200600_302600_NS6detail15normal_iteratorINS8_10device_ptrIjEEEESD_SD_SD_jNS0_19identity_decomposerENS1_16block_id_wrapperIjLb1EEEEE10hipError_tT1_PNSt15iterator_traitsISI_E10value_typeET2_T3_PNSJ_ISO_E10value_typeET4_T5_PST_SU_PNS1_23onesweep_lookback_stateEbbT6_jjT7_P12ihipStream_tbENKUlT_T0_SI_SN_E_clISD_SD_SD_SD_EEDaS11_S12_SI_SN_EUlS11_E_NS1_11comp_targetILNS1_3genE4ELNS1_11target_archE910ELNS1_3gpuE8ELNS1_3repE0EEENS1_47radix_sort_onesweep_sort_config_static_selectorELNS0_4arch9wavefront6targetE1EEEvSI_.uses_vcc, 0
	.set _ZN7rocprim17ROCPRIM_400000_NS6detail17trampoline_kernelINS0_14default_configENS1_35radix_sort_onesweep_config_selectorIjjEEZZNS1_29radix_sort_onesweep_iterationIS3_Lb0EN6thrust23THRUST_200600_302600_NS6detail15normal_iteratorINS8_10device_ptrIjEEEESD_SD_SD_jNS0_19identity_decomposerENS1_16block_id_wrapperIjLb1EEEEE10hipError_tT1_PNSt15iterator_traitsISI_E10value_typeET2_T3_PNSJ_ISO_E10value_typeET4_T5_PST_SU_PNS1_23onesweep_lookback_stateEbbT6_jjT7_P12ihipStream_tbENKUlT_T0_SI_SN_E_clISD_SD_SD_SD_EEDaS11_S12_SI_SN_EUlS11_E_NS1_11comp_targetILNS1_3genE4ELNS1_11target_archE910ELNS1_3gpuE8ELNS1_3repE0EEENS1_47radix_sort_onesweep_sort_config_static_selectorELNS0_4arch9wavefront6targetE1EEEvSI_.uses_flat_scratch, 0
	.set _ZN7rocprim17ROCPRIM_400000_NS6detail17trampoline_kernelINS0_14default_configENS1_35radix_sort_onesweep_config_selectorIjjEEZZNS1_29radix_sort_onesweep_iterationIS3_Lb0EN6thrust23THRUST_200600_302600_NS6detail15normal_iteratorINS8_10device_ptrIjEEEESD_SD_SD_jNS0_19identity_decomposerENS1_16block_id_wrapperIjLb1EEEEE10hipError_tT1_PNSt15iterator_traitsISI_E10value_typeET2_T3_PNSJ_ISO_E10value_typeET4_T5_PST_SU_PNS1_23onesweep_lookback_stateEbbT6_jjT7_P12ihipStream_tbENKUlT_T0_SI_SN_E_clISD_SD_SD_SD_EEDaS11_S12_SI_SN_EUlS11_E_NS1_11comp_targetILNS1_3genE4ELNS1_11target_archE910ELNS1_3gpuE8ELNS1_3repE0EEENS1_47radix_sort_onesweep_sort_config_static_selectorELNS0_4arch9wavefront6targetE1EEEvSI_.has_dyn_sized_stack, 0
	.set _ZN7rocprim17ROCPRIM_400000_NS6detail17trampoline_kernelINS0_14default_configENS1_35radix_sort_onesweep_config_selectorIjjEEZZNS1_29radix_sort_onesweep_iterationIS3_Lb0EN6thrust23THRUST_200600_302600_NS6detail15normal_iteratorINS8_10device_ptrIjEEEESD_SD_SD_jNS0_19identity_decomposerENS1_16block_id_wrapperIjLb1EEEEE10hipError_tT1_PNSt15iterator_traitsISI_E10value_typeET2_T3_PNSJ_ISO_E10value_typeET4_T5_PST_SU_PNS1_23onesweep_lookback_stateEbbT6_jjT7_P12ihipStream_tbENKUlT_T0_SI_SN_E_clISD_SD_SD_SD_EEDaS11_S12_SI_SN_EUlS11_E_NS1_11comp_targetILNS1_3genE4ELNS1_11target_archE910ELNS1_3gpuE8ELNS1_3repE0EEENS1_47radix_sort_onesweep_sort_config_static_selectorELNS0_4arch9wavefront6targetE1EEEvSI_.has_recursion, 0
	.set _ZN7rocprim17ROCPRIM_400000_NS6detail17trampoline_kernelINS0_14default_configENS1_35radix_sort_onesweep_config_selectorIjjEEZZNS1_29radix_sort_onesweep_iterationIS3_Lb0EN6thrust23THRUST_200600_302600_NS6detail15normal_iteratorINS8_10device_ptrIjEEEESD_SD_SD_jNS0_19identity_decomposerENS1_16block_id_wrapperIjLb1EEEEE10hipError_tT1_PNSt15iterator_traitsISI_E10value_typeET2_T3_PNSJ_ISO_E10value_typeET4_T5_PST_SU_PNS1_23onesweep_lookback_stateEbbT6_jjT7_P12ihipStream_tbENKUlT_T0_SI_SN_E_clISD_SD_SD_SD_EEDaS11_S12_SI_SN_EUlS11_E_NS1_11comp_targetILNS1_3genE4ELNS1_11target_archE910ELNS1_3gpuE8ELNS1_3repE0EEENS1_47radix_sort_onesweep_sort_config_static_selectorELNS0_4arch9wavefront6targetE1EEEvSI_.has_indirect_call, 0
	.section	.AMDGPU.csdata,"",@progbits
; Kernel info:
; codeLenInByte = 0
; TotalNumSgprs: 6
; NumVgprs: 0
; NumAgprs: 0
; TotalNumVgprs: 0
; ScratchSize: 0
; MemoryBound: 0
; FloatMode: 240
; IeeeMode: 1
; LDSByteSize: 0 bytes/workgroup (compile time only)
; SGPRBlocks: 0
; VGPRBlocks: 0
; NumSGPRsForWavesPerEU: 6
; NumVGPRsForWavesPerEU: 1
; AccumOffset: 4
; Occupancy: 8
; WaveLimiterHint : 0
; COMPUTE_PGM_RSRC2:SCRATCH_EN: 0
; COMPUTE_PGM_RSRC2:USER_SGPR: 2
; COMPUTE_PGM_RSRC2:TRAP_HANDLER: 0
; COMPUTE_PGM_RSRC2:TGID_X_EN: 1
; COMPUTE_PGM_RSRC2:TGID_Y_EN: 0
; COMPUTE_PGM_RSRC2:TGID_Z_EN: 0
; COMPUTE_PGM_RSRC2:TIDIG_COMP_CNT: 0
; COMPUTE_PGM_RSRC3_GFX90A:ACCUM_OFFSET: 0
; COMPUTE_PGM_RSRC3_GFX90A:TG_SPLIT: 0
	.section	.text._ZN7rocprim17ROCPRIM_400000_NS6detail17trampoline_kernelINS0_14default_configENS1_35radix_sort_onesweep_config_selectorIjjEEZZNS1_29radix_sort_onesweep_iterationIS3_Lb0EN6thrust23THRUST_200600_302600_NS6detail15normal_iteratorINS8_10device_ptrIjEEEESD_SD_SD_jNS0_19identity_decomposerENS1_16block_id_wrapperIjLb1EEEEE10hipError_tT1_PNSt15iterator_traitsISI_E10value_typeET2_T3_PNSJ_ISO_E10value_typeET4_T5_PST_SU_PNS1_23onesweep_lookback_stateEbbT6_jjT7_P12ihipStream_tbENKUlT_T0_SI_SN_E_clISD_SD_SD_SD_EEDaS11_S12_SI_SN_EUlS11_E_NS1_11comp_targetILNS1_3genE3ELNS1_11target_archE908ELNS1_3gpuE7ELNS1_3repE0EEENS1_47radix_sort_onesweep_sort_config_static_selectorELNS0_4arch9wavefront6targetE1EEEvSI_,"axG",@progbits,_ZN7rocprim17ROCPRIM_400000_NS6detail17trampoline_kernelINS0_14default_configENS1_35radix_sort_onesweep_config_selectorIjjEEZZNS1_29radix_sort_onesweep_iterationIS3_Lb0EN6thrust23THRUST_200600_302600_NS6detail15normal_iteratorINS8_10device_ptrIjEEEESD_SD_SD_jNS0_19identity_decomposerENS1_16block_id_wrapperIjLb1EEEEE10hipError_tT1_PNSt15iterator_traitsISI_E10value_typeET2_T3_PNSJ_ISO_E10value_typeET4_T5_PST_SU_PNS1_23onesweep_lookback_stateEbbT6_jjT7_P12ihipStream_tbENKUlT_T0_SI_SN_E_clISD_SD_SD_SD_EEDaS11_S12_SI_SN_EUlS11_E_NS1_11comp_targetILNS1_3genE3ELNS1_11target_archE908ELNS1_3gpuE7ELNS1_3repE0EEENS1_47radix_sort_onesweep_sort_config_static_selectorELNS0_4arch9wavefront6targetE1EEEvSI_,comdat
	.protected	_ZN7rocprim17ROCPRIM_400000_NS6detail17trampoline_kernelINS0_14default_configENS1_35radix_sort_onesweep_config_selectorIjjEEZZNS1_29radix_sort_onesweep_iterationIS3_Lb0EN6thrust23THRUST_200600_302600_NS6detail15normal_iteratorINS8_10device_ptrIjEEEESD_SD_SD_jNS0_19identity_decomposerENS1_16block_id_wrapperIjLb1EEEEE10hipError_tT1_PNSt15iterator_traitsISI_E10value_typeET2_T3_PNSJ_ISO_E10value_typeET4_T5_PST_SU_PNS1_23onesweep_lookback_stateEbbT6_jjT7_P12ihipStream_tbENKUlT_T0_SI_SN_E_clISD_SD_SD_SD_EEDaS11_S12_SI_SN_EUlS11_E_NS1_11comp_targetILNS1_3genE3ELNS1_11target_archE908ELNS1_3gpuE7ELNS1_3repE0EEENS1_47radix_sort_onesweep_sort_config_static_selectorELNS0_4arch9wavefront6targetE1EEEvSI_ ; -- Begin function _ZN7rocprim17ROCPRIM_400000_NS6detail17trampoline_kernelINS0_14default_configENS1_35radix_sort_onesweep_config_selectorIjjEEZZNS1_29radix_sort_onesweep_iterationIS3_Lb0EN6thrust23THRUST_200600_302600_NS6detail15normal_iteratorINS8_10device_ptrIjEEEESD_SD_SD_jNS0_19identity_decomposerENS1_16block_id_wrapperIjLb1EEEEE10hipError_tT1_PNSt15iterator_traitsISI_E10value_typeET2_T3_PNSJ_ISO_E10value_typeET4_T5_PST_SU_PNS1_23onesweep_lookback_stateEbbT6_jjT7_P12ihipStream_tbENKUlT_T0_SI_SN_E_clISD_SD_SD_SD_EEDaS11_S12_SI_SN_EUlS11_E_NS1_11comp_targetILNS1_3genE3ELNS1_11target_archE908ELNS1_3gpuE7ELNS1_3repE0EEENS1_47radix_sort_onesweep_sort_config_static_selectorELNS0_4arch9wavefront6targetE1EEEvSI_
	.globl	_ZN7rocprim17ROCPRIM_400000_NS6detail17trampoline_kernelINS0_14default_configENS1_35radix_sort_onesweep_config_selectorIjjEEZZNS1_29radix_sort_onesweep_iterationIS3_Lb0EN6thrust23THRUST_200600_302600_NS6detail15normal_iteratorINS8_10device_ptrIjEEEESD_SD_SD_jNS0_19identity_decomposerENS1_16block_id_wrapperIjLb1EEEEE10hipError_tT1_PNSt15iterator_traitsISI_E10value_typeET2_T3_PNSJ_ISO_E10value_typeET4_T5_PST_SU_PNS1_23onesweep_lookback_stateEbbT6_jjT7_P12ihipStream_tbENKUlT_T0_SI_SN_E_clISD_SD_SD_SD_EEDaS11_S12_SI_SN_EUlS11_E_NS1_11comp_targetILNS1_3genE3ELNS1_11target_archE908ELNS1_3gpuE7ELNS1_3repE0EEENS1_47radix_sort_onesweep_sort_config_static_selectorELNS0_4arch9wavefront6targetE1EEEvSI_
	.p2align	8
	.type	_ZN7rocprim17ROCPRIM_400000_NS6detail17trampoline_kernelINS0_14default_configENS1_35radix_sort_onesweep_config_selectorIjjEEZZNS1_29radix_sort_onesweep_iterationIS3_Lb0EN6thrust23THRUST_200600_302600_NS6detail15normal_iteratorINS8_10device_ptrIjEEEESD_SD_SD_jNS0_19identity_decomposerENS1_16block_id_wrapperIjLb1EEEEE10hipError_tT1_PNSt15iterator_traitsISI_E10value_typeET2_T3_PNSJ_ISO_E10value_typeET4_T5_PST_SU_PNS1_23onesweep_lookback_stateEbbT6_jjT7_P12ihipStream_tbENKUlT_T0_SI_SN_E_clISD_SD_SD_SD_EEDaS11_S12_SI_SN_EUlS11_E_NS1_11comp_targetILNS1_3genE3ELNS1_11target_archE908ELNS1_3gpuE7ELNS1_3repE0EEENS1_47radix_sort_onesweep_sort_config_static_selectorELNS0_4arch9wavefront6targetE1EEEvSI_,@function
_ZN7rocprim17ROCPRIM_400000_NS6detail17trampoline_kernelINS0_14default_configENS1_35radix_sort_onesweep_config_selectorIjjEEZZNS1_29radix_sort_onesweep_iterationIS3_Lb0EN6thrust23THRUST_200600_302600_NS6detail15normal_iteratorINS8_10device_ptrIjEEEESD_SD_SD_jNS0_19identity_decomposerENS1_16block_id_wrapperIjLb1EEEEE10hipError_tT1_PNSt15iterator_traitsISI_E10value_typeET2_T3_PNSJ_ISO_E10value_typeET4_T5_PST_SU_PNS1_23onesweep_lookback_stateEbbT6_jjT7_P12ihipStream_tbENKUlT_T0_SI_SN_E_clISD_SD_SD_SD_EEDaS11_S12_SI_SN_EUlS11_E_NS1_11comp_targetILNS1_3genE3ELNS1_11target_archE908ELNS1_3gpuE7ELNS1_3repE0EEENS1_47radix_sort_onesweep_sort_config_static_selectorELNS0_4arch9wavefront6targetE1EEEvSI_: ; @_ZN7rocprim17ROCPRIM_400000_NS6detail17trampoline_kernelINS0_14default_configENS1_35radix_sort_onesweep_config_selectorIjjEEZZNS1_29radix_sort_onesweep_iterationIS3_Lb0EN6thrust23THRUST_200600_302600_NS6detail15normal_iteratorINS8_10device_ptrIjEEEESD_SD_SD_jNS0_19identity_decomposerENS1_16block_id_wrapperIjLb1EEEEE10hipError_tT1_PNSt15iterator_traitsISI_E10value_typeET2_T3_PNSJ_ISO_E10value_typeET4_T5_PST_SU_PNS1_23onesweep_lookback_stateEbbT6_jjT7_P12ihipStream_tbENKUlT_T0_SI_SN_E_clISD_SD_SD_SD_EEDaS11_S12_SI_SN_EUlS11_E_NS1_11comp_targetILNS1_3genE3ELNS1_11target_archE908ELNS1_3gpuE7ELNS1_3repE0EEENS1_47radix_sort_onesweep_sort_config_static_selectorELNS0_4arch9wavefront6targetE1EEEvSI_
; %bb.0:
	.section	.rodata,"a",@progbits
	.p2align	6, 0x0
	.amdhsa_kernel _ZN7rocprim17ROCPRIM_400000_NS6detail17trampoline_kernelINS0_14default_configENS1_35radix_sort_onesweep_config_selectorIjjEEZZNS1_29radix_sort_onesweep_iterationIS3_Lb0EN6thrust23THRUST_200600_302600_NS6detail15normal_iteratorINS8_10device_ptrIjEEEESD_SD_SD_jNS0_19identity_decomposerENS1_16block_id_wrapperIjLb1EEEEE10hipError_tT1_PNSt15iterator_traitsISI_E10value_typeET2_T3_PNSJ_ISO_E10value_typeET4_T5_PST_SU_PNS1_23onesweep_lookback_stateEbbT6_jjT7_P12ihipStream_tbENKUlT_T0_SI_SN_E_clISD_SD_SD_SD_EEDaS11_S12_SI_SN_EUlS11_E_NS1_11comp_targetILNS1_3genE3ELNS1_11target_archE908ELNS1_3gpuE7ELNS1_3repE0EEENS1_47radix_sort_onesweep_sort_config_static_selectorELNS0_4arch9wavefront6targetE1EEEvSI_
		.amdhsa_group_segment_fixed_size 0
		.amdhsa_private_segment_fixed_size 0
		.amdhsa_kernarg_size 88
		.amdhsa_user_sgpr_count 2
		.amdhsa_user_sgpr_dispatch_ptr 0
		.amdhsa_user_sgpr_queue_ptr 0
		.amdhsa_user_sgpr_kernarg_segment_ptr 1
		.amdhsa_user_sgpr_dispatch_id 0
		.amdhsa_user_sgpr_kernarg_preload_length 0
		.amdhsa_user_sgpr_kernarg_preload_offset 0
		.amdhsa_user_sgpr_private_segment_size 0
		.amdhsa_uses_dynamic_stack 0
		.amdhsa_enable_private_segment 0
		.amdhsa_system_sgpr_workgroup_id_x 1
		.amdhsa_system_sgpr_workgroup_id_y 0
		.amdhsa_system_sgpr_workgroup_id_z 0
		.amdhsa_system_sgpr_workgroup_info 0
		.amdhsa_system_vgpr_workitem_id 0
		.amdhsa_next_free_vgpr 1
		.amdhsa_next_free_sgpr 0
		.amdhsa_accum_offset 4
		.amdhsa_reserve_vcc 0
		.amdhsa_float_round_mode_32 0
		.amdhsa_float_round_mode_16_64 0
		.amdhsa_float_denorm_mode_32 3
		.amdhsa_float_denorm_mode_16_64 3
		.amdhsa_dx10_clamp 1
		.amdhsa_ieee_mode 1
		.amdhsa_fp16_overflow 0
		.amdhsa_tg_split 0
		.amdhsa_exception_fp_ieee_invalid_op 0
		.amdhsa_exception_fp_denorm_src 0
		.amdhsa_exception_fp_ieee_div_zero 0
		.amdhsa_exception_fp_ieee_overflow 0
		.amdhsa_exception_fp_ieee_underflow 0
		.amdhsa_exception_fp_ieee_inexact 0
		.amdhsa_exception_int_div_zero 0
	.end_amdhsa_kernel
	.section	.text._ZN7rocprim17ROCPRIM_400000_NS6detail17trampoline_kernelINS0_14default_configENS1_35radix_sort_onesweep_config_selectorIjjEEZZNS1_29radix_sort_onesweep_iterationIS3_Lb0EN6thrust23THRUST_200600_302600_NS6detail15normal_iteratorINS8_10device_ptrIjEEEESD_SD_SD_jNS0_19identity_decomposerENS1_16block_id_wrapperIjLb1EEEEE10hipError_tT1_PNSt15iterator_traitsISI_E10value_typeET2_T3_PNSJ_ISO_E10value_typeET4_T5_PST_SU_PNS1_23onesweep_lookback_stateEbbT6_jjT7_P12ihipStream_tbENKUlT_T0_SI_SN_E_clISD_SD_SD_SD_EEDaS11_S12_SI_SN_EUlS11_E_NS1_11comp_targetILNS1_3genE3ELNS1_11target_archE908ELNS1_3gpuE7ELNS1_3repE0EEENS1_47radix_sort_onesweep_sort_config_static_selectorELNS0_4arch9wavefront6targetE1EEEvSI_,"axG",@progbits,_ZN7rocprim17ROCPRIM_400000_NS6detail17trampoline_kernelINS0_14default_configENS1_35radix_sort_onesweep_config_selectorIjjEEZZNS1_29radix_sort_onesweep_iterationIS3_Lb0EN6thrust23THRUST_200600_302600_NS6detail15normal_iteratorINS8_10device_ptrIjEEEESD_SD_SD_jNS0_19identity_decomposerENS1_16block_id_wrapperIjLb1EEEEE10hipError_tT1_PNSt15iterator_traitsISI_E10value_typeET2_T3_PNSJ_ISO_E10value_typeET4_T5_PST_SU_PNS1_23onesweep_lookback_stateEbbT6_jjT7_P12ihipStream_tbENKUlT_T0_SI_SN_E_clISD_SD_SD_SD_EEDaS11_S12_SI_SN_EUlS11_E_NS1_11comp_targetILNS1_3genE3ELNS1_11target_archE908ELNS1_3gpuE7ELNS1_3repE0EEENS1_47radix_sort_onesweep_sort_config_static_selectorELNS0_4arch9wavefront6targetE1EEEvSI_,comdat
.Lfunc_end756:
	.size	_ZN7rocprim17ROCPRIM_400000_NS6detail17trampoline_kernelINS0_14default_configENS1_35radix_sort_onesweep_config_selectorIjjEEZZNS1_29radix_sort_onesweep_iterationIS3_Lb0EN6thrust23THRUST_200600_302600_NS6detail15normal_iteratorINS8_10device_ptrIjEEEESD_SD_SD_jNS0_19identity_decomposerENS1_16block_id_wrapperIjLb1EEEEE10hipError_tT1_PNSt15iterator_traitsISI_E10value_typeET2_T3_PNSJ_ISO_E10value_typeET4_T5_PST_SU_PNS1_23onesweep_lookback_stateEbbT6_jjT7_P12ihipStream_tbENKUlT_T0_SI_SN_E_clISD_SD_SD_SD_EEDaS11_S12_SI_SN_EUlS11_E_NS1_11comp_targetILNS1_3genE3ELNS1_11target_archE908ELNS1_3gpuE7ELNS1_3repE0EEENS1_47radix_sort_onesweep_sort_config_static_selectorELNS0_4arch9wavefront6targetE1EEEvSI_, .Lfunc_end756-_ZN7rocprim17ROCPRIM_400000_NS6detail17trampoline_kernelINS0_14default_configENS1_35radix_sort_onesweep_config_selectorIjjEEZZNS1_29radix_sort_onesweep_iterationIS3_Lb0EN6thrust23THRUST_200600_302600_NS6detail15normal_iteratorINS8_10device_ptrIjEEEESD_SD_SD_jNS0_19identity_decomposerENS1_16block_id_wrapperIjLb1EEEEE10hipError_tT1_PNSt15iterator_traitsISI_E10value_typeET2_T3_PNSJ_ISO_E10value_typeET4_T5_PST_SU_PNS1_23onesweep_lookback_stateEbbT6_jjT7_P12ihipStream_tbENKUlT_T0_SI_SN_E_clISD_SD_SD_SD_EEDaS11_S12_SI_SN_EUlS11_E_NS1_11comp_targetILNS1_3genE3ELNS1_11target_archE908ELNS1_3gpuE7ELNS1_3repE0EEENS1_47radix_sort_onesweep_sort_config_static_selectorELNS0_4arch9wavefront6targetE1EEEvSI_
                                        ; -- End function
	.set _ZN7rocprim17ROCPRIM_400000_NS6detail17trampoline_kernelINS0_14default_configENS1_35radix_sort_onesweep_config_selectorIjjEEZZNS1_29radix_sort_onesweep_iterationIS3_Lb0EN6thrust23THRUST_200600_302600_NS6detail15normal_iteratorINS8_10device_ptrIjEEEESD_SD_SD_jNS0_19identity_decomposerENS1_16block_id_wrapperIjLb1EEEEE10hipError_tT1_PNSt15iterator_traitsISI_E10value_typeET2_T3_PNSJ_ISO_E10value_typeET4_T5_PST_SU_PNS1_23onesweep_lookback_stateEbbT6_jjT7_P12ihipStream_tbENKUlT_T0_SI_SN_E_clISD_SD_SD_SD_EEDaS11_S12_SI_SN_EUlS11_E_NS1_11comp_targetILNS1_3genE3ELNS1_11target_archE908ELNS1_3gpuE7ELNS1_3repE0EEENS1_47radix_sort_onesweep_sort_config_static_selectorELNS0_4arch9wavefront6targetE1EEEvSI_.num_vgpr, 0
	.set _ZN7rocprim17ROCPRIM_400000_NS6detail17trampoline_kernelINS0_14default_configENS1_35radix_sort_onesweep_config_selectorIjjEEZZNS1_29radix_sort_onesweep_iterationIS3_Lb0EN6thrust23THRUST_200600_302600_NS6detail15normal_iteratorINS8_10device_ptrIjEEEESD_SD_SD_jNS0_19identity_decomposerENS1_16block_id_wrapperIjLb1EEEEE10hipError_tT1_PNSt15iterator_traitsISI_E10value_typeET2_T3_PNSJ_ISO_E10value_typeET4_T5_PST_SU_PNS1_23onesweep_lookback_stateEbbT6_jjT7_P12ihipStream_tbENKUlT_T0_SI_SN_E_clISD_SD_SD_SD_EEDaS11_S12_SI_SN_EUlS11_E_NS1_11comp_targetILNS1_3genE3ELNS1_11target_archE908ELNS1_3gpuE7ELNS1_3repE0EEENS1_47radix_sort_onesweep_sort_config_static_selectorELNS0_4arch9wavefront6targetE1EEEvSI_.num_agpr, 0
	.set _ZN7rocprim17ROCPRIM_400000_NS6detail17trampoline_kernelINS0_14default_configENS1_35radix_sort_onesweep_config_selectorIjjEEZZNS1_29radix_sort_onesweep_iterationIS3_Lb0EN6thrust23THRUST_200600_302600_NS6detail15normal_iteratorINS8_10device_ptrIjEEEESD_SD_SD_jNS0_19identity_decomposerENS1_16block_id_wrapperIjLb1EEEEE10hipError_tT1_PNSt15iterator_traitsISI_E10value_typeET2_T3_PNSJ_ISO_E10value_typeET4_T5_PST_SU_PNS1_23onesweep_lookback_stateEbbT6_jjT7_P12ihipStream_tbENKUlT_T0_SI_SN_E_clISD_SD_SD_SD_EEDaS11_S12_SI_SN_EUlS11_E_NS1_11comp_targetILNS1_3genE3ELNS1_11target_archE908ELNS1_3gpuE7ELNS1_3repE0EEENS1_47radix_sort_onesweep_sort_config_static_selectorELNS0_4arch9wavefront6targetE1EEEvSI_.numbered_sgpr, 0
	.set _ZN7rocprim17ROCPRIM_400000_NS6detail17trampoline_kernelINS0_14default_configENS1_35radix_sort_onesweep_config_selectorIjjEEZZNS1_29radix_sort_onesweep_iterationIS3_Lb0EN6thrust23THRUST_200600_302600_NS6detail15normal_iteratorINS8_10device_ptrIjEEEESD_SD_SD_jNS0_19identity_decomposerENS1_16block_id_wrapperIjLb1EEEEE10hipError_tT1_PNSt15iterator_traitsISI_E10value_typeET2_T3_PNSJ_ISO_E10value_typeET4_T5_PST_SU_PNS1_23onesweep_lookback_stateEbbT6_jjT7_P12ihipStream_tbENKUlT_T0_SI_SN_E_clISD_SD_SD_SD_EEDaS11_S12_SI_SN_EUlS11_E_NS1_11comp_targetILNS1_3genE3ELNS1_11target_archE908ELNS1_3gpuE7ELNS1_3repE0EEENS1_47radix_sort_onesweep_sort_config_static_selectorELNS0_4arch9wavefront6targetE1EEEvSI_.num_named_barrier, 0
	.set _ZN7rocprim17ROCPRIM_400000_NS6detail17trampoline_kernelINS0_14default_configENS1_35radix_sort_onesweep_config_selectorIjjEEZZNS1_29radix_sort_onesweep_iterationIS3_Lb0EN6thrust23THRUST_200600_302600_NS6detail15normal_iteratorINS8_10device_ptrIjEEEESD_SD_SD_jNS0_19identity_decomposerENS1_16block_id_wrapperIjLb1EEEEE10hipError_tT1_PNSt15iterator_traitsISI_E10value_typeET2_T3_PNSJ_ISO_E10value_typeET4_T5_PST_SU_PNS1_23onesweep_lookback_stateEbbT6_jjT7_P12ihipStream_tbENKUlT_T0_SI_SN_E_clISD_SD_SD_SD_EEDaS11_S12_SI_SN_EUlS11_E_NS1_11comp_targetILNS1_3genE3ELNS1_11target_archE908ELNS1_3gpuE7ELNS1_3repE0EEENS1_47radix_sort_onesweep_sort_config_static_selectorELNS0_4arch9wavefront6targetE1EEEvSI_.private_seg_size, 0
	.set _ZN7rocprim17ROCPRIM_400000_NS6detail17trampoline_kernelINS0_14default_configENS1_35radix_sort_onesweep_config_selectorIjjEEZZNS1_29radix_sort_onesweep_iterationIS3_Lb0EN6thrust23THRUST_200600_302600_NS6detail15normal_iteratorINS8_10device_ptrIjEEEESD_SD_SD_jNS0_19identity_decomposerENS1_16block_id_wrapperIjLb1EEEEE10hipError_tT1_PNSt15iterator_traitsISI_E10value_typeET2_T3_PNSJ_ISO_E10value_typeET4_T5_PST_SU_PNS1_23onesweep_lookback_stateEbbT6_jjT7_P12ihipStream_tbENKUlT_T0_SI_SN_E_clISD_SD_SD_SD_EEDaS11_S12_SI_SN_EUlS11_E_NS1_11comp_targetILNS1_3genE3ELNS1_11target_archE908ELNS1_3gpuE7ELNS1_3repE0EEENS1_47radix_sort_onesweep_sort_config_static_selectorELNS0_4arch9wavefront6targetE1EEEvSI_.uses_vcc, 0
	.set _ZN7rocprim17ROCPRIM_400000_NS6detail17trampoline_kernelINS0_14default_configENS1_35radix_sort_onesweep_config_selectorIjjEEZZNS1_29radix_sort_onesweep_iterationIS3_Lb0EN6thrust23THRUST_200600_302600_NS6detail15normal_iteratorINS8_10device_ptrIjEEEESD_SD_SD_jNS0_19identity_decomposerENS1_16block_id_wrapperIjLb1EEEEE10hipError_tT1_PNSt15iterator_traitsISI_E10value_typeET2_T3_PNSJ_ISO_E10value_typeET4_T5_PST_SU_PNS1_23onesweep_lookback_stateEbbT6_jjT7_P12ihipStream_tbENKUlT_T0_SI_SN_E_clISD_SD_SD_SD_EEDaS11_S12_SI_SN_EUlS11_E_NS1_11comp_targetILNS1_3genE3ELNS1_11target_archE908ELNS1_3gpuE7ELNS1_3repE0EEENS1_47radix_sort_onesweep_sort_config_static_selectorELNS0_4arch9wavefront6targetE1EEEvSI_.uses_flat_scratch, 0
	.set _ZN7rocprim17ROCPRIM_400000_NS6detail17trampoline_kernelINS0_14default_configENS1_35radix_sort_onesweep_config_selectorIjjEEZZNS1_29radix_sort_onesweep_iterationIS3_Lb0EN6thrust23THRUST_200600_302600_NS6detail15normal_iteratorINS8_10device_ptrIjEEEESD_SD_SD_jNS0_19identity_decomposerENS1_16block_id_wrapperIjLb1EEEEE10hipError_tT1_PNSt15iterator_traitsISI_E10value_typeET2_T3_PNSJ_ISO_E10value_typeET4_T5_PST_SU_PNS1_23onesweep_lookback_stateEbbT6_jjT7_P12ihipStream_tbENKUlT_T0_SI_SN_E_clISD_SD_SD_SD_EEDaS11_S12_SI_SN_EUlS11_E_NS1_11comp_targetILNS1_3genE3ELNS1_11target_archE908ELNS1_3gpuE7ELNS1_3repE0EEENS1_47radix_sort_onesweep_sort_config_static_selectorELNS0_4arch9wavefront6targetE1EEEvSI_.has_dyn_sized_stack, 0
	.set _ZN7rocprim17ROCPRIM_400000_NS6detail17trampoline_kernelINS0_14default_configENS1_35radix_sort_onesweep_config_selectorIjjEEZZNS1_29radix_sort_onesweep_iterationIS3_Lb0EN6thrust23THRUST_200600_302600_NS6detail15normal_iteratorINS8_10device_ptrIjEEEESD_SD_SD_jNS0_19identity_decomposerENS1_16block_id_wrapperIjLb1EEEEE10hipError_tT1_PNSt15iterator_traitsISI_E10value_typeET2_T3_PNSJ_ISO_E10value_typeET4_T5_PST_SU_PNS1_23onesweep_lookback_stateEbbT6_jjT7_P12ihipStream_tbENKUlT_T0_SI_SN_E_clISD_SD_SD_SD_EEDaS11_S12_SI_SN_EUlS11_E_NS1_11comp_targetILNS1_3genE3ELNS1_11target_archE908ELNS1_3gpuE7ELNS1_3repE0EEENS1_47radix_sort_onesweep_sort_config_static_selectorELNS0_4arch9wavefront6targetE1EEEvSI_.has_recursion, 0
	.set _ZN7rocprim17ROCPRIM_400000_NS6detail17trampoline_kernelINS0_14default_configENS1_35radix_sort_onesweep_config_selectorIjjEEZZNS1_29radix_sort_onesweep_iterationIS3_Lb0EN6thrust23THRUST_200600_302600_NS6detail15normal_iteratorINS8_10device_ptrIjEEEESD_SD_SD_jNS0_19identity_decomposerENS1_16block_id_wrapperIjLb1EEEEE10hipError_tT1_PNSt15iterator_traitsISI_E10value_typeET2_T3_PNSJ_ISO_E10value_typeET4_T5_PST_SU_PNS1_23onesweep_lookback_stateEbbT6_jjT7_P12ihipStream_tbENKUlT_T0_SI_SN_E_clISD_SD_SD_SD_EEDaS11_S12_SI_SN_EUlS11_E_NS1_11comp_targetILNS1_3genE3ELNS1_11target_archE908ELNS1_3gpuE7ELNS1_3repE0EEENS1_47radix_sort_onesweep_sort_config_static_selectorELNS0_4arch9wavefront6targetE1EEEvSI_.has_indirect_call, 0
	.section	.AMDGPU.csdata,"",@progbits
; Kernel info:
; codeLenInByte = 0
; TotalNumSgprs: 6
; NumVgprs: 0
; NumAgprs: 0
; TotalNumVgprs: 0
; ScratchSize: 0
; MemoryBound: 0
; FloatMode: 240
; IeeeMode: 1
; LDSByteSize: 0 bytes/workgroup (compile time only)
; SGPRBlocks: 0
; VGPRBlocks: 0
; NumSGPRsForWavesPerEU: 6
; NumVGPRsForWavesPerEU: 1
; AccumOffset: 4
; Occupancy: 8
; WaveLimiterHint : 0
; COMPUTE_PGM_RSRC2:SCRATCH_EN: 0
; COMPUTE_PGM_RSRC2:USER_SGPR: 2
; COMPUTE_PGM_RSRC2:TRAP_HANDLER: 0
; COMPUTE_PGM_RSRC2:TGID_X_EN: 1
; COMPUTE_PGM_RSRC2:TGID_Y_EN: 0
; COMPUTE_PGM_RSRC2:TGID_Z_EN: 0
; COMPUTE_PGM_RSRC2:TIDIG_COMP_CNT: 0
; COMPUTE_PGM_RSRC3_GFX90A:ACCUM_OFFSET: 0
; COMPUTE_PGM_RSRC3_GFX90A:TG_SPLIT: 0
	.section	.text._ZN7rocprim17ROCPRIM_400000_NS6detail17trampoline_kernelINS0_14default_configENS1_35radix_sort_onesweep_config_selectorIjjEEZZNS1_29radix_sort_onesweep_iterationIS3_Lb0EN6thrust23THRUST_200600_302600_NS6detail15normal_iteratorINS8_10device_ptrIjEEEESD_SD_SD_jNS0_19identity_decomposerENS1_16block_id_wrapperIjLb1EEEEE10hipError_tT1_PNSt15iterator_traitsISI_E10value_typeET2_T3_PNSJ_ISO_E10value_typeET4_T5_PST_SU_PNS1_23onesweep_lookback_stateEbbT6_jjT7_P12ihipStream_tbENKUlT_T0_SI_SN_E_clISD_SD_SD_SD_EEDaS11_S12_SI_SN_EUlS11_E_NS1_11comp_targetILNS1_3genE10ELNS1_11target_archE1201ELNS1_3gpuE5ELNS1_3repE0EEENS1_47radix_sort_onesweep_sort_config_static_selectorELNS0_4arch9wavefront6targetE1EEEvSI_,"axG",@progbits,_ZN7rocprim17ROCPRIM_400000_NS6detail17trampoline_kernelINS0_14default_configENS1_35radix_sort_onesweep_config_selectorIjjEEZZNS1_29radix_sort_onesweep_iterationIS3_Lb0EN6thrust23THRUST_200600_302600_NS6detail15normal_iteratorINS8_10device_ptrIjEEEESD_SD_SD_jNS0_19identity_decomposerENS1_16block_id_wrapperIjLb1EEEEE10hipError_tT1_PNSt15iterator_traitsISI_E10value_typeET2_T3_PNSJ_ISO_E10value_typeET4_T5_PST_SU_PNS1_23onesweep_lookback_stateEbbT6_jjT7_P12ihipStream_tbENKUlT_T0_SI_SN_E_clISD_SD_SD_SD_EEDaS11_S12_SI_SN_EUlS11_E_NS1_11comp_targetILNS1_3genE10ELNS1_11target_archE1201ELNS1_3gpuE5ELNS1_3repE0EEENS1_47radix_sort_onesweep_sort_config_static_selectorELNS0_4arch9wavefront6targetE1EEEvSI_,comdat
	.protected	_ZN7rocprim17ROCPRIM_400000_NS6detail17trampoline_kernelINS0_14default_configENS1_35radix_sort_onesweep_config_selectorIjjEEZZNS1_29radix_sort_onesweep_iterationIS3_Lb0EN6thrust23THRUST_200600_302600_NS6detail15normal_iteratorINS8_10device_ptrIjEEEESD_SD_SD_jNS0_19identity_decomposerENS1_16block_id_wrapperIjLb1EEEEE10hipError_tT1_PNSt15iterator_traitsISI_E10value_typeET2_T3_PNSJ_ISO_E10value_typeET4_T5_PST_SU_PNS1_23onesweep_lookback_stateEbbT6_jjT7_P12ihipStream_tbENKUlT_T0_SI_SN_E_clISD_SD_SD_SD_EEDaS11_S12_SI_SN_EUlS11_E_NS1_11comp_targetILNS1_3genE10ELNS1_11target_archE1201ELNS1_3gpuE5ELNS1_3repE0EEENS1_47radix_sort_onesweep_sort_config_static_selectorELNS0_4arch9wavefront6targetE1EEEvSI_ ; -- Begin function _ZN7rocprim17ROCPRIM_400000_NS6detail17trampoline_kernelINS0_14default_configENS1_35radix_sort_onesweep_config_selectorIjjEEZZNS1_29radix_sort_onesweep_iterationIS3_Lb0EN6thrust23THRUST_200600_302600_NS6detail15normal_iteratorINS8_10device_ptrIjEEEESD_SD_SD_jNS0_19identity_decomposerENS1_16block_id_wrapperIjLb1EEEEE10hipError_tT1_PNSt15iterator_traitsISI_E10value_typeET2_T3_PNSJ_ISO_E10value_typeET4_T5_PST_SU_PNS1_23onesweep_lookback_stateEbbT6_jjT7_P12ihipStream_tbENKUlT_T0_SI_SN_E_clISD_SD_SD_SD_EEDaS11_S12_SI_SN_EUlS11_E_NS1_11comp_targetILNS1_3genE10ELNS1_11target_archE1201ELNS1_3gpuE5ELNS1_3repE0EEENS1_47radix_sort_onesweep_sort_config_static_selectorELNS0_4arch9wavefront6targetE1EEEvSI_
	.globl	_ZN7rocprim17ROCPRIM_400000_NS6detail17trampoline_kernelINS0_14default_configENS1_35radix_sort_onesweep_config_selectorIjjEEZZNS1_29radix_sort_onesweep_iterationIS3_Lb0EN6thrust23THRUST_200600_302600_NS6detail15normal_iteratorINS8_10device_ptrIjEEEESD_SD_SD_jNS0_19identity_decomposerENS1_16block_id_wrapperIjLb1EEEEE10hipError_tT1_PNSt15iterator_traitsISI_E10value_typeET2_T3_PNSJ_ISO_E10value_typeET4_T5_PST_SU_PNS1_23onesweep_lookback_stateEbbT6_jjT7_P12ihipStream_tbENKUlT_T0_SI_SN_E_clISD_SD_SD_SD_EEDaS11_S12_SI_SN_EUlS11_E_NS1_11comp_targetILNS1_3genE10ELNS1_11target_archE1201ELNS1_3gpuE5ELNS1_3repE0EEENS1_47radix_sort_onesweep_sort_config_static_selectorELNS0_4arch9wavefront6targetE1EEEvSI_
	.p2align	8
	.type	_ZN7rocprim17ROCPRIM_400000_NS6detail17trampoline_kernelINS0_14default_configENS1_35radix_sort_onesweep_config_selectorIjjEEZZNS1_29radix_sort_onesweep_iterationIS3_Lb0EN6thrust23THRUST_200600_302600_NS6detail15normal_iteratorINS8_10device_ptrIjEEEESD_SD_SD_jNS0_19identity_decomposerENS1_16block_id_wrapperIjLb1EEEEE10hipError_tT1_PNSt15iterator_traitsISI_E10value_typeET2_T3_PNSJ_ISO_E10value_typeET4_T5_PST_SU_PNS1_23onesweep_lookback_stateEbbT6_jjT7_P12ihipStream_tbENKUlT_T0_SI_SN_E_clISD_SD_SD_SD_EEDaS11_S12_SI_SN_EUlS11_E_NS1_11comp_targetILNS1_3genE10ELNS1_11target_archE1201ELNS1_3gpuE5ELNS1_3repE0EEENS1_47radix_sort_onesweep_sort_config_static_selectorELNS0_4arch9wavefront6targetE1EEEvSI_,@function
_ZN7rocprim17ROCPRIM_400000_NS6detail17trampoline_kernelINS0_14default_configENS1_35radix_sort_onesweep_config_selectorIjjEEZZNS1_29radix_sort_onesweep_iterationIS3_Lb0EN6thrust23THRUST_200600_302600_NS6detail15normal_iteratorINS8_10device_ptrIjEEEESD_SD_SD_jNS0_19identity_decomposerENS1_16block_id_wrapperIjLb1EEEEE10hipError_tT1_PNSt15iterator_traitsISI_E10value_typeET2_T3_PNSJ_ISO_E10value_typeET4_T5_PST_SU_PNS1_23onesweep_lookback_stateEbbT6_jjT7_P12ihipStream_tbENKUlT_T0_SI_SN_E_clISD_SD_SD_SD_EEDaS11_S12_SI_SN_EUlS11_E_NS1_11comp_targetILNS1_3genE10ELNS1_11target_archE1201ELNS1_3gpuE5ELNS1_3repE0EEENS1_47radix_sort_onesweep_sort_config_static_selectorELNS0_4arch9wavefront6targetE1EEEvSI_: ; @_ZN7rocprim17ROCPRIM_400000_NS6detail17trampoline_kernelINS0_14default_configENS1_35radix_sort_onesweep_config_selectorIjjEEZZNS1_29radix_sort_onesweep_iterationIS3_Lb0EN6thrust23THRUST_200600_302600_NS6detail15normal_iteratorINS8_10device_ptrIjEEEESD_SD_SD_jNS0_19identity_decomposerENS1_16block_id_wrapperIjLb1EEEEE10hipError_tT1_PNSt15iterator_traitsISI_E10value_typeET2_T3_PNSJ_ISO_E10value_typeET4_T5_PST_SU_PNS1_23onesweep_lookback_stateEbbT6_jjT7_P12ihipStream_tbENKUlT_T0_SI_SN_E_clISD_SD_SD_SD_EEDaS11_S12_SI_SN_EUlS11_E_NS1_11comp_targetILNS1_3genE10ELNS1_11target_archE1201ELNS1_3gpuE5ELNS1_3repE0EEENS1_47radix_sort_onesweep_sort_config_static_selectorELNS0_4arch9wavefront6targetE1EEEvSI_
; %bb.0:
	.section	.rodata,"a",@progbits
	.p2align	6, 0x0
	.amdhsa_kernel _ZN7rocprim17ROCPRIM_400000_NS6detail17trampoline_kernelINS0_14default_configENS1_35radix_sort_onesweep_config_selectorIjjEEZZNS1_29radix_sort_onesweep_iterationIS3_Lb0EN6thrust23THRUST_200600_302600_NS6detail15normal_iteratorINS8_10device_ptrIjEEEESD_SD_SD_jNS0_19identity_decomposerENS1_16block_id_wrapperIjLb1EEEEE10hipError_tT1_PNSt15iterator_traitsISI_E10value_typeET2_T3_PNSJ_ISO_E10value_typeET4_T5_PST_SU_PNS1_23onesweep_lookback_stateEbbT6_jjT7_P12ihipStream_tbENKUlT_T0_SI_SN_E_clISD_SD_SD_SD_EEDaS11_S12_SI_SN_EUlS11_E_NS1_11comp_targetILNS1_3genE10ELNS1_11target_archE1201ELNS1_3gpuE5ELNS1_3repE0EEENS1_47radix_sort_onesweep_sort_config_static_selectorELNS0_4arch9wavefront6targetE1EEEvSI_
		.amdhsa_group_segment_fixed_size 0
		.amdhsa_private_segment_fixed_size 0
		.amdhsa_kernarg_size 88
		.amdhsa_user_sgpr_count 2
		.amdhsa_user_sgpr_dispatch_ptr 0
		.amdhsa_user_sgpr_queue_ptr 0
		.amdhsa_user_sgpr_kernarg_segment_ptr 1
		.amdhsa_user_sgpr_dispatch_id 0
		.amdhsa_user_sgpr_kernarg_preload_length 0
		.amdhsa_user_sgpr_kernarg_preload_offset 0
		.amdhsa_user_sgpr_private_segment_size 0
		.amdhsa_uses_dynamic_stack 0
		.amdhsa_enable_private_segment 0
		.amdhsa_system_sgpr_workgroup_id_x 1
		.amdhsa_system_sgpr_workgroup_id_y 0
		.amdhsa_system_sgpr_workgroup_id_z 0
		.amdhsa_system_sgpr_workgroup_info 0
		.amdhsa_system_vgpr_workitem_id 0
		.amdhsa_next_free_vgpr 1
		.amdhsa_next_free_sgpr 0
		.amdhsa_accum_offset 4
		.amdhsa_reserve_vcc 0
		.amdhsa_float_round_mode_32 0
		.amdhsa_float_round_mode_16_64 0
		.amdhsa_float_denorm_mode_32 3
		.amdhsa_float_denorm_mode_16_64 3
		.amdhsa_dx10_clamp 1
		.amdhsa_ieee_mode 1
		.amdhsa_fp16_overflow 0
		.amdhsa_tg_split 0
		.amdhsa_exception_fp_ieee_invalid_op 0
		.amdhsa_exception_fp_denorm_src 0
		.amdhsa_exception_fp_ieee_div_zero 0
		.amdhsa_exception_fp_ieee_overflow 0
		.amdhsa_exception_fp_ieee_underflow 0
		.amdhsa_exception_fp_ieee_inexact 0
		.amdhsa_exception_int_div_zero 0
	.end_amdhsa_kernel
	.section	.text._ZN7rocprim17ROCPRIM_400000_NS6detail17trampoline_kernelINS0_14default_configENS1_35radix_sort_onesweep_config_selectorIjjEEZZNS1_29radix_sort_onesweep_iterationIS3_Lb0EN6thrust23THRUST_200600_302600_NS6detail15normal_iteratorINS8_10device_ptrIjEEEESD_SD_SD_jNS0_19identity_decomposerENS1_16block_id_wrapperIjLb1EEEEE10hipError_tT1_PNSt15iterator_traitsISI_E10value_typeET2_T3_PNSJ_ISO_E10value_typeET4_T5_PST_SU_PNS1_23onesweep_lookback_stateEbbT6_jjT7_P12ihipStream_tbENKUlT_T0_SI_SN_E_clISD_SD_SD_SD_EEDaS11_S12_SI_SN_EUlS11_E_NS1_11comp_targetILNS1_3genE10ELNS1_11target_archE1201ELNS1_3gpuE5ELNS1_3repE0EEENS1_47radix_sort_onesweep_sort_config_static_selectorELNS0_4arch9wavefront6targetE1EEEvSI_,"axG",@progbits,_ZN7rocprim17ROCPRIM_400000_NS6detail17trampoline_kernelINS0_14default_configENS1_35radix_sort_onesweep_config_selectorIjjEEZZNS1_29radix_sort_onesweep_iterationIS3_Lb0EN6thrust23THRUST_200600_302600_NS6detail15normal_iteratorINS8_10device_ptrIjEEEESD_SD_SD_jNS0_19identity_decomposerENS1_16block_id_wrapperIjLb1EEEEE10hipError_tT1_PNSt15iterator_traitsISI_E10value_typeET2_T3_PNSJ_ISO_E10value_typeET4_T5_PST_SU_PNS1_23onesweep_lookback_stateEbbT6_jjT7_P12ihipStream_tbENKUlT_T0_SI_SN_E_clISD_SD_SD_SD_EEDaS11_S12_SI_SN_EUlS11_E_NS1_11comp_targetILNS1_3genE10ELNS1_11target_archE1201ELNS1_3gpuE5ELNS1_3repE0EEENS1_47radix_sort_onesweep_sort_config_static_selectorELNS0_4arch9wavefront6targetE1EEEvSI_,comdat
.Lfunc_end757:
	.size	_ZN7rocprim17ROCPRIM_400000_NS6detail17trampoline_kernelINS0_14default_configENS1_35radix_sort_onesweep_config_selectorIjjEEZZNS1_29radix_sort_onesweep_iterationIS3_Lb0EN6thrust23THRUST_200600_302600_NS6detail15normal_iteratorINS8_10device_ptrIjEEEESD_SD_SD_jNS0_19identity_decomposerENS1_16block_id_wrapperIjLb1EEEEE10hipError_tT1_PNSt15iterator_traitsISI_E10value_typeET2_T3_PNSJ_ISO_E10value_typeET4_T5_PST_SU_PNS1_23onesweep_lookback_stateEbbT6_jjT7_P12ihipStream_tbENKUlT_T0_SI_SN_E_clISD_SD_SD_SD_EEDaS11_S12_SI_SN_EUlS11_E_NS1_11comp_targetILNS1_3genE10ELNS1_11target_archE1201ELNS1_3gpuE5ELNS1_3repE0EEENS1_47radix_sort_onesweep_sort_config_static_selectorELNS0_4arch9wavefront6targetE1EEEvSI_, .Lfunc_end757-_ZN7rocprim17ROCPRIM_400000_NS6detail17trampoline_kernelINS0_14default_configENS1_35radix_sort_onesweep_config_selectorIjjEEZZNS1_29radix_sort_onesweep_iterationIS3_Lb0EN6thrust23THRUST_200600_302600_NS6detail15normal_iteratorINS8_10device_ptrIjEEEESD_SD_SD_jNS0_19identity_decomposerENS1_16block_id_wrapperIjLb1EEEEE10hipError_tT1_PNSt15iterator_traitsISI_E10value_typeET2_T3_PNSJ_ISO_E10value_typeET4_T5_PST_SU_PNS1_23onesweep_lookback_stateEbbT6_jjT7_P12ihipStream_tbENKUlT_T0_SI_SN_E_clISD_SD_SD_SD_EEDaS11_S12_SI_SN_EUlS11_E_NS1_11comp_targetILNS1_3genE10ELNS1_11target_archE1201ELNS1_3gpuE5ELNS1_3repE0EEENS1_47radix_sort_onesweep_sort_config_static_selectorELNS0_4arch9wavefront6targetE1EEEvSI_
                                        ; -- End function
	.set _ZN7rocprim17ROCPRIM_400000_NS6detail17trampoline_kernelINS0_14default_configENS1_35radix_sort_onesweep_config_selectorIjjEEZZNS1_29radix_sort_onesweep_iterationIS3_Lb0EN6thrust23THRUST_200600_302600_NS6detail15normal_iteratorINS8_10device_ptrIjEEEESD_SD_SD_jNS0_19identity_decomposerENS1_16block_id_wrapperIjLb1EEEEE10hipError_tT1_PNSt15iterator_traitsISI_E10value_typeET2_T3_PNSJ_ISO_E10value_typeET4_T5_PST_SU_PNS1_23onesweep_lookback_stateEbbT6_jjT7_P12ihipStream_tbENKUlT_T0_SI_SN_E_clISD_SD_SD_SD_EEDaS11_S12_SI_SN_EUlS11_E_NS1_11comp_targetILNS1_3genE10ELNS1_11target_archE1201ELNS1_3gpuE5ELNS1_3repE0EEENS1_47radix_sort_onesweep_sort_config_static_selectorELNS0_4arch9wavefront6targetE1EEEvSI_.num_vgpr, 0
	.set _ZN7rocprim17ROCPRIM_400000_NS6detail17trampoline_kernelINS0_14default_configENS1_35radix_sort_onesweep_config_selectorIjjEEZZNS1_29radix_sort_onesweep_iterationIS3_Lb0EN6thrust23THRUST_200600_302600_NS6detail15normal_iteratorINS8_10device_ptrIjEEEESD_SD_SD_jNS0_19identity_decomposerENS1_16block_id_wrapperIjLb1EEEEE10hipError_tT1_PNSt15iterator_traitsISI_E10value_typeET2_T3_PNSJ_ISO_E10value_typeET4_T5_PST_SU_PNS1_23onesweep_lookback_stateEbbT6_jjT7_P12ihipStream_tbENKUlT_T0_SI_SN_E_clISD_SD_SD_SD_EEDaS11_S12_SI_SN_EUlS11_E_NS1_11comp_targetILNS1_3genE10ELNS1_11target_archE1201ELNS1_3gpuE5ELNS1_3repE0EEENS1_47radix_sort_onesweep_sort_config_static_selectorELNS0_4arch9wavefront6targetE1EEEvSI_.num_agpr, 0
	.set _ZN7rocprim17ROCPRIM_400000_NS6detail17trampoline_kernelINS0_14default_configENS1_35radix_sort_onesweep_config_selectorIjjEEZZNS1_29radix_sort_onesweep_iterationIS3_Lb0EN6thrust23THRUST_200600_302600_NS6detail15normal_iteratorINS8_10device_ptrIjEEEESD_SD_SD_jNS0_19identity_decomposerENS1_16block_id_wrapperIjLb1EEEEE10hipError_tT1_PNSt15iterator_traitsISI_E10value_typeET2_T3_PNSJ_ISO_E10value_typeET4_T5_PST_SU_PNS1_23onesweep_lookback_stateEbbT6_jjT7_P12ihipStream_tbENKUlT_T0_SI_SN_E_clISD_SD_SD_SD_EEDaS11_S12_SI_SN_EUlS11_E_NS1_11comp_targetILNS1_3genE10ELNS1_11target_archE1201ELNS1_3gpuE5ELNS1_3repE0EEENS1_47radix_sort_onesweep_sort_config_static_selectorELNS0_4arch9wavefront6targetE1EEEvSI_.numbered_sgpr, 0
	.set _ZN7rocprim17ROCPRIM_400000_NS6detail17trampoline_kernelINS0_14default_configENS1_35radix_sort_onesweep_config_selectorIjjEEZZNS1_29radix_sort_onesweep_iterationIS3_Lb0EN6thrust23THRUST_200600_302600_NS6detail15normal_iteratorINS8_10device_ptrIjEEEESD_SD_SD_jNS0_19identity_decomposerENS1_16block_id_wrapperIjLb1EEEEE10hipError_tT1_PNSt15iterator_traitsISI_E10value_typeET2_T3_PNSJ_ISO_E10value_typeET4_T5_PST_SU_PNS1_23onesweep_lookback_stateEbbT6_jjT7_P12ihipStream_tbENKUlT_T0_SI_SN_E_clISD_SD_SD_SD_EEDaS11_S12_SI_SN_EUlS11_E_NS1_11comp_targetILNS1_3genE10ELNS1_11target_archE1201ELNS1_3gpuE5ELNS1_3repE0EEENS1_47radix_sort_onesweep_sort_config_static_selectorELNS0_4arch9wavefront6targetE1EEEvSI_.num_named_barrier, 0
	.set _ZN7rocprim17ROCPRIM_400000_NS6detail17trampoline_kernelINS0_14default_configENS1_35radix_sort_onesweep_config_selectorIjjEEZZNS1_29radix_sort_onesweep_iterationIS3_Lb0EN6thrust23THRUST_200600_302600_NS6detail15normal_iteratorINS8_10device_ptrIjEEEESD_SD_SD_jNS0_19identity_decomposerENS1_16block_id_wrapperIjLb1EEEEE10hipError_tT1_PNSt15iterator_traitsISI_E10value_typeET2_T3_PNSJ_ISO_E10value_typeET4_T5_PST_SU_PNS1_23onesweep_lookback_stateEbbT6_jjT7_P12ihipStream_tbENKUlT_T0_SI_SN_E_clISD_SD_SD_SD_EEDaS11_S12_SI_SN_EUlS11_E_NS1_11comp_targetILNS1_3genE10ELNS1_11target_archE1201ELNS1_3gpuE5ELNS1_3repE0EEENS1_47radix_sort_onesweep_sort_config_static_selectorELNS0_4arch9wavefront6targetE1EEEvSI_.private_seg_size, 0
	.set _ZN7rocprim17ROCPRIM_400000_NS6detail17trampoline_kernelINS0_14default_configENS1_35radix_sort_onesweep_config_selectorIjjEEZZNS1_29radix_sort_onesweep_iterationIS3_Lb0EN6thrust23THRUST_200600_302600_NS6detail15normal_iteratorINS8_10device_ptrIjEEEESD_SD_SD_jNS0_19identity_decomposerENS1_16block_id_wrapperIjLb1EEEEE10hipError_tT1_PNSt15iterator_traitsISI_E10value_typeET2_T3_PNSJ_ISO_E10value_typeET4_T5_PST_SU_PNS1_23onesweep_lookback_stateEbbT6_jjT7_P12ihipStream_tbENKUlT_T0_SI_SN_E_clISD_SD_SD_SD_EEDaS11_S12_SI_SN_EUlS11_E_NS1_11comp_targetILNS1_3genE10ELNS1_11target_archE1201ELNS1_3gpuE5ELNS1_3repE0EEENS1_47radix_sort_onesweep_sort_config_static_selectorELNS0_4arch9wavefront6targetE1EEEvSI_.uses_vcc, 0
	.set _ZN7rocprim17ROCPRIM_400000_NS6detail17trampoline_kernelINS0_14default_configENS1_35radix_sort_onesweep_config_selectorIjjEEZZNS1_29radix_sort_onesweep_iterationIS3_Lb0EN6thrust23THRUST_200600_302600_NS6detail15normal_iteratorINS8_10device_ptrIjEEEESD_SD_SD_jNS0_19identity_decomposerENS1_16block_id_wrapperIjLb1EEEEE10hipError_tT1_PNSt15iterator_traitsISI_E10value_typeET2_T3_PNSJ_ISO_E10value_typeET4_T5_PST_SU_PNS1_23onesweep_lookback_stateEbbT6_jjT7_P12ihipStream_tbENKUlT_T0_SI_SN_E_clISD_SD_SD_SD_EEDaS11_S12_SI_SN_EUlS11_E_NS1_11comp_targetILNS1_3genE10ELNS1_11target_archE1201ELNS1_3gpuE5ELNS1_3repE0EEENS1_47radix_sort_onesweep_sort_config_static_selectorELNS0_4arch9wavefront6targetE1EEEvSI_.uses_flat_scratch, 0
	.set _ZN7rocprim17ROCPRIM_400000_NS6detail17trampoline_kernelINS0_14default_configENS1_35radix_sort_onesweep_config_selectorIjjEEZZNS1_29radix_sort_onesweep_iterationIS3_Lb0EN6thrust23THRUST_200600_302600_NS6detail15normal_iteratorINS8_10device_ptrIjEEEESD_SD_SD_jNS0_19identity_decomposerENS1_16block_id_wrapperIjLb1EEEEE10hipError_tT1_PNSt15iterator_traitsISI_E10value_typeET2_T3_PNSJ_ISO_E10value_typeET4_T5_PST_SU_PNS1_23onesweep_lookback_stateEbbT6_jjT7_P12ihipStream_tbENKUlT_T0_SI_SN_E_clISD_SD_SD_SD_EEDaS11_S12_SI_SN_EUlS11_E_NS1_11comp_targetILNS1_3genE10ELNS1_11target_archE1201ELNS1_3gpuE5ELNS1_3repE0EEENS1_47radix_sort_onesweep_sort_config_static_selectorELNS0_4arch9wavefront6targetE1EEEvSI_.has_dyn_sized_stack, 0
	.set _ZN7rocprim17ROCPRIM_400000_NS6detail17trampoline_kernelINS0_14default_configENS1_35radix_sort_onesweep_config_selectorIjjEEZZNS1_29radix_sort_onesweep_iterationIS3_Lb0EN6thrust23THRUST_200600_302600_NS6detail15normal_iteratorINS8_10device_ptrIjEEEESD_SD_SD_jNS0_19identity_decomposerENS1_16block_id_wrapperIjLb1EEEEE10hipError_tT1_PNSt15iterator_traitsISI_E10value_typeET2_T3_PNSJ_ISO_E10value_typeET4_T5_PST_SU_PNS1_23onesweep_lookback_stateEbbT6_jjT7_P12ihipStream_tbENKUlT_T0_SI_SN_E_clISD_SD_SD_SD_EEDaS11_S12_SI_SN_EUlS11_E_NS1_11comp_targetILNS1_3genE10ELNS1_11target_archE1201ELNS1_3gpuE5ELNS1_3repE0EEENS1_47radix_sort_onesweep_sort_config_static_selectorELNS0_4arch9wavefront6targetE1EEEvSI_.has_recursion, 0
	.set _ZN7rocprim17ROCPRIM_400000_NS6detail17trampoline_kernelINS0_14default_configENS1_35radix_sort_onesweep_config_selectorIjjEEZZNS1_29radix_sort_onesweep_iterationIS3_Lb0EN6thrust23THRUST_200600_302600_NS6detail15normal_iteratorINS8_10device_ptrIjEEEESD_SD_SD_jNS0_19identity_decomposerENS1_16block_id_wrapperIjLb1EEEEE10hipError_tT1_PNSt15iterator_traitsISI_E10value_typeET2_T3_PNSJ_ISO_E10value_typeET4_T5_PST_SU_PNS1_23onesweep_lookback_stateEbbT6_jjT7_P12ihipStream_tbENKUlT_T0_SI_SN_E_clISD_SD_SD_SD_EEDaS11_S12_SI_SN_EUlS11_E_NS1_11comp_targetILNS1_3genE10ELNS1_11target_archE1201ELNS1_3gpuE5ELNS1_3repE0EEENS1_47radix_sort_onesweep_sort_config_static_selectorELNS0_4arch9wavefront6targetE1EEEvSI_.has_indirect_call, 0
	.section	.AMDGPU.csdata,"",@progbits
; Kernel info:
; codeLenInByte = 0
; TotalNumSgprs: 6
; NumVgprs: 0
; NumAgprs: 0
; TotalNumVgprs: 0
; ScratchSize: 0
; MemoryBound: 0
; FloatMode: 240
; IeeeMode: 1
; LDSByteSize: 0 bytes/workgroup (compile time only)
; SGPRBlocks: 0
; VGPRBlocks: 0
; NumSGPRsForWavesPerEU: 6
; NumVGPRsForWavesPerEU: 1
; AccumOffset: 4
; Occupancy: 8
; WaveLimiterHint : 0
; COMPUTE_PGM_RSRC2:SCRATCH_EN: 0
; COMPUTE_PGM_RSRC2:USER_SGPR: 2
; COMPUTE_PGM_RSRC2:TRAP_HANDLER: 0
; COMPUTE_PGM_RSRC2:TGID_X_EN: 1
; COMPUTE_PGM_RSRC2:TGID_Y_EN: 0
; COMPUTE_PGM_RSRC2:TGID_Z_EN: 0
; COMPUTE_PGM_RSRC2:TIDIG_COMP_CNT: 0
; COMPUTE_PGM_RSRC3_GFX90A:ACCUM_OFFSET: 0
; COMPUTE_PGM_RSRC3_GFX90A:TG_SPLIT: 0
	.section	.text._ZN7rocprim17ROCPRIM_400000_NS6detail17trampoline_kernelINS0_14default_configENS1_35radix_sort_onesweep_config_selectorIjjEEZZNS1_29radix_sort_onesweep_iterationIS3_Lb0EN6thrust23THRUST_200600_302600_NS6detail15normal_iteratorINS8_10device_ptrIjEEEESD_SD_SD_jNS0_19identity_decomposerENS1_16block_id_wrapperIjLb1EEEEE10hipError_tT1_PNSt15iterator_traitsISI_E10value_typeET2_T3_PNSJ_ISO_E10value_typeET4_T5_PST_SU_PNS1_23onesweep_lookback_stateEbbT6_jjT7_P12ihipStream_tbENKUlT_T0_SI_SN_E_clISD_SD_SD_SD_EEDaS11_S12_SI_SN_EUlS11_E_NS1_11comp_targetILNS1_3genE9ELNS1_11target_archE1100ELNS1_3gpuE3ELNS1_3repE0EEENS1_47radix_sort_onesweep_sort_config_static_selectorELNS0_4arch9wavefront6targetE1EEEvSI_,"axG",@progbits,_ZN7rocprim17ROCPRIM_400000_NS6detail17trampoline_kernelINS0_14default_configENS1_35radix_sort_onesweep_config_selectorIjjEEZZNS1_29radix_sort_onesweep_iterationIS3_Lb0EN6thrust23THRUST_200600_302600_NS6detail15normal_iteratorINS8_10device_ptrIjEEEESD_SD_SD_jNS0_19identity_decomposerENS1_16block_id_wrapperIjLb1EEEEE10hipError_tT1_PNSt15iterator_traitsISI_E10value_typeET2_T3_PNSJ_ISO_E10value_typeET4_T5_PST_SU_PNS1_23onesweep_lookback_stateEbbT6_jjT7_P12ihipStream_tbENKUlT_T0_SI_SN_E_clISD_SD_SD_SD_EEDaS11_S12_SI_SN_EUlS11_E_NS1_11comp_targetILNS1_3genE9ELNS1_11target_archE1100ELNS1_3gpuE3ELNS1_3repE0EEENS1_47radix_sort_onesweep_sort_config_static_selectorELNS0_4arch9wavefront6targetE1EEEvSI_,comdat
	.protected	_ZN7rocprim17ROCPRIM_400000_NS6detail17trampoline_kernelINS0_14default_configENS1_35radix_sort_onesweep_config_selectorIjjEEZZNS1_29radix_sort_onesweep_iterationIS3_Lb0EN6thrust23THRUST_200600_302600_NS6detail15normal_iteratorINS8_10device_ptrIjEEEESD_SD_SD_jNS0_19identity_decomposerENS1_16block_id_wrapperIjLb1EEEEE10hipError_tT1_PNSt15iterator_traitsISI_E10value_typeET2_T3_PNSJ_ISO_E10value_typeET4_T5_PST_SU_PNS1_23onesweep_lookback_stateEbbT6_jjT7_P12ihipStream_tbENKUlT_T0_SI_SN_E_clISD_SD_SD_SD_EEDaS11_S12_SI_SN_EUlS11_E_NS1_11comp_targetILNS1_3genE9ELNS1_11target_archE1100ELNS1_3gpuE3ELNS1_3repE0EEENS1_47radix_sort_onesweep_sort_config_static_selectorELNS0_4arch9wavefront6targetE1EEEvSI_ ; -- Begin function _ZN7rocprim17ROCPRIM_400000_NS6detail17trampoline_kernelINS0_14default_configENS1_35radix_sort_onesweep_config_selectorIjjEEZZNS1_29radix_sort_onesweep_iterationIS3_Lb0EN6thrust23THRUST_200600_302600_NS6detail15normal_iteratorINS8_10device_ptrIjEEEESD_SD_SD_jNS0_19identity_decomposerENS1_16block_id_wrapperIjLb1EEEEE10hipError_tT1_PNSt15iterator_traitsISI_E10value_typeET2_T3_PNSJ_ISO_E10value_typeET4_T5_PST_SU_PNS1_23onesweep_lookback_stateEbbT6_jjT7_P12ihipStream_tbENKUlT_T0_SI_SN_E_clISD_SD_SD_SD_EEDaS11_S12_SI_SN_EUlS11_E_NS1_11comp_targetILNS1_3genE9ELNS1_11target_archE1100ELNS1_3gpuE3ELNS1_3repE0EEENS1_47radix_sort_onesweep_sort_config_static_selectorELNS0_4arch9wavefront6targetE1EEEvSI_
	.globl	_ZN7rocprim17ROCPRIM_400000_NS6detail17trampoline_kernelINS0_14default_configENS1_35radix_sort_onesweep_config_selectorIjjEEZZNS1_29radix_sort_onesweep_iterationIS3_Lb0EN6thrust23THRUST_200600_302600_NS6detail15normal_iteratorINS8_10device_ptrIjEEEESD_SD_SD_jNS0_19identity_decomposerENS1_16block_id_wrapperIjLb1EEEEE10hipError_tT1_PNSt15iterator_traitsISI_E10value_typeET2_T3_PNSJ_ISO_E10value_typeET4_T5_PST_SU_PNS1_23onesweep_lookback_stateEbbT6_jjT7_P12ihipStream_tbENKUlT_T0_SI_SN_E_clISD_SD_SD_SD_EEDaS11_S12_SI_SN_EUlS11_E_NS1_11comp_targetILNS1_3genE9ELNS1_11target_archE1100ELNS1_3gpuE3ELNS1_3repE0EEENS1_47radix_sort_onesweep_sort_config_static_selectorELNS0_4arch9wavefront6targetE1EEEvSI_
	.p2align	8
	.type	_ZN7rocprim17ROCPRIM_400000_NS6detail17trampoline_kernelINS0_14default_configENS1_35radix_sort_onesweep_config_selectorIjjEEZZNS1_29radix_sort_onesweep_iterationIS3_Lb0EN6thrust23THRUST_200600_302600_NS6detail15normal_iteratorINS8_10device_ptrIjEEEESD_SD_SD_jNS0_19identity_decomposerENS1_16block_id_wrapperIjLb1EEEEE10hipError_tT1_PNSt15iterator_traitsISI_E10value_typeET2_T3_PNSJ_ISO_E10value_typeET4_T5_PST_SU_PNS1_23onesweep_lookback_stateEbbT6_jjT7_P12ihipStream_tbENKUlT_T0_SI_SN_E_clISD_SD_SD_SD_EEDaS11_S12_SI_SN_EUlS11_E_NS1_11comp_targetILNS1_3genE9ELNS1_11target_archE1100ELNS1_3gpuE3ELNS1_3repE0EEENS1_47radix_sort_onesweep_sort_config_static_selectorELNS0_4arch9wavefront6targetE1EEEvSI_,@function
_ZN7rocprim17ROCPRIM_400000_NS6detail17trampoline_kernelINS0_14default_configENS1_35radix_sort_onesweep_config_selectorIjjEEZZNS1_29radix_sort_onesweep_iterationIS3_Lb0EN6thrust23THRUST_200600_302600_NS6detail15normal_iteratorINS8_10device_ptrIjEEEESD_SD_SD_jNS0_19identity_decomposerENS1_16block_id_wrapperIjLb1EEEEE10hipError_tT1_PNSt15iterator_traitsISI_E10value_typeET2_T3_PNSJ_ISO_E10value_typeET4_T5_PST_SU_PNS1_23onesweep_lookback_stateEbbT6_jjT7_P12ihipStream_tbENKUlT_T0_SI_SN_E_clISD_SD_SD_SD_EEDaS11_S12_SI_SN_EUlS11_E_NS1_11comp_targetILNS1_3genE9ELNS1_11target_archE1100ELNS1_3gpuE3ELNS1_3repE0EEENS1_47radix_sort_onesweep_sort_config_static_selectorELNS0_4arch9wavefront6targetE1EEEvSI_: ; @_ZN7rocprim17ROCPRIM_400000_NS6detail17trampoline_kernelINS0_14default_configENS1_35radix_sort_onesweep_config_selectorIjjEEZZNS1_29radix_sort_onesweep_iterationIS3_Lb0EN6thrust23THRUST_200600_302600_NS6detail15normal_iteratorINS8_10device_ptrIjEEEESD_SD_SD_jNS0_19identity_decomposerENS1_16block_id_wrapperIjLb1EEEEE10hipError_tT1_PNSt15iterator_traitsISI_E10value_typeET2_T3_PNSJ_ISO_E10value_typeET4_T5_PST_SU_PNS1_23onesweep_lookback_stateEbbT6_jjT7_P12ihipStream_tbENKUlT_T0_SI_SN_E_clISD_SD_SD_SD_EEDaS11_S12_SI_SN_EUlS11_E_NS1_11comp_targetILNS1_3genE9ELNS1_11target_archE1100ELNS1_3gpuE3ELNS1_3repE0EEENS1_47radix_sort_onesweep_sort_config_static_selectorELNS0_4arch9wavefront6targetE1EEEvSI_
; %bb.0:
	.section	.rodata,"a",@progbits
	.p2align	6, 0x0
	.amdhsa_kernel _ZN7rocprim17ROCPRIM_400000_NS6detail17trampoline_kernelINS0_14default_configENS1_35radix_sort_onesweep_config_selectorIjjEEZZNS1_29radix_sort_onesweep_iterationIS3_Lb0EN6thrust23THRUST_200600_302600_NS6detail15normal_iteratorINS8_10device_ptrIjEEEESD_SD_SD_jNS0_19identity_decomposerENS1_16block_id_wrapperIjLb1EEEEE10hipError_tT1_PNSt15iterator_traitsISI_E10value_typeET2_T3_PNSJ_ISO_E10value_typeET4_T5_PST_SU_PNS1_23onesweep_lookback_stateEbbT6_jjT7_P12ihipStream_tbENKUlT_T0_SI_SN_E_clISD_SD_SD_SD_EEDaS11_S12_SI_SN_EUlS11_E_NS1_11comp_targetILNS1_3genE9ELNS1_11target_archE1100ELNS1_3gpuE3ELNS1_3repE0EEENS1_47radix_sort_onesweep_sort_config_static_selectorELNS0_4arch9wavefront6targetE1EEEvSI_
		.amdhsa_group_segment_fixed_size 0
		.amdhsa_private_segment_fixed_size 0
		.amdhsa_kernarg_size 88
		.amdhsa_user_sgpr_count 2
		.amdhsa_user_sgpr_dispatch_ptr 0
		.amdhsa_user_sgpr_queue_ptr 0
		.amdhsa_user_sgpr_kernarg_segment_ptr 1
		.amdhsa_user_sgpr_dispatch_id 0
		.amdhsa_user_sgpr_kernarg_preload_length 0
		.amdhsa_user_sgpr_kernarg_preload_offset 0
		.amdhsa_user_sgpr_private_segment_size 0
		.amdhsa_uses_dynamic_stack 0
		.amdhsa_enable_private_segment 0
		.amdhsa_system_sgpr_workgroup_id_x 1
		.amdhsa_system_sgpr_workgroup_id_y 0
		.amdhsa_system_sgpr_workgroup_id_z 0
		.amdhsa_system_sgpr_workgroup_info 0
		.amdhsa_system_vgpr_workitem_id 0
		.amdhsa_next_free_vgpr 1
		.amdhsa_next_free_sgpr 0
		.amdhsa_accum_offset 4
		.amdhsa_reserve_vcc 0
		.amdhsa_float_round_mode_32 0
		.amdhsa_float_round_mode_16_64 0
		.amdhsa_float_denorm_mode_32 3
		.amdhsa_float_denorm_mode_16_64 3
		.amdhsa_dx10_clamp 1
		.amdhsa_ieee_mode 1
		.amdhsa_fp16_overflow 0
		.amdhsa_tg_split 0
		.amdhsa_exception_fp_ieee_invalid_op 0
		.amdhsa_exception_fp_denorm_src 0
		.amdhsa_exception_fp_ieee_div_zero 0
		.amdhsa_exception_fp_ieee_overflow 0
		.amdhsa_exception_fp_ieee_underflow 0
		.amdhsa_exception_fp_ieee_inexact 0
		.amdhsa_exception_int_div_zero 0
	.end_amdhsa_kernel
	.section	.text._ZN7rocprim17ROCPRIM_400000_NS6detail17trampoline_kernelINS0_14default_configENS1_35radix_sort_onesweep_config_selectorIjjEEZZNS1_29radix_sort_onesweep_iterationIS3_Lb0EN6thrust23THRUST_200600_302600_NS6detail15normal_iteratorINS8_10device_ptrIjEEEESD_SD_SD_jNS0_19identity_decomposerENS1_16block_id_wrapperIjLb1EEEEE10hipError_tT1_PNSt15iterator_traitsISI_E10value_typeET2_T3_PNSJ_ISO_E10value_typeET4_T5_PST_SU_PNS1_23onesweep_lookback_stateEbbT6_jjT7_P12ihipStream_tbENKUlT_T0_SI_SN_E_clISD_SD_SD_SD_EEDaS11_S12_SI_SN_EUlS11_E_NS1_11comp_targetILNS1_3genE9ELNS1_11target_archE1100ELNS1_3gpuE3ELNS1_3repE0EEENS1_47radix_sort_onesweep_sort_config_static_selectorELNS0_4arch9wavefront6targetE1EEEvSI_,"axG",@progbits,_ZN7rocprim17ROCPRIM_400000_NS6detail17trampoline_kernelINS0_14default_configENS1_35radix_sort_onesweep_config_selectorIjjEEZZNS1_29radix_sort_onesweep_iterationIS3_Lb0EN6thrust23THRUST_200600_302600_NS6detail15normal_iteratorINS8_10device_ptrIjEEEESD_SD_SD_jNS0_19identity_decomposerENS1_16block_id_wrapperIjLb1EEEEE10hipError_tT1_PNSt15iterator_traitsISI_E10value_typeET2_T3_PNSJ_ISO_E10value_typeET4_T5_PST_SU_PNS1_23onesweep_lookback_stateEbbT6_jjT7_P12ihipStream_tbENKUlT_T0_SI_SN_E_clISD_SD_SD_SD_EEDaS11_S12_SI_SN_EUlS11_E_NS1_11comp_targetILNS1_3genE9ELNS1_11target_archE1100ELNS1_3gpuE3ELNS1_3repE0EEENS1_47radix_sort_onesweep_sort_config_static_selectorELNS0_4arch9wavefront6targetE1EEEvSI_,comdat
.Lfunc_end758:
	.size	_ZN7rocprim17ROCPRIM_400000_NS6detail17trampoline_kernelINS0_14default_configENS1_35radix_sort_onesweep_config_selectorIjjEEZZNS1_29radix_sort_onesweep_iterationIS3_Lb0EN6thrust23THRUST_200600_302600_NS6detail15normal_iteratorINS8_10device_ptrIjEEEESD_SD_SD_jNS0_19identity_decomposerENS1_16block_id_wrapperIjLb1EEEEE10hipError_tT1_PNSt15iterator_traitsISI_E10value_typeET2_T3_PNSJ_ISO_E10value_typeET4_T5_PST_SU_PNS1_23onesweep_lookback_stateEbbT6_jjT7_P12ihipStream_tbENKUlT_T0_SI_SN_E_clISD_SD_SD_SD_EEDaS11_S12_SI_SN_EUlS11_E_NS1_11comp_targetILNS1_3genE9ELNS1_11target_archE1100ELNS1_3gpuE3ELNS1_3repE0EEENS1_47radix_sort_onesweep_sort_config_static_selectorELNS0_4arch9wavefront6targetE1EEEvSI_, .Lfunc_end758-_ZN7rocprim17ROCPRIM_400000_NS6detail17trampoline_kernelINS0_14default_configENS1_35radix_sort_onesweep_config_selectorIjjEEZZNS1_29radix_sort_onesweep_iterationIS3_Lb0EN6thrust23THRUST_200600_302600_NS6detail15normal_iteratorINS8_10device_ptrIjEEEESD_SD_SD_jNS0_19identity_decomposerENS1_16block_id_wrapperIjLb1EEEEE10hipError_tT1_PNSt15iterator_traitsISI_E10value_typeET2_T3_PNSJ_ISO_E10value_typeET4_T5_PST_SU_PNS1_23onesweep_lookback_stateEbbT6_jjT7_P12ihipStream_tbENKUlT_T0_SI_SN_E_clISD_SD_SD_SD_EEDaS11_S12_SI_SN_EUlS11_E_NS1_11comp_targetILNS1_3genE9ELNS1_11target_archE1100ELNS1_3gpuE3ELNS1_3repE0EEENS1_47radix_sort_onesweep_sort_config_static_selectorELNS0_4arch9wavefront6targetE1EEEvSI_
                                        ; -- End function
	.set _ZN7rocprim17ROCPRIM_400000_NS6detail17trampoline_kernelINS0_14default_configENS1_35radix_sort_onesweep_config_selectorIjjEEZZNS1_29radix_sort_onesweep_iterationIS3_Lb0EN6thrust23THRUST_200600_302600_NS6detail15normal_iteratorINS8_10device_ptrIjEEEESD_SD_SD_jNS0_19identity_decomposerENS1_16block_id_wrapperIjLb1EEEEE10hipError_tT1_PNSt15iterator_traitsISI_E10value_typeET2_T3_PNSJ_ISO_E10value_typeET4_T5_PST_SU_PNS1_23onesweep_lookback_stateEbbT6_jjT7_P12ihipStream_tbENKUlT_T0_SI_SN_E_clISD_SD_SD_SD_EEDaS11_S12_SI_SN_EUlS11_E_NS1_11comp_targetILNS1_3genE9ELNS1_11target_archE1100ELNS1_3gpuE3ELNS1_3repE0EEENS1_47radix_sort_onesweep_sort_config_static_selectorELNS0_4arch9wavefront6targetE1EEEvSI_.num_vgpr, 0
	.set _ZN7rocprim17ROCPRIM_400000_NS6detail17trampoline_kernelINS0_14default_configENS1_35radix_sort_onesweep_config_selectorIjjEEZZNS1_29radix_sort_onesweep_iterationIS3_Lb0EN6thrust23THRUST_200600_302600_NS6detail15normal_iteratorINS8_10device_ptrIjEEEESD_SD_SD_jNS0_19identity_decomposerENS1_16block_id_wrapperIjLb1EEEEE10hipError_tT1_PNSt15iterator_traitsISI_E10value_typeET2_T3_PNSJ_ISO_E10value_typeET4_T5_PST_SU_PNS1_23onesweep_lookback_stateEbbT6_jjT7_P12ihipStream_tbENKUlT_T0_SI_SN_E_clISD_SD_SD_SD_EEDaS11_S12_SI_SN_EUlS11_E_NS1_11comp_targetILNS1_3genE9ELNS1_11target_archE1100ELNS1_3gpuE3ELNS1_3repE0EEENS1_47radix_sort_onesweep_sort_config_static_selectorELNS0_4arch9wavefront6targetE1EEEvSI_.num_agpr, 0
	.set _ZN7rocprim17ROCPRIM_400000_NS6detail17trampoline_kernelINS0_14default_configENS1_35radix_sort_onesweep_config_selectorIjjEEZZNS1_29radix_sort_onesweep_iterationIS3_Lb0EN6thrust23THRUST_200600_302600_NS6detail15normal_iteratorINS8_10device_ptrIjEEEESD_SD_SD_jNS0_19identity_decomposerENS1_16block_id_wrapperIjLb1EEEEE10hipError_tT1_PNSt15iterator_traitsISI_E10value_typeET2_T3_PNSJ_ISO_E10value_typeET4_T5_PST_SU_PNS1_23onesweep_lookback_stateEbbT6_jjT7_P12ihipStream_tbENKUlT_T0_SI_SN_E_clISD_SD_SD_SD_EEDaS11_S12_SI_SN_EUlS11_E_NS1_11comp_targetILNS1_3genE9ELNS1_11target_archE1100ELNS1_3gpuE3ELNS1_3repE0EEENS1_47radix_sort_onesweep_sort_config_static_selectorELNS0_4arch9wavefront6targetE1EEEvSI_.numbered_sgpr, 0
	.set _ZN7rocprim17ROCPRIM_400000_NS6detail17trampoline_kernelINS0_14default_configENS1_35radix_sort_onesweep_config_selectorIjjEEZZNS1_29radix_sort_onesweep_iterationIS3_Lb0EN6thrust23THRUST_200600_302600_NS6detail15normal_iteratorINS8_10device_ptrIjEEEESD_SD_SD_jNS0_19identity_decomposerENS1_16block_id_wrapperIjLb1EEEEE10hipError_tT1_PNSt15iterator_traitsISI_E10value_typeET2_T3_PNSJ_ISO_E10value_typeET4_T5_PST_SU_PNS1_23onesweep_lookback_stateEbbT6_jjT7_P12ihipStream_tbENKUlT_T0_SI_SN_E_clISD_SD_SD_SD_EEDaS11_S12_SI_SN_EUlS11_E_NS1_11comp_targetILNS1_3genE9ELNS1_11target_archE1100ELNS1_3gpuE3ELNS1_3repE0EEENS1_47radix_sort_onesweep_sort_config_static_selectorELNS0_4arch9wavefront6targetE1EEEvSI_.num_named_barrier, 0
	.set _ZN7rocprim17ROCPRIM_400000_NS6detail17trampoline_kernelINS0_14default_configENS1_35radix_sort_onesweep_config_selectorIjjEEZZNS1_29radix_sort_onesweep_iterationIS3_Lb0EN6thrust23THRUST_200600_302600_NS6detail15normal_iteratorINS8_10device_ptrIjEEEESD_SD_SD_jNS0_19identity_decomposerENS1_16block_id_wrapperIjLb1EEEEE10hipError_tT1_PNSt15iterator_traitsISI_E10value_typeET2_T3_PNSJ_ISO_E10value_typeET4_T5_PST_SU_PNS1_23onesweep_lookback_stateEbbT6_jjT7_P12ihipStream_tbENKUlT_T0_SI_SN_E_clISD_SD_SD_SD_EEDaS11_S12_SI_SN_EUlS11_E_NS1_11comp_targetILNS1_3genE9ELNS1_11target_archE1100ELNS1_3gpuE3ELNS1_3repE0EEENS1_47radix_sort_onesweep_sort_config_static_selectorELNS0_4arch9wavefront6targetE1EEEvSI_.private_seg_size, 0
	.set _ZN7rocprim17ROCPRIM_400000_NS6detail17trampoline_kernelINS0_14default_configENS1_35radix_sort_onesweep_config_selectorIjjEEZZNS1_29radix_sort_onesweep_iterationIS3_Lb0EN6thrust23THRUST_200600_302600_NS6detail15normal_iteratorINS8_10device_ptrIjEEEESD_SD_SD_jNS0_19identity_decomposerENS1_16block_id_wrapperIjLb1EEEEE10hipError_tT1_PNSt15iterator_traitsISI_E10value_typeET2_T3_PNSJ_ISO_E10value_typeET4_T5_PST_SU_PNS1_23onesweep_lookback_stateEbbT6_jjT7_P12ihipStream_tbENKUlT_T0_SI_SN_E_clISD_SD_SD_SD_EEDaS11_S12_SI_SN_EUlS11_E_NS1_11comp_targetILNS1_3genE9ELNS1_11target_archE1100ELNS1_3gpuE3ELNS1_3repE0EEENS1_47radix_sort_onesweep_sort_config_static_selectorELNS0_4arch9wavefront6targetE1EEEvSI_.uses_vcc, 0
	.set _ZN7rocprim17ROCPRIM_400000_NS6detail17trampoline_kernelINS0_14default_configENS1_35radix_sort_onesweep_config_selectorIjjEEZZNS1_29radix_sort_onesweep_iterationIS3_Lb0EN6thrust23THRUST_200600_302600_NS6detail15normal_iteratorINS8_10device_ptrIjEEEESD_SD_SD_jNS0_19identity_decomposerENS1_16block_id_wrapperIjLb1EEEEE10hipError_tT1_PNSt15iterator_traitsISI_E10value_typeET2_T3_PNSJ_ISO_E10value_typeET4_T5_PST_SU_PNS1_23onesweep_lookback_stateEbbT6_jjT7_P12ihipStream_tbENKUlT_T0_SI_SN_E_clISD_SD_SD_SD_EEDaS11_S12_SI_SN_EUlS11_E_NS1_11comp_targetILNS1_3genE9ELNS1_11target_archE1100ELNS1_3gpuE3ELNS1_3repE0EEENS1_47radix_sort_onesweep_sort_config_static_selectorELNS0_4arch9wavefront6targetE1EEEvSI_.uses_flat_scratch, 0
	.set _ZN7rocprim17ROCPRIM_400000_NS6detail17trampoline_kernelINS0_14default_configENS1_35radix_sort_onesweep_config_selectorIjjEEZZNS1_29radix_sort_onesweep_iterationIS3_Lb0EN6thrust23THRUST_200600_302600_NS6detail15normal_iteratorINS8_10device_ptrIjEEEESD_SD_SD_jNS0_19identity_decomposerENS1_16block_id_wrapperIjLb1EEEEE10hipError_tT1_PNSt15iterator_traitsISI_E10value_typeET2_T3_PNSJ_ISO_E10value_typeET4_T5_PST_SU_PNS1_23onesweep_lookback_stateEbbT6_jjT7_P12ihipStream_tbENKUlT_T0_SI_SN_E_clISD_SD_SD_SD_EEDaS11_S12_SI_SN_EUlS11_E_NS1_11comp_targetILNS1_3genE9ELNS1_11target_archE1100ELNS1_3gpuE3ELNS1_3repE0EEENS1_47radix_sort_onesweep_sort_config_static_selectorELNS0_4arch9wavefront6targetE1EEEvSI_.has_dyn_sized_stack, 0
	.set _ZN7rocprim17ROCPRIM_400000_NS6detail17trampoline_kernelINS0_14default_configENS1_35radix_sort_onesweep_config_selectorIjjEEZZNS1_29radix_sort_onesweep_iterationIS3_Lb0EN6thrust23THRUST_200600_302600_NS6detail15normal_iteratorINS8_10device_ptrIjEEEESD_SD_SD_jNS0_19identity_decomposerENS1_16block_id_wrapperIjLb1EEEEE10hipError_tT1_PNSt15iterator_traitsISI_E10value_typeET2_T3_PNSJ_ISO_E10value_typeET4_T5_PST_SU_PNS1_23onesweep_lookback_stateEbbT6_jjT7_P12ihipStream_tbENKUlT_T0_SI_SN_E_clISD_SD_SD_SD_EEDaS11_S12_SI_SN_EUlS11_E_NS1_11comp_targetILNS1_3genE9ELNS1_11target_archE1100ELNS1_3gpuE3ELNS1_3repE0EEENS1_47radix_sort_onesweep_sort_config_static_selectorELNS0_4arch9wavefront6targetE1EEEvSI_.has_recursion, 0
	.set _ZN7rocprim17ROCPRIM_400000_NS6detail17trampoline_kernelINS0_14default_configENS1_35radix_sort_onesweep_config_selectorIjjEEZZNS1_29radix_sort_onesweep_iterationIS3_Lb0EN6thrust23THRUST_200600_302600_NS6detail15normal_iteratorINS8_10device_ptrIjEEEESD_SD_SD_jNS0_19identity_decomposerENS1_16block_id_wrapperIjLb1EEEEE10hipError_tT1_PNSt15iterator_traitsISI_E10value_typeET2_T3_PNSJ_ISO_E10value_typeET4_T5_PST_SU_PNS1_23onesweep_lookback_stateEbbT6_jjT7_P12ihipStream_tbENKUlT_T0_SI_SN_E_clISD_SD_SD_SD_EEDaS11_S12_SI_SN_EUlS11_E_NS1_11comp_targetILNS1_3genE9ELNS1_11target_archE1100ELNS1_3gpuE3ELNS1_3repE0EEENS1_47radix_sort_onesweep_sort_config_static_selectorELNS0_4arch9wavefront6targetE1EEEvSI_.has_indirect_call, 0
	.section	.AMDGPU.csdata,"",@progbits
; Kernel info:
; codeLenInByte = 0
; TotalNumSgprs: 6
; NumVgprs: 0
; NumAgprs: 0
; TotalNumVgprs: 0
; ScratchSize: 0
; MemoryBound: 0
; FloatMode: 240
; IeeeMode: 1
; LDSByteSize: 0 bytes/workgroup (compile time only)
; SGPRBlocks: 0
; VGPRBlocks: 0
; NumSGPRsForWavesPerEU: 6
; NumVGPRsForWavesPerEU: 1
; AccumOffset: 4
; Occupancy: 8
; WaveLimiterHint : 0
; COMPUTE_PGM_RSRC2:SCRATCH_EN: 0
; COMPUTE_PGM_RSRC2:USER_SGPR: 2
; COMPUTE_PGM_RSRC2:TRAP_HANDLER: 0
; COMPUTE_PGM_RSRC2:TGID_X_EN: 1
; COMPUTE_PGM_RSRC2:TGID_Y_EN: 0
; COMPUTE_PGM_RSRC2:TGID_Z_EN: 0
; COMPUTE_PGM_RSRC2:TIDIG_COMP_CNT: 0
; COMPUTE_PGM_RSRC3_GFX90A:ACCUM_OFFSET: 0
; COMPUTE_PGM_RSRC3_GFX90A:TG_SPLIT: 0
	.section	.text._ZN7rocprim17ROCPRIM_400000_NS6detail17trampoline_kernelINS0_14default_configENS1_35radix_sort_onesweep_config_selectorIjjEEZZNS1_29radix_sort_onesweep_iterationIS3_Lb0EN6thrust23THRUST_200600_302600_NS6detail15normal_iteratorINS8_10device_ptrIjEEEESD_SD_SD_jNS0_19identity_decomposerENS1_16block_id_wrapperIjLb1EEEEE10hipError_tT1_PNSt15iterator_traitsISI_E10value_typeET2_T3_PNSJ_ISO_E10value_typeET4_T5_PST_SU_PNS1_23onesweep_lookback_stateEbbT6_jjT7_P12ihipStream_tbENKUlT_T0_SI_SN_E_clISD_SD_SD_SD_EEDaS11_S12_SI_SN_EUlS11_E_NS1_11comp_targetILNS1_3genE8ELNS1_11target_archE1030ELNS1_3gpuE2ELNS1_3repE0EEENS1_47radix_sort_onesweep_sort_config_static_selectorELNS0_4arch9wavefront6targetE1EEEvSI_,"axG",@progbits,_ZN7rocprim17ROCPRIM_400000_NS6detail17trampoline_kernelINS0_14default_configENS1_35radix_sort_onesweep_config_selectorIjjEEZZNS1_29radix_sort_onesweep_iterationIS3_Lb0EN6thrust23THRUST_200600_302600_NS6detail15normal_iteratorINS8_10device_ptrIjEEEESD_SD_SD_jNS0_19identity_decomposerENS1_16block_id_wrapperIjLb1EEEEE10hipError_tT1_PNSt15iterator_traitsISI_E10value_typeET2_T3_PNSJ_ISO_E10value_typeET4_T5_PST_SU_PNS1_23onesweep_lookback_stateEbbT6_jjT7_P12ihipStream_tbENKUlT_T0_SI_SN_E_clISD_SD_SD_SD_EEDaS11_S12_SI_SN_EUlS11_E_NS1_11comp_targetILNS1_3genE8ELNS1_11target_archE1030ELNS1_3gpuE2ELNS1_3repE0EEENS1_47radix_sort_onesweep_sort_config_static_selectorELNS0_4arch9wavefront6targetE1EEEvSI_,comdat
	.protected	_ZN7rocprim17ROCPRIM_400000_NS6detail17trampoline_kernelINS0_14default_configENS1_35radix_sort_onesweep_config_selectorIjjEEZZNS1_29radix_sort_onesweep_iterationIS3_Lb0EN6thrust23THRUST_200600_302600_NS6detail15normal_iteratorINS8_10device_ptrIjEEEESD_SD_SD_jNS0_19identity_decomposerENS1_16block_id_wrapperIjLb1EEEEE10hipError_tT1_PNSt15iterator_traitsISI_E10value_typeET2_T3_PNSJ_ISO_E10value_typeET4_T5_PST_SU_PNS1_23onesweep_lookback_stateEbbT6_jjT7_P12ihipStream_tbENKUlT_T0_SI_SN_E_clISD_SD_SD_SD_EEDaS11_S12_SI_SN_EUlS11_E_NS1_11comp_targetILNS1_3genE8ELNS1_11target_archE1030ELNS1_3gpuE2ELNS1_3repE0EEENS1_47radix_sort_onesweep_sort_config_static_selectorELNS0_4arch9wavefront6targetE1EEEvSI_ ; -- Begin function _ZN7rocprim17ROCPRIM_400000_NS6detail17trampoline_kernelINS0_14default_configENS1_35radix_sort_onesweep_config_selectorIjjEEZZNS1_29radix_sort_onesweep_iterationIS3_Lb0EN6thrust23THRUST_200600_302600_NS6detail15normal_iteratorINS8_10device_ptrIjEEEESD_SD_SD_jNS0_19identity_decomposerENS1_16block_id_wrapperIjLb1EEEEE10hipError_tT1_PNSt15iterator_traitsISI_E10value_typeET2_T3_PNSJ_ISO_E10value_typeET4_T5_PST_SU_PNS1_23onesweep_lookback_stateEbbT6_jjT7_P12ihipStream_tbENKUlT_T0_SI_SN_E_clISD_SD_SD_SD_EEDaS11_S12_SI_SN_EUlS11_E_NS1_11comp_targetILNS1_3genE8ELNS1_11target_archE1030ELNS1_3gpuE2ELNS1_3repE0EEENS1_47radix_sort_onesweep_sort_config_static_selectorELNS0_4arch9wavefront6targetE1EEEvSI_
	.globl	_ZN7rocprim17ROCPRIM_400000_NS6detail17trampoline_kernelINS0_14default_configENS1_35radix_sort_onesweep_config_selectorIjjEEZZNS1_29radix_sort_onesweep_iterationIS3_Lb0EN6thrust23THRUST_200600_302600_NS6detail15normal_iteratorINS8_10device_ptrIjEEEESD_SD_SD_jNS0_19identity_decomposerENS1_16block_id_wrapperIjLb1EEEEE10hipError_tT1_PNSt15iterator_traitsISI_E10value_typeET2_T3_PNSJ_ISO_E10value_typeET4_T5_PST_SU_PNS1_23onesweep_lookback_stateEbbT6_jjT7_P12ihipStream_tbENKUlT_T0_SI_SN_E_clISD_SD_SD_SD_EEDaS11_S12_SI_SN_EUlS11_E_NS1_11comp_targetILNS1_3genE8ELNS1_11target_archE1030ELNS1_3gpuE2ELNS1_3repE0EEENS1_47radix_sort_onesweep_sort_config_static_selectorELNS0_4arch9wavefront6targetE1EEEvSI_
	.p2align	8
	.type	_ZN7rocprim17ROCPRIM_400000_NS6detail17trampoline_kernelINS0_14default_configENS1_35radix_sort_onesweep_config_selectorIjjEEZZNS1_29radix_sort_onesweep_iterationIS3_Lb0EN6thrust23THRUST_200600_302600_NS6detail15normal_iteratorINS8_10device_ptrIjEEEESD_SD_SD_jNS0_19identity_decomposerENS1_16block_id_wrapperIjLb1EEEEE10hipError_tT1_PNSt15iterator_traitsISI_E10value_typeET2_T3_PNSJ_ISO_E10value_typeET4_T5_PST_SU_PNS1_23onesweep_lookback_stateEbbT6_jjT7_P12ihipStream_tbENKUlT_T0_SI_SN_E_clISD_SD_SD_SD_EEDaS11_S12_SI_SN_EUlS11_E_NS1_11comp_targetILNS1_3genE8ELNS1_11target_archE1030ELNS1_3gpuE2ELNS1_3repE0EEENS1_47radix_sort_onesweep_sort_config_static_selectorELNS0_4arch9wavefront6targetE1EEEvSI_,@function
_ZN7rocprim17ROCPRIM_400000_NS6detail17trampoline_kernelINS0_14default_configENS1_35radix_sort_onesweep_config_selectorIjjEEZZNS1_29radix_sort_onesweep_iterationIS3_Lb0EN6thrust23THRUST_200600_302600_NS6detail15normal_iteratorINS8_10device_ptrIjEEEESD_SD_SD_jNS0_19identity_decomposerENS1_16block_id_wrapperIjLb1EEEEE10hipError_tT1_PNSt15iterator_traitsISI_E10value_typeET2_T3_PNSJ_ISO_E10value_typeET4_T5_PST_SU_PNS1_23onesweep_lookback_stateEbbT6_jjT7_P12ihipStream_tbENKUlT_T0_SI_SN_E_clISD_SD_SD_SD_EEDaS11_S12_SI_SN_EUlS11_E_NS1_11comp_targetILNS1_3genE8ELNS1_11target_archE1030ELNS1_3gpuE2ELNS1_3repE0EEENS1_47radix_sort_onesweep_sort_config_static_selectorELNS0_4arch9wavefront6targetE1EEEvSI_: ; @_ZN7rocprim17ROCPRIM_400000_NS6detail17trampoline_kernelINS0_14default_configENS1_35radix_sort_onesweep_config_selectorIjjEEZZNS1_29radix_sort_onesweep_iterationIS3_Lb0EN6thrust23THRUST_200600_302600_NS6detail15normal_iteratorINS8_10device_ptrIjEEEESD_SD_SD_jNS0_19identity_decomposerENS1_16block_id_wrapperIjLb1EEEEE10hipError_tT1_PNSt15iterator_traitsISI_E10value_typeET2_T3_PNSJ_ISO_E10value_typeET4_T5_PST_SU_PNS1_23onesweep_lookback_stateEbbT6_jjT7_P12ihipStream_tbENKUlT_T0_SI_SN_E_clISD_SD_SD_SD_EEDaS11_S12_SI_SN_EUlS11_E_NS1_11comp_targetILNS1_3genE8ELNS1_11target_archE1030ELNS1_3gpuE2ELNS1_3repE0EEENS1_47radix_sort_onesweep_sort_config_static_selectorELNS0_4arch9wavefront6targetE1EEEvSI_
; %bb.0:
	.section	.rodata,"a",@progbits
	.p2align	6, 0x0
	.amdhsa_kernel _ZN7rocprim17ROCPRIM_400000_NS6detail17trampoline_kernelINS0_14default_configENS1_35radix_sort_onesweep_config_selectorIjjEEZZNS1_29radix_sort_onesweep_iterationIS3_Lb0EN6thrust23THRUST_200600_302600_NS6detail15normal_iteratorINS8_10device_ptrIjEEEESD_SD_SD_jNS0_19identity_decomposerENS1_16block_id_wrapperIjLb1EEEEE10hipError_tT1_PNSt15iterator_traitsISI_E10value_typeET2_T3_PNSJ_ISO_E10value_typeET4_T5_PST_SU_PNS1_23onesweep_lookback_stateEbbT6_jjT7_P12ihipStream_tbENKUlT_T0_SI_SN_E_clISD_SD_SD_SD_EEDaS11_S12_SI_SN_EUlS11_E_NS1_11comp_targetILNS1_3genE8ELNS1_11target_archE1030ELNS1_3gpuE2ELNS1_3repE0EEENS1_47radix_sort_onesweep_sort_config_static_selectorELNS0_4arch9wavefront6targetE1EEEvSI_
		.amdhsa_group_segment_fixed_size 0
		.amdhsa_private_segment_fixed_size 0
		.amdhsa_kernarg_size 88
		.amdhsa_user_sgpr_count 2
		.amdhsa_user_sgpr_dispatch_ptr 0
		.amdhsa_user_sgpr_queue_ptr 0
		.amdhsa_user_sgpr_kernarg_segment_ptr 1
		.amdhsa_user_sgpr_dispatch_id 0
		.amdhsa_user_sgpr_kernarg_preload_length 0
		.amdhsa_user_sgpr_kernarg_preload_offset 0
		.amdhsa_user_sgpr_private_segment_size 0
		.amdhsa_uses_dynamic_stack 0
		.amdhsa_enable_private_segment 0
		.amdhsa_system_sgpr_workgroup_id_x 1
		.amdhsa_system_sgpr_workgroup_id_y 0
		.amdhsa_system_sgpr_workgroup_id_z 0
		.amdhsa_system_sgpr_workgroup_info 0
		.amdhsa_system_vgpr_workitem_id 0
		.amdhsa_next_free_vgpr 1
		.amdhsa_next_free_sgpr 0
		.amdhsa_accum_offset 4
		.amdhsa_reserve_vcc 0
		.amdhsa_float_round_mode_32 0
		.amdhsa_float_round_mode_16_64 0
		.amdhsa_float_denorm_mode_32 3
		.amdhsa_float_denorm_mode_16_64 3
		.amdhsa_dx10_clamp 1
		.amdhsa_ieee_mode 1
		.amdhsa_fp16_overflow 0
		.amdhsa_tg_split 0
		.amdhsa_exception_fp_ieee_invalid_op 0
		.amdhsa_exception_fp_denorm_src 0
		.amdhsa_exception_fp_ieee_div_zero 0
		.amdhsa_exception_fp_ieee_overflow 0
		.amdhsa_exception_fp_ieee_underflow 0
		.amdhsa_exception_fp_ieee_inexact 0
		.amdhsa_exception_int_div_zero 0
	.end_amdhsa_kernel
	.section	.text._ZN7rocprim17ROCPRIM_400000_NS6detail17trampoline_kernelINS0_14default_configENS1_35radix_sort_onesweep_config_selectorIjjEEZZNS1_29radix_sort_onesweep_iterationIS3_Lb0EN6thrust23THRUST_200600_302600_NS6detail15normal_iteratorINS8_10device_ptrIjEEEESD_SD_SD_jNS0_19identity_decomposerENS1_16block_id_wrapperIjLb1EEEEE10hipError_tT1_PNSt15iterator_traitsISI_E10value_typeET2_T3_PNSJ_ISO_E10value_typeET4_T5_PST_SU_PNS1_23onesweep_lookback_stateEbbT6_jjT7_P12ihipStream_tbENKUlT_T0_SI_SN_E_clISD_SD_SD_SD_EEDaS11_S12_SI_SN_EUlS11_E_NS1_11comp_targetILNS1_3genE8ELNS1_11target_archE1030ELNS1_3gpuE2ELNS1_3repE0EEENS1_47radix_sort_onesweep_sort_config_static_selectorELNS0_4arch9wavefront6targetE1EEEvSI_,"axG",@progbits,_ZN7rocprim17ROCPRIM_400000_NS6detail17trampoline_kernelINS0_14default_configENS1_35radix_sort_onesweep_config_selectorIjjEEZZNS1_29radix_sort_onesweep_iterationIS3_Lb0EN6thrust23THRUST_200600_302600_NS6detail15normal_iteratorINS8_10device_ptrIjEEEESD_SD_SD_jNS0_19identity_decomposerENS1_16block_id_wrapperIjLb1EEEEE10hipError_tT1_PNSt15iterator_traitsISI_E10value_typeET2_T3_PNSJ_ISO_E10value_typeET4_T5_PST_SU_PNS1_23onesweep_lookback_stateEbbT6_jjT7_P12ihipStream_tbENKUlT_T0_SI_SN_E_clISD_SD_SD_SD_EEDaS11_S12_SI_SN_EUlS11_E_NS1_11comp_targetILNS1_3genE8ELNS1_11target_archE1030ELNS1_3gpuE2ELNS1_3repE0EEENS1_47radix_sort_onesweep_sort_config_static_selectorELNS0_4arch9wavefront6targetE1EEEvSI_,comdat
.Lfunc_end759:
	.size	_ZN7rocprim17ROCPRIM_400000_NS6detail17trampoline_kernelINS0_14default_configENS1_35radix_sort_onesweep_config_selectorIjjEEZZNS1_29radix_sort_onesweep_iterationIS3_Lb0EN6thrust23THRUST_200600_302600_NS6detail15normal_iteratorINS8_10device_ptrIjEEEESD_SD_SD_jNS0_19identity_decomposerENS1_16block_id_wrapperIjLb1EEEEE10hipError_tT1_PNSt15iterator_traitsISI_E10value_typeET2_T3_PNSJ_ISO_E10value_typeET4_T5_PST_SU_PNS1_23onesweep_lookback_stateEbbT6_jjT7_P12ihipStream_tbENKUlT_T0_SI_SN_E_clISD_SD_SD_SD_EEDaS11_S12_SI_SN_EUlS11_E_NS1_11comp_targetILNS1_3genE8ELNS1_11target_archE1030ELNS1_3gpuE2ELNS1_3repE0EEENS1_47radix_sort_onesweep_sort_config_static_selectorELNS0_4arch9wavefront6targetE1EEEvSI_, .Lfunc_end759-_ZN7rocprim17ROCPRIM_400000_NS6detail17trampoline_kernelINS0_14default_configENS1_35radix_sort_onesweep_config_selectorIjjEEZZNS1_29radix_sort_onesweep_iterationIS3_Lb0EN6thrust23THRUST_200600_302600_NS6detail15normal_iteratorINS8_10device_ptrIjEEEESD_SD_SD_jNS0_19identity_decomposerENS1_16block_id_wrapperIjLb1EEEEE10hipError_tT1_PNSt15iterator_traitsISI_E10value_typeET2_T3_PNSJ_ISO_E10value_typeET4_T5_PST_SU_PNS1_23onesweep_lookback_stateEbbT6_jjT7_P12ihipStream_tbENKUlT_T0_SI_SN_E_clISD_SD_SD_SD_EEDaS11_S12_SI_SN_EUlS11_E_NS1_11comp_targetILNS1_3genE8ELNS1_11target_archE1030ELNS1_3gpuE2ELNS1_3repE0EEENS1_47radix_sort_onesweep_sort_config_static_selectorELNS0_4arch9wavefront6targetE1EEEvSI_
                                        ; -- End function
	.set _ZN7rocprim17ROCPRIM_400000_NS6detail17trampoline_kernelINS0_14default_configENS1_35radix_sort_onesweep_config_selectorIjjEEZZNS1_29radix_sort_onesweep_iterationIS3_Lb0EN6thrust23THRUST_200600_302600_NS6detail15normal_iteratorINS8_10device_ptrIjEEEESD_SD_SD_jNS0_19identity_decomposerENS1_16block_id_wrapperIjLb1EEEEE10hipError_tT1_PNSt15iterator_traitsISI_E10value_typeET2_T3_PNSJ_ISO_E10value_typeET4_T5_PST_SU_PNS1_23onesweep_lookback_stateEbbT6_jjT7_P12ihipStream_tbENKUlT_T0_SI_SN_E_clISD_SD_SD_SD_EEDaS11_S12_SI_SN_EUlS11_E_NS1_11comp_targetILNS1_3genE8ELNS1_11target_archE1030ELNS1_3gpuE2ELNS1_3repE0EEENS1_47radix_sort_onesweep_sort_config_static_selectorELNS0_4arch9wavefront6targetE1EEEvSI_.num_vgpr, 0
	.set _ZN7rocprim17ROCPRIM_400000_NS6detail17trampoline_kernelINS0_14default_configENS1_35radix_sort_onesweep_config_selectorIjjEEZZNS1_29radix_sort_onesweep_iterationIS3_Lb0EN6thrust23THRUST_200600_302600_NS6detail15normal_iteratorINS8_10device_ptrIjEEEESD_SD_SD_jNS0_19identity_decomposerENS1_16block_id_wrapperIjLb1EEEEE10hipError_tT1_PNSt15iterator_traitsISI_E10value_typeET2_T3_PNSJ_ISO_E10value_typeET4_T5_PST_SU_PNS1_23onesweep_lookback_stateEbbT6_jjT7_P12ihipStream_tbENKUlT_T0_SI_SN_E_clISD_SD_SD_SD_EEDaS11_S12_SI_SN_EUlS11_E_NS1_11comp_targetILNS1_3genE8ELNS1_11target_archE1030ELNS1_3gpuE2ELNS1_3repE0EEENS1_47radix_sort_onesweep_sort_config_static_selectorELNS0_4arch9wavefront6targetE1EEEvSI_.num_agpr, 0
	.set _ZN7rocprim17ROCPRIM_400000_NS6detail17trampoline_kernelINS0_14default_configENS1_35radix_sort_onesweep_config_selectorIjjEEZZNS1_29radix_sort_onesweep_iterationIS3_Lb0EN6thrust23THRUST_200600_302600_NS6detail15normal_iteratorINS8_10device_ptrIjEEEESD_SD_SD_jNS0_19identity_decomposerENS1_16block_id_wrapperIjLb1EEEEE10hipError_tT1_PNSt15iterator_traitsISI_E10value_typeET2_T3_PNSJ_ISO_E10value_typeET4_T5_PST_SU_PNS1_23onesweep_lookback_stateEbbT6_jjT7_P12ihipStream_tbENKUlT_T0_SI_SN_E_clISD_SD_SD_SD_EEDaS11_S12_SI_SN_EUlS11_E_NS1_11comp_targetILNS1_3genE8ELNS1_11target_archE1030ELNS1_3gpuE2ELNS1_3repE0EEENS1_47radix_sort_onesweep_sort_config_static_selectorELNS0_4arch9wavefront6targetE1EEEvSI_.numbered_sgpr, 0
	.set _ZN7rocprim17ROCPRIM_400000_NS6detail17trampoline_kernelINS0_14default_configENS1_35radix_sort_onesweep_config_selectorIjjEEZZNS1_29radix_sort_onesweep_iterationIS3_Lb0EN6thrust23THRUST_200600_302600_NS6detail15normal_iteratorINS8_10device_ptrIjEEEESD_SD_SD_jNS0_19identity_decomposerENS1_16block_id_wrapperIjLb1EEEEE10hipError_tT1_PNSt15iterator_traitsISI_E10value_typeET2_T3_PNSJ_ISO_E10value_typeET4_T5_PST_SU_PNS1_23onesweep_lookback_stateEbbT6_jjT7_P12ihipStream_tbENKUlT_T0_SI_SN_E_clISD_SD_SD_SD_EEDaS11_S12_SI_SN_EUlS11_E_NS1_11comp_targetILNS1_3genE8ELNS1_11target_archE1030ELNS1_3gpuE2ELNS1_3repE0EEENS1_47radix_sort_onesweep_sort_config_static_selectorELNS0_4arch9wavefront6targetE1EEEvSI_.num_named_barrier, 0
	.set _ZN7rocprim17ROCPRIM_400000_NS6detail17trampoline_kernelINS0_14default_configENS1_35radix_sort_onesweep_config_selectorIjjEEZZNS1_29radix_sort_onesweep_iterationIS3_Lb0EN6thrust23THRUST_200600_302600_NS6detail15normal_iteratorINS8_10device_ptrIjEEEESD_SD_SD_jNS0_19identity_decomposerENS1_16block_id_wrapperIjLb1EEEEE10hipError_tT1_PNSt15iterator_traitsISI_E10value_typeET2_T3_PNSJ_ISO_E10value_typeET4_T5_PST_SU_PNS1_23onesweep_lookback_stateEbbT6_jjT7_P12ihipStream_tbENKUlT_T0_SI_SN_E_clISD_SD_SD_SD_EEDaS11_S12_SI_SN_EUlS11_E_NS1_11comp_targetILNS1_3genE8ELNS1_11target_archE1030ELNS1_3gpuE2ELNS1_3repE0EEENS1_47radix_sort_onesweep_sort_config_static_selectorELNS0_4arch9wavefront6targetE1EEEvSI_.private_seg_size, 0
	.set _ZN7rocprim17ROCPRIM_400000_NS6detail17trampoline_kernelINS0_14default_configENS1_35radix_sort_onesweep_config_selectorIjjEEZZNS1_29radix_sort_onesweep_iterationIS3_Lb0EN6thrust23THRUST_200600_302600_NS6detail15normal_iteratorINS8_10device_ptrIjEEEESD_SD_SD_jNS0_19identity_decomposerENS1_16block_id_wrapperIjLb1EEEEE10hipError_tT1_PNSt15iterator_traitsISI_E10value_typeET2_T3_PNSJ_ISO_E10value_typeET4_T5_PST_SU_PNS1_23onesweep_lookback_stateEbbT6_jjT7_P12ihipStream_tbENKUlT_T0_SI_SN_E_clISD_SD_SD_SD_EEDaS11_S12_SI_SN_EUlS11_E_NS1_11comp_targetILNS1_3genE8ELNS1_11target_archE1030ELNS1_3gpuE2ELNS1_3repE0EEENS1_47radix_sort_onesweep_sort_config_static_selectorELNS0_4arch9wavefront6targetE1EEEvSI_.uses_vcc, 0
	.set _ZN7rocprim17ROCPRIM_400000_NS6detail17trampoline_kernelINS0_14default_configENS1_35radix_sort_onesweep_config_selectorIjjEEZZNS1_29radix_sort_onesweep_iterationIS3_Lb0EN6thrust23THRUST_200600_302600_NS6detail15normal_iteratorINS8_10device_ptrIjEEEESD_SD_SD_jNS0_19identity_decomposerENS1_16block_id_wrapperIjLb1EEEEE10hipError_tT1_PNSt15iterator_traitsISI_E10value_typeET2_T3_PNSJ_ISO_E10value_typeET4_T5_PST_SU_PNS1_23onesweep_lookback_stateEbbT6_jjT7_P12ihipStream_tbENKUlT_T0_SI_SN_E_clISD_SD_SD_SD_EEDaS11_S12_SI_SN_EUlS11_E_NS1_11comp_targetILNS1_3genE8ELNS1_11target_archE1030ELNS1_3gpuE2ELNS1_3repE0EEENS1_47radix_sort_onesweep_sort_config_static_selectorELNS0_4arch9wavefront6targetE1EEEvSI_.uses_flat_scratch, 0
	.set _ZN7rocprim17ROCPRIM_400000_NS6detail17trampoline_kernelINS0_14default_configENS1_35radix_sort_onesweep_config_selectorIjjEEZZNS1_29radix_sort_onesweep_iterationIS3_Lb0EN6thrust23THRUST_200600_302600_NS6detail15normal_iteratorINS8_10device_ptrIjEEEESD_SD_SD_jNS0_19identity_decomposerENS1_16block_id_wrapperIjLb1EEEEE10hipError_tT1_PNSt15iterator_traitsISI_E10value_typeET2_T3_PNSJ_ISO_E10value_typeET4_T5_PST_SU_PNS1_23onesweep_lookback_stateEbbT6_jjT7_P12ihipStream_tbENKUlT_T0_SI_SN_E_clISD_SD_SD_SD_EEDaS11_S12_SI_SN_EUlS11_E_NS1_11comp_targetILNS1_3genE8ELNS1_11target_archE1030ELNS1_3gpuE2ELNS1_3repE0EEENS1_47radix_sort_onesweep_sort_config_static_selectorELNS0_4arch9wavefront6targetE1EEEvSI_.has_dyn_sized_stack, 0
	.set _ZN7rocprim17ROCPRIM_400000_NS6detail17trampoline_kernelINS0_14default_configENS1_35radix_sort_onesweep_config_selectorIjjEEZZNS1_29radix_sort_onesweep_iterationIS3_Lb0EN6thrust23THRUST_200600_302600_NS6detail15normal_iteratorINS8_10device_ptrIjEEEESD_SD_SD_jNS0_19identity_decomposerENS1_16block_id_wrapperIjLb1EEEEE10hipError_tT1_PNSt15iterator_traitsISI_E10value_typeET2_T3_PNSJ_ISO_E10value_typeET4_T5_PST_SU_PNS1_23onesweep_lookback_stateEbbT6_jjT7_P12ihipStream_tbENKUlT_T0_SI_SN_E_clISD_SD_SD_SD_EEDaS11_S12_SI_SN_EUlS11_E_NS1_11comp_targetILNS1_3genE8ELNS1_11target_archE1030ELNS1_3gpuE2ELNS1_3repE0EEENS1_47radix_sort_onesweep_sort_config_static_selectorELNS0_4arch9wavefront6targetE1EEEvSI_.has_recursion, 0
	.set _ZN7rocprim17ROCPRIM_400000_NS6detail17trampoline_kernelINS0_14default_configENS1_35radix_sort_onesweep_config_selectorIjjEEZZNS1_29radix_sort_onesweep_iterationIS3_Lb0EN6thrust23THRUST_200600_302600_NS6detail15normal_iteratorINS8_10device_ptrIjEEEESD_SD_SD_jNS0_19identity_decomposerENS1_16block_id_wrapperIjLb1EEEEE10hipError_tT1_PNSt15iterator_traitsISI_E10value_typeET2_T3_PNSJ_ISO_E10value_typeET4_T5_PST_SU_PNS1_23onesweep_lookback_stateEbbT6_jjT7_P12ihipStream_tbENKUlT_T0_SI_SN_E_clISD_SD_SD_SD_EEDaS11_S12_SI_SN_EUlS11_E_NS1_11comp_targetILNS1_3genE8ELNS1_11target_archE1030ELNS1_3gpuE2ELNS1_3repE0EEENS1_47radix_sort_onesweep_sort_config_static_selectorELNS0_4arch9wavefront6targetE1EEEvSI_.has_indirect_call, 0
	.section	.AMDGPU.csdata,"",@progbits
; Kernel info:
; codeLenInByte = 0
; TotalNumSgprs: 6
; NumVgprs: 0
; NumAgprs: 0
; TotalNumVgprs: 0
; ScratchSize: 0
; MemoryBound: 0
; FloatMode: 240
; IeeeMode: 1
; LDSByteSize: 0 bytes/workgroup (compile time only)
; SGPRBlocks: 0
; VGPRBlocks: 0
; NumSGPRsForWavesPerEU: 6
; NumVGPRsForWavesPerEU: 1
; AccumOffset: 4
; Occupancy: 8
; WaveLimiterHint : 0
; COMPUTE_PGM_RSRC2:SCRATCH_EN: 0
; COMPUTE_PGM_RSRC2:USER_SGPR: 2
; COMPUTE_PGM_RSRC2:TRAP_HANDLER: 0
; COMPUTE_PGM_RSRC2:TGID_X_EN: 1
; COMPUTE_PGM_RSRC2:TGID_Y_EN: 0
; COMPUTE_PGM_RSRC2:TGID_Z_EN: 0
; COMPUTE_PGM_RSRC2:TIDIG_COMP_CNT: 0
; COMPUTE_PGM_RSRC3_GFX90A:ACCUM_OFFSET: 0
; COMPUTE_PGM_RSRC3_GFX90A:TG_SPLIT: 0
	.section	.text._ZN7rocprim17ROCPRIM_400000_NS6detail17trampoline_kernelINS0_14default_configENS1_35radix_sort_onesweep_config_selectorIjjEEZZNS1_29radix_sort_onesweep_iterationIS3_Lb0EN6thrust23THRUST_200600_302600_NS6detail15normal_iteratorINS8_10device_ptrIjEEEESD_SD_SD_jNS0_19identity_decomposerENS1_16block_id_wrapperIjLb1EEEEE10hipError_tT1_PNSt15iterator_traitsISI_E10value_typeET2_T3_PNSJ_ISO_E10value_typeET4_T5_PST_SU_PNS1_23onesweep_lookback_stateEbbT6_jjT7_P12ihipStream_tbENKUlT_T0_SI_SN_E_clISD_PjSD_S15_EEDaS11_S12_SI_SN_EUlS11_E_NS1_11comp_targetILNS1_3genE0ELNS1_11target_archE4294967295ELNS1_3gpuE0ELNS1_3repE0EEENS1_47radix_sort_onesweep_sort_config_static_selectorELNS0_4arch9wavefront6targetE1EEEvSI_,"axG",@progbits,_ZN7rocprim17ROCPRIM_400000_NS6detail17trampoline_kernelINS0_14default_configENS1_35radix_sort_onesweep_config_selectorIjjEEZZNS1_29radix_sort_onesweep_iterationIS3_Lb0EN6thrust23THRUST_200600_302600_NS6detail15normal_iteratorINS8_10device_ptrIjEEEESD_SD_SD_jNS0_19identity_decomposerENS1_16block_id_wrapperIjLb1EEEEE10hipError_tT1_PNSt15iterator_traitsISI_E10value_typeET2_T3_PNSJ_ISO_E10value_typeET4_T5_PST_SU_PNS1_23onesweep_lookback_stateEbbT6_jjT7_P12ihipStream_tbENKUlT_T0_SI_SN_E_clISD_PjSD_S15_EEDaS11_S12_SI_SN_EUlS11_E_NS1_11comp_targetILNS1_3genE0ELNS1_11target_archE4294967295ELNS1_3gpuE0ELNS1_3repE0EEENS1_47radix_sort_onesweep_sort_config_static_selectorELNS0_4arch9wavefront6targetE1EEEvSI_,comdat
	.protected	_ZN7rocprim17ROCPRIM_400000_NS6detail17trampoline_kernelINS0_14default_configENS1_35radix_sort_onesweep_config_selectorIjjEEZZNS1_29radix_sort_onesweep_iterationIS3_Lb0EN6thrust23THRUST_200600_302600_NS6detail15normal_iteratorINS8_10device_ptrIjEEEESD_SD_SD_jNS0_19identity_decomposerENS1_16block_id_wrapperIjLb1EEEEE10hipError_tT1_PNSt15iterator_traitsISI_E10value_typeET2_T3_PNSJ_ISO_E10value_typeET4_T5_PST_SU_PNS1_23onesweep_lookback_stateEbbT6_jjT7_P12ihipStream_tbENKUlT_T0_SI_SN_E_clISD_PjSD_S15_EEDaS11_S12_SI_SN_EUlS11_E_NS1_11comp_targetILNS1_3genE0ELNS1_11target_archE4294967295ELNS1_3gpuE0ELNS1_3repE0EEENS1_47radix_sort_onesweep_sort_config_static_selectorELNS0_4arch9wavefront6targetE1EEEvSI_ ; -- Begin function _ZN7rocprim17ROCPRIM_400000_NS6detail17trampoline_kernelINS0_14default_configENS1_35radix_sort_onesweep_config_selectorIjjEEZZNS1_29radix_sort_onesweep_iterationIS3_Lb0EN6thrust23THRUST_200600_302600_NS6detail15normal_iteratorINS8_10device_ptrIjEEEESD_SD_SD_jNS0_19identity_decomposerENS1_16block_id_wrapperIjLb1EEEEE10hipError_tT1_PNSt15iterator_traitsISI_E10value_typeET2_T3_PNSJ_ISO_E10value_typeET4_T5_PST_SU_PNS1_23onesweep_lookback_stateEbbT6_jjT7_P12ihipStream_tbENKUlT_T0_SI_SN_E_clISD_PjSD_S15_EEDaS11_S12_SI_SN_EUlS11_E_NS1_11comp_targetILNS1_3genE0ELNS1_11target_archE4294967295ELNS1_3gpuE0ELNS1_3repE0EEENS1_47radix_sort_onesweep_sort_config_static_selectorELNS0_4arch9wavefront6targetE1EEEvSI_
	.globl	_ZN7rocprim17ROCPRIM_400000_NS6detail17trampoline_kernelINS0_14default_configENS1_35radix_sort_onesweep_config_selectorIjjEEZZNS1_29radix_sort_onesweep_iterationIS3_Lb0EN6thrust23THRUST_200600_302600_NS6detail15normal_iteratorINS8_10device_ptrIjEEEESD_SD_SD_jNS0_19identity_decomposerENS1_16block_id_wrapperIjLb1EEEEE10hipError_tT1_PNSt15iterator_traitsISI_E10value_typeET2_T3_PNSJ_ISO_E10value_typeET4_T5_PST_SU_PNS1_23onesweep_lookback_stateEbbT6_jjT7_P12ihipStream_tbENKUlT_T0_SI_SN_E_clISD_PjSD_S15_EEDaS11_S12_SI_SN_EUlS11_E_NS1_11comp_targetILNS1_3genE0ELNS1_11target_archE4294967295ELNS1_3gpuE0ELNS1_3repE0EEENS1_47radix_sort_onesweep_sort_config_static_selectorELNS0_4arch9wavefront6targetE1EEEvSI_
	.p2align	8
	.type	_ZN7rocprim17ROCPRIM_400000_NS6detail17trampoline_kernelINS0_14default_configENS1_35radix_sort_onesweep_config_selectorIjjEEZZNS1_29radix_sort_onesweep_iterationIS3_Lb0EN6thrust23THRUST_200600_302600_NS6detail15normal_iteratorINS8_10device_ptrIjEEEESD_SD_SD_jNS0_19identity_decomposerENS1_16block_id_wrapperIjLb1EEEEE10hipError_tT1_PNSt15iterator_traitsISI_E10value_typeET2_T3_PNSJ_ISO_E10value_typeET4_T5_PST_SU_PNS1_23onesweep_lookback_stateEbbT6_jjT7_P12ihipStream_tbENKUlT_T0_SI_SN_E_clISD_PjSD_S15_EEDaS11_S12_SI_SN_EUlS11_E_NS1_11comp_targetILNS1_3genE0ELNS1_11target_archE4294967295ELNS1_3gpuE0ELNS1_3repE0EEENS1_47radix_sort_onesweep_sort_config_static_selectorELNS0_4arch9wavefront6targetE1EEEvSI_,@function
_ZN7rocprim17ROCPRIM_400000_NS6detail17trampoline_kernelINS0_14default_configENS1_35radix_sort_onesweep_config_selectorIjjEEZZNS1_29radix_sort_onesweep_iterationIS3_Lb0EN6thrust23THRUST_200600_302600_NS6detail15normal_iteratorINS8_10device_ptrIjEEEESD_SD_SD_jNS0_19identity_decomposerENS1_16block_id_wrapperIjLb1EEEEE10hipError_tT1_PNSt15iterator_traitsISI_E10value_typeET2_T3_PNSJ_ISO_E10value_typeET4_T5_PST_SU_PNS1_23onesweep_lookback_stateEbbT6_jjT7_P12ihipStream_tbENKUlT_T0_SI_SN_E_clISD_PjSD_S15_EEDaS11_S12_SI_SN_EUlS11_E_NS1_11comp_targetILNS1_3genE0ELNS1_11target_archE4294967295ELNS1_3gpuE0ELNS1_3repE0EEENS1_47radix_sort_onesweep_sort_config_static_selectorELNS0_4arch9wavefront6targetE1EEEvSI_: ; @_ZN7rocprim17ROCPRIM_400000_NS6detail17trampoline_kernelINS0_14default_configENS1_35radix_sort_onesweep_config_selectorIjjEEZZNS1_29radix_sort_onesweep_iterationIS3_Lb0EN6thrust23THRUST_200600_302600_NS6detail15normal_iteratorINS8_10device_ptrIjEEEESD_SD_SD_jNS0_19identity_decomposerENS1_16block_id_wrapperIjLb1EEEEE10hipError_tT1_PNSt15iterator_traitsISI_E10value_typeET2_T3_PNSJ_ISO_E10value_typeET4_T5_PST_SU_PNS1_23onesweep_lookback_stateEbbT6_jjT7_P12ihipStream_tbENKUlT_T0_SI_SN_E_clISD_PjSD_S15_EEDaS11_S12_SI_SN_EUlS11_E_NS1_11comp_targetILNS1_3genE0ELNS1_11target_archE4294967295ELNS1_3gpuE0ELNS1_3repE0EEENS1_47radix_sort_onesweep_sort_config_static_selectorELNS0_4arch9wavefront6targetE1EEEvSI_
; %bb.0:
	.section	.rodata,"a",@progbits
	.p2align	6, 0x0
	.amdhsa_kernel _ZN7rocprim17ROCPRIM_400000_NS6detail17trampoline_kernelINS0_14default_configENS1_35radix_sort_onesweep_config_selectorIjjEEZZNS1_29radix_sort_onesweep_iterationIS3_Lb0EN6thrust23THRUST_200600_302600_NS6detail15normal_iteratorINS8_10device_ptrIjEEEESD_SD_SD_jNS0_19identity_decomposerENS1_16block_id_wrapperIjLb1EEEEE10hipError_tT1_PNSt15iterator_traitsISI_E10value_typeET2_T3_PNSJ_ISO_E10value_typeET4_T5_PST_SU_PNS1_23onesweep_lookback_stateEbbT6_jjT7_P12ihipStream_tbENKUlT_T0_SI_SN_E_clISD_PjSD_S15_EEDaS11_S12_SI_SN_EUlS11_E_NS1_11comp_targetILNS1_3genE0ELNS1_11target_archE4294967295ELNS1_3gpuE0ELNS1_3repE0EEENS1_47radix_sort_onesweep_sort_config_static_selectorELNS0_4arch9wavefront6targetE1EEEvSI_
		.amdhsa_group_segment_fixed_size 0
		.amdhsa_private_segment_fixed_size 0
		.amdhsa_kernarg_size 88
		.amdhsa_user_sgpr_count 2
		.amdhsa_user_sgpr_dispatch_ptr 0
		.amdhsa_user_sgpr_queue_ptr 0
		.amdhsa_user_sgpr_kernarg_segment_ptr 1
		.amdhsa_user_sgpr_dispatch_id 0
		.amdhsa_user_sgpr_kernarg_preload_length 0
		.amdhsa_user_sgpr_kernarg_preload_offset 0
		.amdhsa_user_sgpr_private_segment_size 0
		.amdhsa_uses_dynamic_stack 0
		.amdhsa_enable_private_segment 0
		.amdhsa_system_sgpr_workgroup_id_x 1
		.amdhsa_system_sgpr_workgroup_id_y 0
		.amdhsa_system_sgpr_workgroup_id_z 0
		.amdhsa_system_sgpr_workgroup_info 0
		.amdhsa_system_vgpr_workitem_id 0
		.amdhsa_next_free_vgpr 1
		.amdhsa_next_free_sgpr 0
		.amdhsa_accum_offset 4
		.amdhsa_reserve_vcc 0
		.amdhsa_float_round_mode_32 0
		.amdhsa_float_round_mode_16_64 0
		.amdhsa_float_denorm_mode_32 3
		.amdhsa_float_denorm_mode_16_64 3
		.amdhsa_dx10_clamp 1
		.amdhsa_ieee_mode 1
		.amdhsa_fp16_overflow 0
		.amdhsa_tg_split 0
		.amdhsa_exception_fp_ieee_invalid_op 0
		.amdhsa_exception_fp_denorm_src 0
		.amdhsa_exception_fp_ieee_div_zero 0
		.amdhsa_exception_fp_ieee_overflow 0
		.amdhsa_exception_fp_ieee_underflow 0
		.amdhsa_exception_fp_ieee_inexact 0
		.amdhsa_exception_int_div_zero 0
	.end_amdhsa_kernel
	.section	.text._ZN7rocprim17ROCPRIM_400000_NS6detail17trampoline_kernelINS0_14default_configENS1_35radix_sort_onesweep_config_selectorIjjEEZZNS1_29radix_sort_onesweep_iterationIS3_Lb0EN6thrust23THRUST_200600_302600_NS6detail15normal_iteratorINS8_10device_ptrIjEEEESD_SD_SD_jNS0_19identity_decomposerENS1_16block_id_wrapperIjLb1EEEEE10hipError_tT1_PNSt15iterator_traitsISI_E10value_typeET2_T3_PNSJ_ISO_E10value_typeET4_T5_PST_SU_PNS1_23onesweep_lookback_stateEbbT6_jjT7_P12ihipStream_tbENKUlT_T0_SI_SN_E_clISD_PjSD_S15_EEDaS11_S12_SI_SN_EUlS11_E_NS1_11comp_targetILNS1_3genE0ELNS1_11target_archE4294967295ELNS1_3gpuE0ELNS1_3repE0EEENS1_47radix_sort_onesweep_sort_config_static_selectorELNS0_4arch9wavefront6targetE1EEEvSI_,"axG",@progbits,_ZN7rocprim17ROCPRIM_400000_NS6detail17trampoline_kernelINS0_14default_configENS1_35radix_sort_onesweep_config_selectorIjjEEZZNS1_29radix_sort_onesweep_iterationIS3_Lb0EN6thrust23THRUST_200600_302600_NS6detail15normal_iteratorINS8_10device_ptrIjEEEESD_SD_SD_jNS0_19identity_decomposerENS1_16block_id_wrapperIjLb1EEEEE10hipError_tT1_PNSt15iterator_traitsISI_E10value_typeET2_T3_PNSJ_ISO_E10value_typeET4_T5_PST_SU_PNS1_23onesweep_lookback_stateEbbT6_jjT7_P12ihipStream_tbENKUlT_T0_SI_SN_E_clISD_PjSD_S15_EEDaS11_S12_SI_SN_EUlS11_E_NS1_11comp_targetILNS1_3genE0ELNS1_11target_archE4294967295ELNS1_3gpuE0ELNS1_3repE0EEENS1_47radix_sort_onesweep_sort_config_static_selectorELNS0_4arch9wavefront6targetE1EEEvSI_,comdat
.Lfunc_end760:
	.size	_ZN7rocprim17ROCPRIM_400000_NS6detail17trampoline_kernelINS0_14default_configENS1_35radix_sort_onesweep_config_selectorIjjEEZZNS1_29radix_sort_onesweep_iterationIS3_Lb0EN6thrust23THRUST_200600_302600_NS6detail15normal_iteratorINS8_10device_ptrIjEEEESD_SD_SD_jNS0_19identity_decomposerENS1_16block_id_wrapperIjLb1EEEEE10hipError_tT1_PNSt15iterator_traitsISI_E10value_typeET2_T3_PNSJ_ISO_E10value_typeET4_T5_PST_SU_PNS1_23onesweep_lookback_stateEbbT6_jjT7_P12ihipStream_tbENKUlT_T0_SI_SN_E_clISD_PjSD_S15_EEDaS11_S12_SI_SN_EUlS11_E_NS1_11comp_targetILNS1_3genE0ELNS1_11target_archE4294967295ELNS1_3gpuE0ELNS1_3repE0EEENS1_47radix_sort_onesweep_sort_config_static_selectorELNS0_4arch9wavefront6targetE1EEEvSI_, .Lfunc_end760-_ZN7rocprim17ROCPRIM_400000_NS6detail17trampoline_kernelINS0_14default_configENS1_35radix_sort_onesweep_config_selectorIjjEEZZNS1_29radix_sort_onesweep_iterationIS3_Lb0EN6thrust23THRUST_200600_302600_NS6detail15normal_iteratorINS8_10device_ptrIjEEEESD_SD_SD_jNS0_19identity_decomposerENS1_16block_id_wrapperIjLb1EEEEE10hipError_tT1_PNSt15iterator_traitsISI_E10value_typeET2_T3_PNSJ_ISO_E10value_typeET4_T5_PST_SU_PNS1_23onesweep_lookback_stateEbbT6_jjT7_P12ihipStream_tbENKUlT_T0_SI_SN_E_clISD_PjSD_S15_EEDaS11_S12_SI_SN_EUlS11_E_NS1_11comp_targetILNS1_3genE0ELNS1_11target_archE4294967295ELNS1_3gpuE0ELNS1_3repE0EEENS1_47radix_sort_onesweep_sort_config_static_selectorELNS0_4arch9wavefront6targetE1EEEvSI_
                                        ; -- End function
	.set _ZN7rocprim17ROCPRIM_400000_NS6detail17trampoline_kernelINS0_14default_configENS1_35radix_sort_onesweep_config_selectorIjjEEZZNS1_29radix_sort_onesweep_iterationIS3_Lb0EN6thrust23THRUST_200600_302600_NS6detail15normal_iteratorINS8_10device_ptrIjEEEESD_SD_SD_jNS0_19identity_decomposerENS1_16block_id_wrapperIjLb1EEEEE10hipError_tT1_PNSt15iterator_traitsISI_E10value_typeET2_T3_PNSJ_ISO_E10value_typeET4_T5_PST_SU_PNS1_23onesweep_lookback_stateEbbT6_jjT7_P12ihipStream_tbENKUlT_T0_SI_SN_E_clISD_PjSD_S15_EEDaS11_S12_SI_SN_EUlS11_E_NS1_11comp_targetILNS1_3genE0ELNS1_11target_archE4294967295ELNS1_3gpuE0ELNS1_3repE0EEENS1_47radix_sort_onesweep_sort_config_static_selectorELNS0_4arch9wavefront6targetE1EEEvSI_.num_vgpr, 0
	.set _ZN7rocprim17ROCPRIM_400000_NS6detail17trampoline_kernelINS0_14default_configENS1_35radix_sort_onesweep_config_selectorIjjEEZZNS1_29radix_sort_onesweep_iterationIS3_Lb0EN6thrust23THRUST_200600_302600_NS6detail15normal_iteratorINS8_10device_ptrIjEEEESD_SD_SD_jNS0_19identity_decomposerENS1_16block_id_wrapperIjLb1EEEEE10hipError_tT1_PNSt15iterator_traitsISI_E10value_typeET2_T3_PNSJ_ISO_E10value_typeET4_T5_PST_SU_PNS1_23onesweep_lookback_stateEbbT6_jjT7_P12ihipStream_tbENKUlT_T0_SI_SN_E_clISD_PjSD_S15_EEDaS11_S12_SI_SN_EUlS11_E_NS1_11comp_targetILNS1_3genE0ELNS1_11target_archE4294967295ELNS1_3gpuE0ELNS1_3repE0EEENS1_47radix_sort_onesweep_sort_config_static_selectorELNS0_4arch9wavefront6targetE1EEEvSI_.num_agpr, 0
	.set _ZN7rocprim17ROCPRIM_400000_NS6detail17trampoline_kernelINS0_14default_configENS1_35radix_sort_onesweep_config_selectorIjjEEZZNS1_29radix_sort_onesweep_iterationIS3_Lb0EN6thrust23THRUST_200600_302600_NS6detail15normal_iteratorINS8_10device_ptrIjEEEESD_SD_SD_jNS0_19identity_decomposerENS1_16block_id_wrapperIjLb1EEEEE10hipError_tT1_PNSt15iterator_traitsISI_E10value_typeET2_T3_PNSJ_ISO_E10value_typeET4_T5_PST_SU_PNS1_23onesweep_lookback_stateEbbT6_jjT7_P12ihipStream_tbENKUlT_T0_SI_SN_E_clISD_PjSD_S15_EEDaS11_S12_SI_SN_EUlS11_E_NS1_11comp_targetILNS1_3genE0ELNS1_11target_archE4294967295ELNS1_3gpuE0ELNS1_3repE0EEENS1_47radix_sort_onesweep_sort_config_static_selectorELNS0_4arch9wavefront6targetE1EEEvSI_.numbered_sgpr, 0
	.set _ZN7rocprim17ROCPRIM_400000_NS6detail17trampoline_kernelINS0_14default_configENS1_35radix_sort_onesweep_config_selectorIjjEEZZNS1_29radix_sort_onesweep_iterationIS3_Lb0EN6thrust23THRUST_200600_302600_NS6detail15normal_iteratorINS8_10device_ptrIjEEEESD_SD_SD_jNS0_19identity_decomposerENS1_16block_id_wrapperIjLb1EEEEE10hipError_tT1_PNSt15iterator_traitsISI_E10value_typeET2_T3_PNSJ_ISO_E10value_typeET4_T5_PST_SU_PNS1_23onesweep_lookback_stateEbbT6_jjT7_P12ihipStream_tbENKUlT_T0_SI_SN_E_clISD_PjSD_S15_EEDaS11_S12_SI_SN_EUlS11_E_NS1_11comp_targetILNS1_3genE0ELNS1_11target_archE4294967295ELNS1_3gpuE0ELNS1_3repE0EEENS1_47radix_sort_onesweep_sort_config_static_selectorELNS0_4arch9wavefront6targetE1EEEvSI_.num_named_barrier, 0
	.set _ZN7rocprim17ROCPRIM_400000_NS6detail17trampoline_kernelINS0_14default_configENS1_35radix_sort_onesweep_config_selectorIjjEEZZNS1_29radix_sort_onesweep_iterationIS3_Lb0EN6thrust23THRUST_200600_302600_NS6detail15normal_iteratorINS8_10device_ptrIjEEEESD_SD_SD_jNS0_19identity_decomposerENS1_16block_id_wrapperIjLb1EEEEE10hipError_tT1_PNSt15iterator_traitsISI_E10value_typeET2_T3_PNSJ_ISO_E10value_typeET4_T5_PST_SU_PNS1_23onesweep_lookback_stateEbbT6_jjT7_P12ihipStream_tbENKUlT_T0_SI_SN_E_clISD_PjSD_S15_EEDaS11_S12_SI_SN_EUlS11_E_NS1_11comp_targetILNS1_3genE0ELNS1_11target_archE4294967295ELNS1_3gpuE0ELNS1_3repE0EEENS1_47radix_sort_onesweep_sort_config_static_selectorELNS0_4arch9wavefront6targetE1EEEvSI_.private_seg_size, 0
	.set _ZN7rocprim17ROCPRIM_400000_NS6detail17trampoline_kernelINS0_14default_configENS1_35radix_sort_onesweep_config_selectorIjjEEZZNS1_29radix_sort_onesweep_iterationIS3_Lb0EN6thrust23THRUST_200600_302600_NS6detail15normal_iteratorINS8_10device_ptrIjEEEESD_SD_SD_jNS0_19identity_decomposerENS1_16block_id_wrapperIjLb1EEEEE10hipError_tT1_PNSt15iterator_traitsISI_E10value_typeET2_T3_PNSJ_ISO_E10value_typeET4_T5_PST_SU_PNS1_23onesweep_lookback_stateEbbT6_jjT7_P12ihipStream_tbENKUlT_T0_SI_SN_E_clISD_PjSD_S15_EEDaS11_S12_SI_SN_EUlS11_E_NS1_11comp_targetILNS1_3genE0ELNS1_11target_archE4294967295ELNS1_3gpuE0ELNS1_3repE0EEENS1_47radix_sort_onesweep_sort_config_static_selectorELNS0_4arch9wavefront6targetE1EEEvSI_.uses_vcc, 0
	.set _ZN7rocprim17ROCPRIM_400000_NS6detail17trampoline_kernelINS0_14default_configENS1_35radix_sort_onesweep_config_selectorIjjEEZZNS1_29radix_sort_onesweep_iterationIS3_Lb0EN6thrust23THRUST_200600_302600_NS6detail15normal_iteratorINS8_10device_ptrIjEEEESD_SD_SD_jNS0_19identity_decomposerENS1_16block_id_wrapperIjLb1EEEEE10hipError_tT1_PNSt15iterator_traitsISI_E10value_typeET2_T3_PNSJ_ISO_E10value_typeET4_T5_PST_SU_PNS1_23onesweep_lookback_stateEbbT6_jjT7_P12ihipStream_tbENKUlT_T0_SI_SN_E_clISD_PjSD_S15_EEDaS11_S12_SI_SN_EUlS11_E_NS1_11comp_targetILNS1_3genE0ELNS1_11target_archE4294967295ELNS1_3gpuE0ELNS1_3repE0EEENS1_47radix_sort_onesweep_sort_config_static_selectorELNS0_4arch9wavefront6targetE1EEEvSI_.uses_flat_scratch, 0
	.set _ZN7rocprim17ROCPRIM_400000_NS6detail17trampoline_kernelINS0_14default_configENS1_35radix_sort_onesweep_config_selectorIjjEEZZNS1_29radix_sort_onesweep_iterationIS3_Lb0EN6thrust23THRUST_200600_302600_NS6detail15normal_iteratorINS8_10device_ptrIjEEEESD_SD_SD_jNS0_19identity_decomposerENS1_16block_id_wrapperIjLb1EEEEE10hipError_tT1_PNSt15iterator_traitsISI_E10value_typeET2_T3_PNSJ_ISO_E10value_typeET4_T5_PST_SU_PNS1_23onesweep_lookback_stateEbbT6_jjT7_P12ihipStream_tbENKUlT_T0_SI_SN_E_clISD_PjSD_S15_EEDaS11_S12_SI_SN_EUlS11_E_NS1_11comp_targetILNS1_3genE0ELNS1_11target_archE4294967295ELNS1_3gpuE0ELNS1_3repE0EEENS1_47radix_sort_onesweep_sort_config_static_selectorELNS0_4arch9wavefront6targetE1EEEvSI_.has_dyn_sized_stack, 0
	.set _ZN7rocprim17ROCPRIM_400000_NS6detail17trampoline_kernelINS0_14default_configENS1_35radix_sort_onesweep_config_selectorIjjEEZZNS1_29radix_sort_onesweep_iterationIS3_Lb0EN6thrust23THRUST_200600_302600_NS6detail15normal_iteratorINS8_10device_ptrIjEEEESD_SD_SD_jNS0_19identity_decomposerENS1_16block_id_wrapperIjLb1EEEEE10hipError_tT1_PNSt15iterator_traitsISI_E10value_typeET2_T3_PNSJ_ISO_E10value_typeET4_T5_PST_SU_PNS1_23onesweep_lookback_stateEbbT6_jjT7_P12ihipStream_tbENKUlT_T0_SI_SN_E_clISD_PjSD_S15_EEDaS11_S12_SI_SN_EUlS11_E_NS1_11comp_targetILNS1_3genE0ELNS1_11target_archE4294967295ELNS1_3gpuE0ELNS1_3repE0EEENS1_47radix_sort_onesweep_sort_config_static_selectorELNS0_4arch9wavefront6targetE1EEEvSI_.has_recursion, 0
	.set _ZN7rocprim17ROCPRIM_400000_NS6detail17trampoline_kernelINS0_14default_configENS1_35radix_sort_onesweep_config_selectorIjjEEZZNS1_29radix_sort_onesweep_iterationIS3_Lb0EN6thrust23THRUST_200600_302600_NS6detail15normal_iteratorINS8_10device_ptrIjEEEESD_SD_SD_jNS0_19identity_decomposerENS1_16block_id_wrapperIjLb1EEEEE10hipError_tT1_PNSt15iterator_traitsISI_E10value_typeET2_T3_PNSJ_ISO_E10value_typeET4_T5_PST_SU_PNS1_23onesweep_lookback_stateEbbT6_jjT7_P12ihipStream_tbENKUlT_T0_SI_SN_E_clISD_PjSD_S15_EEDaS11_S12_SI_SN_EUlS11_E_NS1_11comp_targetILNS1_3genE0ELNS1_11target_archE4294967295ELNS1_3gpuE0ELNS1_3repE0EEENS1_47radix_sort_onesweep_sort_config_static_selectorELNS0_4arch9wavefront6targetE1EEEvSI_.has_indirect_call, 0
	.section	.AMDGPU.csdata,"",@progbits
; Kernel info:
; codeLenInByte = 0
; TotalNumSgprs: 6
; NumVgprs: 0
; NumAgprs: 0
; TotalNumVgprs: 0
; ScratchSize: 0
; MemoryBound: 0
; FloatMode: 240
; IeeeMode: 1
; LDSByteSize: 0 bytes/workgroup (compile time only)
; SGPRBlocks: 0
; VGPRBlocks: 0
; NumSGPRsForWavesPerEU: 6
; NumVGPRsForWavesPerEU: 1
; AccumOffset: 4
; Occupancy: 8
; WaveLimiterHint : 0
; COMPUTE_PGM_RSRC2:SCRATCH_EN: 0
; COMPUTE_PGM_RSRC2:USER_SGPR: 2
; COMPUTE_PGM_RSRC2:TRAP_HANDLER: 0
; COMPUTE_PGM_RSRC2:TGID_X_EN: 1
; COMPUTE_PGM_RSRC2:TGID_Y_EN: 0
; COMPUTE_PGM_RSRC2:TGID_Z_EN: 0
; COMPUTE_PGM_RSRC2:TIDIG_COMP_CNT: 0
; COMPUTE_PGM_RSRC3_GFX90A:ACCUM_OFFSET: 0
; COMPUTE_PGM_RSRC3_GFX90A:TG_SPLIT: 0
	.section	.text._ZN7rocprim17ROCPRIM_400000_NS6detail17trampoline_kernelINS0_14default_configENS1_35radix_sort_onesweep_config_selectorIjjEEZZNS1_29radix_sort_onesweep_iterationIS3_Lb0EN6thrust23THRUST_200600_302600_NS6detail15normal_iteratorINS8_10device_ptrIjEEEESD_SD_SD_jNS0_19identity_decomposerENS1_16block_id_wrapperIjLb1EEEEE10hipError_tT1_PNSt15iterator_traitsISI_E10value_typeET2_T3_PNSJ_ISO_E10value_typeET4_T5_PST_SU_PNS1_23onesweep_lookback_stateEbbT6_jjT7_P12ihipStream_tbENKUlT_T0_SI_SN_E_clISD_PjSD_S15_EEDaS11_S12_SI_SN_EUlS11_E_NS1_11comp_targetILNS1_3genE6ELNS1_11target_archE950ELNS1_3gpuE13ELNS1_3repE0EEENS1_47radix_sort_onesweep_sort_config_static_selectorELNS0_4arch9wavefront6targetE1EEEvSI_,"axG",@progbits,_ZN7rocprim17ROCPRIM_400000_NS6detail17trampoline_kernelINS0_14default_configENS1_35radix_sort_onesweep_config_selectorIjjEEZZNS1_29radix_sort_onesweep_iterationIS3_Lb0EN6thrust23THRUST_200600_302600_NS6detail15normal_iteratorINS8_10device_ptrIjEEEESD_SD_SD_jNS0_19identity_decomposerENS1_16block_id_wrapperIjLb1EEEEE10hipError_tT1_PNSt15iterator_traitsISI_E10value_typeET2_T3_PNSJ_ISO_E10value_typeET4_T5_PST_SU_PNS1_23onesweep_lookback_stateEbbT6_jjT7_P12ihipStream_tbENKUlT_T0_SI_SN_E_clISD_PjSD_S15_EEDaS11_S12_SI_SN_EUlS11_E_NS1_11comp_targetILNS1_3genE6ELNS1_11target_archE950ELNS1_3gpuE13ELNS1_3repE0EEENS1_47radix_sort_onesweep_sort_config_static_selectorELNS0_4arch9wavefront6targetE1EEEvSI_,comdat
	.protected	_ZN7rocprim17ROCPRIM_400000_NS6detail17trampoline_kernelINS0_14default_configENS1_35radix_sort_onesweep_config_selectorIjjEEZZNS1_29radix_sort_onesweep_iterationIS3_Lb0EN6thrust23THRUST_200600_302600_NS6detail15normal_iteratorINS8_10device_ptrIjEEEESD_SD_SD_jNS0_19identity_decomposerENS1_16block_id_wrapperIjLb1EEEEE10hipError_tT1_PNSt15iterator_traitsISI_E10value_typeET2_T3_PNSJ_ISO_E10value_typeET4_T5_PST_SU_PNS1_23onesweep_lookback_stateEbbT6_jjT7_P12ihipStream_tbENKUlT_T0_SI_SN_E_clISD_PjSD_S15_EEDaS11_S12_SI_SN_EUlS11_E_NS1_11comp_targetILNS1_3genE6ELNS1_11target_archE950ELNS1_3gpuE13ELNS1_3repE0EEENS1_47radix_sort_onesweep_sort_config_static_selectorELNS0_4arch9wavefront6targetE1EEEvSI_ ; -- Begin function _ZN7rocprim17ROCPRIM_400000_NS6detail17trampoline_kernelINS0_14default_configENS1_35radix_sort_onesweep_config_selectorIjjEEZZNS1_29radix_sort_onesweep_iterationIS3_Lb0EN6thrust23THRUST_200600_302600_NS6detail15normal_iteratorINS8_10device_ptrIjEEEESD_SD_SD_jNS0_19identity_decomposerENS1_16block_id_wrapperIjLb1EEEEE10hipError_tT1_PNSt15iterator_traitsISI_E10value_typeET2_T3_PNSJ_ISO_E10value_typeET4_T5_PST_SU_PNS1_23onesweep_lookback_stateEbbT6_jjT7_P12ihipStream_tbENKUlT_T0_SI_SN_E_clISD_PjSD_S15_EEDaS11_S12_SI_SN_EUlS11_E_NS1_11comp_targetILNS1_3genE6ELNS1_11target_archE950ELNS1_3gpuE13ELNS1_3repE0EEENS1_47radix_sort_onesweep_sort_config_static_selectorELNS0_4arch9wavefront6targetE1EEEvSI_
	.globl	_ZN7rocprim17ROCPRIM_400000_NS6detail17trampoline_kernelINS0_14default_configENS1_35radix_sort_onesweep_config_selectorIjjEEZZNS1_29radix_sort_onesweep_iterationIS3_Lb0EN6thrust23THRUST_200600_302600_NS6detail15normal_iteratorINS8_10device_ptrIjEEEESD_SD_SD_jNS0_19identity_decomposerENS1_16block_id_wrapperIjLb1EEEEE10hipError_tT1_PNSt15iterator_traitsISI_E10value_typeET2_T3_PNSJ_ISO_E10value_typeET4_T5_PST_SU_PNS1_23onesweep_lookback_stateEbbT6_jjT7_P12ihipStream_tbENKUlT_T0_SI_SN_E_clISD_PjSD_S15_EEDaS11_S12_SI_SN_EUlS11_E_NS1_11comp_targetILNS1_3genE6ELNS1_11target_archE950ELNS1_3gpuE13ELNS1_3repE0EEENS1_47radix_sort_onesweep_sort_config_static_selectorELNS0_4arch9wavefront6targetE1EEEvSI_
	.p2align	8
	.type	_ZN7rocprim17ROCPRIM_400000_NS6detail17trampoline_kernelINS0_14default_configENS1_35radix_sort_onesweep_config_selectorIjjEEZZNS1_29radix_sort_onesweep_iterationIS3_Lb0EN6thrust23THRUST_200600_302600_NS6detail15normal_iteratorINS8_10device_ptrIjEEEESD_SD_SD_jNS0_19identity_decomposerENS1_16block_id_wrapperIjLb1EEEEE10hipError_tT1_PNSt15iterator_traitsISI_E10value_typeET2_T3_PNSJ_ISO_E10value_typeET4_T5_PST_SU_PNS1_23onesweep_lookback_stateEbbT6_jjT7_P12ihipStream_tbENKUlT_T0_SI_SN_E_clISD_PjSD_S15_EEDaS11_S12_SI_SN_EUlS11_E_NS1_11comp_targetILNS1_3genE6ELNS1_11target_archE950ELNS1_3gpuE13ELNS1_3repE0EEENS1_47radix_sort_onesweep_sort_config_static_selectorELNS0_4arch9wavefront6targetE1EEEvSI_,@function
_ZN7rocprim17ROCPRIM_400000_NS6detail17trampoline_kernelINS0_14default_configENS1_35radix_sort_onesweep_config_selectorIjjEEZZNS1_29radix_sort_onesweep_iterationIS3_Lb0EN6thrust23THRUST_200600_302600_NS6detail15normal_iteratorINS8_10device_ptrIjEEEESD_SD_SD_jNS0_19identity_decomposerENS1_16block_id_wrapperIjLb1EEEEE10hipError_tT1_PNSt15iterator_traitsISI_E10value_typeET2_T3_PNSJ_ISO_E10value_typeET4_T5_PST_SU_PNS1_23onesweep_lookback_stateEbbT6_jjT7_P12ihipStream_tbENKUlT_T0_SI_SN_E_clISD_PjSD_S15_EEDaS11_S12_SI_SN_EUlS11_E_NS1_11comp_targetILNS1_3genE6ELNS1_11target_archE950ELNS1_3gpuE13ELNS1_3repE0EEENS1_47radix_sort_onesweep_sort_config_static_selectorELNS0_4arch9wavefront6targetE1EEEvSI_: ; @_ZN7rocprim17ROCPRIM_400000_NS6detail17trampoline_kernelINS0_14default_configENS1_35radix_sort_onesweep_config_selectorIjjEEZZNS1_29radix_sort_onesweep_iterationIS3_Lb0EN6thrust23THRUST_200600_302600_NS6detail15normal_iteratorINS8_10device_ptrIjEEEESD_SD_SD_jNS0_19identity_decomposerENS1_16block_id_wrapperIjLb1EEEEE10hipError_tT1_PNSt15iterator_traitsISI_E10value_typeET2_T3_PNSJ_ISO_E10value_typeET4_T5_PST_SU_PNS1_23onesweep_lookback_stateEbbT6_jjT7_P12ihipStream_tbENKUlT_T0_SI_SN_E_clISD_PjSD_S15_EEDaS11_S12_SI_SN_EUlS11_E_NS1_11comp_targetILNS1_3genE6ELNS1_11target_archE950ELNS1_3gpuE13ELNS1_3repE0EEENS1_47radix_sort_onesweep_sort_config_static_selectorELNS0_4arch9wavefront6targetE1EEEvSI_
; %bb.0:
	s_load_dwordx4 s[60:63], s[0:1], 0x28
	s_load_dwordx2 s[68:69], s[0:1], 0x38
	s_load_dwordx4 s[64:67], s[0:1], 0x44
	v_and_b32_e32 v2, 0x3ff, v0
	v_cmp_eq_u32_e64 s[44:45], 0, v2
	s_and_saveexec_b64 s[4:5], s[44:45]
	s_cbranch_execz .LBB761_4
; %bb.1:
	s_mov_b64 s[8:9], exec
	v_mbcnt_lo_u32_b32 v1, s8, 0
	v_mbcnt_hi_u32_b32 v1, s9, v1
	v_cmp_eq_u32_e32 vcc, 0, v1
                                        ; implicit-def: $vgpr3
	s_and_saveexec_b64 s[6:7], vcc
	s_cbranch_execz .LBB761_3
; %bb.2:
	s_load_dwordx2 s[10:11], s[0:1], 0x50
	s_bcnt1_i32_b64 s3, s[8:9]
	v_mov_b32_e32 v3, 0
	v_mov_b32_e32 v4, s3
	s_waitcnt lgkmcnt(0)
	global_atomic_add v3, v3, v4, s[10:11] sc0
.LBB761_3:
	s_or_b64 exec, exec, s[6:7]
	s_waitcnt vmcnt(0)
	v_readfirstlane_b32 s3, v3
	v_mov_b32_e32 v3, 0
	s_nop 0
	v_add_u32_e32 v1, s3, v1
	ds_write_b32 v3, v1 offset:20544
.LBB761_4:
	s_or_b64 exec, exec, s[4:5]
	v_mov_b32_e32 v5, 0
	s_load_dwordx8 s[52:59], s[0:1], 0x0
	s_load_dword s3, s[0:1], 0x20
	s_waitcnt lgkmcnt(0)
	s_barrier
	ds_read_b32 v1, v5 offset:20544
	s_mov_b64 s[4:5], -1
	v_mbcnt_lo_u32_b32 v3, -1, 0
	s_waitcnt lgkmcnt(0)
	s_barrier
	v_cmp_le_u32_e32 vcc, s66, v1
	v_readfirstlane_b32 s33, v1
	v_lshlrev_b32_e32 v1, 4, v2
	s_cbranch_vccz .LBB761_208
; %bb.5:
	s_lshl_b32 s4, s66, 14
	s_sub_i32 s3, s3, s4
	s_lshl_b32 s4, s33, 14
	s_mov_b32 s5, 0
	s_lshl_b64 s[66:67], s[4:5], 2
	v_mbcnt_hi_u32_b32 v12, -1, v3
	s_add_u32 s4, s52, s66
	v_and_b32_e32 v10, 63, v12
	s_addc_u32 s5, s53, s67
	v_and_b32_e32 v11, 0x3c00, v1
	v_lshlrev_b32_e32 v4, 2, v10
	v_lshl_add_u64 v[8:9], s[4:5], 0, v[4:5]
	v_lshlrev_b32_e32 v6, 2, v11
	v_mov_b32_e32 v7, v5
	v_or_b32_e32 v10, v10, v11
	v_mov_b32_e32 v14, -1
	v_lshl_add_u64 v[8:9], v[8:9], 0, v[6:7]
	v_cmp_gt_u32_e32 vcc, s3, v10
	v_mov_b32_e32 v5, -1
	s_and_saveexec_b64 s[4:5], vcc
	s_cbranch_execz .LBB761_7
; %bb.6:
	global_load_dword v5, v[8:9], off
.LBB761_7:
	s_or_b64 exec, exec, s[4:5]
	v_or_b32_e32 v7, 64, v10
	v_cmp_gt_u32_e64 s[4:5], s3, v7
	s_and_saveexec_b64 s[6:7], s[4:5]
	s_cbranch_execz .LBB761_9
; %bb.8:
	global_load_dword v14, v[8:9], off offset:256
.LBB761_9:
	s_or_b64 exec, exec, s[6:7]
	v_or_b32_e32 v7, 0x80, v10
	v_cmp_gt_u32_e64 s[6:7], s3, v7
	v_mov_b32_e32 v7, -1
	v_mov_b32_e32 v15, -1
	s_and_saveexec_b64 s[8:9], s[6:7]
	s_cbranch_execz .LBB761_11
; %bb.10:
	global_load_dword v15, v[8:9], off offset:512
.LBB761_11:
	s_or_b64 exec, exec, s[8:9]
	v_or_b32_e32 v11, 0xc0, v10
	v_cmp_gt_u32_e64 s[8:9], s3, v11
	s_and_saveexec_b64 s[10:11], s[8:9]
	s_cbranch_execz .LBB761_13
; %bb.12:
	global_load_dword v7, v[8:9], off offset:768
.LBB761_13:
	s_or_b64 exec, exec, s[10:11]
	v_or_b32_e32 v11, 0x100, v10
	v_cmp_gt_u32_e64 s[10:11], s3, v11
	v_mov_b32_e32 v16, -1
	v_mov_b32_e32 v17, -1
	s_and_saveexec_b64 s[12:13], s[10:11]
	s_cbranch_execz .LBB761_15
; %bb.14:
	global_load_dword v17, v[8:9], off offset:1024
.LBB761_15:
	;; [unrolled: 18-line block ×7, first 2 shown]
	s_or_b64 exec, exec, s[34:35]
	v_or_b32_e32 v10, 0x3c0, v10
	v_cmp_gt_u32_e64 s[34:35], s3, v10
	s_and_saveexec_b64 s[36:37], s[34:35]
	s_cbranch_execz .LBB761_37
; %bb.36:
	global_load_dword v26, v[8:9], off offset:3840
.LBB761_37:
	s_or_b64 exec, exec, s[36:37]
	s_load_dword s36, s[0:1], 0x64
	s_load_dword s70, s[0:1], 0x58
	s_add_u32 s37, s0, 0x58
	s_addc_u32 s38, s1, 0
	v_mov_b32_e32 v9, 0
	s_waitcnt lgkmcnt(0)
	s_lshr_b32 s39, s36, 16
	s_cmp_lt_u32 s2, s70
	s_cselect_b32 s36, 12, 18
	s_add_u32 s36, s37, s36
	s_addc_u32 s37, s38, 0
	global_load_ushort v40, v9, s[36:37]
	s_waitcnt vmcnt(1)
	v_lshrrev_b32_e32 v29, s64, v5
	s_lshl_b32 s36, -1, s65
	v_bfe_u32 v8, v0, 10, 10
	v_bfe_u32 v11, v0, 20, 10
	v_bitop3_b32 v38, v29, s36, v29 bitop3:0x30
	s_movk_i32 s72, 0x44
	v_mad_u32_u24 v42, v11, s39, v8
	v_and_b32_e32 v8, 1, v38
	v_lshlrev_b32_e32 v11, 30, v38
	v_mov_b32_e32 v10, v9
	v_mov_b32_e32 v30, v9
	s_not_b32 s71, s36
	v_mul_lo_u32 v43, v38, s72
	v_lshlrev_b32_e32 v29, 29, v38
	v_lshlrev_b32_e32 v31, 28, v38
	;; [unrolled: 1-line block ×6, first 2 shown]
	v_lshl_add_u64 v[38:39], v[8:9], 0, -1
	v_cmp_ne_u32_e64 s[36:37], 0, v8
	v_not_b32_e32 v8, v11
	v_mov_b32_e32 v28, v9
	v_mov_b32_e32 v32, v9
	v_cmp_gt_i64_e64 s[38:39], 0, v[10:11]
	v_not_b32_e32 v10, v29
	v_cmp_gt_i64_e64 s[42:43], 0, v[30:31]
	v_not_b32_e32 v11, v31
	v_xor_b32_e32 v31, s37, v39
	v_ashrrev_i32_e32 v8, 31, v8
	v_mov_b32_e32 v34, v9
	v_cmp_gt_i64_e64 s[40:41], 0, v[28:29]
	v_cmp_gt_i64_e64 s[46:47], 0, v[32:33]
	v_not_b32_e32 v28, v33
	v_xor_b32_e32 v32, s36, v38
	v_ashrrev_i32_e32 v10, 31, v10
	v_and_b32_e32 v31, exec_hi, v31
	v_xor_b32_e32 v33, s39, v8
	v_cmp_gt_i64_e64 s[48:49], 0, v[34:35]
	v_ashrrev_i32_e32 v11, 31, v11
	v_and_b32_e32 v32, exec_lo, v32
	v_xor_b32_e32 v8, s38, v8
	v_xor_b32_e32 v34, s41, v10
	v_and_b32_e32 v31, v31, v33
	v_mov_b32_e32 v36, v9
	v_not_b32_e32 v29, v35
	v_ashrrev_i32_e32 v28, 31, v28
	v_xor_b32_e32 v10, s40, v10
	v_xor_b32_e32 v35, s43, v11
	v_and_b32_e32 v8, v32, v8
	v_and_b32_e32 v31, v31, v34
	v_cmp_gt_i64_e64 s[50:51], 0, v[36:37]
	v_not_b32_e32 v30, v37
	v_ashrrev_i32_e32 v29, 31, v29
	v_xor_b32_e32 v36, s47, v28
	v_and_b32_e32 v8, v8, v10
	v_and_b32_e32 v10, v31, v35
	v_ashrrev_i32_e32 v30, 31, v30
	v_xor_b32_e32 v11, s42, v11
	v_xor_b32_e32 v37, s49, v29
	v_and_b32_e32 v10, v10, v36
	v_xor_b32_e32 v28, s46, v28
	v_xor_b32_e32 v38, s51, v30
	v_and_b32_e32 v8, v8, v11
	v_and_b32_e32 v10, v10, v37
	;; [unrolled: 1-line block ×4, first 2 shown]
	v_xor_b32_e32 v29, s48, v29
	v_xor_b32_e32 v30, s50, v30
	v_and_b32_e32 v8, v8, v29
	v_and_b32_e32 v8, v8, v30
	v_mul_u32_u24_e32 v13, 20, v2
	ds_write2_b32 v13, v9, v9 offset0:16 offset1:17
	ds_write2_b32 v13, v9, v9 offset0:18 offset1:19
	ds_write_b32 v13, v9 offset:80
	s_waitcnt lgkmcnt(0)
	s_barrier
	s_waitcnt vmcnt(0)
	; wave barrier
	v_mad_u64_u32 v[10:11], s[36:37], v42, v40, v[2:3]
	v_lshrrev_b32_e32 v10, 4, v10
	v_and_b32_e32 v39, 0xffffffc, v10
	v_mov_b32_e32 v40, v9
	v_not_b32_e32 v10, v41
	v_cmp_gt_i64_e64 s[36:37], 0, v[40:41]
	v_ashrrev_i32_e32 v10, 31, v10
	v_add_u32_e32 v32, v39, v43
	v_xor_b32_e32 v11, s37, v10
	v_xor_b32_e32 v10, s36, v10
	v_and_b32_e32 v10, v8, v10
	v_and_b32_e32 v11, v28, v11
	v_mbcnt_lo_u32_b32 v8, v10, 0
	v_mbcnt_hi_u32_b32 v29, v11, v8
	v_cmp_eq_u32_e64 s[36:37], 0, v29
	v_cmp_ne_u64_e64 s[38:39], 0, v[10:11]
	s_and_b64 s[38:39], s[38:39], s[36:37]
	s_and_saveexec_b64 s[36:37], s[38:39]
; %bb.38:
	v_bcnt_u32_b32 v8, v10, 0
	v_bcnt_u32_b32 v8, v11, v8
	ds_write_b32 v32, v8 offset:64
; %bb.39:
	s_or_b64 exec, exec, s[36:37]
	v_lshrrev_b32_e32 v8, s64, v14
	v_and_b32_e32 v30, s71, v8
	v_mul_lo_u32 v8, v30, s72
	v_add_u32_e32 v34, v39, v8
	v_and_b32_e32 v8, 1, v30
	v_lshl_add_u64 v[10:11], v[8:9], 0, -1
	v_cmp_ne_u32_e64 s[36:37], 0, v8
	; wave barrier
	s_nop 1
	v_xor_b32_e32 v10, s36, v10
	v_xor_b32_e32 v8, s37, v11
	v_and_b32_e32 v31, exec_lo, v10
	v_lshlrev_b32_e32 v11, 30, v30
	v_mov_b32_e32 v10, v9
	v_cmp_gt_i64_e64 s[36:37], 0, v[10:11]
	v_not_b32_e32 v10, v11
	v_ashrrev_i32_e32 v10, 31, v10
	v_and_b32_e32 v8, exec_hi, v8
	v_xor_b32_e32 v11, s37, v10
	v_xor_b32_e32 v10, s36, v10
	v_and_b32_e32 v8, v8, v11
	v_and_b32_e32 v31, v31, v10
	v_lshlrev_b32_e32 v11, 29, v30
	v_mov_b32_e32 v10, v9
	v_cmp_gt_i64_e64 s[36:37], 0, v[10:11]
	v_not_b32_e32 v10, v11
	v_ashrrev_i32_e32 v10, 31, v10
	v_xor_b32_e32 v11, s37, v10
	v_xor_b32_e32 v10, s36, v10
	v_and_b32_e32 v8, v8, v11
	v_and_b32_e32 v31, v31, v10
	v_lshlrev_b32_e32 v11, 28, v30
	v_mov_b32_e32 v10, v9
	v_cmp_gt_i64_e64 s[36:37], 0, v[10:11]
	v_not_b32_e32 v10, v11
	v_ashrrev_i32_e32 v10, 31, v10
	;; [unrolled: 9-line block ×5, first 2 shown]
	v_xor_b32_e32 v11, s37, v10
	v_xor_b32_e32 v10, s36, v10
	v_and_b32_e32 v8, v8, v11
	v_lshlrev_b32_e32 v11, 24, v30
	v_and_b32_e32 v31, v31, v10
	v_mov_b32_e32 v10, v9
	v_not_b32_e32 v9, v11
	v_cmp_gt_i64_e64 s[36:37], 0, v[10:11]
	v_ashrrev_i32_e32 v9, 31, v9
	ds_read_b32 v28, v34 offset:64
	v_xor_b32_e32 v10, s37, v9
	v_xor_b32_e32 v11, s36, v9
	v_and_b32_e32 v9, v8, v10
	v_and_b32_e32 v8, v31, v11
	v_mbcnt_lo_u32_b32 v10, v8, 0
	v_mbcnt_hi_u32_b32 v30, v9, v10
	v_cmp_eq_u32_e64 s[36:37], 0, v30
	v_cmp_ne_u64_e64 s[38:39], 0, v[8:9]
	s_and_b64 s[38:39], s[38:39], s[36:37]
	; wave barrier
	s_and_saveexec_b64 s[36:37], s[38:39]
	s_cbranch_execz .LBB761_41
; %bb.40:
	v_bcnt_u32_b32 v8, v8, 0
	v_bcnt_u32_b32 v8, v9, v8
	s_waitcnt lgkmcnt(0)
	v_add_u32_e32 v8, v28, v8
	ds_write_b32 v34, v8 offset:64
.LBB761_41:
	s_or_b64 exec, exec, s[36:37]
	v_lshrrev_b32_e32 v8, s64, v15
	v_and_b32_e32 v33, s71, v8
	s_movk_i32 s40, 0x44
	v_mul_lo_u32 v8, v33, s40
	v_add_u32_e32 v37, v39, v8
	v_and_b32_e32 v8, 1, v33
	v_mov_b32_e32 v9, 0
	v_lshl_add_u64 v[10:11], v[8:9], 0, -1
	v_cmp_ne_u32_e64 s[36:37], 0, v8
	; wave barrier
	s_nop 1
	v_xor_b32_e32 v10, s36, v10
	v_xor_b32_e32 v8, s37, v11
	v_and_b32_e32 v35, exec_lo, v10
	v_lshlrev_b32_e32 v11, 30, v33
	v_mov_b32_e32 v10, v9
	v_cmp_gt_i64_e64 s[36:37], 0, v[10:11]
	v_not_b32_e32 v10, v11
	v_ashrrev_i32_e32 v10, 31, v10
	v_and_b32_e32 v8, exec_hi, v8
	v_xor_b32_e32 v11, s37, v10
	v_xor_b32_e32 v10, s36, v10
	v_and_b32_e32 v8, v8, v11
	v_and_b32_e32 v35, v35, v10
	v_lshlrev_b32_e32 v11, 29, v33
	v_mov_b32_e32 v10, v9
	v_cmp_gt_i64_e64 s[36:37], 0, v[10:11]
	v_not_b32_e32 v10, v11
	v_ashrrev_i32_e32 v10, 31, v10
	v_xor_b32_e32 v11, s37, v10
	v_xor_b32_e32 v10, s36, v10
	v_and_b32_e32 v8, v8, v11
	v_and_b32_e32 v35, v35, v10
	v_lshlrev_b32_e32 v11, 28, v33
	v_mov_b32_e32 v10, v9
	v_cmp_gt_i64_e64 s[36:37], 0, v[10:11]
	v_not_b32_e32 v10, v11
	v_ashrrev_i32_e32 v10, 31, v10
	;; [unrolled: 9-line block ×6, first 2 shown]
	v_xor_b32_e32 v11, s37, v10
	v_xor_b32_e32 v10, s36, v10
	ds_read_b32 v31, v37 offset:64
	v_and_b32_e32 v10, v35, v10
	v_and_b32_e32 v11, v8, v11
	v_mbcnt_lo_u32_b32 v8, v10, 0
	v_mbcnt_hi_u32_b32 v33, v11, v8
	v_cmp_eq_u32_e64 s[36:37], 0, v33
	v_cmp_ne_u64_e64 s[38:39], 0, v[10:11]
	s_and_b64 s[38:39], s[38:39], s[36:37]
	; wave barrier
	s_and_saveexec_b64 s[36:37], s[38:39]
	s_cbranch_execz .LBB761_43
; %bb.42:
	v_bcnt_u32_b32 v8, v10, 0
	v_bcnt_u32_b32 v8, v11, v8
	s_waitcnt lgkmcnt(0)
	v_add_u32_e32 v8, v31, v8
	ds_write_b32 v37, v8 offset:64
.LBB761_43:
	s_or_b64 exec, exec, s[36:37]
	v_lshrrev_b32_e32 v8, s64, v7
	v_and_b32_e32 v36, s71, v8
	v_mul_lo_u32 v8, v36, s40
	v_add_u32_e32 v41, v39, v8
	v_and_b32_e32 v8, 1, v36
	v_lshl_add_u64 v[10:11], v[8:9], 0, -1
	v_cmp_ne_u32_e64 s[36:37], 0, v8
	; wave barrier
	s_nop 1
	v_xor_b32_e32 v10, s36, v10
	v_xor_b32_e32 v8, s37, v11
	v_and_b32_e32 v38, exec_lo, v10
	v_lshlrev_b32_e32 v11, 30, v36
	v_mov_b32_e32 v10, v9
	v_cmp_gt_i64_e64 s[36:37], 0, v[10:11]
	v_not_b32_e32 v10, v11
	v_ashrrev_i32_e32 v10, 31, v10
	v_and_b32_e32 v8, exec_hi, v8
	v_xor_b32_e32 v11, s37, v10
	v_xor_b32_e32 v10, s36, v10
	v_and_b32_e32 v8, v8, v11
	v_and_b32_e32 v38, v38, v10
	v_lshlrev_b32_e32 v11, 29, v36
	v_mov_b32_e32 v10, v9
	v_cmp_gt_i64_e64 s[36:37], 0, v[10:11]
	v_not_b32_e32 v10, v11
	v_ashrrev_i32_e32 v10, 31, v10
	v_xor_b32_e32 v11, s37, v10
	v_xor_b32_e32 v10, s36, v10
	v_and_b32_e32 v8, v8, v11
	v_and_b32_e32 v38, v38, v10
	v_lshlrev_b32_e32 v11, 28, v36
	v_mov_b32_e32 v10, v9
	v_cmp_gt_i64_e64 s[36:37], 0, v[10:11]
	v_not_b32_e32 v10, v11
	v_ashrrev_i32_e32 v10, 31, v10
	;; [unrolled: 9-line block ×5, first 2 shown]
	v_xor_b32_e32 v11, s37, v10
	v_xor_b32_e32 v10, s36, v10
	v_and_b32_e32 v8, v8, v11
	v_lshlrev_b32_e32 v11, 24, v36
	v_and_b32_e32 v38, v38, v10
	v_mov_b32_e32 v10, v9
	v_not_b32_e32 v9, v11
	v_cmp_gt_i64_e64 s[36:37], 0, v[10:11]
	v_ashrrev_i32_e32 v9, 31, v9
	ds_read_b32 v35, v41 offset:64
	v_xor_b32_e32 v10, s37, v9
	v_xor_b32_e32 v11, s36, v9
	v_and_b32_e32 v9, v8, v10
	v_and_b32_e32 v8, v38, v11
	v_mbcnt_lo_u32_b32 v10, v8, 0
	v_mbcnt_hi_u32_b32 v36, v9, v10
	v_cmp_eq_u32_e64 s[36:37], 0, v36
	v_cmp_ne_u64_e64 s[38:39], 0, v[8:9]
	s_and_b64 s[38:39], s[38:39], s[36:37]
	; wave barrier
	s_and_saveexec_b64 s[36:37], s[38:39]
	s_cbranch_execz .LBB761_45
; %bb.44:
	v_bcnt_u32_b32 v8, v8, 0
	v_bcnt_u32_b32 v8, v9, v8
	s_waitcnt lgkmcnt(0)
	v_add_u32_e32 v8, v35, v8
	ds_write_b32 v41, v8 offset:64
.LBB761_45:
	s_or_b64 exec, exec, s[36:37]
	v_lshrrev_b32_e32 v8, s64, v17
	v_and_b32_e32 v40, s71, v8
	v_mul_lo_u32 v8, v40, s40
	v_add_u32_e32 v44, v39, v8
	v_and_b32_e32 v8, 1, v40
	v_mov_b32_e32 v9, 0
	v_lshl_add_u64 v[10:11], v[8:9], 0, -1
	v_cmp_ne_u32_e64 s[36:37], 0, v8
	; wave barrier
	s_nop 1
	v_xor_b32_e32 v10, s36, v10
	v_xor_b32_e32 v8, s37, v11
	v_and_b32_e32 v42, exec_lo, v10
	v_lshlrev_b32_e32 v11, 30, v40
	v_mov_b32_e32 v10, v9
	v_cmp_gt_i64_e64 s[36:37], 0, v[10:11]
	v_not_b32_e32 v10, v11
	v_ashrrev_i32_e32 v10, 31, v10
	v_and_b32_e32 v8, exec_hi, v8
	v_xor_b32_e32 v11, s37, v10
	v_xor_b32_e32 v10, s36, v10
	v_and_b32_e32 v8, v8, v11
	v_and_b32_e32 v42, v42, v10
	v_lshlrev_b32_e32 v11, 29, v40
	v_mov_b32_e32 v10, v9
	v_cmp_gt_i64_e64 s[36:37], 0, v[10:11]
	v_not_b32_e32 v10, v11
	v_ashrrev_i32_e32 v10, 31, v10
	v_xor_b32_e32 v11, s37, v10
	v_xor_b32_e32 v10, s36, v10
	v_and_b32_e32 v8, v8, v11
	v_and_b32_e32 v42, v42, v10
	v_lshlrev_b32_e32 v11, 28, v40
	v_mov_b32_e32 v10, v9
	v_cmp_gt_i64_e64 s[36:37], 0, v[10:11]
	v_not_b32_e32 v10, v11
	v_ashrrev_i32_e32 v10, 31, v10
	;; [unrolled: 9-line block ×6, first 2 shown]
	v_xor_b32_e32 v11, s37, v10
	v_xor_b32_e32 v10, s36, v10
	ds_read_b32 v38, v44 offset:64
	v_and_b32_e32 v10, v42, v10
	v_and_b32_e32 v11, v8, v11
	v_mbcnt_lo_u32_b32 v8, v10, 0
	v_mbcnt_hi_u32_b32 v40, v11, v8
	v_cmp_eq_u32_e64 s[36:37], 0, v40
	v_cmp_ne_u64_e64 s[38:39], 0, v[10:11]
	s_and_b64 s[38:39], s[38:39], s[36:37]
	; wave barrier
	s_and_saveexec_b64 s[36:37], s[38:39]
	s_cbranch_execz .LBB761_47
; %bb.46:
	v_bcnt_u32_b32 v8, v10, 0
	v_bcnt_u32_b32 v8, v11, v8
	s_waitcnt lgkmcnt(0)
	v_add_u32_e32 v8, v38, v8
	ds_write_b32 v44, v8 offset:64
.LBB761_47:
	s_or_b64 exec, exec, s[36:37]
	v_lshrrev_b32_e32 v8, s64, v16
	v_and_b32_e32 v43, s71, v8
	v_mul_lo_u32 v8, v43, s40
	v_add_u32_e32 v46, v39, v8
	v_and_b32_e32 v8, 1, v43
	v_lshl_add_u64 v[10:11], v[8:9], 0, -1
	v_cmp_ne_u32_e64 s[36:37], 0, v8
	; wave barrier
	s_nop 1
	v_xor_b32_e32 v10, s36, v10
	v_xor_b32_e32 v8, s37, v11
	v_and_b32_e32 v45, exec_lo, v10
	v_lshlrev_b32_e32 v11, 30, v43
	v_mov_b32_e32 v10, v9
	v_cmp_gt_i64_e64 s[36:37], 0, v[10:11]
	v_not_b32_e32 v10, v11
	v_ashrrev_i32_e32 v10, 31, v10
	v_and_b32_e32 v8, exec_hi, v8
	v_xor_b32_e32 v11, s37, v10
	v_xor_b32_e32 v10, s36, v10
	v_and_b32_e32 v8, v8, v11
	v_and_b32_e32 v45, v45, v10
	v_lshlrev_b32_e32 v11, 29, v43
	v_mov_b32_e32 v10, v9
	v_cmp_gt_i64_e64 s[36:37], 0, v[10:11]
	v_not_b32_e32 v10, v11
	v_ashrrev_i32_e32 v10, 31, v10
	v_xor_b32_e32 v11, s37, v10
	v_xor_b32_e32 v10, s36, v10
	v_and_b32_e32 v8, v8, v11
	v_and_b32_e32 v45, v45, v10
	v_lshlrev_b32_e32 v11, 28, v43
	v_mov_b32_e32 v10, v9
	v_cmp_gt_i64_e64 s[36:37], 0, v[10:11]
	v_not_b32_e32 v10, v11
	v_ashrrev_i32_e32 v10, 31, v10
	;; [unrolled: 9-line block ×5, first 2 shown]
	v_xor_b32_e32 v11, s37, v10
	v_xor_b32_e32 v10, s36, v10
	v_and_b32_e32 v8, v8, v11
	v_lshlrev_b32_e32 v11, 24, v43
	v_and_b32_e32 v45, v45, v10
	v_mov_b32_e32 v10, v9
	v_not_b32_e32 v9, v11
	v_cmp_gt_i64_e64 s[36:37], 0, v[10:11]
	v_ashrrev_i32_e32 v9, 31, v9
	ds_read_b32 v42, v46 offset:64
	v_xor_b32_e32 v10, s37, v9
	v_xor_b32_e32 v11, s36, v9
	v_and_b32_e32 v9, v8, v10
	v_and_b32_e32 v8, v45, v11
	v_mbcnt_lo_u32_b32 v10, v8, 0
	v_mbcnt_hi_u32_b32 v43, v9, v10
	v_cmp_eq_u32_e64 s[36:37], 0, v43
	v_cmp_ne_u64_e64 s[38:39], 0, v[8:9]
	s_and_b64 s[38:39], s[38:39], s[36:37]
	; wave barrier
	s_and_saveexec_b64 s[36:37], s[38:39]
	s_cbranch_execz .LBB761_49
; %bb.48:
	v_bcnt_u32_b32 v8, v8, 0
	v_bcnt_u32_b32 v8, v9, v8
	s_waitcnt lgkmcnt(0)
	v_add_u32_e32 v8, v42, v8
	ds_write_b32 v46, v8 offset:64
.LBB761_49:
	s_or_b64 exec, exec, s[36:37]
	v_lshrrev_b32_e32 v8, s64, v19
	v_and_b32_e32 v47, s71, v8
	v_mul_lo_u32 v8, v47, s40
	v_add_u32_e32 v49, v39, v8
	v_and_b32_e32 v8, 1, v47
	v_mov_b32_e32 v9, 0
	v_lshl_add_u64 v[10:11], v[8:9], 0, -1
	v_cmp_ne_u32_e64 s[36:37], 0, v8
	; wave barrier
	s_nop 1
	v_xor_b32_e32 v10, s36, v10
	v_xor_b32_e32 v8, s37, v11
	v_and_b32_e32 v48, exec_lo, v10
	v_lshlrev_b32_e32 v11, 30, v47
	v_mov_b32_e32 v10, v9
	v_cmp_gt_i64_e64 s[36:37], 0, v[10:11]
	v_not_b32_e32 v10, v11
	v_ashrrev_i32_e32 v10, 31, v10
	v_and_b32_e32 v8, exec_hi, v8
	v_xor_b32_e32 v11, s37, v10
	v_xor_b32_e32 v10, s36, v10
	v_and_b32_e32 v8, v8, v11
	v_and_b32_e32 v48, v48, v10
	v_lshlrev_b32_e32 v11, 29, v47
	v_mov_b32_e32 v10, v9
	v_cmp_gt_i64_e64 s[36:37], 0, v[10:11]
	v_not_b32_e32 v10, v11
	v_ashrrev_i32_e32 v10, 31, v10
	v_xor_b32_e32 v11, s37, v10
	v_xor_b32_e32 v10, s36, v10
	v_and_b32_e32 v8, v8, v11
	v_and_b32_e32 v48, v48, v10
	v_lshlrev_b32_e32 v11, 28, v47
	v_mov_b32_e32 v10, v9
	v_cmp_gt_i64_e64 s[36:37], 0, v[10:11]
	v_not_b32_e32 v10, v11
	v_ashrrev_i32_e32 v10, 31, v10
	v_xor_b32_e32 v11, s37, v10
	v_xor_b32_e32 v10, s36, v10
	v_and_b32_e32 v8, v8, v11
	v_and_b32_e32 v48, v48, v10
	v_lshlrev_b32_e32 v11, 27, v47
	v_mov_b32_e32 v10, v9
	v_cmp_gt_i64_e64 s[36:37], 0, v[10:11]
	v_not_b32_e32 v10, v11
	v_ashrrev_i32_e32 v10, 31, v10
	v_xor_b32_e32 v11, s37, v10
	v_xor_b32_e32 v10, s36, v10
	v_and_b32_e32 v8, v8, v11
	v_and_b32_e32 v48, v48, v10
	v_lshlrev_b32_e32 v11, 26, v47
	v_mov_b32_e32 v10, v9
	v_cmp_gt_i64_e64 s[36:37], 0, v[10:11]
	v_not_b32_e32 v10, v11
	v_ashrrev_i32_e32 v10, 31, v10
	v_xor_b32_e32 v11, s37, v10
	v_xor_b32_e32 v10, s36, v10
	v_and_b32_e32 v8, v8, v11
	v_and_b32_e32 v48, v48, v10
	v_lshlrev_b32_e32 v11, 25, v47
	v_mov_b32_e32 v10, v9
	v_cmp_gt_i64_e64 s[36:37], 0, v[10:11]
	v_not_b32_e32 v10, v11
	v_ashrrev_i32_e32 v10, 31, v10
	v_xor_b32_e32 v11, s37, v10
	v_xor_b32_e32 v10, s36, v10
	v_and_b32_e32 v8, v8, v11
	v_and_b32_e32 v48, v48, v10
	v_lshlrev_b32_e32 v11, 24, v47
	v_mov_b32_e32 v10, v9
	v_cmp_gt_i64_e64 s[36:37], 0, v[10:11]
	v_not_b32_e32 v10, v11
	v_ashrrev_i32_e32 v10, 31, v10
	v_xor_b32_e32 v11, s37, v10
	v_xor_b32_e32 v10, s36, v10
	ds_read_b32 v45, v49 offset:64
	v_and_b32_e32 v10, v48, v10
	v_and_b32_e32 v11, v8, v11
	v_mbcnt_lo_u32_b32 v8, v10, 0
	v_mbcnt_hi_u32_b32 v47, v11, v8
	v_cmp_eq_u32_e64 s[36:37], 0, v47
	v_cmp_ne_u64_e64 s[38:39], 0, v[10:11]
	s_and_b64 s[38:39], s[38:39], s[36:37]
	; wave barrier
	s_and_saveexec_b64 s[36:37], s[38:39]
	s_cbranch_execz .LBB761_51
; %bb.50:
	v_bcnt_u32_b32 v8, v10, 0
	v_bcnt_u32_b32 v8, v11, v8
	s_waitcnt lgkmcnt(0)
	v_add_u32_e32 v8, v45, v8
	ds_write_b32 v49, v8 offset:64
.LBB761_51:
	s_or_b64 exec, exec, s[36:37]
	v_lshrrev_b32_e32 v8, s64, v18
	v_and_b32_e32 v50, s71, v8
	v_mul_lo_u32 v8, v50, s40
	v_add_u32_e32 v52, v39, v8
	v_and_b32_e32 v8, 1, v50
	v_lshl_add_u64 v[10:11], v[8:9], 0, -1
	v_cmp_ne_u32_e64 s[36:37], 0, v8
	; wave barrier
	s_nop 1
	v_xor_b32_e32 v10, s36, v10
	v_xor_b32_e32 v8, s37, v11
	v_and_b32_e32 v51, exec_lo, v10
	v_lshlrev_b32_e32 v11, 30, v50
	v_mov_b32_e32 v10, v9
	v_cmp_gt_i64_e64 s[36:37], 0, v[10:11]
	v_not_b32_e32 v10, v11
	v_ashrrev_i32_e32 v10, 31, v10
	v_and_b32_e32 v8, exec_hi, v8
	v_xor_b32_e32 v11, s37, v10
	v_xor_b32_e32 v10, s36, v10
	v_and_b32_e32 v8, v8, v11
	v_and_b32_e32 v51, v51, v10
	v_lshlrev_b32_e32 v11, 29, v50
	v_mov_b32_e32 v10, v9
	v_cmp_gt_i64_e64 s[36:37], 0, v[10:11]
	v_not_b32_e32 v10, v11
	v_ashrrev_i32_e32 v10, 31, v10
	v_xor_b32_e32 v11, s37, v10
	v_xor_b32_e32 v10, s36, v10
	v_and_b32_e32 v8, v8, v11
	v_and_b32_e32 v51, v51, v10
	v_lshlrev_b32_e32 v11, 28, v50
	v_mov_b32_e32 v10, v9
	v_cmp_gt_i64_e64 s[36:37], 0, v[10:11]
	v_not_b32_e32 v10, v11
	v_ashrrev_i32_e32 v10, 31, v10
	;; [unrolled: 9-line block ×5, first 2 shown]
	v_xor_b32_e32 v11, s37, v10
	v_xor_b32_e32 v10, s36, v10
	v_and_b32_e32 v8, v8, v11
	v_lshlrev_b32_e32 v11, 24, v50
	v_and_b32_e32 v51, v51, v10
	v_mov_b32_e32 v10, v9
	v_not_b32_e32 v9, v11
	v_cmp_gt_i64_e64 s[36:37], 0, v[10:11]
	v_ashrrev_i32_e32 v9, 31, v9
	ds_read_b32 v48, v52 offset:64
	v_xor_b32_e32 v10, s37, v9
	v_xor_b32_e32 v11, s36, v9
	v_and_b32_e32 v9, v8, v10
	v_and_b32_e32 v8, v51, v11
	v_mbcnt_lo_u32_b32 v10, v8, 0
	v_mbcnt_hi_u32_b32 v50, v9, v10
	v_cmp_eq_u32_e64 s[36:37], 0, v50
	v_cmp_ne_u64_e64 s[38:39], 0, v[8:9]
	s_and_b64 s[38:39], s[38:39], s[36:37]
	; wave barrier
	s_and_saveexec_b64 s[36:37], s[38:39]
	s_cbranch_execz .LBB761_53
; %bb.52:
	v_bcnt_u32_b32 v8, v8, 0
	v_bcnt_u32_b32 v8, v9, v8
	s_waitcnt lgkmcnt(0)
	v_add_u32_e32 v8, v48, v8
	ds_write_b32 v52, v8 offset:64
.LBB761_53:
	s_or_b64 exec, exec, s[36:37]
	v_lshrrev_b32_e32 v8, s64, v21
	v_and_b32_e32 v53, s71, v8
	v_mul_lo_u32 v8, v53, s40
	v_add_u32_e32 v55, v39, v8
	v_and_b32_e32 v8, 1, v53
	v_mov_b32_e32 v9, 0
	v_lshl_add_u64 v[10:11], v[8:9], 0, -1
	v_cmp_ne_u32_e64 s[36:37], 0, v8
	; wave barrier
	s_nop 1
	v_xor_b32_e32 v10, s36, v10
	v_xor_b32_e32 v8, s37, v11
	v_and_b32_e32 v54, exec_lo, v10
	v_lshlrev_b32_e32 v11, 30, v53
	v_mov_b32_e32 v10, v9
	v_cmp_gt_i64_e64 s[36:37], 0, v[10:11]
	v_not_b32_e32 v10, v11
	v_ashrrev_i32_e32 v10, 31, v10
	v_and_b32_e32 v8, exec_hi, v8
	v_xor_b32_e32 v11, s37, v10
	v_xor_b32_e32 v10, s36, v10
	v_and_b32_e32 v8, v8, v11
	v_and_b32_e32 v54, v54, v10
	v_lshlrev_b32_e32 v11, 29, v53
	v_mov_b32_e32 v10, v9
	v_cmp_gt_i64_e64 s[36:37], 0, v[10:11]
	v_not_b32_e32 v10, v11
	v_ashrrev_i32_e32 v10, 31, v10
	v_xor_b32_e32 v11, s37, v10
	v_xor_b32_e32 v10, s36, v10
	v_and_b32_e32 v8, v8, v11
	v_and_b32_e32 v54, v54, v10
	v_lshlrev_b32_e32 v11, 28, v53
	v_mov_b32_e32 v10, v9
	v_cmp_gt_i64_e64 s[36:37], 0, v[10:11]
	v_not_b32_e32 v10, v11
	v_ashrrev_i32_e32 v10, 31, v10
	;; [unrolled: 9-line block ×6, first 2 shown]
	v_xor_b32_e32 v11, s37, v10
	v_xor_b32_e32 v10, s36, v10
	ds_read_b32 v51, v55 offset:64
	v_and_b32_e32 v10, v54, v10
	v_and_b32_e32 v11, v8, v11
	v_mbcnt_lo_u32_b32 v8, v10, 0
	v_mbcnt_hi_u32_b32 v53, v11, v8
	v_cmp_eq_u32_e64 s[36:37], 0, v53
	v_cmp_ne_u64_e64 s[38:39], 0, v[10:11]
	s_and_b64 s[38:39], s[38:39], s[36:37]
	; wave barrier
	s_and_saveexec_b64 s[36:37], s[38:39]
	s_cbranch_execz .LBB761_55
; %bb.54:
	v_bcnt_u32_b32 v8, v10, 0
	v_bcnt_u32_b32 v8, v11, v8
	s_waitcnt lgkmcnt(0)
	v_add_u32_e32 v8, v51, v8
	ds_write_b32 v55, v8 offset:64
.LBB761_55:
	s_or_b64 exec, exec, s[36:37]
	v_lshrrev_b32_e32 v8, s64, v20
	v_and_b32_e32 v56, s71, v8
	v_mul_lo_u32 v8, v56, s40
	v_add_u32_e32 v58, v39, v8
	v_and_b32_e32 v8, 1, v56
	v_lshl_add_u64 v[10:11], v[8:9], 0, -1
	v_cmp_ne_u32_e64 s[36:37], 0, v8
	; wave barrier
	s_nop 1
	v_xor_b32_e32 v10, s36, v10
	v_xor_b32_e32 v8, s37, v11
	v_and_b32_e32 v57, exec_lo, v10
	v_lshlrev_b32_e32 v11, 30, v56
	v_mov_b32_e32 v10, v9
	v_cmp_gt_i64_e64 s[36:37], 0, v[10:11]
	v_not_b32_e32 v10, v11
	v_ashrrev_i32_e32 v10, 31, v10
	v_and_b32_e32 v8, exec_hi, v8
	v_xor_b32_e32 v11, s37, v10
	v_xor_b32_e32 v10, s36, v10
	v_and_b32_e32 v8, v8, v11
	v_and_b32_e32 v57, v57, v10
	v_lshlrev_b32_e32 v11, 29, v56
	v_mov_b32_e32 v10, v9
	v_cmp_gt_i64_e64 s[36:37], 0, v[10:11]
	v_not_b32_e32 v10, v11
	v_ashrrev_i32_e32 v10, 31, v10
	v_xor_b32_e32 v11, s37, v10
	v_xor_b32_e32 v10, s36, v10
	v_and_b32_e32 v8, v8, v11
	v_and_b32_e32 v57, v57, v10
	v_lshlrev_b32_e32 v11, 28, v56
	v_mov_b32_e32 v10, v9
	v_cmp_gt_i64_e64 s[36:37], 0, v[10:11]
	v_not_b32_e32 v10, v11
	v_ashrrev_i32_e32 v10, 31, v10
	;; [unrolled: 9-line block ×5, first 2 shown]
	v_xor_b32_e32 v11, s37, v10
	v_xor_b32_e32 v10, s36, v10
	v_and_b32_e32 v8, v8, v11
	v_lshlrev_b32_e32 v11, 24, v56
	v_and_b32_e32 v57, v57, v10
	v_mov_b32_e32 v10, v9
	v_not_b32_e32 v9, v11
	v_cmp_gt_i64_e64 s[36:37], 0, v[10:11]
	v_ashrrev_i32_e32 v9, 31, v9
	ds_read_b32 v54, v58 offset:64
	v_xor_b32_e32 v10, s37, v9
	v_xor_b32_e32 v11, s36, v9
	v_and_b32_e32 v9, v8, v10
	v_and_b32_e32 v8, v57, v11
	v_mbcnt_lo_u32_b32 v10, v8, 0
	v_mbcnt_hi_u32_b32 v56, v9, v10
	v_cmp_eq_u32_e64 s[36:37], 0, v56
	v_cmp_ne_u64_e64 s[38:39], 0, v[8:9]
	s_and_b64 s[38:39], s[38:39], s[36:37]
	; wave barrier
	s_and_saveexec_b64 s[36:37], s[38:39]
	s_cbranch_execz .LBB761_57
; %bb.56:
	v_bcnt_u32_b32 v8, v8, 0
	v_bcnt_u32_b32 v8, v9, v8
	s_waitcnt lgkmcnt(0)
	v_add_u32_e32 v8, v54, v8
	ds_write_b32 v58, v8 offset:64
.LBB761_57:
	s_or_b64 exec, exec, s[36:37]
	v_lshrrev_b32_e32 v8, s64, v23
	v_and_b32_e32 v59, s71, v8
	v_mul_lo_u32 v8, v59, s40
	v_add_u32_e32 v61, v39, v8
	v_and_b32_e32 v8, 1, v59
	v_mov_b32_e32 v9, 0
	v_lshl_add_u64 v[10:11], v[8:9], 0, -1
	v_cmp_ne_u32_e64 s[36:37], 0, v8
	; wave barrier
	s_nop 1
	v_xor_b32_e32 v10, s36, v10
	v_xor_b32_e32 v8, s37, v11
	v_and_b32_e32 v60, exec_lo, v10
	v_lshlrev_b32_e32 v11, 30, v59
	v_mov_b32_e32 v10, v9
	v_cmp_gt_i64_e64 s[36:37], 0, v[10:11]
	v_not_b32_e32 v10, v11
	v_ashrrev_i32_e32 v10, 31, v10
	v_and_b32_e32 v8, exec_hi, v8
	v_xor_b32_e32 v11, s37, v10
	v_xor_b32_e32 v10, s36, v10
	v_and_b32_e32 v8, v8, v11
	v_and_b32_e32 v60, v60, v10
	v_lshlrev_b32_e32 v11, 29, v59
	v_mov_b32_e32 v10, v9
	v_cmp_gt_i64_e64 s[36:37], 0, v[10:11]
	v_not_b32_e32 v10, v11
	v_ashrrev_i32_e32 v10, 31, v10
	v_xor_b32_e32 v11, s37, v10
	v_xor_b32_e32 v10, s36, v10
	v_and_b32_e32 v8, v8, v11
	v_and_b32_e32 v60, v60, v10
	v_lshlrev_b32_e32 v11, 28, v59
	v_mov_b32_e32 v10, v9
	v_cmp_gt_i64_e64 s[36:37], 0, v[10:11]
	v_not_b32_e32 v10, v11
	v_ashrrev_i32_e32 v10, 31, v10
	;; [unrolled: 9-line block ×6, first 2 shown]
	v_xor_b32_e32 v11, s37, v10
	v_xor_b32_e32 v10, s36, v10
	ds_read_b32 v57, v61 offset:64
	v_and_b32_e32 v10, v60, v10
	v_and_b32_e32 v11, v8, v11
	v_mbcnt_lo_u32_b32 v8, v10, 0
	v_mbcnt_hi_u32_b32 v59, v11, v8
	v_cmp_eq_u32_e64 s[36:37], 0, v59
	v_cmp_ne_u64_e64 s[38:39], 0, v[10:11]
	s_and_b64 s[38:39], s[38:39], s[36:37]
	; wave barrier
	s_and_saveexec_b64 s[36:37], s[38:39]
	s_cbranch_execz .LBB761_59
; %bb.58:
	v_bcnt_u32_b32 v8, v10, 0
	v_bcnt_u32_b32 v8, v11, v8
	s_waitcnt lgkmcnt(0)
	v_add_u32_e32 v8, v57, v8
	ds_write_b32 v61, v8 offset:64
.LBB761_59:
	s_or_b64 exec, exec, s[36:37]
	v_lshrrev_b32_e32 v8, s64, v22
	v_and_b32_e32 v62, s71, v8
	v_mul_lo_u32 v8, v62, s40
	v_add_u32_e32 v64, v39, v8
	v_and_b32_e32 v8, 1, v62
	v_lshl_add_u64 v[10:11], v[8:9], 0, -1
	v_cmp_ne_u32_e64 s[36:37], 0, v8
	; wave barrier
	s_nop 1
	v_xor_b32_e32 v10, s36, v10
	v_xor_b32_e32 v8, s37, v11
	v_and_b32_e32 v63, exec_lo, v10
	v_lshlrev_b32_e32 v11, 30, v62
	v_mov_b32_e32 v10, v9
	v_cmp_gt_i64_e64 s[36:37], 0, v[10:11]
	v_not_b32_e32 v10, v11
	v_ashrrev_i32_e32 v10, 31, v10
	v_and_b32_e32 v8, exec_hi, v8
	v_xor_b32_e32 v11, s37, v10
	v_xor_b32_e32 v10, s36, v10
	v_and_b32_e32 v8, v8, v11
	v_and_b32_e32 v63, v63, v10
	v_lshlrev_b32_e32 v11, 29, v62
	v_mov_b32_e32 v10, v9
	v_cmp_gt_i64_e64 s[36:37], 0, v[10:11]
	v_not_b32_e32 v10, v11
	v_ashrrev_i32_e32 v10, 31, v10
	v_xor_b32_e32 v11, s37, v10
	v_xor_b32_e32 v10, s36, v10
	v_and_b32_e32 v8, v8, v11
	v_and_b32_e32 v63, v63, v10
	v_lshlrev_b32_e32 v11, 28, v62
	v_mov_b32_e32 v10, v9
	v_cmp_gt_i64_e64 s[36:37], 0, v[10:11]
	v_not_b32_e32 v10, v11
	v_ashrrev_i32_e32 v10, 31, v10
	;; [unrolled: 9-line block ×5, first 2 shown]
	v_xor_b32_e32 v11, s37, v10
	v_xor_b32_e32 v10, s36, v10
	v_and_b32_e32 v8, v8, v11
	v_lshlrev_b32_e32 v11, 24, v62
	v_and_b32_e32 v63, v63, v10
	v_mov_b32_e32 v10, v9
	v_not_b32_e32 v9, v11
	v_cmp_gt_i64_e64 s[36:37], 0, v[10:11]
	v_ashrrev_i32_e32 v9, 31, v9
	ds_read_b32 v60, v64 offset:64
	v_xor_b32_e32 v10, s37, v9
	v_xor_b32_e32 v11, s36, v9
	v_and_b32_e32 v9, v8, v10
	v_and_b32_e32 v8, v63, v11
	v_mbcnt_lo_u32_b32 v10, v8, 0
	v_mbcnt_hi_u32_b32 v62, v9, v10
	v_cmp_eq_u32_e64 s[36:37], 0, v62
	v_cmp_ne_u64_e64 s[38:39], 0, v[8:9]
	s_and_b64 s[38:39], s[38:39], s[36:37]
	; wave barrier
	s_and_saveexec_b64 s[36:37], s[38:39]
	s_cbranch_execz .LBB761_61
; %bb.60:
	v_bcnt_u32_b32 v8, v8, 0
	v_bcnt_u32_b32 v8, v9, v8
	s_waitcnt lgkmcnt(0)
	v_add_u32_e32 v8, v60, v8
	ds_write_b32 v64, v8 offset:64
.LBB761_61:
	s_or_b64 exec, exec, s[36:37]
	v_lshrrev_b32_e32 v8, s64, v25
	v_and_b32_e32 v65, s71, v8
	v_mul_lo_u32 v8, v65, s40
	v_add_u32_e32 v67, v39, v8
	v_and_b32_e32 v8, 1, v65
	v_mov_b32_e32 v9, 0
	v_lshl_add_u64 v[10:11], v[8:9], 0, -1
	v_cmp_ne_u32_e64 s[36:37], 0, v8
	; wave barrier
	s_nop 1
	v_xor_b32_e32 v10, s36, v10
	v_xor_b32_e32 v8, s37, v11
	v_and_b32_e32 v66, exec_lo, v10
	v_lshlrev_b32_e32 v11, 30, v65
	v_mov_b32_e32 v10, v9
	v_cmp_gt_i64_e64 s[36:37], 0, v[10:11]
	v_not_b32_e32 v10, v11
	v_ashrrev_i32_e32 v10, 31, v10
	v_and_b32_e32 v8, exec_hi, v8
	v_xor_b32_e32 v11, s37, v10
	v_xor_b32_e32 v10, s36, v10
	v_and_b32_e32 v8, v8, v11
	v_and_b32_e32 v66, v66, v10
	v_lshlrev_b32_e32 v11, 29, v65
	v_mov_b32_e32 v10, v9
	v_cmp_gt_i64_e64 s[36:37], 0, v[10:11]
	v_not_b32_e32 v10, v11
	v_ashrrev_i32_e32 v10, 31, v10
	v_xor_b32_e32 v11, s37, v10
	v_xor_b32_e32 v10, s36, v10
	v_and_b32_e32 v8, v8, v11
	v_and_b32_e32 v66, v66, v10
	v_lshlrev_b32_e32 v11, 28, v65
	v_mov_b32_e32 v10, v9
	v_cmp_gt_i64_e64 s[36:37], 0, v[10:11]
	v_not_b32_e32 v10, v11
	v_ashrrev_i32_e32 v10, 31, v10
	;; [unrolled: 9-line block ×6, first 2 shown]
	v_xor_b32_e32 v11, s37, v10
	v_xor_b32_e32 v10, s36, v10
	ds_read_b32 v63, v67 offset:64
	v_and_b32_e32 v10, v66, v10
	v_and_b32_e32 v11, v8, v11
	v_mbcnt_lo_u32_b32 v8, v10, 0
	v_mbcnt_hi_u32_b32 v65, v11, v8
	v_cmp_eq_u32_e64 s[36:37], 0, v65
	v_cmp_ne_u64_e64 s[38:39], 0, v[10:11]
	s_and_b64 s[38:39], s[38:39], s[36:37]
	; wave barrier
	s_and_saveexec_b64 s[36:37], s[38:39]
	s_cbranch_execz .LBB761_63
; %bb.62:
	v_bcnt_u32_b32 v8, v10, 0
	v_bcnt_u32_b32 v8, v11, v8
	s_waitcnt lgkmcnt(0)
	v_add_u32_e32 v8, v63, v8
	ds_write_b32 v67, v8 offset:64
.LBB761_63:
	s_or_b64 exec, exec, s[36:37]
	v_lshrrev_b32_e32 v8, s64, v24
	v_and_b32_e32 v68, s71, v8
	v_mul_lo_u32 v8, v68, s40
	v_add_u32_e32 v70, v39, v8
	v_and_b32_e32 v8, 1, v68
	v_lshl_add_u64 v[10:11], v[8:9], 0, -1
	v_cmp_ne_u32_e64 s[36:37], 0, v8
	; wave barrier
	s_nop 1
	v_xor_b32_e32 v10, s36, v10
	v_xor_b32_e32 v8, s37, v11
	v_and_b32_e32 v69, exec_lo, v10
	v_lshlrev_b32_e32 v11, 30, v68
	v_mov_b32_e32 v10, v9
	v_cmp_gt_i64_e64 s[36:37], 0, v[10:11]
	v_not_b32_e32 v10, v11
	v_ashrrev_i32_e32 v10, 31, v10
	v_and_b32_e32 v8, exec_hi, v8
	v_xor_b32_e32 v11, s37, v10
	v_xor_b32_e32 v10, s36, v10
	v_and_b32_e32 v8, v8, v11
	v_and_b32_e32 v69, v69, v10
	v_lshlrev_b32_e32 v11, 29, v68
	v_mov_b32_e32 v10, v9
	v_cmp_gt_i64_e64 s[36:37], 0, v[10:11]
	v_not_b32_e32 v10, v11
	v_ashrrev_i32_e32 v10, 31, v10
	v_xor_b32_e32 v11, s37, v10
	v_xor_b32_e32 v10, s36, v10
	v_and_b32_e32 v8, v8, v11
	v_and_b32_e32 v69, v69, v10
	v_lshlrev_b32_e32 v11, 28, v68
	v_mov_b32_e32 v10, v9
	v_cmp_gt_i64_e64 s[36:37], 0, v[10:11]
	v_not_b32_e32 v10, v11
	v_ashrrev_i32_e32 v10, 31, v10
	;; [unrolled: 9-line block ×5, first 2 shown]
	v_xor_b32_e32 v11, s37, v10
	v_xor_b32_e32 v10, s36, v10
	v_and_b32_e32 v8, v8, v11
	v_lshlrev_b32_e32 v11, 24, v68
	v_and_b32_e32 v69, v69, v10
	v_mov_b32_e32 v10, v9
	v_not_b32_e32 v9, v11
	v_cmp_gt_i64_e64 s[36:37], 0, v[10:11]
	v_ashrrev_i32_e32 v9, 31, v9
	ds_read_b32 v66, v70 offset:64
	v_xor_b32_e32 v10, s37, v9
	v_xor_b32_e32 v11, s36, v9
	v_and_b32_e32 v9, v8, v10
	v_and_b32_e32 v8, v69, v11
	v_mbcnt_lo_u32_b32 v10, v8, 0
	v_mbcnt_hi_u32_b32 v68, v9, v10
	v_cmp_eq_u32_e64 s[36:37], 0, v68
	v_cmp_ne_u64_e64 s[38:39], 0, v[8:9]
	s_and_b64 s[38:39], s[38:39], s[36:37]
	; wave barrier
	s_and_saveexec_b64 s[36:37], s[38:39]
	s_cbranch_execz .LBB761_65
; %bb.64:
	v_bcnt_u32_b32 v8, v8, 0
	v_bcnt_u32_b32 v8, v9, v8
	s_waitcnt lgkmcnt(0)
	v_add_u32_e32 v8, v66, v8
	ds_write_b32 v70, v8 offset:64
.LBB761_65:
	s_or_b64 exec, exec, s[36:37]
	v_lshrrev_b32_e32 v8, s64, v27
	v_and_b32_e32 v71, s71, v8
	v_mul_lo_u32 v8, v71, s40
	v_add_u32_e32 v72, v39, v8
	v_and_b32_e32 v8, 1, v71
	v_mov_b32_e32 v9, 0
	v_lshl_add_u64 v[10:11], v[8:9], 0, -1
	v_cmp_ne_u32_e64 s[36:37], 0, v8
	; wave barrier
	s_nop 1
	v_xor_b32_e32 v10, s36, v10
	v_xor_b32_e32 v8, s37, v11
	v_and_b32_e32 v73, exec_lo, v10
	v_lshlrev_b32_e32 v11, 30, v71
	v_mov_b32_e32 v10, v9
	v_cmp_gt_i64_e64 s[36:37], 0, v[10:11]
	v_not_b32_e32 v10, v11
	v_ashrrev_i32_e32 v10, 31, v10
	v_and_b32_e32 v8, exec_hi, v8
	v_xor_b32_e32 v11, s37, v10
	v_xor_b32_e32 v10, s36, v10
	v_and_b32_e32 v8, v8, v11
	v_and_b32_e32 v73, v73, v10
	v_lshlrev_b32_e32 v11, 29, v71
	v_mov_b32_e32 v10, v9
	v_cmp_gt_i64_e64 s[36:37], 0, v[10:11]
	v_not_b32_e32 v10, v11
	v_ashrrev_i32_e32 v10, 31, v10
	v_xor_b32_e32 v11, s37, v10
	v_xor_b32_e32 v10, s36, v10
	v_and_b32_e32 v8, v8, v11
	v_and_b32_e32 v73, v73, v10
	v_lshlrev_b32_e32 v11, 28, v71
	v_mov_b32_e32 v10, v9
	v_cmp_gt_i64_e64 s[36:37], 0, v[10:11]
	v_not_b32_e32 v10, v11
	v_ashrrev_i32_e32 v10, 31, v10
	;; [unrolled: 9-line block ×6, first 2 shown]
	v_xor_b32_e32 v11, s37, v10
	v_xor_b32_e32 v10, s36, v10
	ds_read_b32 v69, v72 offset:64
	v_and_b32_e32 v10, v73, v10
	v_and_b32_e32 v11, v8, v11
	v_mbcnt_lo_u32_b32 v8, v10, 0
	v_mbcnt_hi_u32_b32 v71, v11, v8
	v_cmp_eq_u32_e64 s[36:37], 0, v71
	v_cmp_ne_u64_e64 s[38:39], 0, v[10:11]
	s_and_b64 s[38:39], s[38:39], s[36:37]
	; wave barrier
	s_and_saveexec_b64 s[36:37], s[38:39]
	s_cbranch_execz .LBB761_67
; %bb.66:
	v_bcnt_u32_b32 v8, v10, 0
	v_bcnt_u32_b32 v8, v11, v8
	s_waitcnt lgkmcnt(0)
	v_add_u32_e32 v8, v69, v8
	ds_write_b32 v72, v8 offset:64
.LBB761_67:
	s_or_b64 exec, exec, s[36:37]
	v_lshrrev_b32_e32 v8, s64, v26
	v_and_b32_e32 v73, s71, v8
	v_mul_lo_u32 v8, v73, s40
	v_add_u32_e32 v74, v39, v8
	v_and_b32_e32 v8, 1, v73
	v_lshl_add_u64 v[10:11], v[8:9], 0, -1
	v_cmp_ne_u32_e64 s[36:37], 0, v8
	; wave barrier
	s_nop 1
	v_xor_b32_e32 v10, s36, v10
	v_xor_b32_e32 v8, s37, v11
	v_and_b32_e32 v75, exec_lo, v10
	v_lshlrev_b32_e32 v11, 30, v73
	v_mov_b32_e32 v10, v9
	v_cmp_gt_i64_e64 s[36:37], 0, v[10:11]
	v_not_b32_e32 v10, v11
	v_ashrrev_i32_e32 v10, 31, v10
	v_and_b32_e32 v8, exec_hi, v8
	v_xor_b32_e32 v11, s37, v10
	v_xor_b32_e32 v10, s36, v10
	v_and_b32_e32 v8, v8, v11
	v_and_b32_e32 v75, v75, v10
	v_lshlrev_b32_e32 v11, 29, v73
	v_mov_b32_e32 v10, v9
	v_cmp_gt_i64_e64 s[36:37], 0, v[10:11]
	v_not_b32_e32 v10, v11
	v_ashrrev_i32_e32 v10, 31, v10
	v_xor_b32_e32 v11, s37, v10
	v_xor_b32_e32 v10, s36, v10
	v_and_b32_e32 v8, v8, v11
	v_and_b32_e32 v75, v75, v10
	v_lshlrev_b32_e32 v11, 28, v73
	v_mov_b32_e32 v10, v9
	v_cmp_gt_i64_e64 s[36:37], 0, v[10:11]
	v_not_b32_e32 v10, v11
	v_ashrrev_i32_e32 v10, 31, v10
	;; [unrolled: 9-line block ×5, first 2 shown]
	v_xor_b32_e32 v11, s37, v10
	v_xor_b32_e32 v10, s36, v10
	v_and_b32_e32 v8, v8, v11
	v_lshlrev_b32_e32 v11, 24, v73
	v_and_b32_e32 v75, v75, v10
	v_mov_b32_e32 v10, v9
	v_not_b32_e32 v9, v11
	v_cmp_gt_i64_e64 s[36:37], 0, v[10:11]
	v_ashrrev_i32_e32 v9, 31, v9
	ds_read_b32 v39, v74 offset:64
	v_xor_b32_e32 v10, s37, v9
	v_xor_b32_e32 v11, s36, v9
	v_and_b32_e32 v9, v8, v10
	v_and_b32_e32 v8, v75, v11
	v_mbcnt_lo_u32_b32 v10, v8, 0
	v_mbcnt_hi_u32_b32 v73, v9, v10
	v_cmp_eq_u32_e64 s[36:37], 0, v73
	v_cmp_ne_u64_e64 s[38:39], 0, v[8:9]
	s_and_b64 s[38:39], s[38:39], s[36:37]
	; wave barrier
	s_and_saveexec_b64 s[36:37], s[38:39]
	s_cbranch_execz .LBB761_69
; %bb.68:
	v_bcnt_u32_b32 v8, v8, 0
	v_bcnt_u32_b32 v8, v9, v8
	s_waitcnt lgkmcnt(0)
	v_add_u32_e32 v8, v39, v8
	ds_write_b32 v74, v8 offset:64
.LBB761_69:
	s_or_b64 exec, exec, s[36:37]
	; wave barrier
	s_waitcnt lgkmcnt(0)
	s_barrier
	ds_read2_b32 v[10:11], v13 offset0:16 offset1:17
	ds_read2_b32 v[8:9], v13 offset0:18 offset1:19
	ds_read_b32 v75, v13 offset:80
	v_cmp_lt_u32_e64 s[46:47], 31, v12
	s_waitcnt lgkmcnt(1)
	v_add3_u32 v76, v11, v10, v8
	s_waitcnt lgkmcnt(0)
	v_add3_u32 v75, v76, v9, v75
	v_and_b32_e32 v76, 15, v12
	v_cmp_eq_u32_e64 s[36:37], 0, v76
	v_mov_b32_dpp v77, v75 row_shr:1 row_mask:0xf bank_mask:0xf
	v_cmp_lt_u32_e64 s[38:39], 1, v76
	v_cndmask_b32_e64 v77, v77, 0, s[36:37]
	v_add_u32_e32 v75, v77, v75
	v_cmp_lt_u32_e64 s[40:41], 3, v76
	v_cmp_lt_u32_e64 s[42:43], 7, v76
	v_mov_b32_dpp v77, v75 row_shr:2 row_mask:0xf bank_mask:0xf
	v_cndmask_b32_e64 v77, 0, v77, s[38:39]
	v_add_u32_e32 v75, v75, v77
	s_nop 1
	v_mov_b32_dpp v77, v75 row_shr:4 row_mask:0xf bank_mask:0xf
	v_cndmask_b32_e64 v77, 0, v77, s[40:41]
	v_add_u32_e32 v75, v75, v77
	s_nop 1
	v_mov_b32_dpp v77, v75 row_shr:8 row_mask:0xf bank_mask:0xf
	v_cndmask_b32_e64 v76, 0, v77, s[42:43]
	v_add_u32_e32 v75, v75, v76
	v_bfe_i32 v77, v12, 4, 1
	s_nop 0
	v_mov_b32_dpp v76, v75 row_bcast:15 row_mask:0xf bank_mask:0xf
	v_and_b32_e32 v76, v77, v76
	v_add_u32_e32 v75, v75, v76
	v_and_b32_e32 v77, 63, v2
	s_nop 0
	v_mov_b32_dpp v76, v75 row_bcast:31 row_mask:0xf bank_mask:0xf
	v_cndmask_b32_e64 v76, 0, v76, s[46:47]
	v_add_u32_e32 v75, v75, v76
	v_lshrrev_b32_e32 v76, 6, v2
	v_cmp_eq_u32_e64 s[46:47], 63, v77
	s_and_saveexec_b64 s[48:49], s[46:47]
; %bb.70:
	v_lshlrev_b32_e32 v77, 2, v76
	ds_write_b32 v77, v75
; %bb.71:
	s_or_b64 exec, exec, s[48:49]
	v_cmp_gt_u32_e64 s[46:47], 16, v2
	s_waitcnt lgkmcnt(0)
	s_barrier
	s_and_saveexec_b64 s[48:49], s[46:47]
	s_cbranch_execz .LBB761_73
; %bb.72:
	v_lshlrev_b32_e32 v77, 2, v2
	ds_read_b32 v78, v77
	s_waitcnt lgkmcnt(0)
	s_nop 0
	v_mov_b32_dpp v79, v78 row_shr:1 row_mask:0xf bank_mask:0xf
	v_cndmask_b32_e64 v79, v79, 0, s[36:37]
	v_add_u32_e32 v78, v79, v78
	s_nop 1
	v_mov_b32_dpp v79, v78 row_shr:2 row_mask:0xf bank_mask:0xf
	v_cndmask_b32_e64 v79, 0, v79, s[38:39]
	v_add_u32_e32 v78, v78, v79
	;; [unrolled: 4-line block ×4, first 2 shown]
	ds_write_b32 v77, v78
.LBB761_73:
	s_or_b64 exec, exec, s[48:49]
	v_cmp_lt_u32_e64 s[36:37], 63, v2
	v_mov_b32_e32 v77, 0
	s_waitcnt lgkmcnt(0)
	s_barrier
	s_and_saveexec_b64 s[38:39], s[36:37]
; %bb.74:
	v_lshl_add_u32 v76, v76, 2, -4
	ds_read_b32 v77, v76
; %bb.75:
	s_or_b64 exec, exec, s[38:39]
	v_subrev_co_u32_e64 v76, s[36:37], 1, v12
	v_and_b32_e32 v78, 64, v12
	v_cmp_lt_i32_e64 s[38:39], v76, v78
	s_waitcnt lgkmcnt(0)
	v_add_u32_e32 v75, v77, v75
	s_movk_i32 s40, 0x100
	v_cndmask_b32_e64 v12, v76, v12, s[38:39]
	v_lshlrev_b32_e32 v12, 2, v12
	ds_bpermute_b32 v12, v12, v75
	v_cmp_gt_u32_e64 s[38:39], s40, v2
	s_waitcnt lgkmcnt(0)
	v_cndmask_b32_e64 v12, v12, v77, s[36:37]
	v_cndmask_b32_e64 v12, v12, 0, s[44:45]
	v_add_u32_e32 v10, v12, v10
	v_add_u32_e32 v11, v10, v11
	v_add_u32_e32 v8, v11, v8
	v_add_u32_e32 v9, v8, v9
	ds_write2_b32 v13, v12, v10 offset0:16 offset1:17
	ds_write2_b32 v13, v11, v8 offset0:18 offset1:19
	ds_write_b32 v13, v9 offset:80
	s_waitcnt lgkmcnt(0)
	s_barrier
	ds_read_b32 v75, v34 offset:64
	ds_read_b32 v76, v37 offset:64
	;; [unrolled: 1-line block ×16, first 2 shown]
	s_movk_i32 s36, 0xff
	v_cmp_lt_u32_e64 s[36:37], s36, v2
                                        ; implicit-def: $vgpr32
                                        ; implicit-def: $vgpr34
	s_and_saveexec_b64 s[42:43], s[38:39]
	s_cbranch_execz .LBB761_79
; %bb.76:
	v_mul_u32_u24_e32 v8, 0x44, v2
	ds_read_b32 v32, v8 offset:64
	v_add_u32_e32 v9, 1, v2
	v_cmp_ne_u32_e64 s[40:41], s40, v9
	v_mov_b32_e32 v8, 0x4000
	s_and_saveexec_b64 s[46:47], s[40:41]
; %bb.77:
	v_mul_u32_u24_e32 v8, 0x44, v9
	ds_read_b32 v8, v8 offset:64
; %bb.78:
	s_or_b64 exec, exec, s[46:47]
	s_waitcnt lgkmcnt(0)
	v_sub_u32_e32 v34, v8, v32
.LBB761_79:
	s_or_b64 exec, exec, s[42:43]
	v_mov_b32_e32 v9, 0
	v_lshlrev_b32_e32 v37, 2, v2
	s_waitcnt lgkmcnt(0)
	s_barrier
	s_and_saveexec_b64 s[40:41], s[38:39]
	s_cbranch_execz .LBB761_89
; %bb.80:
	v_lshl_add_u32 v8, s33, 8, v2
	v_lshl_add_u64 v[10:11], v[8:9], 2, s[68:69]
	v_or_b32_e32 v8, 2.0, v34
	s_mov_b64 s[42:43], 0
	s_brev_b32 s50, -4
	s_mov_b32 s51, s33
	v_mov_b32_e32 v61, 0
	global_store_dword v[10:11], v8, off sc1
                                        ; implicit-def: $sgpr38_sgpr39
	s_branch .LBB761_83
.LBB761_81:                             ;   in Loop: Header=BB761_83 Depth=1
	s_or_b64 exec, exec, s[48:49]
.LBB761_82:                             ;   in Loop: Header=BB761_83 Depth=1
	s_or_b64 exec, exec, s[46:47]
	v_and_b32_e32 v12, 0x3fffffff, v8
	v_add_u32_e32 v61, v12, v61
	v_cmp_gt_i32_e64 s[38:39], -2.0, v8
	s_and_b64 s[46:47], exec, s[38:39]
	s_or_b64 s[42:43], s[46:47], s[42:43]
	s_andn2_b64 exec, exec, s[42:43]
	s_cbranch_execz .LBB761_88
.LBB761_83:                             ; =>This Loop Header: Depth=1
                                        ;     Child Loop BB761_86 Depth 2
	s_or_b64 s[38:39], s[38:39], exec
	s_cmp_eq_u32 s51, 0
	s_cbranch_scc1 .LBB761_87
; %bb.84:                               ;   in Loop: Header=BB761_83 Depth=1
	s_add_i32 s51, s51, -1
	v_lshl_or_b32 v8, s51, 8, v2
	v_lshl_add_u64 v[12:13], v[8:9], 2, s[68:69]
	global_load_dword v8, v[12:13], off sc1
	s_waitcnt vmcnt(0)
	v_cmp_gt_u32_e64 s[38:39], 2.0, v8
	s_and_saveexec_b64 s[46:47], s[38:39]
	s_cbranch_execz .LBB761_82
; %bb.85:                               ;   in Loop: Header=BB761_83 Depth=1
	s_mov_b64 s[48:49], 0
.LBB761_86:                             ;   Parent Loop BB761_83 Depth=1
                                        ; =>  This Inner Loop Header: Depth=2
	global_load_dword v8, v[12:13], off sc1
	s_waitcnt vmcnt(0)
	v_cmp_lt_u32_e64 s[38:39], s50, v8
	s_or_b64 s[48:49], s[38:39], s[48:49]
	s_andn2_b64 exec, exec, s[48:49]
	s_cbranch_execnz .LBB761_86
	s_branch .LBB761_81
.LBB761_87:                             ;   in Loop: Header=BB761_83 Depth=1
                                        ; implicit-def: $sgpr51
	s_and_b64 s[46:47], exec, s[38:39]
	s_or_b64 s[42:43], s[46:47], s[42:43]
	s_andn2_b64 exec, exec, s[42:43]
	s_cbranch_execnz .LBB761_83
.LBB761_88:
	s_or_b64 exec, exec, s[42:43]
	v_add_u32_e32 v8, v61, v34
	v_or_b32_e32 v8, 0x80000000, v8
	global_store_dword v[10:11], v8, off sc1
	global_load_dword v8, v37, s[60:61]
	v_sub_u32_e32 v9, v61, v32
	s_waitcnt vmcnt(0)
	v_add_u32_e32 v8, v9, v8
	ds_write_b32 v37, v8
.LBB761_89:
	s_or_b64 exec, exec, s[40:41]
	v_add_u32_e32 v10, v55, v29
	v_add3_u32 v8, v30, v28, v75
	v_add3_u32 v9, v33, v31, v76
	;; [unrolled: 1-line block ×15, first 2 shown]
	v_mov_b32_e32 v88, 0x400
	s_movk_i32 s42, 0x400
	v_lshl_add_u32 v11, v11, 2, v88
	v_add3_u32 v12, v73, v49, v39
	v_lshl_add_u32 v13, v13, 2, v88
	v_add3_u32 v29, v71, v44, v69
	v_lshl_add_u32 v39, v87, 2, v88
	v_add3_u32 v41, v68, v41, v66
	v_lshl_add_u32 v44, v86, 2, v88
	v_add3_u32 v46, v65, v46, v63
	v_lshl_add_u32 v49, v85, 2, v88
	v_add3_u32 v52, v62, v52, v60
	v_lshl_add_u32 v55, v55, 2, v88
	v_add3_u32 v57, v59, v58, v57
	v_lshl_add_u32 v58, v84, 2, v88
	v_add3_u32 v54, v56, v83, v54
	v_lshl_add_u32 v56, v74, 2, v88
	v_add3_u32 v51, v53, v82, v51
	v_lshl_add_u32 v53, v72, 2, v88
	v_add3_u32 v48, v50, v81, v48
	v_lshl_add_u32 v50, v70, 2, v88
	v_add3_u32 v45, v47, v80, v45
	v_lshl_add_u32 v47, v67, 2, v88
	v_add3_u32 v42, v43, v79, v42
	v_lshl_add_u32 v43, v64, 2, v88
	v_add3_u32 v38, v40, v78, v38
	v_lshl_add_u32 v40, v61, 2, v88
	v_add3_u32 v35, v36, v77, v35
	v_lshl_add_u32 v36, v9, 2, v88
	v_add3_u32 v31, v33, v76, v31
	v_lshl_add_u32 v33, v8, 2, v88
	v_add3_u32 v28, v30, v75, v28
	v_lshl_add_u32 v30, v10, 2, v88
	s_mov_b32 s43, 0
	s_mov_b32 s46, 0
	s_movk_i32 s47, 0x1000
	v_mov_b32_e32 v9, 0
	s_movk_i32 s48, 0x800
	s_movk_i32 s49, 0xc00
	v_mov_b32_e32 v59, v2
	s_mov_b32 s50, 0
	s_branch .LBB761_91
.LBB761_90:                             ;   in Loop: Header=BB761_91 Depth=1
	s_or_b64 exec, exec, s[40:41]
	s_addk_i32 s50, 0xc000
	s_add_i32 s43, s43, 16
	s_addk_i32 s46, 0xf000
	s_cmp_eq_u32 s50, 0xffff0000
	v_add_u32_e32 v59, 0x1000, v59
	s_barrier
	s_cbranch_scc1 .LBB761_131
.LBB761_91:                             ; =>This Inner Loop Header: Depth=1
	v_add_u32_e32 v8, s46, v10
	v_cmp_gt_u32_e64 s[38:39], s47, v8
	s_and_saveexec_b64 s[40:41], s[38:39]
; %bb.92:                               ;   in Loop: Header=BB761_91 Depth=1
	v_add_u32_e32 v8, s50, v30
	ds_write_b32 v8, v5
; %bb.93:                               ;   in Loop: Header=BB761_91 Depth=1
	s_or_b64 exec, exec, s[40:41]
	v_add_u32_e32 v8, s46, v28
	v_cmp_gt_u32_e64 s[38:39], s47, v8
	s_and_saveexec_b64 s[40:41], s[38:39]
; %bb.94:                               ;   in Loop: Header=BB761_91 Depth=1
	v_add_u32_e32 v8, s50, v33
	ds_write_b32 v8, v14
; %bb.95:                               ;   in Loop: Header=BB761_91 Depth=1
	s_or_b64 exec, exec, s[40:41]
	;; [unrolled: 8-line block ×4, first 2 shown]
	v_add_u32_e32 v8, s46, v38
	v_cmp_gt_u32_e64 s[38:39], s47, v8
	s_and_saveexec_b64 s[40:41], s[38:39]
; %bb.100:                              ;   in Loop: Header=BB761_91 Depth=1
	v_add_u32_e32 v8, s50, v43
	ds_write_b32 v8, v17
; %bb.101:                              ;   in Loop: Header=BB761_91 Depth=1
	s_or_b64 exec, exec, s[40:41]
	v_add_u32_e32 v8, s46, v42
	v_cmp_gt_u32_e64 s[38:39], s47, v8
	s_and_saveexec_b64 s[40:41], s[38:39]
; %bb.102:                              ;   in Loop: Header=BB761_91 Depth=1
	v_add_u32_e32 v8, s50, v47
	ds_write_b32 v8, v16
; %bb.103:                              ;   in Loop: Header=BB761_91 Depth=1
	s_or_b64 exec, exec, s[40:41]
	;; [unrolled: 8-line block ×12, first 2 shown]
	v_cmp_gt_u32_e64 s[38:39], s3, v59
	s_waitcnt lgkmcnt(0)
	s_barrier
	s_and_saveexec_b64 s[40:41], s[38:39]
	s_cbranch_execz .LBB761_125
; %bb.124:                              ;   in Loop: Header=BB761_91 Depth=1
	ds_read_b32 v62, v37 offset:1024
	s_waitcnt lgkmcnt(0)
	v_lshrrev_b32_e32 v8, s64, v62
	v_and_b32_e32 v63, s71, v8
	v_lshlrev_b32_e32 v8, 2, v63
	ds_read_b32 v8, v8
	s_waitcnt lgkmcnt(0)
	v_add_u32_e32 v8, v59, v8
	v_lshl_add_u64 v[60:61], v[8:9], 2, s[54:55]
	global_store_dword v[60:61], v62, off
	scratch_store_dword off, v63, s43
.LBB761_125:                            ;   in Loop: Header=BB761_91 Depth=1
	s_or_b64 exec, exec, s[40:41]
	v_add_u32_e32 v8, 0x400, v59
	v_cmp_gt_u32_e64 s[38:39], s3, v8
	s_and_saveexec_b64 s[40:41], s[38:39]
	s_cbranch_execz .LBB761_127
; %bb.126:                              ;   in Loop: Header=BB761_91 Depth=1
	ds_read_b32 v62, v37 offset:5120
	s_add_i32 s38, s43, 4
	s_waitcnt lgkmcnt(0)
	v_lshrrev_b32_e32 v8, s64, v62
	v_and_b32_e32 v63, s71, v8
	v_lshlrev_b32_e32 v8, 2, v63
	ds_read_b32 v8, v8
	s_waitcnt lgkmcnt(0)
	v_add3_u32 v8, v59, v8, s42
	v_lshl_add_u64 v[60:61], v[8:9], 2, s[54:55]
	global_store_dword v[60:61], v62, off
	scratch_store_dword off, v63, s38
.LBB761_127:                            ;   in Loop: Header=BB761_91 Depth=1
	s_or_b64 exec, exec, s[40:41]
	v_add_u32_e32 v8, 0x800, v59
	v_cmp_gt_u32_e64 s[38:39], s3, v8
	s_and_saveexec_b64 s[40:41], s[38:39]
	s_cbranch_execz .LBB761_129
; %bb.128:                              ;   in Loop: Header=BB761_91 Depth=1
	ds_read_b32 v62, v37 offset:9216
	s_add_i32 s38, s43, 8
	s_waitcnt lgkmcnt(0)
	v_lshrrev_b32_e32 v8, s64, v62
	v_and_b32_e32 v63, s71, v8
	v_lshlrev_b32_e32 v8, 2, v63
	ds_read_b32 v8, v8
	s_waitcnt lgkmcnt(0)
	v_add3_u32 v8, v59, v8, s48
	v_lshl_add_u64 v[60:61], v[8:9], 2, s[54:55]
	global_store_dword v[60:61], v62, off
	scratch_store_dword off, v63, s38
.LBB761_129:                            ;   in Loop: Header=BB761_91 Depth=1
	s_or_b64 exec, exec, s[40:41]
	v_add_u32_e32 v8, 0xc00, v59
	v_cmp_gt_u32_e64 s[38:39], s3, v8
	s_and_saveexec_b64 s[40:41], s[38:39]
	s_cbranch_execz .LBB761_90
; %bb.130:                              ;   in Loop: Header=BB761_91 Depth=1
	ds_read_b32 v62, v37 offset:13312
	s_add_i32 s38, s43, 12
	s_waitcnt lgkmcnt(0)
	v_lshrrev_b32_e32 v8, s64, v62
	v_and_b32_e32 v63, s71, v8
	v_lshlrev_b32_e32 v8, 2, v63
	ds_read_b32 v8, v8
	s_waitcnt lgkmcnt(0)
	v_add3_u32 v8, v59, v8, s49
	v_lshl_add_u64 v[60:61], v[8:9], 2, s[54:55]
	global_store_dword v[60:61], v62, off
	scratch_store_dword off, v63, s38
	s_branch .LBB761_90
.LBB761_131:
	s_add_u32 s38, s56, s66
	s_addc_u32 s39, s57, s67
	v_mov_b32_e32 v5, 0
	v_lshl_add_u64 v[8:9], s[38:39], 0, v[4:5]
	v_mov_b32_e32 v7, v5
	v_lshl_add_u64 v[4:5], v[8:9], 0, v[6:7]
                                        ; implicit-def: $vgpr6
	s_and_saveexec_b64 s[38:39], vcc
	s_cbranch_execz .LBB761_147
; %bb.132:
	global_load_dword v6, v[4:5], off
	s_or_b64 exec, exec, s[38:39]
                                        ; implicit-def: $vgpr7
	s_and_saveexec_b64 s[38:39], s[4:5]
	s_cbranch_execnz .LBB761_148
.LBB761_133:
	s_or_b64 exec, exec, s[38:39]
                                        ; implicit-def: $vgpr8
	s_and_saveexec_b64 s[4:5], s[6:7]
	s_cbranch_execz .LBB761_149
.LBB761_134:
	global_load_dword v8, v[4:5], off offset:512
	s_or_b64 exec, exec, s[4:5]
                                        ; implicit-def: $vgpr9
	s_and_saveexec_b64 s[4:5], s[8:9]
	s_cbranch_execnz .LBB761_150
.LBB761_135:
	s_or_b64 exec, exec, s[4:5]
                                        ; implicit-def: $vgpr14
	s_and_saveexec_b64 s[4:5], s[10:11]
	s_cbranch_execz .LBB761_151
.LBB761_136:
	global_load_dword v14, v[4:5], off offset:1024
	s_or_b64 exec, exec, s[4:5]
                                        ; implicit-def: $vgpr15
	s_and_saveexec_b64 s[4:5], s[12:13]
	s_cbranch_execnz .LBB761_152
.LBB761_137:
	s_or_b64 exec, exec, s[4:5]
                                        ; implicit-def: $vgpr16
	s_and_saveexec_b64 s[4:5], s[14:15]
	s_cbranch_execz .LBB761_153
.LBB761_138:
	global_load_dword v16, v[4:5], off offset:1536
	s_or_b64 exec, exec, s[4:5]
                                        ; implicit-def: $vgpr17
	s_and_saveexec_b64 s[4:5], s[16:17]
	s_cbranch_execnz .LBB761_154
.LBB761_139:
	s_or_b64 exec, exec, s[4:5]
                                        ; implicit-def: $vgpr18
	s_and_saveexec_b64 s[4:5], s[18:19]
	s_cbranch_execz .LBB761_155
.LBB761_140:
	global_load_dword v18, v[4:5], off offset:2048
	s_or_b64 exec, exec, s[4:5]
                                        ; implicit-def: $vgpr19
	s_and_saveexec_b64 s[4:5], s[20:21]
	s_cbranch_execnz .LBB761_156
.LBB761_141:
	s_or_b64 exec, exec, s[4:5]
                                        ; implicit-def: $vgpr20
	s_and_saveexec_b64 s[4:5], s[22:23]
	s_cbranch_execz .LBB761_157
.LBB761_142:
	global_load_dword v20, v[4:5], off offset:2560
	s_or_b64 exec, exec, s[4:5]
                                        ; implicit-def: $vgpr21
	s_and_saveexec_b64 s[4:5], s[24:25]
	s_cbranch_execnz .LBB761_158
.LBB761_143:
	s_or_b64 exec, exec, s[4:5]
                                        ; implicit-def: $vgpr22
	s_and_saveexec_b64 s[4:5], s[26:27]
	s_cbranch_execz .LBB761_159
.LBB761_144:
	global_load_dword v22, v[4:5], off offset:3072
	s_or_b64 exec, exec, s[4:5]
                                        ; implicit-def: $vgpr23
	s_and_saveexec_b64 s[4:5], s[28:29]
	s_cbranch_execnz .LBB761_160
.LBB761_145:
	s_or_b64 exec, exec, s[4:5]
                                        ; implicit-def: $vgpr24
	s_and_saveexec_b64 s[4:5], s[30:31]
	s_cbranch_execz .LBB761_161
.LBB761_146:
	global_load_dword v24, v[4:5], off offset:3584
	s_or_b64 exec, exec, s[4:5]
                                        ; implicit-def: $vgpr25
	s_and_saveexec_b64 s[4:5], s[34:35]
	s_cbranch_execnz .LBB761_162
	s_branch .LBB761_163
.LBB761_147:
	s_or_b64 exec, exec, s[38:39]
                                        ; implicit-def: $vgpr7
	s_and_saveexec_b64 s[38:39], s[4:5]
	s_cbranch_execz .LBB761_133
.LBB761_148:
	global_load_dword v7, v[4:5], off offset:256
	s_or_b64 exec, exec, s[38:39]
                                        ; implicit-def: $vgpr8
	s_and_saveexec_b64 s[4:5], s[6:7]
	s_cbranch_execnz .LBB761_134
.LBB761_149:
	s_or_b64 exec, exec, s[4:5]
                                        ; implicit-def: $vgpr9
	s_and_saveexec_b64 s[4:5], s[8:9]
	s_cbranch_execz .LBB761_135
.LBB761_150:
	global_load_dword v9, v[4:5], off offset:768
	s_or_b64 exec, exec, s[4:5]
                                        ; implicit-def: $vgpr14
	s_and_saveexec_b64 s[4:5], s[10:11]
	s_cbranch_execnz .LBB761_136
.LBB761_151:
	s_or_b64 exec, exec, s[4:5]
                                        ; implicit-def: $vgpr15
	s_and_saveexec_b64 s[4:5], s[12:13]
	s_cbranch_execz .LBB761_137
.LBB761_152:
	global_load_dword v15, v[4:5], off offset:1280
	s_or_b64 exec, exec, s[4:5]
                                        ; implicit-def: $vgpr16
	s_and_saveexec_b64 s[4:5], s[14:15]
	s_cbranch_execnz .LBB761_138
.LBB761_153:
	s_or_b64 exec, exec, s[4:5]
                                        ; implicit-def: $vgpr17
	s_and_saveexec_b64 s[4:5], s[16:17]
	s_cbranch_execz .LBB761_139
.LBB761_154:
	global_load_dword v17, v[4:5], off offset:1792
	s_or_b64 exec, exec, s[4:5]
                                        ; implicit-def: $vgpr18
	s_and_saveexec_b64 s[4:5], s[18:19]
	s_cbranch_execnz .LBB761_140
.LBB761_155:
	s_or_b64 exec, exec, s[4:5]
                                        ; implicit-def: $vgpr19
	s_and_saveexec_b64 s[4:5], s[20:21]
	s_cbranch_execz .LBB761_141
.LBB761_156:
	global_load_dword v19, v[4:5], off offset:2304
	s_or_b64 exec, exec, s[4:5]
                                        ; implicit-def: $vgpr20
	s_and_saveexec_b64 s[4:5], s[22:23]
	s_cbranch_execnz .LBB761_142
.LBB761_157:
	s_or_b64 exec, exec, s[4:5]
                                        ; implicit-def: $vgpr21
	s_and_saveexec_b64 s[4:5], s[24:25]
	s_cbranch_execz .LBB761_143
.LBB761_158:
	global_load_dword v21, v[4:5], off offset:2816
	s_or_b64 exec, exec, s[4:5]
                                        ; implicit-def: $vgpr22
	s_and_saveexec_b64 s[4:5], s[26:27]
	s_cbranch_execnz .LBB761_144
.LBB761_159:
	s_or_b64 exec, exec, s[4:5]
                                        ; implicit-def: $vgpr23
	s_and_saveexec_b64 s[4:5], s[28:29]
	s_cbranch_execz .LBB761_145
.LBB761_160:
	global_load_dword v23, v[4:5], off offset:3328
	s_or_b64 exec, exec, s[4:5]
                                        ; implicit-def: $vgpr24
	s_and_saveexec_b64 s[4:5], s[30:31]
	s_cbranch_execnz .LBB761_146
.LBB761_161:
	s_or_b64 exec, exec, s[4:5]
                                        ; implicit-def: $vgpr25
	s_and_saveexec_b64 s[4:5], s[34:35]
	s_cbranch_execz .LBB761_163
.LBB761_162:
	global_load_dword v25, v[4:5], off offset:3840
.LBB761_163:
	s_or_b64 exec, exec, s[4:5]
	s_mov_b32 s6, 0
	s_mov_b32 s7, 0
	s_movk_i32 s8, 0x1000
	v_mov_b32_e32 v5, 0
	s_movk_i32 s9, 0x400
	s_movk_i32 s10, 0x800
	;; [unrolled: 1-line block ×3, first 2 shown]
	s_mov_b32 s12, 0
	v_mov_b32_e32 v26, v2
	s_branch .LBB761_165
.LBB761_164:                            ;   in Loop: Header=BB761_165 Depth=1
	s_or_b64 exec, exec, s[4:5]
	s_addk_i32 s12, 0xc000
	s_addk_i32 s7, 0xf000
	s_add_i32 s6, s6, 16
	s_cmp_eq_u32 s12, 0xffff0000
	v_add_u32_e32 v26, 0x1000, v26
	s_barrier
	s_cbranch_scc1 .LBB761_205
.LBB761_165:                            ; =>This Inner Loop Header: Depth=1
	v_add_u32_e32 v4, s7, v10
	v_cmp_gt_u32_e32 vcc, s8, v4
	s_and_saveexec_b64 s[4:5], vcc
	s_cbranch_execz .LBB761_167
; %bb.166:                              ;   in Loop: Header=BB761_165 Depth=1
	v_add_u32_e32 v4, s12, v30
	s_waitcnt vmcnt(0)
	ds_write_b32 v4, v6
.LBB761_167:                            ;   in Loop: Header=BB761_165 Depth=1
	s_or_b64 exec, exec, s[4:5]
	v_add_u32_e32 v4, s7, v28
	v_cmp_gt_u32_e32 vcc, s8, v4
	s_and_saveexec_b64 s[4:5], vcc
	s_cbranch_execz .LBB761_169
; %bb.168:                              ;   in Loop: Header=BB761_165 Depth=1
	v_add_u32_e32 v4, s12, v33
	s_waitcnt vmcnt(0)
	ds_write_b32 v4, v7
.LBB761_169:                            ;   in Loop: Header=BB761_165 Depth=1
	s_or_b64 exec, exec, s[4:5]
	;; [unrolled: 10-line block ×16, first 2 shown]
	v_cmp_gt_u32_e32 vcc, s3, v26
	s_waitcnt lgkmcnt(0)
	s_barrier
	s_and_saveexec_b64 s[4:5], vcc
	s_cbranch_execz .LBB761_199
; %bb.198:                              ;   in Loop: Header=BB761_165 Depth=1
	scratch_load_dword v4, off, s6
	s_waitcnt vmcnt(0)
	v_lshlrev_b32_e32 v4, 2, v4
	ds_read_b32 v4, v4
	ds_read_b32 v27, v37 offset:1024
	s_waitcnt lgkmcnt(1)
	v_add_u32_e32 v4, v26, v4
	v_lshl_add_u64 v[60:61], v[4:5], 2, s[58:59]
	s_waitcnt lgkmcnt(0)
	global_store_dword v[60:61], v27, off
.LBB761_199:                            ;   in Loop: Header=BB761_165 Depth=1
	s_or_b64 exec, exec, s[4:5]
	v_add_u32_e32 v4, 0x400, v26
	v_cmp_gt_u32_e32 vcc, s3, v4
	s_and_saveexec_b64 s[4:5], vcc
	s_cbranch_execz .LBB761_201
; %bb.200:                              ;   in Loop: Header=BB761_165 Depth=1
	s_add_i32 s13, s6, 4
	scratch_load_dword v4, off, s13
	s_waitcnt vmcnt(0)
	v_lshlrev_b32_e32 v4, 2, v4
	ds_read_b32 v4, v4
	ds_read_b32 v27, v37 offset:5120
	s_waitcnt lgkmcnt(1)
	v_add3_u32 v4, v26, v4, s9
	v_lshl_add_u64 v[60:61], v[4:5], 2, s[58:59]
	s_waitcnt lgkmcnt(0)
	global_store_dword v[60:61], v27, off
.LBB761_201:                            ;   in Loop: Header=BB761_165 Depth=1
	s_or_b64 exec, exec, s[4:5]
	v_add_u32_e32 v4, 0x800, v26
	v_cmp_gt_u32_e32 vcc, s3, v4
	s_and_saveexec_b64 s[4:5], vcc
	s_cbranch_execz .LBB761_203
; %bb.202:                              ;   in Loop: Header=BB761_165 Depth=1
	s_add_i32 s13, s6, 8
	scratch_load_dword v4, off, s13
	s_waitcnt vmcnt(0)
	v_lshlrev_b32_e32 v4, 2, v4
	ds_read_b32 v4, v4
	ds_read_b32 v27, v37 offset:9216
	s_waitcnt lgkmcnt(1)
	v_add3_u32 v4, v26, v4, s10
	v_lshl_add_u64 v[60:61], v[4:5], 2, s[58:59]
	s_waitcnt lgkmcnt(0)
	global_store_dword v[60:61], v27, off
.LBB761_203:                            ;   in Loop: Header=BB761_165 Depth=1
	s_or_b64 exec, exec, s[4:5]
	v_add_u32_e32 v4, 0xc00, v26
	v_cmp_gt_u32_e32 vcc, s3, v4
	s_and_saveexec_b64 s[4:5], vcc
	s_cbranch_execz .LBB761_164
; %bb.204:                              ;   in Loop: Header=BB761_165 Depth=1
	s_add_i32 s13, s6, 12
	scratch_load_dword v4, off, s13
	s_waitcnt vmcnt(0)
	v_lshlrev_b32_e32 v4, 2, v4
	ds_read_b32 v4, v4
	ds_read_b32 v27, v37 offset:13312
	s_waitcnt lgkmcnt(1)
	v_add3_u32 v4, v26, v4, s11
	v_lshl_add_u64 v[60:61], v[4:5], 2, s[58:59]
	s_waitcnt lgkmcnt(0)
	global_store_dword v[60:61], v27, off
	s_branch .LBB761_164
.LBB761_205:
	s_add_i32 s70, s70, -1
	s_cmp_eq_u32 s33, s70
	s_cselect_b64 s[4:5], -1, 0
	s_xor_b64 s[6:7], s[36:37], -1
	s_and_b64 s[6:7], s[6:7], s[4:5]
	s_and_saveexec_b64 s[4:5], s[6:7]
	s_cbranch_execz .LBB761_207
; %bb.206:
	ds_read_b32 v4, v37
	s_waitcnt lgkmcnt(0)
	v_add3_u32 v4, v32, v34, v4
	global_store_dword v37, v4, s[62:63]
.LBB761_207:
	s_or_b64 exec, exec, s[4:5]
	s_mov_b64 s[4:5], 0
.LBB761_208:
	s_and_b64 vcc, exec, s[4:5]
	s_cbranch_vccz .LBB761_331
; %bb.209:
	s_lshl_b32 s4, s33, 14
	s_mov_b32 s5, 0
	s_lshl_b64 s[8:9], s[4:5], 2
	v_mbcnt_hi_u32_b32 v10, -1, v3
	s_add_u32 s4, s52, s8
	v_and_b32_e32 v3, 63, v10
	s_waitcnt vmcnt(0)
	v_and_b32_e32 v6, 0x3c00, v1
	v_mov_b32_e32 v1, 0
	s_addc_u32 s5, s53, s9
	v_lshlrev_b32_e32 v4, 2, v3
	v_mov_b32_e32 v5, v1
	v_lshl_add_u64 v[8:9], s[4:5], 0, v[4:5]
	v_lshlrev_b32_e32 v6, 2, v6
	v_mov_b32_e32 v7, v1
	v_lshl_add_u64 v[8:9], v[8:9], 0, v[6:7]
	global_load_dword v3, v[8:9], off
	s_load_dword s3, s[0:1], 0x64
	s_load_dword s12, s[0:1], 0x58
	s_add_u32 s0, s0, 0x58
	s_addc_u32 s1, s1, 0
	v_mul_u32_u24_e32 v11, 20, v2
	s_waitcnt lgkmcnt(0)
	s_lshr_b32 s3, s3, 16
	s_cmp_lt_u32 s2, s12
	s_cselect_b32 s2, 12, 18
	s_add_u32 s0, s0, s2
	s_addc_u32 s1, s1, 0
	global_load_ushort v25, v1, s[0:1]
	ds_write2_b32 v11, v1, v1 offset0:16 offset1:17
	ds_write2_b32 v11, v1, v1 offset0:18 offset1:19
	ds_write_b32 v11, v1 offset:80
	global_load_dword v5, v[8:9], off offset:256
	global_load_dword v7, v[8:9], off offset:512
	;; [unrolled: 1-line block ×15, first 2 shown]
	v_bfe_u32 v27, v0, 10, 10
	v_bfe_u32 v0, v0, 20, 10
	v_mad_u32_u24 v32, v0, s3, v27
	s_lshl_b32 s0, -1, s65
	v_mov_b32_e32 v26, v1
	v_mov_b32_e32 v28, v1
	s_not_b32 s13, s0
	v_mov_b32_e32 v30, v1
	s_movk_i32 s6, 0x44
	s_waitcnt lgkmcnt(0)
	s_barrier
	s_waitcnt vmcnt(16)
	; wave barrier
	v_lshrrev_b32_e32 v0, s64, v3
	v_bitop3_b32 v33, v0, s0, v0 bitop3:0x30
	v_and_b32_e32 v0, 1, v33
	v_lshlrev_b32_e32 v27, 30, v33
	v_lshlrev_b32_e32 v29, 29, v33
	v_lshl_add_u64 v[8:9], v[0:1], 0, -1
	v_cmp_ne_u32_e32 vcc, 0, v0
	v_not_b32_e32 v0, v27
	v_lshlrev_b32_e32 v31, 28, v33
	v_cmp_gt_i64_e64 s[0:1], 0, v[26:27]
	v_cmp_gt_i64_e64 s[2:3], 0, v[28:29]
	v_not_b32_e32 v28, v29
	v_xor_b32_e32 v9, vcc_hi, v9
	v_ashrrev_i32_e32 v0, 31, v0
	v_not_b32_e32 v29, v31
	s_waitcnt vmcnt(15)
	v_mad_u64_u32 v[26:27], s[10:11], v32, v25, v[2:3]
	v_xor_b32_e32 v8, vcc_lo, v8
	v_ashrrev_i32_e32 v25, 31, v28
	v_and_b32_e32 v9, exec_hi, v9
	v_xor_b32_e32 v28, s1, v0
	v_cmp_gt_i64_e64 s[4:5], 0, v[30:31]
	v_ashrrev_i32_e32 v27, 31, v29
	v_and_b32_e32 v8, exec_lo, v8
	v_xor_b32_e32 v0, s0, v0
	v_xor_b32_e32 v29, s3, v25
	v_and_b32_e32 v9, v9, v28
	v_xor_b32_e32 v25, s2, v25
	v_xor_b32_e32 v30, s5, v27
	v_and_b32_e32 v0, v8, v0
	v_and_b32_e32 v8, v9, v29
	;; [unrolled: 1-line block ×4, first 2 shown]
	v_lshlrev_b32_e32 v9, 27, v33
	v_mov_b32_e32 v8, v1
	v_cmp_gt_i64_e32 vcc, 0, v[8:9]
	v_not_b32_e32 v8, v9
	v_xor_b32_e32 v27, s4, v27
	v_ashrrev_i32_e32 v8, 31, v8
	v_and_b32_e32 v0, v0, v27
	v_xor_b32_e32 v9, vcc_hi, v8
	v_xor_b32_e32 v8, vcc_lo, v8
	v_and_b32_e32 v25, v25, v9
	v_and_b32_e32 v0, v0, v8
	v_lshlrev_b32_e32 v9, 26, v33
	v_mov_b32_e32 v8, v1
	v_cmp_gt_i64_e32 vcc, 0, v[8:9]
	v_not_b32_e32 v8, v9
	v_ashrrev_i32_e32 v8, 31, v8
	v_xor_b32_e32 v9, vcc_hi, v8
	v_xor_b32_e32 v8, vcc_lo, v8
	v_and_b32_e32 v25, v25, v9
	v_and_b32_e32 v0, v0, v8
	v_lshlrev_b32_e32 v9, 25, v33
	v_mov_b32_e32 v8, v1
	v_cmp_gt_i64_e32 vcc, 0, v[8:9]
	v_not_b32_e32 v8, v9
	v_ashrrev_i32_e32 v8, 31, v8
	;; [unrolled: 9-line block ×3, first 2 shown]
	v_xor_b32_e32 v9, vcc_hi, v8
	v_xor_b32_e32 v8, vcc_lo, v8
	v_and_b32_e32 v8, v0, v8
	v_lshrrev_b32_e32 v26, 4, v26
	v_and_b32_e32 v9, v25, v9
	v_mbcnt_lo_u32_b32 v0, v8, 0
	v_and_b32_e32 v36, 0xffffffc, v26
	v_mbcnt_hi_u32_b32 v26, v9, v0
	v_mul_lo_u32 v34, v33, s6
	v_cmp_eq_u32_e32 vcc, 0, v26
	v_cmp_ne_u64_e64 s[0:1], 0, v[8:9]
	s_and_b64 s[2:3], s[0:1], vcc
	v_add_u32_e32 v29, v36, v34
	s_and_saveexec_b64 s[0:1], s[2:3]
; %bb.210:
	v_bcnt_u32_b32 v0, v8, 0
	v_bcnt_u32_b32 v0, v9, v0
	ds_write_b32 v29, v0 offset:64
; %bb.211:
	s_or_b64 exec, exec, s[0:1]
	s_waitcnt vmcnt(14)
	v_lshrrev_b32_e32 v0, s64, v5
	v_and_b32_e32 v27, s13, v0
	v_mul_lo_u32 v0, v27, s6
	v_add_u32_e32 v31, v36, v0
	v_and_b32_e32 v0, 1, v27
	v_lshl_add_u64 v[8:9], v[0:1], 0, -1
	v_cmp_ne_u32_e32 vcc, 0, v0
	; wave barrier
	s_nop 1
	v_xor_b32_e32 v8, vcc_lo, v8
	v_xor_b32_e32 v0, vcc_hi, v9
	v_and_b32_e32 v28, exec_lo, v8
	v_lshlrev_b32_e32 v9, 30, v27
	v_mov_b32_e32 v8, v1
	v_cmp_gt_i64_e32 vcc, 0, v[8:9]
	v_not_b32_e32 v8, v9
	v_ashrrev_i32_e32 v8, 31, v8
	v_and_b32_e32 v0, exec_hi, v0
	v_xor_b32_e32 v9, vcc_hi, v8
	v_xor_b32_e32 v8, vcc_lo, v8
	v_and_b32_e32 v0, v0, v9
	v_and_b32_e32 v28, v28, v8
	v_lshlrev_b32_e32 v9, 29, v27
	v_mov_b32_e32 v8, v1
	v_cmp_gt_i64_e32 vcc, 0, v[8:9]
	v_not_b32_e32 v8, v9
	v_ashrrev_i32_e32 v8, 31, v8
	v_xor_b32_e32 v9, vcc_hi, v8
	v_xor_b32_e32 v8, vcc_lo, v8
	v_and_b32_e32 v0, v0, v9
	v_and_b32_e32 v28, v28, v8
	v_lshlrev_b32_e32 v9, 28, v27
	v_mov_b32_e32 v8, v1
	v_cmp_gt_i64_e32 vcc, 0, v[8:9]
	v_not_b32_e32 v8, v9
	v_ashrrev_i32_e32 v8, 31, v8
	;; [unrolled: 9-line block ×5, first 2 shown]
	v_xor_b32_e32 v9, vcc_hi, v8
	v_xor_b32_e32 v8, vcc_lo, v8
	v_and_b32_e32 v0, v0, v9
	v_lshlrev_b32_e32 v9, 24, v27
	v_and_b32_e32 v28, v28, v8
	v_mov_b32_e32 v8, v1
	v_not_b32_e32 v1, v9
	v_cmp_gt_i64_e32 vcc, 0, v[8:9]
	v_ashrrev_i32_e32 v1, 31, v1
	ds_read_b32 v25, v31 offset:64
	v_xor_b32_e32 v8, vcc_hi, v1
	v_xor_b32_e32 v9, vcc_lo, v1
	v_and_b32_e32 v1, v0, v8
	v_and_b32_e32 v0, v28, v9
	v_mbcnt_lo_u32_b32 v8, v0, 0
	v_mbcnt_hi_u32_b32 v27, v1, v8
	v_cmp_eq_u32_e32 vcc, 0, v27
	v_cmp_ne_u64_e64 s[0:1], 0, v[0:1]
	s_and_b64 s[2:3], s[0:1], vcc
	; wave barrier
	s_and_saveexec_b64 s[0:1], s[2:3]
	s_cbranch_execz .LBB761_213
; %bb.212:
	v_bcnt_u32_b32 v0, v0, 0
	v_bcnt_u32_b32 v0, v1, v0
	s_waitcnt lgkmcnt(0)
	v_add_u32_e32 v0, v25, v0
	ds_write_b32 v31, v0 offset:64
.LBB761_213:
	s_or_b64 exec, exec, s[0:1]
	s_waitcnt vmcnt(13)
	v_lshrrev_b32_e32 v0, s64, v7
	v_and_b32_e32 v30, s13, v0
	s_movk_i32 s2, 0x44
	v_mul_lo_u32 v0, v30, s2
	v_add_u32_e32 v34, v36, v0
	v_and_b32_e32 v0, 1, v30
	v_mov_b32_e32 v1, 0
	v_lshl_add_u64 v[8:9], v[0:1], 0, -1
	v_cmp_ne_u32_e32 vcc, 0, v0
	; wave barrier
	s_nop 1
	v_xor_b32_e32 v8, vcc_lo, v8
	v_xor_b32_e32 v0, vcc_hi, v9
	v_and_b32_e32 v32, exec_lo, v8
	v_lshlrev_b32_e32 v9, 30, v30
	v_mov_b32_e32 v8, v1
	v_cmp_gt_i64_e32 vcc, 0, v[8:9]
	v_not_b32_e32 v8, v9
	v_ashrrev_i32_e32 v8, 31, v8
	v_and_b32_e32 v0, exec_hi, v0
	v_xor_b32_e32 v9, vcc_hi, v8
	v_xor_b32_e32 v8, vcc_lo, v8
	v_and_b32_e32 v0, v0, v9
	v_and_b32_e32 v32, v32, v8
	v_lshlrev_b32_e32 v9, 29, v30
	v_mov_b32_e32 v8, v1
	v_cmp_gt_i64_e32 vcc, 0, v[8:9]
	v_not_b32_e32 v8, v9
	v_ashrrev_i32_e32 v8, 31, v8
	v_xor_b32_e32 v9, vcc_hi, v8
	v_xor_b32_e32 v8, vcc_lo, v8
	v_and_b32_e32 v0, v0, v9
	v_and_b32_e32 v32, v32, v8
	v_lshlrev_b32_e32 v9, 28, v30
	v_mov_b32_e32 v8, v1
	v_cmp_gt_i64_e32 vcc, 0, v[8:9]
	v_not_b32_e32 v8, v9
	v_ashrrev_i32_e32 v8, 31, v8
	;; [unrolled: 9-line block ×6, first 2 shown]
	v_xor_b32_e32 v9, vcc_hi, v8
	v_xor_b32_e32 v8, vcc_lo, v8
	ds_read_b32 v28, v34 offset:64
	v_and_b32_e32 v8, v32, v8
	v_and_b32_e32 v9, v0, v9
	v_mbcnt_lo_u32_b32 v0, v8, 0
	v_mbcnt_hi_u32_b32 v30, v9, v0
	v_cmp_eq_u32_e32 vcc, 0, v30
	v_cmp_ne_u64_e64 s[0:1], 0, v[8:9]
	s_and_b64 s[4:5], s[0:1], vcc
	; wave barrier
	s_and_saveexec_b64 s[0:1], s[4:5]
	s_cbranch_execz .LBB761_215
; %bb.214:
	v_bcnt_u32_b32 v0, v8, 0
	v_bcnt_u32_b32 v0, v9, v0
	s_waitcnt lgkmcnt(0)
	v_add_u32_e32 v0, v28, v0
	ds_write_b32 v34, v0 offset:64
.LBB761_215:
	s_or_b64 exec, exec, s[0:1]
	s_waitcnt vmcnt(12)
	v_lshrrev_b32_e32 v0, s64, v12
	v_and_b32_e32 v33, s13, v0
	v_mul_lo_u32 v0, v33, s2
	v_add_u32_e32 v38, v36, v0
	v_and_b32_e32 v0, 1, v33
	v_lshl_add_u64 v[8:9], v[0:1], 0, -1
	v_cmp_ne_u32_e32 vcc, 0, v0
	; wave barrier
	s_nop 1
	v_xor_b32_e32 v8, vcc_lo, v8
	v_xor_b32_e32 v0, vcc_hi, v9
	v_and_b32_e32 v35, exec_lo, v8
	v_lshlrev_b32_e32 v9, 30, v33
	v_mov_b32_e32 v8, v1
	v_cmp_gt_i64_e32 vcc, 0, v[8:9]
	v_not_b32_e32 v8, v9
	v_ashrrev_i32_e32 v8, 31, v8
	v_and_b32_e32 v0, exec_hi, v0
	v_xor_b32_e32 v9, vcc_hi, v8
	v_xor_b32_e32 v8, vcc_lo, v8
	v_and_b32_e32 v0, v0, v9
	v_and_b32_e32 v35, v35, v8
	v_lshlrev_b32_e32 v9, 29, v33
	v_mov_b32_e32 v8, v1
	v_cmp_gt_i64_e32 vcc, 0, v[8:9]
	v_not_b32_e32 v8, v9
	v_ashrrev_i32_e32 v8, 31, v8
	v_xor_b32_e32 v9, vcc_hi, v8
	v_xor_b32_e32 v8, vcc_lo, v8
	v_and_b32_e32 v0, v0, v9
	v_and_b32_e32 v35, v35, v8
	v_lshlrev_b32_e32 v9, 28, v33
	v_mov_b32_e32 v8, v1
	v_cmp_gt_i64_e32 vcc, 0, v[8:9]
	v_not_b32_e32 v8, v9
	v_ashrrev_i32_e32 v8, 31, v8
	;; [unrolled: 9-line block ×5, first 2 shown]
	v_xor_b32_e32 v9, vcc_hi, v8
	v_xor_b32_e32 v8, vcc_lo, v8
	v_and_b32_e32 v0, v0, v9
	v_lshlrev_b32_e32 v9, 24, v33
	v_and_b32_e32 v35, v35, v8
	v_mov_b32_e32 v8, v1
	v_not_b32_e32 v1, v9
	v_cmp_gt_i64_e32 vcc, 0, v[8:9]
	v_ashrrev_i32_e32 v1, 31, v1
	ds_read_b32 v32, v38 offset:64
	v_xor_b32_e32 v8, vcc_hi, v1
	v_xor_b32_e32 v9, vcc_lo, v1
	v_and_b32_e32 v1, v0, v8
	v_and_b32_e32 v0, v35, v9
	v_mbcnt_lo_u32_b32 v8, v0, 0
	v_mbcnt_hi_u32_b32 v33, v1, v8
	v_cmp_eq_u32_e32 vcc, 0, v33
	v_cmp_ne_u64_e64 s[0:1], 0, v[0:1]
	s_and_b64 s[2:3], s[0:1], vcc
	; wave barrier
	s_and_saveexec_b64 s[0:1], s[2:3]
	s_cbranch_execz .LBB761_217
; %bb.216:
	v_bcnt_u32_b32 v0, v0, 0
	v_bcnt_u32_b32 v0, v1, v0
	s_waitcnt lgkmcnt(0)
	v_add_u32_e32 v0, v32, v0
	ds_write_b32 v38, v0 offset:64
.LBB761_217:
	s_or_b64 exec, exec, s[0:1]
	s_waitcnt vmcnt(11)
	v_lshrrev_b32_e32 v0, s64, v13
	v_and_b32_e32 v37, s13, v0
	s_movk_i32 s2, 0x44
	v_mul_lo_u32 v0, v37, s2
	v_add_u32_e32 v41, v36, v0
	v_and_b32_e32 v0, 1, v37
	v_mov_b32_e32 v1, 0
	v_lshl_add_u64 v[8:9], v[0:1], 0, -1
	v_cmp_ne_u32_e32 vcc, 0, v0
	; wave barrier
	s_nop 1
	v_xor_b32_e32 v8, vcc_lo, v8
	v_xor_b32_e32 v0, vcc_hi, v9
	v_and_b32_e32 v39, exec_lo, v8
	v_lshlrev_b32_e32 v9, 30, v37
	v_mov_b32_e32 v8, v1
	v_cmp_gt_i64_e32 vcc, 0, v[8:9]
	v_not_b32_e32 v8, v9
	v_ashrrev_i32_e32 v8, 31, v8
	v_and_b32_e32 v0, exec_hi, v0
	v_xor_b32_e32 v9, vcc_hi, v8
	v_xor_b32_e32 v8, vcc_lo, v8
	v_and_b32_e32 v0, v0, v9
	v_and_b32_e32 v39, v39, v8
	v_lshlrev_b32_e32 v9, 29, v37
	v_mov_b32_e32 v8, v1
	v_cmp_gt_i64_e32 vcc, 0, v[8:9]
	v_not_b32_e32 v8, v9
	v_ashrrev_i32_e32 v8, 31, v8
	v_xor_b32_e32 v9, vcc_hi, v8
	v_xor_b32_e32 v8, vcc_lo, v8
	v_and_b32_e32 v0, v0, v9
	v_and_b32_e32 v39, v39, v8
	v_lshlrev_b32_e32 v9, 28, v37
	v_mov_b32_e32 v8, v1
	v_cmp_gt_i64_e32 vcc, 0, v[8:9]
	v_not_b32_e32 v8, v9
	v_ashrrev_i32_e32 v8, 31, v8
	v_xor_b32_e32 v9, vcc_hi, v8
	v_xor_b32_e32 v8, vcc_lo, v8
	v_and_b32_e32 v0, v0, v9
	v_and_b32_e32 v39, v39, v8
	v_lshlrev_b32_e32 v9, 27, v37
	v_mov_b32_e32 v8, v1
	v_cmp_gt_i64_e32 vcc, 0, v[8:9]
	v_not_b32_e32 v8, v9
	v_ashrrev_i32_e32 v8, 31, v8
	v_xor_b32_e32 v9, vcc_hi, v8
	v_xor_b32_e32 v8, vcc_lo, v8
	v_and_b32_e32 v0, v0, v9
	v_and_b32_e32 v39, v39, v8
	v_lshlrev_b32_e32 v9, 26, v37
	v_mov_b32_e32 v8, v1
	v_cmp_gt_i64_e32 vcc, 0, v[8:9]
	v_not_b32_e32 v8, v9
	v_ashrrev_i32_e32 v8, 31, v8
	v_xor_b32_e32 v9, vcc_hi, v8
	v_xor_b32_e32 v8, vcc_lo, v8
	v_and_b32_e32 v0, v0, v9
	v_and_b32_e32 v39, v39, v8
	v_lshlrev_b32_e32 v9, 25, v37
	v_mov_b32_e32 v8, v1
	v_cmp_gt_i64_e32 vcc, 0, v[8:9]
	v_not_b32_e32 v8, v9
	v_ashrrev_i32_e32 v8, 31, v8
	v_xor_b32_e32 v9, vcc_hi, v8
	v_xor_b32_e32 v8, vcc_lo, v8
	v_and_b32_e32 v0, v0, v9
	v_and_b32_e32 v39, v39, v8
	v_lshlrev_b32_e32 v9, 24, v37
	v_mov_b32_e32 v8, v1
	v_cmp_gt_i64_e32 vcc, 0, v[8:9]
	v_not_b32_e32 v8, v9
	v_ashrrev_i32_e32 v8, 31, v8
	v_xor_b32_e32 v9, vcc_hi, v8
	v_xor_b32_e32 v8, vcc_lo, v8
	ds_read_b32 v35, v41 offset:64
	v_and_b32_e32 v8, v39, v8
	v_and_b32_e32 v9, v0, v9
	v_mbcnt_lo_u32_b32 v0, v8, 0
	v_mbcnt_hi_u32_b32 v37, v9, v0
	v_cmp_eq_u32_e32 vcc, 0, v37
	v_cmp_ne_u64_e64 s[0:1], 0, v[8:9]
	s_and_b64 s[4:5], s[0:1], vcc
	; wave barrier
	s_and_saveexec_b64 s[0:1], s[4:5]
	s_cbranch_execz .LBB761_219
; %bb.218:
	v_bcnt_u32_b32 v0, v8, 0
	v_bcnt_u32_b32 v0, v9, v0
	s_waitcnt lgkmcnt(0)
	v_add_u32_e32 v0, v35, v0
	ds_write_b32 v41, v0 offset:64
.LBB761_219:
	s_or_b64 exec, exec, s[0:1]
	s_waitcnt vmcnt(10)
	v_lshrrev_b32_e32 v0, s64, v14
	v_and_b32_e32 v40, s13, v0
	v_mul_lo_u32 v0, v40, s2
	v_add_u32_e32 v44, v36, v0
	v_and_b32_e32 v0, 1, v40
	v_lshl_add_u64 v[8:9], v[0:1], 0, -1
	v_cmp_ne_u32_e32 vcc, 0, v0
	; wave barrier
	s_nop 1
	v_xor_b32_e32 v8, vcc_lo, v8
	v_xor_b32_e32 v0, vcc_hi, v9
	v_and_b32_e32 v42, exec_lo, v8
	v_lshlrev_b32_e32 v9, 30, v40
	v_mov_b32_e32 v8, v1
	v_cmp_gt_i64_e32 vcc, 0, v[8:9]
	v_not_b32_e32 v8, v9
	v_ashrrev_i32_e32 v8, 31, v8
	v_and_b32_e32 v0, exec_hi, v0
	v_xor_b32_e32 v9, vcc_hi, v8
	v_xor_b32_e32 v8, vcc_lo, v8
	v_and_b32_e32 v0, v0, v9
	v_and_b32_e32 v42, v42, v8
	v_lshlrev_b32_e32 v9, 29, v40
	v_mov_b32_e32 v8, v1
	v_cmp_gt_i64_e32 vcc, 0, v[8:9]
	v_not_b32_e32 v8, v9
	v_ashrrev_i32_e32 v8, 31, v8
	v_xor_b32_e32 v9, vcc_hi, v8
	v_xor_b32_e32 v8, vcc_lo, v8
	v_and_b32_e32 v0, v0, v9
	v_and_b32_e32 v42, v42, v8
	v_lshlrev_b32_e32 v9, 28, v40
	v_mov_b32_e32 v8, v1
	v_cmp_gt_i64_e32 vcc, 0, v[8:9]
	v_not_b32_e32 v8, v9
	v_ashrrev_i32_e32 v8, 31, v8
	;; [unrolled: 9-line block ×5, first 2 shown]
	v_xor_b32_e32 v9, vcc_hi, v8
	v_xor_b32_e32 v8, vcc_lo, v8
	v_and_b32_e32 v0, v0, v9
	v_lshlrev_b32_e32 v9, 24, v40
	v_and_b32_e32 v42, v42, v8
	v_mov_b32_e32 v8, v1
	v_not_b32_e32 v1, v9
	v_cmp_gt_i64_e32 vcc, 0, v[8:9]
	v_ashrrev_i32_e32 v1, 31, v1
	ds_read_b32 v39, v44 offset:64
	v_xor_b32_e32 v8, vcc_hi, v1
	v_xor_b32_e32 v9, vcc_lo, v1
	v_and_b32_e32 v1, v0, v8
	v_and_b32_e32 v0, v42, v9
	v_mbcnt_lo_u32_b32 v8, v0, 0
	v_mbcnt_hi_u32_b32 v40, v1, v8
	v_cmp_eq_u32_e32 vcc, 0, v40
	v_cmp_ne_u64_e64 s[0:1], 0, v[0:1]
	s_and_b64 s[2:3], s[0:1], vcc
	; wave barrier
	s_and_saveexec_b64 s[0:1], s[2:3]
	s_cbranch_execz .LBB761_221
; %bb.220:
	v_bcnt_u32_b32 v0, v0, 0
	v_bcnt_u32_b32 v0, v1, v0
	s_waitcnt lgkmcnt(0)
	v_add_u32_e32 v0, v39, v0
	ds_write_b32 v44, v0 offset:64
.LBB761_221:
	s_or_b64 exec, exec, s[0:1]
	s_waitcnt vmcnt(9)
	v_lshrrev_b32_e32 v0, s64, v15
	v_and_b32_e32 v43, s13, v0
	s_movk_i32 s2, 0x44
	v_mul_lo_u32 v0, v43, s2
	v_add_u32_e32 v47, v36, v0
	v_and_b32_e32 v0, 1, v43
	v_mov_b32_e32 v1, 0
	v_lshl_add_u64 v[8:9], v[0:1], 0, -1
	v_cmp_ne_u32_e32 vcc, 0, v0
	; wave barrier
	s_nop 1
	v_xor_b32_e32 v8, vcc_lo, v8
	v_xor_b32_e32 v0, vcc_hi, v9
	v_and_b32_e32 v45, exec_lo, v8
	v_lshlrev_b32_e32 v9, 30, v43
	v_mov_b32_e32 v8, v1
	v_cmp_gt_i64_e32 vcc, 0, v[8:9]
	v_not_b32_e32 v8, v9
	v_ashrrev_i32_e32 v8, 31, v8
	v_and_b32_e32 v0, exec_hi, v0
	v_xor_b32_e32 v9, vcc_hi, v8
	v_xor_b32_e32 v8, vcc_lo, v8
	v_and_b32_e32 v0, v0, v9
	v_and_b32_e32 v45, v45, v8
	v_lshlrev_b32_e32 v9, 29, v43
	v_mov_b32_e32 v8, v1
	v_cmp_gt_i64_e32 vcc, 0, v[8:9]
	v_not_b32_e32 v8, v9
	v_ashrrev_i32_e32 v8, 31, v8
	v_xor_b32_e32 v9, vcc_hi, v8
	v_xor_b32_e32 v8, vcc_lo, v8
	v_and_b32_e32 v0, v0, v9
	v_and_b32_e32 v45, v45, v8
	v_lshlrev_b32_e32 v9, 28, v43
	v_mov_b32_e32 v8, v1
	v_cmp_gt_i64_e32 vcc, 0, v[8:9]
	v_not_b32_e32 v8, v9
	v_ashrrev_i32_e32 v8, 31, v8
	;; [unrolled: 9-line block ×6, first 2 shown]
	v_xor_b32_e32 v9, vcc_hi, v8
	v_xor_b32_e32 v8, vcc_lo, v8
	ds_read_b32 v42, v47 offset:64
	v_and_b32_e32 v8, v45, v8
	v_and_b32_e32 v9, v0, v9
	v_mbcnt_lo_u32_b32 v0, v8, 0
	v_mbcnt_hi_u32_b32 v43, v9, v0
	v_cmp_eq_u32_e32 vcc, 0, v43
	v_cmp_ne_u64_e64 s[0:1], 0, v[8:9]
	s_and_b64 s[4:5], s[0:1], vcc
	; wave barrier
	s_and_saveexec_b64 s[0:1], s[4:5]
	s_cbranch_execz .LBB761_223
; %bb.222:
	v_bcnt_u32_b32 v0, v8, 0
	v_bcnt_u32_b32 v0, v9, v0
	s_waitcnt lgkmcnt(0)
	v_add_u32_e32 v0, v42, v0
	ds_write_b32 v47, v0 offset:64
.LBB761_223:
	s_or_b64 exec, exec, s[0:1]
	s_waitcnt vmcnt(8)
	v_lshrrev_b32_e32 v0, s64, v16
	v_and_b32_e32 v46, s13, v0
	v_mul_lo_u32 v0, v46, s2
	v_add_u32_e32 v49, v36, v0
	v_and_b32_e32 v0, 1, v46
	v_lshl_add_u64 v[8:9], v[0:1], 0, -1
	v_cmp_ne_u32_e32 vcc, 0, v0
	; wave barrier
	s_nop 1
	v_xor_b32_e32 v8, vcc_lo, v8
	v_xor_b32_e32 v0, vcc_hi, v9
	v_and_b32_e32 v48, exec_lo, v8
	v_lshlrev_b32_e32 v9, 30, v46
	v_mov_b32_e32 v8, v1
	v_cmp_gt_i64_e32 vcc, 0, v[8:9]
	v_not_b32_e32 v8, v9
	v_ashrrev_i32_e32 v8, 31, v8
	v_and_b32_e32 v0, exec_hi, v0
	v_xor_b32_e32 v9, vcc_hi, v8
	v_xor_b32_e32 v8, vcc_lo, v8
	v_and_b32_e32 v0, v0, v9
	v_and_b32_e32 v48, v48, v8
	v_lshlrev_b32_e32 v9, 29, v46
	v_mov_b32_e32 v8, v1
	v_cmp_gt_i64_e32 vcc, 0, v[8:9]
	v_not_b32_e32 v8, v9
	v_ashrrev_i32_e32 v8, 31, v8
	v_xor_b32_e32 v9, vcc_hi, v8
	v_xor_b32_e32 v8, vcc_lo, v8
	v_and_b32_e32 v0, v0, v9
	v_and_b32_e32 v48, v48, v8
	v_lshlrev_b32_e32 v9, 28, v46
	v_mov_b32_e32 v8, v1
	v_cmp_gt_i64_e32 vcc, 0, v[8:9]
	v_not_b32_e32 v8, v9
	v_ashrrev_i32_e32 v8, 31, v8
	;; [unrolled: 9-line block ×5, first 2 shown]
	v_xor_b32_e32 v9, vcc_hi, v8
	v_xor_b32_e32 v8, vcc_lo, v8
	v_and_b32_e32 v0, v0, v9
	v_lshlrev_b32_e32 v9, 24, v46
	v_and_b32_e32 v48, v48, v8
	v_mov_b32_e32 v8, v1
	v_not_b32_e32 v1, v9
	v_cmp_gt_i64_e32 vcc, 0, v[8:9]
	v_ashrrev_i32_e32 v1, 31, v1
	ds_read_b32 v45, v49 offset:64
	v_xor_b32_e32 v8, vcc_hi, v1
	v_xor_b32_e32 v9, vcc_lo, v1
	v_and_b32_e32 v1, v0, v8
	v_and_b32_e32 v0, v48, v9
	v_mbcnt_lo_u32_b32 v8, v0, 0
	v_mbcnt_hi_u32_b32 v46, v1, v8
	v_cmp_eq_u32_e32 vcc, 0, v46
	v_cmp_ne_u64_e64 s[0:1], 0, v[0:1]
	s_and_b64 s[2:3], s[0:1], vcc
	; wave barrier
	s_and_saveexec_b64 s[0:1], s[2:3]
	s_cbranch_execz .LBB761_225
; %bb.224:
	v_bcnt_u32_b32 v0, v0, 0
	v_bcnt_u32_b32 v0, v1, v0
	s_waitcnt lgkmcnt(0)
	v_add_u32_e32 v0, v45, v0
	ds_write_b32 v49, v0 offset:64
.LBB761_225:
	s_or_b64 exec, exec, s[0:1]
	s_waitcnt vmcnt(7)
	v_lshrrev_b32_e32 v0, s64, v17
	v_and_b32_e32 v50, s13, v0
	s_movk_i32 s2, 0x44
	v_mul_lo_u32 v0, v50, s2
	v_add_u32_e32 v52, v36, v0
	v_and_b32_e32 v0, 1, v50
	v_mov_b32_e32 v1, 0
	v_lshl_add_u64 v[8:9], v[0:1], 0, -1
	v_cmp_ne_u32_e32 vcc, 0, v0
	; wave barrier
	s_nop 1
	v_xor_b32_e32 v8, vcc_lo, v8
	v_xor_b32_e32 v0, vcc_hi, v9
	v_and_b32_e32 v51, exec_lo, v8
	v_lshlrev_b32_e32 v9, 30, v50
	v_mov_b32_e32 v8, v1
	v_cmp_gt_i64_e32 vcc, 0, v[8:9]
	v_not_b32_e32 v8, v9
	v_ashrrev_i32_e32 v8, 31, v8
	v_and_b32_e32 v0, exec_hi, v0
	v_xor_b32_e32 v9, vcc_hi, v8
	v_xor_b32_e32 v8, vcc_lo, v8
	v_and_b32_e32 v0, v0, v9
	v_and_b32_e32 v51, v51, v8
	v_lshlrev_b32_e32 v9, 29, v50
	v_mov_b32_e32 v8, v1
	v_cmp_gt_i64_e32 vcc, 0, v[8:9]
	v_not_b32_e32 v8, v9
	v_ashrrev_i32_e32 v8, 31, v8
	v_xor_b32_e32 v9, vcc_hi, v8
	v_xor_b32_e32 v8, vcc_lo, v8
	v_and_b32_e32 v0, v0, v9
	v_and_b32_e32 v51, v51, v8
	v_lshlrev_b32_e32 v9, 28, v50
	v_mov_b32_e32 v8, v1
	v_cmp_gt_i64_e32 vcc, 0, v[8:9]
	v_not_b32_e32 v8, v9
	v_ashrrev_i32_e32 v8, 31, v8
	;; [unrolled: 9-line block ×6, first 2 shown]
	v_xor_b32_e32 v9, vcc_hi, v8
	v_xor_b32_e32 v8, vcc_lo, v8
	ds_read_b32 v48, v52 offset:64
	v_and_b32_e32 v8, v51, v8
	v_and_b32_e32 v9, v0, v9
	v_mbcnt_lo_u32_b32 v0, v8, 0
	v_mbcnt_hi_u32_b32 v50, v9, v0
	v_cmp_eq_u32_e32 vcc, 0, v50
	v_cmp_ne_u64_e64 s[0:1], 0, v[8:9]
	s_and_b64 s[4:5], s[0:1], vcc
	; wave barrier
	s_and_saveexec_b64 s[0:1], s[4:5]
	s_cbranch_execz .LBB761_227
; %bb.226:
	v_bcnt_u32_b32 v0, v8, 0
	v_bcnt_u32_b32 v0, v9, v0
	s_waitcnt lgkmcnt(0)
	v_add_u32_e32 v0, v48, v0
	ds_write_b32 v52, v0 offset:64
.LBB761_227:
	s_or_b64 exec, exec, s[0:1]
	s_waitcnt vmcnt(6)
	v_lshrrev_b32_e32 v0, s64, v18
	v_and_b32_e32 v53, s13, v0
	v_mul_lo_u32 v0, v53, s2
	v_add_u32_e32 v55, v36, v0
	v_and_b32_e32 v0, 1, v53
	v_lshl_add_u64 v[8:9], v[0:1], 0, -1
	v_cmp_ne_u32_e32 vcc, 0, v0
	; wave barrier
	s_nop 1
	v_xor_b32_e32 v8, vcc_lo, v8
	v_xor_b32_e32 v0, vcc_hi, v9
	v_and_b32_e32 v54, exec_lo, v8
	v_lshlrev_b32_e32 v9, 30, v53
	v_mov_b32_e32 v8, v1
	v_cmp_gt_i64_e32 vcc, 0, v[8:9]
	v_not_b32_e32 v8, v9
	v_ashrrev_i32_e32 v8, 31, v8
	v_and_b32_e32 v0, exec_hi, v0
	v_xor_b32_e32 v9, vcc_hi, v8
	v_xor_b32_e32 v8, vcc_lo, v8
	v_and_b32_e32 v0, v0, v9
	v_and_b32_e32 v54, v54, v8
	v_lshlrev_b32_e32 v9, 29, v53
	v_mov_b32_e32 v8, v1
	v_cmp_gt_i64_e32 vcc, 0, v[8:9]
	v_not_b32_e32 v8, v9
	v_ashrrev_i32_e32 v8, 31, v8
	v_xor_b32_e32 v9, vcc_hi, v8
	v_xor_b32_e32 v8, vcc_lo, v8
	v_and_b32_e32 v0, v0, v9
	v_and_b32_e32 v54, v54, v8
	v_lshlrev_b32_e32 v9, 28, v53
	v_mov_b32_e32 v8, v1
	v_cmp_gt_i64_e32 vcc, 0, v[8:9]
	v_not_b32_e32 v8, v9
	v_ashrrev_i32_e32 v8, 31, v8
	;; [unrolled: 9-line block ×5, first 2 shown]
	v_xor_b32_e32 v9, vcc_hi, v8
	v_xor_b32_e32 v8, vcc_lo, v8
	v_and_b32_e32 v0, v0, v9
	v_lshlrev_b32_e32 v9, 24, v53
	v_and_b32_e32 v54, v54, v8
	v_mov_b32_e32 v8, v1
	v_not_b32_e32 v1, v9
	v_cmp_gt_i64_e32 vcc, 0, v[8:9]
	v_ashrrev_i32_e32 v1, 31, v1
	ds_read_b32 v51, v55 offset:64
	v_xor_b32_e32 v8, vcc_hi, v1
	v_xor_b32_e32 v9, vcc_lo, v1
	v_and_b32_e32 v1, v0, v8
	v_and_b32_e32 v0, v54, v9
	v_mbcnt_lo_u32_b32 v8, v0, 0
	v_mbcnt_hi_u32_b32 v53, v1, v8
	v_cmp_eq_u32_e32 vcc, 0, v53
	v_cmp_ne_u64_e64 s[0:1], 0, v[0:1]
	s_and_b64 s[2:3], s[0:1], vcc
	; wave barrier
	s_and_saveexec_b64 s[0:1], s[2:3]
	s_cbranch_execz .LBB761_229
; %bb.228:
	v_bcnt_u32_b32 v0, v0, 0
	v_bcnt_u32_b32 v0, v1, v0
	s_waitcnt lgkmcnt(0)
	v_add_u32_e32 v0, v51, v0
	ds_write_b32 v55, v0 offset:64
.LBB761_229:
	s_or_b64 exec, exec, s[0:1]
	s_waitcnt vmcnt(5)
	v_lshrrev_b32_e32 v0, s64, v19
	v_and_b32_e32 v56, s13, v0
	s_movk_i32 s2, 0x44
	v_mul_lo_u32 v0, v56, s2
	v_add_u32_e32 v58, v36, v0
	v_and_b32_e32 v0, 1, v56
	v_mov_b32_e32 v1, 0
	v_lshl_add_u64 v[8:9], v[0:1], 0, -1
	v_cmp_ne_u32_e32 vcc, 0, v0
	; wave barrier
	s_nop 1
	v_xor_b32_e32 v8, vcc_lo, v8
	v_xor_b32_e32 v0, vcc_hi, v9
	v_and_b32_e32 v57, exec_lo, v8
	v_lshlrev_b32_e32 v9, 30, v56
	v_mov_b32_e32 v8, v1
	v_cmp_gt_i64_e32 vcc, 0, v[8:9]
	v_not_b32_e32 v8, v9
	v_ashrrev_i32_e32 v8, 31, v8
	v_and_b32_e32 v0, exec_hi, v0
	v_xor_b32_e32 v9, vcc_hi, v8
	v_xor_b32_e32 v8, vcc_lo, v8
	v_and_b32_e32 v0, v0, v9
	v_and_b32_e32 v57, v57, v8
	v_lshlrev_b32_e32 v9, 29, v56
	v_mov_b32_e32 v8, v1
	v_cmp_gt_i64_e32 vcc, 0, v[8:9]
	v_not_b32_e32 v8, v9
	v_ashrrev_i32_e32 v8, 31, v8
	v_xor_b32_e32 v9, vcc_hi, v8
	v_xor_b32_e32 v8, vcc_lo, v8
	v_and_b32_e32 v0, v0, v9
	v_and_b32_e32 v57, v57, v8
	v_lshlrev_b32_e32 v9, 28, v56
	v_mov_b32_e32 v8, v1
	v_cmp_gt_i64_e32 vcc, 0, v[8:9]
	v_not_b32_e32 v8, v9
	v_ashrrev_i32_e32 v8, 31, v8
	;; [unrolled: 9-line block ×6, first 2 shown]
	v_xor_b32_e32 v9, vcc_hi, v8
	v_xor_b32_e32 v8, vcc_lo, v8
	ds_read_b32 v54, v58 offset:64
	v_and_b32_e32 v8, v57, v8
	v_and_b32_e32 v9, v0, v9
	v_mbcnt_lo_u32_b32 v0, v8, 0
	v_mbcnt_hi_u32_b32 v56, v9, v0
	v_cmp_eq_u32_e32 vcc, 0, v56
	v_cmp_ne_u64_e64 s[0:1], 0, v[8:9]
	s_and_b64 s[4:5], s[0:1], vcc
	; wave barrier
	s_and_saveexec_b64 s[0:1], s[4:5]
	s_cbranch_execz .LBB761_231
; %bb.230:
	v_bcnt_u32_b32 v0, v8, 0
	v_bcnt_u32_b32 v0, v9, v0
	s_waitcnt lgkmcnt(0)
	v_add_u32_e32 v0, v54, v0
	ds_write_b32 v58, v0 offset:64
.LBB761_231:
	s_or_b64 exec, exec, s[0:1]
	s_waitcnt vmcnt(4)
	v_lshrrev_b32_e32 v0, s64, v20
	v_and_b32_e32 v59, s13, v0
	v_mul_lo_u32 v0, v59, s2
	v_add_u32_e32 v61, v36, v0
	v_and_b32_e32 v0, 1, v59
	v_lshl_add_u64 v[8:9], v[0:1], 0, -1
	v_cmp_ne_u32_e32 vcc, 0, v0
	; wave barrier
	s_nop 1
	v_xor_b32_e32 v8, vcc_lo, v8
	v_xor_b32_e32 v0, vcc_hi, v9
	v_and_b32_e32 v60, exec_lo, v8
	v_lshlrev_b32_e32 v9, 30, v59
	v_mov_b32_e32 v8, v1
	v_cmp_gt_i64_e32 vcc, 0, v[8:9]
	v_not_b32_e32 v8, v9
	v_ashrrev_i32_e32 v8, 31, v8
	v_and_b32_e32 v0, exec_hi, v0
	v_xor_b32_e32 v9, vcc_hi, v8
	v_xor_b32_e32 v8, vcc_lo, v8
	v_and_b32_e32 v0, v0, v9
	v_and_b32_e32 v60, v60, v8
	v_lshlrev_b32_e32 v9, 29, v59
	v_mov_b32_e32 v8, v1
	v_cmp_gt_i64_e32 vcc, 0, v[8:9]
	v_not_b32_e32 v8, v9
	v_ashrrev_i32_e32 v8, 31, v8
	v_xor_b32_e32 v9, vcc_hi, v8
	v_xor_b32_e32 v8, vcc_lo, v8
	v_and_b32_e32 v0, v0, v9
	v_and_b32_e32 v60, v60, v8
	v_lshlrev_b32_e32 v9, 28, v59
	v_mov_b32_e32 v8, v1
	v_cmp_gt_i64_e32 vcc, 0, v[8:9]
	v_not_b32_e32 v8, v9
	v_ashrrev_i32_e32 v8, 31, v8
	;; [unrolled: 9-line block ×5, first 2 shown]
	v_xor_b32_e32 v9, vcc_hi, v8
	v_xor_b32_e32 v8, vcc_lo, v8
	v_and_b32_e32 v0, v0, v9
	v_lshlrev_b32_e32 v9, 24, v59
	v_and_b32_e32 v60, v60, v8
	v_mov_b32_e32 v8, v1
	v_not_b32_e32 v1, v9
	v_cmp_gt_i64_e32 vcc, 0, v[8:9]
	v_ashrrev_i32_e32 v1, 31, v1
	ds_read_b32 v57, v61 offset:64
	v_xor_b32_e32 v8, vcc_hi, v1
	v_xor_b32_e32 v9, vcc_lo, v1
	v_and_b32_e32 v1, v0, v8
	v_and_b32_e32 v0, v60, v9
	v_mbcnt_lo_u32_b32 v8, v0, 0
	v_mbcnt_hi_u32_b32 v59, v1, v8
	v_cmp_eq_u32_e32 vcc, 0, v59
	v_cmp_ne_u64_e64 s[0:1], 0, v[0:1]
	s_and_b64 s[2:3], s[0:1], vcc
	; wave barrier
	s_and_saveexec_b64 s[0:1], s[2:3]
	s_cbranch_execz .LBB761_233
; %bb.232:
	v_bcnt_u32_b32 v0, v0, 0
	v_bcnt_u32_b32 v0, v1, v0
	s_waitcnt lgkmcnt(0)
	v_add_u32_e32 v0, v57, v0
	ds_write_b32 v61, v0 offset:64
.LBB761_233:
	s_or_b64 exec, exec, s[0:1]
	s_waitcnt vmcnt(3)
	v_lshrrev_b32_e32 v0, s64, v21
	v_and_b32_e32 v62, s13, v0
	s_movk_i32 s2, 0x44
	v_mul_lo_u32 v0, v62, s2
	v_add_u32_e32 v64, v36, v0
	v_and_b32_e32 v0, 1, v62
	v_mov_b32_e32 v1, 0
	v_lshl_add_u64 v[8:9], v[0:1], 0, -1
	v_cmp_ne_u32_e32 vcc, 0, v0
	; wave barrier
	s_nop 1
	v_xor_b32_e32 v8, vcc_lo, v8
	v_xor_b32_e32 v0, vcc_hi, v9
	v_and_b32_e32 v63, exec_lo, v8
	v_lshlrev_b32_e32 v9, 30, v62
	v_mov_b32_e32 v8, v1
	v_cmp_gt_i64_e32 vcc, 0, v[8:9]
	v_not_b32_e32 v8, v9
	v_ashrrev_i32_e32 v8, 31, v8
	v_and_b32_e32 v0, exec_hi, v0
	v_xor_b32_e32 v9, vcc_hi, v8
	v_xor_b32_e32 v8, vcc_lo, v8
	v_and_b32_e32 v0, v0, v9
	v_and_b32_e32 v63, v63, v8
	v_lshlrev_b32_e32 v9, 29, v62
	v_mov_b32_e32 v8, v1
	v_cmp_gt_i64_e32 vcc, 0, v[8:9]
	v_not_b32_e32 v8, v9
	v_ashrrev_i32_e32 v8, 31, v8
	v_xor_b32_e32 v9, vcc_hi, v8
	v_xor_b32_e32 v8, vcc_lo, v8
	v_and_b32_e32 v0, v0, v9
	v_and_b32_e32 v63, v63, v8
	v_lshlrev_b32_e32 v9, 28, v62
	v_mov_b32_e32 v8, v1
	v_cmp_gt_i64_e32 vcc, 0, v[8:9]
	v_not_b32_e32 v8, v9
	v_ashrrev_i32_e32 v8, 31, v8
	;; [unrolled: 9-line block ×6, first 2 shown]
	v_xor_b32_e32 v9, vcc_hi, v8
	v_xor_b32_e32 v8, vcc_lo, v8
	ds_read_b32 v60, v64 offset:64
	v_and_b32_e32 v8, v63, v8
	v_and_b32_e32 v9, v0, v9
	v_mbcnt_lo_u32_b32 v0, v8, 0
	v_mbcnt_hi_u32_b32 v62, v9, v0
	v_cmp_eq_u32_e32 vcc, 0, v62
	v_cmp_ne_u64_e64 s[0:1], 0, v[8:9]
	s_and_b64 s[4:5], s[0:1], vcc
	; wave barrier
	s_and_saveexec_b64 s[0:1], s[4:5]
	s_cbranch_execz .LBB761_235
; %bb.234:
	v_bcnt_u32_b32 v0, v8, 0
	v_bcnt_u32_b32 v0, v9, v0
	s_waitcnt lgkmcnt(0)
	v_add_u32_e32 v0, v60, v0
	ds_write_b32 v64, v0 offset:64
.LBB761_235:
	s_or_b64 exec, exec, s[0:1]
	s_waitcnt vmcnt(2)
	v_lshrrev_b32_e32 v0, s64, v22
	v_and_b32_e32 v65, s13, v0
	v_mul_lo_u32 v0, v65, s2
	v_add_u32_e32 v67, v36, v0
	v_and_b32_e32 v0, 1, v65
	v_lshl_add_u64 v[8:9], v[0:1], 0, -1
	v_cmp_ne_u32_e32 vcc, 0, v0
	; wave barrier
	s_nop 1
	v_xor_b32_e32 v8, vcc_lo, v8
	v_xor_b32_e32 v0, vcc_hi, v9
	v_and_b32_e32 v66, exec_lo, v8
	v_lshlrev_b32_e32 v9, 30, v65
	v_mov_b32_e32 v8, v1
	v_cmp_gt_i64_e32 vcc, 0, v[8:9]
	v_not_b32_e32 v8, v9
	v_ashrrev_i32_e32 v8, 31, v8
	v_and_b32_e32 v0, exec_hi, v0
	v_xor_b32_e32 v9, vcc_hi, v8
	v_xor_b32_e32 v8, vcc_lo, v8
	v_and_b32_e32 v0, v0, v9
	v_and_b32_e32 v66, v66, v8
	v_lshlrev_b32_e32 v9, 29, v65
	v_mov_b32_e32 v8, v1
	v_cmp_gt_i64_e32 vcc, 0, v[8:9]
	v_not_b32_e32 v8, v9
	v_ashrrev_i32_e32 v8, 31, v8
	v_xor_b32_e32 v9, vcc_hi, v8
	v_xor_b32_e32 v8, vcc_lo, v8
	v_and_b32_e32 v0, v0, v9
	v_and_b32_e32 v66, v66, v8
	v_lshlrev_b32_e32 v9, 28, v65
	v_mov_b32_e32 v8, v1
	v_cmp_gt_i64_e32 vcc, 0, v[8:9]
	v_not_b32_e32 v8, v9
	v_ashrrev_i32_e32 v8, 31, v8
	;; [unrolled: 9-line block ×5, first 2 shown]
	v_xor_b32_e32 v9, vcc_hi, v8
	v_xor_b32_e32 v8, vcc_lo, v8
	v_and_b32_e32 v0, v0, v9
	v_lshlrev_b32_e32 v9, 24, v65
	v_and_b32_e32 v66, v66, v8
	v_mov_b32_e32 v8, v1
	v_not_b32_e32 v1, v9
	v_cmp_gt_i64_e32 vcc, 0, v[8:9]
	v_ashrrev_i32_e32 v1, 31, v1
	ds_read_b32 v63, v67 offset:64
	v_xor_b32_e32 v8, vcc_hi, v1
	v_xor_b32_e32 v9, vcc_lo, v1
	v_and_b32_e32 v1, v0, v8
	v_and_b32_e32 v0, v66, v9
	v_mbcnt_lo_u32_b32 v8, v0, 0
	v_mbcnt_hi_u32_b32 v65, v1, v8
	v_cmp_eq_u32_e32 vcc, 0, v65
	v_cmp_ne_u64_e64 s[0:1], 0, v[0:1]
	s_and_b64 s[2:3], s[0:1], vcc
	; wave barrier
	s_and_saveexec_b64 s[0:1], s[2:3]
	s_cbranch_execz .LBB761_237
; %bb.236:
	v_bcnt_u32_b32 v0, v0, 0
	v_bcnt_u32_b32 v0, v1, v0
	s_waitcnt lgkmcnt(0)
	v_add_u32_e32 v0, v63, v0
	ds_write_b32 v67, v0 offset:64
.LBB761_237:
	s_or_b64 exec, exec, s[0:1]
	s_waitcnt vmcnt(1)
	v_lshrrev_b32_e32 v0, s64, v23
	v_and_b32_e32 v68, s13, v0
	s_movk_i32 s2, 0x44
	v_mul_lo_u32 v0, v68, s2
	v_add_u32_e32 v70, v36, v0
	v_and_b32_e32 v0, 1, v68
	v_mov_b32_e32 v1, 0
	v_lshl_add_u64 v[8:9], v[0:1], 0, -1
	v_cmp_ne_u32_e32 vcc, 0, v0
	; wave barrier
	s_nop 1
	v_xor_b32_e32 v8, vcc_lo, v8
	v_xor_b32_e32 v0, vcc_hi, v9
	v_and_b32_e32 v69, exec_lo, v8
	v_lshlrev_b32_e32 v9, 30, v68
	v_mov_b32_e32 v8, v1
	v_cmp_gt_i64_e32 vcc, 0, v[8:9]
	v_not_b32_e32 v8, v9
	v_ashrrev_i32_e32 v8, 31, v8
	v_and_b32_e32 v0, exec_hi, v0
	v_xor_b32_e32 v9, vcc_hi, v8
	v_xor_b32_e32 v8, vcc_lo, v8
	v_and_b32_e32 v0, v0, v9
	v_and_b32_e32 v69, v69, v8
	v_lshlrev_b32_e32 v9, 29, v68
	v_mov_b32_e32 v8, v1
	v_cmp_gt_i64_e32 vcc, 0, v[8:9]
	v_not_b32_e32 v8, v9
	v_ashrrev_i32_e32 v8, 31, v8
	v_xor_b32_e32 v9, vcc_hi, v8
	v_xor_b32_e32 v8, vcc_lo, v8
	v_and_b32_e32 v0, v0, v9
	v_and_b32_e32 v69, v69, v8
	v_lshlrev_b32_e32 v9, 28, v68
	v_mov_b32_e32 v8, v1
	v_cmp_gt_i64_e32 vcc, 0, v[8:9]
	v_not_b32_e32 v8, v9
	v_ashrrev_i32_e32 v8, 31, v8
	;; [unrolled: 9-line block ×6, first 2 shown]
	v_xor_b32_e32 v9, vcc_hi, v8
	v_xor_b32_e32 v8, vcc_lo, v8
	ds_read_b32 v66, v70 offset:64
	v_and_b32_e32 v8, v69, v8
	v_and_b32_e32 v9, v0, v9
	v_mbcnt_lo_u32_b32 v0, v8, 0
	v_mbcnt_hi_u32_b32 v68, v9, v0
	v_cmp_eq_u32_e32 vcc, 0, v68
	v_cmp_ne_u64_e64 s[0:1], 0, v[8:9]
	s_and_b64 s[4:5], s[0:1], vcc
	; wave barrier
	s_and_saveexec_b64 s[0:1], s[4:5]
	s_cbranch_execz .LBB761_239
; %bb.238:
	v_bcnt_u32_b32 v0, v8, 0
	v_bcnt_u32_b32 v0, v9, v0
	s_waitcnt lgkmcnt(0)
	v_add_u32_e32 v0, v66, v0
	ds_write_b32 v70, v0 offset:64
.LBB761_239:
	s_or_b64 exec, exec, s[0:1]
	s_waitcnt vmcnt(0)
	v_lshrrev_b32_e32 v0, s64, v24
	v_and_b32_e32 v71, s13, v0
	v_mul_lo_u32 v0, v71, s2
	v_add_u32_e32 v72, v36, v0
	v_and_b32_e32 v0, 1, v71
	v_lshl_add_u64 v[8:9], v[0:1], 0, -1
	v_cmp_ne_u32_e32 vcc, 0, v0
	; wave barrier
	s_nop 1
	v_xor_b32_e32 v8, vcc_lo, v8
	v_xor_b32_e32 v0, vcc_hi, v9
	v_and_b32_e32 v36, exec_lo, v8
	v_lshlrev_b32_e32 v9, 30, v71
	v_mov_b32_e32 v8, v1
	v_cmp_gt_i64_e32 vcc, 0, v[8:9]
	v_not_b32_e32 v8, v9
	v_ashrrev_i32_e32 v8, 31, v8
	v_and_b32_e32 v0, exec_hi, v0
	v_xor_b32_e32 v9, vcc_hi, v8
	v_xor_b32_e32 v8, vcc_lo, v8
	v_and_b32_e32 v0, v0, v9
	v_and_b32_e32 v36, v36, v8
	v_lshlrev_b32_e32 v9, 29, v71
	v_mov_b32_e32 v8, v1
	v_cmp_gt_i64_e32 vcc, 0, v[8:9]
	v_not_b32_e32 v8, v9
	v_ashrrev_i32_e32 v8, 31, v8
	v_xor_b32_e32 v9, vcc_hi, v8
	v_xor_b32_e32 v8, vcc_lo, v8
	v_and_b32_e32 v0, v0, v9
	v_and_b32_e32 v36, v36, v8
	v_lshlrev_b32_e32 v9, 28, v71
	v_mov_b32_e32 v8, v1
	v_cmp_gt_i64_e32 vcc, 0, v[8:9]
	v_not_b32_e32 v8, v9
	v_ashrrev_i32_e32 v8, 31, v8
	;; [unrolled: 9-line block ×5, first 2 shown]
	v_xor_b32_e32 v9, vcc_hi, v8
	v_xor_b32_e32 v8, vcc_lo, v8
	v_and_b32_e32 v0, v0, v9
	v_lshlrev_b32_e32 v9, 24, v71
	v_and_b32_e32 v36, v36, v8
	v_mov_b32_e32 v8, v1
	v_not_b32_e32 v1, v9
	v_cmp_gt_i64_e32 vcc, 0, v[8:9]
	v_ashrrev_i32_e32 v1, 31, v1
	ds_read_b32 v69, v72 offset:64
	v_xor_b32_e32 v8, vcc_hi, v1
	v_xor_b32_e32 v9, vcc_lo, v1
	v_and_b32_e32 v1, v0, v8
	v_and_b32_e32 v0, v36, v9
	v_mbcnt_lo_u32_b32 v8, v0, 0
	v_mbcnt_hi_u32_b32 v71, v1, v8
	v_cmp_eq_u32_e32 vcc, 0, v71
	v_cmp_ne_u64_e64 s[0:1], 0, v[0:1]
	s_and_b64 s[2:3], s[0:1], vcc
	; wave barrier
	s_and_saveexec_b64 s[0:1], s[2:3]
	s_cbranch_execz .LBB761_241
; %bb.240:
	v_bcnt_u32_b32 v0, v0, 0
	v_bcnt_u32_b32 v0, v1, v0
	s_waitcnt lgkmcnt(0)
	v_add_u32_e32 v0, v69, v0
	ds_write_b32 v72, v0 offset:64
.LBB761_241:
	s_or_b64 exec, exec, s[0:1]
	; wave barrier
	s_waitcnt lgkmcnt(0)
	s_barrier
	ds_read2_b32 v[8:9], v11 offset0:16 offset1:17
	ds_read2_b32 v[0:1], v11 offset0:18 offset1:19
	ds_read_b32 v36, v11 offset:80
	v_cmp_lt_u32_e64 s[2:3], 31, v10
	s_waitcnt lgkmcnt(1)
	v_add3_u32 v73, v9, v8, v0
	s_waitcnt lgkmcnt(0)
	v_add3_u32 v36, v73, v1, v36
	v_and_b32_e32 v73, 15, v10
	v_cmp_eq_u32_e32 vcc, 0, v73
	v_mov_b32_dpp v74, v36 row_shr:1 row_mask:0xf bank_mask:0xf
	v_cmp_lt_u32_e64 s[0:1], 1, v73
	v_cndmask_b32_e64 v74, v74, 0, vcc
	v_add_u32_e32 v36, v74, v36
	v_cmp_lt_u32_e64 s[4:5], 3, v73
	v_cmp_lt_u32_e64 s[6:7], 7, v73
	v_mov_b32_dpp v74, v36 row_shr:2 row_mask:0xf bank_mask:0xf
	v_cndmask_b32_e64 v74, 0, v74, s[0:1]
	v_add_u32_e32 v36, v36, v74
	s_nop 1
	v_mov_b32_dpp v74, v36 row_shr:4 row_mask:0xf bank_mask:0xf
	v_cndmask_b32_e64 v74, 0, v74, s[4:5]
	v_add_u32_e32 v36, v36, v74
	s_nop 1
	v_mov_b32_dpp v74, v36 row_shr:8 row_mask:0xf bank_mask:0xf
	v_cndmask_b32_e64 v73, 0, v74, s[6:7]
	v_add_u32_e32 v36, v36, v73
	v_bfe_i32 v74, v10, 4, 1
	s_nop 0
	v_mov_b32_dpp v73, v36 row_bcast:15 row_mask:0xf bank_mask:0xf
	v_and_b32_e32 v73, v74, v73
	v_add_u32_e32 v36, v36, v73
	v_lshrrev_b32_e32 v74, 6, v2
	s_nop 0
	v_mov_b32_dpp v73, v36 row_bcast:31 row_mask:0xf bank_mask:0xf
	v_cndmask_b32_e64 v73, 0, v73, s[2:3]
	v_add_u32_e32 v73, v36, v73
	v_and_b32_e32 v36, 63, v2
	v_cmp_eq_u32_e64 s[2:3], 63, v36
	s_and_saveexec_b64 s[10:11], s[2:3]
; %bb.242:
	v_lshlrev_b32_e32 v36, 2, v74
	ds_write_b32 v36, v73
; %bb.243:
	s_or_b64 exec, exec, s[10:11]
	v_cmp_gt_u32_e64 s[2:3], 16, v2
	v_lshlrev_b32_e32 v36, 2, v2
	s_waitcnt lgkmcnt(0)
	s_barrier
	s_and_saveexec_b64 s[10:11], s[2:3]
	s_cbranch_execz .LBB761_245
; %bb.244:
	ds_read_b32 v75, v36
	s_waitcnt lgkmcnt(0)
	s_nop 0
	v_mov_b32_dpp v76, v75 row_shr:1 row_mask:0xf bank_mask:0xf
	v_cndmask_b32_e64 v76, v76, 0, vcc
	v_add_u32_e32 v75, v76, v75
	s_nop 1
	v_mov_b32_dpp v76, v75 row_shr:2 row_mask:0xf bank_mask:0xf
	v_cndmask_b32_e64 v76, 0, v76, s[0:1]
	v_add_u32_e32 v75, v75, v76
	s_nop 1
	v_mov_b32_dpp v76, v75 row_shr:4 row_mask:0xf bank_mask:0xf
	v_cndmask_b32_e64 v76, 0, v76, s[4:5]
	;; [unrolled: 4-line block ×3, first 2 shown]
	v_add_u32_e32 v75, v75, v76
	ds_write_b32 v36, v75
.LBB761_245:
	s_or_b64 exec, exec, s[10:11]
	v_cmp_lt_u32_e32 vcc, 63, v2
	v_mov_b32_e32 v75, 0
	s_waitcnt lgkmcnt(0)
	s_barrier
	s_and_saveexec_b64 s[0:1], vcc
; %bb.246:
	v_lshl_add_u32 v74, v74, 2, -4
	ds_read_b32 v75, v74
; %bb.247:
	s_or_b64 exec, exec, s[0:1]
	v_subrev_co_u32_e32 v74, vcc, 1, v10
	v_and_b32_e32 v76, 64, v10
	v_cmp_lt_i32_e64 s[0:1], v74, v76
	s_waitcnt lgkmcnt(0)
	v_add_u32_e32 v73, v75, v73
	s_movk_i32 s2, 0x100
	v_cndmask_b32_e64 v10, v74, v10, s[0:1]
	v_lshlrev_b32_e32 v10, 2, v10
	ds_bpermute_b32 v10, v10, v73
	s_movk_i32 s0, 0xff
	s_waitcnt lgkmcnt(0)
	v_cndmask_b32_e32 v10, v10, v75, vcc
	v_cndmask_b32_e64 v10, v10, 0, s[44:45]
	v_add_u32_e32 v8, v10, v8
	v_add_u32_e32 v9, v8, v9
	;; [unrolled: 1-line block ×4, first 2 shown]
	ds_write2_b32 v11, v10, v8 offset0:16 offset1:17
	ds_write2_b32 v11, v9, v0 offset0:18 offset1:19
	ds_write_b32 v11, v1 offset:80
	s_waitcnt lgkmcnt(0)
	s_barrier
	ds_read_b32 v73, v31 offset:64
	ds_read_b32 v74, v34 offset:64
	;; [unrolled: 1-line block ×16, first 2 shown]
	v_cmp_lt_u32_e32 vcc, s0, v2
	v_cmp_gt_u32_e64 s[0:1], s2, v2
                                        ; implicit-def: $vgpr29
                                        ; implicit-def: $vgpr31
	s_and_saveexec_b64 s[4:5], s[0:1]
	s_cbranch_execz .LBB761_251
; %bb.248:
	v_mul_u32_u24_e32 v0, 0x44, v2
	ds_read_b32 v29, v0 offset:64
	v_add_u32_e32 v1, 1, v2
	v_cmp_ne_u32_e64 s[2:3], s2, v1
	v_mov_b32_e32 v0, 0x4000
	s_and_saveexec_b64 s[6:7], s[2:3]
; %bb.249:
	v_mul_u32_u24_e32 v0, 0x44, v1
	ds_read_b32 v0, v0 offset:64
; %bb.250:
	s_or_b64 exec, exec, s[6:7]
	s_waitcnt lgkmcnt(0)
	v_sub_u32_e32 v31, v0, v29
.LBB761_251:
	s_or_b64 exec, exec, s[4:5]
	v_mov_b32_e32 v1, 0
	s_waitcnt lgkmcnt(0)
	s_barrier
	s_and_saveexec_b64 s[2:3], s[0:1]
	s_cbranch_execz .LBB761_261
; %bb.252:
	v_lshl_add_u32 v0, s33, 8, v2
	v_lshl_add_u64 v[8:9], v[0:1], 2, s[68:69]
	v_or_b32_e32 v0, 2.0, v31
	s_mov_b64 s[4:5], 0
	s_brev_b32 s14, -4
	s_mov_b32 s15, s33
	v_mov_b32_e32 v52, 0
	global_store_dword v[8:9], v0, off sc1
                                        ; implicit-def: $sgpr0_sgpr1
	s_branch .LBB761_255
.LBB761_253:                            ;   in Loop: Header=BB761_255 Depth=1
	s_or_b64 exec, exec, s[10:11]
.LBB761_254:                            ;   in Loop: Header=BB761_255 Depth=1
	s_or_b64 exec, exec, s[6:7]
	v_and_b32_e32 v10, 0x3fffffff, v0
	v_add_u32_e32 v52, v10, v52
	v_cmp_gt_i32_e64 s[0:1], -2.0, v0
	s_and_b64 s[6:7], exec, s[0:1]
	s_or_b64 s[4:5], s[6:7], s[4:5]
	s_andn2_b64 exec, exec, s[4:5]
	s_cbranch_execz .LBB761_260
.LBB761_255:                            ; =>This Loop Header: Depth=1
                                        ;     Child Loop BB761_258 Depth 2
	s_or_b64 s[0:1], s[0:1], exec
	s_cmp_eq_u32 s15, 0
	s_cbranch_scc1 .LBB761_259
; %bb.256:                              ;   in Loop: Header=BB761_255 Depth=1
	s_add_i32 s15, s15, -1
	v_lshl_or_b32 v0, s15, 8, v2
	v_lshl_add_u64 v[10:11], v[0:1], 2, s[68:69]
	global_load_dword v0, v[10:11], off sc1
	s_waitcnt vmcnt(0)
	v_cmp_gt_u32_e64 s[0:1], 2.0, v0
	s_and_saveexec_b64 s[6:7], s[0:1]
	s_cbranch_execz .LBB761_254
; %bb.257:                              ;   in Loop: Header=BB761_255 Depth=1
	s_mov_b64 s[10:11], 0
.LBB761_258:                            ;   Parent Loop BB761_255 Depth=1
                                        ; =>  This Inner Loop Header: Depth=2
	global_load_dword v0, v[10:11], off sc1
	s_waitcnt vmcnt(0)
	v_cmp_lt_u32_e64 s[0:1], s14, v0
	s_or_b64 s[10:11], s[0:1], s[10:11]
	s_andn2_b64 exec, exec, s[10:11]
	s_cbranch_execnz .LBB761_258
	s_branch .LBB761_253
.LBB761_259:                            ;   in Loop: Header=BB761_255 Depth=1
                                        ; implicit-def: $sgpr15
	s_and_b64 s[6:7], exec, s[0:1]
	s_or_b64 s[4:5], s[6:7], s[4:5]
	s_andn2_b64 exec, exec, s[4:5]
	s_cbranch_execnz .LBB761_255
.LBB761_260:
	s_or_b64 exec, exec, s[4:5]
	v_add_u32_e32 v0, v52, v31
	v_or_b32_e32 v0, 0x80000000, v0
	global_store_dword v[8:9], v0, off sc1
	global_load_dword v0, v36, s[60:61]
	v_sub_u32_e32 v1, v52, v29
	s_waitcnt vmcnt(0)
	v_add_u32_e32 v0, v1, v0
	ds_write_b32 v36, v0
.LBB761_261:
	s_or_b64 exec, exec, s[2:3]
	v_add_u32_e32 v8, v47, v26
	v_add3_u32 v0, v27, v25, v73
	v_add3_u32 v1, v30, v28, v74
	;; [unrolled: 1-line block ×15, first 2 shown]
	v_mov_b32_e32 v85, 0x400
	s_mov_b32 s4, s64
	s_mov_b32 s5, s13
	s_movk_i32 s6, 0x400
	v_lshl_add_u32 v9, v9, 2, v85
	v_add3_u32 v10, v71, v41, v69
	v_lshl_add_u32 v11, v11, 2, v85
	v_add3_u32 v26, v68, v34, v66
	;; [unrolled: 2-line block ×15, first 2 shown]
	v_lshl_add_u32 v27, v8, 2, v85
	s_mov_b32 s7, 0
	s_mov_b32 s10, 0
	s_movk_i32 s11, 0x1000
	v_mov_b32_e32 v1, 0
	s_movk_i32 s14, 0x800
	s_movk_i32 s15, 0xc00
	v_mov_b32_e32 v56, v2
	s_mov_b32 s16, 0
	s_branch .LBB761_263
.LBB761_262:                            ;   in Loop: Header=BB761_263 Depth=1
	s_or_b64 exec, exec, s[2:3]
	s_waitcnt lgkmcnt(0)
	s_barrier
	ds_read2st64_b32 v[62:63], v36 offset0:4 offset1:20
	ds_read2st64_b32 v[64:65], v36 offset0:36 offset1:52
	s_addk_i32 s16, 0xc000
	s_addk_i32 s10, 0xf000
	s_waitcnt lgkmcnt(1)
	v_lshrrev_b32_e32 v57, s64, v62
	v_lshrrev_b32_e32 v0, s4, v63
	v_and_b32_e32 v58, s13, v57
	v_and_b32_e32 v59, s5, v0
	v_lshlrev_b32_e32 v0, 2, v58
	ds_read_b32 v0, v0
	s_waitcnt lgkmcnt(1)
	v_lshrrev_b32_e32 v60, s4, v65
	v_lshrrev_b32_e32 v66, s64, v64
	v_lshlrev_b32_e32 v57, 2, v59
	v_and_b32_e32 v61, s5, v60
	v_and_b32_e32 v60, s13, v66
	v_lshlrev_b32_e32 v66, 2, v60
	v_lshlrev_b32_e32 v67, 2, v61
	ds_read_b32 v57, v57
	ds_read_b32 v68, v66
	;; [unrolled: 1-line block ×3, first 2 shown]
	s_waitcnt lgkmcnt(3)
	v_add_u32_e32 v0, v56, v0
	v_lshl_add_u64 v[66:67], v[0:1], 2, s[54:55]
	s_waitcnt lgkmcnt(2)
	v_add3_u32 v0, v56, v57, s6
	global_store_dword v[66:67], v62, off
	v_lshl_add_u64 v[66:67], v[0:1], 2, s[54:55]
	s_waitcnt lgkmcnt(1)
	v_add3_u32 v0, v56, v68, s14
	global_store_dword v[66:67], v63, off
	;; [unrolled: 4-line block ×3, first 2 shown]
	v_lshl_add_u64 v[62:63], v[0:1], 2, s[54:55]
	global_store_dword v[62:63], v65, off
	scratch_store_dwordx4 off, v[58:61], s7
	s_add_i32 s7, s7, 16
	s_cmp_eq_u32 s16, 0xffff0000
	v_add_u32_e32 v56, 0x1000, v56
	s_barrier
	s_cbranch_scc1 .LBB761_295
.LBB761_263:                            ; =>This Inner Loop Header: Depth=1
	v_add_u32_e32 v0, s10, v8
	v_cmp_gt_u32_e64 s[0:1], s11, v0
	s_and_saveexec_b64 s[2:3], s[0:1]
; %bb.264:                              ;   in Loop: Header=BB761_263 Depth=1
	v_add_u32_e32 v0, s16, v27
	ds_write_b32 v0, v3
; %bb.265:                              ;   in Loop: Header=BB761_263 Depth=1
	s_or_b64 exec, exec, s[2:3]
	v_add_u32_e32 v0, s10, v25
	v_cmp_gt_u32_e64 s[0:1], s11, v0
	s_and_saveexec_b64 s[2:3], s[0:1]
; %bb.266:                              ;   in Loop: Header=BB761_263 Depth=1
	v_add_u32_e32 v0, s16, v30
	ds_write_b32 v0, v5
; %bb.267:                              ;   in Loop: Header=BB761_263 Depth=1
	s_or_b64 exec, exec, s[2:3]
	;; [unrolled: 8-line block ×15, first 2 shown]
	v_add_u32_e32 v0, s10, v10
	v_cmp_gt_u32_e64 s[0:1], s11, v0
	s_and_saveexec_b64 s[2:3], s[0:1]
	s_cbranch_execz .LBB761_262
; %bb.294:                              ;   in Loop: Header=BB761_263 Depth=1
	v_add_u32_e32 v0, s16, v9
	ds_write_b32 v0, v24
	s_branch .LBB761_262
.LBB761_295:
	s_add_u32 s0, s56, s8
	s_addc_u32 s1, s57, s9
	v_mov_b32_e32 v5, 0
	v_lshl_add_u64 v[0:1], s[0:1], 0, v[4:5]
	v_mov_b32_e32 v7, v5
	v_lshl_add_u64 v[22:23], v[0:1], 0, v[6:7]
	global_load_dword v0, v[22:23], off
	global_load_dword v1, v[22:23], off offset:256
	global_load_dword v3, v[22:23], off offset:512
	global_load_dword v6, v[22:23], off offset:768
	global_load_dword v7, v[22:23], off offset:1024
	global_load_dword v12, v[22:23], off offset:1280
	global_load_dword v13, v[22:23], off offset:1536
	global_load_dword v14, v[22:23], off offset:1792
	global_load_dword v15, v[22:23], off offset:2048
	global_load_dword v16, v[22:23], off offset:2304
	global_load_dword v17, v[22:23], off offset:2560
	global_load_dword v18, v[22:23], off offset:2816
	global_load_dword v19, v[22:23], off offset:3072
	global_load_dword v20, v[22:23], off offset:3328
	global_load_dword v21, v[22:23], off offset:3584
	s_nop 0
	global_load_dword v22, v[22:23], off offset:3840
	s_mov_b32 s4, 0
	s_mov_b32 s5, 0
	s_movk_i32 s6, 0x1000
	s_movk_i32 s7, 0x400
	;; [unrolled: 1-line block ×4, first 2 shown]
	s_mov_b32 s10, 0
	s_branch .LBB761_297
.LBB761_296:                            ;   in Loop: Header=BB761_297 Depth=1
	s_or_b64 exec, exec, s[2:3]
	s_waitcnt lgkmcnt(0)
	s_barrier
	scratch_load_dwordx4 v[56:59], off, s4
	ds_read2st64_b32 v[60:61], v36 offset0:4 offset1:20
	ds_read2st64_b32 v[62:63], v36 offset0:36 offset1:52
	s_addk_i32 s10, 0xc000
	s_addk_i32 s5, 0xf000
	s_add_i32 s4, s4, 16
	s_cmp_eq_u32 s10, 0xffff0000
	s_waitcnt vmcnt(0)
	v_lshlrev_b32_e32 v4, 2, v56
	ds_read_b32 v4, v4
	v_lshlrev_b32_e32 v23, 2, v57
	v_lshlrev_b32_e32 v24, 2, v58
	;; [unrolled: 1-line block ×3, first 2 shown]
	ds_read_b32 v23, v23
	ds_read_b32 v24, v24
	;; [unrolled: 1-line block ×3, first 2 shown]
	s_waitcnt lgkmcnt(3)
	v_add_u32_e32 v4, v2, v4
	v_lshl_add_u64 v[56:57], v[4:5], 2, s[58:59]
	s_waitcnt lgkmcnt(2)
	v_add3_u32 v4, v2, v23, s7
	global_store_dword v[56:57], v60, off
	v_lshl_add_u64 v[56:57], v[4:5], 2, s[58:59]
	s_waitcnt lgkmcnt(1)
	v_add3_u32 v4, v2, v24, s8
	global_store_dword v[56:57], v61, off
	v_lshl_add_u64 v[56:57], v[4:5], 2, s[58:59]
	s_waitcnt lgkmcnt(0)
	v_add3_u32 v4, v2, v58, s9
	global_store_dword v[56:57], v62, off
	v_lshl_add_u64 v[56:57], v[4:5], 2, s[58:59]
	v_add_u32_e32 v2, 0x1000, v2
	global_store_dword v[56:57], v63, off
	s_barrier
	s_cbranch_scc1 .LBB761_329
.LBB761_297:                            ; =>This Inner Loop Header: Depth=1
	v_add_u32_e32 v4, s5, v8
	v_cmp_gt_u32_e64 s[0:1], s6, v4
	s_and_saveexec_b64 s[2:3], s[0:1]
	s_cbranch_execz .LBB761_299
; %bb.298:                              ;   in Loop: Header=BB761_297 Depth=1
	v_add_u32_e32 v4, s10, v27
	s_waitcnt vmcnt(15)
	ds_write_b32 v4, v0
.LBB761_299:                            ;   in Loop: Header=BB761_297 Depth=1
	s_or_b64 exec, exec, s[2:3]
	v_add_u32_e32 v4, s5, v25
	v_cmp_gt_u32_e64 s[0:1], s6, v4
	s_and_saveexec_b64 s[2:3], s[0:1]
	s_cbranch_execz .LBB761_301
; %bb.300:                              ;   in Loop: Header=BB761_297 Depth=1
	v_add_u32_e32 v4, s10, v30
	s_waitcnt vmcnt(14)
	ds_write_b32 v4, v1
.LBB761_301:                            ;   in Loop: Header=BB761_297 Depth=1
	s_or_b64 exec, exec, s[2:3]
	v_add_u32_e32 v4, s5, v28
	v_cmp_gt_u32_e64 s[0:1], s6, v4
	s_and_saveexec_b64 s[2:3], s[0:1]
	s_cbranch_execz .LBB761_303
; %bb.302:                              ;   in Loop: Header=BB761_297 Depth=1
	v_add_u32_e32 v4, s10, v33
	s_waitcnt vmcnt(13)
	ds_write_b32 v4, v3
.LBB761_303:                            ;   in Loop: Header=BB761_297 Depth=1
	s_or_b64 exec, exec, s[2:3]
	v_add_u32_e32 v4, s5, v32
	v_cmp_gt_u32_e64 s[0:1], s6, v4
	s_and_saveexec_b64 s[2:3], s[0:1]
	s_cbranch_execz .LBB761_305
; %bb.304:                              ;   in Loop: Header=BB761_297 Depth=1
	v_add_u32_e32 v4, s10, v37
	s_waitcnt vmcnt(12)
	ds_write_b32 v4, v6
.LBB761_305:                            ;   in Loop: Header=BB761_297 Depth=1
	s_or_b64 exec, exec, s[2:3]
	v_add_u32_e32 v4, s5, v35
	v_cmp_gt_u32_e64 s[0:1], s6, v4
	s_and_saveexec_b64 s[2:3], s[0:1]
	s_cbranch_execz .LBB761_307
; %bb.306:                              ;   in Loop: Header=BB761_297 Depth=1
	v_add_u32_e32 v4, s10, v40
	s_waitcnt vmcnt(11)
	ds_write_b32 v4, v7
.LBB761_307:                            ;   in Loop: Header=BB761_297 Depth=1
	s_or_b64 exec, exec, s[2:3]
	v_add_u32_e32 v4, s5, v39
	v_cmp_gt_u32_e64 s[0:1], s6, v4
	s_and_saveexec_b64 s[2:3], s[0:1]
	s_cbranch_execz .LBB761_309
; %bb.308:                              ;   in Loop: Header=BB761_297 Depth=1
	v_add_u32_e32 v4, s10, v43
	s_waitcnt vmcnt(10)
	ds_write_b32 v4, v12
.LBB761_309:                            ;   in Loop: Header=BB761_297 Depth=1
	s_or_b64 exec, exec, s[2:3]
	v_add_u32_e32 v4, s5, v42
	v_cmp_gt_u32_e64 s[0:1], s6, v4
	s_and_saveexec_b64 s[2:3], s[0:1]
	s_cbranch_execz .LBB761_311
; %bb.310:                              ;   in Loop: Header=BB761_297 Depth=1
	v_add_u32_e32 v4, s10, v46
	s_waitcnt vmcnt(9)
	ds_write_b32 v4, v13
.LBB761_311:                            ;   in Loop: Header=BB761_297 Depth=1
	s_or_b64 exec, exec, s[2:3]
	v_add_u32_e32 v4, s5, v45
	v_cmp_gt_u32_e64 s[0:1], s6, v4
	s_and_saveexec_b64 s[2:3], s[0:1]
	s_cbranch_execz .LBB761_313
; %bb.312:                              ;   in Loop: Header=BB761_297 Depth=1
	v_add_u32_e32 v4, s10, v50
	s_waitcnt vmcnt(8)
	ds_write_b32 v4, v14
.LBB761_313:                            ;   in Loop: Header=BB761_297 Depth=1
	s_or_b64 exec, exec, s[2:3]
	v_add_u32_e32 v4, s5, v48
	v_cmp_gt_u32_e64 s[0:1], s6, v4
	s_and_saveexec_b64 s[2:3], s[0:1]
	s_cbranch_execz .LBB761_315
; %bb.314:                              ;   in Loop: Header=BB761_297 Depth=1
	v_add_u32_e32 v4, s10, v53
	s_waitcnt vmcnt(7)
	ds_write_b32 v4, v15
.LBB761_315:                            ;   in Loop: Header=BB761_297 Depth=1
	s_or_b64 exec, exec, s[2:3]
	v_add_u32_e32 v4, s5, v51
	v_cmp_gt_u32_e64 s[0:1], s6, v4
	s_and_saveexec_b64 s[2:3], s[0:1]
	s_cbranch_execz .LBB761_317
; %bb.316:                              ;   in Loop: Header=BB761_297 Depth=1
	v_add_u32_e32 v4, s10, v55
	s_waitcnt vmcnt(6)
	ds_write_b32 v4, v16
.LBB761_317:                            ;   in Loop: Header=BB761_297 Depth=1
	s_or_b64 exec, exec, s[2:3]
	v_add_u32_e32 v4, s5, v54
	v_cmp_gt_u32_e64 s[0:1], s6, v4
	s_and_saveexec_b64 s[2:3], s[0:1]
	s_cbranch_execz .LBB761_319
; %bb.318:                              ;   in Loop: Header=BB761_297 Depth=1
	v_add_u32_e32 v4, s10, v52
	s_waitcnt vmcnt(5)
	ds_write_b32 v4, v17
.LBB761_319:                            ;   in Loop: Header=BB761_297 Depth=1
	s_or_b64 exec, exec, s[2:3]
	v_add_u32_e32 v4, s5, v49
	v_cmp_gt_u32_e64 s[0:1], s6, v4
	s_and_saveexec_b64 s[2:3], s[0:1]
	s_cbranch_execz .LBB761_321
; %bb.320:                              ;   in Loop: Header=BB761_297 Depth=1
	v_add_u32_e32 v4, s10, v47
	s_waitcnt vmcnt(4)
	ds_write_b32 v4, v18
.LBB761_321:                            ;   in Loop: Header=BB761_297 Depth=1
	s_or_b64 exec, exec, s[2:3]
	v_add_u32_e32 v4, s5, v44
	v_cmp_gt_u32_e64 s[0:1], s6, v4
	s_and_saveexec_b64 s[2:3], s[0:1]
	s_cbranch_execz .LBB761_323
; %bb.322:                              ;   in Loop: Header=BB761_297 Depth=1
	v_add_u32_e32 v4, s10, v41
	s_waitcnt vmcnt(3)
	ds_write_b32 v4, v19
.LBB761_323:                            ;   in Loop: Header=BB761_297 Depth=1
	s_or_b64 exec, exec, s[2:3]
	v_add_u32_e32 v4, s5, v38
	v_cmp_gt_u32_e64 s[0:1], s6, v4
	s_and_saveexec_b64 s[2:3], s[0:1]
	s_cbranch_execz .LBB761_325
; %bb.324:                              ;   in Loop: Header=BB761_297 Depth=1
	v_add_u32_e32 v4, s10, v34
	s_waitcnt vmcnt(2)
	ds_write_b32 v4, v20
.LBB761_325:                            ;   in Loop: Header=BB761_297 Depth=1
	s_or_b64 exec, exec, s[2:3]
	v_add_u32_e32 v4, s5, v26
	v_cmp_gt_u32_e64 s[0:1], s6, v4
	s_and_saveexec_b64 s[2:3], s[0:1]
	s_cbranch_execz .LBB761_327
; %bb.326:                              ;   in Loop: Header=BB761_297 Depth=1
	v_add_u32_e32 v4, s10, v11
	s_waitcnt vmcnt(1)
	ds_write_b32 v4, v21
.LBB761_327:                            ;   in Loop: Header=BB761_297 Depth=1
	s_or_b64 exec, exec, s[2:3]
	v_add_u32_e32 v4, s5, v10
	v_cmp_gt_u32_e64 s[0:1], s6, v4
	s_and_saveexec_b64 s[2:3], s[0:1]
	s_cbranch_execz .LBB761_296
; %bb.328:                              ;   in Loop: Header=BB761_297 Depth=1
	v_add_u32_e32 v4, s10, v9
	s_waitcnt vmcnt(0)
	ds_write_b32 v4, v22
	s_branch .LBB761_296
.LBB761_329:
	s_add_i32 s12, s12, -1
	s_cmp_eq_u32 s33, s12
	s_cselect_b64 s[0:1], -1, 0
	s_xor_b64 s[2:3], vcc, -1
	s_and_b64 s[0:1], s[2:3], s[0:1]
	s_and_saveexec_b64 s[2:3], s[0:1]
	s_cbranch_execz .LBB761_331
; %bb.330:
	ds_read_b32 v0, v36
	s_waitcnt lgkmcnt(0)
	v_add3_u32 v0, v29, v31, v0
	global_store_dword v36, v0, s[62:63]
.LBB761_331:
	s_endpgm
	.section	.rodata,"a",@progbits
	.p2align	6, 0x0
	.amdhsa_kernel _ZN7rocprim17ROCPRIM_400000_NS6detail17trampoline_kernelINS0_14default_configENS1_35radix_sort_onesweep_config_selectorIjjEEZZNS1_29radix_sort_onesweep_iterationIS3_Lb0EN6thrust23THRUST_200600_302600_NS6detail15normal_iteratorINS8_10device_ptrIjEEEESD_SD_SD_jNS0_19identity_decomposerENS1_16block_id_wrapperIjLb1EEEEE10hipError_tT1_PNSt15iterator_traitsISI_E10value_typeET2_T3_PNSJ_ISO_E10value_typeET4_T5_PST_SU_PNS1_23onesweep_lookback_stateEbbT6_jjT7_P12ihipStream_tbENKUlT_T0_SI_SN_E_clISD_PjSD_S15_EEDaS11_S12_SI_SN_EUlS11_E_NS1_11comp_targetILNS1_3genE6ELNS1_11target_archE950ELNS1_3gpuE13ELNS1_3repE0EEENS1_47radix_sort_onesweep_sort_config_static_selectorELNS0_4arch9wavefront6targetE1EEEvSI_
		.amdhsa_group_segment_fixed_size 20552
		.amdhsa_private_segment_fixed_size 80
		.amdhsa_kernarg_size 344
		.amdhsa_user_sgpr_count 2
		.amdhsa_user_sgpr_dispatch_ptr 0
		.amdhsa_user_sgpr_queue_ptr 0
		.amdhsa_user_sgpr_kernarg_segment_ptr 1
		.amdhsa_user_sgpr_dispatch_id 0
		.amdhsa_user_sgpr_kernarg_preload_length 0
		.amdhsa_user_sgpr_kernarg_preload_offset 0
		.amdhsa_user_sgpr_private_segment_size 0
		.amdhsa_uses_dynamic_stack 0
		.amdhsa_enable_private_segment 1
		.amdhsa_system_sgpr_workgroup_id_x 1
		.amdhsa_system_sgpr_workgroup_id_y 0
		.amdhsa_system_sgpr_workgroup_id_z 0
		.amdhsa_system_sgpr_workgroup_info 0
		.amdhsa_system_vgpr_workitem_id 2
		.amdhsa_next_free_vgpr 89
		.amdhsa_next_free_sgpr 73
		.amdhsa_accum_offset 92
		.amdhsa_reserve_vcc 1
		.amdhsa_float_round_mode_32 0
		.amdhsa_float_round_mode_16_64 0
		.amdhsa_float_denorm_mode_32 3
		.amdhsa_float_denorm_mode_16_64 3
		.amdhsa_dx10_clamp 1
		.amdhsa_ieee_mode 1
		.amdhsa_fp16_overflow 0
		.amdhsa_tg_split 0
		.amdhsa_exception_fp_ieee_invalid_op 0
		.amdhsa_exception_fp_denorm_src 0
		.amdhsa_exception_fp_ieee_div_zero 0
		.amdhsa_exception_fp_ieee_overflow 0
		.amdhsa_exception_fp_ieee_underflow 0
		.amdhsa_exception_fp_ieee_inexact 0
		.amdhsa_exception_int_div_zero 0
	.end_amdhsa_kernel
	.section	.text._ZN7rocprim17ROCPRIM_400000_NS6detail17trampoline_kernelINS0_14default_configENS1_35radix_sort_onesweep_config_selectorIjjEEZZNS1_29radix_sort_onesweep_iterationIS3_Lb0EN6thrust23THRUST_200600_302600_NS6detail15normal_iteratorINS8_10device_ptrIjEEEESD_SD_SD_jNS0_19identity_decomposerENS1_16block_id_wrapperIjLb1EEEEE10hipError_tT1_PNSt15iterator_traitsISI_E10value_typeET2_T3_PNSJ_ISO_E10value_typeET4_T5_PST_SU_PNS1_23onesweep_lookback_stateEbbT6_jjT7_P12ihipStream_tbENKUlT_T0_SI_SN_E_clISD_PjSD_S15_EEDaS11_S12_SI_SN_EUlS11_E_NS1_11comp_targetILNS1_3genE6ELNS1_11target_archE950ELNS1_3gpuE13ELNS1_3repE0EEENS1_47radix_sort_onesweep_sort_config_static_selectorELNS0_4arch9wavefront6targetE1EEEvSI_,"axG",@progbits,_ZN7rocprim17ROCPRIM_400000_NS6detail17trampoline_kernelINS0_14default_configENS1_35radix_sort_onesweep_config_selectorIjjEEZZNS1_29radix_sort_onesweep_iterationIS3_Lb0EN6thrust23THRUST_200600_302600_NS6detail15normal_iteratorINS8_10device_ptrIjEEEESD_SD_SD_jNS0_19identity_decomposerENS1_16block_id_wrapperIjLb1EEEEE10hipError_tT1_PNSt15iterator_traitsISI_E10value_typeET2_T3_PNSJ_ISO_E10value_typeET4_T5_PST_SU_PNS1_23onesweep_lookback_stateEbbT6_jjT7_P12ihipStream_tbENKUlT_T0_SI_SN_E_clISD_PjSD_S15_EEDaS11_S12_SI_SN_EUlS11_E_NS1_11comp_targetILNS1_3genE6ELNS1_11target_archE950ELNS1_3gpuE13ELNS1_3repE0EEENS1_47radix_sort_onesweep_sort_config_static_selectorELNS0_4arch9wavefront6targetE1EEEvSI_,comdat
.Lfunc_end761:
	.size	_ZN7rocprim17ROCPRIM_400000_NS6detail17trampoline_kernelINS0_14default_configENS1_35radix_sort_onesweep_config_selectorIjjEEZZNS1_29radix_sort_onesweep_iterationIS3_Lb0EN6thrust23THRUST_200600_302600_NS6detail15normal_iteratorINS8_10device_ptrIjEEEESD_SD_SD_jNS0_19identity_decomposerENS1_16block_id_wrapperIjLb1EEEEE10hipError_tT1_PNSt15iterator_traitsISI_E10value_typeET2_T3_PNSJ_ISO_E10value_typeET4_T5_PST_SU_PNS1_23onesweep_lookback_stateEbbT6_jjT7_P12ihipStream_tbENKUlT_T0_SI_SN_E_clISD_PjSD_S15_EEDaS11_S12_SI_SN_EUlS11_E_NS1_11comp_targetILNS1_3genE6ELNS1_11target_archE950ELNS1_3gpuE13ELNS1_3repE0EEENS1_47radix_sort_onesweep_sort_config_static_selectorELNS0_4arch9wavefront6targetE1EEEvSI_, .Lfunc_end761-_ZN7rocprim17ROCPRIM_400000_NS6detail17trampoline_kernelINS0_14default_configENS1_35radix_sort_onesweep_config_selectorIjjEEZZNS1_29radix_sort_onesweep_iterationIS3_Lb0EN6thrust23THRUST_200600_302600_NS6detail15normal_iteratorINS8_10device_ptrIjEEEESD_SD_SD_jNS0_19identity_decomposerENS1_16block_id_wrapperIjLb1EEEEE10hipError_tT1_PNSt15iterator_traitsISI_E10value_typeET2_T3_PNSJ_ISO_E10value_typeET4_T5_PST_SU_PNS1_23onesweep_lookback_stateEbbT6_jjT7_P12ihipStream_tbENKUlT_T0_SI_SN_E_clISD_PjSD_S15_EEDaS11_S12_SI_SN_EUlS11_E_NS1_11comp_targetILNS1_3genE6ELNS1_11target_archE950ELNS1_3gpuE13ELNS1_3repE0EEENS1_47radix_sort_onesweep_sort_config_static_selectorELNS0_4arch9wavefront6targetE1EEEvSI_
                                        ; -- End function
	.set _ZN7rocprim17ROCPRIM_400000_NS6detail17trampoline_kernelINS0_14default_configENS1_35radix_sort_onesweep_config_selectorIjjEEZZNS1_29radix_sort_onesweep_iterationIS3_Lb0EN6thrust23THRUST_200600_302600_NS6detail15normal_iteratorINS8_10device_ptrIjEEEESD_SD_SD_jNS0_19identity_decomposerENS1_16block_id_wrapperIjLb1EEEEE10hipError_tT1_PNSt15iterator_traitsISI_E10value_typeET2_T3_PNSJ_ISO_E10value_typeET4_T5_PST_SU_PNS1_23onesweep_lookback_stateEbbT6_jjT7_P12ihipStream_tbENKUlT_T0_SI_SN_E_clISD_PjSD_S15_EEDaS11_S12_SI_SN_EUlS11_E_NS1_11comp_targetILNS1_3genE6ELNS1_11target_archE950ELNS1_3gpuE13ELNS1_3repE0EEENS1_47radix_sort_onesweep_sort_config_static_selectorELNS0_4arch9wavefront6targetE1EEEvSI_.num_vgpr, 89
	.set _ZN7rocprim17ROCPRIM_400000_NS6detail17trampoline_kernelINS0_14default_configENS1_35radix_sort_onesweep_config_selectorIjjEEZZNS1_29radix_sort_onesweep_iterationIS3_Lb0EN6thrust23THRUST_200600_302600_NS6detail15normal_iteratorINS8_10device_ptrIjEEEESD_SD_SD_jNS0_19identity_decomposerENS1_16block_id_wrapperIjLb1EEEEE10hipError_tT1_PNSt15iterator_traitsISI_E10value_typeET2_T3_PNSJ_ISO_E10value_typeET4_T5_PST_SU_PNS1_23onesweep_lookback_stateEbbT6_jjT7_P12ihipStream_tbENKUlT_T0_SI_SN_E_clISD_PjSD_S15_EEDaS11_S12_SI_SN_EUlS11_E_NS1_11comp_targetILNS1_3genE6ELNS1_11target_archE950ELNS1_3gpuE13ELNS1_3repE0EEENS1_47radix_sort_onesweep_sort_config_static_selectorELNS0_4arch9wavefront6targetE1EEEvSI_.num_agpr, 0
	.set _ZN7rocprim17ROCPRIM_400000_NS6detail17trampoline_kernelINS0_14default_configENS1_35radix_sort_onesweep_config_selectorIjjEEZZNS1_29radix_sort_onesweep_iterationIS3_Lb0EN6thrust23THRUST_200600_302600_NS6detail15normal_iteratorINS8_10device_ptrIjEEEESD_SD_SD_jNS0_19identity_decomposerENS1_16block_id_wrapperIjLb1EEEEE10hipError_tT1_PNSt15iterator_traitsISI_E10value_typeET2_T3_PNSJ_ISO_E10value_typeET4_T5_PST_SU_PNS1_23onesweep_lookback_stateEbbT6_jjT7_P12ihipStream_tbENKUlT_T0_SI_SN_E_clISD_PjSD_S15_EEDaS11_S12_SI_SN_EUlS11_E_NS1_11comp_targetILNS1_3genE6ELNS1_11target_archE950ELNS1_3gpuE13ELNS1_3repE0EEENS1_47radix_sort_onesweep_sort_config_static_selectorELNS0_4arch9wavefront6targetE1EEEvSI_.numbered_sgpr, 73
	.set _ZN7rocprim17ROCPRIM_400000_NS6detail17trampoline_kernelINS0_14default_configENS1_35radix_sort_onesweep_config_selectorIjjEEZZNS1_29radix_sort_onesweep_iterationIS3_Lb0EN6thrust23THRUST_200600_302600_NS6detail15normal_iteratorINS8_10device_ptrIjEEEESD_SD_SD_jNS0_19identity_decomposerENS1_16block_id_wrapperIjLb1EEEEE10hipError_tT1_PNSt15iterator_traitsISI_E10value_typeET2_T3_PNSJ_ISO_E10value_typeET4_T5_PST_SU_PNS1_23onesweep_lookback_stateEbbT6_jjT7_P12ihipStream_tbENKUlT_T0_SI_SN_E_clISD_PjSD_S15_EEDaS11_S12_SI_SN_EUlS11_E_NS1_11comp_targetILNS1_3genE6ELNS1_11target_archE950ELNS1_3gpuE13ELNS1_3repE0EEENS1_47radix_sort_onesweep_sort_config_static_selectorELNS0_4arch9wavefront6targetE1EEEvSI_.num_named_barrier, 0
	.set _ZN7rocprim17ROCPRIM_400000_NS6detail17trampoline_kernelINS0_14default_configENS1_35radix_sort_onesweep_config_selectorIjjEEZZNS1_29radix_sort_onesweep_iterationIS3_Lb0EN6thrust23THRUST_200600_302600_NS6detail15normal_iteratorINS8_10device_ptrIjEEEESD_SD_SD_jNS0_19identity_decomposerENS1_16block_id_wrapperIjLb1EEEEE10hipError_tT1_PNSt15iterator_traitsISI_E10value_typeET2_T3_PNSJ_ISO_E10value_typeET4_T5_PST_SU_PNS1_23onesweep_lookback_stateEbbT6_jjT7_P12ihipStream_tbENKUlT_T0_SI_SN_E_clISD_PjSD_S15_EEDaS11_S12_SI_SN_EUlS11_E_NS1_11comp_targetILNS1_3genE6ELNS1_11target_archE950ELNS1_3gpuE13ELNS1_3repE0EEENS1_47radix_sort_onesweep_sort_config_static_selectorELNS0_4arch9wavefront6targetE1EEEvSI_.private_seg_size, 80
	.set _ZN7rocprim17ROCPRIM_400000_NS6detail17trampoline_kernelINS0_14default_configENS1_35radix_sort_onesweep_config_selectorIjjEEZZNS1_29radix_sort_onesweep_iterationIS3_Lb0EN6thrust23THRUST_200600_302600_NS6detail15normal_iteratorINS8_10device_ptrIjEEEESD_SD_SD_jNS0_19identity_decomposerENS1_16block_id_wrapperIjLb1EEEEE10hipError_tT1_PNSt15iterator_traitsISI_E10value_typeET2_T3_PNSJ_ISO_E10value_typeET4_T5_PST_SU_PNS1_23onesweep_lookback_stateEbbT6_jjT7_P12ihipStream_tbENKUlT_T0_SI_SN_E_clISD_PjSD_S15_EEDaS11_S12_SI_SN_EUlS11_E_NS1_11comp_targetILNS1_3genE6ELNS1_11target_archE950ELNS1_3gpuE13ELNS1_3repE0EEENS1_47radix_sort_onesweep_sort_config_static_selectorELNS0_4arch9wavefront6targetE1EEEvSI_.uses_vcc, 1
	.set _ZN7rocprim17ROCPRIM_400000_NS6detail17trampoline_kernelINS0_14default_configENS1_35radix_sort_onesweep_config_selectorIjjEEZZNS1_29radix_sort_onesweep_iterationIS3_Lb0EN6thrust23THRUST_200600_302600_NS6detail15normal_iteratorINS8_10device_ptrIjEEEESD_SD_SD_jNS0_19identity_decomposerENS1_16block_id_wrapperIjLb1EEEEE10hipError_tT1_PNSt15iterator_traitsISI_E10value_typeET2_T3_PNSJ_ISO_E10value_typeET4_T5_PST_SU_PNS1_23onesweep_lookback_stateEbbT6_jjT7_P12ihipStream_tbENKUlT_T0_SI_SN_E_clISD_PjSD_S15_EEDaS11_S12_SI_SN_EUlS11_E_NS1_11comp_targetILNS1_3genE6ELNS1_11target_archE950ELNS1_3gpuE13ELNS1_3repE0EEENS1_47radix_sort_onesweep_sort_config_static_selectorELNS0_4arch9wavefront6targetE1EEEvSI_.uses_flat_scratch, 0
	.set _ZN7rocprim17ROCPRIM_400000_NS6detail17trampoline_kernelINS0_14default_configENS1_35radix_sort_onesweep_config_selectorIjjEEZZNS1_29radix_sort_onesweep_iterationIS3_Lb0EN6thrust23THRUST_200600_302600_NS6detail15normal_iteratorINS8_10device_ptrIjEEEESD_SD_SD_jNS0_19identity_decomposerENS1_16block_id_wrapperIjLb1EEEEE10hipError_tT1_PNSt15iterator_traitsISI_E10value_typeET2_T3_PNSJ_ISO_E10value_typeET4_T5_PST_SU_PNS1_23onesweep_lookback_stateEbbT6_jjT7_P12ihipStream_tbENKUlT_T0_SI_SN_E_clISD_PjSD_S15_EEDaS11_S12_SI_SN_EUlS11_E_NS1_11comp_targetILNS1_3genE6ELNS1_11target_archE950ELNS1_3gpuE13ELNS1_3repE0EEENS1_47radix_sort_onesweep_sort_config_static_selectorELNS0_4arch9wavefront6targetE1EEEvSI_.has_dyn_sized_stack, 0
	.set _ZN7rocprim17ROCPRIM_400000_NS6detail17trampoline_kernelINS0_14default_configENS1_35radix_sort_onesweep_config_selectorIjjEEZZNS1_29radix_sort_onesweep_iterationIS3_Lb0EN6thrust23THRUST_200600_302600_NS6detail15normal_iteratorINS8_10device_ptrIjEEEESD_SD_SD_jNS0_19identity_decomposerENS1_16block_id_wrapperIjLb1EEEEE10hipError_tT1_PNSt15iterator_traitsISI_E10value_typeET2_T3_PNSJ_ISO_E10value_typeET4_T5_PST_SU_PNS1_23onesweep_lookback_stateEbbT6_jjT7_P12ihipStream_tbENKUlT_T0_SI_SN_E_clISD_PjSD_S15_EEDaS11_S12_SI_SN_EUlS11_E_NS1_11comp_targetILNS1_3genE6ELNS1_11target_archE950ELNS1_3gpuE13ELNS1_3repE0EEENS1_47radix_sort_onesweep_sort_config_static_selectorELNS0_4arch9wavefront6targetE1EEEvSI_.has_recursion, 0
	.set _ZN7rocprim17ROCPRIM_400000_NS6detail17trampoline_kernelINS0_14default_configENS1_35radix_sort_onesweep_config_selectorIjjEEZZNS1_29radix_sort_onesweep_iterationIS3_Lb0EN6thrust23THRUST_200600_302600_NS6detail15normal_iteratorINS8_10device_ptrIjEEEESD_SD_SD_jNS0_19identity_decomposerENS1_16block_id_wrapperIjLb1EEEEE10hipError_tT1_PNSt15iterator_traitsISI_E10value_typeET2_T3_PNSJ_ISO_E10value_typeET4_T5_PST_SU_PNS1_23onesweep_lookback_stateEbbT6_jjT7_P12ihipStream_tbENKUlT_T0_SI_SN_E_clISD_PjSD_S15_EEDaS11_S12_SI_SN_EUlS11_E_NS1_11comp_targetILNS1_3genE6ELNS1_11target_archE950ELNS1_3gpuE13ELNS1_3repE0EEENS1_47radix_sort_onesweep_sort_config_static_selectorELNS0_4arch9wavefront6targetE1EEEvSI_.has_indirect_call, 0
	.section	.AMDGPU.csdata,"",@progbits
; Kernel info:
; codeLenInByte = 22208
; TotalNumSgprs: 79
; NumVgprs: 89
; NumAgprs: 0
; TotalNumVgprs: 89
; ScratchSize: 80
; MemoryBound: 0
; FloatMode: 240
; IeeeMode: 1
; LDSByteSize: 20552 bytes/workgroup (compile time only)
; SGPRBlocks: 9
; VGPRBlocks: 11
; NumSGPRsForWavesPerEU: 79
; NumVGPRsForWavesPerEU: 89
; AccumOffset: 92
; Occupancy: 5
; WaveLimiterHint : 1
; COMPUTE_PGM_RSRC2:SCRATCH_EN: 1
; COMPUTE_PGM_RSRC2:USER_SGPR: 2
; COMPUTE_PGM_RSRC2:TRAP_HANDLER: 0
; COMPUTE_PGM_RSRC2:TGID_X_EN: 1
; COMPUTE_PGM_RSRC2:TGID_Y_EN: 0
; COMPUTE_PGM_RSRC2:TGID_Z_EN: 0
; COMPUTE_PGM_RSRC2:TIDIG_COMP_CNT: 2
; COMPUTE_PGM_RSRC3_GFX90A:ACCUM_OFFSET: 22
; COMPUTE_PGM_RSRC3_GFX90A:TG_SPLIT: 0
	.section	.text._ZN7rocprim17ROCPRIM_400000_NS6detail17trampoline_kernelINS0_14default_configENS1_35radix_sort_onesweep_config_selectorIjjEEZZNS1_29radix_sort_onesweep_iterationIS3_Lb0EN6thrust23THRUST_200600_302600_NS6detail15normal_iteratorINS8_10device_ptrIjEEEESD_SD_SD_jNS0_19identity_decomposerENS1_16block_id_wrapperIjLb1EEEEE10hipError_tT1_PNSt15iterator_traitsISI_E10value_typeET2_T3_PNSJ_ISO_E10value_typeET4_T5_PST_SU_PNS1_23onesweep_lookback_stateEbbT6_jjT7_P12ihipStream_tbENKUlT_T0_SI_SN_E_clISD_PjSD_S15_EEDaS11_S12_SI_SN_EUlS11_E_NS1_11comp_targetILNS1_3genE5ELNS1_11target_archE942ELNS1_3gpuE9ELNS1_3repE0EEENS1_47radix_sort_onesweep_sort_config_static_selectorELNS0_4arch9wavefront6targetE1EEEvSI_,"axG",@progbits,_ZN7rocprim17ROCPRIM_400000_NS6detail17trampoline_kernelINS0_14default_configENS1_35radix_sort_onesweep_config_selectorIjjEEZZNS1_29radix_sort_onesweep_iterationIS3_Lb0EN6thrust23THRUST_200600_302600_NS6detail15normal_iteratorINS8_10device_ptrIjEEEESD_SD_SD_jNS0_19identity_decomposerENS1_16block_id_wrapperIjLb1EEEEE10hipError_tT1_PNSt15iterator_traitsISI_E10value_typeET2_T3_PNSJ_ISO_E10value_typeET4_T5_PST_SU_PNS1_23onesweep_lookback_stateEbbT6_jjT7_P12ihipStream_tbENKUlT_T0_SI_SN_E_clISD_PjSD_S15_EEDaS11_S12_SI_SN_EUlS11_E_NS1_11comp_targetILNS1_3genE5ELNS1_11target_archE942ELNS1_3gpuE9ELNS1_3repE0EEENS1_47radix_sort_onesweep_sort_config_static_selectorELNS0_4arch9wavefront6targetE1EEEvSI_,comdat
	.protected	_ZN7rocprim17ROCPRIM_400000_NS6detail17trampoline_kernelINS0_14default_configENS1_35radix_sort_onesweep_config_selectorIjjEEZZNS1_29radix_sort_onesweep_iterationIS3_Lb0EN6thrust23THRUST_200600_302600_NS6detail15normal_iteratorINS8_10device_ptrIjEEEESD_SD_SD_jNS0_19identity_decomposerENS1_16block_id_wrapperIjLb1EEEEE10hipError_tT1_PNSt15iterator_traitsISI_E10value_typeET2_T3_PNSJ_ISO_E10value_typeET4_T5_PST_SU_PNS1_23onesweep_lookback_stateEbbT6_jjT7_P12ihipStream_tbENKUlT_T0_SI_SN_E_clISD_PjSD_S15_EEDaS11_S12_SI_SN_EUlS11_E_NS1_11comp_targetILNS1_3genE5ELNS1_11target_archE942ELNS1_3gpuE9ELNS1_3repE0EEENS1_47radix_sort_onesweep_sort_config_static_selectorELNS0_4arch9wavefront6targetE1EEEvSI_ ; -- Begin function _ZN7rocprim17ROCPRIM_400000_NS6detail17trampoline_kernelINS0_14default_configENS1_35radix_sort_onesweep_config_selectorIjjEEZZNS1_29radix_sort_onesweep_iterationIS3_Lb0EN6thrust23THRUST_200600_302600_NS6detail15normal_iteratorINS8_10device_ptrIjEEEESD_SD_SD_jNS0_19identity_decomposerENS1_16block_id_wrapperIjLb1EEEEE10hipError_tT1_PNSt15iterator_traitsISI_E10value_typeET2_T3_PNSJ_ISO_E10value_typeET4_T5_PST_SU_PNS1_23onesweep_lookback_stateEbbT6_jjT7_P12ihipStream_tbENKUlT_T0_SI_SN_E_clISD_PjSD_S15_EEDaS11_S12_SI_SN_EUlS11_E_NS1_11comp_targetILNS1_3genE5ELNS1_11target_archE942ELNS1_3gpuE9ELNS1_3repE0EEENS1_47radix_sort_onesweep_sort_config_static_selectorELNS0_4arch9wavefront6targetE1EEEvSI_
	.globl	_ZN7rocprim17ROCPRIM_400000_NS6detail17trampoline_kernelINS0_14default_configENS1_35radix_sort_onesweep_config_selectorIjjEEZZNS1_29radix_sort_onesweep_iterationIS3_Lb0EN6thrust23THRUST_200600_302600_NS6detail15normal_iteratorINS8_10device_ptrIjEEEESD_SD_SD_jNS0_19identity_decomposerENS1_16block_id_wrapperIjLb1EEEEE10hipError_tT1_PNSt15iterator_traitsISI_E10value_typeET2_T3_PNSJ_ISO_E10value_typeET4_T5_PST_SU_PNS1_23onesweep_lookback_stateEbbT6_jjT7_P12ihipStream_tbENKUlT_T0_SI_SN_E_clISD_PjSD_S15_EEDaS11_S12_SI_SN_EUlS11_E_NS1_11comp_targetILNS1_3genE5ELNS1_11target_archE942ELNS1_3gpuE9ELNS1_3repE0EEENS1_47radix_sort_onesweep_sort_config_static_selectorELNS0_4arch9wavefront6targetE1EEEvSI_
	.p2align	8
	.type	_ZN7rocprim17ROCPRIM_400000_NS6detail17trampoline_kernelINS0_14default_configENS1_35radix_sort_onesweep_config_selectorIjjEEZZNS1_29radix_sort_onesweep_iterationIS3_Lb0EN6thrust23THRUST_200600_302600_NS6detail15normal_iteratorINS8_10device_ptrIjEEEESD_SD_SD_jNS0_19identity_decomposerENS1_16block_id_wrapperIjLb1EEEEE10hipError_tT1_PNSt15iterator_traitsISI_E10value_typeET2_T3_PNSJ_ISO_E10value_typeET4_T5_PST_SU_PNS1_23onesweep_lookback_stateEbbT6_jjT7_P12ihipStream_tbENKUlT_T0_SI_SN_E_clISD_PjSD_S15_EEDaS11_S12_SI_SN_EUlS11_E_NS1_11comp_targetILNS1_3genE5ELNS1_11target_archE942ELNS1_3gpuE9ELNS1_3repE0EEENS1_47radix_sort_onesweep_sort_config_static_selectorELNS0_4arch9wavefront6targetE1EEEvSI_,@function
_ZN7rocprim17ROCPRIM_400000_NS6detail17trampoline_kernelINS0_14default_configENS1_35radix_sort_onesweep_config_selectorIjjEEZZNS1_29radix_sort_onesweep_iterationIS3_Lb0EN6thrust23THRUST_200600_302600_NS6detail15normal_iteratorINS8_10device_ptrIjEEEESD_SD_SD_jNS0_19identity_decomposerENS1_16block_id_wrapperIjLb1EEEEE10hipError_tT1_PNSt15iterator_traitsISI_E10value_typeET2_T3_PNSJ_ISO_E10value_typeET4_T5_PST_SU_PNS1_23onesweep_lookback_stateEbbT6_jjT7_P12ihipStream_tbENKUlT_T0_SI_SN_E_clISD_PjSD_S15_EEDaS11_S12_SI_SN_EUlS11_E_NS1_11comp_targetILNS1_3genE5ELNS1_11target_archE942ELNS1_3gpuE9ELNS1_3repE0EEENS1_47radix_sort_onesweep_sort_config_static_selectorELNS0_4arch9wavefront6targetE1EEEvSI_: ; @_ZN7rocprim17ROCPRIM_400000_NS6detail17trampoline_kernelINS0_14default_configENS1_35radix_sort_onesweep_config_selectorIjjEEZZNS1_29radix_sort_onesweep_iterationIS3_Lb0EN6thrust23THRUST_200600_302600_NS6detail15normal_iteratorINS8_10device_ptrIjEEEESD_SD_SD_jNS0_19identity_decomposerENS1_16block_id_wrapperIjLb1EEEEE10hipError_tT1_PNSt15iterator_traitsISI_E10value_typeET2_T3_PNSJ_ISO_E10value_typeET4_T5_PST_SU_PNS1_23onesweep_lookback_stateEbbT6_jjT7_P12ihipStream_tbENKUlT_T0_SI_SN_E_clISD_PjSD_S15_EEDaS11_S12_SI_SN_EUlS11_E_NS1_11comp_targetILNS1_3genE5ELNS1_11target_archE942ELNS1_3gpuE9ELNS1_3repE0EEENS1_47radix_sort_onesweep_sort_config_static_selectorELNS0_4arch9wavefront6targetE1EEEvSI_
; %bb.0:
	.section	.rodata,"a",@progbits
	.p2align	6, 0x0
	.amdhsa_kernel _ZN7rocprim17ROCPRIM_400000_NS6detail17trampoline_kernelINS0_14default_configENS1_35radix_sort_onesweep_config_selectorIjjEEZZNS1_29radix_sort_onesweep_iterationIS3_Lb0EN6thrust23THRUST_200600_302600_NS6detail15normal_iteratorINS8_10device_ptrIjEEEESD_SD_SD_jNS0_19identity_decomposerENS1_16block_id_wrapperIjLb1EEEEE10hipError_tT1_PNSt15iterator_traitsISI_E10value_typeET2_T3_PNSJ_ISO_E10value_typeET4_T5_PST_SU_PNS1_23onesweep_lookback_stateEbbT6_jjT7_P12ihipStream_tbENKUlT_T0_SI_SN_E_clISD_PjSD_S15_EEDaS11_S12_SI_SN_EUlS11_E_NS1_11comp_targetILNS1_3genE5ELNS1_11target_archE942ELNS1_3gpuE9ELNS1_3repE0EEENS1_47radix_sort_onesweep_sort_config_static_selectorELNS0_4arch9wavefront6targetE1EEEvSI_
		.amdhsa_group_segment_fixed_size 0
		.amdhsa_private_segment_fixed_size 0
		.amdhsa_kernarg_size 88
		.amdhsa_user_sgpr_count 2
		.amdhsa_user_sgpr_dispatch_ptr 0
		.amdhsa_user_sgpr_queue_ptr 0
		.amdhsa_user_sgpr_kernarg_segment_ptr 1
		.amdhsa_user_sgpr_dispatch_id 0
		.amdhsa_user_sgpr_kernarg_preload_length 0
		.amdhsa_user_sgpr_kernarg_preload_offset 0
		.amdhsa_user_sgpr_private_segment_size 0
		.amdhsa_uses_dynamic_stack 0
		.amdhsa_enable_private_segment 0
		.amdhsa_system_sgpr_workgroup_id_x 1
		.amdhsa_system_sgpr_workgroup_id_y 0
		.amdhsa_system_sgpr_workgroup_id_z 0
		.amdhsa_system_sgpr_workgroup_info 0
		.amdhsa_system_vgpr_workitem_id 0
		.amdhsa_next_free_vgpr 1
		.amdhsa_next_free_sgpr 0
		.amdhsa_accum_offset 4
		.amdhsa_reserve_vcc 0
		.amdhsa_float_round_mode_32 0
		.amdhsa_float_round_mode_16_64 0
		.amdhsa_float_denorm_mode_32 3
		.amdhsa_float_denorm_mode_16_64 3
		.amdhsa_dx10_clamp 1
		.amdhsa_ieee_mode 1
		.amdhsa_fp16_overflow 0
		.amdhsa_tg_split 0
		.amdhsa_exception_fp_ieee_invalid_op 0
		.amdhsa_exception_fp_denorm_src 0
		.amdhsa_exception_fp_ieee_div_zero 0
		.amdhsa_exception_fp_ieee_overflow 0
		.amdhsa_exception_fp_ieee_underflow 0
		.amdhsa_exception_fp_ieee_inexact 0
		.amdhsa_exception_int_div_zero 0
	.end_amdhsa_kernel
	.section	.text._ZN7rocprim17ROCPRIM_400000_NS6detail17trampoline_kernelINS0_14default_configENS1_35radix_sort_onesweep_config_selectorIjjEEZZNS1_29radix_sort_onesweep_iterationIS3_Lb0EN6thrust23THRUST_200600_302600_NS6detail15normal_iteratorINS8_10device_ptrIjEEEESD_SD_SD_jNS0_19identity_decomposerENS1_16block_id_wrapperIjLb1EEEEE10hipError_tT1_PNSt15iterator_traitsISI_E10value_typeET2_T3_PNSJ_ISO_E10value_typeET4_T5_PST_SU_PNS1_23onesweep_lookback_stateEbbT6_jjT7_P12ihipStream_tbENKUlT_T0_SI_SN_E_clISD_PjSD_S15_EEDaS11_S12_SI_SN_EUlS11_E_NS1_11comp_targetILNS1_3genE5ELNS1_11target_archE942ELNS1_3gpuE9ELNS1_3repE0EEENS1_47radix_sort_onesweep_sort_config_static_selectorELNS0_4arch9wavefront6targetE1EEEvSI_,"axG",@progbits,_ZN7rocprim17ROCPRIM_400000_NS6detail17trampoline_kernelINS0_14default_configENS1_35radix_sort_onesweep_config_selectorIjjEEZZNS1_29radix_sort_onesweep_iterationIS3_Lb0EN6thrust23THRUST_200600_302600_NS6detail15normal_iteratorINS8_10device_ptrIjEEEESD_SD_SD_jNS0_19identity_decomposerENS1_16block_id_wrapperIjLb1EEEEE10hipError_tT1_PNSt15iterator_traitsISI_E10value_typeET2_T3_PNSJ_ISO_E10value_typeET4_T5_PST_SU_PNS1_23onesweep_lookback_stateEbbT6_jjT7_P12ihipStream_tbENKUlT_T0_SI_SN_E_clISD_PjSD_S15_EEDaS11_S12_SI_SN_EUlS11_E_NS1_11comp_targetILNS1_3genE5ELNS1_11target_archE942ELNS1_3gpuE9ELNS1_3repE0EEENS1_47radix_sort_onesweep_sort_config_static_selectorELNS0_4arch9wavefront6targetE1EEEvSI_,comdat
.Lfunc_end762:
	.size	_ZN7rocprim17ROCPRIM_400000_NS6detail17trampoline_kernelINS0_14default_configENS1_35radix_sort_onesweep_config_selectorIjjEEZZNS1_29radix_sort_onesweep_iterationIS3_Lb0EN6thrust23THRUST_200600_302600_NS6detail15normal_iteratorINS8_10device_ptrIjEEEESD_SD_SD_jNS0_19identity_decomposerENS1_16block_id_wrapperIjLb1EEEEE10hipError_tT1_PNSt15iterator_traitsISI_E10value_typeET2_T3_PNSJ_ISO_E10value_typeET4_T5_PST_SU_PNS1_23onesweep_lookback_stateEbbT6_jjT7_P12ihipStream_tbENKUlT_T0_SI_SN_E_clISD_PjSD_S15_EEDaS11_S12_SI_SN_EUlS11_E_NS1_11comp_targetILNS1_3genE5ELNS1_11target_archE942ELNS1_3gpuE9ELNS1_3repE0EEENS1_47radix_sort_onesweep_sort_config_static_selectorELNS0_4arch9wavefront6targetE1EEEvSI_, .Lfunc_end762-_ZN7rocprim17ROCPRIM_400000_NS6detail17trampoline_kernelINS0_14default_configENS1_35radix_sort_onesweep_config_selectorIjjEEZZNS1_29radix_sort_onesweep_iterationIS3_Lb0EN6thrust23THRUST_200600_302600_NS6detail15normal_iteratorINS8_10device_ptrIjEEEESD_SD_SD_jNS0_19identity_decomposerENS1_16block_id_wrapperIjLb1EEEEE10hipError_tT1_PNSt15iterator_traitsISI_E10value_typeET2_T3_PNSJ_ISO_E10value_typeET4_T5_PST_SU_PNS1_23onesweep_lookback_stateEbbT6_jjT7_P12ihipStream_tbENKUlT_T0_SI_SN_E_clISD_PjSD_S15_EEDaS11_S12_SI_SN_EUlS11_E_NS1_11comp_targetILNS1_3genE5ELNS1_11target_archE942ELNS1_3gpuE9ELNS1_3repE0EEENS1_47radix_sort_onesweep_sort_config_static_selectorELNS0_4arch9wavefront6targetE1EEEvSI_
                                        ; -- End function
	.set _ZN7rocprim17ROCPRIM_400000_NS6detail17trampoline_kernelINS0_14default_configENS1_35radix_sort_onesweep_config_selectorIjjEEZZNS1_29radix_sort_onesweep_iterationIS3_Lb0EN6thrust23THRUST_200600_302600_NS6detail15normal_iteratorINS8_10device_ptrIjEEEESD_SD_SD_jNS0_19identity_decomposerENS1_16block_id_wrapperIjLb1EEEEE10hipError_tT1_PNSt15iterator_traitsISI_E10value_typeET2_T3_PNSJ_ISO_E10value_typeET4_T5_PST_SU_PNS1_23onesweep_lookback_stateEbbT6_jjT7_P12ihipStream_tbENKUlT_T0_SI_SN_E_clISD_PjSD_S15_EEDaS11_S12_SI_SN_EUlS11_E_NS1_11comp_targetILNS1_3genE5ELNS1_11target_archE942ELNS1_3gpuE9ELNS1_3repE0EEENS1_47radix_sort_onesweep_sort_config_static_selectorELNS0_4arch9wavefront6targetE1EEEvSI_.num_vgpr, 0
	.set _ZN7rocprim17ROCPRIM_400000_NS6detail17trampoline_kernelINS0_14default_configENS1_35radix_sort_onesweep_config_selectorIjjEEZZNS1_29radix_sort_onesweep_iterationIS3_Lb0EN6thrust23THRUST_200600_302600_NS6detail15normal_iteratorINS8_10device_ptrIjEEEESD_SD_SD_jNS0_19identity_decomposerENS1_16block_id_wrapperIjLb1EEEEE10hipError_tT1_PNSt15iterator_traitsISI_E10value_typeET2_T3_PNSJ_ISO_E10value_typeET4_T5_PST_SU_PNS1_23onesweep_lookback_stateEbbT6_jjT7_P12ihipStream_tbENKUlT_T0_SI_SN_E_clISD_PjSD_S15_EEDaS11_S12_SI_SN_EUlS11_E_NS1_11comp_targetILNS1_3genE5ELNS1_11target_archE942ELNS1_3gpuE9ELNS1_3repE0EEENS1_47radix_sort_onesweep_sort_config_static_selectorELNS0_4arch9wavefront6targetE1EEEvSI_.num_agpr, 0
	.set _ZN7rocprim17ROCPRIM_400000_NS6detail17trampoline_kernelINS0_14default_configENS1_35radix_sort_onesweep_config_selectorIjjEEZZNS1_29radix_sort_onesweep_iterationIS3_Lb0EN6thrust23THRUST_200600_302600_NS6detail15normal_iteratorINS8_10device_ptrIjEEEESD_SD_SD_jNS0_19identity_decomposerENS1_16block_id_wrapperIjLb1EEEEE10hipError_tT1_PNSt15iterator_traitsISI_E10value_typeET2_T3_PNSJ_ISO_E10value_typeET4_T5_PST_SU_PNS1_23onesweep_lookback_stateEbbT6_jjT7_P12ihipStream_tbENKUlT_T0_SI_SN_E_clISD_PjSD_S15_EEDaS11_S12_SI_SN_EUlS11_E_NS1_11comp_targetILNS1_3genE5ELNS1_11target_archE942ELNS1_3gpuE9ELNS1_3repE0EEENS1_47radix_sort_onesweep_sort_config_static_selectorELNS0_4arch9wavefront6targetE1EEEvSI_.numbered_sgpr, 0
	.set _ZN7rocprim17ROCPRIM_400000_NS6detail17trampoline_kernelINS0_14default_configENS1_35radix_sort_onesweep_config_selectorIjjEEZZNS1_29radix_sort_onesweep_iterationIS3_Lb0EN6thrust23THRUST_200600_302600_NS6detail15normal_iteratorINS8_10device_ptrIjEEEESD_SD_SD_jNS0_19identity_decomposerENS1_16block_id_wrapperIjLb1EEEEE10hipError_tT1_PNSt15iterator_traitsISI_E10value_typeET2_T3_PNSJ_ISO_E10value_typeET4_T5_PST_SU_PNS1_23onesweep_lookback_stateEbbT6_jjT7_P12ihipStream_tbENKUlT_T0_SI_SN_E_clISD_PjSD_S15_EEDaS11_S12_SI_SN_EUlS11_E_NS1_11comp_targetILNS1_3genE5ELNS1_11target_archE942ELNS1_3gpuE9ELNS1_3repE0EEENS1_47radix_sort_onesweep_sort_config_static_selectorELNS0_4arch9wavefront6targetE1EEEvSI_.num_named_barrier, 0
	.set _ZN7rocprim17ROCPRIM_400000_NS6detail17trampoline_kernelINS0_14default_configENS1_35radix_sort_onesweep_config_selectorIjjEEZZNS1_29radix_sort_onesweep_iterationIS3_Lb0EN6thrust23THRUST_200600_302600_NS6detail15normal_iteratorINS8_10device_ptrIjEEEESD_SD_SD_jNS0_19identity_decomposerENS1_16block_id_wrapperIjLb1EEEEE10hipError_tT1_PNSt15iterator_traitsISI_E10value_typeET2_T3_PNSJ_ISO_E10value_typeET4_T5_PST_SU_PNS1_23onesweep_lookback_stateEbbT6_jjT7_P12ihipStream_tbENKUlT_T0_SI_SN_E_clISD_PjSD_S15_EEDaS11_S12_SI_SN_EUlS11_E_NS1_11comp_targetILNS1_3genE5ELNS1_11target_archE942ELNS1_3gpuE9ELNS1_3repE0EEENS1_47radix_sort_onesweep_sort_config_static_selectorELNS0_4arch9wavefront6targetE1EEEvSI_.private_seg_size, 0
	.set _ZN7rocprim17ROCPRIM_400000_NS6detail17trampoline_kernelINS0_14default_configENS1_35radix_sort_onesweep_config_selectorIjjEEZZNS1_29radix_sort_onesweep_iterationIS3_Lb0EN6thrust23THRUST_200600_302600_NS6detail15normal_iteratorINS8_10device_ptrIjEEEESD_SD_SD_jNS0_19identity_decomposerENS1_16block_id_wrapperIjLb1EEEEE10hipError_tT1_PNSt15iterator_traitsISI_E10value_typeET2_T3_PNSJ_ISO_E10value_typeET4_T5_PST_SU_PNS1_23onesweep_lookback_stateEbbT6_jjT7_P12ihipStream_tbENKUlT_T0_SI_SN_E_clISD_PjSD_S15_EEDaS11_S12_SI_SN_EUlS11_E_NS1_11comp_targetILNS1_3genE5ELNS1_11target_archE942ELNS1_3gpuE9ELNS1_3repE0EEENS1_47radix_sort_onesweep_sort_config_static_selectorELNS0_4arch9wavefront6targetE1EEEvSI_.uses_vcc, 0
	.set _ZN7rocprim17ROCPRIM_400000_NS6detail17trampoline_kernelINS0_14default_configENS1_35radix_sort_onesweep_config_selectorIjjEEZZNS1_29radix_sort_onesweep_iterationIS3_Lb0EN6thrust23THRUST_200600_302600_NS6detail15normal_iteratorINS8_10device_ptrIjEEEESD_SD_SD_jNS0_19identity_decomposerENS1_16block_id_wrapperIjLb1EEEEE10hipError_tT1_PNSt15iterator_traitsISI_E10value_typeET2_T3_PNSJ_ISO_E10value_typeET4_T5_PST_SU_PNS1_23onesweep_lookback_stateEbbT6_jjT7_P12ihipStream_tbENKUlT_T0_SI_SN_E_clISD_PjSD_S15_EEDaS11_S12_SI_SN_EUlS11_E_NS1_11comp_targetILNS1_3genE5ELNS1_11target_archE942ELNS1_3gpuE9ELNS1_3repE0EEENS1_47radix_sort_onesweep_sort_config_static_selectorELNS0_4arch9wavefront6targetE1EEEvSI_.uses_flat_scratch, 0
	.set _ZN7rocprim17ROCPRIM_400000_NS6detail17trampoline_kernelINS0_14default_configENS1_35radix_sort_onesweep_config_selectorIjjEEZZNS1_29radix_sort_onesweep_iterationIS3_Lb0EN6thrust23THRUST_200600_302600_NS6detail15normal_iteratorINS8_10device_ptrIjEEEESD_SD_SD_jNS0_19identity_decomposerENS1_16block_id_wrapperIjLb1EEEEE10hipError_tT1_PNSt15iterator_traitsISI_E10value_typeET2_T3_PNSJ_ISO_E10value_typeET4_T5_PST_SU_PNS1_23onesweep_lookback_stateEbbT6_jjT7_P12ihipStream_tbENKUlT_T0_SI_SN_E_clISD_PjSD_S15_EEDaS11_S12_SI_SN_EUlS11_E_NS1_11comp_targetILNS1_3genE5ELNS1_11target_archE942ELNS1_3gpuE9ELNS1_3repE0EEENS1_47radix_sort_onesweep_sort_config_static_selectorELNS0_4arch9wavefront6targetE1EEEvSI_.has_dyn_sized_stack, 0
	.set _ZN7rocprim17ROCPRIM_400000_NS6detail17trampoline_kernelINS0_14default_configENS1_35radix_sort_onesweep_config_selectorIjjEEZZNS1_29radix_sort_onesweep_iterationIS3_Lb0EN6thrust23THRUST_200600_302600_NS6detail15normal_iteratorINS8_10device_ptrIjEEEESD_SD_SD_jNS0_19identity_decomposerENS1_16block_id_wrapperIjLb1EEEEE10hipError_tT1_PNSt15iterator_traitsISI_E10value_typeET2_T3_PNSJ_ISO_E10value_typeET4_T5_PST_SU_PNS1_23onesweep_lookback_stateEbbT6_jjT7_P12ihipStream_tbENKUlT_T0_SI_SN_E_clISD_PjSD_S15_EEDaS11_S12_SI_SN_EUlS11_E_NS1_11comp_targetILNS1_3genE5ELNS1_11target_archE942ELNS1_3gpuE9ELNS1_3repE0EEENS1_47radix_sort_onesweep_sort_config_static_selectorELNS0_4arch9wavefront6targetE1EEEvSI_.has_recursion, 0
	.set _ZN7rocprim17ROCPRIM_400000_NS6detail17trampoline_kernelINS0_14default_configENS1_35radix_sort_onesweep_config_selectorIjjEEZZNS1_29radix_sort_onesweep_iterationIS3_Lb0EN6thrust23THRUST_200600_302600_NS6detail15normal_iteratorINS8_10device_ptrIjEEEESD_SD_SD_jNS0_19identity_decomposerENS1_16block_id_wrapperIjLb1EEEEE10hipError_tT1_PNSt15iterator_traitsISI_E10value_typeET2_T3_PNSJ_ISO_E10value_typeET4_T5_PST_SU_PNS1_23onesweep_lookback_stateEbbT6_jjT7_P12ihipStream_tbENKUlT_T0_SI_SN_E_clISD_PjSD_S15_EEDaS11_S12_SI_SN_EUlS11_E_NS1_11comp_targetILNS1_3genE5ELNS1_11target_archE942ELNS1_3gpuE9ELNS1_3repE0EEENS1_47radix_sort_onesweep_sort_config_static_selectorELNS0_4arch9wavefront6targetE1EEEvSI_.has_indirect_call, 0
	.section	.AMDGPU.csdata,"",@progbits
; Kernel info:
; codeLenInByte = 0
; TotalNumSgprs: 6
; NumVgprs: 0
; NumAgprs: 0
; TotalNumVgprs: 0
; ScratchSize: 0
; MemoryBound: 0
; FloatMode: 240
; IeeeMode: 1
; LDSByteSize: 0 bytes/workgroup (compile time only)
; SGPRBlocks: 0
; VGPRBlocks: 0
; NumSGPRsForWavesPerEU: 6
; NumVGPRsForWavesPerEU: 1
; AccumOffset: 4
; Occupancy: 8
; WaveLimiterHint : 0
; COMPUTE_PGM_RSRC2:SCRATCH_EN: 0
; COMPUTE_PGM_RSRC2:USER_SGPR: 2
; COMPUTE_PGM_RSRC2:TRAP_HANDLER: 0
; COMPUTE_PGM_RSRC2:TGID_X_EN: 1
; COMPUTE_PGM_RSRC2:TGID_Y_EN: 0
; COMPUTE_PGM_RSRC2:TGID_Z_EN: 0
; COMPUTE_PGM_RSRC2:TIDIG_COMP_CNT: 0
; COMPUTE_PGM_RSRC3_GFX90A:ACCUM_OFFSET: 0
; COMPUTE_PGM_RSRC3_GFX90A:TG_SPLIT: 0
	.section	.text._ZN7rocprim17ROCPRIM_400000_NS6detail17trampoline_kernelINS0_14default_configENS1_35radix_sort_onesweep_config_selectorIjjEEZZNS1_29radix_sort_onesweep_iterationIS3_Lb0EN6thrust23THRUST_200600_302600_NS6detail15normal_iteratorINS8_10device_ptrIjEEEESD_SD_SD_jNS0_19identity_decomposerENS1_16block_id_wrapperIjLb1EEEEE10hipError_tT1_PNSt15iterator_traitsISI_E10value_typeET2_T3_PNSJ_ISO_E10value_typeET4_T5_PST_SU_PNS1_23onesweep_lookback_stateEbbT6_jjT7_P12ihipStream_tbENKUlT_T0_SI_SN_E_clISD_PjSD_S15_EEDaS11_S12_SI_SN_EUlS11_E_NS1_11comp_targetILNS1_3genE2ELNS1_11target_archE906ELNS1_3gpuE6ELNS1_3repE0EEENS1_47radix_sort_onesweep_sort_config_static_selectorELNS0_4arch9wavefront6targetE1EEEvSI_,"axG",@progbits,_ZN7rocprim17ROCPRIM_400000_NS6detail17trampoline_kernelINS0_14default_configENS1_35radix_sort_onesweep_config_selectorIjjEEZZNS1_29radix_sort_onesweep_iterationIS3_Lb0EN6thrust23THRUST_200600_302600_NS6detail15normal_iteratorINS8_10device_ptrIjEEEESD_SD_SD_jNS0_19identity_decomposerENS1_16block_id_wrapperIjLb1EEEEE10hipError_tT1_PNSt15iterator_traitsISI_E10value_typeET2_T3_PNSJ_ISO_E10value_typeET4_T5_PST_SU_PNS1_23onesweep_lookback_stateEbbT6_jjT7_P12ihipStream_tbENKUlT_T0_SI_SN_E_clISD_PjSD_S15_EEDaS11_S12_SI_SN_EUlS11_E_NS1_11comp_targetILNS1_3genE2ELNS1_11target_archE906ELNS1_3gpuE6ELNS1_3repE0EEENS1_47radix_sort_onesweep_sort_config_static_selectorELNS0_4arch9wavefront6targetE1EEEvSI_,comdat
	.protected	_ZN7rocprim17ROCPRIM_400000_NS6detail17trampoline_kernelINS0_14default_configENS1_35radix_sort_onesweep_config_selectorIjjEEZZNS1_29radix_sort_onesweep_iterationIS3_Lb0EN6thrust23THRUST_200600_302600_NS6detail15normal_iteratorINS8_10device_ptrIjEEEESD_SD_SD_jNS0_19identity_decomposerENS1_16block_id_wrapperIjLb1EEEEE10hipError_tT1_PNSt15iterator_traitsISI_E10value_typeET2_T3_PNSJ_ISO_E10value_typeET4_T5_PST_SU_PNS1_23onesweep_lookback_stateEbbT6_jjT7_P12ihipStream_tbENKUlT_T0_SI_SN_E_clISD_PjSD_S15_EEDaS11_S12_SI_SN_EUlS11_E_NS1_11comp_targetILNS1_3genE2ELNS1_11target_archE906ELNS1_3gpuE6ELNS1_3repE0EEENS1_47radix_sort_onesweep_sort_config_static_selectorELNS0_4arch9wavefront6targetE1EEEvSI_ ; -- Begin function _ZN7rocprim17ROCPRIM_400000_NS6detail17trampoline_kernelINS0_14default_configENS1_35radix_sort_onesweep_config_selectorIjjEEZZNS1_29radix_sort_onesweep_iterationIS3_Lb0EN6thrust23THRUST_200600_302600_NS6detail15normal_iteratorINS8_10device_ptrIjEEEESD_SD_SD_jNS0_19identity_decomposerENS1_16block_id_wrapperIjLb1EEEEE10hipError_tT1_PNSt15iterator_traitsISI_E10value_typeET2_T3_PNSJ_ISO_E10value_typeET4_T5_PST_SU_PNS1_23onesweep_lookback_stateEbbT6_jjT7_P12ihipStream_tbENKUlT_T0_SI_SN_E_clISD_PjSD_S15_EEDaS11_S12_SI_SN_EUlS11_E_NS1_11comp_targetILNS1_3genE2ELNS1_11target_archE906ELNS1_3gpuE6ELNS1_3repE0EEENS1_47radix_sort_onesweep_sort_config_static_selectorELNS0_4arch9wavefront6targetE1EEEvSI_
	.globl	_ZN7rocprim17ROCPRIM_400000_NS6detail17trampoline_kernelINS0_14default_configENS1_35radix_sort_onesweep_config_selectorIjjEEZZNS1_29radix_sort_onesweep_iterationIS3_Lb0EN6thrust23THRUST_200600_302600_NS6detail15normal_iteratorINS8_10device_ptrIjEEEESD_SD_SD_jNS0_19identity_decomposerENS1_16block_id_wrapperIjLb1EEEEE10hipError_tT1_PNSt15iterator_traitsISI_E10value_typeET2_T3_PNSJ_ISO_E10value_typeET4_T5_PST_SU_PNS1_23onesweep_lookback_stateEbbT6_jjT7_P12ihipStream_tbENKUlT_T0_SI_SN_E_clISD_PjSD_S15_EEDaS11_S12_SI_SN_EUlS11_E_NS1_11comp_targetILNS1_3genE2ELNS1_11target_archE906ELNS1_3gpuE6ELNS1_3repE0EEENS1_47radix_sort_onesweep_sort_config_static_selectorELNS0_4arch9wavefront6targetE1EEEvSI_
	.p2align	8
	.type	_ZN7rocprim17ROCPRIM_400000_NS6detail17trampoline_kernelINS0_14default_configENS1_35radix_sort_onesweep_config_selectorIjjEEZZNS1_29radix_sort_onesweep_iterationIS3_Lb0EN6thrust23THRUST_200600_302600_NS6detail15normal_iteratorINS8_10device_ptrIjEEEESD_SD_SD_jNS0_19identity_decomposerENS1_16block_id_wrapperIjLb1EEEEE10hipError_tT1_PNSt15iterator_traitsISI_E10value_typeET2_T3_PNSJ_ISO_E10value_typeET4_T5_PST_SU_PNS1_23onesweep_lookback_stateEbbT6_jjT7_P12ihipStream_tbENKUlT_T0_SI_SN_E_clISD_PjSD_S15_EEDaS11_S12_SI_SN_EUlS11_E_NS1_11comp_targetILNS1_3genE2ELNS1_11target_archE906ELNS1_3gpuE6ELNS1_3repE0EEENS1_47radix_sort_onesweep_sort_config_static_selectorELNS0_4arch9wavefront6targetE1EEEvSI_,@function
_ZN7rocprim17ROCPRIM_400000_NS6detail17trampoline_kernelINS0_14default_configENS1_35radix_sort_onesweep_config_selectorIjjEEZZNS1_29radix_sort_onesweep_iterationIS3_Lb0EN6thrust23THRUST_200600_302600_NS6detail15normal_iteratorINS8_10device_ptrIjEEEESD_SD_SD_jNS0_19identity_decomposerENS1_16block_id_wrapperIjLb1EEEEE10hipError_tT1_PNSt15iterator_traitsISI_E10value_typeET2_T3_PNSJ_ISO_E10value_typeET4_T5_PST_SU_PNS1_23onesweep_lookback_stateEbbT6_jjT7_P12ihipStream_tbENKUlT_T0_SI_SN_E_clISD_PjSD_S15_EEDaS11_S12_SI_SN_EUlS11_E_NS1_11comp_targetILNS1_3genE2ELNS1_11target_archE906ELNS1_3gpuE6ELNS1_3repE0EEENS1_47radix_sort_onesweep_sort_config_static_selectorELNS0_4arch9wavefront6targetE1EEEvSI_: ; @_ZN7rocprim17ROCPRIM_400000_NS6detail17trampoline_kernelINS0_14default_configENS1_35radix_sort_onesweep_config_selectorIjjEEZZNS1_29radix_sort_onesweep_iterationIS3_Lb0EN6thrust23THRUST_200600_302600_NS6detail15normal_iteratorINS8_10device_ptrIjEEEESD_SD_SD_jNS0_19identity_decomposerENS1_16block_id_wrapperIjLb1EEEEE10hipError_tT1_PNSt15iterator_traitsISI_E10value_typeET2_T3_PNSJ_ISO_E10value_typeET4_T5_PST_SU_PNS1_23onesweep_lookback_stateEbbT6_jjT7_P12ihipStream_tbENKUlT_T0_SI_SN_E_clISD_PjSD_S15_EEDaS11_S12_SI_SN_EUlS11_E_NS1_11comp_targetILNS1_3genE2ELNS1_11target_archE906ELNS1_3gpuE6ELNS1_3repE0EEENS1_47radix_sort_onesweep_sort_config_static_selectorELNS0_4arch9wavefront6targetE1EEEvSI_
; %bb.0:
	.section	.rodata,"a",@progbits
	.p2align	6, 0x0
	.amdhsa_kernel _ZN7rocprim17ROCPRIM_400000_NS6detail17trampoline_kernelINS0_14default_configENS1_35radix_sort_onesweep_config_selectorIjjEEZZNS1_29radix_sort_onesweep_iterationIS3_Lb0EN6thrust23THRUST_200600_302600_NS6detail15normal_iteratorINS8_10device_ptrIjEEEESD_SD_SD_jNS0_19identity_decomposerENS1_16block_id_wrapperIjLb1EEEEE10hipError_tT1_PNSt15iterator_traitsISI_E10value_typeET2_T3_PNSJ_ISO_E10value_typeET4_T5_PST_SU_PNS1_23onesweep_lookback_stateEbbT6_jjT7_P12ihipStream_tbENKUlT_T0_SI_SN_E_clISD_PjSD_S15_EEDaS11_S12_SI_SN_EUlS11_E_NS1_11comp_targetILNS1_3genE2ELNS1_11target_archE906ELNS1_3gpuE6ELNS1_3repE0EEENS1_47radix_sort_onesweep_sort_config_static_selectorELNS0_4arch9wavefront6targetE1EEEvSI_
		.amdhsa_group_segment_fixed_size 0
		.amdhsa_private_segment_fixed_size 0
		.amdhsa_kernarg_size 88
		.amdhsa_user_sgpr_count 2
		.amdhsa_user_sgpr_dispatch_ptr 0
		.amdhsa_user_sgpr_queue_ptr 0
		.amdhsa_user_sgpr_kernarg_segment_ptr 1
		.amdhsa_user_sgpr_dispatch_id 0
		.amdhsa_user_sgpr_kernarg_preload_length 0
		.amdhsa_user_sgpr_kernarg_preload_offset 0
		.amdhsa_user_sgpr_private_segment_size 0
		.amdhsa_uses_dynamic_stack 0
		.amdhsa_enable_private_segment 0
		.amdhsa_system_sgpr_workgroup_id_x 1
		.amdhsa_system_sgpr_workgroup_id_y 0
		.amdhsa_system_sgpr_workgroup_id_z 0
		.amdhsa_system_sgpr_workgroup_info 0
		.amdhsa_system_vgpr_workitem_id 0
		.amdhsa_next_free_vgpr 1
		.amdhsa_next_free_sgpr 0
		.amdhsa_accum_offset 4
		.amdhsa_reserve_vcc 0
		.amdhsa_float_round_mode_32 0
		.amdhsa_float_round_mode_16_64 0
		.amdhsa_float_denorm_mode_32 3
		.amdhsa_float_denorm_mode_16_64 3
		.amdhsa_dx10_clamp 1
		.amdhsa_ieee_mode 1
		.amdhsa_fp16_overflow 0
		.amdhsa_tg_split 0
		.amdhsa_exception_fp_ieee_invalid_op 0
		.amdhsa_exception_fp_denorm_src 0
		.amdhsa_exception_fp_ieee_div_zero 0
		.amdhsa_exception_fp_ieee_overflow 0
		.amdhsa_exception_fp_ieee_underflow 0
		.amdhsa_exception_fp_ieee_inexact 0
		.amdhsa_exception_int_div_zero 0
	.end_amdhsa_kernel
	.section	.text._ZN7rocprim17ROCPRIM_400000_NS6detail17trampoline_kernelINS0_14default_configENS1_35radix_sort_onesweep_config_selectorIjjEEZZNS1_29radix_sort_onesweep_iterationIS3_Lb0EN6thrust23THRUST_200600_302600_NS6detail15normal_iteratorINS8_10device_ptrIjEEEESD_SD_SD_jNS0_19identity_decomposerENS1_16block_id_wrapperIjLb1EEEEE10hipError_tT1_PNSt15iterator_traitsISI_E10value_typeET2_T3_PNSJ_ISO_E10value_typeET4_T5_PST_SU_PNS1_23onesweep_lookback_stateEbbT6_jjT7_P12ihipStream_tbENKUlT_T0_SI_SN_E_clISD_PjSD_S15_EEDaS11_S12_SI_SN_EUlS11_E_NS1_11comp_targetILNS1_3genE2ELNS1_11target_archE906ELNS1_3gpuE6ELNS1_3repE0EEENS1_47radix_sort_onesweep_sort_config_static_selectorELNS0_4arch9wavefront6targetE1EEEvSI_,"axG",@progbits,_ZN7rocprim17ROCPRIM_400000_NS6detail17trampoline_kernelINS0_14default_configENS1_35radix_sort_onesweep_config_selectorIjjEEZZNS1_29radix_sort_onesweep_iterationIS3_Lb0EN6thrust23THRUST_200600_302600_NS6detail15normal_iteratorINS8_10device_ptrIjEEEESD_SD_SD_jNS0_19identity_decomposerENS1_16block_id_wrapperIjLb1EEEEE10hipError_tT1_PNSt15iterator_traitsISI_E10value_typeET2_T3_PNSJ_ISO_E10value_typeET4_T5_PST_SU_PNS1_23onesweep_lookback_stateEbbT6_jjT7_P12ihipStream_tbENKUlT_T0_SI_SN_E_clISD_PjSD_S15_EEDaS11_S12_SI_SN_EUlS11_E_NS1_11comp_targetILNS1_3genE2ELNS1_11target_archE906ELNS1_3gpuE6ELNS1_3repE0EEENS1_47radix_sort_onesweep_sort_config_static_selectorELNS0_4arch9wavefront6targetE1EEEvSI_,comdat
.Lfunc_end763:
	.size	_ZN7rocprim17ROCPRIM_400000_NS6detail17trampoline_kernelINS0_14default_configENS1_35radix_sort_onesweep_config_selectorIjjEEZZNS1_29radix_sort_onesweep_iterationIS3_Lb0EN6thrust23THRUST_200600_302600_NS6detail15normal_iteratorINS8_10device_ptrIjEEEESD_SD_SD_jNS0_19identity_decomposerENS1_16block_id_wrapperIjLb1EEEEE10hipError_tT1_PNSt15iterator_traitsISI_E10value_typeET2_T3_PNSJ_ISO_E10value_typeET4_T5_PST_SU_PNS1_23onesweep_lookback_stateEbbT6_jjT7_P12ihipStream_tbENKUlT_T0_SI_SN_E_clISD_PjSD_S15_EEDaS11_S12_SI_SN_EUlS11_E_NS1_11comp_targetILNS1_3genE2ELNS1_11target_archE906ELNS1_3gpuE6ELNS1_3repE0EEENS1_47radix_sort_onesweep_sort_config_static_selectorELNS0_4arch9wavefront6targetE1EEEvSI_, .Lfunc_end763-_ZN7rocprim17ROCPRIM_400000_NS6detail17trampoline_kernelINS0_14default_configENS1_35radix_sort_onesweep_config_selectorIjjEEZZNS1_29radix_sort_onesweep_iterationIS3_Lb0EN6thrust23THRUST_200600_302600_NS6detail15normal_iteratorINS8_10device_ptrIjEEEESD_SD_SD_jNS0_19identity_decomposerENS1_16block_id_wrapperIjLb1EEEEE10hipError_tT1_PNSt15iterator_traitsISI_E10value_typeET2_T3_PNSJ_ISO_E10value_typeET4_T5_PST_SU_PNS1_23onesweep_lookback_stateEbbT6_jjT7_P12ihipStream_tbENKUlT_T0_SI_SN_E_clISD_PjSD_S15_EEDaS11_S12_SI_SN_EUlS11_E_NS1_11comp_targetILNS1_3genE2ELNS1_11target_archE906ELNS1_3gpuE6ELNS1_3repE0EEENS1_47radix_sort_onesweep_sort_config_static_selectorELNS0_4arch9wavefront6targetE1EEEvSI_
                                        ; -- End function
	.set _ZN7rocprim17ROCPRIM_400000_NS6detail17trampoline_kernelINS0_14default_configENS1_35radix_sort_onesweep_config_selectorIjjEEZZNS1_29radix_sort_onesweep_iterationIS3_Lb0EN6thrust23THRUST_200600_302600_NS6detail15normal_iteratorINS8_10device_ptrIjEEEESD_SD_SD_jNS0_19identity_decomposerENS1_16block_id_wrapperIjLb1EEEEE10hipError_tT1_PNSt15iterator_traitsISI_E10value_typeET2_T3_PNSJ_ISO_E10value_typeET4_T5_PST_SU_PNS1_23onesweep_lookback_stateEbbT6_jjT7_P12ihipStream_tbENKUlT_T0_SI_SN_E_clISD_PjSD_S15_EEDaS11_S12_SI_SN_EUlS11_E_NS1_11comp_targetILNS1_3genE2ELNS1_11target_archE906ELNS1_3gpuE6ELNS1_3repE0EEENS1_47radix_sort_onesweep_sort_config_static_selectorELNS0_4arch9wavefront6targetE1EEEvSI_.num_vgpr, 0
	.set _ZN7rocprim17ROCPRIM_400000_NS6detail17trampoline_kernelINS0_14default_configENS1_35radix_sort_onesweep_config_selectorIjjEEZZNS1_29radix_sort_onesweep_iterationIS3_Lb0EN6thrust23THRUST_200600_302600_NS6detail15normal_iteratorINS8_10device_ptrIjEEEESD_SD_SD_jNS0_19identity_decomposerENS1_16block_id_wrapperIjLb1EEEEE10hipError_tT1_PNSt15iterator_traitsISI_E10value_typeET2_T3_PNSJ_ISO_E10value_typeET4_T5_PST_SU_PNS1_23onesweep_lookback_stateEbbT6_jjT7_P12ihipStream_tbENKUlT_T0_SI_SN_E_clISD_PjSD_S15_EEDaS11_S12_SI_SN_EUlS11_E_NS1_11comp_targetILNS1_3genE2ELNS1_11target_archE906ELNS1_3gpuE6ELNS1_3repE0EEENS1_47radix_sort_onesweep_sort_config_static_selectorELNS0_4arch9wavefront6targetE1EEEvSI_.num_agpr, 0
	.set _ZN7rocprim17ROCPRIM_400000_NS6detail17trampoline_kernelINS0_14default_configENS1_35radix_sort_onesweep_config_selectorIjjEEZZNS1_29radix_sort_onesweep_iterationIS3_Lb0EN6thrust23THRUST_200600_302600_NS6detail15normal_iteratorINS8_10device_ptrIjEEEESD_SD_SD_jNS0_19identity_decomposerENS1_16block_id_wrapperIjLb1EEEEE10hipError_tT1_PNSt15iterator_traitsISI_E10value_typeET2_T3_PNSJ_ISO_E10value_typeET4_T5_PST_SU_PNS1_23onesweep_lookback_stateEbbT6_jjT7_P12ihipStream_tbENKUlT_T0_SI_SN_E_clISD_PjSD_S15_EEDaS11_S12_SI_SN_EUlS11_E_NS1_11comp_targetILNS1_3genE2ELNS1_11target_archE906ELNS1_3gpuE6ELNS1_3repE0EEENS1_47radix_sort_onesweep_sort_config_static_selectorELNS0_4arch9wavefront6targetE1EEEvSI_.numbered_sgpr, 0
	.set _ZN7rocprim17ROCPRIM_400000_NS6detail17trampoline_kernelINS0_14default_configENS1_35radix_sort_onesweep_config_selectorIjjEEZZNS1_29radix_sort_onesweep_iterationIS3_Lb0EN6thrust23THRUST_200600_302600_NS6detail15normal_iteratorINS8_10device_ptrIjEEEESD_SD_SD_jNS0_19identity_decomposerENS1_16block_id_wrapperIjLb1EEEEE10hipError_tT1_PNSt15iterator_traitsISI_E10value_typeET2_T3_PNSJ_ISO_E10value_typeET4_T5_PST_SU_PNS1_23onesweep_lookback_stateEbbT6_jjT7_P12ihipStream_tbENKUlT_T0_SI_SN_E_clISD_PjSD_S15_EEDaS11_S12_SI_SN_EUlS11_E_NS1_11comp_targetILNS1_3genE2ELNS1_11target_archE906ELNS1_3gpuE6ELNS1_3repE0EEENS1_47radix_sort_onesweep_sort_config_static_selectorELNS0_4arch9wavefront6targetE1EEEvSI_.num_named_barrier, 0
	.set _ZN7rocprim17ROCPRIM_400000_NS6detail17trampoline_kernelINS0_14default_configENS1_35radix_sort_onesweep_config_selectorIjjEEZZNS1_29radix_sort_onesweep_iterationIS3_Lb0EN6thrust23THRUST_200600_302600_NS6detail15normal_iteratorINS8_10device_ptrIjEEEESD_SD_SD_jNS0_19identity_decomposerENS1_16block_id_wrapperIjLb1EEEEE10hipError_tT1_PNSt15iterator_traitsISI_E10value_typeET2_T3_PNSJ_ISO_E10value_typeET4_T5_PST_SU_PNS1_23onesweep_lookback_stateEbbT6_jjT7_P12ihipStream_tbENKUlT_T0_SI_SN_E_clISD_PjSD_S15_EEDaS11_S12_SI_SN_EUlS11_E_NS1_11comp_targetILNS1_3genE2ELNS1_11target_archE906ELNS1_3gpuE6ELNS1_3repE0EEENS1_47radix_sort_onesweep_sort_config_static_selectorELNS0_4arch9wavefront6targetE1EEEvSI_.private_seg_size, 0
	.set _ZN7rocprim17ROCPRIM_400000_NS6detail17trampoline_kernelINS0_14default_configENS1_35radix_sort_onesweep_config_selectorIjjEEZZNS1_29radix_sort_onesweep_iterationIS3_Lb0EN6thrust23THRUST_200600_302600_NS6detail15normal_iteratorINS8_10device_ptrIjEEEESD_SD_SD_jNS0_19identity_decomposerENS1_16block_id_wrapperIjLb1EEEEE10hipError_tT1_PNSt15iterator_traitsISI_E10value_typeET2_T3_PNSJ_ISO_E10value_typeET4_T5_PST_SU_PNS1_23onesweep_lookback_stateEbbT6_jjT7_P12ihipStream_tbENKUlT_T0_SI_SN_E_clISD_PjSD_S15_EEDaS11_S12_SI_SN_EUlS11_E_NS1_11comp_targetILNS1_3genE2ELNS1_11target_archE906ELNS1_3gpuE6ELNS1_3repE0EEENS1_47radix_sort_onesweep_sort_config_static_selectorELNS0_4arch9wavefront6targetE1EEEvSI_.uses_vcc, 0
	.set _ZN7rocprim17ROCPRIM_400000_NS6detail17trampoline_kernelINS0_14default_configENS1_35radix_sort_onesweep_config_selectorIjjEEZZNS1_29radix_sort_onesweep_iterationIS3_Lb0EN6thrust23THRUST_200600_302600_NS6detail15normal_iteratorINS8_10device_ptrIjEEEESD_SD_SD_jNS0_19identity_decomposerENS1_16block_id_wrapperIjLb1EEEEE10hipError_tT1_PNSt15iterator_traitsISI_E10value_typeET2_T3_PNSJ_ISO_E10value_typeET4_T5_PST_SU_PNS1_23onesweep_lookback_stateEbbT6_jjT7_P12ihipStream_tbENKUlT_T0_SI_SN_E_clISD_PjSD_S15_EEDaS11_S12_SI_SN_EUlS11_E_NS1_11comp_targetILNS1_3genE2ELNS1_11target_archE906ELNS1_3gpuE6ELNS1_3repE0EEENS1_47radix_sort_onesweep_sort_config_static_selectorELNS0_4arch9wavefront6targetE1EEEvSI_.uses_flat_scratch, 0
	.set _ZN7rocprim17ROCPRIM_400000_NS6detail17trampoline_kernelINS0_14default_configENS1_35radix_sort_onesweep_config_selectorIjjEEZZNS1_29radix_sort_onesweep_iterationIS3_Lb0EN6thrust23THRUST_200600_302600_NS6detail15normal_iteratorINS8_10device_ptrIjEEEESD_SD_SD_jNS0_19identity_decomposerENS1_16block_id_wrapperIjLb1EEEEE10hipError_tT1_PNSt15iterator_traitsISI_E10value_typeET2_T3_PNSJ_ISO_E10value_typeET4_T5_PST_SU_PNS1_23onesweep_lookback_stateEbbT6_jjT7_P12ihipStream_tbENKUlT_T0_SI_SN_E_clISD_PjSD_S15_EEDaS11_S12_SI_SN_EUlS11_E_NS1_11comp_targetILNS1_3genE2ELNS1_11target_archE906ELNS1_3gpuE6ELNS1_3repE0EEENS1_47radix_sort_onesweep_sort_config_static_selectorELNS0_4arch9wavefront6targetE1EEEvSI_.has_dyn_sized_stack, 0
	.set _ZN7rocprim17ROCPRIM_400000_NS6detail17trampoline_kernelINS0_14default_configENS1_35radix_sort_onesweep_config_selectorIjjEEZZNS1_29radix_sort_onesweep_iterationIS3_Lb0EN6thrust23THRUST_200600_302600_NS6detail15normal_iteratorINS8_10device_ptrIjEEEESD_SD_SD_jNS0_19identity_decomposerENS1_16block_id_wrapperIjLb1EEEEE10hipError_tT1_PNSt15iterator_traitsISI_E10value_typeET2_T3_PNSJ_ISO_E10value_typeET4_T5_PST_SU_PNS1_23onesweep_lookback_stateEbbT6_jjT7_P12ihipStream_tbENKUlT_T0_SI_SN_E_clISD_PjSD_S15_EEDaS11_S12_SI_SN_EUlS11_E_NS1_11comp_targetILNS1_3genE2ELNS1_11target_archE906ELNS1_3gpuE6ELNS1_3repE0EEENS1_47radix_sort_onesweep_sort_config_static_selectorELNS0_4arch9wavefront6targetE1EEEvSI_.has_recursion, 0
	.set _ZN7rocprim17ROCPRIM_400000_NS6detail17trampoline_kernelINS0_14default_configENS1_35radix_sort_onesweep_config_selectorIjjEEZZNS1_29radix_sort_onesweep_iterationIS3_Lb0EN6thrust23THRUST_200600_302600_NS6detail15normal_iteratorINS8_10device_ptrIjEEEESD_SD_SD_jNS0_19identity_decomposerENS1_16block_id_wrapperIjLb1EEEEE10hipError_tT1_PNSt15iterator_traitsISI_E10value_typeET2_T3_PNSJ_ISO_E10value_typeET4_T5_PST_SU_PNS1_23onesweep_lookback_stateEbbT6_jjT7_P12ihipStream_tbENKUlT_T0_SI_SN_E_clISD_PjSD_S15_EEDaS11_S12_SI_SN_EUlS11_E_NS1_11comp_targetILNS1_3genE2ELNS1_11target_archE906ELNS1_3gpuE6ELNS1_3repE0EEENS1_47radix_sort_onesweep_sort_config_static_selectorELNS0_4arch9wavefront6targetE1EEEvSI_.has_indirect_call, 0
	.section	.AMDGPU.csdata,"",@progbits
; Kernel info:
; codeLenInByte = 0
; TotalNumSgprs: 6
; NumVgprs: 0
; NumAgprs: 0
; TotalNumVgprs: 0
; ScratchSize: 0
; MemoryBound: 0
; FloatMode: 240
; IeeeMode: 1
; LDSByteSize: 0 bytes/workgroup (compile time only)
; SGPRBlocks: 0
; VGPRBlocks: 0
; NumSGPRsForWavesPerEU: 6
; NumVGPRsForWavesPerEU: 1
; AccumOffset: 4
; Occupancy: 8
; WaveLimiterHint : 0
; COMPUTE_PGM_RSRC2:SCRATCH_EN: 0
; COMPUTE_PGM_RSRC2:USER_SGPR: 2
; COMPUTE_PGM_RSRC2:TRAP_HANDLER: 0
; COMPUTE_PGM_RSRC2:TGID_X_EN: 1
; COMPUTE_PGM_RSRC2:TGID_Y_EN: 0
; COMPUTE_PGM_RSRC2:TGID_Z_EN: 0
; COMPUTE_PGM_RSRC2:TIDIG_COMP_CNT: 0
; COMPUTE_PGM_RSRC3_GFX90A:ACCUM_OFFSET: 0
; COMPUTE_PGM_RSRC3_GFX90A:TG_SPLIT: 0
	.section	.text._ZN7rocprim17ROCPRIM_400000_NS6detail17trampoline_kernelINS0_14default_configENS1_35radix_sort_onesweep_config_selectorIjjEEZZNS1_29radix_sort_onesweep_iterationIS3_Lb0EN6thrust23THRUST_200600_302600_NS6detail15normal_iteratorINS8_10device_ptrIjEEEESD_SD_SD_jNS0_19identity_decomposerENS1_16block_id_wrapperIjLb1EEEEE10hipError_tT1_PNSt15iterator_traitsISI_E10value_typeET2_T3_PNSJ_ISO_E10value_typeET4_T5_PST_SU_PNS1_23onesweep_lookback_stateEbbT6_jjT7_P12ihipStream_tbENKUlT_T0_SI_SN_E_clISD_PjSD_S15_EEDaS11_S12_SI_SN_EUlS11_E_NS1_11comp_targetILNS1_3genE4ELNS1_11target_archE910ELNS1_3gpuE8ELNS1_3repE0EEENS1_47radix_sort_onesweep_sort_config_static_selectorELNS0_4arch9wavefront6targetE1EEEvSI_,"axG",@progbits,_ZN7rocprim17ROCPRIM_400000_NS6detail17trampoline_kernelINS0_14default_configENS1_35radix_sort_onesweep_config_selectorIjjEEZZNS1_29radix_sort_onesweep_iterationIS3_Lb0EN6thrust23THRUST_200600_302600_NS6detail15normal_iteratorINS8_10device_ptrIjEEEESD_SD_SD_jNS0_19identity_decomposerENS1_16block_id_wrapperIjLb1EEEEE10hipError_tT1_PNSt15iterator_traitsISI_E10value_typeET2_T3_PNSJ_ISO_E10value_typeET4_T5_PST_SU_PNS1_23onesweep_lookback_stateEbbT6_jjT7_P12ihipStream_tbENKUlT_T0_SI_SN_E_clISD_PjSD_S15_EEDaS11_S12_SI_SN_EUlS11_E_NS1_11comp_targetILNS1_3genE4ELNS1_11target_archE910ELNS1_3gpuE8ELNS1_3repE0EEENS1_47radix_sort_onesweep_sort_config_static_selectorELNS0_4arch9wavefront6targetE1EEEvSI_,comdat
	.protected	_ZN7rocprim17ROCPRIM_400000_NS6detail17trampoline_kernelINS0_14default_configENS1_35radix_sort_onesweep_config_selectorIjjEEZZNS1_29radix_sort_onesweep_iterationIS3_Lb0EN6thrust23THRUST_200600_302600_NS6detail15normal_iteratorINS8_10device_ptrIjEEEESD_SD_SD_jNS0_19identity_decomposerENS1_16block_id_wrapperIjLb1EEEEE10hipError_tT1_PNSt15iterator_traitsISI_E10value_typeET2_T3_PNSJ_ISO_E10value_typeET4_T5_PST_SU_PNS1_23onesweep_lookback_stateEbbT6_jjT7_P12ihipStream_tbENKUlT_T0_SI_SN_E_clISD_PjSD_S15_EEDaS11_S12_SI_SN_EUlS11_E_NS1_11comp_targetILNS1_3genE4ELNS1_11target_archE910ELNS1_3gpuE8ELNS1_3repE0EEENS1_47radix_sort_onesweep_sort_config_static_selectorELNS0_4arch9wavefront6targetE1EEEvSI_ ; -- Begin function _ZN7rocprim17ROCPRIM_400000_NS6detail17trampoline_kernelINS0_14default_configENS1_35radix_sort_onesweep_config_selectorIjjEEZZNS1_29radix_sort_onesweep_iterationIS3_Lb0EN6thrust23THRUST_200600_302600_NS6detail15normal_iteratorINS8_10device_ptrIjEEEESD_SD_SD_jNS0_19identity_decomposerENS1_16block_id_wrapperIjLb1EEEEE10hipError_tT1_PNSt15iterator_traitsISI_E10value_typeET2_T3_PNSJ_ISO_E10value_typeET4_T5_PST_SU_PNS1_23onesweep_lookback_stateEbbT6_jjT7_P12ihipStream_tbENKUlT_T0_SI_SN_E_clISD_PjSD_S15_EEDaS11_S12_SI_SN_EUlS11_E_NS1_11comp_targetILNS1_3genE4ELNS1_11target_archE910ELNS1_3gpuE8ELNS1_3repE0EEENS1_47radix_sort_onesweep_sort_config_static_selectorELNS0_4arch9wavefront6targetE1EEEvSI_
	.globl	_ZN7rocprim17ROCPRIM_400000_NS6detail17trampoline_kernelINS0_14default_configENS1_35radix_sort_onesweep_config_selectorIjjEEZZNS1_29radix_sort_onesweep_iterationIS3_Lb0EN6thrust23THRUST_200600_302600_NS6detail15normal_iteratorINS8_10device_ptrIjEEEESD_SD_SD_jNS0_19identity_decomposerENS1_16block_id_wrapperIjLb1EEEEE10hipError_tT1_PNSt15iterator_traitsISI_E10value_typeET2_T3_PNSJ_ISO_E10value_typeET4_T5_PST_SU_PNS1_23onesweep_lookback_stateEbbT6_jjT7_P12ihipStream_tbENKUlT_T0_SI_SN_E_clISD_PjSD_S15_EEDaS11_S12_SI_SN_EUlS11_E_NS1_11comp_targetILNS1_3genE4ELNS1_11target_archE910ELNS1_3gpuE8ELNS1_3repE0EEENS1_47radix_sort_onesweep_sort_config_static_selectorELNS0_4arch9wavefront6targetE1EEEvSI_
	.p2align	8
	.type	_ZN7rocprim17ROCPRIM_400000_NS6detail17trampoline_kernelINS0_14default_configENS1_35radix_sort_onesweep_config_selectorIjjEEZZNS1_29radix_sort_onesweep_iterationIS3_Lb0EN6thrust23THRUST_200600_302600_NS6detail15normal_iteratorINS8_10device_ptrIjEEEESD_SD_SD_jNS0_19identity_decomposerENS1_16block_id_wrapperIjLb1EEEEE10hipError_tT1_PNSt15iterator_traitsISI_E10value_typeET2_T3_PNSJ_ISO_E10value_typeET4_T5_PST_SU_PNS1_23onesweep_lookback_stateEbbT6_jjT7_P12ihipStream_tbENKUlT_T0_SI_SN_E_clISD_PjSD_S15_EEDaS11_S12_SI_SN_EUlS11_E_NS1_11comp_targetILNS1_3genE4ELNS1_11target_archE910ELNS1_3gpuE8ELNS1_3repE0EEENS1_47radix_sort_onesweep_sort_config_static_selectorELNS0_4arch9wavefront6targetE1EEEvSI_,@function
_ZN7rocprim17ROCPRIM_400000_NS6detail17trampoline_kernelINS0_14default_configENS1_35radix_sort_onesweep_config_selectorIjjEEZZNS1_29radix_sort_onesweep_iterationIS3_Lb0EN6thrust23THRUST_200600_302600_NS6detail15normal_iteratorINS8_10device_ptrIjEEEESD_SD_SD_jNS0_19identity_decomposerENS1_16block_id_wrapperIjLb1EEEEE10hipError_tT1_PNSt15iterator_traitsISI_E10value_typeET2_T3_PNSJ_ISO_E10value_typeET4_T5_PST_SU_PNS1_23onesweep_lookback_stateEbbT6_jjT7_P12ihipStream_tbENKUlT_T0_SI_SN_E_clISD_PjSD_S15_EEDaS11_S12_SI_SN_EUlS11_E_NS1_11comp_targetILNS1_3genE4ELNS1_11target_archE910ELNS1_3gpuE8ELNS1_3repE0EEENS1_47radix_sort_onesweep_sort_config_static_selectorELNS0_4arch9wavefront6targetE1EEEvSI_: ; @_ZN7rocprim17ROCPRIM_400000_NS6detail17trampoline_kernelINS0_14default_configENS1_35radix_sort_onesweep_config_selectorIjjEEZZNS1_29radix_sort_onesweep_iterationIS3_Lb0EN6thrust23THRUST_200600_302600_NS6detail15normal_iteratorINS8_10device_ptrIjEEEESD_SD_SD_jNS0_19identity_decomposerENS1_16block_id_wrapperIjLb1EEEEE10hipError_tT1_PNSt15iterator_traitsISI_E10value_typeET2_T3_PNSJ_ISO_E10value_typeET4_T5_PST_SU_PNS1_23onesweep_lookback_stateEbbT6_jjT7_P12ihipStream_tbENKUlT_T0_SI_SN_E_clISD_PjSD_S15_EEDaS11_S12_SI_SN_EUlS11_E_NS1_11comp_targetILNS1_3genE4ELNS1_11target_archE910ELNS1_3gpuE8ELNS1_3repE0EEENS1_47radix_sort_onesweep_sort_config_static_selectorELNS0_4arch9wavefront6targetE1EEEvSI_
; %bb.0:
	.section	.rodata,"a",@progbits
	.p2align	6, 0x0
	.amdhsa_kernel _ZN7rocprim17ROCPRIM_400000_NS6detail17trampoline_kernelINS0_14default_configENS1_35radix_sort_onesweep_config_selectorIjjEEZZNS1_29radix_sort_onesweep_iterationIS3_Lb0EN6thrust23THRUST_200600_302600_NS6detail15normal_iteratorINS8_10device_ptrIjEEEESD_SD_SD_jNS0_19identity_decomposerENS1_16block_id_wrapperIjLb1EEEEE10hipError_tT1_PNSt15iterator_traitsISI_E10value_typeET2_T3_PNSJ_ISO_E10value_typeET4_T5_PST_SU_PNS1_23onesweep_lookback_stateEbbT6_jjT7_P12ihipStream_tbENKUlT_T0_SI_SN_E_clISD_PjSD_S15_EEDaS11_S12_SI_SN_EUlS11_E_NS1_11comp_targetILNS1_3genE4ELNS1_11target_archE910ELNS1_3gpuE8ELNS1_3repE0EEENS1_47radix_sort_onesweep_sort_config_static_selectorELNS0_4arch9wavefront6targetE1EEEvSI_
		.amdhsa_group_segment_fixed_size 0
		.amdhsa_private_segment_fixed_size 0
		.amdhsa_kernarg_size 88
		.amdhsa_user_sgpr_count 2
		.amdhsa_user_sgpr_dispatch_ptr 0
		.amdhsa_user_sgpr_queue_ptr 0
		.amdhsa_user_sgpr_kernarg_segment_ptr 1
		.amdhsa_user_sgpr_dispatch_id 0
		.amdhsa_user_sgpr_kernarg_preload_length 0
		.amdhsa_user_sgpr_kernarg_preload_offset 0
		.amdhsa_user_sgpr_private_segment_size 0
		.amdhsa_uses_dynamic_stack 0
		.amdhsa_enable_private_segment 0
		.amdhsa_system_sgpr_workgroup_id_x 1
		.amdhsa_system_sgpr_workgroup_id_y 0
		.amdhsa_system_sgpr_workgroup_id_z 0
		.amdhsa_system_sgpr_workgroup_info 0
		.amdhsa_system_vgpr_workitem_id 0
		.amdhsa_next_free_vgpr 1
		.amdhsa_next_free_sgpr 0
		.amdhsa_accum_offset 4
		.amdhsa_reserve_vcc 0
		.amdhsa_float_round_mode_32 0
		.amdhsa_float_round_mode_16_64 0
		.amdhsa_float_denorm_mode_32 3
		.amdhsa_float_denorm_mode_16_64 3
		.amdhsa_dx10_clamp 1
		.amdhsa_ieee_mode 1
		.amdhsa_fp16_overflow 0
		.amdhsa_tg_split 0
		.amdhsa_exception_fp_ieee_invalid_op 0
		.amdhsa_exception_fp_denorm_src 0
		.amdhsa_exception_fp_ieee_div_zero 0
		.amdhsa_exception_fp_ieee_overflow 0
		.amdhsa_exception_fp_ieee_underflow 0
		.amdhsa_exception_fp_ieee_inexact 0
		.amdhsa_exception_int_div_zero 0
	.end_amdhsa_kernel
	.section	.text._ZN7rocprim17ROCPRIM_400000_NS6detail17trampoline_kernelINS0_14default_configENS1_35radix_sort_onesweep_config_selectorIjjEEZZNS1_29radix_sort_onesweep_iterationIS3_Lb0EN6thrust23THRUST_200600_302600_NS6detail15normal_iteratorINS8_10device_ptrIjEEEESD_SD_SD_jNS0_19identity_decomposerENS1_16block_id_wrapperIjLb1EEEEE10hipError_tT1_PNSt15iterator_traitsISI_E10value_typeET2_T3_PNSJ_ISO_E10value_typeET4_T5_PST_SU_PNS1_23onesweep_lookback_stateEbbT6_jjT7_P12ihipStream_tbENKUlT_T0_SI_SN_E_clISD_PjSD_S15_EEDaS11_S12_SI_SN_EUlS11_E_NS1_11comp_targetILNS1_3genE4ELNS1_11target_archE910ELNS1_3gpuE8ELNS1_3repE0EEENS1_47radix_sort_onesweep_sort_config_static_selectorELNS0_4arch9wavefront6targetE1EEEvSI_,"axG",@progbits,_ZN7rocprim17ROCPRIM_400000_NS6detail17trampoline_kernelINS0_14default_configENS1_35radix_sort_onesweep_config_selectorIjjEEZZNS1_29radix_sort_onesweep_iterationIS3_Lb0EN6thrust23THRUST_200600_302600_NS6detail15normal_iteratorINS8_10device_ptrIjEEEESD_SD_SD_jNS0_19identity_decomposerENS1_16block_id_wrapperIjLb1EEEEE10hipError_tT1_PNSt15iterator_traitsISI_E10value_typeET2_T3_PNSJ_ISO_E10value_typeET4_T5_PST_SU_PNS1_23onesweep_lookback_stateEbbT6_jjT7_P12ihipStream_tbENKUlT_T0_SI_SN_E_clISD_PjSD_S15_EEDaS11_S12_SI_SN_EUlS11_E_NS1_11comp_targetILNS1_3genE4ELNS1_11target_archE910ELNS1_3gpuE8ELNS1_3repE0EEENS1_47radix_sort_onesweep_sort_config_static_selectorELNS0_4arch9wavefront6targetE1EEEvSI_,comdat
.Lfunc_end764:
	.size	_ZN7rocprim17ROCPRIM_400000_NS6detail17trampoline_kernelINS0_14default_configENS1_35radix_sort_onesweep_config_selectorIjjEEZZNS1_29radix_sort_onesweep_iterationIS3_Lb0EN6thrust23THRUST_200600_302600_NS6detail15normal_iteratorINS8_10device_ptrIjEEEESD_SD_SD_jNS0_19identity_decomposerENS1_16block_id_wrapperIjLb1EEEEE10hipError_tT1_PNSt15iterator_traitsISI_E10value_typeET2_T3_PNSJ_ISO_E10value_typeET4_T5_PST_SU_PNS1_23onesweep_lookback_stateEbbT6_jjT7_P12ihipStream_tbENKUlT_T0_SI_SN_E_clISD_PjSD_S15_EEDaS11_S12_SI_SN_EUlS11_E_NS1_11comp_targetILNS1_3genE4ELNS1_11target_archE910ELNS1_3gpuE8ELNS1_3repE0EEENS1_47radix_sort_onesweep_sort_config_static_selectorELNS0_4arch9wavefront6targetE1EEEvSI_, .Lfunc_end764-_ZN7rocprim17ROCPRIM_400000_NS6detail17trampoline_kernelINS0_14default_configENS1_35radix_sort_onesweep_config_selectorIjjEEZZNS1_29radix_sort_onesweep_iterationIS3_Lb0EN6thrust23THRUST_200600_302600_NS6detail15normal_iteratorINS8_10device_ptrIjEEEESD_SD_SD_jNS0_19identity_decomposerENS1_16block_id_wrapperIjLb1EEEEE10hipError_tT1_PNSt15iterator_traitsISI_E10value_typeET2_T3_PNSJ_ISO_E10value_typeET4_T5_PST_SU_PNS1_23onesweep_lookback_stateEbbT6_jjT7_P12ihipStream_tbENKUlT_T0_SI_SN_E_clISD_PjSD_S15_EEDaS11_S12_SI_SN_EUlS11_E_NS1_11comp_targetILNS1_3genE4ELNS1_11target_archE910ELNS1_3gpuE8ELNS1_3repE0EEENS1_47radix_sort_onesweep_sort_config_static_selectorELNS0_4arch9wavefront6targetE1EEEvSI_
                                        ; -- End function
	.set _ZN7rocprim17ROCPRIM_400000_NS6detail17trampoline_kernelINS0_14default_configENS1_35radix_sort_onesweep_config_selectorIjjEEZZNS1_29radix_sort_onesweep_iterationIS3_Lb0EN6thrust23THRUST_200600_302600_NS6detail15normal_iteratorINS8_10device_ptrIjEEEESD_SD_SD_jNS0_19identity_decomposerENS1_16block_id_wrapperIjLb1EEEEE10hipError_tT1_PNSt15iterator_traitsISI_E10value_typeET2_T3_PNSJ_ISO_E10value_typeET4_T5_PST_SU_PNS1_23onesweep_lookback_stateEbbT6_jjT7_P12ihipStream_tbENKUlT_T0_SI_SN_E_clISD_PjSD_S15_EEDaS11_S12_SI_SN_EUlS11_E_NS1_11comp_targetILNS1_3genE4ELNS1_11target_archE910ELNS1_3gpuE8ELNS1_3repE0EEENS1_47radix_sort_onesweep_sort_config_static_selectorELNS0_4arch9wavefront6targetE1EEEvSI_.num_vgpr, 0
	.set _ZN7rocprim17ROCPRIM_400000_NS6detail17trampoline_kernelINS0_14default_configENS1_35radix_sort_onesweep_config_selectorIjjEEZZNS1_29radix_sort_onesweep_iterationIS3_Lb0EN6thrust23THRUST_200600_302600_NS6detail15normal_iteratorINS8_10device_ptrIjEEEESD_SD_SD_jNS0_19identity_decomposerENS1_16block_id_wrapperIjLb1EEEEE10hipError_tT1_PNSt15iterator_traitsISI_E10value_typeET2_T3_PNSJ_ISO_E10value_typeET4_T5_PST_SU_PNS1_23onesweep_lookback_stateEbbT6_jjT7_P12ihipStream_tbENKUlT_T0_SI_SN_E_clISD_PjSD_S15_EEDaS11_S12_SI_SN_EUlS11_E_NS1_11comp_targetILNS1_3genE4ELNS1_11target_archE910ELNS1_3gpuE8ELNS1_3repE0EEENS1_47radix_sort_onesweep_sort_config_static_selectorELNS0_4arch9wavefront6targetE1EEEvSI_.num_agpr, 0
	.set _ZN7rocprim17ROCPRIM_400000_NS6detail17trampoline_kernelINS0_14default_configENS1_35radix_sort_onesweep_config_selectorIjjEEZZNS1_29radix_sort_onesweep_iterationIS3_Lb0EN6thrust23THRUST_200600_302600_NS6detail15normal_iteratorINS8_10device_ptrIjEEEESD_SD_SD_jNS0_19identity_decomposerENS1_16block_id_wrapperIjLb1EEEEE10hipError_tT1_PNSt15iterator_traitsISI_E10value_typeET2_T3_PNSJ_ISO_E10value_typeET4_T5_PST_SU_PNS1_23onesweep_lookback_stateEbbT6_jjT7_P12ihipStream_tbENKUlT_T0_SI_SN_E_clISD_PjSD_S15_EEDaS11_S12_SI_SN_EUlS11_E_NS1_11comp_targetILNS1_3genE4ELNS1_11target_archE910ELNS1_3gpuE8ELNS1_3repE0EEENS1_47radix_sort_onesweep_sort_config_static_selectorELNS0_4arch9wavefront6targetE1EEEvSI_.numbered_sgpr, 0
	.set _ZN7rocprim17ROCPRIM_400000_NS6detail17trampoline_kernelINS0_14default_configENS1_35radix_sort_onesweep_config_selectorIjjEEZZNS1_29radix_sort_onesweep_iterationIS3_Lb0EN6thrust23THRUST_200600_302600_NS6detail15normal_iteratorINS8_10device_ptrIjEEEESD_SD_SD_jNS0_19identity_decomposerENS1_16block_id_wrapperIjLb1EEEEE10hipError_tT1_PNSt15iterator_traitsISI_E10value_typeET2_T3_PNSJ_ISO_E10value_typeET4_T5_PST_SU_PNS1_23onesweep_lookback_stateEbbT6_jjT7_P12ihipStream_tbENKUlT_T0_SI_SN_E_clISD_PjSD_S15_EEDaS11_S12_SI_SN_EUlS11_E_NS1_11comp_targetILNS1_3genE4ELNS1_11target_archE910ELNS1_3gpuE8ELNS1_3repE0EEENS1_47radix_sort_onesweep_sort_config_static_selectorELNS0_4arch9wavefront6targetE1EEEvSI_.num_named_barrier, 0
	.set _ZN7rocprim17ROCPRIM_400000_NS6detail17trampoline_kernelINS0_14default_configENS1_35radix_sort_onesweep_config_selectorIjjEEZZNS1_29radix_sort_onesweep_iterationIS3_Lb0EN6thrust23THRUST_200600_302600_NS6detail15normal_iteratorINS8_10device_ptrIjEEEESD_SD_SD_jNS0_19identity_decomposerENS1_16block_id_wrapperIjLb1EEEEE10hipError_tT1_PNSt15iterator_traitsISI_E10value_typeET2_T3_PNSJ_ISO_E10value_typeET4_T5_PST_SU_PNS1_23onesweep_lookback_stateEbbT6_jjT7_P12ihipStream_tbENKUlT_T0_SI_SN_E_clISD_PjSD_S15_EEDaS11_S12_SI_SN_EUlS11_E_NS1_11comp_targetILNS1_3genE4ELNS1_11target_archE910ELNS1_3gpuE8ELNS1_3repE0EEENS1_47radix_sort_onesweep_sort_config_static_selectorELNS0_4arch9wavefront6targetE1EEEvSI_.private_seg_size, 0
	.set _ZN7rocprim17ROCPRIM_400000_NS6detail17trampoline_kernelINS0_14default_configENS1_35radix_sort_onesweep_config_selectorIjjEEZZNS1_29radix_sort_onesweep_iterationIS3_Lb0EN6thrust23THRUST_200600_302600_NS6detail15normal_iteratorINS8_10device_ptrIjEEEESD_SD_SD_jNS0_19identity_decomposerENS1_16block_id_wrapperIjLb1EEEEE10hipError_tT1_PNSt15iterator_traitsISI_E10value_typeET2_T3_PNSJ_ISO_E10value_typeET4_T5_PST_SU_PNS1_23onesweep_lookback_stateEbbT6_jjT7_P12ihipStream_tbENKUlT_T0_SI_SN_E_clISD_PjSD_S15_EEDaS11_S12_SI_SN_EUlS11_E_NS1_11comp_targetILNS1_3genE4ELNS1_11target_archE910ELNS1_3gpuE8ELNS1_3repE0EEENS1_47radix_sort_onesweep_sort_config_static_selectorELNS0_4arch9wavefront6targetE1EEEvSI_.uses_vcc, 0
	.set _ZN7rocprim17ROCPRIM_400000_NS6detail17trampoline_kernelINS0_14default_configENS1_35radix_sort_onesweep_config_selectorIjjEEZZNS1_29radix_sort_onesweep_iterationIS3_Lb0EN6thrust23THRUST_200600_302600_NS6detail15normal_iteratorINS8_10device_ptrIjEEEESD_SD_SD_jNS0_19identity_decomposerENS1_16block_id_wrapperIjLb1EEEEE10hipError_tT1_PNSt15iterator_traitsISI_E10value_typeET2_T3_PNSJ_ISO_E10value_typeET4_T5_PST_SU_PNS1_23onesweep_lookback_stateEbbT6_jjT7_P12ihipStream_tbENKUlT_T0_SI_SN_E_clISD_PjSD_S15_EEDaS11_S12_SI_SN_EUlS11_E_NS1_11comp_targetILNS1_3genE4ELNS1_11target_archE910ELNS1_3gpuE8ELNS1_3repE0EEENS1_47radix_sort_onesweep_sort_config_static_selectorELNS0_4arch9wavefront6targetE1EEEvSI_.uses_flat_scratch, 0
	.set _ZN7rocprim17ROCPRIM_400000_NS6detail17trampoline_kernelINS0_14default_configENS1_35radix_sort_onesweep_config_selectorIjjEEZZNS1_29radix_sort_onesweep_iterationIS3_Lb0EN6thrust23THRUST_200600_302600_NS6detail15normal_iteratorINS8_10device_ptrIjEEEESD_SD_SD_jNS0_19identity_decomposerENS1_16block_id_wrapperIjLb1EEEEE10hipError_tT1_PNSt15iterator_traitsISI_E10value_typeET2_T3_PNSJ_ISO_E10value_typeET4_T5_PST_SU_PNS1_23onesweep_lookback_stateEbbT6_jjT7_P12ihipStream_tbENKUlT_T0_SI_SN_E_clISD_PjSD_S15_EEDaS11_S12_SI_SN_EUlS11_E_NS1_11comp_targetILNS1_3genE4ELNS1_11target_archE910ELNS1_3gpuE8ELNS1_3repE0EEENS1_47radix_sort_onesweep_sort_config_static_selectorELNS0_4arch9wavefront6targetE1EEEvSI_.has_dyn_sized_stack, 0
	.set _ZN7rocprim17ROCPRIM_400000_NS6detail17trampoline_kernelINS0_14default_configENS1_35radix_sort_onesweep_config_selectorIjjEEZZNS1_29radix_sort_onesweep_iterationIS3_Lb0EN6thrust23THRUST_200600_302600_NS6detail15normal_iteratorINS8_10device_ptrIjEEEESD_SD_SD_jNS0_19identity_decomposerENS1_16block_id_wrapperIjLb1EEEEE10hipError_tT1_PNSt15iterator_traitsISI_E10value_typeET2_T3_PNSJ_ISO_E10value_typeET4_T5_PST_SU_PNS1_23onesweep_lookback_stateEbbT6_jjT7_P12ihipStream_tbENKUlT_T0_SI_SN_E_clISD_PjSD_S15_EEDaS11_S12_SI_SN_EUlS11_E_NS1_11comp_targetILNS1_3genE4ELNS1_11target_archE910ELNS1_3gpuE8ELNS1_3repE0EEENS1_47radix_sort_onesweep_sort_config_static_selectorELNS0_4arch9wavefront6targetE1EEEvSI_.has_recursion, 0
	.set _ZN7rocprim17ROCPRIM_400000_NS6detail17trampoline_kernelINS0_14default_configENS1_35radix_sort_onesweep_config_selectorIjjEEZZNS1_29radix_sort_onesweep_iterationIS3_Lb0EN6thrust23THRUST_200600_302600_NS6detail15normal_iteratorINS8_10device_ptrIjEEEESD_SD_SD_jNS0_19identity_decomposerENS1_16block_id_wrapperIjLb1EEEEE10hipError_tT1_PNSt15iterator_traitsISI_E10value_typeET2_T3_PNSJ_ISO_E10value_typeET4_T5_PST_SU_PNS1_23onesweep_lookback_stateEbbT6_jjT7_P12ihipStream_tbENKUlT_T0_SI_SN_E_clISD_PjSD_S15_EEDaS11_S12_SI_SN_EUlS11_E_NS1_11comp_targetILNS1_3genE4ELNS1_11target_archE910ELNS1_3gpuE8ELNS1_3repE0EEENS1_47radix_sort_onesweep_sort_config_static_selectorELNS0_4arch9wavefront6targetE1EEEvSI_.has_indirect_call, 0
	.section	.AMDGPU.csdata,"",@progbits
; Kernel info:
; codeLenInByte = 0
; TotalNumSgprs: 6
; NumVgprs: 0
; NumAgprs: 0
; TotalNumVgprs: 0
; ScratchSize: 0
; MemoryBound: 0
; FloatMode: 240
; IeeeMode: 1
; LDSByteSize: 0 bytes/workgroup (compile time only)
; SGPRBlocks: 0
; VGPRBlocks: 0
; NumSGPRsForWavesPerEU: 6
; NumVGPRsForWavesPerEU: 1
; AccumOffset: 4
; Occupancy: 8
; WaveLimiterHint : 0
; COMPUTE_PGM_RSRC2:SCRATCH_EN: 0
; COMPUTE_PGM_RSRC2:USER_SGPR: 2
; COMPUTE_PGM_RSRC2:TRAP_HANDLER: 0
; COMPUTE_PGM_RSRC2:TGID_X_EN: 1
; COMPUTE_PGM_RSRC2:TGID_Y_EN: 0
; COMPUTE_PGM_RSRC2:TGID_Z_EN: 0
; COMPUTE_PGM_RSRC2:TIDIG_COMP_CNT: 0
; COMPUTE_PGM_RSRC3_GFX90A:ACCUM_OFFSET: 0
; COMPUTE_PGM_RSRC3_GFX90A:TG_SPLIT: 0
	.section	.text._ZN7rocprim17ROCPRIM_400000_NS6detail17trampoline_kernelINS0_14default_configENS1_35radix_sort_onesweep_config_selectorIjjEEZZNS1_29radix_sort_onesweep_iterationIS3_Lb0EN6thrust23THRUST_200600_302600_NS6detail15normal_iteratorINS8_10device_ptrIjEEEESD_SD_SD_jNS0_19identity_decomposerENS1_16block_id_wrapperIjLb1EEEEE10hipError_tT1_PNSt15iterator_traitsISI_E10value_typeET2_T3_PNSJ_ISO_E10value_typeET4_T5_PST_SU_PNS1_23onesweep_lookback_stateEbbT6_jjT7_P12ihipStream_tbENKUlT_T0_SI_SN_E_clISD_PjSD_S15_EEDaS11_S12_SI_SN_EUlS11_E_NS1_11comp_targetILNS1_3genE3ELNS1_11target_archE908ELNS1_3gpuE7ELNS1_3repE0EEENS1_47radix_sort_onesweep_sort_config_static_selectorELNS0_4arch9wavefront6targetE1EEEvSI_,"axG",@progbits,_ZN7rocprim17ROCPRIM_400000_NS6detail17trampoline_kernelINS0_14default_configENS1_35radix_sort_onesweep_config_selectorIjjEEZZNS1_29radix_sort_onesweep_iterationIS3_Lb0EN6thrust23THRUST_200600_302600_NS6detail15normal_iteratorINS8_10device_ptrIjEEEESD_SD_SD_jNS0_19identity_decomposerENS1_16block_id_wrapperIjLb1EEEEE10hipError_tT1_PNSt15iterator_traitsISI_E10value_typeET2_T3_PNSJ_ISO_E10value_typeET4_T5_PST_SU_PNS1_23onesweep_lookback_stateEbbT6_jjT7_P12ihipStream_tbENKUlT_T0_SI_SN_E_clISD_PjSD_S15_EEDaS11_S12_SI_SN_EUlS11_E_NS1_11comp_targetILNS1_3genE3ELNS1_11target_archE908ELNS1_3gpuE7ELNS1_3repE0EEENS1_47radix_sort_onesweep_sort_config_static_selectorELNS0_4arch9wavefront6targetE1EEEvSI_,comdat
	.protected	_ZN7rocprim17ROCPRIM_400000_NS6detail17trampoline_kernelINS0_14default_configENS1_35radix_sort_onesweep_config_selectorIjjEEZZNS1_29radix_sort_onesweep_iterationIS3_Lb0EN6thrust23THRUST_200600_302600_NS6detail15normal_iteratorINS8_10device_ptrIjEEEESD_SD_SD_jNS0_19identity_decomposerENS1_16block_id_wrapperIjLb1EEEEE10hipError_tT1_PNSt15iterator_traitsISI_E10value_typeET2_T3_PNSJ_ISO_E10value_typeET4_T5_PST_SU_PNS1_23onesweep_lookback_stateEbbT6_jjT7_P12ihipStream_tbENKUlT_T0_SI_SN_E_clISD_PjSD_S15_EEDaS11_S12_SI_SN_EUlS11_E_NS1_11comp_targetILNS1_3genE3ELNS1_11target_archE908ELNS1_3gpuE7ELNS1_3repE0EEENS1_47radix_sort_onesweep_sort_config_static_selectorELNS0_4arch9wavefront6targetE1EEEvSI_ ; -- Begin function _ZN7rocprim17ROCPRIM_400000_NS6detail17trampoline_kernelINS0_14default_configENS1_35radix_sort_onesweep_config_selectorIjjEEZZNS1_29radix_sort_onesweep_iterationIS3_Lb0EN6thrust23THRUST_200600_302600_NS6detail15normal_iteratorINS8_10device_ptrIjEEEESD_SD_SD_jNS0_19identity_decomposerENS1_16block_id_wrapperIjLb1EEEEE10hipError_tT1_PNSt15iterator_traitsISI_E10value_typeET2_T3_PNSJ_ISO_E10value_typeET4_T5_PST_SU_PNS1_23onesweep_lookback_stateEbbT6_jjT7_P12ihipStream_tbENKUlT_T0_SI_SN_E_clISD_PjSD_S15_EEDaS11_S12_SI_SN_EUlS11_E_NS1_11comp_targetILNS1_3genE3ELNS1_11target_archE908ELNS1_3gpuE7ELNS1_3repE0EEENS1_47radix_sort_onesweep_sort_config_static_selectorELNS0_4arch9wavefront6targetE1EEEvSI_
	.globl	_ZN7rocprim17ROCPRIM_400000_NS6detail17trampoline_kernelINS0_14default_configENS1_35radix_sort_onesweep_config_selectorIjjEEZZNS1_29radix_sort_onesweep_iterationIS3_Lb0EN6thrust23THRUST_200600_302600_NS6detail15normal_iteratorINS8_10device_ptrIjEEEESD_SD_SD_jNS0_19identity_decomposerENS1_16block_id_wrapperIjLb1EEEEE10hipError_tT1_PNSt15iterator_traitsISI_E10value_typeET2_T3_PNSJ_ISO_E10value_typeET4_T5_PST_SU_PNS1_23onesweep_lookback_stateEbbT6_jjT7_P12ihipStream_tbENKUlT_T0_SI_SN_E_clISD_PjSD_S15_EEDaS11_S12_SI_SN_EUlS11_E_NS1_11comp_targetILNS1_3genE3ELNS1_11target_archE908ELNS1_3gpuE7ELNS1_3repE0EEENS1_47radix_sort_onesweep_sort_config_static_selectorELNS0_4arch9wavefront6targetE1EEEvSI_
	.p2align	8
	.type	_ZN7rocprim17ROCPRIM_400000_NS6detail17trampoline_kernelINS0_14default_configENS1_35radix_sort_onesweep_config_selectorIjjEEZZNS1_29radix_sort_onesweep_iterationIS3_Lb0EN6thrust23THRUST_200600_302600_NS6detail15normal_iteratorINS8_10device_ptrIjEEEESD_SD_SD_jNS0_19identity_decomposerENS1_16block_id_wrapperIjLb1EEEEE10hipError_tT1_PNSt15iterator_traitsISI_E10value_typeET2_T3_PNSJ_ISO_E10value_typeET4_T5_PST_SU_PNS1_23onesweep_lookback_stateEbbT6_jjT7_P12ihipStream_tbENKUlT_T0_SI_SN_E_clISD_PjSD_S15_EEDaS11_S12_SI_SN_EUlS11_E_NS1_11comp_targetILNS1_3genE3ELNS1_11target_archE908ELNS1_3gpuE7ELNS1_3repE0EEENS1_47radix_sort_onesweep_sort_config_static_selectorELNS0_4arch9wavefront6targetE1EEEvSI_,@function
_ZN7rocprim17ROCPRIM_400000_NS6detail17trampoline_kernelINS0_14default_configENS1_35radix_sort_onesweep_config_selectorIjjEEZZNS1_29radix_sort_onesweep_iterationIS3_Lb0EN6thrust23THRUST_200600_302600_NS6detail15normal_iteratorINS8_10device_ptrIjEEEESD_SD_SD_jNS0_19identity_decomposerENS1_16block_id_wrapperIjLb1EEEEE10hipError_tT1_PNSt15iterator_traitsISI_E10value_typeET2_T3_PNSJ_ISO_E10value_typeET4_T5_PST_SU_PNS1_23onesweep_lookback_stateEbbT6_jjT7_P12ihipStream_tbENKUlT_T0_SI_SN_E_clISD_PjSD_S15_EEDaS11_S12_SI_SN_EUlS11_E_NS1_11comp_targetILNS1_3genE3ELNS1_11target_archE908ELNS1_3gpuE7ELNS1_3repE0EEENS1_47radix_sort_onesweep_sort_config_static_selectorELNS0_4arch9wavefront6targetE1EEEvSI_: ; @_ZN7rocprim17ROCPRIM_400000_NS6detail17trampoline_kernelINS0_14default_configENS1_35radix_sort_onesweep_config_selectorIjjEEZZNS1_29radix_sort_onesweep_iterationIS3_Lb0EN6thrust23THRUST_200600_302600_NS6detail15normal_iteratorINS8_10device_ptrIjEEEESD_SD_SD_jNS0_19identity_decomposerENS1_16block_id_wrapperIjLb1EEEEE10hipError_tT1_PNSt15iterator_traitsISI_E10value_typeET2_T3_PNSJ_ISO_E10value_typeET4_T5_PST_SU_PNS1_23onesweep_lookback_stateEbbT6_jjT7_P12ihipStream_tbENKUlT_T0_SI_SN_E_clISD_PjSD_S15_EEDaS11_S12_SI_SN_EUlS11_E_NS1_11comp_targetILNS1_3genE3ELNS1_11target_archE908ELNS1_3gpuE7ELNS1_3repE0EEENS1_47radix_sort_onesweep_sort_config_static_selectorELNS0_4arch9wavefront6targetE1EEEvSI_
; %bb.0:
	.section	.rodata,"a",@progbits
	.p2align	6, 0x0
	.amdhsa_kernel _ZN7rocprim17ROCPRIM_400000_NS6detail17trampoline_kernelINS0_14default_configENS1_35radix_sort_onesweep_config_selectorIjjEEZZNS1_29radix_sort_onesweep_iterationIS3_Lb0EN6thrust23THRUST_200600_302600_NS6detail15normal_iteratorINS8_10device_ptrIjEEEESD_SD_SD_jNS0_19identity_decomposerENS1_16block_id_wrapperIjLb1EEEEE10hipError_tT1_PNSt15iterator_traitsISI_E10value_typeET2_T3_PNSJ_ISO_E10value_typeET4_T5_PST_SU_PNS1_23onesweep_lookback_stateEbbT6_jjT7_P12ihipStream_tbENKUlT_T0_SI_SN_E_clISD_PjSD_S15_EEDaS11_S12_SI_SN_EUlS11_E_NS1_11comp_targetILNS1_3genE3ELNS1_11target_archE908ELNS1_3gpuE7ELNS1_3repE0EEENS1_47radix_sort_onesweep_sort_config_static_selectorELNS0_4arch9wavefront6targetE1EEEvSI_
		.amdhsa_group_segment_fixed_size 0
		.amdhsa_private_segment_fixed_size 0
		.amdhsa_kernarg_size 88
		.amdhsa_user_sgpr_count 2
		.amdhsa_user_sgpr_dispatch_ptr 0
		.amdhsa_user_sgpr_queue_ptr 0
		.amdhsa_user_sgpr_kernarg_segment_ptr 1
		.amdhsa_user_sgpr_dispatch_id 0
		.amdhsa_user_sgpr_kernarg_preload_length 0
		.amdhsa_user_sgpr_kernarg_preload_offset 0
		.amdhsa_user_sgpr_private_segment_size 0
		.amdhsa_uses_dynamic_stack 0
		.amdhsa_enable_private_segment 0
		.amdhsa_system_sgpr_workgroup_id_x 1
		.amdhsa_system_sgpr_workgroup_id_y 0
		.amdhsa_system_sgpr_workgroup_id_z 0
		.amdhsa_system_sgpr_workgroup_info 0
		.amdhsa_system_vgpr_workitem_id 0
		.amdhsa_next_free_vgpr 1
		.amdhsa_next_free_sgpr 0
		.amdhsa_accum_offset 4
		.amdhsa_reserve_vcc 0
		.amdhsa_float_round_mode_32 0
		.amdhsa_float_round_mode_16_64 0
		.amdhsa_float_denorm_mode_32 3
		.amdhsa_float_denorm_mode_16_64 3
		.amdhsa_dx10_clamp 1
		.amdhsa_ieee_mode 1
		.amdhsa_fp16_overflow 0
		.amdhsa_tg_split 0
		.amdhsa_exception_fp_ieee_invalid_op 0
		.amdhsa_exception_fp_denorm_src 0
		.amdhsa_exception_fp_ieee_div_zero 0
		.amdhsa_exception_fp_ieee_overflow 0
		.amdhsa_exception_fp_ieee_underflow 0
		.amdhsa_exception_fp_ieee_inexact 0
		.amdhsa_exception_int_div_zero 0
	.end_amdhsa_kernel
	.section	.text._ZN7rocprim17ROCPRIM_400000_NS6detail17trampoline_kernelINS0_14default_configENS1_35radix_sort_onesweep_config_selectorIjjEEZZNS1_29radix_sort_onesweep_iterationIS3_Lb0EN6thrust23THRUST_200600_302600_NS6detail15normal_iteratorINS8_10device_ptrIjEEEESD_SD_SD_jNS0_19identity_decomposerENS1_16block_id_wrapperIjLb1EEEEE10hipError_tT1_PNSt15iterator_traitsISI_E10value_typeET2_T3_PNSJ_ISO_E10value_typeET4_T5_PST_SU_PNS1_23onesweep_lookback_stateEbbT6_jjT7_P12ihipStream_tbENKUlT_T0_SI_SN_E_clISD_PjSD_S15_EEDaS11_S12_SI_SN_EUlS11_E_NS1_11comp_targetILNS1_3genE3ELNS1_11target_archE908ELNS1_3gpuE7ELNS1_3repE0EEENS1_47radix_sort_onesweep_sort_config_static_selectorELNS0_4arch9wavefront6targetE1EEEvSI_,"axG",@progbits,_ZN7rocprim17ROCPRIM_400000_NS6detail17trampoline_kernelINS0_14default_configENS1_35radix_sort_onesweep_config_selectorIjjEEZZNS1_29radix_sort_onesweep_iterationIS3_Lb0EN6thrust23THRUST_200600_302600_NS6detail15normal_iteratorINS8_10device_ptrIjEEEESD_SD_SD_jNS0_19identity_decomposerENS1_16block_id_wrapperIjLb1EEEEE10hipError_tT1_PNSt15iterator_traitsISI_E10value_typeET2_T3_PNSJ_ISO_E10value_typeET4_T5_PST_SU_PNS1_23onesweep_lookback_stateEbbT6_jjT7_P12ihipStream_tbENKUlT_T0_SI_SN_E_clISD_PjSD_S15_EEDaS11_S12_SI_SN_EUlS11_E_NS1_11comp_targetILNS1_3genE3ELNS1_11target_archE908ELNS1_3gpuE7ELNS1_3repE0EEENS1_47radix_sort_onesweep_sort_config_static_selectorELNS0_4arch9wavefront6targetE1EEEvSI_,comdat
.Lfunc_end765:
	.size	_ZN7rocprim17ROCPRIM_400000_NS6detail17trampoline_kernelINS0_14default_configENS1_35radix_sort_onesweep_config_selectorIjjEEZZNS1_29radix_sort_onesweep_iterationIS3_Lb0EN6thrust23THRUST_200600_302600_NS6detail15normal_iteratorINS8_10device_ptrIjEEEESD_SD_SD_jNS0_19identity_decomposerENS1_16block_id_wrapperIjLb1EEEEE10hipError_tT1_PNSt15iterator_traitsISI_E10value_typeET2_T3_PNSJ_ISO_E10value_typeET4_T5_PST_SU_PNS1_23onesweep_lookback_stateEbbT6_jjT7_P12ihipStream_tbENKUlT_T0_SI_SN_E_clISD_PjSD_S15_EEDaS11_S12_SI_SN_EUlS11_E_NS1_11comp_targetILNS1_3genE3ELNS1_11target_archE908ELNS1_3gpuE7ELNS1_3repE0EEENS1_47radix_sort_onesweep_sort_config_static_selectorELNS0_4arch9wavefront6targetE1EEEvSI_, .Lfunc_end765-_ZN7rocprim17ROCPRIM_400000_NS6detail17trampoline_kernelINS0_14default_configENS1_35radix_sort_onesweep_config_selectorIjjEEZZNS1_29radix_sort_onesweep_iterationIS3_Lb0EN6thrust23THRUST_200600_302600_NS6detail15normal_iteratorINS8_10device_ptrIjEEEESD_SD_SD_jNS0_19identity_decomposerENS1_16block_id_wrapperIjLb1EEEEE10hipError_tT1_PNSt15iterator_traitsISI_E10value_typeET2_T3_PNSJ_ISO_E10value_typeET4_T5_PST_SU_PNS1_23onesweep_lookback_stateEbbT6_jjT7_P12ihipStream_tbENKUlT_T0_SI_SN_E_clISD_PjSD_S15_EEDaS11_S12_SI_SN_EUlS11_E_NS1_11comp_targetILNS1_3genE3ELNS1_11target_archE908ELNS1_3gpuE7ELNS1_3repE0EEENS1_47radix_sort_onesweep_sort_config_static_selectorELNS0_4arch9wavefront6targetE1EEEvSI_
                                        ; -- End function
	.set _ZN7rocprim17ROCPRIM_400000_NS6detail17trampoline_kernelINS0_14default_configENS1_35radix_sort_onesweep_config_selectorIjjEEZZNS1_29radix_sort_onesweep_iterationIS3_Lb0EN6thrust23THRUST_200600_302600_NS6detail15normal_iteratorINS8_10device_ptrIjEEEESD_SD_SD_jNS0_19identity_decomposerENS1_16block_id_wrapperIjLb1EEEEE10hipError_tT1_PNSt15iterator_traitsISI_E10value_typeET2_T3_PNSJ_ISO_E10value_typeET4_T5_PST_SU_PNS1_23onesweep_lookback_stateEbbT6_jjT7_P12ihipStream_tbENKUlT_T0_SI_SN_E_clISD_PjSD_S15_EEDaS11_S12_SI_SN_EUlS11_E_NS1_11comp_targetILNS1_3genE3ELNS1_11target_archE908ELNS1_3gpuE7ELNS1_3repE0EEENS1_47radix_sort_onesweep_sort_config_static_selectorELNS0_4arch9wavefront6targetE1EEEvSI_.num_vgpr, 0
	.set _ZN7rocprim17ROCPRIM_400000_NS6detail17trampoline_kernelINS0_14default_configENS1_35radix_sort_onesweep_config_selectorIjjEEZZNS1_29radix_sort_onesweep_iterationIS3_Lb0EN6thrust23THRUST_200600_302600_NS6detail15normal_iteratorINS8_10device_ptrIjEEEESD_SD_SD_jNS0_19identity_decomposerENS1_16block_id_wrapperIjLb1EEEEE10hipError_tT1_PNSt15iterator_traitsISI_E10value_typeET2_T3_PNSJ_ISO_E10value_typeET4_T5_PST_SU_PNS1_23onesweep_lookback_stateEbbT6_jjT7_P12ihipStream_tbENKUlT_T0_SI_SN_E_clISD_PjSD_S15_EEDaS11_S12_SI_SN_EUlS11_E_NS1_11comp_targetILNS1_3genE3ELNS1_11target_archE908ELNS1_3gpuE7ELNS1_3repE0EEENS1_47radix_sort_onesweep_sort_config_static_selectorELNS0_4arch9wavefront6targetE1EEEvSI_.num_agpr, 0
	.set _ZN7rocprim17ROCPRIM_400000_NS6detail17trampoline_kernelINS0_14default_configENS1_35radix_sort_onesweep_config_selectorIjjEEZZNS1_29radix_sort_onesweep_iterationIS3_Lb0EN6thrust23THRUST_200600_302600_NS6detail15normal_iteratorINS8_10device_ptrIjEEEESD_SD_SD_jNS0_19identity_decomposerENS1_16block_id_wrapperIjLb1EEEEE10hipError_tT1_PNSt15iterator_traitsISI_E10value_typeET2_T3_PNSJ_ISO_E10value_typeET4_T5_PST_SU_PNS1_23onesweep_lookback_stateEbbT6_jjT7_P12ihipStream_tbENKUlT_T0_SI_SN_E_clISD_PjSD_S15_EEDaS11_S12_SI_SN_EUlS11_E_NS1_11comp_targetILNS1_3genE3ELNS1_11target_archE908ELNS1_3gpuE7ELNS1_3repE0EEENS1_47radix_sort_onesweep_sort_config_static_selectorELNS0_4arch9wavefront6targetE1EEEvSI_.numbered_sgpr, 0
	.set _ZN7rocprim17ROCPRIM_400000_NS6detail17trampoline_kernelINS0_14default_configENS1_35radix_sort_onesweep_config_selectorIjjEEZZNS1_29radix_sort_onesweep_iterationIS3_Lb0EN6thrust23THRUST_200600_302600_NS6detail15normal_iteratorINS8_10device_ptrIjEEEESD_SD_SD_jNS0_19identity_decomposerENS1_16block_id_wrapperIjLb1EEEEE10hipError_tT1_PNSt15iterator_traitsISI_E10value_typeET2_T3_PNSJ_ISO_E10value_typeET4_T5_PST_SU_PNS1_23onesweep_lookback_stateEbbT6_jjT7_P12ihipStream_tbENKUlT_T0_SI_SN_E_clISD_PjSD_S15_EEDaS11_S12_SI_SN_EUlS11_E_NS1_11comp_targetILNS1_3genE3ELNS1_11target_archE908ELNS1_3gpuE7ELNS1_3repE0EEENS1_47radix_sort_onesweep_sort_config_static_selectorELNS0_4arch9wavefront6targetE1EEEvSI_.num_named_barrier, 0
	.set _ZN7rocprim17ROCPRIM_400000_NS6detail17trampoline_kernelINS0_14default_configENS1_35radix_sort_onesweep_config_selectorIjjEEZZNS1_29radix_sort_onesweep_iterationIS3_Lb0EN6thrust23THRUST_200600_302600_NS6detail15normal_iteratorINS8_10device_ptrIjEEEESD_SD_SD_jNS0_19identity_decomposerENS1_16block_id_wrapperIjLb1EEEEE10hipError_tT1_PNSt15iterator_traitsISI_E10value_typeET2_T3_PNSJ_ISO_E10value_typeET4_T5_PST_SU_PNS1_23onesweep_lookback_stateEbbT6_jjT7_P12ihipStream_tbENKUlT_T0_SI_SN_E_clISD_PjSD_S15_EEDaS11_S12_SI_SN_EUlS11_E_NS1_11comp_targetILNS1_3genE3ELNS1_11target_archE908ELNS1_3gpuE7ELNS1_3repE0EEENS1_47radix_sort_onesweep_sort_config_static_selectorELNS0_4arch9wavefront6targetE1EEEvSI_.private_seg_size, 0
	.set _ZN7rocprim17ROCPRIM_400000_NS6detail17trampoline_kernelINS0_14default_configENS1_35radix_sort_onesweep_config_selectorIjjEEZZNS1_29radix_sort_onesweep_iterationIS3_Lb0EN6thrust23THRUST_200600_302600_NS6detail15normal_iteratorINS8_10device_ptrIjEEEESD_SD_SD_jNS0_19identity_decomposerENS1_16block_id_wrapperIjLb1EEEEE10hipError_tT1_PNSt15iterator_traitsISI_E10value_typeET2_T3_PNSJ_ISO_E10value_typeET4_T5_PST_SU_PNS1_23onesweep_lookback_stateEbbT6_jjT7_P12ihipStream_tbENKUlT_T0_SI_SN_E_clISD_PjSD_S15_EEDaS11_S12_SI_SN_EUlS11_E_NS1_11comp_targetILNS1_3genE3ELNS1_11target_archE908ELNS1_3gpuE7ELNS1_3repE0EEENS1_47radix_sort_onesweep_sort_config_static_selectorELNS0_4arch9wavefront6targetE1EEEvSI_.uses_vcc, 0
	.set _ZN7rocprim17ROCPRIM_400000_NS6detail17trampoline_kernelINS0_14default_configENS1_35radix_sort_onesweep_config_selectorIjjEEZZNS1_29radix_sort_onesweep_iterationIS3_Lb0EN6thrust23THRUST_200600_302600_NS6detail15normal_iteratorINS8_10device_ptrIjEEEESD_SD_SD_jNS0_19identity_decomposerENS1_16block_id_wrapperIjLb1EEEEE10hipError_tT1_PNSt15iterator_traitsISI_E10value_typeET2_T3_PNSJ_ISO_E10value_typeET4_T5_PST_SU_PNS1_23onesweep_lookback_stateEbbT6_jjT7_P12ihipStream_tbENKUlT_T0_SI_SN_E_clISD_PjSD_S15_EEDaS11_S12_SI_SN_EUlS11_E_NS1_11comp_targetILNS1_3genE3ELNS1_11target_archE908ELNS1_3gpuE7ELNS1_3repE0EEENS1_47radix_sort_onesweep_sort_config_static_selectorELNS0_4arch9wavefront6targetE1EEEvSI_.uses_flat_scratch, 0
	.set _ZN7rocprim17ROCPRIM_400000_NS6detail17trampoline_kernelINS0_14default_configENS1_35radix_sort_onesweep_config_selectorIjjEEZZNS1_29radix_sort_onesweep_iterationIS3_Lb0EN6thrust23THRUST_200600_302600_NS6detail15normal_iteratorINS8_10device_ptrIjEEEESD_SD_SD_jNS0_19identity_decomposerENS1_16block_id_wrapperIjLb1EEEEE10hipError_tT1_PNSt15iterator_traitsISI_E10value_typeET2_T3_PNSJ_ISO_E10value_typeET4_T5_PST_SU_PNS1_23onesweep_lookback_stateEbbT6_jjT7_P12ihipStream_tbENKUlT_T0_SI_SN_E_clISD_PjSD_S15_EEDaS11_S12_SI_SN_EUlS11_E_NS1_11comp_targetILNS1_3genE3ELNS1_11target_archE908ELNS1_3gpuE7ELNS1_3repE0EEENS1_47radix_sort_onesweep_sort_config_static_selectorELNS0_4arch9wavefront6targetE1EEEvSI_.has_dyn_sized_stack, 0
	.set _ZN7rocprim17ROCPRIM_400000_NS6detail17trampoline_kernelINS0_14default_configENS1_35radix_sort_onesweep_config_selectorIjjEEZZNS1_29radix_sort_onesweep_iterationIS3_Lb0EN6thrust23THRUST_200600_302600_NS6detail15normal_iteratorINS8_10device_ptrIjEEEESD_SD_SD_jNS0_19identity_decomposerENS1_16block_id_wrapperIjLb1EEEEE10hipError_tT1_PNSt15iterator_traitsISI_E10value_typeET2_T3_PNSJ_ISO_E10value_typeET4_T5_PST_SU_PNS1_23onesweep_lookback_stateEbbT6_jjT7_P12ihipStream_tbENKUlT_T0_SI_SN_E_clISD_PjSD_S15_EEDaS11_S12_SI_SN_EUlS11_E_NS1_11comp_targetILNS1_3genE3ELNS1_11target_archE908ELNS1_3gpuE7ELNS1_3repE0EEENS1_47radix_sort_onesweep_sort_config_static_selectorELNS0_4arch9wavefront6targetE1EEEvSI_.has_recursion, 0
	.set _ZN7rocprim17ROCPRIM_400000_NS6detail17trampoline_kernelINS0_14default_configENS1_35radix_sort_onesweep_config_selectorIjjEEZZNS1_29radix_sort_onesweep_iterationIS3_Lb0EN6thrust23THRUST_200600_302600_NS6detail15normal_iteratorINS8_10device_ptrIjEEEESD_SD_SD_jNS0_19identity_decomposerENS1_16block_id_wrapperIjLb1EEEEE10hipError_tT1_PNSt15iterator_traitsISI_E10value_typeET2_T3_PNSJ_ISO_E10value_typeET4_T5_PST_SU_PNS1_23onesweep_lookback_stateEbbT6_jjT7_P12ihipStream_tbENKUlT_T0_SI_SN_E_clISD_PjSD_S15_EEDaS11_S12_SI_SN_EUlS11_E_NS1_11comp_targetILNS1_3genE3ELNS1_11target_archE908ELNS1_3gpuE7ELNS1_3repE0EEENS1_47radix_sort_onesweep_sort_config_static_selectorELNS0_4arch9wavefront6targetE1EEEvSI_.has_indirect_call, 0
	.section	.AMDGPU.csdata,"",@progbits
; Kernel info:
; codeLenInByte = 0
; TotalNumSgprs: 6
; NumVgprs: 0
; NumAgprs: 0
; TotalNumVgprs: 0
; ScratchSize: 0
; MemoryBound: 0
; FloatMode: 240
; IeeeMode: 1
; LDSByteSize: 0 bytes/workgroup (compile time only)
; SGPRBlocks: 0
; VGPRBlocks: 0
; NumSGPRsForWavesPerEU: 6
; NumVGPRsForWavesPerEU: 1
; AccumOffset: 4
; Occupancy: 8
; WaveLimiterHint : 0
; COMPUTE_PGM_RSRC2:SCRATCH_EN: 0
; COMPUTE_PGM_RSRC2:USER_SGPR: 2
; COMPUTE_PGM_RSRC2:TRAP_HANDLER: 0
; COMPUTE_PGM_RSRC2:TGID_X_EN: 1
; COMPUTE_PGM_RSRC2:TGID_Y_EN: 0
; COMPUTE_PGM_RSRC2:TGID_Z_EN: 0
; COMPUTE_PGM_RSRC2:TIDIG_COMP_CNT: 0
; COMPUTE_PGM_RSRC3_GFX90A:ACCUM_OFFSET: 0
; COMPUTE_PGM_RSRC3_GFX90A:TG_SPLIT: 0
	.section	.text._ZN7rocprim17ROCPRIM_400000_NS6detail17trampoline_kernelINS0_14default_configENS1_35radix_sort_onesweep_config_selectorIjjEEZZNS1_29radix_sort_onesweep_iterationIS3_Lb0EN6thrust23THRUST_200600_302600_NS6detail15normal_iteratorINS8_10device_ptrIjEEEESD_SD_SD_jNS0_19identity_decomposerENS1_16block_id_wrapperIjLb1EEEEE10hipError_tT1_PNSt15iterator_traitsISI_E10value_typeET2_T3_PNSJ_ISO_E10value_typeET4_T5_PST_SU_PNS1_23onesweep_lookback_stateEbbT6_jjT7_P12ihipStream_tbENKUlT_T0_SI_SN_E_clISD_PjSD_S15_EEDaS11_S12_SI_SN_EUlS11_E_NS1_11comp_targetILNS1_3genE10ELNS1_11target_archE1201ELNS1_3gpuE5ELNS1_3repE0EEENS1_47radix_sort_onesweep_sort_config_static_selectorELNS0_4arch9wavefront6targetE1EEEvSI_,"axG",@progbits,_ZN7rocprim17ROCPRIM_400000_NS6detail17trampoline_kernelINS0_14default_configENS1_35radix_sort_onesweep_config_selectorIjjEEZZNS1_29radix_sort_onesweep_iterationIS3_Lb0EN6thrust23THRUST_200600_302600_NS6detail15normal_iteratorINS8_10device_ptrIjEEEESD_SD_SD_jNS0_19identity_decomposerENS1_16block_id_wrapperIjLb1EEEEE10hipError_tT1_PNSt15iterator_traitsISI_E10value_typeET2_T3_PNSJ_ISO_E10value_typeET4_T5_PST_SU_PNS1_23onesweep_lookback_stateEbbT6_jjT7_P12ihipStream_tbENKUlT_T0_SI_SN_E_clISD_PjSD_S15_EEDaS11_S12_SI_SN_EUlS11_E_NS1_11comp_targetILNS1_3genE10ELNS1_11target_archE1201ELNS1_3gpuE5ELNS1_3repE0EEENS1_47radix_sort_onesweep_sort_config_static_selectorELNS0_4arch9wavefront6targetE1EEEvSI_,comdat
	.protected	_ZN7rocprim17ROCPRIM_400000_NS6detail17trampoline_kernelINS0_14default_configENS1_35radix_sort_onesweep_config_selectorIjjEEZZNS1_29radix_sort_onesweep_iterationIS3_Lb0EN6thrust23THRUST_200600_302600_NS6detail15normal_iteratorINS8_10device_ptrIjEEEESD_SD_SD_jNS0_19identity_decomposerENS1_16block_id_wrapperIjLb1EEEEE10hipError_tT1_PNSt15iterator_traitsISI_E10value_typeET2_T3_PNSJ_ISO_E10value_typeET4_T5_PST_SU_PNS1_23onesweep_lookback_stateEbbT6_jjT7_P12ihipStream_tbENKUlT_T0_SI_SN_E_clISD_PjSD_S15_EEDaS11_S12_SI_SN_EUlS11_E_NS1_11comp_targetILNS1_3genE10ELNS1_11target_archE1201ELNS1_3gpuE5ELNS1_3repE0EEENS1_47radix_sort_onesweep_sort_config_static_selectorELNS0_4arch9wavefront6targetE1EEEvSI_ ; -- Begin function _ZN7rocprim17ROCPRIM_400000_NS6detail17trampoline_kernelINS0_14default_configENS1_35radix_sort_onesweep_config_selectorIjjEEZZNS1_29radix_sort_onesweep_iterationIS3_Lb0EN6thrust23THRUST_200600_302600_NS6detail15normal_iteratorINS8_10device_ptrIjEEEESD_SD_SD_jNS0_19identity_decomposerENS1_16block_id_wrapperIjLb1EEEEE10hipError_tT1_PNSt15iterator_traitsISI_E10value_typeET2_T3_PNSJ_ISO_E10value_typeET4_T5_PST_SU_PNS1_23onesweep_lookback_stateEbbT6_jjT7_P12ihipStream_tbENKUlT_T0_SI_SN_E_clISD_PjSD_S15_EEDaS11_S12_SI_SN_EUlS11_E_NS1_11comp_targetILNS1_3genE10ELNS1_11target_archE1201ELNS1_3gpuE5ELNS1_3repE0EEENS1_47radix_sort_onesweep_sort_config_static_selectorELNS0_4arch9wavefront6targetE1EEEvSI_
	.globl	_ZN7rocprim17ROCPRIM_400000_NS6detail17trampoline_kernelINS0_14default_configENS1_35radix_sort_onesweep_config_selectorIjjEEZZNS1_29radix_sort_onesweep_iterationIS3_Lb0EN6thrust23THRUST_200600_302600_NS6detail15normal_iteratorINS8_10device_ptrIjEEEESD_SD_SD_jNS0_19identity_decomposerENS1_16block_id_wrapperIjLb1EEEEE10hipError_tT1_PNSt15iterator_traitsISI_E10value_typeET2_T3_PNSJ_ISO_E10value_typeET4_T5_PST_SU_PNS1_23onesweep_lookback_stateEbbT6_jjT7_P12ihipStream_tbENKUlT_T0_SI_SN_E_clISD_PjSD_S15_EEDaS11_S12_SI_SN_EUlS11_E_NS1_11comp_targetILNS1_3genE10ELNS1_11target_archE1201ELNS1_3gpuE5ELNS1_3repE0EEENS1_47radix_sort_onesweep_sort_config_static_selectorELNS0_4arch9wavefront6targetE1EEEvSI_
	.p2align	8
	.type	_ZN7rocprim17ROCPRIM_400000_NS6detail17trampoline_kernelINS0_14default_configENS1_35radix_sort_onesweep_config_selectorIjjEEZZNS1_29radix_sort_onesweep_iterationIS3_Lb0EN6thrust23THRUST_200600_302600_NS6detail15normal_iteratorINS8_10device_ptrIjEEEESD_SD_SD_jNS0_19identity_decomposerENS1_16block_id_wrapperIjLb1EEEEE10hipError_tT1_PNSt15iterator_traitsISI_E10value_typeET2_T3_PNSJ_ISO_E10value_typeET4_T5_PST_SU_PNS1_23onesweep_lookback_stateEbbT6_jjT7_P12ihipStream_tbENKUlT_T0_SI_SN_E_clISD_PjSD_S15_EEDaS11_S12_SI_SN_EUlS11_E_NS1_11comp_targetILNS1_3genE10ELNS1_11target_archE1201ELNS1_3gpuE5ELNS1_3repE0EEENS1_47radix_sort_onesweep_sort_config_static_selectorELNS0_4arch9wavefront6targetE1EEEvSI_,@function
_ZN7rocprim17ROCPRIM_400000_NS6detail17trampoline_kernelINS0_14default_configENS1_35radix_sort_onesweep_config_selectorIjjEEZZNS1_29radix_sort_onesweep_iterationIS3_Lb0EN6thrust23THRUST_200600_302600_NS6detail15normal_iteratorINS8_10device_ptrIjEEEESD_SD_SD_jNS0_19identity_decomposerENS1_16block_id_wrapperIjLb1EEEEE10hipError_tT1_PNSt15iterator_traitsISI_E10value_typeET2_T3_PNSJ_ISO_E10value_typeET4_T5_PST_SU_PNS1_23onesweep_lookback_stateEbbT6_jjT7_P12ihipStream_tbENKUlT_T0_SI_SN_E_clISD_PjSD_S15_EEDaS11_S12_SI_SN_EUlS11_E_NS1_11comp_targetILNS1_3genE10ELNS1_11target_archE1201ELNS1_3gpuE5ELNS1_3repE0EEENS1_47radix_sort_onesweep_sort_config_static_selectorELNS0_4arch9wavefront6targetE1EEEvSI_: ; @_ZN7rocprim17ROCPRIM_400000_NS6detail17trampoline_kernelINS0_14default_configENS1_35radix_sort_onesweep_config_selectorIjjEEZZNS1_29radix_sort_onesweep_iterationIS3_Lb0EN6thrust23THRUST_200600_302600_NS6detail15normal_iteratorINS8_10device_ptrIjEEEESD_SD_SD_jNS0_19identity_decomposerENS1_16block_id_wrapperIjLb1EEEEE10hipError_tT1_PNSt15iterator_traitsISI_E10value_typeET2_T3_PNSJ_ISO_E10value_typeET4_T5_PST_SU_PNS1_23onesweep_lookback_stateEbbT6_jjT7_P12ihipStream_tbENKUlT_T0_SI_SN_E_clISD_PjSD_S15_EEDaS11_S12_SI_SN_EUlS11_E_NS1_11comp_targetILNS1_3genE10ELNS1_11target_archE1201ELNS1_3gpuE5ELNS1_3repE0EEENS1_47radix_sort_onesweep_sort_config_static_selectorELNS0_4arch9wavefront6targetE1EEEvSI_
; %bb.0:
	.section	.rodata,"a",@progbits
	.p2align	6, 0x0
	.amdhsa_kernel _ZN7rocprim17ROCPRIM_400000_NS6detail17trampoline_kernelINS0_14default_configENS1_35radix_sort_onesweep_config_selectorIjjEEZZNS1_29radix_sort_onesweep_iterationIS3_Lb0EN6thrust23THRUST_200600_302600_NS6detail15normal_iteratorINS8_10device_ptrIjEEEESD_SD_SD_jNS0_19identity_decomposerENS1_16block_id_wrapperIjLb1EEEEE10hipError_tT1_PNSt15iterator_traitsISI_E10value_typeET2_T3_PNSJ_ISO_E10value_typeET4_T5_PST_SU_PNS1_23onesweep_lookback_stateEbbT6_jjT7_P12ihipStream_tbENKUlT_T0_SI_SN_E_clISD_PjSD_S15_EEDaS11_S12_SI_SN_EUlS11_E_NS1_11comp_targetILNS1_3genE10ELNS1_11target_archE1201ELNS1_3gpuE5ELNS1_3repE0EEENS1_47radix_sort_onesweep_sort_config_static_selectorELNS0_4arch9wavefront6targetE1EEEvSI_
		.amdhsa_group_segment_fixed_size 0
		.amdhsa_private_segment_fixed_size 0
		.amdhsa_kernarg_size 88
		.amdhsa_user_sgpr_count 2
		.amdhsa_user_sgpr_dispatch_ptr 0
		.amdhsa_user_sgpr_queue_ptr 0
		.amdhsa_user_sgpr_kernarg_segment_ptr 1
		.amdhsa_user_sgpr_dispatch_id 0
		.amdhsa_user_sgpr_kernarg_preload_length 0
		.amdhsa_user_sgpr_kernarg_preload_offset 0
		.amdhsa_user_sgpr_private_segment_size 0
		.amdhsa_uses_dynamic_stack 0
		.amdhsa_enable_private_segment 0
		.amdhsa_system_sgpr_workgroup_id_x 1
		.amdhsa_system_sgpr_workgroup_id_y 0
		.amdhsa_system_sgpr_workgroup_id_z 0
		.amdhsa_system_sgpr_workgroup_info 0
		.amdhsa_system_vgpr_workitem_id 0
		.amdhsa_next_free_vgpr 1
		.amdhsa_next_free_sgpr 0
		.amdhsa_accum_offset 4
		.amdhsa_reserve_vcc 0
		.amdhsa_float_round_mode_32 0
		.amdhsa_float_round_mode_16_64 0
		.amdhsa_float_denorm_mode_32 3
		.amdhsa_float_denorm_mode_16_64 3
		.amdhsa_dx10_clamp 1
		.amdhsa_ieee_mode 1
		.amdhsa_fp16_overflow 0
		.amdhsa_tg_split 0
		.amdhsa_exception_fp_ieee_invalid_op 0
		.amdhsa_exception_fp_denorm_src 0
		.amdhsa_exception_fp_ieee_div_zero 0
		.amdhsa_exception_fp_ieee_overflow 0
		.amdhsa_exception_fp_ieee_underflow 0
		.amdhsa_exception_fp_ieee_inexact 0
		.amdhsa_exception_int_div_zero 0
	.end_amdhsa_kernel
	.section	.text._ZN7rocprim17ROCPRIM_400000_NS6detail17trampoline_kernelINS0_14default_configENS1_35radix_sort_onesweep_config_selectorIjjEEZZNS1_29radix_sort_onesweep_iterationIS3_Lb0EN6thrust23THRUST_200600_302600_NS6detail15normal_iteratorINS8_10device_ptrIjEEEESD_SD_SD_jNS0_19identity_decomposerENS1_16block_id_wrapperIjLb1EEEEE10hipError_tT1_PNSt15iterator_traitsISI_E10value_typeET2_T3_PNSJ_ISO_E10value_typeET4_T5_PST_SU_PNS1_23onesweep_lookback_stateEbbT6_jjT7_P12ihipStream_tbENKUlT_T0_SI_SN_E_clISD_PjSD_S15_EEDaS11_S12_SI_SN_EUlS11_E_NS1_11comp_targetILNS1_3genE10ELNS1_11target_archE1201ELNS1_3gpuE5ELNS1_3repE0EEENS1_47radix_sort_onesweep_sort_config_static_selectorELNS0_4arch9wavefront6targetE1EEEvSI_,"axG",@progbits,_ZN7rocprim17ROCPRIM_400000_NS6detail17trampoline_kernelINS0_14default_configENS1_35radix_sort_onesweep_config_selectorIjjEEZZNS1_29radix_sort_onesweep_iterationIS3_Lb0EN6thrust23THRUST_200600_302600_NS6detail15normal_iteratorINS8_10device_ptrIjEEEESD_SD_SD_jNS0_19identity_decomposerENS1_16block_id_wrapperIjLb1EEEEE10hipError_tT1_PNSt15iterator_traitsISI_E10value_typeET2_T3_PNSJ_ISO_E10value_typeET4_T5_PST_SU_PNS1_23onesweep_lookback_stateEbbT6_jjT7_P12ihipStream_tbENKUlT_T0_SI_SN_E_clISD_PjSD_S15_EEDaS11_S12_SI_SN_EUlS11_E_NS1_11comp_targetILNS1_3genE10ELNS1_11target_archE1201ELNS1_3gpuE5ELNS1_3repE0EEENS1_47radix_sort_onesweep_sort_config_static_selectorELNS0_4arch9wavefront6targetE1EEEvSI_,comdat
.Lfunc_end766:
	.size	_ZN7rocprim17ROCPRIM_400000_NS6detail17trampoline_kernelINS0_14default_configENS1_35radix_sort_onesweep_config_selectorIjjEEZZNS1_29radix_sort_onesweep_iterationIS3_Lb0EN6thrust23THRUST_200600_302600_NS6detail15normal_iteratorINS8_10device_ptrIjEEEESD_SD_SD_jNS0_19identity_decomposerENS1_16block_id_wrapperIjLb1EEEEE10hipError_tT1_PNSt15iterator_traitsISI_E10value_typeET2_T3_PNSJ_ISO_E10value_typeET4_T5_PST_SU_PNS1_23onesweep_lookback_stateEbbT6_jjT7_P12ihipStream_tbENKUlT_T0_SI_SN_E_clISD_PjSD_S15_EEDaS11_S12_SI_SN_EUlS11_E_NS1_11comp_targetILNS1_3genE10ELNS1_11target_archE1201ELNS1_3gpuE5ELNS1_3repE0EEENS1_47radix_sort_onesweep_sort_config_static_selectorELNS0_4arch9wavefront6targetE1EEEvSI_, .Lfunc_end766-_ZN7rocprim17ROCPRIM_400000_NS6detail17trampoline_kernelINS0_14default_configENS1_35radix_sort_onesweep_config_selectorIjjEEZZNS1_29radix_sort_onesweep_iterationIS3_Lb0EN6thrust23THRUST_200600_302600_NS6detail15normal_iteratorINS8_10device_ptrIjEEEESD_SD_SD_jNS0_19identity_decomposerENS1_16block_id_wrapperIjLb1EEEEE10hipError_tT1_PNSt15iterator_traitsISI_E10value_typeET2_T3_PNSJ_ISO_E10value_typeET4_T5_PST_SU_PNS1_23onesweep_lookback_stateEbbT6_jjT7_P12ihipStream_tbENKUlT_T0_SI_SN_E_clISD_PjSD_S15_EEDaS11_S12_SI_SN_EUlS11_E_NS1_11comp_targetILNS1_3genE10ELNS1_11target_archE1201ELNS1_3gpuE5ELNS1_3repE0EEENS1_47radix_sort_onesweep_sort_config_static_selectorELNS0_4arch9wavefront6targetE1EEEvSI_
                                        ; -- End function
	.set _ZN7rocprim17ROCPRIM_400000_NS6detail17trampoline_kernelINS0_14default_configENS1_35radix_sort_onesweep_config_selectorIjjEEZZNS1_29radix_sort_onesweep_iterationIS3_Lb0EN6thrust23THRUST_200600_302600_NS6detail15normal_iteratorINS8_10device_ptrIjEEEESD_SD_SD_jNS0_19identity_decomposerENS1_16block_id_wrapperIjLb1EEEEE10hipError_tT1_PNSt15iterator_traitsISI_E10value_typeET2_T3_PNSJ_ISO_E10value_typeET4_T5_PST_SU_PNS1_23onesweep_lookback_stateEbbT6_jjT7_P12ihipStream_tbENKUlT_T0_SI_SN_E_clISD_PjSD_S15_EEDaS11_S12_SI_SN_EUlS11_E_NS1_11comp_targetILNS1_3genE10ELNS1_11target_archE1201ELNS1_3gpuE5ELNS1_3repE0EEENS1_47radix_sort_onesweep_sort_config_static_selectorELNS0_4arch9wavefront6targetE1EEEvSI_.num_vgpr, 0
	.set _ZN7rocprim17ROCPRIM_400000_NS6detail17trampoline_kernelINS0_14default_configENS1_35radix_sort_onesweep_config_selectorIjjEEZZNS1_29radix_sort_onesweep_iterationIS3_Lb0EN6thrust23THRUST_200600_302600_NS6detail15normal_iteratorINS8_10device_ptrIjEEEESD_SD_SD_jNS0_19identity_decomposerENS1_16block_id_wrapperIjLb1EEEEE10hipError_tT1_PNSt15iterator_traitsISI_E10value_typeET2_T3_PNSJ_ISO_E10value_typeET4_T5_PST_SU_PNS1_23onesweep_lookback_stateEbbT6_jjT7_P12ihipStream_tbENKUlT_T0_SI_SN_E_clISD_PjSD_S15_EEDaS11_S12_SI_SN_EUlS11_E_NS1_11comp_targetILNS1_3genE10ELNS1_11target_archE1201ELNS1_3gpuE5ELNS1_3repE0EEENS1_47radix_sort_onesweep_sort_config_static_selectorELNS0_4arch9wavefront6targetE1EEEvSI_.num_agpr, 0
	.set _ZN7rocprim17ROCPRIM_400000_NS6detail17trampoline_kernelINS0_14default_configENS1_35radix_sort_onesweep_config_selectorIjjEEZZNS1_29radix_sort_onesweep_iterationIS3_Lb0EN6thrust23THRUST_200600_302600_NS6detail15normal_iteratorINS8_10device_ptrIjEEEESD_SD_SD_jNS0_19identity_decomposerENS1_16block_id_wrapperIjLb1EEEEE10hipError_tT1_PNSt15iterator_traitsISI_E10value_typeET2_T3_PNSJ_ISO_E10value_typeET4_T5_PST_SU_PNS1_23onesweep_lookback_stateEbbT6_jjT7_P12ihipStream_tbENKUlT_T0_SI_SN_E_clISD_PjSD_S15_EEDaS11_S12_SI_SN_EUlS11_E_NS1_11comp_targetILNS1_3genE10ELNS1_11target_archE1201ELNS1_3gpuE5ELNS1_3repE0EEENS1_47radix_sort_onesweep_sort_config_static_selectorELNS0_4arch9wavefront6targetE1EEEvSI_.numbered_sgpr, 0
	.set _ZN7rocprim17ROCPRIM_400000_NS6detail17trampoline_kernelINS0_14default_configENS1_35radix_sort_onesweep_config_selectorIjjEEZZNS1_29radix_sort_onesweep_iterationIS3_Lb0EN6thrust23THRUST_200600_302600_NS6detail15normal_iteratorINS8_10device_ptrIjEEEESD_SD_SD_jNS0_19identity_decomposerENS1_16block_id_wrapperIjLb1EEEEE10hipError_tT1_PNSt15iterator_traitsISI_E10value_typeET2_T3_PNSJ_ISO_E10value_typeET4_T5_PST_SU_PNS1_23onesweep_lookback_stateEbbT6_jjT7_P12ihipStream_tbENKUlT_T0_SI_SN_E_clISD_PjSD_S15_EEDaS11_S12_SI_SN_EUlS11_E_NS1_11comp_targetILNS1_3genE10ELNS1_11target_archE1201ELNS1_3gpuE5ELNS1_3repE0EEENS1_47radix_sort_onesweep_sort_config_static_selectorELNS0_4arch9wavefront6targetE1EEEvSI_.num_named_barrier, 0
	.set _ZN7rocprim17ROCPRIM_400000_NS6detail17trampoline_kernelINS0_14default_configENS1_35radix_sort_onesweep_config_selectorIjjEEZZNS1_29radix_sort_onesweep_iterationIS3_Lb0EN6thrust23THRUST_200600_302600_NS6detail15normal_iteratorINS8_10device_ptrIjEEEESD_SD_SD_jNS0_19identity_decomposerENS1_16block_id_wrapperIjLb1EEEEE10hipError_tT1_PNSt15iterator_traitsISI_E10value_typeET2_T3_PNSJ_ISO_E10value_typeET4_T5_PST_SU_PNS1_23onesweep_lookback_stateEbbT6_jjT7_P12ihipStream_tbENKUlT_T0_SI_SN_E_clISD_PjSD_S15_EEDaS11_S12_SI_SN_EUlS11_E_NS1_11comp_targetILNS1_3genE10ELNS1_11target_archE1201ELNS1_3gpuE5ELNS1_3repE0EEENS1_47radix_sort_onesweep_sort_config_static_selectorELNS0_4arch9wavefront6targetE1EEEvSI_.private_seg_size, 0
	.set _ZN7rocprim17ROCPRIM_400000_NS6detail17trampoline_kernelINS0_14default_configENS1_35radix_sort_onesweep_config_selectorIjjEEZZNS1_29radix_sort_onesweep_iterationIS3_Lb0EN6thrust23THRUST_200600_302600_NS6detail15normal_iteratorINS8_10device_ptrIjEEEESD_SD_SD_jNS0_19identity_decomposerENS1_16block_id_wrapperIjLb1EEEEE10hipError_tT1_PNSt15iterator_traitsISI_E10value_typeET2_T3_PNSJ_ISO_E10value_typeET4_T5_PST_SU_PNS1_23onesweep_lookback_stateEbbT6_jjT7_P12ihipStream_tbENKUlT_T0_SI_SN_E_clISD_PjSD_S15_EEDaS11_S12_SI_SN_EUlS11_E_NS1_11comp_targetILNS1_3genE10ELNS1_11target_archE1201ELNS1_3gpuE5ELNS1_3repE0EEENS1_47radix_sort_onesweep_sort_config_static_selectorELNS0_4arch9wavefront6targetE1EEEvSI_.uses_vcc, 0
	.set _ZN7rocprim17ROCPRIM_400000_NS6detail17trampoline_kernelINS0_14default_configENS1_35radix_sort_onesweep_config_selectorIjjEEZZNS1_29radix_sort_onesweep_iterationIS3_Lb0EN6thrust23THRUST_200600_302600_NS6detail15normal_iteratorINS8_10device_ptrIjEEEESD_SD_SD_jNS0_19identity_decomposerENS1_16block_id_wrapperIjLb1EEEEE10hipError_tT1_PNSt15iterator_traitsISI_E10value_typeET2_T3_PNSJ_ISO_E10value_typeET4_T5_PST_SU_PNS1_23onesweep_lookback_stateEbbT6_jjT7_P12ihipStream_tbENKUlT_T0_SI_SN_E_clISD_PjSD_S15_EEDaS11_S12_SI_SN_EUlS11_E_NS1_11comp_targetILNS1_3genE10ELNS1_11target_archE1201ELNS1_3gpuE5ELNS1_3repE0EEENS1_47radix_sort_onesweep_sort_config_static_selectorELNS0_4arch9wavefront6targetE1EEEvSI_.uses_flat_scratch, 0
	.set _ZN7rocprim17ROCPRIM_400000_NS6detail17trampoline_kernelINS0_14default_configENS1_35radix_sort_onesweep_config_selectorIjjEEZZNS1_29radix_sort_onesweep_iterationIS3_Lb0EN6thrust23THRUST_200600_302600_NS6detail15normal_iteratorINS8_10device_ptrIjEEEESD_SD_SD_jNS0_19identity_decomposerENS1_16block_id_wrapperIjLb1EEEEE10hipError_tT1_PNSt15iterator_traitsISI_E10value_typeET2_T3_PNSJ_ISO_E10value_typeET4_T5_PST_SU_PNS1_23onesweep_lookback_stateEbbT6_jjT7_P12ihipStream_tbENKUlT_T0_SI_SN_E_clISD_PjSD_S15_EEDaS11_S12_SI_SN_EUlS11_E_NS1_11comp_targetILNS1_3genE10ELNS1_11target_archE1201ELNS1_3gpuE5ELNS1_3repE0EEENS1_47radix_sort_onesweep_sort_config_static_selectorELNS0_4arch9wavefront6targetE1EEEvSI_.has_dyn_sized_stack, 0
	.set _ZN7rocprim17ROCPRIM_400000_NS6detail17trampoline_kernelINS0_14default_configENS1_35radix_sort_onesweep_config_selectorIjjEEZZNS1_29radix_sort_onesweep_iterationIS3_Lb0EN6thrust23THRUST_200600_302600_NS6detail15normal_iteratorINS8_10device_ptrIjEEEESD_SD_SD_jNS0_19identity_decomposerENS1_16block_id_wrapperIjLb1EEEEE10hipError_tT1_PNSt15iterator_traitsISI_E10value_typeET2_T3_PNSJ_ISO_E10value_typeET4_T5_PST_SU_PNS1_23onesweep_lookback_stateEbbT6_jjT7_P12ihipStream_tbENKUlT_T0_SI_SN_E_clISD_PjSD_S15_EEDaS11_S12_SI_SN_EUlS11_E_NS1_11comp_targetILNS1_3genE10ELNS1_11target_archE1201ELNS1_3gpuE5ELNS1_3repE0EEENS1_47radix_sort_onesweep_sort_config_static_selectorELNS0_4arch9wavefront6targetE1EEEvSI_.has_recursion, 0
	.set _ZN7rocprim17ROCPRIM_400000_NS6detail17trampoline_kernelINS0_14default_configENS1_35radix_sort_onesweep_config_selectorIjjEEZZNS1_29radix_sort_onesweep_iterationIS3_Lb0EN6thrust23THRUST_200600_302600_NS6detail15normal_iteratorINS8_10device_ptrIjEEEESD_SD_SD_jNS0_19identity_decomposerENS1_16block_id_wrapperIjLb1EEEEE10hipError_tT1_PNSt15iterator_traitsISI_E10value_typeET2_T3_PNSJ_ISO_E10value_typeET4_T5_PST_SU_PNS1_23onesweep_lookback_stateEbbT6_jjT7_P12ihipStream_tbENKUlT_T0_SI_SN_E_clISD_PjSD_S15_EEDaS11_S12_SI_SN_EUlS11_E_NS1_11comp_targetILNS1_3genE10ELNS1_11target_archE1201ELNS1_3gpuE5ELNS1_3repE0EEENS1_47radix_sort_onesweep_sort_config_static_selectorELNS0_4arch9wavefront6targetE1EEEvSI_.has_indirect_call, 0
	.section	.AMDGPU.csdata,"",@progbits
; Kernel info:
; codeLenInByte = 0
; TotalNumSgprs: 6
; NumVgprs: 0
; NumAgprs: 0
; TotalNumVgprs: 0
; ScratchSize: 0
; MemoryBound: 0
; FloatMode: 240
; IeeeMode: 1
; LDSByteSize: 0 bytes/workgroup (compile time only)
; SGPRBlocks: 0
; VGPRBlocks: 0
; NumSGPRsForWavesPerEU: 6
; NumVGPRsForWavesPerEU: 1
; AccumOffset: 4
; Occupancy: 8
; WaveLimiterHint : 0
; COMPUTE_PGM_RSRC2:SCRATCH_EN: 0
; COMPUTE_PGM_RSRC2:USER_SGPR: 2
; COMPUTE_PGM_RSRC2:TRAP_HANDLER: 0
; COMPUTE_PGM_RSRC2:TGID_X_EN: 1
; COMPUTE_PGM_RSRC2:TGID_Y_EN: 0
; COMPUTE_PGM_RSRC2:TGID_Z_EN: 0
; COMPUTE_PGM_RSRC2:TIDIG_COMP_CNT: 0
; COMPUTE_PGM_RSRC3_GFX90A:ACCUM_OFFSET: 0
; COMPUTE_PGM_RSRC3_GFX90A:TG_SPLIT: 0
	.section	.text._ZN7rocprim17ROCPRIM_400000_NS6detail17trampoline_kernelINS0_14default_configENS1_35radix_sort_onesweep_config_selectorIjjEEZZNS1_29radix_sort_onesweep_iterationIS3_Lb0EN6thrust23THRUST_200600_302600_NS6detail15normal_iteratorINS8_10device_ptrIjEEEESD_SD_SD_jNS0_19identity_decomposerENS1_16block_id_wrapperIjLb1EEEEE10hipError_tT1_PNSt15iterator_traitsISI_E10value_typeET2_T3_PNSJ_ISO_E10value_typeET4_T5_PST_SU_PNS1_23onesweep_lookback_stateEbbT6_jjT7_P12ihipStream_tbENKUlT_T0_SI_SN_E_clISD_PjSD_S15_EEDaS11_S12_SI_SN_EUlS11_E_NS1_11comp_targetILNS1_3genE9ELNS1_11target_archE1100ELNS1_3gpuE3ELNS1_3repE0EEENS1_47radix_sort_onesweep_sort_config_static_selectorELNS0_4arch9wavefront6targetE1EEEvSI_,"axG",@progbits,_ZN7rocprim17ROCPRIM_400000_NS6detail17trampoline_kernelINS0_14default_configENS1_35radix_sort_onesweep_config_selectorIjjEEZZNS1_29radix_sort_onesweep_iterationIS3_Lb0EN6thrust23THRUST_200600_302600_NS6detail15normal_iteratorINS8_10device_ptrIjEEEESD_SD_SD_jNS0_19identity_decomposerENS1_16block_id_wrapperIjLb1EEEEE10hipError_tT1_PNSt15iterator_traitsISI_E10value_typeET2_T3_PNSJ_ISO_E10value_typeET4_T5_PST_SU_PNS1_23onesweep_lookback_stateEbbT6_jjT7_P12ihipStream_tbENKUlT_T0_SI_SN_E_clISD_PjSD_S15_EEDaS11_S12_SI_SN_EUlS11_E_NS1_11comp_targetILNS1_3genE9ELNS1_11target_archE1100ELNS1_3gpuE3ELNS1_3repE0EEENS1_47radix_sort_onesweep_sort_config_static_selectorELNS0_4arch9wavefront6targetE1EEEvSI_,comdat
	.protected	_ZN7rocprim17ROCPRIM_400000_NS6detail17trampoline_kernelINS0_14default_configENS1_35radix_sort_onesweep_config_selectorIjjEEZZNS1_29radix_sort_onesweep_iterationIS3_Lb0EN6thrust23THRUST_200600_302600_NS6detail15normal_iteratorINS8_10device_ptrIjEEEESD_SD_SD_jNS0_19identity_decomposerENS1_16block_id_wrapperIjLb1EEEEE10hipError_tT1_PNSt15iterator_traitsISI_E10value_typeET2_T3_PNSJ_ISO_E10value_typeET4_T5_PST_SU_PNS1_23onesweep_lookback_stateEbbT6_jjT7_P12ihipStream_tbENKUlT_T0_SI_SN_E_clISD_PjSD_S15_EEDaS11_S12_SI_SN_EUlS11_E_NS1_11comp_targetILNS1_3genE9ELNS1_11target_archE1100ELNS1_3gpuE3ELNS1_3repE0EEENS1_47radix_sort_onesweep_sort_config_static_selectorELNS0_4arch9wavefront6targetE1EEEvSI_ ; -- Begin function _ZN7rocprim17ROCPRIM_400000_NS6detail17trampoline_kernelINS0_14default_configENS1_35radix_sort_onesweep_config_selectorIjjEEZZNS1_29radix_sort_onesweep_iterationIS3_Lb0EN6thrust23THRUST_200600_302600_NS6detail15normal_iteratorINS8_10device_ptrIjEEEESD_SD_SD_jNS0_19identity_decomposerENS1_16block_id_wrapperIjLb1EEEEE10hipError_tT1_PNSt15iterator_traitsISI_E10value_typeET2_T3_PNSJ_ISO_E10value_typeET4_T5_PST_SU_PNS1_23onesweep_lookback_stateEbbT6_jjT7_P12ihipStream_tbENKUlT_T0_SI_SN_E_clISD_PjSD_S15_EEDaS11_S12_SI_SN_EUlS11_E_NS1_11comp_targetILNS1_3genE9ELNS1_11target_archE1100ELNS1_3gpuE3ELNS1_3repE0EEENS1_47radix_sort_onesweep_sort_config_static_selectorELNS0_4arch9wavefront6targetE1EEEvSI_
	.globl	_ZN7rocprim17ROCPRIM_400000_NS6detail17trampoline_kernelINS0_14default_configENS1_35radix_sort_onesweep_config_selectorIjjEEZZNS1_29radix_sort_onesweep_iterationIS3_Lb0EN6thrust23THRUST_200600_302600_NS6detail15normal_iteratorINS8_10device_ptrIjEEEESD_SD_SD_jNS0_19identity_decomposerENS1_16block_id_wrapperIjLb1EEEEE10hipError_tT1_PNSt15iterator_traitsISI_E10value_typeET2_T3_PNSJ_ISO_E10value_typeET4_T5_PST_SU_PNS1_23onesweep_lookback_stateEbbT6_jjT7_P12ihipStream_tbENKUlT_T0_SI_SN_E_clISD_PjSD_S15_EEDaS11_S12_SI_SN_EUlS11_E_NS1_11comp_targetILNS1_3genE9ELNS1_11target_archE1100ELNS1_3gpuE3ELNS1_3repE0EEENS1_47radix_sort_onesweep_sort_config_static_selectorELNS0_4arch9wavefront6targetE1EEEvSI_
	.p2align	8
	.type	_ZN7rocprim17ROCPRIM_400000_NS6detail17trampoline_kernelINS0_14default_configENS1_35radix_sort_onesweep_config_selectorIjjEEZZNS1_29radix_sort_onesweep_iterationIS3_Lb0EN6thrust23THRUST_200600_302600_NS6detail15normal_iteratorINS8_10device_ptrIjEEEESD_SD_SD_jNS0_19identity_decomposerENS1_16block_id_wrapperIjLb1EEEEE10hipError_tT1_PNSt15iterator_traitsISI_E10value_typeET2_T3_PNSJ_ISO_E10value_typeET4_T5_PST_SU_PNS1_23onesweep_lookback_stateEbbT6_jjT7_P12ihipStream_tbENKUlT_T0_SI_SN_E_clISD_PjSD_S15_EEDaS11_S12_SI_SN_EUlS11_E_NS1_11comp_targetILNS1_3genE9ELNS1_11target_archE1100ELNS1_3gpuE3ELNS1_3repE0EEENS1_47radix_sort_onesweep_sort_config_static_selectorELNS0_4arch9wavefront6targetE1EEEvSI_,@function
_ZN7rocprim17ROCPRIM_400000_NS6detail17trampoline_kernelINS0_14default_configENS1_35radix_sort_onesweep_config_selectorIjjEEZZNS1_29radix_sort_onesweep_iterationIS3_Lb0EN6thrust23THRUST_200600_302600_NS6detail15normal_iteratorINS8_10device_ptrIjEEEESD_SD_SD_jNS0_19identity_decomposerENS1_16block_id_wrapperIjLb1EEEEE10hipError_tT1_PNSt15iterator_traitsISI_E10value_typeET2_T3_PNSJ_ISO_E10value_typeET4_T5_PST_SU_PNS1_23onesweep_lookback_stateEbbT6_jjT7_P12ihipStream_tbENKUlT_T0_SI_SN_E_clISD_PjSD_S15_EEDaS11_S12_SI_SN_EUlS11_E_NS1_11comp_targetILNS1_3genE9ELNS1_11target_archE1100ELNS1_3gpuE3ELNS1_3repE0EEENS1_47radix_sort_onesweep_sort_config_static_selectorELNS0_4arch9wavefront6targetE1EEEvSI_: ; @_ZN7rocprim17ROCPRIM_400000_NS6detail17trampoline_kernelINS0_14default_configENS1_35radix_sort_onesweep_config_selectorIjjEEZZNS1_29radix_sort_onesweep_iterationIS3_Lb0EN6thrust23THRUST_200600_302600_NS6detail15normal_iteratorINS8_10device_ptrIjEEEESD_SD_SD_jNS0_19identity_decomposerENS1_16block_id_wrapperIjLb1EEEEE10hipError_tT1_PNSt15iterator_traitsISI_E10value_typeET2_T3_PNSJ_ISO_E10value_typeET4_T5_PST_SU_PNS1_23onesweep_lookback_stateEbbT6_jjT7_P12ihipStream_tbENKUlT_T0_SI_SN_E_clISD_PjSD_S15_EEDaS11_S12_SI_SN_EUlS11_E_NS1_11comp_targetILNS1_3genE9ELNS1_11target_archE1100ELNS1_3gpuE3ELNS1_3repE0EEENS1_47radix_sort_onesweep_sort_config_static_selectorELNS0_4arch9wavefront6targetE1EEEvSI_
; %bb.0:
	.section	.rodata,"a",@progbits
	.p2align	6, 0x0
	.amdhsa_kernel _ZN7rocprim17ROCPRIM_400000_NS6detail17trampoline_kernelINS0_14default_configENS1_35radix_sort_onesweep_config_selectorIjjEEZZNS1_29radix_sort_onesweep_iterationIS3_Lb0EN6thrust23THRUST_200600_302600_NS6detail15normal_iteratorINS8_10device_ptrIjEEEESD_SD_SD_jNS0_19identity_decomposerENS1_16block_id_wrapperIjLb1EEEEE10hipError_tT1_PNSt15iterator_traitsISI_E10value_typeET2_T3_PNSJ_ISO_E10value_typeET4_T5_PST_SU_PNS1_23onesweep_lookback_stateEbbT6_jjT7_P12ihipStream_tbENKUlT_T0_SI_SN_E_clISD_PjSD_S15_EEDaS11_S12_SI_SN_EUlS11_E_NS1_11comp_targetILNS1_3genE9ELNS1_11target_archE1100ELNS1_3gpuE3ELNS1_3repE0EEENS1_47radix_sort_onesweep_sort_config_static_selectorELNS0_4arch9wavefront6targetE1EEEvSI_
		.amdhsa_group_segment_fixed_size 0
		.amdhsa_private_segment_fixed_size 0
		.amdhsa_kernarg_size 88
		.amdhsa_user_sgpr_count 2
		.amdhsa_user_sgpr_dispatch_ptr 0
		.amdhsa_user_sgpr_queue_ptr 0
		.amdhsa_user_sgpr_kernarg_segment_ptr 1
		.amdhsa_user_sgpr_dispatch_id 0
		.amdhsa_user_sgpr_kernarg_preload_length 0
		.amdhsa_user_sgpr_kernarg_preload_offset 0
		.amdhsa_user_sgpr_private_segment_size 0
		.amdhsa_uses_dynamic_stack 0
		.amdhsa_enable_private_segment 0
		.amdhsa_system_sgpr_workgroup_id_x 1
		.amdhsa_system_sgpr_workgroup_id_y 0
		.amdhsa_system_sgpr_workgroup_id_z 0
		.amdhsa_system_sgpr_workgroup_info 0
		.amdhsa_system_vgpr_workitem_id 0
		.amdhsa_next_free_vgpr 1
		.amdhsa_next_free_sgpr 0
		.amdhsa_accum_offset 4
		.amdhsa_reserve_vcc 0
		.amdhsa_float_round_mode_32 0
		.amdhsa_float_round_mode_16_64 0
		.amdhsa_float_denorm_mode_32 3
		.amdhsa_float_denorm_mode_16_64 3
		.amdhsa_dx10_clamp 1
		.amdhsa_ieee_mode 1
		.amdhsa_fp16_overflow 0
		.amdhsa_tg_split 0
		.amdhsa_exception_fp_ieee_invalid_op 0
		.amdhsa_exception_fp_denorm_src 0
		.amdhsa_exception_fp_ieee_div_zero 0
		.amdhsa_exception_fp_ieee_overflow 0
		.amdhsa_exception_fp_ieee_underflow 0
		.amdhsa_exception_fp_ieee_inexact 0
		.amdhsa_exception_int_div_zero 0
	.end_amdhsa_kernel
	.section	.text._ZN7rocprim17ROCPRIM_400000_NS6detail17trampoline_kernelINS0_14default_configENS1_35radix_sort_onesweep_config_selectorIjjEEZZNS1_29radix_sort_onesweep_iterationIS3_Lb0EN6thrust23THRUST_200600_302600_NS6detail15normal_iteratorINS8_10device_ptrIjEEEESD_SD_SD_jNS0_19identity_decomposerENS1_16block_id_wrapperIjLb1EEEEE10hipError_tT1_PNSt15iterator_traitsISI_E10value_typeET2_T3_PNSJ_ISO_E10value_typeET4_T5_PST_SU_PNS1_23onesweep_lookback_stateEbbT6_jjT7_P12ihipStream_tbENKUlT_T0_SI_SN_E_clISD_PjSD_S15_EEDaS11_S12_SI_SN_EUlS11_E_NS1_11comp_targetILNS1_3genE9ELNS1_11target_archE1100ELNS1_3gpuE3ELNS1_3repE0EEENS1_47radix_sort_onesweep_sort_config_static_selectorELNS0_4arch9wavefront6targetE1EEEvSI_,"axG",@progbits,_ZN7rocprim17ROCPRIM_400000_NS6detail17trampoline_kernelINS0_14default_configENS1_35radix_sort_onesweep_config_selectorIjjEEZZNS1_29radix_sort_onesweep_iterationIS3_Lb0EN6thrust23THRUST_200600_302600_NS6detail15normal_iteratorINS8_10device_ptrIjEEEESD_SD_SD_jNS0_19identity_decomposerENS1_16block_id_wrapperIjLb1EEEEE10hipError_tT1_PNSt15iterator_traitsISI_E10value_typeET2_T3_PNSJ_ISO_E10value_typeET4_T5_PST_SU_PNS1_23onesweep_lookback_stateEbbT6_jjT7_P12ihipStream_tbENKUlT_T0_SI_SN_E_clISD_PjSD_S15_EEDaS11_S12_SI_SN_EUlS11_E_NS1_11comp_targetILNS1_3genE9ELNS1_11target_archE1100ELNS1_3gpuE3ELNS1_3repE0EEENS1_47radix_sort_onesweep_sort_config_static_selectorELNS0_4arch9wavefront6targetE1EEEvSI_,comdat
.Lfunc_end767:
	.size	_ZN7rocprim17ROCPRIM_400000_NS6detail17trampoline_kernelINS0_14default_configENS1_35radix_sort_onesweep_config_selectorIjjEEZZNS1_29radix_sort_onesweep_iterationIS3_Lb0EN6thrust23THRUST_200600_302600_NS6detail15normal_iteratorINS8_10device_ptrIjEEEESD_SD_SD_jNS0_19identity_decomposerENS1_16block_id_wrapperIjLb1EEEEE10hipError_tT1_PNSt15iterator_traitsISI_E10value_typeET2_T3_PNSJ_ISO_E10value_typeET4_T5_PST_SU_PNS1_23onesweep_lookback_stateEbbT6_jjT7_P12ihipStream_tbENKUlT_T0_SI_SN_E_clISD_PjSD_S15_EEDaS11_S12_SI_SN_EUlS11_E_NS1_11comp_targetILNS1_3genE9ELNS1_11target_archE1100ELNS1_3gpuE3ELNS1_3repE0EEENS1_47radix_sort_onesweep_sort_config_static_selectorELNS0_4arch9wavefront6targetE1EEEvSI_, .Lfunc_end767-_ZN7rocprim17ROCPRIM_400000_NS6detail17trampoline_kernelINS0_14default_configENS1_35radix_sort_onesweep_config_selectorIjjEEZZNS1_29radix_sort_onesweep_iterationIS3_Lb0EN6thrust23THRUST_200600_302600_NS6detail15normal_iteratorINS8_10device_ptrIjEEEESD_SD_SD_jNS0_19identity_decomposerENS1_16block_id_wrapperIjLb1EEEEE10hipError_tT1_PNSt15iterator_traitsISI_E10value_typeET2_T3_PNSJ_ISO_E10value_typeET4_T5_PST_SU_PNS1_23onesweep_lookback_stateEbbT6_jjT7_P12ihipStream_tbENKUlT_T0_SI_SN_E_clISD_PjSD_S15_EEDaS11_S12_SI_SN_EUlS11_E_NS1_11comp_targetILNS1_3genE9ELNS1_11target_archE1100ELNS1_3gpuE3ELNS1_3repE0EEENS1_47radix_sort_onesweep_sort_config_static_selectorELNS0_4arch9wavefront6targetE1EEEvSI_
                                        ; -- End function
	.set _ZN7rocprim17ROCPRIM_400000_NS6detail17trampoline_kernelINS0_14default_configENS1_35radix_sort_onesweep_config_selectorIjjEEZZNS1_29radix_sort_onesweep_iterationIS3_Lb0EN6thrust23THRUST_200600_302600_NS6detail15normal_iteratorINS8_10device_ptrIjEEEESD_SD_SD_jNS0_19identity_decomposerENS1_16block_id_wrapperIjLb1EEEEE10hipError_tT1_PNSt15iterator_traitsISI_E10value_typeET2_T3_PNSJ_ISO_E10value_typeET4_T5_PST_SU_PNS1_23onesweep_lookback_stateEbbT6_jjT7_P12ihipStream_tbENKUlT_T0_SI_SN_E_clISD_PjSD_S15_EEDaS11_S12_SI_SN_EUlS11_E_NS1_11comp_targetILNS1_3genE9ELNS1_11target_archE1100ELNS1_3gpuE3ELNS1_3repE0EEENS1_47radix_sort_onesweep_sort_config_static_selectorELNS0_4arch9wavefront6targetE1EEEvSI_.num_vgpr, 0
	.set _ZN7rocprim17ROCPRIM_400000_NS6detail17trampoline_kernelINS0_14default_configENS1_35radix_sort_onesweep_config_selectorIjjEEZZNS1_29radix_sort_onesweep_iterationIS3_Lb0EN6thrust23THRUST_200600_302600_NS6detail15normal_iteratorINS8_10device_ptrIjEEEESD_SD_SD_jNS0_19identity_decomposerENS1_16block_id_wrapperIjLb1EEEEE10hipError_tT1_PNSt15iterator_traitsISI_E10value_typeET2_T3_PNSJ_ISO_E10value_typeET4_T5_PST_SU_PNS1_23onesweep_lookback_stateEbbT6_jjT7_P12ihipStream_tbENKUlT_T0_SI_SN_E_clISD_PjSD_S15_EEDaS11_S12_SI_SN_EUlS11_E_NS1_11comp_targetILNS1_3genE9ELNS1_11target_archE1100ELNS1_3gpuE3ELNS1_3repE0EEENS1_47radix_sort_onesweep_sort_config_static_selectorELNS0_4arch9wavefront6targetE1EEEvSI_.num_agpr, 0
	.set _ZN7rocprim17ROCPRIM_400000_NS6detail17trampoline_kernelINS0_14default_configENS1_35radix_sort_onesweep_config_selectorIjjEEZZNS1_29radix_sort_onesweep_iterationIS3_Lb0EN6thrust23THRUST_200600_302600_NS6detail15normal_iteratorINS8_10device_ptrIjEEEESD_SD_SD_jNS0_19identity_decomposerENS1_16block_id_wrapperIjLb1EEEEE10hipError_tT1_PNSt15iterator_traitsISI_E10value_typeET2_T3_PNSJ_ISO_E10value_typeET4_T5_PST_SU_PNS1_23onesweep_lookback_stateEbbT6_jjT7_P12ihipStream_tbENKUlT_T0_SI_SN_E_clISD_PjSD_S15_EEDaS11_S12_SI_SN_EUlS11_E_NS1_11comp_targetILNS1_3genE9ELNS1_11target_archE1100ELNS1_3gpuE3ELNS1_3repE0EEENS1_47radix_sort_onesweep_sort_config_static_selectorELNS0_4arch9wavefront6targetE1EEEvSI_.numbered_sgpr, 0
	.set _ZN7rocprim17ROCPRIM_400000_NS6detail17trampoline_kernelINS0_14default_configENS1_35radix_sort_onesweep_config_selectorIjjEEZZNS1_29radix_sort_onesweep_iterationIS3_Lb0EN6thrust23THRUST_200600_302600_NS6detail15normal_iteratorINS8_10device_ptrIjEEEESD_SD_SD_jNS0_19identity_decomposerENS1_16block_id_wrapperIjLb1EEEEE10hipError_tT1_PNSt15iterator_traitsISI_E10value_typeET2_T3_PNSJ_ISO_E10value_typeET4_T5_PST_SU_PNS1_23onesweep_lookback_stateEbbT6_jjT7_P12ihipStream_tbENKUlT_T0_SI_SN_E_clISD_PjSD_S15_EEDaS11_S12_SI_SN_EUlS11_E_NS1_11comp_targetILNS1_3genE9ELNS1_11target_archE1100ELNS1_3gpuE3ELNS1_3repE0EEENS1_47radix_sort_onesweep_sort_config_static_selectorELNS0_4arch9wavefront6targetE1EEEvSI_.num_named_barrier, 0
	.set _ZN7rocprim17ROCPRIM_400000_NS6detail17trampoline_kernelINS0_14default_configENS1_35radix_sort_onesweep_config_selectorIjjEEZZNS1_29radix_sort_onesweep_iterationIS3_Lb0EN6thrust23THRUST_200600_302600_NS6detail15normal_iteratorINS8_10device_ptrIjEEEESD_SD_SD_jNS0_19identity_decomposerENS1_16block_id_wrapperIjLb1EEEEE10hipError_tT1_PNSt15iterator_traitsISI_E10value_typeET2_T3_PNSJ_ISO_E10value_typeET4_T5_PST_SU_PNS1_23onesweep_lookback_stateEbbT6_jjT7_P12ihipStream_tbENKUlT_T0_SI_SN_E_clISD_PjSD_S15_EEDaS11_S12_SI_SN_EUlS11_E_NS1_11comp_targetILNS1_3genE9ELNS1_11target_archE1100ELNS1_3gpuE3ELNS1_3repE0EEENS1_47radix_sort_onesweep_sort_config_static_selectorELNS0_4arch9wavefront6targetE1EEEvSI_.private_seg_size, 0
	.set _ZN7rocprim17ROCPRIM_400000_NS6detail17trampoline_kernelINS0_14default_configENS1_35radix_sort_onesweep_config_selectorIjjEEZZNS1_29radix_sort_onesweep_iterationIS3_Lb0EN6thrust23THRUST_200600_302600_NS6detail15normal_iteratorINS8_10device_ptrIjEEEESD_SD_SD_jNS0_19identity_decomposerENS1_16block_id_wrapperIjLb1EEEEE10hipError_tT1_PNSt15iterator_traitsISI_E10value_typeET2_T3_PNSJ_ISO_E10value_typeET4_T5_PST_SU_PNS1_23onesweep_lookback_stateEbbT6_jjT7_P12ihipStream_tbENKUlT_T0_SI_SN_E_clISD_PjSD_S15_EEDaS11_S12_SI_SN_EUlS11_E_NS1_11comp_targetILNS1_3genE9ELNS1_11target_archE1100ELNS1_3gpuE3ELNS1_3repE0EEENS1_47radix_sort_onesweep_sort_config_static_selectorELNS0_4arch9wavefront6targetE1EEEvSI_.uses_vcc, 0
	.set _ZN7rocprim17ROCPRIM_400000_NS6detail17trampoline_kernelINS0_14default_configENS1_35radix_sort_onesweep_config_selectorIjjEEZZNS1_29radix_sort_onesweep_iterationIS3_Lb0EN6thrust23THRUST_200600_302600_NS6detail15normal_iteratorINS8_10device_ptrIjEEEESD_SD_SD_jNS0_19identity_decomposerENS1_16block_id_wrapperIjLb1EEEEE10hipError_tT1_PNSt15iterator_traitsISI_E10value_typeET2_T3_PNSJ_ISO_E10value_typeET4_T5_PST_SU_PNS1_23onesweep_lookback_stateEbbT6_jjT7_P12ihipStream_tbENKUlT_T0_SI_SN_E_clISD_PjSD_S15_EEDaS11_S12_SI_SN_EUlS11_E_NS1_11comp_targetILNS1_3genE9ELNS1_11target_archE1100ELNS1_3gpuE3ELNS1_3repE0EEENS1_47radix_sort_onesweep_sort_config_static_selectorELNS0_4arch9wavefront6targetE1EEEvSI_.uses_flat_scratch, 0
	.set _ZN7rocprim17ROCPRIM_400000_NS6detail17trampoline_kernelINS0_14default_configENS1_35radix_sort_onesweep_config_selectorIjjEEZZNS1_29radix_sort_onesweep_iterationIS3_Lb0EN6thrust23THRUST_200600_302600_NS6detail15normal_iteratorINS8_10device_ptrIjEEEESD_SD_SD_jNS0_19identity_decomposerENS1_16block_id_wrapperIjLb1EEEEE10hipError_tT1_PNSt15iterator_traitsISI_E10value_typeET2_T3_PNSJ_ISO_E10value_typeET4_T5_PST_SU_PNS1_23onesweep_lookback_stateEbbT6_jjT7_P12ihipStream_tbENKUlT_T0_SI_SN_E_clISD_PjSD_S15_EEDaS11_S12_SI_SN_EUlS11_E_NS1_11comp_targetILNS1_3genE9ELNS1_11target_archE1100ELNS1_3gpuE3ELNS1_3repE0EEENS1_47radix_sort_onesweep_sort_config_static_selectorELNS0_4arch9wavefront6targetE1EEEvSI_.has_dyn_sized_stack, 0
	.set _ZN7rocprim17ROCPRIM_400000_NS6detail17trampoline_kernelINS0_14default_configENS1_35radix_sort_onesweep_config_selectorIjjEEZZNS1_29radix_sort_onesweep_iterationIS3_Lb0EN6thrust23THRUST_200600_302600_NS6detail15normal_iteratorINS8_10device_ptrIjEEEESD_SD_SD_jNS0_19identity_decomposerENS1_16block_id_wrapperIjLb1EEEEE10hipError_tT1_PNSt15iterator_traitsISI_E10value_typeET2_T3_PNSJ_ISO_E10value_typeET4_T5_PST_SU_PNS1_23onesweep_lookback_stateEbbT6_jjT7_P12ihipStream_tbENKUlT_T0_SI_SN_E_clISD_PjSD_S15_EEDaS11_S12_SI_SN_EUlS11_E_NS1_11comp_targetILNS1_3genE9ELNS1_11target_archE1100ELNS1_3gpuE3ELNS1_3repE0EEENS1_47radix_sort_onesweep_sort_config_static_selectorELNS0_4arch9wavefront6targetE1EEEvSI_.has_recursion, 0
	.set _ZN7rocprim17ROCPRIM_400000_NS6detail17trampoline_kernelINS0_14default_configENS1_35radix_sort_onesweep_config_selectorIjjEEZZNS1_29radix_sort_onesweep_iterationIS3_Lb0EN6thrust23THRUST_200600_302600_NS6detail15normal_iteratorINS8_10device_ptrIjEEEESD_SD_SD_jNS0_19identity_decomposerENS1_16block_id_wrapperIjLb1EEEEE10hipError_tT1_PNSt15iterator_traitsISI_E10value_typeET2_T3_PNSJ_ISO_E10value_typeET4_T5_PST_SU_PNS1_23onesweep_lookback_stateEbbT6_jjT7_P12ihipStream_tbENKUlT_T0_SI_SN_E_clISD_PjSD_S15_EEDaS11_S12_SI_SN_EUlS11_E_NS1_11comp_targetILNS1_3genE9ELNS1_11target_archE1100ELNS1_3gpuE3ELNS1_3repE0EEENS1_47radix_sort_onesweep_sort_config_static_selectorELNS0_4arch9wavefront6targetE1EEEvSI_.has_indirect_call, 0
	.section	.AMDGPU.csdata,"",@progbits
; Kernel info:
; codeLenInByte = 0
; TotalNumSgprs: 6
; NumVgprs: 0
; NumAgprs: 0
; TotalNumVgprs: 0
; ScratchSize: 0
; MemoryBound: 0
; FloatMode: 240
; IeeeMode: 1
; LDSByteSize: 0 bytes/workgroup (compile time only)
; SGPRBlocks: 0
; VGPRBlocks: 0
; NumSGPRsForWavesPerEU: 6
; NumVGPRsForWavesPerEU: 1
; AccumOffset: 4
; Occupancy: 8
; WaveLimiterHint : 0
; COMPUTE_PGM_RSRC2:SCRATCH_EN: 0
; COMPUTE_PGM_RSRC2:USER_SGPR: 2
; COMPUTE_PGM_RSRC2:TRAP_HANDLER: 0
; COMPUTE_PGM_RSRC2:TGID_X_EN: 1
; COMPUTE_PGM_RSRC2:TGID_Y_EN: 0
; COMPUTE_PGM_RSRC2:TGID_Z_EN: 0
; COMPUTE_PGM_RSRC2:TIDIG_COMP_CNT: 0
; COMPUTE_PGM_RSRC3_GFX90A:ACCUM_OFFSET: 0
; COMPUTE_PGM_RSRC3_GFX90A:TG_SPLIT: 0
	.section	.text._ZN7rocprim17ROCPRIM_400000_NS6detail17trampoline_kernelINS0_14default_configENS1_35radix_sort_onesweep_config_selectorIjjEEZZNS1_29radix_sort_onesweep_iterationIS3_Lb0EN6thrust23THRUST_200600_302600_NS6detail15normal_iteratorINS8_10device_ptrIjEEEESD_SD_SD_jNS0_19identity_decomposerENS1_16block_id_wrapperIjLb1EEEEE10hipError_tT1_PNSt15iterator_traitsISI_E10value_typeET2_T3_PNSJ_ISO_E10value_typeET4_T5_PST_SU_PNS1_23onesweep_lookback_stateEbbT6_jjT7_P12ihipStream_tbENKUlT_T0_SI_SN_E_clISD_PjSD_S15_EEDaS11_S12_SI_SN_EUlS11_E_NS1_11comp_targetILNS1_3genE8ELNS1_11target_archE1030ELNS1_3gpuE2ELNS1_3repE0EEENS1_47radix_sort_onesweep_sort_config_static_selectorELNS0_4arch9wavefront6targetE1EEEvSI_,"axG",@progbits,_ZN7rocprim17ROCPRIM_400000_NS6detail17trampoline_kernelINS0_14default_configENS1_35radix_sort_onesweep_config_selectorIjjEEZZNS1_29radix_sort_onesweep_iterationIS3_Lb0EN6thrust23THRUST_200600_302600_NS6detail15normal_iteratorINS8_10device_ptrIjEEEESD_SD_SD_jNS0_19identity_decomposerENS1_16block_id_wrapperIjLb1EEEEE10hipError_tT1_PNSt15iterator_traitsISI_E10value_typeET2_T3_PNSJ_ISO_E10value_typeET4_T5_PST_SU_PNS1_23onesweep_lookback_stateEbbT6_jjT7_P12ihipStream_tbENKUlT_T0_SI_SN_E_clISD_PjSD_S15_EEDaS11_S12_SI_SN_EUlS11_E_NS1_11comp_targetILNS1_3genE8ELNS1_11target_archE1030ELNS1_3gpuE2ELNS1_3repE0EEENS1_47radix_sort_onesweep_sort_config_static_selectorELNS0_4arch9wavefront6targetE1EEEvSI_,comdat
	.protected	_ZN7rocprim17ROCPRIM_400000_NS6detail17trampoline_kernelINS0_14default_configENS1_35radix_sort_onesweep_config_selectorIjjEEZZNS1_29radix_sort_onesweep_iterationIS3_Lb0EN6thrust23THRUST_200600_302600_NS6detail15normal_iteratorINS8_10device_ptrIjEEEESD_SD_SD_jNS0_19identity_decomposerENS1_16block_id_wrapperIjLb1EEEEE10hipError_tT1_PNSt15iterator_traitsISI_E10value_typeET2_T3_PNSJ_ISO_E10value_typeET4_T5_PST_SU_PNS1_23onesweep_lookback_stateEbbT6_jjT7_P12ihipStream_tbENKUlT_T0_SI_SN_E_clISD_PjSD_S15_EEDaS11_S12_SI_SN_EUlS11_E_NS1_11comp_targetILNS1_3genE8ELNS1_11target_archE1030ELNS1_3gpuE2ELNS1_3repE0EEENS1_47radix_sort_onesweep_sort_config_static_selectorELNS0_4arch9wavefront6targetE1EEEvSI_ ; -- Begin function _ZN7rocprim17ROCPRIM_400000_NS6detail17trampoline_kernelINS0_14default_configENS1_35radix_sort_onesweep_config_selectorIjjEEZZNS1_29radix_sort_onesweep_iterationIS3_Lb0EN6thrust23THRUST_200600_302600_NS6detail15normal_iteratorINS8_10device_ptrIjEEEESD_SD_SD_jNS0_19identity_decomposerENS1_16block_id_wrapperIjLb1EEEEE10hipError_tT1_PNSt15iterator_traitsISI_E10value_typeET2_T3_PNSJ_ISO_E10value_typeET4_T5_PST_SU_PNS1_23onesweep_lookback_stateEbbT6_jjT7_P12ihipStream_tbENKUlT_T0_SI_SN_E_clISD_PjSD_S15_EEDaS11_S12_SI_SN_EUlS11_E_NS1_11comp_targetILNS1_3genE8ELNS1_11target_archE1030ELNS1_3gpuE2ELNS1_3repE0EEENS1_47radix_sort_onesweep_sort_config_static_selectorELNS0_4arch9wavefront6targetE1EEEvSI_
	.globl	_ZN7rocprim17ROCPRIM_400000_NS6detail17trampoline_kernelINS0_14default_configENS1_35radix_sort_onesweep_config_selectorIjjEEZZNS1_29radix_sort_onesweep_iterationIS3_Lb0EN6thrust23THRUST_200600_302600_NS6detail15normal_iteratorINS8_10device_ptrIjEEEESD_SD_SD_jNS0_19identity_decomposerENS1_16block_id_wrapperIjLb1EEEEE10hipError_tT1_PNSt15iterator_traitsISI_E10value_typeET2_T3_PNSJ_ISO_E10value_typeET4_T5_PST_SU_PNS1_23onesweep_lookback_stateEbbT6_jjT7_P12ihipStream_tbENKUlT_T0_SI_SN_E_clISD_PjSD_S15_EEDaS11_S12_SI_SN_EUlS11_E_NS1_11comp_targetILNS1_3genE8ELNS1_11target_archE1030ELNS1_3gpuE2ELNS1_3repE0EEENS1_47radix_sort_onesweep_sort_config_static_selectorELNS0_4arch9wavefront6targetE1EEEvSI_
	.p2align	8
	.type	_ZN7rocprim17ROCPRIM_400000_NS6detail17trampoline_kernelINS0_14default_configENS1_35radix_sort_onesweep_config_selectorIjjEEZZNS1_29radix_sort_onesweep_iterationIS3_Lb0EN6thrust23THRUST_200600_302600_NS6detail15normal_iteratorINS8_10device_ptrIjEEEESD_SD_SD_jNS0_19identity_decomposerENS1_16block_id_wrapperIjLb1EEEEE10hipError_tT1_PNSt15iterator_traitsISI_E10value_typeET2_T3_PNSJ_ISO_E10value_typeET4_T5_PST_SU_PNS1_23onesweep_lookback_stateEbbT6_jjT7_P12ihipStream_tbENKUlT_T0_SI_SN_E_clISD_PjSD_S15_EEDaS11_S12_SI_SN_EUlS11_E_NS1_11comp_targetILNS1_3genE8ELNS1_11target_archE1030ELNS1_3gpuE2ELNS1_3repE0EEENS1_47radix_sort_onesweep_sort_config_static_selectorELNS0_4arch9wavefront6targetE1EEEvSI_,@function
_ZN7rocprim17ROCPRIM_400000_NS6detail17trampoline_kernelINS0_14default_configENS1_35radix_sort_onesweep_config_selectorIjjEEZZNS1_29radix_sort_onesweep_iterationIS3_Lb0EN6thrust23THRUST_200600_302600_NS6detail15normal_iteratorINS8_10device_ptrIjEEEESD_SD_SD_jNS0_19identity_decomposerENS1_16block_id_wrapperIjLb1EEEEE10hipError_tT1_PNSt15iterator_traitsISI_E10value_typeET2_T3_PNSJ_ISO_E10value_typeET4_T5_PST_SU_PNS1_23onesweep_lookback_stateEbbT6_jjT7_P12ihipStream_tbENKUlT_T0_SI_SN_E_clISD_PjSD_S15_EEDaS11_S12_SI_SN_EUlS11_E_NS1_11comp_targetILNS1_3genE8ELNS1_11target_archE1030ELNS1_3gpuE2ELNS1_3repE0EEENS1_47radix_sort_onesweep_sort_config_static_selectorELNS0_4arch9wavefront6targetE1EEEvSI_: ; @_ZN7rocprim17ROCPRIM_400000_NS6detail17trampoline_kernelINS0_14default_configENS1_35radix_sort_onesweep_config_selectorIjjEEZZNS1_29radix_sort_onesweep_iterationIS3_Lb0EN6thrust23THRUST_200600_302600_NS6detail15normal_iteratorINS8_10device_ptrIjEEEESD_SD_SD_jNS0_19identity_decomposerENS1_16block_id_wrapperIjLb1EEEEE10hipError_tT1_PNSt15iterator_traitsISI_E10value_typeET2_T3_PNSJ_ISO_E10value_typeET4_T5_PST_SU_PNS1_23onesweep_lookback_stateEbbT6_jjT7_P12ihipStream_tbENKUlT_T0_SI_SN_E_clISD_PjSD_S15_EEDaS11_S12_SI_SN_EUlS11_E_NS1_11comp_targetILNS1_3genE8ELNS1_11target_archE1030ELNS1_3gpuE2ELNS1_3repE0EEENS1_47radix_sort_onesweep_sort_config_static_selectorELNS0_4arch9wavefront6targetE1EEEvSI_
; %bb.0:
	.section	.rodata,"a",@progbits
	.p2align	6, 0x0
	.amdhsa_kernel _ZN7rocprim17ROCPRIM_400000_NS6detail17trampoline_kernelINS0_14default_configENS1_35radix_sort_onesweep_config_selectorIjjEEZZNS1_29radix_sort_onesweep_iterationIS3_Lb0EN6thrust23THRUST_200600_302600_NS6detail15normal_iteratorINS8_10device_ptrIjEEEESD_SD_SD_jNS0_19identity_decomposerENS1_16block_id_wrapperIjLb1EEEEE10hipError_tT1_PNSt15iterator_traitsISI_E10value_typeET2_T3_PNSJ_ISO_E10value_typeET4_T5_PST_SU_PNS1_23onesweep_lookback_stateEbbT6_jjT7_P12ihipStream_tbENKUlT_T0_SI_SN_E_clISD_PjSD_S15_EEDaS11_S12_SI_SN_EUlS11_E_NS1_11comp_targetILNS1_3genE8ELNS1_11target_archE1030ELNS1_3gpuE2ELNS1_3repE0EEENS1_47radix_sort_onesweep_sort_config_static_selectorELNS0_4arch9wavefront6targetE1EEEvSI_
		.amdhsa_group_segment_fixed_size 0
		.amdhsa_private_segment_fixed_size 0
		.amdhsa_kernarg_size 88
		.amdhsa_user_sgpr_count 2
		.amdhsa_user_sgpr_dispatch_ptr 0
		.amdhsa_user_sgpr_queue_ptr 0
		.amdhsa_user_sgpr_kernarg_segment_ptr 1
		.amdhsa_user_sgpr_dispatch_id 0
		.amdhsa_user_sgpr_kernarg_preload_length 0
		.amdhsa_user_sgpr_kernarg_preload_offset 0
		.amdhsa_user_sgpr_private_segment_size 0
		.amdhsa_uses_dynamic_stack 0
		.amdhsa_enable_private_segment 0
		.amdhsa_system_sgpr_workgroup_id_x 1
		.amdhsa_system_sgpr_workgroup_id_y 0
		.amdhsa_system_sgpr_workgroup_id_z 0
		.amdhsa_system_sgpr_workgroup_info 0
		.amdhsa_system_vgpr_workitem_id 0
		.amdhsa_next_free_vgpr 1
		.amdhsa_next_free_sgpr 0
		.amdhsa_accum_offset 4
		.amdhsa_reserve_vcc 0
		.amdhsa_float_round_mode_32 0
		.amdhsa_float_round_mode_16_64 0
		.amdhsa_float_denorm_mode_32 3
		.amdhsa_float_denorm_mode_16_64 3
		.amdhsa_dx10_clamp 1
		.amdhsa_ieee_mode 1
		.amdhsa_fp16_overflow 0
		.amdhsa_tg_split 0
		.amdhsa_exception_fp_ieee_invalid_op 0
		.amdhsa_exception_fp_denorm_src 0
		.amdhsa_exception_fp_ieee_div_zero 0
		.amdhsa_exception_fp_ieee_overflow 0
		.amdhsa_exception_fp_ieee_underflow 0
		.amdhsa_exception_fp_ieee_inexact 0
		.amdhsa_exception_int_div_zero 0
	.end_amdhsa_kernel
	.section	.text._ZN7rocprim17ROCPRIM_400000_NS6detail17trampoline_kernelINS0_14default_configENS1_35radix_sort_onesweep_config_selectorIjjEEZZNS1_29radix_sort_onesweep_iterationIS3_Lb0EN6thrust23THRUST_200600_302600_NS6detail15normal_iteratorINS8_10device_ptrIjEEEESD_SD_SD_jNS0_19identity_decomposerENS1_16block_id_wrapperIjLb1EEEEE10hipError_tT1_PNSt15iterator_traitsISI_E10value_typeET2_T3_PNSJ_ISO_E10value_typeET4_T5_PST_SU_PNS1_23onesweep_lookback_stateEbbT6_jjT7_P12ihipStream_tbENKUlT_T0_SI_SN_E_clISD_PjSD_S15_EEDaS11_S12_SI_SN_EUlS11_E_NS1_11comp_targetILNS1_3genE8ELNS1_11target_archE1030ELNS1_3gpuE2ELNS1_3repE0EEENS1_47radix_sort_onesweep_sort_config_static_selectorELNS0_4arch9wavefront6targetE1EEEvSI_,"axG",@progbits,_ZN7rocprim17ROCPRIM_400000_NS6detail17trampoline_kernelINS0_14default_configENS1_35radix_sort_onesweep_config_selectorIjjEEZZNS1_29radix_sort_onesweep_iterationIS3_Lb0EN6thrust23THRUST_200600_302600_NS6detail15normal_iteratorINS8_10device_ptrIjEEEESD_SD_SD_jNS0_19identity_decomposerENS1_16block_id_wrapperIjLb1EEEEE10hipError_tT1_PNSt15iterator_traitsISI_E10value_typeET2_T3_PNSJ_ISO_E10value_typeET4_T5_PST_SU_PNS1_23onesweep_lookback_stateEbbT6_jjT7_P12ihipStream_tbENKUlT_T0_SI_SN_E_clISD_PjSD_S15_EEDaS11_S12_SI_SN_EUlS11_E_NS1_11comp_targetILNS1_3genE8ELNS1_11target_archE1030ELNS1_3gpuE2ELNS1_3repE0EEENS1_47radix_sort_onesweep_sort_config_static_selectorELNS0_4arch9wavefront6targetE1EEEvSI_,comdat
.Lfunc_end768:
	.size	_ZN7rocprim17ROCPRIM_400000_NS6detail17trampoline_kernelINS0_14default_configENS1_35radix_sort_onesweep_config_selectorIjjEEZZNS1_29radix_sort_onesweep_iterationIS3_Lb0EN6thrust23THRUST_200600_302600_NS6detail15normal_iteratorINS8_10device_ptrIjEEEESD_SD_SD_jNS0_19identity_decomposerENS1_16block_id_wrapperIjLb1EEEEE10hipError_tT1_PNSt15iterator_traitsISI_E10value_typeET2_T3_PNSJ_ISO_E10value_typeET4_T5_PST_SU_PNS1_23onesweep_lookback_stateEbbT6_jjT7_P12ihipStream_tbENKUlT_T0_SI_SN_E_clISD_PjSD_S15_EEDaS11_S12_SI_SN_EUlS11_E_NS1_11comp_targetILNS1_3genE8ELNS1_11target_archE1030ELNS1_3gpuE2ELNS1_3repE0EEENS1_47radix_sort_onesweep_sort_config_static_selectorELNS0_4arch9wavefront6targetE1EEEvSI_, .Lfunc_end768-_ZN7rocprim17ROCPRIM_400000_NS6detail17trampoline_kernelINS0_14default_configENS1_35radix_sort_onesweep_config_selectorIjjEEZZNS1_29radix_sort_onesweep_iterationIS3_Lb0EN6thrust23THRUST_200600_302600_NS6detail15normal_iteratorINS8_10device_ptrIjEEEESD_SD_SD_jNS0_19identity_decomposerENS1_16block_id_wrapperIjLb1EEEEE10hipError_tT1_PNSt15iterator_traitsISI_E10value_typeET2_T3_PNSJ_ISO_E10value_typeET4_T5_PST_SU_PNS1_23onesweep_lookback_stateEbbT6_jjT7_P12ihipStream_tbENKUlT_T0_SI_SN_E_clISD_PjSD_S15_EEDaS11_S12_SI_SN_EUlS11_E_NS1_11comp_targetILNS1_3genE8ELNS1_11target_archE1030ELNS1_3gpuE2ELNS1_3repE0EEENS1_47radix_sort_onesweep_sort_config_static_selectorELNS0_4arch9wavefront6targetE1EEEvSI_
                                        ; -- End function
	.set _ZN7rocprim17ROCPRIM_400000_NS6detail17trampoline_kernelINS0_14default_configENS1_35radix_sort_onesweep_config_selectorIjjEEZZNS1_29radix_sort_onesweep_iterationIS3_Lb0EN6thrust23THRUST_200600_302600_NS6detail15normal_iteratorINS8_10device_ptrIjEEEESD_SD_SD_jNS0_19identity_decomposerENS1_16block_id_wrapperIjLb1EEEEE10hipError_tT1_PNSt15iterator_traitsISI_E10value_typeET2_T3_PNSJ_ISO_E10value_typeET4_T5_PST_SU_PNS1_23onesweep_lookback_stateEbbT6_jjT7_P12ihipStream_tbENKUlT_T0_SI_SN_E_clISD_PjSD_S15_EEDaS11_S12_SI_SN_EUlS11_E_NS1_11comp_targetILNS1_3genE8ELNS1_11target_archE1030ELNS1_3gpuE2ELNS1_3repE0EEENS1_47radix_sort_onesweep_sort_config_static_selectorELNS0_4arch9wavefront6targetE1EEEvSI_.num_vgpr, 0
	.set _ZN7rocprim17ROCPRIM_400000_NS6detail17trampoline_kernelINS0_14default_configENS1_35radix_sort_onesweep_config_selectorIjjEEZZNS1_29radix_sort_onesweep_iterationIS3_Lb0EN6thrust23THRUST_200600_302600_NS6detail15normal_iteratorINS8_10device_ptrIjEEEESD_SD_SD_jNS0_19identity_decomposerENS1_16block_id_wrapperIjLb1EEEEE10hipError_tT1_PNSt15iterator_traitsISI_E10value_typeET2_T3_PNSJ_ISO_E10value_typeET4_T5_PST_SU_PNS1_23onesweep_lookback_stateEbbT6_jjT7_P12ihipStream_tbENKUlT_T0_SI_SN_E_clISD_PjSD_S15_EEDaS11_S12_SI_SN_EUlS11_E_NS1_11comp_targetILNS1_3genE8ELNS1_11target_archE1030ELNS1_3gpuE2ELNS1_3repE0EEENS1_47radix_sort_onesweep_sort_config_static_selectorELNS0_4arch9wavefront6targetE1EEEvSI_.num_agpr, 0
	.set _ZN7rocprim17ROCPRIM_400000_NS6detail17trampoline_kernelINS0_14default_configENS1_35radix_sort_onesweep_config_selectorIjjEEZZNS1_29radix_sort_onesweep_iterationIS3_Lb0EN6thrust23THRUST_200600_302600_NS6detail15normal_iteratorINS8_10device_ptrIjEEEESD_SD_SD_jNS0_19identity_decomposerENS1_16block_id_wrapperIjLb1EEEEE10hipError_tT1_PNSt15iterator_traitsISI_E10value_typeET2_T3_PNSJ_ISO_E10value_typeET4_T5_PST_SU_PNS1_23onesweep_lookback_stateEbbT6_jjT7_P12ihipStream_tbENKUlT_T0_SI_SN_E_clISD_PjSD_S15_EEDaS11_S12_SI_SN_EUlS11_E_NS1_11comp_targetILNS1_3genE8ELNS1_11target_archE1030ELNS1_3gpuE2ELNS1_3repE0EEENS1_47radix_sort_onesweep_sort_config_static_selectorELNS0_4arch9wavefront6targetE1EEEvSI_.numbered_sgpr, 0
	.set _ZN7rocprim17ROCPRIM_400000_NS6detail17trampoline_kernelINS0_14default_configENS1_35radix_sort_onesweep_config_selectorIjjEEZZNS1_29radix_sort_onesweep_iterationIS3_Lb0EN6thrust23THRUST_200600_302600_NS6detail15normal_iteratorINS8_10device_ptrIjEEEESD_SD_SD_jNS0_19identity_decomposerENS1_16block_id_wrapperIjLb1EEEEE10hipError_tT1_PNSt15iterator_traitsISI_E10value_typeET2_T3_PNSJ_ISO_E10value_typeET4_T5_PST_SU_PNS1_23onesweep_lookback_stateEbbT6_jjT7_P12ihipStream_tbENKUlT_T0_SI_SN_E_clISD_PjSD_S15_EEDaS11_S12_SI_SN_EUlS11_E_NS1_11comp_targetILNS1_3genE8ELNS1_11target_archE1030ELNS1_3gpuE2ELNS1_3repE0EEENS1_47radix_sort_onesweep_sort_config_static_selectorELNS0_4arch9wavefront6targetE1EEEvSI_.num_named_barrier, 0
	.set _ZN7rocprim17ROCPRIM_400000_NS6detail17trampoline_kernelINS0_14default_configENS1_35radix_sort_onesweep_config_selectorIjjEEZZNS1_29radix_sort_onesweep_iterationIS3_Lb0EN6thrust23THRUST_200600_302600_NS6detail15normal_iteratorINS8_10device_ptrIjEEEESD_SD_SD_jNS0_19identity_decomposerENS1_16block_id_wrapperIjLb1EEEEE10hipError_tT1_PNSt15iterator_traitsISI_E10value_typeET2_T3_PNSJ_ISO_E10value_typeET4_T5_PST_SU_PNS1_23onesweep_lookback_stateEbbT6_jjT7_P12ihipStream_tbENKUlT_T0_SI_SN_E_clISD_PjSD_S15_EEDaS11_S12_SI_SN_EUlS11_E_NS1_11comp_targetILNS1_3genE8ELNS1_11target_archE1030ELNS1_3gpuE2ELNS1_3repE0EEENS1_47radix_sort_onesweep_sort_config_static_selectorELNS0_4arch9wavefront6targetE1EEEvSI_.private_seg_size, 0
	.set _ZN7rocprim17ROCPRIM_400000_NS6detail17trampoline_kernelINS0_14default_configENS1_35radix_sort_onesweep_config_selectorIjjEEZZNS1_29radix_sort_onesweep_iterationIS3_Lb0EN6thrust23THRUST_200600_302600_NS6detail15normal_iteratorINS8_10device_ptrIjEEEESD_SD_SD_jNS0_19identity_decomposerENS1_16block_id_wrapperIjLb1EEEEE10hipError_tT1_PNSt15iterator_traitsISI_E10value_typeET2_T3_PNSJ_ISO_E10value_typeET4_T5_PST_SU_PNS1_23onesweep_lookback_stateEbbT6_jjT7_P12ihipStream_tbENKUlT_T0_SI_SN_E_clISD_PjSD_S15_EEDaS11_S12_SI_SN_EUlS11_E_NS1_11comp_targetILNS1_3genE8ELNS1_11target_archE1030ELNS1_3gpuE2ELNS1_3repE0EEENS1_47radix_sort_onesweep_sort_config_static_selectorELNS0_4arch9wavefront6targetE1EEEvSI_.uses_vcc, 0
	.set _ZN7rocprim17ROCPRIM_400000_NS6detail17trampoline_kernelINS0_14default_configENS1_35radix_sort_onesweep_config_selectorIjjEEZZNS1_29radix_sort_onesweep_iterationIS3_Lb0EN6thrust23THRUST_200600_302600_NS6detail15normal_iteratorINS8_10device_ptrIjEEEESD_SD_SD_jNS0_19identity_decomposerENS1_16block_id_wrapperIjLb1EEEEE10hipError_tT1_PNSt15iterator_traitsISI_E10value_typeET2_T3_PNSJ_ISO_E10value_typeET4_T5_PST_SU_PNS1_23onesweep_lookback_stateEbbT6_jjT7_P12ihipStream_tbENKUlT_T0_SI_SN_E_clISD_PjSD_S15_EEDaS11_S12_SI_SN_EUlS11_E_NS1_11comp_targetILNS1_3genE8ELNS1_11target_archE1030ELNS1_3gpuE2ELNS1_3repE0EEENS1_47radix_sort_onesweep_sort_config_static_selectorELNS0_4arch9wavefront6targetE1EEEvSI_.uses_flat_scratch, 0
	.set _ZN7rocprim17ROCPRIM_400000_NS6detail17trampoline_kernelINS0_14default_configENS1_35radix_sort_onesweep_config_selectorIjjEEZZNS1_29radix_sort_onesweep_iterationIS3_Lb0EN6thrust23THRUST_200600_302600_NS6detail15normal_iteratorINS8_10device_ptrIjEEEESD_SD_SD_jNS0_19identity_decomposerENS1_16block_id_wrapperIjLb1EEEEE10hipError_tT1_PNSt15iterator_traitsISI_E10value_typeET2_T3_PNSJ_ISO_E10value_typeET4_T5_PST_SU_PNS1_23onesweep_lookback_stateEbbT6_jjT7_P12ihipStream_tbENKUlT_T0_SI_SN_E_clISD_PjSD_S15_EEDaS11_S12_SI_SN_EUlS11_E_NS1_11comp_targetILNS1_3genE8ELNS1_11target_archE1030ELNS1_3gpuE2ELNS1_3repE0EEENS1_47radix_sort_onesweep_sort_config_static_selectorELNS0_4arch9wavefront6targetE1EEEvSI_.has_dyn_sized_stack, 0
	.set _ZN7rocprim17ROCPRIM_400000_NS6detail17trampoline_kernelINS0_14default_configENS1_35radix_sort_onesweep_config_selectorIjjEEZZNS1_29radix_sort_onesweep_iterationIS3_Lb0EN6thrust23THRUST_200600_302600_NS6detail15normal_iteratorINS8_10device_ptrIjEEEESD_SD_SD_jNS0_19identity_decomposerENS1_16block_id_wrapperIjLb1EEEEE10hipError_tT1_PNSt15iterator_traitsISI_E10value_typeET2_T3_PNSJ_ISO_E10value_typeET4_T5_PST_SU_PNS1_23onesweep_lookback_stateEbbT6_jjT7_P12ihipStream_tbENKUlT_T0_SI_SN_E_clISD_PjSD_S15_EEDaS11_S12_SI_SN_EUlS11_E_NS1_11comp_targetILNS1_3genE8ELNS1_11target_archE1030ELNS1_3gpuE2ELNS1_3repE0EEENS1_47radix_sort_onesweep_sort_config_static_selectorELNS0_4arch9wavefront6targetE1EEEvSI_.has_recursion, 0
	.set _ZN7rocprim17ROCPRIM_400000_NS6detail17trampoline_kernelINS0_14default_configENS1_35radix_sort_onesweep_config_selectorIjjEEZZNS1_29radix_sort_onesweep_iterationIS3_Lb0EN6thrust23THRUST_200600_302600_NS6detail15normal_iteratorINS8_10device_ptrIjEEEESD_SD_SD_jNS0_19identity_decomposerENS1_16block_id_wrapperIjLb1EEEEE10hipError_tT1_PNSt15iterator_traitsISI_E10value_typeET2_T3_PNSJ_ISO_E10value_typeET4_T5_PST_SU_PNS1_23onesweep_lookback_stateEbbT6_jjT7_P12ihipStream_tbENKUlT_T0_SI_SN_E_clISD_PjSD_S15_EEDaS11_S12_SI_SN_EUlS11_E_NS1_11comp_targetILNS1_3genE8ELNS1_11target_archE1030ELNS1_3gpuE2ELNS1_3repE0EEENS1_47radix_sort_onesweep_sort_config_static_selectorELNS0_4arch9wavefront6targetE1EEEvSI_.has_indirect_call, 0
	.section	.AMDGPU.csdata,"",@progbits
; Kernel info:
; codeLenInByte = 0
; TotalNumSgprs: 6
; NumVgprs: 0
; NumAgprs: 0
; TotalNumVgprs: 0
; ScratchSize: 0
; MemoryBound: 0
; FloatMode: 240
; IeeeMode: 1
; LDSByteSize: 0 bytes/workgroup (compile time only)
; SGPRBlocks: 0
; VGPRBlocks: 0
; NumSGPRsForWavesPerEU: 6
; NumVGPRsForWavesPerEU: 1
; AccumOffset: 4
; Occupancy: 8
; WaveLimiterHint : 0
; COMPUTE_PGM_RSRC2:SCRATCH_EN: 0
; COMPUTE_PGM_RSRC2:USER_SGPR: 2
; COMPUTE_PGM_RSRC2:TRAP_HANDLER: 0
; COMPUTE_PGM_RSRC2:TGID_X_EN: 1
; COMPUTE_PGM_RSRC2:TGID_Y_EN: 0
; COMPUTE_PGM_RSRC2:TGID_Z_EN: 0
; COMPUTE_PGM_RSRC2:TIDIG_COMP_CNT: 0
; COMPUTE_PGM_RSRC3_GFX90A:ACCUM_OFFSET: 0
; COMPUTE_PGM_RSRC3_GFX90A:TG_SPLIT: 0
	.section	.text._ZN7rocprim17ROCPRIM_400000_NS6detail17trampoline_kernelINS0_14default_configENS1_35radix_sort_onesweep_config_selectorIjjEEZZNS1_29radix_sort_onesweep_iterationIS3_Lb0EN6thrust23THRUST_200600_302600_NS6detail15normal_iteratorINS8_10device_ptrIjEEEESD_SD_SD_jNS0_19identity_decomposerENS1_16block_id_wrapperIjLb1EEEEE10hipError_tT1_PNSt15iterator_traitsISI_E10value_typeET2_T3_PNSJ_ISO_E10value_typeET4_T5_PST_SU_PNS1_23onesweep_lookback_stateEbbT6_jjT7_P12ihipStream_tbENKUlT_T0_SI_SN_E_clIPjSD_S15_SD_EEDaS11_S12_SI_SN_EUlS11_E_NS1_11comp_targetILNS1_3genE0ELNS1_11target_archE4294967295ELNS1_3gpuE0ELNS1_3repE0EEENS1_47radix_sort_onesweep_sort_config_static_selectorELNS0_4arch9wavefront6targetE1EEEvSI_,"axG",@progbits,_ZN7rocprim17ROCPRIM_400000_NS6detail17trampoline_kernelINS0_14default_configENS1_35radix_sort_onesweep_config_selectorIjjEEZZNS1_29radix_sort_onesweep_iterationIS3_Lb0EN6thrust23THRUST_200600_302600_NS6detail15normal_iteratorINS8_10device_ptrIjEEEESD_SD_SD_jNS0_19identity_decomposerENS1_16block_id_wrapperIjLb1EEEEE10hipError_tT1_PNSt15iterator_traitsISI_E10value_typeET2_T3_PNSJ_ISO_E10value_typeET4_T5_PST_SU_PNS1_23onesweep_lookback_stateEbbT6_jjT7_P12ihipStream_tbENKUlT_T0_SI_SN_E_clIPjSD_S15_SD_EEDaS11_S12_SI_SN_EUlS11_E_NS1_11comp_targetILNS1_3genE0ELNS1_11target_archE4294967295ELNS1_3gpuE0ELNS1_3repE0EEENS1_47radix_sort_onesweep_sort_config_static_selectorELNS0_4arch9wavefront6targetE1EEEvSI_,comdat
	.protected	_ZN7rocprim17ROCPRIM_400000_NS6detail17trampoline_kernelINS0_14default_configENS1_35radix_sort_onesweep_config_selectorIjjEEZZNS1_29radix_sort_onesweep_iterationIS3_Lb0EN6thrust23THRUST_200600_302600_NS6detail15normal_iteratorINS8_10device_ptrIjEEEESD_SD_SD_jNS0_19identity_decomposerENS1_16block_id_wrapperIjLb1EEEEE10hipError_tT1_PNSt15iterator_traitsISI_E10value_typeET2_T3_PNSJ_ISO_E10value_typeET4_T5_PST_SU_PNS1_23onesweep_lookback_stateEbbT6_jjT7_P12ihipStream_tbENKUlT_T0_SI_SN_E_clIPjSD_S15_SD_EEDaS11_S12_SI_SN_EUlS11_E_NS1_11comp_targetILNS1_3genE0ELNS1_11target_archE4294967295ELNS1_3gpuE0ELNS1_3repE0EEENS1_47radix_sort_onesweep_sort_config_static_selectorELNS0_4arch9wavefront6targetE1EEEvSI_ ; -- Begin function _ZN7rocprim17ROCPRIM_400000_NS6detail17trampoline_kernelINS0_14default_configENS1_35radix_sort_onesweep_config_selectorIjjEEZZNS1_29radix_sort_onesweep_iterationIS3_Lb0EN6thrust23THRUST_200600_302600_NS6detail15normal_iteratorINS8_10device_ptrIjEEEESD_SD_SD_jNS0_19identity_decomposerENS1_16block_id_wrapperIjLb1EEEEE10hipError_tT1_PNSt15iterator_traitsISI_E10value_typeET2_T3_PNSJ_ISO_E10value_typeET4_T5_PST_SU_PNS1_23onesweep_lookback_stateEbbT6_jjT7_P12ihipStream_tbENKUlT_T0_SI_SN_E_clIPjSD_S15_SD_EEDaS11_S12_SI_SN_EUlS11_E_NS1_11comp_targetILNS1_3genE0ELNS1_11target_archE4294967295ELNS1_3gpuE0ELNS1_3repE0EEENS1_47radix_sort_onesweep_sort_config_static_selectorELNS0_4arch9wavefront6targetE1EEEvSI_
	.globl	_ZN7rocprim17ROCPRIM_400000_NS6detail17trampoline_kernelINS0_14default_configENS1_35radix_sort_onesweep_config_selectorIjjEEZZNS1_29radix_sort_onesweep_iterationIS3_Lb0EN6thrust23THRUST_200600_302600_NS6detail15normal_iteratorINS8_10device_ptrIjEEEESD_SD_SD_jNS0_19identity_decomposerENS1_16block_id_wrapperIjLb1EEEEE10hipError_tT1_PNSt15iterator_traitsISI_E10value_typeET2_T3_PNSJ_ISO_E10value_typeET4_T5_PST_SU_PNS1_23onesweep_lookback_stateEbbT6_jjT7_P12ihipStream_tbENKUlT_T0_SI_SN_E_clIPjSD_S15_SD_EEDaS11_S12_SI_SN_EUlS11_E_NS1_11comp_targetILNS1_3genE0ELNS1_11target_archE4294967295ELNS1_3gpuE0ELNS1_3repE0EEENS1_47radix_sort_onesweep_sort_config_static_selectorELNS0_4arch9wavefront6targetE1EEEvSI_
	.p2align	8
	.type	_ZN7rocprim17ROCPRIM_400000_NS6detail17trampoline_kernelINS0_14default_configENS1_35radix_sort_onesweep_config_selectorIjjEEZZNS1_29radix_sort_onesweep_iterationIS3_Lb0EN6thrust23THRUST_200600_302600_NS6detail15normal_iteratorINS8_10device_ptrIjEEEESD_SD_SD_jNS0_19identity_decomposerENS1_16block_id_wrapperIjLb1EEEEE10hipError_tT1_PNSt15iterator_traitsISI_E10value_typeET2_T3_PNSJ_ISO_E10value_typeET4_T5_PST_SU_PNS1_23onesweep_lookback_stateEbbT6_jjT7_P12ihipStream_tbENKUlT_T0_SI_SN_E_clIPjSD_S15_SD_EEDaS11_S12_SI_SN_EUlS11_E_NS1_11comp_targetILNS1_3genE0ELNS1_11target_archE4294967295ELNS1_3gpuE0ELNS1_3repE0EEENS1_47radix_sort_onesweep_sort_config_static_selectorELNS0_4arch9wavefront6targetE1EEEvSI_,@function
_ZN7rocprim17ROCPRIM_400000_NS6detail17trampoline_kernelINS0_14default_configENS1_35radix_sort_onesweep_config_selectorIjjEEZZNS1_29radix_sort_onesweep_iterationIS3_Lb0EN6thrust23THRUST_200600_302600_NS6detail15normal_iteratorINS8_10device_ptrIjEEEESD_SD_SD_jNS0_19identity_decomposerENS1_16block_id_wrapperIjLb1EEEEE10hipError_tT1_PNSt15iterator_traitsISI_E10value_typeET2_T3_PNSJ_ISO_E10value_typeET4_T5_PST_SU_PNS1_23onesweep_lookback_stateEbbT6_jjT7_P12ihipStream_tbENKUlT_T0_SI_SN_E_clIPjSD_S15_SD_EEDaS11_S12_SI_SN_EUlS11_E_NS1_11comp_targetILNS1_3genE0ELNS1_11target_archE4294967295ELNS1_3gpuE0ELNS1_3repE0EEENS1_47radix_sort_onesweep_sort_config_static_selectorELNS0_4arch9wavefront6targetE1EEEvSI_: ; @_ZN7rocprim17ROCPRIM_400000_NS6detail17trampoline_kernelINS0_14default_configENS1_35radix_sort_onesweep_config_selectorIjjEEZZNS1_29radix_sort_onesweep_iterationIS3_Lb0EN6thrust23THRUST_200600_302600_NS6detail15normal_iteratorINS8_10device_ptrIjEEEESD_SD_SD_jNS0_19identity_decomposerENS1_16block_id_wrapperIjLb1EEEEE10hipError_tT1_PNSt15iterator_traitsISI_E10value_typeET2_T3_PNSJ_ISO_E10value_typeET4_T5_PST_SU_PNS1_23onesweep_lookback_stateEbbT6_jjT7_P12ihipStream_tbENKUlT_T0_SI_SN_E_clIPjSD_S15_SD_EEDaS11_S12_SI_SN_EUlS11_E_NS1_11comp_targetILNS1_3genE0ELNS1_11target_archE4294967295ELNS1_3gpuE0ELNS1_3repE0EEENS1_47radix_sort_onesweep_sort_config_static_selectorELNS0_4arch9wavefront6targetE1EEEvSI_
; %bb.0:
	.section	.rodata,"a",@progbits
	.p2align	6, 0x0
	.amdhsa_kernel _ZN7rocprim17ROCPRIM_400000_NS6detail17trampoline_kernelINS0_14default_configENS1_35radix_sort_onesweep_config_selectorIjjEEZZNS1_29radix_sort_onesweep_iterationIS3_Lb0EN6thrust23THRUST_200600_302600_NS6detail15normal_iteratorINS8_10device_ptrIjEEEESD_SD_SD_jNS0_19identity_decomposerENS1_16block_id_wrapperIjLb1EEEEE10hipError_tT1_PNSt15iterator_traitsISI_E10value_typeET2_T3_PNSJ_ISO_E10value_typeET4_T5_PST_SU_PNS1_23onesweep_lookback_stateEbbT6_jjT7_P12ihipStream_tbENKUlT_T0_SI_SN_E_clIPjSD_S15_SD_EEDaS11_S12_SI_SN_EUlS11_E_NS1_11comp_targetILNS1_3genE0ELNS1_11target_archE4294967295ELNS1_3gpuE0ELNS1_3repE0EEENS1_47radix_sort_onesweep_sort_config_static_selectorELNS0_4arch9wavefront6targetE1EEEvSI_
		.amdhsa_group_segment_fixed_size 0
		.amdhsa_private_segment_fixed_size 0
		.amdhsa_kernarg_size 88
		.amdhsa_user_sgpr_count 2
		.amdhsa_user_sgpr_dispatch_ptr 0
		.amdhsa_user_sgpr_queue_ptr 0
		.amdhsa_user_sgpr_kernarg_segment_ptr 1
		.amdhsa_user_sgpr_dispatch_id 0
		.amdhsa_user_sgpr_kernarg_preload_length 0
		.amdhsa_user_sgpr_kernarg_preload_offset 0
		.amdhsa_user_sgpr_private_segment_size 0
		.amdhsa_uses_dynamic_stack 0
		.amdhsa_enable_private_segment 0
		.amdhsa_system_sgpr_workgroup_id_x 1
		.amdhsa_system_sgpr_workgroup_id_y 0
		.amdhsa_system_sgpr_workgroup_id_z 0
		.amdhsa_system_sgpr_workgroup_info 0
		.amdhsa_system_vgpr_workitem_id 0
		.amdhsa_next_free_vgpr 1
		.amdhsa_next_free_sgpr 0
		.amdhsa_accum_offset 4
		.amdhsa_reserve_vcc 0
		.amdhsa_float_round_mode_32 0
		.amdhsa_float_round_mode_16_64 0
		.amdhsa_float_denorm_mode_32 3
		.amdhsa_float_denorm_mode_16_64 3
		.amdhsa_dx10_clamp 1
		.amdhsa_ieee_mode 1
		.amdhsa_fp16_overflow 0
		.amdhsa_tg_split 0
		.amdhsa_exception_fp_ieee_invalid_op 0
		.amdhsa_exception_fp_denorm_src 0
		.amdhsa_exception_fp_ieee_div_zero 0
		.amdhsa_exception_fp_ieee_overflow 0
		.amdhsa_exception_fp_ieee_underflow 0
		.amdhsa_exception_fp_ieee_inexact 0
		.amdhsa_exception_int_div_zero 0
	.end_amdhsa_kernel
	.section	.text._ZN7rocprim17ROCPRIM_400000_NS6detail17trampoline_kernelINS0_14default_configENS1_35radix_sort_onesweep_config_selectorIjjEEZZNS1_29radix_sort_onesweep_iterationIS3_Lb0EN6thrust23THRUST_200600_302600_NS6detail15normal_iteratorINS8_10device_ptrIjEEEESD_SD_SD_jNS0_19identity_decomposerENS1_16block_id_wrapperIjLb1EEEEE10hipError_tT1_PNSt15iterator_traitsISI_E10value_typeET2_T3_PNSJ_ISO_E10value_typeET4_T5_PST_SU_PNS1_23onesweep_lookback_stateEbbT6_jjT7_P12ihipStream_tbENKUlT_T0_SI_SN_E_clIPjSD_S15_SD_EEDaS11_S12_SI_SN_EUlS11_E_NS1_11comp_targetILNS1_3genE0ELNS1_11target_archE4294967295ELNS1_3gpuE0ELNS1_3repE0EEENS1_47radix_sort_onesweep_sort_config_static_selectorELNS0_4arch9wavefront6targetE1EEEvSI_,"axG",@progbits,_ZN7rocprim17ROCPRIM_400000_NS6detail17trampoline_kernelINS0_14default_configENS1_35radix_sort_onesweep_config_selectorIjjEEZZNS1_29radix_sort_onesweep_iterationIS3_Lb0EN6thrust23THRUST_200600_302600_NS6detail15normal_iteratorINS8_10device_ptrIjEEEESD_SD_SD_jNS0_19identity_decomposerENS1_16block_id_wrapperIjLb1EEEEE10hipError_tT1_PNSt15iterator_traitsISI_E10value_typeET2_T3_PNSJ_ISO_E10value_typeET4_T5_PST_SU_PNS1_23onesweep_lookback_stateEbbT6_jjT7_P12ihipStream_tbENKUlT_T0_SI_SN_E_clIPjSD_S15_SD_EEDaS11_S12_SI_SN_EUlS11_E_NS1_11comp_targetILNS1_3genE0ELNS1_11target_archE4294967295ELNS1_3gpuE0ELNS1_3repE0EEENS1_47radix_sort_onesweep_sort_config_static_selectorELNS0_4arch9wavefront6targetE1EEEvSI_,comdat
.Lfunc_end769:
	.size	_ZN7rocprim17ROCPRIM_400000_NS6detail17trampoline_kernelINS0_14default_configENS1_35radix_sort_onesweep_config_selectorIjjEEZZNS1_29radix_sort_onesweep_iterationIS3_Lb0EN6thrust23THRUST_200600_302600_NS6detail15normal_iteratorINS8_10device_ptrIjEEEESD_SD_SD_jNS0_19identity_decomposerENS1_16block_id_wrapperIjLb1EEEEE10hipError_tT1_PNSt15iterator_traitsISI_E10value_typeET2_T3_PNSJ_ISO_E10value_typeET4_T5_PST_SU_PNS1_23onesweep_lookback_stateEbbT6_jjT7_P12ihipStream_tbENKUlT_T0_SI_SN_E_clIPjSD_S15_SD_EEDaS11_S12_SI_SN_EUlS11_E_NS1_11comp_targetILNS1_3genE0ELNS1_11target_archE4294967295ELNS1_3gpuE0ELNS1_3repE0EEENS1_47radix_sort_onesweep_sort_config_static_selectorELNS0_4arch9wavefront6targetE1EEEvSI_, .Lfunc_end769-_ZN7rocprim17ROCPRIM_400000_NS6detail17trampoline_kernelINS0_14default_configENS1_35radix_sort_onesweep_config_selectorIjjEEZZNS1_29radix_sort_onesweep_iterationIS3_Lb0EN6thrust23THRUST_200600_302600_NS6detail15normal_iteratorINS8_10device_ptrIjEEEESD_SD_SD_jNS0_19identity_decomposerENS1_16block_id_wrapperIjLb1EEEEE10hipError_tT1_PNSt15iterator_traitsISI_E10value_typeET2_T3_PNSJ_ISO_E10value_typeET4_T5_PST_SU_PNS1_23onesweep_lookback_stateEbbT6_jjT7_P12ihipStream_tbENKUlT_T0_SI_SN_E_clIPjSD_S15_SD_EEDaS11_S12_SI_SN_EUlS11_E_NS1_11comp_targetILNS1_3genE0ELNS1_11target_archE4294967295ELNS1_3gpuE0ELNS1_3repE0EEENS1_47radix_sort_onesweep_sort_config_static_selectorELNS0_4arch9wavefront6targetE1EEEvSI_
                                        ; -- End function
	.set _ZN7rocprim17ROCPRIM_400000_NS6detail17trampoline_kernelINS0_14default_configENS1_35radix_sort_onesweep_config_selectorIjjEEZZNS1_29radix_sort_onesweep_iterationIS3_Lb0EN6thrust23THRUST_200600_302600_NS6detail15normal_iteratorINS8_10device_ptrIjEEEESD_SD_SD_jNS0_19identity_decomposerENS1_16block_id_wrapperIjLb1EEEEE10hipError_tT1_PNSt15iterator_traitsISI_E10value_typeET2_T3_PNSJ_ISO_E10value_typeET4_T5_PST_SU_PNS1_23onesweep_lookback_stateEbbT6_jjT7_P12ihipStream_tbENKUlT_T0_SI_SN_E_clIPjSD_S15_SD_EEDaS11_S12_SI_SN_EUlS11_E_NS1_11comp_targetILNS1_3genE0ELNS1_11target_archE4294967295ELNS1_3gpuE0ELNS1_3repE0EEENS1_47radix_sort_onesweep_sort_config_static_selectorELNS0_4arch9wavefront6targetE1EEEvSI_.num_vgpr, 0
	.set _ZN7rocprim17ROCPRIM_400000_NS6detail17trampoline_kernelINS0_14default_configENS1_35radix_sort_onesweep_config_selectorIjjEEZZNS1_29radix_sort_onesweep_iterationIS3_Lb0EN6thrust23THRUST_200600_302600_NS6detail15normal_iteratorINS8_10device_ptrIjEEEESD_SD_SD_jNS0_19identity_decomposerENS1_16block_id_wrapperIjLb1EEEEE10hipError_tT1_PNSt15iterator_traitsISI_E10value_typeET2_T3_PNSJ_ISO_E10value_typeET4_T5_PST_SU_PNS1_23onesweep_lookback_stateEbbT6_jjT7_P12ihipStream_tbENKUlT_T0_SI_SN_E_clIPjSD_S15_SD_EEDaS11_S12_SI_SN_EUlS11_E_NS1_11comp_targetILNS1_3genE0ELNS1_11target_archE4294967295ELNS1_3gpuE0ELNS1_3repE0EEENS1_47radix_sort_onesweep_sort_config_static_selectorELNS0_4arch9wavefront6targetE1EEEvSI_.num_agpr, 0
	.set _ZN7rocprim17ROCPRIM_400000_NS6detail17trampoline_kernelINS0_14default_configENS1_35radix_sort_onesweep_config_selectorIjjEEZZNS1_29radix_sort_onesweep_iterationIS3_Lb0EN6thrust23THRUST_200600_302600_NS6detail15normal_iteratorINS8_10device_ptrIjEEEESD_SD_SD_jNS0_19identity_decomposerENS1_16block_id_wrapperIjLb1EEEEE10hipError_tT1_PNSt15iterator_traitsISI_E10value_typeET2_T3_PNSJ_ISO_E10value_typeET4_T5_PST_SU_PNS1_23onesweep_lookback_stateEbbT6_jjT7_P12ihipStream_tbENKUlT_T0_SI_SN_E_clIPjSD_S15_SD_EEDaS11_S12_SI_SN_EUlS11_E_NS1_11comp_targetILNS1_3genE0ELNS1_11target_archE4294967295ELNS1_3gpuE0ELNS1_3repE0EEENS1_47radix_sort_onesweep_sort_config_static_selectorELNS0_4arch9wavefront6targetE1EEEvSI_.numbered_sgpr, 0
	.set _ZN7rocprim17ROCPRIM_400000_NS6detail17trampoline_kernelINS0_14default_configENS1_35radix_sort_onesweep_config_selectorIjjEEZZNS1_29radix_sort_onesweep_iterationIS3_Lb0EN6thrust23THRUST_200600_302600_NS6detail15normal_iteratorINS8_10device_ptrIjEEEESD_SD_SD_jNS0_19identity_decomposerENS1_16block_id_wrapperIjLb1EEEEE10hipError_tT1_PNSt15iterator_traitsISI_E10value_typeET2_T3_PNSJ_ISO_E10value_typeET4_T5_PST_SU_PNS1_23onesweep_lookback_stateEbbT6_jjT7_P12ihipStream_tbENKUlT_T0_SI_SN_E_clIPjSD_S15_SD_EEDaS11_S12_SI_SN_EUlS11_E_NS1_11comp_targetILNS1_3genE0ELNS1_11target_archE4294967295ELNS1_3gpuE0ELNS1_3repE0EEENS1_47radix_sort_onesweep_sort_config_static_selectorELNS0_4arch9wavefront6targetE1EEEvSI_.num_named_barrier, 0
	.set _ZN7rocprim17ROCPRIM_400000_NS6detail17trampoline_kernelINS0_14default_configENS1_35radix_sort_onesweep_config_selectorIjjEEZZNS1_29radix_sort_onesweep_iterationIS3_Lb0EN6thrust23THRUST_200600_302600_NS6detail15normal_iteratorINS8_10device_ptrIjEEEESD_SD_SD_jNS0_19identity_decomposerENS1_16block_id_wrapperIjLb1EEEEE10hipError_tT1_PNSt15iterator_traitsISI_E10value_typeET2_T3_PNSJ_ISO_E10value_typeET4_T5_PST_SU_PNS1_23onesweep_lookback_stateEbbT6_jjT7_P12ihipStream_tbENKUlT_T0_SI_SN_E_clIPjSD_S15_SD_EEDaS11_S12_SI_SN_EUlS11_E_NS1_11comp_targetILNS1_3genE0ELNS1_11target_archE4294967295ELNS1_3gpuE0ELNS1_3repE0EEENS1_47radix_sort_onesweep_sort_config_static_selectorELNS0_4arch9wavefront6targetE1EEEvSI_.private_seg_size, 0
	.set _ZN7rocprim17ROCPRIM_400000_NS6detail17trampoline_kernelINS0_14default_configENS1_35radix_sort_onesweep_config_selectorIjjEEZZNS1_29radix_sort_onesweep_iterationIS3_Lb0EN6thrust23THRUST_200600_302600_NS6detail15normal_iteratorINS8_10device_ptrIjEEEESD_SD_SD_jNS0_19identity_decomposerENS1_16block_id_wrapperIjLb1EEEEE10hipError_tT1_PNSt15iterator_traitsISI_E10value_typeET2_T3_PNSJ_ISO_E10value_typeET4_T5_PST_SU_PNS1_23onesweep_lookback_stateEbbT6_jjT7_P12ihipStream_tbENKUlT_T0_SI_SN_E_clIPjSD_S15_SD_EEDaS11_S12_SI_SN_EUlS11_E_NS1_11comp_targetILNS1_3genE0ELNS1_11target_archE4294967295ELNS1_3gpuE0ELNS1_3repE0EEENS1_47radix_sort_onesweep_sort_config_static_selectorELNS0_4arch9wavefront6targetE1EEEvSI_.uses_vcc, 0
	.set _ZN7rocprim17ROCPRIM_400000_NS6detail17trampoline_kernelINS0_14default_configENS1_35radix_sort_onesweep_config_selectorIjjEEZZNS1_29radix_sort_onesweep_iterationIS3_Lb0EN6thrust23THRUST_200600_302600_NS6detail15normal_iteratorINS8_10device_ptrIjEEEESD_SD_SD_jNS0_19identity_decomposerENS1_16block_id_wrapperIjLb1EEEEE10hipError_tT1_PNSt15iterator_traitsISI_E10value_typeET2_T3_PNSJ_ISO_E10value_typeET4_T5_PST_SU_PNS1_23onesweep_lookback_stateEbbT6_jjT7_P12ihipStream_tbENKUlT_T0_SI_SN_E_clIPjSD_S15_SD_EEDaS11_S12_SI_SN_EUlS11_E_NS1_11comp_targetILNS1_3genE0ELNS1_11target_archE4294967295ELNS1_3gpuE0ELNS1_3repE0EEENS1_47radix_sort_onesweep_sort_config_static_selectorELNS0_4arch9wavefront6targetE1EEEvSI_.uses_flat_scratch, 0
	.set _ZN7rocprim17ROCPRIM_400000_NS6detail17trampoline_kernelINS0_14default_configENS1_35radix_sort_onesweep_config_selectorIjjEEZZNS1_29radix_sort_onesweep_iterationIS3_Lb0EN6thrust23THRUST_200600_302600_NS6detail15normal_iteratorINS8_10device_ptrIjEEEESD_SD_SD_jNS0_19identity_decomposerENS1_16block_id_wrapperIjLb1EEEEE10hipError_tT1_PNSt15iterator_traitsISI_E10value_typeET2_T3_PNSJ_ISO_E10value_typeET4_T5_PST_SU_PNS1_23onesweep_lookback_stateEbbT6_jjT7_P12ihipStream_tbENKUlT_T0_SI_SN_E_clIPjSD_S15_SD_EEDaS11_S12_SI_SN_EUlS11_E_NS1_11comp_targetILNS1_3genE0ELNS1_11target_archE4294967295ELNS1_3gpuE0ELNS1_3repE0EEENS1_47radix_sort_onesweep_sort_config_static_selectorELNS0_4arch9wavefront6targetE1EEEvSI_.has_dyn_sized_stack, 0
	.set _ZN7rocprim17ROCPRIM_400000_NS6detail17trampoline_kernelINS0_14default_configENS1_35radix_sort_onesweep_config_selectorIjjEEZZNS1_29radix_sort_onesweep_iterationIS3_Lb0EN6thrust23THRUST_200600_302600_NS6detail15normal_iteratorINS8_10device_ptrIjEEEESD_SD_SD_jNS0_19identity_decomposerENS1_16block_id_wrapperIjLb1EEEEE10hipError_tT1_PNSt15iterator_traitsISI_E10value_typeET2_T3_PNSJ_ISO_E10value_typeET4_T5_PST_SU_PNS1_23onesweep_lookback_stateEbbT6_jjT7_P12ihipStream_tbENKUlT_T0_SI_SN_E_clIPjSD_S15_SD_EEDaS11_S12_SI_SN_EUlS11_E_NS1_11comp_targetILNS1_3genE0ELNS1_11target_archE4294967295ELNS1_3gpuE0ELNS1_3repE0EEENS1_47radix_sort_onesweep_sort_config_static_selectorELNS0_4arch9wavefront6targetE1EEEvSI_.has_recursion, 0
	.set _ZN7rocprim17ROCPRIM_400000_NS6detail17trampoline_kernelINS0_14default_configENS1_35radix_sort_onesweep_config_selectorIjjEEZZNS1_29radix_sort_onesweep_iterationIS3_Lb0EN6thrust23THRUST_200600_302600_NS6detail15normal_iteratorINS8_10device_ptrIjEEEESD_SD_SD_jNS0_19identity_decomposerENS1_16block_id_wrapperIjLb1EEEEE10hipError_tT1_PNSt15iterator_traitsISI_E10value_typeET2_T3_PNSJ_ISO_E10value_typeET4_T5_PST_SU_PNS1_23onesweep_lookback_stateEbbT6_jjT7_P12ihipStream_tbENKUlT_T0_SI_SN_E_clIPjSD_S15_SD_EEDaS11_S12_SI_SN_EUlS11_E_NS1_11comp_targetILNS1_3genE0ELNS1_11target_archE4294967295ELNS1_3gpuE0ELNS1_3repE0EEENS1_47radix_sort_onesweep_sort_config_static_selectorELNS0_4arch9wavefront6targetE1EEEvSI_.has_indirect_call, 0
	.section	.AMDGPU.csdata,"",@progbits
; Kernel info:
; codeLenInByte = 0
; TotalNumSgprs: 6
; NumVgprs: 0
; NumAgprs: 0
; TotalNumVgprs: 0
; ScratchSize: 0
; MemoryBound: 0
; FloatMode: 240
; IeeeMode: 1
; LDSByteSize: 0 bytes/workgroup (compile time only)
; SGPRBlocks: 0
; VGPRBlocks: 0
; NumSGPRsForWavesPerEU: 6
; NumVGPRsForWavesPerEU: 1
; AccumOffset: 4
; Occupancy: 8
; WaveLimiterHint : 0
; COMPUTE_PGM_RSRC2:SCRATCH_EN: 0
; COMPUTE_PGM_RSRC2:USER_SGPR: 2
; COMPUTE_PGM_RSRC2:TRAP_HANDLER: 0
; COMPUTE_PGM_RSRC2:TGID_X_EN: 1
; COMPUTE_PGM_RSRC2:TGID_Y_EN: 0
; COMPUTE_PGM_RSRC2:TGID_Z_EN: 0
; COMPUTE_PGM_RSRC2:TIDIG_COMP_CNT: 0
; COMPUTE_PGM_RSRC3_GFX90A:ACCUM_OFFSET: 0
; COMPUTE_PGM_RSRC3_GFX90A:TG_SPLIT: 0
	.section	.text._ZN7rocprim17ROCPRIM_400000_NS6detail17trampoline_kernelINS0_14default_configENS1_35radix_sort_onesweep_config_selectorIjjEEZZNS1_29radix_sort_onesweep_iterationIS3_Lb0EN6thrust23THRUST_200600_302600_NS6detail15normal_iteratorINS8_10device_ptrIjEEEESD_SD_SD_jNS0_19identity_decomposerENS1_16block_id_wrapperIjLb1EEEEE10hipError_tT1_PNSt15iterator_traitsISI_E10value_typeET2_T3_PNSJ_ISO_E10value_typeET4_T5_PST_SU_PNS1_23onesweep_lookback_stateEbbT6_jjT7_P12ihipStream_tbENKUlT_T0_SI_SN_E_clIPjSD_S15_SD_EEDaS11_S12_SI_SN_EUlS11_E_NS1_11comp_targetILNS1_3genE6ELNS1_11target_archE950ELNS1_3gpuE13ELNS1_3repE0EEENS1_47radix_sort_onesweep_sort_config_static_selectorELNS0_4arch9wavefront6targetE1EEEvSI_,"axG",@progbits,_ZN7rocprim17ROCPRIM_400000_NS6detail17trampoline_kernelINS0_14default_configENS1_35radix_sort_onesweep_config_selectorIjjEEZZNS1_29radix_sort_onesweep_iterationIS3_Lb0EN6thrust23THRUST_200600_302600_NS6detail15normal_iteratorINS8_10device_ptrIjEEEESD_SD_SD_jNS0_19identity_decomposerENS1_16block_id_wrapperIjLb1EEEEE10hipError_tT1_PNSt15iterator_traitsISI_E10value_typeET2_T3_PNSJ_ISO_E10value_typeET4_T5_PST_SU_PNS1_23onesweep_lookback_stateEbbT6_jjT7_P12ihipStream_tbENKUlT_T0_SI_SN_E_clIPjSD_S15_SD_EEDaS11_S12_SI_SN_EUlS11_E_NS1_11comp_targetILNS1_3genE6ELNS1_11target_archE950ELNS1_3gpuE13ELNS1_3repE0EEENS1_47radix_sort_onesweep_sort_config_static_selectorELNS0_4arch9wavefront6targetE1EEEvSI_,comdat
	.protected	_ZN7rocprim17ROCPRIM_400000_NS6detail17trampoline_kernelINS0_14default_configENS1_35radix_sort_onesweep_config_selectorIjjEEZZNS1_29radix_sort_onesweep_iterationIS3_Lb0EN6thrust23THRUST_200600_302600_NS6detail15normal_iteratorINS8_10device_ptrIjEEEESD_SD_SD_jNS0_19identity_decomposerENS1_16block_id_wrapperIjLb1EEEEE10hipError_tT1_PNSt15iterator_traitsISI_E10value_typeET2_T3_PNSJ_ISO_E10value_typeET4_T5_PST_SU_PNS1_23onesweep_lookback_stateEbbT6_jjT7_P12ihipStream_tbENKUlT_T0_SI_SN_E_clIPjSD_S15_SD_EEDaS11_S12_SI_SN_EUlS11_E_NS1_11comp_targetILNS1_3genE6ELNS1_11target_archE950ELNS1_3gpuE13ELNS1_3repE0EEENS1_47radix_sort_onesweep_sort_config_static_selectorELNS0_4arch9wavefront6targetE1EEEvSI_ ; -- Begin function _ZN7rocprim17ROCPRIM_400000_NS6detail17trampoline_kernelINS0_14default_configENS1_35radix_sort_onesweep_config_selectorIjjEEZZNS1_29radix_sort_onesweep_iterationIS3_Lb0EN6thrust23THRUST_200600_302600_NS6detail15normal_iteratorINS8_10device_ptrIjEEEESD_SD_SD_jNS0_19identity_decomposerENS1_16block_id_wrapperIjLb1EEEEE10hipError_tT1_PNSt15iterator_traitsISI_E10value_typeET2_T3_PNSJ_ISO_E10value_typeET4_T5_PST_SU_PNS1_23onesweep_lookback_stateEbbT6_jjT7_P12ihipStream_tbENKUlT_T0_SI_SN_E_clIPjSD_S15_SD_EEDaS11_S12_SI_SN_EUlS11_E_NS1_11comp_targetILNS1_3genE6ELNS1_11target_archE950ELNS1_3gpuE13ELNS1_3repE0EEENS1_47radix_sort_onesweep_sort_config_static_selectorELNS0_4arch9wavefront6targetE1EEEvSI_
	.globl	_ZN7rocprim17ROCPRIM_400000_NS6detail17trampoline_kernelINS0_14default_configENS1_35radix_sort_onesweep_config_selectorIjjEEZZNS1_29radix_sort_onesweep_iterationIS3_Lb0EN6thrust23THRUST_200600_302600_NS6detail15normal_iteratorINS8_10device_ptrIjEEEESD_SD_SD_jNS0_19identity_decomposerENS1_16block_id_wrapperIjLb1EEEEE10hipError_tT1_PNSt15iterator_traitsISI_E10value_typeET2_T3_PNSJ_ISO_E10value_typeET4_T5_PST_SU_PNS1_23onesweep_lookback_stateEbbT6_jjT7_P12ihipStream_tbENKUlT_T0_SI_SN_E_clIPjSD_S15_SD_EEDaS11_S12_SI_SN_EUlS11_E_NS1_11comp_targetILNS1_3genE6ELNS1_11target_archE950ELNS1_3gpuE13ELNS1_3repE0EEENS1_47radix_sort_onesweep_sort_config_static_selectorELNS0_4arch9wavefront6targetE1EEEvSI_
	.p2align	8
	.type	_ZN7rocprim17ROCPRIM_400000_NS6detail17trampoline_kernelINS0_14default_configENS1_35radix_sort_onesweep_config_selectorIjjEEZZNS1_29radix_sort_onesweep_iterationIS3_Lb0EN6thrust23THRUST_200600_302600_NS6detail15normal_iteratorINS8_10device_ptrIjEEEESD_SD_SD_jNS0_19identity_decomposerENS1_16block_id_wrapperIjLb1EEEEE10hipError_tT1_PNSt15iterator_traitsISI_E10value_typeET2_T3_PNSJ_ISO_E10value_typeET4_T5_PST_SU_PNS1_23onesweep_lookback_stateEbbT6_jjT7_P12ihipStream_tbENKUlT_T0_SI_SN_E_clIPjSD_S15_SD_EEDaS11_S12_SI_SN_EUlS11_E_NS1_11comp_targetILNS1_3genE6ELNS1_11target_archE950ELNS1_3gpuE13ELNS1_3repE0EEENS1_47radix_sort_onesweep_sort_config_static_selectorELNS0_4arch9wavefront6targetE1EEEvSI_,@function
_ZN7rocprim17ROCPRIM_400000_NS6detail17trampoline_kernelINS0_14default_configENS1_35radix_sort_onesweep_config_selectorIjjEEZZNS1_29radix_sort_onesweep_iterationIS3_Lb0EN6thrust23THRUST_200600_302600_NS6detail15normal_iteratorINS8_10device_ptrIjEEEESD_SD_SD_jNS0_19identity_decomposerENS1_16block_id_wrapperIjLb1EEEEE10hipError_tT1_PNSt15iterator_traitsISI_E10value_typeET2_T3_PNSJ_ISO_E10value_typeET4_T5_PST_SU_PNS1_23onesweep_lookback_stateEbbT6_jjT7_P12ihipStream_tbENKUlT_T0_SI_SN_E_clIPjSD_S15_SD_EEDaS11_S12_SI_SN_EUlS11_E_NS1_11comp_targetILNS1_3genE6ELNS1_11target_archE950ELNS1_3gpuE13ELNS1_3repE0EEENS1_47radix_sort_onesweep_sort_config_static_selectorELNS0_4arch9wavefront6targetE1EEEvSI_: ; @_ZN7rocprim17ROCPRIM_400000_NS6detail17trampoline_kernelINS0_14default_configENS1_35radix_sort_onesweep_config_selectorIjjEEZZNS1_29radix_sort_onesweep_iterationIS3_Lb0EN6thrust23THRUST_200600_302600_NS6detail15normal_iteratorINS8_10device_ptrIjEEEESD_SD_SD_jNS0_19identity_decomposerENS1_16block_id_wrapperIjLb1EEEEE10hipError_tT1_PNSt15iterator_traitsISI_E10value_typeET2_T3_PNSJ_ISO_E10value_typeET4_T5_PST_SU_PNS1_23onesweep_lookback_stateEbbT6_jjT7_P12ihipStream_tbENKUlT_T0_SI_SN_E_clIPjSD_S15_SD_EEDaS11_S12_SI_SN_EUlS11_E_NS1_11comp_targetILNS1_3genE6ELNS1_11target_archE950ELNS1_3gpuE13ELNS1_3repE0EEENS1_47radix_sort_onesweep_sort_config_static_selectorELNS0_4arch9wavefront6targetE1EEEvSI_
; %bb.0:
	s_load_dwordx4 s[60:63], s[0:1], 0x28
	s_load_dwordx2 s[68:69], s[0:1], 0x38
	s_load_dwordx4 s[64:67], s[0:1], 0x44
	v_and_b32_e32 v2, 0x3ff, v0
	v_cmp_eq_u32_e64 s[44:45], 0, v2
	s_and_saveexec_b64 s[4:5], s[44:45]
	s_cbranch_execz .LBB770_4
; %bb.1:
	s_mov_b64 s[8:9], exec
	v_mbcnt_lo_u32_b32 v1, s8, 0
	v_mbcnt_hi_u32_b32 v1, s9, v1
	v_cmp_eq_u32_e32 vcc, 0, v1
                                        ; implicit-def: $vgpr3
	s_and_saveexec_b64 s[6:7], vcc
	s_cbranch_execz .LBB770_3
; %bb.2:
	s_load_dwordx2 s[10:11], s[0:1], 0x50
	s_bcnt1_i32_b64 s3, s[8:9]
	v_mov_b32_e32 v3, 0
	v_mov_b32_e32 v4, s3
	s_waitcnt lgkmcnt(0)
	global_atomic_add v3, v3, v4, s[10:11] sc0
.LBB770_3:
	s_or_b64 exec, exec, s[6:7]
	s_waitcnt vmcnt(0)
	v_readfirstlane_b32 s3, v3
	v_mov_b32_e32 v3, 0
	s_nop 0
	v_add_u32_e32 v1, s3, v1
	ds_write_b32 v3, v1 offset:20544
.LBB770_4:
	s_or_b64 exec, exec, s[4:5]
	v_mov_b32_e32 v5, 0
	s_load_dwordx8 s[52:59], s[0:1], 0x0
	s_load_dword s3, s[0:1], 0x20
	s_waitcnt lgkmcnt(0)
	s_barrier
	ds_read_b32 v1, v5 offset:20544
	s_mov_b64 s[4:5], -1
	v_mbcnt_lo_u32_b32 v3, -1, 0
	s_waitcnt lgkmcnt(0)
	s_barrier
	v_cmp_le_u32_e32 vcc, s66, v1
	v_readfirstlane_b32 s33, v1
	v_lshlrev_b32_e32 v1, 4, v2
	s_cbranch_vccz .LBB770_208
; %bb.5:
	s_lshl_b32 s4, s66, 14
	s_sub_i32 s3, s3, s4
	s_lshl_b32 s4, s33, 14
	s_mov_b32 s5, 0
	s_lshl_b64 s[66:67], s[4:5], 2
	v_mbcnt_hi_u32_b32 v12, -1, v3
	s_add_u32 s4, s52, s66
	v_and_b32_e32 v10, 63, v12
	s_addc_u32 s5, s53, s67
	v_and_b32_e32 v11, 0x3c00, v1
	v_lshlrev_b32_e32 v4, 2, v10
	v_lshl_add_u64 v[8:9], s[4:5], 0, v[4:5]
	v_lshlrev_b32_e32 v6, 2, v11
	v_mov_b32_e32 v7, v5
	v_or_b32_e32 v10, v10, v11
	v_mov_b32_e32 v14, -1
	v_lshl_add_u64 v[8:9], v[8:9], 0, v[6:7]
	v_cmp_gt_u32_e32 vcc, s3, v10
	v_mov_b32_e32 v5, -1
	s_and_saveexec_b64 s[4:5], vcc
	s_cbranch_execz .LBB770_7
; %bb.6:
	global_load_dword v5, v[8:9], off
.LBB770_7:
	s_or_b64 exec, exec, s[4:5]
	v_or_b32_e32 v7, 64, v10
	v_cmp_gt_u32_e64 s[4:5], s3, v7
	s_and_saveexec_b64 s[6:7], s[4:5]
	s_cbranch_execz .LBB770_9
; %bb.8:
	global_load_dword v14, v[8:9], off offset:256
.LBB770_9:
	s_or_b64 exec, exec, s[6:7]
	v_or_b32_e32 v7, 0x80, v10
	v_cmp_gt_u32_e64 s[6:7], s3, v7
	v_mov_b32_e32 v7, -1
	v_mov_b32_e32 v15, -1
	s_and_saveexec_b64 s[8:9], s[6:7]
	s_cbranch_execz .LBB770_11
; %bb.10:
	global_load_dword v15, v[8:9], off offset:512
.LBB770_11:
	s_or_b64 exec, exec, s[8:9]
	v_or_b32_e32 v11, 0xc0, v10
	v_cmp_gt_u32_e64 s[8:9], s3, v11
	s_and_saveexec_b64 s[10:11], s[8:9]
	s_cbranch_execz .LBB770_13
; %bb.12:
	global_load_dword v7, v[8:9], off offset:768
.LBB770_13:
	s_or_b64 exec, exec, s[10:11]
	v_or_b32_e32 v11, 0x100, v10
	v_cmp_gt_u32_e64 s[10:11], s3, v11
	v_mov_b32_e32 v16, -1
	v_mov_b32_e32 v17, -1
	s_and_saveexec_b64 s[12:13], s[10:11]
	s_cbranch_execz .LBB770_15
; %bb.14:
	global_load_dword v17, v[8:9], off offset:1024
.LBB770_15:
	;; [unrolled: 18-line block ×7, first 2 shown]
	s_or_b64 exec, exec, s[34:35]
	v_or_b32_e32 v10, 0x3c0, v10
	v_cmp_gt_u32_e64 s[34:35], s3, v10
	s_and_saveexec_b64 s[36:37], s[34:35]
	s_cbranch_execz .LBB770_37
; %bb.36:
	global_load_dword v26, v[8:9], off offset:3840
.LBB770_37:
	s_or_b64 exec, exec, s[36:37]
	s_load_dword s36, s[0:1], 0x64
	s_load_dword s70, s[0:1], 0x58
	s_add_u32 s37, s0, 0x58
	s_addc_u32 s38, s1, 0
	v_mov_b32_e32 v9, 0
	s_waitcnt lgkmcnt(0)
	s_lshr_b32 s39, s36, 16
	s_cmp_lt_u32 s2, s70
	s_cselect_b32 s36, 12, 18
	s_add_u32 s36, s37, s36
	s_addc_u32 s37, s38, 0
	global_load_ushort v40, v9, s[36:37]
	s_waitcnt vmcnt(1)
	v_lshrrev_b32_e32 v29, s64, v5
	s_lshl_b32 s36, -1, s65
	v_bfe_u32 v8, v0, 10, 10
	v_bfe_u32 v11, v0, 20, 10
	v_bitop3_b32 v38, v29, s36, v29 bitop3:0x30
	s_movk_i32 s72, 0x44
	v_mad_u32_u24 v42, v11, s39, v8
	v_and_b32_e32 v8, 1, v38
	v_lshlrev_b32_e32 v11, 30, v38
	v_mov_b32_e32 v10, v9
	v_mov_b32_e32 v30, v9
	s_not_b32 s71, s36
	v_mul_lo_u32 v43, v38, s72
	v_lshlrev_b32_e32 v29, 29, v38
	v_lshlrev_b32_e32 v31, 28, v38
	;; [unrolled: 1-line block ×6, first 2 shown]
	v_lshl_add_u64 v[38:39], v[8:9], 0, -1
	v_cmp_ne_u32_e64 s[36:37], 0, v8
	v_not_b32_e32 v8, v11
	v_mov_b32_e32 v28, v9
	v_mov_b32_e32 v32, v9
	v_cmp_gt_i64_e64 s[38:39], 0, v[10:11]
	v_not_b32_e32 v10, v29
	v_cmp_gt_i64_e64 s[42:43], 0, v[30:31]
	v_not_b32_e32 v11, v31
	v_xor_b32_e32 v31, s37, v39
	v_ashrrev_i32_e32 v8, 31, v8
	v_mov_b32_e32 v34, v9
	v_cmp_gt_i64_e64 s[40:41], 0, v[28:29]
	v_cmp_gt_i64_e64 s[46:47], 0, v[32:33]
	v_not_b32_e32 v28, v33
	v_xor_b32_e32 v32, s36, v38
	v_ashrrev_i32_e32 v10, 31, v10
	v_and_b32_e32 v31, exec_hi, v31
	v_xor_b32_e32 v33, s39, v8
	v_cmp_gt_i64_e64 s[48:49], 0, v[34:35]
	v_ashrrev_i32_e32 v11, 31, v11
	v_and_b32_e32 v32, exec_lo, v32
	v_xor_b32_e32 v8, s38, v8
	v_xor_b32_e32 v34, s41, v10
	v_and_b32_e32 v31, v31, v33
	v_mov_b32_e32 v36, v9
	v_not_b32_e32 v29, v35
	v_ashrrev_i32_e32 v28, 31, v28
	v_xor_b32_e32 v10, s40, v10
	v_xor_b32_e32 v35, s43, v11
	v_and_b32_e32 v8, v32, v8
	v_and_b32_e32 v31, v31, v34
	v_cmp_gt_i64_e64 s[50:51], 0, v[36:37]
	v_not_b32_e32 v30, v37
	v_ashrrev_i32_e32 v29, 31, v29
	v_xor_b32_e32 v36, s47, v28
	v_and_b32_e32 v8, v8, v10
	v_and_b32_e32 v10, v31, v35
	v_ashrrev_i32_e32 v30, 31, v30
	v_xor_b32_e32 v11, s42, v11
	v_xor_b32_e32 v37, s49, v29
	v_and_b32_e32 v10, v10, v36
	v_xor_b32_e32 v28, s46, v28
	v_xor_b32_e32 v38, s51, v30
	v_and_b32_e32 v8, v8, v11
	v_and_b32_e32 v10, v10, v37
	v_and_b32_e32 v8, v8, v28
	v_and_b32_e32 v28, v10, v38
	v_xor_b32_e32 v29, s48, v29
	v_xor_b32_e32 v30, s50, v30
	v_and_b32_e32 v8, v8, v29
	v_and_b32_e32 v8, v8, v30
	v_mul_u32_u24_e32 v13, 20, v2
	ds_write2_b32 v13, v9, v9 offset0:16 offset1:17
	ds_write2_b32 v13, v9, v9 offset0:18 offset1:19
	ds_write_b32 v13, v9 offset:80
	s_waitcnt lgkmcnt(0)
	s_barrier
	s_waitcnt vmcnt(0)
	; wave barrier
	v_mad_u64_u32 v[10:11], s[36:37], v42, v40, v[2:3]
	v_lshrrev_b32_e32 v10, 4, v10
	v_and_b32_e32 v39, 0xffffffc, v10
	v_mov_b32_e32 v40, v9
	v_not_b32_e32 v10, v41
	v_cmp_gt_i64_e64 s[36:37], 0, v[40:41]
	v_ashrrev_i32_e32 v10, 31, v10
	v_add_u32_e32 v32, v39, v43
	v_xor_b32_e32 v11, s37, v10
	v_xor_b32_e32 v10, s36, v10
	v_and_b32_e32 v10, v8, v10
	v_and_b32_e32 v11, v28, v11
	v_mbcnt_lo_u32_b32 v8, v10, 0
	v_mbcnt_hi_u32_b32 v29, v11, v8
	v_cmp_eq_u32_e64 s[36:37], 0, v29
	v_cmp_ne_u64_e64 s[38:39], 0, v[10:11]
	s_and_b64 s[38:39], s[38:39], s[36:37]
	s_and_saveexec_b64 s[36:37], s[38:39]
; %bb.38:
	v_bcnt_u32_b32 v8, v10, 0
	v_bcnt_u32_b32 v8, v11, v8
	ds_write_b32 v32, v8 offset:64
; %bb.39:
	s_or_b64 exec, exec, s[36:37]
	v_lshrrev_b32_e32 v8, s64, v14
	v_and_b32_e32 v30, s71, v8
	v_mul_lo_u32 v8, v30, s72
	v_add_u32_e32 v34, v39, v8
	v_and_b32_e32 v8, 1, v30
	v_lshl_add_u64 v[10:11], v[8:9], 0, -1
	v_cmp_ne_u32_e64 s[36:37], 0, v8
	; wave barrier
	s_nop 1
	v_xor_b32_e32 v10, s36, v10
	v_xor_b32_e32 v8, s37, v11
	v_and_b32_e32 v31, exec_lo, v10
	v_lshlrev_b32_e32 v11, 30, v30
	v_mov_b32_e32 v10, v9
	v_cmp_gt_i64_e64 s[36:37], 0, v[10:11]
	v_not_b32_e32 v10, v11
	v_ashrrev_i32_e32 v10, 31, v10
	v_and_b32_e32 v8, exec_hi, v8
	v_xor_b32_e32 v11, s37, v10
	v_xor_b32_e32 v10, s36, v10
	v_and_b32_e32 v8, v8, v11
	v_and_b32_e32 v31, v31, v10
	v_lshlrev_b32_e32 v11, 29, v30
	v_mov_b32_e32 v10, v9
	v_cmp_gt_i64_e64 s[36:37], 0, v[10:11]
	v_not_b32_e32 v10, v11
	v_ashrrev_i32_e32 v10, 31, v10
	v_xor_b32_e32 v11, s37, v10
	v_xor_b32_e32 v10, s36, v10
	v_and_b32_e32 v8, v8, v11
	v_and_b32_e32 v31, v31, v10
	v_lshlrev_b32_e32 v11, 28, v30
	v_mov_b32_e32 v10, v9
	v_cmp_gt_i64_e64 s[36:37], 0, v[10:11]
	v_not_b32_e32 v10, v11
	v_ashrrev_i32_e32 v10, 31, v10
	;; [unrolled: 9-line block ×5, first 2 shown]
	v_xor_b32_e32 v11, s37, v10
	v_xor_b32_e32 v10, s36, v10
	v_and_b32_e32 v8, v8, v11
	v_lshlrev_b32_e32 v11, 24, v30
	v_and_b32_e32 v31, v31, v10
	v_mov_b32_e32 v10, v9
	v_not_b32_e32 v9, v11
	v_cmp_gt_i64_e64 s[36:37], 0, v[10:11]
	v_ashrrev_i32_e32 v9, 31, v9
	ds_read_b32 v28, v34 offset:64
	v_xor_b32_e32 v10, s37, v9
	v_xor_b32_e32 v11, s36, v9
	v_and_b32_e32 v9, v8, v10
	v_and_b32_e32 v8, v31, v11
	v_mbcnt_lo_u32_b32 v10, v8, 0
	v_mbcnt_hi_u32_b32 v30, v9, v10
	v_cmp_eq_u32_e64 s[36:37], 0, v30
	v_cmp_ne_u64_e64 s[38:39], 0, v[8:9]
	s_and_b64 s[38:39], s[38:39], s[36:37]
	; wave barrier
	s_and_saveexec_b64 s[36:37], s[38:39]
	s_cbranch_execz .LBB770_41
; %bb.40:
	v_bcnt_u32_b32 v8, v8, 0
	v_bcnt_u32_b32 v8, v9, v8
	s_waitcnt lgkmcnt(0)
	v_add_u32_e32 v8, v28, v8
	ds_write_b32 v34, v8 offset:64
.LBB770_41:
	s_or_b64 exec, exec, s[36:37]
	v_lshrrev_b32_e32 v8, s64, v15
	v_and_b32_e32 v33, s71, v8
	s_movk_i32 s40, 0x44
	v_mul_lo_u32 v8, v33, s40
	v_add_u32_e32 v37, v39, v8
	v_and_b32_e32 v8, 1, v33
	v_mov_b32_e32 v9, 0
	v_lshl_add_u64 v[10:11], v[8:9], 0, -1
	v_cmp_ne_u32_e64 s[36:37], 0, v8
	; wave barrier
	s_nop 1
	v_xor_b32_e32 v10, s36, v10
	v_xor_b32_e32 v8, s37, v11
	v_and_b32_e32 v35, exec_lo, v10
	v_lshlrev_b32_e32 v11, 30, v33
	v_mov_b32_e32 v10, v9
	v_cmp_gt_i64_e64 s[36:37], 0, v[10:11]
	v_not_b32_e32 v10, v11
	v_ashrrev_i32_e32 v10, 31, v10
	v_and_b32_e32 v8, exec_hi, v8
	v_xor_b32_e32 v11, s37, v10
	v_xor_b32_e32 v10, s36, v10
	v_and_b32_e32 v8, v8, v11
	v_and_b32_e32 v35, v35, v10
	v_lshlrev_b32_e32 v11, 29, v33
	v_mov_b32_e32 v10, v9
	v_cmp_gt_i64_e64 s[36:37], 0, v[10:11]
	v_not_b32_e32 v10, v11
	v_ashrrev_i32_e32 v10, 31, v10
	v_xor_b32_e32 v11, s37, v10
	v_xor_b32_e32 v10, s36, v10
	v_and_b32_e32 v8, v8, v11
	v_and_b32_e32 v35, v35, v10
	v_lshlrev_b32_e32 v11, 28, v33
	v_mov_b32_e32 v10, v9
	v_cmp_gt_i64_e64 s[36:37], 0, v[10:11]
	v_not_b32_e32 v10, v11
	v_ashrrev_i32_e32 v10, 31, v10
	;; [unrolled: 9-line block ×6, first 2 shown]
	v_xor_b32_e32 v11, s37, v10
	v_xor_b32_e32 v10, s36, v10
	ds_read_b32 v31, v37 offset:64
	v_and_b32_e32 v10, v35, v10
	v_and_b32_e32 v11, v8, v11
	v_mbcnt_lo_u32_b32 v8, v10, 0
	v_mbcnt_hi_u32_b32 v33, v11, v8
	v_cmp_eq_u32_e64 s[36:37], 0, v33
	v_cmp_ne_u64_e64 s[38:39], 0, v[10:11]
	s_and_b64 s[38:39], s[38:39], s[36:37]
	; wave barrier
	s_and_saveexec_b64 s[36:37], s[38:39]
	s_cbranch_execz .LBB770_43
; %bb.42:
	v_bcnt_u32_b32 v8, v10, 0
	v_bcnt_u32_b32 v8, v11, v8
	s_waitcnt lgkmcnt(0)
	v_add_u32_e32 v8, v31, v8
	ds_write_b32 v37, v8 offset:64
.LBB770_43:
	s_or_b64 exec, exec, s[36:37]
	v_lshrrev_b32_e32 v8, s64, v7
	v_and_b32_e32 v36, s71, v8
	v_mul_lo_u32 v8, v36, s40
	v_add_u32_e32 v41, v39, v8
	v_and_b32_e32 v8, 1, v36
	v_lshl_add_u64 v[10:11], v[8:9], 0, -1
	v_cmp_ne_u32_e64 s[36:37], 0, v8
	; wave barrier
	s_nop 1
	v_xor_b32_e32 v10, s36, v10
	v_xor_b32_e32 v8, s37, v11
	v_and_b32_e32 v38, exec_lo, v10
	v_lshlrev_b32_e32 v11, 30, v36
	v_mov_b32_e32 v10, v9
	v_cmp_gt_i64_e64 s[36:37], 0, v[10:11]
	v_not_b32_e32 v10, v11
	v_ashrrev_i32_e32 v10, 31, v10
	v_and_b32_e32 v8, exec_hi, v8
	v_xor_b32_e32 v11, s37, v10
	v_xor_b32_e32 v10, s36, v10
	v_and_b32_e32 v8, v8, v11
	v_and_b32_e32 v38, v38, v10
	v_lshlrev_b32_e32 v11, 29, v36
	v_mov_b32_e32 v10, v9
	v_cmp_gt_i64_e64 s[36:37], 0, v[10:11]
	v_not_b32_e32 v10, v11
	v_ashrrev_i32_e32 v10, 31, v10
	v_xor_b32_e32 v11, s37, v10
	v_xor_b32_e32 v10, s36, v10
	v_and_b32_e32 v8, v8, v11
	v_and_b32_e32 v38, v38, v10
	v_lshlrev_b32_e32 v11, 28, v36
	v_mov_b32_e32 v10, v9
	v_cmp_gt_i64_e64 s[36:37], 0, v[10:11]
	v_not_b32_e32 v10, v11
	v_ashrrev_i32_e32 v10, 31, v10
	;; [unrolled: 9-line block ×5, first 2 shown]
	v_xor_b32_e32 v11, s37, v10
	v_xor_b32_e32 v10, s36, v10
	v_and_b32_e32 v8, v8, v11
	v_lshlrev_b32_e32 v11, 24, v36
	v_and_b32_e32 v38, v38, v10
	v_mov_b32_e32 v10, v9
	v_not_b32_e32 v9, v11
	v_cmp_gt_i64_e64 s[36:37], 0, v[10:11]
	v_ashrrev_i32_e32 v9, 31, v9
	ds_read_b32 v35, v41 offset:64
	v_xor_b32_e32 v10, s37, v9
	v_xor_b32_e32 v11, s36, v9
	v_and_b32_e32 v9, v8, v10
	v_and_b32_e32 v8, v38, v11
	v_mbcnt_lo_u32_b32 v10, v8, 0
	v_mbcnt_hi_u32_b32 v36, v9, v10
	v_cmp_eq_u32_e64 s[36:37], 0, v36
	v_cmp_ne_u64_e64 s[38:39], 0, v[8:9]
	s_and_b64 s[38:39], s[38:39], s[36:37]
	; wave barrier
	s_and_saveexec_b64 s[36:37], s[38:39]
	s_cbranch_execz .LBB770_45
; %bb.44:
	v_bcnt_u32_b32 v8, v8, 0
	v_bcnt_u32_b32 v8, v9, v8
	s_waitcnt lgkmcnt(0)
	v_add_u32_e32 v8, v35, v8
	ds_write_b32 v41, v8 offset:64
.LBB770_45:
	s_or_b64 exec, exec, s[36:37]
	v_lshrrev_b32_e32 v8, s64, v17
	v_and_b32_e32 v40, s71, v8
	v_mul_lo_u32 v8, v40, s40
	v_add_u32_e32 v44, v39, v8
	v_and_b32_e32 v8, 1, v40
	v_mov_b32_e32 v9, 0
	v_lshl_add_u64 v[10:11], v[8:9], 0, -1
	v_cmp_ne_u32_e64 s[36:37], 0, v8
	; wave barrier
	s_nop 1
	v_xor_b32_e32 v10, s36, v10
	v_xor_b32_e32 v8, s37, v11
	v_and_b32_e32 v42, exec_lo, v10
	v_lshlrev_b32_e32 v11, 30, v40
	v_mov_b32_e32 v10, v9
	v_cmp_gt_i64_e64 s[36:37], 0, v[10:11]
	v_not_b32_e32 v10, v11
	v_ashrrev_i32_e32 v10, 31, v10
	v_and_b32_e32 v8, exec_hi, v8
	v_xor_b32_e32 v11, s37, v10
	v_xor_b32_e32 v10, s36, v10
	v_and_b32_e32 v8, v8, v11
	v_and_b32_e32 v42, v42, v10
	v_lshlrev_b32_e32 v11, 29, v40
	v_mov_b32_e32 v10, v9
	v_cmp_gt_i64_e64 s[36:37], 0, v[10:11]
	v_not_b32_e32 v10, v11
	v_ashrrev_i32_e32 v10, 31, v10
	v_xor_b32_e32 v11, s37, v10
	v_xor_b32_e32 v10, s36, v10
	v_and_b32_e32 v8, v8, v11
	v_and_b32_e32 v42, v42, v10
	v_lshlrev_b32_e32 v11, 28, v40
	v_mov_b32_e32 v10, v9
	v_cmp_gt_i64_e64 s[36:37], 0, v[10:11]
	v_not_b32_e32 v10, v11
	v_ashrrev_i32_e32 v10, 31, v10
	;; [unrolled: 9-line block ×6, first 2 shown]
	v_xor_b32_e32 v11, s37, v10
	v_xor_b32_e32 v10, s36, v10
	ds_read_b32 v38, v44 offset:64
	v_and_b32_e32 v10, v42, v10
	v_and_b32_e32 v11, v8, v11
	v_mbcnt_lo_u32_b32 v8, v10, 0
	v_mbcnt_hi_u32_b32 v40, v11, v8
	v_cmp_eq_u32_e64 s[36:37], 0, v40
	v_cmp_ne_u64_e64 s[38:39], 0, v[10:11]
	s_and_b64 s[38:39], s[38:39], s[36:37]
	; wave barrier
	s_and_saveexec_b64 s[36:37], s[38:39]
	s_cbranch_execz .LBB770_47
; %bb.46:
	v_bcnt_u32_b32 v8, v10, 0
	v_bcnt_u32_b32 v8, v11, v8
	s_waitcnt lgkmcnt(0)
	v_add_u32_e32 v8, v38, v8
	ds_write_b32 v44, v8 offset:64
.LBB770_47:
	s_or_b64 exec, exec, s[36:37]
	v_lshrrev_b32_e32 v8, s64, v16
	v_and_b32_e32 v43, s71, v8
	v_mul_lo_u32 v8, v43, s40
	v_add_u32_e32 v46, v39, v8
	v_and_b32_e32 v8, 1, v43
	v_lshl_add_u64 v[10:11], v[8:9], 0, -1
	v_cmp_ne_u32_e64 s[36:37], 0, v8
	; wave barrier
	s_nop 1
	v_xor_b32_e32 v10, s36, v10
	v_xor_b32_e32 v8, s37, v11
	v_and_b32_e32 v45, exec_lo, v10
	v_lshlrev_b32_e32 v11, 30, v43
	v_mov_b32_e32 v10, v9
	v_cmp_gt_i64_e64 s[36:37], 0, v[10:11]
	v_not_b32_e32 v10, v11
	v_ashrrev_i32_e32 v10, 31, v10
	v_and_b32_e32 v8, exec_hi, v8
	v_xor_b32_e32 v11, s37, v10
	v_xor_b32_e32 v10, s36, v10
	v_and_b32_e32 v8, v8, v11
	v_and_b32_e32 v45, v45, v10
	v_lshlrev_b32_e32 v11, 29, v43
	v_mov_b32_e32 v10, v9
	v_cmp_gt_i64_e64 s[36:37], 0, v[10:11]
	v_not_b32_e32 v10, v11
	v_ashrrev_i32_e32 v10, 31, v10
	v_xor_b32_e32 v11, s37, v10
	v_xor_b32_e32 v10, s36, v10
	v_and_b32_e32 v8, v8, v11
	v_and_b32_e32 v45, v45, v10
	v_lshlrev_b32_e32 v11, 28, v43
	v_mov_b32_e32 v10, v9
	v_cmp_gt_i64_e64 s[36:37], 0, v[10:11]
	v_not_b32_e32 v10, v11
	v_ashrrev_i32_e32 v10, 31, v10
	;; [unrolled: 9-line block ×5, first 2 shown]
	v_xor_b32_e32 v11, s37, v10
	v_xor_b32_e32 v10, s36, v10
	v_and_b32_e32 v8, v8, v11
	v_lshlrev_b32_e32 v11, 24, v43
	v_and_b32_e32 v45, v45, v10
	v_mov_b32_e32 v10, v9
	v_not_b32_e32 v9, v11
	v_cmp_gt_i64_e64 s[36:37], 0, v[10:11]
	v_ashrrev_i32_e32 v9, 31, v9
	ds_read_b32 v42, v46 offset:64
	v_xor_b32_e32 v10, s37, v9
	v_xor_b32_e32 v11, s36, v9
	v_and_b32_e32 v9, v8, v10
	v_and_b32_e32 v8, v45, v11
	v_mbcnt_lo_u32_b32 v10, v8, 0
	v_mbcnt_hi_u32_b32 v43, v9, v10
	v_cmp_eq_u32_e64 s[36:37], 0, v43
	v_cmp_ne_u64_e64 s[38:39], 0, v[8:9]
	s_and_b64 s[38:39], s[38:39], s[36:37]
	; wave barrier
	s_and_saveexec_b64 s[36:37], s[38:39]
	s_cbranch_execz .LBB770_49
; %bb.48:
	v_bcnt_u32_b32 v8, v8, 0
	v_bcnt_u32_b32 v8, v9, v8
	s_waitcnt lgkmcnt(0)
	v_add_u32_e32 v8, v42, v8
	ds_write_b32 v46, v8 offset:64
.LBB770_49:
	s_or_b64 exec, exec, s[36:37]
	v_lshrrev_b32_e32 v8, s64, v19
	v_and_b32_e32 v47, s71, v8
	v_mul_lo_u32 v8, v47, s40
	v_add_u32_e32 v49, v39, v8
	v_and_b32_e32 v8, 1, v47
	v_mov_b32_e32 v9, 0
	v_lshl_add_u64 v[10:11], v[8:9], 0, -1
	v_cmp_ne_u32_e64 s[36:37], 0, v8
	; wave barrier
	s_nop 1
	v_xor_b32_e32 v10, s36, v10
	v_xor_b32_e32 v8, s37, v11
	v_and_b32_e32 v48, exec_lo, v10
	v_lshlrev_b32_e32 v11, 30, v47
	v_mov_b32_e32 v10, v9
	v_cmp_gt_i64_e64 s[36:37], 0, v[10:11]
	v_not_b32_e32 v10, v11
	v_ashrrev_i32_e32 v10, 31, v10
	v_and_b32_e32 v8, exec_hi, v8
	v_xor_b32_e32 v11, s37, v10
	v_xor_b32_e32 v10, s36, v10
	v_and_b32_e32 v8, v8, v11
	v_and_b32_e32 v48, v48, v10
	v_lshlrev_b32_e32 v11, 29, v47
	v_mov_b32_e32 v10, v9
	v_cmp_gt_i64_e64 s[36:37], 0, v[10:11]
	v_not_b32_e32 v10, v11
	v_ashrrev_i32_e32 v10, 31, v10
	v_xor_b32_e32 v11, s37, v10
	v_xor_b32_e32 v10, s36, v10
	v_and_b32_e32 v8, v8, v11
	v_and_b32_e32 v48, v48, v10
	v_lshlrev_b32_e32 v11, 28, v47
	v_mov_b32_e32 v10, v9
	v_cmp_gt_i64_e64 s[36:37], 0, v[10:11]
	v_not_b32_e32 v10, v11
	v_ashrrev_i32_e32 v10, 31, v10
	;; [unrolled: 9-line block ×6, first 2 shown]
	v_xor_b32_e32 v11, s37, v10
	v_xor_b32_e32 v10, s36, v10
	ds_read_b32 v45, v49 offset:64
	v_and_b32_e32 v10, v48, v10
	v_and_b32_e32 v11, v8, v11
	v_mbcnt_lo_u32_b32 v8, v10, 0
	v_mbcnt_hi_u32_b32 v47, v11, v8
	v_cmp_eq_u32_e64 s[36:37], 0, v47
	v_cmp_ne_u64_e64 s[38:39], 0, v[10:11]
	s_and_b64 s[38:39], s[38:39], s[36:37]
	; wave barrier
	s_and_saveexec_b64 s[36:37], s[38:39]
	s_cbranch_execz .LBB770_51
; %bb.50:
	v_bcnt_u32_b32 v8, v10, 0
	v_bcnt_u32_b32 v8, v11, v8
	s_waitcnt lgkmcnt(0)
	v_add_u32_e32 v8, v45, v8
	ds_write_b32 v49, v8 offset:64
.LBB770_51:
	s_or_b64 exec, exec, s[36:37]
	v_lshrrev_b32_e32 v8, s64, v18
	v_and_b32_e32 v50, s71, v8
	v_mul_lo_u32 v8, v50, s40
	v_add_u32_e32 v52, v39, v8
	v_and_b32_e32 v8, 1, v50
	v_lshl_add_u64 v[10:11], v[8:9], 0, -1
	v_cmp_ne_u32_e64 s[36:37], 0, v8
	; wave barrier
	s_nop 1
	v_xor_b32_e32 v10, s36, v10
	v_xor_b32_e32 v8, s37, v11
	v_and_b32_e32 v51, exec_lo, v10
	v_lshlrev_b32_e32 v11, 30, v50
	v_mov_b32_e32 v10, v9
	v_cmp_gt_i64_e64 s[36:37], 0, v[10:11]
	v_not_b32_e32 v10, v11
	v_ashrrev_i32_e32 v10, 31, v10
	v_and_b32_e32 v8, exec_hi, v8
	v_xor_b32_e32 v11, s37, v10
	v_xor_b32_e32 v10, s36, v10
	v_and_b32_e32 v8, v8, v11
	v_and_b32_e32 v51, v51, v10
	v_lshlrev_b32_e32 v11, 29, v50
	v_mov_b32_e32 v10, v9
	v_cmp_gt_i64_e64 s[36:37], 0, v[10:11]
	v_not_b32_e32 v10, v11
	v_ashrrev_i32_e32 v10, 31, v10
	v_xor_b32_e32 v11, s37, v10
	v_xor_b32_e32 v10, s36, v10
	v_and_b32_e32 v8, v8, v11
	v_and_b32_e32 v51, v51, v10
	v_lshlrev_b32_e32 v11, 28, v50
	v_mov_b32_e32 v10, v9
	v_cmp_gt_i64_e64 s[36:37], 0, v[10:11]
	v_not_b32_e32 v10, v11
	v_ashrrev_i32_e32 v10, 31, v10
	;; [unrolled: 9-line block ×5, first 2 shown]
	v_xor_b32_e32 v11, s37, v10
	v_xor_b32_e32 v10, s36, v10
	v_and_b32_e32 v8, v8, v11
	v_lshlrev_b32_e32 v11, 24, v50
	v_and_b32_e32 v51, v51, v10
	v_mov_b32_e32 v10, v9
	v_not_b32_e32 v9, v11
	v_cmp_gt_i64_e64 s[36:37], 0, v[10:11]
	v_ashrrev_i32_e32 v9, 31, v9
	ds_read_b32 v48, v52 offset:64
	v_xor_b32_e32 v10, s37, v9
	v_xor_b32_e32 v11, s36, v9
	v_and_b32_e32 v9, v8, v10
	v_and_b32_e32 v8, v51, v11
	v_mbcnt_lo_u32_b32 v10, v8, 0
	v_mbcnt_hi_u32_b32 v50, v9, v10
	v_cmp_eq_u32_e64 s[36:37], 0, v50
	v_cmp_ne_u64_e64 s[38:39], 0, v[8:9]
	s_and_b64 s[38:39], s[38:39], s[36:37]
	; wave barrier
	s_and_saveexec_b64 s[36:37], s[38:39]
	s_cbranch_execz .LBB770_53
; %bb.52:
	v_bcnt_u32_b32 v8, v8, 0
	v_bcnt_u32_b32 v8, v9, v8
	s_waitcnt lgkmcnt(0)
	v_add_u32_e32 v8, v48, v8
	ds_write_b32 v52, v8 offset:64
.LBB770_53:
	s_or_b64 exec, exec, s[36:37]
	v_lshrrev_b32_e32 v8, s64, v21
	v_and_b32_e32 v53, s71, v8
	v_mul_lo_u32 v8, v53, s40
	v_add_u32_e32 v55, v39, v8
	v_and_b32_e32 v8, 1, v53
	v_mov_b32_e32 v9, 0
	v_lshl_add_u64 v[10:11], v[8:9], 0, -1
	v_cmp_ne_u32_e64 s[36:37], 0, v8
	; wave barrier
	s_nop 1
	v_xor_b32_e32 v10, s36, v10
	v_xor_b32_e32 v8, s37, v11
	v_and_b32_e32 v54, exec_lo, v10
	v_lshlrev_b32_e32 v11, 30, v53
	v_mov_b32_e32 v10, v9
	v_cmp_gt_i64_e64 s[36:37], 0, v[10:11]
	v_not_b32_e32 v10, v11
	v_ashrrev_i32_e32 v10, 31, v10
	v_and_b32_e32 v8, exec_hi, v8
	v_xor_b32_e32 v11, s37, v10
	v_xor_b32_e32 v10, s36, v10
	v_and_b32_e32 v8, v8, v11
	v_and_b32_e32 v54, v54, v10
	v_lshlrev_b32_e32 v11, 29, v53
	v_mov_b32_e32 v10, v9
	v_cmp_gt_i64_e64 s[36:37], 0, v[10:11]
	v_not_b32_e32 v10, v11
	v_ashrrev_i32_e32 v10, 31, v10
	v_xor_b32_e32 v11, s37, v10
	v_xor_b32_e32 v10, s36, v10
	v_and_b32_e32 v8, v8, v11
	v_and_b32_e32 v54, v54, v10
	v_lshlrev_b32_e32 v11, 28, v53
	v_mov_b32_e32 v10, v9
	v_cmp_gt_i64_e64 s[36:37], 0, v[10:11]
	v_not_b32_e32 v10, v11
	v_ashrrev_i32_e32 v10, 31, v10
	;; [unrolled: 9-line block ×6, first 2 shown]
	v_xor_b32_e32 v11, s37, v10
	v_xor_b32_e32 v10, s36, v10
	ds_read_b32 v51, v55 offset:64
	v_and_b32_e32 v10, v54, v10
	v_and_b32_e32 v11, v8, v11
	v_mbcnt_lo_u32_b32 v8, v10, 0
	v_mbcnt_hi_u32_b32 v53, v11, v8
	v_cmp_eq_u32_e64 s[36:37], 0, v53
	v_cmp_ne_u64_e64 s[38:39], 0, v[10:11]
	s_and_b64 s[38:39], s[38:39], s[36:37]
	; wave barrier
	s_and_saveexec_b64 s[36:37], s[38:39]
	s_cbranch_execz .LBB770_55
; %bb.54:
	v_bcnt_u32_b32 v8, v10, 0
	v_bcnt_u32_b32 v8, v11, v8
	s_waitcnt lgkmcnt(0)
	v_add_u32_e32 v8, v51, v8
	ds_write_b32 v55, v8 offset:64
.LBB770_55:
	s_or_b64 exec, exec, s[36:37]
	v_lshrrev_b32_e32 v8, s64, v20
	v_and_b32_e32 v56, s71, v8
	v_mul_lo_u32 v8, v56, s40
	v_add_u32_e32 v58, v39, v8
	v_and_b32_e32 v8, 1, v56
	v_lshl_add_u64 v[10:11], v[8:9], 0, -1
	v_cmp_ne_u32_e64 s[36:37], 0, v8
	; wave barrier
	s_nop 1
	v_xor_b32_e32 v10, s36, v10
	v_xor_b32_e32 v8, s37, v11
	v_and_b32_e32 v57, exec_lo, v10
	v_lshlrev_b32_e32 v11, 30, v56
	v_mov_b32_e32 v10, v9
	v_cmp_gt_i64_e64 s[36:37], 0, v[10:11]
	v_not_b32_e32 v10, v11
	v_ashrrev_i32_e32 v10, 31, v10
	v_and_b32_e32 v8, exec_hi, v8
	v_xor_b32_e32 v11, s37, v10
	v_xor_b32_e32 v10, s36, v10
	v_and_b32_e32 v8, v8, v11
	v_and_b32_e32 v57, v57, v10
	v_lshlrev_b32_e32 v11, 29, v56
	v_mov_b32_e32 v10, v9
	v_cmp_gt_i64_e64 s[36:37], 0, v[10:11]
	v_not_b32_e32 v10, v11
	v_ashrrev_i32_e32 v10, 31, v10
	v_xor_b32_e32 v11, s37, v10
	v_xor_b32_e32 v10, s36, v10
	v_and_b32_e32 v8, v8, v11
	v_and_b32_e32 v57, v57, v10
	v_lshlrev_b32_e32 v11, 28, v56
	v_mov_b32_e32 v10, v9
	v_cmp_gt_i64_e64 s[36:37], 0, v[10:11]
	v_not_b32_e32 v10, v11
	v_ashrrev_i32_e32 v10, 31, v10
	;; [unrolled: 9-line block ×5, first 2 shown]
	v_xor_b32_e32 v11, s37, v10
	v_xor_b32_e32 v10, s36, v10
	v_and_b32_e32 v8, v8, v11
	v_lshlrev_b32_e32 v11, 24, v56
	v_and_b32_e32 v57, v57, v10
	v_mov_b32_e32 v10, v9
	v_not_b32_e32 v9, v11
	v_cmp_gt_i64_e64 s[36:37], 0, v[10:11]
	v_ashrrev_i32_e32 v9, 31, v9
	ds_read_b32 v54, v58 offset:64
	v_xor_b32_e32 v10, s37, v9
	v_xor_b32_e32 v11, s36, v9
	v_and_b32_e32 v9, v8, v10
	v_and_b32_e32 v8, v57, v11
	v_mbcnt_lo_u32_b32 v10, v8, 0
	v_mbcnt_hi_u32_b32 v56, v9, v10
	v_cmp_eq_u32_e64 s[36:37], 0, v56
	v_cmp_ne_u64_e64 s[38:39], 0, v[8:9]
	s_and_b64 s[38:39], s[38:39], s[36:37]
	; wave barrier
	s_and_saveexec_b64 s[36:37], s[38:39]
	s_cbranch_execz .LBB770_57
; %bb.56:
	v_bcnt_u32_b32 v8, v8, 0
	v_bcnt_u32_b32 v8, v9, v8
	s_waitcnt lgkmcnt(0)
	v_add_u32_e32 v8, v54, v8
	ds_write_b32 v58, v8 offset:64
.LBB770_57:
	s_or_b64 exec, exec, s[36:37]
	v_lshrrev_b32_e32 v8, s64, v23
	v_and_b32_e32 v59, s71, v8
	v_mul_lo_u32 v8, v59, s40
	v_add_u32_e32 v61, v39, v8
	v_and_b32_e32 v8, 1, v59
	v_mov_b32_e32 v9, 0
	v_lshl_add_u64 v[10:11], v[8:9], 0, -1
	v_cmp_ne_u32_e64 s[36:37], 0, v8
	; wave barrier
	s_nop 1
	v_xor_b32_e32 v10, s36, v10
	v_xor_b32_e32 v8, s37, v11
	v_and_b32_e32 v60, exec_lo, v10
	v_lshlrev_b32_e32 v11, 30, v59
	v_mov_b32_e32 v10, v9
	v_cmp_gt_i64_e64 s[36:37], 0, v[10:11]
	v_not_b32_e32 v10, v11
	v_ashrrev_i32_e32 v10, 31, v10
	v_and_b32_e32 v8, exec_hi, v8
	v_xor_b32_e32 v11, s37, v10
	v_xor_b32_e32 v10, s36, v10
	v_and_b32_e32 v8, v8, v11
	v_and_b32_e32 v60, v60, v10
	v_lshlrev_b32_e32 v11, 29, v59
	v_mov_b32_e32 v10, v9
	v_cmp_gt_i64_e64 s[36:37], 0, v[10:11]
	v_not_b32_e32 v10, v11
	v_ashrrev_i32_e32 v10, 31, v10
	v_xor_b32_e32 v11, s37, v10
	v_xor_b32_e32 v10, s36, v10
	v_and_b32_e32 v8, v8, v11
	v_and_b32_e32 v60, v60, v10
	v_lshlrev_b32_e32 v11, 28, v59
	v_mov_b32_e32 v10, v9
	v_cmp_gt_i64_e64 s[36:37], 0, v[10:11]
	v_not_b32_e32 v10, v11
	v_ashrrev_i32_e32 v10, 31, v10
	;; [unrolled: 9-line block ×6, first 2 shown]
	v_xor_b32_e32 v11, s37, v10
	v_xor_b32_e32 v10, s36, v10
	ds_read_b32 v57, v61 offset:64
	v_and_b32_e32 v10, v60, v10
	v_and_b32_e32 v11, v8, v11
	v_mbcnt_lo_u32_b32 v8, v10, 0
	v_mbcnt_hi_u32_b32 v59, v11, v8
	v_cmp_eq_u32_e64 s[36:37], 0, v59
	v_cmp_ne_u64_e64 s[38:39], 0, v[10:11]
	s_and_b64 s[38:39], s[38:39], s[36:37]
	; wave barrier
	s_and_saveexec_b64 s[36:37], s[38:39]
	s_cbranch_execz .LBB770_59
; %bb.58:
	v_bcnt_u32_b32 v8, v10, 0
	v_bcnt_u32_b32 v8, v11, v8
	s_waitcnt lgkmcnt(0)
	v_add_u32_e32 v8, v57, v8
	ds_write_b32 v61, v8 offset:64
.LBB770_59:
	s_or_b64 exec, exec, s[36:37]
	v_lshrrev_b32_e32 v8, s64, v22
	v_and_b32_e32 v62, s71, v8
	v_mul_lo_u32 v8, v62, s40
	v_add_u32_e32 v64, v39, v8
	v_and_b32_e32 v8, 1, v62
	v_lshl_add_u64 v[10:11], v[8:9], 0, -1
	v_cmp_ne_u32_e64 s[36:37], 0, v8
	; wave barrier
	s_nop 1
	v_xor_b32_e32 v10, s36, v10
	v_xor_b32_e32 v8, s37, v11
	v_and_b32_e32 v63, exec_lo, v10
	v_lshlrev_b32_e32 v11, 30, v62
	v_mov_b32_e32 v10, v9
	v_cmp_gt_i64_e64 s[36:37], 0, v[10:11]
	v_not_b32_e32 v10, v11
	v_ashrrev_i32_e32 v10, 31, v10
	v_and_b32_e32 v8, exec_hi, v8
	v_xor_b32_e32 v11, s37, v10
	v_xor_b32_e32 v10, s36, v10
	v_and_b32_e32 v8, v8, v11
	v_and_b32_e32 v63, v63, v10
	v_lshlrev_b32_e32 v11, 29, v62
	v_mov_b32_e32 v10, v9
	v_cmp_gt_i64_e64 s[36:37], 0, v[10:11]
	v_not_b32_e32 v10, v11
	v_ashrrev_i32_e32 v10, 31, v10
	v_xor_b32_e32 v11, s37, v10
	v_xor_b32_e32 v10, s36, v10
	v_and_b32_e32 v8, v8, v11
	v_and_b32_e32 v63, v63, v10
	v_lshlrev_b32_e32 v11, 28, v62
	v_mov_b32_e32 v10, v9
	v_cmp_gt_i64_e64 s[36:37], 0, v[10:11]
	v_not_b32_e32 v10, v11
	v_ashrrev_i32_e32 v10, 31, v10
	;; [unrolled: 9-line block ×5, first 2 shown]
	v_xor_b32_e32 v11, s37, v10
	v_xor_b32_e32 v10, s36, v10
	v_and_b32_e32 v8, v8, v11
	v_lshlrev_b32_e32 v11, 24, v62
	v_and_b32_e32 v63, v63, v10
	v_mov_b32_e32 v10, v9
	v_not_b32_e32 v9, v11
	v_cmp_gt_i64_e64 s[36:37], 0, v[10:11]
	v_ashrrev_i32_e32 v9, 31, v9
	ds_read_b32 v60, v64 offset:64
	v_xor_b32_e32 v10, s37, v9
	v_xor_b32_e32 v11, s36, v9
	v_and_b32_e32 v9, v8, v10
	v_and_b32_e32 v8, v63, v11
	v_mbcnt_lo_u32_b32 v10, v8, 0
	v_mbcnt_hi_u32_b32 v62, v9, v10
	v_cmp_eq_u32_e64 s[36:37], 0, v62
	v_cmp_ne_u64_e64 s[38:39], 0, v[8:9]
	s_and_b64 s[38:39], s[38:39], s[36:37]
	; wave barrier
	s_and_saveexec_b64 s[36:37], s[38:39]
	s_cbranch_execz .LBB770_61
; %bb.60:
	v_bcnt_u32_b32 v8, v8, 0
	v_bcnt_u32_b32 v8, v9, v8
	s_waitcnt lgkmcnt(0)
	v_add_u32_e32 v8, v60, v8
	ds_write_b32 v64, v8 offset:64
.LBB770_61:
	s_or_b64 exec, exec, s[36:37]
	v_lshrrev_b32_e32 v8, s64, v25
	v_and_b32_e32 v65, s71, v8
	v_mul_lo_u32 v8, v65, s40
	v_add_u32_e32 v67, v39, v8
	v_and_b32_e32 v8, 1, v65
	v_mov_b32_e32 v9, 0
	v_lshl_add_u64 v[10:11], v[8:9], 0, -1
	v_cmp_ne_u32_e64 s[36:37], 0, v8
	; wave barrier
	s_nop 1
	v_xor_b32_e32 v10, s36, v10
	v_xor_b32_e32 v8, s37, v11
	v_and_b32_e32 v66, exec_lo, v10
	v_lshlrev_b32_e32 v11, 30, v65
	v_mov_b32_e32 v10, v9
	v_cmp_gt_i64_e64 s[36:37], 0, v[10:11]
	v_not_b32_e32 v10, v11
	v_ashrrev_i32_e32 v10, 31, v10
	v_and_b32_e32 v8, exec_hi, v8
	v_xor_b32_e32 v11, s37, v10
	v_xor_b32_e32 v10, s36, v10
	v_and_b32_e32 v8, v8, v11
	v_and_b32_e32 v66, v66, v10
	v_lshlrev_b32_e32 v11, 29, v65
	v_mov_b32_e32 v10, v9
	v_cmp_gt_i64_e64 s[36:37], 0, v[10:11]
	v_not_b32_e32 v10, v11
	v_ashrrev_i32_e32 v10, 31, v10
	v_xor_b32_e32 v11, s37, v10
	v_xor_b32_e32 v10, s36, v10
	v_and_b32_e32 v8, v8, v11
	v_and_b32_e32 v66, v66, v10
	v_lshlrev_b32_e32 v11, 28, v65
	v_mov_b32_e32 v10, v9
	v_cmp_gt_i64_e64 s[36:37], 0, v[10:11]
	v_not_b32_e32 v10, v11
	v_ashrrev_i32_e32 v10, 31, v10
	v_xor_b32_e32 v11, s37, v10
	v_xor_b32_e32 v10, s36, v10
	v_and_b32_e32 v8, v8, v11
	v_and_b32_e32 v66, v66, v10
	v_lshlrev_b32_e32 v11, 27, v65
	v_mov_b32_e32 v10, v9
	v_cmp_gt_i64_e64 s[36:37], 0, v[10:11]
	v_not_b32_e32 v10, v11
	v_ashrrev_i32_e32 v10, 31, v10
	v_xor_b32_e32 v11, s37, v10
	v_xor_b32_e32 v10, s36, v10
	v_and_b32_e32 v8, v8, v11
	v_and_b32_e32 v66, v66, v10
	v_lshlrev_b32_e32 v11, 26, v65
	v_mov_b32_e32 v10, v9
	v_cmp_gt_i64_e64 s[36:37], 0, v[10:11]
	v_not_b32_e32 v10, v11
	v_ashrrev_i32_e32 v10, 31, v10
	v_xor_b32_e32 v11, s37, v10
	v_xor_b32_e32 v10, s36, v10
	v_and_b32_e32 v8, v8, v11
	v_and_b32_e32 v66, v66, v10
	v_lshlrev_b32_e32 v11, 25, v65
	v_mov_b32_e32 v10, v9
	v_cmp_gt_i64_e64 s[36:37], 0, v[10:11]
	v_not_b32_e32 v10, v11
	v_ashrrev_i32_e32 v10, 31, v10
	v_xor_b32_e32 v11, s37, v10
	v_xor_b32_e32 v10, s36, v10
	v_and_b32_e32 v8, v8, v11
	v_and_b32_e32 v66, v66, v10
	v_lshlrev_b32_e32 v11, 24, v65
	v_mov_b32_e32 v10, v9
	v_cmp_gt_i64_e64 s[36:37], 0, v[10:11]
	v_not_b32_e32 v10, v11
	v_ashrrev_i32_e32 v10, 31, v10
	v_xor_b32_e32 v11, s37, v10
	v_xor_b32_e32 v10, s36, v10
	ds_read_b32 v63, v67 offset:64
	v_and_b32_e32 v10, v66, v10
	v_and_b32_e32 v11, v8, v11
	v_mbcnt_lo_u32_b32 v8, v10, 0
	v_mbcnt_hi_u32_b32 v65, v11, v8
	v_cmp_eq_u32_e64 s[36:37], 0, v65
	v_cmp_ne_u64_e64 s[38:39], 0, v[10:11]
	s_and_b64 s[38:39], s[38:39], s[36:37]
	; wave barrier
	s_and_saveexec_b64 s[36:37], s[38:39]
	s_cbranch_execz .LBB770_63
; %bb.62:
	v_bcnt_u32_b32 v8, v10, 0
	v_bcnt_u32_b32 v8, v11, v8
	s_waitcnt lgkmcnt(0)
	v_add_u32_e32 v8, v63, v8
	ds_write_b32 v67, v8 offset:64
.LBB770_63:
	s_or_b64 exec, exec, s[36:37]
	v_lshrrev_b32_e32 v8, s64, v24
	v_and_b32_e32 v68, s71, v8
	v_mul_lo_u32 v8, v68, s40
	v_add_u32_e32 v70, v39, v8
	v_and_b32_e32 v8, 1, v68
	v_lshl_add_u64 v[10:11], v[8:9], 0, -1
	v_cmp_ne_u32_e64 s[36:37], 0, v8
	; wave barrier
	s_nop 1
	v_xor_b32_e32 v10, s36, v10
	v_xor_b32_e32 v8, s37, v11
	v_and_b32_e32 v69, exec_lo, v10
	v_lshlrev_b32_e32 v11, 30, v68
	v_mov_b32_e32 v10, v9
	v_cmp_gt_i64_e64 s[36:37], 0, v[10:11]
	v_not_b32_e32 v10, v11
	v_ashrrev_i32_e32 v10, 31, v10
	v_and_b32_e32 v8, exec_hi, v8
	v_xor_b32_e32 v11, s37, v10
	v_xor_b32_e32 v10, s36, v10
	v_and_b32_e32 v8, v8, v11
	v_and_b32_e32 v69, v69, v10
	v_lshlrev_b32_e32 v11, 29, v68
	v_mov_b32_e32 v10, v9
	v_cmp_gt_i64_e64 s[36:37], 0, v[10:11]
	v_not_b32_e32 v10, v11
	v_ashrrev_i32_e32 v10, 31, v10
	v_xor_b32_e32 v11, s37, v10
	v_xor_b32_e32 v10, s36, v10
	v_and_b32_e32 v8, v8, v11
	v_and_b32_e32 v69, v69, v10
	v_lshlrev_b32_e32 v11, 28, v68
	v_mov_b32_e32 v10, v9
	v_cmp_gt_i64_e64 s[36:37], 0, v[10:11]
	v_not_b32_e32 v10, v11
	v_ashrrev_i32_e32 v10, 31, v10
	;; [unrolled: 9-line block ×5, first 2 shown]
	v_xor_b32_e32 v11, s37, v10
	v_xor_b32_e32 v10, s36, v10
	v_and_b32_e32 v8, v8, v11
	v_lshlrev_b32_e32 v11, 24, v68
	v_and_b32_e32 v69, v69, v10
	v_mov_b32_e32 v10, v9
	v_not_b32_e32 v9, v11
	v_cmp_gt_i64_e64 s[36:37], 0, v[10:11]
	v_ashrrev_i32_e32 v9, 31, v9
	ds_read_b32 v66, v70 offset:64
	v_xor_b32_e32 v10, s37, v9
	v_xor_b32_e32 v11, s36, v9
	v_and_b32_e32 v9, v8, v10
	v_and_b32_e32 v8, v69, v11
	v_mbcnt_lo_u32_b32 v10, v8, 0
	v_mbcnt_hi_u32_b32 v68, v9, v10
	v_cmp_eq_u32_e64 s[36:37], 0, v68
	v_cmp_ne_u64_e64 s[38:39], 0, v[8:9]
	s_and_b64 s[38:39], s[38:39], s[36:37]
	; wave barrier
	s_and_saveexec_b64 s[36:37], s[38:39]
	s_cbranch_execz .LBB770_65
; %bb.64:
	v_bcnt_u32_b32 v8, v8, 0
	v_bcnt_u32_b32 v8, v9, v8
	s_waitcnt lgkmcnt(0)
	v_add_u32_e32 v8, v66, v8
	ds_write_b32 v70, v8 offset:64
.LBB770_65:
	s_or_b64 exec, exec, s[36:37]
	v_lshrrev_b32_e32 v8, s64, v27
	v_and_b32_e32 v71, s71, v8
	v_mul_lo_u32 v8, v71, s40
	v_add_u32_e32 v72, v39, v8
	v_and_b32_e32 v8, 1, v71
	v_mov_b32_e32 v9, 0
	v_lshl_add_u64 v[10:11], v[8:9], 0, -1
	v_cmp_ne_u32_e64 s[36:37], 0, v8
	; wave barrier
	s_nop 1
	v_xor_b32_e32 v10, s36, v10
	v_xor_b32_e32 v8, s37, v11
	v_and_b32_e32 v73, exec_lo, v10
	v_lshlrev_b32_e32 v11, 30, v71
	v_mov_b32_e32 v10, v9
	v_cmp_gt_i64_e64 s[36:37], 0, v[10:11]
	v_not_b32_e32 v10, v11
	v_ashrrev_i32_e32 v10, 31, v10
	v_and_b32_e32 v8, exec_hi, v8
	v_xor_b32_e32 v11, s37, v10
	v_xor_b32_e32 v10, s36, v10
	v_and_b32_e32 v8, v8, v11
	v_and_b32_e32 v73, v73, v10
	v_lshlrev_b32_e32 v11, 29, v71
	v_mov_b32_e32 v10, v9
	v_cmp_gt_i64_e64 s[36:37], 0, v[10:11]
	v_not_b32_e32 v10, v11
	v_ashrrev_i32_e32 v10, 31, v10
	v_xor_b32_e32 v11, s37, v10
	v_xor_b32_e32 v10, s36, v10
	v_and_b32_e32 v8, v8, v11
	v_and_b32_e32 v73, v73, v10
	v_lshlrev_b32_e32 v11, 28, v71
	v_mov_b32_e32 v10, v9
	v_cmp_gt_i64_e64 s[36:37], 0, v[10:11]
	v_not_b32_e32 v10, v11
	v_ashrrev_i32_e32 v10, 31, v10
	;; [unrolled: 9-line block ×6, first 2 shown]
	v_xor_b32_e32 v11, s37, v10
	v_xor_b32_e32 v10, s36, v10
	ds_read_b32 v69, v72 offset:64
	v_and_b32_e32 v10, v73, v10
	v_and_b32_e32 v11, v8, v11
	v_mbcnt_lo_u32_b32 v8, v10, 0
	v_mbcnt_hi_u32_b32 v71, v11, v8
	v_cmp_eq_u32_e64 s[36:37], 0, v71
	v_cmp_ne_u64_e64 s[38:39], 0, v[10:11]
	s_and_b64 s[38:39], s[38:39], s[36:37]
	; wave barrier
	s_and_saveexec_b64 s[36:37], s[38:39]
	s_cbranch_execz .LBB770_67
; %bb.66:
	v_bcnt_u32_b32 v8, v10, 0
	v_bcnt_u32_b32 v8, v11, v8
	s_waitcnt lgkmcnt(0)
	v_add_u32_e32 v8, v69, v8
	ds_write_b32 v72, v8 offset:64
.LBB770_67:
	s_or_b64 exec, exec, s[36:37]
	v_lshrrev_b32_e32 v8, s64, v26
	v_and_b32_e32 v73, s71, v8
	v_mul_lo_u32 v8, v73, s40
	v_add_u32_e32 v74, v39, v8
	v_and_b32_e32 v8, 1, v73
	v_lshl_add_u64 v[10:11], v[8:9], 0, -1
	v_cmp_ne_u32_e64 s[36:37], 0, v8
	; wave barrier
	s_nop 1
	v_xor_b32_e32 v10, s36, v10
	v_xor_b32_e32 v8, s37, v11
	v_and_b32_e32 v75, exec_lo, v10
	v_lshlrev_b32_e32 v11, 30, v73
	v_mov_b32_e32 v10, v9
	v_cmp_gt_i64_e64 s[36:37], 0, v[10:11]
	v_not_b32_e32 v10, v11
	v_ashrrev_i32_e32 v10, 31, v10
	v_and_b32_e32 v8, exec_hi, v8
	v_xor_b32_e32 v11, s37, v10
	v_xor_b32_e32 v10, s36, v10
	v_and_b32_e32 v8, v8, v11
	v_and_b32_e32 v75, v75, v10
	v_lshlrev_b32_e32 v11, 29, v73
	v_mov_b32_e32 v10, v9
	v_cmp_gt_i64_e64 s[36:37], 0, v[10:11]
	v_not_b32_e32 v10, v11
	v_ashrrev_i32_e32 v10, 31, v10
	v_xor_b32_e32 v11, s37, v10
	v_xor_b32_e32 v10, s36, v10
	v_and_b32_e32 v8, v8, v11
	v_and_b32_e32 v75, v75, v10
	v_lshlrev_b32_e32 v11, 28, v73
	v_mov_b32_e32 v10, v9
	v_cmp_gt_i64_e64 s[36:37], 0, v[10:11]
	v_not_b32_e32 v10, v11
	v_ashrrev_i32_e32 v10, 31, v10
	;; [unrolled: 9-line block ×5, first 2 shown]
	v_xor_b32_e32 v11, s37, v10
	v_xor_b32_e32 v10, s36, v10
	v_and_b32_e32 v8, v8, v11
	v_lshlrev_b32_e32 v11, 24, v73
	v_and_b32_e32 v75, v75, v10
	v_mov_b32_e32 v10, v9
	v_not_b32_e32 v9, v11
	v_cmp_gt_i64_e64 s[36:37], 0, v[10:11]
	v_ashrrev_i32_e32 v9, 31, v9
	ds_read_b32 v39, v74 offset:64
	v_xor_b32_e32 v10, s37, v9
	v_xor_b32_e32 v11, s36, v9
	v_and_b32_e32 v9, v8, v10
	v_and_b32_e32 v8, v75, v11
	v_mbcnt_lo_u32_b32 v10, v8, 0
	v_mbcnt_hi_u32_b32 v73, v9, v10
	v_cmp_eq_u32_e64 s[36:37], 0, v73
	v_cmp_ne_u64_e64 s[38:39], 0, v[8:9]
	s_and_b64 s[38:39], s[38:39], s[36:37]
	; wave barrier
	s_and_saveexec_b64 s[36:37], s[38:39]
	s_cbranch_execz .LBB770_69
; %bb.68:
	v_bcnt_u32_b32 v8, v8, 0
	v_bcnt_u32_b32 v8, v9, v8
	s_waitcnt lgkmcnt(0)
	v_add_u32_e32 v8, v39, v8
	ds_write_b32 v74, v8 offset:64
.LBB770_69:
	s_or_b64 exec, exec, s[36:37]
	; wave barrier
	s_waitcnt lgkmcnt(0)
	s_barrier
	ds_read2_b32 v[10:11], v13 offset0:16 offset1:17
	ds_read2_b32 v[8:9], v13 offset0:18 offset1:19
	ds_read_b32 v75, v13 offset:80
	v_cmp_lt_u32_e64 s[46:47], 31, v12
	s_waitcnt lgkmcnt(1)
	v_add3_u32 v76, v11, v10, v8
	s_waitcnt lgkmcnt(0)
	v_add3_u32 v75, v76, v9, v75
	v_and_b32_e32 v76, 15, v12
	v_cmp_eq_u32_e64 s[36:37], 0, v76
	v_mov_b32_dpp v77, v75 row_shr:1 row_mask:0xf bank_mask:0xf
	v_cmp_lt_u32_e64 s[38:39], 1, v76
	v_cndmask_b32_e64 v77, v77, 0, s[36:37]
	v_add_u32_e32 v75, v77, v75
	v_cmp_lt_u32_e64 s[40:41], 3, v76
	v_cmp_lt_u32_e64 s[42:43], 7, v76
	v_mov_b32_dpp v77, v75 row_shr:2 row_mask:0xf bank_mask:0xf
	v_cndmask_b32_e64 v77, 0, v77, s[38:39]
	v_add_u32_e32 v75, v75, v77
	s_nop 1
	v_mov_b32_dpp v77, v75 row_shr:4 row_mask:0xf bank_mask:0xf
	v_cndmask_b32_e64 v77, 0, v77, s[40:41]
	v_add_u32_e32 v75, v75, v77
	s_nop 1
	v_mov_b32_dpp v77, v75 row_shr:8 row_mask:0xf bank_mask:0xf
	v_cndmask_b32_e64 v76, 0, v77, s[42:43]
	v_add_u32_e32 v75, v75, v76
	v_bfe_i32 v77, v12, 4, 1
	s_nop 0
	v_mov_b32_dpp v76, v75 row_bcast:15 row_mask:0xf bank_mask:0xf
	v_and_b32_e32 v76, v77, v76
	v_add_u32_e32 v75, v75, v76
	v_and_b32_e32 v77, 63, v2
	s_nop 0
	v_mov_b32_dpp v76, v75 row_bcast:31 row_mask:0xf bank_mask:0xf
	v_cndmask_b32_e64 v76, 0, v76, s[46:47]
	v_add_u32_e32 v75, v75, v76
	v_lshrrev_b32_e32 v76, 6, v2
	v_cmp_eq_u32_e64 s[46:47], 63, v77
	s_and_saveexec_b64 s[48:49], s[46:47]
; %bb.70:
	v_lshlrev_b32_e32 v77, 2, v76
	ds_write_b32 v77, v75
; %bb.71:
	s_or_b64 exec, exec, s[48:49]
	v_cmp_gt_u32_e64 s[46:47], 16, v2
	s_waitcnt lgkmcnt(0)
	s_barrier
	s_and_saveexec_b64 s[48:49], s[46:47]
	s_cbranch_execz .LBB770_73
; %bb.72:
	v_lshlrev_b32_e32 v77, 2, v2
	ds_read_b32 v78, v77
	s_waitcnt lgkmcnt(0)
	s_nop 0
	v_mov_b32_dpp v79, v78 row_shr:1 row_mask:0xf bank_mask:0xf
	v_cndmask_b32_e64 v79, v79, 0, s[36:37]
	v_add_u32_e32 v78, v79, v78
	s_nop 1
	v_mov_b32_dpp v79, v78 row_shr:2 row_mask:0xf bank_mask:0xf
	v_cndmask_b32_e64 v79, 0, v79, s[38:39]
	v_add_u32_e32 v78, v78, v79
	s_nop 1
	v_mov_b32_dpp v79, v78 row_shr:4 row_mask:0xf bank_mask:0xf
	v_cndmask_b32_e64 v79, 0, v79, s[40:41]
	v_add_u32_e32 v78, v78, v79
	s_nop 1
	v_mov_b32_dpp v79, v78 row_shr:8 row_mask:0xf bank_mask:0xf
	v_cndmask_b32_e64 v79, 0, v79, s[42:43]
	v_add_u32_e32 v78, v78, v79
	ds_write_b32 v77, v78
.LBB770_73:
	s_or_b64 exec, exec, s[48:49]
	v_cmp_lt_u32_e64 s[36:37], 63, v2
	v_mov_b32_e32 v77, 0
	s_waitcnt lgkmcnt(0)
	s_barrier
	s_and_saveexec_b64 s[38:39], s[36:37]
; %bb.74:
	v_lshl_add_u32 v76, v76, 2, -4
	ds_read_b32 v77, v76
; %bb.75:
	s_or_b64 exec, exec, s[38:39]
	v_subrev_co_u32_e64 v76, s[36:37], 1, v12
	v_and_b32_e32 v78, 64, v12
	v_cmp_lt_i32_e64 s[38:39], v76, v78
	s_waitcnt lgkmcnt(0)
	v_add_u32_e32 v75, v77, v75
	s_movk_i32 s40, 0x100
	v_cndmask_b32_e64 v12, v76, v12, s[38:39]
	v_lshlrev_b32_e32 v12, 2, v12
	ds_bpermute_b32 v12, v12, v75
	v_cmp_gt_u32_e64 s[38:39], s40, v2
	s_waitcnt lgkmcnt(0)
	v_cndmask_b32_e64 v12, v12, v77, s[36:37]
	v_cndmask_b32_e64 v12, v12, 0, s[44:45]
	v_add_u32_e32 v10, v12, v10
	v_add_u32_e32 v11, v10, v11
	;; [unrolled: 1-line block ×4, first 2 shown]
	ds_write2_b32 v13, v12, v10 offset0:16 offset1:17
	ds_write2_b32 v13, v11, v8 offset0:18 offset1:19
	ds_write_b32 v13, v9 offset:80
	s_waitcnt lgkmcnt(0)
	s_barrier
	ds_read_b32 v75, v34 offset:64
	ds_read_b32 v76, v37 offset:64
	ds_read_b32 v77, v41 offset:64
	ds_read_b32 v78, v44 offset:64
	ds_read_b32 v79, v46 offset:64
	ds_read_b32 v80, v49 offset:64
	ds_read_b32 v81, v52 offset:64
	ds_read_b32 v82, v55 offset:64
	ds_read_b32 v55, v32 offset:64
	ds_read_b32 v83, v58 offset:64
	ds_read_b32 v58, v61 offset:64
	ds_read_b32 v52, v64 offset:64
	ds_read_b32 v46, v67 offset:64
	ds_read_b32 v41, v70 offset:64
	ds_read_b32 v44, v72 offset:64
	ds_read_b32 v49, v74 offset:64
	s_movk_i32 s36, 0xff
	v_cmp_lt_u32_e64 s[36:37], s36, v2
                                        ; implicit-def: $vgpr32
                                        ; implicit-def: $vgpr34
	s_and_saveexec_b64 s[42:43], s[38:39]
	s_cbranch_execz .LBB770_79
; %bb.76:
	v_mul_u32_u24_e32 v8, 0x44, v2
	ds_read_b32 v32, v8 offset:64
	v_add_u32_e32 v9, 1, v2
	v_cmp_ne_u32_e64 s[40:41], s40, v9
	v_mov_b32_e32 v8, 0x4000
	s_and_saveexec_b64 s[46:47], s[40:41]
; %bb.77:
	v_mul_u32_u24_e32 v8, 0x44, v9
	ds_read_b32 v8, v8 offset:64
; %bb.78:
	s_or_b64 exec, exec, s[46:47]
	s_waitcnt lgkmcnt(0)
	v_sub_u32_e32 v34, v8, v32
.LBB770_79:
	s_or_b64 exec, exec, s[42:43]
	v_mov_b32_e32 v9, 0
	v_lshlrev_b32_e32 v37, 2, v2
	s_waitcnt lgkmcnt(0)
	s_barrier
	s_and_saveexec_b64 s[40:41], s[38:39]
	s_cbranch_execz .LBB770_89
; %bb.80:
	v_lshl_add_u32 v8, s33, 8, v2
	v_lshl_add_u64 v[10:11], v[8:9], 2, s[68:69]
	v_or_b32_e32 v8, 2.0, v34
	s_mov_b64 s[42:43], 0
	s_brev_b32 s50, -4
	s_mov_b32 s51, s33
	v_mov_b32_e32 v61, 0
	global_store_dword v[10:11], v8, off sc1
                                        ; implicit-def: $sgpr38_sgpr39
	s_branch .LBB770_83
.LBB770_81:                             ;   in Loop: Header=BB770_83 Depth=1
	s_or_b64 exec, exec, s[48:49]
.LBB770_82:                             ;   in Loop: Header=BB770_83 Depth=1
	s_or_b64 exec, exec, s[46:47]
	v_and_b32_e32 v12, 0x3fffffff, v8
	v_add_u32_e32 v61, v12, v61
	v_cmp_gt_i32_e64 s[38:39], -2.0, v8
	s_and_b64 s[46:47], exec, s[38:39]
	s_or_b64 s[42:43], s[46:47], s[42:43]
	s_andn2_b64 exec, exec, s[42:43]
	s_cbranch_execz .LBB770_88
.LBB770_83:                             ; =>This Loop Header: Depth=1
                                        ;     Child Loop BB770_86 Depth 2
	s_or_b64 s[38:39], s[38:39], exec
	s_cmp_eq_u32 s51, 0
	s_cbranch_scc1 .LBB770_87
; %bb.84:                               ;   in Loop: Header=BB770_83 Depth=1
	s_add_i32 s51, s51, -1
	v_lshl_or_b32 v8, s51, 8, v2
	v_lshl_add_u64 v[12:13], v[8:9], 2, s[68:69]
	global_load_dword v8, v[12:13], off sc1
	s_waitcnt vmcnt(0)
	v_cmp_gt_u32_e64 s[38:39], 2.0, v8
	s_and_saveexec_b64 s[46:47], s[38:39]
	s_cbranch_execz .LBB770_82
; %bb.85:                               ;   in Loop: Header=BB770_83 Depth=1
	s_mov_b64 s[48:49], 0
.LBB770_86:                             ;   Parent Loop BB770_83 Depth=1
                                        ; =>  This Inner Loop Header: Depth=2
	global_load_dword v8, v[12:13], off sc1
	s_waitcnt vmcnt(0)
	v_cmp_lt_u32_e64 s[38:39], s50, v8
	s_or_b64 s[48:49], s[38:39], s[48:49]
	s_andn2_b64 exec, exec, s[48:49]
	s_cbranch_execnz .LBB770_86
	s_branch .LBB770_81
.LBB770_87:                             ;   in Loop: Header=BB770_83 Depth=1
                                        ; implicit-def: $sgpr51
	s_and_b64 s[46:47], exec, s[38:39]
	s_or_b64 s[42:43], s[46:47], s[42:43]
	s_andn2_b64 exec, exec, s[42:43]
	s_cbranch_execnz .LBB770_83
.LBB770_88:
	s_or_b64 exec, exec, s[42:43]
	v_add_u32_e32 v8, v61, v34
	v_or_b32_e32 v8, 0x80000000, v8
	global_store_dword v[10:11], v8, off sc1
	global_load_dword v8, v37, s[60:61]
	v_sub_u32_e32 v9, v61, v32
	s_waitcnt vmcnt(0)
	v_add_u32_e32 v8, v9, v8
	ds_write_b32 v37, v8
.LBB770_89:
	s_or_b64 exec, exec, s[40:41]
	v_add_u32_e32 v10, v55, v29
	v_add3_u32 v8, v30, v28, v75
	v_add3_u32 v9, v33, v31, v76
	;; [unrolled: 1-line block ×15, first 2 shown]
	v_mov_b32_e32 v88, 0x400
	s_movk_i32 s42, 0x400
	v_lshl_add_u32 v11, v11, 2, v88
	v_add3_u32 v12, v73, v49, v39
	v_lshl_add_u32 v13, v13, 2, v88
	v_add3_u32 v29, v71, v44, v69
	;; [unrolled: 2-line block ×15, first 2 shown]
	v_lshl_add_u32 v30, v10, 2, v88
	s_mov_b32 s43, 0
	s_mov_b32 s46, 0
	s_movk_i32 s47, 0x1000
	v_mov_b32_e32 v9, 0
	s_movk_i32 s48, 0x800
	s_movk_i32 s49, 0xc00
	v_mov_b32_e32 v59, v2
	s_mov_b32 s50, 0
	s_branch .LBB770_91
.LBB770_90:                             ;   in Loop: Header=BB770_91 Depth=1
	s_or_b64 exec, exec, s[40:41]
	s_addk_i32 s50, 0xc000
	s_add_i32 s43, s43, 16
	s_addk_i32 s46, 0xf000
	s_cmp_eq_u32 s50, 0xffff0000
	v_add_u32_e32 v59, 0x1000, v59
	s_barrier
	s_cbranch_scc1 .LBB770_131
.LBB770_91:                             ; =>This Inner Loop Header: Depth=1
	v_add_u32_e32 v8, s46, v10
	v_cmp_gt_u32_e64 s[38:39], s47, v8
	s_and_saveexec_b64 s[40:41], s[38:39]
; %bb.92:                               ;   in Loop: Header=BB770_91 Depth=1
	v_add_u32_e32 v8, s50, v30
	ds_write_b32 v8, v5
; %bb.93:                               ;   in Loop: Header=BB770_91 Depth=1
	s_or_b64 exec, exec, s[40:41]
	v_add_u32_e32 v8, s46, v28
	v_cmp_gt_u32_e64 s[38:39], s47, v8
	s_and_saveexec_b64 s[40:41], s[38:39]
; %bb.94:                               ;   in Loop: Header=BB770_91 Depth=1
	v_add_u32_e32 v8, s50, v33
	ds_write_b32 v8, v14
; %bb.95:                               ;   in Loop: Header=BB770_91 Depth=1
	s_or_b64 exec, exec, s[40:41]
	;; [unrolled: 8-line block ×4, first 2 shown]
	v_add_u32_e32 v8, s46, v38
	v_cmp_gt_u32_e64 s[38:39], s47, v8
	s_and_saveexec_b64 s[40:41], s[38:39]
; %bb.100:                              ;   in Loop: Header=BB770_91 Depth=1
	v_add_u32_e32 v8, s50, v43
	ds_write_b32 v8, v17
; %bb.101:                              ;   in Loop: Header=BB770_91 Depth=1
	s_or_b64 exec, exec, s[40:41]
	v_add_u32_e32 v8, s46, v42
	v_cmp_gt_u32_e64 s[38:39], s47, v8
	s_and_saveexec_b64 s[40:41], s[38:39]
; %bb.102:                              ;   in Loop: Header=BB770_91 Depth=1
	v_add_u32_e32 v8, s50, v47
	ds_write_b32 v8, v16
; %bb.103:                              ;   in Loop: Header=BB770_91 Depth=1
	s_or_b64 exec, exec, s[40:41]
	;; [unrolled: 8-line block ×12, first 2 shown]
	v_cmp_gt_u32_e64 s[38:39], s3, v59
	s_waitcnt lgkmcnt(0)
	s_barrier
	s_and_saveexec_b64 s[40:41], s[38:39]
	s_cbranch_execz .LBB770_125
; %bb.124:                              ;   in Loop: Header=BB770_91 Depth=1
	ds_read_b32 v62, v37 offset:1024
	s_waitcnt lgkmcnt(0)
	v_lshrrev_b32_e32 v8, s64, v62
	v_and_b32_e32 v63, s71, v8
	v_lshlrev_b32_e32 v8, 2, v63
	ds_read_b32 v8, v8
	s_waitcnt lgkmcnt(0)
	v_add_u32_e32 v8, v59, v8
	v_lshl_add_u64 v[60:61], v[8:9], 2, s[54:55]
	global_store_dword v[60:61], v62, off
	scratch_store_dword off, v63, s43
.LBB770_125:                            ;   in Loop: Header=BB770_91 Depth=1
	s_or_b64 exec, exec, s[40:41]
	v_add_u32_e32 v8, 0x400, v59
	v_cmp_gt_u32_e64 s[38:39], s3, v8
	s_and_saveexec_b64 s[40:41], s[38:39]
	s_cbranch_execz .LBB770_127
; %bb.126:                              ;   in Loop: Header=BB770_91 Depth=1
	ds_read_b32 v62, v37 offset:5120
	s_add_i32 s38, s43, 4
	s_waitcnt lgkmcnt(0)
	v_lshrrev_b32_e32 v8, s64, v62
	v_and_b32_e32 v63, s71, v8
	v_lshlrev_b32_e32 v8, 2, v63
	ds_read_b32 v8, v8
	s_waitcnt lgkmcnt(0)
	v_add3_u32 v8, v59, v8, s42
	v_lshl_add_u64 v[60:61], v[8:9], 2, s[54:55]
	global_store_dword v[60:61], v62, off
	scratch_store_dword off, v63, s38
.LBB770_127:                            ;   in Loop: Header=BB770_91 Depth=1
	s_or_b64 exec, exec, s[40:41]
	v_add_u32_e32 v8, 0x800, v59
	v_cmp_gt_u32_e64 s[38:39], s3, v8
	s_and_saveexec_b64 s[40:41], s[38:39]
	s_cbranch_execz .LBB770_129
; %bb.128:                              ;   in Loop: Header=BB770_91 Depth=1
	ds_read_b32 v62, v37 offset:9216
	s_add_i32 s38, s43, 8
	s_waitcnt lgkmcnt(0)
	v_lshrrev_b32_e32 v8, s64, v62
	v_and_b32_e32 v63, s71, v8
	v_lshlrev_b32_e32 v8, 2, v63
	ds_read_b32 v8, v8
	s_waitcnt lgkmcnt(0)
	v_add3_u32 v8, v59, v8, s48
	v_lshl_add_u64 v[60:61], v[8:9], 2, s[54:55]
	global_store_dword v[60:61], v62, off
	scratch_store_dword off, v63, s38
.LBB770_129:                            ;   in Loop: Header=BB770_91 Depth=1
	s_or_b64 exec, exec, s[40:41]
	v_add_u32_e32 v8, 0xc00, v59
	v_cmp_gt_u32_e64 s[38:39], s3, v8
	s_and_saveexec_b64 s[40:41], s[38:39]
	s_cbranch_execz .LBB770_90
; %bb.130:                              ;   in Loop: Header=BB770_91 Depth=1
	ds_read_b32 v62, v37 offset:13312
	s_add_i32 s38, s43, 12
	s_waitcnt lgkmcnt(0)
	v_lshrrev_b32_e32 v8, s64, v62
	v_and_b32_e32 v63, s71, v8
	v_lshlrev_b32_e32 v8, 2, v63
	ds_read_b32 v8, v8
	s_waitcnt lgkmcnt(0)
	v_add3_u32 v8, v59, v8, s49
	v_lshl_add_u64 v[60:61], v[8:9], 2, s[54:55]
	global_store_dword v[60:61], v62, off
	scratch_store_dword off, v63, s38
	s_branch .LBB770_90
.LBB770_131:
	s_add_u32 s38, s56, s66
	s_addc_u32 s39, s57, s67
	v_mov_b32_e32 v5, 0
	v_lshl_add_u64 v[8:9], s[38:39], 0, v[4:5]
	v_mov_b32_e32 v7, v5
	v_lshl_add_u64 v[4:5], v[8:9], 0, v[6:7]
                                        ; implicit-def: $vgpr6
	s_and_saveexec_b64 s[38:39], vcc
	s_cbranch_execz .LBB770_147
; %bb.132:
	global_load_dword v6, v[4:5], off
	s_or_b64 exec, exec, s[38:39]
                                        ; implicit-def: $vgpr7
	s_and_saveexec_b64 s[38:39], s[4:5]
	s_cbranch_execnz .LBB770_148
.LBB770_133:
	s_or_b64 exec, exec, s[38:39]
                                        ; implicit-def: $vgpr8
	s_and_saveexec_b64 s[4:5], s[6:7]
	s_cbranch_execz .LBB770_149
.LBB770_134:
	global_load_dword v8, v[4:5], off offset:512
	s_or_b64 exec, exec, s[4:5]
                                        ; implicit-def: $vgpr9
	s_and_saveexec_b64 s[4:5], s[8:9]
	s_cbranch_execnz .LBB770_150
.LBB770_135:
	s_or_b64 exec, exec, s[4:5]
                                        ; implicit-def: $vgpr14
	s_and_saveexec_b64 s[4:5], s[10:11]
	s_cbranch_execz .LBB770_151
.LBB770_136:
	global_load_dword v14, v[4:5], off offset:1024
	s_or_b64 exec, exec, s[4:5]
                                        ; implicit-def: $vgpr15
	s_and_saveexec_b64 s[4:5], s[12:13]
	s_cbranch_execnz .LBB770_152
.LBB770_137:
	s_or_b64 exec, exec, s[4:5]
                                        ; implicit-def: $vgpr16
	s_and_saveexec_b64 s[4:5], s[14:15]
	s_cbranch_execz .LBB770_153
.LBB770_138:
	global_load_dword v16, v[4:5], off offset:1536
	s_or_b64 exec, exec, s[4:5]
                                        ; implicit-def: $vgpr17
	s_and_saveexec_b64 s[4:5], s[16:17]
	s_cbranch_execnz .LBB770_154
.LBB770_139:
	s_or_b64 exec, exec, s[4:5]
                                        ; implicit-def: $vgpr18
	s_and_saveexec_b64 s[4:5], s[18:19]
	s_cbranch_execz .LBB770_155
.LBB770_140:
	global_load_dword v18, v[4:5], off offset:2048
	s_or_b64 exec, exec, s[4:5]
                                        ; implicit-def: $vgpr19
	s_and_saveexec_b64 s[4:5], s[20:21]
	s_cbranch_execnz .LBB770_156
.LBB770_141:
	s_or_b64 exec, exec, s[4:5]
                                        ; implicit-def: $vgpr20
	s_and_saveexec_b64 s[4:5], s[22:23]
	s_cbranch_execz .LBB770_157
.LBB770_142:
	global_load_dword v20, v[4:5], off offset:2560
	s_or_b64 exec, exec, s[4:5]
                                        ; implicit-def: $vgpr21
	s_and_saveexec_b64 s[4:5], s[24:25]
	s_cbranch_execnz .LBB770_158
.LBB770_143:
	s_or_b64 exec, exec, s[4:5]
                                        ; implicit-def: $vgpr22
	s_and_saveexec_b64 s[4:5], s[26:27]
	s_cbranch_execz .LBB770_159
.LBB770_144:
	global_load_dword v22, v[4:5], off offset:3072
	s_or_b64 exec, exec, s[4:5]
                                        ; implicit-def: $vgpr23
	s_and_saveexec_b64 s[4:5], s[28:29]
	s_cbranch_execnz .LBB770_160
.LBB770_145:
	s_or_b64 exec, exec, s[4:5]
                                        ; implicit-def: $vgpr24
	s_and_saveexec_b64 s[4:5], s[30:31]
	s_cbranch_execz .LBB770_161
.LBB770_146:
	global_load_dword v24, v[4:5], off offset:3584
	s_or_b64 exec, exec, s[4:5]
                                        ; implicit-def: $vgpr25
	s_and_saveexec_b64 s[4:5], s[34:35]
	s_cbranch_execnz .LBB770_162
	s_branch .LBB770_163
.LBB770_147:
	s_or_b64 exec, exec, s[38:39]
                                        ; implicit-def: $vgpr7
	s_and_saveexec_b64 s[38:39], s[4:5]
	s_cbranch_execz .LBB770_133
.LBB770_148:
	global_load_dword v7, v[4:5], off offset:256
	s_or_b64 exec, exec, s[38:39]
                                        ; implicit-def: $vgpr8
	s_and_saveexec_b64 s[4:5], s[6:7]
	s_cbranch_execnz .LBB770_134
.LBB770_149:
	s_or_b64 exec, exec, s[4:5]
                                        ; implicit-def: $vgpr9
	s_and_saveexec_b64 s[4:5], s[8:9]
	s_cbranch_execz .LBB770_135
.LBB770_150:
	global_load_dword v9, v[4:5], off offset:768
	s_or_b64 exec, exec, s[4:5]
                                        ; implicit-def: $vgpr14
	s_and_saveexec_b64 s[4:5], s[10:11]
	s_cbranch_execnz .LBB770_136
.LBB770_151:
	s_or_b64 exec, exec, s[4:5]
                                        ; implicit-def: $vgpr15
	s_and_saveexec_b64 s[4:5], s[12:13]
	s_cbranch_execz .LBB770_137
.LBB770_152:
	global_load_dword v15, v[4:5], off offset:1280
	s_or_b64 exec, exec, s[4:5]
                                        ; implicit-def: $vgpr16
	s_and_saveexec_b64 s[4:5], s[14:15]
	s_cbranch_execnz .LBB770_138
.LBB770_153:
	s_or_b64 exec, exec, s[4:5]
                                        ; implicit-def: $vgpr17
	s_and_saveexec_b64 s[4:5], s[16:17]
	s_cbranch_execz .LBB770_139
.LBB770_154:
	global_load_dword v17, v[4:5], off offset:1792
	s_or_b64 exec, exec, s[4:5]
                                        ; implicit-def: $vgpr18
	s_and_saveexec_b64 s[4:5], s[18:19]
	s_cbranch_execnz .LBB770_140
.LBB770_155:
	s_or_b64 exec, exec, s[4:5]
                                        ; implicit-def: $vgpr19
	s_and_saveexec_b64 s[4:5], s[20:21]
	s_cbranch_execz .LBB770_141
.LBB770_156:
	global_load_dword v19, v[4:5], off offset:2304
	s_or_b64 exec, exec, s[4:5]
                                        ; implicit-def: $vgpr20
	s_and_saveexec_b64 s[4:5], s[22:23]
	s_cbranch_execnz .LBB770_142
.LBB770_157:
	s_or_b64 exec, exec, s[4:5]
                                        ; implicit-def: $vgpr21
	s_and_saveexec_b64 s[4:5], s[24:25]
	s_cbranch_execz .LBB770_143
.LBB770_158:
	global_load_dword v21, v[4:5], off offset:2816
	s_or_b64 exec, exec, s[4:5]
                                        ; implicit-def: $vgpr22
	s_and_saveexec_b64 s[4:5], s[26:27]
	s_cbranch_execnz .LBB770_144
.LBB770_159:
	s_or_b64 exec, exec, s[4:5]
                                        ; implicit-def: $vgpr23
	s_and_saveexec_b64 s[4:5], s[28:29]
	s_cbranch_execz .LBB770_145
.LBB770_160:
	global_load_dword v23, v[4:5], off offset:3328
	s_or_b64 exec, exec, s[4:5]
                                        ; implicit-def: $vgpr24
	s_and_saveexec_b64 s[4:5], s[30:31]
	s_cbranch_execnz .LBB770_146
.LBB770_161:
	s_or_b64 exec, exec, s[4:5]
                                        ; implicit-def: $vgpr25
	s_and_saveexec_b64 s[4:5], s[34:35]
	s_cbranch_execz .LBB770_163
.LBB770_162:
	global_load_dword v25, v[4:5], off offset:3840
.LBB770_163:
	s_or_b64 exec, exec, s[4:5]
	s_mov_b32 s6, 0
	s_mov_b32 s7, 0
	s_movk_i32 s8, 0x1000
	v_mov_b32_e32 v5, 0
	s_movk_i32 s9, 0x400
	s_movk_i32 s10, 0x800
	;; [unrolled: 1-line block ×3, first 2 shown]
	s_mov_b32 s12, 0
	v_mov_b32_e32 v26, v2
	s_branch .LBB770_165
.LBB770_164:                            ;   in Loop: Header=BB770_165 Depth=1
	s_or_b64 exec, exec, s[4:5]
	s_addk_i32 s12, 0xc000
	s_addk_i32 s7, 0xf000
	s_add_i32 s6, s6, 16
	s_cmp_eq_u32 s12, 0xffff0000
	v_add_u32_e32 v26, 0x1000, v26
	s_barrier
	s_cbranch_scc1 .LBB770_205
.LBB770_165:                            ; =>This Inner Loop Header: Depth=1
	v_add_u32_e32 v4, s7, v10
	v_cmp_gt_u32_e32 vcc, s8, v4
	s_and_saveexec_b64 s[4:5], vcc
	s_cbranch_execz .LBB770_167
; %bb.166:                              ;   in Loop: Header=BB770_165 Depth=1
	v_add_u32_e32 v4, s12, v30
	s_waitcnt vmcnt(0)
	ds_write_b32 v4, v6
.LBB770_167:                            ;   in Loop: Header=BB770_165 Depth=1
	s_or_b64 exec, exec, s[4:5]
	v_add_u32_e32 v4, s7, v28
	v_cmp_gt_u32_e32 vcc, s8, v4
	s_and_saveexec_b64 s[4:5], vcc
	s_cbranch_execz .LBB770_169
; %bb.168:                              ;   in Loop: Header=BB770_165 Depth=1
	v_add_u32_e32 v4, s12, v33
	s_waitcnt vmcnt(0)
	ds_write_b32 v4, v7
.LBB770_169:                            ;   in Loop: Header=BB770_165 Depth=1
	s_or_b64 exec, exec, s[4:5]
	;; [unrolled: 10-line block ×16, first 2 shown]
	v_cmp_gt_u32_e32 vcc, s3, v26
	s_waitcnt lgkmcnt(0)
	s_barrier
	s_and_saveexec_b64 s[4:5], vcc
	s_cbranch_execz .LBB770_199
; %bb.198:                              ;   in Loop: Header=BB770_165 Depth=1
	scratch_load_dword v4, off, s6
	s_waitcnt vmcnt(0)
	v_lshlrev_b32_e32 v4, 2, v4
	ds_read_b32 v4, v4
	ds_read_b32 v27, v37 offset:1024
	s_waitcnt lgkmcnt(1)
	v_add_u32_e32 v4, v26, v4
	v_lshl_add_u64 v[60:61], v[4:5], 2, s[58:59]
	s_waitcnt lgkmcnt(0)
	global_store_dword v[60:61], v27, off
.LBB770_199:                            ;   in Loop: Header=BB770_165 Depth=1
	s_or_b64 exec, exec, s[4:5]
	v_add_u32_e32 v4, 0x400, v26
	v_cmp_gt_u32_e32 vcc, s3, v4
	s_and_saveexec_b64 s[4:5], vcc
	s_cbranch_execz .LBB770_201
; %bb.200:                              ;   in Loop: Header=BB770_165 Depth=1
	s_add_i32 s13, s6, 4
	scratch_load_dword v4, off, s13
	s_waitcnt vmcnt(0)
	v_lshlrev_b32_e32 v4, 2, v4
	ds_read_b32 v4, v4
	ds_read_b32 v27, v37 offset:5120
	s_waitcnt lgkmcnt(1)
	v_add3_u32 v4, v26, v4, s9
	v_lshl_add_u64 v[60:61], v[4:5], 2, s[58:59]
	s_waitcnt lgkmcnt(0)
	global_store_dword v[60:61], v27, off
.LBB770_201:                            ;   in Loop: Header=BB770_165 Depth=1
	s_or_b64 exec, exec, s[4:5]
	v_add_u32_e32 v4, 0x800, v26
	v_cmp_gt_u32_e32 vcc, s3, v4
	s_and_saveexec_b64 s[4:5], vcc
	s_cbranch_execz .LBB770_203
; %bb.202:                              ;   in Loop: Header=BB770_165 Depth=1
	s_add_i32 s13, s6, 8
	scratch_load_dword v4, off, s13
	s_waitcnt vmcnt(0)
	v_lshlrev_b32_e32 v4, 2, v4
	ds_read_b32 v4, v4
	ds_read_b32 v27, v37 offset:9216
	s_waitcnt lgkmcnt(1)
	v_add3_u32 v4, v26, v4, s10
	v_lshl_add_u64 v[60:61], v[4:5], 2, s[58:59]
	s_waitcnt lgkmcnt(0)
	global_store_dword v[60:61], v27, off
.LBB770_203:                            ;   in Loop: Header=BB770_165 Depth=1
	s_or_b64 exec, exec, s[4:5]
	v_add_u32_e32 v4, 0xc00, v26
	v_cmp_gt_u32_e32 vcc, s3, v4
	s_and_saveexec_b64 s[4:5], vcc
	s_cbranch_execz .LBB770_164
; %bb.204:                              ;   in Loop: Header=BB770_165 Depth=1
	s_add_i32 s13, s6, 12
	scratch_load_dword v4, off, s13
	s_waitcnt vmcnt(0)
	v_lshlrev_b32_e32 v4, 2, v4
	ds_read_b32 v4, v4
	ds_read_b32 v27, v37 offset:13312
	s_waitcnt lgkmcnt(1)
	v_add3_u32 v4, v26, v4, s11
	v_lshl_add_u64 v[60:61], v[4:5], 2, s[58:59]
	s_waitcnt lgkmcnt(0)
	global_store_dword v[60:61], v27, off
	s_branch .LBB770_164
.LBB770_205:
	s_add_i32 s70, s70, -1
	s_cmp_eq_u32 s33, s70
	s_cselect_b64 s[4:5], -1, 0
	s_xor_b64 s[6:7], s[36:37], -1
	s_and_b64 s[6:7], s[6:7], s[4:5]
	s_and_saveexec_b64 s[4:5], s[6:7]
	s_cbranch_execz .LBB770_207
; %bb.206:
	ds_read_b32 v4, v37
	s_waitcnt lgkmcnt(0)
	v_add3_u32 v4, v32, v34, v4
	global_store_dword v37, v4, s[62:63]
.LBB770_207:
	s_or_b64 exec, exec, s[4:5]
	s_mov_b64 s[4:5], 0
.LBB770_208:
	s_and_b64 vcc, exec, s[4:5]
	s_cbranch_vccz .LBB770_331
; %bb.209:
	s_lshl_b32 s4, s33, 14
	s_mov_b32 s5, 0
	s_lshl_b64 s[8:9], s[4:5], 2
	v_mbcnt_hi_u32_b32 v10, -1, v3
	s_add_u32 s4, s52, s8
	v_and_b32_e32 v3, 63, v10
	s_waitcnt vmcnt(0)
	v_and_b32_e32 v6, 0x3c00, v1
	v_mov_b32_e32 v1, 0
	s_addc_u32 s5, s53, s9
	v_lshlrev_b32_e32 v4, 2, v3
	v_mov_b32_e32 v5, v1
	v_lshl_add_u64 v[8:9], s[4:5], 0, v[4:5]
	v_lshlrev_b32_e32 v6, 2, v6
	v_mov_b32_e32 v7, v1
	v_lshl_add_u64 v[8:9], v[8:9], 0, v[6:7]
	global_load_dword v3, v[8:9], off
	s_load_dword s3, s[0:1], 0x64
	s_load_dword s12, s[0:1], 0x58
	s_add_u32 s0, s0, 0x58
	s_addc_u32 s1, s1, 0
	v_mul_u32_u24_e32 v11, 20, v2
	s_waitcnt lgkmcnt(0)
	s_lshr_b32 s3, s3, 16
	s_cmp_lt_u32 s2, s12
	s_cselect_b32 s2, 12, 18
	s_add_u32 s0, s0, s2
	s_addc_u32 s1, s1, 0
	global_load_ushort v25, v1, s[0:1]
	ds_write2_b32 v11, v1, v1 offset0:16 offset1:17
	ds_write2_b32 v11, v1, v1 offset0:18 offset1:19
	ds_write_b32 v11, v1 offset:80
	global_load_dword v5, v[8:9], off offset:256
	global_load_dword v7, v[8:9], off offset:512
	;; [unrolled: 1-line block ×15, first 2 shown]
	v_bfe_u32 v27, v0, 10, 10
	v_bfe_u32 v0, v0, 20, 10
	v_mad_u32_u24 v32, v0, s3, v27
	s_lshl_b32 s0, -1, s65
	v_mov_b32_e32 v26, v1
	v_mov_b32_e32 v28, v1
	s_not_b32 s13, s0
	v_mov_b32_e32 v30, v1
	s_movk_i32 s6, 0x44
	s_waitcnt lgkmcnt(0)
	s_barrier
	s_waitcnt vmcnt(16)
	; wave barrier
	v_lshrrev_b32_e32 v0, s64, v3
	v_bitop3_b32 v33, v0, s0, v0 bitop3:0x30
	v_and_b32_e32 v0, 1, v33
	v_lshlrev_b32_e32 v27, 30, v33
	v_lshlrev_b32_e32 v29, 29, v33
	v_lshl_add_u64 v[8:9], v[0:1], 0, -1
	v_cmp_ne_u32_e32 vcc, 0, v0
	v_not_b32_e32 v0, v27
	v_lshlrev_b32_e32 v31, 28, v33
	v_cmp_gt_i64_e64 s[0:1], 0, v[26:27]
	v_cmp_gt_i64_e64 s[2:3], 0, v[28:29]
	v_not_b32_e32 v28, v29
	v_xor_b32_e32 v9, vcc_hi, v9
	v_ashrrev_i32_e32 v0, 31, v0
	v_not_b32_e32 v29, v31
	s_waitcnt vmcnt(15)
	v_mad_u64_u32 v[26:27], s[10:11], v32, v25, v[2:3]
	v_xor_b32_e32 v8, vcc_lo, v8
	v_ashrrev_i32_e32 v25, 31, v28
	v_and_b32_e32 v9, exec_hi, v9
	v_xor_b32_e32 v28, s1, v0
	v_cmp_gt_i64_e64 s[4:5], 0, v[30:31]
	v_ashrrev_i32_e32 v27, 31, v29
	v_and_b32_e32 v8, exec_lo, v8
	v_xor_b32_e32 v0, s0, v0
	v_xor_b32_e32 v29, s3, v25
	v_and_b32_e32 v9, v9, v28
	v_xor_b32_e32 v25, s2, v25
	v_xor_b32_e32 v30, s5, v27
	v_and_b32_e32 v0, v8, v0
	v_and_b32_e32 v8, v9, v29
	;; [unrolled: 1-line block ×4, first 2 shown]
	v_lshlrev_b32_e32 v9, 27, v33
	v_mov_b32_e32 v8, v1
	v_cmp_gt_i64_e32 vcc, 0, v[8:9]
	v_not_b32_e32 v8, v9
	v_xor_b32_e32 v27, s4, v27
	v_ashrrev_i32_e32 v8, 31, v8
	v_and_b32_e32 v0, v0, v27
	v_xor_b32_e32 v9, vcc_hi, v8
	v_xor_b32_e32 v8, vcc_lo, v8
	v_and_b32_e32 v25, v25, v9
	v_and_b32_e32 v0, v0, v8
	v_lshlrev_b32_e32 v9, 26, v33
	v_mov_b32_e32 v8, v1
	v_cmp_gt_i64_e32 vcc, 0, v[8:9]
	v_not_b32_e32 v8, v9
	v_ashrrev_i32_e32 v8, 31, v8
	v_xor_b32_e32 v9, vcc_hi, v8
	v_xor_b32_e32 v8, vcc_lo, v8
	v_and_b32_e32 v25, v25, v9
	v_and_b32_e32 v0, v0, v8
	v_lshlrev_b32_e32 v9, 25, v33
	v_mov_b32_e32 v8, v1
	v_cmp_gt_i64_e32 vcc, 0, v[8:9]
	v_not_b32_e32 v8, v9
	v_ashrrev_i32_e32 v8, 31, v8
	;; [unrolled: 9-line block ×3, first 2 shown]
	v_xor_b32_e32 v9, vcc_hi, v8
	v_xor_b32_e32 v8, vcc_lo, v8
	v_and_b32_e32 v8, v0, v8
	v_lshrrev_b32_e32 v26, 4, v26
	v_and_b32_e32 v9, v25, v9
	v_mbcnt_lo_u32_b32 v0, v8, 0
	v_and_b32_e32 v36, 0xffffffc, v26
	v_mbcnt_hi_u32_b32 v26, v9, v0
	v_mul_lo_u32 v34, v33, s6
	v_cmp_eq_u32_e32 vcc, 0, v26
	v_cmp_ne_u64_e64 s[0:1], 0, v[8:9]
	s_and_b64 s[2:3], s[0:1], vcc
	v_add_u32_e32 v29, v36, v34
	s_and_saveexec_b64 s[0:1], s[2:3]
; %bb.210:
	v_bcnt_u32_b32 v0, v8, 0
	v_bcnt_u32_b32 v0, v9, v0
	ds_write_b32 v29, v0 offset:64
; %bb.211:
	s_or_b64 exec, exec, s[0:1]
	s_waitcnt vmcnt(14)
	v_lshrrev_b32_e32 v0, s64, v5
	v_and_b32_e32 v27, s13, v0
	v_mul_lo_u32 v0, v27, s6
	v_add_u32_e32 v31, v36, v0
	v_and_b32_e32 v0, 1, v27
	v_lshl_add_u64 v[8:9], v[0:1], 0, -1
	v_cmp_ne_u32_e32 vcc, 0, v0
	; wave barrier
	s_nop 1
	v_xor_b32_e32 v8, vcc_lo, v8
	v_xor_b32_e32 v0, vcc_hi, v9
	v_and_b32_e32 v28, exec_lo, v8
	v_lshlrev_b32_e32 v9, 30, v27
	v_mov_b32_e32 v8, v1
	v_cmp_gt_i64_e32 vcc, 0, v[8:9]
	v_not_b32_e32 v8, v9
	v_ashrrev_i32_e32 v8, 31, v8
	v_and_b32_e32 v0, exec_hi, v0
	v_xor_b32_e32 v9, vcc_hi, v8
	v_xor_b32_e32 v8, vcc_lo, v8
	v_and_b32_e32 v0, v0, v9
	v_and_b32_e32 v28, v28, v8
	v_lshlrev_b32_e32 v9, 29, v27
	v_mov_b32_e32 v8, v1
	v_cmp_gt_i64_e32 vcc, 0, v[8:9]
	v_not_b32_e32 v8, v9
	v_ashrrev_i32_e32 v8, 31, v8
	v_xor_b32_e32 v9, vcc_hi, v8
	v_xor_b32_e32 v8, vcc_lo, v8
	v_and_b32_e32 v0, v0, v9
	v_and_b32_e32 v28, v28, v8
	v_lshlrev_b32_e32 v9, 28, v27
	v_mov_b32_e32 v8, v1
	v_cmp_gt_i64_e32 vcc, 0, v[8:9]
	v_not_b32_e32 v8, v9
	v_ashrrev_i32_e32 v8, 31, v8
	;; [unrolled: 9-line block ×5, first 2 shown]
	v_xor_b32_e32 v9, vcc_hi, v8
	v_xor_b32_e32 v8, vcc_lo, v8
	v_and_b32_e32 v0, v0, v9
	v_lshlrev_b32_e32 v9, 24, v27
	v_and_b32_e32 v28, v28, v8
	v_mov_b32_e32 v8, v1
	v_not_b32_e32 v1, v9
	v_cmp_gt_i64_e32 vcc, 0, v[8:9]
	v_ashrrev_i32_e32 v1, 31, v1
	ds_read_b32 v25, v31 offset:64
	v_xor_b32_e32 v8, vcc_hi, v1
	v_xor_b32_e32 v9, vcc_lo, v1
	v_and_b32_e32 v1, v0, v8
	v_and_b32_e32 v0, v28, v9
	v_mbcnt_lo_u32_b32 v8, v0, 0
	v_mbcnt_hi_u32_b32 v27, v1, v8
	v_cmp_eq_u32_e32 vcc, 0, v27
	v_cmp_ne_u64_e64 s[0:1], 0, v[0:1]
	s_and_b64 s[2:3], s[0:1], vcc
	; wave barrier
	s_and_saveexec_b64 s[0:1], s[2:3]
	s_cbranch_execz .LBB770_213
; %bb.212:
	v_bcnt_u32_b32 v0, v0, 0
	v_bcnt_u32_b32 v0, v1, v0
	s_waitcnt lgkmcnt(0)
	v_add_u32_e32 v0, v25, v0
	ds_write_b32 v31, v0 offset:64
.LBB770_213:
	s_or_b64 exec, exec, s[0:1]
	s_waitcnt vmcnt(13)
	v_lshrrev_b32_e32 v0, s64, v7
	v_and_b32_e32 v30, s13, v0
	s_movk_i32 s2, 0x44
	v_mul_lo_u32 v0, v30, s2
	v_add_u32_e32 v34, v36, v0
	v_and_b32_e32 v0, 1, v30
	v_mov_b32_e32 v1, 0
	v_lshl_add_u64 v[8:9], v[0:1], 0, -1
	v_cmp_ne_u32_e32 vcc, 0, v0
	; wave barrier
	s_nop 1
	v_xor_b32_e32 v8, vcc_lo, v8
	v_xor_b32_e32 v0, vcc_hi, v9
	v_and_b32_e32 v32, exec_lo, v8
	v_lshlrev_b32_e32 v9, 30, v30
	v_mov_b32_e32 v8, v1
	v_cmp_gt_i64_e32 vcc, 0, v[8:9]
	v_not_b32_e32 v8, v9
	v_ashrrev_i32_e32 v8, 31, v8
	v_and_b32_e32 v0, exec_hi, v0
	v_xor_b32_e32 v9, vcc_hi, v8
	v_xor_b32_e32 v8, vcc_lo, v8
	v_and_b32_e32 v0, v0, v9
	v_and_b32_e32 v32, v32, v8
	v_lshlrev_b32_e32 v9, 29, v30
	v_mov_b32_e32 v8, v1
	v_cmp_gt_i64_e32 vcc, 0, v[8:9]
	v_not_b32_e32 v8, v9
	v_ashrrev_i32_e32 v8, 31, v8
	v_xor_b32_e32 v9, vcc_hi, v8
	v_xor_b32_e32 v8, vcc_lo, v8
	v_and_b32_e32 v0, v0, v9
	v_and_b32_e32 v32, v32, v8
	v_lshlrev_b32_e32 v9, 28, v30
	v_mov_b32_e32 v8, v1
	v_cmp_gt_i64_e32 vcc, 0, v[8:9]
	v_not_b32_e32 v8, v9
	v_ashrrev_i32_e32 v8, 31, v8
	;; [unrolled: 9-line block ×6, first 2 shown]
	v_xor_b32_e32 v9, vcc_hi, v8
	v_xor_b32_e32 v8, vcc_lo, v8
	ds_read_b32 v28, v34 offset:64
	v_and_b32_e32 v8, v32, v8
	v_and_b32_e32 v9, v0, v9
	v_mbcnt_lo_u32_b32 v0, v8, 0
	v_mbcnt_hi_u32_b32 v30, v9, v0
	v_cmp_eq_u32_e32 vcc, 0, v30
	v_cmp_ne_u64_e64 s[0:1], 0, v[8:9]
	s_and_b64 s[4:5], s[0:1], vcc
	; wave barrier
	s_and_saveexec_b64 s[0:1], s[4:5]
	s_cbranch_execz .LBB770_215
; %bb.214:
	v_bcnt_u32_b32 v0, v8, 0
	v_bcnt_u32_b32 v0, v9, v0
	s_waitcnt lgkmcnt(0)
	v_add_u32_e32 v0, v28, v0
	ds_write_b32 v34, v0 offset:64
.LBB770_215:
	s_or_b64 exec, exec, s[0:1]
	s_waitcnt vmcnt(12)
	v_lshrrev_b32_e32 v0, s64, v12
	v_and_b32_e32 v33, s13, v0
	v_mul_lo_u32 v0, v33, s2
	v_add_u32_e32 v38, v36, v0
	v_and_b32_e32 v0, 1, v33
	v_lshl_add_u64 v[8:9], v[0:1], 0, -1
	v_cmp_ne_u32_e32 vcc, 0, v0
	; wave barrier
	s_nop 1
	v_xor_b32_e32 v8, vcc_lo, v8
	v_xor_b32_e32 v0, vcc_hi, v9
	v_and_b32_e32 v35, exec_lo, v8
	v_lshlrev_b32_e32 v9, 30, v33
	v_mov_b32_e32 v8, v1
	v_cmp_gt_i64_e32 vcc, 0, v[8:9]
	v_not_b32_e32 v8, v9
	v_ashrrev_i32_e32 v8, 31, v8
	v_and_b32_e32 v0, exec_hi, v0
	v_xor_b32_e32 v9, vcc_hi, v8
	v_xor_b32_e32 v8, vcc_lo, v8
	v_and_b32_e32 v0, v0, v9
	v_and_b32_e32 v35, v35, v8
	v_lshlrev_b32_e32 v9, 29, v33
	v_mov_b32_e32 v8, v1
	v_cmp_gt_i64_e32 vcc, 0, v[8:9]
	v_not_b32_e32 v8, v9
	v_ashrrev_i32_e32 v8, 31, v8
	v_xor_b32_e32 v9, vcc_hi, v8
	v_xor_b32_e32 v8, vcc_lo, v8
	v_and_b32_e32 v0, v0, v9
	v_and_b32_e32 v35, v35, v8
	v_lshlrev_b32_e32 v9, 28, v33
	v_mov_b32_e32 v8, v1
	v_cmp_gt_i64_e32 vcc, 0, v[8:9]
	v_not_b32_e32 v8, v9
	v_ashrrev_i32_e32 v8, 31, v8
	;; [unrolled: 9-line block ×5, first 2 shown]
	v_xor_b32_e32 v9, vcc_hi, v8
	v_xor_b32_e32 v8, vcc_lo, v8
	v_and_b32_e32 v0, v0, v9
	v_lshlrev_b32_e32 v9, 24, v33
	v_and_b32_e32 v35, v35, v8
	v_mov_b32_e32 v8, v1
	v_not_b32_e32 v1, v9
	v_cmp_gt_i64_e32 vcc, 0, v[8:9]
	v_ashrrev_i32_e32 v1, 31, v1
	ds_read_b32 v32, v38 offset:64
	v_xor_b32_e32 v8, vcc_hi, v1
	v_xor_b32_e32 v9, vcc_lo, v1
	v_and_b32_e32 v1, v0, v8
	v_and_b32_e32 v0, v35, v9
	v_mbcnt_lo_u32_b32 v8, v0, 0
	v_mbcnt_hi_u32_b32 v33, v1, v8
	v_cmp_eq_u32_e32 vcc, 0, v33
	v_cmp_ne_u64_e64 s[0:1], 0, v[0:1]
	s_and_b64 s[2:3], s[0:1], vcc
	; wave barrier
	s_and_saveexec_b64 s[0:1], s[2:3]
	s_cbranch_execz .LBB770_217
; %bb.216:
	v_bcnt_u32_b32 v0, v0, 0
	v_bcnt_u32_b32 v0, v1, v0
	s_waitcnt lgkmcnt(0)
	v_add_u32_e32 v0, v32, v0
	ds_write_b32 v38, v0 offset:64
.LBB770_217:
	s_or_b64 exec, exec, s[0:1]
	s_waitcnt vmcnt(11)
	v_lshrrev_b32_e32 v0, s64, v13
	v_and_b32_e32 v37, s13, v0
	s_movk_i32 s2, 0x44
	v_mul_lo_u32 v0, v37, s2
	v_add_u32_e32 v41, v36, v0
	v_and_b32_e32 v0, 1, v37
	v_mov_b32_e32 v1, 0
	v_lshl_add_u64 v[8:9], v[0:1], 0, -1
	v_cmp_ne_u32_e32 vcc, 0, v0
	; wave barrier
	s_nop 1
	v_xor_b32_e32 v8, vcc_lo, v8
	v_xor_b32_e32 v0, vcc_hi, v9
	v_and_b32_e32 v39, exec_lo, v8
	v_lshlrev_b32_e32 v9, 30, v37
	v_mov_b32_e32 v8, v1
	v_cmp_gt_i64_e32 vcc, 0, v[8:9]
	v_not_b32_e32 v8, v9
	v_ashrrev_i32_e32 v8, 31, v8
	v_and_b32_e32 v0, exec_hi, v0
	v_xor_b32_e32 v9, vcc_hi, v8
	v_xor_b32_e32 v8, vcc_lo, v8
	v_and_b32_e32 v0, v0, v9
	v_and_b32_e32 v39, v39, v8
	v_lshlrev_b32_e32 v9, 29, v37
	v_mov_b32_e32 v8, v1
	v_cmp_gt_i64_e32 vcc, 0, v[8:9]
	v_not_b32_e32 v8, v9
	v_ashrrev_i32_e32 v8, 31, v8
	v_xor_b32_e32 v9, vcc_hi, v8
	v_xor_b32_e32 v8, vcc_lo, v8
	v_and_b32_e32 v0, v0, v9
	v_and_b32_e32 v39, v39, v8
	v_lshlrev_b32_e32 v9, 28, v37
	v_mov_b32_e32 v8, v1
	v_cmp_gt_i64_e32 vcc, 0, v[8:9]
	v_not_b32_e32 v8, v9
	v_ashrrev_i32_e32 v8, 31, v8
	;; [unrolled: 9-line block ×6, first 2 shown]
	v_xor_b32_e32 v9, vcc_hi, v8
	v_xor_b32_e32 v8, vcc_lo, v8
	ds_read_b32 v35, v41 offset:64
	v_and_b32_e32 v8, v39, v8
	v_and_b32_e32 v9, v0, v9
	v_mbcnt_lo_u32_b32 v0, v8, 0
	v_mbcnt_hi_u32_b32 v37, v9, v0
	v_cmp_eq_u32_e32 vcc, 0, v37
	v_cmp_ne_u64_e64 s[0:1], 0, v[8:9]
	s_and_b64 s[4:5], s[0:1], vcc
	; wave barrier
	s_and_saveexec_b64 s[0:1], s[4:5]
	s_cbranch_execz .LBB770_219
; %bb.218:
	v_bcnt_u32_b32 v0, v8, 0
	v_bcnt_u32_b32 v0, v9, v0
	s_waitcnt lgkmcnt(0)
	v_add_u32_e32 v0, v35, v0
	ds_write_b32 v41, v0 offset:64
.LBB770_219:
	s_or_b64 exec, exec, s[0:1]
	s_waitcnt vmcnt(10)
	v_lshrrev_b32_e32 v0, s64, v14
	v_and_b32_e32 v40, s13, v0
	v_mul_lo_u32 v0, v40, s2
	v_add_u32_e32 v44, v36, v0
	v_and_b32_e32 v0, 1, v40
	v_lshl_add_u64 v[8:9], v[0:1], 0, -1
	v_cmp_ne_u32_e32 vcc, 0, v0
	; wave barrier
	s_nop 1
	v_xor_b32_e32 v8, vcc_lo, v8
	v_xor_b32_e32 v0, vcc_hi, v9
	v_and_b32_e32 v42, exec_lo, v8
	v_lshlrev_b32_e32 v9, 30, v40
	v_mov_b32_e32 v8, v1
	v_cmp_gt_i64_e32 vcc, 0, v[8:9]
	v_not_b32_e32 v8, v9
	v_ashrrev_i32_e32 v8, 31, v8
	v_and_b32_e32 v0, exec_hi, v0
	v_xor_b32_e32 v9, vcc_hi, v8
	v_xor_b32_e32 v8, vcc_lo, v8
	v_and_b32_e32 v0, v0, v9
	v_and_b32_e32 v42, v42, v8
	v_lshlrev_b32_e32 v9, 29, v40
	v_mov_b32_e32 v8, v1
	v_cmp_gt_i64_e32 vcc, 0, v[8:9]
	v_not_b32_e32 v8, v9
	v_ashrrev_i32_e32 v8, 31, v8
	v_xor_b32_e32 v9, vcc_hi, v8
	v_xor_b32_e32 v8, vcc_lo, v8
	v_and_b32_e32 v0, v0, v9
	v_and_b32_e32 v42, v42, v8
	v_lshlrev_b32_e32 v9, 28, v40
	v_mov_b32_e32 v8, v1
	v_cmp_gt_i64_e32 vcc, 0, v[8:9]
	v_not_b32_e32 v8, v9
	v_ashrrev_i32_e32 v8, 31, v8
	;; [unrolled: 9-line block ×5, first 2 shown]
	v_xor_b32_e32 v9, vcc_hi, v8
	v_xor_b32_e32 v8, vcc_lo, v8
	v_and_b32_e32 v0, v0, v9
	v_lshlrev_b32_e32 v9, 24, v40
	v_and_b32_e32 v42, v42, v8
	v_mov_b32_e32 v8, v1
	v_not_b32_e32 v1, v9
	v_cmp_gt_i64_e32 vcc, 0, v[8:9]
	v_ashrrev_i32_e32 v1, 31, v1
	ds_read_b32 v39, v44 offset:64
	v_xor_b32_e32 v8, vcc_hi, v1
	v_xor_b32_e32 v9, vcc_lo, v1
	v_and_b32_e32 v1, v0, v8
	v_and_b32_e32 v0, v42, v9
	v_mbcnt_lo_u32_b32 v8, v0, 0
	v_mbcnt_hi_u32_b32 v40, v1, v8
	v_cmp_eq_u32_e32 vcc, 0, v40
	v_cmp_ne_u64_e64 s[0:1], 0, v[0:1]
	s_and_b64 s[2:3], s[0:1], vcc
	; wave barrier
	s_and_saveexec_b64 s[0:1], s[2:3]
	s_cbranch_execz .LBB770_221
; %bb.220:
	v_bcnt_u32_b32 v0, v0, 0
	v_bcnt_u32_b32 v0, v1, v0
	s_waitcnt lgkmcnt(0)
	v_add_u32_e32 v0, v39, v0
	ds_write_b32 v44, v0 offset:64
.LBB770_221:
	s_or_b64 exec, exec, s[0:1]
	s_waitcnt vmcnt(9)
	v_lshrrev_b32_e32 v0, s64, v15
	v_and_b32_e32 v43, s13, v0
	s_movk_i32 s2, 0x44
	v_mul_lo_u32 v0, v43, s2
	v_add_u32_e32 v47, v36, v0
	v_and_b32_e32 v0, 1, v43
	v_mov_b32_e32 v1, 0
	v_lshl_add_u64 v[8:9], v[0:1], 0, -1
	v_cmp_ne_u32_e32 vcc, 0, v0
	; wave barrier
	s_nop 1
	v_xor_b32_e32 v8, vcc_lo, v8
	v_xor_b32_e32 v0, vcc_hi, v9
	v_and_b32_e32 v45, exec_lo, v8
	v_lshlrev_b32_e32 v9, 30, v43
	v_mov_b32_e32 v8, v1
	v_cmp_gt_i64_e32 vcc, 0, v[8:9]
	v_not_b32_e32 v8, v9
	v_ashrrev_i32_e32 v8, 31, v8
	v_and_b32_e32 v0, exec_hi, v0
	v_xor_b32_e32 v9, vcc_hi, v8
	v_xor_b32_e32 v8, vcc_lo, v8
	v_and_b32_e32 v0, v0, v9
	v_and_b32_e32 v45, v45, v8
	v_lshlrev_b32_e32 v9, 29, v43
	v_mov_b32_e32 v8, v1
	v_cmp_gt_i64_e32 vcc, 0, v[8:9]
	v_not_b32_e32 v8, v9
	v_ashrrev_i32_e32 v8, 31, v8
	v_xor_b32_e32 v9, vcc_hi, v8
	v_xor_b32_e32 v8, vcc_lo, v8
	v_and_b32_e32 v0, v0, v9
	v_and_b32_e32 v45, v45, v8
	v_lshlrev_b32_e32 v9, 28, v43
	v_mov_b32_e32 v8, v1
	v_cmp_gt_i64_e32 vcc, 0, v[8:9]
	v_not_b32_e32 v8, v9
	v_ashrrev_i32_e32 v8, 31, v8
	;; [unrolled: 9-line block ×6, first 2 shown]
	v_xor_b32_e32 v9, vcc_hi, v8
	v_xor_b32_e32 v8, vcc_lo, v8
	ds_read_b32 v42, v47 offset:64
	v_and_b32_e32 v8, v45, v8
	v_and_b32_e32 v9, v0, v9
	v_mbcnt_lo_u32_b32 v0, v8, 0
	v_mbcnt_hi_u32_b32 v43, v9, v0
	v_cmp_eq_u32_e32 vcc, 0, v43
	v_cmp_ne_u64_e64 s[0:1], 0, v[8:9]
	s_and_b64 s[4:5], s[0:1], vcc
	; wave barrier
	s_and_saveexec_b64 s[0:1], s[4:5]
	s_cbranch_execz .LBB770_223
; %bb.222:
	v_bcnt_u32_b32 v0, v8, 0
	v_bcnt_u32_b32 v0, v9, v0
	s_waitcnt lgkmcnt(0)
	v_add_u32_e32 v0, v42, v0
	ds_write_b32 v47, v0 offset:64
.LBB770_223:
	s_or_b64 exec, exec, s[0:1]
	s_waitcnt vmcnt(8)
	v_lshrrev_b32_e32 v0, s64, v16
	v_and_b32_e32 v46, s13, v0
	v_mul_lo_u32 v0, v46, s2
	v_add_u32_e32 v49, v36, v0
	v_and_b32_e32 v0, 1, v46
	v_lshl_add_u64 v[8:9], v[0:1], 0, -1
	v_cmp_ne_u32_e32 vcc, 0, v0
	; wave barrier
	s_nop 1
	v_xor_b32_e32 v8, vcc_lo, v8
	v_xor_b32_e32 v0, vcc_hi, v9
	v_and_b32_e32 v48, exec_lo, v8
	v_lshlrev_b32_e32 v9, 30, v46
	v_mov_b32_e32 v8, v1
	v_cmp_gt_i64_e32 vcc, 0, v[8:9]
	v_not_b32_e32 v8, v9
	v_ashrrev_i32_e32 v8, 31, v8
	v_and_b32_e32 v0, exec_hi, v0
	v_xor_b32_e32 v9, vcc_hi, v8
	v_xor_b32_e32 v8, vcc_lo, v8
	v_and_b32_e32 v0, v0, v9
	v_and_b32_e32 v48, v48, v8
	v_lshlrev_b32_e32 v9, 29, v46
	v_mov_b32_e32 v8, v1
	v_cmp_gt_i64_e32 vcc, 0, v[8:9]
	v_not_b32_e32 v8, v9
	v_ashrrev_i32_e32 v8, 31, v8
	v_xor_b32_e32 v9, vcc_hi, v8
	v_xor_b32_e32 v8, vcc_lo, v8
	v_and_b32_e32 v0, v0, v9
	v_and_b32_e32 v48, v48, v8
	v_lshlrev_b32_e32 v9, 28, v46
	v_mov_b32_e32 v8, v1
	v_cmp_gt_i64_e32 vcc, 0, v[8:9]
	v_not_b32_e32 v8, v9
	v_ashrrev_i32_e32 v8, 31, v8
	;; [unrolled: 9-line block ×5, first 2 shown]
	v_xor_b32_e32 v9, vcc_hi, v8
	v_xor_b32_e32 v8, vcc_lo, v8
	v_and_b32_e32 v0, v0, v9
	v_lshlrev_b32_e32 v9, 24, v46
	v_and_b32_e32 v48, v48, v8
	v_mov_b32_e32 v8, v1
	v_not_b32_e32 v1, v9
	v_cmp_gt_i64_e32 vcc, 0, v[8:9]
	v_ashrrev_i32_e32 v1, 31, v1
	ds_read_b32 v45, v49 offset:64
	v_xor_b32_e32 v8, vcc_hi, v1
	v_xor_b32_e32 v9, vcc_lo, v1
	v_and_b32_e32 v1, v0, v8
	v_and_b32_e32 v0, v48, v9
	v_mbcnt_lo_u32_b32 v8, v0, 0
	v_mbcnt_hi_u32_b32 v46, v1, v8
	v_cmp_eq_u32_e32 vcc, 0, v46
	v_cmp_ne_u64_e64 s[0:1], 0, v[0:1]
	s_and_b64 s[2:3], s[0:1], vcc
	; wave barrier
	s_and_saveexec_b64 s[0:1], s[2:3]
	s_cbranch_execz .LBB770_225
; %bb.224:
	v_bcnt_u32_b32 v0, v0, 0
	v_bcnt_u32_b32 v0, v1, v0
	s_waitcnt lgkmcnt(0)
	v_add_u32_e32 v0, v45, v0
	ds_write_b32 v49, v0 offset:64
.LBB770_225:
	s_or_b64 exec, exec, s[0:1]
	s_waitcnt vmcnt(7)
	v_lshrrev_b32_e32 v0, s64, v17
	v_and_b32_e32 v50, s13, v0
	s_movk_i32 s2, 0x44
	v_mul_lo_u32 v0, v50, s2
	v_add_u32_e32 v52, v36, v0
	v_and_b32_e32 v0, 1, v50
	v_mov_b32_e32 v1, 0
	v_lshl_add_u64 v[8:9], v[0:1], 0, -1
	v_cmp_ne_u32_e32 vcc, 0, v0
	; wave barrier
	s_nop 1
	v_xor_b32_e32 v8, vcc_lo, v8
	v_xor_b32_e32 v0, vcc_hi, v9
	v_and_b32_e32 v51, exec_lo, v8
	v_lshlrev_b32_e32 v9, 30, v50
	v_mov_b32_e32 v8, v1
	v_cmp_gt_i64_e32 vcc, 0, v[8:9]
	v_not_b32_e32 v8, v9
	v_ashrrev_i32_e32 v8, 31, v8
	v_and_b32_e32 v0, exec_hi, v0
	v_xor_b32_e32 v9, vcc_hi, v8
	v_xor_b32_e32 v8, vcc_lo, v8
	v_and_b32_e32 v0, v0, v9
	v_and_b32_e32 v51, v51, v8
	v_lshlrev_b32_e32 v9, 29, v50
	v_mov_b32_e32 v8, v1
	v_cmp_gt_i64_e32 vcc, 0, v[8:9]
	v_not_b32_e32 v8, v9
	v_ashrrev_i32_e32 v8, 31, v8
	v_xor_b32_e32 v9, vcc_hi, v8
	v_xor_b32_e32 v8, vcc_lo, v8
	v_and_b32_e32 v0, v0, v9
	v_and_b32_e32 v51, v51, v8
	v_lshlrev_b32_e32 v9, 28, v50
	v_mov_b32_e32 v8, v1
	v_cmp_gt_i64_e32 vcc, 0, v[8:9]
	v_not_b32_e32 v8, v9
	v_ashrrev_i32_e32 v8, 31, v8
	;; [unrolled: 9-line block ×6, first 2 shown]
	v_xor_b32_e32 v9, vcc_hi, v8
	v_xor_b32_e32 v8, vcc_lo, v8
	ds_read_b32 v48, v52 offset:64
	v_and_b32_e32 v8, v51, v8
	v_and_b32_e32 v9, v0, v9
	v_mbcnt_lo_u32_b32 v0, v8, 0
	v_mbcnt_hi_u32_b32 v50, v9, v0
	v_cmp_eq_u32_e32 vcc, 0, v50
	v_cmp_ne_u64_e64 s[0:1], 0, v[8:9]
	s_and_b64 s[4:5], s[0:1], vcc
	; wave barrier
	s_and_saveexec_b64 s[0:1], s[4:5]
	s_cbranch_execz .LBB770_227
; %bb.226:
	v_bcnt_u32_b32 v0, v8, 0
	v_bcnt_u32_b32 v0, v9, v0
	s_waitcnt lgkmcnt(0)
	v_add_u32_e32 v0, v48, v0
	ds_write_b32 v52, v0 offset:64
.LBB770_227:
	s_or_b64 exec, exec, s[0:1]
	s_waitcnt vmcnt(6)
	v_lshrrev_b32_e32 v0, s64, v18
	v_and_b32_e32 v53, s13, v0
	v_mul_lo_u32 v0, v53, s2
	v_add_u32_e32 v55, v36, v0
	v_and_b32_e32 v0, 1, v53
	v_lshl_add_u64 v[8:9], v[0:1], 0, -1
	v_cmp_ne_u32_e32 vcc, 0, v0
	; wave barrier
	s_nop 1
	v_xor_b32_e32 v8, vcc_lo, v8
	v_xor_b32_e32 v0, vcc_hi, v9
	v_and_b32_e32 v54, exec_lo, v8
	v_lshlrev_b32_e32 v9, 30, v53
	v_mov_b32_e32 v8, v1
	v_cmp_gt_i64_e32 vcc, 0, v[8:9]
	v_not_b32_e32 v8, v9
	v_ashrrev_i32_e32 v8, 31, v8
	v_and_b32_e32 v0, exec_hi, v0
	v_xor_b32_e32 v9, vcc_hi, v8
	v_xor_b32_e32 v8, vcc_lo, v8
	v_and_b32_e32 v0, v0, v9
	v_and_b32_e32 v54, v54, v8
	v_lshlrev_b32_e32 v9, 29, v53
	v_mov_b32_e32 v8, v1
	v_cmp_gt_i64_e32 vcc, 0, v[8:9]
	v_not_b32_e32 v8, v9
	v_ashrrev_i32_e32 v8, 31, v8
	v_xor_b32_e32 v9, vcc_hi, v8
	v_xor_b32_e32 v8, vcc_lo, v8
	v_and_b32_e32 v0, v0, v9
	v_and_b32_e32 v54, v54, v8
	v_lshlrev_b32_e32 v9, 28, v53
	v_mov_b32_e32 v8, v1
	v_cmp_gt_i64_e32 vcc, 0, v[8:9]
	v_not_b32_e32 v8, v9
	v_ashrrev_i32_e32 v8, 31, v8
	;; [unrolled: 9-line block ×5, first 2 shown]
	v_xor_b32_e32 v9, vcc_hi, v8
	v_xor_b32_e32 v8, vcc_lo, v8
	v_and_b32_e32 v0, v0, v9
	v_lshlrev_b32_e32 v9, 24, v53
	v_and_b32_e32 v54, v54, v8
	v_mov_b32_e32 v8, v1
	v_not_b32_e32 v1, v9
	v_cmp_gt_i64_e32 vcc, 0, v[8:9]
	v_ashrrev_i32_e32 v1, 31, v1
	ds_read_b32 v51, v55 offset:64
	v_xor_b32_e32 v8, vcc_hi, v1
	v_xor_b32_e32 v9, vcc_lo, v1
	v_and_b32_e32 v1, v0, v8
	v_and_b32_e32 v0, v54, v9
	v_mbcnt_lo_u32_b32 v8, v0, 0
	v_mbcnt_hi_u32_b32 v53, v1, v8
	v_cmp_eq_u32_e32 vcc, 0, v53
	v_cmp_ne_u64_e64 s[0:1], 0, v[0:1]
	s_and_b64 s[2:3], s[0:1], vcc
	; wave barrier
	s_and_saveexec_b64 s[0:1], s[2:3]
	s_cbranch_execz .LBB770_229
; %bb.228:
	v_bcnt_u32_b32 v0, v0, 0
	v_bcnt_u32_b32 v0, v1, v0
	s_waitcnt lgkmcnt(0)
	v_add_u32_e32 v0, v51, v0
	ds_write_b32 v55, v0 offset:64
.LBB770_229:
	s_or_b64 exec, exec, s[0:1]
	s_waitcnt vmcnt(5)
	v_lshrrev_b32_e32 v0, s64, v19
	v_and_b32_e32 v56, s13, v0
	s_movk_i32 s2, 0x44
	v_mul_lo_u32 v0, v56, s2
	v_add_u32_e32 v58, v36, v0
	v_and_b32_e32 v0, 1, v56
	v_mov_b32_e32 v1, 0
	v_lshl_add_u64 v[8:9], v[0:1], 0, -1
	v_cmp_ne_u32_e32 vcc, 0, v0
	; wave barrier
	s_nop 1
	v_xor_b32_e32 v8, vcc_lo, v8
	v_xor_b32_e32 v0, vcc_hi, v9
	v_and_b32_e32 v57, exec_lo, v8
	v_lshlrev_b32_e32 v9, 30, v56
	v_mov_b32_e32 v8, v1
	v_cmp_gt_i64_e32 vcc, 0, v[8:9]
	v_not_b32_e32 v8, v9
	v_ashrrev_i32_e32 v8, 31, v8
	v_and_b32_e32 v0, exec_hi, v0
	v_xor_b32_e32 v9, vcc_hi, v8
	v_xor_b32_e32 v8, vcc_lo, v8
	v_and_b32_e32 v0, v0, v9
	v_and_b32_e32 v57, v57, v8
	v_lshlrev_b32_e32 v9, 29, v56
	v_mov_b32_e32 v8, v1
	v_cmp_gt_i64_e32 vcc, 0, v[8:9]
	v_not_b32_e32 v8, v9
	v_ashrrev_i32_e32 v8, 31, v8
	v_xor_b32_e32 v9, vcc_hi, v8
	v_xor_b32_e32 v8, vcc_lo, v8
	v_and_b32_e32 v0, v0, v9
	v_and_b32_e32 v57, v57, v8
	v_lshlrev_b32_e32 v9, 28, v56
	v_mov_b32_e32 v8, v1
	v_cmp_gt_i64_e32 vcc, 0, v[8:9]
	v_not_b32_e32 v8, v9
	v_ashrrev_i32_e32 v8, 31, v8
	;; [unrolled: 9-line block ×6, first 2 shown]
	v_xor_b32_e32 v9, vcc_hi, v8
	v_xor_b32_e32 v8, vcc_lo, v8
	ds_read_b32 v54, v58 offset:64
	v_and_b32_e32 v8, v57, v8
	v_and_b32_e32 v9, v0, v9
	v_mbcnt_lo_u32_b32 v0, v8, 0
	v_mbcnt_hi_u32_b32 v56, v9, v0
	v_cmp_eq_u32_e32 vcc, 0, v56
	v_cmp_ne_u64_e64 s[0:1], 0, v[8:9]
	s_and_b64 s[4:5], s[0:1], vcc
	; wave barrier
	s_and_saveexec_b64 s[0:1], s[4:5]
	s_cbranch_execz .LBB770_231
; %bb.230:
	v_bcnt_u32_b32 v0, v8, 0
	v_bcnt_u32_b32 v0, v9, v0
	s_waitcnt lgkmcnt(0)
	v_add_u32_e32 v0, v54, v0
	ds_write_b32 v58, v0 offset:64
.LBB770_231:
	s_or_b64 exec, exec, s[0:1]
	s_waitcnt vmcnt(4)
	v_lshrrev_b32_e32 v0, s64, v20
	v_and_b32_e32 v59, s13, v0
	v_mul_lo_u32 v0, v59, s2
	v_add_u32_e32 v61, v36, v0
	v_and_b32_e32 v0, 1, v59
	v_lshl_add_u64 v[8:9], v[0:1], 0, -1
	v_cmp_ne_u32_e32 vcc, 0, v0
	; wave barrier
	s_nop 1
	v_xor_b32_e32 v8, vcc_lo, v8
	v_xor_b32_e32 v0, vcc_hi, v9
	v_and_b32_e32 v60, exec_lo, v8
	v_lshlrev_b32_e32 v9, 30, v59
	v_mov_b32_e32 v8, v1
	v_cmp_gt_i64_e32 vcc, 0, v[8:9]
	v_not_b32_e32 v8, v9
	v_ashrrev_i32_e32 v8, 31, v8
	v_and_b32_e32 v0, exec_hi, v0
	v_xor_b32_e32 v9, vcc_hi, v8
	v_xor_b32_e32 v8, vcc_lo, v8
	v_and_b32_e32 v0, v0, v9
	v_and_b32_e32 v60, v60, v8
	v_lshlrev_b32_e32 v9, 29, v59
	v_mov_b32_e32 v8, v1
	v_cmp_gt_i64_e32 vcc, 0, v[8:9]
	v_not_b32_e32 v8, v9
	v_ashrrev_i32_e32 v8, 31, v8
	v_xor_b32_e32 v9, vcc_hi, v8
	v_xor_b32_e32 v8, vcc_lo, v8
	v_and_b32_e32 v0, v0, v9
	v_and_b32_e32 v60, v60, v8
	v_lshlrev_b32_e32 v9, 28, v59
	v_mov_b32_e32 v8, v1
	v_cmp_gt_i64_e32 vcc, 0, v[8:9]
	v_not_b32_e32 v8, v9
	v_ashrrev_i32_e32 v8, 31, v8
	;; [unrolled: 9-line block ×5, first 2 shown]
	v_xor_b32_e32 v9, vcc_hi, v8
	v_xor_b32_e32 v8, vcc_lo, v8
	v_and_b32_e32 v0, v0, v9
	v_lshlrev_b32_e32 v9, 24, v59
	v_and_b32_e32 v60, v60, v8
	v_mov_b32_e32 v8, v1
	v_not_b32_e32 v1, v9
	v_cmp_gt_i64_e32 vcc, 0, v[8:9]
	v_ashrrev_i32_e32 v1, 31, v1
	ds_read_b32 v57, v61 offset:64
	v_xor_b32_e32 v8, vcc_hi, v1
	v_xor_b32_e32 v9, vcc_lo, v1
	v_and_b32_e32 v1, v0, v8
	v_and_b32_e32 v0, v60, v9
	v_mbcnt_lo_u32_b32 v8, v0, 0
	v_mbcnt_hi_u32_b32 v59, v1, v8
	v_cmp_eq_u32_e32 vcc, 0, v59
	v_cmp_ne_u64_e64 s[0:1], 0, v[0:1]
	s_and_b64 s[2:3], s[0:1], vcc
	; wave barrier
	s_and_saveexec_b64 s[0:1], s[2:3]
	s_cbranch_execz .LBB770_233
; %bb.232:
	v_bcnt_u32_b32 v0, v0, 0
	v_bcnt_u32_b32 v0, v1, v0
	s_waitcnt lgkmcnt(0)
	v_add_u32_e32 v0, v57, v0
	ds_write_b32 v61, v0 offset:64
.LBB770_233:
	s_or_b64 exec, exec, s[0:1]
	s_waitcnt vmcnt(3)
	v_lshrrev_b32_e32 v0, s64, v21
	v_and_b32_e32 v62, s13, v0
	s_movk_i32 s2, 0x44
	v_mul_lo_u32 v0, v62, s2
	v_add_u32_e32 v64, v36, v0
	v_and_b32_e32 v0, 1, v62
	v_mov_b32_e32 v1, 0
	v_lshl_add_u64 v[8:9], v[0:1], 0, -1
	v_cmp_ne_u32_e32 vcc, 0, v0
	; wave barrier
	s_nop 1
	v_xor_b32_e32 v8, vcc_lo, v8
	v_xor_b32_e32 v0, vcc_hi, v9
	v_and_b32_e32 v63, exec_lo, v8
	v_lshlrev_b32_e32 v9, 30, v62
	v_mov_b32_e32 v8, v1
	v_cmp_gt_i64_e32 vcc, 0, v[8:9]
	v_not_b32_e32 v8, v9
	v_ashrrev_i32_e32 v8, 31, v8
	v_and_b32_e32 v0, exec_hi, v0
	v_xor_b32_e32 v9, vcc_hi, v8
	v_xor_b32_e32 v8, vcc_lo, v8
	v_and_b32_e32 v0, v0, v9
	v_and_b32_e32 v63, v63, v8
	v_lshlrev_b32_e32 v9, 29, v62
	v_mov_b32_e32 v8, v1
	v_cmp_gt_i64_e32 vcc, 0, v[8:9]
	v_not_b32_e32 v8, v9
	v_ashrrev_i32_e32 v8, 31, v8
	v_xor_b32_e32 v9, vcc_hi, v8
	v_xor_b32_e32 v8, vcc_lo, v8
	v_and_b32_e32 v0, v0, v9
	v_and_b32_e32 v63, v63, v8
	v_lshlrev_b32_e32 v9, 28, v62
	v_mov_b32_e32 v8, v1
	v_cmp_gt_i64_e32 vcc, 0, v[8:9]
	v_not_b32_e32 v8, v9
	v_ashrrev_i32_e32 v8, 31, v8
	;; [unrolled: 9-line block ×6, first 2 shown]
	v_xor_b32_e32 v9, vcc_hi, v8
	v_xor_b32_e32 v8, vcc_lo, v8
	ds_read_b32 v60, v64 offset:64
	v_and_b32_e32 v8, v63, v8
	v_and_b32_e32 v9, v0, v9
	v_mbcnt_lo_u32_b32 v0, v8, 0
	v_mbcnt_hi_u32_b32 v62, v9, v0
	v_cmp_eq_u32_e32 vcc, 0, v62
	v_cmp_ne_u64_e64 s[0:1], 0, v[8:9]
	s_and_b64 s[4:5], s[0:1], vcc
	; wave barrier
	s_and_saveexec_b64 s[0:1], s[4:5]
	s_cbranch_execz .LBB770_235
; %bb.234:
	v_bcnt_u32_b32 v0, v8, 0
	v_bcnt_u32_b32 v0, v9, v0
	s_waitcnt lgkmcnt(0)
	v_add_u32_e32 v0, v60, v0
	ds_write_b32 v64, v0 offset:64
.LBB770_235:
	s_or_b64 exec, exec, s[0:1]
	s_waitcnt vmcnt(2)
	v_lshrrev_b32_e32 v0, s64, v22
	v_and_b32_e32 v65, s13, v0
	v_mul_lo_u32 v0, v65, s2
	v_add_u32_e32 v67, v36, v0
	v_and_b32_e32 v0, 1, v65
	v_lshl_add_u64 v[8:9], v[0:1], 0, -1
	v_cmp_ne_u32_e32 vcc, 0, v0
	; wave barrier
	s_nop 1
	v_xor_b32_e32 v8, vcc_lo, v8
	v_xor_b32_e32 v0, vcc_hi, v9
	v_and_b32_e32 v66, exec_lo, v8
	v_lshlrev_b32_e32 v9, 30, v65
	v_mov_b32_e32 v8, v1
	v_cmp_gt_i64_e32 vcc, 0, v[8:9]
	v_not_b32_e32 v8, v9
	v_ashrrev_i32_e32 v8, 31, v8
	v_and_b32_e32 v0, exec_hi, v0
	v_xor_b32_e32 v9, vcc_hi, v8
	v_xor_b32_e32 v8, vcc_lo, v8
	v_and_b32_e32 v0, v0, v9
	v_and_b32_e32 v66, v66, v8
	v_lshlrev_b32_e32 v9, 29, v65
	v_mov_b32_e32 v8, v1
	v_cmp_gt_i64_e32 vcc, 0, v[8:9]
	v_not_b32_e32 v8, v9
	v_ashrrev_i32_e32 v8, 31, v8
	v_xor_b32_e32 v9, vcc_hi, v8
	v_xor_b32_e32 v8, vcc_lo, v8
	v_and_b32_e32 v0, v0, v9
	v_and_b32_e32 v66, v66, v8
	v_lshlrev_b32_e32 v9, 28, v65
	v_mov_b32_e32 v8, v1
	v_cmp_gt_i64_e32 vcc, 0, v[8:9]
	v_not_b32_e32 v8, v9
	v_ashrrev_i32_e32 v8, 31, v8
	;; [unrolled: 9-line block ×5, first 2 shown]
	v_xor_b32_e32 v9, vcc_hi, v8
	v_xor_b32_e32 v8, vcc_lo, v8
	v_and_b32_e32 v0, v0, v9
	v_lshlrev_b32_e32 v9, 24, v65
	v_and_b32_e32 v66, v66, v8
	v_mov_b32_e32 v8, v1
	v_not_b32_e32 v1, v9
	v_cmp_gt_i64_e32 vcc, 0, v[8:9]
	v_ashrrev_i32_e32 v1, 31, v1
	ds_read_b32 v63, v67 offset:64
	v_xor_b32_e32 v8, vcc_hi, v1
	v_xor_b32_e32 v9, vcc_lo, v1
	v_and_b32_e32 v1, v0, v8
	v_and_b32_e32 v0, v66, v9
	v_mbcnt_lo_u32_b32 v8, v0, 0
	v_mbcnt_hi_u32_b32 v65, v1, v8
	v_cmp_eq_u32_e32 vcc, 0, v65
	v_cmp_ne_u64_e64 s[0:1], 0, v[0:1]
	s_and_b64 s[2:3], s[0:1], vcc
	; wave barrier
	s_and_saveexec_b64 s[0:1], s[2:3]
	s_cbranch_execz .LBB770_237
; %bb.236:
	v_bcnt_u32_b32 v0, v0, 0
	v_bcnt_u32_b32 v0, v1, v0
	s_waitcnt lgkmcnt(0)
	v_add_u32_e32 v0, v63, v0
	ds_write_b32 v67, v0 offset:64
.LBB770_237:
	s_or_b64 exec, exec, s[0:1]
	s_waitcnt vmcnt(1)
	v_lshrrev_b32_e32 v0, s64, v23
	v_and_b32_e32 v68, s13, v0
	s_movk_i32 s2, 0x44
	v_mul_lo_u32 v0, v68, s2
	v_add_u32_e32 v70, v36, v0
	v_and_b32_e32 v0, 1, v68
	v_mov_b32_e32 v1, 0
	v_lshl_add_u64 v[8:9], v[0:1], 0, -1
	v_cmp_ne_u32_e32 vcc, 0, v0
	; wave barrier
	s_nop 1
	v_xor_b32_e32 v8, vcc_lo, v8
	v_xor_b32_e32 v0, vcc_hi, v9
	v_and_b32_e32 v69, exec_lo, v8
	v_lshlrev_b32_e32 v9, 30, v68
	v_mov_b32_e32 v8, v1
	v_cmp_gt_i64_e32 vcc, 0, v[8:9]
	v_not_b32_e32 v8, v9
	v_ashrrev_i32_e32 v8, 31, v8
	v_and_b32_e32 v0, exec_hi, v0
	v_xor_b32_e32 v9, vcc_hi, v8
	v_xor_b32_e32 v8, vcc_lo, v8
	v_and_b32_e32 v0, v0, v9
	v_and_b32_e32 v69, v69, v8
	v_lshlrev_b32_e32 v9, 29, v68
	v_mov_b32_e32 v8, v1
	v_cmp_gt_i64_e32 vcc, 0, v[8:9]
	v_not_b32_e32 v8, v9
	v_ashrrev_i32_e32 v8, 31, v8
	v_xor_b32_e32 v9, vcc_hi, v8
	v_xor_b32_e32 v8, vcc_lo, v8
	v_and_b32_e32 v0, v0, v9
	v_and_b32_e32 v69, v69, v8
	v_lshlrev_b32_e32 v9, 28, v68
	v_mov_b32_e32 v8, v1
	v_cmp_gt_i64_e32 vcc, 0, v[8:9]
	v_not_b32_e32 v8, v9
	v_ashrrev_i32_e32 v8, 31, v8
	v_xor_b32_e32 v9, vcc_hi, v8
	v_xor_b32_e32 v8, vcc_lo, v8
	v_and_b32_e32 v0, v0, v9
	v_and_b32_e32 v69, v69, v8
	v_lshlrev_b32_e32 v9, 27, v68
	v_mov_b32_e32 v8, v1
	v_cmp_gt_i64_e32 vcc, 0, v[8:9]
	v_not_b32_e32 v8, v9
	v_ashrrev_i32_e32 v8, 31, v8
	v_xor_b32_e32 v9, vcc_hi, v8
	v_xor_b32_e32 v8, vcc_lo, v8
	v_and_b32_e32 v0, v0, v9
	v_and_b32_e32 v69, v69, v8
	v_lshlrev_b32_e32 v9, 26, v68
	v_mov_b32_e32 v8, v1
	v_cmp_gt_i64_e32 vcc, 0, v[8:9]
	v_not_b32_e32 v8, v9
	v_ashrrev_i32_e32 v8, 31, v8
	v_xor_b32_e32 v9, vcc_hi, v8
	v_xor_b32_e32 v8, vcc_lo, v8
	v_and_b32_e32 v0, v0, v9
	v_and_b32_e32 v69, v69, v8
	v_lshlrev_b32_e32 v9, 25, v68
	v_mov_b32_e32 v8, v1
	v_cmp_gt_i64_e32 vcc, 0, v[8:9]
	v_not_b32_e32 v8, v9
	v_ashrrev_i32_e32 v8, 31, v8
	v_xor_b32_e32 v9, vcc_hi, v8
	v_xor_b32_e32 v8, vcc_lo, v8
	v_and_b32_e32 v0, v0, v9
	v_and_b32_e32 v69, v69, v8
	v_lshlrev_b32_e32 v9, 24, v68
	v_mov_b32_e32 v8, v1
	v_cmp_gt_i64_e32 vcc, 0, v[8:9]
	v_not_b32_e32 v8, v9
	v_ashrrev_i32_e32 v8, 31, v8
	v_xor_b32_e32 v9, vcc_hi, v8
	v_xor_b32_e32 v8, vcc_lo, v8
	ds_read_b32 v66, v70 offset:64
	v_and_b32_e32 v8, v69, v8
	v_and_b32_e32 v9, v0, v9
	v_mbcnt_lo_u32_b32 v0, v8, 0
	v_mbcnt_hi_u32_b32 v68, v9, v0
	v_cmp_eq_u32_e32 vcc, 0, v68
	v_cmp_ne_u64_e64 s[0:1], 0, v[8:9]
	s_and_b64 s[4:5], s[0:1], vcc
	; wave barrier
	s_and_saveexec_b64 s[0:1], s[4:5]
	s_cbranch_execz .LBB770_239
; %bb.238:
	v_bcnt_u32_b32 v0, v8, 0
	v_bcnt_u32_b32 v0, v9, v0
	s_waitcnt lgkmcnt(0)
	v_add_u32_e32 v0, v66, v0
	ds_write_b32 v70, v0 offset:64
.LBB770_239:
	s_or_b64 exec, exec, s[0:1]
	s_waitcnt vmcnt(0)
	v_lshrrev_b32_e32 v0, s64, v24
	v_and_b32_e32 v71, s13, v0
	v_mul_lo_u32 v0, v71, s2
	v_add_u32_e32 v72, v36, v0
	v_and_b32_e32 v0, 1, v71
	v_lshl_add_u64 v[8:9], v[0:1], 0, -1
	v_cmp_ne_u32_e32 vcc, 0, v0
	; wave barrier
	s_nop 1
	v_xor_b32_e32 v8, vcc_lo, v8
	v_xor_b32_e32 v0, vcc_hi, v9
	v_and_b32_e32 v36, exec_lo, v8
	v_lshlrev_b32_e32 v9, 30, v71
	v_mov_b32_e32 v8, v1
	v_cmp_gt_i64_e32 vcc, 0, v[8:9]
	v_not_b32_e32 v8, v9
	v_ashrrev_i32_e32 v8, 31, v8
	v_and_b32_e32 v0, exec_hi, v0
	v_xor_b32_e32 v9, vcc_hi, v8
	v_xor_b32_e32 v8, vcc_lo, v8
	v_and_b32_e32 v0, v0, v9
	v_and_b32_e32 v36, v36, v8
	v_lshlrev_b32_e32 v9, 29, v71
	v_mov_b32_e32 v8, v1
	v_cmp_gt_i64_e32 vcc, 0, v[8:9]
	v_not_b32_e32 v8, v9
	v_ashrrev_i32_e32 v8, 31, v8
	v_xor_b32_e32 v9, vcc_hi, v8
	v_xor_b32_e32 v8, vcc_lo, v8
	v_and_b32_e32 v0, v0, v9
	v_and_b32_e32 v36, v36, v8
	v_lshlrev_b32_e32 v9, 28, v71
	v_mov_b32_e32 v8, v1
	v_cmp_gt_i64_e32 vcc, 0, v[8:9]
	v_not_b32_e32 v8, v9
	v_ashrrev_i32_e32 v8, 31, v8
	;; [unrolled: 9-line block ×5, first 2 shown]
	v_xor_b32_e32 v9, vcc_hi, v8
	v_xor_b32_e32 v8, vcc_lo, v8
	v_and_b32_e32 v0, v0, v9
	v_lshlrev_b32_e32 v9, 24, v71
	v_and_b32_e32 v36, v36, v8
	v_mov_b32_e32 v8, v1
	v_not_b32_e32 v1, v9
	v_cmp_gt_i64_e32 vcc, 0, v[8:9]
	v_ashrrev_i32_e32 v1, 31, v1
	ds_read_b32 v69, v72 offset:64
	v_xor_b32_e32 v8, vcc_hi, v1
	v_xor_b32_e32 v9, vcc_lo, v1
	v_and_b32_e32 v1, v0, v8
	v_and_b32_e32 v0, v36, v9
	v_mbcnt_lo_u32_b32 v8, v0, 0
	v_mbcnt_hi_u32_b32 v71, v1, v8
	v_cmp_eq_u32_e32 vcc, 0, v71
	v_cmp_ne_u64_e64 s[0:1], 0, v[0:1]
	s_and_b64 s[2:3], s[0:1], vcc
	; wave barrier
	s_and_saveexec_b64 s[0:1], s[2:3]
	s_cbranch_execz .LBB770_241
; %bb.240:
	v_bcnt_u32_b32 v0, v0, 0
	v_bcnt_u32_b32 v0, v1, v0
	s_waitcnt lgkmcnt(0)
	v_add_u32_e32 v0, v69, v0
	ds_write_b32 v72, v0 offset:64
.LBB770_241:
	s_or_b64 exec, exec, s[0:1]
	; wave barrier
	s_waitcnt lgkmcnt(0)
	s_barrier
	ds_read2_b32 v[8:9], v11 offset0:16 offset1:17
	ds_read2_b32 v[0:1], v11 offset0:18 offset1:19
	ds_read_b32 v36, v11 offset:80
	v_cmp_lt_u32_e64 s[2:3], 31, v10
	s_waitcnt lgkmcnt(1)
	v_add3_u32 v73, v9, v8, v0
	s_waitcnt lgkmcnt(0)
	v_add3_u32 v36, v73, v1, v36
	v_and_b32_e32 v73, 15, v10
	v_cmp_eq_u32_e32 vcc, 0, v73
	v_mov_b32_dpp v74, v36 row_shr:1 row_mask:0xf bank_mask:0xf
	v_cmp_lt_u32_e64 s[0:1], 1, v73
	v_cndmask_b32_e64 v74, v74, 0, vcc
	v_add_u32_e32 v36, v74, v36
	v_cmp_lt_u32_e64 s[4:5], 3, v73
	v_cmp_lt_u32_e64 s[6:7], 7, v73
	v_mov_b32_dpp v74, v36 row_shr:2 row_mask:0xf bank_mask:0xf
	v_cndmask_b32_e64 v74, 0, v74, s[0:1]
	v_add_u32_e32 v36, v36, v74
	s_nop 1
	v_mov_b32_dpp v74, v36 row_shr:4 row_mask:0xf bank_mask:0xf
	v_cndmask_b32_e64 v74, 0, v74, s[4:5]
	v_add_u32_e32 v36, v36, v74
	s_nop 1
	v_mov_b32_dpp v74, v36 row_shr:8 row_mask:0xf bank_mask:0xf
	v_cndmask_b32_e64 v73, 0, v74, s[6:7]
	v_add_u32_e32 v36, v36, v73
	v_bfe_i32 v74, v10, 4, 1
	s_nop 0
	v_mov_b32_dpp v73, v36 row_bcast:15 row_mask:0xf bank_mask:0xf
	v_and_b32_e32 v73, v74, v73
	v_add_u32_e32 v36, v36, v73
	v_lshrrev_b32_e32 v74, 6, v2
	s_nop 0
	v_mov_b32_dpp v73, v36 row_bcast:31 row_mask:0xf bank_mask:0xf
	v_cndmask_b32_e64 v73, 0, v73, s[2:3]
	v_add_u32_e32 v73, v36, v73
	v_and_b32_e32 v36, 63, v2
	v_cmp_eq_u32_e64 s[2:3], 63, v36
	s_and_saveexec_b64 s[10:11], s[2:3]
; %bb.242:
	v_lshlrev_b32_e32 v36, 2, v74
	ds_write_b32 v36, v73
; %bb.243:
	s_or_b64 exec, exec, s[10:11]
	v_cmp_gt_u32_e64 s[2:3], 16, v2
	v_lshlrev_b32_e32 v36, 2, v2
	s_waitcnt lgkmcnt(0)
	s_barrier
	s_and_saveexec_b64 s[10:11], s[2:3]
	s_cbranch_execz .LBB770_245
; %bb.244:
	ds_read_b32 v75, v36
	s_waitcnt lgkmcnt(0)
	s_nop 0
	v_mov_b32_dpp v76, v75 row_shr:1 row_mask:0xf bank_mask:0xf
	v_cndmask_b32_e64 v76, v76, 0, vcc
	v_add_u32_e32 v75, v76, v75
	s_nop 1
	v_mov_b32_dpp v76, v75 row_shr:2 row_mask:0xf bank_mask:0xf
	v_cndmask_b32_e64 v76, 0, v76, s[0:1]
	v_add_u32_e32 v75, v75, v76
	s_nop 1
	v_mov_b32_dpp v76, v75 row_shr:4 row_mask:0xf bank_mask:0xf
	v_cndmask_b32_e64 v76, 0, v76, s[4:5]
	;; [unrolled: 4-line block ×3, first 2 shown]
	v_add_u32_e32 v75, v75, v76
	ds_write_b32 v36, v75
.LBB770_245:
	s_or_b64 exec, exec, s[10:11]
	v_cmp_lt_u32_e32 vcc, 63, v2
	v_mov_b32_e32 v75, 0
	s_waitcnt lgkmcnt(0)
	s_barrier
	s_and_saveexec_b64 s[0:1], vcc
; %bb.246:
	v_lshl_add_u32 v74, v74, 2, -4
	ds_read_b32 v75, v74
; %bb.247:
	s_or_b64 exec, exec, s[0:1]
	v_subrev_co_u32_e32 v74, vcc, 1, v10
	v_and_b32_e32 v76, 64, v10
	v_cmp_lt_i32_e64 s[0:1], v74, v76
	s_waitcnt lgkmcnt(0)
	v_add_u32_e32 v73, v75, v73
	s_movk_i32 s2, 0x100
	v_cndmask_b32_e64 v10, v74, v10, s[0:1]
	v_lshlrev_b32_e32 v10, 2, v10
	ds_bpermute_b32 v10, v10, v73
	s_movk_i32 s0, 0xff
	s_waitcnt lgkmcnt(0)
	v_cndmask_b32_e32 v10, v10, v75, vcc
	v_cndmask_b32_e64 v10, v10, 0, s[44:45]
	v_add_u32_e32 v8, v10, v8
	v_add_u32_e32 v9, v8, v9
	;; [unrolled: 1-line block ×4, first 2 shown]
	ds_write2_b32 v11, v10, v8 offset0:16 offset1:17
	ds_write2_b32 v11, v9, v0 offset0:18 offset1:19
	ds_write_b32 v11, v1 offset:80
	s_waitcnt lgkmcnt(0)
	s_barrier
	ds_read_b32 v73, v31 offset:64
	ds_read_b32 v74, v34 offset:64
	;; [unrolled: 1-line block ×16, first 2 shown]
	v_cmp_lt_u32_e32 vcc, s0, v2
	v_cmp_gt_u32_e64 s[0:1], s2, v2
                                        ; implicit-def: $vgpr29
                                        ; implicit-def: $vgpr31
	s_and_saveexec_b64 s[4:5], s[0:1]
	s_cbranch_execz .LBB770_251
; %bb.248:
	v_mul_u32_u24_e32 v0, 0x44, v2
	ds_read_b32 v29, v0 offset:64
	v_add_u32_e32 v1, 1, v2
	v_cmp_ne_u32_e64 s[2:3], s2, v1
	v_mov_b32_e32 v0, 0x4000
	s_and_saveexec_b64 s[6:7], s[2:3]
; %bb.249:
	v_mul_u32_u24_e32 v0, 0x44, v1
	ds_read_b32 v0, v0 offset:64
; %bb.250:
	s_or_b64 exec, exec, s[6:7]
	s_waitcnt lgkmcnt(0)
	v_sub_u32_e32 v31, v0, v29
.LBB770_251:
	s_or_b64 exec, exec, s[4:5]
	v_mov_b32_e32 v1, 0
	s_waitcnt lgkmcnt(0)
	s_barrier
	s_and_saveexec_b64 s[2:3], s[0:1]
	s_cbranch_execz .LBB770_261
; %bb.252:
	v_lshl_add_u32 v0, s33, 8, v2
	v_lshl_add_u64 v[8:9], v[0:1], 2, s[68:69]
	v_or_b32_e32 v0, 2.0, v31
	s_mov_b64 s[4:5], 0
	s_brev_b32 s14, -4
	s_mov_b32 s15, s33
	v_mov_b32_e32 v52, 0
	global_store_dword v[8:9], v0, off sc1
                                        ; implicit-def: $sgpr0_sgpr1
	s_branch .LBB770_255
.LBB770_253:                            ;   in Loop: Header=BB770_255 Depth=1
	s_or_b64 exec, exec, s[10:11]
.LBB770_254:                            ;   in Loop: Header=BB770_255 Depth=1
	s_or_b64 exec, exec, s[6:7]
	v_and_b32_e32 v10, 0x3fffffff, v0
	v_add_u32_e32 v52, v10, v52
	v_cmp_gt_i32_e64 s[0:1], -2.0, v0
	s_and_b64 s[6:7], exec, s[0:1]
	s_or_b64 s[4:5], s[6:7], s[4:5]
	s_andn2_b64 exec, exec, s[4:5]
	s_cbranch_execz .LBB770_260
.LBB770_255:                            ; =>This Loop Header: Depth=1
                                        ;     Child Loop BB770_258 Depth 2
	s_or_b64 s[0:1], s[0:1], exec
	s_cmp_eq_u32 s15, 0
	s_cbranch_scc1 .LBB770_259
; %bb.256:                              ;   in Loop: Header=BB770_255 Depth=1
	s_add_i32 s15, s15, -1
	v_lshl_or_b32 v0, s15, 8, v2
	v_lshl_add_u64 v[10:11], v[0:1], 2, s[68:69]
	global_load_dword v0, v[10:11], off sc1
	s_waitcnt vmcnt(0)
	v_cmp_gt_u32_e64 s[0:1], 2.0, v0
	s_and_saveexec_b64 s[6:7], s[0:1]
	s_cbranch_execz .LBB770_254
; %bb.257:                              ;   in Loop: Header=BB770_255 Depth=1
	s_mov_b64 s[10:11], 0
.LBB770_258:                            ;   Parent Loop BB770_255 Depth=1
                                        ; =>  This Inner Loop Header: Depth=2
	global_load_dword v0, v[10:11], off sc1
	s_waitcnt vmcnt(0)
	v_cmp_lt_u32_e64 s[0:1], s14, v0
	s_or_b64 s[10:11], s[0:1], s[10:11]
	s_andn2_b64 exec, exec, s[10:11]
	s_cbranch_execnz .LBB770_258
	s_branch .LBB770_253
.LBB770_259:                            ;   in Loop: Header=BB770_255 Depth=1
                                        ; implicit-def: $sgpr15
	s_and_b64 s[6:7], exec, s[0:1]
	s_or_b64 s[4:5], s[6:7], s[4:5]
	s_andn2_b64 exec, exec, s[4:5]
	s_cbranch_execnz .LBB770_255
.LBB770_260:
	s_or_b64 exec, exec, s[4:5]
	v_add_u32_e32 v0, v52, v31
	v_or_b32_e32 v0, 0x80000000, v0
	global_store_dword v[8:9], v0, off sc1
	global_load_dword v0, v36, s[60:61]
	v_sub_u32_e32 v1, v52, v29
	s_waitcnt vmcnt(0)
	v_add_u32_e32 v0, v1, v0
	ds_write_b32 v36, v0
.LBB770_261:
	s_or_b64 exec, exec, s[2:3]
	v_add_u32_e32 v8, v47, v26
	v_add3_u32 v0, v27, v25, v73
	v_add3_u32 v1, v30, v28, v74
	;; [unrolled: 1-line block ×15, first 2 shown]
	v_mov_b32_e32 v85, 0x400
	s_mov_b32 s4, s64
	s_mov_b32 s5, s13
	s_movk_i32 s6, 0x400
	v_lshl_add_u32 v9, v9, 2, v85
	v_add3_u32 v10, v71, v41, v69
	v_lshl_add_u32 v11, v11, 2, v85
	v_add3_u32 v26, v68, v34, v66
	;; [unrolled: 2-line block ×15, first 2 shown]
	v_lshl_add_u32 v27, v8, 2, v85
	s_mov_b32 s7, 0
	s_mov_b32 s10, 0
	s_movk_i32 s11, 0x1000
	v_mov_b32_e32 v1, 0
	s_movk_i32 s14, 0x800
	s_movk_i32 s15, 0xc00
	v_mov_b32_e32 v56, v2
	s_mov_b32 s16, 0
	s_branch .LBB770_263
.LBB770_262:                            ;   in Loop: Header=BB770_263 Depth=1
	s_or_b64 exec, exec, s[2:3]
	s_waitcnt lgkmcnt(0)
	s_barrier
	ds_read2st64_b32 v[62:63], v36 offset0:4 offset1:20
	ds_read2st64_b32 v[64:65], v36 offset0:36 offset1:52
	s_addk_i32 s16, 0xc000
	s_addk_i32 s10, 0xf000
	s_waitcnt lgkmcnt(1)
	v_lshrrev_b32_e32 v57, s64, v62
	v_lshrrev_b32_e32 v0, s4, v63
	v_and_b32_e32 v58, s13, v57
	v_and_b32_e32 v59, s5, v0
	v_lshlrev_b32_e32 v0, 2, v58
	ds_read_b32 v0, v0
	s_waitcnt lgkmcnt(1)
	v_lshrrev_b32_e32 v60, s4, v65
	v_lshrrev_b32_e32 v66, s64, v64
	v_lshlrev_b32_e32 v57, 2, v59
	v_and_b32_e32 v61, s5, v60
	v_and_b32_e32 v60, s13, v66
	v_lshlrev_b32_e32 v66, 2, v60
	v_lshlrev_b32_e32 v67, 2, v61
	ds_read_b32 v57, v57
	ds_read_b32 v68, v66
	ds_read_b32 v69, v67
	s_waitcnt lgkmcnt(3)
	v_add_u32_e32 v0, v56, v0
	v_lshl_add_u64 v[66:67], v[0:1], 2, s[54:55]
	s_waitcnt lgkmcnt(2)
	v_add3_u32 v0, v56, v57, s6
	global_store_dword v[66:67], v62, off
	v_lshl_add_u64 v[66:67], v[0:1], 2, s[54:55]
	s_waitcnt lgkmcnt(1)
	v_add3_u32 v0, v56, v68, s14
	global_store_dword v[66:67], v63, off
	;; [unrolled: 4-line block ×3, first 2 shown]
	v_lshl_add_u64 v[62:63], v[0:1], 2, s[54:55]
	global_store_dword v[62:63], v65, off
	scratch_store_dwordx4 off, v[58:61], s7
	s_add_i32 s7, s7, 16
	s_cmp_eq_u32 s16, 0xffff0000
	v_add_u32_e32 v56, 0x1000, v56
	s_barrier
	s_cbranch_scc1 .LBB770_295
.LBB770_263:                            ; =>This Inner Loop Header: Depth=1
	v_add_u32_e32 v0, s10, v8
	v_cmp_gt_u32_e64 s[0:1], s11, v0
	s_and_saveexec_b64 s[2:3], s[0:1]
; %bb.264:                              ;   in Loop: Header=BB770_263 Depth=1
	v_add_u32_e32 v0, s16, v27
	ds_write_b32 v0, v3
; %bb.265:                              ;   in Loop: Header=BB770_263 Depth=1
	s_or_b64 exec, exec, s[2:3]
	v_add_u32_e32 v0, s10, v25
	v_cmp_gt_u32_e64 s[0:1], s11, v0
	s_and_saveexec_b64 s[2:3], s[0:1]
; %bb.266:                              ;   in Loop: Header=BB770_263 Depth=1
	v_add_u32_e32 v0, s16, v30
	ds_write_b32 v0, v5
; %bb.267:                              ;   in Loop: Header=BB770_263 Depth=1
	s_or_b64 exec, exec, s[2:3]
	;; [unrolled: 8-line block ×15, first 2 shown]
	v_add_u32_e32 v0, s10, v10
	v_cmp_gt_u32_e64 s[0:1], s11, v0
	s_and_saveexec_b64 s[2:3], s[0:1]
	s_cbranch_execz .LBB770_262
; %bb.294:                              ;   in Loop: Header=BB770_263 Depth=1
	v_add_u32_e32 v0, s16, v9
	ds_write_b32 v0, v24
	s_branch .LBB770_262
.LBB770_295:
	s_add_u32 s0, s56, s8
	s_addc_u32 s1, s57, s9
	v_mov_b32_e32 v5, 0
	v_lshl_add_u64 v[0:1], s[0:1], 0, v[4:5]
	v_mov_b32_e32 v7, v5
	v_lshl_add_u64 v[22:23], v[0:1], 0, v[6:7]
	global_load_dword v0, v[22:23], off
	global_load_dword v1, v[22:23], off offset:256
	global_load_dword v3, v[22:23], off offset:512
	;; [unrolled: 1-line block ×14, first 2 shown]
	s_nop 0
	global_load_dword v22, v[22:23], off offset:3840
	s_mov_b32 s4, 0
	s_mov_b32 s5, 0
	s_movk_i32 s6, 0x1000
	s_movk_i32 s7, 0x400
	;; [unrolled: 1-line block ×4, first 2 shown]
	s_mov_b32 s10, 0
	s_branch .LBB770_297
.LBB770_296:                            ;   in Loop: Header=BB770_297 Depth=1
	s_or_b64 exec, exec, s[2:3]
	s_waitcnt lgkmcnt(0)
	s_barrier
	scratch_load_dwordx4 v[56:59], off, s4
	ds_read2st64_b32 v[60:61], v36 offset0:4 offset1:20
	ds_read2st64_b32 v[62:63], v36 offset0:36 offset1:52
	s_addk_i32 s10, 0xc000
	s_addk_i32 s5, 0xf000
	s_add_i32 s4, s4, 16
	s_cmp_eq_u32 s10, 0xffff0000
	s_waitcnt vmcnt(0)
	v_lshlrev_b32_e32 v4, 2, v56
	ds_read_b32 v4, v4
	v_lshlrev_b32_e32 v23, 2, v57
	v_lshlrev_b32_e32 v24, 2, v58
	v_lshlrev_b32_e32 v56, 2, v59
	ds_read_b32 v23, v23
	ds_read_b32 v24, v24
	ds_read_b32 v58, v56
	s_waitcnt lgkmcnt(3)
	v_add_u32_e32 v4, v2, v4
	v_lshl_add_u64 v[56:57], v[4:5], 2, s[58:59]
	s_waitcnt lgkmcnt(2)
	v_add3_u32 v4, v2, v23, s7
	global_store_dword v[56:57], v60, off
	v_lshl_add_u64 v[56:57], v[4:5], 2, s[58:59]
	s_waitcnt lgkmcnt(1)
	v_add3_u32 v4, v2, v24, s8
	global_store_dword v[56:57], v61, off
	;; [unrolled: 4-line block ×3, first 2 shown]
	v_lshl_add_u64 v[56:57], v[4:5], 2, s[58:59]
	v_add_u32_e32 v2, 0x1000, v2
	global_store_dword v[56:57], v63, off
	s_barrier
	s_cbranch_scc1 .LBB770_329
.LBB770_297:                            ; =>This Inner Loop Header: Depth=1
	v_add_u32_e32 v4, s5, v8
	v_cmp_gt_u32_e64 s[0:1], s6, v4
	s_and_saveexec_b64 s[2:3], s[0:1]
	s_cbranch_execz .LBB770_299
; %bb.298:                              ;   in Loop: Header=BB770_297 Depth=1
	v_add_u32_e32 v4, s10, v27
	s_waitcnt vmcnt(15)
	ds_write_b32 v4, v0
.LBB770_299:                            ;   in Loop: Header=BB770_297 Depth=1
	s_or_b64 exec, exec, s[2:3]
	v_add_u32_e32 v4, s5, v25
	v_cmp_gt_u32_e64 s[0:1], s6, v4
	s_and_saveexec_b64 s[2:3], s[0:1]
	s_cbranch_execz .LBB770_301
; %bb.300:                              ;   in Loop: Header=BB770_297 Depth=1
	v_add_u32_e32 v4, s10, v30
	s_waitcnt vmcnt(14)
	ds_write_b32 v4, v1
.LBB770_301:                            ;   in Loop: Header=BB770_297 Depth=1
	s_or_b64 exec, exec, s[2:3]
	;; [unrolled: 10-line block ×15, first 2 shown]
	v_add_u32_e32 v4, s5, v10
	v_cmp_gt_u32_e64 s[0:1], s6, v4
	s_and_saveexec_b64 s[2:3], s[0:1]
	s_cbranch_execz .LBB770_296
; %bb.328:                              ;   in Loop: Header=BB770_297 Depth=1
	v_add_u32_e32 v4, s10, v9
	s_waitcnt vmcnt(0)
	ds_write_b32 v4, v22
	s_branch .LBB770_296
.LBB770_329:
	s_add_i32 s12, s12, -1
	s_cmp_eq_u32 s33, s12
	s_cselect_b64 s[0:1], -1, 0
	s_xor_b64 s[2:3], vcc, -1
	s_and_b64 s[0:1], s[2:3], s[0:1]
	s_and_saveexec_b64 s[2:3], s[0:1]
	s_cbranch_execz .LBB770_331
; %bb.330:
	ds_read_b32 v0, v36
	s_waitcnt lgkmcnt(0)
	v_add3_u32 v0, v29, v31, v0
	global_store_dword v36, v0, s[62:63]
.LBB770_331:
	s_endpgm
	.section	.rodata,"a",@progbits
	.p2align	6, 0x0
	.amdhsa_kernel _ZN7rocprim17ROCPRIM_400000_NS6detail17trampoline_kernelINS0_14default_configENS1_35radix_sort_onesweep_config_selectorIjjEEZZNS1_29radix_sort_onesweep_iterationIS3_Lb0EN6thrust23THRUST_200600_302600_NS6detail15normal_iteratorINS8_10device_ptrIjEEEESD_SD_SD_jNS0_19identity_decomposerENS1_16block_id_wrapperIjLb1EEEEE10hipError_tT1_PNSt15iterator_traitsISI_E10value_typeET2_T3_PNSJ_ISO_E10value_typeET4_T5_PST_SU_PNS1_23onesweep_lookback_stateEbbT6_jjT7_P12ihipStream_tbENKUlT_T0_SI_SN_E_clIPjSD_S15_SD_EEDaS11_S12_SI_SN_EUlS11_E_NS1_11comp_targetILNS1_3genE6ELNS1_11target_archE950ELNS1_3gpuE13ELNS1_3repE0EEENS1_47radix_sort_onesweep_sort_config_static_selectorELNS0_4arch9wavefront6targetE1EEEvSI_
		.amdhsa_group_segment_fixed_size 20552
		.amdhsa_private_segment_fixed_size 80
		.amdhsa_kernarg_size 344
		.amdhsa_user_sgpr_count 2
		.amdhsa_user_sgpr_dispatch_ptr 0
		.amdhsa_user_sgpr_queue_ptr 0
		.amdhsa_user_sgpr_kernarg_segment_ptr 1
		.amdhsa_user_sgpr_dispatch_id 0
		.amdhsa_user_sgpr_kernarg_preload_length 0
		.amdhsa_user_sgpr_kernarg_preload_offset 0
		.amdhsa_user_sgpr_private_segment_size 0
		.amdhsa_uses_dynamic_stack 0
		.amdhsa_enable_private_segment 1
		.amdhsa_system_sgpr_workgroup_id_x 1
		.amdhsa_system_sgpr_workgroup_id_y 0
		.amdhsa_system_sgpr_workgroup_id_z 0
		.amdhsa_system_sgpr_workgroup_info 0
		.amdhsa_system_vgpr_workitem_id 2
		.amdhsa_next_free_vgpr 89
		.amdhsa_next_free_sgpr 73
		.amdhsa_accum_offset 92
		.amdhsa_reserve_vcc 1
		.amdhsa_float_round_mode_32 0
		.amdhsa_float_round_mode_16_64 0
		.amdhsa_float_denorm_mode_32 3
		.amdhsa_float_denorm_mode_16_64 3
		.amdhsa_dx10_clamp 1
		.amdhsa_ieee_mode 1
		.amdhsa_fp16_overflow 0
		.amdhsa_tg_split 0
		.amdhsa_exception_fp_ieee_invalid_op 0
		.amdhsa_exception_fp_denorm_src 0
		.amdhsa_exception_fp_ieee_div_zero 0
		.amdhsa_exception_fp_ieee_overflow 0
		.amdhsa_exception_fp_ieee_underflow 0
		.amdhsa_exception_fp_ieee_inexact 0
		.amdhsa_exception_int_div_zero 0
	.end_amdhsa_kernel
	.section	.text._ZN7rocprim17ROCPRIM_400000_NS6detail17trampoline_kernelINS0_14default_configENS1_35radix_sort_onesweep_config_selectorIjjEEZZNS1_29radix_sort_onesweep_iterationIS3_Lb0EN6thrust23THRUST_200600_302600_NS6detail15normal_iteratorINS8_10device_ptrIjEEEESD_SD_SD_jNS0_19identity_decomposerENS1_16block_id_wrapperIjLb1EEEEE10hipError_tT1_PNSt15iterator_traitsISI_E10value_typeET2_T3_PNSJ_ISO_E10value_typeET4_T5_PST_SU_PNS1_23onesweep_lookback_stateEbbT6_jjT7_P12ihipStream_tbENKUlT_T0_SI_SN_E_clIPjSD_S15_SD_EEDaS11_S12_SI_SN_EUlS11_E_NS1_11comp_targetILNS1_3genE6ELNS1_11target_archE950ELNS1_3gpuE13ELNS1_3repE0EEENS1_47radix_sort_onesweep_sort_config_static_selectorELNS0_4arch9wavefront6targetE1EEEvSI_,"axG",@progbits,_ZN7rocprim17ROCPRIM_400000_NS6detail17trampoline_kernelINS0_14default_configENS1_35radix_sort_onesweep_config_selectorIjjEEZZNS1_29radix_sort_onesweep_iterationIS3_Lb0EN6thrust23THRUST_200600_302600_NS6detail15normal_iteratorINS8_10device_ptrIjEEEESD_SD_SD_jNS0_19identity_decomposerENS1_16block_id_wrapperIjLb1EEEEE10hipError_tT1_PNSt15iterator_traitsISI_E10value_typeET2_T3_PNSJ_ISO_E10value_typeET4_T5_PST_SU_PNS1_23onesweep_lookback_stateEbbT6_jjT7_P12ihipStream_tbENKUlT_T0_SI_SN_E_clIPjSD_S15_SD_EEDaS11_S12_SI_SN_EUlS11_E_NS1_11comp_targetILNS1_3genE6ELNS1_11target_archE950ELNS1_3gpuE13ELNS1_3repE0EEENS1_47radix_sort_onesweep_sort_config_static_selectorELNS0_4arch9wavefront6targetE1EEEvSI_,comdat
.Lfunc_end770:
	.size	_ZN7rocprim17ROCPRIM_400000_NS6detail17trampoline_kernelINS0_14default_configENS1_35radix_sort_onesweep_config_selectorIjjEEZZNS1_29radix_sort_onesweep_iterationIS3_Lb0EN6thrust23THRUST_200600_302600_NS6detail15normal_iteratorINS8_10device_ptrIjEEEESD_SD_SD_jNS0_19identity_decomposerENS1_16block_id_wrapperIjLb1EEEEE10hipError_tT1_PNSt15iterator_traitsISI_E10value_typeET2_T3_PNSJ_ISO_E10value_typeET4_T5_PST_SU_PNS1_23onesweep_lookback_stateEbbT6_jjT7_P12ihipStream_tbENKUlT_T0_SI_SN_E_clIPjSD_S15_SD_EEDaS11_S12_SI_SN_EUlS11_E_NS1_11comp_targetILNS1_3genE6ELNS1_11target_archE950ELNS1_3gpuE13ELNS1_3repE0EEENS1_47radix_sort_onesweep_sort_config_static_selectorELNS0_4arch9wavefront6targetE1EEEvSI_, .Lfunc_end770-_ZN7rocprim17ROCPRIM_400000_NS6detail17trampoline_kernelINS0_14default_configENS1_35radix_sort_onesweep_config_selectorIjjEEZZNS1_29radix_sort_onesweep_iterationIS3_Lb0EN6thrust23THRUST_200600_302600_NS6detail15normal_iteratorINS8_10device_ptrIjEEEESD_SD_SD_jNS0_19identity_decomposerENS1_16block_id_wrapperIjLb1EEEEE10hipError_tT1_PNSt15iterator_traitsISI_E10value_typeET2_T3_PNSJ_ISO_E10value_typeET4_T5_PST_SU_PNS1_23onesweep_lookback_stateEbbT6_jjT7_P12ihipStream_tbENKUlT_T0_SI_SN_E_clIPjSD_S15_SD_EEDaS11_S12_SI_SN_EUlS11_E_NS1_11comp_targetILNS1_3genE6ELNS1_11target_archE950ELNS1_3gpuE13ELNS1_3repE0EEENS1_47radix_sort_onesweep_sort_config_static_selectorELNS0_4arch9wavefront6targetE1EEEvSI_
                                        ; -- End function
	.set _ZN7rocprim17ROCPRIM_400000_NS6detail17trampoline_kernelINS0_14default_configENS1_35radix_sort_onesweep_config_selectorIjjEEZZNS1_29radix_sort_onesweep_iterationIS3_Lb0EN6thrust23THRUST_200600_302600_NS6detail15normal_iteratorINS8_10device_ptrIjEEEESD_SD_SD_jNS0_19identity_decomposerENS1_16block_id_wrapperIjLb1EEEEE10hipError_tT1_PNSt15iterator_traitsISI_E10value_typeET2_T3_PNSJ_ISO_E10value_typeET4_T5_PST_SU_PNS1_23onesweep_lookback_stateEbbT6_jjT7_P12ihipStream_tbENKUlT_T0_SI_SN_E_clIPjSD_S15_SD_EEDaS11_S12_SI_SN_EUlS11_E_NS1_11comp_targetILNS1_3genE6ELNS1_11target_archE950ELNS1_3gpuE13ELNS1_3repE0EEENS1_47radix_sort_onesweep_sort_config_static_selectorELNS0_4arch9wavefront6targetE1EEEvSI_.num_vgpr, 89
	.set _ZN7rocprim17ROCPRIM_400000_NS6detail17trampoline_kernelINS0_14default_configENS1_35radix_sort_onesweep_config_selectorIjjEEZZNS1_29radix_sort_onesweep_iterationIS3_Lb0EN6thrust23THRUST_200600_302600_NS6detail15normal_iteratorINS8_10device_ptrIjEEEESD_SD_SD_jNS0_19identity_decomposerENS1_16block_id_wrapperIjLb1EEEEE10hipError_tT1_PNSt15iterator_traitsISI_E10value_typeET2_T3_PNSJ_ISO_E10value_typeET4_T5_PST_SU_PNS1_23onesweep_lookback_stateEbbT6_jjT7_P12ihipStream_tbENKUlT_T0_SI_SN_E_clIPjSD_S15_SD_EEDaS11_S12_SI_SN_EUlS11_E_NS1_11comp_targetILNS1_3genE6ELNS1_11target_archE950ELNS1_3gpuE13ELNS1_3repE0EEENS1_47radix_sort_onesweep_sort_config_static_selectorELNS0_4arch9wavefront6targetE1EEEvSI_.num_agpr, 0
	.set _ZN7rocprim17ROCPRIM_400000_NS6detail17trampoline_kernelINS0_14default_configENS1_35radix_sort_onesweep_config_selectorIjjEEZZNS1_29radix_sort_onesweep_iterationIS3_Lb0EN6thrust23THRUST_200600_302600_NS6detail15normal_iteratorINS8_10device_ptrIjEEEESD_SD_SD_jNS0_19identity_decomposerENS1_16block_id_wrapperIjLb1EEEEE10hipError_tT1_PNSt15iterator_traitsISI_E10value_typeET2_T3_PNSJ_ISO_E10value_typeET4_T5_PST_SU_PNS1_23onesweep_lookback_stateEbbT6_jjT7_P12ihipStream_tbENKUlT_T0_SI_SN_E_clIPjSD_S15_SD_EEDaS11_S12_SI_SN_EUlS11_E_NS1_11comp_targetILNS1_3genE6ELNS1_11target_archE950ELNS1_3gpuE13ELNS1_3repE0EEENS1_47radix_sort_onesweep_sort_config_static_selectorELNS0_4arch9wavefront6targetE1EEEvSI_.numbered_sgpr, 73
	.set _ZN7rocprim17ROCPRIM_400000_NS6detail17trampoline_kernelINS0_14default_configENS1_35radix_sort_onesweep_config_selectorIjjEEZZNS1_29radix_sort_onesweep_iterationIS3_Lb0EN6thrust23THRUST_200600_302600_NS6detail15normal_iteratorINS8_10device_ptrIjEEEESD_SD_SD_jNS0_19identity_decomposerENS1_16block_id_wrapperIjLb1EEEEE10hipError_tT1_PNSt15iterator_traitsISI_E10value_typeET2_T3_PNSJ_ISO_E10value_typeET4_T5_PST_SU_PNS1_23onesweep_lookback_stateEbbT6_jjT7_P12ihipStream_tbENKUlT_T0_SI_SN_E_clIPjSD_S15_SD_EEDaS11_S12_SI_SN_EUlS11_E_NS1_11comp_targetILNS1_3genE6ELNS1_11target_archE950ELNS1_3gpuE13ELNS1_3repE0EEENS1_47radix_sort_onesweep_sort_config_static_selectorELNS0_4arch9wavefront6targetE1EEEvSI_.num_named_barrier, 0
	.set _ZN7rocprim17ROCPRIM_400000_NS6detail17trampoline_kernelINS0_14default_configENS1_35radix_sort_onesweep_config_selectorIjjEEZZNS1_29radix_sort_onesweep_iterationIS3_Lb0EN6thrust23THRUST_200600_302600_NS6detail15normal_iteratorINS8_10device_ptrIjEEEESD_SD_SD_jNS0_19identity_decomposerENS1_16block_id_wrapperIjLb1EEEEE10hipError_tT1_PNSt15iterator_traitsISI_E10value_typeET2_T3_PNSJ_ISO_E10value_typeET4_T5_PST_SU_PNS1_23onesweep_lookback_stateEbbT6_jjT7_P12ihipStream_tbENKUlT_T0_SI_SN_E_clIPjSD_S15_SD_EEDaS11_S12_SI_SN_EUlS11_E_NS1_11comp_targetILNS1_3genE6ELNS1_11target_archE950ELNS1_3gpuE13ELNS1_3repE0EEENS1_47radix_sort_onesweep_sort_config_static_selectorELNS0_4arch9wavefront6targetE1EEEvSI_.private_seg_size, 80
	.set _ZN7rocprim17ROCPRIM_400000_NS6detail17trampoline_kernelINS0_14default_configENS1_35radix_sort_onesweep_config_selectorIjjEEZZNS1_29radix_sort_onesweep_iterationIS3_Lb0EN6thrust23THRUST_200600_302600_NS6detail15normal_iteratorINS8_10device_ptrIjEEEESD_SD_SD_jNS0_19identity_decomposerENS1_16block_id_wrapperIjLb1EEEEE10hipError_tT1_PNSt15iterator_traitsISI_E10value_typeET2_T3_PNSJ_ISO_E10value_typeET4_T5_PST_SU_PNS1_23onesweep_lookback_stateEbbT6_jjT7_P12ihipStream_tbENKUlT_T0_SI_SN_E_clIPjSD_S15_SD_EEDaS11_S12_SI_SN_EUlS11_E_NS1_11comp_targetILNS1_3genE6ELNS1_11target_archE950ELNS1_3gpuE13ELNS1_3repE0EEENS1_47radix_sort_onesweep_sort_config_static_selectorELNS0_4arch9wavefront6targetE1EEEvSI_.uses_vcc, 1
	.set _ZN7rocprim17ROCPRIM_400000_NS6detail17trampoline_kernelINS0_14default_configENS1_35radix_sort_onesweep_config_selectorIjjEEZZNS1_29radix_sort_onesweep_iterationIS3_Lb0EN6thrust23THRUST_200600_302600_NS6detail15normal_iteratorINS8_10device_ptrIjEEEESD_SD_SD_jNS0_19identity_decomposerENS1_16block_id_wrapperIjLb1EEEEE10hipError_tT1_PNSt15iterator_traitsISI_E10value_typeET2_T3_PNSJ_ISO_E10value_typeET4_T5_PST_SU_PNS1_23onesweep_lookback_stateEbbT6_jjT7_P12ihipStream_tbENKUlT_T0_SI_SN_E_clIPjSD_S15_SD_EEDaS11_S12_SI_SN_EUlS11_E_NS1_11comp_targetILNS1_3genE6ELNS1_11target_archE950ELNS1_3gpuE13ELNS1_3repE0EEENS1_47radix_sort_onesweep_sort_config_static_selectorELNS0_4arch9wavefront6targetE1EEEvSI_.uses_flat_scratch, 0
	.set _ZN7rocprim17ROCPRIM_400000_NS6detail17trampoline_kernelINS0_14default_configENS1_35radix_sort_onesweep_config_selectorIjjEEZZNS1_29radix_sort_onesweep_iterationIS3_Lb0EN6thrust23THRUST_200600_302600_NS6detail15normal_iteratorINS8_10device_ptrIjEEEESD_SD_SD_jNS0_19identity_decomposerENS1_16block_id_wrapperIjLb1EEEEE10hipError_tT1_PNSt15iterator_traitsISI_E10value_typeET2_T3_PNSJ_ISO_E10value_typeET4_T5_PST_SU_PNS1_23onesweep_lookback_stateEbbT6_jjT7_P12ihipStream_tbENKUlT_T0_SI_SN_E_clIPjSD_S15_SD_EEDaS11_S12_SI_SN_EUlS11_E_NS1_11comp_targetILNS1_3genE6ELNS1_11target_archE950ELNS1_3gpuE13ELNS1_3repE0EEENS1_47radix_sort_onesweep_sort_config_static_selectorELNS0_4arch9wavefront6targetE1EEEvSI_.has_dyn_sized_stack, 0
	.set _ZN7rocprim17ROCPRIM_400000_NS6detail17trampoline_kernelINS0_14default_configENS1_35radix_sort_onesweep_config_selectorIjjEEZZNS1_29radix_sort_onesweep_iterationIS3_Lb0EN6thrust23THRUST_200600_302600_NS6detail15normal_iteratorINS8_10device_ptrIjEEEESD_SD_SD_jNS0_19identity_decomposerENS1_16block_id_wrapperIjLb1EEEEE10hipError_tT1_PNSt15iterator_traitsISI_E10value_typeET2_T3_PNSJ_ISO_E10value_typeET4_T5_PST_SU_PNS1_23onesweep_lookback_stateEbbT6_jjT7_P12ihipStream_tbENKUlT_T0_SI_SN_E_clIPjSD_S15_SD_EEDaS11_S12_SI_SN_EUlS11_E_NS1_11comp_targetILNS1_3genE6ELNS1_11target_archE950ELNS1_3gpuE13ELNS1_3repE0EEENS1_47radix_sort_onesweep_sort_config_static_selectorELNS0_4arch9wavefront6targetE1EEEvSI_.has_recursion, 0
	.set _ZN7rocprim17ROCPRIM_400000_NS6detail17trampoline_kernelINS0_14default_configENS1_35radix_sort_onesweep_config_selectorIjjEEZZNS1_29radix_sort_onesweep_iterationIS3_Lb0EN6thrust23THRUST_200600_302600_NS6detail15normal_iteratorINS8_10device_ptrIjEEEESD_SD_SD_jNS0_19identity_decomposerENS1_16block_id_wrapperIjLb1EEEEE10hipError_tT1_PNSt15iterator_traitsISI_E10value_typeET2_T3_PNSJ_ISO_E10value_typeET4_T5_PST_SU_PNS1_23onesweep_lookback_stateEbbT6_jjT7_P12ihipStream_tbENKUlT_T0_SI_SN_E_clIPjSD_S15_SD_EEDaS11_S12_SI_SN_EUlS11_E_NS1_11comp_targetILNS1_3genE6ELNS1_11target_archE950ELNS1_3gpuE13ELNS1_3repE0EEENS1_47radix_sort_onesweep_sort_config_static_selectorELNS0_4arch9wavefront6targetE1EEEvSI_.has_indirect_call, 0
	.section	.AMDGPU.csdata,"",@progbits
; Kernel info:
; codeLenInByte = 22208
; TotalNumSgprs: 79
; NumVgprs: 89
; NumAgprs: 0
; TotalNumVgprs: 89
; ScratchSize: 80
; MemoryBound: 0
; FloatMode: 240
; IeeeMode: 1
; LDSByteSize: 20552 bytes/workgroup (compile time only)
; SGPRBlocks: 9
; VGPRBlocks: 11
; NumSGPRsForWavesPerEU: 79
; NumVGPRsForWavesPerEU: 89
; AccumOffset: 92
; Occupancy: 5
; WaveLimiterHint : 1
; COMPUTE_PGM_RSRC2:SCRATCH_EN: 1
; COMPUTE_PGM_RSRC2:USER_SGPR: 2
; COMPUTE_PGM_RSRC2:TRAP_HANDLER: 0
; COMPUTE_PGM_RSRC2:TGID_X_EN: 1
; COMPUTE_PGM_RSRC2:TGID_Y_EN: 0
; COMPUTE_PGM_RSRC2:TGID_Z_EN: 0
; COMPUTE_PGM_RSRC2:TIDIG_COMP_CNT: 2
; COMPUTE_PGM_RSRC3_GFX90A:ACCUM_OFFSET: 22
; COMPUTE_PGM_RSRC3_GFX90A:TG_SPLIT: 0
	.section	.text._ZN7rocprim17ROCPRIM_400000_NS6detail17trampoline_kernelINS0_14default_configENS1_35radix_sort_onesweep_config_selectorIjjEEZZNS1_29radix_sort_onesweep_iterationIS3_Lb0EN6thrust23THRUST_200600_302600_NS6detail15normal_iteratorINS8_10device_ptrIjEEEESD_SD_SD_jNS0_19identity_decomposerENS1_16block_id_wrapperIjLb1EEEEE10hipError_tT1_PNSt15iterator_traitsISI_E10value_typeET2_T3_PNSJ_ISO_E10value_typeET4_T5_PST_SU_PNS1_23onesweep_lookback_stateEbbT6_jjT7_P12ihipStream_tbENKUlT_T0_SI_SN_E_clIPjSD_S15_SD_EEDaS11_S12_SI_SN_EUlS11_E_NS1_11comp_targetILNS1_3genE5ELNS1_11target_archE942ELNS1_3gpuE9ELNS1_3repE0EEENS1_47radix_sort_onesweep_sort_config_static_selectorELNS0_4arch9wavefront6targetE1EEEvSI_,"axG",@progbits,_ZN7rocprim17ROCPRIM_400000_NS6detail17trampoline_kernelINS0_14default_configENS1_35radix_sort_onesweep_config_selectorIjjEEZZNS1_29radix_sort_onesweep_iterationIS3_Lb0EN6thrust23THRUST_200600_302600_NS6detail15normal_iteratorINS8_10device_ptrIjEEEESD_SD_SD_jNS0_19identity_decomposerENS1_16block_id_wrapperIjLb1EEEEE10hipError_tT1_PNSt15iterator_traitsISI_E10value_typeET2_T3_PNSJ_ISO_E10value_typeET4_T5_PST_SU_PNS1_23onesweep_lookback_stateEbbT6_jjT7_P12ihipStream_tbENKUlT_T0_SI_SN_E_clIPjSD_S15_SD_EEDaS11_S12_SI_SN_EUlS11_E_NS1_11comp_targetILNS1_3genE5ELNS1_11target_archE942ELNS1_3gpuE9ELNS1_3repE0EEENS1_47radix_sort_onesweep_sort_config_static_selectorELNS0_4arch9wavefront6targetE1EEEvSI_,comdat
	.protected	_ZN7rocprim17ROCPRIM_400000_NS6detail17trampoline_kernelINS0_14default_configENS1_35radix_sort_onesweep_config_selectorIjjEEZZNS1_29radix_sort_onesweep_iterationIS3_Lb0EN6thrust23THRUST_200600_302600_NS6detail15normal_iteratorINS8_10device_ptrIjEEEESD_SD_SD_jNS0_19identity_decomposerENS1_16block_id_wrapperIjLb1EEEEE10hipError_tT1_PNSt15iterator_traitsISI_E10value_typeET2_T3_PNSJ_ISO_E10value_typeET4_T5_PST_SU_PNS1_23onesweep_lookback_stateEbbT6_jjT7_P12ihipStream_tbENKUlT_T0_SI_SN_E_clIPjSD_S15_SD_EEDaS11_S12_SI_SN_EUlS11_E_NS1_11comp_targetILNS1_3genE5ELNS1_11target_archE942ELNS1_3gpuE9ELNS1_3repE0EEENS1_47radix_sort_onesweep_sort_config_static_selectorELNS0_4arch9wavefront6targetE1EEEvSI_ ; -- Begin function _ZN7rocprim17ROCPRIM_400000_NS6detail17trampoline_kernelINS0_14default_configENS1_35radix_sort_onesweep_config_selectorIjjEEZZNS1_29radix_sort_onesweep_iterationIS3_Lb0EN6thrust23THRUST_200600_302600_NS6detail15normal_iteratorINS8_10device_ptrIjEEEESD_SD_SD_jNS0_19identity_decomposerENS1_16block_id_wrapperIjLb1EEEEE10hipError_tT1_PNSt15iterator_traitsISI_E10value_typeET2_T3_PNSJ_ISO_E10value_typeET4_T5_PST_SU_PNS1_23onesweep_lookback_stateEbbT6_jjT7_P12ihipStream_tbENKUlT_T0_SI_SN_E_clIPjSD_S15_SD_EEDaS11_S12_SI_SN_EUlS11_E_NS1_11comp_targetILNS1_3genE5ELNS1_11target_archE942ELNS1_3gpuE9ELNS1_3repE0EEENS1_47radix_sort_onesweep_sort_config_static_selectorELNS0_4arch9wavefront6targetE1EEEvSI_
	.globl	_ZN7rocprim17ROCPRIM_400000_NS6detail17trampoline_kernelINS0_14default_configENS1_35radix_sort_onesweep_config_selectorIjjEEZZNS1_29radix_sort_onesweep_iterationIS3_Lb0EN6thrust23THRUST_200600_302600_NS6detail15normal_iteratorINS8_10device_ptrIjEEEESD_SD_SD_jNS0_19identity_decomposerENS1_16block_id_wrapperIjLb1EEEEE10hipError_tT1_PNSt15iterator_traitsISI_E10value_typeET2_T3_PNSJ_ISO_E10value_typeET4_T5_PST_SU_PNS1_23onesweep_lookback_stateEbbT6_jjT7_P12ihipStream_tbENKUlT_T0_SI_SN_E_clIPjSD_S15_SD_EEDaS11_S12_SI_SN_EUlS11_E_NS1_11comp_targetILNS1_3genE5ELNS1_11target_archE942ELNS1_3gpuE9ELNS1_3repE0EEENS1_47radix_sort_onesweep_sort_config_static_selectorELNS0_4arch9wavefront6targetE1EEEvSI_
	.p2align	8
	.type	_ZN7rocprim17ROCPRIM_400000_NS6detail17trampoline_kernelINS0_14default_configENS1_35radix_sort_onesweep_config_selectorIjjEEZZNS1_29radix_sort_onesweep_iterationIS3_Lb0EN6thrust23THRUST_200600_302600_NS6detail15normal_iteratorINS8_10device_ptrIjEEEESD_SD_SD_jNS0_19identity_decomposerENS1_16block_id_wrapperIjLb1EEEEE10hipError_tT1_PNSt15iterator_traitsISI_E10value_typeET2_T3_PNSJ_ISO_E10value_typeET4_T5_PST_SU_PNS1_23onesweep_lookback_stateEbbT6_jjT7_P12ihipStream_tbENKUlT_T0_SI_SN_E_clIPjSD_S15_SD_EEDaS11_S12_SI_SN_EUlS11_E_NS1_11comp_targetILNS1_3genE5ELNS1_11target_archE942ELNS1_3gpuE9ELNS1_3repE0EEENS1_47radix_sort_onesweep_sort_config_static_selectorELNS0_4arch9wavefront6targetE1EEEvSI_,@function
_ZN7rocprim17ROCPRIM_400000_NS6detail17trampoline_kernelINS0_14default_configENS1_35radix_sort_onesweep_config_selectorIjjEEZZNS1_29radix_sort_onesweep_iterationIS3_Lb0EN6thrust23THRUST_200600_302600_NS6detail15normal_iteratorINS8_10device_ptrIjEEEESD_SD_SD_jNS0_19identity_decomposerENS1_16block_id_wrapperIjLb1EEEEE10hipError_tT1_PNSt15iterator_traitsISI_E10value_typeET2_T3_PNSJ_ISO_E10value_typeET4_T5_PST_SU_PNS1_23onesweep_lookback_stateEbbT6_jjT7_P12ihipStream_tbENKUlT_T0_SI_SN_E_clIPjSD_S15_SD_EEDaS11_S12_SI_SN_EUlS11_E_NS1_11comp_targetILNS1_3genE5ELNS1_11target_archE942ELNS1_3gpuE9ELNS1_3repE0EEENS1_47radix_sort_onesweep_sort_config_static_selectorELNS0_4arch9wavefront6targetE1EEEvSI_: ; @_ZN7rocprim17ROCPRIM_400000_NS6detail17trampoline_kernelINS0_14default_configENS1_35radix_sort_onesweep_config_selectorIjjEEZZNS1_29radix_sort_onesweep_iterationIS3_Lb0EN6thrust23THRUST_200600_302600_NS6detail15normal_iteratorINS8_10device_ptrIjEEEESD_SD_SD_jNS0_19identity_decomposerENS1_16block_id_wrapperIjLb1EEEEE10hipError_tT1_PNSt15iterator_traitsISI_E10value_typeET2_T3_PNSJ_ISO_E10value_typeET4_T5_PST_SU_PNS1_23onesweep_lookback_stateEbbT6_jjT7_P12ihipStream_tbENKUlT_T0_SI_SN_E_clIPjSD_S15_SD_EEDaS11_S12_SI_SN_EUlS11_E_NS1_11comp_targetILNS1_3genE5ELNS1_11target_archE942ELNS1_3gpuE9ELNS1_3repE0EEENS1_47radix_sort_onesweep_sort_config_static_selectorELNS0_4arch9wavefront6targetE1EEEvSI_
; %bb.0:
	.section	.rodata,"a",@progbits
	.p2align	6, 0x0
	.amdhsa_kernel _ZN7rocprim17ROCPRIM_400000_NS6detail17trampoline_kernelINS0_14default_configENS1_35radix_sort_onesweep_config_selectorIjjEEZZNS1_29radix_sort_onesweep_iterationIS3_Lb0EN6thrust23THRUST_200600_302600_NS6detail15normal_iteratorINS8_10device_ptrIjEEEESD_SD_SD_jNS0_19identity_decomposerENS1_16block_id_wrapperIjLb1EEEEE10hipError_tT1_PNSt15iterator_traitsISI_E10value_typeET2_T3_PNSJ_ISO_E10value_typeET4_T5_PST_SU_PNS1_23onesweep_lookback_stateEbbT6_jjT7_P12ihipStream_tbENKUlT_T0_SI_SN_E_clIPjSD_S15_SD_EEDaS11_S12_SI_SN_EUlS11_E_NS1_11comp_targetILNS1_3genE5ELNS1_11target_archE942ELNS1_3gpuE9ELNS1_3repE0EEENS1_47radix_sort_onesweep_sort_config_static_selectorELNS0_4arch9wavefront6targetE1EEEvSI_
		.amdhsa_group_segment_fixed_size 0
		.amdhsa_private_segment_fixed_size 0
		.amdhsa_kernarg_size 88
		.amdhsa_user_sgpr_count 2
		.amdhsa_user_sgpr_dispatch_ptr 0
		.amdhsa_user_sgpr_queue_ptr 0
		.amdhsa_user_sgpr_kernarg_segment_ptr 1
		.amdhsa_user_sgpr_dispatch_id 0
		.amdhsa_user_sgpr_kernarg_preload_length 0
		.amdhsa_user_sgpr_kernarg_preload_offset 0
		.amdhsa_user_sgpr_private_segment_size 0
		.amdhsa_uses_dynamic_stack 0
		.amdhsa_enable_private_segment 0
		.amdhsa_system_sgpr_workgroup_id_x 1
		.amdhsa_system_sgpr_workgroup_id_y 0
		.amdhsa_system_sgpr_workgroup_id_z 0
		.amdhsa_system_sgpr_workgroup_info 0
		.amdhsa_system_vgpr_workitem_id 0
		.amdhsa_next_free_vgpr 1
		.amdhsa_next_free_sgpr 0
		.amdhsa_accum_offset 4
		.amdhsa_reserve_vcc 0
		.amdhsa_float_round_mode_32 0
		.amdhsa_float_round_mode_16_64 0
		.amdhsa_float_denorm_mode_32 3
		.amdhsa_float_denorm_mode_16_64 3
		.amdhsa_dx10_clamp 1
		.amdhsa_ieee_mode 1
		.amdhsa_fp16_overflow 0
		.amdhsa_tg_split 0
		.amdhsa_exception_fp_ieee_invalid_op 0
		.amdhsa_exception_fp_denorm_src 0
		.amdhsa_exception_fp_ieee_div_zero 0
		.amdhsa_exception_fp_ieee_overflow 0
		.amdhsa_exception_fp_ieee_underflow 0
		.amdhsa_exception_fp_ieee_inexact 0
		.amdhsa_exception_int_div_zero 0
	.end_amdhsa_kernel
	.section	.text._ZN7rocprim17ROCPRIM_400000_NS6detail17trampoline_kernelINS0_14default_configENS1_35radix_sort_onesweep_config_selectorIjjEEZZNS1_29radix_sort_onesweep_iterationIS3_Lb0EN6thrust23THRUST_200600_302600_NS6detail15normal_iteratorINS8_10device_ptrIjEEEESD_SD_SD_jNS0_19identity_decomposerENS1_16block_id_wrapperIjLb1EEEEE10hipError_tT1_PNSt15iterator_traitsISI_E10value_typeET2_T3_PNSJ_ISO_E10value_typeET4_T5_PST_SU_PNS1_23onesweep_lookback_stateEbbT6_jjT7_P12ihipStream_tbENKUlT_T0_SI_SN_E_clIPjSD_S15_SD_EEDaS11_S12_SI_SN_EUlS11_E_NS1_11comp_targetILNS1_3genE5ELNS1_11target_archE942ELNS1_3gpuE9ELNS1_3repE0EEENS1_47radix_sort_onesweep_sort_config_static_selectorELNS0_4arch9wavefront6targetE1EEEvSI_,"axG",@progbits,_ZN7rocprim17ROCPRIM_400000_NS6detail17trampoline_kernelINS0_14default_configENS1_35radix_sort_onesweep_config_selectorIjjEEZZNS1_29radix_sort_onesweep_iterationIS3_Lb0EN6thrust23THRUST_200600_302600_NS6detail15normal_iteratorINS8_10device_ptrIjEEEESD_SD_SD_jNS0_19identity_decomposerENS1_16block_id_wrapperIjLb1EEEEE10hipError_tT1_PNSt15iterator_traitsISI_E10value_typeET2_T3_PNSJ_ISO_E10value_typeET4_T5_PST_SU_PNS1_23onesweep_lookback_stateEbbT6_jjT7_P12ihipStream_tbENKUlT_T0_SI_SN_E_clIPjSD_S15_SD_EEDaS11_S12_SI_SN_EUlS11_E_NS1_11comp_targetILNS1_3genE5ELNS1_11target_archE942ELNS1_3gpuE9ELNS1_3repE0EEENS1_47radix_sort_onesweep_sort_config_static_selectorELNS0_4arch9wavefront6targetE1EEEvSI_,comdat
.Lfunc_end771:
	.size	_ZN7rocprim17ROCPRIM_400000_NS6detail17trampoline_kernelINS0_14default_configENS1_35radix_sort_onesweep_config_selectorIjjEEZZNS1_29radix_sort_onesweep_iterationIS3_Lb0EN6thrust23THRUST_200600_302600_NS6detail15normal_iteratorINS8_10device_ptrIjEEEESD_SD_SD_jNS0_19identity_decomposerENS1_16block_id_wrapperIjLb1EEEEE10hipError_tT1_PNSt15iterator_traitsISI_E10value_typeET2_T3_PNSJ_ISO_E10value_typeET4_T5_PST_SU_PNS1_23onesweep_lookback_stateEbbT6_jjT7_P12ihipStream_tbENKUlT_T0_SI_SN_E_clIPjSD_S15_SD_EEDaS11_S12_SI_SN_EUlS11_E_NS1_11comp_targetILNS1_3genE5ELNS1_11target_archE942ELNS1_3gpuE9ELNS1_3repE0EEENS1_47radix_sort_onesweep_sort_config_static_selectorELNS0_4arch9wavefront6targetE1EEEvSI_, .Lfunc_end771-_ZN7rocprim17ROCPRIM_400000_NS6detail17trampoline_kernelINS0_14default_configENS1_35radix_sort_onesweep_config_selectorIjjEEZZNS1_29radix_sort_onesweep_iterationIS3_Lb0EN6thrust23THRUST_200600_302600_NS6detail15normal_iteratorINS8_10device_ptrIjEEEESD_SD_SD_jNS0_19identity_decomposerENS1_16block_id_wrapperIjLb1EEEEE10hipError_tT1_PNSt15iterator_traitsISI_E10value_typeET2_T3_PNSJ_ISO_E10value_typeET4_T5_PST_SU_PNS1_23onesweep_lookback_stateEbbT6_jjT7_P12ihipStream_tbENKUlT_T0_SI_SN_E_clIPjSD_S15_SD_EEDaS11_S12_SI_SN_EUlS11_E_NS1_11comp_targetILNS1_3genE5ELNS1_11target_archE942ELNS1_3gpuE9ELNS1_3repE0EEENS1_47radix_sort_onesweep_sort_config_static_selectorELNS0_4arch9wavefront6targetE1EEEvSI_
                                        ; -- End function
	.set _ZN7rocprim17ROCPRIM_400000_NS6detail17trampoline_kernelINS0_14default_configENS1_35radix_sort_onesweep_config_selectorIjjEEZZNS1_29radix_sort_onesweep_iterationIS3_Lb0EN6thrust23THRUST_200600_302600_NS6detail15normal_iteratorINS8_10device_ptrIjEEEESD_SD_SD_jNS0_19identity_decomposerENS1_16block_id_wrapperIjLb1EEEEE10hipError_tT1_PNSt15iterator_traitsISI_E10value_typeET2_T3_PNSJ_ISO_E10value_typeET4_T5_PST_SU_PNS1_23onesweep_lookback_stateEbbT6_jjT7_P12ihipStream_tbENKUlT_T0_SI_SN_E_clIPjSD_S15_SD_EEDaS11_S12_SI_SN_EUlS11_E_NS1_11comp_targetILNS1_3genE5ELNS1_11target_archE942ELNS1_3gpuE9ELNS1_3repE0EEENS1_47radix_sort_onesweep_sort_config_static_selectorELNS0_4arch9wavefront6targetE1EEEvSI_.num_vgpr, 0
	.set _ZN7rocprim17ROCPRIM_400000_NS6detail17trampoline_kernelINS0_14default_configENS1_35radix_sort_onesweep_config_selectorIjjEEZZNS1_29radix_sort_onesweep_iterationIS3_Lb0EN6thrust23THRUST_200600_302600_NS6detail15normal_iteratorINS8_10device_ptrIjEEEESD_SD_SD_jNS0_19identity_decomposerENS1_16block_id_wrapperIjLb1EEEEE10hipError_tT1_PNSt15iterator_traitsISI_E10value_typeET2_T3_PNSJ_ISO_E10value_typeET4_T5_PST_SU_PNS1_23onesweep_lookback_stateEbbT6_jjT7_P12ihipStream_tbENKUlT_T0_SI_SN_E_clIPjSD_S15_SD_EEDaS11_S12_SI_SN_EUlS11_E_NS1_11comp_targetILNS1_3genE5ELNS1_11target_archE942ELNS1_3gpuE9ELNS1_3repE0EEENS1_47radix_sort_onesweep_sort_config_static_selectorELNS0_4arch9wavefront6targetE1EEEvSI_.num_agpr, 0
	.set _ZN7rocprim17ROCPRIM_400000_NS6detail17trampoline_kernelINS0_14default_configENS1_35radix_sort_onesweep_config_selectorIjjEEZZNS1_29radix_sort_onesweep_iterationIS3_Lb0EN6thrust23THRUST_200600_302600_NS6detail15normal_iteratorINS8_10device_ptrIjEEEESD_SD_SD_jNS0_19identity_decomposerENS1_16block_id_wrapperIjLb1EEEEE10hipError_tT1_PNSt15iterator_traitsISI_E10value_typeET2_T3_PNSJ_ISO_E10value_typeET4_T5_PST_SU_PNS1_23onesweep_lookback_stateEbbT6_jjT7_P12ihipStream_tbENKUlT_T0_SI_SN_E_clIPjSD_S15_SD_EEDaS11_S12_SI_SN_EUlS11_E_NS1_11comp_targetILNS1_3genE5ELNS1_11target_archE942ELNS1_3gpuE9ELNS1_3repE0EEENS1_47radix_sort_onesweep_sort_config_static_selectorELNS0_4arch9wavefront6targetE1EEEvSI_.numbered_sgpr, 0
	.set _ZN7rocprim17ROCPRIM_400000_NS6detail17trampoline_kernelINS0_14default_configENS1_35radix_sort_onesweep_config_selectorIjjEEZZNS1_29radix_sort_onesweep_iterationIS3_Lb0EN6thrust23THRUST_200600_302600_NS6detail15normal_iteratorINS8_10device_ptrIjEEEESD_SD_SD_jNS0_19identity_decomposerENS1_16block_id_wrapperIjLb1EEEEE10hipError_tT1_PNSt15iterator_traitsISI_E10value_typeET2_T3_PNSJ_ISO_E10value_typeET4_T5_PST_SU_PNS1_23onesweep_lookback_stateEbbT6_jjT7_P12ihipStream_tbENKUlT_T0_SI_SN_E_clIPjSD_S15_SD_EEDaS11_S12_SI_SN_EUlS11_E_NS1_11comp_targetILNS1_3genE5ELNS1_11target_archE942ELNS1_3gpuE9ELNS1_3repE0EEENS1_47radix_sort_onesweep_sort_config_static_selectorELNS0_4arch9wavefront6targetE1EEEvSI_.num_named_barrier, 0
	.set _ZN7rocprim17ROCPRIM_400000_NS6detail17trampoline_kernelINS0_14default_configENS1_35radix_sort_onesweep_config_selectorIjjEEZZNS1_29radix_sort_onesweep_iterationIS3_Lb0EN6thrust23THRUST_200600_302600_NS6detail15normal_iteratorINS8_10device_ptrIjEEEESD_SD_SD_jNS0_19identity_decomposerENS1_16block_id_wrapperIjLb1EEEEE10hipError_tT1_PNSt15iterator_traitsISI_E10value_typeET2_T3_PNSJ_ISO_E10value_typeET4_T5_PST_SU_PNS1_23onesweep_lookback_stateEbbT6_jjT7_P12ihipStream_tbENKUlT_T0_SI_SN_E_clIPjSD_S15_SD_EEDaS11_S12_SI_SN_EUlS11_E_NS1_11comp_targetILNS1_3genE5ELNS1_11target_archE942ELNS1_3gpuE9ELNS1_3repE0EEENS1_47radix_sort_onesweep_sort_config_static_selectorELNS0_4arch9wavefront6targetE1EEEvSI_.private_seg_size, 0
	.set _ZN7rocprim17ROCPRIM_400000_NS6detail17trampoline_kernelINS0_14default_configENS1_35radix_sort_onesweep_config_selectorIjjEEZZNS1_29radix_sort_onesweep_iterationIS3_Lb0EN6thrust23THRUST_200600_302600_NS6detail15normal_iteratorINS8_10device_ptrIjEEEESD_SD_SD_jNS0_19identity_decomposerENS1_16block_id_wrapperIjLb1EEEEE10hipError_tT1_PNSt15iterator_traitsISI_E10value_typeET2_T3_PNSJ_ISO_E10value_typeET4_T5_PST_SU_PNS1_23onesweep_lookback_stateEbbT6_jjT7_P12ihipStream_tbENKUlT_T0_SI_SN_E_clIPjSD_S15_SD_EEDaS11_S12_SI_SN_EUlS11_E_NS1_11comp_targetILNS1_3genE5ELNS1_11target_archE942ELNS1_3gpuE9ELNS1_3repE0EEENS1_47radix_sort_onesweep_sort_config_static_selectorELNS0_4arch9wavefront6targetE1EEEvSI_.uses_vcc, 0
	.set _ZN7rocprim17ROCPRIM_400000_NS6detail17trampoline_kernelINS0_14default_configENS1_35radix_sort_onesweep_config_selectorIjjEEZZNS1_29radix_sort_onesweep_iterationIS3_Lb0EN6thrust23THRUST_200600_302600_NS6detail15normal_iteratorINS8_10device_ptrIjEEEESD_SD_SD_jNS0_19identity_decomposerENS1_16block_id_wrapperIjLb1EEEEE10hipError_tT1_PNSt15iterator_traitsISI_E10value_typeET2_T3_PNSJ_ISO_E10value_typeET4_T5_PST_SU_PNS1_23onesweep_lookback_stateEbbT6_jjT7_P12ihipStream_tbENKUlT_T0_SI_SN_E_clIPjSD_S15_SD_EEDaS11_S12_SI_SN_EUlS11_E_NS1_11comp_targetILNS1_3genE5ELNS1_11target_archE942ELNS1_3gpuE9ELNS1_3repE0EEENS1_47radix_sort_onesweep_sort_config_static_selectorELNS0_4arch9wavefront6targetE1EEEvSI_.uses_flat_scratch, 0
	.set _ZN7rocprim17ROCPRIM_400000_NS6detail17trampoline_kernelINS0_14default_configENS1_35radix_sort_onesweep_config_selectorIjjEEZZNS1_29radix_sort_onesweep_iterationIS3_Lb0EN6thrust23THRUST_200600_302600_NS6detail15normal_iteratorINS8_10device_ptrIjEEEESD_SD_SD_jNS0_19identity_decomposerENS1_16block_id_wrapperIjLb1EEEEE10hipError_tT1_PNSt15iterator_traitsISI_E10value_typeET2_T3_PNSJ_ISO_E10value_typeET4_T5_PST_SU_PNS1_23onesweep_lookback_stateEbbT6_jjT7_P12ihipStream_tbENKUlT_T0_SI_SN_E_clIPjSD_S15_SD_EEDaS11_S12_SI_SN_EUlS11_E_NS1_11comp_targetILNS1_3genE5ELNS1_11target_archE942ELNS1_3gpuE9ELNS1_3repE0EEENS1_47radix_sort_onesweep_sort_config_static_selectorELNS0_4arch9wavefront6targetE1EEEvSI_.has_dyn_sized_stack, 0
	.set _ZN7rocprim17ROCPRIM_400000_NS6detail17trampoline_kernelINS0_14default_configENS1_35radix_sort_onesweep_config_selectorIjjEEZZNS1_29radix_sort_onesweep_iterationIS3_Lb0EN6thrust23THRUST_200600_302600_NS6detail15normal_iteratorINS8_10device_ptrIjEEEESD_SD_SD_jNS0_19identity_decomposerENS1_16block_id_wrapperIjLb1EEEEE10hipError_tT1_PNSt15iterator_traitsISI_E10value_typeET2_T3_PNSJ_ISO_E10value_typeET4_T5_PST_SU_PNS1_23onesweep_lookback_stateEbbT6_jjT7_P12ihipStream_tbENKUlT_T0_SI_SN_E_clIPjSD_S15_SD_EEDaS11_S12_SI_SN_EUlS11_E_NS1_11comp_targetILNS1_3genE5ELNS1_11target_archE942ELNS1_3gpuE9ELNS1_3repE0EEENS1_47radix_sort_onesweep_sort_config_static_selectorELNS0_4arch9wavefront6targetE1EEEvSI_.has_recursion, 0
	.set _ZN7rocprim17ROCPRIM_400000_NS6detail17trampoline_kernelINS0_14default_configENS1_35radix_sort_onesweep_config_selectorIjjEEZZNS1_29radix_sort_onesweep_iterationIS3_Lb0EN6thrust23THRUST_200600_302600_NS6detail15normal_iteratorINS8_10device_ptrIjEEEESD_SD_SD_jNS0_19identity_decomposerENS1_16block_id_wrapperIjLb1EEEEE10hipError_tT1_PNSt15iterator_traitsISI_E10value_typeET2_T3_PNSJ_ISO_E10value_typeET4_T5_PST_SU_PNS1_23onesweep_lookback_stateEbbT6_jjT7_P12ihipStream_tbENKUlT_T0_SI_SN_E_clIPjSD_S15_SD_EEDaS11_S12_SI_SN_EUlS11_E_NS1_11comp_targetILNS1_3genE5ELNS1_11target_archE942ELNS1_3gpuE9ELNS1_3repE0EEENS1_47radix_sort_onesweep_sort_config_static_selectorELNS0_4arch9wavefront6targetE1EEEvSI_.has_indirect_call, 0
	.section	.AMDGPU.csdata,"",@progbits
; Kernel info:
; codeLenInByte = 0
; TotalNumSgprs: 6
; NumVgprs: 0
; NumAgprs: 0
; TotalNumVgprs: 0
; ScratchSize: 0
; MemoryBound: 0
; FloatMode: 240
; IeeeMode: 1
; LDSByteSize: 0 bytes/workgroup (compile time only)
; SGPRBlocks: 0
; VGPRBlocks: 0
; NumSGPRsForWavesPerEU: 6
; NumVGPRsForWavesPerEU: 1
; AccumOffset: 4
; Occupancy: 8
; WaveLimiterHint : 0
; COMPUTE_PGM_RSRC2:SCRATCH_EN: 0
; COMPUTE_PGM_RSRC2:USER_SGPR: 2
; COMPUTE_PGM_RSRC2:TRAP_HANDLER: 0
; COMPUTE_PGM_RSRC2:TGID_X_EN: 1
; COMPUTE_PGM_RSRC2:TGID_Y_EN: 0
; COMPUTE_PGM_RSRC2:TGID_Z_EN: 0
; COMPUTE_PGM_RSRC2:TIDIG_COMP_CNT: 0
; COMPUTE_PGM_RSRC3_GFX90A:ACCUM_OFFSET: 0
; COMPUTE_PGM_RSRC3_GFX90A:TG_SPLIT: 0
	.section	.text._ZN7rocprim17ROCPRIM_400000_NS6detail17trampoline_kernelINS0_14default_configENS1_35radix_sort_onesweep_config_selectorIjjEEZZNS1_29radix_sort_onesweep_iterationIS3_Lb0EN6thrust23THRUST_200600_302600_NS6detail15normal_iteratorINS8_10device_ptrIjEEEESD_SD_SD_jNS0_19identity_decomposerENS1_16block_id_wrapperIjLb1EEEEE10hipError_tT1_PNSt15iterator_traitsISI_E10value_typeET2_T3_PNSJ_ISO_E10value_typeET4_T5_PST_SU_PNS1_23onesweep_lookback_stateEbbT6_jjT7_P12ihipStream_tbENKUlT_T0_SI_SN_E_clIPjSD_S15_SD_EEDaS11_S12_SI_SN_EUlS11_E_NS1_11comp_targetILNS1_3genE2ELNS1_11target_archE906ELNS1_3gpuE6ELNS1_3repE0EEENS1_47radix_sort_onesweep_sort_config_static_selectorELNS0_4arch9wavefront6targetE1EEEvSI_,"axG",@progbits,_ZN7rocprim17ROCPRIM_400000_NS6detail17trampoline_kernelINS0_14default_configENS1_35radix_sort_onesweep_config_selectorIjjEEZZNS1_29radix_sort_onesweep_iterationIS3_Lb0EN6thrust23THRUST_200600_302600_NS6detail15normal_iteratorINS8_10device_ptrIjEEEESD_SD_SD_jNS0_19identity_decomposerENS1_16block_id_wrapperIjLb1EEEEE10hipError_tT1_PNSt15iterator_traitsISI_E10value_typeET2_T3_PNSJ_ISO_E10value_typeET4_T5_PST_SU_PNS1_23onesweep_lookback_stateEbbT6_jjT7_P12ihipStream_tbENKUlT_T0_SI_SN_E_clIPjSD_S15_SD_EEDaS11_S12_SI_SN_EUlS11_E_NS1_11comp_targetILNS1_3genE2ELNS1_11target_archE906ELNS1_3gpuE6ELNS1_3repE0EEENS1_47radix_sort_onesweep_sort_config_static_selectorELNS0_4arch9wavefront6targetE1EEEvSI_,comdat
	.protected	_ZN7rocprim17ROCPRIM_400000_NS6detail17trampoline_kernelINS0_14default_configENS1_35radix_sort_onesweep_config_selectorIjjEEZZNS1_29radix_sort_onesweep_iterationIS3_Lb0EN6thrust23THRUST_200600_302600_NS6detail15normal_iteratorINS8_10device_ptrIjEEEESD_SD_SD_jNS0_19identity_decomposerENS1_16block_id_wrapperIjLb1EEEEE10hipError_tT1_PNSt15iterator_traitsISI_E10value_typeET2_T3_PNSJ_ISO_E10value_typeET4_T5_PST_SU_PNS1_23onesweep_lookback_stateEbbT6_jjT7_P12ihipStream_tbENKUlT_T0_SI_SN_E_clIPjSD_S15_SD_EEDaS11_S12_SI_SN_EUlS11_E_NS1_11comp_targetILNS1_3genE2ELNS1_11target_archE906ELNS1_3gpuE6ELNS1_3repE0EEENS1_47radix_sort_onesweep_sort_config_static_selectorELNS0_4arch9wavefront6targetE1EEEvSI_ ; -- Begin function _ZN7rocprim17ROCPRIM_400000_NS6detail17trampoline_kernelINS0_14default_configENS1_35radix_sort_onesweep_config_selectorIjjEEZZNS1_29radix_sort_onesweep_iterationIS3_Lb0EN6thrust23THRUST_200600_302600_NS6detail15normal_iteratorINS8_10device_ptrIjEEEESD_SD_SD_jNS0_19identity_decomposerENS1_16block_id_wrapperIjLb1EEEEE10hipError_tT1_PNSt15iterator_traitsISI_E10value_typeET2_T3_PNSJ_ISO_E10value_typeET4_T5_PST_SU_PNS1_23onesweep_lookback_stateEbbT6_jjT7_P12ihipStream_tbENKUlT_T0_SI_SN_E_clIPjSD_S15_SD_EEDaS11_S12_SI_SN_EUlS11_E_NS1_11comp_targetILNS1_3genE2ELNS1_11target_archE906ELNS1_3gpuE6ELNS1_3repE0EEENS1_47radix_sort_onesweep_sort_config_static_selectorELNS0_4arch9wavefront6targetE1EEEvSI_
	.globl	_ZN7rocprim17ROCPRIM_400000_NS6detail17trampoline_kernelINS0_14default_configENS1_35radix_sort_onesweep_config_selectorIjjEEZZNS1_29radix_sort_onesweep_iterationIS3_Lb0EN6thrust23THRUST_200600_302600_NS6detail15normal_iteratorINS8_10device_ptrIjEEEESD_SD_SD_jNS0_19identity_decomposerENS1_16block_id_wrapperIjLb1EEEEE10hipError_tT1_PNSt15iterator_traitsISI_E10value_typeET2_T3_PNSJ_ISO_E10value_typeET4_T5_PST_SU_PNS1_23onesweep_lookback_stateEbbT6_jjT7_P12ihipStream_tbENKUlT_T0_SI_SN_E_clIPjSD_S15_SD_EEDaS11_S12_SI_SN_EUlS11_E_NS1_11comp_targetILNS1_3genE2ELNS1_11target_archE906ELNS1_3gpuE6ELNS1_3repE0EEENS1_47radix_sort_onesweep_sort_config_static_selectorELNS0_4arch9wavefront6targetE1EEEvSI_
	.p2align	8
	.type	_ZN7rocprim17ROCPRIM_400000_NS6detail17trampoline_kernelINS0_14default_configENS1_35radix_sort_onesweep_config_selectorIjjEEZZNS1_29radix_sort_onesweep_iterationIS3_Lb0EN6thrust23THRUST_200600_302600_NS6detail15normal_iteratorINS8_10device_ptrIjEEEESD_SD_SD_jNS0_19identity_decomposerENS1_16block_id_wrapperIjLb1EEEEE10hipError_tT1_PNSt15iterator_traitsISI_E10value_typeET2_T3_PNSJ_ISO_E10value_typeET4_T5_PST_SU_PNS1_23onesweep_lookback_stateEbbT6_jjT7_P12ihipStream_tbENKUlT_T0_SI_SN_E_clIPjSD_S15_SD_EEDaS11_S12_SI_SN_EUlS11_E_NS1_11comp_targetILNS1_3genE2ELNS1_11target_archE906ELNS1_3gpuE6ELNS1_3repE0EEENS1_47radix_sort_onesweep_sort_config_static_selectorELNS0_4arch9wavefront6targetE1EEEvSI_,@function
_ZN7rocprim17ROCPRIM_400000_NS6detail17trampoline_kernelINS0_14default_configENS1_35radix_sort_onesweep_config_selectorIjjEEZZNS1_29radix_sort_onesweep_iterationIS3_Lb0EN6thrust23THRUST_200600_302600_NS6detail15normal_iteratorINS8_10device_ptrIjEEEESD_SD_SD_jNS0_19identity_decomposerENS1_16block_id_wrapperIjLb1EEEEE10hipError_tT1_PNSt15iterator_traitsISI_E10value_typeET2_T3_PNSJ_ISO_E10value_typeET4_T5_PST_SU_PNS1_23onesweep_lookback_stateEbbT6_jjT7_P12ihipStream_tbENKUlT_T0_SI_SN_E_clIPjSD_S15_SD_EEDaS11_S12_SI_SN_EUlS11_E_NS1_11comp_targetILNS1_3genE2ELNS1_11target_archE906ELNS1_3gpuE6ELNS1_3repE0EEENS1_47radix_sort_onesweep_sort_config_static_selectorELNS0_4arch9wavefront6targetE1EEEvSI_: ; @_ZN7rocprim17ROCPRIM_400000_NS6detail17trampoline_kernelINS0_14default_configENS1_35radix_sort_onesweep_config_selectorIjjEEZZNS1_29radix_sort_onesweep_iterationIS3_Lb0EN6thrust23THRUST_200600_302600_NS6detail15normal_iteratorINS8_10device_ptrIjEEEESD_SD_SD_jNS0_19identity_decomposerENS1_16block_id_wrapperIjLb1EEEEE10hipError_tT1_PNSt15iterator_traitsISI_E10value_typeET2_T3_PNSJ_ISO_E10value_typeET4_T5_PST_SU_PNS1_23onesweep_lookback_stateEbbT6_jjT7_P12ihipStream_tbENKUlT_T0_SI_SN_E_clIPjSD_S15_SD_EEDaS11_S12_SI_SN_EUlS11_E_NS1_11comp_targetILNS1_3genE2ELNS1_11target_archE906ELNS1_3gpuE6ELNS1_3repE0EEENS1_47radix_sort_onesweep_sort_config_static_selectorELNS0_4arch9wavefront6targetE1EEEvSI_
; %bb.0:
	.section	.rodata,"a",@progbits
	.p2align	6, 0x0
	.amdhsa_kernel _ZN7rocprim17ROCPRIM_400000_NS6detail17trampoline_kernelINS0_14default_configENS1_35radix_sort_onesweep_config_selectorIjjEEZZNS1_29radix_sort_onesweep_iterationIS3_Lb0EN6thrust23THRUST_200600_302600_NS6detail15normal_iteratorINS8_10device_ptrIjEEEESD_SD_SD_jNS0_19identity_decomposerENS1_16block_id_wrapperIjLb1EEEEE10hipError_tT1_PNSt15iterator_traitsISI_E10value_typeET2_T3_PNSJ_ISO_E10value_typeET4_T5_PST_SU_PNS1_23onesweep_lookback_stateEbbT6_jjT7_P12ihipStream_tbENKUlT_T0_SI_SN_E_clIPjSD_S15_SD_EEDaS11_S12_SI_SN_EUlS11_E_NS1_11comp_targetILNS1_3genE2ELNS1_11target_archE906ELNS1_3gpuE6ELNS1_3repE0EEENS1_47radix_sort_onesweep_sort_config_static_selectorELNS0_4arch9wavefront6targetE1EEEvSI_
		.amdhsa_group_segment_fixed_size 0
		.amdhsa_private_segment_fixed_size 0
		.amdhsa_kernarg_size 88
		.amdhsa_user_sgpr_count 2
		.amdhsa_user_sgpr_dispatch_ptr 0
		.amdhsa_user_sgpr_queue_ptr 0
		.amdhsa_user_sgpr_kernarg_segment_ptr 1
		.amdhsa_user_sgpr_dispatch_id 0
		.amdhsa_user_sgpr_kernarg_preload_length 0
		.amdhsa_user_sgpr_kernarg_preload_offset 0
		.amdhsa_user_sgpr_private_segment_size 0
		.amdhsa_uses_dynamic_stack 0
		.amdhsa_enable_private_segment 0
		.amdhsa_system_sgpr_workgroup_id_x 1
		.amdhsa_system_sgpr_workgroup_id_y 0
		.amdhsa_system_sgpr_workgroup_id_z 0
		.amdhsa_system_sgpr_workgroup_info 0
		.amdhsa_system_vgpr_workitem_id 0
		.amdhsa_next_free_vgpr 1
		.amdhsa_next_free_sgpr 0
		.amdhsa_accum_offset 4
		.amdhsa_reserve_vcc 0
		.amdhsa_float_round_mode_32 0
		.amdhsa_float_round_mode_16_64 0
		.amdhsa_float_denorm_mode_32 3
		.amdhsa_float_denorm_mode_16_64 3
		.amdhsa_dx10_clamp 1
		.amdhsa_ieee_mode 1
		.amdhsa_fp16_overflow 0
		.amdhsa_tg_split 0
		.amdhsa_exception_fp_ieee_invalid_op 0
		.amdhsa_exception_fp_denorm_src 0
		.amdhsa_exception_fp_ieee_div_zero 0
		.amdhsa_exception_fp_ieee_overflow 0
		.amdhsa_exception_fp_ieee_underflow 0
		.amdhsa_exception_fp_ieee_inexact 0
		.amdhsa_exception_int_div_zero 0
	.end_amdhsa_kernel
	.section	.text._ZN7rocprim17ROCPRIM_400000_NS6detail17trampoline_kernelINS0_14default_configENS1_35radix_sort_onesweep_config_selectorIjjEEZZNS1_29radix_sort_onesweep_iterationIS3_Lb0EN6thrust23THRUST_200600_302600_NS6detail15normal_iteratorINS8_10device_ptrIjEEEESD_SD_SD_jNS0_19identity_decomposerENS1_16block_id_wrapperIjLb1EEEEE10hipError_tT1_PNSt15iterator_traitsISI_E10value_typeET2_T3_PNSJ_ISO_E10value_typeET4_T5_PST_SU_PNS1_23onesweep_lookback_stateEbbT6_jjT7_P12ihipStream_tbENKUlT_T0_SI_SN_E_clIPjSD_S15_SD_EEDaS11_S12_SI_SN_EUlS11_E_NS1_11comp_targetILNS1_3genE2ELNS1_11target_archE906ELNS1_3gpuE6ELNS1_3repE0EEENS1_47radix_sort_onesweep_sort_config_static_selectorELNS0_4arch9wavefront6targetE1EEEvSI_,"axG",@progbits,_ZN7rocprim17ROCPRIM_400000_NS6detail17trampoline_kernelINS0_14default_configENS1_35radix_sort_onesweep_config_selectorIjjEEZZNS1_29radix_sort_onesweep_iterationIS3_Lb0EN6thrust23THRUST_200600_302600_NS6detail15normal_iteratorINS8_10device_ptrIjEEEESD_SD_SD_jNS0_19identity_decomposerENS1_16block_id_wrapperIjLb1EEEEE10hipError_tT1_PNSt15iterator_traitsISI_E10value_typeET2_T3_PNSJ_ISO_E10value_typeET4_T5_PST_SU_PNS1_23onesweep_lookback_stateEbbT6_jjT7_P12ihipStream_tbENKUlT_T0_SI_SN_E_clIPjSD_S15_SD_EEDaS11_S12_SI_SN_EUlS11_E_NS1_11comp_targetILNS1_3genE2ELNS1_11target_archE906ELNS1_3gpuE6ELNS1_3repE0EEENS1_47radix_sort_onesweep_sort_config_static_selectorELNS0_4arch9wavefront6targetE1EEEvSI_,comdat
.Lfunc_end772:
	.size	_ZN7rocprim17ROCPRIM_400000_NS6detail17trampoline_kernelINS0_14default_configENS1_35radix_sort_onesweep_config_selectorIjjEEZZNS1_29radix_sort_onesweep_iterationIS3_Lb0EN6thrust23THRUST_200600_302600_NS6detail15normal_iteratorINS8_10device_ptrIjEEEESD_SD_SD_jNS0_19identity_decomposerENS1_16block_id_wrapperIjLb1EEEEE10hipError_tT1_PNSt15iterator_traitsISI_E10value_typeET2_T3_PNSJ_ISO_E10value_typeET4_T5_PST_SU_PNS1_23onesweep_lookback_stateEbbT6_jjT7_P12ihipStream_tbENKUlT_T0_SI_SN_E_clIPjSD_S15_SD_EEDaS11_S12_SI_SN_EUlS11_E_NS1_11comp_targetILNS1_3genE2ELNS1_11target_archE906ELNS1_3gpuE6ELNS1_3repE0EEENS1_47radix_sort_onesweep_sort_config_static_selectorELNS0_4arch9wavefront6targetE1EEEvSI_, .Lfunc_end772-_ZN7rocprim17ROCPRIM_400000_NS6detail17trampoline_kernelINS0_14default_configENS1_35radix_sort_onesweep_config_selectorIjjEEZZNS1_29radix_sort_onesweep_iterationIS3_Lb0EN6thrust23THRUST_200600_302600_NS6detail15normal_iteratorINS8_10device_ptrIjEEEESD_SD_SD_jNS0_19identity_decomposerENS1_16block_id_wrapperIjLb1EEEEE10hipError_tT1_PNSt15iterator_traitsISI_E10value_typeET2_T3_PNSJ_ISO_E10value_typeET4_T5_PST_SU_PNS1_23onesweep_lookback_stateEbbT6_jjT7_P12ihipStream_tbENKUlT_T0_SI_SN_E_clIPjSD_S15_SD_EEDaS11_S12_SI_SN_EUlS11_E_NS1_11comp_targetILNS1_3genE2ELNS1_11target_archE906ELNS1_3gpuE6ELNS1_3repE0EEENS1_47radix_sort_onesweep_sort_config_static_selectorELNS0_4arch9wavefront6targetE1EEEvSI_
                                        ; -- End function
	.set _ZN7rocprim17ROCPRIM_400000_NS6detail17trampoline_kernelINS0_14default_configENS1_35radix_sort_onesweep_config_selectorIjjEEZZNS1_29radix_sort_onesweep_iterationIS3_Lb0EN6thrust23THRUST_200600_302600_NS6detail15normal_iteratorINS8_10device_ptrIjEEEESD_SD_SD_jNS0_19identity_decomposerENS1_16block_id_wrapperIjLb1EEEEE10hipError_tT1_PNSt15iterator_traitsISI_E10value_typeET2_T3_PNSJ_ISO_E10value_typeET4_T5_PST_SU_PNS1_23onesweep_lookback_stateEbbT6_jjT7_P12ihipStream_tbENKUlT_T0_SI_SN_E_clIPjSD_S15_SD_EEDaS11_S12_SI_SN_EUlS11_E_NS1_11comp_targetILNS1_3genE2ELNS1_11target_archE906ELNS1_3gpuE6ELNS1_3repE0EEENS1_47radix_sort_onesweep_sort_config_static_selectorELNS0_4arch9wavefront6targetE1EEEvSI_.num_vgpr, 0
	.set _ZN7rocprim17ROCPRIM_400000_NS6detail17trampoline_kernelINS0_14default_configENS1_35radix_sort_onesweep_config_selectorIjjEEZZNS1_29radix_sort_onesweep_iterationIS3_Lb0EN6thrust23THRUST_200600_302600_NS6detail15normal_iteratorINS8_10device_ptrIjEEEESD_SD_SD_jNS0_19identity_decomposerENS1_16block_id_wrapperIjLb1EEEEE10hipError_tT1_PNSt15iterator_traitsISI_E10value_typeET2_T3_PNSJ_ISO_E10value_typeET4_T5_PST_SU_PNS1_23onesweep_lookback_stateEbbT6_jjT7_P12ihipStream_tbENKUlT_T0_SI_SN_E_clIPjSD_S15_SD_EEDaS11_S12_SI_SN_EUlS11_E_NS1_11comp_targetILNS1_3genE2ELNS1_11target_archE906ELNS1_3gpuE6ELNS1_3repE0EEENS1_47radix_sort_onesweep_sort_config_static_selectorELNS0_4arch9wavefront6targetE1EEEvSI_.num_agpr, 0
	.set _ZN7rocprim17ROCPRIM_400000_NS6detail17trampoline_kernelINS0_14default_configENS1_35radix_sort_onesweep_config_selectorIjjEEZZNS1_29radix_sort_onesweep_iterationIS3_Lb0EN6thrust23THRUST_200600_302600_NS6detail15normal_iteratorINS8_10device_ptrIjEEEESD_SD_SD_jNS0_19identity_decomposerENS1_16block_id_wrapperIjLb1EEEEE10hipError_tT1_PNSt15iterator_traitsISI_E10value_typeET2_T3_PNSJ_ISO_E10value_typeET4_T5_PST_SU_PNS1_23onesweep_lookback_stateEbbT6_jjT7_P12ihipStream_tbENKUlT_T0_SI_SN_E_clIPjSD_S15_SD_EEDaS11_S12_SI_SN_EUlS11_E_NS1_11comp_targetILNS1_3genE2ELNS1_11target_archE906ELNS1_3gpuE6ELNS1_3repE0EEENS1_47radix_sort_onesweep_sort_config_static_selectorELNS0_4arch9wavefront6targetE1EEEvSI_.numbered_sgpr, 0
	.set _ZN7rocprim17ROCPRIM_400000_NS6detail17trampoline_kernelINS0_14default_configENS1_35radix_sort_onesweep_config_selectorIjjEEZZNS1_29radix_sort_onesweep_iterationIS3_Lb0EN6thrust23THRUST_200600_302600_NS6detail15normal_iteratorINS8_10device_ptrIjEEEESD_SD_SD_jNS0_19identity_decomposerENS1_16block_id_wrapperIjLb1EEEEE10hipError_tT1_PNSt15iterator_traitsISI_E10value_typeET2_T3_PNSJ_ISO_E10value_typeET4_T5_PST_SU_PNS1_23onesweep_lookback_stateEbbT6_jjT7_P12ihipStream_tbENKUlT_T0_SI_SN_E_clIPjSD_S15_SD_EEDaS11_S12_SI_SN_EUlS11_E_NS1_11comp_targetILNS1_3genE2ELNS1_11target_archE906ELNS1_3gpuE6ELNS1_3repE0EEENS1_47radix_sort_onesweep_sort_config_static_selectorELNS0_4arch9wavefront6targetE1EEEvSI_.num_named_barrier, 0
	.set _ZN7rocprim17ROCPRIM_400000_NS6detail17trampoline_kernelINS0_14default_configENS1_35radix_sort_onesweep_config_selectorIjjEEZZNS1_29radix_sort_onesweep_iterationIS3_Lb0EN6thrust23THRUST_200600_302600_NS6detail15normal_iteratorINS8_10device_ptrIjEEEESD_SD_SD_jNS0_19identity_decomposerENS1_16block_id_wrapperIjLb1EEEEE10hipError_tT1_PNSt15iterator_traitsISI_E10value_typeET2_T3_PNSJ_ISO_E10value_typeET4_T5_PST_SU_PNS1_23onesweep_lookback_stateEbbT6_jjT7_P12ihipStream_tbENKUlT_T0_SI_SN_E_clIPjSD_S15_SD_EEDaS11_S12_SI_SN_EUlS11_E_NS1_11comp_targetILNS1_3genE2ELNS1_11target_archE906ELNS1_3gpuE6ELNS1_3repE0EEENS1_47radix_sort_onesweep_sort_config_static_selectorELNS0_4arch9wavefront6targetE1EEEvSI_.private_seg_size, 0
	.set _ZN7rocprim17ROCPRIM_400000_NS6detail17trampoline_kernelINS0_14default_configENS1_35radix_sort_onesweep_config_selectorIjjEEZZNS1_29radix_sort_onesweep_iterationIS3_Lb0EN6thrust23THRUST_200600_302600_NS6detail15normal_iteratorINS8_10device_ptrIjEEEESD_SD_SD_jNS0_19identity_decomposerENS1_16block_id_wrapperIjLb1EEEEE10hipError_tT1_PNSt15iterator_traitsISI_E10value_typeET2_T3_PNSJ_ISO_E10value_typeET4_T5_PST_SU_PNS1_23onesweep_lookback_stateEbbT6_jjT7_P12ihipStream_tbENKUlT_T0_SI_SN_E_clIPjSD_S15_SD_EEDaS11_S12_SI_SN_EUlS11_E_NS1_11comp_targetILNS1_3genE2ELNS1_11target_archE906ELNS1_3gpuE6ELNS1_3repE0EEENS1_47radix_sort_onesweep_sort_config_static_selectorELNS0_4arch9wavefront6targetE1EEEvSI_.uses_vcc, 0
	.set _ZN7rocprim17ROCPRIM_400000_NS6detail17trampoline_kernelINS0_14default_configENS1_35radix_sort_onesweep_config_selectorIjjEEZZNS1_29radix_sort_onesweep_iterationIS3_Lb0EN6thrust23THRUST_200600_302600_NS6detail15normal_iteratorINS8_10device_ptrIjEEEESD_SD_SD_jNS0_19identity_decomposerENS1_16block_id_wrapperIjLb1EEEEE10hipError_tT1_PNSt15iterator_traitsISI_E10value_typeET2_T3_PNSJ_ISO_E10value_typeET4_T5_PST_SU_PNS1_23onesweep_lookback_stateEbbT6_jjT7_P12ihipStream_tbENKUlT_T0_SI_SN_E_clIPjSD_S15_SD_EEDaS11_S12_SI_SN_EUlS11_E_NS1_11comp_targetILNS1_3genE2ELNS1_11target_archE906ELNS1_3gpuE6ELNS1_3repE0EEENS1_47radix_sort_onesweep_sort_config_static_selectorELNS0_4arch9wavefront6targetE1EEEvSI_.uses_flat_scratch, 0
	.set _ZN7rocprim17ROCPRIM_400000_NS6detail17trampoline_kernelINS0_14default_configENS1_35radix_sort_onesweep_config_selectorIjjEEZZNS1_29radix_sort_onesweep_iterationIS3_Lb0EN6thrust23THRUST_200600_302600_NS6detail15normal_iteratorINS8_10device_ptrIjEEEESD_SD_SD_jNS0_19identity_decomposerENS1_16block_id_wrapperIjLb1EEEEE10hipError_tT1_PNSt15iterator_traitsISI_E10value_typeET2_T3_PNSJ_ISO_E10value_typeET4_T5_PST_SU_PNS1_23onesweep_lookback_stateEbbT6_jjT7_P12ihipStream_tbENKUlT_T0_SI_SN_E_clIPjSD_S15_SD_EEDaS11_S12_SI_SN_EUlS11_E_NS1_11comp_targetILNS1_3genE2ELNS1_11target_archE906ELNS1_3gpuE6ELNS1_3repE0EEENS1_47radix_sort_onesweep_sort_config_static_selectorELNS0_4arch9wavefront6targetE1EEEvSI_.has_dyn_sized_stack, 0
	.set _ZN7rocprim17ROCPRIM_400000_NS6detail17trampoline_kernelINS0_14default_configENS1_35radix_sort_onesweep_config_selectorIjjEEZZNS1_29radix_sort_onesweep_iterationIS3_Lb0EN6thrust23THRUST_200600_302600_NS6detail15normal_iteratorINS8_10device_ptrIjEEEESD_SD_SD_jNS0_19identity_decomposerENS1_16block_id_wrapperIjLb1EEEEE10hipError_tT1_PNSt15iterator_traitsISI_E10value_typeET2_T3_PNSJ_ISO_E10value_typeET4_T5_PST_SU_PNS1_23onesweep_lookback_stateEbbT6_jjT7_P12ihipStream_tbENKUlT_T0_SI_SN_E_clIPjSD_S15_SD_EEDaS11_S12_SI_SN_EUlS11_E_NS1_11comp_targetILNS1_3genE2ELNS1_11target_archE906ELNS1_3gpuE6ELNS1_3repE0EEENS1_47radix_sort_onesweep_sort_config_static_selectorELNS0_4arch9wavefront6targetE1EEEvSI_.has_recursion, 0
	.set _ZN7rocprim17ROCPRIM_400000_NS6detail17trampoline_kernelINS0_14default_configENS1_35radix_sort_onesweep_config_selectorIjjEEZZNS1_29radix_sort_onesweep_iterationIS3_Lb0EN6thrust23THRUST_200600_302600_NS6detail15normal_iteratorINS8_10device_ptrIjEEEESD_SD_SD_jNS0_19identity_decomposerENS1_16block_id_wrapperIjLb1EEEEE10hipError_tT1_PNSt15iterator_traitsISI_E10value_typeET2_T3_PNSJ_ISO_E10value_typeET4_T5_PST_SU_PNS1_23onesweep_lookback_stateEbbT6_jjT7_P12ihipStream_tbENKUlT_T0_SI_SN_E_clIPjSD_S15_SD_EEDaS11_S12_SI_SN_EUlS11_E_NS1_11comp_targetILNS1_3genE2ELNS1_11target_archE906ELNS1_3gpuE6ELNS1_3repE0EEENS1_47radix_sort_onesweep_sort_config_static_selectorELNS0_4arch9wavefront6targetE1EEEvSI_.has_indirect_call, 0
	.section	.AMDGPU.csdata,"",@progbits
; Kernel info:
; codeLenInByte = 0
; TotalNumSgprs: 6
; NumVgprs: 0
; NumAgprs: 0
; TotalNumVgprs: 0
; ScratchSize: 0
; MemoryBound: 0
; FloatMode: 240
; IeeeMode: 1
; LDSByteSize: 0 bytes/workgroup (compile time only)
; SGPRBlocks: 0
; VGPRBlocks: 0
; NumSGPRsForWavesPerEU: 6
; NumVGPRsForWavesPerEU: 1
; AccumOffset: 4
; Occupancy: 8
; WaveLimiterHint : 0
; COMPUTE_PGM_RSRC2:SCRATCH_EN: 0
; COMPUTE_PGM_RSRC2:USER_SGPR: 2
; COMPUTE_PGM_RSRC2:TRAP_HANDLER: 0
; COMPUTE_PGM_RSRC2:TGID_X_EN: 1
; COMPUTE_PGM_RSRC2:TGID_Y_EN: 0
; COMPUTE_PGM_RSRC2:TGID_Z_EN: 0
; COMPUTE_PGM_RSRC2:TIDIG_COMP_CNT: 0
; COMPUTE_PGM_RSRC3_GFX90A:ACCUM_OFFSET: 0
; COMPUTE_PGM_RSRC3_GFX90A:TG_SPLIT: 0
	.section	.text._ZN7rocprim17ROCPRIM_400000_NS6detail17trampoline_kernelINS0_14default_configENS1_35radix_sort_onesweep_config_selectorIjjEEZZNS1_29radix_sort_onesweep_iterationIS3_Lb0EN6thrust23THRUST_200600_302600_NS6detail15normal_iteratorINS8_10device_ptrIjEEEESD_SD_SD_jNS0_19identity_decomposerENS1_16block_id_wrapperIjLb1EEEEE10hipError_tT1_PNSt15iterator_traitsISI_E10value_typeET2_T3_PNSJ_ISO_E10value_typeET4_T5_PST_SU_PNS1_23onesweep_lookback_stateEbbT6_jjT7_P12ihipStream_tbENKUlT_T0_SI_SN_E_clIPjSD_S15_SD_EEDaS11_S12_SI_SN_EUlS11_E_NS1_11comp_targetILNS1_3genE4ELNS1_11target_archE910ELNS1_3gpuE8ELNS1_3repE0EEENS1_47radix_sort_onesweep_sort_config_static_selectorELNS0_4arch9wavefront6targetE1EEEvSI_,"axG",@progbits,_ZN7rocprim17ROCPRIM_400000_NS6detail17trampoline_kernelINS0_14default_configENS1_35radix_sort_onesweep_config_selectorIjjEEZZNS1_29radix_sort_onesweep_iterationIS3_Lb0EN6thrust23THRUST_200600_302600_NS6detail15normal_iteratorINS8_10device_ptrIjEEEESD_SD_SD_jNS0_19identity_decomposerENS1_16block_id_wrapperIjLb1EEEEE10hipError_tT1_PNSt15iterator_traitsISI_E10value_typeET2_T3_PNSJ_ISO_E10value_typeET4_T5_PST_SU_PNS1_23onesweep_lookback_stateEbbT6_jjT7_P12ihipStream_tbENKUlT_T0_SI_SN_E_clIPjSD_S15_SD_EEDaS11_S12_SI_SN_EUlS11_E_NS1_11comp_targetILNS1_3genE4ELNS1_11target_archE910ELNS1_3gpuE8ELNS1_3repE0EEENS1_47radix_sort_onesweep_sort_config_static_selectorELNS0_4arch9wavefront6targetE1EEEvSI_,comdat
	.protected	_ZN7rocprim17ROCPRIM_400000_NS6detail17trampoline_kernelINS0_14default_configENS1_35radix_sort_onesweep_config_selectorIjjEEZZNS1_29radix_sort_onesweep_iterationIS3_Lb0EN6thrust23THRUST_200600_302600_NS6detail15normal_iteratorINS8_10device_ptrIjEEEESD_SD_SD_jNS0_19identity_decomposerENS1_16block_id_wrapperIjLb1EEEEE10hipError_tT1_PNSt15iterator_traitsISI_E10value_typeET2_T3_PNSJ_ISO_E10value_typeET4_T5_PST_SU_PNS1_23onesweep_lookback_stateEbbT6_jjT7_P12ihipStream_tbENKUlT_T0_SI_SN_E_clIPjSD_S15_SD_EEDaS11_S12_SI_SN_EUlS11_E_NS1_11comp_targetILNS1_3genE4ELNS1_11target_archE910ELNS1_3gpuE8ELNS1_3repE0EEENS1_47radix_sort_onesweep_sort_config_static_selectorELNS0_4arch9wavefront6targetE1EEEvSI_ ; -- Begin function _ZN7rocprim17ROCPRIM_400000_NS6detail17trampoline_kernelINS0_14default_configENS1_35radix_sort_onesweep_config_selectorIjjEEZZNS1_29radix_sort_onesweep_iterationIS3_Lb0EN6thrust23THRUST_200600_302600_NS6detail15normal_iteratorINS8_10device_ptrIjEEEESD_SD_SD_jNS0_19identity_decomposerENS1_16block_id_wrapperIjLb1EEEEE10hipError_tT1_PNSt15iterator_traitsISI_E10value_typeET2_T3_PNSJ_ISO_E10value_typeET4_T5_PST_SU_PNS1_23onesweep_lookback_stateEbbT6_jjT7_P12ihipStream_tbENKUlT_T0_SI_SN_E_clIPjSD_S15_SD_EEDaS11_S12_SI_SN_EUlS11_E_NS1_11comp_targetILNS1_3genE4ELNS1_11target_archE910ELNS1_3gpuE8ELNS1_3repE0EEENS1_47radix_sort_onesweep_sort_config_static_selectorELNS0_4arch9wavefront6targetE1EEEvSI_
	.globl	_ZN7rocprim17ROCPRIM_400000_NS6detail17trampoline_kernelINS0_14default_configENS1_35radix_sort_onesweep_config_selectorIjjEEZZNS1_29radix_sort_onesweep_iterationIS3_Lb0EN6thrust23THRUST_200600_302600_NS6detail15normal_iteratorINS8_10device_ptrIjEEEESD_SD_SD_jNS0_19identity_decomposerENS1_16block_id_wrapperIjLb1EEEEE10hipError_tT1_PNSt15iterator_traitsISI_E10value_typeET2_T3_PNSJ_ISO_E10value_typeET4_T5_PST_SU_PNS1_23onesweep_lookback_stateEbbT6_jjT7_P12ihipStream_tbENKUlT_T0_SI_SN_E_clIPjSD_S15_SD_EEDaS11_S12_SI_SN_EUlS11_E_NS1_11comp_targetILNS1_3genE4ELNS1_11target_archE910ELNS1_3gpuE8ELNS1_3repE0EEENS1_47radix_sort_onesweep_sort_config_static_selectorELNS0_4arch9wavefront6targetE1EEEvSI_
	.p2align	8
	.type	_ZN7rocprim17ROCPRIM_400000_NS6detail17trampoline_kernelINS0_14default_configENS1_35radix_sort_onesweep_config_selectorIjjEEZZNS1_29radix_sort_onesweep_iterationIS3_Lb0EN6thrust23THRUST_200600_302600_NS6detail15normal_iteratorINS8_10device_ptrIjEEEESD_SD_SD_jNS0_19identity_decomposerENS1_16block_id_wrapperIjLb1EEEEE10hipError_tT1_PNSt15iterator_traitsISI_E10value_typeET2_T3_PNSJ_ISO_E10value_typeET4_T5_PST_SU_PNS1_23onesweep_lookback_stateEbbT6_jjT7_P12ihipStream_tbENKUlT_T0_SI_SN_E_clIPjSD_S15_SD_EEDaS11_S12_SI_SN_EUlS11_E_NS1_11comp_targetILNS1_3genE4ELNS1_11target_archE910ELNS1_3gpuE8ELNS1_3repE0EEENS1_47radix_sort_onesweep_sort_config_static_selectorELNS0_4arch9wavefront6targetE1EEEvSI_,@function
_ZN7rocprim17ROCPRIM_400000_NS6detail17trampoline_kernelINS0_14default_configENS1_35radix_sort_onesweep_config_selectorIjjEEZZNS1_29radix_sort_onesweep_iterationIS3_Lb0EN6thrust23THRUST_200600_302600_NS6detail15normal_iteratorINS8_10device_ptrIjEEEESD_SD_SD_jNS0_19identity_decomposerENS1_16block_id_wrapperIjLb1EEEEE10hipError_tT1_PNSt15iterator_traitsISI_E10value_typeET2_T3_PNSJ_ISO_E10value_typeET4_T5_PST_SU_PNS1_23onesweep_lookback_stateEbbT6_jjT7_P12ihipStream_tbENKUlT_T0_SI_SN_E_clIPjSD_S15_SD_EEDaS11_S12_SI_SN_EUlS11_E_NS1_11comp_targetILNS1_3genE4ELNS1_11target_archE910ELNS1_3gpuE8ELNS1_3repE0EEENS1_47radix_sort_onesweep_sort_config_static_selectorELNS0_4arch9wavefront6targetE1EEEvSI_: ; @_ZN7rocprim17ROCPRIM_400000_NS6detail17trampoline_kernelINS0_14default_configENS1_35radix_sort_onesweep_config_selectorIjjEEZZNS1_29radix_sort_onesweep_iterationIS3_Lb0EN6thrust23THRUST_200600_302600_NS6detail15normal_iteratorINS8_10device_ptrIjEEEESD_SD_SD_jNS0_19identity_decomposerENS1_16block_id_wrapperIjLb1EEEEE10hipError_tT1_PNSt15iterator_traitsISI_E10value_typeET2_T3_PNSJ_ISO_E10value_typeET4_T5_PST_SU_PNS1_23onesweep_lookback_stateEbbT6_jjT7_P12ihipStream_tbENKUlT_T0_SI_SN_E_clIPjSD_S15_SD_EEDaS11_S12_SI_SN_EUlS11_E_NS1_11comp_targetILNS1_3genE4ELNS1_11target_archE910ELNS1_3gpuE8ELNS1_3repE0EEENS1_47radix_sort_onesweep_sort_config_static_selectorELNS0_4arch9wavefront6targetE1EEEvSI_
; %bb.0:
	.section	.rodata,"a",@progbits
	.p2align	6, 0x0
	.amdhsa_kernel _ZN7rocprim17ROCPRIM_400000_NS6detail17trampoline_kernelINS0_14default_configENS1_35radix_sort_onesweep_config_selectorIjjEEZZNS1_29radix_sort_onesweep_iterationIS3_Lb0EN6thrust23THRUST_200600_302600_NS6detail15normal_iteratorINS8_10device_ptrIjEEEESD_SD_SD_jNS0_19identity_decomposerENS1_16block_id_wrapperIjLb1EEEEE10hipError_tT1_PNSt15iterator_traitsISI_E10value_typeET2_T3_PNSJ_ISO_E10value_typeET4_T5_PST_SU_PNS1_23onesweep_lookback_stateEbbT6_jjT7_P12ihipStream_tbENKUlT_T0_SI_SN_E_clIPjSD_S15_SD_EEDaS11_S12_SI_SN_EUlS11_E_NS1_11comp_targetILNS1_3genE4ELNS1_11target_archE910ELNS1_3gpuE8ELNS1_3repE0EEENS1_47radix_sort_onesweep_sort_config_static_selectorELNS0_4arch9wavefront6targetE1EEEvSI_
		.amdhsa_group_segment_fixed_size 0
		.amdhsa_private_segment_fixed_size 0
		.amdhsa_kernarg_size 88
		.amdhsa_user_sgpr_count 2
		.amdhsa_user_sgpr_dispatch_ptr 0
		.amdhsa_user_sgpr_queue_ptr 0
		.amdhsa_user_sgpr_kernarg_segment_ptr 1
		.amdhsa_user_sgpr_dispatch_id 0
		.amdhsa_user_sgpr_kernarg_preload_length 0
		.amdhsa_user_sgpr_kernarg_preload_offset 0
		.amdhsa_user_sgpr_private_segment_size 0
		.amdhsa_uses_dynamic_stack 0
		.amdhsa_enable_private_segment 0
		.amdhsa_system_sgpr_workgroup_id_x 1
		.amdhsa_system_sgpr_workgroup_id_y 0
		.amdhsa_system_sgpr_workgroup_id_z 0
		.amdhsa_system_sgpr_workgroup_info 0
		.amdhsa_system_vgpr_workitem_id 0
		.amdhsa_next_free_vgpr 1
		.amdhsa_next_free_sgpr 0
		.amdhsa_accum_offset 4
		.amdhsa_reserve_vcc 0
		.amdhsa_float_round_mode_32 0
		.amdhsa_float_round_mode_16_64 0
		.amdhsa_float_denorm_mode_32 3
		.amdhsa_float_denorm_mode_16_64 3
		.amdhsa_dx10_clamp 1
		.amdhsa_ieee_mode 1
		.amdhsa_fp16_overflow 0
		.amdhsa_tg_split 0
		.amdhsa_exception_fp_ieee_invalid_op 0
		.amdhsa_exception_fp_denorm_src 0
		.amdhsa_exception_fp_ieee_div_zero 0
		.amdhsa_exception_fp_ieee_overflow 0
		.amdhsa_exception_fp_ieee_underflow 0
		.amdhsa_exception_fp_ieee_inexact 0
		.amdhsa_exception_int_div_zero 0
	.end_amdhsa_kernel
	.section	.text._ZN7rocprim17ROCPRIM_400000_NS6detail17trampoline_kernelINS0_14default_configENS1_35radix_sort_onesweep_config_selectorIjjEEZZNS1_29radix_sort_onesweep_iterationIS3_Lb0EN6thrust23THRUST_200600_302600_NS6detail15normal_iteratorINS8_10device_ptrIjEEEESD_SD_SD_jNS0_19identity_decomposerENS1_16block_id_wrapperIjLb1EEEEE10hipError_tT1_PNSt15iterator_traitsISI_E10value_typeET2_T3_PNSJ_ISO_E10value_typeET4_T5_PST_SU_PNS1_23onesweep_lookback_stateEbbT6_jjT7_P12ihipStream_tbENKUlT_T0_SI_SN_E_clIPjSD_S15_SD_EEDaS11_S12_SI_SN_EUlS11_E_NS1_11comp_targetILNS1_3genE4ELNS1_11target_archE910ELNS1_3gpuE8ELNS1_3repE0EEENS1_47radix_sort_onesweep_sort_config_static_selectorELNS0_4arch9wavefront6targetE1EEEvSI_,"axG",@progbits,_ZN7rocprim17ROCPRIM_400000_NS6detail17trampoline_kernelINS0_14default_configENS1_35radix_sort_onesweep_config_selectorIjjEEZZNS1_29radix_sort_onesweep_iterationIS3_Lb0EN6thrust23THRUST_200600_302600_NS6detail15normal_iteratorINS8_10device_ptrIjEEEESD_SD_SD_jNS0_19identity_decomposerENS1_16block_id_wrapperIjLb1EEEEE10hipError_tT1_PNSt15iterator_traitsISI_E10value_typeET2_T3_PNSJ_ISO_E10value_typeET4_T5_PST_SU_PNS1_23onesweep_lookback_stateEbbT6_jjT7_P12ihipStream_tbENKUlT_T0_SI_SN_E_clIPjSD_S15_SD_EEDaS11_S12_SI_SN_EUlS11_E_NS1_11comp_targetILNS1_3genE4ELNS1_11target_archE910ELNS1_3gpuE8ELNS1_3repE0EEENS1_47radix_sort_onesweep_sort_config_static_selectorELNS0_4arch9wavefront6targetE1EEEvSI_,comdat
.Lfunc_end773:
	.size	_ZN7rocprim17ROCPRIM_400000_NS6detail17trampoline_kernelINS0_14default_configENS1_35radix_sort_onesweep_config_selectorIjjEEZZNS1_29radix_sort_onesweep_iterationIS3_Lb0EN6thrust23THRUST_200600_302600_NS6detail15normal_iteratorINS8_10device_ptrIjEEEESD_SD_SD_jNS0_19identity_decomposerENS1_16block_id_wrapperIjLb1EEEEE10hipError_tT1_PNSt15iterator_traitsISI_E10value_typeET2_T3_PNSJ_ISO_E10value_typeET4_T5_PST_SU_PNS1_23onesweep_lookback_stateEbbT6_jjT7_P12ihipStream_tbENKUlT_T0_SI_SN_E_clIPjSD_S15_SD_EEDaS11_S12_SI_SN_EUlS11_E_NS1_11comp_targetILNS1_3genE4ELNS1_11target_archE910ELNS1_3gpuE8ELNS1_3repE0EEENS1_47radix_sort_onesweep_sort_config_static_selectorELNS0_4arch9wavefront6targetE1EEEvSI_, .Lfunc_end773-_ZN7rocprim17ROCPRIM_400000_NS6detail17trampoline_kernelINS0_14default_configENS1_35radix_sort_onesweep_config_selectorIjjEEZZNS1_29radix_sort_onesweep_iterationIS3_Lb0EN6thrust23THRUST_200600_302600_NS6detail15normal_iteratorINS8_10device_ptrIjEEEESD_SD_SD_jNS0_19identity_decomposerENS1_16block_id_wrapperIjLb1EEEEE10hipError_tT1_PNSt15iterator_traitsISI_E10value_typeET2_T3_PNSJ_ISO_E10value_typeET4_T5_PST_SU_PNS1_23onesweep_lookback_stateEbbT6_jjT7_P12ihipStream_tbENKUlT_T0_SI_SN_E_clIPjSD_S15_SD_EEDaS11_S12_SI_SN_EUlS11_E_NS1_11comp_targetILNS1_3genE4ELNS1_11target_archE910ELNS1_3gpuE8ELNS1_3repE0EEENS1_47radix_sort_onesweep_sort_config_static_selectorELNS0_4arch9wavefront6targetE1EEEvSI_
                                        ; -- End function
	.set _ZN7rocprim17ROCPRIM_400000_NS6detail17trampoline_kernelINS0_14default_configENS1_35radix_sort_onesweep_config_selectorIjjEEZZNS1_29radix_sort_onesweep_iterationIS3_Lb0EN6thrust23THRUST_200600_302600_NS6detail15normal_iteratorINS8_10device_ptrIjEEEESD_SD_SD_jNS0_19identity_decomposerENS1_16block_id_wrapperIjLb1EEEEE10hipError_tT1_PNSt15iterator_traitsISI_E10value_typeET2_T3_PNSJ_ISO_E10value_typeET4_T5_PST_SU_PNS1_23onesweep_lookback_stateEbbT6_jjT7_P12ihipStream_tbENKUlT_T0_SI_SN_E_clIPjSD_S15_SD_EEDaS11_S12_SI_SN_EUlS11_E_NS1_11comp_targetILNS1_3genE4ELNS1_11target_archE910ELNS1_3gpuE8ELNS1_3repE0EEENS1_47radix_sort_onesweep_sort_config_static_selectorELNS0_4arch9wavefront6targetE1EEEvSI_.num_vgpr, 0
	.set _ZN7rocprim17ROCPRIM_400000_NS6detail17trampoline_kernelINS0_14default_configENS1_35radix_sort_onesweep_config_selectorIjjEEZZNS1_29radix_sort_onesweep_iterationIS3_Lb0EN6thrust23THRUST_200600_302600_NS6detail15normal_iteratorINS8_10device_ptrIjEEEESD_SD_SD_jNS0_19identity_decomposerENS1_16block_id_wrapperIjLb1EEEEE10hipError_tT1_PNSt15iterator_traitsISI_E10value_typeET2_T3_PNSJ_ISO_E10value_typeET4_T5_PST_SU_PNS1_23onesweep_lookback_stateEbbT6_jjT7_P12ihipStream_tbENKUlT_T0_SI_SN_E_clIPjSD_S15_SD_EEDaS11_S12_SI_SN_EUlS11_E_NS1_11comp_targetILNS1_3genE4ELNS1_11target_archE910ELNS1_3gpuE8ELNS1_3repE0EEENS1_47radix_sort_onesweep_sort_config_static_selectorELNS0_4arch9wavefront6targetE1EEEvSI_.num_agpr, 0
	.set _ZN7rocprim17ROCPRIM_400000_NS6detail17trampoline_kernelINS0_14default_configENS1_35radix_sort_onesweep_config_selectorIjjEEZZNS1_29radix_sort_onesweep_iterationIS3_Lb0EN6thrust23THRUST_200600_302600_NS6detail15normal_iteratorINS8_10device_ptrIjEEEESD_SD_SD_jNS0_19identity_decomposerENS1_16block_id_wrapperIjLb1EEEEE10hipError_tT1_PNSt15iterator_traitsISI_E10value_typeET2_T3_PNSJ_ISO_E10value_typeET4_T5_PST_SU_PNS1_23onesweep_lookback_stateEbbT6_jjT7_P12ihipStream_tbENKUlT_T0_SI_SN_E_clIPjSD_S15_SD_EEDaS11_S12_SI_SN_EUlS11_E_NS1_11comp_targetILNS1_3genE4ELNS1_11target_archE910ELNS1_3gpuE8ELNS1_3repE0EEENS1_47radix_sort_onesweep_sort_config_static_selectorELNS0_4arch9wavefront6targetE1EEEvSI_.numbered_sgpr, 0
	.set _ZN7rocprim17ROCPRIM_400000_NS6detail17trampoline_kernelINS0_14default_configENS1_35radix_sort_onesweep_config_selectorIjjEEZZNS1_29radix_sort_onesweep_iterationIS3_Lb0EN6thrust23THRUST_200600_302600_NS6detail15normal_iteratorINS8_10device_ptrIjEEEESD_SD_SD_jNS0_19identity_decomposerENS1_16block_id_wrapperIjLb1EEEEE10hipError_tT1_PNSt15iterator_traitsISI_E10value_typeET2_T3_PNSJ_ISO_E10value_typeET4_T5_PST_SU_PNS1_23onesweep_lookback_stateEbbT6_jjT7_P12ihipStream_tbENKUlT_T0_SI_SN_E_clIPjSD_S15_SD_EEDaS11_S12_SI_SN_EUlS11_E_NS1_11comp_targetILNS1_3genE4ELNS1_11target_archE910ELNS1_3gpuE8ELNS1_3repE0EEENS1_47radix_sort_onesweep_sort_config_static_selectorELNS0_4arch9wavefront6targetE1EEEvSI_.num_named_barrier, 0
	.set _ZN7rocprim17ROCPRIM_400000_NS6detail17trampoline_kernelINS0_14default_configENS1_35radix_sort_onesweep_config_selectorIjjEEZZNS1_29radix_sort_onesweep_iterationIS3_Lb0EN6thrust23THRUST_200600_302600_NS6detail15normal_iteratorINS8_10device_ptrIjEEEESD_SD_SD_jNS0_19identity_decomposerENS1_16block_id_wrapperIjLb1EEEEE10hipError_tT1_PNSt15iterator_traitsISI_E10value_typeET2_T3_PNSJ_ISO_E10value_typeET4_T5_PST_SU_PNS1_23onesweep_lookback_stateEbbT6_jjT7_P12ihipStream_tbENKUlT_T0_SI_SN_E_clIPjSD_S15_SD_EEDaS11_S12_SI_SN_EUlS11_E_NS1_11comp_targetILNS1_3genE4ELNS1_11target_archE910ELNS1_3gpuE8ELNS1_3repE0EEENS1_47radix_sort_onesweep_sort_config_static_selectorELNS0_4arch9wavefront6targetE1EEEvSI_.private_seg_size, 0
	.set _ZN7rocprim17ROCPRIM_400000_NS6detail17trampoline_kernelINS0_14default_configENS1_35radix_sort_onesweep_config_selectorIjjEEZZNS1_29radix_sort_onesweep_iterationIS3_Lb0EN6thrust23THRUST_200600_302600_NS6detail15normal_iteratorINS8_10device_ptrIjEEEESD_SD_SD_jNS0_19identity_decomposerENS1_16block_id_wrapperIjLb1EEEEE10hipError_tT1_PNSt15iterator_traitsISI_E10value_typeET2_T3_PNSJ_ISO_E10value_typeET4_T5_PST_SU_PNS1_23onesweep_lookback_stateEbbT6_jjT7_P12ihipStream_tbENKUlT_T0_SI_SN_E_clIPjSD_S15_SD_EEDaS11_S12_SI_SN_EUlS11_E_NS1_11comp_targetILNS1_3genE4ELNS1_11target_archE910ELNS1_3gpuE8ELNS1_3repE0EEENS1_47radix_sort_onesweep_sort_config_static_selectorELNS0_4arch9wavefront6targetE1EEEvSI_.uses_vcc, 0
	.set _ZN7rocprim17ROCPRIM_400000_NS6detail17trampoline_kernelINS0_14default_configENS1_35radix_sort_onesweep_config_selectorIjjEEZZNS1_29radix_sort_onesweep_iterationIS3_Lb0EN6thrust23THRUST_200600_302600_NS6detail15normal_iteratorINS8_10device_ptrIjEEEESD_SD_SD_jNS0_19identity_decomposerENS1_16block_id_wrapperIjLb1EEEEE10hipError_tT1_PNSt15iterator_traitsISI_E10value_typeET2_T3_PNSJ_ISO_E10value_typeET4_T5_PST_SU_PNS1_23onesweep_lookback_stateEbbT6_jjT7_P12ihipStream_tbENKUlT_T0_SI_SN_E_clIPjSD_S15_SD_EEDaS11_S12_SI_SN_EUlS11_E_NS1_11comp_targetILNS1_3genE4ELNS1_11target_archE910ELNS1_3gpuE8ELNS1_3repE0EEENS1_47radix_sort_onesweep_sort_config_static_selectorELNS0_4arch9wavefront6targetE1EEEvSI_.uses_flat_scratch, 0
	.set _ZN7rocprim17ROCPRIM_400000_NS6detail17trampoline_kernelINS0_14default_configENS1_35radix_sort_onesweep_config_selectorIjjEEZZNS1_29radix_sort_onesweep_iterationIS3_Lb0EN6thrust23THRUST_200600_302600_NS6detail15normal_iteratorINS8_10device_ptrIjEEEESD_SD_SD_jNS0_19identity_decomposerENS1_16block_id_wrapperIjLb1EEEEE10hipError_tT1_PNSt15iterator_traitsISI_E10value_typeET2_T3_PNSJ_ISO_E10value_typeET4_T5_PST_SU_PNS1_23onesweep_lookback_stateEbbT6_jjT7_P12ihipStream_tbENKUlT_T0_SI_SN_E_clIPjSD_S15_SD_EEDaS11_S12_SI_SN_EUlS11_E_NS1_11comp_targetILNS1_3genE4ELNS1_11target_archE910ELNS1_3gpuE8ELNS1_3repE0EEENS1_47radix_sort_onesweep_sort_config_static_selectorELNS0_4arch9wavefront6targetE1EEEvSI_.has_dyn_sized_stack, 0
	.set _ZN7rocprim17ROCPRIM_400000_NS6detail17trampoline_kernelINS0_14default_configENS1_35radix_sort_onesweep_config_selectorIjjEEZZNS1_29radix_sort_onesweep_iterationIS3_Lb0EN6thrust23THRUST_200600_302600_NS6detail15normal_iteratorINS8_10device_ptrIjEEEESD_SD_SD_jNS0_19identity_decomposerENS1_16block_id_wrapperIjLb1EEEEE10hipError_tT1_PNSt15iterator_traitsISI_E10value_typeET2_T3_PNSJ_ISO_E10value_typeET4_T5_PST_SU_PNS1_23onesweep_lookback_stateEbbT6_jjT7_P12ihipStream_tbENKUlT_T0_SI_SN_E_clIPjSD_S15_SD_EEDaS11_S12_SI_SN_EUlS11_E_NS1_11comp_targetILNS1_3genE4ELNS1_11target_archE910ELNS1_3gpuE8ELNS1_3repE0EEENS1_47radix_sort_onesweep_sort_config_static_selectorELNS0_4arch9wavefront6targetE1EEEvSI_.has_recursion, 0
	.set _ZN7rocprim17ROCPRIM_400000_NS6detail17trampoline_kernelINS0_14default_configENS1_35radix_sort_onesweep_config_selectorIjjEEZZNS1_29radix_sort_onesweep_iterationIS3_Lb0EN6thrust23THRUST_200600_302600_NS6detail15normal_iteratorINS8_10device_ptrIjEEEESD_SD_SD_jNS0_19identity_decomposerENS1_16block_id_wrapperIjLb1EEEEE10hipError_tT1_PNSt15iterator_traitsISI_E10value_typeET2_T3_PNSJ_ISO_E10value_typeET4_T5_PST_SU_PNS1_23onesweep_lookback_stateEbbT6_jjT7_P12ihipStream_tbENKUlT_T0_SI_SN_E_clIPjSD_S15_SD_EEDaS11_S12_SI_SN_EUlS11_E_NS1_11comp_targetILNS1_3genE4ELNS1_11target_archE910ELNS1_3gpuE8ELNS1_3repE0EEENS1_47radix_sort_onesweep_sort_config_static_selectorELNS0_4arch9wavefront6targetE1EEEvSI_.has_indirect_call, 0
	.section	.AMDGPU.csdata,"",@progbits
; Kernel info:
; codeLenInByte = 0
; TotalNumSgprs: 6
; NumVgprs: 0
; NumAgprs: 0
; TotalNumVgprs: 0
; ScratchSize: 0
; MemoryBound: 0
; FloatMode: 240
; IeeeMode: 1
; LDSByteSize: 0 bytes/workgroup (compile time only)
; SGPRBlocks: 0
; VGPRBlocks: 0
; NumSGPRsForWavesPerEU: 6
; NumVGPRsForWavesPerEU: 1
; AccumOffset: 4
; Occupancy: 8
; WaveLimiterHint : 0
; COMPUTE_PGM_RSRC2:SCRATCH_EN: 0
; COMPUTE_PGM_RSRC2:USER_SGPR: 2
; COMPUTE_PGM_RSRC2:TRAP_HANDLER: 0
; COMPUTE_PGM_RSRC2:TGID_X_EN: 1
; COMPUTE_PGM_RSRC2:TGID_Y_EN: 0
; COMPUTE_PGM_RSRC2:TGID_Z_EN: 0
; COMPUTE_PGM_RSRC2:TIDIG_COMP_CNT: 0
; COMPUTE_PGM_RSRC3_GFX90A:ACCUM_OFFSET: 0
; COMPUTE_PGM_RSRC3_GFX90A:TG_SPLIT: 0
	.section	.text._ZN7rocprim17ROCPRIM_400000_NS6detail17trampoline_kernelINS0_14default_configENS1_35radix_sort_onesweep_config_selectorIjjEEZZNS1_29radix_sort_onesweep_iterationIS3_Lb0EN6thrust23THRUST_200600_302600_NS6detail15normal_iteratorINS8_10device_ptrIjEEEESD_SD_SD_jNS0_19identity_decomposerENS1_16block_id_wrapperIjLb1EEEEE10hipError_tT1_PNSt15iterator_traitsISI_E10value_typeET2_T3_PNSJ_ISO_E10value_typeET4_T5_PST_SU_PNS1_23onesweep_lookback_stateEbbT6_jjT7_P12ihipStream_tbENKUlT_T0_SI_SN_E_clIPjSD_S15_SD_EEDaS11_S12_SI_SN_EUlS11_E_NS1_11comp_targetILNS1_3genE3ELNS1_11target_archE908ELNS1_3gpuE7ELNS1_3repE0EEENS1_47radix_sort_onesweep_sort_config_static_selectorELNS0_4arch9wavefront6targetE1EEEvSI_,"axG",@progbits,_ZN7rocprim17ROCPRIM_400000_NS6detail17trampoline_kernelINS0_14default_configENS1_35radix_sort_onesweep_config_selectorIjjEEZZNS1_29radix_sort_onesweep_iterationIS3_Lb0EN6thrust23THRUST_200600_302600_NS6detail15normal_iteratorINS8_10device_ptrIjEEEESD_SD_SD_jNS0_19identity_decomposerENS1_16block_id_wrapperIjLb1EEEEE10hipError_tT1_PNSt15iterator_traitsISI_E10value_typeET2_T3_PNSJ_ISO_E10value_typeET4_T5_PST_SU_PNS1_23onesweep_lookback_stateEbbT6_jjT7_P12ihipStream_tbENKUlT_T0_SI_SN_E_clIPjSD_S15_SD_EEDaS11_S12_SI_SN_EUlS11_E_NS1_11comp_targetILNS1_3genE3ELNS1_11target_archE908ELNS1_3gpuE7ELNS1_3repE0EEENS1_47radix_sort_onesweep_sort_config_static_selectorELNS0_4arch9wavefront6targetE1EEEvSI_,comdat
	.protected	_ZN7rocprim17ROCPRIM_400000_NS6detail17trampoline_kernelINS0_14default_configENS1_35radix_sort_onesweep_config_selectorIjjEEZZNS1_29radix_sort_onesweep_iterationIS3_Lb0EN6thrust23THRUST_200600_302600_NS6detail15normal_iteratorINS8_10device_ptrIjEEEESD_SD_SD_jNS0_19identity_decomposerENS1_16block_id_wrapperIjLb1EEEEE10hipError_tT1_PNSt15iterator_traitsISI_E10value_typeET2_T3_PNSJ_ISO_E10value_typeET4_T5_PST_SU_PNS1_23onesweep_lookback_stateEbbT6_jjT7_P12ihipStream_tbENKUlT_T0_SI_SN_E_clIPjSD_S15_SD_EEDaS11_S12_SI_SN_EUlS11_E_NS1_11comp_targetILNS1_3genE3ELNS1_11target_archE908ELNS1_3gpuE7ELNS1_3repE0EEENS1_47radix_sort_onesweep_sort_config_static_selectorELNS0_4arch9wavefront6targetE1EEEvSI_ ; -- Begin function _ZN7rocprim17ROCPRIM_400000_NS6detail17trampoline_kernelINS0_14default_configENS1_35radix_sort_onesweep_config_selectorIjjEEZZNS1_29radix_sort_onesweep_iterationIS3_Lb0EN6thrust23THRUST_200600_302600_NS6detail15normal_iteratorINS8_10device_ptrIjEEEESD_SD_SD_jNS0_19identity_decomposerENS1_16block_id_wrapperIjLb1EEEEE10hipError_tT1_PNSt15iterator_traitsISI_E10value_typeET2_T3_PNSJ_ISO_E10value_typeET4_T5_PST_SU_PNS1_23onesweep_lookback_stateEbbT6_jjT7_P12ihipStream_tbENKUlT_T0_SI_SN_E_clIPjSD_S15_SD_EEDaS11_S12_SI_SN_EUlS11_E_NS1_11comp_targetILNS1_3genE3ELNS1_11target_archE908ELNS1_3gpuE7ELNS1_3repE0EEENS1_47radix_sort_onesweep_sort_config_static_selectorELNS0_4arch9wavefront6targetE1EEEvSI_
	.globl	_ZN7rocprim17ROCPRIM_400000_NS6detail17trampoline_kernelINS0_14default_configENS1_35radix_sort_onesweep_config_selectorIjjEEZZNS1_29radix_sort_onesweep_iterationIS3_Lb0EN6thrust23THRUST_200600_302600_NS6detail15normal_iteratorINS8_10device_ptrIjEEEESD_SD_SD_jNS0_19identity_decomposerENS1_16block_id_wrapperIjLb1EEEEE10hipError_tT1_PNSt15iterator_traitsISI_E10value_typeET2_T3_PNSJ_ISO_E10value_typeET4_T5_PST_SU_PNS1_23onesweep_lookback_stateEbbT6_jjT7_P12ihipStream_tbENKUlT_T0_SI_SN_E_clIPjSD_S15_SD_EEDaS11_S12_SI_SN_EUlS11_E_NS1_11comp_targetILNS1_3genE3ELNS1_11target_archE908ELNS1_3gpuE7ELNS1_3repE0EEENS1_47radix_sort_onesweep_sort_config_static_selectorELNS0_4arch9wavefront6targetE1EEEvSI_
	.p2align	8
	.type	_ZN7rocprim17ROCPRIM_400000_NS6detail17trampoline_kernelINS0_14default_configENS1_35radix_sort_onesweep_config_selectorIjjEEZZNS1_29radix_sort_onesweep_iterationIS3_Lb0EN6thrust23THRUST_200600_302600_NS6detail15normal_iteratorINS8_10device_ptrIjEEEESD_SD_SD_jNS0_19identity_decomposerENS1_16block_id_wrapperIjLb1EEEEE10hipError_tT1_PNSt15iterator_traitsISI_E10value_typeET2_T3_PNSJ_ISO_E10value_typeET4_T5_PST_SU_PNS1_23onesweep_lookback_stateEbbT6_jjT7_P12ihipStream_tbENKUlT_T0_SI_SN_E_clIPjSD_S15_SD_EEDaS11_S12_SI_SN_EUlS11_E_NS1_11comp_targetILNS1_3genE3ELNS1_11target_archE908ELNS1_3gpuE7ELNS1_3repE0EEENS1_47radix_sort_onesweep_sort_config_static_selectorELNS0_4arch9wavefront6targetE1EEEvSI_,@function
_ZN7rocprim17ROCPRIM_400000_NS6detail17trampoline_kernelINS0_14default_configENS1_35radix_sort_onesweep_config_selectorIjjEEZZNS1_29radix_sort_onesweep_iterationIS3_Lb0EN6thrust23THRUST_200600_302600_NS6detail15normal_iteratorINS8_10device_ptrIjEEEESD_SD_SD_jNS0_19identity_decomposerENS1_16block_id_wrapperIjLb1EEEEE10hipError_tT1_PNSt15iterator_traitsISI_E10value_typeET2_T3_PNSJ_ISO_E10value_typeET4_T5_PST_SU_PNS1_23onesweep_lookback_stateEbbT6_jjT7_P12ihipStream_tbENKUlT_T0_SI_SN_E_clIPjSD_S15_SD_EEDaS11_S12_SI_SN_EUlS11_E_NS1_11comp_targetILNS1_3genE3ELNS1_11target_archE908ELNS1_3gpuE7ELNS1_3repE0EEENS1_47radix_sort_onesweep_sort_config_static_selectorELNS0_4arch9wavefront6targetE1EEEvSI_: ; @_ZN7rocprim17ROCPRIM_400000_NS6detail17trampoline_kernelINS0_14default_configENS1_35radix_sort_onesweep_config_selectorIjjEEZZNS1_29radix_sort_onesweep_iterationIS3_Lb0EN6thrust23THRUST_200600_302600_NS6detail15normal_iteratorINS8_10device_ptrIjEEEESD_SD_SD_jNS0_19identity_decomposerENS1_16block_id_wrapperIjLb1EEEEE10hipError_tT1_PNSt15iterator_traitsISI_E10value_typeET2_T3_PNSJ_ISO_E10value_typeET4_T5_PST_SU_PNS1_23onesweep_lookback_stateEbbT6_jjT7_P12ihipStream_tbENKUlT_T0_SI_SN_E_clIPjSD_S15_SD_EEDaS11_S12_SI_SN_EUlS11_E_NS1_11comp_targetILNS1_3genE3ELNS1_11target_archE908ELNS1_3gpuE7ELNS1_3repE0EEENS1_47radix_sort_onesweep_sort_config_static_selectorELNS0_4arch9wavefront6targetE1EEEvSI_
; %bb.0:
	.section	.rodata,"a",@progbits
	.p2align	6, 0x0
	.amdhsa_kernel _ZN7rocprim17ROCPRIM_400000_NS6detail17trampoline_kernelINS0_14default_configENS1_35radix_sort_onesweep_config_selectorIjjEEZZNS1_29radix_sort_onesweep_iterationIS3_Lb0EN6thrust23THRUST_200600_302600_NS6detail15normal_iteratorINS8_10device_ptrIjEEEESD_SD_SD_jNS0_19identity_decomposerENS1_16block_id_wrapperIjLb1EEEEE10hipError_tT1_PNSt15iterator_traitsISI_E10value_typeET2_T3_PNSJ_ISO_E10value_typeET4_T5_PST_SU_PNS1_23onesweep_lookback_stateEbbT6_jjT7_P12ihipStream_tbENKUlT_T0_SI_SN_E_clIPjSD_S15_SD_EEDaS11_S12_SI_SN_EUlS11_E_NS1_11comp_targetILNS1_3genE3ELNS1_11target_archE908ELNS1_3gpuE7ELNS1_3repE0EEENS1_47radix_sort_onesweep_sort_config_static_selectorELNS0_4arch9wavefront6targetE1EEEvSI_
		.amdhsa_group_segment_fixed_size 0
		.amdhsa_private_segment_fixed_size 0
		.amdhsa_kernarg_size 88
		.amdhsa_user_sgpr_count 2
		.amdhsa_user_sgpr_dispatch_ptr 0
		.amdhsa_user_sgpr_queue_ptr 0
		.amdhsa_user_sgpr_kernarg_segment_ptr 1
		.amdhsa_user_sgpr_dispatch_id 0
		.amdhsa_user_sgpr_kernarg_preload_length 0
		.amdhsa_user_sgpr_kernarg_preload_offset 0
		.amdhsa_user_sgpr_private_segment_size 0
		.amdhsa_uses_dynamic_stack 0
		.amdhsa_enable_private_segment 0
		.amdhsa_system_sgpr_workgroup_id_x 1
		.amdhsa_system_sgpr_workgroup_id_y 0
		.amdhsa_system_sgpr_workgroup_id_z 0
		.amdhsa_system_sgpr_workgroup_info 0
		.amdhsa_system_vgpr_workitem_id 0
		.amdhsa_next_free_vgpr 1
		.amdhsa_next_free_sgpr 0
		.amdhsa_accum_offset 4
		.amdhsa_reserve_vcc 0
		.amdhsa_float_round_mode_32 0
		.amdhsa_float_round_mode_16_64 0
		.amdhsa_float_denorm_mode_32 3
		.amdhsa_float_denorm_mode_16_64 3
		.amdhsa_dx10_clamp 1
		.amdhsa_ieee_mode 1
		.amdhsa_fp16_overflow 0
		.amdhsa_tg_split 0
		.amdhsa_exception_fp_ieee_invalid_op 0
		.amdhsa_exception_fp_denorm_src 0
		.amdhsa_exception_fp_ieee_div_zero 0
		.amdhsa_exception_fp_ieee_overflow 0
		.amdhsa_exception_fp_ieee_underflow 0
		.amdhsa_exception_fp_ieee_inexact 0
		.amdhsa_exception_int_div_zero 0
	.end_amdhsa_kernel
	.section	.text._ZN7rocprim17ROCPRIM_400000_NS6detail17trampoline_kernelINS0_14default_configENS1_35radix_sort_onesweep_config_selectorIjjEEZZNS1_29radix_sort_onesweep_iterationIS3_Lb0EN6thrust23THRUST_200600_302600_NS6detail15normal_iteratorINS8_10device_ptrIjEEEESD_SD_SD_jNS0_19identity_decomposerENS1_16block_id_wrapperIjLb1EEEEE10hipError_tT1_PNSt15iterator_traitsISI_E10value_typeET2_T3_PNSJ_ISO_E10value_typeET4_T5_PST_SU_PNS1_23onesweep_lookback_stateEbbT6_jjT7_P12ihipStream_tbENKUlT_T0_SI_SN_E_clIPjSD_S15_SD_EEDaS11_S12_SI_SN_EUlS11_E_NS1_11comp_targetILNS1_3genE3ELNS1_11target_archE908ELNS1_3gpuE7ELNS1_3repE0EEENS1_47radix_sort_onesweep_sort_config_static_selectorELNS0_4arch9wavefront6targetE1EEEvSI_,"axG",@progbits,_ZN7rocprim17ROCPRIM_400000_NS6detail17trampoline_kernelINS0_14default_configENS1_35radix_sort_onesweep_config_selectorIjjEEZZNS1_29radix_sort_onesweep_iterationIS3_Lb0EN6thrust23THRUST_200600_302600_NS6detail15normal_iteratorINS8_10device_ptrIjEEEESD_SD_SD_jNS0_19identity_decomposerENS1_16block_id_wrapperIjLb1EEEEE10hipError_tT1_PNSt15iterator_traitsISI_E10value_typeET2_T3_PNSJ_ISO_E10value_typeET4_T5_PST_SU_PNS1_23onesweep_lookback_stateEbbT6_jjT7_P12ihipStream_tbENKUlT_T0_SI_SN_E_clIPjSD_S15_SD_EEDaS11_S12_SI_SN_EUlS11_E_NS1_11comp_targetILNS1_3genE3ELNS1_11target_archE908ELNS1_3gpuE7ELNS1_3repE0EEENS1_47radix_sort_onesweep_sort_config_static_selectorELNS0_4arch9wavefront6targetE1EEEvSI_,comdat
.Lfunc_end774:
	.size	_ZN7rocprim17ROCPRIM_400000_NS6detail17trampoline_kernelINS0_14default_configENS1_35radix_sort_onesweep_config_selectorIjjEEZZNS1_29radix_sort_onesweep_iterationIS3_Lb0EN6thrust23THRUST_200600_302600_NS6detail15normal_iteratorINS8_10device_ptrIjEEEESD_SD_SD_jNS0_19identity_decomposerENS1_16block_id_wrapperIjLb1EEEEE10hipError_tT1_PNSt15iterator_traitsISI_E10value_typeET2_T3_PNSJ_ISO_E10value_typeET4_T5_PST_SU_PNS1_23onesweep_lookback_stateEbbT6_jjT7_P12ihipStream_tbENKUlT_T0_SI_SN_E_clIPjSD_S15_SD_EEDaS11_S12_SI_SN_EUlS11_E_NS1_11comp_targetILNS1_3genE3ELNS1_11target_archE908ELNS1_3gpuE7ELNS1_3repE0EEENS1_47radix_sort_onesweep_sort_config_static_selectorELNS0_4arch9wavefront6targetE1EEEvSI_, .Lfunc_end774-_ZN7rocprim17ROCPRIM_400000_NS6detail17trampoline_kernelINS0_14default_configENS1_35radix_sort_onesweep_config_selectorIjjEEZZNS1_29radix_sort_onesweep_iterationIS3_Lb0EN6thrust23THRUST_200600_302600_NS6detail15normal_iteratorINS8_10device_ptrIjEEEESD_SD_SD_jNS0_19identity_decomposerENS1_16block_id_wrapperIjLb1EEEEE10hipError_tT1_PNSt15iterator_traitsISI_E10value_typeET2_T3_PNSJ_ISO_E10value_typeET4_T5_PST_SU_PNS1_23onesweep_lookback_stateEbbT6_jjT7_P12ihipStream_tbENKUlT_T0_SI_SN_E_clIPjSD_S15_SD_EEDaS11_S12_SI_SN_EUlS11_E_NS1_11comp_targetILNS1_3genE3ELNS1_11target_archE908ELNS1_3gpuE7ELNS1_3repE0EEENS1_47radix_sort_onesweep_sort_config_static_selectorELNS0_4arch9wavefront6targetE1EEEvSI_
                                        ; -- End function
	.set _ZN7rocprim17ROCPRIM_400000_NS6detail17trampoline_kernelINS0_14default_configENS1_35radix_sort_onesweep_config_selectorIjjEEZZNS1_29radix_sort_onesweep_iterationIS3_Lb0EN6thrust23THRUST_200600_302600_NS6detail15normal_iteratorINS8_10device_ptrIjEEEESD_SD_SD_jNS0_19identity_decomposerENS1_16block_id_wrapperIjLb1EEEEE10hipError_tT1_PNSt15iterator_traitsISI_E10value_typeET2_T3_PNSJ_ISO_E10value_typeET4_T5_PST_SU_PNS1_23onesweep_lookback_stateEbbT6_jjT7_P12ihipStream_tbENKUlT_T0_SI_SN_E_clIPjSD_S15_SD_EEDaS11_S12_SI_SN_EUlS11_E_NS1_11comp_targetILNS1_3genE3ELNS1_11target_archE908ELNS1_3gpuE7ELNS1_3repE0EEENS1_47radix_sort_onesweep_sort_config_static_selectorELNS0_4arch9wavefront6targetE1EEEvSI_.num_vgpr, 0
	.set _ZN7rocprim17ROCPRIM_400000_NS6detail17trampoline_kernelINS0_14default_configENS1_35radix_sort_onesweep_config_selectorIjjEEZZNS1_29radix_sort_onesweep_iterationIS3_Lb0EN6thrust23THRUST_200600_302600_NS6detail15normal_iteratorINS8_10device_ptrIjEEEESD_SD_SD_jNS0_19identity_decomposerENS1_16block_id_wrapperIjLb1EEEEE10hipError_tT1_PNSt15iterator_traitsISI_E10value_typeET2_T3_PNSJ_ISO_E10value_typeET4_T5_PST_SU_PNS1_23onesweep_lookback_stateEbbT6_jjT7_P12ihipStream_tbENKUlT_T0_SI_SN_E_clIPjSD_S15_SD_EEDaS11_S12_SI_SN_EUlS11_E_NS1_11comp_targetILNS1_3genE3ELNS1_11target_archE908ELNS1_3gpuE7ELNS1_3repE0EEENS1_47radix_sort_onesweep_sort_config_static_selectorELNS0_4arch9wavefront6targetE1EEEvSI_.num_agpr, 0
	.set _ZN7rocprim17ROCPRIM_400000_NS6detail17trampoline_kernelINS0_14default_configENS1_35radix_sort_onesweep_config_selectorIjjEEZZNS1_29radix_sort_onesweep_iterationIS3_Lb0EN6thrust23THRUST_200600_302600_NS6detail15normal_iteratorINS8_10device_ptrIjEEEESD_SD_SD_jNS0_19identity_decomposerENS1_16block_id_wrapperIjLb1EEEEE10hipError_tT1_PNSt15iterator_traitsISI_E10value_typeET2_T3_PNSJ_ISO_E10value_typeET4_T5_PST_SU_PNS1_23onesweep_lookback_stateEbbT6_jjT7_P12ihipStream_tbENKUlT_T0_SI_SN_E_clIPjSD_S15_SD_EEDaS11_S12_SI_SN_EUlS11_E_NS1_11comp_targetILNS1_3genE3ELNS1_11target_archE908ELNS1_3gpuE7ELNS1_3repE0EEENS1_47radix_sort_onesweep_sort_config_static_selectorELNS0_4arch9wavefront6targetE1EEEvSI_.numbered_sgpr, 0
	.set _ZN7rocprim17ROCPRIM_400000_NS6detail17trampoline_kernelINS0_14default_configENS1_35radix_sort_onesweep_config_selectorIjjEEZZNS1_29radix_sort_onesweep_iterationIS3_Lb0EN6thrust23THRUST_200600_302600_NS6detail15normal_iteratorINS8_10device_ptrIjEEEESD_SD_SD_jNS0_19identity_decomposerENS1_16block_id_wrapperIjLb1EEEEE10hipError_tT1_PNSt15iterator_traitsISI_E10value_typeET2_T3_PNSJ_ISO_E10value_typeET4_T5_PST_SU_PNS1_23onesweep_lookback_stateEbbT6_jjT7_P12ihipStream_tbENKUlT_T0_SI_SN_E_clIPjSD_S15_SD_EEDaS11_S12_SI_SN_EUlS11_E_NS1_11comp_targetILNS1_3genE3ELNS1_11target_archE908ELNS1_3gpuE7ELNS1_3repE0EEENS1_47radix_sort_onesweep_sort_config_static_selectorELNS0_4arch9wavefront6targetE1EEEvSI_.num_named_barrier, 0
	.set _ZN7rocprim17ROCPRIM_400000_NS6detail17trampoline_kernelINS0_14default_configENS1_35radix_sort_onesweep_config_selectorIjjEEZZNS1_29radix_sort_onesweep_iterationIS3_Lb0EN6thrust23THRUST_200600_302600_NS6detail15normal_iteratorINS8_10device_ptrIjEEEESD_SD_SD_jNS0_19identity_decomposerENS1_16block_id_wrapperIjLb1EEEEE10hipError_tT1_PNSt15iterator_traitsISI_E10value_typeET2_T3_PNSJ_ISO_E10value_typeET4_T5_PST_SU_PNS1_23onesweep_lookback_stateEbbT6_jjT7_P12ihipStream_tbENKUlT_T0_SI_SN_E_clIPjSD_S15_SD_EEDaS11_S12_SI_SN_EUlS11_E_NS1_11comp_targetILNS1_3genE3ELNS1_11target_archE908ELNS1_3gpuE7ELNS1_3repE0EEENS1_47radix_sort_onesweep_sort_config_static_selectorELNS0_4arch9wavefront6targetE1EEEvSI_.private_seg_size, 0
	.set _ZN7rocprim17ROCPRIM_400000_NS6detail17trampoline_kernelINS0_14default_configENS1_35radix_sort_onesweep_config_selectorIjjEEZZNS1_29radix_sort_onesweep_iterationIS3_Lb0EN6thrust23THRUST_200600_302600_NS6detail15normal_iteratorINS8_10device_ptrIjEEEESD_SD_SD_jNS0_19identity_decomposerENS1_16block_id_wrapperIjLb1EEEEE10hipError_tT1_PNSt15iterator_traitsISI_E10value_typeET2_T3_PNSJ_ISO_E10value_typeET4_T5_PST_SU_PNS1_23onesweep_lookback_stateEbbT6_jjT7_P12ihipStream_tbENKUlT_T0_SI_SN_E_clIPjSD_S15_SD_EEDaS11_S12_SI_SN_EUlS11_E_NS1_11comp_targetILNS1_3genE3ELNS1_11target_archE908ELNS1_3gpuE7ELNS1_3repE0EEENS1_47radix_sort_onesweep_sort_config_static_selectorELNS0_4arch9wavefront6targetE1EEEvSI_.uses_vcc, 0
	.set _ZN7rocprim17ROCPRIM_400000_NS6detail17trampoline_kernelINS0_14default_configENS1_35radix_sort_onesweep_config_selectorIjjEEZZNS1_29radix_sort_onesweep_iterationIS3_Lb0EN6thrust23THRUST_200600_302600_NS6detail15normal_iteratorINS8_10device_ptrIjEEEESD_SD_SD_jNS0_19identity_decomposerENS1_16block_id_wrapperIjLb1EEEEE10hipError_tT1_PNSt15iterator_traitsISI_E10value_typeET2_T3_PNSJ_ISO_E10value_typeET4_T5_PST_SU_PNS1_23onesweep_lookback_stateEbbT6_jjT7_P12ihipStream_tbENKUlT_T0_SI_SN_E_clIPjSD_S15_SD_EEDaS11_S12_SI_SN_EUlS11_E_NS1_11comp_targetILNS1_3genE3ELNS1_11target_archE908ELNS1_3gpuE7ELNS1_3repE0EEENS1_47radix_sort_onesweep_sort_config_static_selectorELNS0_4arch9wavefront6targetE1EEEvSI_.uses_flat_scratch, 0
	.set _ZN7rocprim17ROCPRIM_400000_NS6detail17trampoline_kernelINS0_14default_configENS1_35radix_sort_onesweep_config_selectorIjjEEZZNS1_29radix_sort_onesweep_iterationIS3_Lb0EN6thrust23THRUST_200600_302600_NS6detail15normal_iteratorINS8_10device_ptrIjEEEESD_SD_SD_jNS0_19identity_decomposerENS1_16block_id_wrapperIjLb1EEEEE10hipError_tT1_PNSt15iterator_traitsISI_E10value_typeET2_T3_PNSJ_ISO_E10value_typeET4_T5_PST_SU_PNS1_23onesweep_lookback_stateEbbT6_jjT7_P12ihipStream_tbENKUlT_T0_SI_SN_E_clIPjSD_S15_SD_EEDaS11_S12_SI_SN_EUlS11_E_NS1_11comp_targetILNS1_3genE3ELNS1_11target_archE908ELNS1_3gpuE7ELNS1_3repE0EEENS1_47radix_sort_onesweep_sort_config_static_selectorELNS0_4arch9wavefront6targetE1EEEvSI_.has_dyn_sized_stack, 0
	.set _ZN7rocprim17ROCPRIM_400000_NS6detail17trampoline_kernelINS0_14default_configENS1_35radix_sort_onesweep_config_selectorIjjEEZZNS1_29radix_sort_onesweep_iterationIS3_Lb0EN6thrust23THRUST_200600_302600_NS6detail15normal_iteratorINS8_10device_ptrIjEEEESD_SD_SD_jNS0_19identity_decomposerENS1_16block_id_wrapperIjLb1EEEEE10hipError_tT1_PNSt15iterator_traitsISI_E10value_typeET2_T3_PNSJ_ISO_E10value_typeET4_T5_PST_SU_PNS1_23onesweep_lookback_stateEbbT6_jjT7_P12ihipStream_tbENKUlT_T0_SI_SN_E_clIPjSD_S15_SD_EEDaS11_S12_SI_SN_EUlS11_E_NS1_11comp_targetILNS1_3genE3ELNS1_11target_archE908ELNS1_3gpuE7ELNS1_3repE0EEENS1_47radix_sort_onesweep_sort_config_static_selectorELNS0_4arch9wavefront6targetE1EEEvSI_.has_recursion, 0
	.set _ZN7rocprim17ROCPRIM_400000_NS6detail17trampoline_kernelINS0_14default_configENS1_35radix_sort_onesweep_config_selectorIjjEEZZNS1_29radix_sort_onesweep_iterationIS3_Lb0EN6thrust23THRUST_200600_302600_NS6detail15normal_iteratorINS8_10device_ptrIjEEEESD_SD_SD_jNS0_19identity_decomposerENS1_16block_id_wrapperIjLb1EEEEE10hipError_tT1_PNSt15iterator_traitsISI_E10value_typeET2_T3_PNSJ_ISO_E10value_typeET4_T5_PST_SU_PNS1_23onesweep_lookback_stateEbbT6_jjT7_P12ihipStream_tbENKUlT_T0_SI_SN_E_clIPjSD_S15_SD_EEDaS11_S12_SI_SN_EUlS11_E_NS1_11comp_targetILNS1_3genE3ELNS1_11target_archE908ELNS1_3gpuE7ELNS1_3repE0EEENS1_47radix_sort_onesweep_sort_config_static_selectorELNS0_4arch9wavefront6targetE1EEEvSI_.has_indirect_call, 0
	.section	.AMDGPU.csdata,"",@progbits
; Kernel info:
; codeLenInByte = 0
; TotalNumSgprs: 6
; NumVgprs: 0
; NumAgprs: 0
; TotalNumVgprs: 0
; ScratchSize: 0
; MemoryBound: 0
; FloatMode: 240
; IeeeMode: 1
; LDSByteSize: 0 bytes/workgroup (compile time only)
; SGPRBlocks: 0
; VGPRBlocks: 0
; NumSGPRsForWavesPerEU: 6
; NumVGPRsForWavesPerEU: 1
; AccumOffset: 4
; Occupancy: 8
; WaveLimiterHint : 0
; COMPUTE_PGM_RSRC2:SCRATCH_EN: 0
; COMPUTE_PGM_RSRC2:USER_SGPR: 2
; COMPUTE_PGM_RSRC2:TRAP_HANDLER: 0
; COMPUTE_PGM_RSRC2:TGID_X_EN: 1
; COMPUTE_PGM_RSRC2:TGID_Y_EN: 0
; COMPUTE_PGM_RSRC2:TGID_Z_EN: 0
; COMPUTE_PGM_RSRC2:TIDIG_COMP_CNT: 0
; COMPUTE_PGM_RSRC3_GFX90A:ACCUM_OFFSET: 0
; COMPUTE_PGM_RSRC3_GFX90A:TG_SPLIT: 0
	.section	.text._ZN7rocprim17ROCPRIM_400000_NS6detail17trampoline_kernelINS0_14default_configENS1_35radix_sort_onesweep_config_selectorIjjEEZZNS1_29radix_sort_onesweep_iterationIS3_Lb0EN6thrust23THRUST_200600_302600_NS6detail15normal_iteratorINS8_10device_ptrIjEEEESD_SD_SD_jNS0_19identity_decomposerENS1_16block_id_wrapperIjLb1EEEEE10hipError_tT1_PNSt15iterator_traitsISI_E10value_typeET2_T3_PNSJ_ISO_E10value_typeET4_T5_PST_SU_PNS1_23onesweep_lookback_stateEbbT6_jjT7_P12ihipStream_tbENKUlT_T0_SI_SN_E_clIPjSD_S15_SD_EEDaS11_S12_SI_SN_EUlS11_E_NS1_11comp_targetILNS1_3genE10ELNS1_11target_archE1201ELNS1_3gpuE5ELNS1_3repE0EEENS1_47radix_sort_onesweep_sort_config_static_selectorELNS0_4arch9wavefront6targetE1EEEvSI_,"axG",@progbits,_ZN7rocprim17ROCPRIM_400000_NS6detail17trampoline_kernelINS0_14default_configENS1_35radix_sort_onesweep_config_selectorIjjEEZZNS1_29radix_sort_onesweep_iterationIS3_Lb0EN6thrust23THRUST_200600_302600_NS6detail15normal_iteratorINS8_10device_ptrIjEEEESD_SD_SD_jNS0_19identity_decomposerENS1_16block_id_wrapperIjLb1EEEEE10hipError_tT1_PNSt15iterator_traitsISI_E10value_typeET2_T3_PNSJ_ISO_E10value_typeET4_T5_PST_SU_PNS1_23onesweep_lookback_stateEbbT6_jjT7_P12ihipStream_tbENKUlT_T0_SI_SN_E_clIPjSD_S15_SD_EEDaS11_S12_SI_SN_EUlS11_E_NS1_11comp_targetILNS1_3genE10ELNS1_11target_archE1201ELNS1_3gpuE5ELNS1_3repE0EEENS1_47radix_sort_onesweep_sort_config_static_selectorELNS0_4arch9wavefront6targetE1EEEvSI_,comdat
	.protected	_ZN7rocprim17ROCPRIM_400000_NS6detail17trampoline_kernelINS0_14default_configENS1_35radix_sort_onesweep_config_selectorIjjEEZZNS1_29radix_sort_onesweep_iterationIS3_Lb0EN6thrust23THRUST_200600_302600_NS6detail15normal_iteratorINS8_10device_ptrIjEEEESD_SD_SD_jNS0_19identity_decomposerENS1_16block_id_wrapperIjLb1EEEEE10hipError_tT1_PNSt15iterator_traitsISI_E10value_typeET2_T3_PNSJ_ISO_E10value_typeET4_T5_PST_SU_PNS1_23onesweep_lookback_stateEbbT6_jjT7_P12ihipStream_tbENKUlT_T0_SI_SN_E_clIPjSD_S15_SD_EEDaS11_S12_SI_SN_EUlS11_E_NS1_11comp_targetILNS1_3genE10ELNS1_11target_archE1201ELNS1_3gpuE5ELNS1_3repE0EEENS1_47radix_sort_onesweep_sort_config_static_selectorELNS0_4arch9wavefront6targetE1EEEvSI_ ; -- Begin function _ZN7rocprim17ROCPRIM_400000_NS6detail17trampoline_kernelINS0_14default_configENS1_35radix_sort_onesweep_config_selectorIjjEEZZNS1_29radix_sort_onesweep_iterationIS3_Lb0EN6thrust23THRUST_200600_302600_NS6detail15normal_iteratorINS8_10device_ptrIjEEEESD_SD_SD_jNS0_19identity_decomposerENS1_16block_id_wrapperIjLb1EEEEE10hipError_tT1_PNSt15iterator_traitsISI_E10value_typeET2_T3_PNSJ_ISO_E10value_typeET4_T5_PST_SU_PNS1_23onesweep_lookback_stateEbbT6_jjT7_P12ihipStream_tbENKUlT_T0_SI_SN_E_clIPjSD_S15_SD_EEDaS11_S12_SI_SN_EUlS11_E_NS1_11comp_targetILNS1_3genE10ELNS1_11target_archE1201ELNS1_3gpuE5ELNS1_3repE0EEENS1_47radix_sort_onesweep_sort_config_static_selectorELNS0_4arch9wavefront6targetE1EEEvSI_
	.globl	_ZN7rocprim17ROCPRIM_400000_NS6detail17trampoline_kernelINS0_14default_configENS1_35radix_sort_onesweep_config_selectorIjjEEZZNS1_29radix_sort_onesweep_iterationIS3_Lb0EN6thrust23THRUST_200600_302600_NS6detail15normal_iteratorINS8_10device_ptrIjEEEESD_SD_SD_jNS0_19identity_decomposerENS1_16block_id_wrapperIjLb1EEEEE10hipError_tT1_PNSt15iterator_traitsISI_E10value_typeET2_T3_PNSJ_ISO_E10value_typeET4_T5_PST_SU_PNS1_23onesweep_lookback_stateEbbT6_jjT7_P12ihipStream_tbENKUlT_T0_SI_SN_E_clIPjSD_S15_SD_EEDaS11_S12_SI_SN_EUlS11_E_NS1_11comp_targetILNS1_3genE10ELNS1_11target_archE1201ELNS1_3gpuE5ELNS1_3repE0EEENS1_47radix_sort_onesweep_sort_config_static_selectorELNS0_4arch9wavefront6targetE1EEEvSI_
	.p2align	8
	.type	_ZN7rocprim17ROCPRIM_400000_NS6detail17trampoline_kernelINS0_14default_configENS1_35radix_sort_onesweep_config_selectorIjjEEZZNS1_29radix_sort_onesweep_iterationIS3_Lb0EN6thrust23THRUST_200600_302600_NS6detail15normal_iteratorINS8_10device_ptrIjEEEESD_SD_SD_jNS0_19identity_decomposerENS1_16block_id_wrapperIjLb1EEEEE10hipError_tT1_PNSt15iterator_traitsISI_E10value_typeET2_T3_PNSJ_ISO_E10value_typeET4_T5_PST_SU_PNS1_23onesweep_lookback_stateEbbT6_jjT7_P12ihipStream_tbENKUlT_T0_SI_SN_E_clIPjSD_S15_SD_EEDaS11_S12_SI_SN_EUlS11_E_NS1_11comp_targetILNS1_3genE10ELNS1_11target_archE1201ELNS1_3gpuE5ELNS1_3repE0EEENS1_47radix_sort_onesweep_sort_config_static_selectorELNS0_4arch9wavefront6targetE1EEEvSI_,@function
_ZN7rocprim17ROCPRIM_400000_NS6detail17trampoline_kernelINS0_14default_configENS1_35radix_sort_onesweep_config_selectorIjjEEZZNS1_29radix_sort_onesweep_iterationIS3_Lb0EN6thrust23THRUST_200600_302600_NS6detail15normal_iteratorINS8_10device_ptrIjEEEESD_SD_SD_jNS0_19identity_decomposerENS1_16block_id_wrapperIjLb1EEEEE10hipError_tT1_PNSt15iterator_traitsISI_E10value_typeET2_T3_PNSJ_ISO_E10value_typeET4_T5_PST_SU_PNS1_23onesweep_lookback_stateEbbT6_jjT7_P12ihipStream_tbENKUlT_T0_SI_SN_E_clIPjSD_S15_SD_EEDaS11_S12_SI_SN_EUlS11_E_NS1_11comp_targetILNS1_3genE10ELNS1_11target_archE1201ELNS1_3gpuE5ELNS1_3repE0EEENS1_47radix_sort_onesweep_sort_config_static_selectorELNS0_4arch9wavefront6targetE1EEEvSI_: ; @_ZN7rocprim17ROCPRIM_400000_NS6detail17trampoline_kernelINS0_14default_configENS1_35radix_sort_onesweep_config_selectorIjjEEZZNS1_29radix_sort_onesweep_iterationIS3_Lb0EN6thrust23THRUST_200600_302600_NS6detail15normal_iteratorINS8_10device_ptrIjEEEESD_SD_SD_jNS0_19identity_decomposerENS1_16block_id_wrapperIjLb1EEEEE10hipError_tT1_PNSt15iterator_traitsISI_E10value_typeET2_T3_PNSJ_ISO_E10value_typeET4_T5_PST_SU_PNS1_23onesweep_lookback_stateEbbT6_jjT7_P12ihipStream_tbENKUlT_T0_SI_SN_E_clIPjSD_S15_SD_EEDaS11_S12_SI_SN_EUlS11_E_NS1_11comp_targetILNS1_3genE10ELNS1_11target_archE1201ELNS1_3gpuE5ELNS1_3repE0EEENS1_47radix_sort_onesweep_sort_config_static_selectorELNS0_4arch9wavefront6targetE1EEEvSI_
; %bb.0:
	.section	.rodata,"a",@progbits
	.p2align	6, 0x0
	.amdhsa_kernel _ZN7rocprim17ROCPRIM_400000_NS6detail17trampoline_kernelINS0_14default_configENS1_35radix_sort_onesweep_config_selectorIjjEEZZNS1_29radix_sort_onesweep_iterationIS3_Lb0EN6thrust23THRUST_200600_302600_NS6detail15normal_iteratorINS8_10device_ptrIjEEEESD_SD_SD_jNS0_19identity_decomposerENS1_16block_id_wrapperIjLb1EEEEE10hipError_tT1_PNSt15iterator_traitsISI_E10value_typeET2_T3_PNSJ_ISO_E10value_typeET4_T5_PST_SU_PNS1_23onesweep_lookback_stateEbbT6_jjT7_P12ihipStream_tbENKUlT_T0_SI_SN_E_clIPjSD_S15_SD_EEDaS11_S12_SI_SN_EUlS11_E_NS1_11comp_targetILNS1_3genE10ELNS1_11target_archE1201ELNS1_3gpuE5ELNS1_3repE0EEENS1_47radix_sort_onesweep_sort_config_static_selectorELNS0_4arch9wavefront6targetE1EEEvSI_
		.amdhsa_group_segment_fixed_size 0
		.amdhsa_private_segment_fixed_size 0
		.amdhsa_kernarg_size 88
		.amdhsa_user_sgpr_count 2
		.amdhsa_user_sgpr_dispatch_ptr 0
		.amdhsa_user_sgpr_queue_ptr 0
		.amdhsa_user_sgpr_kernarg_segment_ptr 1
		.amdhsa_user_sgpr_dispatch_id 0
		.amdhsa_user_sgpr_kernarg_preload_length 0
		.amdhsa_user_sgpr_kernarg_preload_offset 0
		.amdhsa_user_sgpr_private_segment_size 0
		.amdhsa_uses_dynamic_stack 0
		.amdhsa_enable_private_segment 0
		.amdhsa_system_sgpr_workgroup_id_x 1
		.amdhsa_system_sgpr_workgroup_id_y 0
		.amdhsa_system_sgpr_workgroup_id_z 0
		.amdhsa_system_sgpr_workgroup_info 0
		.amdhsa_system_vgpr_workitem_id 0
		.amdhsa_next_free_vgpr 1
		.amdhsa_next_free_sgpr 0
		.amdhsa_accum_offset 4
		.amdhsa_reserve_vcc 0
		.amdhsa_float_round_mode_32 0
		.amdhsa_float_round_mode_16_64 0
		.amdhsa_float_denorm_mode_32 3
		.amdhsa_float_denorm_mode_16_64 3
		.amdhsa_dx10_clamp 1
		.amdhsa_ieee_mode 1
		.amdhsa_fp16_overflow 0
		.amdhsa_tg_split 0
		.amdhsa_exception_fp_ieee_invalid_op 0
		.amdhsa_exception_fp_denorm_src 0
		.amdhsa_exception_fp_ieee_div_zero 0
		.amdhsa_exception_fp_ieee_overflow 0
		.amdhsa_exception_fp_ieee_underflow 0
		.amdhsa_exception_fp_ieee_inexact 0
		.amdhsa_exception_int_div_zero 0
	.end_amdhsa_kernel
	.section	.text._ZN7rocprim17ROCPRIM_400000_NS6detail17trampoline_kernelINS0_14default_configENS1_35radix_sort_onesweep_config_selectorIjjEEZZNS1_29radix_sort_onesweep_iterationIS3_Lb0EN6thrust23THRUST_200600_302600_NS6detail15normal_iteratorINS8_10device_ptrIjEEEESD_SD_SD_jNS0_19identity_decomposerENS1_16block_id_wrapperIjLb1EEEEE10hipError_tT1_PNSt15iterator_traitsISI_E10value_typeET2_T3_PNSJ_ISO_E10value_typeET4_T5_PST_SU_PNS1_23onesweep_lookback_stateEbbT6_jjT7_P12ihipStream_tbENKUlT_T0_SI_SN_E_clIPjSD_S15_SD_EEDaS11_S12_SI_SN_EUlS11_E_NS1_11comp_targetILNS1_3genE10ELNS1_11target_archE1201ELNS1_3gpuE5ELNS1_3repE0EEENS1_47radix_sort_onesweep_sort_config_static_selectorELNS0_4arch9wavefront6targetE1EEEvSI_,"axG",@progbits,_ZN7rocprim17ROCPRIM_400000_NS6detail17trampoline_kernelINS0_14default_configENS1_35radix_sort_onesweep_config_selectorIjjEEZZNS1_29radix_sort_onesweep_iterationIS3_Lb0EN6thrust23THRUST_200600_302600_NS6detail15normal_iteratorINS8_10device_ptrIjEEEESD_SD_SD_jNS0_19identity_decomposerENS1_16block_id_wrapperIjLb1EEEEE10hipError_tT1_PNSt15iterator_traitsISI_E10value_typeET2_T3_PNSJ_ISO_E10value_typeET4_T5_PST_SU_PNS1_23onesweep_lookback_stateEbbT6_jjT7_P12ihipStream_tbENKUlT_T0_SI_SN_E_clIPjSD_S15_SD_EEDaS11_S12_SI_SN_EUlS11_E_NS1_11comp_targetILNS1_3genE10ELNS1_11target_archE1201ELNS1_3gpuE5ELNS1_3repE0EEENS1_47radix_sort_onesweep_sort_config_static_selectorELNS0_4arch9wavefront6targetE1EEEvSI_,comdat
.Lfunc_end775:
	.size	_ZN7rocprim17ROCPRIM_400000_NS6detail17trampoline_kernelINS0_14default_configENS1_35radix_sort_onesweep_config_selectorIjjEEZZNS1_29radix_sort_onesweep_iterationIS3_Lb0EN6thrust23THRUST_200600_302600_NS6detail15normal_iteratorINS8_10device_ptrIjEEEESD_SD_SD_jNS0_19identity_decomposerENS1_16block_id_wrapperIjLb1EEEEE10hipError_tT1_PNSt15iterator_traitsISI_E10value_typeET2_T3_PNSJ_ISO_E10value_typeET4_T5_PST_SU_PNS1_23onesweep_lookback_stateEbbT6_jjT7_P12ihipStream_tbENKUlT_T0_SI_SN_E_clIPjSD_S15_SD_EEDaS11_S12_SI_SN_EUlS11_E_NS1_11comp_targetILNS1_3genE10ELNS1_11target_archE1201ELNS1_3gpuE5ELNS1_3repE0EEENS1_47radix_sort_onesweep_sort_config_static_selectorELNS0_4arch9wavefront6targetE1EEEvSI_, .Lfunc_end775-_ZN7rocprim17ROCPRIM_400000_NS6detail17trampoline_kernelINS0_14default_configENS1_35radix_sort_onesweep_config_selectorIjjEEZZNS1_29radix_sort_onesweep_iterationIS3_Lb0EN6thrust23THRUST_200600_302600_NS6detail15normal_iteratorINS8_10device_ptrIjEEEESD_SD_SD_jNS0_19identity_decomposerENS1_16block_id_wrapperIjLb1EEEEE10hipError_tT1_PNSt15iterator_traitsISI_E10value_typeET2_T3_PNSJ_ISO_E10value_typeET4_T5_PST_SU_PNS1_23onesweep_lookback_stateEbbT6_jjT7_P12ihipStream_tbENKUlT_T0_SI_SN_E_clIPjSD_S15_SD_EEDaS11_S12_SI_SN_EUlS11_E_NS1_11comp_targetILNS1_3genE10ELNS1_11target_archE1201ELNS1_3gpuE5ELNS1_3repE0EEENS1_47radix_sort_onesweep_sort_config_static_selectorELNS0_4arch9wavefront6targetE1EEEvSI_
                                        ; -- End function
	.set _ZN7rocprim17ROCPRIM_400000_NS6detail17trampoline_kernelINS0_14default_configENS1_35radix_sort_onesweep_config_selectorIjjEEZZNS1_29radix_sort_onesweep_iterationIS3_Lb0EN6thrust23THRUST_200600_302600_NS6detail15normal_iteratorINS8_10device_ptrIjEEEESD_SD_SD_jNS0_19identity_decomposerENS1_16block_id_wrapperIjLb1EEEEE10hipError_tT1_PNSt15iterator_traitsISI_E10value_typeET2_T3_PNSJ_ISO_E10value_typeET4_T5_PST_SU_PNS1_23onesweep_lookback_stateEbbT6_jjT7_P12ihipStream_tbENKUlT_T0_SI_SN_E_clIPjSD_S15_SD_EEDaS11_S12_SI_SN_EUlS11_E_NS1_11comp_targetILNS1_3genE10ELNS1_11target_archE1201ELNS1_3gpuE5ELNS1_3repE0EEENS1_47radix_sort_onesweep_sort_config_static_selectorELNS0_4arch9wavefront6targetE1EEEvSI_.num_vgpr, 0
	.set _ZN7rocprim17ROCPRIM_400000_NS6detail17trampoline_kernelINS0_14default_configENS1_35radix_sort_onesweep_config_selectorIjjEEZZNS1_29radix_sort_onesweep_iterationIS3_Lb0EN6thrust23THRUST_200600_302600_NS6detail15normal_iteratorINS8_10device_ptrIjEEEESD_SD_SD_jNS0_19identity_decomposerENS1_16block_id_wrapperIjLb1EEEEE10hipError_tT1_PNSt15iterator_traitsISI_E10value_typeET2_T3_PNSJ_ISO_E10value_typeET4_T5_PST_SU_PNS1_23onesweep_lookback_stateEbbT6_jjT7_P12ihipStream_tbENKUlT_T0_SI_SN_E_clIPjSD_S15_SD_EEDaS11_S12_SI_SN_EUlS11_E_NS1_11comp_targetILNS1_3genE10ELNS1_11target_archE1201ELNS1_3gpuE5ELNS1_3repE0EEENS1_47radix_sort_onesweep_sort_config_static_selectorELNS0_4arch9wavefront6targetE1EEEvSI_.num_agpr, 0
	.set _ZN7rocprim17ROCPRIM_400000_NS6detail17trampoline_kernelINS0_14default_configENS1_35radix_sort_onesweep_config_selectorIjjEEZZNS1_29radix_sort_onesweep_iterationIS3_Lb0EN6thrust23THRUST_200600_302600_NS6detail15normal_iteratorINS8_10device_ptrIjEEEESD_SD_SD_jNS0_19identity_decomposerENS1_16block_id_wrapperIjLb1EEEEE10hipError_tT1_PNSt15iterator_traitsISI_E10value_typeET2_T3_PNSJ_ISO_E10value_typeET4_T5_PST_SU_PNS1_23onesweep_lookback_stateEbbT6_jjT7_P12ihipStream_tbENKUlT_T0_SI_SN_E_clIPjSD_S15_SD_EEDaS11_S12_SI_SN_EUlS11_E_NS1_11comp_targetILNS1_3genE10ELNS1_11target_archE1201ELNS1_3gpuE5ELNS1_3repE0EEENS1_47radix_sort_onesweep_sort_config_static_selectorELNS0_4arch9wavefront6targetE1EEEvSI_.numbered_sgpr, 0
	.set _ZN7rocprim17ROCPRIM_400000_NS6detail17trampoline_kernelINS0_14default_configENS1_35radix_sort_onesweep_config_selectorIjjEEZZNS1_29radix_sort_onesweep_iterationIS3_Lb0EN6thrust23THRUST_200600_302600_NS6detail15normal_iteratorINS8_10device_ptrIjEEEESD_SD_SD_jNS0_19identity_decomposerENS1_16block_id_wrapperIjLb1EEEEE10hipError_tT1_PNSt15iterator_traitsISI_E10value_typeET2_T3_PNSJ_ISO_E10value_typeET4_T5_PST_SU_PNS1_23onesweep_lookback_stateEbbT6_jjT7_P12ihipStream_tbENKUlT_T0_SI_SN_E_clIPjSD_S15_SD_EEDaS11_S12_SI_SN_EUlS11_E_NS1_11comp_targetILNS1_3genE10ELNS1_11target_archE1201ELNS1_3gpuE5ELNS1_3repE0EEENS1_47radix_sort_onesweep_sort_config_static_selectorELNS0_4arch9wavefront6targetE1EEEvSI_.num_named_barrier, 0
	.set _ZN7rocprim17ROCPRIM_400000_NS6detail17trampoline_kernelINS0_14default_configENS1_35radix_sort_onesweep_config_selectorIjjEEZZNS1_29radix_sort_onesweep_iterationIS3_Lb0EN6thrust23THRUST_200600_302600_NS6detail15normal_iteratorINS8_10device_ptrIjEEEESD_SD_SD_jNS0_19identity_decomposerENS1_16block_id_wrapperIjLb1EEEEE10hipError_tT1_PNSt15iterator_traitsISI_E10value_typeET2_T3_PNSJ_ISO_E10value_typeET4_T5_PST_SU_PNS1_23onesweep_lookback_stateEbbT6_jjT7_P12ihipStream_tbENKUlT_T0_SI_SN_E_clIPjSD_S15_SD_EEDaS11_S12_SI_SN_EUlS11_E_NS1_11comp_targetILNS1_3genE10ELNS1_11target_archE1201ELNS1_3gpuE5ELNS1_3repE0EEENS1_47radix_sort_onesweep_sort_config_static_selectorELNS0_4arch9wavefront6targetE1EEEvSI_.private_seg_size, 0
	.set _ZN7rocprim17ROCPRIM_400000_NS6detail17trampoline_kernelINS0_14default_configENS1_35radix_sort_onesweep_config_selectorIjjEEZZNS1_29radix_sort_onesweep_iterationIS3_Lb0EN6thrust23THRUST_200600_302600_NS6detail15normal_iteratorINS8_10device_ptrIjEEEESD_SD_SD_jNS0_19identity_decomposerENS1_16block_id_wrapperIjLb1EEEEE10hipError_tT1_PNSt15iterator_traitsISI_E10value_typeET2_T3_PNSJ_ISO_E10value_typeET4_T5_PST_SU_PNS1_23onesweep_lookback_stateEbbT6_jjT7_P12ihipStream_tbENKUlT_T0_SI_SN_E_clIPjSD_S15_SD_EEDaS11_S12_SI_SN_EUlS11_E_NS1_11comp_targetILNS1_3genE10ELNS1_11target_archE1201ELNS1_3gpuE5ELNS1_3repE0EEENS1_47radix_sort_onesweep_sort_config_static_selectorELNS0_4arch9wavefront6targetE1EEEvSI_.uses_vcc, 0
	.set _ZN7rocprim17ROCPRIM_400000_NS6detail17trampoline_kernelINS0_14default_configENS1_35radix_sort_onesweep_config_selectorIjjEEZZNS1_29radix_sort_onesweep_iterationIS3_Lb0EN6thrust23THRUST_200600_302600_NS6detail15normal_iteratorINS8_10device_ptrIjEEEESD_SD_SD_jNS0_19identity_decomposerENS1_16block_id_wrapperIjLb1EEEEE10hipError_tT1_PNSt15iterator_traitsISI_E10value_typeET2_T3_PNSJ_ISO_E10value_typeET4_T5_PST_SU_PNS1_23onesweep_lookback_stateEbbT6_jjT7_P12ihipStream_tbENKUlT_T0_SI_SN_E_clIPjSD_S15_SD_EEDaS11_S12_SI_SN_EUlS11_E_NS1_11comp_targetILNS1_3genE10ELNS1_11target_archE1201ELNS1_3gpuE5ELNS1_3repE0EEENS1_47radix_sort_onesweep_sort_config_static_selectorELNS0_4arch9wavefront6targetE1EEEvSI_.uses_flat_scratch, 0
	.set _ZN7rocprim17ROCPRIM_400000_NS6detail17trampoline_kernelINS0_14default_configENS1_35radix_sort_onesweep_config_selectorIjjEEZZNS1_29radix_sort_onesweep_iterationIS3_Lb0EN6thrust23THRUST_200600_302600_NS6detail15normal_iteratorINS8_10device_ptrIjEEEESD_SD_SD_jNS0_19identity_decomposerENS1_16block_id_wrapperIjLb1EEEEE10hipError_tT1_PNSt15iterator_traitsISI_E10value_typeET2_T3_PNSJ_ISO_E10value_typeET4_T5_PST_SU_PNS1_23onesweep_lookback_stateEbbT6_jjT7_P12ihipStream_tbENKUlT_T0_SI_SN_E_clIPjSD_S15_SD_EEDaS11_S12_SI_SN_EUlS11_E_NS1_11comp_targetILNS1_3genE10ELNS1_11target_archE1201ELNS1_3gpuE5ELNS1_3repE0EEENS1_47radix_sort_onesweep_sort_config_static_selectorELNS0_4arch9wavefront6targetE1EEEvSI_.has_dyn_sized_stack, 0
	.set _ZN7rocprim17ROCPRIM_400000_NS6detail17trampoline_kernelINS0_14default_configENS1_35radix_sort_onesweep_config_selectorIjjEEZZNS1_29radix_sort_onesweep_iterationIS3_Lb0EN6thrust23THRUST_200600_302600_NS6detail15normal_iteratorINS8_10device_ptrIjEEEESD_SD_SD_jNS0_19identity_decomposerENS1_16block_id_wrapperIjLb1EEEEE10hipError_tT1_PNSt15iterator_traitsISI_E10value_typeET2_T3_PNSJ_ISO_E10value_typeET4_T5_PST_SU_PNS1_23onesweep_lookback_stateEbbT6_jjT7_P12ihipStream_tbENKUlT_T0_SI_SN_E_clIPjSD_S15_SD_EEDaS11_S12_SI_SN_EUlS11_E_NS1_11comp_targetILNS1_3genE10ELNS1_11target_archE1201ELNS1_3gpuE5ELNS1_3repE0EEENS1_47radix_sort_onesweep_sort_config_static_selectorELNS0_4arch9wavefront6targetE1EEEvSI_.has_recursion, 0
	.set _ZN7rocprim17ROCPRIM_400000_NS6detail17trampoline_kernelINS0_14default_configENS1_35radix_sort_onesweep_config_selectorIjjEEZZNS1_29radix_sort_onesweep_iterationIS3_Lb0EN6thrust23THRUST_200600_302600_NS6detail15normal_iteratorINS8_10device_ptrIjEEEESD_SD_SD_jNS0_19identity_decomposerENS1_16block_id_wrapperIjLb1EEEEE10hipError_tT1_PNSt15iterator_traitsISI_E10value_typeET2_T3_PNSJ_ISO_E10value_typeET4_T5_PST_SU_PNS1_23onesweep_lookback_stateEbbT6_jjT7_P12ihipStream_tbENKUlT_T0_SI_SN_E_clIPjSD_S15_SD_EEDaS11_S12_SI_SN_EUlS11_E_NS1_11comp_targetILNS1_3genE10ELNS1_11target_archE1201ELNS1_3gpuE5ELNS1_3repE0EEENS1_47radix_sort_onesweep_sort_config_static_selectorELNS0_4arch9wavefront6targetE1EEEvSI_.has_indirect_call, 0
	.section	.AMDGPU.csdata,"",@progbits
; Kernel info:
; codeLenInByte = 0
; TotalNumSgprs: 6
; NumVgprs: 0
; NumAgprs: 0
; TotalNumVgprs: 0
; ScratchSize: 0
; MemoryBound: 0
; FloatMode: 240
; IeeeMode: 1
; LDSByteSize: 0 bytes/workgroup (compile time only)
; SGPRBlocks: 0
; VGPRBlocks: 0
; NumSGPRsForWavesPerEU: 6
; NumVGPRsForWavesPerEU: 1
; AccumOffset: 4
; Occupancy: 8
; WaveLimiterHint : 0
; COMPUTE_PGM_RSRC2:SCRATCH_EN: 0
; COMPUTE_PGM_RSRC2:USER_SGPR: 2
; COMPUTE_PGM_RSRC2:TRAP_HANDLER: 0
; COMPUTE_PGM_RSRC2:TGID_X_EN: 1
; COMPUTE_PGM_RSRC2:TGID_Y_EN: 0
; COMPUTE_PGM_RSRC2:TGID_Z_EN: 0
; COMPUTE_PGM_RSRC2:TIDIG_COMP_CNT: 0
; COMPUTE_PGM_RSRC3_GFX90A:ACCUM_OFFSET: 0
; COMPUTE_PGM_RSRC3_GFX90A:TG_SPLIT: 0
	.section	.text._ZN7rocprim17ROCPRIM_400000_NS6detail17trampoline_kernelINS0_14default_configENS1_35radix_sort_onesweep_config_selectorIjjEEZZNS1_29radix_sort_onesweep_iterationIS3_Lb0EN6thrust23THRUST_200600_302600_NS6detail15normal_iteratorINS8_10device_ptrIjEEEESD_SD_SD_jNS0_19identity_decomposerENS1_16block_id_wrapperIjLb1EEEEE10hipError_tT1_PNSt15iterator_traitsISI_E10value_typeET2_T3_PNSJ_ISO_E10value_typeET4_T5_PST_SU_PNS1_23onesweep_lookback_stateEbbT6_jjT7_P12ihipStream_tbENKUlT_T0_SI_SN_E_clIPjSD_S15_SD_EEDaS11_S12_SI_SN_EUlS11_E_NS1_11comp_targetILNS1_3genE9ELNS1_11target_archE1100ELNS1_3gpuE3ELNS1_3repE0EEENS1_47radix_sort_onesweep_sort_config_static_selectorELNS0_4arch9wavefront6targetE1EEEvSI_,"axG",@progbits,_ZN7rocprim17ROCPRIM_400000_NS6detail17trampoline_kernelINS0_14default_configENS1_35radix_sort_onesweep_config_selectorIjjEEZZNS1_29radix_sort_onesweep_iterationIS3_Lb0EN6thrust23THRUST_200600_302600_NS6detail15normal_iteratorINS8_10device_ptrIjEEEESD_SD_SD_jNS0_19identity_decomposerENS1_16block_id_wrapperIjLb1EEEEE10hipError_tT1_PNSt15iterator_traitsISI_E10value_typeET2_T3_PNSJ_ISO_E10value_typeET4_T5_PST_SU_PNS1_23onesweep_lookback_stateEbbT6_jjT7_P12ihipStream_tbENKUlT_T0_SI_SN_E_clIPjSD_S15_SD_EEDaS11_S12_SI_SN_EUlS11_E_NS1_11comp_targetILNS1_3genE9ELNS1_11target_archE1100ELNS1_3gpuE3ELNS1_3repE0EEENS1_47radix_sort_onesweep_sort_config_static_selectorELNS0_4arch9wavefront6targetE1EEEvSI_,comdat
	.protected	_ZN7rocprim17ROCPRIM_400000_NS6detail17trampoline_kernelINS0_14default_configENS1_35radix_sort_onesweep_config_selectorIjjEEZZNS1_29radix_sort_onesweep_iterationIS3_Lb0EN6thrust23THRUST_200600_302600_NS6detail15normal_iteratorINS8_10device_ptrIjEEEESD_SD_SD_jNS0_19identity_decomposerENS1_16block_id_wrapperIjLb1EEEEE10hipError_tT1_PNSt15iterator_traitsISI_E10value_typeET2_T3_PNSJ_ISO_E10value_typeET4_T5_PST_SU_PNS1_23onesweep_lookback_stateEbbT6_jjT7_P12ihipStream_tbENKUlT_T0_SI_SN_E_clIPjSD_S15_SD_EEDaS11_S12_SI_SN_EUlS11_E_NS1_11comp_targetILNS1_3genE9ELNS1_11target_archE1100ELNS1_3gpuE3ELNS1_3repE0EEENS1_47radix_sort_onesweep_sort_config_static_selectorELNS0_4arch9wavefront6targetE1EEEvSI_ ; -- Begin function _ZN7rocprim17ROCPRIM_400000_NS6detail17trampoline_kernelINS0_14default_configENS1_35radix_sort_onesweep_config_selectorIjjEEZZNS1_29radix_sort_onesweep_iterationIS3_Lb0EN6thrust23THRUST_200600_302600_NS6detail15normal_iteratorINS8_10device_ptrIjEEEESD_SD_SD_jNS0_19identity_decomposerENS1_16block_id_wrapperIjLb1EEEEE10hipError_tT1_PNSt15iterator_traitsISI_E10value_typeET2_T3_PNSJ_ISO_E10value_typeET4_T5_PST_SU_PNS1_23onesweep_lookback_stateEbbT6_jjT7_P12ihipStream_tbENKUlT_T0_SI_SN_E_clIPjSD_S15_SD_EEDaS11_S12_SI_SN_EUlS11_E_NS1_11comp_targetILNS1_3genE9ELNS1_11target_archE1100ELNS1_3gpuE3ELNS1_3repE0EEENS1_47radix_sort_onesweep_sort_config_static_selectorELNS0_4arch9wavefront6targetE1EEEvSI_
	.globl	_ZN7rocprim17ROCPRIM_400000_NS6detail17trampoline_kernelINS0_14default_configENS1_35radix_sort_onesweep_config_selectorIjjEEZZNS1_29radix_sort_onesweep_iterationIS3_Lb0EN6thrust23THRUST_200600_302600_NS6detail15normal_iteratorINS8_10device_ptrIjEEEESD_SD_SD_jNS0_19identity_decomposerENS1_16block_id_wrapperIjLb1EEEEE10hipError_tT1_PNSt15iterator_traitsISI_E10value_typeET2_T3_PNSJ_ISO_E10value_typeET4_T5_PST_SU_PNS1_23onesweep_lookback_stateEbbT6_jjT7_P12ihipStream_tbENKUlT_T0_SI_SN_E_clIPjSD_S15_SD_EEDaS11_S12_SI_SN_EUlS11_E_NS1_11comp_targetILNS1_3genE9ELNS1_11target_archE1100ELNS1_3gpuE3ELNS1_3repE0EEENS1_47radix_sort_onesweep_sort_config_static_selectorELNS0_4arch9wavefront6targetE1EEEvSI_
	.p2align	8
	.type	_ZN7rocprim17ROCPRIM_400000_NS6detail17trampoline_kernelINS0_14default_configENS1_35radix_sort_onesweep_config_selectorIjjEEZZNS1_29radix_sort_onesweep_iterationIS3_Lb0EN6thrust23THRUST_200600_302600_NS6detail15normal_iteratorINS8_10device_ptrIjEEEESD_SD_SD_jNS0_19identity_decomposerENS1_16block_id_wrapperIjLb1EEEEE10hipError_tT1_PNSt15iterator_traitsISI_E10value_typeET2_T3_PNSJ_ISO_E10value_typeET4_T5_PST_SU_PNS1_23onesweep_lookback_stateEbbT6_jjT7_P12ihipStream_tbENKUlT_T0_SI_SN_E_clIPjSD_S15_SD_EEDaS11_S12_SI_SN_EUlS11_E_NS1_11comp_targetILNS1_3genE9ELNS1_11target_archE1100ELNS1_3gpuE3ELNS1_3repE0EEENS1_47radix_sort_onesweep_sort_config_static_selectorELNS0_4arch9wavefront6targetE1EEEvSI_,@function
_ZN7rocprim17ROCPRIM_400000_NS6detail17trampoline_kernelINS0_14default_configENS1_35radix_sort_onesweep_config_selectorIjjEEZZNS1_29radix_sort_onesweep_iterationIS3_Lb0EN6thrust23THRUST_200600_302600_NS6detail15normal_iteratorINS8_10device_ptrIjEEEESD_SD_SD_jNS0_19identity_decomposerENS1_16block_id_wrapperIjLb1EEEEE10hipError_tT1_PNSt15iterator_traitsISI_E10value_typeET2_T3_PNSJ_ISO_E10value_typeET4_T5_PST_SU_PNS1_23onesweep_lookback_stateEbbT6_jjT7_P12ihipStream_tbENKUlT_T0_SI_SN_E_clIPjSD_S15_SD_EEDaS11_S12_SI_SN_EUlS11_E_NS1_11comp_targetILNS1_3genE9ELNS1_11target_archE1100ELNS1_3gpuE3ELNS1_3repE0EEENS1_47radix_sort_onesweep_sort_config_static_selectorELNS0_4arch9wavefront6targetE1EEEvSI_: ; @_ZN7rocprim17ROCPRIM_400000_NS6detail17trampoline_kernelINS0_14default_configENS1_35radix_sort_onesweep_config_selectorIjjEEZZNS1_29radix_sort_onesweep_iterationIS3_Lb0EN6thrust23THRUST_200600_302600_NS6detail15normal_iteratorINS8_10device_ptrIjEEEESD_SD_SD_jNS0_19identity_decomposerENS1_16block_id_wrapperIjLb1EEEEE10hipError_tT1_PNSt15iterator_traitsISI_E10value_typeET2_T3_PNSJ_ISO_E10value_typeET4_T5_PST_SU_PNS1_23onesweep_lookback_stateEbbT6_jjT7_P12ihipStream_tbENKUlT_T0_SI_SN_E_clIPjSD_S15_SD_EEDaS11_S12_SI_SN_EUlS11_E_NS1_11comp_targetILNS1_3genE9ELNS1_11target_archE1100ELNS1_3gpuE3ELNS1_3repE0EEENS1_47radix_sort_onesweep_sort_config_static_selectorELNS0_4arch9wavefront6targetE1EEEvSI_
; %bb.0:
	.section	.rodata,"a",@progbits
	.p2align	6, 0x0
	.amdhsa_kernel _ZN7rocprim17ROCPRIM_400000_NS6detail17trampoline_kernelINS0_14default_configENS1_35radix_sort_onesweep_config_selectorIjjEEZZNS1_29radix_sort_onesweep_iterationIS3_Lb0EN6thrust23THRUST_200600_302600_NS6detail15normal_iteratorINS8_10device_ptrIjEEEESD_SD_SD_jNS0_19identity_decomposerENS1_16block_id_wrapperIjLb1EEEEE10hipError_tT1_PNSt15iterator_traitsISI_E10value_typeET2_T3_PNSJ_ISO_E10value_typeET4_T5_PST_SU_PNS1_23onesweep_lookback_stateEbbT6_jjT7_P12ihipStream_tbENKUlT_T0_SI_SN_E_clIPjSD_S15_SD_EEDaS11_S12_SI_SN_EUlS11_E_NS1_11comp_targetILNS1_3genE9ELNS1_11target_archE1100ELNS1_3gpuE3ELNS1_3repE0EEENS1_47radix_sort_onesweep_sort_config_static_selectorELNS0_4arch9wavefront6targetE1EEEvSI_
		.amdhsa_group_segment_fixed_size 0
		.amdhsa_private_segment_fixed_size 0
		.amdhsa_kernarg_size 88
		.amdhsa_user_sgpr_count 2
		.amdhsa_user_sgpr_dispatch_ptr 0
		.amdhsa_user_sgpr_queue_ptr 0
		.amdhsa_user_sgpr_kernarg_segment_ptr 1
		.amdhsa_user_sgpr_dispatch_id 0
		.amdhsa_user_sgpr_kernarg_preload_length 0
		.amdhsa_user_sgpr_kernarg_preload_offset 0
		.amdhsa_user_sgpr_private_segment_size 0
		.amdhsa_uses_dynamic_stack 0
		.amdhsa_enable_private_segment 0
		.amdhsa_system_sgpr_workgroup_id_x 1
		.amdhsa_system_sgpr_workgroup_id_y 0
		.amdhsa_system_sgpr_workgroup_id_z 0
		.amdhsa_system_sgpr_workgroup_info 0
		.amdhsa_system_vgpr_workitem_id 0
		.amdhsa_next_free_vgpr 1
		.amdhsa_next_free_sgpr 0
		.amdhsa_accum_offset 4
		.amdhsa_reserve_vcc 0
		.amdhsa_float_round_mode_32 0
		.amdhsa_float_round_mode_16_64 0
		.amdhsa_float_denorm_mode_32 3
		.amdhsa_float_denorm_mode_16_64 3
		.amdhsa_dx10_clamp 1
		.amdhsa_ieee_mode 1
		.amdhsa_fp16_overflow 0
		.amdhsa_tg_split 0
		.amdhsa_exception_fp_ieee_invalid_op 0
		.amdhsa_exception_fp_denorm_src 0
		.amdhsa_exception_fp_ieee_div_zero 0
		.amdhsa_exception_fp_ieee_overflow 0
		.amdhsa_exception_fp_ieee_underflow 0
		.amdhsa_exception_fp_ieee_inexact 0
		.amdhsa_exception_int_div_zero 0
	.end_amdhsa_kernel
	.section	.text._ZN7rocprim17ROCPRIM_400000_NS6detail17trampoline_kernelINS0_14default_configENS1_35radix_sort_onesweep_config_selectorIjjEEZZNS1_29radix_sort_onesweep_iterationIS3_Lb0EN6thrust23THRUST_200600_302600_NS6detail15normal_iteratorINS8_10device_ptrIjEEEESD_SD_SD_jNS0_19identity_decomposerENS1_16block_id_wrapperIjLb1EEEEE10hipError_tT1_PNSt15iterator_traitsISI_E10value_typeET2_T3_PNSJ_ISO_E10value_typeET4_T5_PST_SU_PNS1_23onesweep_lookback_stateEbbT6_jjT7_P12ihipStream_tbENKUlT_T0_SI_SN_E_clIPjSD_S15_SD_EEDaS11_S12_SI_SN_EUlS11_E_NS1_11comp_targetILNS1_3genE9ELNS1_11target_archE1100ELNS1_3gpuE3ELNS1_3repE0EEENS1_47radix_sort_onesweep_sort_config_static_selectorELNS0_4arch9wavefront6targetE1EEEvSI_,"axG",@progbits,_ZN7rocprim17ROCPRIM_400000_NS6detail17trampoline_kernelINS0_14default_configENS1_35radix_sort_onesweep_config_selectorIjjEEZZNS1_29radix_sort_onesweep_iterationIS3_Lb0EN6thrust23THRUST_200600_302600_NS6detail15normal_iteratorINS8_10device_ptrIjEEEESD_SD_SD_jNS0_19identity_decomposerENS1_16block_id_wrapperIjLb1EEEEE10hipError_tT1_PNSt15iterator_traitsISI_E10value_typeET2_T3_PNSJ_ISO_E10value_typeET4_T5_PST_SU_PNS1_23onesweep_lookback_stateEbbT6_jjT7_P12ihipStream_tbENKUlT_T0_SI_SN_E_clIPjSD_S15_SD_EEDaS11_S12_SI_SN_EUlS11_E_NS1_11comp_targetILNS1_3genE9ELNS1_11target_archE1100ELNS1_3gpuE3ELNS1_3repE0EEENS1_47radix_sort_onesweep_sort_config_static_selectorELNS0_4arch9wavefront6targetE1EEEvSI_,comdat
.Lfunc_end776:
	.size	_ZN7rocprim17ROCPRIM_400000_NS6detail17trampoline_kernelINS0_14default_configENS1_35radix_sort_onesweep_config_selectorIjjEEZZNS1_29radix_sort_onesweep_iterationIS3_Lb0EN6thrust23THRUST_200600_302600_NS6detail15normal_iteratorINS8_10device_ptrIjEEEESD_SD_SD_jNS0_19identity_decomposerENS1_16block_id_wrapperIjLb1EEEEE10hipError_tT1_PNSt15iterator_traitsISI_E10value_typeET2_T3_PNSJ_ISO_E10value_typeET4_T5_PST_SU_PNS1_23onesweep_lookback_stateEbbT6_jjT7_P12ihipStream_tbENKUlT_T0_SI_SN_E_clIPjSD_S15_SD_EEDaS11_S12_SI_SN_EUlS11_E_NS1_11comp_targetILNS1_3genE9ELNS1_11target_archE1100ELNS1_3gpuE3ELNS1_3repE0EEENS1_47radix_sort_onesweep_sort_config_static_selectorELNS0_4arch9wavefront6targetE1EEEvSI_, .Lfunc_end776-_ZN7rocprim17ROCPRIM_400000_NS6detail17trampoline_kernelINS0_14default_configENS1_35radix_sort_onesweep_config_selectorIjjEEZZNS1_29radix_sort_onesweep_iterationIS3_Lb0EN6thrust23THRUST_200600_302600_NS6detail15normal_iteratorINS8_10device_ptrIjEEEESD_SD_SD_jNS0_19identity_decomposerENS1_16block_id_wrapperIjLb1EEEEE10hipError_tT1_PNSt15iterator_traitsISI_E10value_typeET2_T3_PNSJ_ISO_E10value_typeET4_T5_PST_SU_PNS1_23onesweep_lookback_stateEbbT6_jjT7_P12ihipStream_tbENKUlT_T0_SI_SN_E_clIPjSD_S15_SD_EEDaS11_S12_SI_SN_EUlS11_E_NS1_11comp_targetILNS1_3genE9ELNS1_11target_archE1100ELNS1_3gpuE3ELNS1_3repE0EEENS1_47radix_sort_onesweep_sort_config_static_selectorELNS0_4arch9wavefront6targetE1EEEvSI_
                                        ; -- End function
	.set _ZN7rocprim17ROCPRIM_400000_NS6detail17trampoline_kernelINS0_14default_configENS1_35radix_sort_onesweep_config_selectorIjjEEZZNS1_29radix_sort_onesweep_iterationIS3_Lb0EN6thrust23THRUST_200600_302600_NS6detail15normal_iteratorINS8_10device_ptrIjEEEESD_SD_SD_jNS0_19identity_decomposerENS1_16block_id_wrapperIjLb1EEEEE10hipError_tT1_PNSt15iterator_traitsISI_E10value_typeET2_T3_PNSJ_ISO_E10value_typeET4_T5_PST_SU_PNS1_23onesweep_lookback_stateEbbT6_jjT7_P12ihipStream_tbENKUlT_T0_SI_SN_E_clIPjSD_S15_SD_EEDaS11_S12_SI_SN_EUlS11_E_NS1_11comp_targetILNS1_3genE9ELNS1_11target_archE1100ELNS1_3gpuE3ELNS1_3repE0EEENS1_47radix_sort_onesweep_sort_config_static_selectorELNS0_4arch9wavefront6targetE1EEEvSI_.num_vgpr, 0
	.set _ZN7rocprim17ROCPRIM_400000_NS6detail17trampoline_kernelINS0_14default_configENS1_35radix_sort_onesweep_config_selectorIjjEEZZNS1_29radix_sort_onesweep_iterationIS3_Lb0EN6thrust23THRUST_200600_302600_NS6detail15normal_iteratorINS8_10device_ptrIjEEEESD_SD_SD_jNS0_19identity_decomposerENS1_16block_id_wrapperIjLb1EEEEE10hipError_tT1_PNSt15iterator_traitsISI_E10value_typeET2_T3_PNSJ_ISO_E10value_typeET4_T5_PST_SU_PNS1_23onesweep_lookback_stateEbbT6_jjT7_P12ihipStream_tbENKUlT_T0_SI_SN_E_clIPjSD_S15_SD_EEDaS11_S12_SI_SN_EUlS11_E_NS1_11comp_targetILNS1_3genE9ELNS1_11target_archE1100ELNS1_3gpuE3ELNS1_3repE0EEENS1_47radix_sort_onesweep_sort_config_static_selectorELNS0_4arch9wavefront6targetE1EEEvSI_.num_agpr, 0
	.set _ZN7rocprim17ROCPRIM_400000_NS6detail17trampoline_kernelINS0_14default_configENS1_35radix_sort_onesweep_config_selectorIjjEEZZNS1_29radix_sort_onesweep_iterationIS3_Lb0EN6thrust23THRUST_200600_302600_NS6detail15normal_iteratorINS8_10device_ptrIjEEEESD_SD_SD_jNS0_19identity_decomposerENS1_16block_id_wrapperIjLb1EEEEE10hipError_tT1_PNSt15iterator_traitsISI_E10value_typeET2_T3_PNSJ_ISO_E10value_typeET4_T5_PST_SU_PNS1_23onesweep_lookback_stateEbbT6_jjT7_P12ihipStream_tbENKUlT_T0_SI_SN_E_clIPjSD_S15_SD_EEDaS11_S12_SI_SN_EUlS11_E_NS1_11comp_targetILNS1_3genE9ELNS1_11target_archE1100ELNS1_3gpuE3ELNS1_3repE0EEENS1_47radix_sort_onesweep_sort_config_static_selectorELNS0_4arch9wavefront6targetE1EEEvSI_.numbered_sgpr, 0
	.set _ZN7rocprim17ROCPRIM_400000_NS6detail17trampoline_kernelINS0_14default_configENS1_35radix_sort_onesweep_config_selectorIjjEEZZNS1_29radix_sort_onesweep_iterationIS3_Lb0EN6thrust23THRUST_200600_302600_NS6detail15normal_iteratorINS8_10device_ptrIjEEEESD_SD_SD_jNS0_19identity_decomposerENS1_16block_id_wrapperIjLb1EEEEE10hipError_tT1_PNSt15iterator_traitsISI_E10value_typeET2_T3_PNSJ_ISO_E10value_typeET4_T5_PST_SU_PNS1_23onesweep_lookback_stateEbbT6_jjT7_P12ihipStream_tbENKUlT_T0_SI_SN_E_clIPjSD_S15_SD_EEDaS11_S12_SI_SN_EUlS11_E_NS1_11comp_targetILNS1_3genE9ELNS1_11target_archE1100ELNS1_3gpuE3ELNS1_3repE0EEENS1_47radix_sort_onesweep_sort_config_static_selectorELNS0_4arch9wavefront6targetE1EEEvSI_.num_named_barrier, 0
	.set _ZN7rocprim17ROCPRIM_400000_NS6detail17trampoline_kernelINS0_14default_configENS1_35radix_sort_onesweep_config_selectorIjjEEZZNS1_29radix_sort_onesweep_iterationIS3_Lb0EN6thrust23THRUST_200600_302600_NS6detail15normal_iteratorINS8_10device_ptrIjEEEESD_SD_SD_jNS0_19identity_decomposerENS1_16block_id_wrapperIjLb1EEEEE10hipError_tT1_PNSt15iterator_traitsISI_E10value_typeET2_T3_PNSJ_ISO_E10value_typeET4_T5_PST_SU_PNS1_23onesweep_lookback_stateEbbT6_jjT7_P12ihipStream_tbENKUlT_T0_SI_SN_E_clIPjSD_S15_SD_EEDaS11_S12_SI_SN_EUlS11_E_NS1_11comp_targetILNS1_3genE9ELNS1_11target_archE1100ELNS1_3gpuE3ELNS1_3repE0EEENS1_47radix_sort_onesweep_sort_config_static_selectorELNS0_4arch9wavefront6targetE1EEEvSI_.private_seg_size, 0
	.set _ZN7rocprim17ROCPRIM_400000_NS6detail17trampoline_kernelINS0_14default_configENS1_35radix_sort_onesweep_config_selectorIjjEEZZNS1_29radix_sort_onesweep_iterationIS3_Lb0EN6thrust23THRUST_200600_302600_NS6detail15normal_iteratorINS8_10device_ptrIjEEEESD_SD_SD_jNS0_19identity_decomposerENS1_16block_id_wrapperIjLb1EEEEE10hipError_tT1_PNSt15iterator_traitsISI_E10value_typeET2_T3_PNSJ_ISO_E10value_typeET4_T5_PST_SU_PNS1_23onesweep_lookback_stateEbbT6_jjT7_P12ihipStream_tbENKUlT_T0_SI_SN_E_clIPjSD_S15_SD_EEDaS11_S12_SI_SN_EUlS11_E_NS1_11comp_targetILNS1_3genE9ELNS1_11target_archE1100ELNS1_3gpuE3ELNS1_3repE0EEENS1_47radix_sort_onesweep_sort_config_static_selectorELNS0_4arch9wavefront6targetE1EEEvSI_.uses_vcc, 0
	.set _ZN7rocprim17ROCPRIM_400000_NS6detail17trampoline_kernelINS0_14default_configENS1_35radix_sort_onesweep_config_selectorIjjEEZZNS1_29radix_sort_onesweep_iterationIS3_Lb0EN6thrust23THRUST_200600_302600_NS6detail15normal_iteratorINS8_10device_ptrIjEEEESD_SD_SD_jNS0_19identity_decomposerENS1_16block_id_wrapperIjLb1EEEEE10hipError_tT1_PNSt15iterator_traitsISI_E10value_typeET2_T3_PNSJ_ISO_E10value_typeET4_T5_PST_SU_PNS1_23onesweep_lookback_stateEbbT6_jjT7_P12ihipStream_tbENKUlT_T0_SI_SN_E_clIPjSD_S15_SD_EEDaS11_S12_SI_SN_EUlS11_E_NS1_11comp_targetILNS1_3genE9ELNS1_11target_archE1100ELNS1_3gpuE3ELNS1_3repE0EEENS1_47radix_sort_onesweep_sort_config_static_selectorELNS0_4arch9wavefront6targetE1EEEvSI_.uses_flat_scratch, 0
	.set _ZN7rocprim17ROCPRIM_400000_NS6detail17trampoline_kernelINS0_14default_configENS1_35radix_sort_onesweep_config_selectorIjjEEZZNS1_29radix_sort_onesweep_iterationIS3_Lb0EN6thrust23THRUST_200600_302600_NS6detail15normal_iteratorINS8_10device_ptrIjEEEESD_SD_SD_jNS0_19identity_decomposerENS1_16block_id_wrapperIjLb1EEEEE10hipError_tT1_PNSt15iterator_traitsISI_E10value_typeET2_T3_PNSJ_ISO_E10value_typeET4_T5_PST_SU_PNS1_23onesweep_lookback_stateEbbT6_jjT7_P12ihipStream_tbENKUlT_T0_SI_SN_E_clIPjSD_S15_SD_EEDaS11_S12_SI_SN_EUlS11_E_NS1_11comp_targetILNS1_3genE9ELNS1_11target_archE1100ELNS1_3gpuE3ELNS1_3repE0EEENS1_47radix_sort_onesweep_sort_config_static_selectorELNS0_4arch9wavefront6targetE1EEEvSI_.has_dyn_sized_stack, 0
	.set _ZN7rocprim17ROCPRIM_400000_NS6detail17trampoline_kernelINS0_14default_configENS1_35radix_sort_onesweep_config_selectorIjjEEZZNS1_29radix_sort_onesweep_iterationIS3_Lb0EN6thrust23THRUST_200600_302600_NS6detail15normal_iteratorINS8_10device_ptrIjEEEESD_SD_SD_jNS0_19identity_decomposerENS1_16block_id_wrapperIjLb1EEEEE10hipError_tT1_PNSt15iterator_traitsISI_E10value_typeET2_T3_PNSJ_ISO_E10value_typeET4_T5_PST_SU_PNS1_23onesweep_lookback_stateEbbT6_jjT7_P12ihipStream_tbENKUlT_T0_SI_SN_E_clIPjSD_S15_SD_EEDaS11_S12_SI_SN_EUlS11_E_NS1_11comp_targetILNS1_3genE9ELNS1_11target_archE1100ELNS1_3gpuE3ELNS1_3repE0EEENS1_47radix_sort_onesweep_sort_config_static_selectorELNS0_4arch9wavefront6targetE1EEEvSI_.has_recursion, 0
	.set _ZN7rocprim17ROCPRIM_400000_NS6detail17trampoline_kernelINS0_14default_configENS1_35radix_sort_onesweep_config_selectorIjjEEZZNS1_29radix_sort_onesweep_iterationIS3_Lb0EN6thrust23THRUST_200600_302600_NS6detail15normal_iteratorINS8_10device_ptrIjEEEESD_SD_SD_jNS0_19identity_decomposerENS1_16block_id_wrapperIjLb1EEEEE10hipError_tT1_PNSt15iterator_traitsISI_E10value_typeET2_T3_PNSJ_ISO_E10value_typeET4_T5_PST_SU_PNS1_23onesweep_lookback_stateEbbT6_jjT7_P12ihipStream_tbENKUlT_T0_SI_SN_E_clIPjSD_S15_SD_EEDaS11_S12_SI_SN_EUlS11_E_NS1_11comp_targetILNS1_3genE9ELNS1_11target_archE1100ELNS1_3gpuE3ELNS1_3repE0EEENS1_47radix_sort_onesweep_sort_config_static_selectorELNS0_4arch9wavefront6targetE1EEEvSI_.has_indirect_call, 0
	.section	.AMDGPU.csdata,"",@progbits
; Kernel info:
; codeLenInByte = 0
; TotalNumSgprs: 6
; NumVgprs: 0
; NumAgprs: 0
; TotalNumVgprs: 0
; ScratchSize: 0
; MemoryBound: 0
; FloatMode: 240
; IeeeMode: 1
; LDSByteSize: 0 bytes/workgroup (compile time only)
; SGPRBlocks: 0
; VGPRBlocks: 0
; NumSGPRsForWavesPerEU: 6
; NumVGPRsForWavesPerEU: 1
; AccumOffset: 4
; Occupancy: 8
; WaveLimiterHint : 0
; COMPUTE_PGM_RSRC2:SCRATCH_EN: 0
; COMPUTE_PGM_RSRC2:USER_SGPR: 2
; COMPUTE_PGM_RSRC2:TRAP_HANDLER: 0
; COMPUTE_PGM_RSRC2:TGID_X_EN: 1
; COMPUTE_PGM_RSRC2:TGID_Y_EN: 0
; COMPUTE_PGM_RSRC2:TGID_Z_EN: 0
; COMPUTE_PGM_RSRC2:TIDIG_COMP_CNT: 0
; COMPUTE_PGM_RSRC3_GFX90A:ACCUM_OFFSET: 0
; COMPUTE_PGM_RSRC3_GFX90A:TG_SPLIT: 0
	.section	.text._ZN7rocprim17ROCPRIM_400000_NS6detail17trampoline_kernelINS0_14default_configENS1_35radix_sort_onesweep_config_selectorIjjEEZZNS1_29radix_sort_onesweep_iterationIS3_Lb0EN6thrust23THRUST_200600_302600_NS6detail15normal_iteratorINS8_10device_ptrIjEEEESD_SD_SD_jNS0_19identity_decomposerENS1_16block_id_wrapperIjLb1EEEEE10hipError_tT1_PNSt15iterator_traitsISI_E10value_typeET2_T3_PNSJ_ISO_E10value_typeET4_T5_PST_SU_PNS1_23onesweep_lookback_stateEbbT6_jjT7_P12ihipStream_tbENKUlT_T0_SI_SN_E_clIPjSD_S15_SD_EEDaS11_S12_SI_SN_EUlS11_E_NS1_11comp_targetILNS1_3genE8ELNS1_11target_archE1030ELNS1_3gpuE2ELNS1_3repE0EEENS1_47radix_sort_onesweep_sort_config_static_selectorELNS0_4arch9wavefront6targetE1EEEvSI_,"axG",@progbits,_ZN7rocprim17ROCPRIM_400000_NS6detail17trampoline_kernelINS0_14default_configENS1_35radix_sort_onesweep_config_selectorIjjEEZZNS1_29radix_sort_onesweep_iterationIS3_Lb0EN6thrust23THRUST_200600_302600_NS6detail15normal_iteratorINS8_10device_ptrIjEEEESD_SD_SD_jNS0_19identity_decomposerENS1_16block_id_wrapperIjLb1EEEEE10hipError_tT1_PNSt15iterator_traitsISI_E10value_typeET2_T3_PNSJ_ISO_E10value_typeET4_T5_PST_SU_PNS1_23onesweep_lookback_stateEbbT6_jjT7_P12ihipStream_tbENKUlT_T0_SI_SN_E_clIPjSD_S15_SD_EEDaS11_S12_SI_SN_EUlS11_E_NS1_11comp_targetILNS1_3genE8ELNS1_11target_archE1030ELNS1_3gpuE2ELNS1_3repE0EEENS1_47radix_sort_onesweep_sort_config_static_selectorELNS0_4arch9wavefront6targetE1EEEvSI_,comdat
	.protected	_ZN7rocprim17ROCPRIM_400000_NS6detail17trampoline_kernelINS0_14default_configENS1_35radix_sort_onesweep_config_selectorIjjEEZZNS1_29radix_sort_onesweep_iterationIS3_Lb0EN6thrust23THRUST_200600_302600_NS6detail15normal_iteratorINS8_10device_ptrIjEEEESD_SD_SD_jNS0_19identity_decomposerENS1_16block_id_wrapperIjLb1EEEEE10hipError_tT1_PNSt15iterator_traitsISI_E10value_typeET2_T3_PNSJ_ISO_E10value_typeET4_T5_PST_SU_PNS1_23onesweep_lookback_stateEbbT6_jjT7_P12ihipStream_tbENKUlT_T0_SI_SN_E_clIPjSD_S15_SD_EEDaS11_S12_SI_SN_EUlS11_E_NS1_11comp_targetILNS1_3genE8ELNS1_11target_archE1030ELNS1_3gpuE2ELNS1_3repE0EEENS1_47radix_sort_onesweep_sort_config_static_selectorELNS0_4arch9wavefront6targetE1EEEvSI_ ; -- Begin function _ZN7rocprim17ROCPRIM_400000_NS6detail17trampoline_kernelINS0_14default_configENS1_35radix_sort_onesweep_config_selectorIjjEEZZNS1_29radix_sort_onesweep_iterationIS3_Lb0EN6thrust23THRUST_200600_302600_NS6detail15normal_iteratorINS8_10device_ptrIjEEEESD_SD_SD_jNS0_19identity_decomposerENS1_16block_id_wrapperIjLb1EEEEE10hipError_tT1_PNSt15iterator_traitsISI_E10value_typeET2_T3_PNSJ_ISO_E10value_typeET4_T5_PST_SU_PNS1_23onesweep_lookback_stateEbbT6_jjT7_P12ihipStream_tbENKUlT_T0_SI_SN_E_clIPjSD_S15_SD_EEDaS11_S12_SI_SN_EUlS11_E_NS1_11comp_targetILNS1_3genE8ELNS1_11target_archE1030ELNS1_3gpuE2ELNS1_3repE0EEENS1_47radix_sort_onesweep_sort_config_static_selectorELNS0_4arch9wavefront6targetE1EEEvSI_
	.globl	_ZN7rocprim17ROCPRIM_400000_NS6detail17trampoline_kernelINS0_14default_configENS1_35radix_sort_onesweep_config_selectorIjjEEZZNS1_29radix_sort_onesweep_iterationIS3_Lb0EN6thrust23THRUST_200600_302600_NS6detail15normal_iteratorINS8_10device_ptrIjEEEESD_SD_SD_jNS0_19identity_decomposerENS1_16block_id_wrapperIjLb1EEEEE10hipError_tT1_PNSt15iterator_traitsISI_E10value_typeET2_T3_PNSJ_ISO_E10value_typeET4_T5_PST_SU_PNS1_23onesweep_lookback_stateEbbT6_jjT7_P12ihipStream_tbENKUlT_T0_SI_SN_E_clIPjSD_S15_SD_EEDaS11_S12_SI_SN_EUlS11_E_NS1_11comp_targetILNS1_3genE8ELNS1_11target_archE1030ELNS1_3gpuE2ELNS1_3repE0EEENS1_47radix_sort_onesweep_sort_config_static_selectorELNS0_4arch9wavefront6targetE1EEEvSI_
	.p2align	8
	.type	_ZN7rocprim17ROCPRIM_400000_NS6detail17trampoline_kernelINS0_14default_configENS1_35radix_sort_onesweep_config_selectorIjjEEZZNS1_29radix_sort_onesweep_iterationIS3_Lb0EN6thrust23THRUST_200600_302600_NS6detail15normal_iteratorINS8_10device_ptrIjEEEESD_SD_SD_jNS0_19identity_decomposerENS1_16block_id_wrapperIjLb1EEEEE10hipError_tT1_PNSt15iterator_traitsISI_E10value_typeET2_T3_PNSJ_ISO_E10value_typeET4_T5_PST_SU_PNS1_23onesweep_lookback_stateEbbT6_jjT7_P12ihipStream_tbENKUlT_T0_SI_SN_E_clIPjSD_S15_SD_EEDaS11_S12_SI_SN_EUlS11_E_NS1_11comp_targetILNS1_3genE8ELNS1_11target_archE1030ELNS1_3gpuE2ELNS1_3repE0EEENS1_47radix_sort_onesweep_sort_config_static_selectorELNS0_4arch9wavefront6targetE1EEEvSI_,@function
_ZN7rocprim17ROCPRIM_400000_NS6detail17trampoline_kernelINS0_14default_configENS1_35radix_sort_onesweep_config_selectorIjjEEZZNS1_29radix_sort_onesweep_iterationIS3_Lb0EN6thrust23THRUST_200600_302600_NS6detail15normal_iteratorINS8_10device_ptrIjEEEESD_SD_SD_jNS0_19identity_decomposerENS1_16block_id_wrapperIjLb1EEEEE10hipError_tT1_PNSt15iterator_traitsISI_E10value_typeET2_T3_PNSJ_ISO_E10value_typeET4_T5_PST_SU_PNS1_23onesweep_lookback_stateEbbT6_jjT7_P12ihipStream_tbENKUlT_T0_SI_SN_E_clIPjSD_S15_SD_EEDaS11_S12_SI_SN_EUlS11_E_NS1_11comp_targetILNS1_3genE8ELNS1_11target_archE1030ELNS1_3gpuE2ELNS1_3repE0EEENS1_47radix_sort_onesweep_sort_config_static_selectorELNS0_4arch9wavefront6targetE1EEEvSI_: ; @_ZN7rocprim17ROCPRIM_400000_NS6detail17trampoline_kernelINS0_14default_configENS1_35radix_sort_onesweep_config_selectorIjjEEZZNS1_29radix_sort_onesweep_iterationIS3_Lb0EN6thrust23THRUST_200600_302600_NS6detail15normal_iteratorINS8_10device_ptrIjEEEESD_SD_SD_jNS0_19identity_decomposerENS1_16block_id_wrapperIjLb1EEEEE10hipError_tT1_PNSt15iterator_traitsISI_E10value_typeET2_T3_PNSJ_ISO_E10value_typeET4_T5_PST_SU_PNS1_23onesweep_lookback_stateEbbT6_jjT7_P12ihipStream_tbENKUlT_T0_SI_SN_E_clIPjSD_S15_SD_EEDaS11_S12_SI_SN_EUlS11_E_NS1_11comp_targetILNS1_3genE8ELNS1_11target_archE1030ELNS1_3gpuE2ELNS1_3repE0EEENS1_47radix_sort_onesweep_sort_config_static_selectorELNS0_4arch9wavefront6targetE1EEEvSI_
; %bb.0:
	.section	.rodata,"a",@progbits
	.p2align	6, 0x0
	.amdhsa_kernel _ZN7rocprim17ROCPRIM_400000_NS6detail17trampoline_kernelINS0_14default_configENS1_35radix_sort_onesweep_config_selectorIjjEEZZNS1_29radix_sort_onesweep_iterationIS3_Lb0EN6thrust23THRUST_200600_302600_NS6detail15normal_iteratorINS8_10device_ptrIjEEEESD_SD_SD_jNS0_19identity_decomposerENS1_16block_id_wrapperIjLb1EEEEE10hipError_tT1_PNSt15iterator_traitsISI_E10value_typeET2_T3_PNSJ_ISO_E10value_typeET4_T5_PST_SU_PNS1_23onesweep_lookback_stateEbbT6_jjT7_P12ihipStream_tbENKUlT_T0_SI_SN_E_clIPjSD_S15_SD_EEDaS11_S12_SI_SN_EUlS11_E_NS1_11comp_targetILNS1_3genE8ELNS1_11target_archE1030ELNS1_3gpuE2ELNS1_3repE0EEENS1_47radix_sort_onesweep_sort_config_static_selectorELNS0_4arch9wavefront6targetE1EEEvSI_
		.amdhsa_group_segment_fixed_size 0
		.amdhsa_private_segment_fixed_size 0
		.amdhsa_kernarg_size 88
		.amdhsa_user_sgpr_count 2
		.amdhsa_user_sgpr_dispatch_ptr 0
		.amdhsa_user_sgpr_queue_ptr 0
		.amdhsa_user_sgpr_kernarg_segment_ptr 1
		.amdhsa_user_sgpr_dispatch_id 0
		.amdhsa_user_sgpr_kernarg_preload_length 0
		.amdhsa_user_sgpr_kernarg_preload_offset 0
		.amdhsa_user_sgpr_private_segment_size 0
		.amdhsa_uses_dynamic_stack 0
		.amdhsa_enable_private_segment 0
		.amdhsa_system_sgpr_workgroup_id_x 1
		.amdhsa_system_sgpr_workgroup_id_y 0
		.amdhsa_system_sgpr_workgroup_id_z 0
		.amdhsa_system_sgpr_workgroup_info 0
		.amdhsa_system_vgpr_workitem_id 0
		.amdhsa_next_free_vgpr 1
		.amdhsa_next_free_sgpr 0
		.amdhsa_accum_offset 4
		.amdhsa_reserve_vcc 0
		.amdhsa_float_round_mode_32 0
		.amdhsa_float_round_mode_16_64 0
		.amdhsa_float_denorm_mode_32 3
		.amdhsa_float_denorm_mode_16_64 3
		.amdhsa_dx10_clamp 1
		.amdhsa_ieee_mode 1
		.amdhsa_fp16_overflow 0
		.amdhsa_tg_split 0
		.amdhsa_exception_fp_ieee_invalid_op 0
		.amdhsa_exception_fp_denorm_src 0
		.amdhsa_exception_fp_ieee_div_zero 0
		.amdhsa_exception_fp_ieee_overflow 0
		.amdhsa_exception_fp_ieee_underflow 0
		.amdhsa_exception_fp_ieee_inexact 0
		.amdhsa_exception_int_div_zero 0
	.end_amdhsa_kernel
	.section	.text._ZN7rocprim17ROCPRIM_400000_NS6detail17trampoline_kernelINS0_14default_configENS1_35radix_sort_onesweep_config_selectorIjjEEZZNS1_29radix_sort_onesweep_iterationIS3_Lb0EN6thrust23THRUST_200600_302600_NS6detail15normal_iteratorINS8_10device_ptrIjEEEESD_SD_SD_jNS0_19identity_decomposerENS1_16block_id_wrapperIjLb1EEEEE10hipError_tT1_PNSt15iterator_traitsISI_E10value_typeET2_T3_PNSJ_ISO_E10value_typeET4_T5_PST_SU_PNS1_23onesweep_lookback_stateEbbT6_jjT7_P12ihipStream_tbENKUlT_T0_SI_SN_E_clIPjSD_S15_SD_EEDaS11_S12_SI_SN_EUlS11_E_NS1_11comp_targetILNS1_3genE8ELNS1_11target_archE1030ELNS1_3gpuE2ELNS1_3repE0EEENS1_47radix_sort_onesweep_sort_config_static_selectorELNS0_4arch9wavefront6targetE1EEEvSI_,"axG",@progbits,_ZN7rocprim17ROCPRIM_400000_NS6detail17trampoline_kernelINS0_14default_configENS1_35radix_sort_onesweep_config_selectorIjjEEZZNS1_29radix_sort_onesweep_iterationIS3_Lb0EN6thrust23THRUST_200600_302600_NS6detail15normal_iteratorINS8_10device_ptrIjEEEESD_SD_SD_jNS0_19identity_decomposerENS1_16block_id_wrapperIjLb1EEEEE10hipError_tT1_PNSt15iterator_traitsISI_E10value_typeET2_T3_PNSJ_ISO_E10value_typeET4_T5_PST_SU_PNS1_23onesweep_lookback_stateEbbT6_jjT7_P12ihipStream_tbENKUlT_T0_SI_SN_E_clIPjSD_S15_SD_EEDaS11_S12_SI_SN_EUlS11_E_NS1_11comp_targetILNS1_3genE8ELNS1_11target_archE1030ELNS1_3gpuE2ELNS1_3repE0EEENS1_47radix_sort_onesweep_sort_config_static_selectorELNS0_4arch9wavefront6targetE1EEEvSI_,comdat
.Lfunc_end777:
	.size	_ZN7rocprim17ROCPRIM_400000_NS6detail17trampoline_kernelINS0_14default_configENS1_35radix_sort_onesweep_config_selectorIjjEEZZNS1_29radix_sort_onesweep_iterationIS3_Lb0EN6thrust23THRUST_200600_302600_NS6detail15normal_iteratorINS8_10device_ptrIjEEEESD_SD_SD_jNS0_19identity_decomposerENS1_16block_id_wrapperIjLb1EEEEE10hipError_tT1_PNSt15iterator_traitsISI_E10value_typeET2_T3_PNSJ_ISO_E10value_typeET4_T5_PST_SU_PNS1_23onesweep_lookback_stateEbbT6_jjT7_P12ihipStream_tbENKUlT_T0_SI_SN_E_clIPjSD_S15_SD_EEDaS11_S12_SI_SN_EUlS11_E_NS1_11comp_targetILNS1_3genE8ELNS1_11target_archE1030ELNS1_3gpuE2ELNS1_3repE0EEENS1_47radix_sort_onesweep_sort_config_static_selectorELNS0_4arch9wavefront6targetE1EEEvSI_, .Lfunc_end777-_ZN7rocprim17ROCPRIM_400000_NS6detail17trampoline_kernelINS0_14default_configENS1_35radix_sort_onesweep_config_selectorIjjEEZZNS1_29radix_sort_onesweep_iterationIS3_Lb0EN6thrust23THRUST_200600_302600_NS6detail15normal_iteratorINS8_10device_ptrIjEEEESD_SD_SD_jNS0_19identity_decomposerENS1_16block_id_wrapperIjLb1EEEEE10hipError_tT1_PNSt15iterator_traitsISI_E10value_typeET2_T3_PNSJ_ISO_E10value_typeET4_T5_PST_SU_PNS1_23onesweep_lookback_stateEbbT6_jjT7_P12ihipStream_tbENKUlT_T0_SI_SN_E_clIPjSD_S15_SD_EEDaS11_S12_SI_SN_EUlS11_E_NS1_11comp_targetILNS1_3genE8ELNS1_11target_archE1030ELNS1_3gpuE2ELNS1_3repE0EEENS1_47radix_sort_onesweep_sort_config_static_selectorELNS0_4arch9wavefront6targetE1EEEvSI_
                                        ; -- End function
	.set _ZN7rocprim17ROCPRIM_400000_NS6detail17trampoline_kernelINS0_14default_configENS1_35radix_sort_onesweep_config_selectorIjjEEZZNS1_29radix_sort_onesweep_iterationIS3_Lb0EN6thrust23THRUST_200600_302600_NS6detail15normal_iteratorINS8_10device_ptrIjEEEESD_SD_SD_jNS0_19identity_decomposerENS1_16block_id_wrapperIjLb1EEEEE10hipError_tT1_PNSt15iterator_traitsISI_E10value_typeET2_T3_PNSJ_ISO_E10value_typeET4_T5_PST_SU_PNS1_23onesweep_lookback_stateEbbT6_jjT7_P12ihipStream_tbENKUlT_T0_SI_SN_E_clIPjSD_S15_SD_EEDaS11_S12_SI_SN_EUlS11_E_NS1_11comp_targetILNS1_3genE8ELNS1_11target_archE1030ELNS1_3gpuE2ELNS1_3repE0EEENS1_47radix_sort_onesweep_sort_config_static_selectorELNS0_4arch9wavefront6targetE1EEEvSI_.num_vgpr, 0
	.set _ZN7rocprim17ROCPRIM_400000_NS6detail17trampoline_kernelINS0_14default_configENS1_35radix_sort_onesweep_config_selectorIjjEEZZNS1_29radix_sort_onesweep_iterationIS3_Lb0EN6thrust23THRUST_200600_302600_NS6detail15normal_iteratorINS8_10device_ptrIjEEEESD_SD_SD_jNS0_19identity_decomposerENS1_16block_id_wrapperIjLb1EEEEE10hipError_tT1_PNSt15iterator_traitsISI_E10value_typeET2_T3_PNSJ_ISO_E10value_typeET4_T5_PST_SU_PNS1_23onesweep_lookback_stateEbbT6_jjT7_P12ihipStream_tbENKUlT_T0_SI_SN_E_clIPjSD_S15_SD_EEDaS11_S12_SI_SN_EUlS11_E_NS1_11comp_targetILNS1_3genE8ELNS1_11target_archE1030ELNS1_3gpuE2ELNS1_3repE0EEENS1_47radix_sort_onesweep_sort_config_static_selectorELNS0_4arch9wavefront6targetE1EEEvSI_.num_agpr, 0
	.set _ZN7rocprim17ROCPRIM_400000_NS6detail17trampoline_kernelINS0_14default_configENS1_35radix_sort_onesweep_config_selectorIjjEEZZNS1_29radix_sort_onesweep_iterationIS3_Lb0EN6thrust23THRUST_200600_302600_NS6detail15normal_iteratorINS8_10device_ptrIjEEEESD_SD_SD_jNS0_19identity_decomposerENS1_16block_id_wrapperIjLb1EEEEE10hipError_tT1_PNSt15iterator_traitsISI_E10value_typeET2_T3_PNSJ_ISO_E10value_typeET4_T5_PST_SU_PNS1_23onesweep_lookback_stateEbbT6_jjT7_P12ihipStream_tbENKUlT_T0_SI_SN_E_clIPjSD_S15_SD_EEDaS11_S12_SI_SN_EUlS11_E_NS1_11comp_targetILNS1_3genE8ELNS1_11target_archE1030ELNS1_3gpuE2ELNS1_3repE0EEENS1_47radix_sort_onesweep_sort_config_static_selectorELNS0_4arch9wavefront6targetE1EEEvSI_.numbered_sgpr, 0
	.set _ZN7rocprim17ROCPRIM_400000_NS6detail17trampoline_kernelINS0_14default_configENS1_35radix_sort_onesweep_config_selectorIjjEEZZNS1_29radix_sort_onesweep_iterationIS3_Lb0EN6thrust23THRUST_200600_302600_NS6detail15normal_iteratorINS8_10device_ptrIjEEEESD_SD_SD_jNS0_19identity_decomposerENS1_16block_id_wrapperIjLb1EEEEE10hipError_tT1_PNSt15iterator_traitsISI_E10value_typeET2_T3_PNSJ_ISO_E10value_typeET4_T5_PST_SU_PNS1_23onesweep_lookback_stateEbbT6_jjT7_P12ihipStream_tbENKUlT_T0_SI_SN_E_clIPjSD_S15_SD_EEDaS11_S12_SI_SN_EUlS11_E_NS1_11comp_targetILNS1_3genE8ELNS1_11target_archE1030ELNS1_3gpuE2ELNS1_3repE0EEENS1_47radix_sort_onesweep_sort_config_static_selectorELNS0_4arch9wavefront6targetE1EEEvSI_.num_named_barrier, 0
	.set _ZN7rocprim17ROCPRIM_400000_NS6detail17trampoline_kernelINS0_14default_configENS1_35radix_sort_onesweep_config_selectorIjjEEZZNS1_29radix_sort_onesweep_iterationIS3_Lb0EN6thrust23THRUST_200600_302600_NS6detail15normal_iteratorINS8_10device_ptrIjEEEESD_SD_SD_jNS0_19identity_decomposerENS1_16block_id_wrapperIjLb1EEEEE10hipError_tT1_PNSt15iterator_traitsISI_E10value_typeET2_T3_PNSJ_ISO_E10value_typeET4_T5_PST_SU_PNS1_23onesweep_lookback_stateEbbT6_jjT7_P12ihipStream_tbENKUlT_T0_SI_SN_E_clIPjSD_S15_SD_EEDaS11_S12_SI_SN_EUlS11_E_NS1_11comp_targetILNS1_3genE8ELNS1_11target_archE1030ELNS1_3gpuE2ELNS1_3repE0EEENS1_47radix_sort_onesweep_sort_config_static_selectorELNS0_4arch9wavefront6targetE1EEEvSI_.private_seg_size, 0
	.set _ZN7rocprim17ROCPRIM_400000_NS6detail17trampoline_kernelINS0_14default_configENS1_35radix_sort_onesweep_config_selectorIjjEEZZNS1_29radix_sort_onesweep_iterationIS3_Lb0EN6thrust23THRUST_200600_302600_NS6detail15normal_iteratorINS8_10device_ptrIjEEEESD_SD_SD_jNS0_19identity_decomposerENS1_16block_id_wrapperIjLb1EEEEE10hipError_tT1_PNSt15iterator_traitsISI_E10value_typeET2_T3_PNSJ_ISO_E10value_typeET4_T5_PST_SU_PNS1_23onesweep_lookback_stateEbbT6_jjT7_P12ihipStream_tbENKUlT_T0_SI_SN_E_clIPjSD_S15_SD_EEDaS11_S12_SI_SN_EUlS11_E_NS1_11comp_targetILNS1_3genE8ELNS1_11target_archE1030ELNS1_3gpuE2ELNS1_3repE0EEENS1_47radix_sort_onesweep_sort_config_static_selectorELNS0_4arch9wavefront6targetE1EEEvSI_.uses_vcc, 0
	.set _ZN7rocprim17ROCPRIM_400000_NS6detail17trampoline_kernelINS0_14default_configENS1_35radix_sort_onesweep_config_selectorIjjEEZZNS1_29radix_sort_onesweep_iterationIS3_Lb0EN6thrust23THRUST_200600_302600_NS6detail15normal_iteratorINS8_10device_ptrIjEEEESD_SD_SD_jNS0_19identity_decomposerENS1_16block_id_wrapperIjLb1EEEEE10hipError_tT1_PNSt15iterator_traitsISI_E10value_typeET2_T3_PNSJ_ISO_E10value_typeET4_T5_PST_SU_PNS1_23onesweep_lookback_stateEbbT6_jjT7_P12ihipStream_tbENKUlT_T0_SI_SN_E_clIPjSD_S15_SD_EEDaS11_S12_SI_SN_EUlS11_E_NS1_11comp_targetILNS1_3genE8ELNS1_11target_archE1030ELNS1_3gpuE2ELNS1_3repE0EEENS1_47radix_sort_onesweep_sort_config_static_selectorELNS0_4arch9wavefront6targetE1EEEvSI_.uses_flat_scratch, 0
	.set _ZN7rocprim17ROCPRIM_400000_NS6detail17trampoline_kernelINS0_14default_configENS1_35radix_sort_onesweep_config_selectorIjjEEZZNS1_29radix_sort_onesweep_iterationIS3_Lb0EN6thrust23THRUST_200600_302600_NS6detail15normal_iteratorINS8_10device_ptrIjEEEESD_SD_SD_jNS0_19identity_decomposerENS1_16block_id_wrapperIjLb1EEEEE10hipError_tT1_PNSt15iterator_traitsISI_E10value_typeET2_T3_PNSJ_ISO_E10value_typeET4_T5_PST_SU_PNS1_23onesweep_lookback_stateEbbT6_jjT7_P12ihipStream_tbENKUlT_T0_SI_SN_E_clIPjSD_S15_SD_EEDaS11_S12_SI_SN_EUlS11_E_NS1_11comp_targetILNS1_3genE8ELNS1_11target_archE1030ELNS1_3gpuE2ELNS1_3repE0EEENS1_47radix_sort_onesweep_sort_config_static_selectorELNS0_4arch9wavefront6targetE1EEEvSI_.has_dyn_sized_stack, 0
	.set _ZN7rocprim17ROCPRIM_400000_NS6detail17trampoline_kernelINS0_14default_configENS1_35radix_sort_onesweep_config_selectorIjjEEZZNS1_29radix_sort_onesweep_iterationIS3_Lb0EN6thrust23THRUST_200600_302600_NS6detail15normal_iteratorINS8_10device_ptrIjEEEESD_SD_SD_jNS0_19identity_decomposerENS1_16block_id_wrapperIjLb1EEEEE10hipError_tT1_PNSt15iterator_traitsISI_E10value_typeET2_T3_PNSJ_ISO_E10value_typeET4_T5_PST_SU_PNS1_23onesweep_lookback_stateEbbT6_jjT7_P12ihipStream_tbENKUlT_T0_SI_SN_E_clIPjSD_S15_SD_EEDaS11_S12_SI_SN_EUlS11_E_NS1_11comp_targetILNS1_3genE8ELNS1_11target_archE1030ELNS1_3gpuE2ELNS1_3repE0EEENS1_47radix_sort_onesweep_sort_config_static_selectorELNS0_4arch9wavefront6targetE1EEEvSI_.has_recursion, 0
	.set _ZN7rocprim17ROCPRIM_400000_NS6detail17trampoline_kernelINS0_14default_configENS1_35radix_sort_onesweep_config_selectorIjjEEZZNS1_29radix_sort_onesweep_iterationIS3_Lb0EN6thrust23THRUST_200600_302600_NS6detail15normal_iteratorINS8_10device_ptrIjEEEESD_SD_SD_jNS0_19identity_decomposerENS1_16block_id_wrapperIjLb1EEEEE10hipError_tT1_PNSt15iterator_traitsISI_E10value_typeET2_T3_PNSJ_ISO_E10value_typeET4_T5_PST_SU_PNS1_23onesweep_lookback_stateEbbT6_jjT7_P12ihipStream_tbENKUlT_T0_SI_SN_E_clIPjSD_S15_SD_EEDaS11_S12_SI_SN_EUlS11_E_NS1_11comp_targetILNS1_3genE8ELNS1_11target_archE1030ELNS1_3gpuE2ELNS1_3repE0EEENS1_47radix_sort_onesweep_sort_config_static_selectorELNS0_4arch9wavefront6targetE1EEEvSI_.has_indirect_call, 0
	.section	.AMDGPU.csdata,"",@progbits
; Kernel info:
; codeLenInByte = 0
; TotalNumSgprs: 6
; NumVgprs: 0
; NumAgprs: 0
; TotalNumVgprs: 0
; ScratchSize: 0
; MemoryBound: 0
; FloatMode: 240
; IeeeMode: 1
; LDSByteSize: 0 bytes/workgroup (compile time only)
; SGPRBlocks: 0
; VGPRBlocks: 0
; NumSGPRsForWavesPerEU: 6
; NumVGPRsForWavesPerEU: 1
; AccumOffset: 4
; Occupancy: 8
; WaveLimiterHint : 0
; COMPUTE_PGM_RSRC2:SCRATCH_EN: 0
; COMPUTE_PGM_RSRC2:USER_SGPR: 2
; COMPUTE_PGM_RSRC2:TRAP_HANDLER: 0
; COMPUTE_PGM_RSRC2:TGID_X_EN: 1
; COMPUTE_PGM_RSRC2:TGID_Y_EN: 0
; COMPUTE_PGM_RSRC2:TGID_Z_EN: 0
; COMPUTE_PGM_RSRC2:TIDIG_COMP_CNT: 0
; COMPUTE_PGM_RSRC3_GFX90A:ACCUM_OFFSET: 0
; COMPUTE_PGM_RSRC3_GFX90A:TG_SPLIT: 0
	.section	.text._ZN7rocprim17ROCPRIM_400000_NS6detail17trampoline_kernelINS0_14default_configENS1_35radix_sort_onesweep_config_selectorIjjEEZZNS1_29radix_sort_onesweep_iterationIS3_Lb0EN6thrust23THRUST_200600_302600_NS6detail15normal_iteratorINS8_10device_ptrIjEEEESD_SD_SD_jNS0_19identity_decomposerENS1_16block_id_wrapperIjLb0EEEEE10hipError_tT1_PNSt15iterator_traitsISI_E10value_typeET2_T3_PNSJ_ISO_E10value_typeET4_T5_PST_SU_PNS1_23onesweep_lookback_stateEbbT6_jjT7_P12ihipStream_tbENKUlT_T0_SI_SN_E_clISD_SD_SD_SD_EEDaS11_S12_SI_SN_EUlS11_E_NS1_11comp_targetILNS1_3genE0ELNS1_11target_archE4294967295ELNS1_3gpuE0ELNS1_3repE0EEENS1_47radix_sort_onesweep_sort_config_static_selectorELNS0_4arch9wavefront6targetE1EEEvSI_,"axG",@progbits,_ZN7rocprim17ROCPRIM_400000_NS6detail17trampoline_kernelINS0_14default_configENS1_35radix_sort_onesweep_config_selectorIjjEEZZNS1_29radix_sort_onesweep_iterationIS3_Lb0EN6thrust23THRUST_200600_302600_NS6detail15normal_iteratorINS8_10device_ptrIjEEEESD_SD_SD_jNS0_19identity_decomposerENS1_16block_id_wrapperIjLb0EEEEE10hipError_tT1_PNSt15iterator_traitsISI_E10value_typeET2_T3_PNSJ_ISO_E10value_typeET4_T5_PST_SU_PNS1_23onesweep_lookback_stateEbbT6_jjT7_P12ihipStream_tbENKUlT_T0_SI_SN_E_clISD_SD_SD_SD_EEDaS11_S12_SI_SN_EUlS11_E_NS1_11comp_targetILNS1_3genE0ELNS1_11target_archE4294967295ELNS1_3gpuE0ELNS1_3repE0EEENS1_47radix_sort_onesweep_sort_config_static_selectorELNS0_4arch9wavefront6targetE1EEEvSI_,comdat
	.protected	_ZN7rocprim17ROCPRIM_400000_NS6detail17trampoline_kernelINS0_14default_configENS1_35radix_sort_onesweep_config_selectorIjjEEZZNS1_29radix_sort_onesweep_iterationIS3_Lb0EN6thrust23THRUST_200600_302600_NS6detail15normal_iteratorINS8_10device_ptrIjEEEESD_SD_SD_jNS0_19identity_decomposerENS1_16block_id_wrapperIjLb0EEEEE10hipError_tT1_PNSt15iterator_traitsISI_E10value_typeET2_T3_PNSJ_ISO_E10value_typeET4_T5_PST_SU_PNS1_23onesweep_lookback_stateEbbT6_jjT7_P12ihipStream_tbENKUlT_T0_SI_SN_E_clISD_SD_SD_SD_EEDaS11_S12_SI_SN_EUlS11_E_NS1_11comp_targetILNS1_3genE0ELNS1_11target_archE4294967295ELNS1_3gpuE0ELNS1_3repE0EEENS1_47radix_sort_onesweep_sort_config_static_selectorELNS0_4arch9wavefront6targetE1EEEvSI_ ; -- Begin function _ZN7rocprim17ROCPRIM_400000_NS6detail17trampoline_kernelINS0_14default_configENS1_35radix_sort_onesweep_config_selectorIjjEEZZNS1_29radix_sort_onesweep_iterationIS3_Lb0EN6thrust23THRUST_200600_302600_NS6detail15normal_iteratorINS8_10device_ptrIjEEEESD_SD_SD_jNS0_19identity_decomposerENS1_16block_id_wrapperIjLb0EEEEE10hipError_tT1_PNSt15iterator_traitsISI_E10value_typeET2_T3_PNSJ_ISO_E10value_typeET4_T5_PST_SU_PNS1_23onesweep_lookback_stateEbbT6_jjT7_P12ihipStream_tbENKUlT_T0_SI_SN_E_clISD_SD_SD_SD_EEDaS11_S12_SI_SN_EUlS11_E_NS1_11comp_targetILNS1_3genE0ELNS1_11target_archE4294967295ELNS1_3gpuE0ELNS1_3repE0EEENS1_47radix_sort_onesweep_sort_config_static_selectorELNS0_4arch9wavefront6targetE1EEEvSI_
	.globl	_ZN7rocprim17ROCPRIM_400000_NS6detail17trampoline_kernelINS0_14default_configENS1_35radix_sort_onesweep_config_selectorIjjEEZZNS1_29radix_sort_onesweep_iterationIS3_Lb0EN6thrust23THRUST_200600_302600_NS6detail15normal_iteratorINS8_10device_ptrIjEEEESD_SD_SD_jNS0_19identity_decomposerENS1_16block_id_wrapperIjLb0EEEEE10hipError_tT1_PNSt15iterator_traitsISI_E10value_typeET2_T3_PNSJ_ISO_E10value_typeET4_T5_PST_SU_PNS1_23onesweep_lookback_stateEbbT6_jjT7_P12ihipStream_tbENKUlT_T0_SI_SN_E_clISD_SD_SD_SD_EEDaS11_S12_SI_SN_EUlS11_E_NS1_11comp_targetILNS1_3genE0ELNS1_11target_archE4294967295ELNS1_3gpuE0ELNS1_3repE0EEENS1_47radix_sort_onesweep_sort_config_static_selectorELNS0_4arch9wavefront6targetE1EEEvSI_
	.p2align	8
	.type	_ZN7rocprim17ROCPRIM_400000_NS6detail17trampoline_kernelINS0_14default_configENS1_35radix_sort_onesweep_config_selectorIjjEEZZNS1_29radix_sort_onesweep_iterationIS3_Lb0EN6thrust23THRUST_200600_302600_NS6detail15normal_iteratorINS8_10device_ptrIjEEEESD_SD_SD_jNS0_19identity_decomposerENS1_16block_id_wrapperIjLb0EEEEE10hipError_tT1_PNSt15iterator_traitsISI_E10value_typeET2_T3_PNSJ_ISO_E10value_typeET4_T5_PST_SU_PNS1_23onesweep_lookback_stateEbbT6_jjT7_P12ihipStream_tbENKUlT_T0_SI_SN_E_clISD_SD_SD_SD_EEDaS11_S12_SI_SN_EUlS11_E_NS1_11comp_targetILNS1_3genE0ELNS1_11target_archE4294967295ELNS1_3gpuE0ELNS1_3repE0EEENS1_47radix_sort_onesweep_sort_config_static_selectorELNS0_4arch9wavefront6targetE1EEEvSI_,@function
_ZN7rocprim17ROCPRIM_400000_NS6detail17trampoline_kernelINS0_14default_configENS1_35radix_sort_onesweep_config_selectorIjjEEZZNS1_29radix_sort_onesweep_iterationIS3_Lb0EN6thrust23THRUST_200600_302600_NS6detail15normal_iteratorINS8_10device_ptrIjEEEESD_SD_SD_jNS0_19identity_decomposerENS1_16block_id_wrapperIjLb0EEEEE10hipError_tT1_PNSt15iterator_traitsISI_E10value_typeET2_T3_PNSJ_ISO_E10value_typeET4_T5_PST_SU_PNS1_23onesweep_lookback_stateEbbT6_jjT7_P12ihipStream_tbENKUlT_T0_SI_SN_E_clISD_SD_SD_SD_EEDaS11_S12_SI_SN_EUlS11_E_NS1_11comp_targetILNS1_3genE0ELNS1_11target_archE4294967295ELNS1_3gpuE0ELNS1_3repE0EEENS1_47radix_sort_onesweep_sort_config_static_selectorELNS0_4arch9wavefront6targetE1EEEvSI_: ; @_ZN7rocprim17ROCPRIM_400000_NS6detail17trampoline_kernelINS0_14default_configENS1_35radix_sort_onesweep_config_selectorIjjEEZZNS1_29radix_sort_onesweep_iterationIS3_Lb0EN6thrust23THRUST_200600_302600_NS6detail15normal_iteratorINS8_10device_ptrIjEEEESD_SD_SD_jNS0_19identity_decomposerENS1_16block_id_wrapperIjLb0EEEEE10hipError_tT1_PNSt15iterator_traitsISI_E10value_typeET2_T3_PNSJ_ISO_E10value_typeET4_T5_PST_SU_PNS1_23onesweep_lookback_stateEbbT6_jjT7_P12ihipStream_tbENKUlT_T0_SI_SN_E_clISD_SD_SD_SD_EEDaS11_S12_SI_SN_EUlS11_E_NS1_11comp_targetILNS1_3genE0ELNS1_11target_archE4294967295ELNS1_3gpuE0ELNS1_3repE0EEENS1_47radix_sort_onesweep_sort_config_static_selectorELNS0_4arch9wavefront6targetE1EEEvSI_
; %bb.0:
	.section	.rodata,"a",@progbits
	.p2align	6, 0x0
	.amdhsa_kernel _ZN7rocprim17ROCPRIM_400000_NS6detail17trampoline_kernelINS0_14default_configENS1_35radix_sort_onesweep_config_selectorIjjEEZZNS1_29radix_sort_onesweep_iterationIS3_Lb0EN6thrust23THRUST_200600_302600_NS6detail15normal_iteratorINS8_10device_ptrIjEEEESD_SD_SD_jNS0_19identity_decomposerENS1_16block_id_wrapperIjLb0EEEEE10hipError_tT1_PNSt15iterator_traitsISI_E10value_typeET2_T3_PNSJ_ISO_E10value_typeET4_T5_PST_SU_PNS1_23onesweep_lookback_stateEbbT6_jjT7_P12ihipStream_tbENKUlT_T0_SI_SN_E_clISD_SD_SD_SD_EEDaS11_S12_SI_SN_EUlS11_E_NS1_11comp_targetILNS1_3genE0ELNS1_11target_archE4294967295ELNS1_3gpuE0ELNS1_3repE0EEENS1_47radix_sort_onesweep_sort_config_static_selectorELNS0_4arch9wavefront6targetE1EEEvSI_
		.amdhsa_group_segment_fixed_size 0
		.amdhsa_private_segment_fixed_size 0
		.amdhsa_kernarg_size 88
		.amdhsa_user_sgpr_count 2
		.amdhsa_user_sgpr_dispatch_ptr 0
		.amdhsa_user_sgpr_queue_ptr 0
		.amdhsa_user_sgpr_kernarg_segment_ptr 1
		.amdhsa_user_sgpr_dispatch_id 0
		.amdhsa_user_sgpr_kernarg_preload_length 0
		.amdhsa_user_sgpr_kernarg_preload_offset 0
		.amdhsa_user_sgpr_private_segment_size 0
		.amdhsa_uses_dynamic_stack 0
		.amdhsa_enable_private_segment 0
		.amdhsa_system_sgpr_workgroup_id_x 1
		.amdhsa_system_sgpr_workgroup_id_y 0
		.amdhsa_system_sgpr_workgroup_id_z 0
		.amdhsa_system_sgpr_workgroup_info 0
		.amdhsa_system_vgpr_workitem_id 0
		.amdhsa_next_free_vgpr 1
		.amdhsa_next_free_sgpr 0
		.amdhsa_accum_offset 4
		.amdhsa_reserve_vcc 0
		.amdhsa_float_round_mode_32 0
		.amdhsa_float_round_mode_16_64 0
		.amdhsa_float_denorm_mode_32 3
		.amdhsa_float_denorm_mode_16_64 3
		.amdhsa_dx10_clamp 1
		.amdhsa_ieee_mode 1
		.amdhsa_fp16_overflow 0
		.amdhsa_tg_split 0
		.amdhsa_exception_fp_ieee_invalid_op 0
		.amdhsa_exception_fp_denorm_src 0
		.amdhsa_exception_fp_ieee_div_zero 0
		.amdhsa_exception_fp_ieee_overflow 0
		.amdhsa_exception_fp_ieee_underflow 0
		.amdhsa_exception_fp_ieee_inexact 0
		.amdhsa_exception_int_div_zero 0
	.end_amdhsa_kernel
	.section	.text._ZN7rocprim17ROCPRIM_400000_NS6detail17trampoline_kernelINS0_14default_configENS1_35radix_sort_onesweep_config_selectorIjjEEZZNS1_29radix_sort_onesweep_iterationIS3_Lb0EN6thrust23THRUST_200600_302600_NS6detail15normal_iteratorINS8_10device_ptrIjEEEESD_SD_SD_jNS0_19identity_decomposerENS1_16block_id_wrapperIjLb0EEEEE10hipError_tT1_PNSt15iterator_traitsISI_E10value_typeET2_T3_PNSJ_ISO_E10value_typeET4_T5_PST_SU_PNS1_23onesweep_lookback_stateEbbT6_jjT7_P12ihipStream_tbENKUlT_T0_SI_SN_E_clISD_SD_SD_SD_EEDaS11_S12_SI_SN_EUlS11_E_NS1_11comp_targetILNS1_3genE0ELNS1_11target_archE4294967295ELNS1_3gpuE0ELNS1_3repE0EEENS1_47radix_sort_onesweep_sort_config_static_selectorELNS0_4arch9wavefront6targetE1EEEvSI_,"axG",@progbits,_ZN7rocprim17ROCPRIM_400000_NS6detail17trampoline_kernelINS0_14default_configENS1_35radix_sort_onesweep_config_selectorIjjEEZZNS1_29radix_sort_onesweep_iterationIS3_Lb0EN6thrust23THRUST_200600_302600_NS6detail15normal_iteratorINS8_10device_ptrIjEEEESD_SD_SD_jNS0_19identity_decomposerENS1_16block_id_wrapperIjLb0EEEEE10hipError_tT1_PNSt15iterator_traitsISI_E10value_typeET2_T3_PNSJ_ISO_E10value_typeET4_T5_PST_SU_PNS1_23onesweep_lookback_stateEbbT6_jjT7_P12ihipStream_tbENKUlT_T0_SI_SN_E_clISD_SD_SD_SD_EEDaS11_S12_SI_SN_EUlS11_E_NS1_11comp_targetILNS1_3genE0ELNS1_11target_archE4294967295ELNS1_3gpuE0ELNS1_3repE0EEENS1_47radix_sort_onesweep_sort_config_static_selectorELNS0_4arch9wavefront6targetE1EEEvSI_,comdat
.Lfunc_end778:
	.size	_ZN7rocprim17ROCPRIM_400000_NS6detail17trampoline_kernelINS0_14default_configENS1_35radix_sort_onesweep_config_selectorIjjEEZZNS1_29radix_sort_onesweep_iterationIS3_Lb0EN6thrust23THRUST_200600_302600_NS6detail15normal_iteratorINS8_10device_ptrIjEEEESD_SD_SD_jNS0_19identity_decomposerENS1_16block_id_wrapperIjLb0EEEEE10hipError_tT1_PNSt15iterator_traitsISI_E10value_typeET2_T3_PNSJ_ISO_E10value_typeET4_T5_PST_SU_PNS1_23onesweep_lookback_stateEbbT6_jjT7_P12ihipStream_tbENKUlT_T0_SI_SN_E_clISD_SD_SD_SD_EEDaS11_S12_SI_SN_EUlS11_E_NS1_11comp_targetILNS1_3genE0ELNS1_11target_archE4294967295ELNS1_3gpuE0ELNS1_3repE0EEENS1_47radix_sort_onesweep_sort_config_static_selectorELNS0_4arch9wavefront6targetE1EEEvSI_, .Lfunc_end778-_ZN7rocprim17ROCPRIM_400000_NS6detail17trampoline_kernelINS0_14default_configENS1_35radix_sort_onesweep_config_selectorIjjEEZZNS1_29radix_sort_onesweep_iterationIS3_Lb0EN6thrust23THRUST_200600_302600_NS6detail15normal_iteratorINS8_10device_ptrIjEEEESD_SD_SD_jNS0_19identity_decomposerENS1_16block_id_wrapperIjLb0EEEEE10hipError_tT1_PNSt15iterator_traitsISI_E10value_typeET2_T3_PNSJ_ISO_E10value_typeET4_T5_PST_SU_PNS1_23onesweep_lookback_stateEbbT6_jjT7_P12ihipStream_tbENKUlT_T0_SI_SN_E_clISD_SD_SD_SD_EEDaS11_S12_SI_SN_EUlS11_E_NS1_11comp_targetILNS1_3genE0ELNS1_11target_archE4294967295ELNS1_3gpuE0ELNS1_3repE0EEENS1_47radix_sort_onesweep_sort_config_static_selectorELNS0_4arch9wavefront6targetE1EEEvSI_
                                        ; -- End function
	.set _ZN7rocprim17ROCPRIM_400000_NS6detail17trampoline_kernelINS0_14default_configENS1_35radix_sort_onesweep_config_selectorIjjEEZZNS1_29radix_sort_onesweep_iterationIS3_Lb0EN6thrust23THRUST_200600_302600_NS6detail15normal_iteratorINS8_10device_ptrIjEEEESD_SD_SD_jNS0_19identity_decomposerENS1_16block_id_wrapperIjLb0EEEEE10hipError_tT1_PNSt15iterator_traitsISI_E10value_typeET2_T3_PNSJ_ISO_E10value_typeET4_T5_PST_SU_PNS1_23onesweep_lookback_stateEbbT6_jjT7_P12ihipStream_tbENKUlT_T0_SI_SN_E_clISD_SD_SD_SD_EEDaS11_S12_SI_SN_EUlS11_E_NS1_11comp_targetILNS1_3genE0ELNS1_11target_archE4294967295ELNS1_3gpuE0ELNS1_3repE0EEENS1_47radix_sort_onesweep_sort_config_static_selectorELNS0_4arch9wavefront6targetE1EEEvSI_.num_vgpr, 0
	.set _ZN7rocprim17ROCPRIM_400000_NS6detail17trampoline_kernelINS0_14default_configENS1_35radix_sort_onesweep_config_selectorIjjEEZZNS1_29radix_sort_onesweep_iterationIS3_Lb0EN6thrust23THRUST_200600_302600_NS6detail15normal_iteratorINS8_10device_ptrIjEEEESD_SD_SD_jNS0_19identity_decomposerENS1_16block_id_wrapperIjLb0EEEEE10hipError_tT1_PNSt15iterator_traitsISI_E10value_typeET2_T3_PNSJ_ISO_E10value_typeET4_T5_PST_SU_PNS1_23onesweep_lookback_stateEbbT6_jjT7_P12ihipStream_tbENKUlT_T0_SI_SN_E_clISD_SD_SD_SD_EEDaS11_S12_SI_SN_EUlS11_E_NS1_11comp_targetILNS1_3genE0ELNS1_11target_archE4294967295ELNS1_3gpuE0ELNS1_3repE0EEENS1_47radix_sort_onesweep_sort_config_static_selectorELNS0_4arch9wavefront6targetE1EEEvSI_.num_agpr, 0
	.set _ZN7rocprim17ROCPRIM_400000_NS6detail17trampoline_kernelINS0_14default_configENS1_35radix_sort_onesweep_config_selectorIjjEEZZNS1_29radix_sort_onesweep_iterationIS3_Lb0EN6thrust23THRUST_200600_302600_NS6detail15normal_iteratorINS8_10device_ptrIjEEEESD_SD_SD_jNS0_19identity_decomposerENS1_16block_id_wrapperIjLb0EEEEE10hipError_tT1_PNSt15iterator_traitsISI_E10value_typeET2_T3_PNSJ_ISO_E10value_typeET4_T5_PST_SU_PNS1_23onesweep_lookback_stateEbbT6_jjT7_P12ihipStream_tbENKUlT_T0_SI_SN_E_clISD_SD_SD_SD_EEDaS11_S12_SI_SN_EUlS11_E_NS1_11comp_targetILNS1_3genE0ELNS1_11target_archE4294967295ELNS1_3gpuE0ELNS1_3repE0EEENS1_47radix_sort_onesweep_sort_config_static_selectorELNS0_4arch9wavefront6targetE1EEEvSI_.numbered_sgpr, 0
	.set _ZN7rocprim17ROCPRIM_400000_NS6detail17trampoline_kernelINS0_14default_configENS1_35radix_sort_onesweep_config_selectorIjjEEZZNS1_29radix_sort_onesweep_iterationIS3_Lb0EN6thrust23THRUST_200600_302600_NS6detail15normal_iteratorINS8_10device_ptrIjEEEESD_SD_SD_jNS0_19identity_decomposerENS1_16block_id_wrapperIjLb0EEEEE10hipError_tT1_PNSt15iterator_traitsISI_E10value_typeET2_T3_PNSJ_ISO_E10value_typeET4_T5_PST_SU_PNS1_23onesweep_lookback_stateEbbT6_jjT7_P12ihipStream_tbENKUlT_T0_SI_SN_E_clISD_SD_SD_SD_EEDaS11_S12_SI_SN_EUlS11_E_NS1_11comp_targetILNS1_3genE0ELNS1_11target_archE4294967295ELNS1_3gpuE0ELNS1_3repE0EEENS1_47radix_sort_onesweep_sort_config_static_selectorELNS0_4arch9wavefront6targetE1EEEvSI_.num_named_barrier, 0
	.set _ZN7rocprim17ROCPRIM_400000_NS6detail17trampoline_kernelINS0_14default_configENS1_35radix_sort_onesweep_config_selectorIjjEEZZNS1_29radix_sort_onesweep_iterationIS3_Lb0EN6thrust23THRUST_200600_302600_NS6detail15normal_iteratorINS8_10device_ptrIjEEEESD_SD_SD_jNS0_19identity_decomposerENS1_16block_id_wrapperIjLb0EEEEE10hipError_tT1_PNSt15iterator_traitsISI_E10value_typeET2_T3_PNSJ_ISO_E10value_typeET4_T5_PST_SU_PNS1_23onesweep_lookback_stateEbbT6_jjT7_P12ihipStream_tbENKUlT_T0_SI_SN_E_clISD_SD_SD_SD_EEDaS11_S12_SI_SN_EUlS11_E_NS1_11comp_targetILNS1_3genE0ELNS1_11target_archE4294967295ELNS1_3gpuE0ELNS1_3repE0EEENS1_47radix_sort_onesweep_sort_config_static_selectorELNS0_4arch9wavefront6targetE1EEEvSI_.private_seg_size, 0
	.set _ZN7rocprim17ROCPRIM_400000_NS6detail17trampoline_kernelINS0_14default_configENS1_35radix_sort_onesweep_config_selectorIjjEEZZNS1_29radix_sort_onesweep_iterationIS3_Lb0EN6thrust23THRUST_200600_302600_NS6detail15normal_iteratorINS8_10device_ptrIjEEEESD_SD_SD_jNS0_19identity_decomposerENS1_16block_id_wrapperIjLb0EEEEE10hipError_tT1_PNSt15iterator_traitsISI_E10value_typeET2_T3_PNSJ_ISO_E10value_typeET4_T5_PST_SU_PNS1_23onesweep_lookback_stateEbbT6_jjT7_P12ihipStream_tbENKUlT_T0_SI_SN_E_clISD_SD_SD_SD_EEDaS11_S12_SI_SN_EUlS11_E_NS1_11comp_targetILNS1_3genE0ELNS1_11target_archE4294967295ELNS1_3gpuE0ELNS1_3repE0EEENS1_47radix_sort_onesweep_sort_config_static_selectorELNS0_4arch9wavefront6targetE1EEEvSI_.uses_vcc, 0
	.set _ZN7rocprim17ROCPRIM_400000_NS6detail17trampoline_kernelINS0_14default_configENS1_35radix_sort_onesweep_config_selectorIjjEEZZNS1_29radix_sort_onesweep_iterationIS3_Lb0EN6thrust23THRUST_200600_302600_NS6detail15normal_iteratorINS8_10device_ptrIjEEEESD_SD_SD_jNS0_19identity_decomposerENS1_16block_id_wrapperIjLb0EEEEE10hipError_tT1_PNSt15iterator_traitsISI_E10value_typeET2_T3_PNSJ_ISO_E10value_typeET4_T5_PST_SU_PNS1_23onesweep_lookback_stateEbbT6_jjT7_P12ihipStream_tbENKUlT_T0_SI_SN_E_clISD_SD_SD_SD_EEDaS11_S12_SI_SN_EUlS11_E_NS1_11comp_targetILNS1_3genE0ELNS1_11target_archE4294967295ELNS1_3gpuE0ELNS1_3repE0EEENS1_47radix_sort_onesweep_sort_config_static_selectorELNS0_4arch9wavefront6targetE1EEEvSI_.uses_flat_scratch, 0
	.set _ZN7rocprim17ROCPRIM_400000_NS6detail17trampoline_kernelINS0_14default_configENS1_35radix_sort_onesweep_config_selectorIjjEEZZNS1_29radix_sort_onesweep_iterationIS3_Lb0EN6thrust23THRUST_200600_302600_NS6detail15normal_iteratorINS8_10device_ptrIjEEEESD_SD_SD_jNS0_19identity_decomposerENS1_16block_id_wrapperIjLb0EEEEE10hipError_tT1_PNSt15iterator_traitsISI_E10value_typeET2_T3_PNSJ_ISO_E10value_typeET4_T5_PST_SU_PNS1_23onesweep_lookback_stateEbbT6_jjT7_P12ihipStream_tbENKUlT_T0_SI_SN_E_clISD_SD_SD_SD_EEDaS11_S12_SI_SN_EUlS11_E_NS1_11comp_targetILNS1_3genE0ELNS1_11target_archE4294967295ELNS1_3gpuE0ELNS1_3repE0EEENS1_47radix_sort_onesweep_sort_config_static_selectorELNS0_4arch9wavefront6targetE1EEEvSI_.has_dyn_sized_stack, 0
	.set _ZN7rocprim17ROCPRIM_400000_NS6detail17trampoline_kernelINS0_14default_configENS1_35radix_sort_onesweep_config_selectorIjjEEZZNS1_29radix_sort_onesweep_iterationIS3_Lb0EN6thrust23THRUST_200600_302600_NS6detail15normal_iteratorINS8_10device_ptrIjEEEESD_SD_SD_jNS0_19identity_decomposerENS1_16block_id_wrapperIjLb0EEEEE10hipError_tT1_PNSt15iterator_traitsISI_E10value_typeET2_T3_PNSJ_ISO_E10value_typeET4_T5_PST_SU_PNS1_23onesweep_lookback_stateEbbT6_jjT7_P12ihipStream_tbENKUlT_T0_SI_SN_E_clISD_SD_SD_SD_EEDaS11_S12_SI_SN_EUlS11_E_NS1_11comp_targetILNS1_3genE0ELNS1_11target_archE4294967295ELNS1_3gpuE0ELNS1_3repE0EEENS1_47radix_sort_onesweep_sort_config_static_selectorELNS0_4arch9wavefront6targetE1EEEvSI_.has_recursion, 0
	.set _ZN7rocprim17ROCPRIM_400000_NS6detail17trampoline_kernelINS0_14default_configENS1_35radix_sort_onesweep_config_selectorIjjEEZZNS1_29radix_sort_onesweep_iterationIS3_Lb0EN6thrust23THRUST_200600_302600_NS6detail15normal_iteratorINS8_10device_ptrIjEEEESD_SD_SD_jNS0_19identity_decomposerENS1_16block_id_wrapperIjLb0EEEEE10hipError_tT1_PNSt15iterator_traitsISI_E10value_typeET2_T3_PNSJ_ISO_E10value_typeET4_T5_PST_SU_PNS1_23onesweep_lookback_stateEbbT6_jjT7_P12ihipStream_tbENKUlT_T0_SI_SN_E_clISD_SD_SD_SD_EEDaS11_S12_SI_SN_EUlS11_E_NS1_11comp_targetILNS1_3genE0ELNS1_11target_archE4294967295ELNS1_3gpuE0ELNS1_3repE0EEENS1_47radix_sort_onesweep_sort_config_static_selectorELNS0_4arch9wavefront6targetE1EEEvSI_.has_indirect_call, 0
	.section	.AMDGPU.csdata,"",@progbits
; Kernel info:
; codeLenInByte = 0
; TotalNumSgprs: 6
; NumVgprs: 0
; NumAgprs: 0
; TotalNumVgprs: 0
; ScratchSize: 0
; MemoryBound: 0
; FloatMode: 240
; IeeeMode: 1
; LDSByteSize: 0 bytes/workgroup (compile time only)
; SGPRBlocks: 0
; VGPRBlocks: 0
; NumSGPRsForWavesPerEU: 6
; NumVGPRsForWavesPerEU: 1
; AccumOffset: 4
; Occupancy: 8
; WaveLimiterHint : 0
; COMPUTE_PGM_RSRC2:SCRATCH_EN: 0
; COMPUTE_PGM_RSRC2:USER_SGPR: 2
; COMPUTE_PGM_RSRC2:TRAP_HANDLER: 0
; COMPUTE_PGM_RSRC2:TGID_X_EN: 1
; COMPUTE_PGM_RSRC2:TGID_Y_EN: 0
; COMPUTE_PGM_RSRC2:TGID_Z_EN: 0
; COMPUTE_PGM_RSRC2:TIDIG_COMP_CNT: 0
; COMPUTE_PGM_RSRC3_GFX90A:ACCUM_OFFSET: 0
; COMPUTE_PGM_RSRC3_GFX90A:TG_SPLIT: 0
	.section	.text._ZN7rocprim17ROCPRIM_400000_NS6detail17trampoline_kernelINS0_14default_configENS1_35radix_sort_onesweep_config_selectorIjjEEZZNS1_29radix_sort_onesweep_iterationIS3_Lb0EN6thrust23THRUST_200600_302600_NS6detail15normal_iteratorINS8_10device_ptrIjEEEESD_SD_SD_jNS0_19identity_decomposerENS1_16block_id_wrapperIjLb0EEEEE10hipError_tT1_PNSt15iterator_traitsISI_E10value_typeET2_T3_PNSJ_ISO_E10value_typeET4_T5_PST_SU_PNS1_23onesweep_lookback_stateEbbT6_jjT7_P12ihipStream_tbENKUlT_T0_SI_SN_E_clISD_SD_SD_SD_EEDaS11_S12_SI_SN_EUlS11_E_NS1_11comp_targetILNS1_3genE6ELNS1_11target_archE950ELNS1_3gpuE13ELNS1_3repE0EEENS1_47radix_sort_onesweep_sort_config_static_selectorELNS0_4arch9wavefront6targetE1EEEvSI_,"axG",@progbits,_ZN7rocprim17ROCPRIM_400000_NS6detail17trampoline_kernelINS0_14default_configENS1_35radix_sort_onesweep_config_selectorIjjEEZZNS1_29radix_sort_onesweep_iterationIS3_Lb0EN6thrust23THRUST_200600_302600_NS6detail15normal_iteratorINS8_10device_ptrIjEEEESD_SD_SD_jNS0_19identity_decomposerENS1_16block_id_wrapperIjLb0EEEEE10hipError_tT1_PNSt15iterator_traitsISI_E10value_typeET2_T3_PNSJ_ISO_E10value_typeET4_T5_PST_SU_PNS1_23onesweep_lookback_stateEbbT6_jjT7_P12ihipStream_tbENKUlT_T0_SI_SN_E_clISD_SD_SD_SD_EEDaS11_S12_SI_SN_EUlS11_E_NS1_11comp_targetILNS1_3genE6ELNS1_11target_archE950ELNS1_3gpuE13ELNS1_3repE0EEENS1_47radix_sort_onesweep_sort_config_static_selectorELNS0_4arch9wavefront6targetE1EEEvSI_,comdat
	.protected	_ZN7rocprim17ROCPRIM_400000_NS6detail17trampoline_kernelINS0_14default_configENS1_35radix_sort_onesweep_config_selectorIjjEEZZNS1_29radix_sort_onesweep_iterationIS3_Lb0EN6thrust23THRUST_200600_302600_NS6detail15normal_iteratorINS8_10device_ptrIjEEEESD_SD_SD_jNS0_19identity_decomposerENS1_16block_id_wrapperIjLb0EEEEE10hipError_tT1_PNSt15iterator_traitsISI_E10value_typeET2_T3_PNSJ_ISO_E10value_typeET4_T5_PST_SU_PNS1_23onesweep_lookback_stateEbbT6_jjT7_P12ihipStream_tbENKUlT_T0_SI_SN_E_clISD_SD_SD_SD_EEDaS11_S12_SI_SN_EUlS11_E_NS1_11comp_targetILNS1_3genE6ELNS1_11target_archE950ELNS1_3gpuE13ELNS1_3repE0EEENS1_47radix_sort_onesweep_sort_config_static_selectorELNS0_4arch9wavefront6targetE1EEEvSI_ ; -- Begin function _ZN7rocprim17ROCPRIM_400000_NS6detail17trampoline_kernelINS0_14default_configENS1_35radix_sort_onesweep_config_selectorIjjEEZZNS1_29radix_sort_onesweep_iterationIS3_Lb0EN6thrust23THRUST_200600_302600_NS6detail15normal_iteratorINS8_10device_ptrIjEEEESD_SD_SD_jNS0_19identity_decomposerENS1_16block_id_wrapperIjLb0EEEEE10hipError_tT1_PNSt15iterator_traitsISI_E10value_typeET2_T3_PNSJ_ISO_E10value_typeET4_T5_PST_SU_PNS1_23onesweep_lookback_stateEbbT6_jjT7_P12ihipStream_tbENKUlT_T0_SI_SN_E_clISD_SD_SD_SD_EEDaS11_S12_SI_SN_EUlS11_E_NS1_11comp_targetILNS1_3genE6ELNS1_11target_archE950ELNS1_3gpuE13ELNS1_3repE0EEENS1_47radix_sort_onesweep_sort_config_static_selectorELNS0_4arch9wavefront6targetE1EEEvSI_
	.globl	_ZN7rocprim17ROCPRIM_400000_NS6detail17trampoline_kernelINS0_14default_configENS1_35radix_sort_onesweep_config_selectorIjjEEZZNS1_29radix_sort_onesweep_iterationIS3_Lb0EN6thrust23THRUST_200600_302600_NS6detail15normal_iteratorINS8_10device_ptrIjEEEESD_SD_SD_jNS0_19identity_decomposerENS1_16block_id_wrapperIjLb0EEEEE10hipError_tT1_PNSt15iterator_traitsISI_E10value_typeET2_T3_PNSJ_ISO_E10value_typeET4_T5_PST_SU_PNS1_23onesweep_lookback_stateEbbT6_jjT7_P12ihipStream_tbENKUlT_T0_SI_SN_E_clISD_SD_SD_SD_EEDaS11_S12_SI_SN_EUlS11_E_NS1_11comp_targetILNS1_3genE6ELNS1_11target_archE950ELNS1_3gpuE13ELNS1_3repE0EEENS1_47radix_sort_onesweep_sort_config_static_selectorELNS0_4arch9wavefront6targetE1EEEvSI_
	.p2align	8
	.type	_ZN7rocprim17ROCPRIM_400000_NS6detail17trampoline_kernelINS0_14default_configENS1_35radix_sort_onesweep_config_selectorIjjEEZZNS1_29radix_sort_onesweep_iterationIS3_Lb0EN6thrust23THRUST_200600_302600_NS6detail15normal_iteratorINS8_10device_ptrIjEEEESD_SD_SD_jNS0_19identity_decomposerENS1_16block_id_wrapperIjLb0EEEEE10hipError_tT1_PNSt15iterator_traitsISI_E10value_typeET2_T3_PNSJ_ISO_E10value_typeET4_T5_PST_SU_PNS1_23onesweep_lookback_stateEbbT6_jjT7_P12ihipStream_tbENKUlT_T0_SI_SN_E_clISD_SD_SD_SD_EEDaS11_S12_SI_SN_EUlS11_E_NS1_11comp_targetILNS1_3genE6ELNS1_11target_archE950ELNS1_3gpuE13ELNS1_3repE0EEENS1_47radix_sort_onesweep_sort_config_static_selectorELNS0_4arch9wavefront6targetE1EEEvSI_,@function
_ZN7rocprim17ROCPRIM_400000_NS6detail17trampoline_kernelINS0_14default_configENS1_35radix_sort_onesweep_config_selectorIjjEEZZNS1_29radix_sort_onesweep_iterationIS3_Lb0EN6thrust23THRUST_200600_302600_NS6detail15normal_iteratorINS8_10device_ptrIjEEEESD_SD_SD_jNS0_19identity_decomposerENS1_16block_id_wrapperIjLb0EEEEE10hipError_tT1_PNSt15iterator_traitsISI_E10value_typeET2_T3_PNSJ_ISO_E10value_typeET4_T5_PST_SU_PNS1_23onesweep_lookback_stateEbbT6_jjT7_P12ihipStream_tbENKUlT_T0_SI_SN_E_clISD_SD_SD_SD_EEDaS11_S12_SI_SN_EUlS11_E_NS1_11comp_targetILNS1_3genE6ELNS1_11target_archE950ELNS1_3gpuE13ELNS1_3repE0EEENS1_47radix_sort_onesweep_sort_config_static_selectorELNS0_4arch9wavefront6targetE1EEEvSI_: ; @_ZN7rocprim17ROCPRIM_400000_NS6detail17trampoline_kernelINS0_14default_configENS1_35radix_sort_onesweep_config_selectorIjjEEZZNS1_29radix_sort_onesweep_iterationIS3_Lb0EN6thrust23THRUST_200600_302600_NS6detail15normal_iteratorINS8_10device_ptrIjEEEESD_SD_SD_jNS0_19identity_decomposerENS1_16block_id_wrapperIjLb0EEEEE10hipError_tT1_PNSt15iterator_traitsISI_E10value_typeET2_T3_PNSJ_ISO_E10value_typeET4_T5_PST_SU_PNS1_23onesweep_lookback_stateEbbT6_jjT7_P12ihipStream_tbENKUlT_T0_SI_SN_E_clISD_SD_SD_SD_EEDaS11_S12_SI_SN_EUlS11_E_NS1_11comp_targetILNS1_3genE6ELNS1_11target_archE950ELNS1_3gpuE13ELNS1_3repE0EEENS1_47radix_sort_onesweep_sort_config_static_selectorELNS0_4arch9wavefront6targetE1EEEvSI_
; %bb.0:
	s_load_dwordx8 s[52:59], s[0:1], 0x0
	s_load_dwordx4 s[64:67], s[0:1], 0x44
	s_load_dwordx4 s[60:63], s[0:1], 0x28
	s_load_dwordx2 s[50:51], s[0:1], 0x38
	s_mov_b64 s[4:5], -1
	v_mbcnt_lo_u32_b32 v1, -1, 0
	s_waitcnt lgkmcnt(0)
	s_cmp_ge_u32 s2, s66
	s_cbranch_scc0 .LBB779_204
; %bb.1:
	s_load_dword s3, s[0:1], 0x20
	s_lshl_b32 s6, s66, 14
	s_lshl_b32 s4, s2, 14
	s_mov_b32 s5, 0
	v_and_b32_e32 v2, 0x3ff, v0
	s_waitcnt lgkmcnt(0)
	s_sub_i32 s3, s3, s6
	s_lshl_b64 s[66:67], s[4:5], 2
	v_mbcnt_hi_u32_b32 v12, -1, v1
	s_add_u32 s4, s52, s66
	v_and_b32_e32 v10, 63, v12
	v_lshlrev_b32_e32 v4, 4, v2
	s_addc_u32 s5, s53, s67
	v_and_b32_e32 v11, 0x3c00, v4
	v_mov_b32_e32 v5, 0
	v_lshlrev_b32_e32 v4, 2, v10
	v_lshl_add_u64 v[8:9], s[4:5], 0, v[4:5]
	v_lshlrev_b32_e32 v6, 2, v11
	v_mov_b32_e32 v7, v5
	v_or_b32_e32 v10, v10, v11
	v_mov_b32_e32 v3, -1
	v_lshl_add_u64 v[8:9], v[8:9], 0, v[6:7]
	v_cmp_gt_u32_e32 vcc, s3, v10
	v_mov_b32_e32 v5, -1
	s_and_saveexec_b64 s[4:5], vcc
	s_cbranch_execz .LBB779_3
; %bb.2:
	global_load_dword v5, v[8:9], off
.LBB779_3:
	s_or_b64 exec, exec, s[4:5]
	v_or_b32_e32 v7, 64, v10
	v_cmp_gt_u32_e64 s[42:43], s3, v7
	s_and_saveexec_b64 s[4:5], s[42:43]
	s_cbranch_execz .LBB779_5
; %bb.4:
	global_load_dword v3, v[8:9], off offset:256
.LBB779_5:
	s_or_b64 exec, exec, s[4:5]
	v_or_b32_e32 v7, 0x80, v10
	v_cmp_gt_u32_e64 s[4:5], s3, v7
	v_mov_b32_e32 v7, -1
	v_mov_b32_e32 v14, -1
	s_and_saveexec_b64 s[6:7], s[4:5]
	s_cbranch_execz .LBB779_7
; %bb.6:
	global_load_dword v14, v[8:9], off offset:512
.LBB779_7:
	s_or_b64 exec, exec, s[6:7]
	v_or_b32_e32 v11, 0xc0, v10
	v_cmp_gt_u32_e64 s[6:7], s3, v11
	s_and_saveexec_b64 s[8:9], s[6:7]
	s_cbranch_execz .LBB779_9
; %bb.8:
	global_load_dword v7, v[8:9], off offset:768
.LBB779_9:
	s_or_b64 exec, exec, s[8:9]
	v_or_b32_e32 v11, 0x100, v10
	v_cmp_gt_u32_e64 s[8:9], s3, v11
	v_mov_b32_e32 v15, -1
	v_mov_b32_e32 v16, -1
	s_and_saveexec_b64 s[10:11], s[8:9]
	s_cbranch_execz .LBB779_11
; %bb.10:
	global_load_dword v16, v[8:9], off offset:1024
.LBB779_11:
	;; [unrolled: 18-line block ×7, first 2 shown]
	s_or_b64 exec, exec, s[30:31]
	v_or_b32_e32 v10, 0x3c0, v10
	v_cmp_gt_u32_e64 s[30:31], s3, v10
	s_and_saveexec_b64 s[34:35], s[30:31]
	s_cbranch_execz .LBB779_33
; %bb.32:
	global_load_dword v25, v[8:9], off offset:3840
.LBB779_33:
	s_or_b64 exec, exec, s[34:35]
	s_load_dword s34, s[0:1], 0x64
	s_load_dword s33, s[0:1], 0x58
	s_add_u32 s35, s0, 0x58
	s_addc_u32 s36, s1, 0
	v_mov_b32_e32 v9, 0
	s_waitcnt lgkmcnt(0)
	s_lshr_b32 s37, s34, 16
	s_cmp_lt_u32 s2, s33
	s_cselect_b32 s34, 12, 18
	s_add_u32 s34, s35, s34
	s_addc_u32 s35, s36, 0
	global_load_ushort v27, v9, s[34:35]
	s_waitcnt vmcnt(1)
	v_lshrrev_b32_e32 v29, s64, v5
	s_lshl_b32 s34, -1, s65
	v_bfe_u32 v8, v0, 10, 10
	v_bfe_u32 v11, v0, 20, 10
	v_bitop3_b32 v38, v29, s34, v29 bitop3:0x30
	s_movk_i32 s69, 0x44
	v_mad_u32_u24 v40, v11, s37, v8
	v_and_b32_e32 v8, 1, v38
	v_lshlrev_b32_e32 v11, 30, v38
	v_mov_b32_e32 v10, v9
	v_mov_b32_e32 v30, v9
	s_not_b32 s68, s34
	v_mul_lo_u32 v42, v38, s69
	v_lshlrev_b32_e32 v29, 29, v38
	v_lshlrev_b32_e32 v31, 28, v38
	v_lshlrev_b32_e32 v33, 27, v38
	v_lshlrev_b32_e32 v35, 26, v38
	v_lshlrev_b32_e32 v37, 25, v38
	v_lshlrev_b32_e32 v41, 24, v38
	v_lshl_add_u64 v[38:39], v[8:9], 0, -1
	v_cmp_ne_u32_e64 s[34:35], 0, v8
	v_not_b32_e32 v8, v11
	v_mov_b32_e32 v28, v9
	v_mov_b32_e32 v32, v9
	v_cmp_gt_i64_e64 s[36:37], 0, v[10:11]
	v_not_b32_e32 v10, v29
	v_cmp_gt_i64_e64 s[40:41], 0, v[30:31]
	v_not_b32_e32 v11, v31
	v_xor_b32_e32 v31, s35, v39
	v_ashrrev_i32_e32 v8, 31, v8
	v_mov_b32_e32 v34, v9
	v_cmp_gt_i64_e64 s[38:39], 0, v[28:29]
	v_cmp_gt_i64_e64 s[44:45], 0, v[32:33]
	v_not_b32_e32 v28, v33
	v_xor_b32_e32 v32, s34, v38
	v_ashrrev_i32_e32 v10, 31, v10
	v_and_b32_e32 v31, exec_hi, v31
	v_xor_b32_e32 v33, s37, v8
	v_cmp_gt_i64_e64 s[46:47], 0, v[34:35]
	v_ashrrev_i32_e32 v11, 31, v11
	v_and_b32_e32 v32, exec_lo, v32
	v_xor_b32_e32 v8, s36, v8
	v_xor_b32_e32 v34, s39, v10
	v_and_b32_e32 v31, v31, v33
	v_mov_b32_e32 v36, v9
	v_not_b32_e32 v29, v35
	v_ashrrev_i32_e32 v28, 31, v28
	v_xor_b32_e32 v10, s38, v10
	v_xor_b32_e32 v35, s41, v11
	v_and_b32_e32 v8, v32, v8
	v_and_b32_e32 v31, v31, v34
	v_cmp_gt_i64_e64 s[48:49], 0, v[36:37]
	v_not_b32_e32 v30, v37
	v_ashrrev_i32_e32 v29, 31, v29
	v_xor_b32_e32 v36, s45, v28
	v_and_b32_e32 v8, v8, v10
	v_and_b32_e32 v10, v31, v35
	v_ashrrev_i32_e32 v30, 31, v30
	v_xor_b32_e32 v11, s40, v11
	v_xor_b32_e32 v37, s47, v29
	v_and_b32_e32 v10, v10, v36
	v_xor_b32_e32 v28, s44, v28
	v_xor_b32_e32 v38, s49, v30
	v_and_b32_e32 v8, v8, v11
	v_and_b32_e32 v10, v10, v37
	;; [unrolled: 1-line block ×4, first 2 shown]
	v_xor_b32_e32 v29, s46, v29
	v_xor_b32_e32 v30, s48, v30
	v_and_b32_e32 v8, v8, v29
	v_and_b32_e32 v8, v8, v30
	v_mul_u32_u24_e32 v13, 20, v2
	ds_write2_b32 v13, v9, v9 offset0:16 offset1:17
	ds_write2_b32 v13, v9, v9 offset0:18 offset1:19
	ds_write_b32 v13, v9 offset:80
	s_waitcnt lgkmcnt(0)
	s_barrier
	s_waitcnt vmcnt(0)
	; wave barrier
	v_mad_u64_u32 v[10:11], s[34:35], v40, v27, v[2:3]
	v_lshrrev_b32_e32 v10, 4, v10
	v_and_b32_e32 v38, 0xffffffc, v10
	v_mov_b32_e32 v40, v9
	v_not_b32_e32 v10, v41
	v_cmp_gt_i64_e64 s[34:35], 0, v[40:41]
	v_ashrrev_i32_e32 v10, 31, v10
	v_add_u32_e32 v31, v38, v42
	v_xor_b32_e32 v11, s35, v10
	v_xor_b32_e32 v10, s34, v10
	v_and_b32_e32 v10, v8, v10
	v_and_b32_e32 v11, v28, v11
	v_mbcnt_lo_u32_b32 v8, v10, 0
	v_mbcnt_hi_u32_b32 v28, v11, v8
	v_cmp_eq_u32_e64 s[34:35], 0, v28
	v_cmp_ne_u64_e64 s[36:37], 0, v[10:11]
	s_and_b64 s[36:37], s[36:37], s[34:35]
	s_and_saveexec_b64 s[34:35], s[36:37]
; %bb.34:
	v_bcnt_u32_b32 v8, v10, 0
	v_bcnt_u32_b32 v8, v11, v8
	ds_write_b32 v31, v8 offset:64
; %bb.35:
	s_or_b64 exec, exec, s[34:35]
	v_lshrrev_b32_e32 v8, s64, v3
	v_and_b32_e32 v29, s68, v8
	v_mul_lo_u32 v8, v29, s69
	v_add_u32_e32 v33, v38, v8
	v_and_b32_e32 v8, 1, v29
	v_lshl_add_u64 v[10:11], v[8:9], 0, -1
	v_cmp_ne_u32_e64 s[34:35], 0, v8
	; wave barrier
	s_nop 1
	v_xor_b32_e32 v10, s34, v10
	v_xor_b32_e32 v8, s35, v11
	v_and_b32_e32 v30, exec_lo, v10
	v_lshlrev_b32_e32 v11, 30, v29
	v_mov_b32_e32 v10, v9
	v_cmp_gt_i64_e64 s[34:35], 0, v[10:11]
	v_not_b32_e32 v10, v11
	v_ashrrev_i32_e32 v10, 31, v10
	v_and_b32_e32 v8, exec_hi, v8
	v_xor_b32_e32 v11, s35, v10
	v_xor_b32_e32 v10, s34, v10
	v_and_b32_e32 v8, v8, v11
	v_and_b32_e32 v30, v30, v10
	v_lshlrev_b32_e32 v11, 29, v29
	v_mov_b32_e32 v10, v9
	v_cmp_gt_i64_e64 s[34:35], 0, v[10:11]
	v_not_b32_e32 v10, v11
	v_ashrrev_i32_e32 v10, 31, v10
	v_xor_b32_e32 v11, s35, v10
	v_xor_b32_e32 v10, s34, v10
	v_and_b32_e32 v8, v8, v11
	v_and_b32_e32 v30, v30, v10
	v_lshlrev_b32_e32 v11, 28, v29
	v_mov_b32_e32 v10, v9
	v_cmp_gt_i64_e64 s[34:35], 0, v[10:11]
	v_not_b32_e32 v10, v11
	v_ashrrev_i32_e32 v10, 31, v10
	;; [unrolled: 9-line block ×5, first 2 shown]
	v_xor_b32_e32 v11, s35, v10
	v_xor_b32_e32 v10, s34, v10
	v_and_b32_e32 v8, v8, v11
	v_lshlrev_b32_e32 v11, 24, v29
	v_and_b32_e32 v30, v30, v10
	v_mov_b32_e32 v10, v9
	v_not_b32_e32 v9, v11
	v_cmp_gt_i64_e64 s[34:35], 0, v[10:11]
	v_ashrrev_i32_e32 v9, 31, v9
	ds_read_b32 v27, v33 offset:64
	v_xor_b32_e32 v10, s35, v9
	v_xor_b32_e32 v11, s34, v9
	v_and_b32_e32 v9, v8, v10
	v_and_b32_e32 v8, v30, v11
	v_mbcnt_lo_u32_b32 v10, v8, 0
	v_mbcnt_hi_u32_b32 v29, v9, v10
	v_cmp_eq_u32_e64 s[34:35], 0, v29
	v_cmp_ne_u64_e64 s[36:37], 0, v[8:9]
	s_and_b64 s[36:37], s[36:37], s[34:35]
	; wave barrier
	s_and_saveexec_b64 s[34:35], s[36:37]
	s_cbranch_execz .LBB779_37
; %bb.36:
	v_bcnt_u32_b32 v8, v8, 0
	v_bcnt_u32_b32 v8, v9, v8
	s_waitcnt lgkmcnt(0)
	v_add_u32_e32 v8, v27, v8
	ds_write_b32 v33, v8 offset:64
.LBB779_37:
	s_or_b64 exec, exec, s[34:35]
	v_lshrrev_b32_e32 v8, s64, v14
	v_and_b32_e32 v32, s68, v8
	s_movk_i32 s38, 0x44
	v_mul_lo_u32 v8, v32, s38
	v_add_u32_e32 v36, v38, v8
	v_and_b32_e32 v8, 1, v32
	v_mov_b32_e32 v9, 0
	v_lshl_add_u64 v[10:11], v[8:9], 0, -1
	v_cmp_ne_u32_e64 s[34:35], 0, v8
	; wave barrier
	s_nop 1
	v_xor_b32_e32 v10, s34, v10
	v_xor_b32_e32 v8, s35, v11
	v_and_b32_e32 v34, exec_lo, v10
	v_lshlrev_b32_e32 v11, 30, v32
	v_mov_b32_e32 v10, v9
	v_cmp_gt_i64_e64 s[34:35], 0, v[10:11]
	v_not_b32_e32 v10, v11
	v_ashrrev_i32_e32 v10, 31, v10
	v_and_b32_e32 v8, exec_hi, v8
	v_xor_b32_e32 v11, s35, v10
	v_xor_b32_e32 v10, s34, v10
	v_and_b32_e32 v8, v8, v11
	v_and_b32_e32 v34, v34, v10
	v_lshlrev_b32_e32 v11, 29, v32
	v_mov_b32_e32 v10, v9
	v_cmp_gt_i64_e64 s[34:35], 0, v[10:11]
	v_not_b32_e32 v10, v11
	v_ashrrev_i32_e32 v10, 31, v10
	v_xor_b32_e32 v11, s35, v10
	v_xor_b32_e32 v10, s34, v10
	v_and_b32_e32 v8, v8, v11
	v_and_b32_e32 v34, v34, v10
	v_lshlrev_b32_e32 v11, 28, v32
	v_mov_b32_e32 v10, v9
	v_cmp_gt_i64_e64 s[34:35], 0, v[10:11]
	v_not_b32_e32 v10, v11
	v_ashrrev_i32_e32 v10, 31, v10
	;; [unrolled: 9-line block ×6, first 2 shown]
	v_xor_b32_e32 v11, s35, v10
	v_xor_b32_e32 v10, s34, v10
	ds_read_b32 v30, v36 offset:64
	v_and_b32_e32 v10, v34, v10
	v_and_b32_e32 v11, v8, v11
	v_mbcnt_lo_u32_b32 v8, v10, 0
	v_mbcnt_hi_u32_b32 v32, v11, v8
	v_cmp_eq_u32_e64 s[34:35], 0, v32
	v_cmp_ne_u64_e64 s[36:37], 0, v[10:11]
	s_and_b64 s[36:37], s[36:37], s[34:35]
	; wave barrier
	s_and_saveexec_b64 s[34:35], s[36:37]
	s_cbranch_execz .LBB779_39
; %bb.38:
	v_bcnt_u32_b32 v8, v10, 0
	v_bcnt_u32_b32 v8, v11, v8
	s_waitcnt lgkmcnt(0)
	v_add_u32_e32 v8, v30, v8
	ds_write_b32 v36, v8 offset:64
.LBB779_39:
	s_or_b64 exec, exec, s[34:35]
	v_lshrrev_b32_e32 v8, s64, v7
	v_and_b32_e32 v35, s68, v8
	v_mul_lo_u32 v8, v35, s38
	v_add_u32_e32 v40, v38, v8
	v_and_b32_e32 v8, 1, v35
	v_lshl_add_u64 v[10:11], v[8:9], 0, -1
	v_cmp_ne_u32_e64 s[34:35], 0, v8
	; wave barrier
	s_nop 1
	v_xor_b32_e32 v10, s34, v10
	v_xor_b32_e32 v8, s35, v11
	v_and_b32_e32 v37, exec_lo, v10
	v_lshlrev_b32_e32 v11, 30, v35
	v_mov_b32_e32 v10, v9
	v_cmp_gt_i64_e64 s[34:35], 0, v[10:11]
	v_not_b32_e32 v10, v11
	v_ashrrev_i32_e32 v10, 31, v10
	v_and_b32_e32 v8, exec_hi, v8
	v_xor_b32_e32 v11, s35, v10
	v_xor_b32_e32 v10, s34, v10
	v_and_b32_e32 v8, v8, v11
	v_and_b32_e32 v37, v37, v10
	v_lshlrev_b32_e32 v11, 29, v35
	v_mov_b32_e32 v10, v9
	v_cmp_gt_i64_e64 s[34:35], 0, v[10:11]
	v_not_b32_e32 v10, v11
	v_ashrrev_i32_e32 v10, 31, v10
	v_xor_b32_e32 v11, s35, v10
	v_xor_b32_e32 v10, s34, v10
	v_and_b32_e32 v8, v8, v11
	v_and_b32_e32 v37, v37, v10
	v_lshlrev_b32_e32 v11, 28, v35
	v_mov_b32_e32 v10, v9
	v_cmp_gt_i64_e64 s[34:35], 0, v[10:11]
	v_not_b32_e32 v10, v11
	v_ashrrev_i32_e32 v10, 31, v10
	;; [unrolled: 9-line block ×5, first 2 shown]
	v_xor_b32_e32 v11, s35, v10
	v_xor_b32_e32 v10, s34, v10
	v_and_b32_e32 v8, v8, v11
	v_lshlrev_b32_e32 v11, 24, v35
	v_and_b32_e32 v37, v37, v10
	v_mov_b32_e32 v10, v9
	v_not_b32_e32 v9, v11
	v_cmp_gt_i64_e64 s[34:35], 0, v[10:11]
	v_ashrrev_i32_e32 v9, 31, v9
	ds_read_b32 v34, v40 offset:64
	v_xor_b32_e32 v10, s35, v9
	v_xor_b32_e32 v11, s34, v9
	v_and_b32_e32 v9, v8, v10
	v_and_b32_e32 v8, v37, v11
	v_mbcnt_lo_u32_b32 v10, v8, 0
	v_mbcnt_hi_u32_b32 v35, v9, v10
	v_cmp_eq_u32_e64 s[34:35], 0, v35
	v_cmp_ne_u64_e64 s[36:37], 0, v[8:9]
	s_and_b64 s[36:37], s[36:37], s[34:35]
	; wave barrier
	s_and_saveexec_b64 s[34:35], s[36:37]
	s_cbranch_execz .LBB779_41
; %bb.40:
	v_bcnt_u32_b32 v8, v8, 0
	v_bcnt_u32_b32 v8, v9, v8
	s_waitcnt lgkmcnt(0)
	v_add_u32_e32 v8, v34, v8
	ds_write_b32 v40, v8 offset:64
.LBB779_41:
	s_or_b64 exec, exec, s[34:35]
	v_lshrrev_b32_e32 v8, s64, v16
	v_and_b32_e32 v39, s68, v8
	v_mul_lo_u32 v8, v39, s38
	v_add_u32_e32 v43, v38, v8
	v_and_b32_e32 v8, 1, v39
	v_mov_b32_e32 v9, 0
	v_lshl_add_u64 v[10:11], v[8:9], 0, -1
	v_cmp_ne_u32_e64 s[34:35], 0, v8
	; wave barrier
	s_nop 1
	v_xor_b32_e32 v10, s34, v10
	v_xor_b32_e32 v8, s35, v11
	v_and_b32_e32 v41, exec_lo, v10
	v_lshlrev_b32_e32 v11, 30, v39
	v_mov_b32_e32 v10, v9
	v_cmp_gt_i64_e64 s[34:35], 0, v[10:11]
	v_not_b32_e32 v10, v11
	v_ashrrev_i32_e32 v10, 31, v10
	v_and_b32_e32 v8, exec_hi, v8
	v_xor_b32_e32 v11, s35, v10
	v_xor_b32_e32 v10, s34, v10
	v_and_b32_e32 v8, v8, v11
	v_and_b32_e32 v41, v41, v10
	v_lshlrev_b32_e32 v11, 29, v39
	v_mov_b32_e32 v10, v9
	v_cmp_gt_i64_e64 s[34:35], 0, v[10:11]
	v_not_b32_e32 v10, v11
	v_ashrrev_i32_e32 v10, 31, v10
	v_xor_b32_e32 v11, s35, v10
	v_xor_b32_e32 v10, s34, v10
	v_and_b32_e32 v8, v8, v11
	v_and_b32_e32 v41, v41, v10
	v_lshlrev_b32_e32 v11, 28, v39
	v_mov_b32_e32 v10, v9
	v_cmp_gt_i64_e64 s[34:35], 0, v[10:11]
	v_not_b32_e32 v10, v11
	v_ashrrev_i32_e32 v10, 31, v10
	;; [unrolled: 9-line block ×6, first 2 shown]
	v_xor_b32_e32 v11, s35, v10
	v_xor_b32_e32 v10, s34, v10
	ds_read_b32 v37, v43 offset:64
	v_and_b32_e32 v10, v41, v10
	v_and_b32_e32 v11, v8, v11
	v_mbcnt_lo_u32_b32 v8, v10, 0
	v_mbcnt_hi_u32_b32 v39, v11, v8
	v_cmp_eq_u32_e64 s[34:35], 0, v39
	v_cmp_ne_u64_e64 s[36:37], 0, v[10:11]
	s_and_b64 s[36:37], s[36:37], s[34:35]
	; wave barrier
	s_and_saveexec_b64 s[34:35], s[36:37]
	s_cbranch_execz .LBB779_43
; %bb.42:
	v_bcnt_u32_b32 v8, v10, 0
	v_bcnt_u32_b32 v8, v11, v8
	s_waitcnt lgkmcnt(0)
	v_add_u32_e32 v8, v37, v8
	ds_write_b32 v43, v8 offset:64
.LBB779_43:
	s_or_b64 exec, exec, s[34:35]
	v_lshrrev_b32_e32 v8, s64, v15
	v_and_b32_e32 v42, s68, v8
	v_mul_lo_u32 v8, v42, s38
	v_add_u32_e32 v45, v38, v8
	v_and_b32_e32 v8, 1, v42
	v_lshl_add_u64 v[10:11], v[8:9], 0, -1
	v_cmp_ne_u32_e64 s[34:35], 0, v8
	; wave barrier
	s_nop 1
	v_xor_b32_e32 v10, s34, v10
	v_xor_b32_e32 v8, s35, v11
	v_and_b32_e32 v44, exec_lo, v10
	v_lshlrev_b32_e32 v11, 30, v42
	v_mov_b32_e32 v10, v9
	v_cmp_gt_i64_e64 s[34:35], 0, v[10:11]
	v_not_b32_e32 v10, v11
	v_ashrrev_i32_e32 v10, 31, v10
	v_and_b32_e32 v8, exec_hi, v8
	v_xor_b32_e32 v11, s35, v10
	v_xor_b32_e32 v10, s34, v10
	v_and_b32_e32 v8, v8, v11
	v_and_b32_e32 v44, v44, v10
	v_lshlrev_b32_e32 v11, 29, v42
	v_mov_b32_e32 v10, v9
	v_cmp_gt_i64_e64 s[34:35], 0, v[10:11]
	v_not_b32_e32 v10, v11
	v_ashrrev_i32_e32 v10, 31, v10
	v_xor_b32_e32 v11, s35, v10
	v_xor_b32_e32 v10, s34, v10
	v_and_b32_e32 v8, v8, v11
	v_and_b32_e32 v44, v44, v10
	v_lshlrev_b32_e32 v11, 28, v42
	v_mov_b32_e32 v10, v9
	v_cmp_gt_i64_e64 s[34:35], 0, v[10:11]
	v_not_b32_e32 v10, v11
	v_ashrrev_i32_e32 v10, 31, v10
	;; [unrolled: 9-line block ×5, first 2 shown]
	v_xor_b32_e32 v11, s35, v10
	v_xor_b32_e32 v10, s34, v10
	v_and_b32_e32 v8, v8, v11
	v_lshlrev_b32_e32 v11, 24, v42
	v_and_b32_e32 v44, v44, v10
	v_mov_b32_e32 v10, v9
	v_not_b32_e32 v9, v11
	v_cmp_gt_i64_e64 s[34:35], 0, v[10:11]
	v_ashrrev_i32_e32 v9, 31, v9
	ds_read_b32 v41, v45 offset:64
	v_xor_b32_e32 v10, s35, v9
	v_xor_b32_e32 v11, s34, v9
	v_and_b32_e32 v9, v8, v10
	v_and_b32_e32 v8, v44, v11
	v_mbcnt_lo_u32_b32 v10, v8, 0
	v_mbcnt_hi_u32_b32 v42, v9, v10
	v_cmp_eq_u32_e64 s[34:35], 0, v42
	v_cmp_ne_u64_e64 s[36:37], 0, v[8:9]
	s_and_b64 s[36:37], s[36:37], s[34:35]
	; wave barrier
	s_and_saveexec_b64 s[34:35], s[36:37]
	s_cbranch_execz .LBB779_45
; %bb.44:
	v_bcnt_u32_b32 v8, v8, 0
	v_bcnt_u32_b32 v8, v9, v8
	s_waitcnt lgkmcnt(0)
	v_add_u32_e32 v8, v41, v8
	ds_write_b32 v45, v8 offset:64
.LBB779_45:
	s_or_b64 exec, exec, s[34:35]
	v_lshrrev_b32_e32 v8, s64, v18
	v_and_b32_e32 v46, s68, v8
	v_mul_lo_u32 v8, v46, s38
	v_add_u32_e32 v48, v38, v8
	v_and_b32_e32 v8, 1, v46
	v_mov_b32_e32 v9, 0
	v_lshl_add_u64 v[10:11], v[8:9], 0, -1
	v_cmp_ne_u32_e64 s[34:35], 0, v8
	; wave barrier
	s_nop 1
	v_xor_b32_e32 v10, s34, v10
	v_xor_b32_e32 v8, s35, v11
	v_and_b32_e32 v47, exec_lo, v10
	v_lshlrev_b32_e32 v11, 30, v46
	v_mov_b32_e32 v10, v9
	v_cmp_gt_i64_e64 s[34:35], 0, v[10:11]
	v_not_b32_e32 v10, v11
	v_ashrrev_i32_e32 v10, 31, v10
	v_and_b32_e32 v8, exec_hi, v8
	v_xor_b32_e32 v11, s35, v10
	v_xor_b32_e32 v10, s34, v10
	v_and_b32_e32 v8, v8, v11
	v_and_b32_e32 v47, v47, v10
	v_lshlrev_b32_e32 v11, 29, v46
	v_mov_b32_e32 v10, v9
	v_cmp_gt_i64_e64 s[34:35], 0, v[10:11]
	v_not_b32_e32 v10, v11
	v_ashrrev_i32_e32 v10, 31, v10
	v_xor_b32_e32 v11, s35, v10
	v_xor_b32_e32 v10, s34, v10
	v_and_b32_e32 v8, v8, v11
	v_and_b32_e32 v47, v47, v10
	v_lshlrev_b32_e32 v11, 28, v46
	v_mov_b32_e32 v10, v9
	v_cmp_gt_i64_e64 s[34:35], 0, v[10:11]
	v_not_b32_e32 v10, v11
	v_ashrrev_i32_e32 v10, 31, v10
	;; [unrolled: 9-line block ×6, first 2 shown]
	v_xor_b32_e32 v11, s35, v10
	v_xor_b32_e32 v10, s34, v10
	ds_read_b32 v44, v48 offset:64
	v_and_b32_e32 v10, v47, v10
	v_and_b32_e32 v11, v8, v11
	v_mbcnt_lo_u32_b32 v8, v10, 0
	v_mbcnt_hi_u32_b32 v46, v11, v8
	v_cmp_eq_u32_e64 s[34:35], 0, v46
	v_cmp_ne_u64_e64 s[36:37], 0, v[10:11]
	s_and_b64 s[36:37], s[36:37], s[34:35]
	; wave barrier
	s_and_saveexec_b64 s[34:35], s[36:37]
	s_cbranch_execz .LBB779_47
; %bb.46:
	v_bcnt_u32_b32 v8, v10, 0
	v_bcnt_u32_b32 v8, v11, v8
	s_waitcnt lgkmcnt(0)
	v_add_u32_e32 v8, v44, v8
	ds_write_b32 v48, v8 offset:64
.LBB779_47:
	s_or_b64 exec, exec, s[34:35]
	v_lshrrev_b32_e32 v8, s64, v17
	v_and_b32_e32 v49, s68, v8
	v_mul_lo_u32 v8, v49, s38
	v_add_u32_e32 v51, v38, v8
	v_and_b32_e32 v8, 1, v49
	v_lshl_add_u64 v[10:11], v[8:9], 0, -1
	v_cmp_ne_u32_e64 s[34:35], 0, v8
	; wave barrier
	s_nop 1
	v_xor_b32_e32 v10, s34, v10
	v_xor_b32_e32 v8, s35, v11
	v_and_b32_e32 v50, exec_lo, v10
	v_lshlrev_b32_e32 v11, 30, v49
	v_mov_b32_e32 v10, v9
	v_cmp_gt_i64_e64 s[34:35], 0, v[10:11]
	v_not_b32_e32 v10, v11
	v_ashrrev_i32_e32 v10, 31, v10
	v_and_b32_e32 v8, exec_hi, v8
	v_xor_b32_e32 v11, s35, v10
	v_xor_b32_e32 v10, s34, v10
	v_and_b32_e32 v8, v8, v11
	v_and_b32_e32 v50, v50, v10
	v_lshlrev_b32_e32 v11, 29, v49
	v_mov_b32_e32 v10, v9
	v_cmp_gt_i64_e64 s[34:35], 0, v[10:11]
	v_not_b32_e32 v10, v11
	v_ashrrev_i32_e32 v10, 31, v10
	v_xor_b32_e32 v11, s35, v10
	v_xor_b32_e32 v10, s34, v10
	v_and_b32_e32 v8, v8, v11
	v_and_b32_e32 v50, v50, v10
	v_lshlrev_b32_e32 v11, 28, v49
	v_mov_b32_e32 v10, v9
	v_cmp_gt_i64_e64 s[34:35], 0, v[10:11]
	v_not_b32_e32 v10, v11
	v_ashrrev_i32_e32 v10, 31, v10
	;; [unrolled: 9-line block ×5, first 2 shown]
	v_xor_b32_e32 v11, s35, v10
	v_xor_b32_e32 v10, s34, v10
	v_and_b32_e32 v8, v8, v11
	v_lshlrev_b32_e32 v11, 24, v49
	v_and_b32_e32 v50, v50, v10
	v_mov_b32_e32 v10, v9
	v_not_b32_e32 v9, v11
	v_cmp_gt_i64_e64 s[34:35], 0, v[10:11]
	v_ashrrev_i32_e32 v9, 31, v9
	ds_read_b32 v47, v51 offset:64
	v_xor_b32_e32 v10, s35, v9
	v_xor_b32_e32 v11, s34, v9
	v_and_b32_e32 v9, v8, v10
	v_and_b32_e32 v8, v50, v11
	v_mbcnt_lo_u32_b32 v10, v8, 0
	v_mbcnt_hi_u32_b32 v49, v9, v10
	v_cmp_eq_u32_e64 s[34:35], 0, v49
	v_cmp_ne_u64_e64 s[36:37], 0, v[8:9]
	s_and_b64 s[36:37], s[36:37], s[34:35]
	; wave barrier
	s_and_saveexec_b64 s[34:35], s[36:37]
	s_cbranch_execz .LBB779_49
; %bb.48:
	v_bcnt_u32_b32 v8, v8, 0
	v_bcnt_u32_b32 v8, v9, v8
	s_waitcnt lgkmcnt(0)
	v_add_u32_e32 v8, v47, v8
	ds_write_b32 v51, v8 offset:64
.LBB779_49:
	s_or_b64 exec, exec, s[34:35]
	v_lshrrev_b32_e32 v8, s64, v20
	v_and_b32_e32 v52, s68, v8
	v_mul_lo_u32 v8, v52, s38
	v_add_u32_e32 v54, v38, v8
	v_and_b32_e32 v8, 1, v52
	v_mov_b32_e32 v9, 0
	v_lshl_add_u64 v[10:11], v[8:9], 0, -1
	v_cmp_ne_u32_e64 s[34:35], 0, v8
	; wave barrier
	s_nop 1
	v_xor_b32_e32 v10, s34, v10
	v_xor_b32_e32 v8, s35, v11
	v_and_b32_e32 v53, exec_lo, v10
	v_lshlrev_b32_e32 v11, 30, v52
	v_mov_b32_e32 v10, v9
	v_cmp_gt_i64_e64 s[34:35], 0, v[10:11]
	v_not_b32_e32 v10, v11
	v_ashrrev_i32_e32 v10, 31, v10
	v_and_b32_e32 v8, exec_hi, v8
	v_xor_b32_e32 v11, s35, v10
	v_xor_b32_e32 v10, s34, v10
	v_and_b32_e32 v8, v8, v11
	v_and_b32_e32 v53, v53, v10
	v_lshlrev_b32_e32 v11, 29, v52
	v_mov_b32_e32 v10, v9
	v_cmp_gt_i64_e64 s[34:35], 0, v[10:11]
	v_not_b32_e32 v10, v11
	v_ashrrev_i32_e32 v10, 31, v10
	v_xor_b32_e32 v11, s35, v10
	v_xor_b32_e32 v10, s34, v10
	v_and_b32_e32 v8, v8, v11
	v_and_b32_e32 v53, v53, v10
	v_lshlrev_b32_e32 v11, 28, v52
	v_mov_b32_e32 v10, v9
	v_cmp_gt_i64_e64 s[34:35], 0, v[10:11]
	v_not_b32_e32 v10, v11
	v_ashrrev_i32_e32 v10, 31, v10
	;; [unrolled: 9-line block ×6, first 2 shown]
	v_xor_b32_e32 v11, s35, v10
	v_xor_b32_e32 v10, s34, v10
	ds_read_b32 v50, v54 offset:64
	v_and_b32_e32 v10, v53, v10
	v_and_b32_e32 v11, v8, v11
	v_mbcnt_lo_u32_b32 v8, v10, 0
	v_mbcnt_hi_u32_b32 v52, v11, v8
	v_cmp_eq_u32_e64 s[34:35], 0, v52
	v_cmp_ne_u64_e64 s[36:37], 0, v[10:11]
	s_and_b64 s[36:37], s[36:37], s[34:35]
	; wave barrier
	s_and_saveexec_b64 s[34:35], s[36:37]
	s_cbranch_execz .LBB779_51
; %bb.50:
	v_bcnt_u32_b32 v8, v10, 0
	v_bcnt_u32_b32 v8, v11, v8
	s_waitcnt lgkmcnt(0)
	v_add_u32_e32 v8, v50, v8
	ds_write_b32 v54, v8 offset:64
.LBB779_51:
	s_or_b64 exec, exec, s[34:35]
	v_lshrrev_b32_e32 v8, s64, v19
	v_and_b32_e32 v55, s68, v8
	v_mul_lo_u32 v8, v55, s38
	v_add_u32_e32 v57, v38, v8
	v_and_b32_e32 v8, 1, v55
	v_lshl_add_u64 v[10:11], v[8:9], 0, -1
	v_cmp_ne_u32_e64 s[34:35], 0, v8
	; wave barrier
	s_nop 1
	v_xor_b32_e32 v10, s34, v10
	v_xor_b32_e32 v8, s35, v11
	v_and_b32_e32 v56, exec_lo, v10
	v_lshlrev_b32_e32 v11, 30, v55
	v_mov_b32_e32 v10, v9
	v_cmp_gt_i64_e64 s[34:35], 0, v[10:11]
	v_not_b32_e32 v10, v11
	v_ashrrev_i32_e32 v10, 31, v10
	v_and_b32_e32 v8, exec_hi, v8
	v_xor_b32_e32 v11, s35, v10
	v_xor_b32_e32 v10, s34, v10
	v_and_b32_e32 v8, v8, v11
	v_and_b32_e32 v56, v56, v10
	v_lshlrev_b32_e32 v11, 29, v55
	v_mov_b32_e32 v10, v9
	v_cmp_gt_i64_e64 s[34:35], 0, v[10:11]
	v_not_b32_e32 v10, v11
	v_ashrrev_i32_e32 v10, 31, v10
	v_xor_b32_e32 v11, s35, v10
	v_xor_b32_e32 v10, s34, v10
	v_and_b32_e32 v8, v8, v11
	v_and_b32_e32 v56, v56, v10
	v_lshlrev_b32_e32 v11, 28, v55
	v_mov_b32_e32 v10, v9
	v_cmp_gt_i64_e64 s[34:35], 0, v[10:11]
	v_not_b32_e32 v10, v11
	v_ashrrev_i32_e32 v10, 31, v10
	;; [unrolled: 9-line block ×5, first 2 shown]
	v_xor_b32_e32 v11, s35, v10
	v_xor_b32_e32 v10, s34, v10
	v_and_b32_e32 v8, v8, v11
	v_lshlrev_b32_e32 v11, 24, v55
	v_and_b32_e32 v56, v56, v10
	v_mov_b32_e32 v10, v9
	v_not_b32_e32 v9, v11
	v_cmp_gt_i64_e64 s[34:35], 0, v[10:11]
	v_ashrrev_i32_e32 v9, 31, v9
	ds_read_b32 v53, v57 offset:64
	v_xor_b32_e32 v10, s35, v9
	v_xor_b32_e32 v11, s34, v9
	v_and_b32_e32 v9, v8, v10
	v_and_b32_e32 v8, v56, v11
	v_mbcnt_lo_u32_b32 v10, v8, 0
	v_mbcnt_hi_u32_b32 v55, v9, v10
	v_cmp_eq_u32_e64 s[34:35], 0, v55
	v_cmp_ne_u64_e64 s[36:37], 0, v[8:9]
	s_and_b64 s[36:37], s[36:37], s[34:35]
	; wave barrier
	s_and_saveexec_b64 s[34:35], s[36:37]
	s_cbranch_execz .LBB779_53
; %bb.52:
	v_bcnt_u32_b32 v8, v8, 0
	v_bcnt_u32_b32 v8, v9, v8
	s_waitcnt lgkmcnt(0)
	v_add_u32_e32 v8, v53, v8
	ds_write_b32 v57, v8 offset:64
.LBB779_53:
	s_or_b64 exec, exec, s[34:35]
	v_lshrrev_b32_e32 v8, s64, v22
	v_and_b32_e32 v58, s68, v8
	v_mul_lo_u32 v8, v58, s38
	v_add_u32_e32 v60, v38, v8
	v_and_b32_e32 v8, 1, v58
	v_mov_b32_e32 v9, 0
	v_lshl_add_u64 v[10:11], v[8:9], 0, -1
	v_cmp_ne_u32_e64 s[34:35], 0, v8
	; wave barrier
	s_nop 1
	v_xor_b32_e32 v10, s34, v10
	v_xor_b32_e32 v8, s35, v11
	v_and_b32_e32 v59, exec_lo, v10
	v_lshlrev_b32_e32 v11, 30, v58
	v_mov_b32_e32 v10, v9
	v_cmp_gt_i64_e64 s[34:35], 0, v[10:11]
	v_not_b32_e32 v10, v11
	v_ashrrev_i32_e32 v10, 31, v10
	v_and_b32_e32 v8, exec_hi, v8
	v_xor_b32_e32 v11, s35, v10
	v_xor_b32_e32 v10, s34, v10
	v_and_b32_e32 v8, v8, v11
	v_and_b32_e32 v59, v59, v10
	v_lshlrev_b32_e32 v11, 29, v58
	v_mov_b32_e32 v10, v9
	v_cmp_gt_i64_e64 s[34:35], 0, v[10:11]
	v_not_b32_e32 v10, v11
	v_ashrrev_i32_e32 v10, 31, v10
	v_xor_b32_e32 v11, s35, v10
	v_xor_b32_e32 v10, s34, v10
	v_and_b32_e32 v8, v8, v11
	v_and_b32_e32 v59, v59, v10
	v_lshlrev_b32_e32 v11, 28, v58
	v_mov_b32_e32 v10, v9
	v_cmp_gt_i64_e64 s[34:35], 0, v[10:11]
	v_not_b32_e32 v10, v11
	v_ashrrev_i32_e32 v10, 31, v10
	;; [unrolled: 9-line block ×6, first 2 shown]
	v_xor_b32_e32 v11, s35, v10
	v_xor_b32_e32 v10, s34, v10
	ds_read_b32 v56, v60 offset:64
	v_and_b32_e32 v10, v59, v10
	v_and_b32_e32 v11, v8, v11
	v_mbcnt_lo_u32_b32 v8, v10, 0
	v_mbcnt_hi_u32_b32 v58, v11, v8
	v_cmp_eq_u32_e64 s[34:35], 0, v58
	v_cmp_ne_u64_e64 s[36:37], 0, v[10:11]
	s_and_b64 s[36:37], s[36:37], s[34:35]
	; wave barrier
	s_and_saveexec_b64 s[34:35], s[36:37]
	s_cbranch_execz .LBB779_55
; %bb.54:
	v_bcnt_u32_b32 v8, v10, 0
	v_bcnt_u32_b32 v8, v11, v8
	s_waitcnt lgkmcnt(0)
	v_add_u32_e32 v8, v56, v8
	ds_write_b32 v60, v8 offset:64
.LBB779_55:
	s_or_b64 exec, exec, s[34:35]
	v_lshrrev_b32_e32 v8, s64, v21
	v_and_b32_e32 v61, s68, v8
	v_mul_lo_u32 v8, v61, s38
	v_add_u32_e32 v63, v38, v8
	v_and_b32_e32 v8, 1, v61
	v_lshl_add_u64 v[10:11], v[8:9], 0, -1
	v_cmp_ne_u32_e64 s[34:35], 0, v8
	; wave barrier
	s_nop 1
	v_xor_b32_e32 v10, s34, v10
	v_xor_b32_e32 v8, s35, v11
	v_and_b32_e32 v62, exec_lo, v10
	v_lshlrev_b32_e32 v11, 30, v61
	v_mov_b32_e32 v10, v9
	v_cmp_gt_i64_e64 s[34:35], 0, v[10:11]
	v_not_b32_e32 v10, v11
	v_ashrrev_i32_e32 v10, 31, v10
	v_and_b32_e32 v8, exec_hi, v8
	v_xor_b32_e32 v11, s35, v10
	v_xor_b32_e32 v10, s34, v10
	v_and_b32_e32 v8, v8, v11
	v_and_b32_e32 v62, v62, v10
	v_lshlrev_b32_e32 v11, 29, v61
	v_mov_b32_e32 v10, v9
	v_cmp_gt_i64_e64 s[34:35], 0, v[10:11]
	v_not_b32_e32 v10, v11
	v_ashrrev_i32_e32 v10, 31, v10
	v_xor_b32_e32 v11, s35, v10
	v_xor_b32_e32 v10, s34, v10
	v_and_b32_e32 v8, v8, v11
	v_and_b32_e32 v62, v62, v10
	v_lshlrev_b32_e32 v11, 28, v61
	v_mov_b32_e32 v10, v9
	v_cmp_gt_i64_e64 s[34:35], 0, v[10:11]
	v_not_b32_e32 v10, v11
	v_ashrrev_i32_e32 v10, 31, v10
	;; [unrolled: 9-line block ×5, first 2 shown]
	v_xor_b32_e32 v11, s35, v10
	v_xor_b32_e32 v10, s34, v10
	v_and_b32_e32 v8, v8, v11
	v_lshlrev_b32_e32 v11, 24, v61
	v_and_b32_e32 v62, v62, v10
	v_mov_b32_e32 v10, v9
	v_not_b32_e32 v9, v11
	v_cmp_gt_i64_e64 s[34:35], 0, v[10:11]
	v_ashrrev_i32_e32 v9, 31, v9
	ds_read_b32 v59, v63 offset:64
	v_xor_b32_e32 v10, s35, v9
	v_xor_b32_e32 v11, s34, v9
	v_and_b32_e32 v9, v8, v10
	v_and_b32_e32 v8, v62, v11
	v_mbcnt_lo_u32_b32 v10, v8, 0
	v_mbcnt_hi_u32_b32 v61, v9, v10
	v_cmp_eq_u32_e64 s[34:35], 0, v61
	v_cmp_ne_u64_e64 s[36:37], 0, v[8:9]
	s_and_b64 s[36:37], s[36:37], s[34:35]
	; wave barrier
	s_and_saveexec_b64 s[34:35], s[36:37]
	s_cbranch_execz .LBB779_57
; %bb.56:
	v_bcnt_u32_b32 v8, v8, 0
	v_bcnt_u32_b32 v8, v9, v8
	s_waitcnt lgkmcnt(0)
	v_add_u32_e32 v8, v59, v8
	ds_write_b32 v63, v8 offset:64
.LBB779_57:
	s_or_b64 exec, exec, s[34:35]
	v_lshrrev_b32_e32 v8, s64, v24
	v_and_b32_e32 v64, s68, v8
	v_mul_lo_u32 v8, v64, s38
	v_add_u32_e32 v66, v38, v8
	v_and_b32_e32 v8, 1, v64
	v_mov_b32_e32 v9, 0
	v_lshl_add_u64 v[10:11], v[8:9], 0, -1
	v_cmp_ne_u32_e64 s[34:35], 0, v8
	; wave barrier
	s_nop 1
	v_xor_b32_e32 v10, s34, v10
	v_xor_b32_e32 v8, s35, v11
	v_and_b32_e32 v65, exec_lo, v10
	v_lshlrev_b32_e32 v11, 30, v64
	v_mov_b32_e32 v10, v9
	v_cmp_gt_i64_e64 s[34:35], 0, v[10:11]
	v_not_b32_e32 v10, v11
	v_ashrrev_i32_e32 v10, 31, v10
	v_and_b32_e32 v8, exec_hi, v8
	v_xor_b32_e32 v11, s35, v10
	v_xor_b32_e32 v10, s34, v10
	v_and_b32_e32 v8, v8, v11
	v_and_b32_e32 v65, v65, v10
	v_lshlrev_b32_e32 v11, 29, v64
	v_mov_b32_e32 v10, v9
	v_cmp_gt_i64_e64 s[34:35], 0, v[10:11]
	v_not_b32_e32 v10, v11
	v_ashrrev_i32_e32 v10, 31, v10
	v_xor_b32_e32 v11, s35, v10
	v_xor_b32_e32 v10, s34, v10
	v_and_b32_e32 v8, v8, v11
	v_and_b32_e32 v65, v65, v10
	v_lshlrev_b32_e32 v11, 28, v64
	v_mov_b32_e32 v10, v9
	v_cmp_gt_i64_e64 s[34:35], 0, v[10:11]
	v_not_b32_e32 v10, v11
	v_ashrrev_i32_e32 v10, 31, v10
	v_xor_b32_e32 v11, s35, v10
	v_xor_b32_e32 v10, s34, v10
	v_and_b32_e32 v8, v8, v11
	v_and_b32_e32 v65, v65, v10
	v_lshlrev_b32_e32 v11, 27, v64
	v_mov_b32_e32 v10, v9
	v_cmp_gt_i64_e64 s[34:35], 0, v[10:11]
	v_not_b32_e32 v10, v11
	v_ashrrev_i32_e32 v10, 31, v10
	v_xor_b32_e32 v11, s35, v10
	v_xor_b32_e32 v10, s34, v10
	v_and_b32_e32 v8, v8, v11
	v_and_b32_e32 v65, v65, v10
	v_lshlrev_b32_e32 v11, 26, v64
	v_mov_b32_e32 v10, v9
	v_cmp_gt_i64_e64 s[34:35], 0, v[10:11]
	v_not_b32_e32 v10, v11
	v_ashrrev_i32_e32 v10, 31, v10
	v_xor_b32_e32 v11, s35, v10
	v_xor_b32_e32 v10, s34, v10
	v_and_b32_e32 v8, v8, v11
	v_and_b32_e32 v65, v65, v10
	v_lshlrev_b32_e32 v11, 25, v64
	v_mov_b32_e32 v10, v9
	v_cmp_gt_i64_e64 s[34:35], 0, v[10:11]
	v_not_b32_e32 v10, v11
	v_ashrrev_i32_e32 v10, 31, v10
	v_xor_b32_e32 v11, s35, v10
	v_xor_b32_e32 v10, s34, v10
	v_and_b32_e32 v8, v8, v11
	v_and_b32_e32 v65, v65, v10
	v_lshlrev_b32_e32 v11, 24, v64
	v_mov_b32_e32 v10, v9
	v_cmp_gt_i64_e64 s[34:35], 0, v[10:11]
	v_not_b32_e32 v10, v11
	v_ashrrev_i32_e32 v10, 31, v10
	v_xor_b32_e32 v11, s35, v10
	v_xor_b32_e32 v10, s34, v10
	ds_read_b32 v62, v66 offset:64
	v_and_b32_e32 v10, v65, v10
	v_and_b32_e32 v11, v8, v11
	v_mbcnt_lo_u32_b32 v8, v10, 0
	v_mbcnt_hi_u32_b32 v64, v11, v8
	v_cmp_eq_u32_e64 s[34:35], 0, v64
	v_cmp_ne_u64_e64 s[36:37], 0, v[10:11]
	s_and_b64 s[36:37], s[36:37], s[34:35]
	; wave barrier
	s_and_saveexec_b64 s[34:35], s[36:37]
	s_cbranch_execz .LBB779_59
; %bb.58:
	v_bcnt_u32_b32 v8, v10, 0
	v_bcnt_u32_b32 v8, v11, v8
	s_waitcnt lgkmcnt(0)
	v_add_u32_e32 v8, v62, v8
	ds_write_b32 v66, v8 offset:64
.LBB779_59:
	s_or_b64 exec, exec, s[34:35]
	v_lshrrev_b32_e32 v8, s64, v23
	v_and_b32_e32 v67, s68, v8
	v_mul_lo_u32 v8, v67, s38
	v_add_u32_e32 v69, v38, v8
	v_and_b32_e32 v8, 1, v67
	v_lshl_add_u64 v[10:11], v[8:9], 0, -1
	v_cmp_ne_u32_e64 s[34:35], 0, v8
	; wave barrier
	s_nop 1
	v_xor_b32_e32 v10, s34, v10
	v_xor_b32_e32 v8, s35, v11
	v_and_b32_e32 v68, exec_lo, v10
	v_lshlrev_b32_e32 v11, 30, v67
	v_mov_b32_e32 v10, v9
	v_cmp_gt_i64_e64 s[34:35], 0, v[10:11]
	v_not_b32_e32 v10, v11
	v_ashrrev_i32_e32 v10, 31, v10
	v_and_b32_e32 v8, exec_hi, v8
	v_xor_b32_e32 v11, s35, v10
	v_xor_b32_e32 v10, s34, v10
	v_and_b32_e32 v8, v8, v11
	v_and_b32_e32 v68, v68, v10
	v_lshlrev_b32_e32 v11, 29, v67
	v_mov_b32_e32 v10, v9
	v_cmp_gt_i64_e64 s[34:35], 0, v[10:11]
	v_not_b32_e32 v10, v11
	v_ashrrev_i32_e32 v10, 31, v10
	v_xor_b32_e32 v11, s35, v10
	v_xor_b32_e32 v10, s34, v10
	v_and_b32_e32 v8, v8, v11
	v_and_b32_e32 v68, v68, v10
	v_lshlrev_b32_e32 v11, 28, v67
	v_mov_b32_e32 v10, v9
	v_cmp_gt_i64_e64 s[34:35], 0, v[10:11]
	v_not_b32_e32 v10, v11
	v_ashrrev_i32_e32 v10, 31, v10
	;; [unrolled: 9-line block ×5, first 2 shown]
	v_xor_b32_e32 v11, s35, v10
	v_xor_b32_e32 v10, s34, v10
	v_and_b32_e32 v8, v8, v11
	v_lshlrev_b32_e32 v11, 24, v67
	v_and_b32_e32 v68, v68, v10
	v_mov_b32_e32 v10, v9
	v_not_b32_e32 v9, v11
	v_cmp_gt_i64_e64 s[34:35], 0, v[10:11]
	v_ashrrev_i32_e32 v9, 31, v9
	ds_read_b32 v65, v69 offset:64
	v_xor_b32_e32 v10, s35, v9
	v_xor_b32_e32 v11, s34, v9
	v_and_b32_e32 v9, v8, v10
	v_and_b32_e32 v8, v68, v11
	v_mbcnt_lo_u32_b32 v10, v8, 0
	v_mbcnt_hi_u32_b32 v67, v9, v10
	v_cmp_eq_u32_e64 s[34:35], 0, v67
	v_cmp_ne_u64_e64 s[36:37], 0, v[8:9]
	s_and_b64 s[36:37], s[36:37], s[34:35]
	; wave barrier
	s_and_saveexec_b64 s[34:35], s[36:37]
	s_cbranch_execz .LBB779_61
; %bb.60:
	v_bcnt_u32_b32 v8, v8, 0
	v_bcnt_u32_b32 v8, v9, v8
	s_waitcnt lgkmcnt(0)
	v_add_u32_e32 v8, v65, v8
	ds_write_b32 v69, v8 offset:64
.LBB779_61:
	s_or_b64 exec, exec, s[34:35]
	v_lshrrev_b32_e32 v8, s64, v26
	v_and_b32_e32 v70, s68, v8
	v_mul_lo_u32 v8, v70, s38
	v_add_u32_e32 v72, v38, v8
	v_and_b32_e32 v8, 1, v70
	v_mov_b32_e32 v9, 0
	v_lshl_add_u64 v[10:11], v[8:9], 0, -1
	v_cmp_ne_u32_e64 s[34:35], 0, v8
	; wave barrier
	s_nop 1
	v_xor_b32_e32 v10, s34, v10
	v_xor_b32_e32 v8, s35, v11
	v_and_b32_e32 v71, exec_lo, v10
	v_lshlrev_b32_e32 v11, 30, v70
	v_mov_b32_e32 v10, v9
	v_cmp_gt_i64_e64 s[34:35], 0, v[10:11]
	v_not_b32_e32 v10, v11
	v_ashrrev_i32_e32 v10, 31, v10
	v_and_b32_e32 v8, exec_hi, v8
	v_xor_b32_e32 v11, s35, v10
	v_xor_b32_e32 v10, s34, v10
	v_and_b32_e32 v8, v8, v11
	v_and_b32_e32 v71, v71, v10
	v_lshlrev_b32_e32 v11, 29, v70
	v_mov_b32_e32 v10, v9
	v_cmp_gt_i64_e64 s[34:35], 0, v[10:11]
	v_not_b32_e32 v10, v11
	v_ashrrev_i32_e32 v10, 31, v10
	v_xor_b32_e32 v11, s35, v10
	v_xor_b32_e32 v10, s34, v10
	v_and_b32_e32 v8, v8, v11
	v_and_b32_e32 v71, v71, v10
	v_lshlrev_b32_e32 v11, 28, v70
	v_mov_b32_e32 v10, v9
	v_cmp_gt_i64_e64 s[34:35], 0, v[10:11]
	v_not_b32_e32 v10, v11
	v_ashrrev_i32_e32 v10, 31, v10
	;; [unrolled: 9-line block ×6, first 2 shown]
	v_xor_b32_e32 v11, s35, v10
	v_xor_b32_e32 v10, s34, v10
	ds_read_b32 v68, v72 offset:64
	v_and_b32_e32 v10, v71, v10
	v_and_b32_e32 v11, v8, v11
	v_mbcnt_lo_u32_b32 v8, v10, 0
	v_mbcnt_hi_u32_b32 v70, v11, v8
	v_cmp_eq_u32_e64 s[34:35], 0, v70
	v_cmp_ne_u64_e64 s[36:37], 0, v[10:11]
	s_and_b64 s[36:37], s[36:37], s[34:35]
	; wave barrier
	s_and_saveexec_b64 s[34:35], s[36:37]
	s_cbranch_execz .LBB779_63
; %bb.62:
	v_bcnt_u32_b32 v8, v10, 0
	v_bcnt_u32_b32 v8, v11, v8
	s_waitcnt lgkmcnt(0)
	v_add_u32_e32 v8, v68, v8
	ds_write_b32 v72, v8 offset:64
.LBB779_63:
	s_or_b64 exec, exec, s[34:35]
	v_lshrrev_b32_e32 v8, s64, v25
	v_and_b32_e32 v73, s68, v8
	v_mul_lo_u32 v8, v73, s38
	v_add_u32_e32 v74, v38, v8
	v_and_b32_e32 v8, 1, v73
	v_lshl_add_u64 v[10:11], v[8:9], 0, -1
	v_cmp_ne_u32_e64 s[34:35], 0, v8
	; wave barrier
	s_nop 1
	v_xor_b32_e32 v10, s34, v10
	v_xor_b32_e32 v8, s35, v11
	v_and_b32_e32 v38, exec_lo, v10
	v_lshlrev_b32_e32 v11, 30, v73
	v_mov_b32_e32 v10, v9
	v_cmp_gt_i64_e64 s[34:35], 0, v[10:11]
	v_not_b32_e32 v10, v11
	v_ashrrev_i32_e32 v10, 31, v10
	v_and_b32_e32 v8, exec_hi, v8
	v_xor_b32_e32 v11, s35, v10
	v_xor_b32_e32 v10, s34, v10
	v_and_b32_e32 v8, v8, v11
	v_and_b32_e32 v38, v38, v10
	v_lshlrev_b32_e32 v11, 29, v73
	v_mov_b32_e32 v10, v9
	v_cmp_gt_i64_e64 s[34:35], 0, v[10:11]
	v_not_b32_e32 v10, v11
	v_ashrrev_i32_e32 v10, 31, v10
	v_xor_b32_e32 v11, s35, v10
	v_xor_b32_e32 v10, s34, v10
	v_and_b32_e32 v8, v8, v11
	v_and_b32_e32 v38, v38, v10
	v_lshlrev_b32_e32 v11, 28, v73
	v_mov_b32_e32 v10, v9
	v_cmp_gt_i64_e64 s[34:35], 0, v[10:11]
	v_not_b32_e32 v10, v11
	v_ashrrev_i32_e32 v10, 31, v10
	;; [unrolled: 9-line block ×5, first 2 shown]
	v_xor_b32_e32 v11, s35, v10
	v_xor_b32_e32 v10, s34, v10
	v_and_b32_e32 v8, v8, v11
	v_lshlrev_b32_e32 v11, 24, v73
	v_and_b32_e32 v38, v38, v10
	v_mov_b32_e32 v10, v9
	v_not_b32_e32 v9, v11
	v_cmp_gt_i64_e64 s[34:35], 0, v[10:11]
	v_ashrrev_i32_e32 v9, 31, v9
	ds_read_b32 v71, v74 offset:64
	v_xor_b32_e32 v10, s35, v9
	v_xor_b32_e32 v11, s34, v9
	v_and_b32_e32 v9, v8, v10
	v_and_b32_e32 v8, v38, v11
	v_mbcnt_lo_u32_b32 v10, v8, 0
	v_mbcnt_hi_u32_b32 v73, v9, v10
	v_cmp_eq_u32_e64 s[34:35], 0, v73
	v_cmp_ne_u64_e64 s[36:37], 0, v[8:9]
	s_and_b64 s[36:37], s[36:37], s[34:35]
	; wave barrier
	s_and_saveexec_b64 s[34:35], s[36:37]
	s_cbranch_execz .LBB779_65
; %bb.64:
	v_bcnt_u32_b32 v8, v8, 0
	v_bcnt_u32_b32 v8, v9, v8
	s_waitcnt lgkmcnt(0)
	v_add_u32_e32 v8, v71, v8
	ds_write_b32 v74, v8 offset:64
.LBB779_65:
	s_or_b64 exec, exec, s[34:35]
	; wave barrier
	s_waitcnt lgkmcnt(0)
	s_barrier
	ds_read2_b32 v[10:11], v13 offset0:16 offset1:17
	ds_read2_b32 v[8:9], v13 offset0:18 offset1:19
	ds_read_b32 v38, v13 offset:80
	v_cmp_lt_u32_e64 s[44:45], 31, v12
	s_waitcnt lgkmcnt(1)
	v_add3_u32 v75, v11, v10, v8
	s_waitcnt lgkmcnt(0)
	v_add3_u32 v38, v75, v9, v38
	v_and_b32_e32 v75, 15, v12
	v_cmp_eq_u32_e64 s[34:35], 0, v75
	v_mov_b32_dpp v76, v38 row_shr:1 row_mask:0xf bank_mask:0xf
	v_cmp_lt_u32_e64 s[36:37], 1, v75
	v_cndmask_b32_e64 v76, v76, 0, s[34:35]
	v_add_u32_e32 v38, v76, v38
	v_cmp_lt_u32_e64 s[38:39], 3, v75
	v_cmp_lt_u32_e64 s[40:41], 7, v75
	v_mov_b32_dpp v76, v38 row_shr:2 row_mask:0xf bank_mask:0xf
	v_cndmask_b32_e64 v76, 0, v76, s[36:37]
	v_add_u32_e32 v38, v38, v76
	s_nop 1
	v_mov_b32_dpp v76, v38 row_shr:4 row_mask:0xf bank_mask:0xf
	v_cndmask_b32_e64 v76, 0, v76, s[38:39]
	v_add_u32_e32 v38, v38, v76
	s_nop 1
	v_mov_b32_dpp v76, v38 row_shr:8 row_mask:0xf bank_mask:0xf
	v_cndmask_b32_e64 v75, 0, v76, s[40:41]
	v_add_u32_e32 v38, v38, v75
	v_bfe_i32 v76, v12, 4, 1
	s_nop 0
	v_mov_b32_dpp v75, v38 row_bcast:15 row_mask:0xf bank_mask:0xf
	v_and_b32_e32 v75, v76, v75
	v_add_u32_e32 v38, v38, v75
	v_lshrrev_b32_e32 v76, 6, v2
	s_nop 0
	v_mov_b32_dpp v75, v38 row_bcast:31 row_mask:0xf bank_mask:0xf
	v_cndmask_b32_e64 v75, 0, v75, s[44:45]
	v_add_u32_e32 v75, v38, v75
	v_and_b32_e32 v38, 63, v2
	v_cmp_eq_u32_e64 s[44:45], 63, v38
	s_and_saveexec_b64 s[46:47], s[44:45]
; %bb.66:
	v_lshlrev_b32_e32 v38, 2, v76
	ds_write_b32 v38, v75
; %bb.67:
	s_or_b64 exec, exec, s[46:47]
	v_cmp_gt_u32_e64 s[44:45], 16, v2
	v_lshlrev_b32_e32 v38, 2, v2
	s_waitcnt lgkmcnt(0)
	s_barrier
	s_and_saveexec_b64 s[46:47], s[44:45]
	s_cbranch_execz .LBB779_69
; %bb.68:
	ds_read_b32 v77, v38
	s_waitcnt lgkmcnt(0)
	s_nop 0
	v_mov_b32_dpp v78, v77 row_shr:1 row_mask:0xf bank_mask:0xf
	v_cndmask_b32_e64 v78, v78, 0, s[34:35]
	v_add_u32_e32 v77, v78, v77
	s_nop 1
	v_mov_b32_dpp v78, v77 row_shr:2 row_mask:0xf bank_mask:0xf
	v_cndmask_b32_e64 v78, 0, v78, s[36:37]
	v_add_u32_e32 v77, v77, v78
	;; [unrolled: 4-line block ×4, first 2 shown]
	ds_write_b32 v38, v77
.LBB779_69:
	s_or_b64 exec, exec, s[46:47]
	v_cmp_lt_u32_e64 s[34:35], 63, v2
	v_mov_b32_e32 v77, 0
	s_waitcnt lgkmcnt(0)
	s_barrier
	s_and_saveexec_b64 s[36:37], s[34:35]
; %bb.70:
	v_lshl_add_u32 v76, v76, 2, -4
	ds_read_b32 v77, v76
; %bb.71:
	s_or_b64 exec, exec, s[36:37]
	v_subrev_co_u32_e64 v76, s[34:35], 1, v12
	v_and_b32_e32 v78, 64, v12
	v_cmp_lt_i32_e64 s[36:37], v76, v78
	s_waitcnt lgkmcnt(0)
	v_add_u32_e32 v75, v77, v75
	s_movk_i32 s38, 0x100
	v_cndmask_b32_e64 v12, v76, v12, s[36:37]
	v_lshlrev_b32_e32 v12, 2, v12
	ds_bpermute_b32 v12, v12, v75
	v_cmp_gt_u32_e64 s[36:37], s38, v2
	s_waitcnt lgkmcnt(0)
	v_cndmask_b32_e64 v12, v12, v77, s[34:35]
	v_cmp_ne_u32_e64 s[34:35], 0, v2
	s_nop 1
	v_cndmask_b32_e64 v12, 0, v12, s[34:35]
	v_add_u32_e32 v10, v12, v10
	v_add_u32_e32 v11, v10, v11
	;; [unrolled: 1-line block ×4, first 2 shown]
	ds_write2_b32 v13, v12, v10 offset0:16 offset1:17
	ds_write2_b32 v13, v11, v8 offset0:18 offset1:19
	ds_write_b32 v13, v9 offset:80
	s_waitcnt lgkmcnt(0)
	s_barrier
	ds_read_b32 v75, v33 offset:64
	ds_read_b32 v76, v36 offset:64
	;; [unrolled: 1-line block ×16, first 2 shown]
	s_movk_i32 s34, 0xff
	v_cmp_lt_u32_e64 s[34:35], s34, v2
                                        ; implicit-def: $vgpr31
                                        ; implicit-def: $vgpr33
	s_and_saveexec_b64 s[40:41], s[36:37]
	s_cbranch_execz .LBB779_75
; %bb.72:
	v_mul_u32_u24_e32 v8, 0x44, v2
	ds_read_b32 v31, v8 offset:64
	v_add_u32_e32 v9, 1, v2
	v_cmp_ne_u32_e64 s[38:39], s38, v9
	v_mov_b32_e32 v8, 0x4000
	s_and_saveexec_b64 s[44:45], s[38:39]
; %bb.73:
	v_mul_u32_u24_e32 v8, 0x44, v9
	ds_read_b32 v8, v8 offset:64
; %bb.74:
	s_or_b64 exec, exec, s[44:45]
	s_waitcnt lgkmcnt(0)
	v_sub_u32_e32 v33, v8, v31
.LBB779_75:
	s_or_b64 exec, exec, s[40:41]
	v_mov_b32_e32 v9, 0
	s_waitcnt lgkmcnt(0)
	s_barrier
	s_and_saveexec_b64 s[38:39], s[36:37]
	s_cbranch_execz .LBB779_85
; %bb.76:
	v_lshl_add_u32 v8, s2, 8, v2
	v_lshl_add_u64 v[10:11], v[8:9], 2, s[50:51]
	v_or_b32_e32 v8, 2.0, v33
	s_mov_b64 s[40:41], 0
	s_brev_b32 s48, -4
	s_mov_b32 s49, s2
	v_mov_b32_e32 v54, 0
	global_store_dword v[10:11], v8, off sc1
                                        ; implicit-def: $sgpr36_sgpr37
	s_branch .LBB779_79
.LBB779_77:                             ;   in Loop: Header=BB779_79 Depth=1
	s_or_b64 exec, exec, s[46:47]
.LBB779_78:                             ;   in Loop: Header=BB779_79 Depth=1
	s_or_b64 exec, exec, s[44:45]
	v_and_b32_e32 v12, 0x3fffffff, v8
	v_add_u32_e32 v54, v12, v54
	v_cmp_gt_i32_e64 s[36:37], -2.0, v8
	s_and_b64 s[44:45], exec, s[36:37]
	s_or_b64 s[40:41], s[44:45], s[40:41]
	s_andn2_b64 exec, exec, s[40:41]
	s_cbranch_execz .LBB779_84
.LBB779_79:                             ; =>This Loop Header: Depth=1
                                        ;     Child Loop BB779_82 Depth 2
	s_or_b64 s[36:37], s[36:37], exec
	s_cmp_eq_u32 s49, 0
	s_cbranch_scc1 .LBB779_83
; %bb.80:                               ;   in Loop: Header=BB779_79 Depth=1
	s_add_i32 s49, s49, -1
	v_lshl_or_b32 v8, s49, 8, v2
	v_lshl_add_u64 v[12:13], v[8:9], 2, s[50:51]
	global_load_dword v8, v[12:13], off sc1
	s_waitcnt vmcnt(0)
	v_cmp_gt_u32_e64 s[36:37], 2.0, v8
	s_and_saveexec_b64 s[44:45], s[36:37]
	s_cbranch_execz .LBB779_78
; %bb.81:                               ;   in Loop: Header=BB779_79 Depth=1
	s_mov_b64 s[46:47], 0
.LBB779_82:                             ;   Parent Loop BB779_79 Depth=1
                                        ; =>  This Inner Loop Header: Depth=2
	global_load_dword v8, v[12:13], off sc1
	s_waitcnt vmcnt(0)
	v_cmp_lt_u32_e64 s[36:37], s48, v8
	s_or_b64 s[46:47], s[36:37], s[46:47]
	s_andn2_b64 exec, exec, s[46:47]
	s_cbranch_execnz .LBB779_82
	s_branch .LBB779_77
.LBB779_83:                             ;   in Loop: Header=BB779_79 Depth=1
                                        ; implicit-def: $sgpr49
	s_and_b64 s[44:45], exec, s[36:37]
	s_or_b64 s[40:41], s[44:45], s[40:41]
	s_andn2_b64 exec, exec, s[40:41]
	s_cbranch_execnz .LBB779_79
.LBB779_84:
	s_or_b64 exec, exec, s[40:41]
	v_add_u32_e32 v8, v54, v33
	v_or_b32_e32 v8, 0x80000000, v8
	global_store_dword v[10:11], v8, off sc1
	global_load_dword v8, v38, s[60:61]
	v_sub_u32_e32 v9, v54, v31
	s_waitcnt vmcnt(0)
	v_add_u32_e32 v8, v9, v8
	ds_write_b32 v38, v8
.LBB779_85:
	s_or_b64 exec, exec, s[38:39]
	v_add_u32_e32 v10, v48, v28
	v_add3_u32 v8, v29, v27, v75
	v_add3_u32 v9, v32, v30, v76
	;; [unrolled: 1-line block ×15, first 2 shown]
	v_mov_b32_e32 v87, 0x400
	s_movk_i32 s40, 0x400
	v_lshl_add_u32 v11, v11, 2, v87
	v_add3_u32 v12, v73, v43, v71
	v_lshl_add_u32 v13, v13, 2, v87
	v_add3_u32 v28, v70, v36, v68
	;; [unrolled: 2-line block ×15, first 2 shown]
	v_lshl_add_u32 v29, v10, 2, v87
	s_mov_b32 s41, 0
	s_mov_b32 s44, 0
	s_movk_i32 s45, 0x1000
	v_mov_b32_e32 v9, 0
	s_movk_i32 s46, 0x800
	s_movk_i32 s47, 0xc00
	v_mov_b32_e32 v58, v2
	s_mov_b32 s48, 0
	s_branch .LBB779_87
.LBB779_86:                             ;   in Loop: Header=BB779_87 Depth=1
	s_or_b64 exec, exec, s[38:39]
	s_addk_i32 s48, 0xc000
	s_add_i32 s41, s41, 16
	s_addk_i32 s44, 0xf000
	s_cmp_eq_u32 s48, 0xffff0000
	v_add_u32_e32 v58, 0x1000, v58
	s_barrier
	s_cbranch_scc1 .LBB779_127
.LBB779_87:                             ; =>This Inner Loop Header: Depth=1
	v_add_u32_e32 v8, s44, v10
	v_cmp_gt_u32_e64 s[36:37], s45, v8
	s_and_saveexec_b64 s[38:39], s[36:37]
; %bb.88:                               ;   in Loop: Header=BB779_87 Depth=1
	v_add_u32_e32 v8, s48, v29
	ds_write_b32 v8, v5
; %bb.89:                               ;   in Loop: Header=BB779_87 Depth=1
	s_or_b64 exec, exec, s[38:39]
	v_add_u32_e32 v8, s44, v27
	v_cmp_gt_u32_e64 s[36:37], s45, v8
	s_and_saveexec_b64 s[38:39], s[36:37]
; %bb.90:                               ;   in Loop: Header=BB779_87 Depth=1
	v_add_u32_e32 v8, s48, v32
	ds_write_b32 v8, v3
; %bb.91:                               ;   in Loop: Header=BB779_87 Depth=1
	s_or_b64 exec, exec, s[38:39]
	;; [unrolled: 8-line block ×6, first 2 shown]
	v_add_u32_e32 v8, s44, v44
	v_cmp_gt_u32_e64 s[36:37], s45, v8
	s_and_saveexec_b64 s[38:39], s[36:37]
; %bb.100:                              ;   in Loop: Header=BB779_87 Depth=1
	v_add_u32_e32 v8, s48, v49
	ds_write_b32 v8, v18
; %bb.101:                              ;   in Loop: Header=BB779_87 Depth=1
	s_or_b64 exec, exec, s[38:39]
	v_add_u32_e32 v8, s44, v47
	v_cmp_gt_u32_e64 s[36:37], s45, v8
	s_and_saveexec_b64 s[38:39], s[36:37]
; %bb.102:                              ;   in Loop: Header=BB779_87 Depth=1
	v_add_u32_e32 v8, s48, v52
	ds_write_b32 v8, v17
; %bb.103:                              ;   in Loop: Header=BB779_87 Depth=1
	s_or_b64 exec, exec, s[38:39]
	;; [unrolled: 8-line block ×10, first 2 shown]
	v_cmp_gt_u32_e64 s[36:37], s3, v58
	s_waitcnt lgkmcnt(0)
	s_barrier
	s_and_saveexec_b64 s[38:39], s[36:37]
	s_cbranch_execz .LBB779_121
; %bb.120:                              ;   in Loop: Header=BB779_87 Depth=1
	ds_read_b32 v59, v38 offset:1024
	s_waitcnt lgkmcnt(0)
	v_lshrrev_b32_e32 v8, s64, v59
	v_and_b32_e32 v62, s68, v8
	v_lshlrev_b32_e32 v8, 2, v62
	ds_read_b32 v8, v8
	s_waitcnt lgkmcnt(0)
	v_add_u32_e32 v8, v58, v8
	v_lshl_add_u64 v[60:61], v[8:9], 2, s[54:55]
	global_store_dword v[60:61], v59, off
	scratch_store_dword off, v62, s41
.LBB779_121:                            ;   in Loop: Header=BB779_87 Depth=1
	s_or_b64 exec, exec, s[38:39]
	v_add_u32_e32 v8, 0x400, v58
	v_cmp_gt_u32_e64 s[36:37], s3, v8
	s_and_saveexec_b64 s[38:39], s[36:37]
	s_cbranch_execz .LBB779_123
; %bb.122:                              ;   in Loop: Header=BB779_87 Depth=1
	ds_read_b32 v59, v38 offset:5120
	s_add_i32 s36, s41, 4
	s_waitcnt lgkmcnt(0)
	v_lshrrev_b32_e32 v8, s64, v59
	v_and_b32_e32 v62, s68, v8
	v_lshlrev_b32_e32 v8, 2, v62
	ds_read_b32 v8, v8
	s_waitcnt lgkmcnt(0)
	v_add3_u32 v8, v58, v8, s40
	v_lshl_add_u64 v[60:61], v[8:9], 2, s[54:55]
	global_store_dword v[60:61], v59, off
	scratch_store_dword off, v62, s36
.LBB779_123:                            ;   in Loop: Header=BB779_87 Depth=1
	s_or_b64 exec, exec, s[38:39]
	v_add_u32_e32 v8, 0x800, v58
	v_cmp_gt_u32_e64 s[36:37], s3, v8
	s_and_saveexec_b64 s[38:39], s[36:37]
	s_cbranch_execz .LBB779_125
; %bb.124:                              ;   in Loop: Header=BB779_87 Depth=1
	ds_read_b32 v59, v38 offset:9216
	s_add_i32 s36, s41, 8
	s_waitcnt lgkmcnt(0)
	v_lshrrev_b32_e32 v8, s64, v59
	v_and_b32_e32 v62, s68, v8
	v_lshlrev_b32_e32 v8, 2, v62
	ds_read_b32 v8, v8
	s_waitcnt lgkmcnt(0)
	v_add3_u32 v8, v58, v8, s46
	v_lshl_add_u64 v[60:61], v[8:9], 2, s[54:55]
	global_store_dword v[60:61], v59, off
	scratch_store_dword off, v62, s36
.LBB779_125:                            ;   in Loop: Header=BB779_87 Depth=1
	s_or_b64 exec, exec, s[38:39]
	v_add_u32_e32 v8, 0xc00, v58
	v_cmp_gt_u32_e64 s[36:37], s3, v8
	s_and_saveexec_b64 s[38:39], s[36:37]
	s_cbranch_execz .LBB779_86
; %bb.126:                              ;   in Loop: Header=BB779_87 Depth=1
	ds_read_b32 v59, v38 offset:13312
	s_add_i32 s36, s41, 12
	s_waitcnt lgkmcnt(0)
	v_lshrrev_b32_e32 v8, s64, v59
	v_and_b32_e32 v62, s68, v8
	v_lshlrev_b32_e32 v8, 2, v62
	ds_read_b32 v8, v8
	s_waitcnt lgkmcnt(0)
	v_add3_u32 v8, v58, v8, s47
	v_lshl_add_u64 v[60:61], v[8:9], 2, s[54:55]
	global_store_dword v[60:61], v59, off
	scratch_store_dword off, v62, s36
	s_branch .LBB779_86
.LBB779_127:
	s_add_u32 s36, s56, s66
	s_addc_u32 s37, s57, s67
	v_mov_b32_e32 v5, 0
	v_lshl_add_u64 v[8:9], s[36:37], 0, v[4:5]
	v_mov_b32_e32 v7, v5
	v_lshl_add_u64 v[4:5], v[8:9], 0, v[6:7]
                                        ; implicit-def: $vgpr3
	s_and_saveexec_b64 s[36:37], vcc
	s_cbranch_execz .LBB779_143
; %bb.128:
	global_load_dword v3, v[4:5], off
	s_or_b64 exec, exec, s[36:37]
                                        ; implicit-def: $vgpr6
	s_and_saveexec_b64 s[36:37], s[42:43]
	s_cbranch_execnz .LBB779_144
.LBB779_129:
	s_or_b64 exec, exec, s[36:37]
                                        ; implicit-def: $vgpr7
	s_and_saveexec_b64 s[36:37], s[4:5]
	s_cbranch_execz .LBB779_145
.LBB779_130:
	global_load_dword v7, v[4:5], off offset:512
	s_or_b64 exec, exec, s[36:37]
                                        ; implicit-def: $vgpr8
	s_and_saveexec_b64 s[4:5], s[6:7]
	s_cbranch_execnz .LBB779_146
.LBB779_131:
	s_or_b64 exec, exec, s[4:5]
                                        ; implicit-def: $vgpr9
	s_and_saveexec_b64 s[4:5], s[8:9]
	s_cbranch_execz .LBB779_147
.LBB779_132:
	global_load_dword v9, v[4:5], off offset:1024
	s_or_b64 exec, exec, s[4:5]
                                        ; implicit-def: $vgpr14
	s_and_saveexec_b64 s[4:5], s[10:11]
	s_cbranch_execnz .LBB779_148
.LBB779_133:
	s_or_b64 exec, exec, s[4:5]
                                        ; implicit-def: $vgpr15
	s_and_saveexec_b64 s[4:5], s[12:13]
	s_cbranch_execz .LBB779_149
.LBB779_134:
	global_load_dword v15, v[4:5], off offset:1536
	s_or_b64 exec, exec, s[4:5]
                                        ; implicit-def: $vgpr16
	s_and_saveexec_b64 s[4:5], s[14:15]
	s_cbranch_execnz .LBB779_150
.LBB779_135:
	s_or_b64 exec, exec, s[4:5]
                                        ; implicit-def: $vgpr17
	s_and_saveexec_b64 s[4:5], s[16:17]
	s_cbranch_execz .LBB779_151
.LBB779_136:
	global_load_dword v17, v[4:5], off offset:2048
	s_or_b64 exec, exec, s[4:5]
                                        ; implicit-def: $vgpr18
	s_and_saveexec_b64 s[4:5], s[18:19]
	s_cbranch_execnz .LBB779_152
.LBB779_137:
	s_or_b64 exec, exec, s[4:5]
                                        ; implicit-def: $vgpr19
	s_and_saveexec_b64 s[4:5], s[20:21]
	s_cbranch_execz .LBB779_153
.LBB779_138:
	global_load_dword v19, v[4:5], off offset:2560
	s_or_b64 exec, exec, s[4:5]
                                        ; implicit-def: $vgpr20
	s_and_saveexec_b64 s[4:5], s[22:23]
	s_cbranch_execnz .LBB779_154
.LBB779_139:
	s_or_b64 exec, exec, s[4:5]
                                        ; implicit-def: $vgpr21
	s_and_saveexec_b64 s[4:5], s[24:25]
	s_cbranch_execz .LBB779_155
.LBB779_140:
	global_load_dword v21, v[4:5], off offset:3072
	s_or_b64 exec, exec, s[4:5]
                                        ; implicit-def: $vgpr22
	s_and_saveexec_b64 s[4:5], s[26:27]
	s_cbranch_execnz .LBB779_156
.LBB779_141:
	s_or_b64 exec, exec, s[4:5]
                                        ; implicit-def: $vgpr23
	s_and_saveexec_b64 s[4:5], s[28:29]
	s_cbranch_execz .LBB779_157
.LBB779_142:
	global_load_dword v23, v[4:5], off offset:3584
	s_or_b64 exec, exec, s[4:5]
                                        ; implicit-def: $vgpr24
	s_and_saveexec_b64 s[4:5], s[30:31]
	s_cbranch_execnz .LBB779_158
	s_branch .LBB779_159
.LBB779_143:
	s_or_b64 exec, exec, s[36:37]
                                        ; implicit-def: $vgpr6
	s_and_saveexec_b64 s[36:37], s[42:43]
	s_cbranch_execz .LBB779_129
.LBB779_144:
	global_load_dword v6, v[4:5], off offset:256
	s_or_b64 exec, exec, s[36:37]
                                        ; implicit-def: $vgpr7
	s_and_saveexec_b64 s[36:37], s[4:5]
	s_cbranch_execnz .LBB779_130
.LBB779_145:
	s_or_b64 exec, exec, s[36:37]
                                        ; implicit-def: $vgpr8
	s_and_saveexec_b64 s[4:5], s[6:7]
	s_cbranch_execz .LBB779_131
.LBB779_146:
	global_load_dword v8, v[4:5], off offset:768
	s_or_b64 exec, exec, s[4:5]
                                        ; implicit-def: $vgpr9
	s_and_saveexec_b64 s[4:5], s[8:9]
	s_cbranch_execnz .LBB779_132
.LBB779_147:
	s_or_b64 exec, exec, s[4:5]
                                        ; implicit-def: $vgpr14
	s_and_saveexec_b64 s[4:5], s[10:11]
	s_cbranch_execz .LBB779_133
.LBB779_148:
	global_load_dword v14, v[4:5], off offset:1280
	s_or_b64 exec, exec, s[4:5]
                                        ; implicit-def: $vgpr15
	s_and_saveexec_b64 s[4:5], s[12:13]
	s_cbranch_execnz .LBB779_134
.LBB779_149:
	s_or_b64 exec, exec, s[4:5]
                                        ; implicit-def: $vgpr16
	s_and_saveexec_b64 s[4:5], s[14:15]
	s_cbranch_execz .LBB779_135
.LBB779_150:
	global_load_dword v16, v[4:5], off offset:1792
	s_or_b64 exec, exec, s[4:5]
                                        ; implicit-def: $vgpr17
	s_and_saveexec_b64 s[4:5], s[16:17]
	s_cbranch_execnz .LBB779_136
.LBB779_151:
	s_or_b64 exec, exec, s[4:5]
                                        ; implicit-def: $vgpr18
	s_and_saveexec_b64 s[4:5], s[18:19]
	s_cbranch_execz .LBB779_137
.LBB779_152:
	global_load_dword v18, v[4:5], off offset:2304
	s_or_b64 exec, exec, s[4:5]
                                        ; implicit-def: $vgpr19
	s_and_saveexec_b64 s[4:5], s[20:21]
	s_cbranch_execnz .LBB779_138
.LBB779_153:
	s_or_b64 exec, exec, s[4:5]
                                        ; implicit-def: $vgpr20
	s_and_saveexec_b64 s[4:5], s[22:23]
	s_cbranch_execz .LBB779_139
.LBB779_154:
	global_load_dword v20, v[4:5], off offset:2816
	s_or_b64 exec, exec, s[4:5]
                                        ; implicit-def: $vgpr21
	s_and_saveexec_b64 s[4:5], s[24:25]
	s_cbranch_execnz .LBB779_140
.LBB779_155:
	s_or_b64 exec, exec, s[4:5]
                                        ; implicit-def: $vgpr22
	s_and_saveexec_b64 s[4:5], s[26:27]
	s_cbranch_execz .LBB779_141
.LBB779_156:
	global_load_dword v22, v[4:5], off offset:3328
	s_or_b64 exec, exec, s[4:5]
                                        ; implicit-def: $vgpr23
	s_and_saveexec_b64 s[4:5], s[28:29]
	s_cbranch_execnz .LBB779_142
.LBB779_157:
	s_or_b64 exec, exec, s[4:5]
                                        ; implicit-def: $vgpr24
	s_and_saveexec_b64 s[4:5], s[30:31]
	s_cbranch_execz .LBB779_159
.LBB779_158:
	global_load_dword v24, v[4:5], off offset:3840
.LBB779_159:
	s_or_b64 exec, exec, s[4:5]
	s_mov_b32 s6, 0
	s_mov_b32 s7, 0
	s_movk_i32 s8, 0x1000
	v_mov_b32_e32 v5, 0
	s_movk_i32 s9, 0x400
	s_movk_i32 s10, 0x800
	;; [unrolled: 1-line block ×3, first 2 shown]
	s_mov_b32 s12, 0
	s_branch .LBB779_161
.LBB779_160:                            ;   in Loop: Header=BB779_161 Depth=1
	s_or_b64 exec, exec, s[4:5]
	s_addk_i32 s12, 0xc000
	s_addk_i32 s7, 0xf000
	s_add_i32 s6, s6, 16
	s_cmp_eq_u32 s12, 0xffff0000
	v_add_u32_e32 v2, 0x1000, v2
	s_barrier
	s_cbranch_scc1 .LBB779_201
.LBB779_161:                            ; =>This Inner Loop Header: Depth=1
	v_add_u32_e32 v4, s7, v10
	v_cmp_gt_u32_e32 vcc, s8, v4
	s_and_saveexec_b64 s[4:5], vcc
	s_cbranch_execz .LBB779_163
; %bb.162:                              ;   in Loop: Header=BB779_161 Depth=1
	v_add_u32_e32 v4, s12, v29
	s_waitcnt vmcnt(0)
	ds_write_b32 v4, v3
.LBB779_163:                            ;   in Loop: Header=BB779_161 Depth=1
	s_or_b64 exec, exec, s[4:5]
	v_add_u32_e32 v4, s7, v27
	v_cmp_gt_u32_e32 vcc, s8, v4
	s_and_saveexec_b64 s[4:5], vcc
	s_cbranch_execz .LBB779_165
; %bb.164:                              ;   in Loop: Header=BB779_161 Depth=1
	v_add_u32_e32 v4, s12, v32
	s_waitcnt vmcnt(0)
	ds_write_b32 v4, v6
.LBB779_165:                            ;   in Loop: Header=BB779_161 Depth=1
	s_or_b64 exec, exec, s[4:5]
	;; [unrolled: 10-line block ×16, first 2 shown]
	v_cmp_gt_u32_e32 vcc, s3, v2
	s_waitcnt lgkmcnt(0)
	s_barrier
	s_and_saveexec_b64 s[4:5], vcc
	s_cbranch_execz .LBB779_195
; %bb.194:                              ;   in Loop: Header=BB779_161 Depth=1
	scratch_load_dword v4, off, s6
	s_waitcnt vmcnt(0)
	v_lshlrev_b32_e32 v4, 2, v4
	ds_read_b32 v4, v4
	ds_read_b32 v25, v38 offset:1024
	s_waitcnt lgkmcnt(1)
	v_add_u32_e32 v4, v2, v4
	v_lshl_add_u64 v[58:59], v[4:5], 2, s[58:59]
	s_waitcnt lgkmcnt(0)
	global_store_dword v[58:59], v25, off
.LBB779_195:                            ;   in Loop: Header=BB779_161 Depth=1
	s_or_b64 exec, exec, s[4:5]
	v_add_u32_e32 v4, 0x400, v2
	v_cmp_gt_u32_e32 vcc, s3, v4
	s_and_saveexec_b64 s[4:5], vcc
	s_cbranch_execz .LBB779_197
; %bb.196:                              ;   in Loop: Header=BB779_161 Depth=1
	s_add_i32 s13, s6, 4
	scratch_load_dword v4, off, s13
	s_waitcnt vmcnt(0)
	v_lshlrev_b32_e32 v4, 2, v4
	ds_read_b32 v4, v4
	ds_read_b32 v25, v38 offset:5120
	s_waitcnt lgkmcnt(1)
	v_add3_u32 v4, v2, v4, s9
	v_lshl_add_u64 v[58:59], v[4:5], 2, s[58:59]
	s_waitcnt lgkmcnt(0)
	global_store_dword v[58:59], v25, off
.LBB779_197:                            ;   in Loop: Header=BB779_161 Depth=1
	s_or_b64 exec, exec, s[4:5]
	v_add_u32_e32 v4, 0x800, v2
	v_cmp_gt_u32_e32 vcc, s3, v4
	s_and_saveexec_b64 s[4:5], vcc
	s_cbranch_execz .LBB779_199
; %bb.198:                              ;   in Loop: Header=BB779_161 Depth=1
	s_add_i32 s13, s6, 8
	scratch_load_dword v4, off, s13
	s_waitcnt vmcnt(0)
	v_lshlrev_b32_e32 v4, 2, v4
	ds_read_b32 v4, v4
	ds_read_b32 v25, v38 offset:9216
	s_waitcnt lgkmcnt(1)
	v_add3_u32 v4, v2, v4, s10
	v_lshl_add_u64 v[58:59], v[4:5], 2, s[58:59]
	s_waitcnt lgkmcnt(0)
	global_store_dword v[58:59], v25, off
.LBB779_199:                            ;   in Loop: Header=BB779_161 Depth=1
	s_or_b64 exec, exec, s[4:5]
	v_add_u32_e32 v4, 0xc00, v2
	v_cmp_gt_u32_e32 vcc, s3, v4
	s_and_saveexec_b64 s[4:5], vcc
	s_cbranch_execz .LBB779_160
; %bb.200:                              ;   in Loop: Header=BB779_161 Depth=1
	s_add_i32 s13, s6, 12
	scratch_load_dword v4, off, s13
	s_waitcnt vmcnt(0)
	v_lshlrev_b32_e32 v4, 2, v4
	ds_read_b32 v4, v4
	ds_read_b32 v25, v38 offset:13312
	s_waitcnt lgkmcnt(1)
	v_add3_u32 v4, v2, v4, s11
	v_lshl_add_u64 v[58:59], v[4:5], 2, s[58:59]
	s_waitcnt lgkmcnt(0)
	global_store_dword v[58:59], v25, off
	s_branch .LBB779_160
.LBB779_201:
	s_add_i32 s33, s33, -1
	s_cmp_eq_u32 s2, s33
	s_cselect_b64 s[4:5], -1, 0
	s_xor_b64 s[6:7], s[34:35], -1
	s_and_b64 s[6:7], s[6:7], s[4:5]
	s_and_saveexec_b64 s[4:5], s[6:7]
	s_cbranch_execz .LBB779_203
; %bb.202:
	ds_read_b32 v2, v38
	s_waitcnt lgkmcnt(0)
	v_add3_u32 v2, v31, v33, v2
	global_store_dword v38, v2, s[62:63]
.LBB779_203:
	s_or_b64 exec, exec, s[4:5]
	s_mov_b64 s[4:5], 0
.LBB779_204:
	s_and_b64 vcc, exec, s[4:5]
	s_cbranch_vccz .LBB779_327
; %bb.205:
	v_and_b32_e32 v2, 0x3ff, v0
	s_lshl_b32 s4, s2, 14
	s_mov_b32 s5, 0
	s_lshl_b64 s[10:11], s[4:5], 2
	v_mbcnt_hi_u32_b32 v10, -1, v1
	v_lshlrev_b32_e32 v1, 4, v2
	s_add_u32 s4, s52, s10
	s_waitcnt vmcnt(0)
	v_and_b32_e32 v3, 63, v10
	v_and_b32_e32 v6, 0x3c00, v1
	v_mov_b32_e32 v1, 0
	s_addc_u32 s5, s53, s11
	v_lshlrev_b32_e32 v4, 2, v3
	v_mov_b32_e32 v5, v1
	v_lshl_add_u64 v[8:9], s[4:5], 0, v[4:5]
	v_lshlrev_b32_e32 v6, 2, v6
	v_mov_b32_e32 v7, v1
	v_lshl_add_u64 v[8:9], v[8:9], 0, v[6:7]
	global_load_dword v3, v[8:9], off
	s_load_dword s4, s[0:1], 0x64
	s_load_dword s3, s[0:1], 0x58
	s_add_u32 s0, s0, 0x58
	s_addc_u32 s1, s1, 0
	v_mul_u32_u24_e32 v11, 20, v2
	s_waitcnt lgkmcnt(0)
	s_lshr_b32 s4, s4, 16
	s_cmp_lt_u32 s2, s3
	s_cselect_b32 s5, 12, 18
	s_add_u32 s0, s0, s5
	s_addc_u32 s1, s1, 0
	global_load_ushort v25, v1, s[0:1]
	ds_write2_b32 v11, v1, v1 offset0:16 offset1:17
	ds_write2_b32 v11, v1, v1 offset0:18 offset1:19
	ds_write_b32 v11, v1 offset:80
	global_load_dword v5, v[8:9], off offset:256
	global_load_dword v7, v[8:9], off offset:512
	;; [unrolled: 1-line block ×15, first 2 shown]
	v_bfe_u32 v27, v0, 10, 10
	v_bfe_u32 v0, v0, 20, 10
	v_mad_u32_u24 v32, v0, s4, v27
	s_lshl_b32 s0, -1, s65
	v_mov_b32_e32 v26, v1
	v_mov_b32_e32 v28, v1
	s_not_b32 s14, s0
	v_mov_b32_e32 v30, v1
	s_movk_i32 s8, 0x44
	s_waitcnt lgkmcnt(0)
	s_barrier
	s_waitcnt vmcnt(16)
	; wave barrier
	v_lshrrev_b32_e32 v0, s64, v3
	v_bitop3_b32 v33, v0, s0, v0 bitop3:0x30
	v_and_b32_e32 v0, 1, v33
	v_lshlrev_b32_e32 v27, 30, v33
	v_lshlrev_b32_e32 v29, 29, v33
	v_lshl_add_u64 v[8:9], v[0:1], 0, -1
	v_cmp_ne_u32_e32 vcc, 0, v0
	v_not_b32_e32 v0, v27
	v_lshlrev_b32_e32 v31, 28, v33
	v_cmp_gt_i64_e64 s[0:1], 0, v[26:27]
	v_cmp_gt_i64_e64 s[4:5], 0, v[28:29]
	v_not_b32_e32 v28, v29
	v_xor_b32_e32 v9, vcc_hi, v9
	v_xor_b32_e32 v8, vcc_lo, v8
	v_ashrrev_i32_e32 v0, 31, v0
	v_not_b32_e32 v29, v31
	s_waitcnt vmcnt(15)
	v_mad_u64_u32 v[26:27], s[12:13], v32, v25, v[2:3]
	v_ashrrev_i32_e32 v25, 31, v28
	v_and_b32_e32 v9, exec_hi, v9
	v_and_b32_e32 v8, exec_lo, v8
	v_xor_b32_e32 v28, s1, v0
	v_xor_b32_e32 v0, s0, v0
	v_cmp_gt_i64_e64 s[6:7], 0, v[30:31]
	v_ashrrev_i32_e32 v27, 31, v29
	v_xor_b32_e32 v29, s5, v25
	v_xor_b32_e32 v25, s4, v25
	v_and_b32_e32 v9, v9, v28
	v_and_b32_e32 v0, v8, v0
	v_xor_b32_e32 v30, s7, v27
	v_and_b32_e32 v8, v9, v29
	v_and_b32_e32 v0, v0, v25
	;; [unrolled: 3-line block ×3, first 2 shown]
	v_lshlrev_b32_e32 v9, 27, v33
	v_mov_b32_e32 v8, v1
	v_cmp_gt_i64_e32 vcc, 0, v[8:9]
	v_not_b32_e32 v8, v9
	v_ashrrev_i32_e32 v8, 31, v8
	v_xor_b32_e32 v9, vcc_hi, v8
	v_xor_b32_e32 v8, vcc_lo, v8
	v_and_b32_e32 v25, v25, v9
	v_and_b32_e32 v0, v0, v8
	v_lshlrev_b32_e32 v9, 26, v33
	v_mov_b32_e32 v8, v1
	v_cmp_gt_i64_e32 vcc, 0, v[8:9]
	v_not_b32_e32 v8, v9
	v_ashrrev_i32_e32 v8, 31, v8
	v_xor_b32_e32 v9, vcc_hi, v8
	v_xor_b32_e32 v8, vcc_lo, v8
	v_and_b32_e32 v25, v25, v9
	v_and_b32_e32 v0, v0, v8
	;; [unrolled: 9-line block ×3, first 2 shown]
	v_lshlrev_b32_e32 v9, 24, v33
	v_mov_b32_e32 v8, v1
	v_cmp_gt_i64_e32 vcc, 0, v[8:9]
	v_not_b32_e32 v8, v9
	v_ashrrev_i32_e32 v8, 31, v8
	v_xor_b32_e32 v9, vcc_hi, v8
	v_xor_b32_e32 v8, vcc_lo, v8
	v_and_b32_e32 v8, v0, v8
	v_lshrrev_b32_e32 v26, 4, v26
	v_and_b32_e32 v9, v25, v9
	v_mbcnt_lo_u32_b32 v0, v8, 0
	v_and_b32_e32 v36, 0xffffffc, v26
	v_mbcnt_hi_u32_b32 v26, v9, v0
	v_mul_lo_u32 v34, v33, s8
	v_cmp_eq_u32_e32 vcc, 0, v26
	v_cmp_ne_u64_e64 s[0:1], 0, v[8:9]
	s_and_b64 s[4:5], s[0:1], vcc
	v_add_u32_e32 v29, v36, v34
	s_and_saveexec_b64 s[0:1], s[4:5]
; %bb.206:
	v_bcnt_u32_b32 v0, v8, 0
	v_bcnt_u32_b32 v0, v9, v0
	ds_write_b32 v29, v0 offset:64
; %bb.207:
	s_or_b64 exec, exec, s[0:1]
	s_waitcnt vmcnt(14)
	v_lshrrev_b32_e32 v0, s64, v5
	v_and_b32_e32 v27, s14, v0
	v_mul_lo_u32 v0, v27, s8
	v_add_u32_e32 v31, v36, v0
	v_and_b32_e32 v0, 1, v27
	v_lshl_add_u64 v[8:9], v[0:1], 0, -1
	v_cmp_ne_u32_e32 vcc, 0, v0
	; wave barrier
	s_nop 1
	v_xor_b32_e32 v8, vcc_lo, v8
	v_xor_b32_e32 v0, vcc_hi, v9
	v_and_b32_e32 v28, exec_lo, v8
	v_lshlrev_b32_e32 v9, 30, v27
	v_mov_b32_e32 v8, v1
	v_cmp_gt_i64_e32 vcc, 0, v[8:9]
	v_not_b32_e32 v8, v9
	v_ashrrev_i32_e32 v8, 31, v8
	v_and_b32_e32 v0, exec_hi, v0
	v_xor_b32_e32 v9, vcc_hi, v8
	v_xor_b32_e32 v8, vcc_lo, v8
	v_and_b32_e32 v0, v0, v9
	v_and_b32_e32 v28, v28, v8
	v_lshlrev_b32_e32 v9, 29, v27
	v_mov_b32_e32 v8, v1
	v_cmp_gt_i64_e32 vcc, 0, v[8:9]
	v_not_b32_e32 v8, v9
	v_ashrrev_i32_e32 v8, 31, v8
	v_xor_b32_e32 v9, vcc_hi, v8
	v_xor_b32_e32 v8, vcc_lo, v8
	v_and_b32_e32 v0, v0, v9
	v_and_b32_e32 v28, v28, v8
	v_lshlrev_b32_e32 v9, 28, v27
	v_mov_b32_e32 v8, v1
	v_cmp_gt_i64_e32 vcc, 0, v[8:9]
	v_not_b32_e32 v8, v9
	v_ashrrev_i32_e32 v8, 31, v8
	;; [unrolled: 9-line block ×5, first 2 shown]
	v_xor_b32_e32 v9, vcc_hi, v8
	v_xor_b32_e32 v8, vcc_lo, v8
	v_and_b32_e32 v0, v0, v9
	v_lshlrev_b32_e32 v9, 24, v27
	v_and_b32_e32 v28, v28, v8
	v_mov_b32_e32 v8, v1
	v_not_b32_e32 v1, v9
	v_cmp_gt_i64_e32 vcc, 0, v[8:9]
	v_ashrrev_i32_e32 v1, 31, v1
	ds_read_b32 v25, v31 offset:64
	v_xor_b32_e32 v8, vcc_hi, v1
	v_xor_b32_e32 v9, vcc_lo, v1
	v_and_b32_e32 v1, v0, v8
	v_and_b32_e32 v0, v28, v9
	v_mbcnt_lo_u32_b32 v8, v0, 0
	v_mbcnt_hi_u32_b32 v27, v1, v8
	v_cmp_eq_u32_e32 vcc, 0, v27
	v_cmp_ne_u64_e64 s[0:1], 0, v[0:1]
	s_and_b64 s[4:5], s[0:1], vcc
	; wave barrier
	s_and_saveexec_b64 s[0:1], s[4:5]
	s_cbranch_execz .LBB779_209
; %bb.208:
	v_bcnt_u32_b32 v0, v0, 0
	v_bcnt_u32_b32 v0, v1, v0
	s_waitcnt lgkmcnt(0)
	v_add_u32_e32 v0, v25, v0
	ds_write_b32 v31, v0 offset:64
.LBB779_209:
	s_or_b64 exec, exec, s[0:1]
	s_waitcnt vmcnt(13)
	v_lshrrev_b32_e32 v0, s64, v7
	v_and_b32_e32 v30, s14, v0
	s_movk_i32 s4, 0x44
	v_mul_lo_u32 v0, v30, s4
	v_add_u32_e32 v34, v36, v0
	v_and_b32_e32 v0, 1, v30
	v_mov_b32_e32 v1, 0
	v_lshl_add_u64 v[8:9], v[0:1], 0, -1
	v_cmp_ne_u32_e32 vcc, 0, v0
	; wave barrier
	s_nop 1
	v_xor_b32_e32 v8, vcc_lo, v8
	v_xor_b32_e32 v0, vcc_hi, v9
	v_and_b32_e32 v32, exec_lo, v8
	v_lshlrev_b32_e32 v9, 30, v30
	v_mov_b32_e32 v8, v1
	v_cmp_gt_i64_e32 vcc, 0, v[8:9]
	v_not_b32_e32 v8, v9
	v_ashrrev_i32_e32 v8, 31, v8
	v_and_b32_e32 v0, exec_hi, v0
	v_xor_b32_e32 v9, vcc_hi, v8
	v_xor_b32_e32 v8, vcc_lo, v8
	v_and_b32_e32 v0, v0, v9
	v_and_b32_e32 v32, v32, v8
	v_lshlrev_b32_e32 v9, 29, v30
	v_mov_b32_e32 v8, v1
	v_cmp_gt_i64_e32 vcc, 0, v[8:9]
	v_not_b32_e32 v8, v9
	v_ashrrev_i32_e32 v8, 31, v8
	v_xor_b32_e32 v9, vcc_hi, v8
	v_xor_b32_e32 v8, vcc_lo, v8
	v_and_b32_e32 v0, v0, v9
	v_and_b32_e32 v32, v32, v8
	v_lshlrev_b32_e32 v9, 28, v30
	v_mov_b32_e32 v8, v1
	v_cmp_gt_i64_e32 vcc, 0, v[8:9]
	v_not_b32_e32 v8, v9
	v_ashrrev_i32_e32 v8, 31, v8
	;; [unrolled: 9-line block ×6, first 2 shown]
	v_xor_b32_e32 v9, vcc_hi, v8
	v_xor_b32_e32 v8, vcc_lo, v8
	ds_read_b32 v28, v34 offset:64
	v_and_b32_e32 v8, v32, v8
	v_and_b32_e32 v9, v0, v9
	v_mbcnt_lo_u32_b32 v0, v8, 0
	v_mbcnt_hi_u32_b32 v30, v9, v0
	v_cmp_eq_u32_e32 vcc, 0, v30
	v_cmp_ne_u64_e64 s[0:1], 0, v[8:9]
	s_and_b64 s[6:7], s[0:1], vcc
	; wave barrier
	s_and_saveexec_b64 s[0:1], s[6:7]
	s_cbranch_execz .LBB779_211
; %bb.210:
	v_bcnt_u32_b32 v0, v8, 0
	v_bcnt_u32_b32 v0, v9, v0
	s_waitcnt lgkmcnt(0)
	v_add_u32_e32 v0, v28, v0
	ds_write_b32 v34, v0 offset:64
.LBB779_211:
	s_or_b64 exec, exec, s[0:1]
	s_waitcnt vmcnt(12)
	v_lshrrev_b32_e32 v0, s64, v12
	v_and_b32_e32 v33, s14, v0
	v_mul_lo_u32 v0, v33, s4
	v_add_u32_e32 v38, v36, v0
	v_and_b32_e32 v0, 1, v33
	v_lshl_add_u64 v[8:9], v[0:1], 0, -1
	v_cmp_ne_u32_e32 vcc, 0, v0
	; wave barrier
	s_nop 1
	v_xor_b32_e32 v8, vcc_lo, v8
	v_xor_b32_e32 v0, vcc_hi, v9
	v_and_b32_e32 v35, exec_lo, v8
	v_lshlrev_b32_e32 v9, 30, v33
	v_mov_b32_e32 v8, v1
	v_cmp_gt_i64_e32 vcc, 0, v[8:9]
	v_not_b32_e32 v8, v9
	v_ashrrev_i32_e32 v8, 31, v8
	v_and_b32_e32 v0, exec_hi, v0
	v_xor_b32_e32 v9, vcc_hi, v8
	v_xor_b32_e32 v8, vcc_lo, v8
	v_and_b32_e32 v0, v0, v9
	v_and_b32_e32 v35, v35, v8
	v_lshlrev_b32_e32 v9, 29, v33
	v_mov_b32_e32 v8, v1
	v_cmp_gt_i64_e32 vcc, 0, v[8:9]
	v_not_b32_e32 v8, v9
	v_ashrrev_i32_e32 v8, 31, v8
	v_xor_b32_e32 v9, vcc_hi, v8
	v_xor_b32_e32 v8, vcc_lo, v8
	v_and_b32_e32 v0, v0, v9
	v_and_b32_e32 v35, v35, v8
	v_lshlrev_b32_e32 v9, 28, v33
	v_mov_b32_e32 v8, v1
	v_cmp_gt_i64_e32 vcc, 0, v[8:9]
	v_not_b32_e32 v8, v9
	v_ashrrev_i32_e32 v8, 31, v8
	;; [unrolled: 9-line block ×5, first 2 shown]
	v_xor_b32_e32 v9, vcc_hi, v8
	v_xor_b32_e32 v8, vcc_lo, v8
	v_and_b32_e32 v0, v0, v9
	v_lshlrev_b32_e32 v9, 24, v33
	v_and_b32_e32 v35, v35, v8
	v_mov_b32_e32 v8, v1
	v_not_b32_e32 v1, v9
	v_cmp_gt_i64_e32 vcc, 0, v[8:9]
	v_ashrrev_i32_e32 v1, 31, v1
	ds_read_b32 v32, v38 offset:64
	v_xor_b32_e32 v8, vcc_hi, v1
	v_xor_b32_e32 v9, vcc_lo, v1
	v_and_b32_e32 v1, v0, v8
	v_and_b32_e32 v0, v35, v9
	v_mbcnt_lo_u32_b32 v8, v0, 0
	v_mbcnt_hi_u32_b32 v33, v1, v8
	v_cmp_eq_u32_e32 vcc, 0, v33
	v_cmp_ne_u64_e64 s[0:1], 0, v[0:1]
	s_and_b64 s[4:5], s[0:1], vcc
	; wave barrier
	s_and_saveexec_b64 s[0:1], s[4:5]
	s_cbranch_execz .LBB779_213
; %bb.212:
	v_bcnt_u32_b32 v0, v0, 0
	v_bcnt_u32_b32 v0, v1, v0
	s_waitcnt lgkmcnt(0)
	v_add_u32_e32 v0, v32, v0
	ds_write_b32 v38, v0 offset:64
.LBB779_213:
	s_or_b64 exec, exec, s[0:1]
	s_waitcnt vmcnt(11)
	v_lshrrev_b32_e32 v0, s64, v13
	v_and_b32_e32 v37, s14, v0
	s_movk_i32 s4, 0x44
	v_mul_lo_u32 v0, v37, s4
	v_add_u32_e32 v41, v36, v0
	v_and_b32_e32 v0, 1, v37
	v_mov_b32_e32 v1, 0
	v_lshl_add_u64 v[8:9], v[0:1], 0, -1
	v_cmp_ne_u32_e32 vcc, 0, v0
	; wave barrier
	s_nop 1
	v_xor_b32_e32 v8, vcc_lo, v8
	v_xor_b32_e32 v0, vcc_hi, v9
	v_and_b32_e32 v39, exec_lo, v8
	v_lshlrev_b32_e32 v9, 30, v37
	v_mov_b32_e32 v8, v1
	v_cmp_gt_i64_e32 vcc, 0, v[8:9]
	v_not_b32_e32 v8, v9
	v_ashrrev_i32_e32 v8, 31, v8
	v_and_b32_e32 v0, exec_hi, v0
	v_xor_b32_e32 v9, vcc_hi, v8
	v_xor_b32_e32 v8, vcc_lo, v8
	v_and_b32_e32 v0, v0, v9
	v_and_b32_e32 v39, v39, v8
	v_lshlrev_b32_e32 v9, 29, v37
	v_mov_b32_e32 v8, v1
	v_cmp_gt_i64_e32 vcc, 0, v[8:9]
	v_not_b32_e32 v8, v9
	v_ashrrev_i32_e32 v8, 31, v8
	v_xor_b32_e32 v9, vcc_hi, v8
	v_xor_b32_e32 v8, vcc_lo, v8
	v_and_b32_e32 v0, v0, v9
	v_and_b32_e32 v39, v39, v8
	v_lshlrev_b32_e32 v9, 28, v37
	v_mov_b32_e32 v8, v1
	v_cmp_gt_i64_e32 vcc, 0, v[8:9]
	v_not_b32_e32 v8, v9
	v_ashrrev_i32_e32 v8, 31, v8
	;; [unrolled: 9-line block ×6, first 2 shown]
	v_xor_b32_e32 v9, vcc_hi, v8
	v_xor_b32_e32 v8, vcc_lo, v8
	ds_read_b32 v35, v41 offset:64
	v_and_b32_e32 v8, v39, v8
	v_and_b32_e32 v9, v0, v9
	v_mbcnt_lo_u32_b32 v0, v8, 0
	v_mbcnt_hi_u32_b32 v37, v9, v0
	v_cmp_eq_u32_e32 vcc, 0, v37
	v_cmp_ne_u64_e64 s[0:1], 0, v[8:9]
	s_and_b64 s[6:7], s[0:1], vcc
	; wave barrier
	s_and_saveexec_b64 s[0:1], s[6:7]
	s_cbranch_execz .LBB779_215
; %bb.214:
	v_bcnt_u32_b32 v0, v8, 0
	v_bcnt_u32_b32 v0, v9, v0
	s_waitcnt lgkmcnt(0)
	v_add_u32_e32 v0, v35, v0
	ds_write_b32 v41, v0 offset:64
.LBB779_215:
	s_or_b64 exec, exec, s[0:1]
	s_waitcnt vmcnt(10)
	v_lshrrev_b32_e32 v0, s64, v14
	v_and_b32_e32 v40, s14, v0
	v_mul_lo_u32 v0, v40, s4
	v_add_u32_e32 v44, v36, v0
	v_and_b32_e32 v0, 1, v40
	v_lshl_add_u64 v[8:9], v[0:1], 0, -1
	v_cmp_ne_u32_e32 vcc, 0, v0
	; wave barrier
	s_nop 1
	v_xor_b32_e32 v8, vcc_lo, v8
	v_xor_b32_e32 v0, vcc_hi, v9
	v_and_b32_e32 v42, exec_lo, v8
	v_lshlrev_b32_e32 v9, 30, v40
	v_mov_b32_e32 v8, v1
	v_cmp_gt_i64_e32 vcc, 0, v[8:9]
	v_not_b32_e32 v8, v9
	v_ashrrev_i32_e32 v8, 31, v8
	v_and_b32_e32 v0, exec_hi, v0
	v_xor_b32_e32 v9, vcc_hi, v8
	v_xor_b32_e32 v8, vcc_lo, v8
	v_and_b32_e32 v0, v0, v9
	v_and_b32_e32 v42, v42, v8
	v_lshlrev_b32_e32 v9, 29, v40
	v_mov_b32_e32 v8, v1
	v_cmp_gt_i64_e32 vcc, 0, v[8:9]
	v_not_b32_e32 v8, v9
	v_ashrrev_i32_e32 v8, 31, v8
	v_xor_b32_e32 v9, vcc_hi, v8
	v_xor_b32_e32 v8, vcc_lo, v8
	v_and_b32_e32 v0, v0, v9
	v_and_b32_e32 v42, v42, v8
	v_lshlrev_b32_e32 v9, 28, v40
	v_mov_b32_e32 v8, v1
	v_cmp_gt_i64_e32 vcc, 0, v[8:9]
	v_not_b32_e32 v8, v9
	v_ashrrev_i32_e32 v8, 31, v8
	;; [unrolled: 9-line block ×5, first 2 shown]
	v_xor_b32_e32 v9, vcc_hi, v8
	v_xor_b32_e32 v8, vcc_lo, v8
	v_and_b32_e32 v0, v0, v9
	v_lshlrev_b32_e32 v9, 24, v40
	v_and_b32_e32 v42, v42, v8
	v_mov_b32_e32 v8, v1
	v_not_b32_e32 v1, v9
	v_cmp_gt_i64_e32 vcc, 0, v[8:9]
	v_ashrrev_i32_e32 v1, 31, v1
	ds_read_b32 v39, v44 offset:64
	v_xor_b32_e32 v8, vcc_hi, v1
	v_xor_b32_e32 v9, vcc_lo, v1
	v_and_b32_e32 v1, v0, v8
	v_and_b32_e32 v0, v42, v9
	v_mbcnt_lo_u32_b32 v8, v0, 0
	v_mbcnt_hi_u32_b32 v40, v1, v8
	v_cmp_eq_u32_e32 vcc, 0, v40
	v_cmp_ne_u64_e64 s[0:1], 0, v[0:1]
	s_and_b64 s[4:5], s[0:1], vcc
	; wave barrier
	s_and_saveexec_b64 s[0:1], s[4:5]
	s_cbranch_execz .LBB779_217
; %bb.216:
	v_bcnt_u32_b32 v0, v0, 0
	v_bcnt_u32_b32 v0, v1, v0
	s_waitcnt lgkmcnt(0)
	v_add_u32_e32 v0, v39, v0
	ds_write_b32 v44, v0 offset:64
.LBB779_217:
	s_or_b64 exec, exec, s[0:1]
	s_waitcnt vmcnt(9)
	v_lshrrev_b32_e32 v0, s64, v15
	v_and_b32_e32 v43, s14, v0
	s_movk_i32 s4, 0x44
	v_mul_lo_u32 v0, v43, s4
	v_add_u32_e32 v47, v36, v0
	v_and_b32_e32 v0, 1, v43
	v_mov_b32_e32 v1, 0
	v_lshl_add_u64 v[8:9], v[0:1], 0, -1
	v_cmp_ne_u32_e32 vcc, 0, v0
	; wave barrier
	s_nop 1
	v_xor_b32_e32 v8, vcc_lo, v8
	v_xor_b32_e32 v0, vcc_hi, v9
	v_and_b32_e32 v45, exec_lo, v8
	v_lshlrev_b32_e32 v9, 30, v43
	v_mov_b32_e32 v8, v1
	v_cmp_gt_i64_e32 vcc, 0, v[8:9]
	v_not_b32_e32 v8, v9
	v_ashrrev_i32_e32 v8, 31, v8
	v_and_b32_e32 v0, exec_hi, v0
	v_xor_b32_e32 v9, vcc_hi, v8
	v_xor_b32_e32 v8, vcc_lo, v8
	v_and_b32_e32 v0, v0, v9
	v_and_b32_e32 v45, v45, v8
	v_lshlrev_b32_e32 v9, 29, v43
	v_mov_b32_e32 v8, v1
	v_cmp_gt_i64_e32 vcc, 0, v[8:9]
	v_not_b32_e32 v8, v9
	v_ashrrev_i32_e32 v8, 31, v8
	v_xor_b32_e32 v9, vcc_hi, v8
	v_xor_b32_e32 v8, vcc_lo, v8
	v_and_b32_e32 v0, v0, v9
	v_and_b32_e32 v45, v45, v8
	v_lshlrev_b32_e32 v9, 28, v43
	v_mov_b32_e32 v8, v1
	v_cmp_gt_i64_e32 vcc, 0, v[8:9]
	v_not_b32_e32 v8, v9
	v_ashrrev_i32_e32 v8, 31, v8
	;; [unrolled: 9-line block ×6, first 2 shown]
	v_xor_b32_e32 v9, vcc_hi, v8
	v_xor_b32_e32 v8, vcc_lo, v8
	ds_read_b32 v42, v47 offset:64
	v_and_b32_e32 v8, v45, v8
	v_and_b32_e32 v9, v0, v9
	v_mbcnt_lo_u32_b32 v0, v8, 0
	v_mbcnt_hi_u32_b32 v43, v9, v0
	v_cmp_eq_u32_e32 vcc, 0, v43
	v_cmp_ne_u64_e64 s[0:1], 0, v[8:9]
	s_and_b64 s[6:7], s[0:1], vcc
	; wave barrier
	s_and_saveexec_b64 s[0:1], s[6:7]
	s_cbranch_execz .LBB779_219
; %bb.218:
	v_bcnt_u32_b32 v0, v8, 0
	v_bcnt_u32_b32 v0, v9, v0
	s_waitcnt lgkmcnt(0)
	v_add_u32_e32 v0, v42, v0
	ds_write_b32 v47, v0 offset:64
.LBB779_219:
	s_or_b64 exec, exec, s[0:1]
	s_waitcnt vmcnt(8)
	v_lshrrev_b32_e32 v0, s64, v16
	v_and_b32_e32 v46, s14, v0
	v_mul_lo_u32 v0, v46, s4
	v_add_u32_e32 v49, v36, v0
	v_and_b32_e32 v0, 1, v46
	v_lshl_add_u64 v[8:9], v[0:1], 0, -1
	v_cmp_ne_u32_e32 vcc, 0, v0
	; wave barrier
	s_nop 1
	v_xor_b32_e32 v8, vcc_lo, v8
	v_xor_b32_e32 v0, vcc_hi, v9
	v_and_b32_e32 v48, exec_lo, v8
	v_lshlrev_b32_e32 v9, 30, v46
	v_mov_b32_e32 v8, v1
	v_cmp_gt_i64_e32 vcc, 0, v[8:9]
	v_not_b32_e32 v8, v9
	v_ashrrev_i32_e32 v8, 31, v8
	v_and_b32_e32 v0, exec_hi, v0
	v_xor_b32_e32 v9, vcc_hi, v8
	v_xor_b32_e32 v8, vcc_lo, v8
	v_and_b32_e32 v0, v0, v9
	v_and_b32_e32 v48, v48, v8
	v_lshlrev_b32_e32 v9, 29, v46
	v_mov_b32_e32 v8, v1
	v_cmp_gt_i64_e32 vcc, 0, v[8:9]
	v_not_b32_e32 v8, v9
	v_ashrrev_i32_e32 v8, 31, v8
	v_xor_b32_e32 v9, vcc_hi, v8
	v_xor_b32_e32 v8, vcc_lo, v8
	v_and_b32_e32 v0, v0, v9
	v_and_b32_e32 v48, v48, v8
	v_lshlrev_b32_e32 v9, 28, v46
	v_mov_b32_e32 v8, v1
	v_cmp_gt_i64_e32 vcc, 0, v[8:9]
	v_not_b32_e32 v8, v9
	v_ashrrev_i32_e32 v8, 31, v8
	;; [unrolled: 9-line block ×5, first 2 shown]
	v_xor_b32_e32 v9, vcc_hi, v8
	v_xor_b32_e32 v8, vcc_lo, v8
	v_and_b32_e32 v0, v0, v9
	v_lshlrev_b32_e32 v9, 24, v46
	v_and_b32_e32 v48, v48, v8
	v_mov_b32_e32 v8, v1
	v_not_b32_e32 v1, v9
	v_cmp_gt_i64_e32 vcc, 0, v[8:9]
	v_ashrrev_i32_e32 v1, 31, v1
	ds_read_b32 v45, v49 offset:64
	v_xor_b32_e32 v8, vcc_hi, v1
	v_xor_b32_e32 v9, vcc_lo, v1
	v_and_b32_e32 v1, v0, v8
	v_and_b32_e32 v0, v48, v9
	v_mbcnt_lo_u32_b32 v8, v0, 0
	v_mbcnt_hi_u32_b32 v46, v1, v8
	v_cmp_eq_u32_e32 vcc, 0, v46
	v_cmp_ne_u64_e64 s[0:1], 0, v[0:1]
	s_and_b64 s[4:5], s[0:1], vcc
	; wave barrier
	s_and_saveexec_b64 s[0:1], s[4:5]
	s_cbranch_execz .LBB779_221
; %bb.220:
	v_bcnt_u32_b32 v0, v0, 0
	v_bcnt_u32_b32 v0, v1, v0
	s_waitcnt lgkmcnt(0)
	v_add_u32_e32 v0, v45, v0
	ds_write_b32 v49, v0 offset:64
.LBB779_221:
	s_or_b64 exec, exec, s[0:1]
	s_waitcnt vmcnt(7)
	v_lshrrev_b32_e32 v0, s64, v17
	v_and_b32_e32 v50, s14, v0
	s_movk_i32 s4, 0x44
	v_mul_lo_u32 v0, v50, s4
	v_add_u32_e32 v52, v36, v0
	v_and_b32_e32 v0, 1, v50
	v_mov_b32_e32 v1, 0
	v_lshl_add_u64 v[8:9], v[0:1], 0, -1
	v_cmp_ne_u32_e32 vcc, 0, v0
	; wave barrier
	s_nop 1
	v_xor_b32_e32 v8, vcc_lo, v8
	v_xor_b32_e32 v0, vcc_hi, v9
	v_and_b32_e32 v51, exec_lo, v8
	v_lshlrev_b32_e32 v9, 30, v50
	v_mov_b32_e32 v8, v1
	v_cmp_gt_i64_e32 vcc, 0, v[8:9]
	v_not_b32_e32 v8, v9
	v_ashrrev_i32_e32 v8, 31, v8
	v_and_b32_e32 v0, exec_hi, v0
	v_xor_b32_e32 v9, vcc_hi, v8
	v_xor_b32_e32 v8, vcc_lo, v8
	v_and_b32_e32 v0, v0, v9
	v_and_b32_e32 v51, v51, v8
	v_lshlrev_b32_e32 v9, 29, v50
	v_mov_b32_e32 v8, v1
	v_cmp_gt_i64_e32 vcc, 0, v[8:9]
	v_not_b32_e32 v8, v9
	v_ashrrev_i32_e32 v8, 31, v8
	v_xor_b32_e32 v9, vcc_hi, v8
	v_xor_b32_e32 v8, vcc_lo, v8
	v_and_b32_e32 v0, v0, v9
	v_and_b32_e32 v51, v51, v8
	v_lshlrev_b32_e32 v9, 28, v50
	v_mov_b32_e32 v8, v1
	v_cmp_gt_i64_e32 vcc, 0, v[8:9]
	v_not_b32_e32 v8, v9
	v_ashrrev_i32_e32 v8, 31, v8
	;; [unrolled: 9-line block ×6, first 2 shown]
	v_xor_b32_e32 v9, vcc_hi, v8
	v_xor_b32_e32 v8, vcc_lo, v8
	ds_read_b32 v48, v52 offset:64
	v_and_b32_e32 v8, v51, v8
	v_and_b32_e32 v9, v0, v9
	v_mbcnt_lo_u32_b32 v0, v8, 0
	v_mbcnt_hi_u32_b32 v50, v9, v0
	v_cmp_eq_u32_e32 vcc, 0, v50
	v_cmp_ne_u64_e64 s[0:1], 0, v[8:9]
	s_and_b64 s[6:7], s[0:1], vcc
	; wave barrier
	s_and_saveexec_b64 s[0:1], s[6:7]
	s_cbranch_execz .LBB779_223
; %bb.222:
	v_bcnt_u32_b32 v0, v8, 0
	v_bcnt_u32_b32 v0, v9, v0
	s_waitcnt lgkmcnt(0)
	v_add_u32_e32 v0, v48, v0
	ds_write_b32 v52, v0 offset:64
.LBB779_223:
	s_or_b64 exec, exec, s[0:1]
	s_waitcnt vmcnt(6)
	v_lshrrev_b32_e32 v0, s64, v18
	v_and_b32_e32 v53, s14, v0
	v_mul_lo_u32 v0, v53, s4
	v_add_u32_e32 v55, v36, v0
	v_and_b32_e32 v0, 1, v53
	v_lshl_add_u64 v[8:9], v[0:1], 0, -1
	v_cmp_ne_u32_e32 vcc, 0, v0
	; wave barrier
	s_nop 1
	v_xor_b32_e32 v8, vcc_lo, v8
	v_xor_b32_e32 v0, vcc_hi, v9
	v_and_b32_e32 v54, exec_lo, v8
	v_lshlrev_b32_e32 v9, 30, v53
	v_mov_b32_e32 v8, v1
	v_cmp_gt_i64_e32 vcc, 0, v[8:9]
	v_not_b32_e32 v8, v9
	v_ashrrev_i32_e32 v8, 31, v8
	v_and_b32_e32 v0, exec_hi, v0
	v_xor_b32_e32 v9, vcc_hi, v8
	v_xor_b32_e32 v8, vcc_lo, v8
	v_and_b32_e32 v0, v0, v9
	v_and_b32_e32 v54, v54, v8
	v_lshlrev_b32_e32 v9, 29, v53
	v_mov_b32_e32 v8, v1
	v_cmp_gt_i64_e32 vcc, 0, v[8:9]
	v_not_b32_e32 v8, v9
	v_ashrrev_i32_e32 v8, 31, v8
	v_xor_b32_e32 v9, vcc_hi, v8
	v_xor_b32_e32 v8, vcc_lo, v8
	v_and_b32_e32 v0, v0, v9
	v_and_b32_e32 v54, v54, v8
	v_lshlrev_b32_e32 v9, 28, v53
	v_mov_b32_e32 v8, v1
	v_cmp_gt_i64_e32 vcc, 0, v[8:9]
	v_not_b32_e32 v8, v9
	v_ashrrev_i32_e32 v8, 31, v8
	;; [unrolled: 9-line block ×5, first 2 shown]
	v_xor_b32_e32 v9, vcc_hi, v8
	v_xor_b32_e32 v8, vcc_lo, v8
	v_and_b32_e32 v0, v0, v9
	v_lshlrev_b32_e32 v9, 24, v53
	v_and_b32_e32 v54, v54, v8
	v_mov_b32_e32 v8, v1
	v_not_b32_e32 v1, v9
	v_cmp_gt_i64_e32 vcc, 0, v[8:9]
	v_ashrrev_i32_e32 v1, 31, v1
	ds_read_b32 v51, v55 offset:64
	v_xor_b32_e32 v8, vcc_hi, v1
	v_xor_b32_e32 v9, vcc_lo, v1
	v_and_b32_e32 v1, v0, v8
	v_and_b32_e32 v0, v54, v9
	v_mbcnt_lo_u32_b32 v8, v0, 0
	v_mbcnt_hi_u32_b32 v53, v1, v8
	v_cmp_eq_u32_e32 vcc, 0, v53
	v_cmp_ne_u64_e64 s[0:1], 0, v[0:1]
	s_and_b64 s[4:5], s[0:1], vcc
	; wave barrier
	s_and_saveexec_b64 s[0:1], s[4:5]
	s_cbranch_execz .LBB779_225
; %bb.224:
	v_bcnt_u32_b32 v0, v0, 0
	v_bcnt_u32_b32 v0, v1, v0
	s_waitcnt lgkmcnt(0)
	v_add_u32_e32 v0, v51, v0
	ds_write_b32 v55, v0 offset:64
.LBB779_225:
	s_or_b64 exec, exec, s[0:1]
	s_waitcnt vmcnt(5)
	v_lshrrev_b32_e32 v0, s64, v19
	v_and_b32_e32 v56, s14, v0
	s_movk_i32 s4, 0x44
	v_mul_lo_u32 v0, v56, s4
	v_add_u32_e32 v58, v36, v0
	v_and_b32_e32 v0, 1, v56
	v_mov_b32_e32 v1, 0
	v_lshl_add_u64 v[8:9], v[0:1], 0, -1
	v_cmp_ne_u32_e32 vcc, 0, v0
	; wave barrier
	s_nop 1
	v_xor_b32_e32 v8, vcc_lo, v8
	v_xor_b32_e32 v0, vcc_hi, v9
	v_and_b32_e32 v57, exec_lo, v8
	v_lshlrev_b32_e32 v9, 30, v56
	v_mov_b32_e32 v8, v1
	v_cmp_gt_i64_e32 vcc, 0, v[8:9]
	v_not_b32_e32 v8, v9
	v_ashrrev_i32_e32 v8, 31, v8
	v_and_b32_e32 v0, exec_hi, v0
	v_xor_b32_e32 v9, vcc_hi, v8
	v_xor_b32_e32 v8, vcc_lo, v8
	v_and_b32_e32 v0, v0, v9
	v_and_b32_e32 v57, v57, v8
	v_lshlrev_b32_e32 v9, 29, v56
	v_mov_b32_e32 v8, v1
	v_cmp_gt_i64_e32 vcc, 0, v[8:9]
	v_not_b32_e32 v8, v9
	v_ashrrev_i32_e32 v8, 31, v8
	v_xor_b32_e32 v9, vcc_hi, v8
	v_xor_b32_e32 v8, vcc_lo, v8
	v_and_b32_e32 v0, v0, v9
	v_and_b32_e32 v57, v57, v8
	v_lshlrev_b32_e32 v9, 28, v56
	v_mov_b32_e32 v8, v1
	v_cmp_gt_i64_e32 vcc, 0, v[8:9]
	v_not_b32_e32 v8, v9
	v_ashrrev_i32_e32 v8, 31, v8
	v_xor_b32_e32 v9, vcc_hi, v8
	v_xor_b32_e32 v8, vcc_lo, v8
	v_and_b32_e32 v0, v0, v9
	v_and_b32_e32 v57, v57, v8
	v_lshlrev_b32_e32 v9, 27, v56
	v_mov_b32_e32 v8, v1
	v_cmp_gt_i64_e32 vcc, 0, v[8:9]
	v_not_b32_e32 v8, v9
	v_ashrrev_i32_e32 v8, 31, v8
	v_xor_b32_e32 v9, vcc_hi, v8
	v_xor_b32_e32 v8, vcc_lo, v8
	v_and_b32_e32 v0, v0, v9
	v_and_b32_e32 v57, v57, v8
	v_lshlrev_b32_e32 v9, 26, v56
	v_mov_b32_e32 v8, v1
	v_cmp_gt_i64_e32 vcc, 0, v[8:9]
	v_not_b32_e32 v8, v9
	v_ashrrev_i32_e32 v8, 31, v8
	v_xor_b32_e32 v9, vcc_hi, v8
	v_xor_b32_e32 v8, vcc_lo, v8
	v_and_b32_e32 v0, v0, v9
	v_and_b32_e32 v57, v57, v8
	v_lshlrev_b32_e32 v9, 25, v56
	v_mov_b32_e32 v8, v1
	v_cmp_gt_i64_e32 vcc, 0, v[8:9]
	v_not_b32_e32 v8, v9
	v_ashrrev_i32_e32 v8, 31, v8
	v_xor_b32_e32 v9, vcc_hi, v8
	v_xor_b32_e32 v8, vcc_lo, v8
	v_and_b32_e32 v0, v0, v9
	v_and_b32_e32 v57, v57, v8
	v_lshlrev_b32_e32 v9, 24, v56
	v_mov_b32_e32 v8, v1
	v_cmp_gt_i64_e32 vcc, 0, v[8:9]
	v_not_b32_e32 v8, v9
	v_ashrrev_i32_e32 v8, 31, v8
	v_xor_b32_e32 v9, vcc_hi, v8
	v_xor_b32_e32 v8, vcc_lo, v8
	ds_read_b32 v54, v58 offset:64
	v_and_b32_e32 v8, v57, v8
	v_and_b32_e32 v9, v0, v9
	v_mbcnt_lo_u32_b32 v0, v8, 0
	v_mbcnt_hi_u32_b32 v56, v9, v0
	v_cmp_eq_u32_e32 vcc, 0, v56
	v_cmp_ne_u64_e64 s[0:1], 0, v[8:9]
	s_and_b64 s[6:7], s[0:1], vcc
	; wave barrier
	s_and_saveexec_b64 s[0:1], s[6:7]
	s_cbranch_execz .LBB779_227
; %bb.226:
	v_bcnt_u32_b32 v0, v8, 0
	v_bcnt_u32_b32 v0, v9, v0
	s_waitcnt lgkmcnt(0)
	v_add_u32_e32 v0, v54, v0
	ds_write_b32 v58, v0 offset:64
.LBB779_227:
	s_or_b64 exec, exec, s[0:1]
	s_waitcnt vmcnt(4)
	v_lshrrev_b32_e32 v0, s64, v20
	v_and_b32_e32 v59, s14, v0
	v_mul_lo_u32 v0, v59, s4
	v_add_u32_e32 v61, v36, v0
	v_and_b32_e32 v0, 1, v59
	v_lshl_add_u64 v[8:9], v[0:1], 0, -1
	v_cmp_ne_u32_e32 vcc, 0, v0
	; wave barrier
	s_nop 1
	v_xor_b32_e32 v8, vcc_lo, v8
	v_xor_b32_e32 v0, vcc_hi, v9
	v_and_b32_e32 v60, exec_lo, v8
	v_lshlrev_b32_e32 v9, 30, v59
	v_mov_b32_e32 v8, v1
	v_cmp_gt_i64_e32 vcc, 0, v[8:9]
	v_not_b32_e32 v8, v9
	v_ashrrev_i32_e32 v8, 31, v8
	v_and_b32_e32 v0, exec_hi, v0
	v_xor_b32_e32 v9, vcc_hi, v8
	v_xor_b32_e32 v8, vcc_lo, v8
	v_and_b32_e32 v0, v0, v9
	v_and_b32_e32 v60, v60, v8
	v_lshlrev_b32_e32 v9, 29, v59
	v_mov_b32_e32 v8, v1
	v_cmp_gt_i64_e32 vcc, 0, v[8:9]
	v_not_b32_e32 v8, v9
	v_ashrrev_i32_e32 v8, 31, v8
	v_xor_b32_e32 v9, vcc_hi, v8
	v_xor_b32_e32 v8, vcc_lo, v8
	v_and_b32_e32 v0, v0, v9
	v_and_b32_e32 v60, v60, v8
	v_lshlrev_b32_e32 v9, 28, v59
	v_mov_b32_e32 v8, v1
	v_cmp_gt_i64_e32 vcc, 0, v[8:9]
	v_not_b32_e32 v8, v9
	v_ashrrev_i32_e32 v8, 31, v8
	;; [unrolled: 9-line block ×5, first 2 shown]
	v_xor_b32_e32 v9, vcc_hi, v8
	v_xor_b32_e32 v8, vcc_lo, v8
	v_and_b32_e32 v0, v0, v9
	v_lshlrev_b32_e32 v9, 24, v59
	v_and_b32_e32 v60, v60, v8
	v_mov_b32_e32 v8, v1
	v_not_b32_e32 v1, v9
	v_cmp_gt_i64_e32 vcc, 0, v[8:9]
	v_ashrrev_i32_e32 v1, 31, v1
	ds_read_b32 v57, v61 offset:64
	v_xor_b32_e32 v8, vcc_hi, v1
	v_xor_b32_e32 v9, vcc_lo, v1
	v_and_b32_e32 v1, v0, v8
	v_and_b32_e32 v0, v60, v9
	v_mbcnt_lo_u32_b32 v8, v0, 0
	v_mbcnt_hi_u32_b32 v59, v1, v8
	v_cmp_eq_u32_e32 vcc, 0, v59
	v_cmp_ne_u64_e64 s[0:1], 0, v[0:1]
	s_and_b64 s[4:5], s[0:1], vcc
	; wave barrier
	s_and_saveexec_b64 s[0:1], s[4:5]
	s_cbranch_execz .LBB779_229
; %bb.228:
	v_bcnt_u32_b32 v0, v0, 0
	v_bcnt_u32_b32 v0, v1, v0
	s_waitcnt lgkmcnt(0)
	v_add_u32_e32 v0, v57, v0
	ds_write_b32 v61, v0 offset:64
.LBB779_229:
	s_or_b64 exec, exec, s[0:1]
	s_waitcnt vmcnt(3)
	v_lshrrev_b32_e32 v0, s64, v21
	v_and_b32_e32 v62, s14, v0
	s_movk_i32 s4, 0x44
	v_mul_lo_u32 v0, v62, s4
	v_add_u32_e32 v64, v36, v0
	v_and_b32_e32 v0, 1, v62
	v_mov_b32_e32 v1, 0
	v_lshl_add_u64 v[8:9], v[0:1], 0, -1
	v_cmp_ne_u32_e32 vcc, 0, v0
	; wave barrier
	s_nop 1
	v_xor_b32_e32 v8, vcc_lo, v8
	v_xor_b32_e32 v0, vcc_hi, v9
	v_and_b32_e32 v63, exec_lo, v8
	v_lshlrev_b32_e32 v9, 30, v62
	v_mov_b32_e32 v8, v1
	v_cmp_gt_i64_e32 vcc, 0, v[8:9]
	v_not_b32_e32 v8, v9
	v_ashrrev_i32_e32 v8, 31, v8
	v_and_b32_e32 v0, exec_hi, v0
	v_xor_b32_e32 v9, vcc_hi, v8
	v_xor_b32_e32 v8, vcc_lo, v8
	v_and_b32_e32 v0, v0, v9
	v_and_b32_e32 v63, v63, v8
	v_lshlrev_b32_e32 v9, 29, v62
	v_mov_b32_e32 v8, v1
	v_cmp_gt_i64_e32 vcc, 0, v[8:9]
	v_not_b32_e32 v8, v9
	v_ashrrev_i32_e32 v8, 31, v8
	v_xor_b32_e32 v9, vcc_hi, v8
	v_xor_b32_e32 v8, vcc_lo, v8
	v_and_b32_e32 v0, v0, v9
	v_and_b32_e32 v63, v63, v8
	v_lshlrev_b32_e32 v9, 28, v62
	v_mov_b32_e32 v8, v1
	v_cmp_gt_i64_e32 vcc, 0, v[8:9]
	v_not_b32_e32 v8, v9
	v_ashrrev_i32_e32 v8, 31, v8
	;; [unrolled: 9-line block ×6, first 2 shown]
	v_xor_b32_e32 v9, vcc_hi, v8
	v_xor_b32_e32 v8, vcc_lo, v8
	ds_read_b32 v60, v64 offset:64
	v_and_b32_e32 v8, v63, v8
	v_and_b32_e32 v9, v0, v9
	v_mbcnt_lo_u32_b32 v0, v8, 0
	v_mbcnt_hi_u32_b32 v62, v9, v0
	v_cmp_eq_u32_e32 vcc, 0, v62
	v_cmp_ne_u64_e64 s[0:1], 0, v[8:9]
	s_and_b64 s[6:7], s[0:1], vcc
	; wave barrier
	s_and_saveexec_b64 s[0:1], s[6:7]
	s_cbranch_execz .LBB779_231
; %bb.230:
	v_bcnt_u32_b32 v0, v8, 0
	v_bcnt_u32_b32 v0, v9, v0
	s_waitcnt lgkmcnt(0)
	v_add_u32_e32 v0, v60, v0
	ds_write_b32 v64, v0 offset:64
.LBB779_231:
	s_or_b64 exec, exec, s[0:1]
	s_waitcnt vmcnt(2)
	v_lshrrev_b32_e32 v0, s64, v22
	v_and_b32_e32 v65, s14, v0
	v_mul_lo_u32 v0, v65, s4
	v_add_u32_e32 v67, v36, v0
	v_and_b32_e32 v0, 1, v65
	v_lshl_add_u64 v[8:9], v[0:1], 0, -1
	v_cmp_ne_u32_e32 vcc, 0, v0
	; wave barrier
	s_nop 1
	v_xor_b32_e32 v8, vcc_lo, v8
	v_xor_b32_e32 v0, vcc_hi, v9
	v_and_b32_e32 v66, exec_lo, v8
	v_lshlrev_b32_e32 v9, 30, v65
	v_mov_b32_e32 v8, v1
	v_cmp_gt_i64_e32 vcc, 0, v[8:9]
	v_not_b32_e32 v8, v9
	v_ashrrev_i32_e32 v8, 31, v8
	v_and_b32_e32 v0, exec_hi, v0
	v_xor_b32_e32 v9, vcc_hi, v8
	v_xor_b32_e32 v8, vcc_lo, v8
	v_and_b32_e32 v0, v0, v9
	v_and_b32_e32 v66, v66, v8
	v_lshlrev_b32_e32 v9, 29, v65
	v_mov_b32_e32 v8, v1
	v_cmp_gt_i64_e32 vcc, 0, v[8:9]
	v_not_b32_e32 v8, v9
	v_ashrrev_i32_e32 v8, 31, v8
	v_xor_b32_e32 v9, vcc_hi, v8
	v_xor_b32_e32 v8, vcc_lo, v8
	v_and_b32_e32 v0, v0, v9
	v_and_b32_e32 v66, v66, v8
	v_lshlrev_b32_e32 v9, 28, v65
	v_mov_b32_e32 v8, v1
	v_cmp_gt_i64_e32 vcc, 0, v[8:9]
	v_not_b32_e32 v8, v9
	v_ashrrev_i32_e32 v8, 31, v8
	;; [unrolled: 9-line block ×5, first 2 shown]
	v_xor_b32_e32 v9, vcc_hi, v8
	v_xor_b32_e32 v8, vcc_lo, v8
	v_and_b32_e32 v0, v0, v9
	v_lshlrev_b32_e32 v9, 24, v65
	v_and_b32_e32 v66, v66, v8
	v_mov_b32_e32 v8, v1
	v_not_b32_e32 v1, v9
	v_cmp_gt_i64_e32 vcc, 0, v[8:9]
	v_ashrrev_i32_e32 v1, 31, v1
	ds_read_b32 v63, v67 offset:64
	v_xor_b32_e32 v8, vcc_hi, v1
	v_xor_b32_e32 v9, vcc_lo, v1
	v_and_b32_e32 v1, v0, v8
	v_and_b32_e32 v0, v66, v9
	v_mbcnt_lo_u32_b32 v8, v0, 0
	v_mbcnt_hi_u32_b32 v65, v1, v8
	v_cmp_eq_u32_e32 vcc, 0, v65
	v_cmp_ne_u64_e64 s[0:1], 0, v[0:1]
	s_and_b64 s[4:5], s[0:1], vcc
	; wave barrier
	s_and_saveexec_b64 s[0:1], s[4:5]
	s_cbranch_execz .LBB779_233
; %bb.232:
	v_bcnt_u32_b32 v0, v0, 0
	v_bcnt_u32_b32 v0, v1, v0
	s_waitcnt lgkmcnt(0)
	v_add_u32_e32 v0, v63, v0
	ds_write_b32 v67, v0 offset:64
.LBB779_233:
	s_or_b64 exec, exec, s[0:1]
	s_waitcnt vmcnt(1)
	v_lshrrev_b32_e32 v0, s64, v23
	v_and_b32_e32 v68, s14, v0
	s_movk_i32 s4, 0x44
	v_mul_lo_u32 v0, v68, s4
	v_add_u32_e32 v70, v36, v0
	v_and_b32_e32 v0, 1, v68
	v_mov_b32_e32 v1, 0
	v_lshl_add_u64 v[8:9], v[0:1], 0, -1
	v_cmp_ne_u32_e32 vcc, 0, v0
	; wave barrier
	s_nop 1
	v_xor_b32_e32 v8, vcc_lo, v8
	v_xor_b32_e32 v0, vcc_hi, v9
	v_and_b32_e32 v69, exec_lo, v8
	v_lshlrev_b32_e32 v9, 30, v68
	v_mov_b32_e32 v8, v1
	v_cmp_gt_i64_e32 vcc, 0, v[8:9]
	v_not_b32_e32 v8, v9
	v_ashrrev_i32_e32 v8, 31, v8
	v_and_b32_e32 v0, exec_hi, v0
	v_xor_b32_e32 v9, vcc_hi, v8
	v_xor_b32_e32 v8, vcc_lo, v8
	v_and_b32_e32 v0, v0, v9
	v_and_b32_e32 v69, v69, v8
	v_lshlrev_b32_e32 v9, 29, v68
	v_mov_b32_e32 v8, v1
	v_cmp_gt_i64_e32 vcc, 0, v[8:9]
	v_not_b32_e32 v8, v9
	v_ashrrev_i32_e32 v8, 31, v8
	v_xor_b32_e32 v9, vcc_hi, v8
	v_xor_b32_e32 v8, vcc_lo, v8
	v_and_b32_e32 v0, v0, v9
	v_and_b32_e32 v69, v69, v8
	v_lshlrev_b32_e32 v9, 28, v68
	v_mov_b32_e32 v8, v1
	v_cmp_gt_i64_e32 vcc, 0, v[8:9]
	v_not_b32_e32 v8, v9
	v_ashrrev_i32_e32 v8, 31, v8
	;; [unrolled: 9-line block ×6, first 2 shown]
	v_xor_b32_e32 v9, vcc_hi, v8
	v_xor_b32_e32 v8, vcc_lo, v8
	ds_read_b32 v66, v70 offset:64
	v_and_b32_e32 v8, v69, v8
	v_and_b32_e32 v9, v0, v9
	v_mbcnt_lo_u32_b32 v0, v8, 0
	v_mbcnt_hi_u32_b32 v68, v9, v0
	v_cmp_eq_u32_e32 vcc, 0, v68
	v_cmp_ne_u64_e64 s[0:1], 0, v[8:9]
	s_and_b64 s[6:7], s[0:1], vcc
	; wave barrier
	s_and_saveexec_b64 s[0:1], s[6:7]
	s_cbranch_execz .LBB779_235
; %bb.234:
	v_bcnt_u32_b32 v0, v8, 0
	v_bcnt_u32_b32 v0, v9, v0
	s_waitcnt lgkmcnt(0)
	v_add_u32_e32 v0, v66, v0
	ds_write_b32 v70, v0 offset:64
.LBB779_235:
	s_or_b64 exec, exec, s[0:1]
	s_waitcnt vmcnt(0)
	v_lshrrev_b32_e32 v0, s64, v24
	v_and_b32_e32 v71, s14, v0
	v_mul_lo_u32 v0, v71, s4
	v_add_u32_e32 v72, v36, v0
	v_and_b32_e32 v0, 1, v71
	v_lshl_add_u64 v[8:9], v[0:1], 0, -1
	v_cmp_ne_u32_e32 vcc, 0, v0
	; wave barrier
	s_nop 1
	v_xor_b32_e32 v8, vcc_lo, v8
	v_xor_b32_e32 v0, vcc_hi, v9
	v_and_b32_e32 v36, exec_lo, v8
	v_lshlrev_b32_e32 v9, 30, v71
	v_mov_b32_e32 v8, v1
	v_cmp_gt_i64_e32 vcc, 0, v[8:9]
	v_not_b32_e32 v8, v9
	v_ashrrev_i32_e32 v8, 31, v8
	v_and_b32_e32 v0, exec_hi, v0
	v_xor_b32_e32 v9, vcc_hi, v8
	v_xor_b32_e32 v8, vcc_lo, v8
	v_and_b32_e32 v0, v0, v9
	v_and_b32_e32 v36, v36, v8
	v_lshlrev_b32_e32 v9, 29, v71
	v_mov_b32_e32 v8, v1
	v_cmp_gt_i64_e32 vcc, 0, v[8:9]
	v_not_b32_e32 v8, v9
	v_ashrrev_i32_e32 v8, 31, v8
	v_xor_b32_e32 v9, vcc_hi, v8
	v_xor_b32_e32 v8, vcc_lo, v8
	v_and_b32_e32 v0, v0, v9
	v_and_b32_e32 v36, v36, v8
	v_lshlrev_b32_e32 v9, 28, v71
	v_mov_b32_e32 v8, v1
	v_cmp_gt_i64_e32 vcc, 0, v[8:9]
	v_not_b32_e32 v8, v9
	v_ashrrev_i32_e32 v8, 31, v8
	;; [unrolled: 9-line block ×5, first 2 shown]
	v_xor_b32_e32 v9, vcc_hi, v8
	v_xor_b32_e32 v8, vcc_lo, v8
	v_and_b32_e32 v0, v0, v9
	v_lshlrev_b32_e32 v9, 24, v71
	v_and_b32_e32 v36, v36, v8
	v_mov_b32_e32 v8, v1
	v_not_b32_e32 v1, v9
	v_cmp_gt_i64_e32 vcc, 0, v[8:9]
	v_ashrrev_i32_e32 v1, 31, v1
	ds_read_b32 v69, v72 offset:64
	v_xor_b32_e32 v8, vcc_hi, v1
	v_xor_b32_e32 v9, vcc_lo, v1
	v_and_b32_e32 v1, v0, v8
	v_and_b32_e32 v0, v36, v9
	v_mbcnt_lo_u32_b32 v8, v0, 0
	v_mbcnt_hi_u32_b32 v71, v1, v8
	v_cmp_eq_u32_e32 vcc, 0, v71
	v_cmp_ne_u64_e64 s[0:1], 0, v[0:1]
	s_and_b64 s[4:5], s[0:1], vcc
	; wave barrier
	s_and_saveexec_b64 s[0:1], s[4:5]
	s_cbranch_execz .LBB779_237
; %bb.236:
	v_bcnt_u32_b32 v0, v0, 0
	v_bcnt_u32_b32 v0, v1, v0
	s_waitcnt lgkmcnt(0)
	v_add_u32_e32 v0, v69, v0
	ds_write_b32 v72, v0 offset:64
.LBB779_237:
	s_or_b64 exec, exec, s[0:1]
	; wave barrier
	s_waitcnt lgkmcnt(0)
	s_barrier
	ds_read2_b32 v[8:9], v11 offset0:16 offset1:17
	ds_read2_b32 v[0:1], v11 offset0:18 offset1:19
	ds_read_b32 v36, v11 offset:80
	v_cmp_lt_u32_e64 s[8:9], 31, v10
	s_waitcnt lgkmcnt(1)
	v_add3_u32 v73, v9, v8, v0
	s_waitcnt lgkmcnt(0)
	v_add3_u32 v36, v73, v1, v36
	v_and_b32_e32 v73, 15, v10
	v_cmp_eq_u32_e32 vcc, 0, v73
	v_mov_b32_dpp v74, v36 row_shr:1 row_mask:0xf bank_mask:0xf
	v_cmp_lt_u32_e64 s[0:1], 1, v73
	v_cndmask_b32_e64 v74, v74, 0, vcc
	v_add_u32_e32 v36, v74, v36
	v_cmp_lt_u32_e64 s[6:7], 3, v73
	v_cmp_lt_u32_e64 s[4:5], 7, v73
	v_mov_b32_dpp v74, v36 row_shr:2 row_mask:0xf bank_mask:0xf
	v_cndmask_b32_e64 v74, 0, v74, s[0:1]
	v_add_u32_e32 v36, v36, v74
	s_nop 1
	v_mov_b32_dpp v74, v36 row_shr:4 row_mask:0xf bank_mask:0xf
	v_cndmask_b32_e64 v74, 0, v74, s[6:7]
	v_add_u32_e32 v36, v36, v74
	s_nop 1
	v_mov_b32_dpp v74, v36 row_shr:8 row_mask:0xf bank_mask:0xf
	v_cndmask_b32_e64 v73, 0, v74, s[4:5]
	v_add_u32_e32 v36, v36, v73
	v_bfe_i32 v74, v10, 4, 1
	s_nop 0
	v_mov_b32_dpp v73, v36 row_bcast:15 row_mask:0xf bank_mask:0xf
	v_and_b32_e32 v73, v74, v73
	v_add_u32_e32 v36, v36, v73
	v_lshrrev_b32_e32 v74, 6, v2
	s_nop 0
	v_mov_b32_dpp v73, v36 row_bcast:31 row_mask:0xf bank_mask:0xf
	v_cndmask_b32_e64 v73, 0, v73, s[8:9]
	v_add_u32_e32 v73, v36, v73
	v_and_b32_e32 v36, 63, v2
	v_cmp_eq_u32_e64 s[8:9], 63, v36
	s_and_saveexec_b64 s[12:13], s[8:9]
; %bb.238:
	v_lshlrev_b32_e32 v36, 2, v74
	ds_write_b32 v36, v73
; %bb.239:
	s_or_b64 exec, exec, s[12:13]
	v_cmp_gt_u32_e64 s[8:9], 16, v2
	v_lshlrev_b32_e32 v36, 2, v2
	s_waitcnt lgkmcnt(0)
	s_barrier
	s_and_saveexec_b64 s[12:13], s[8:9]
	s_cbranch_execz .LBB779_241
; %bb.240:
	ds_read_b32 v75, v36
	s_waitcnt lgkmcnt(0)
	s_nop 0
	v_mov_b32_dpp v76, v75 row_shr:1 row_mask:0xf bank_mask:0xf
	v_cndmask_b32_e64 v76, v76, 0, vcc
	v_add_u32_e32 v75, v76, v75
	s_nop 1
	v_mov_b32_dpp v76, v75 row_shr:2 row_mask:0xf bank_mask:0xf
	v_cndmask_b32_e64 v76, 0, v76, s[0:1]
	v_add_u32_e32 v75, v75, v76
	s_nop 1
	v_mov_b32_dpp v76, v75 row_shr:4 row_mask:0xf bank_mask:0xf
	v_cndmask_b32_e64 v76, 0, v76, s[6:7]
	v_add_u32_e32 v75, v75, v76
	s_nop 1
	v_mov_b32_dpp v76, v75 row_shr:8 row_mask:0xf bank_mask:0xf
	v_cndmask_b32_e64 v76, 0, v76, s[4:5]
	v_add_u32_e32 v75, v75, v76
	ds_write_b32 v36, v75
.LBB779_241:
	s_or_b64 exec, exec, s[12:13]
	v_cmp_lt_u32_e32 vcc, 63, v2
	v_mov_b32_e32 v75, 0
	s_waitcnt lgkmcnt(0)
	s_barrier
	s_and_saveexec_b64 s[0:1], vcc
; %bb.242:
	v_lshl_add_u32 v74, v74, 2, -4
	ds_read_b32 v75, v74
; %bb.243:
	s_or_b64 exec, exec, s[0:1]
	v_subrev_co_u32_e32 v74, vcc, 1, v10
	v_and_b32_e32 v76, 64, v10
	v_cmp_lt_i32_e64 s[0:1], v74, v76
	s_waitcnt lgkmcnt(0)
	v_add_u32_e32 v73, v75, v73
	s_movk_i32 s4, 0x100
	v_cndmask_b32_e64 v10, v74, v10, s[0:1]
	v_lshlrev_b32_e32 v10, 2, v10
	ds_bpermute_b32 v10, v10, v73
	s_movk_i32 s0, 0xff
	s_waitcnt lgkmcnt(0)
	v_cndmask_b32_e32 v10, v10, v75, vcc
	v_cmp_ne_u32_e32 vcc, 0, v2
	s_nop 1
	v_cndmask_b32_e32 v10, 0, v10, vcc
	v_add_u32_e32 v8, v10, v8
	v_add_u32_e32 v9, v8, v9
	;; [unrolled: 1-line block ×4, first 2 shown]
	ds_write2_b32 v11, v10, v8 offset0:16 offset1:17
	ds_write2_b32 v11, v9, v0 offset0:18 offset1:19
	ds_write_b32 v11, v1 offset:80
	s_waitcnt lgkmcnt(0)
	s_barrier
	ds_read_b32 v73, v31 offset:64
	ds_read_b32 v74, v34 offset:64
	;; [unrolled: 1-line block ×16, first 2 shown]
	v_cmp_lt_u32_e32 vcc, s0, v2
	v_cmp_gt_u32_e64 s[0:1], s4, v2
                                        ; implicit-def: $vgpr29
                                        ; implicit-def: $vgpr31
	s_and_saveexec_b64 s[6:7], s[0:1]
	s_cbranch_execz .LBB779_247
; %bb.244:
	v_mul_u32_u24_e32 v0, 0x44, v2
	ds_read_b32 v29, v0 offset:64
	v_add_u32_e32 v1, 1, v2
	v_cmp_ne_u32_e64 s[4:5], s4, v1
	v_mov_b32_e32 v0, 0x4000
	s_and_saveexec_b64 s[8:9], s[4:5]
; %bb.245:
	v_mul_u32_u24_e32 v0, 0x44, v1
	ds_read_b32 v0, v0 offset:64
; %bb.246:
	s_or_b64 exec, exec, s[8:9]
	s_waitcnt lgkmcnt(0)
	v_sub_u32_e32 v31, v0, v29
.LBB779_247:
	s_or_b64 exec, exec, s[6:7]
	v_mov_b32_e32 v1, 0
	s_waitcnt lgkmcnt(0)
	s_barrier
	s_and_saveexec_b64 s[4:5], s[0:1]
	s_cbranch_execz .LBB779_257
; %bb.248:
	v_lshl_add_u32 v0, s2, 8, v2
	v_lshl_add_u64 v[8:9], v[0:1], 2, s[50:51]
	v_or_b32_e32 v0, 2.0, v31
	s_mov_b64 s[6:7], 0
	s_brev_b32 s15, -4
	s_mov_b32 s16, s2
	v_mov_b32_e32 v52, 0
	global_store_dword v[8:9], v0, off sc1
                                        ; implicit-def: $sgpr0_sgpr1
	s_branch .LBB779_251
.LBB779_249:                            ;   in Loop: Header=BB779_251 Depth=1
	s_or_b64 exec, exec, s[12:13]
.LBB779_250:                            ;   in Loop: Header=BB779_251 Depth=1
	s_or_b64 exec, exec, s[8:9]
	v_and_b32_e32 v10, 0x3fffffff, v0
	v_add_u32_e32 v52, v10, v52
	v_cmp_gt_i32_e64 s[0:1], -2.0, v0
	s_and_b64 s[8:9], exec, s[0:1]
	s_or_b64 s[6:7], s[8:9], s[6:7]
	s_andn2_b64 exec, exec, s[6:7]
	s_cbranch_execz .LBB779_256
.LBB779_251:                            ; =>This Loop Header: Depth=1
                                        ;     Child Loop BB779_254 Depth 2
	s_or_b64 s[0:1], s[0:1], exec
	s_cmp_eq_u32 s16, 0
	s_cbranch_scc1 .LBB779_255
; %bb.252:                              ;   in Loop: Header=BB779_251 Depth=1
	s_add_i32 s16, s16, -1
	v_lshl_or_b32 v0, s16, 8, v2
	v_lshl_add_u64 v[10:11], v[0:1], 2, s[50:51]
	global_load_dword v0, v[10:11], off sc1
	s_waitcnt vmcnt(0)
	v_cmp_gt_u32_e64 s[0:1], 2.0, v0
	s_and_saveexec_b64 s[8:9], s[0:1]
	s_cbranch_execz .LBB779_250
; %bb.253:                              ;   in Loop: Header=BB779_251 Depth=1
	s_mov_b64 s[12:13], 0
.LBB779_254:                            ;   Parent Loop BB779_251 Depth=1
                                        ; =>  This Inner Loop Header: Depth=2
	global_load_dword v0, v[10:11], off sc1
	s_waitcnt vmcnt(0)
	v_cmp_lt_u32_e64 s[0:1], s15, v0
	s_or_b64 s[12:13], s[0:1], s[12:13]
	s_andn2_b64 exec, exec, s[12:13]
	s_cbranch_execnz .LBB779_254
	s_branch .LBB779_249
.LBB779_255:                            ;   in Loop: Header=BB779_251 Depth=1
                                        ; implicit-def: $sgpr16
	s_and_b64 s[8:9], exec, s[0:1]
	s_or_b64 s[6:7], s[8:9], s[6:7]
	s_andn2_b64 exec, exec, s[6:7]
	s_cbranch_execnz .LBB779_251
.LBB779_256:
	s_or_b64 exec, exec, s[6:7]
	v_add_u32_e32 v0, v52, v31
	v_or_b32_e32 v0, 0x80000000, v0
	global_store_dword v[8:9], v0, off sc1
	global_load_dword v0, v36, s[60:61]
	v_sub_u32_e32 v1, v52, v29
	s_waitcnt vmcnt(0)
	v_add_u32_e32 v0, v1, v0
	ds_write_b32 v36, v0
.LBB779_257:
	s_or_b64 exec, exec, s[4:5]
	v_add_u32_e32 v8, v47, v26
	v_add3_u32 v0, v27, v25, v73
	v_add3_u32 v1, v30, v28, v74
	;; [unrolled: 1-line block ×15, first 2 shown]
	v_mov_b32_e32 v85, 0x400
	s_mov_b32 s6, s64
	s_mov_b32 s7, s14
	s_movk_i32 s8, 0x400
	v_lshl_add_u32 v9, v9, 2, v85
	v_add3_u32 v10, v71, v41, v69
	v_lshl_add_u32 v11, v11, 2, v85
	v_add3_u32 v26, v68, v34, v66
	;; [unrolled: 2-line block ×15, first 2 shown]
	v_lshl_add_u32 v27, v8, 2, v85
	s_mov_b32 s9, 0
	s_mov_b32 s12, 0
	s_movk_i32 s13, 0x1000
	v_mov_b32_e32 v1, 0
	s_movk_i32 s15, 0x800
	s_movk_i32 s16, 0xc00
	v_mov_b32_e32 v56, v2
	s_mov_b32 s17, 0
	s_branch .LBB779_259
.LBB779_258:                            ;   in Loop: Header=BB779_259 Depth=1
	s_or_b64 exec, exec, s[4:5]
	s_waitcnt lgkmcnt(0)
	s_barrier
	ds_read2st64_b32 v[62:63], v36 offset0:4 offset1:20
	ds_read2st64_b32 v[64:65], v36 offset0:36 offset1:52
	s_addk_i32 s17, 0xc000
	s_addk_i32 s12, 0xf000
	s_waitcnt lgkmcnt(1)
	v_lshrrev_b32_e32 v57, s64, v62
	v_lshrrev_b32_e32 v0, s6, v63
	v_and_b32_e32 v58, s14, v57
	v_and_b32_e32 v59, s7, v0
	v_lshlrev_b32_e32 v0, 2, v58
	ds_read_b32 v0, v0
	s_waitcnt lgkmcnt(1)
	v_lshrrev_b32_e32 v60, s6, v65
	v_lshrrev_b32_e32 v66, s64, v64
	v_lshlrev_b32_e32 v57, 2, v59
	v_and_b32_e32 v61, s7, v60
	v_and_b32_e32 v60, s14, v66
	v_lshlrev_b32_e32 v66, 2, v60
	v_lshlrev_b32_e32 v67, 2, v61
	ds_read_b32 v57, v57
	ds_read_b32 v68, v66
	;; [unrolled: 1-line block ×3, first 2 shown]
	s_waitcnt lgkmcnt(3)
	v_add_u32_e32 v0, v56, v0
	v_lshl_add_u64 v[66:67], v[0:1], 2, s[54:55]
	s_waitcnt lgkmcnt(2)
	v_add3_u32 v0, v56, v57, s8
	global_store_dword v[66:67], v62, off
	v_lshl_add_u64 v[66:67], v[0:1], 2, s[54:55]
	s_waitcnt lgkmcnt(1)
	v_add3_u32 v0, v56, v68, s15
	global_store_dword v[66:67], v63, off
	;; [unrolled: 4-line block ×3, first 2 shown]
	v_lshl_add_u64 v[62:63], v[0:1], 2, s[54:55]
	global_store_dword v[62:63], v65, off
	scratch_store_dwordx4 off, v[58:61], s9
	s_add_i32 s9, s9, 16
	s_cmp_eq_u32 s17, 0xffff0000
	v_add_u32_e32 v56, 0x1000, v56
	s_barrier
	s_cbranch_scc1 .LBB779_291
.LBB779_259:                            ; =>This Inner Loop Header: Depth=1
	v_add_u32_e32 v0, s12, v8
	v_cmp_gt_u32_e64 s[0:1], s13, v0
	s_and_saveexec_b64 s[4:5], s[0:1]
; %bb.260:                              ;   in Loop: Header=BB779_259 Depth=1
	v_add_u32_e32 v0, s17, v27
	ds_write_b32 v0, v3
; %bb.261:                              ;   in Loop: Header=BB779_259 Depth=1
	s_or_b64 exec, exec, s[4:5]
	v_add_u32_e32 v0, s12, v25
	v_cmp_gt_u32_e64 s[0:1], s13, v0
	s_and_saveexec_b64 s[4:5], s[0:1]
; %bb.262:                              ;   in Loop: Header=BB779_259 Depth=1
	v_add_u32_e32 v0, s17, v30
	ds_write_b32 v0, v5
; %bb.263:                              ;   in Loop: Header=BB779_259 Depth=1
	s_or_b64 exec, exec, s[4:5]
	;; [unrolled: 8-line block ×15, first 2 shown]
	v_add_u32_e32 v0, s12, v10
	v_cmp_gt_u32_e64 s[0:1], s13, v0
	s_and_saveexec_b64 s[4:5], s[0:1]
	s_cbranch_execz .LBB779_258
; %bb.290:                              ;   in Loop: Header=BB779_259 Depth=1
	v_add_u32_e32 v0, s17, v9
	ds_write_b32 v0, v24
	s_branch .LBB779_258
.LBB779_291:
	s_add_u32 s0, s56, s10
	s_addc_u32 s1, s57, s11
	v_mov_b32_e32 v5, 0
	v_lshl_add_u64 v[0:1], s[0:1], 0, v[4:5]
	v_mov_b32_e32 v7, v5
	v_lshl_add_u64 v[22:23], v[0:1], 0, v[6:7]
	global_load_dword v0, v[22:23], off
	global_load_dword v1, v[22:23], off offset:256
	global_load_dword v3, v[22:23], off offset:512
	;; [unrolled: 1-line block ×14, first 2 shown]
	s_nop 0
	global_load_dword v22, v[22:23], off offset:3840
	s_mov_b32 s6, 0
	s_mov_b32 s7, 0
	s_movk_i32 s8, 0x1000
	s_movk_i32 s9, 0x400
	;; [unrolled: 1-line block ×4, first 2 shown]
	s_mov_b32 s12, 0
	s_branch .LBB779_293
.LBB779_292:                            ;   in Loop: Header=BB779_293 Depth=1
	s_or_b64 exec, exec, s[4:5]
	s_waitcnt lgkmcnt(0)
	s_barrier
	scratch_load_dwordx4 v[56:59], off, s6
	ds_read2st64_b32 v[60:61], v36 offset0:4 offset1:20
	ds_read2st64_b32 v[62:63], v36 offset0:36 offset1:52
	s_addk_i32 s12, 0xc000
	s_addk_i32 s7, 0xf000
	s_add_i32 s6, s6, 16
	s_cmp_eq_u32 s12, 0xffff0000
	s_waitcnt vmcnt(0)
	v_lshlrev_b32_e32 v4, 2, v56
	ds_read_b32 v4, v4
	v_lshlrev_b32_e32 v23, 2, v57
	v_lshlrev_b32_e32 v24, 2, v58
	;; [unrolled: 1-line block ×3, first 2 shown]
	ds_read_b32 v23, v23
	ds_read_b32 v24, v24
	ds_read_b32 v58, v56
	s_waitcnt lgkmcnt(3)
	v_add_u32_e32 v4, v2, v4
	v_lshl_add_u64 v[56:57], v[4:5], 2, s[58:59]
	s_waitcnt lgkmcnt(2)
	v_add3_u32 v4, v2, v23, s9
	global_store_dword v[56:57], v60, off
	v_lshl_add_u64 v[56:57], v[4:5], 2, s[58:59]
	s_waitcnt lgkmcnt(1)
	v_add3_u32 v4, v2, v24, s10
	global_store_dword v[56:57], v61, off
	;; [unrolled: 4-line block ×3, first 2 shown]
	v_lshl_add_u64 v[56:57], v[4:5], 2, s[58:59]
	v_add_u32_e32 v2, 0x1000, v2
	global_store_dword v[56:57], v63, off
	s_barrier
	s_cbranch_scc1 .LBB779_325
.LBB779_293:                            ; =>This Inner Loop Header: Depth=1
	v_add_u32_e32 v4, s7, v8
	v_cmp_gt_u32_e64 s[0:1], s8, v4
	s_and_saveexec_b64 s[4:5], s[0:1]
	s_cbranch_execz .LBB779_295
; %bb.294:                              ;   in Loop: Header=BB779_293 Depth=1
	v_add_u32_e32 v4, s12, v27
	s_waitcnt vmcnt(15)
	ds_write_b32 v4, v0
.LBB779_295:                            ;   in Loop: Header=BB779_293 Depth=1
	s_or_b64 exec, exec, s[4:5]
	v_add_u32_e32 v4, s7, v25
	v_cmp_gt_u32_e64 s[0:1], s8, v4
	s_and_saveexec_b64 s[4:5], s[0:1]
	s_cbranch_execz .LBB779_297
; %bb.296:                              ;   in Loop: Header=BB779_293 Depth=1
	v_add_u32_e32 v4, s12, v30
	s_waitcnt vmcnt(14)
	ds_write_b32 v4, v1
.LBB779_297:                            ;   in Loop: Header=BB779_293 Depth=1
	s_or_b64 exec, exec, s[4:5]
	;; [unrolled: 10-line block ×15, first 2 shown]
	v_add_u32_e32 v4, s7, v10
	v_cmp_gt_u32_e64 s[0:1], s8, v4
	s_and_saveexec_b64 s[4:5], s[0:1]
	s_cbranch_execz .LBB779_292
; %bb.324:                              ;   in Loop: Header=BB779_293 Depth=1
	v_add_u32_e32 v4, s12, v9
	s_waitcnt vmcnt(0)
	ds_write_b32 v4, v22
	s_branch .LBB779_292
.LBB779_325:
	s_add_i32 s3, s3, -1
	s_cmp_eq_u32 s2, s3
	s_cselect_b64 s[0:1], -1, 0
	s_xor_b64 s[2:3], vcc, -1
	s_and_b64 s[0:1], s[2:3], s[0:1]
	s_and_saveexec_b64 s[2:3], s[0:1]
	s_cbranch_execz .LBB779_327
; %bb.326:
	ds_read_b32 v0, v36
	s_waitcnt lgkmcnt(0)
	v_add3_u32 v0, v29, v31, v0
	global_store_dword v36, v0, s[62:63]
.LBB779_327:
	s_endpgm
	.section	.rodata,"a",@progbits
	.p2align	6, 0x0
	.amdhsa_kernel _ZN7rocprim17ROCPRIM_400000_NS6detail17trampoline_kernelINS0_14default_configENS1_35radix_sort_onesweep_config_selectorIjjEEZZNS1_29radix_sort_onesweep_iterationIS3_Lb0EN6thrust23THRUST_200600_302600_NS6detail15normal_iteratorINS8_10device_ptrIjEEEESD_SD_SD_jNS0_19identity_decomposerENS1_16block_id_wrapperIjLb0EEEEE10hipError_tT1_PNSt15iterator_traitsISI_E10value_typeET2_T3_PNSJ_ISO_E10value_typeET4_T5_PST_SU_PNS1_23onesweep_lookback_stateEbbT6_jjT7_P12ihipStream_tbENKUlT_T0_SI_SN_E_clISD_SD_SD_SD_EEDaS11_S12_SI_SN_EUlS11_E_NS1_11comp_targetILNS1_3genE6ELNS1_11target_archE950ELNS1_3gpuE13ELNS1_3repE0EEENS1_47radix_sort_onesweep_sort_config_static_selectorELNS0_4arch9wavefront6targetE1EEEvSI_
		.amdhsa_group_segment_fixed_size 20552
		.amdhsa_private_segment_fixed_size 80
		.amdhsa_kernarg_size 344
		.amdhsa_user_sgpr_count 2
		.amdhsa_user_sgpr_dispatch_ptr 0
		.amdhsa_user_sgpr_queue_ptr 0
		.amdhsa_user_sgpr_kernarg_segment_ptr 1
		.amdhsa_user_sgpr_dispatch_id 0
		.amdhsa_user_sgpr_kernarg_preload_length 0
		.amdhsa_user_sgpr_kernarg_preload_offset 0
		.amdhsa_user_sgpr_private_segment_size 0
		.amdhsa_uses_dynamic_stack 0
		.amdhsa_enable_private_segment 1
		.amdhsa_system_sgpr_workgroup_id_x 1
		.amdhsa_system_sgpr_workgroup_id_y 0
		.amdhsa_system_sgpr_workgroup_id_z 0
		.amdhsa_system_sgpr_workgroup_info 0
		.amdhsa_system_vgpr_workitem_id 2
		.amdhsa_next_free_vgpr 88
		.amdhsa_next_free_sgpr 70
		.amdhsa_accum_offset 88
		.amdhsa_reserve_vcc 1
		.amdhsa_float_round_mode_32 0
		.amdhsa_float_round_mode_16_64 0
		.amdhsa_float_denorm_mode_32 3
		.amdhsa_float_denorm_mode_16_64 3
		.amdhsa_dx10_clamp 1
		.amdhsa_ieee_mode 1
		.amdhsa_fp16_overflow 0
		.amdhsa_tg_split 0
		.amdhsa_exception_fp_ieee_invalid_op 0
		.amdhsa_exception_fp_denorm_src 0
		.amdhsa_exception_fp_ieee_div_zero 0
		.amdhsa_exception_fp_ieee_overflow 0
		.amdhsa_exception_fp_ieee_underflow 0
		.amdhsa_exception_fp_ieee_inexact 0
		.amdhsa_exception_int_div_zero 0
	.end_amdhsa_kernel
	.section	.text._ZN7rocprim17ROCPRIM_400000_NS6detail17trampoline_kernelINS0_14default_configENS1_35radix_sort_onesweep_config_selectorIjjEEZZNS1_29radix_sort_onesweep_iterationIS3_Lb0EN6thrust23THRUST_200600_302600_NS6detail15normal_iteratorINS8_10device_ptrIjEEEESD_SD_SD_jNS0_19identity_decomposerENS1_16block_id_wrapperIjLb0EEEEE10hipError_tT1_PNSt15iterator_traitsISI_E10value_typeET2_T3_PNSJ_ISO_E10value_typeET4_T5_PST_SU_PNS1_23onesweep_lookback_stateEbbT6_jjT7_P12ihipStream_tbENKUlT_T0_SI_SN_E_clISD_SD_SD_SD_EEDaS11_S12_SI_SN_EUlS11_E_NS1_11comp_targetILNS1_3genE6ELNS1_11target_archE950ELNS1_3gpuE13ELNS1_3repE0EEENS1_47radix_sort_onesweep_sort_config_static_selectorELNS0_4arch9wavefront6targetE1EEEvSI_,"axG",@progbits,_ZN7rocprim17ROCPRIM_400000_NS6detail17trampoline_kernelINS0_14default_configENS1_35radix_sort_onesweep_config_selectorIjjEEZZNS1_29radix_sort_onesweep_iterationIS3_Lb0EN6thrust23THRUST_200600_302600_NS6detail15normal_iteratorINS8_10device_ptrIjEEEESD_SD_SD_jNS0_19identity_decomposerENS1_16block_id_wrapperIjLb0EEEEE10hipError_tT1_PNSt15iterator_traitsISI_E10value_typeET2_T3_PNSJ_ISO_E10value_typeET4_T5_PST_SU_PNS1_23onesweep_lookback_stateEbbT6_jjT7_P12ihipStream_tbENKUlT_T0_SI_SN_E_clISD_SD_SD_SD_EEDaS11_S12_SI_SN_EUlS11_E_NS1_11comp_targetILNS1_3genE6ELNS1_11target_archE950ELNS1_3gpuE13ELNS1_3repE0EEENS1_47radix_sort_onesweep_sort_config_static_selectorELNS0_4arch9wavefront6targetE1EEEvSI_,comdat
.Lfunc_end779:
	.size	_ZN7rocprim17ROCPRIM_400000_NS6detail17trampoline_kernelINS0_14default_configENS1_35radix_sort_onesweep_config_selectorIjjEEZZNS1_29radix_sort_onesweep_iterationIS3_Lb0EN6thrust23THRUST_200600_302600_NS6detail15normal_iteratorINS8_10device_ptrIjEEEESD_SD_SD_jNS0_19identity_decomposerENS1_16block_id_wrapperIjLb0EEEEE10hipError_tT1_PNSt15iterator_traitsISI_E10value_typeET2_T3_PNSJ_ISO_E10value_typeET4_T5_PST_SU_PNS1_23onesweep_lookback_stateEbbT6_jjT7_P12ihipStream_tbENKUlT_T0_SI_SN_E_clISD_SD_SD_SD_EEDaS11_S12_SI_SN_EUlS11_E_NS1_11comp_targetILNS1_3genE6ELNS1_11target_archE950ELNS1_3gpuE13ELNS1_3repE0EEENS1_47radix_sort_onesweep_sort_config_static_selectorELNS0_4arch9wavefront6targetE1EEEvSI_, .Lfunc_end779-_ZN7rocprim17ROCPRIM_400000_NS6detail17trampoline_kernelINS0_14default_configENS1_35radix_sort_onesweep_config_selectorIjjEEZZNS1_29radix_sort_onesweep_iterationIS3_Lb0EN6thrust23THRUST_200600_302600_NS6detail15normal_iteratorINS8_10device_ptrIjEEEESD_SD_SD_jNS0_19identity_decomposerENS1_16block_id_wrapperIjLb0EEEEE10hipError_tT1_PNSt15iterator_traitsISI_E10value_typeET2_T3_PNSJ_ISO_E10value_typeET4_T5_PST_SU_PNS1_23onesweep_lookback_stateEbbT6_jjT7_P12ihipStream_tbENKUlT_T0_SI_SN_E_clISD_SD_SD_SD_EEDaS11_S12_SI_SN_EUlS11_E_NS1_11comp_targetILNS1_3genE6ELNS1_11target_archE950ELNS1_3gpuE13ELNS1_3repE0EEENS1_47radix_sort_onesweep_sort_config_static_selectorELNS0_4arch9wavefront6targetE1EEEvSI_
                                        ; -- End function
	.set _ZN7rocprim17ROCPRIM_400000_NS6detail17trampoline_kernelINS0_14default_configENS1_35radix_sort_onesweep_config_selectorIjjEEZZNS1_29radix_sort_onesweep_iterationIS3_Lb0EN6thrust23THRUST_200600_302600_NS6detail15normal_iteratorINS8_10device_ptrIjEEEESD_SD_SD_jNS0_19identity_decomposerENS1_16block_id_wrapperIjLb0EEEEE10hipError_tT1_PNSt15iterator_traitsISI_E10value_typeET2_T3_PNSJ_ISO_E10value_typeET4_T5_PST_SU_PNS1_23onesweep_lookback_stateEbbT6_jjT7_P12ihipStream_tbENKUlT_T0_SI_SN_E_clISD_SD_SD_SD_EEDaS11_S12_SI_SN_EUlS11_E_NS1_11comp_targetILNS1_3genE6ELNS1_11target_archE950ELNS1_3gpuE13ELNS1_3repE0EEENS1_47radix_sort_onesweep_sort_config_static_selectorELNS0_4arch9wavefront6targetE1EEEvSI_.num_vgpr, 88
	.set _ZN7rocprim17ROCPRIM_400000_NS6detail17trampoline_kernelINS0_14default_configENS1_35radix_sort_onesweep_config_selectorIjjEEZZNS1_29radix_sort_onesweep_iterationIS3_Lb0EN6thrust23THRUST_200600_302600_NS6detail15normal_iteratorINS8_10device_ptrIjEEEESD_SD_SD_jNS0_19identity_decomposerENS1_16block_id_wrapperIjLb0EEEEE10hipError_tT1_PNSt15iterator_traitsISI_E10value_typeET2_T3_PNSJ_ISO_E10value_typeET4_T5_PST_SU_PNS1_23onesweep_lookback_stateEbbT6_jjT7_P12ihipStream_tbENKUlT_T0_SI_SN_E_clISD_SD_SD_SD_EEDaS11_S12_SI_SN_EUlS11_E_NS1_11comp_targetILNS1_3genE6ELNS1_11target_archE950ELNS1_3gpuE13ELNS1_3repE0EEENS1_47radix_sort_onesweep_sort_config_static_selectorELNS0_4arch9wavefront6targetE1EEEvSI_.num_agpr, 0
	.set _ZN7rocprim17ROCPRIM_400000_NS6detail17trampoline_kernelINS0_14default_configENS1_35radix_sort_onesweep_config_selectorIjjEEZZNS1_29radix_sort_onesweep_iterationIS3_Lb0EN6thrust23THRUST_200600_302600_NS6detail15normal_iteratorINS8_10device_ptrIjEEEESD_SD_SD_jNS0_19identity_decomposerENS1_16block_id_wrapperIjLb0EEEEE10hipError_tT1_PNSt15iterator_traitsISI_E10value_typeET2_T3_PNSJ_ISO_E10value_typeET4_T5_PST_SU_PNS1_23onesweep_lookback_stateEbbT6_jjT7_P12ihipStream_tbENKUlT_T0_SI_SN_E_clISD_SD_SD_SD_EEDaS11_S12_SI_SN_EUlS11_E_NS1_11comp_targetILNS1_3genE6ELNS1_11target_archE950ELNS1_3gpuE13ELNS1_3repE0EEENS1_47radix_sort_onesweep_sort_config_static_selectorELNS0_4arch9wavefront6targetE1EEEvSI_.numbered_sgpr, 70
	.set _ZN7rocprim17ROCPRIM_400000_NS6detail17trampoline_kernelINS0_14default_configENS1_35radix_sort_onesweep_config_selectorIjjEEZZNS1_29radix_sort_onesweep_iterationIS3_Lb0EN6thrust23THRUST_200600_302600_NS6detail15normal_iteratorINS8_10device_ptrIjEEEESD_SD_SD_jNS0_19identity_decomposerENS1_16block_id_wrapperIjLb0EEEEE10hipError_tT1_PNSt15iterator_traitsISI_E10value_typeET2_T3_PNSJ_ISO_E10value_typeET4_T5_PST_SU_PNS1_23onesweep_lookback_stateEbbT6_jjT7_P12ihipStream_tbENKUlT_T0_SI_SN_E_clISD_SD_SD_SD_EEDaS11_S12_SI_SN_EUlS11_E_NS1_11comp_targetILNS1_3genE6ELNS1_11target_archE950ELNS1_3gpuE13ELNS1_3repE0EEENS1_47radix_sort_onesweep_sort_config_static_selectorELNS0_4arch9wavefront6targetE1EEEvSI_.num_named_barrier, 0
	.set _ZN7rocprim17ROCPRIM_400000_NS6detail17trampoline_kernelINS0_14default_configENS1_35radix_sort_onesweep_config_selectorIjjEEZZNS1_29radix_sort_onesweep_iterationIS3_Lb0EN6thrust23THRUST_200600_302600_NS6detail15normal_iteratorINS8_10device_ptrIjEEEESD_SD_SD_jNS0_19identity_decomposerENS1_16block_id_wrapperIjLb0EEEEE10hipError_tT1_PNSt15iterator_traitsISI_E10value_typeET2_T3_PNSJ_ISO_E10value_typeET4_T5_PST_SU_PNS1_23onesweep_lookback_stateEbbT6_jjT7_P12ihipStream_tbENKUlT_T0_SI_SN_E_clISD_SD_SD_SD_EEDaS11_S12_SI_SN_EUlS11_E_NS1_11comp_targetILNS1_3genE6ELNS1_11target_archE950ELNS1_3gpuE13ELNS1_3repE0EEENS1_47radix_sort_onesweep_sort_config_static_selectorELNS0_4arch9wavefront6targetE1EEEvSI_.private_seg_size, 80
	.set _ZN7rocprim17ROCPRIM_400000_NS6detail17trampoline_kernelINS0_14default_configENS1_35radix_sort_onesweep_config_selectorIjjEEZZNS1_29radix_sort_onesweep_iterationIS3_Lb0EN6thrust23THRUST_200600_302600_NS6detail15normal_iteratorINS8_10device_ptrIjEEEESD_SD_SD_jNS0_19identity_decomposerENS1_16block_id_wrapperIjLb0EEEEE10hipError_tT1_PNSt15iterator_traitsISI_E10value_typeET2_T3_PNSJ_ISO_E10value_typeET4_T5_PST_SU_PNS1_23onesweep_lookback_stateEbbT6_jjT7_P12ihipStream_tbENKUlT_T0_SI_SN_E_clISD_SD_SD_SD_EEDaS11_S12_SI_SN_EUlS11_E_NS1_11comp_targetILNS1_3genE6ELNS1_11target_archE950ELNS1_3gpuE13ELNS1_3repE0EEENS1_47radix_sort_onesweep_sort_config_static_selectorELNS0_4arch9wavefront6targetE1EEEvSI_.uses_vcc, 1
	.set _ZN7rocprim17ROCPRIM_400000_NS6detail17trampoline_kernelINS0_14default_configENS1_35radix_sort_onesweep_config_selectorIjjEEZZNS1_29radix_sort_onesweep_iterationIS3_Lb0EN6thrust23THRUST_200600_302600_NS6detail15normal_iteratorINS8_10device_ptrIjEEEESD_SD_SD_jNS0_19identity_decomposerENS1_16block_id_wrapperIjLb0EEEEE10hipError_tT1_PNSt15iterator_traitsISI_E10value_typeET2_T3_PNSJ_ISO_E10value_typeET4_T5_PST_SU_PNS1_23onesweep_lookback_stateEbbT6_jjT7_P12ihipStream_tbENKUlT_T0_SI_SN_E_clISD_SD_SD_SD_EEDaS11_S12_SI_SN_EUlS11_E_NS1_11comp_targetILNS1_3genE6ELNS1_11target_archE950ELNS1_3gpuE13ELNS1_3repE0EEENS1_47radix_sort_onesweep_sort_config_static_selectorELNS0_4arch9wavefront6targetE1EEEvSI_.uses_flat_scratch, 0
	.set _ZN7rocprim17ROCPRIM_400000_NS6detail17trampoline_kernelINS0_14default_configENS1_35radix_sort_onesweep_config_selectorIjjEEZZNS1_29radix_sort_onesweep_iterationIS3_Lb0EN6thrust23THRUST_200600_302600_NS6detail15normal_iteratorINS8_10device_ptrIjEEEESD_SD_SD_jNS0_19identity_decomposerENS1_16block_id_wrapperIjLb0EEEEE10hipError_tT1_PNSt15iterator_traitsISI_E10value_typeET2_T3_PNSJ_ISO_E10value_typeET4_T5_PST_SU_PNS1_23onesweep_lookback_stateEbbT6_jjT7_P12ihipStream_tbENKUlT_T0_SI_SN_E_clISD_SD_SD_SD_EEDaS11_S12_SI_SN_EUlS11_E_NS1_11comp_targetILNS1_3genE6ELNS1_11target_archE950ELNS1_3gpuE13ELNS1_3repE0EEENS1_47radix_sort_onesweep_sort_config_static_selectorELNS0_4arch9wavefront6targetE1EEEvSI_.has_dyn_sized_stack, 0
	.set _ZN7rocprim17ROCPRIM_400000_NS6detail17trampoline_kernelINS0_14default_configENS1_35radix_sort_onesweep_config_selectorIjjEEZZNS1_29radix_sort_onesweep_iterationIS3_Lb0EN6thrust23THRUST_200600_302600_NS6detail15normal_iteratorINS8_10device_ptrIjEEEESD_SD_SD_jNS0_19identity_decomposerENS1_16block_id_wrapperIjLb0EEEEE10hipError_tT1_PNSt15iterator_traitsISI_E10value_typeET2_T3_PNSJ_ISO_E10value_typeET4_T5_PST_SU_PNS1_23onesweep_lookback_stateEbbT6_jjT7_P12ihipStream_tbENKUlT_T0_SI_SN_E_clISD_SD_SD_SD_EEDaS11_S12_SI_SN_EUlS11_E_NS1_11comp_targetILNS1_3genE6ELNS1_11target_archE950ELNS1_3gpuE13ELNS1_3repE0EEENS1_47radix_sort_onesweep_sort_config_static_selectorELNS0_4arch9wavefront6targetE1EEEvSI_.has_recursion, 0
	.set _ZN7rocprim17ROCPRIM_400000_NS6detail17trampoline_kernelINS0_14default_configENS1_35radix_sort_onesweep_config_selectorIjjEEZZNS1_29radix_sort_onesweep_iterationIS3_Lb0EN6thrust23THRUST_200600_302600_NS6detail15normal_iteratorINS8_10device_ptrIjEEEESD_SD_SD_jNS0_19identity_decomposerENS1_16block_id_wrapperIjLb0EEEEE10hipError_tT1_PNSt15iterator_traitsISI_E10value_typeET2_T3_PNSJ_ISO_E10value_typeET4_T5_PST_SU_PNS1_23onesweep_lookback_stateEbbT6_jjT7_P12ihipStream_tbENKUlT_T0_SI_SN_E_clISD_SD_SD_SD_EEDaS11_S12_SI_SN_EUlS11_E_NS1_11comp_targetILNS1_3genE6ELNS1_11target_archE950ELNS1_3gpuE13ELNS1_3repE0EEENS1_47radix_sort_onesweep_sort_config_static_selectorELNS0_4arch9wavefront6targetE1EEEvSI_.has_indirect_call, 0
	.section	.AMDGPU.csdata,"",@progbits
; Kernel info:
; codeLenInByte = 22092
; TotalNumSgprs: 76
; NumVgprs: 88
; NumAgprs: 0
; TotalNumVgprs: 88
; ScratchSize: 80
; MemoryBound: 0
; FloatMode: 240
; IeeeMode: 1
; LDSByteSize: 20552 bytes/workgroup (compile time only)
; SGPRBlocks: 9
; VGPRBlocks: 10
; NumSGPRsForWavesPerEU: 76
; NumVGPRsForWavesPerEU: 88
; AccumOffset: 88
; Occupancy: 5
; WaveLimiterHint : 1
; COMPUTE_PGM_RSRC2:SCRATCH_EN: 1
; COMPUTE_PGM_RSRC2:USER_SGPR: 2
; COMPUTE_PGM_RSRC2:TRAP_HANDLER: 0
; COMPUTE_PGM_RSRC2:TGID_X_EN: 1
; COMPUTE_PGM_RSRC2:TGID_Y_EN: 0
; COMPUTE_PGM_RSRC2:TGID_Z_EN: 0
; COMPUTE_PGM_RSRC2:TIDIG_COMP_CNT: 2
; COMPUTE_PGM_RSRC3_GFX90A:ACCUM_OFFSET: 21
; COMPUTE_PGM_RSRC3_GFX90A:TG_SPLIT: 0
	.section	.text._ZN7rocprim17ROCPRIM_400000_NS6detail17trampoline_kernelINS0_14default_configENS1_35radix_sort_onesweep_config_selectorIjjEEZZNS1_29radix_sort_onesweep_iterationIS3_Lb0EN6thrust23THRUST_200600_302600_NS6detail15normal_iteratorINS8_10device_ptrIjEEEESD_SD_SD_jNS0_19identity_decomposerENS1_16block_id_wrapperIjLb0EEEEE10hipError_tT1_PNSt15iterator_traitsISI_E10value_typeET2_T3_PNSJ_ISO_E10value_typeET4_T5_PST_SU_PNS1_23onesweep_lookback_stateEbbT6_jjT7_P12ihipStream_tbENKUlT_T0_SI_SN_E_clISD_SD_SD_SD_EEDaS11_S12_SI_SN_EUlS11_E_NS1_11comp_targetILNS1_3genE5ELNS1_11target_archE942ELNS1_3gpuE9ELNS1_3repE0EEENS1_47radix_sort_onesweep_sort_config_static_selectorELNS0_4arch9wavefront6targetE1EEEvSI_,"axG",@progbits,_ZN7rocprim17ROCPRIM_400000_NS6detail17trampoline_kernelINS0_14default_configENS1_35radix_sort_onesweep_config_selectorIjjEEZZNS1_29radix_sort_onesweep_iterationIS3_Lb0EN6thrust23THRUST_200600_302600_NS6detail15normal_iteratorINS8_10device_ptrIjEEEESD_SD_SD_jNS0_19identity_decomposerENS1_16block_id_wrapperIjLb0EEEEE10hipError_tT1_PNSt15iterator_traitsISI_E10value_typeET2_T3_PNSJ_ISO_E10value_typeET4_T5_PST_SU_PNS1_23onesweep_lookback_stateEbbT6_jjT7_P12ihipStream_tbENKUlT_T0_SI_SN_E_clISD_SD_SD_SD_EEDaS11_S12_SI_SN_EUlS11_E_NS1_11comp_targetILNS1_3genE5ELNS1_11target_archE942ELNS1_3gpuE9ELNS1_3repE0EEENS1_47radix_sort_onesweep_sort_config_static_selectorELNS0_4arch9wavefront6targetE1EEEvSI_,comdat
	.protected	_ZN7rocprim17ROCPRIM_400000_NS6detail17trampoline_kernelINS0_14default_configENS1_35radix_sort_onesweep_config_selectorIjjEEZZNS1_29radix_sort_onesweep_iterationIS3_Lb0EN6thrust23THRUST_200600_302600_NS6detail15normal_iteratorINS8_10device_ptrIjEEEESD_SD_SD_jNS0_19identity_decomposerENS1_16block_id_wrapperIjLb0EEEEE10hipError_tT1_PNSt15iterator_traitsISI_E10value_typeET2_T3_PNSJ_ISO_E10value_typeET4_T5_PST_SU_PNS1_23onesweep_lookback_stateEbbT6_jjT7_P12ihipStream_tbENKUlT_T0_SI_SN_E_clISD_SD_SD_SD_EEDaS11_S12_SI_SN_EUlS11_E_NS1_11comp_targetILNS1_3genE5ELNS1_11target_archE942ELNS1_3gpuE9ELNS1_3repE0EEENS1_47radix_sort_onesweep_sort_config_static_selectorELNS0_4arch9wavefront6targetE1EEEvSI_ ; -- Begin function _ZN7rocprim17ROCPRIM_400000_NS6detail17trampoline_kernelINS0_14default_configENS1_35radix_sort_onesweep_config_selectorIjjEEZZNS1_29radix_sort_onesweep_iterationIS3_Lb0EN6thrust23THRUST_200600_302600_NS6detail15normal_iteratorINS8_10device_ptrIjEEEESD_SD_SD_jNS0_19identity_decomposerENS1_16block_id_wrapperIjLb0EEEEE10hipError_tT1_PNSt15iterator_traitsISI_E10value_typeET2_T3_PNSJ_ISO_E10value_typeET4_T5_PST_SU_PNS1_23onesweep_lookback_stateEbbT6_jjT7_P12ihipStream_tbENKUlT_T0_SI_SN_E_clISD_SD_SD_SD_EEDaS11_S12_SI_SN_EUlS11_E_NS1_11comp_targetILNS1_3genE5ELNS1_11target_archE942ELNS1_3gpuE9ELNS1_3repE0EEENS1_47radix_sort_onesweep_sort_config_static_selectorELNS0_4arch9wavefront6targetE1EEEvSI_
	.globl	_ZN7rocprim17ROCPRIM_400000_NS6detail17trampoline_kernelINS0_14default_configENS1_35radix_sort_onesweep_config_selectorIjjEEZZNS1_29radix_sort_onesweep_iterationIS3_Lb0EN6thrust23THRUST_200600_302600_NS6detail15normal_iteratorINS8_10device_ptrIjEEEESD_SD_SD_jNS0_19identity_decomposerENS1_16block_id_wrapperIjLb0EEEEE10hipError_tT1_PNSt15iterator_traitsISI_E10value_typeET2_T3_PNSJ_ISO_E10value_typeET4_T5_PST_SU_PNS1_23onesweep_lookback_stateEbbT6_jjT7_P12ihipStream_tbENKUlT_T0_SI_SN_E_clISD_SD_SD_SD_EEDaS11_S12_SI_SN_EUlS11_E_NS1_11comp_targetILNS1_3genE5ELNS1_11target_archE942ELNS1_3gpuE9ELNS1_3repE0EEENS1_47radix_sort_onesweep_sort_config_static_selectorELNS0_4arch9wavefront6targetE1EEEvSI_
	.p2align	8
	.type	_ZN7rocprim17ROCPRIM_400000_NS6detail17trampoline_kernelINS0_14default_configENS1_35radix_sort_onesweep_config_selectorIjjEEZZNS1_29radix_sort_onesweep_iterationIS3_Lb0EN6thrust23THRUST_200600_302600_NS6detail15normal_iteratorINS8_10device_ptrIjEEEESD_SD_SD_jNS0_19identity_decomposerENS1_16block_id_wrapperIjLb0EEEEE10hipError_tT1_PNSt15iterator_traitsISI_E10value_typeET2_T3_PNSJ_ISO_E10value_typeET4_T5_PST_SU_PNS1_23onesweep_lookback_stateEbbT6_jjT7_P12ihipStream_tbENKUlT_T0_SI_SN_E_clISD_SD_SD_SD_EEDaS11_S12_SI_SN_EUlS11_E_NS1_11comp_targetILNS1_3genE5ELNS1_11target_archE942ELNS1_3gpuE9ELNS1_3repE0EEENS1_47radix_sort_onesweep_sort_config_static_selectorELNS0_4arch9wavefront6targetE1EEEvSI_,@function
_ZN7rocprim17ROCPRIM_400000_NS6detail17trampoline_kernelINS0_14default_configENS1_35radix_sort_onesweep_config_selectorIjjEEZZNS1_29radix_sort_onesweep_iterationIS3_Lb0EN6thrust23THRUST_200600_302600_NS6detail15normal_iteratorINS8_10device_ptrIjEEEESD_SD_SD_jNS0_19identity_decomposerENS1_16block_id_wrapperIjLb0EEEEE10hipError_tT1_PNSt15iterator_traitsISI_E10value_typeET2_T3_PNSJ_ISO_E10value_typeET4_T5_PST_SU_PNS1_23onesweep_lookback_stateEbbT6_jjT7_P12ihipStream_tbENKUlT_T0_SI_SN_E_clISD_SD_SD_SD_EEDaS11_S12_SI_SN_EUlS11_E_NS1_11comp_targetILNS1_3genE5ELNS1_11target_archE942ELNS1_3gpuE9ELNS1_3repE0EEENS1_47radix_sort_onesweep_sort_config_static_selectorELNS0_4arch9wavefront6targetE1EEEvSI_: ; @_ZN7rocprim17ROCPRIM_400000_NS6detail17trampoline_kernelINS0_14default_configENS1_35radix_sort_onesweep_config_selectorIjjEEZZNS1_29radix_sort_onesweep_iterationIS3_Lb0EN6thrust23THRUST_200600_302600_NS6detail15normal_iteratorINS8_10device_ptrIjEEEESD_SD_SD_jNS0_19identity_decomposerENS1_16block_id_wrapperIjLb0EEEEE10hipError_tT1_PNSt15iterator_traitsISI_E10value_typeET2_T3_PNSJ_ISO_E10value_typeET4_T5_PST_SU_PNS1_23onesweep_lookback_stateEbbT6_jjT7_P12ihipStream_tbENKUlT_T0_SI_SN_E_clISD_SD_SD_SD_EEDaS11_S12_SI_SN_EUlS11_E_NS1_11comp_targetILNS1_3genE5ELNS1_11target_archE942ELNS1_3gpuE9ELNS1_3repE0EEENS1_47radix_sort_onesweep_sort_config_static_selectorELNS0_4arch9wavefront6targetE1EEEvSI_
; %bb.0:
	.section	.rodata,"a",@progbits
	.p2align	6, 0x0
	.amdhsa_kernel _ZN7rocprim17ROCPRIM_400000_NS6detail17trampoline_kernelINS0_14default_configENS1_35radix_sort_onesweep_config_selectorIjjEEZZNS1_29radix_sort_onesweep_iterationIS3_Lb0EN6thrust23THRUST_200600_302600_NS6detail15normal_iteratorINS8_10device_ptrIjEEEESD_SD_SD_jNS0_19identity_decomposerENS1_16block_id_wrapperIjLb0EEEEE10hipError_tT1_PNSt15iterator_traitsISI_E10value_typeET2_T3_PNSJ_ISO_E10value_typeET4_T5_PST_SU_PNS1_23onesweep_lookback_stateEbbT6_jjT7_P12ihipStream_tbENKUlT_T0_SI_SN_E_clISD_SD_SD_SD_EEDaS11_S12_SI_SN_EUlS11_E_NS1_11comp_targetILNS1_3genE5ELNS1_11target_archE942ELNS1_3gpuE9ELNS1_3repE0EEENS1_47radix_sort_onesweep_sort_config_static_selectorELNS0_4arch9wavefront6targetE1EEEvSI_
		.amdhsa_group_segment_fixed_size 0
		.amdhsa_private_segment_fixed_size 0
		.amdhsa_kernarg_size 88
		.amdhsa_user_sgpr_count 2
		.amdhsa_user_sgpr_dispatch_ptr 0
		.amdhsa_user_sgpr_queue_ptr 0
		.amdhsa_user_sgpr_kernarg_segment_ptr 1
		.amdhsa_user_sgpr_dispatch_id 0
		.amdhsa_user_sgpr_kernarg_preload_length 0
		.amdhsa_user_sgpr_kernarg_preload_offset 0
		.amdhsa_user_sgpr_private_segment_size 0
		.amdhsa_uses_dynamic_stack 0
		.amdhsa_enable_private_segment 0
		.amdhsa_system_sgpr_workgroup_id_x 1
		.amdhsa_system_sgpr_workgroup_id_y 0
		.amdhsa_system_sgpr_workgroup_id_z 0
		.amdhsa_system_sgpr_workgroup_info 0
		.amdhsa_system_vgpr_workitem_id 0
		.amdhsa_next_free_vgpr 1
		.amdhsa_next_free_sgpr 0
		.amdhsa_accum_offset 4
		.amdhsa_reserve_vcc 0
		.amdhsa_float_round_mode_32 0
		.amdhsa_float_round_mode_16_64 0
		.amdhsa_float_denorm_mode_32 3
		.amdhsa_float_denorm_mode_16_64 3
		.amdhsa_dx10_clamp 1
		.amdhsa_ieee_mode 1
		.amdhsa_fp16_overflow 0
		.amdhsa_tg_split 0
		.amdhsa_exception_fp_ieee_invalid_op 0
		.amdhsa_exception_fp_denorm_src 0
		.amdhsa_exception_fp_ieee_div_zero 0
		.amdhsa_exception_fp_ieee_overflow 0
		.amdhsa_exception_fp_ieee_underflow 0
		.amdhsa_exception_fp_ieee_inexact 0
		.amdhsa_exception_int_div_zero 0
	.end_amdhsa_kernel
	.section	.text._ZN7rocprim17ROCPRIM_400000_NS6detail17trampoline_kernelINS0_14default_configENS1_35radix_sort_onesweep_config_selectorIjjEEZZNS1_29radix_sort_onesweep_iterationIS3_Lb0EN6thrust23THRUST_200600_302600_NS6detail15normal_iteratorINS8_10device_ptrIjEEEESD_SD_SD_jNS0_19identity_decomposerENS1_16block_id_wrapperIjLb0EEEEE10hipError_tT1_PNSt15iterator_traitsISI_E10value_typeET2_T3_PNSJ_ISO_E10value_typeET4_T5_PST_SU_PNS1_23onesweep_lookback_stateEbbT6_jjT7_P12ihipStream_tbENKUlT_T0_SI_SN_E_clISD_SD_SD_SD_EEDaS11_S12_SI_SN_EUlS11_E_NS1_11comp_targetILNS1_3genE5ELNS1_11target_archE942ELNS1_3gpuE9ELNS1_3repE0EEENS1_47radix_sort_onesweep_sort_config_static_selectorELNS0_4arch9wavefront6targetE1EEEvSI_,"axG",@progbits,_ZN7rocprim17ROCPRIM_400000_NS6detail17trampoline_kernelINS0_14default_configENS1_35radix_sort_onesweep_config_selectorIjjEEZZNS1_29radix_sort_onesweep_iterationIS3_Lb0EN6thrust23THRUST_200600_302600_NS6detail15normal_iteratorINS8_10device_ptrIjEEEESD_SD_SD_jNS0_19identity_decomposerENS1_16block_id_wrapperIjLb0EEEEE10hipError_tT1_PNSt15iterator_traitsISI_E10value_typeET2_T3_PNSJ_ISO_E10value_typeET4_T5_PST_SU_PNS1_23onesweep_lookback_stateEbbT6_jjT7_P12ihipStream_tbENKUlT_T0_SI_SN_E_clISD_SD_SD_SD_EEDaS11_S12_SI_SN_EUlS11_E_NS1_11comp_targetILNS1_3genE5ELNS1_11target_archE942ELNS1_3gpuE9ELNS1_3repE0EEENS1_47radix_sort_onesweep_sort_config_static_selectorELNS0_4arch9wavefront6targetE1EEEvSI_,comdat
.Lfunc_end780:
	.size	_ZN7rocprim17ROCPRIM_400000_NS6detail17trampoline_kernelINS0_14default_configENS1_35radix_sort_onesweep_config_selectorIjjEEZZNS1_29radix_sort_onesweep_iterationIS3_Lb0EN6thrust23THRUST_200600_302600_NS6detail15normal_iteratorINS8_10device_ptrIjEEEESD_SD_SD_jNS0_19identity_decomposerENS1_16block_id_wrapperIjLb0EEEEE10hipError_tT1_PNSt15iterator_traitsISI_E10value_typeET2_T3_PNSJ_ISO_E10value_typeET4_T5_PST_SU_PNS1_23onesweep_lookback_stateEbbT6_jjT7_P12ihipStream_tbENKUlT_T0_SI_SN_E_clISD_SD_SD_SD_EEDaS11_S12_SI_SN_EUlS11_E_NS1_11comp_targetILNS1_3genE5ELNS1_11target_archE942ELNS1_3gpuE9ELNS1_3repE0EEENS1_47radix_sort_onesweep_sort_config_static_selectorELNS0_4arch9wavefront6targetE1EEEvSI_, .Lfunc_end780-_ZN7rocprim17ROCPRIM_400000_NS6detail17trampoline_kernelINS0_14default_configENS1_35radix_sort_onesweep_config_selectorIjjEEZZNS1_29radix_sort_onesweep_iterationIS3_Lb0EN6thrust23THRUST_200600_302600_NS6detail15normal_iteratorINS8_10device_ptrIjEEEESD_SD_SD_jNS0_19identity_decomposerENS1_16block_id_wrapperIjLb0EEEEE10hipError_tT1_PNSt15iterator_traitsISI_E10value_typeET2_T3_PNSJ_ISO_E10value_typeET4_T5_PST_SU_PNS1_23onesweep_lookback_stateEbbT6_jjT7_P12ihipStream_tbENKUlT_T0_SI_SN_E_clISD_SD_SD_SD_EEDaS11_S12_SI_SN_EUlS11_E_NS1_11comp_targetILNS1_3genE5ELNS1_11target_archE942ELNS1_3gpuE9ELNS1_3repE0EEENS1_47radix_sort_onesweep_sort_config_static_selectorELNS0_4arch9wavefront6targetE1EEEvSI_
                                        ; -- End function
	.set _ZN7rocprim17ROCPRIM_400000_NS6detail17trampoline_kernelINS0_14default_configENS1_35radix_sort_onesweep_config_selectorIjjEEZZNS1_29radix_sort_onesweep_iterationIS3_Lb0EN6thrust23THRUST_200600_302600_NS6detail15normal_iteratorINS8_10device_ptrIjEEEESD_SD_SD_jNS0_19identity_decomposerENS1_16block_id_wrapperIjLb0EEEEE10hipError_tT1_PNSt15iterator_traitsISI_E10value_typeET2_T3_PNSJ_ISO_E10value_typeET4_T5_PST_SU_PNS1_23onesweep_lookback_stateEbbT6_jjT7_P12ihipStream_tbENKUlT_T0_SI_SN_E_clISD_SD_SD_SD_EEDaS11_S12_SI_SN_EUlS11_E_NS1_11comp_targetILNS1_3genE5ELNS1_11target_archE942ELNS1_3gpuE9ELNS1_3repE0EEENS1_47radix_sort_onesweep_sort_config_static_selectorELNS0_4arch9wavefront6targetE1EEEvSI_.num_vgpr, 0
	.set _ZN7rocprim17ROCPRIM_400000_NS6detail17trampoline_kernelINS0_14default_configENS1_35radix_sort_onesweep_config_selectorIjjEEZZNS1_29radix_sort_onesweep_iterationIS3_Lb0EN6thrust23THRUST_200600_302600_NS6detail15normal_iteratorINS8_10device_ptrIjEEEESD_SD_SD_jNS0_19identity_decomposerENS1_16block_id_wrapperIjLb0EEEEE10hipError_tT1_PNSt15iterator_traitsISI_E10value_typeET2_T3_PNSJ_ISO_E10value_typeET4_T5_PST_SU_PNS1_23onesweep_lookback_stateEbbT6_jjT7_P12ihipStream_tbENKUlT_T0_SI_SN_E_clISD_SD_SD_SD_EEDaS11_S12_SI_SN_EUlS11_E_NS1_11comp_targetILNS1_3genE5ELNS1_11target_archE942ELNS1_3gpuE9ELNS1_3repE0EEENS1_47radix_sort_onesweep_sort_config_static_selectorELNS0_4arch9wavefront6targetE1EEEvSI_.num_agpr, 0
	.set _ZN7rocprim17ROCPRIM_400000_NS6detail17trampoline_kernelINS0_14default_configENS1_35radix_sort_onesweep_config_selectorIjjEEZZNS1_29radix_sort_onesweep_iterationIS3_Lb0EN6thrust23THRUST_200600_302600_NS6detail15normal_iteratorINS8_10device_ptrIjEEEESD_SD_SD_jNS0_19identity_decomposerENS1_16block_id_wrapperIjLb0EEEEE10hipError_tT1_PNSt15iterator_traitsISI_E10value_typeET2_T3_PNSJ_ISO_E10value_typeET4_T5_PST_SU_PNS1_23onesweep_lookback_stateEbbT6_jjT7_P12ihipStream_tbENKUlT_T0_SI_SN_E_clISD_SD_SD_SD_EEDaS11_S12_SI_SN_EUlS11_E_NS1_11comp_targetILNS1_3genE5ELNS1_11target_archE942ELNS1_3gpuE9ELNS1_3repE0EEENS1_47radix_sort_onesweep_sort_config_static_selectorELNS0_4arch9wavefront6targetE1EEEvSI_.numbered_sgpr, 0
	.set _ZN7rocprim17ROCPRIM_400000_NS6detail17trampoline_kernelINS0_14default_configENS1_35radix_sort_onesweep_config_selectorIjjEEZZNS1_29radix_sort_onesweep_iterationIS3_Lb0EN6thrust23THRUST_200600_302600_NS6detail15normal_iteratorINS8_10device_ptrIjEEEESD_SD_SD_jNS0_19identity_decomposerENS1_16block_id_wrapperIjLb0EEEEE10hipError_tT1_PNSt15iterator_traitsISI_E10value_typeET2_T3_PNSJ_ISO_E10value_typeET4_T5_PST_SU_PNS1_23onesweep_lookback_stateEbbT6_jjT7_P12ihipStream_tbENKUlT_T0_SI_SN_E_clISD_SD_SD_SD_EEDaS11_S12_SI_SN_EUlS11_E_NS1_11comp_targetILNS1_3genE5ELNS1_11target_archE942ELNS1_3gpuE9ELNS1_3repE0EEENS1_47radix_sort_onesweep_sort_config_static_selectorELNS0_4arch9wavefront6targetE1EEEvSI_.num_named_barrier, 0
	.set _ZN7rocprim17ROCPRIM_400000_NS6detail17trampoline_kernelINS0_14default_configENS1_35radix_sort_onesweep_config_selectorIjjEEZZNS1_29radix_sort_onesweep_iterationIS3_Lb0EN6thrust23THRUST_200600_302600_NS6detail15normal_iteratorINS8_10device_ptrIjEEEESD_SD_SD_jNS0_19identity_decomposerENS1_16block_id_wrapperIjLb0EEEEE10hipError_tT1_PNSt15iterator_traitsISI_E10value_typeET2_T3_PNSJ_ISO_E10value_typeET4_T5_PST_SU_PNS1_23onesweep_lookback_stateEbbT6_jjT7_P12ihipStream_tbENKUlT_T0_SI_SN_E_clISD_SD_SD_SD_EEDaS11_S12_SI_SN_EUlS11_E_NS1_11comp_targetILNS1_3genE5ELNS1_11target_archE942ELNS1_3gpuE9ELNS1_3repE0EEENS1_47radix_sort_onesweep_sort_config_static_selectorELNS0_4arch9wavefront6targetE1EEEvSI_.private_seg_size, 0
	.set _ZN7rocprim17ROCPRIM_400000_NS6detail17trampoline_kernelINS0_14default_configENS1_35radix_sort_onesweep_config_selectorIjjEEZZNS1_29radix_sort_onesweep_iterationIS3_Lb0EN6thrust23THRUST_200600_302600_NS6detail15normal_iteratorINS8_10device_ptrIjEEEESD_SD_SD_jNS0_19identity_decomposerENS1_16block_id_wrapperIjLb0EEEEE10hipError_tT1_PNSt15iterator_traitsISI_E10value_typeET2_T3_PNSJ_ISO_E10value_typeET4_T5_PST_SU_PNS1_23onesweep_lookback_stateEbbT6_jjT7_P12ihipStream_tbENKUlT_T0_SI_SN_E_clISD_SD_SD_SD_EEDaS11_S12_SI_SN_EUlS11_E_NS1_11comp_targetILNS1_3genE5ELNS1_11target_archE942ELNS1_3gpuE9ELNS1_3repE0EEENS1_47radix_sort_onesweep_sort_config_static_selectorELNS0_4arch9wavefront6targetE1EEEvSI_.uses_vcc, 0
	.set _ZN7rocprim17ROCPRIM_400000_NS6detail17trampoline_kernelINS0_14default_configENS1_35radix_sort_onesweep_config_selectorIjjEEZZNS1_29radix_sort_onesweep_iterationIS3_Lb0EN6thrust23THRUST_200600_302600_NS6detail15normal_iteratorINS8_10device_ptrIjEEEESD_SD_SD_jNS0_19identity_decomposerENS1_16block_id_wrapperIjLb0EEEEE10hipError_tT1_PNSt15iterator_traitsISI_E10value_typeET2_T3_PNSJ_ISO_E10value_typeET4_T5_PST_SU_PNS1_23onesweep_lookback_stateEbbT6_jjT7_P12ihipStream_tbENKUlT_T0_SI_SN_E_clISD_SD_SD_SD_EEDaS11_S12_SI_SN_EUlS11_E_NS1_11comp_targetILNS1_3genE5ELNS1_11target_archE942ELNS1_3gpuE9ELNS1_3repE0EEENS1_47radix_sort_onesweep_sort_config_static_selectorELNS0_4arch9wavefront6targetE1EEEvSI_.uses_flat_scratch, 0
	.set _ZN7rocprim17ROCPRIM_400000_NS6detail17trampoline_kernelINS0_14default_configENS1_35radix_sort_onesweep_config_selectorIjjEEZZNS1_29radix_sort_onesweep_iterationIS3_Lb0EN6thrust23THRUST_200600_302600_NS6detail15normal_iteratorINS8_10device_ptrIjEEEESD_SD_SD_jNS0_19identity_decomposerENS1_16block_id_wrapperIjLb0EEEEE10hipError_tT1_PNSt15iterator_traitsISI_E10value_typeET2_T3_PNSJ_ISO_E10value_typeET4_T5_PST_SU_PNS1_23onesweep_lookback_stateEbbT6_jjT7_P12ihipStream_tbENKUlT_T0_SI_SN_E_clISD_SD_SD_SD_EEDaS11_S12_SI_SN_EUlS11_E_NS1_11comp_targetILNS1_3genE5ELNS1_11target_archE942ELNS1_3gpuE9ELNS1_3repE0EEENS1_47radix_sort_onesweep_sort_config_static_selectorELNS0_4arch9wavefront6targetE1EEEvSI_.has_dyn_sized_stack, 0
	.set _ZN7rocprim17ROCPRIM_400000_NS6detail17trampoline_kernelINS0_14default_configENS1_35radix_sort_onesweep_config_selectorIjjEEZZNS1_29radix_sort_onesweep_iterationIS3_Lb0EN6thrust23THRUST_200600_302600_NS6detail15normal_iteratorINS8_10device_ptrIjEEEESD_SD_SD_jNS0_19identity_decomposerENS1_16block_id_wrapperIjLb0EEEEE10hipError_tT1_PNSt15iterator_traitsISI_E10value_typeET2_T3_PNSJ_ISO_E10value_typeET4_T5_PST_SU_PNS1_23onesweep_lookback_stateEbbT6_jjT7_P12ihipStream_tbENKUlT_T0_SI_SN_E_clISD_SD_SD_SD_EEDaS11_S12_SI_SN_EUlS11_E_NS1_11comp_targetILNS1_3genE5ELNS1_11target_archE942ELNS1_3gpuE9ELNS1_3repE0EEENS1_47radix_sort_onesweep_sort_config_static_selectorELNS0_4arch9wavefront6targetE1EEEvSI_.has_recursion, 0
	.set _ZN7rocprim17ROCPRIM_400000_NS6detail17trampoline_kernelINS0_14default_configENS1_35radix_sort_onesweep_config_selectorIjjEEZZNS1_29radix_sort_onesweep_iterationIS3_Lb0EN6thrust23THRUST_200600_302600_NS6detail15normal_iteratorINS8_10device_ptrIjEEEESD_SD_SD_jNS0_19identity_decomposerENS1_16block_id_wrapperIjLb0EEEEE10hipError_tT1_PNSt15iterator_traitsISI_E10value_typeET2_T3_PNSJ_ISO_E10value_typeET4_T5_PST_SU_PNS1_23onesweep_lookback_stateEbbT6_jjT7_P12ihipStream_tbENKUlT_T0_SI_SN_E_clISD_SD_SD_SD_EEDaS11_S12_SI_SN_EUlS11_E_NS1_11comp_targetILNS1_3genE5ELNS1_11target_archE942ELNS1_3gpuE9ELNS1_3repE0EEENS1_47radix_sort_onesweep_sort_config_static_selectorELNS0_4arch9wavefront6targetE1EEEvSI_.has_indirect_call, 0
	.section	.AMDGPU.csdata,"",@progbits
; Kernel info:
; codeLenInByte = 0
; TotalNumSgprs: 6
; NumVgprs: 0
; NumAgprs: 0
; TotalNumVgprs: 0
; ScratchSize: 0
; MemoryBound: 0
; FloatMode: 240
; IeeeMode: 1
; LDSByteSize: 0 bytes/workgroup (compile time only)
; SGPRBlocks: 0
; VGPRBlocks: 0
; NumSGPRsForWavesPerEU: 6
; NumVGPRsForWavesPerEU: 1
; AccumOffset: 4
; Occupancy: 8
; WaveLimiterHint : 0
; COMPUTE_PGM_RSRC2:SCRATCH_EN: 0
; COMPUTE_PGM_RSRC2:USER_SGPR: 2
; COMPUTE_PGM_RSRC2:TRAP_HANDLER: 0
; COMPUTE_PGM_RSRC2:TGID_X_EN: 1
; COMPUTE_PGM_RSRC2:TGID_Y_EN: 0
; COMPUTE_PGM_RSRC2:TGID_Z_EN: 0
; COMPUTE_PGM_RSRC2:TIDIG_COMP_CNT: 0
; COMPUTE_PGM_RSRC3_GFX90A:ACCUM_OFFSET: 0
; COMPUTE_PGM_RSRC3_GFX90A:TG_SPLIT: 0
	.section	.text._ZN7rocprim17ROCPRIM_400000_NS6detail17trampoline_kernelINS0_14default_configENS1_35radix_sort_onesweep_config_selectorIjjEEZZNS1_29radix_sort_onesweep_iterationIS3_Lb0EN6thrust23THRUST_200600_302600_NS6detail15normal_iteratorINS8_10device_ptrIjEEEESD_SD_SD_jNS0_19identity_decomposerENS1_16block_id_wrapperIjLb0EEEEE10hipError_tT1_PNSt15iterator_traitsISI_E10value_typeET2_T3_PNSJ_ISO_E10value_typeET4_T5_PST_SU_PNS1_23onesweep_lookback_stateEbbT6_jjT7_P12ihipStream_tbENKUlT_T0_SI_SN_E_clISD_SD_SD_SD_EEDaS11_S12_SI_SN_EUlS11_E_NS1_11comp_targetILNS1_3genE2ELNS1_11target_archE906ELNS1_3gpuE6ELNS1_3repE0EEENS1_47radix_sort_onesweep_sort_config_static_selectorELNS0_4arch9wavefront6targetE1EEEvSI_,"axG",@progbits,_ZN7rocprim17ROCPRIM_400000_NS6detail17trampoline_kernelINS0_14default_configENS1_35radix_sort_onesweep_config_selectorIjjEEZZNS1_29radix_sort_onesweep_iterationIS3_Lb0EN6thrust23THRUST_200600_302600_NS6detail15normal_iteratorINS8_10device_ptrIjEEEESD_SD_SD_jNS0_19identity_decomposerENS1_16block_id_wrapperIjLb0EEEEE10hipError_tT1_PNSt15iterator_traitsISI_E10value_typeET2_T3_PNSJ_ISO_E10value_typeET4_T5_PST_SU_PNS1_23onesweep_lookback_stateEbbT6_jjT7_P12ihipStream_tbENKUlT_T0_SI_SN_E_clISD_SD_SD_SD_EEDaS11_S12_SI_SN_EUlS11_E_NS1_11comp_targetILNS1_3genE2ELNS1_11target_archE906ELNS1_3gpuE6ELNS1_3repE0EEENS1_47radix_sort_onesweep_sort_config_static_selectorELNS0_4arch9wavefront6targetE1EEEvSI_,comdat
	.protected	_ZN7rocprim17ROCPRIM_400000_NS6detail17trampoline_kernelINS0_14default_configENS1_35radix_sort_onesweep_config_selectorIjjEEZZNS1_29radix_sort_onesweep_iterationIS3_Lb0EN6thrust23THRUST_200600_302600_NS6detail15normal_iteratorINS8_10device_ptrIjEEEESD_SD_SD_jNS0_19identity_decomposerENS1_16block_id_wrapperIjLb0EEEEE10hipError_tT1_PNSt15iterator_traitsISI_E10value_typeET2_T3_PNSJ_ISO_E10value_typeET4_T5_PST_SU_PNS1_23onesweep_lookback_stateEbbT6_jjT7_P12ihipStream_tbENKUlT_T0_SI_SN_E_clISD_SD_SD_SD_EEDaS11_S12_SI_SN_EUlS11_E_NS1_11comp_targetILNS1_3genE2ELNS1_11target_archE906ELNS1_3gpuE6ELNS1_3repE0EEENS1_47radix_sort_onesweep_sort_config_static_selectorELNS0_4arch9wavefront6targetE1EEEvSI_ ; -- Begin function _ZN7rocprim17ROCPRIM_400000_NS6detail17trampoline_kernelINS0_14default_configENS1_35radix_sort_onesweep_config_selectorIjjEEZZNS1_29radix_sort_onesweep_iterationIS3_Lb0EN6thrust23THRUST_200600_302600_NS6detail15normal_iteratorINS8_10device_ptrIjEEEESD_SD_SD_jNS0_19identity_decomposerENS1_16block_id_wrapperIjLb0EEEEE10hipError_tT1_PNSt15iterator_traitsISI_E10value_typeET2_T3_PNSJ_ISO_E10value_typeET4_T5_PST_SU_PNS1_23onesweep_lookback_stateEbbT6_jjT7_P12ihipStream_tbENKUlT_T0_SI_SN_E_clISD_SD_SD_SD_EEDaS11_S12_SI_SN_EUlS11_E_NS1_11comp_targetILNS1_3genE2ELNS1_11target_archE906ELNS1_3gpuE6ELNS1_3repE0EEENS1_47radix_sort_onesweep_sort_config_static_selectorELNS0_4arch9wavefront6targetE1EEEvSI_
	.globl	_ZN7rocprim17ROCPRIM_400000_NS6detail17trampoline_kernelINS0_14default_configENS1_35radix_sort_onesweep_config_selectorIjjEEZZNS1_29radix_sort_onesweep_iterationIS3_Lb0EN6thrust23THRUST_200600_302600_NS6detail15normal_iteratorINS8_10device_ptrIjEEEESD_SD_SD_jNS0_19identity_decomposerENS1_16block_id_wrapperIjLb0EEEEE10hipError_tT1_PNSt15iterator_traitsISI_E10value_typeET2_T3_PNSJ_ISO_E10value_typeET4_T5_PST_SU_PNS1_23onesweep_lookback_stateEbbT6_jjT7_P12ihipStream_tbENKUlT_T0_SI_SN_E_clISD_SD_SD_SD_EEDaS11_S12_SI_SN_EUlS11_E_NS1_11comp_targetILNS1_3genE2ELNS1_11target_archE906ELNS1_3gpuE6ELNS1_3repE0EEENS1_47radix_sort_onesweep_sort_config_static_selectorELNS0_4arch9wavefront6targetE1EEEvSI_
	.p2align	8
	.type	_ZN7rocprim17ROCPRIM_400000_NS6detail17trampoline_kernelINS0_14default_configENS1_35radix_sort_onesweep_config_selectorIjjEEZZNS1_29radix_sort_onesweep_iterationIS3_Lb0EN6thrust23THRUST_200600_302600_NS6detail15normal_iteratorINS8_10device_ptrIjEEEESD_SD_SD_jNS0_19identity_decomposerENS1_16block_id_wrapperIjLb0EEEEE10hipError_tT1_PNSt15iterator_traitsISI_E10value_typeET2_T3_PNSJ_ISO_E10value_typeET4_T5_PST_SU_PNS1_23onesweep_lookback_stateEbbT6_jjT7_P12ihipStream_tbENKUlT_T0_SI_SN_E_clISD_SD_SD_SD_EEDaS11_S12_SI_SN_EUlS11_E_NS1_11comp_targetILNS1_3genE2ELNS1_11target_archE906ELNS1_3gpuE6ELNS1_3repE0EEENS1_47radix_sort_onesweep_sort_config_static_selectorELNS0_4arch9wavefront6targetE1EEEvSI_,@function
_ZN7rocprim17ROCPRIM_400000_NS6detail17trampoline_kernelINS0_14default_configENS1_35radix_sort_onesweep_config_selectorIjjEEZZNS1_29radix_sort_onesweep_iterationIS3_Lb0EN6thrust23THRUST_200600_302600_NS6detail15normal_iteratorINS8_10device_ptrIjEEEESD_SD_SD_jNS0_19identity_decomposerENS1_16block_id_wrapperIjLb0EEEEE10hipError_tT1_PNSt15iterator_traitsISI_E10value_typeET2_T3_PNSJ_ISO_E10value_typeET4_T5_PST_SU_PNS1_23onesweep_lookback_stateEbbT6_jjT7_P12ihipStream_tbENKUlT_T0_SI_SN_E_clISD_SD_SD_SD_EEDaS11_S12_SI_SN_EUlS11_E_NS1_11comp_targetILNS1_3genE2ELNS1_11target_archE906ELNS1_3gpuE6ELNS1_3repE0EEENS1_47radix_sort_onesweep_sort_config_static_selectorELNS0_4arch9wavefront6targetE1EEEvSI_: ; @_ZN7rocprim17ROCPRIM_400000_NS6detail17trampoline_kernelINS0_14default_configENS1_35radix_sort_onesweep_config_selectorIjjEEZZNS1_29radix_sort_onesweep_iterationIS3_Lb0EN6thrust23THRUST_200600_302600_NS6detail15normal_iteratorINS8_10device_ptrIjEEEESD_SD_SD_jNS0_19identity_decomposerENS1_16block_id_wrapperIjLb0EEEEE10hipError_tT1_PNSt15iterator_traitsISI_E10value_typeET2_T3_PNSJ_ISO_E10value_typeET4_T5_PST_SU_PNS1_23onesweep_lookback_stateEbbT6_jjT7_P12ihipStream_tbENKUlT_T0_SI_SN_E_clISD_SD_SD_SD_EEDaS11_S12_SI_SN_EUlS11_E_NS1_11comp_targetILNS1_3genE2ELNS1_11target_archE906ELNS1_3gpuE6ELNS1_3repE0EEENS1_47radix_sort_onesweep_sort_config_static_selectorELNS0_4arch9wavefront6targetE1EEEvSI_
; %bb.0:
	.section	.rodata,"a",@progbits
	.p2align	6, 0x0
	.amdhsa_kernel _ZN7rocprim17ROCPRIM_400000_NS6detail17trampoline_kernelINS0_14default_configENS1_35radix_sort_onesweep_config_selectorIjjEEZZNS1_29radix_sort_onesweep_iterationIS3_Lb0EN6thrust23THRUST_200600_302600_NS6detail15normal_iteratorINS8_10device_ptrIjEEEESD_SD_SD_jNS0_19identity_decomposerENS1_16block_id_wrapperIjLb0EEEEE10hipError_tT1_PNSt15iterator_traitsISI_E10value_typeET2_T3_PNSJ_ISO_E10value_typeET4_T5_PST_SU_PNS1_23onesweep_lookback_stateEbbT6_jjT7_P12ihipStream_tbENKUlT_T0_SI_SN_E_clISD_SD_SD_SD_EEDaS11_S12_SI_SN_EUlS11_E_NS1_11comp_targetILNS1_3genE2ELNS1_11target_archE906ELNS1_3gpuE6ELNS1_3repE0EEENS1_47radix_sort_onesweep_sort_config_static_selectorELNS0_4arch9wavefront6targetE1EEEvSI_
		.amdhsa_group_segment_fixed_size 0
		.amdhsa_private_segment_fixed_size 0
		.amdhsa_kernarg_size 88
		.amdhsa_user_sgpr_count 2
		.amdhsa_user_sgpr_dispatch_ptr 0
		.amdhsa_user_sgpr_queue_ptr 0
		.amdhsa_user_sgpr_kernarg_segment_ptr 1
		.amdhsa_user_sgpr_dispatch_id 0
		.amdhsa_user_sgpr_kernarg_preload_length 0
		.amdhsa_user_sgpr_kernarg_preload_offset 0
		.amdhsa_user_sgpr_private_segment_size 0
		.amdhsa_uses_dynamic_stack 0
		.amdhsa_enable_private_segment 0
		.amdhsa_system_sgpr_workgroup_id_x 1
		.amdhsa_system_sgpr_workgroup_id_y 0
		.amdhsa_system_sgpr_workgroup_id_z 0
		.amdhsa_system_sgpr_workgroup_info 0
		.amdhsa_system_vgpr_workitem_id 0
		.amdhsa_next_free_vgpr 1
		.amdhsa_next_free_sgpr 0
		.amdhsa_accum_offset 4
		.amdhsa_reserve_vcc 0
		.amdhsa_float_round_mode_32 0
		.amdhsa_float_round_mode_16_64 0
		.amdhsa_float_denorm_mode_32 3
		.amdhsa_float_denorm_mode_16_64 3
		.amdhsa_dx10_clamp 1
		.amdhsa_ieee_mode 1
		.amdhsa_fp16_overflow 0
		.amdhsa_tg_split 0
		.amdhsa_exception_fp_ieee_invalid_op 0
		.amdhsa_exception_fp_denorm_src 0
		.amdhsa_exception_fp_ieee_div_zero 0
		.amdhsa_exception_fp_ieee_overflow 0
		.amdhsa_exception_fp_ieee_underflow 0
		.amdhsa_exception_fp_ieee_inexact 0
		.amdhsa_exception_int_div_zero 0
	.end_amdhsa_kernel
	.section	.text._ZN7rocprim17ROCPRIM_400000_NS6detail17trampoline_kernelINS0_14default_configENS1_35radix_sort_onesweep_config_selectorIjjEEZZNS1_29radix_sort_onesweep_iterationIS3_Lb0EN6thrust23THRUST_200600_302600_NS6detail15normal_iteratorINS8_10device_ptrIjEEEESD_SD_SD_jNS0_19identity_decomposerENS1_16block_id_wrapperIjLb0EEEEE10hipError_tT1_PNSt15iterator_traitsISI_E10value_typeET2_T3_PNSJ_ISO_E10value_typeET4_T5_PST_SU_PNS1_23onesweep_lookback_stateEbbT6_jjT7_P12ihipStream_tbENKUlT_T0_SI_SN_E_clISD_SD_SD_SD_EEDaS11_S12_SI_SN_EUlS11_E_NS1_11comp_targetILNS1_3genE2ELNS1_11target_archE906ELNS1_3gpuE6ELNS1_3repE0EEENS1_47radix_sort_onesweep_sort_config_static_selectorELNS0_4arch9wavefront6targetE1EEEvSI_,"axG",@progbits,_ZN7rocprim17ROCPRIM_400000_NS6detail17trampoline_kernelINS0_14default_configENS1_35radix_sort_onesweep_config_selectorIjjEEZZNS1_29radix_sort_onesweep_iterationIS3_Lb0EN6thrust23THRUST_200600_302600_NS6detail15normal_iteratorINS8_10device_ptrIjEEEESD_SD_SD_jNS0_19identity_decomposerENS1_16block_id_wrapperIjLb0EEEEE10hipError_tT1_PNSt15iterator_traitsISI_E10value_typeET2_T3_PNSJ_ISO_E10value_typeET4_T5_PST_SU_PNS1_23onesweep_lookback_stateEbbT6_jjT7_P12ihipStream_tbENKUlT_T0_SI_SN_E_clISD_SD_SD_SD_EEDaS11_S12_SI_SN_EUlS11_E_NS1_11comp_targetILNS1_3genE2ELNS1_11target_archE906ELNS1_3gpuE6ELNS1_3repE0EEENS1_47radix_sort_onesweep_sort_config_static_selectorELNS0_4arch9wavefront6targetE1EEEvSI_,comdat
.Lfunc_end781:
	.size	_ZN7rocprim17ROCPRIM_400000_NS6detail17trampoline_kernelINS0_14default_configENS1_35radix_sort_onesweep_config_selectorIjjEEZZNS1_29radix_sort_onesweep_iterationIS3_Lb0EN6thrust23THRUST_200600_302600_NS6detail15normal_iteratorINS8_10device_ptrIjEEEESD_SD_SD_jNS0_19identity_decomposerENS1_16block_id_wrapperIjLb0EEEEE10hipError_tT1_PNSt15iterator_traitsISI_E10value_typeET2_T3_PNSJ_ISO_E10value_typeET4_T5_PST_SU_PNS1_23onesweep_lookback_stateEbbT6_jjT7_P12ihipStream_tbENKUlT_T0_SI_SN_E_clISD_SD_SD_SD_EEDaS11_S12_SI_SN_EUlS11_E_NS1_11comp_targetILNS1_3genE2ELNS1_11target_archE906ELNS1_3gpuE6ELNS1_3repE0EEENS1_47radix_sort_onesweep_sort_config_static_selectorELNS0_4arch9wavefront6targetE1EEEvSI_, .Lfunc_end781-_ZN7rocprim17ROCPRIM_400000_NS6detail17trampoline_kernelINS0_14default_configENS1_35radix_sort_onesweep_config_selectorIjjEEZZNS1_29radix_sort_onesweep_iterationIS3_Lb0EN6thrust23THRUST_200600_302600_NS6detail15normal_iteratorINS8_10device_ptrIjEEEESD_SD_SD_jNS0_19identity_decomposerENS1_16block_id_wrapperIjLb0EEEEE10hipError_tT1_PNSt15iterator_traitsISI_E10value_typeET2_T3_PNSJ_ISO_E10value_typeET4_T5_PST_SU_PNS1_23onesweep_lookback_stateEbbT6_jjT7_P12ihipStream_tbENKUlT_T0_SI_SN_E_clISD_SD_SD_SD_EEDaS11_S12_SI_SN_EUlS11_E_NS1_11comp_targetILNS1_3genE2ELNS1_11target_archE906ELNS1_3gpuE6ELNS1_3repE0EEENS1_47radix_sort_onesweep_sort_config_static_selectorELNS0_4arch9wavefront6targetE1EEEvSI_
                                        ; -- End function
	.set _ZN7rocprim17ROCPRIM_400000_NS6detail17trampoline_kernelINS0_14default_configENS1_35radix_sort_onesweep_config_selectorIjjEEZZNS1_29radix_sort_onesweep_iterationIS3_Lb0EN6thrust23THRUST_200600_302600_NS6detail15normal_iteratorINS8_10device_ptrIjEEEESD_SD_SD_jNS0_19identity_decomposerENS1_16block_id_wrapperIjLb0EEEEE10hipError_tT1_PNSt15iterator_traitsISI_E10value_typeET2_T3_PNSJ_ISO_E10value_typeET4_T5_PST_SU_PNS1_23onesweep_lookback_stateEbbT6_jjT7_P12ihipStream_tbENKUlT_T0_SI_SN_E_clISD_SD_SD_SD_EEDaS11_S12_SI_SN_EUlS11_E_NS1_11comp_targetILNS1_3genE2ELNS1_11target_archE906ELNS1_3gpuE6ELNS1_3repE0EEENS1_47radix_sort_onesweep_sort_config_static_selectorELNS0_4arch9wavefront6targetE1EEEvSI_.num_vgpr, 0
	.set _ZN7rocprim17ROCPRIM_400000_NS6detail17trampoline_kernelINS0_14default_configENS1_35radix_sort_onesweep_config_selectorIjjEEZZNS1_29radix_sort_onesweep_iterationIS3_Lb0EN6thrust23THRUST_200600_302600_NS6detail15normal_iteratorINS8_10device_ptrIjEEEESD_SD_SD_jNS0_19identity_decomposerENS1_16block_id_wrapperIjLb0EEEEE10hipError_tT1_PNSt15iterator_traitsISI_E10value_typeET2_T3_PNSJ_ISO_E10value_typeET4_T5_PST_SU_PNS1_23onesweep_lookback_stateEbbT6_jjT7_P12ihipStream_tbENKUlT_T0_SI_SN_E_clISD_SD_SD_SD_EEDaS11_S12_SI_SN_EUlS11_E_NS1_11comp_targetILNS1_3genE2ELNS1_11target_archE906ELNS1_3gpuE6ELNS1_3repE0EEENS1_47radix_sort_onesweep_sort_config_static_selectorELNS0_4arch9wavefront6targetE1EEEvSI_.num_agpr, 0
	.set _ZN7rocprim17ROCPRIM_400000_NS6detail17trampoline_kernelINS0_14default_configENS1_35radix_sort_onesweep_config_selectorIjjEEZZNS1_29radix_sort_onesweep_iterationIS3_Lb0EN6thrust23THRUST_200600_302600_NS6detail15normal_iteratorINS8_10device_ptrIjEEEESD_SD_SD_jNS0_19identity_decomposerENS1_16block_id_wrapperIjLb0EEEEE10hipError_tT1_PNSt15iterator_traitsISI_E10value_typeET2_T3_PNSJ_ISO_E10value_typeET4_T5_PST_SU_PNS1_23onesweep_lookback_stateEbbT6_jjT7_P12ihipStream_tbENKUlT_T0_SI_SN_E_clISD_SD_SD_SD_EEDaS11_S12_SI_SN_EUlS11_E_NS1_11comp_targetILNS1_3genE2ELNS1_11target_archE906ELNS1_3gpuE6ELNS1_3repE0EEENS1_47radix_sort_onesweep_sort_config_static_selectorELNS0_4arch9wavefront6targetE1EEEvSI_.numbered_sgpr, 0
	.set _ZN7rocprim17ROCPRIM_400000_NS6detail17trampoline_kernelINS0_14default_configENS1_35radix_sort_onesweep_config_selectorIjjEEZZNS1_29radix_sort_onesweep_iterationIS3_Lb0EN6thrust23THRUST_200600_302600_NS6detail15normal_iteratorINS8_10device_ptrIjEEEESD_SD_SD_jNS0_19identity_decomposerENS1_16block_id_wrapperIjLb0EEEEE10hipError_tT1_PNSt15iterator_traitsISI_E10value_typeET2_T3_PNSJ_ISO_E10value_typeET4_T5_PST_SU_PNS1_23onesweep_lookback_stateEbbT6_jjT7_P12ihipStream_tbENKUlT_T0_SI_SN_E_clISD_SD_SD_SD_EEDaS11_S12_SI_SN_EUlS11_E_NS1_11comp_targetILNS1_3genE2ELNS1_11target_archE906ELNS1_3gpuE6ELNS1_3repE0EEENS1_47radix_sort_onesweep_sort_config_static_selectorELNS0_4arch9wavefront6targetE1EEEvSI_.num_named_barrier, 0
	.set _ZN7rocprim17ROCPRIM_400000_NS6detail17trampoline_kernelINS0_14default_configENS1_35radix_sort_onesweep_config_selectorIjjEEZZNS1_29radix_sort_onesweep_iterationIS3_Lb0EN6thrust23THRUST_200600_302600_NS6detail15normal_iteratorINS8_10device_ptrIjEEEESD_SD_SD_jNS0_19identity_decomposerENS1_16block_id_wrapperIjLb0EEEEE10hipError_tT1_PNSt15iterator_traitsISI_E10value_typeET2_T3_PNSJ_ISO_E10value_typeET4_T5_PST_SU_PNS1_23onesweep_lookback_stateEbbT6_jjT7_P12ihipStream_tbENKUlT_T0_SI_SN_E_clISD_SD_SD_SD_EEDaS11_S12_SI_SN_EUlS11_E_NS1_11comp_targetILNS1_3genE2ELNS1_11target_archE906ELNS1_3gpuE6ELNS1_3repE0EEENS1_47radix_sort_onesweep_sort_config_static_selectorELNS0_4arch9wavefront6targetE1EEEvSI_.private_seg_size, 0
	.set _ZN7rocprim17ROCPRIM_400000_NS6detail17trampoline_kernelINS0_14default_configENS1_35radix_sort_onesweep_config_selectorIjjEEZZNS1_29radix_sort_onesweep_iterationIS3_Lb0EN6thrust23THRUST_200600_302600_NS6detail15normal_iteratorINS8_10device_ptrIjEEEESD_SD_SD_jNS0_19identity_decomposerENS1_16block_id_wrapperIjLb0EEEEE10hipError_tT1_PNSt15iterator_traitsISI_E10value_typeET2_T3_PNSJ_ISO_E10value_typeET4_T5_PST_SU_PNS1_23onesweep_lookback_stateEbbT6_jjT7_P12ihipStream_tbENKUlT_T0_SI_SN_E_clISD_SD_SD_SD_EEDaS11_S12_SI_SN_EUlS11_E_NS1_11comp_targetILNS1_3genE2ELNS1_11target_archE906ELNS1_3gpuE6ELNS1_3repE0EEENS1_47radix_sort_onesweep_sort_config_static_selectorELNS0_4arch9wavefront6targetE1EEEvSI_.uses_vcc, 0
	.set _ZN7rocprim17ROCPRIM_400000_NS6detail17trampoline_kernelINS0_14default_configENS1_35radix_sort_onesweep_config_selectorIjjEEZZNS1_29radix_sort_onesweep_iterationIS3_Lb0EN6thrust23THRUST_200600_302600_NS6detail15normal_iteratorINS8_10device_ptrIjEEEESD_SD_SD_jNS0_19identity_decomposerENS1_16block_id_wrapperIjLb0EEEEE10hipError_tT1_PNSt15iterator_traitsISI_E10value_typeET2_T3_PNSJ_ISO_E10value_typeET4_T5_PST_SU_PNS1_23onesweep_lookback_stateEbbT6_jjT7_P12ihipStream_tbENKUlT_T0_SI_SN_E_clISD_SD_SD_SD_EEDaS11_S12_SI_SN_EUlS11_E_NS1_11comp_targetILNS1_3genE2ELNS1_11target_archE906ELNS1_3gpuE6ELNS1_3repE0EEENS1_47radix_sort_onesweep_sort_config_static_selectorELNS0_4arch9wavefront6targetE1EEEvSI_.uses_flat_scratch, 0
	.set _ZN7rocprim17ROCPRIM_400000_NS6detail17trampoline_kernelINS0_14default_configENS1_35radix_sort_onesweep_config_selectorIjjEEZZNS1_29radix_sort_onesweep_iterationIS3_Lb0EN6thrust23THRUST_200600_302600_NS6detail15normal_iteratorINS8_10device_ptrIjEEEESD_SD_SD_jNS0_19identity_decomposerENS1_16block_id_wrapperIjLb0EEEEE10hipError_tT1_PNSt15iterator_traitsISI_E10value_typeET2_T3_PNSJ_ISO_E10value_typeET4_T5_PST_SU_PNS1_23onesweep_lookback_stateEbbT6_jjT7_P12ihipStream_tbENKUlT_T0_SI_SN_E_clISD_SD_SD_SD_EEDaS11_S12_SI_SN_EUlS11_E_NS1_11comp_targetILNS1_3genE2ELNS1_11target_archE906ELNS1_3gpuE6ELNS1_3repE0EEENS1_47radix_sort_onesweep_sort_config_static_selectorELNS0_4arch9wavefront6targetE1EEEvSI_.has_dyn_sized_stack, 0
	.set _ZN7rocprim17ROCPRIM_400000_NS6detail17trampoline_kernelINS0_14default_configENS1_35radix_sort_onesweep_config_selectorIjjEEZZNS1_29radix_sort_onesweep_iterationIS3_Lb0EN6thrust23THRUST_200600_302600_NS6detail15normal_iteratorINS8_10device_ptrIjEEEESD_SD_SD_jNS0_19identity_decomposerENS1_16block_id_wrapperIjLb0EEEEE10hipError_tT1_PNSt15iterator_traitsISI_E10value_typeET2_T3_PNSJ_ISO_E10value_typeET4_T5_PST_SU_PNS1_23onesweep_lookback_stateEbbT6_jjT7_P12ihipStream_tbENKUlT_T0_SI_SN_E_clISD_SD_SD_SD_EEDaS11_S12_SI_SN_EUlS11_E_NS1_11comp_targetILNS1_3genE2ELNS1_11target_archE906ELNS1_3gpuE6ELNS1_3repE0EEENS1_47radix_sort_onesweep_sort_config_static_selectorELNS0_4arch9wavefront6targetE1EEEvSI_.has_recursion, 0
	.set _ZN7rocprim17ROCPRIM_400000_NS6detail17trampoline_kernelINS0_14default_configENS1_35radix_sort_onesweep_config_selectorIjjEEZZNS1_29radix_sort_onesweep_iterationIS3_Lb0EN6thrust23THRUST_200600_302600_NS6detail15normal_iteratorINS8_10device_ptrIjEEEESD_SD_SD_jNS0_19identity_decomposerENS1_16block_id_wrapperIjLb0EEEEE10hipError_tT1_PNSt15iterator_traitsISI_E10value_typeET2_T3_PNSJ_ISO_E10value_typeET4_T5_PST_SU_PNS1_23onesweep_lookback_stateEbbT6_jjT7_P12ihipStream_tbENKUlT_T0_SI_SN_E_clISD_SD_SD_SD_EEDaS11_S12_SI_SN_EUlS11_E_NS1_11comp_targetILNS1_3genE2ELNS1_11target_archE906ELNS1_3gpuE6ELNS1_3repE0EEENS1_47radix_sort_onesweep_sort_config_static_selectorELNS0_4arch9wavefront6targetE1EEEvSI_.has_indirect_call, 0
	.section	.AMDGPU.csdata,"",@progbits
; Kernel info:
; codeLenInByte = 0
; TotalNumSgprs: 6
; NumVgprs: 0
; NumAgprs: 0
; TotalNumVgprs: 0
; ScratchSize: 0
; MemoryBound: 0
; FloatMode: 240
; IeeeMode: 1
; LDSByteSize: 0 bytes/workgroup (compile time only)
; SGPRBlocks: 0
; VGPRBlocks: 0
; NumSGPRsForWavesPerEU: 6
; NumVGPRsForWavesPerEU: 1
; AccumOffset: 4
; Occupancy: 8
; WaveLimiterHint : 0
; COMPUTE_PGM_RSRC2:SCRATCH_EN: 0
; COMPUTE_PGM_RSRC2:USER_SGPR: 2
; COMPUTE_PGM_RSRC2:TRAP_HANDLER: 0
; COMPUTE_PGM_RSRC2:TGID_X_EN: 1
; COMPUTE_PGM_RSRC2:TGID_Y_EN: 0
; COMPUTE_PGM_RSRC2:TGID_Z_EN: 0
; COMPUTE_PGM_RSRC2:TIDIG_COMP_CNT: 0
; COMPUTE_PGM_RSRC3_GFX90A:ACCUM_OFFSET: 0
; COMPUTE_PGM_RSRC3_GFX90A:TG_SPLIT: 0
	.section	.text._ZN7rocprim17ROCPRIM_400000_NS6detail17trampoline_kernelINS0_14default_configENS1_35radix_sort_onesweep_config_selectorIjjEEZZNS1_29radix_sort_onesweep_iterationIS3_Lb0EN6thrust23THRUST_200600_302600_NS6detail15normal_iteratorINS8_10device_ptrIjEEEESD_SD_SD_jNS0_19identity_decomposerENS1_16block_id_wrapperIjLb0EEEEE10hipError_tT1_PNSt15iterator_traitsISI_E10value_typeET2_T3_PNSJ_ISO_E10value_typeET4_T5_PST_SU_PNS1_23onesweep_lookback_stateEbbT6_jjT7_P12ihipStream_tbENKUlT_T0_SI_SN_E_clISD_SD_SD_SD_EEDaS11_S12_SI_SN_EUlS11_E_NS1_11comp_targetILNS1_3genE4ELNS1_11target_archE910ELNS1_3gpuE8ELNS1_3repE0EEENS1_47radix_sort_onesweep_sort_config_static_selectorELNS0_4arch9wavefront6targetE1EEEvSI_,"axG",@progbits,_ZN7rocprim17ROCPRIM_400000_NS6detail17trampoline_kernelINS0_14default_configENS1_35radix_sort_onesweep_config_selectorIjjEEZZNS1_29radix_sort_onesweep_iterationIS3_Lb0EN6thrust23THRUST_200600_302600_NS6detail15normal_iteratorINS8_10device_ptrIjEEEESD_SD_SD_jNS0_19identity_decomposerENS1_16block_id_wrapperIjLb0EEEEE10hipError_tT1_PNSt15iterator_traitsISI_E10value_typeET2_T3_PNSJ_ISO_E10value_typeET4_T5_PST_SU_PNS1_23onesweep_lookback_stateEbbT6_jjT7_P12ihipStream_tbENKUlT_T0_SI_SN_E_clISD_SD_SD_SD_EEDaS11_S12_SI_SN_EUlS11_E_NS1_11comp_targetILNS1_3genE4ELNS1_11target_archE910ELNS1_3gpuE8ELNS1_3repE0EEENS1_47radix_sort_onesweep_sort_config_static_selectorELNS0_4arch9wavefront6targetE1EEEvSI_,comdat
	.protected	_ZN7rocprim17ROCPRIM_400000_NS6detail17trampoline_kernelINS0_14default_configENS1_35radix_sort_onesweep_config_selectorIjjEEZZNS1_29radix_sort_onesweep_iterationIS3_Lb0EN6thrust23THRUST_200600_302600_NS6detail15normal_iteratorINS8_10device_ptrIjEEEESD_SD_SD_jNS0_19identity_decomposerENS1_16block_id_wrapperIjLb0EEEEE10hipError_tT1_PNSt15iterator_traitsISI_E10value_typeET2_T3_PNSJ_ISO_E10value_typeET4_T5_PST_SU_PNS1_23onesweep_lookback_stateEbbT6_jjT7_P12ihipStream_tbENKUlT_T0_SI_SN_E_clISD_SD_SD_SD_EEDaS11_S12_SI_SN_EUlS11_E_NS1_11comp_targetILNS1_3genE4ELNS1_11target_archE910ELNS1_3gpuE8ELNS1_3repE0EEENS1_47radix_sort_onesweep_sort_config_static_selectorELNS0_4arch9wavefront6targetE1EEEvSI_ ; -- Begin function _ZN7rocprim17ROCPRIM_400000_NS6detail17trampoline_kernelINS0_14default_configENS1_35radix_sort_onesweep_config_selectorIjjEEZZNS1_29radix_sort_onesweep_iterationIS3_Lb0EN6thrust23THRUST_200600_302600_NS6detail15normal_iteratorINS8_10device_ptrIjEEEESD_SD_SD_jNS0_19identity_decomposerENS1_16block_id_wrapperIjLb0EEEEE10hipError_tT1_PNSt15iterator_traitsISI_E10value_typeET2_T3_PNSJ_ISO_E10value_typeET4_T5_PST_SU_PNS1_23onesweep_lookback_stateEbbT6_jjT7_P12ihipStream_tbENKUlT_T0_SI_SN_E_clISD_SD_SD_SD_EEDaS11_S12_SI_SN_EUlS11_E_NS1_11comp_targetILNS1_3genE4ELNS1_11target_archE910ELNS1_3gpuE8ELNS1_3repE0EEENS1_47radix_sort_onesweep_sort_config_static_selectorELNS0_4arch9wavefront6targetE1EEEvSI_
	.globl	_ZN7rocprim17ROCPRIM_400000_NS6detail17trampoline_kernelINS0_14default_configENS1_35radix_sort_onesweep_config_selectorIjjEEZZNS1_29radix_sort_onesweep_iterationIS3_Lb0EN6thrust23THRUST_200600_302600_NS6detail15normal_iteratorINS8_10device_ptrIjEEEESD_SD_SD_jNS0_19identity_decomposerENS1_16block_id_wrapperIjLb0EEEEE10hipError_tT1_PNSt15iterator_traitsISI_E10value_typeET2_T3_PNSJ_ISO_E10value_typeET4_T5_PST_SU_PNS1_23onesweep_lookback_stateEbbT6_jjT7_P12ihipStream_tbENKUlT_T0_SI_SN_E_clISD_SD_SD_SD_EEDaS11_S12_SI_SN_EUlS11_E_NS1_11comp_targetILNS1_3genE4ELNS1_11target_archE910ELNS1_3gpuE8ELNS1_3repE0EEENS1_47radix_sort_onesweep_sort_config_static_selectorELNS0_4arch9wavefront6targetE1EEEvSI_
	.p2align	8
	.type	_ZN7rocprim17ROCPRIM_400000_NS6detail17trampoline_kernelINS0_14default_configENS1_35radix_sort_onesweep_config_selectorIjjEEZZNS1_29radix_sort_onesweep_iterationIS3_Lb0EN6thrust23THRUST_200600_302600_NS6detail15normal_iteratorINS8_10device_ptrIjEEEESD_SD_SD_jNS0_19identity_decomposerENS1_16block_id_wrapperIjLb0EEEEE10hipError_tT1_PNSt15iterator_traitsISI_E10value_typeET2_T3_PNSJ_ISO_E10value_typeET4_T5_PST_SU_PNS1_23onesweep_lookback_stateEbbT6_jjT7_P12ihipStream_tbENKUlT_T0_SI_SN_E_clISD_SD_SD_SD_EEDaS11_S12_SI_SN_EUlS11_E_NS1_11comp_targetILNS1_3genE4ELNS1_11target_archE910ELNS1_3gpuE8ELNS1_3repE0EEENS1_47radix_sort_onesweep_sort_config_static_selectorELNS0_4arch9wavefront6targetE1EEEvSI_,@function
_ZN7rocprim17ROCPRIM_400000_NS6detail17trampoline_kernelINS0_14default_configENS1_35radix_sort_onesweep_config_selectorIjjEEZZNS1_29radix_sort_onesweep_iterationIS3_Lb0EN6thrust23THRUST_200600_302600_NS6detail15normal_iteratorINS8_10device_ptrIjEEEESD_SD_SD_jNS0_19identity_decomposerENS1_16block_id_wrapperIjLb0EEEEE10hipError_tT1_PNSt15iterator_traitsISI_E10value_typeET2_T3_PNSJ_ISO_E10value_typeET4_T5_PST_SU_PNS1_23onesweep_lookback_stateEbbT6_jjT7_P12ihipStream_tbENKUlT_T0_SI_SN_E_clISD_SD_SD_SD_EEDaS11_S12_SI_SN_EUlS11_E_NS1_11comp_targetILNS1_3genE4ELNS1_11target_archE910ELNS1_3gpuE8ELNS1_3repE0EEENS1_47radix_sort_onesweep_sort_config_static_selectorELNS0_4arch9wavefront6targetE1EEEvSI_: ; @_ZN7rocprim17ROCPRIM_400000_NS6detail17trampoline_kernelINS0_14default_configENS1_35radix_sort_onesweep_config_selectorIjjEEZZNS1_29radix_sort_onesweep_iterationIS3_Lb0EN6thrust23THRUST_200600_302600_NS6detail15normal_iteratorINS8_10device_ptrIjEEEESD_SD_SD_jNS0_19identity_decomposerENS1_16block_id_wrapperIjLb0EEEEE10hipError_tT1_PNSt15iterator_traitsISI_E10value_typeET2_T3_PNSJ_ISO_E10value_typeET4_T5_PST_SU_PNS1_23onesweep_lookback_stateEbbT6_jjT7_P12ihipStream_tbENKUlT_T0_SI_SN_E_clISD_SD_SD_SD_EEDaS11_S12_SI_SN_EUlS11_E_NS1_11comp_targetILNS1_3genE4ELNS1_11target_archE910ELNS1_3gpuE8ELNS1_3repE0EEENS1_47radix_sort_onesweep_sort_config_static_selectorELNS0_4arch9wavefront6targetE1EEEvSI_
; %bb.0:
	.section	.rodata,"a",@progbits
	.p2align	6, 0x0
	.amdhsa_kernel _ZN7rocprim17ROCPRIM_400000_NS6detail17trampoline_kernelINS0_14default_configENS1_35radix_sort_onesweep_config_selectorIjjEEZZNS1_29radix_sort_onesweep_iterationIS3_Lb0EN6thrust23THRUST_200600_302600_NS6detail15normal_iteratorINS8_10device_ptrIjEEEESD_SD_SD_jNS0_19identity_decomposerENS1_16block_id_wrapperIjLb0EEEEE10hipError_tT1_PNSt15iterator_traitsISI_E10value_typeET2_T3_PNSJ_ISO_E10value_typeET4_T5_PST_SU_PNS1_23onesweep_lookback_stateEbbT6_jjT7_P12ihipStream_tbENKUlT_T0_SI_SN_E_clISD_SD_SD_SD_EEDaS11_S12_SI_SN_EUlS11_E_NS1_11comp_targetILNS1_3genE4ELNS1_11target_archE910ELNS1_3gpuE8ELNS1_3repE0EEENS1_47radix_sort_onesweep_sort_config_static_selectorELNS0_4arch9wavefront6targetE1EEEvSI_
		.amdhsa_group_segment_fixed_size 0
		.amdhsa_private_segment_fixed_size 0
		.amdhsa_kernarg_size 88
		.amdhsa_user_sgpr_count 2
		.amdhsa_user_sgpr_dispatch_ptr 0
		.amdhsa_user_sgpr_queue_ptr 0
		.amdhsa_user_sgpr_kernarg_segment_ptr 1
		.amdhsa_user_sgpr_dispatch_id 0
		.amdhsa_user_sgpr_kernarg_preload_length 0
		.amdhsa_user_sgpr_kernarg_preload_offset 0
		.amdhsa_user_sgpr_private_segment_size 0
		.amdhsa_uses_dynamic_stack 0
		.amdhsa_enable_private_segment 0
		.amdhsa_system_sgpr_workgroup_id_x 1
		.amdhsa_system_sgpr_workgroup_id_y 0
		.amdhsa_system_sgpr_workgroup_id_z 0
		.amdhsa_system_sgpr_workgroup_info 0
		.amdhsa_system_vgpr_workitem_id 0
		.amdhsa_next_free_vgpr 1
		.amdhsa_next_free_sgpr 0
		.amdhsa_accum_offset 4
		.amdhsa_reserve_vcc 0
		.amdhsa_float_round_mode_32 0
		.amdhsa_float_round_mode_16_64 0
		.amdhsa_float_denorm_mode_32 3
		.amdhsa_float_denorm_mode_16_64 3
		.amdhsa_dx10_clamp 1
		.amdhsa_ieee_mode 1
		.amdhsa_fp16_overflow 0
		.amdhsa_tg_split 0
		.amdhsa_exception_fp_ieee_invalid_op 0
		.amdhsa_exception_fp_denorm_src 0
		.amdhsa_exception_fp_ieee_div_zero 0
		.amdhsa_exception_fp_ieee_overflow 0
		.amdhsa_exception_fp_ieee_underflow 0
		.amdhsa_exception_fp_ieee_inexact 0
		.amdhsa_exception_int_div_zero 0
	.end_amdhsa_kernel
	.section	.text._ZN7rocprim17ROCPRIM_400000_NS6detail17trampoline_kernelINS0_14default_configENS1_35radix_sort_onesweep_config_selectorIjjEEZZNS1_29radix_sort_onesweep_iterationIS3_Lb0EN6thrust23THRUST_200600_302600_NS6detail15normal_iteratorINS8_10device_ptrIjEEEESD_SD_SD_jNS0_19identity_decomposerENS1_16block_id_wrapperIjLb0EEEEE10hipError_tT1_PNSt15iterator_traitsISI_E10value_typeET2_T3_PNSJ_ISO_E10value_typeET4_T5_PST_SU_PNS1_23onesweep_lookback_stateEbbT6_jjT7_P12ihipStream_tbENKUlT_T0_SI_SN_E_clISD_SD_SD_SD_EEDaS11_S12_SI_SN_EUlS11_E_NS1_11comp_targetILNS1_3genE4ELNS1_11target_archE910ELNS1_3gpuE8ELNS1_3repE0EEENS1_47radix_sort_onesweep_sort_config_static_selectorELNS0_4arch9wavefront6targetE1EEEvSI_,"axG",@progbits,_ZN7rocprim17ROCPRIM_400000_NS6detail17trampoline_kernelINS0_14default_configENS1_35radix_sort_onesweep_config_selectorIjjEEZZNS1_29radix_sort_onesweep_iterationIS3_Lb0EN6thrust23THRUST_200600_302600_NS6detail15normal_iteratorINS8_10device_ptrIjEEEESD_SD_SD_jNS0_19identity_decomposerENS1_16block_id_wrapperIjLb0EEEEE10hipError_tT1_PNSt15iterator_traitsISI_E10value_typeET2_T3_PNSJ_ISO_E10value_typeET4_T5_PST_SU_PNS1_23onesweep_lookback_stateEbbT6_jjT7_P12ihipStream_tbENKUlT_T0_SI_SN_E_clISD_SD_SD_SD_EEDaS11_S12_SI_SN_EUlS11_E_NS1_11comp_targetILNS1_3genE4ELNS1_11target_archE910ELNS1_3gpuE8ELNS1_3repE0EEENS1_47radix_sort_onesweep_sort_config_static_selectorELNS0_4arch9wavefront6targetE1EEEvSI_,comdat
.Lfunc_end782:
	.size	_ZN7rocprim17ROCPRIM_400000_NS6detail17trampoline_kernelINS0_14default_configENS1_35radix_sort_onesweep_config_selectorIjjEEZZNS1_29radix_sort_onesweep_iterationIS3_Lb0EN6thrust23THRUST_200600_302600_NS6detail15normal_iteratorINS8_10device_ptrIjEEEESD_SD_SD_jNS0_19identity_decomposerENS1_16block_id_wrapperIjLb0EEEEE10hipError_tT1_PNSt15iterator_traitsISI_E10value_typeET2_T3_PNSJ_ISO_E10value_typeET4_T5_PST_SU_PNS1_23onesweep_lookback_stateEbbT6_jjT7_P12ihipStream_tbENKUlT_T0_SI_SN_E_clISD_SD_SD_SD_EEDaS11_S12_SI_SN_EUlS11_E_NS1_11comp_targetILNS1_3genE4ELNS1_11target_archE910ELNS1_3gpuE8ELNS1_3repE0EEENS1_47radix_sort_onesweep_sort_config_static_selectorELNS0_4arch9wavefront6targetE1EEEvSI_, .Lfunc_end782-_ZN7rocprim17ROCPRIM_400000_NS6detail17trampoline_kernelINS0_14default_configENS1_35radix_sort_onesweep_config_selectorIjjEEZZNS1_29radix_sort_onesweep_iterationIS3_Lb0EN6thrust23THRUST_200600_302600_NS6detail15normal_iteratorINS8_10device_ptrIjEEEESD_SD_SD_jNS0_19identity_decomposerENS1_16block_id_wrapperIjLb0EEEEE10hipError_tT1_PNSt15iterator_traitsISI_E10value_typeET2_T3_PNSJ_ISO_E10value_typeET4_T5_PST_SU_PNS1_23onesweep_lookback_stateEbbT6_jjT7_P12ihipStream_tbENKUlT_T0_SI_SN_E_clISD_SD_SD_SD_EEDaS11_S12_SI_SN_EUlS11_E_NS1_11comp_targetILNS1_3genE4ELNS1_11target_archE910ELNS1_3gpuE8ELNS1_3repE0EEENS1_47radix_sort_onesweep_sort_config_static_selectorELNS0_4arch9wavefront6targetE1EEEvSI_
                                        ; -- End function
	.set _ZN7rocprim17ROCPRIM_400000_NS6detail17trampoline_kernelINS0_14default_configENS1_35radix_sort_onesweep_config_selectorIjjEEZZNS1_29radix_sort_onesweep_iterationIS3_Lb0EN6thrust23THRUST_200600_302600_NS6detail15normal_iteratorINS8_10device_ptrIjEEEESD_SD_SD_jNS0_19identity_decomposerENS1_16block_id_wrapperIjLb0EEEEE10hipError_tT1_PNSt15iterator_traitsISI_E10value_typeET2_T3_PNSJ_ISO_E10value_typeET4_T5_PST_SU_PNS1_23onesweep_lookback_stateEbbT6_jjT7_P12ihipStream_tbENKUlT_T0_SI_SN_E_clISD_SD_SD_SD_EEDaS11_S12_SI_SN_EUlS11_E_NS1_11comp_targetILNS1_3genE4ELNS1_11target_archE910ELNS1_3gpuE8ELNS1_3repE0EEENS1_47radix_sort_onesweep_sort_config_static_selectorELNS0_4arch9wavefront6targetE1EEEvSI_.num_vgpr, 0
	.set _ZN7rocprim17ROCPRIM_400000_NS6detail17trampoline_kernelINS0_14default_configENS1_35radix_sort_onesweep_config_selectorIjjEEZZNS1_29radix_sort_onesweep_iterationIS3_Lb0EN6thrust23THRUST_200600_302600_NS6detail15normal_iteratorINS8_10device_ptrIjEEEESD_SD_SD_jNS0_19identity_decomposerENS1_16block_id_wrapperIjLb0EEEEE10hipError_tT1_PNSt15iterator_traitsISI_E10value_typeET2_T3_PNSJ_ISO_E10value_typeET4_T5_PST_SU_PNS1_23onesweep_lookback_stateEbbT6_jjT7_P12ihipStream_tbENKUlT_T0_SI_SN_E_clISD_SD_SD_SD_EEDaS11_S12_SI_SN_EUlS11_E_NS1_11comp_targetILNS1_3genE4ELNS1_11target_archE910ELNS1_3gpuE8ELNS1_3repE0EEENS1_47radix_sort_onesweep_sort_config_static_selectorELNS0_4arch9wavefront6targetE1EEEvSI_.num_agpr, 0
	.set _ZN7rocprim17ROCPRIM_400000_NS6detail17trampoline_kernelINS0_14default_configENS1_35radix_sort_onesweep_config_selectorIjjEEZZNS1_29radix_sort_onesweep_iterationIS3_Lb0EN6thrust23THRUST_200600_302600_NS6detail15normal_iteratorINS8_10device_ptrIjEEEESD_SD_SD_jNS0_19identity_decomposerENS1_16block_id_wrapperIjLb0EEEEE10hipError_tT1_PNSt15iterator_traitsISI_E10value_typeET2_T3_PNSJ_ISO_E10value_typeET4_T5_PST_SU_PNS1_23onesweep_lookback_stateEbbT6_jjT7_P12ihipStream_tbENKUlT_T0_SI_SN_E_clISD_SD_SD_SD_EEDaS11_S12_SI_SN_EUlS11_E_NS1_11comp_targetILNS1_3genE4ELNS1_11target_archE910ELNS1_3gpuE8ELNS1_3repE0EEENS1_47radix_sort_onesweep_sort_config_static_selectorELNS0_4arch9wavefront6targetE1EEEvSI_.numbered_sgpr, 0
	.set _ZN7rocprim17ROCPRIM_400000_NS6detail17trampoline_kernelINS0_14default_configENS1_35radix_sort_onesweep_config_selectorIjjEEZZNS1_29radix_sort_onesweep_iterationIS3_Lb0EN6thrust23THRUST_200600_302600_NS6detail15normal_iteratorINS8_10device_ptrIjEEEESD_SD_SD_jNS0_19identity_decomposerENS1_16block_id_wrapperIjLb0EEEEE10hipError_tT1_PNSt15iterator_traitsISI_E10value_typeET2_T3_PNSJ_ISO_E10value_typeET4_T5_PST_SU_PNS1_23onesweep_lookback_stateEbbT6_jjT7_P12ihipStream_tbENKUlT_T0_SI_SN_E_clISD_SD_SD_SD_EEDaS11_S12_SI_SN_EUlS11_E_NS1_11comp_targetILNS1_3genE4ELNS1_11target_archE910ELNS1_3gpuE8ELNS1_3repE0EEENS1_47radix_sort_onesweep_sort_config_static_selectorELNS0_4arch9wavefront6targetE1EEEvSI_.num_named_barrier, 0
	.set _ZN7rocprim17ROCPRIM_400000_NS6detail17trampoline_kernelINS0_14default_configENS1_35radix_sort_onesweep_config_selectorIjjEEZZNS1_29radix_sort_onesweep_iterationIS3_Lb0EN6thrust23THRUST_200600_302600_NS6detail15normal_iteratorINS8_10device_ptrIjEEEESD_SD_SD_jNS0_19identity_decomposerENS1_16block_id_wrapperIjLb0EEEEE10hipError_tT1_PNSt15iterator_traitsISI_E10value_typeET2_T3_PNSJ_ISO_E10value_typeET4_T5_PST_SU_PNS1_23onesweep_lookback_stateEbbT6_jjT7_P12ihipStream_tbENKUlT_T0_SI_SN_E_clISD_SD_SD_SD_EEDaS11_S12_SI_SN_EUlS11_E_NS1_11comp_targetILNS1_3genE4ELNS1_11target_archE910ELNS1_3gpuE8ELNS1_3repE0EEENS1_47radix_sort_onesweep_sort_config_static_selectorELNS0_4arch9wavefront6targetE1EEEvSI_.private_seg_size, 0
	.set _ZN7rocprim17ROCPRIM_400000_NS6detail17trampoline_kernelINS0_14default_configENS1_35radix_sort_onesweep_config_selectorIjjEEZZNS1_29radix_sort_onesweep_iterationIS3_Lb0EN6thrust23THRUST_200600_302600_NS6detail15normal_iteratorINS8_10device_ptrIjEEEESD_SD_SD_jNS0_19identity_decomposerENS1_16block_id_wrapperIjLb0EEEEE10hipError_tT1_PNSt15iterator_traitsISI_E10value_typeET2_T3_PNSJ_ISO_E10value_typeET4_T5_PST_SU_PNS1_23onesweep_lookback_stateEbbT6_jjT7_P12ihipStream_tbENKUlT_T0_SI_SN_E_clISD_SD_SD_SD_EEDaS11_S12_SI_SN_EUlS11_E_NS1_11comp_targetILNS1_3genE4ELNS1_11target_archE910ELNS1_3gpuE8ELNS1_3repE0EEENS1_47radix_sort_onesweep_sort_config_static_selectorELNS0_4arch9wavefront6targetE1EEEvSI_.uses_vcc, 0
	.set _ZN7rocprim17ROCPRIM_400000_NS6detail17trampoline_kernelINS0_14default_configENS1_35radix_sort_onesweep_config_selectorIjjEEZZNS1_29radix_sort_onesweep_iterationIS3_Lb0EN6thrust23THRUST_200600_302600_NS6detail15normal_iteratorINS8_10device_ptrIjEEEESD_SD_SD_jNS0_19identity_decomposerENS1_16block_id_wrapperIjLb0EEEEE10hipError_tT1_PNSt15iterator_traitsISI_E10value_typeET2_T3_PNSJ_ISO_E10value_typeET4_T5_PST_SU_PNS1_23onesweep_lookback_stateEbbT6_jjT7_P12ihipStream_tbENKUlT_T0_SI_SN_E_clISD_SD_SD_SD_EEDaS11_S12_SI_SN_EUlS11_E_NS1_11comp_targetILNS1_3genE4ELNS1_11target_archE910ELNS1_3gpuE8ELNS1_3repE0EEENS1_47radix_sort_onesweep_sort_config_static_selectorELNS0_4arch9wavefront6targetE1EEEvSI_.uses_flat_scratch, 0
	.set _ZN7rocprim17ROCPRIM_400000_NS6detail17trampoline_kernelINS0_14default_configENS1_35radix_sort_onesweep_config_selectorIjjEEZZNS1_29radix_sort_onesweep_iterationIS3_Lb0EN6thrust23THRUST_200600_302600_NS6detail15normal_iteratorINS8_10device_ptrIjEEEESD_SD_SD_jNS0_19identity_decomposerENS1_16block_id_wrapperIjLb0EEEEE10hipError_tT1_PNSt15iterator_traitsISI_E10value_typeET2_T3_PNSJ_ISO_E10value_typeET4_T5_PST_SU_PNS1_23onesweep_lookback_stateEbbT6_jjT7_P12ihipStream_tbENKUlT_T0_SI_SN_E_clISD_SD_SD_SD_EEDaS11_S12_SI_SN_EUlS11_E_NS1_11comp_targetILNS1_3genE4ELNS1_11target_archE910ELNS1_3gpuE8ELNS1_3repE0EEENS1_47radix_sort_onesweep_sort_config_static_selectorELNS0_4arch9wavefront6targetE1EEEvSI_.has_dyn_sized_stack, 0
	.set _ZN7rocprim17ROCPRIM_400000_NS6detail17trampoline_kernelINS0_14default_configENS1_35radix_sort_onesweep_config_selectorIjjEEZZNS1_29radix_sort_onesweep_iterationIS3_Lb0EN6thrust23THRUST_200600_302600_NS6detail15normal_iteratorINS8_10device_ptrIjEEEESD_SD_SD_jNS0_19identity_decomposerENS1_16block_id_wrapperIjLb0EEEEE10hipError_tT1_PNSt15iterator_traitsISI_E10value_typeET2_T3_PNSJ_ISO_E10value_typeET4_T5_PST_SU_PNS1_23onesweep_lookback_stateEbbT6_jjT7_P12ihipStream_tbENKUlT_T0_SI_SN_E_clISD_SD_SD_SD_EEDaS11_S12_SI_SN_EUlS11_E_NS1_11comp_targetILNS1_3genE4ELNS1_11target_archE910ELNS1_3gpuE8ELNS1_3repE0EEENS1_47radix_sort_onesweep_sort_config_static_selectorELNS0_4arch9wavefront6targetE1EEEvSI_.has_recursion, 0
	.set _ZN7rocprim17ROCPRIM_400000_NS6detail17trampoline_kernelINS0_14default_configENS1_35radix_sort_onesweep_config_selectorIjjEEZZNS1_29radix_sort_onesweep_iterationIS3_Lb0EN6thrust23THRUST_200600_302600_NS6detail15normal_iteratorINS8_10device_ptrIjEEEESD_SD_SD_jNS0_19identity_decomposerENS1_16block_id_wrapperIjLb0EEEEE10hipError_tT1_PNSt15iterator_traitsISI_E10value_typeET2_T3_PNSJ_ISO_E10value_typeET4_T5_PST_SU_PNS1_23onesweep_lookback_stateEbbT6_jjT7_P12ihipStream_tbENKUlT_T0_SI_SN_E_clISD_SD_SD_SD_EEDaS11_S12_SI_SN_EUlS11_E_NS1_11comp_targetILNS1_3genE4ELNS1_11target_archE910ELNS1_3gpuE8ELNS1_3repE0EEENS1_47radix_sort_onesweep_sort_config_static_selectorELNS0_4arch9wavefront6targetE1EEEvSI_.has_indirect_call, 0
	.section	.AMDGPU.csdata,"",@progbits
; Kernel info:
; codeLenInByte = 0
; TotalNumSgprs: 6
; NumVgprs: 0
; NumAgprs: 0
; TotalNumVgprs: 0
; ScratchSize: 0
; MemoryBound: 0
; FloatMode: 240
; IeeeMode: 1
; LDSByteSize: 0 bytes/workgroup (compile time only)
; SGPRBlocks: 0
; VGPRBlocks: 0
; NumSGPRsForWavesPerEU: 6
; NumVGPRsForWavesPerEU: 1
; AccumOffset: 4
; Occupancy: 8
; WaveLimiterHint : 0
; COMPUTE_PGM_RSRC2:SCRATCH_EN: 0
; COMPUTE_PGM_RSRC2:USER_SGPR: 2
; COMPUTE_PGM_RSRC2:TRAP_HANDLER: 0
; COMPUTE_PGM_RSRC2:TGID_X_EN: 1
; COMPUTE_PGM_RSRC2:TGID_Y_EN: 0
; COMPUTE_PGM_RSRC2:TGID_Z_EN: 0
; COMPUTE_PGM_RSRC2:TIDIG_COMP_CNT: 0
; COMPUTE_PGM_RSRC3_GFX90A:ACCUM_OFFSET: 0
; COMPUTE_PGM_RSRC3_GFX90A:TG_SPLIT: 0
	.section	.text._ZN7rocprim17ROCPRIM_400000_NS6detail17trampoline_kernelINS0_14default_configENS1_35radix_sort_onesweep_config_selectorIjjEEZZNS1_29radix_sort_onesweep_iterationIS3_Lb0EN6thrust23THRUST_200600_302600_NS6detail15normal_iteratorINS8_10device_ptrIjEEEESD_SD_SD_jNS0_19identity_decomposerENS1_16block_id_wrapperIjLb0EEEEE10hipError_tT1_PNSt15iterator_traitsISI_E10value_typeET2_T3_PNSJ_ISO_E10value_typeET4_T5_PST_SU_PNS1_23onesweep_lookback_stateEbbT6_jjT7_P12ihipStream_tbENKUlT_T0_SI_SN_E_clISD_SD_SD_SD_EEDaS11_S12_SI_SN_EUlS11_E_NS1_11comp_targetILNS1_3genE3ELNS1_11target_archE908ELNS1_3gpuE7ELNS1_3repE0EEENS1_47radix_sort_onesweep_sort_config_static_selectorELNS0_4arch9wavefront6targetE1EEEvSI_,"axG",@progbits,_ZN7rocprim17ROCPRIM_400000_NS6detail17trampoline_kernelINS0_14default_configENS1_35radix_sort_onesweep_config_selectorIjjEEZZNS1_29radix_sort_onesweep_iterationIS3_Lb0EN6thrust23THRUST_200600_302600_NS6detail15normal_iteratorINS8_10device_ptrIjEEEESD_SD_SD_jNS0_19identity_decomposerENS1_16block_id_wrapperIjLb0EEEEE10hipError_tT1_PNSt15iterator_traitsISI_E10value_typeET2_T3_PNSJ_ISO_E10value_typeET4_T5_PST_SU_PNS1_23onesweep_lookback_stateEbbT6_jjT7_P12ihipStream_tbENKUlT_T0_SI_SN_E_clISD_SD_SD_SD_EEDaS11_S12_SI_SN_EUlS11_E_NS1_11comp_targetILNS1_3genE3ELNS1_11target_archE908ELNS1_3gpuE7ELNS1_3repE0EEENS1_47radix_sort_onesweep_sort_config_static_selectorELNS0_4arch9wavefront6targetE1EEEvSI_,comdat
	.protected	_ZN7rocprim17ROCPRIM_400000_NS6detail17trampoline_kernelINS0_14default_configENS1_35radix_sort_onesweep_config_selectorIjjEEZZNS1_29radix_sort_onesweep_iterationIS3_Lb0EN6thrust23THRUST_200600_302600_NS6detail15normal_iteratorINS8_10device_ptrIjEEEESD_SD_SD_jNS0_19identity_decomposerENS1_16block_id_wrapperIjLb0EEEEE10hipError_tT1_PNSt15iterator_traitsISI_E10value_typeET2_T3_PNSJ_ISO_E10value_typeET4_T5_PST_SU_PNS1_23onesweep_lookback_stateEbbT6_jjT7_P12ihipStream_tbENKUlT_T0_SI_SN_E_clISD_SD_SD_SD_EEDaS11_S12_SI_SN_EUlS11_E_NS1_11comp_targetILNS1_3genE3ELNS1_11target_archE908ELNS1_3gpuE7ELNS1_3repE0EEENS1_47radix_sort_onesweep_sort_config_static_selectorELNS0_4arch9wavefront6targetE1EEEvSI_ ; -- Begin function _ZN7rocprim17ROCPRIM_400000_NS6detail17trampoline_kernelINS0_14default_configENS1_35radix_sort_onesweep_config_selectorIjjEEZZNS1_29radix_sort_onesweep_iterationIS3_Lb0EN6thrust23THRUST_200600_302600_NS6detail15normal_iteratorINS8_10device_ptrIjEEEESD_SD_SD_jNS0_19identity_decomposerENS1_16block_id_wrapperIjLb0EEEEE10hipError_tT1_PNSt15iterator_traitsISI_E10value_typeET2_T3_PNSJ_ISO_E10value_typeET4_T5_PST_SU_PNS1_23onesweep_lookback_stateEbbT6_jjT7_P12ihipStream_tbENKUlT_T0_SI_SN_E_clISD_SD_SD_SD_EEDaS11_S12_SI_SN_EUlS11_E_NS1_11comp_targetILNS1_3genE3ELNS1_11target_archE908ELNS1_3gpuE7ELNS1_3repE0EEENS1_47radix_sort_onesweep_sort_config_static_selectorELNS0_4arch9wavefront6targetE1EEEvSI_
	.globl	_ZN7rocprim17ROCPRIM_400000_NS6detail17trampoline_kernelINS0_14default_configENS1_35radix_sort_onesweep_config_selectorIjjEEZZNS1_29radix_sort_onesweep_iterationIS3_Lb0EN6thrust23THRUST_200600_302600_NS6detail15normal_iteratorINS8_10device_ptrIjEEEESD_SD_SD_jNS0_19identity_decomposerENS1_16block_id_wrapperIjLb0EEEEE10hipError_tT1_PNSt15iterator_traitsISI_E10value_typeET2_T3_PNSJ_ISO_E10value_typeET4_T5_PST_SU_PNS1_23onesweep_lookback_stateEbbT6_jjT7_P12ihipStream_tbENKUlT_T0_SI_SN_E_clISD_SD_SD_SD_EEDaS11_S12_SI_SN_EUlS11_E_NS1_11comp_targetILNS1_3genE3ELNS1_11target_archE908ELNS1_3gpuE7ELNS1_3repE0EEENS1_47radix_sort_onesweep_sort_config_static_selectorELNS0_4arch9wavefront6targetE1EEEvSI_
	.p2align	8
	.type	_ZN7rocprim17ROCPRIM_400000_NS6detail17trampoline_kernelINS0_14default_configENS1_35radix_sort_onesweep_config_selectorIjjEEZZNS1_29radix_sort_onesweep_iterationIS3_Lb0EN6thrust23THRUST_200600_302600_NS6detail15normal_iteratorINS8_10device_ptrIjEEEESD_SD_SD_jNS0_19identity_decomposerENS1_16block_id_wrapperIjLb0EEEEE10hipError_tT1_PNSt15iterator_traitsISI_E10value_typeET2_T3_PNSJ_ISO_E10value_typeET4_T5_PST_SU_PNS1_23onesweep_lookback_stateEbbT6_jjT7_P12ihipStream_tbENKUlT_T0_SI_SN_E_clISD_SD_SD_SD_EEDaS11_S12_SI_SN_EUlS11_E_NS1_11comp_targetILNS1_3genE3ELNS1_11target_archE908ELNS1_3gpuE7ELNS1_3repE0EEENS1_47radix_sort_onesweep_sort_config_static_selectorELNS0_4arch9wavefront6targetE1EEEvSI_,@function
_ZN7rocprim17ROCPRIM_400000_NS6detail17trampoline_kernelINS0_14default_configENS1_35radix_sort_onesweep_config_selectorIjjEEZZNS1_29radix_sort_onesweep_iterationIS3_Lb0EN6thrust23THRUST_200600_302600_NS6detail15normal_iteratorINS8_10device_ptrIjEEEESD_SD_SD_jNS0_19identity_decomposerENS1_16block_id_wrapperIjLb0EEEEE10hipError_tT1_PNSt15iterator_traitsISI_E10value_typeET2_T3_PNSJ_ISO_E10value_typeET4_T5_PST_SU_PNS1_23onesweep_lookback_stateEbbT6_jjT7_P12ihipStream_tbENKUlT_T0_SI_SN_E_clISD_SD_SD_SD_EEDaS11_S12_SI_SN_EUlS11_E_NS1_11comp_targetILNS1_3genE3ELNS1_11target_archE908ELNS1_3gpuE7ELNS1_3repE0EEENS1_47radix_sort_onesweep_sort_config_static_selectorELNS0_4arch9wavefront6targetE1EEEvSI_: ; @_ZN7rocprim17ROCPRIM_400000_NS6detail17trampoline_kernelINS0_14default_configENS1_35radix_sort_onesweep_config_selectorIjjEEZZNS1_29radix_sort_onesweep_iterationIS3_Lb0EN6thrust23THRUST_200600_302600_NS6detail15normal_iteratorINS8_10device_ptrIjEEEESD_SD_SD_jNS0_19identity_decomposerENS1_16block_id_wrapperIjLb0EEEEE10hipError_tT1_PNSt15iterator_traitsISI_E10value_typeET2_T3_PNSJ_ISO_E10value_typeET4_T5_PST_SU_PNS1_23onesweep_lookback_stateEbbT6_jjT7_P12ihipStream_tbENKUlT_T0_SI_SN_E_clISD_SD_SD_SD_EEDaS11_S12_SI_SN_EUlS11_E_NS1_11comp_targetILNS1_3genE3ELNS1_11target_archE908ELNS1_3gpuE7ELNS1_3repE0EEENS1_47radix_sort_onesweep_sort_config_static_selectorELNS0_4arch9wavefront6targetE1EEEvSI_
; %bb.0:
	.section	.rodata,"a",@progbits
	.p2align	6, 0x0
	.amdhsa_kernel _ZN7rocprim17ROCPRIM_400000_NS6detail17trampoline_kernelINS0_14default_configENS1_35radix_sort_onesweep_config_selectorIjjEEZZNS1_29radix_sort_onesweep_iterationIS3_Lb0EN6thrust23THRUST_200600_302600_NS6detail15normal_iteratorINS8_10device_ptrIjEEEESD_SD_SD_jNS0_19identity_decomposerENS1_16block_id_wrapperIjLb0EEEEE10hipError_tT1_PNSt15iterator_traitsISI_E10value_typeET2_T3_PNSJ_ISO_E10value_typeET4_T5_PST_SU_PNS1_23onesweep_lookback_stateEbbT6_jjT7_P12ihipStream_tbENKUlT_T0_SI_SN_E_clISD_SD_SD_SD_EEDaS11_S12_SI_SN_EUlS11_E_NS1_11comp_targetILNS1_3genE3ELNS1_11target_archE908ELNS1_3gpuE7ELNS1_3repE0EEENS1_47radix_sort_onesweep_sort_config_static_selectorELNS0_4arch9wavefront6targetE1EEEvSI_
		.amdhsa_group_segment_fixed_size 0
		.amdhsa_private_segment_fixed_size 0
		.amdhsa_kernarg_size 88
		.amdhsa_user_sgpr_count 2
		.amdhsa_user_sgpr_dispatch_ptr 0
		.amdhsa_user_sgpr_queue_ptr 0
		.amdhsa_user_sgpr_kernarg_segment_ptr 1
		.amdhsa_user_sgpr_dispatch_id 0
		.amdhsa_user_sgpr_kernarg_preload_length 0
		.amdhsa_user_sgpr_kernarg_preload_offset 0
		.amdhsa_user_sgpr_private_segment_size 0
		.amdhsa_uses_dynamic_stack 0
		.amdhsa_enable_private_segment 0
		.amdhsa_system_sgpr_workgroup_id_x 1
		.amdhsa_system_sgpr_workgroup_id_y 0
		.amdhsa_system_sgpr_workgroup_id_z 0
		.amdhsa_system_sgpr_workgroup_info 0
		.amdhsa_system_vgpr_workitem_id 0
		.amdhsa_next_free_vgpr 1
		.amdhsa_next_free_sgpr 0
		.amdhsa_accum_offset 4
		.amdhsa_reserve_vcc 0
		.amdhsa_float_round_mode_32 0
		.amdhsa_float_round_mode_16_64 0
		.amdhsa_float_denorm_mode_32 3
		.amdhsa_float_denorm_mode_16_64 3
		.amdhsa_dx10_clamp 1
		.amdhsa_ieee_mode 1
		.amdhsa_fp16_overflow 0
		.amdhsa_tg_split 0
		.amdhsa_exception_fp_ieee_invalid_op 0
		.amdhsa_exception_fp_denorm_src 0
		.amdhsa_exception_fp_ieee_div_zero 0
		.amdhsa_exception_fp_ieee_overflow 0
		.amdhsa_exception_fp_ieee_underflow 0
		.amdhsa_exception_fp_ieee_inexact 0
		.amdhsa_exception_int_div_zero 0
	.end_amdhsa_kernel
	.section	.text._ZN7rocprim17ROCPRIM_400000_NS6detail17trampoline_kernelINS0_14default_configENS1_35radix_sort_onesweep_config_selectorIjjEEZZNS1_29radix_sort_onesweep_iterationIS3_Lb0EN6thrust23THRUST_200600_302600_NS6detail15normal_iteratorINS8_10device_ptrIjEEEESD_SD_SD_jNS0_19identity_decomposerENS1_16block_id_wrapperIjLb0EEEEE10hipError_tT1_PNSt15iterator_traitsISI_E10value_typeET2_T3_PNSJ_ISO_E10value_typeET4_T5_PST_SU_PNS1_23onesweep_lookback_stateEbbT6_jjT7_P12ihipStream_tbENKUlT_T0_SI_SN_E_clISD_SD_SD_SD_EEDaS11_S12_SI_SN_EUlS11_E_NS1_11comp_targetILNS1_3genE3ELNS1_11target_archE908ELNS1_3gpuE7ELNS1_3repE0EEENS1_47radix_sort_onesweep_sort_config_static_selectorELNS0_4arch9wavefront6targetE1EEEvSI_,"axG",@progbits,_ZN7rocprim17ROCPRIM_400000_NS6detail17trampoline_kernelINS0_14default_configENS1_35radix_sort_onesweep_config_selectorIjjEEZZNS1_29radix_sort_onesweep_iterationIS3_Lb0EN6thrust23THRUST_200600_302600_NS6detail15normal_iteratorINS8_10device_ptrIjEEEESD_SD_SD_jNS0_19identity_decomposerENS1_16block_id_wrapperIjLb0EEEEE10hipError_tT1_PNSt15iterator_traitsISI_E10value_typeET2_T3_PNSJ_ISO_E10value_typeET4_T5_PST_SU_PNS1_23onesweep_lookback_stateEbbT6_jjT7_P12ihipStream_tbENKUlT_T0_SI_SN_E_clISD_SD_SD_SD_EEDaS11_S12_SI_SN_EUlS11_E_NS1_11comp_targetILNS1_3genE3ELNS1_11target_archE908ELNS1_3gpuE7ELNS1_3repE0EEENS1_47radix_sort_onesweep_sort_config_static_selectorELNS0_4arch9wavefront6targetE1EEEvSI_,comdat
.Lfunc_end783:
	.size	_ZN7rocprim17ROCPRIM_400000_NS6detail17trampoline_kernelINS0_14default_configENS1_35radix_sort_onesweep_config_selectorIjjEEZZNS1_29radix_sort_onesweep_iterationIS3_Lb0EN6thrust23THRUST_200600_302600_NS6detail15normal_iteratorINS8_10device_ptrIjEEEESD_SD_SD_jNS0_19identity_decomposerENS1_16block_id_wrapperIjLb0EEEEE10hipError_tT1_PNSt15iterator_traitsISI_E10value_typeET2_T3_PNSJ_ISO_E10value_typeET4_T5_PST_SU_PNS1_23onesweep_lookback_stateEbbT6_jjT7_P12ihipStream_tbENKUlT_T0_SI_SN_E_clISD_SD_SD_SD_EEDaS11_S12_SI_SN_EUlS11_E_NS1_11comp_targetILNS1_3genE3ELNS1_11target_archE908ELNS1_3gpuE7ELNS1_3repE0EEENS1_47radix_sort_onesweep_sort_config_static_selectorELNS0_4arch9wavefront6targetE1EEEvSI_, .Lfunc_end783-_ZN7rocprim17ROCPRIM_400000_NS6detail17trampoline_kernelINS0_14default_configENS1_35radix_sort_onesweep_config_selectorIjjEEZZNS1_29radix_sort_onesweep_iterationIS3_Lb0EN6thrust23THRUST_200600_302600_NS6detail15normal_iteratorINS8_10device_ptrIjEEEESD_SD_SD_jNS0_19identity_decomposerENS1_16block_id_wrapperIjLb0EEEEE10hipError_tT1_PNSt15iterator_traitsISI_E10value_typeET2_T3_PNSJ_ISO_E10value_typeET4_T5_PST_SU_PNS1_23onesweep_lookback_stateEbbT6_jjT7_P12ihipStream_tbENKUlT_T0_SI_SN_E_clISD_SD_SD_SD_EEDaS11_S12_SI_SN_EUlS11_E_NS1_11comp_targetILNS1_3genE3ELNS1_11target_archE908ELNS1_3gpuE7ELNS1_3repE0EEENS1_47radix_sort_onesweep_sort_config_static_selectorELNS0_4arch9wavefront6targetE1EEEvSI_
                                        ; -- End function
	.set _ZN7rocprim17ROCPRIM_400000_NS6detail17trampoline_kernelINS0_14default_configENS1_35radix_sort_onesweep_config_selectorIjjEEZZNS1_29radix_sort_onesweep_iterationIS3_Lb0EN6thrust23THRUST_200600_302600_NS6detail15normal_iteratorINS8_10device_ptrIjEEEESD_SD_SD_jNS0_19identity_decomposerENS1_16block_id_wrapperIjLb0EEEEE10hipError_tT1_PNSt15iterator_traitsISI_E10value_typeET2_T3_PNSJ_ISO_E10value_typeET4_T5_PST_SU_PNS1_23onesweep_lookback_stateEbbT6_jjT7_P12ihipStream_tbENKUlT_T0_SI_SN_E_clISD_SD_SD_SD_EEDaS11_S12_SI_SN_EUlS11_E_NS1_11comp_targetILNS1_3genE3ELNS1_11target_archE908ELNS1_3gpuE7ELNS1_3repE0EEENS1_47radix_sort_onesweep_sort_config_static_selectorELNS0_4arch9wavefront6targetE1EEEvSI_.num_vgpr, 0
	.set _ZN7rocprim17ROCPRIM_400000_NS6detail17trampoline_kernelINS0_14default_configENS1_35radix_sort_onesweep_config_selectorIjjEEZZNS1_29radix_sort_onesweep_iterationIS3_Lb0EN6thrust23THRUST_200600_302600_NS6detail15normal_iteratorINS8_10device_ptrIjEEEESD_SD_SD_jNS0_19identity_decomposerENS1_16block_id_wrapperIjLb0EEEEE10hipError_tT1_PNSt15iterator_traitsISI_E10value_typeET2_T3_PNSJ_ISO_E10value_typeET4_T5_PST_SU_PNS1_23onesweep_lookback_stateEbbT6_jjT7_P12ihipStream_tbENKUlT_T0_SI_SN_E_clISD_SD_SD_SD_EEDaS11_S12_SI_SN_EUlS11_E_NS1_11comp_targetILNS1_3genE3ELNS1_11target_archE908ELNS1_3gpuE7ELNS1_3repE0EEENS1_47radix_sort_onesweep_sort_config_static_selectorELNS0_4arch9wavefront6targetE1EEEvSI_.num_agpr, 0
	.set _ZN7rocprim17ROCPRIM_400000_NS6detail17trampoline_kernelINS0_14default_configENS1_35radix_sort_onesweep_config_selectorIjjEEZZNS1_29radix_sort_onesweep_iterationIS3_Lb0EN6thrust23THRUST_200600_302600_NS6detail15normal_iteratorINS8_10device_ptrIjEEEESD_SD_SD_jNS0_19identity_decomposerENS1_16block_id_wrapperIjLb0EEEEE10hipError_tT1_PNSt15iterator_traitsISI_E10value_typeET2_T3_PNSJ_ISO_E10value_typeET4_T5_PST_SU_PNS1_23onesweep_lookback_stateEbbT6_jjT7_P12ihipStream_tbENKUlT_T0_SI_SN_E_clISD_SD_SD_SD_EEDaS11_S12_SI_SN_EUlS11_E_NS1_11comp_targetILNS1_3genE3ELNS1_11target_archE908ELNS1_3gpuE7ELNS1_3repE0EEENS1_47radix_sort_onesweep_sort_config_static_selectorELNS0_4arch9wavefront6targetE1EEEvSI_.numbered_sgpr, 0
	.set _ZN7rocprim17ROCPRIM_400000_NS6detail17trampoline_kernelINS0_14default_configENS1_35radix_sort_onesweep_config_selectorIjjEEZZNS1_29radix_sort_onesweep_iterationIS3_Lb0EN6thrust23THRUST_200600_302600_NS6detail15normal_iteratorINS8_10device_ptrIjEEEESD_SD_SD_jNS0_19identity_decomposerENS1_16block_id_wrapperIjLb0EEEEE10hipError_tT1_PNSt15iterator_traitsISI_E10value_typeET2_T3_PNSJ_ISO_E10value_typeET4_T5_PST_SU_PNS1_23onesweep_lookback_stateEbbT6_jjT7_P12ihipStream_tbENKUlT_T0_SI_SN_E_clISD_SD_SD_SD_EEDaS11_S12_SI_SN_EUlS11_E_NS1_11comp_targetILNS1_3genE3ELNS1_11target_archE908ELNS1_3gpuE7ELNS1_3repE0EEENS1_47radix_sort_onesweep_sort_config_static_selectorELNS0_4arch9wavefront6targetE1EEEvSI_.num_named_barrier, 0
	.set _ZN7rocprim17ROCPRIM_400000_NS6detail17trampoline_kernelINS0_14default_configENS1_35radix_sort_onesweep_config_selectorIjjEEZZNS1_29radix_sort_onesweep_iterationIS3_Lb0EN6thrust23THRUST_200600_302600_NS6detail15normal_iteratorINS8_10device_ptrIjEEEESD_SD_SD_jNS0_19identity_decomposerENS1_16block_id_wrapperIjLb0EEEEE10hipError_tT1_PNSt15iterator_traitsISI_E10value_typeET2_T3_PNSJ_ISO_E10value_typeET4_T5_PST_SU_PNS1_23onesweep_lookback_stateEbbT6_jjT7_P12ihipStream_tbENKUlT_T0_SI_SN_E_clISD_SD_SD_SD_EEDaS11_S12_SI_SN_EUlS11_E_NS1_11comp_targetILNS1_3genE3ELNS1_11target_archE908ELNS1_3gpuE7ELNS1_3repE0EEENS1_47radix_sort_onesweep_sort_config_static_selectorELNS0_4arch9wavefront6targetE1EEEvSI_.private_seg_size, 0
	.set _ZN7rocprim17ROCPRIM_400000_NS6detail17trampoline_kernelINS0_14default_configENS1_35radix_sort_onesweep_config_selectorIjjEEZZNS1_29radix_sort_onesweep_iterationIS3_Lb0EN6thrust23THRUST_200600_302600_NS6detail15normal_iteratorINS8_10device_ptrIjEEEESD_SD_SD_jNS0_19identity_decomposerENS1_16block_id_wrapperIjLb0EEEEE10hipError_tT1_PNSt15iterator_traitsISI_E10value_typeET2_T3_PNSJ_ISO_E10value_typeET4_T5_PST_SU_PNS1_23onesweep_lookback_stateEbbT6_jjT7_P12ihipStream_tbENKUlT_T0_SI_SN_E_clISD_SD_SD_SD_EEDaS11_S12_SI_SN_EUlS11_E_NS1_11comp_targetILNS1_3genE3ELNS1_11target_archE908ELNS1_3gpuE7ELNS1_3repE0EEENS1_47radix_sort_onesweep_sort_config_static_selectorELNS0_4arch9wavefront6targetE1EEEvSI_.uses_vcc, 0
	.set _ZN7rocprim17ROCPRIM_400000_NS6detail17trampoline_kernelINS0_14default_configENS1_35radix_sort_onesweep_config_selectorIjjEEZZNS1_29radix_sort_onesweep_iterationIS3_Lb0EN6thrust23THRUST_200600_302600_NS6detail15normal_iteratorINS8_10device_ptrIjEEEESD_SD_SD_jNS0_19identity_decomposerENS1_16block_id_wrapperIjLb0EEEEE10hipError_tT1_PNSt15iterator_traitsISI_E10value_typeET2_T3_PNSJ_ISO_E10value_typeET4_T5_PST_SU_PNS1_23onesweep_lookback_stateEbbT6_jjT7_P12ihipStream_tbENKUlT_T0_SI_SN_E_clISD_SD_SD_SD_EEDaS11_S12_SI_SN_EUlS11_E_NS1_11comp_targetILNS1_3genE3ELNS1_11target_archE908ELNS1_3gpuE7ELNS1_3repE0EEENS1_47radix_sort_onesweep_sort_config_static_selectorELNS0_4arch9wavefront6targetE1EEEvSI_.uses_flat_scratch, 0
	.set _ZN7rocprim17ROCPRIM_400000_NS6detail17trampoline_kernelINS0_14default_configENS1_35radix_sort_onesweep_config_selectorIjjEEZZNS1_29radix_sort_onesweep_iterationIS3_Lb0EN6thrust23THRUST_200600_302600_NS6detail15normal_iteratorINS8_10device_ptrIjEEEESD_SD_SD_jNS0_19identity_decomposerENS1_16block_id_wrapperIjLb0EEEEE10hipError_tT1_PNSt15iterator_traitsISI_E10value_typeET2_T3_PNSJ_ISO_E10value_typeET4_T5_PST_SU_PNS1_23onesweep_lookback_stateEbbT6_jjT7_P12ihipStream_tbENKUlT_T0_SI_SN_E_clISD_SD_SD_SD_EEDaS11_S12_SI_SN_EUlS11_E_NS1_11comp_targetILNS1_3genE3ELNS1_11target_archE908ELNS1_3gpuE7ELNS1_3repE0EEENS1_47radix_sort_onesweep_sort_config_static_selectorELNS0_4arch9wavefront6targetE1EEEvSI_.has_dyn_sized_stack, 0
	.set _ZN7rocprim17ROCPRIM_400000_NS6detail17trampoline_kernelINS0_14default_configENS1_35radix_sort_onesweep_config_selectorIjjEEZZNS1_29radix_sort_onesweep_iterationIS3_Lb0EN6thrust23THRUST_200600_302600_NS6detail15normal_iteratorINS8_10device_ptrIjEEEESD_SD_SD_jNS0_19identity_decomposerENS1_16block_id_wrapperIjLb0EEEEE10hipError_tT1_PNSt15iterator_traitsISI_E10value_typeET2_T3_PNSJ_ISO_E10value_typeET4_T5_PST_SU_PNS1_23onesweep_lookback_stateEbbT6_jjT7_P12ihipStream_tbENKUlT_T0_SI_SN_E_clISD_SD_SD_SD_EEDaS11_S12_SI_SN_EUlS11_E_NS1_11comp_targetILNS1_3genE3ELNS1_11target_archE908ELNS1_3gpuE7ELNS1_3repE0EEENS1_47radix_sort_onesweep_sort_config_static_selectorELNS0_4arch9wavefront6targetE1EEEvSI_.has_recursion, 0
	.set _ZN7rocprim17ROCPRIM_400000_NS6detail17trampoline_kernelINS0_14default_configENS1_35radix_sort_onesweep_config_selectorIjjEEZZNS1_29radix_sort_onesweep_iterationIS3_Lb0EN6thrust23THRUST_200600_302600_NS6detail15normal_iteratorINS8_10device_ptrIjEEEESD_SD_SD_jNS0_19identity_decomposerENS1_16block_id_wrapperIjLb0EEEEE10hipError_tT1_PNSt15iterator_traitsISI_E10value_typeET2_T3_PNSJ_ISO_E10value_typeET4_T5_PST_SU_PNS1_23onesweep_lookback_stateEbbT6_jjT7_P12ihipStream_tbENKUlT_T0_SI_SN_E_clISD_SD_SD_SD_EEDaS11_S12_SI_SN_EUlS11_E_NS1_11comp_targetILNS1_3genE3ELNS1_11target_archE908ELNS1_3gpuE7ELNS1_3repE0EEENS1_47radix_sort_onesweep_sort_config_static_selectorELNS0_4arch9wavefront6targetE1EEEvSI_.has_indirect_call, 0
	.section	.AMDGPU.csdata,"",@progbits
; Kernel info:
; codeLenInByte = 0
; TotalNumSgprs: 6
; NumVgprs: 0
; NumAgprs: 0
; TotalNumVgprs: 0
; ScratchSize: 0
; MemoryBound: 0
; FloatMode: 240
; IeeeMode: 1
; LDSByteSize: 0 bytes/workgroup (compile time only)
; SGPRBlocks: 0
; VGPRBlocks: 0
; NumSGPRsForWavesPerEU: 6
; NumVGPRsForWavesPerEU: 1
; AccumOffset: 4
; Occupancy: 8
; WaveLimiterHint : 0
; COMPUTE_PGM_RSRC2:SCRATCH_EN: 0
; COMPUTE_PGM_RSRC2:USER_SGPR: 2
; COMPUTE_PGM_RSRC2:TRAP_HANDLER: 0
; COMPUTE_PGM_RSRC2:TGID_X_EN: 1
; COMPUTE_PGM_RSRC2:TGID_Y_EN: 0
; COMPUTE_PGM_RSRC2:TGID_Z_EN: 0
; COMPUTE_PGM_RSRC2:TIDIG_COMP_CNT: 0
; COMPUTE_PGM_RSRC3_GFX90A:ACCUM_OFFSET: 0
; COMPUTE_PGM_RSRC3_GFX90A:TG_SPLIT: 0
	.section	.text._ZN7rocprim17ROCPRIM_400000_NS6detail17trampoline_kernelINS0_14default_configENS1_35radix_sort_onesweep_config_selectorIjjEEZZNS1_29radix_sort_onesweep_iterationIS3_Lb0EN6thrust23THRUST_200600_302600_NS6detail15normal_iteratorINS8_10device_ptrIjEEEESD_SD_SD_jNS0_19identity_decomposerENS1_16block_id_wrapperIjLb0EEEEE10hipError_tT1_PNSt15iterator_traitsISI_E10value_typeET2_T3_PNSJ_ISO_E10value_typeET4_T5_PST_SU_PNS1_23onesweep_lookback_stateEbbT6_jjT7_P12ihipStream_tbENKUlT_T0_SI_SN_E_clISD_SD_SD_SD_EEDaS11_S12_SI_SN_EUlS11_E_NS1_11comp_targetILNS1_3genE10ELNS1_11target_archE1201ELNS1_3gpuE5ELNS1_3repE0EEENS1_47radix_sort_onesweep_sort_config_static_selectorELNS0_4arch9wavefront6targetE1EEEvSI_,"axG",@progbits,_ZN7rocprim17ROCPRIM_400000_NS6detail17trampoline_kernelINS0_14default_configENS1_35radix_sort_onesweep_config_selectorIjjEEZZNS1_29radix_sort_onesweep_iterationIS3_Lb0EN6thrust23THRUST_200600_302600_NS6detail15normal_iteratorINS8_10device_ptrIjEEEESD_SD_SD_jNS0_19identity_decomposerENS1_16block_id_wrapperIjLb0EEEEE10hipError_tT1_PNSt15iterator_traitsISI_E10value_typeET2_T3_PNSJ_ISO_E10value_typeET4_T5_PST_SU_PNS1_23onesweep_lookback_stateEbbT6_jjT7_P12ihipStream_tbENKUlT_T0_SI_SN_E_clISD_SD_SD_SD_EEDaS11_S12_SI_SN_EUlS11_E_NS1_11comp_targetILNS1_3genE10ELNS1_11target_archE1201ELNS1_3gpuE5ELNS1_3repE0EEENS1_47radix_sort_onesweep_sort_config_static_selectorELNS0_4arch9wavefront6targetE1EEEvSI_,comdat
	.protected	_ZN7rocprim17ROCPRIM_400000_NS6detail17trampoline_kernelINS0_14default_configENS1_35radix_sort_onesweep_config_selectorIjjEEZZNS1_29radix_sort_onesweep_iterationIS3_Lb0EN6thrust23THRUST_200600_302600_NS6detail15normal_iteratorINS8_10device_ptrIjEEEESD_SD_SD_jNS0_19identity_decomposerENS1_16block_id_wrapperIjLb0EEEEE10hipError_tT1_PNSt15iterator_traitsISI_E10value_typeET2_T3_PNSJ_ISO_E10value_typeET4_T5_PST_SU_PNS1_23onesweep_lookback_stateEbbT6_jjT7_P12ihipStream_tbENKUlT_T0_SI_SN_E_clISD_SD_SD_SD_EEDaS11_S12_SI_SN_EUlS11_E_NS1_11comp_targetILNS1_3genE10ELNS1_11target_archE1201ELNS1_3gpuE5ELNS1_3repE0EEENS1_47radix_sort_onesweep_sort_config_static_selectorELNS0_4arch9wavefront6targetE1EEEvSI_ ; -- Begin function _ZN7rocprim17ROCPRIM_400000_NS6detail17trampoline_kernelINS0_14default_configENS1_35radix_sort_onesweep_config_selectorIjjEEZZNS1_29radix_sort_onesweep_iterationIS3_Lb0EN6thrust23THRUST_200600_302600_NS6detail15normal_iteratorINS8_10device_ptrIjEEEESD_SD_SD_jNS0_19identity_decomposerENS1_16block_id_wrapperIjLb0EEEEE10hipError_tT1_PNSt15iterator_traitsISI_E10value_typeET2_T3_PNSJ_ISO_E10value_typeET4_T5_PST_SU_PNS1_23onesweep_lookback_stateEbbT6_jjT7_P12ihipStream_tbENKUlT_T0_SI_SN_E_clISD_SD_SD_SD_EEDaS11_S12_SI_SN_EUlS11_E_NS1_11comp_targetILNS1_3genE10ELNS1_11target_archE1201ELNS1_3gpuE5ELNS1_3repE0EEENS1_47radix_sort_onesweep_sort_config_static_selectorELNS0_4arch9wavefront6targetE1EEEvSI_
	.globl	_ZN7rocprim17ROCPRIM_400000_NS6detail17trampoline_kernelINS0_14default_configENS1_35radix_sort_onesweep_config_selectorIjjEEZZNS1_29radix_sort_onesweep_iterationIS3_Lb0EN6thrust23THRUST_200600_302600_NS6detail15normal_iteratorINS8_10device_ptrIjEEEESD_SD_SD_jNS0_19identity_decomposerENS1_16block_id_wrapperIjLb0EEEEE10hipError_tT1_PNSt15iterator_traitsISI_E10value_typeET2_T3_PNSJ_ISO_E10value_typeET4_T5_PST_SU_PNS1_23onesweep_lookback_stateEbbT6_jjT7_P12ihipStream_tbENKUlT_T0_SI_SN_E_clISD_SD_SD_SD_EEDaS11_S12_SI_SN_EUlS11_E_NS1_11comp_targetILNS1_3genE10ELNS1_11target_archE1201ELNS1_3gpuE5ELNS1_3repE0EEENS1_47radix_sort_onesweep_sort_config_static_selectorELNS0_4arch9wavefront6targetE1EEEvSI_
	.p2align	8
	.type	_ZN7rocprim17ROCPRIM_400000_NS6detail17trampoline_kernelINS0_14default_configENS1_35radix_sort_onesweep_config_selectorIjjEEZZNS1_29radix_sort_onesweep_iterationIS3_Lb0EN6thrust23THRUST_200600_302600_NS6detail15normal_iteratorINS8_10device_ptrIjEEEESD_SD_SD_jNS0_19identity_decomposerENS1_16block_id_wrapperIjLb0EEEEE10hipError_tT1_PNSt15iterator_traitsISI_E10value_typeET2_T3_PNSJ_ISO_E10value_typeET4_T5_PST_SU_PNS1_23onesweep_lookback_stateEbbT6_jjT7_P12ihipStream_tbENKUlT_T0_SI_SN_E_clISD_SD_SD_SD_EEDaS11_S12_SI_SN_EUlS11_E_NS1_11comp_targetILNS1_3genE10ELNS1_11target_archE1201ELNS1_3gpuE5ELNS1_3repE0EEENS1_47radix_sort_onesweep_sort_config_static_selectorELNS0_4arch9wavefront6targetE1EEEvSI_,@function
_ZN7rocprim17ROCPRIM_400000_NS6detail17trampoline_kernelINS0_14default_configENS1_35radix_sort_onesweep_config_selectorIjjEEZZNS1_29radix_sort_onesweep_iterationIS3_Lb0EN6thrust23THRUST_200600_302600_NS6detail15normal_iteratorINS8_10device_ptrIjEEEESD_SD_SD_jNS0_19identity_decomposerENS1_16block_id_wrapperIjLb0EEEEE10hipError_tT1_PNSt15iterator_traitsISI_E10value_typeET2_T3_PNSJ_ISO_E10value_typeET4_T5_PST_SU_PNS1_23onesweep_lookback_stateEbbT6_jjT7_P12ihipStream_tbENKUlT_T0_SI_SN_E_clISD_SD_SD_SD_EEDaS11_S12_SI_SN_EUlS11_E_NS1_11comp_targetILNS1_3genE10ELNS1_11target_archE1201ELNS1_3gpuE5ELNS1_3repE0EEENS1_47radix_sort_onesweep_sort_config_static_selectorELNS0_4arch9wavefront6targetE1EEEvSI_: ; @_ZN7rocprim17ROCPRIM_400000_NS6detail17trampoline_kernelINS0_14default_configENS1_35radix_sort_onesweep_config_selectorIjjEEZZNS1_29radix_sort_onesweep_iterationIS3_Lb0EN6thrust23THRUST_200600_302600_NS6detail15normal_iteratorINS8_10device_ptrIjEEEESD_SD_SD_jNS0_19identity_decomposerENS1_16block_id_wrapperIjLb0EEEEE10hipError_tT1_PNSt15iterator_traitsISI_E10value_typeET2_T3_PNSJ_ISO_E10value_typeET4_T5_PST_SU_PNS1_23onesweep_lookback_stateEbbT6_jjT7_P12ihipStream_tbENKUlT_T0_SI_SN_E_clISD_SD_SD_SD_EEDaS11_S12_SI_SN_EUlS11_E_NS1_11comp_targetILNS1_3genE10ELNS1_11target_archE1201ELNS1_3gpuE5ELNS1_3repE0EEENS1_47radix_sort_onesweep_sort_config_static_selectorELNS0_4arch9wavefront6targetE1EEEvSI_
; %bb.0:
	.section	.rodata,"a",@progbits
	.p2align	6, 0x0
	.amdhsa_kernel _ZN7rocprim17ROCPRIM_400000_NS6detail17trampoline_kernelINS0_14default_configENS1_35radix_sort_onesweep_config_selectorIjjEEZZNS1_29radix_sort_onesweep_iterationIS3_Lb0EN6thrust23THRUST_200600_302600_NS6detail15normal_iteratorINS8_10device_ptrIjEEEESD_SD_SD_jNS0_19identity_decomposerENS1_16block_id_wrapperIjLb0EEEEE10hipError_tT1_PNSt15iterator_traitsISI_E10value_typeET2_T3_PNSJ_ISO_E10value_typeET4_T5_PST_SU_PNS1_23onesweep_lookback_stateEbbT6_jjT7_P12ihipStream_tbENKUlT_T0_SI_SN_E_clISD_SD_SD_SD_EEDaS11_S12_SI_SN_EUlS11_E_NS1_11comp_targetILNS1_3genE10ELNS1_11target_archE1201ELNS1_3gpuE5ELNS1_3repE0EEENS1_47radix_sort_onesweep_sort_config_static_selectorELNS0_4arch9wavefront6targetE1EEEvSI_
		.amdhsa_group_segment_fixed_size 0
		.amdhsa_private_segment_fixed_size 0
		.amdhsa_kernarg_size 88
		.amdhsa_user_sgpr_count 2
		.amdhsa_user_sgpr_dispatch_ptr 0
		.amdhsa_user_sgpr_queue_ptr 0
		.amdhsa_user_sgpr_kernarg_segment_ptr 1
		.amdhsa_user_sgpr_dispatch_id 0
		.amdhsa_user_sgpr_kernarg_preload_length 0
		.amdhsa_user_sgpr_kernarg_preload_offset 0
		.amdhsa_user_sgpr_private_segment_size 0
		.amdhsa_uses_dynamic_stack 0
		.amdhsa_enable_private_segment 0
		.amdhsa_system_sgpr_workgroup_id_x 1
		.amdhsa_system_sgpr_workgroup_id_y 0
		.amdhsa_system_sgpr_workgroup_id_z 0
		.amdhsa_system_sgpr_workgroup_info 0
		.amdhsa_system_vgpr_workitem_id 0
		.amdhsa_next_free_vgpr 1
		.amdhsa_next_free_sgpr 0
		.amdhsa_accum_offset 4
		.amdhsa_reserve_vcc 0
		.amdhsa_float_round_mode_32 0
		.amdhsa_float_round_mode_16_64 0
		.amdhsa_float_denorm_mode_32 3
		.amdhsa_float_denorm_mode_16_64 3
		.amdhsa_dx10_clamp 1
		.amdhsa_ieee_mode 1
		.amdhsa_fp16_overflow 0
		.amdhsa_tg_split 0
		.amdhsa_exception_fp_ieee_invalid_op 0
		.amdhsa_exception_fp_denorm_src 0
		.amdhsa_exception_fp_ieee_div_zero 0
		.amdhsa_exception_fp_ieee_overflow 0
		.amdhsa_exception_fp_ieee_underflow 0
		.amdhsa_exception_fp_ieee_inexact 0
		.amdhsa_exception_int_div_zero 0
	.end_amdhsa_kernel
	.section	.text._ZN7rocprim17ROCPRIM_400000_NS6detail17trampoline_kernelINS0_14default_configENS1_35radix_sort_onesweep_config_selectorIjjEEZZNS1_29radix_sort_onesweep_iterationIS3_Lb0EN6thrust23THRUST_200600_302600_NS6detail15normal_iteratorINS8_10device_ptrIjEEEESD_SD_SD_jNS0_19identity_decomposerENS1_16block_id_wrapperIjLb0EEEEE10hipError_tT1_PNSt15iterator_traitsISI_E10value_typeET2_T3_PNSJ_ISO_E10value_typeET4_T5_PST_SU_PNS1_23onesweep_lookback_stateEbbT6_jjT7_P12ihipStream_tbENKUlT_T0_SI_SN_E_clISD_SD_SD_SD_EEDaS11_S12_SI_SN_EUlS11_E_NS1_11comp_targetILNS1_3genE10ELNS1_11target_archE1201ELNS1_3gpuE5ELNS1_3repE0EEENS1_47radix_sort_onesweep_sort_config_static_selectorELNS0_4arch9wavefront6targetE1EEEvSI_,"axG",@progbits,_ZN7rocprim17ROCPRIM_400000_NS6detail17trampoline_kernelINS0_14default_configENS1_35radix_sort_onesweep_config_selectorIjjEEZZNS1_29radix_sort_onesweep_iterationIS3_Lb0EN6thrust23THRUST_200600_302600_NS6detail15normal_iteratorINS8_10device_ptrIjEEEESD_SD_SD_jNS0_19identity_decomposerENS1_16block_id_wrapperIjLb0EEEEE10hipError_tT1_PNSt15iterator_traitsISI_E10value_typeET2_T3_PNSJ_ISO_E10value_typeET4_T5_PST_SU_PNS1_23onesweep_lookback_stateEbbT6_jjT7_P12ihipStream_tbENKUlT_T0_SI_SN_E_clISD_SD_SD_SD_EEDaS11_S12_SI_SN_EUlS11_E_NS1_11comp_targetILNS1_3genE10ELNS1_11target_archE1201ELNS1_3gpuE5ELNS1_3repE0EEENS1_47radix_sort_onesweep_sort_config_static_selectorELNS0_4arch9wavefront6targetE1EEEvSI_,comdat
.Lfunc_end784:
	.size	_ZN7rocprim17ROCPRIM_400000_NS6detail17trampoline_kernelINS0_14default_configENS1_35radix_sort_onesweep_config_selectorIjjEEZZNS1_29radix_sort_onesweep_iterationIS3_Lb0EN6thrust23THRUST_200600_302600_NS6detail15normal_iteratorINS8_10device_ptrIjEEEESD_SD_SD_jNS0_19identity_decomposerENS1_16block_id_wrapperIjLb0EEEEE10hipError_tT1_PNSt15iterator_traitsISI_E10value_typeET2_T3_PNSJ_ISO_E10value_typeET4_T5_PST_SU_PNS1_23onesweep_lookback_stateEbbT6_jjT7_P12ihipStream_tbENKUlT_T0_SI_SN_E_clISD_SD_SD_SD_EEDaS11_S12_SI_SN_EUlS11_E_NS1_11comp_targetILNS1_3genE10ELNS1_11target_archE1201ELNS1_3gpuE5ELNS1_3repE0EEENS1_47radix_sort_onesweep_sort_config_static_selectorELNS0_4arch9wavefront6targetE1EEEvSI_, .Lfunc_end784-_ZN7rocprim17ROCPRIM_400000_NS6detail17trampoline_kernelINS0_14default_configENS1_35radix_sort_onesweep_config_selectorIjjEEZZNS1_29radix_sort_onesweep_iterationIS3_Lb0EN6thrust23THRUST_200600_302600_NS6detail15normal_iteratorINS8_10device_ptrIjEEEESD_SD_SD_jNS0_19identity_decomposerENS1_16block_id_wrapperIjLb0EEEEE10hipError_tT1_PNSt15iterator_traitsISI_E10value_typeET2_T3_PNSJ_ISO_E10value_typeET4_T5_PST_SU_PNS1_23onesweep_lookback_stateEbbT6_jjT7_P12ihipStream_tbENKUlT_T0_SI_SN_E_clISD_SD_SD_SD_EEDaS11_S12_SI_SN_EUlS11_E_NS1_11comp_targetILNS1_3genE10ELNS1_11target_archE1201ELNS1_3gpuE5ELNS1_3repE0EEENS1_47radix_sort_onesweep_sort_config_static_selectorELNS0_4arch9wavefront6targetE1EEEvSI_
                                        ; -- End function
	.set _ZN7rocprim17ROCPRIM_400000_NS6detail17trampoline_kernelINS0_14default_configENS1_35radix_sort_onesweep_config_selectorIjjEEZZNS1_29radix_sort_onesweep_iterationIS3_Lb0EN6thrust23THRUST_200600_302600_NS6detail15normal_iteratorINS8_10device_ptrIjEEEESD_SD_SD_jNS0_19identity_decomposerENS1_16block_id_wrapperIjLb0EEEEE10hipError_tT1_PNSt15iterator_traitsISI_E10value_typeET2_T3_PNSJ_ISO_E10value_typeET4_T5_PST_SU_PNS1_23onesweep_lookback_stateEbbT6_jjT7_P12ihipStream_tbENKUlT_T0_SI_SN_E_clISD_SD_SD_SD_EEDaS11_S12_SI_SN_EUlS11_E_NS1_11comp_targetILNS1_3genE10ELNS1_11target_archE1201ELNS1_3gpuE5ELNS1_3repE0EEENS1_47radix_sort_onesweep_sort_config_static_selectorELNS0_4arch9wavefront6targetE1EEEvSI_.num_vgpr, 0
	.set _ZN7rocprim17ROCPRIM_400000_NS6detail17trampoline_kernelINS0_14default_configENS1_35radix_sort_onesweep_config_selectorIjjEEZZNS1_29radix_sort_onesweep_iterationIS3_Lb0EN6thrust23THRUST_200600_302600_NS6detail15normal_iteratorINS8_10device_ptrIjEEEESD_SD_SD_jNS0_19identity_decomposerENS1_16block_id_wrapperIjLb0EEEEE10hipError_tT1_PNSt15iterator_traitsISI_E10value_typeET2_T3_PNSJ_ISO_E10value_typeET4_T5_PST_SU_PNS1_23onesweep_lookback_stateEbbT6_jjT7_P12ihipStream_tbENKUlT_T0_SI_SN_E_clISD_SD_SD_SD_EEDaS11_S12_SI_SN_EUlS11_E_NS1_11comp_targetILNS1_3genE10ELNS1_11target_archE1201ELNS1_3gpuE5ELNS1_3repE0EEENS1_47radix_sort_onesweep_sort_config_static_selectorELNS0_4arch9wavefront6targetE1EEEvSI_.num_agpr, 0
	.set _ZN7rocprim17ROCPRIM_400000_NS6detail17trampoline_kernelINS0_14default_configENS1_35radix_sort_onesweep_config_selectorIjjEEZZNS1_29radix_sort_onesweep_iterationIS3_Lb0EN6thrust23THRUST_200600_302600_NS6detail15normal_iteratorINS8_10device_ptrIjEEEESD_SD_SD_jNS0_19identity_decomposerENS1_16block_id_wrapperIjLb0EEEEE10hipError_tT1_PNSt15iterator_traitsISI_E10value_typeET2_T3_PNSJ_ISO_E10value_typeET4_T5_PST_SU_PNS1_23onesweep_lookback_stateEbbT6_jjT7_P12ihipStream_tbENKUlT_T0_SI_SN_E_clISD_SD_SD_SD_EEDaS11_S12_SI_SN_EUlS11_E_NS1_11comp_targetILNS1_3genE10ELNS1_11target_archE1201ELNS1_3gpuE5ELNS1_3repE0EEENS1_47radix_sort_onesweep_sort_config_static_selectorELNS0_4arch9wavefront6targetE1EEEvSI_.numbered_sgpr, 0
	.set _ZN7rocprim17ROCPRIM_400000_NS6detail17trampoline_kernelINS0_14default_configENS1_35radix_sort_onesweep_config_selectorIjjEEZZNS1_29radix_sort_onesweep_iterationIS3_Lb0EN6thrust23THRUST_200600_302600_NS6detail15normal_iteratorINS8_10device_ptrIjEEEESD_SD_SD_jNS0_19identity_decomposerENS1_16block_id_wrapperIjLb0EEEEE10hipError_tT1_PNSt15iterator_traitsISI_E10value_typeET2_T3_PNSJ_ISO_E10value_typeET4_T5_PST_SU_PNS1_23onesweep_lookback_stateEbbT6_jjT7_P12ihipStream_tbENKUlT_T0_SI_SN_E_clISD_SD_SD_SD_EEDaS11_S12_SI_SN_EUlS11_E_NS1_11comp_targetILNS1_3genE10ELNS1_11target_archE1201ELNS1_3gpuE5ELNS1_3repE0EEENS1_47radix_sort_onesweep_sort_config_static_selectorELNS0_4arch9wavefront6targetE1EEEvSI_.num_named_barrier, 0
	.set _ZN7rocprim17ROCPRIM_400000_NS6detail17trampoline_kernelINS0_14default_configENS1_35radix_sort_onesweep_config_selectorIjjEEZZNS1_29radix_sort_onesweep_iterationIS3_Lb0EN6thrust23THRUST_200600_302600_NS6detail15normal_iteratorINS8_10device_ptrIjEEEESD_SD_SD_jNS0_19identity_decomposerENS1_16block_id_wrapperIjLb0EEEEE10hipError_tT1_PNSt15iterator_traitsISI_E10value_typeET2_T3_PNSJ_ISO_E10value_typeET4_T5_PST_SU_PNS1_23onesweep_lookback_stateEbbT6_jjT7_P12ihipStream_tbENKUlT_T0_SI_SN_E_clISD_SD_SD_SD_EEDaS11_S12_SI_SN_EUlS11_E_NS1_11comp_targetILNS1_3genE10ELNS1_11target_archE1201ELNS1_3gpuE5ELNS1_3repE0EEENS1_47radix_sort_onesweep_sort_config_static_selectorELNS0_4arch9wavefront6targetE1EEEvSI_.private_seg_size, 0
	.set _ZN7rocprim17ROCPRIM_400000_NS6detail17trampoline_kernelINS0_14default_configENS1_35radix_sort_onesweep_config_selectorIjjEEZZNS1_29radix_sort_onesweep_iterationIS3_Lb0EN6thrust23THRUST_200600_302600_NS6detail15normal_iteratorINS8_10device_ptrIjEEEESD_SD_SD_jNS0_19identity_decomposerENS1_16block_id_wrapperIjLb0EEEEE10hipError_tT1_PNSt15iterator_traitsISI_E10value_typeET2_T3_PNSJ_ISO_E10value_typeET4_T5_PST_SU_PNS1_23onesweep_lookback_stateEbbT6_jjT7_P12ihipStream_tbENKUlT_T0_SI_SN_E_clISD_SD_SD_SD_EEDaS11_S12_SI_SN_EUlS11_E_NS1_11comp_targetILNS1_3genE10ELNS1_11target_archE1201ELNS1_3gpuE5ELNS1_3repE0EEENS1_47radix_sort_onesweep_sort_config_static_selectorELNS0_4arch9wavefront6targetE1EEEvSI_.uses_vcc, 0
	.set _ZN7rocprim17ROCPRIM_400000_NS6detail17trampoline_kernelINS0_14default_configENS1_35radix_sort_onesweep_config_selectorIjjEEZZNS1_29radix_sort_onesweep_iterationIS3_Lb0EN6thrust23THRUST_200600_302600_NS6detail15normal_iteratorINS8_10device_ptrIjEEEESD_SD_SD_jNS0_19identity_decomposerENS1_16block_id_wrapperIjLb0EEEEE10hipError_tT1_PNSt15iterator_traitsISI_E10value_typeET2_T3_PNSJ_ISO_E10value_typeET4_T5_PST_SU_PNS1_23onesweep_lookback_stateEbbT6_jjT7_P12ihipStream_tbENKUlT_T0_SI_SN_E_clISD_SD_SD_SD_EEDaS11_S12_SI_SN_EUlS11_E_NS1_11comp_targetILNS1_3genE10ELNS1_11target_archE1201ELNS1_3gpuE5ELNS1_3repE0EEENS1_47radix_sort_onesweep_sort_config_static_selectorELNS0_4arch9wavefront6targetE1EEEvSI_.uses_flat_scratch, 0
	.set _ZN7rocprim17ROCPRIM_400000_NS6detail17trampoline_kernelINS0_14default_configENS1_35radix_sort_onesweep_config_selectorIjjEEZZNS1_29radix_sort_onesweep_iterationIS3_Lb0EN6thrust23THRUST_200600_302600_NS6detail15normal_iteratorINS8_10device_ptrIjEEEESD_SD_SD_jNS0_19identity_decomposerENS1_16block_id_wrapperIjLb0EEEEE10hipError_tT1_PNSt15iterator_traitsISI_E10value_typeET2_T3_PNSJ_ISO_E10value_typeET4_T5_PST_SU_PNS1_23onesweep_lookback_stateEbbT6_jjT7_P12ihipStream_tbENKUlT_T0_SI_SN_E_clISD_SD_SD_SD_EEDaS11_S12_SI_SN_EUlS11_E_NS1_11comp_targetILNS1_3genE10ELNS1_11target_archE1201ELNS1_3gpuE5ELNS1_3repE0EEENS1_47radix_sort_onesweep_sort_config_static_selectorELNS0_4arch9wavefront6targetE1EEEvSI_.has_dyn_sized_stack, 0
	.set _ZN7rocprim17ROCPRIM_400000_NS6detail17trampoline_kernelINS0_14default_configENS1_35radix_sort_onesweep_config_selectorIjjEEZZNS1_29radix_sort_onesweep_iterationIS3_Lb0EN6thrust23THRUST_200600_302600_NS6detail15normal_iteratorINS8_10device_ptrIjEEEESD_SD_SD_jNS0_19identity_decomposerENS1_16block_id_wrapperIjLb0EEEEE10hipError_tT1_PNSt15iterator_traitsISI_E10value_typeET2_T3_PNSJ_ISO_E10value_typeET4_T5_PST_SU_PNS1_23onesweep_lookback_stateEbbT6_jjT7_P12ihipStream_tbENKUlT_T0_SI_SN_E_clISD_SD_SD_SD_EEDaS11_S12_SI_SN_EUlS11_E_NS1_11comp_targetILNS1_3genE10ELNS1_11target_archE1201ELNS1_3gpuE5ELNS1_3repE0EEENS1_47radix_sort_onesweep_sort_config_static_selectorELNS0_4arch9wavefront6targetE1EEEvSI_.has_recursion, 0
	.set _ZN7rocprim17ROCPRIM_400000_NS6detail17trampoline_kernelINS0_14default_configENS1_35radix_sort_onesweep_config_selectorIjjEEZZNS1_29radix_sort_onesweep_iterationIS3_Lb0EN6thrust23THRUST_200600_302600_NS6detail15normal_iteratorINS8_10device_ptrIjEEEESD_SD_SD_jNS0_19identity_decomposerENS1_16block_id_wrapperIjLb0EEEEE10hipError_tT1_PNSt15iterator_traitsISI_E10value_typeET2_T3_PNSJ_ISO_E10value_typeET4_T5_PST_SU_PNS1_23onesweep_lookback_stateEbbT6_jjT7_P12ihipStream_tbENKUlT_T0_SI_SN_E_clISD_SD_SD_SD_EEDaS11_S12_SI_SN_EUlS11_E_NS1_11comp_targetILNS1_3genE10ELNS1_11target_archE1201ELNS1_3gpuE5ELNS1_3repE0EEENS1_47radix_sort_onesweep_sort_config_static_selectorELNS0_4arch9wavefront6targetE1EEEvSI_.has_indirect_call, 0
	.section	.AMDGPU.csdata,"",@progbits
; Kernel info:
; codeLenInByte = 0
; TotalNumSgprs: 6
; NumVgprs: 0
; NumAgprs: 0
; TotalNumVgprs: 0
; ScratchSize: 0
; MemoryBound: 0
; FloatMode: 240
; IeeeMode: 1
; LDSByteSize: 0 bytes/workgroup (compile time only)
; SGPRBlocks: 0
; VGPRBlocks: 0
; NumSGPRsForWavesPerEU: 6
; NumVGPRsForWavesPerEU: 1
; AccumOffset: 4
; Occupancy: 8
; WaveLimiterHint : 0
; COMPUTE_PGM_RSRC2:SCRATCH_EN: 0
; COMPUTE_PGM_RSRC2:USER_SGPR: 2
; COMPUTE_PGM_RSRC2:TRAP_HANDLER: 0
; COMPUTE_PGM_RSRC2:TGID_X_EN: 1
; COMPUTE_PGM_RSRC2:TGID_Y_EN: 0
; COMPUTE_PGM_RSRC2:TGID_Z_EN: 0
; COMPUTE_PGM_RSRC2:TIDIG_COMP_CNT: 0
; COMPUTE_PGM_RSRC3_GFX90A:ACCUM_OFFSET: 0
; COMPUTE_PGM_RSRC3_GFX90A:TG_SPLIT: 0
	.section	.text._ZN7rocprim17ROCPRIM_400000_NS6detail17trampoline_kernelINS0_14default_configENS1_35radix_sort_onesweep_config_selectorIjjEEZZNS1_29radix_sort_onesweep_iterationIS3_Lb0EN6thrust23THRUST_200600_302600_NS6detail15normal_iteratorINS8_10device_ptrIjEEEESD_SD_SD_jNS0_19identity_decomposerENS1_16block_id_wrapperIjLb0EEEEE10hipError_tT1_PNSt15iterator_traitsISI_E10value_typeET2_T3_PNSJ_ISO_E10value_typeET4_T5_PST_SU_PNS1_23onesweep_lookback_stateEbbT6_jjT7_P12ihipStream_tbENKUlT_T0_SI_SN_E_clISD_SD_SD_SD_EEDaS11_S12_SI_SN_EUlS11_E_NS1_11comp_targetILNS1_3genE9ELNS1_11target_archE1100ELNS1_3gpuE3ELNS1_3repE0EEENS1_47radix_sort_onesweep_sort_config_static_selectorELNS0_4arch9wavefront6targetE1EEEvSI_,"axG",@progbits,_ZN7rocprim17ROCPRIM_400000_NS6detail17trampoline_kernelINS0_14default_configENS1_35radix_sort_onesweep_config_selectorIjjEEZZNS1_29radix_sort_onesweep_iterationIS3_Lb0EN6thrust23THRUST_200600_302600_NS6detail15normal_iteratorINS8_10device_ptrIjEEEESD_SD_SD_jNS0_19identity_decomposerENS1_16block_id_wrapperIjLb0EEEEE10hipError_tT1_PNSt15iterator_traitsISI_E10value_typeET2_T3_PNSJ_ISO_E10value_typeET4_T5_PST_SU_PNS1_23onesweep_lookback_stateEbbT6_jjT7_P12ihipStream_tbENKUlT_T0_SI_SN_E_clISD_SD_SD_SD_EEDaS11_S12_SI_SN_EUlS11_E_NS1_11comp_targetILNS1_3genE9ELNS1_11target_archE1100ELNS1_3gpuE3ELNS1_3repE0EEENS1_47radix_sort_onesweep_sort_config_static_selectorELNS0_4arch9wavefront6targetE1EEEvSI_,comdat
	.protected	_ZN7rocprim17ROCPRIM_400000_NS6detail17trampoline_kernelINS0_14default_configENS1_35radix_sort_onesweep_config_selectorIjjEEZZNS1_29radix_sort_onesweep_iterationIS3_Lb0EN6thrust23THRUST_200600_302600_NS6detail15normal_iteratorINS8_10device_ptrIjEEEESD_SD_SD_jNS0_19identity_decomposerENS1_16block_id_wrapperIjLb0EEEEE10hipError_tT1_PNSt15iterator_traitsISI_E10value_typeET2_T3_PNSJ_ISO_E10value_typeET4_T5_PST_SU_PNS1_23onesweep_lookback_stateEbbT6_jjT7_P12ihipStream_tbENKUlT_T0_SI_SN_E_clISD_SD_SD_SD_EEDaS11_S12_SI_SN_EUlS11_E_NS1_11comp_targetILNS1_3genE9ELNS1_11target_archE1100ELNS1_3gpuE3ELNS1_3repE0EEENS1_47radix_sort_onesweep_sort_config_static_selectorELNS0_4arch9wavefront6targetE1EEEvSI_ ; -- Begin function _ZN7rocprim17ROCPRIM_400000_NS6detail17trampoline_kernelINS0_14default_configENS1_35radix_sort_onesweep_config_selectorIjjEEZZNS1_29radix_sort_onesweep_iterationIS3_Lb0EN6thrust23THRUST_200600_302600_NS6detail15normal_iteratorINS8_10device_ptrIjEEEESD_SD_SD_jNS0_19identity_decomposerENS1_16block_id_wrapperIjLb0EEEEE10hipError_tT1_PNSt15iterator_traitsISI_E10value_typeET2_T3_PNSJ_ISO_E10value_typeET4_T5_PST_SU_PNS1_23onesweep_lookback_stateEbbT6_jjT7_P12ihipStream_tbENKUlT_T0_SI_SN_E_clISD_SD_SD_SD_EEDaS11_S12_SI_SN_EUlS11_E_NS1_11comp_targetILNS1_3genE9ELNS1_11target_archE1100ELNS1_3gpuE3ELNS1_3repE0EEENS1_47radix_sort_onesweep_sort_config_static_selectorELNS0_4arch9wavefront6targetE1EEEvSI_
	.globl	_ZN7rocprim17ROCPRIM_400000_NS6detail17trampoline_kernelINS0_14default_configENS1_35radix_sort_onesweep_config_selectorIjjEEZZNS1_29radix_sort_onesweep_iterationIS3_Lb0EN6thrust23THRUST_200600_302600_NS6detail15normal_iteratorINS8_10device_ptrIjEEEESD_SD_SD_jNS0_19identity_decomposerENS1_16block_id_wrapperIjLb0EEEEE10hipError_tT1_PNSt15iterator_traitsISI_E10value_typeET2_T3_PNSJ_ISO_E10value_typeET4_T5_PST_SU_PNS1_23onesweep_lookback_stateEbbT6_jjT7_P12ihipStream_tbENKUlT_T0_SI_SN_E_clISD_SD_SD_SD_EEDaS11_S12_SI_SN_EUlS11_E_NS1_11comp_targetILNS1_3genE9ELNS1_11target_archE1100ELNS1_3gpuE3ELNS1_3repE0EEENS1_47radix_sort_onesweep_sort_config_static_selectorELNS0_4arch9wavefront6targetE1EEEvSI_
	.p2align	8
	.type	_ZN7rocprim17ROCPRIM_400000_NS6detail17trampoline_kernelINS0_14default_configENS1_35radix_sort_onesweep_config_selectorIjjEEZZNS1_29radix_sort_onesweep_iterationIS3_Lb0EN6thrust23THRUST_200600_302600_NS6detail15normal_iteratorINS8_10device_ptrIjEEEESD_SD_SD_jNS0_19identity_decomposerENS1_16block_id_wrapperIjLb0EEEEE10hipError_tT1_PNSt15iterator_traitsISI_E10value_typeET2_T3_PNSJ_ISO_E10value_typeET4_T5_PST_SU_PNS1_23onesweep_lookback_stateEbbT6_jjT7_P12ihipStream_tbENKUlT_T0_SI_SN_E_clISD_SD_SD_SD_EEDaS11_S12_SI_SN_EUlS11_E_NS1_11comp_targetILNS1_3genE9ELNS1_11target_archE1100ELNS1_3gpuE3ELNS1_3repE0EEENS1_47radix_sort_onesweep_sort_config_static_selectorELNS0_4arch9wavefront6targetE1EEEvSI_,@function
_ZN7rocprim17ROCPRIM_400000_NS6detail17trampoline_kernelINS0_14default_configENS1_35radix_sort_onesweep_config_selectorIjjEEZZNS1_29radix_sort_onesweep_iterationIS3_Lb0EN6thrust23THRUST_200600_302600_NS6detail15normal_iteratorINS8_10device_ptrIjEEEESD_SD_SD_jNS0_19identity_decomposerENS1_16block_id_wrapperIjLb0EEEEE10hipError_tT1_PNSt15iterator_traitsISI_E10value_typeET2_T3_PNSJ_ISO_E10value_typeET4_T5_PST_SU_PNS1_23onesweep_lookback_stateEbbT6_jjT7_P12ihipStream_tbENKUlT_T0_SI_SN_E_clISD_SD_SD_SD_EEDaS11_S12_SI_SN_EUlS11_E_NS1_11comp_targetILNS1_3genE9ELNS1_11target_archE1100ELNS1_3gpuE3ELNS1_3repE0EEENS1_47radix_sort_onesweep_sort_config_static_selectorELNS0_4arch9wavefront6targetE1EEEvSI_: ; @_ZN7rocprim17ROCPRIM_400000_NS6detail17trampoline_kernelINS0_14default_configENS1_35radix_sort_onesweep_config_selectorIjjEEZZNS1_29radix_sort_onesweep_iterationIS3_Lb0EN6thrust23THRUST_200600_302600_NS6detail15normal_iteratorINS8_10device_ptrIjEEEESD_SD_SD_jNS0_19identity_decomposerENS1_16block_id_wrapperIjLb0EEEEE10hipError_tT1_PNSt15iterator_traitsISI_E10value_typeET2_T3_PNSJ_ISO_E10value_typeET4_T5_PST_SU_PNS1_23onesweep_lookback_stateEbbT6_jjT7_P12ihipStream_tbENKUlT_T0_SI_SN_E_clISD_SD_SD_SD_EEDaS11_S12_SI_SN_EUlS11_E_NS1_11comp_targetILNS1_3genE9ELNS1_11target_archE1100ELNS1_3gpuE3ELNS1_3repE0EEENS1_47radix_sort_onesweep_sort_config_static_selectorELNS0_4arch9wavefront6targetE1EEEvSI_
; %bb.0:
	.section	.rodata,"a",@progbits
	.p2align	6, 0x0
	.amdhsa_kernel _ZN7rocprim17ROCPRIM_400000_NS6detail17trampoline_kernelINS0_14default_configENS1_35radix_sort_onesweep_config_selectorIjjEEZZNS1_29radix_sort_onesweep_iterationIS3_Lb0EN6thrust23THRUST_200600_302600_NS6detail15normal_iteratorINS8_10device_ptrIjEEEESD_SD_SD_jNS0_19identity_decomposerENS1_16block_id_wrapperIjLb0EEEEE10hipError_tT1_PNSt15iterator_traitsISI_E10value_typeET2_T3_PNSJ_ISO_E10value_typeET4_T5_PST_SU_PNS1_23onesweep_lookback_stateEbbT6_jjT7_P12ihipStream_tbENKUlT_T0_SI_SN_E_clISD_SD_SD_SD_EEDaS11_S12_SI_SN_EUlS11_E_NS1_11comp_targetILNS1_3genE9ELNS1_11target_archE1100ELNS1_3gpuE3ELNS1_3repE0EEENS1_47radix_sort_onesweep_sort_config_static_selectorELNS0_4arch9wavefront6targetE1EEEvSI_
		.amdhsa_group_segment_fixed_size 0
		.amdhsa_private_segment_fixed_size 0
		.amdhsa_kernarg_size 88
		.amdhsa_user_sgpr_count 2
		.amdhsa_user_sgpr_dispatch_ptr 0
		.amdhsa_user_sgpr_queue_ptr 0
		.amdhsa_user_sgpr_kernarg_segment_ptr 1
		.amdhsa_user_sgpr_dispatch_id 0
		.amdhsa_user_sgpr_kernarg_preload_length 0
		.amdhsa_user_sgpr_kernarg_preload_offset 0
		.amdhsa_user_sgpr_private_segment_size 0
		.amdhsa_uses_dynamic_stack 0
		.amdhsa_enable_private_segment 0
		.amdhsa_system_sgpr_workgroup_id_x 1
		.amdhsa_system_sgpr_workgroup_id_y 0
		.amdhsa_system_sgpr_workgroup_id_z 0
		.amdhsa_system_sgpr_workgroup_info 0
		.amdhsa_system_vgpr_workitem_id 0
		.amdhsa_next_free_vgpr 1
		.amdhsa_next_free_sgpr 0
		.amdhsa_accum_offset 4
		.amdhsa_reserve_vcc 0
		.amdhsa_float_round_mode_32 0
		.amdhsa_float_round_mode_16_64 0
		.amdhsa_float_denorm_mode_32 3
		.amdhsa_float_denorm_mode_16_64 3
		.amdhsa_dx10_clamp 1
		.amdhsa_ieee_mode 1
		.amdhsa_fp16_overflow 0
		.amdhsa_tg_split 0
		.amdhsa_exception_fp_ieee_invalid_op 0
		.amdhsa_exception_fp_denorm_src 0
		.amdhsa_exception_fp_ieee_div_zero 0
		.amdhsa_exception_fp_ieee_overflow 0
		.amdhsa_exception_fp_ieee_underflow 0
		.amdhsa_exception_fp_ieee_inexact 0
		.amdhsa_exception_int_div_zero 0
	.end_amdhsa_kernel
	.section	.text._ZN7rocprim17ROCPRIM_400000_NS6detail17trampoline_kernelINS0_14default_configENS1_35radix_sort_onesweep_config_selectorIjjEEZZNS1_29radix_sort_onesweep_iterationIS3_Lb0EN6thrust23THRUST_200600_302600_NS6detail15normal_iteratorINS8_10device_ptrIjEEEESD_SD_SD_jNS0_19identity_decomposerENS1_16block_id_wrapperIjLb0EEEEE10hipError_tT1_PNSt15iterator_traitsISI_E10value_typeET2_T3_PNSJ_ISO_E10value_typeET4_T5_PST_SU_PNS1_23onesweep_lookback_stateEbbT6_jjT7_P12ihipStream_tbENKUlT_T0_SI_SN_E_clISD_SD_SD_SD_EEDaS11_S12_SI_SN_EUlS11_E_NS1_11comp_targetILNS1_3genE9ELNS1_11target_archE1100ELNS1_3gpuE3ELNS1_3repE0EEENS1_47radix_sort_onesweep_sort_config_static_selectorELNS0_4arch9wavefront6targetE1EEEvSI_,"axG",@progbits,_ZN7rocprim17ROCPRIM_400000_NS6detail17trampoline_kernelINS0_14default_configENS1_35radix_sort_onesweep_config_selectorIjjEEZZNS1_29radix_sort_onesweep_iterationIS3_Lb0EN6thrust23THRUST_200600_302600_NS6detail15normal_iteratorINS8_10device_ptrIjEEEESD_SD_SD_jNS0_19identity_decomposerENS1_16block_id_wrapperIjLb0EEEEE10hipError_tT1_PNSt15iterator_traitsISI_E10value_typeET2_T3_PNSJ_ISO_E10value_typeET4_T5_PST_SU_PNS1_23onesweep_lookback_stateEbbT6_jjT7_P12ihipStream_tbENKUlT_T0_SI_SN_E_clISD_SD_SD_SD_EEDaS11_S12_SI_SN_EUlS11_E_NS1_11comp_targetILNS1_3genE9ELNS1_11target_archE1100ELNS1_3gpuE3ELNS1_3repE0EEENS1_47radix_sort_onesweep_sort_config_static_selectorELNS0_4arch9wavefront6targetE1EEEvSI_,comdat
.Lfunc_end785:
	.size	_ZN7rocprim17ROCPRIM_400000_NS6detail17trampoline_kernelINS0_14default_configENS1_35radix_sort_onesweep_config_selectorIjjEEZZNS1_29radix_sort_onesweep_iterationIS3_Lb0EN6thrust23THRUST_200600_302600_NS6detail15normal_iteratorINS8_10device_ptrIjEEEESD_SD_SD_jNS0_19identity_decomposerENS1_16block_id_wrapperIjLb0EEEEE10hipError_tT1_PNSt15iterator_traitsISI_E10value_typeET2_T3_PNSJ_ISO_E10value_typeET4_T5_PST_SU_PNS1_23onesweep_lookback_stateEbbT6_jjT7_P12ihipStream_tbENKUlT_T0_SI_SN_E_clISD_SD_SD_SD_EEDaS11_S12_SI_SN_EUlS11_E_NS1_11comp_targetILNS1_3genE9ELNS1_11target_archE1100ELNS1_3gpuE3ELNS1_3repE0EEENS1_47radix_sort_onesweep_sort_config_static_selectorELNS0_4arch9wavefront6targetE1EEEvSI_, .Lfunc_end785-_ZN7rocprim17ROCPRIM_400000_NS6detail17trampoline_kernelINS0_14default_configENS1_35radix_sort_onesweep_config_selectorIjjEEZZNS1_29radix_sort_onesweep_iterationIS3_Lb0EN6thrust23THRUST_200600_302600_NS6detail15normal_iteratorINS8_10device_ptrIjEEEESD_SD_SD_jNS0_19identity_decomposerENS1_16block_id_wrapperIjLb0EEEEE10hipError_tT1_PNSt15iterator_traitsISI_E10value_typeET2_T3_PNSJ_ISO_E10value_typeET4_T5_PST_SU_PNS1_23onesweep_lookback_stateEbbT6_jjT7_P12ihipStream_tbENKUlT_T0_SI_SN_E_clISD_SD_SD_SD_EEDaS11_S12_SI_SN_EUlS11_E_NS1_11comp_targetILNS1_3genE9ELNS1_11target_archE1100ELNS1_3gpuE3ELNS1_3repE0EEENS1_47radix_sort_onesweep_sort_config_static_selectorELNS0_4arch9wavefront6targetE1EEEvSI_
                                        ; -- End function
	.set _ZN7rocprim17ROCPRIM_400000_NS6detail17trampoline_kernelINS0_14default_configENS1_35radix_sort_onesweep_config_selectorIjjEEZZNS1_29radix_sort_onesweep_iterationIS3_Lb0EN6thrust23THRUST_200600_302600_NS6detail15normal_iteratorINS8_10device_ptrIjEEEESD_SD_SD_jNS0_19identity_decomposerENS1_16block_id_wrapperIjLb0EEEEE10hipError_tT1_PNSt15iterator_traitsISI_E10value_typeET2_T3_PNSJ_ISO_E10value_typeET4_T5_PST_SU_PNS1_23onesweep_lookback_stateEbbT6_jjT7_P12ihipStream_tbENKUlT_T0_SI_SN_E_clISD_SD_SD_SD_EEDaS11_S12_SI_SN_EUlS11_E_NS1_11comp_targetILNS1_3genE9ELNS1_11target_archE1100ELNS1_3gpuE3ELNS1_3repE0EEENS1_47radix_sort_onesweep_sort_config_static_selectorELNS0_4arch9wavefront6targetE1EEEvSI_.num_vgpr, 0
	.set _ZN7rocprim17ROCPRIM_400000_NS6detail17trampoline_kernelINS0_14default_configENS1_35radix_sort_onesweep_config_selectorIjjEEZZNS1_29radix_sort_onesweep_iterationIS3_Lb0EN6thrust23THRUST_200600_302600_NS6detail15normal_iteratorINS8_10device_ptrIjEEEESD_SD_SD_jNS0_19identity_decomposerENS1_16block_id_wrapperIjLb0EEEEE10hipError_tT1_PNSt15iterator_traitsISI_E10value_typeET2_T3_PNSJ_ISO_E10value_typeET4_T5_PST_SU_PNS1_23onesweep_lookback_stateEbbT6_jjT7_P12ihipStream_tbENKUlT_T0_SI_SN_E_clISD_SD_SD_SD_EEDaS11_S12_SI_SN_EUlS11_E_NS1_11comp_targetILNS1_3genE9ELNS1_11target_archE1100ELNS1_3gpuE3ELNS1_3repE0EEENS1_47radix_sort_onesweep_sort_config_static_selectorELNS0_4arch9wavefront6targetE1EEEvSI_.num_agpr, 0
	.set _ZN7rocprim17ROCPRIM_400000_NS6detail17trampoline_kernelINS0_14default_configENS1_35radix_sort_onesweep_config_selectorIjjEEZZNS1_29radix_sort_onesweep_iterationIS3_Lb0EN6thrust23THRUST_200600_302600_NS6detail15normal_iteratorINS8_10device_ptrIjEEEESD_SD_SD_jNS0_19identity_decomposerENS1_16block_id_wrapperIjLb0EEEEE10hipError_tT1_PNSt15iterator_traitsISI_E10value_typeET2_T3_PNSJ_ISO_E10value_typeET4_T5_PST_SU_PNS1_23onesweep_lookback_stateEbbT6_jjT7_P12ihipStream_tbENKUlT_T0_SI_SN_E_clISD_SD_SD_SD_EEDaS11_S12_SI_SN_EUlS11_E_NS1_11comp_targetILNS1_3genE9ELNS1_11target_archE1100ELNS1_3gpuE3ELNS1_3repE0EEENS1_47radix_sort_onesweep_sort_config_static_selectorELNS0_4arch9wavefront6targetE1EEEvSI_.numbered_sgpr, 0
	.set _ZN7rocprim17ROCPRIM_400000_NS6detail17trampoline_kernelINS0_14default_configENS1_35radix_sort_onesweep_config_selectorIjjEEZZNS1_29radix_sort_onesweep_iterationIS3_Lb0EN6thrust23THRUST_200600_302600_NS6detail15normal_iteratorINS8_10device_ptrIjEEEESD_SD_SD_jNS0_19identity_decomposerENS1_16block_id_wrapperIjLb0EEEEE10hipError_tT1_PNSt15iterator_traitsISI_E10value_typeET2_T3_PNSJ_ISO_E10value_typeET4_T5_PST_SU_PNS1_23onesweep_lookback_stateEbbT6_jjT7_P12ihipStream_tbENKUlT_T0_SI_SN_E_clISD_SD_SD_SD_EEDaS11_S12_SI_SN_EUlS11_E_NS1_11comp_targetILNS1_3genE9ELNS1_11target_archE1100ELNS1_3gpuE3ELNS1_3repE0EEENS1_47radix_sort_onesweep_sort_config_static_selectorELNS0_4arch9wavefront6targetE1EEEvSI_.num_named_barrier, 0
	.set _ZN7rocprim17ROCPRIM_400000_NS6detail17trampoline_kernelINS0_14default_configENS1_35radix_sort_onesweep_config_selectorIjjEEZZNS1_29radix_sort_onesweep_iterationIS3_Lb0EN6thrust23THRUST_200600_302600_NS6detail15normal_iteratorINS8_10device_ptrIjEEEESD_SD_SD_jNS0_19identity_decomposerENS1_16block_id_wrapperIjLb0EEEEE10hipError_tT1_PNSt15iterator_traitsISI_E10value_typeET2_T3_PNSJ_ISO_E10value_typeET4_T5_PST_SU_PNS1_23onesweep_lookback_stateEbbT6_jjT7_P12ihipStream_tbENKUlT_T0_SI_SN_E_clISD_SD_SD_SD_EEDaS11_S12_SI_SN_EUlS11_E_NS1_11comp_targetILNS1_3genE9ELNS1_11target_archE1100ELNS1_3gpuE3ELNS1_3repE0EEENS1_47radix_sort_onesweep_sort_config_static_selectorELNS0_4arch9wavefront6targetE1EEEvSI_.private_seg_size, 0
	.set _ZN7rocprim17ROCPRIM_400000_NS6detail17trampoline_kernelINS0_14default_configENS1_35radix_sort_onesweep_config_selectorIjjEEZZNS1_29radix_sort_onesweep_iterationIS3_Lb0EN6thrust23THRUST_200600_302600_NS6detail15normal_iteratorINS8_10device_ptrIjEEEESD_SD_SD_jNS0_19identity_decomposerENS1_16block_id_wrapperIjLb0EEEEE10hipError_tT1_PNSt15iterator_traitsISI_E10value_typeET2_T3_PNSJ_ISO_E10value_typeET4_T5_PST_SU_PNS1_23onesweep_lookback_stateEbbT6_jjT7_P12ihipStream_tbENKUlT_T0_SI_SN_E_clISD_SD_SD_SD_EEDaS11_S12_SI_SN_EUlS11_E_NS1_11comp_targetILNS1_3genE9ELNS1_11target_archE1100ELNS1_3gpuE3ELNS1_3repE0EEENS1_47radix_sort_onesweep_sort_config_static_selectorELNS0_4arch9wavefront6targetE1EEEvSI_.uses_vcc, 0
	.set _ZN7rocprim17ROCPRIM_400000_NS6detail17trampoline_kernelINS0_14default_configENS1_35radix_sort_onesweep_config_selectorIjjEEZZNS1_29radix_sort_onesweep_iterationIS3_Lb0EN6thrust23THRUST_200600_302600_NS6detail15normal_iteratorINS8_10device_ptrIjEEEESD_SD_SD_jNS0_19identity_decomposerENS1_16block_id_wrapperIjLb0EEEEE10hipError_tT1_PNSt15iterator_traitsISI_E10value_typeET2_T3_PNSJ_ISO_E10value_typeET4_T5_PST_SU_PNS1_23onesweep_lookback_stateEbbT6_jjT7_P12ihipStream_tbENKUlT_T0_SI_SN_E_clISD_SD_SD_SD_EEDaS11_S12_SI_SN_EUlS11_E_NS1_11comp_targetILNS1_3genE9ELNS1_11target_archE1100ELNS1_3gpuE3ELNS1_3repE0EEENS1_47radix_sort_onesweep_sort_config_static_selectorELNS0_4arch9wavefront6targetE1EEEvSI_.uses_flat_scratch, 0
	.set _ZN7rocprim17ROCPRIM_400000_NS6detail17trampoline_kernelINS0_14default_configENS1_35radix_sort_onesweep_config_selectorIjjEEZZNS1_29radix_sort_onesweep_iterationIS3_Lb0EN6thrust23THRUST_200600_302600_NS6detail15normal_iteratorINS8_10device_ptrIjEEEESD_SD_SD_jNS0_19identity_decomposerENS1_16block_id_wrapperIjLb0EEEEE10hipError_tT1_PNSt15iterator_traitsISI_E10value_typeET2_T3_PNSJ_ISO_E10value_typeET4_T5_PST_SU_PNS1_23onesweep_lookback_stateEbbT6_jjT7_P12ihipStream_tbENKUlT_T0_SI_SN_E_clISD_SD_SD_SD_EEDaS11_S12_SI_SN_EUlS11_E_NS1_11comp_targetILNS1_3genE9ELNS1_11target_archE1100ELNS1_3gpuE3ELNS1_3repE0EEENS1_47radix_sort_onesweep_sort_config_static_selectorELNS0_4arch9wavefront6targetE1EEEvSI_.has_dyn_sized_stack, 0
	.set _ZN7rocprim17ROCPRIM_400000_NS6detail17trampoline_kernelINS0_14default_configENS1_35radix_sort_onesweep_config_selectorIjjEEZZNS1_29radix_sort_onesweep_iterationIS3_Lb0EN6thrust23THRUST_200600_302600_NS6detail15normal_iteratorINS8_10device_ptrIjEEEESD_SD_SD_jNS0_19identity_decomposerENS1_16block_id_wrapperIjLb0EEEEE10hipError_tT1_PNSt15iterator_traitsISI_E10value_typeET2_T3_PNSJ_ISO_E10value_typeET4_T5_PST_SU_PNS1_23onesweep_lookback_stateEbbT6_jjT7_P12ihipStream_tbENKUlT_T0_SI_SN_E_clISD_SD_SD_SD_EEDaS11_S12_SI_SN_EUlS11_E_NS1_11comp_targetILNS1_3genE9ELNS1_11target_archE1100ELNS1_3gpuE3ELNS1_3repE0EEENS1_47radix_sort_onesweep_sort_config_static_selectorELNS0_4arch9wavefront6targetE1EEEvSI_.has_recursion, 0
	.set _ZN7rocprim17ROCPRIM_400000_NS6detail17trampoline_kernelINS0_14default_configENS1_35radix_sort_onesweep_config_selectorIjjEEZZNS1_29radix_sort_onesweep_iterationIS3_Lb0EN6thrust23THRUST_200600_302600_NS6detail15normal_iteratorINS8_10device_ptrIjEEEESD_SD_SD_jNS0_19identity_decomposerENS1_16block_id_wrapperIjLb0EEEEE10hipError_tT1_PNSt15iterator_traitsISI_E10value_typeET2_T3_PNSJ_ISO_E10value_typeET4_T5_PST_SU_PNS1_23onesweep_lookback_stateEbbT6_jjT7_P12ihipStream_tbENKUlT_T0_SI_SN_E_clISD_SD_SD_SD_EEDaS11_S12_SI_SN_EUlS11_E_NS1_11comp_targetILNS1_3genE9ELNS1_11target_archE1100ELNS1_3gpuE3ELNS1_3repE0EEENS1_47radix_sort_onesweep_sort_config_static_selectorELNS0_4arch9wavefront6targetE1EEEvSI_.has_indirect_call, 0
	.section	.AMDGPU.csdata,"",@progbits
; Kernel info:
; codeLenInByte = 0
; TotalNumSgprs: 6
; NumVgprs: 0
; NumAgprs: 0
; TotalNumVgprs: 0
; ScratchSize: 0
; MemoryBound: 0
; FloatMode: 240
; IeeeMode: 1
; LDSByteSize: 0 bytes/workgroup (compile time only)
; SGPRBlocks: 0
; VGPRBlocks: 0
; NumSGPRsForWavesPerEU: 6
; NumVGPRsForWavesPerEU: 1
; AccumOffset: 4
; Occupancy: 8
; WaveLimiterHint : 0
; COMPUTE_PGM_RSRC2:SCRATCH_EN: 0
; COMPUTE_PGM_RSRC2:USER_SGPR: 2
; COMPUTE_PGM_RSRC2:TRAP_HANDLER: 0
; COMPUTE_PGM_RSRC2:TGID_X_EN: 1
; COMPUTE_PGM_RSRC2:TGID_Y_EN: 0
; COMPUTE_PGM_RSRC2:TGID_Z_EN: 0
; COMPUTE_PGM_RSRC2:TIDIG_COMP_CNT: 0
; COMPUTE_PGM_RSRC3_GFX90A:ACCUM_OFFSET: 0
; COMPUTE_PGM_RSRC3_GFX90A:TG_SPLIT: 0
	.section	.text._ZN7rocprim17ROCPRIM_400000_NS6detail17trampoline_kernelINS0_14default_configENS1_35radix_sort_onesweep_config_selectorIjjEEZZNS1_29radix_sort_onesweep_iterationIS3_Lb0EN6thrust23THRUST_200600_302600_NS6detail15normal_iteratorINS8_10device_ptrIjEEEESD_SD_SD_jNS0_19identity_decomposerENS1_16block_id_wrapperIjLb0EEEEE10hipError_tT1_PNSt15iterator_traitsISI_E10value_typeET2_T3_PNSJ_ISO_E10value_typeET4_T5_PST_SU_PNS1_23onesweep_lookback_stateEbbT6_jjT7_P12ihipStream_tbENKUlT_T0_SI_SN_E_clISD_SD_SD_SD_EEDaS11_S12_SI_SN_EUlS11_E_NS1_11comp_targetILNS1_3genE8ELNS1_11target_archE1030ELNS1_3gpuE2ELNS1_3repE0EEENS1_47radix_sort_onesweep_sort_config_static_selectorELNS0_4arch9wavefront6targetE1EEEvSI_,"axG",@progbits,_ZN7rocprim17ROCPRIM_400000_NS6detail17trampoline_kernelINS0_14default_configENS1_35radix_sort_onesweep_config_selectorIjjEEZZNS1_29radix_sort_onesweep_iterationIS3_Lb0EN6thrust23THRUST_200600_302600_NS6detail15normal_iteratorINS8_10device_ptrIjEEEESD_SD_SD_jNS0_19identity_decomposerENS1_16block_id_wrapperIjLb0EEEEE10hipError_tT1_PNSt15iterator_traitsISI_E10value_typeET2_T3_PNSJ_ISO_E10value_typeET4_T5_PST_SU_PNS1_23onesweep_lookback_stateEbbT6_jjT7_P12ihipStream_tbENKUlT_T0_SI_SN_E_clISD_SD_SD_SD_EEDaS11_S12_SI_SN_EUlS11_E_NS1_11comp_targetILNS1_3genE8ELNS1_11target_archE1030ELNS1_3gpuE2ELNS1_3repE0EEENS1_47radix_sort_onesweep_sort_config_static_selectorELNS0_4arch9wavefront6targetE1EEEvSI_,comdat
	.protected	_ZN7rocprim17ROCPRIM_400000_NS6detail17trampoline_kernelINS0_14default_configENS1_35radix_sort_onesweep_config_selectorIjjEEZZNS1_29radix_sort_onesweep_iterationIS3_Lb0EN6thrust23THRUST_200600_302600_NS6detail15normal_iteratorINS8_10device_ptrIjEEEESD_SD_SD_jNS0_19identity_decomposerENS1_16block_id_wrapperIjLb0EEEEE10hipError_tT1_PNSt15iterator_traitsISI_E10value_typeET2_T3_PNSJ_ISO_E10value_typeET4_T5_PST_SU_PNS1_23onesweep_lookback_stateEbbT6_jjT7_P12ihipStream_tbENKUlT_T0_SI_SN_E_clISD_SD_SD_SD_EEDaS11_S12_SI_SN_EUlS11_E_NS1_11comp_targetILNS1_3genE8ELNS1_11target_archE1030ELNS1_3gpuE2ELNS1_3repE0EEENS1_47radix_sort_onesweep_sort_config_static_selectorELNS0_4arch9wavefront6targetE1EEEvSI_ ; -- Begin function _ZN7rocprim17ROCPRIM_400000_NS6detail17trampoline_kernelINS0_14default_configENS1_35radix_sort_onesweep_config_selectorIjjEEZZNS1_29radix_sort_onesweep_iterationIS3_Lb0EN6thrust23THRUST_200600_302600_NS6detail15normal_iteratorINS8_10device_ptrIjEEEESD_SD_SD_jNS0_19identity_decomposerENS1_16block_id_wrapperIjLb0EEEEE10hipError_tT1_PNSt15iterator_traitsISI_E10value_typeET2_T3_PNSJ_ISO_E10value_typeET4_T5_PST_SU_PNS1_23onesweep_lookback_stateEbbT6_jjT7_P12ihipStream_tbENKUlT_T0_SI_SN_E_clISD_SD_SD_SD_EEDaS11_S12_SI_SN_EUlS11_E_NS1_11comp_targetILNS1_3genE8ELNS1_11target_archE1030ELNS1_3gpuE2ELNS1_3repE0EEENS1_47radix_sort_onesweep_sort_config_static_selectorELNS0_4arch9wavefront6targetE1EEEvSI_
	.globl	_ZN7rocprim17ROCPRIM_400000_NS6detail17trampoline_kernelINS0_14default_configENS1_35radix_sort_onesweep_config_selectorIjjEEZZNS1_29radix_sort_onesweep_iterationIS3_Lb0EN6thrust23THRUST_200600_302600_NS6detail15normal_iteratorINS8_10device_ptrIjEEEESD_SD_SD_jNS0_19identity_decomposerENS1_16block_id_wrapperIjLb0EEEEE10hipError_tT1_PNSt15iterator_traitsISI_E10value_typeET2_T3_PNSJ_ISO_E10value_typeET4_T5_PST_SU_PNS1_23onesweep_lookback_stateEbbT6_jjT7_P12ihipStream_tbENKUlT_T0_SI_SN_E_clISD_SD_SD_SD_EEDaS11_S12_SI_SN_EUlS11_E_NS1_11comp_targetILNS1_3genE8ELNS1_11target_archE1030ELNS1_3gpuE2ELNS1_3repE0EEENS1_47radix_sort_onesweep_sort_config_static_selectorELNS0_4arch9wavefront6targetE1EEEvSI_
	.p2align	8
	.type	_ZN7rocprim17ROCPRIM_400000_NS6detail17trampoline_kernelINS0_14default_configENS1_35radix_sort_onesweep_config_selectorIjjEEZZNS1_29radix_sort_onesweep_iterationIS3_Lb0EN6thrust23THRUST_200600_302600_NS6detail15normal_iteratorINS8_10device_ptrIjEEEESD_SD_SD_jNS0_19identity_decomposerENS1_16block_id_wrapperIjLb0EEEEE10hipError_tT1_PNSt15iterator_traitsISI_E10value_typeET2_T3_PNSJ_ISO_E10value_typeET4_T5_PST_SU_PNS1_23onesweep_lookback_stateEbbT6_jjT7_P12ihipStream_tbENKUlT_T0_SI_SN_E_clISD_SD_SD_SD_EEDaS11_S12_SI_SN_EUlS11_E_NS1_11comp_targetILNS1_3genE8ELNS1_11target_archE1030ELNS1_3gpuE2ELNS1_3repE0EEENS1_47radix_sort_onesweep_sort_config_static_selectorELNS0_4arch9wavefront6targetE1EEEvSI_,@function
_ZN7rocprim17ROCPRIM_400000_NS6detail17trampoline_kernelINS0_14default_configENS1_35radix_sort_onesweep_config_selectorIjjEEZZNS1_29radix_sort_onesweep_iterationIS3_Lb0EN6thrust23THRUST_200600_302600_NS6detail15normal_iteratorINS8_10device_ptrIjEEEESD_SD_SD_jNS0_19identity_decomposerENS1_16block_id_wrapperIjLb0EEEEE10hipError_tT1_PNSt15iterator_traitsISI_E10value_typeET2_T3_PNSJ_ISO_E10value_typeET4_T5_PST_SU_PNS1_23onesweep_lookback_stateEbbT6_jjT7_P12ihipStream_tbENKUlT_T0_SI_SN_E_clISD_SD_SD_SD_EEDaS11_S12_SI_SN_EUlS11_E_NS1_11comp_targetILNS1_3genE8ELNS1_11target_archE1030ELNS1_3gpuE2ELNS1_3repE0EEENS1_47radix_sort_onesweep_sort_config_static_selectorELNS0_4arch9wavefront6targetE1EEEvSI_: ; @_ZN7rocprim17ROCPRIM_400000_NS6detail17trampoline_kernelINS0_14default_configENS1_35radix_sort_onesweep_config_selectorIjjEEZZNS1_29radix_sort_onesweep_iterationIS3_Lb0EN6thrust23THRUST_200600_302600_NS6detail15normal_iteratorINS8_10device_ptrIjEEEESD_SD_SD_jNS0_19identity_decomposerENS1_16block_id_wrapperIjLb0EEEEE10hipError_tT1_PNSt15iterator_traitsISI_E10value_typeET2_T3_PNSJ_ISO_E10value_typeET4_T5_PST_SU_PNS1_23onesweep_lookback_stateEbbT6_jjT7_P12ihipStream_tbENKUlT_T0_SI_SN_E_clISD_SD_SD_SD_EEDaS11_S12_SI_SN_EUlS11_E_NS1_11comp_targetILNS1_3genE8ELNS1_11target_archE1030ELNS1_3gpuE2ELNS1_3repE0EEENS1_47radix_sort_onesweep_sort_config_static_selectorELNS0_4arch9wavefront6targetE1EEEvSI_
; %bb.0:
	.section	.rodata,"a",@progbits
	.p2align	6, 0x0
	.amdhsa_kernel _ZN7rocprim17ROCPRIM_400000_NS6detail17trampoline_kernelINS0_14default_configENS1_35radix_sort_onesweep_config_selectorIjjEEZZNS1_29radix_sort_onesweep_iterationIS3_Lb0EN6thrust23THRUST_200600_302600_NS6detail15normal_iteratorINS8_10device_ptrIjEEEESD_SD_SD_jNS0_19identity_decomposerENS1_16block_id_wrapperIjLb0EEEEE10hipError_tT1_PNSt15iterator_traitsISI_E10value_typeET2_T3_PNSJ_ISO_E10value_typeET4_T5_PST_SU_PNS1_23onesweep_lookback_stateEbbT6_jjT7_P12ihipStream_tbENKUlT_T0_SI_SN_E_clISD_SD_SD_SD_EEDaS11_S12_SI_SN_EUlS11_E_NS1_11comp_targetILNS1_3genE8ELNS1_11target_archE1030ELNS1_3gpuE2ELNS1_3repE0EEENS1_47radix_sort_onesweep_sort_config_static_selectorELNS0_4arch9wavefront6targetE1EEEvSI_
		.amdhsa_group_segment_fixed_size 0
		.amdhsa_private_segment_fixed_size 0
		.amdhsa_kernarg_size 88
		.amdhsa_user_sgpr_count 2
		.amdhsa_user_sgpr_dispatch_ptr 0
		.amdhsa_user_sgpr_queue_ptr 0
		.amdhsa_user_sgpr_kernarg_segment_ptr 1
		.amdhsa_user_sgpr_dispatch_id 0
		.amdhsa_user_sgpr_kernarg_preload_length 0
		.amdhsa_user_sgpr_kernarg_preload_offset 0
		.amdhsa_user_sgpr_private_segment_size 0
		.amdhsa_uses_dynamic_stack 0
		.amdhsa_enable_private_segment 0
		.amdhsa_system_sgpr_workgroup_id_x 1
		.amdhsa_system_sgpr_workgroup_id_y 0
		.amdhsa_system_sgpr_workgroup_id_z 0
		.amdhsa_system_sgpr_workgroup_info 0
		.amdhsa_system_vgpr_workitem_id 0
		.amdhsa_next_free_vgpr 1
		.amdhsa_next_free_sgpr 0
		.amdhsa_accum_offset 4
		.amdhsa_reserve_vcc 0
		.amdhsa_float_round_mode_32 0
		.amdhsa_float_round_mode_16_64 0
		.amdhsa_float_denorm_mode_32 3
		.amdhsa_float_denorm_mode_16_64 3
		.amdhsa_dx10_clamp 1
		.amdhsa_ieee_mode 1
		.amdhsa_fp16_overflow 0
		.amdhsa_tg_split 0
		.amdhsa_exception_fp_ieee_invalid_op 0
		.amdhsa_exception_fp_denorm_src 0
		.amdhsa_exception_fp_ieee_div_zero 0
		.amdhsa_exception_fp_ieee_overflow 0
		.amdhsa_exception_fp_ieee_underflow 0
		.amdhsa_exception_fp_ieee_inexact 0
		.amdhsa_exception_int_div_zero 0
	.end_amdhsa_kernel
	.section	.text._ZN7rocprim17ROCPRIM_400000_NS6detail17trampoline_kernelINS0_14default_configENS1_35radix_sort_onesweep_config_selectorIjjEEZZNS1_29radix_sort_onesweep_iterationIS3_Lb0EN6thrust23THRUST_200600_302600_NS6detail15normal_iteratorINS8_10device_ptrIjEEEESD_SD_SD_jNS0_19identity_decomposerENS1_16block_id_wrapperIjLb0EEEEE10hipError_tT1_PNSt15iterator_traitsISI_E10value_typeET2_T3_PNSJ_ISO_E10value_typeET4_T5_PST_SU_PNS1_23onesweep_lookback_stateEbbT6_jjT7_P12ihipStream_tbENKUlT_T0_SI_SN_E_clISD_SD_SD_SD_EEDaS11_S12_SI_SN_EUlS11_E_NS1_11comp_targetILNS1_3genE8ELNS1_11target_archE1030ELNS1_3gpuE2ELNS1_3repE0EEENS1_47radix_sort_onesweep_sort_config_static_selectorELNS0_4arch9wavefront6targetE1EEEvSI_,"axG",@progbits,_ZN7rocprim17ROCPRIM_400000_NS6detail17trampoline_kernelINS0_14default_configENS1_35radix_sort_onesweep_config_selectorIjjEEZZNS1_29radix_sort_onesweep_iterationIS3_Lb0EN6thrust23THRUST_200600_302600_NS6detail15normal_iteratorINS8_10device_ptrIjEEEESD_SD_SD_jNS0_19identity_decomposerENS1_16block_id_wrapperIjLb0EEEEE10hipError_tT1_PNSt15iterator_traitsISI_E10value_typeET2_T3_PNSJ_ISO_E10value_typeET4_T5_PST_SU_PNS1_23onesweep_lookback_stateEbbT6_jjT7_P12ihipStream_tbENKUlT_T0_SI_SN_E_clISD_SD_SD_SD_EEDaS11_S12_SI_SN_EUlS11_E_NS1_11comp_targetILNS1_3genE8ELNS1_11target_archE1030ELNS1_3gpuE2ELNS1_3repE0EEENS1_47radix_sort_onesweep_sort_config_static_selectorELNS0_4arch9wavefront6targetE1EEEvSI_,comdat
.Lfunc_end786:
	.size	_ZN7rocprim17ROCPRIM_400000_NS6detail17trampoline_kernelINS0_14default_configENS1_35radix_sort_onesweep_config_selectorIjjEEZZNS1_29radix_sort_onesweep_iterationIS3_Lb0EN6thrust23THRUST_200600_302600_NS6detail15normal_iteratorINS8_10device_ptrIjEEEESD_SD_SD_jNS0_19identity_decomposerENS1_16block_id_wrapperIjLb0EEEEE10hipError_tT1_PNSt15iterator_traitsISI_E10value_typeET2_T3_PNSJ_ISO_E10value_typeET4_T5_PST_SU_PNS1_23onesweep_lookback_stateEbbT6_jjT7_P12ihipStream_tbENKUlT_T0_SI_SN_E_clISD_SD_SD_SD_EEDaS11_S12_SI_SN_EUlS11_E_NS1_11comp_targetILNS1_3genE8ELNS1_11target_archE1030ELNS1_3gpuE2ELNS1_3repE0EEENS1_47radix_sort_onesweep_sort_config_static_selectorELNS0_4arch9wavefront6targetE1EEEvSI_, .Lfunc_end786-_ZN7rocprim17ROCPRIM_400000_NS6detail17trampoline_kernelINS0_14default_configENS1_35radix_sort_onesweep_config_selectorIjjEEZZNS1_29radix_sort_onesweep_iterationIS3_Lb0EN6thrust23THRUST_200600_302600_NS6detail15normal_iteratorINS8_10device_ptrIjEEEESD_SD_SD_jNS0_19identity_decomposerENS1_16block_id_wrapperIjLb0EEEEE10hipError_tT1_PNSt15iterator_traitsISI_E10value_typeET2_T3_PNSJ_ISO_E10value_typeET4_T5_PST_SU_PNS1_23onesweep_lookback_stateEbbT6_jjT7_P12ihipStream_tbENKUlT_T0_SI_SN_E_clISD_SD_SD_SD_EEDaS11_S12_SI_SN_EUlS11_E_NS1_11comp_targetILNS1_3genE8ELNS1_11target_archE1030ELNS1_3gpuE2ELNS1_3repE0EEENS1_47radix_sort_onesweep_sort_config_static_selectorELNS0_4arch9wavefront6targetE1EEEvSI_
                                        ; -- End function
	.set _ZN7rocprim17ROCPRIM_400000_NS6detail17trampoline_kernelINS0_14default_configENS1_35radix_sort_onesweep_config_selectorIjjEEZZNS1_29radix_sort_onesweep_iterationIS3_Lb0EN6thrust23THRUST_200600_302600_NS6detail15normal_iteratorINS8_10device_ptrIjEEEESD_SD_SD_jNS0_19identity_decomposerENS1_16block_id_wrapperIjLb0EEEEE10hipError_tT1_PNSt15iterator_traitsISI_E10value_typeET2_T3_PNSJ_ISO_E10value_typeET4_T5_PST_SU_PNS1_23onesweep_lookback_stateEbbT6_jjT7_P12ihipStream_tbENKUlT_T0_SI_SN_E_clISD_SD_SD_SD_EEDaS11_S12_SI_SN_EUlS11_E_NS1_11comp_targetILNS1_3genE8ELNS1_11target_archE1030ELNS1_3gpuE2ELNS1_3repE0EEENS1_47radix_sort_onesweep_sort_config_static_selectorELNS0_4arch9wavefront6targetE1EEEvSI_.num_vgpr, 0
	.set _ZN7rocprim17ROCPRIM_400000_NS6detail17trampoline_kernelINS0_14default_configENS1_35radix_sort_onesweep_config_selectorIjjEEZZNS1_29radix_sort_onesweep_iterationIS3_Lb0EN6thrust23THRUST_200600_302600_NS6detail15normal_iteratorINS8_10device_ptrIjEEEESD_SD_SD_jNS0_19identity_decomposerENS1_16block_id_wrapperIjLb0EEEEE10hipError_tT1_PNSt15iterator_traitsISI_E10value_typeET2_T3_PNSJ_ISO_E10value_typeET4_T5_PST_SU_PNS1_23onesweep_lookback_stateEbbT6_jjT7_P12ihipStream_tbENKUlT_T0_SI_SN_E_clISD_SD_SD_SD_EEDaS11_S12_SI_SN_EUlS11_E_NS1_11comp_targetILNS1_3genE8ELNS1_11target_archE1030ELNS1_3gpuE2ELNS1_3repE0EEENS1_47radix_sort_onesweep_sort_config_static_selectorELNS0_4arch9wavefront6targetE1EEEvSI_.num_agpr, 0
	.set _ZN7rocprim17ROCPRIM_400000_NS6detail17trampoline_kernelINS0_14default_configENS1_35radix_sort_onesweep_config_selectorIjjEEZZNS1_29radix_sort_onesweep_iterationIS3_Lb0EN6thrust23THRUST_200600_302600_NS6detail15normal_iteratorINS8_10device_ptrIjEEEESD_SD_SD_jNS0_19identity_decomposerENS1_16block_id_wrapperIjLb0EEEEE10hipError_tT1_PNSt15iterator_traitsISI_E10value_typeET2_T3_PNSJ_ISO_E10value_typeET4_T5_PST_SU_PNS1_23onesweep_lookback_stateEbbT6_jjT7_P12ihipStream_tbENKUlT_T0_SI_SN_E_clISD_SD_SD_SD_EEDaS11_S12_SI_SN_EUlS11_E_NS1_11comp_targetILNS1_3genE8ELNS1_11target_archE1030ELNS1_3gpuE2ELNS1_3repE0EEENS1_47radix_sort_onesweep_sort_config_static_selectorELNS0_4arch9wavefront6targetE1EEEvSI_.numbered_sgpr, 0
	.set _ZN7rocprim17ROCPRIM_400000_NS6detail17trampoline_kernelINS0_14default_configENS1_35radix_sort_onesweep_config_selectorIjjEEZZNS1_29radix_sort_onesweep_iterationIS3_Lb0EN6thrust23THRUST_200600_302600_NS6detail15normal_iteratorINS8_10device_ptrIjEEEESD_SD_SD_jNS0_19identity_decomposerENS1_16block_id_wrapperIjLb0EEEEE10hipError_tT1_PNSt15iterator_traitsISI_E10value_typeET2_T3_PNSJ_ISO_E10value_typeET4_T5_PST_SU_PNS1_23onesweep_lookback_stateEbbT6_jjT7_P12ihipStream_tbENKUlT_T0_SI_SN_E_clISD_SD_SD_SD_EEDaS11_S12_SI_SN_EUlS11_E_NS1_11comp_targetILNS1_3genE8ELNS1_11target_archE1030ELNS1_3gpuE2ELNS1_3repE0EEENS1_47radix_sort_onesweep_sort_config_static_selectorELNS0_4arch9wavefront6targetE1EEEvSI_.num_named_barrier, 0
	.set _ZN7rocprim17ROCPRIM_400000_NS6detail17trampoline_kernelINS0_14default_configENS1_35radix_sort_onesweep_config_selectorIjjEEZZNS1_29radix_sort_onesweep_iterationIS3_Lb0EN6thrust23THRUST_200600_302600_NS6detail15normal_iteratorINS8_10device_ptrIjEEEESD_SD_SD_jNS0_19identity_decomposerENS1_16block_id_wrapperIjLb0EEEEE10hipError_tT1_PNSt15iterator_traitsISI_E10value_typeET2_T3_PNSJ_ISO_E10value_typeET4_T5_PST_SU_PNS1_23onesweep_lookback_stateEbbT6_jjT7_P12ihipStream_tbENKUlT_T0_SI_SN_E_clISD_SD_SD_SD_EEDaS11_S12_SI_SN_EUlS11_E_NS1_11comp_targetILNS1_3genE8ELNS1_11target_archE1030ELNS1_3gpuE2ELNS1_3repE0EEENS1_47radix_sort_onesweep_sort_config_static_selectorELNS0_4arch9wavefront6targetE1EEEvSI_.private_seg_size, 0
	.set _ZN7rocprim17ROCPRIM_400000_NS6detail17trampoline_kernelINS0_14default_configENS1_35radix_sort_onesweep_config_selectorIjjEEZZNS1_29radix_sort_onesweep_iterationIS3_Lb0EN6thrust23THRUST_200600_302600_NS6detail15normal_iteratorINS8_10device_ptrIjEEEESD_SD_SD_jNS0_19identity_decomposerENS1_16block_id_wrapperIjLb0EEEEE10hipError_tT1_PNSt15iterator_traitsISI_E10value_typeET2_T3_PNSJ_ISO_E10value_typeET4_T5_PST_SU_PNS1_23onesweep_lookback_stateEbbT6_jjT7_P12ihipStream_tbENKUlT_T0_SI_SN_E_clISD_SD_SD_SD_EEDaS11_S12_SI_SN_EUlS11_E_NS1_11comp_targetILNS1_3genE8ELNS1_11target_archE1030ELNS1_3gpuE2ELNS1_3repE0EEENS1_47radix_sort_onesweep_sort_config_static_selectorELNS0_4arch9wavefront6targetE1EEEvSI_.uses_vcc, 0
	.set _ZN7rocprim17ROCPRIM_400000_NS6detail17trampoline_kernelINS0_14default_configENS1_35radix_sort_onesweep_config_selectorIjjEEZZNS1_29radix_sort_onesweep_iterationIS3_Lb0EN6thrust23THRUST_200600_302600_NS6detail15normal_iteratorINS8_10device_ptrIjEEEESD_SD_SD_jNS0_19identity_decomposerENS1_16block_id_wrapperIjLb0EEEEE10hipError_tT1_PNSt15iterator_traitsISI_E10value_typeET2_T3_PNSJ_ISO_E10value_typeET4_T5_PST_SU_PNS1_23onesweep_lookback_stateEbbT6_jjT7_P12ihipStream_tbENKUlT_T0_SI_SN_E_clISD_SD_SD_SD_EEDaS11_S12_SI_SN_EUlS11_E_NS1_11comp_targetILNS1_3genE8ELNS1_11target_archE1030ELNS1_3gpuE2ELNS1_3repE0EEENS1_47radix_sort_onesweep_sort_config_static_selectorELNS0_4arch9wavefront6targetE1EEEvSI_.uses_flat_scratch, 0
	.set _ZN7rocprim17ROCPRIM_400000_NS6detail17trampoline_kernelINS0_14default_configENS1_35radix_sort_onesweep_config_selectorIjjEEZZNS1_29radix_sort_onesweep_iterationIS3_Lb0EN6thrust23THRUST_200600_302600_NS6detail15normal_iteratorINS8_10device_ptrIjEEEESD_SD_SD_jNS0_19identity_decomposerENS1_16block_id_wrapperIjLb0EEEEE10hipError_tT1_PNSt15iterator_traitsISI_E10value_typeET2_T3_PNSJ_ISO_E10value_typeET4_T5_PST_SU_PNS1_23onesweep_lookback_stateEbbT6_jjT7_P12ihipStream_tbENKUlT_T0_SI_SN_E_clISD_SD_SD_SD_EEDaS11_S12_SI_SN_EUlS11_E_NS1_11comp_targetILNS1_3genE8ELNS1_11target_archE1030ELNS1_3gpuE2ELNS1_3repE0EEENS1_47radix_sort_onesweep_sort_config_static_selectorELNS0_4arch9wavefront6targetE1EEEvSI_.has_dyn_sized_stack, 0
	.set _ZN7rocprim17ROCPRIM_400000_NS6detail17trampoline_kernelINS0_14default_configENS1_35radix_sort_onesweep_config_selectorIjjEEZZNS1_29radix_sort_onesweep_iterationIS3_Lb0EN6thrust23THRUST_200600_302600_NS6detail15normal_iteratorINS8_10device_ptrIjEEEESD_SD_SD_jNS0_19identity_decomposerENS1_16block_id_wrapperIjLb0EEEEE10hipError_tT1_PNSt15iterator_traitsISI_E10value_typeET2_T3_PNSJ_ISO_E10value_typeET4_T5_PST_SU_PNS1_23onesweep_lookback_stateEbbT6_jjT7_P12ihipStream_tbENKUlT_T0_SI_SN_E_clISD_SD_SD_SD_EEDaS11_S12_SI_SN_EUlS11_E_NS1_11comp_targetILNS1_3genE8ELNS1_11target_archE1030ELNS1_3gpuE2ELNS1_3repE0EEENS1_47radix_sort_onesweep_sort_config_static_selectorELNS0_4arch9wavefront6targetE1EEEvSI_.has_recursion, 0
	.set _ZN7rocprim17ROCPRIM_400000_NS6detail17trampoline_kernelINS0_14default_configENS1_35radix_sort_onesweep_config_selectorIjjEEZZNS1_29radix_sort_onesweep_iterationIS3_Lb0EN6thrust23THRUST_200600_302600_NS6detail15normal_iteratorINS8_10device_ptrIjEEEESD_SD_SD_jNS0_19identity_decomposerENS1_16block_id_wrapperIjLb0EEEEE10hipError_tT1_PNSt15iterator_traitsISI_E10value_typeET2_T3_PNSJ_ISO_E10value_typeET4_T5_PST_SU_PNS1_23onesweep_lookback_stateEbbT6_jjT7_P12ihipStream_tbENKUlT_T0_SI_SN_E_clISD_SD_SD_SD_EEDaS11_S12_SI_SN_EUlS11_E_NS1_11comp_targetILNS1_3genE8ELNS1_11target_archE1030ELNS1_3gpuE2ELNS1_3repE0EEENS1_47radix_sort_onesweep_sort_config_static_selectorELNS0_4arch9wavefront6targetE1EEEvSI_.has_indirect_call, 0
	.section	.AMDGPU.csdata,"",@progbits
; Kernel info:
; codeLenInByte = 0
; TotalNumSgprs: 6
; NumVgprs: 0
; NumAgprs: 0
; TotalNumVgprs: 0
; ScratchSize: 0
; MemoryBound: 0
; FloatMode: 240
; IeeeMode: 1
; LDSByteSize: 0 bytes/workgroup (compile time only)
; SGPRBlocks: 0
; VGPRBlocks: 0
; NumSGPRsForWavesPerEU: 6
; NumVGPRsForWavesPerEU: 1
; AccumOffset: 4
; Occupancy: 8
; WaveLimiterHint : 0
; COMPUTE_PGM_RSRC2:SCRATCH_EN: 0
; COMPUTE_PGM_RSRC2:USER_SGPR: 2
; COMPUTE_PGM_RSRC2:TRAP_HANDLER: 0
; COMPUTE_PGM_RSRC2:TGID_X_EN: 1
; COMPUTE_PGM_RSRC2:TGID_Y_EN: 0
; COMPUTE_PGM_RSRC2:TGID_Z_EN: 0
; COMPUTE_PGM_RSRC2:TIDIG_COMP_CNT: 0
; COMPUTE_PGM_RSRC3_GFX90A:ACCUM_OFFSET: 0
; COMPUTE_PGM_RSRC3_GFX90A:TG_SPLIT: 0
	.section	.text._ZN7rocprim17ROCPRIM_400000_NS6detail17trampoline_kernelINS0_14default_configENS1_35radix_sort_onesweep_config_selectorIjjEEZZNS1_29radix_sort_onesweep_iterationIS3_Lb0EN6thrust23THRUST_200600_302600_NS6detail15normal_iteratorINS8_10device_ptrIjEEEESD_SD_SD_jNS0_19identity_decomposerENS1_16block_id_wrapperIjLb0EEEEE10hipError_tT1_PNSt15iterator_traitsISI_E10value_typeET2_T3_PNSJ_ISO_E10value_typeET4_T5_PST_SU_PNS1_23onesweep_lookback_stateEbbT6_jjT7_P12ihipStream_tbENKUlT_T0_SI_SN_E_clISD_PjSD_S15_EEDaS11_S12_SI_SN_EUlS11_E_NS1_11comp_targetILNS1_3genE0ELNS1_11target_archE4294967295ELNS1_3gpuE0ELNS1_3repE0EEENS1_47radix_sort_onesweep_sort_config_static_selectorELNS0_4arch9wavefront6targetE1EEEvSI_,"axG",@progbits,_ZN7rocprim17ROCPRIM_400000_NS6detail17trampoline_kernelINS0_14default_configENS1_35radix_sort_onesweep_config_selectorIjjEEZZNS1_29radix_sort_onesweep_iterationIS3_Lb0EN6thrust23THRUST_200600_302600_NS6detail15normal_iteratorINS8_10device_ptrIjEEEESD_SD_SD_jNS0_19identity_decomposerENS1_16block_id_wrapperIjLb0EEEEE10hipError_tT1_PNSt15iterator_traitsISI_E10value_typeET2_T3_PNSJ_ISO_E10value_typeET4_T5_PST_SU_PNS1_23onesweep_lookback_stateEbbT6_jjT7_P12ihipStream_tbENKUlT_T0_SI_SN_E_clISD_PjSD_S15_EEDaS11_S12_SI_SN_EUlS11_E_NS1_11comp_targetILNS1_3genE0ELNS1_11target_archE4294967295ELNS1_3gpuE0ELNS1_3repE0EEENS1_47radix_sort_onesweep_sort_config_static_selectorELNS0_4arch9wavefront6targetE1EEEvSI_,comdat
	.protected	_ZN7rocprim17ROCPRIM_400000_NS6detail17trampoline_kernelINS0_14default_configENS1_35radix_sort_onesweep_config_selectorIjjEEZZNS1_29radix_sort_onesweep_iterationIS3_Lb0EN6thrust23THRUST_200600_302600_NS6detail15normal_iteratorINS8_10device_ptrIjEEEESD_SD_SD_jNS0_19identity_decomposerENS1_16block_id_wrapperIjLb0EEEEE10hipError_tT1_PNSt15iterator_traitsISI_E10value_typeET2_T3_PNSJ_ISO_E10value_typeET4_T5_PST_SU_PNS1_23onesweep_lookback_stateEbbT6_jjT7_P12ihipStream_tbENKUlT_T0_SI_SN_E_clISD_PjSD_S15_EEDaS11_S12_SI_SN_EUlS11_E_NS1_11comp_targetILNS1_3genE0ELNS1_11target_archE4294967295ELNS1_3gpuE0ELNS1_3repE0EEENS1_47radix_sort_onesweep_sort_config_static_selectorELNS0_4arch9wavefront6targetE1EEEvSI_ ; -- Begin function _ZN7rocprim17ROCPRIM_400000_NS6detail17trampoline_kernelINS0_14default_configENS1_35radix_sort_onesweep_config_selectorIjjEEZZNS1_29radix_sort_onesweep_iterationIS3_Lb0EN6thrust23THRUST_200600_302600_NS6detail15normal_iteratorINS8_10device_ptrIjEEEESD_SD_SD_jNS0_19identity_decomposerENS1_16block_id_wrapperIjLb0EEEEE10hipError_tT1_PNSt15iterator_traitsISI_E10value_typeET2_T3_PNSJ_ISO_E10value_typeET4_T5_PST_SU_PNS1_23onesweep_lookback_stateEbbT6_jjT7_P12ihipStream_tbENKUlT_T0_SI_SN_E_clISD_PjSD_S15_EEDaS11_S12_SI_SN_EUlS11_E_NS1_11comp_targetILNS1_3genE0ELNS1_11target_archE4294967295ELNS1_3gpuE0ELNS1_3repE0EEENS1_47radix_sort_onesweep_sort_config_static_selectorELNS0_4arch9wavefront6targetE1EEEvSI_
	.globl	_ZN7rocprim17ROCPRIM_400000_NS6detail17trampoline_kernelINS0_14default_configENS1_35radix_sort_onesweep_config_selectorIjjEEZZNS1_29radix_sort_onesweep_iterationIS3_Lb0EN6thrust23THRUST_200600_302600_NS6detail15normal_iteratorINS8_10device_ptrIjEEEESD_SD_SD_jNS0_19identity_decomposerENS1_16block_id_wrapperIjLb0EEEEE10hipError_tT1_PNSt15iterator_traitsISI_E10value_typeET2_T3_PNSJ_ISO_E10value_typeET4_T5_PST_SU_PNS1_23onesweep_lookback_stateEbbT6_jjT7_P12ihipStream_tbENKUlT_T0_SI_SN_E_clISD_PjSD_S15_EEDaS11_S12_SI_SN_EUlS11_E_NS1_11comp_targetILNS1_3genE0ELNS1_11target_archE4294967295ELNS1_3gpuE0ELNS1_3repE0EEENS1_47radix_sort_onesweep_sort_config_static_selectorELNS0_4arch9wavefront6targetE1EEEvSI_
	.p2align	8
	.type	_ZN7rocprim17ROCPRIM_400000_NS6detail17trampoline_kernelINS0_14default_configENS1_35radix_sort_onesweep_config_selectorIjjEEZZNS1_29radix_sort_onesweep_iterationIS3_Lb0EN6thrust23THRUST_200600_302600_NS6detail15normal_iteratorINS8_10device_ptrIjEEEESD_SD_SD_jNS0_19identity_decomposerENS1_16block_id_wrapperIjLb0EEEEE10hipError_tT1_PNSt15iterator_traitsISI_E10value_typeET2_T3_PNSJ_ISO_E10value_typeET4_T5_PST_SU_PNS1_23onesweep_lookback_stateEbbT6_jjT7_P12ihipStream_tbENKUlT_T0_SI_SN_E_clISD_PjSD_S15_EEDaS11_S12_SI_SN_EUlS11_E_NS1_11comp_targetILNS1_3genE0ELNS1_11target_archE4294967295ELNS1_3gpuE0ELNS1_3repE0EEENS1_47radix_sort_onesweep_sort_config_static_selectorELNS0_4arch9wavefront6targetE1EEEvSI_,@function
_ZN7rocprim17ROCPRIM_400000_NS6detail17trampoline_kernelINS0_14default_configENS1_35radix_sort_onesweep_config_selectorIjjEEZZNS1_29radix_sort_onesweep_iterationIS3_Lb0EN6thrust23THRUST_200600_302600_NS6detail15normal_iteratorINS8_10device_ptrIjEEEESD_SD_SD_jNS0_19identity_decomposerENS1_16block_id_wrapperIjLb0EEEEE10hipError_tT1_PNSt15iterator_traitsISI_E10value_typeET2_T3_PNSJ_ISO_E10value_typeET4_T5_PST_SU_PNS1_23onesweep_lookback_stateEbbT6_jjT7_P12ihipStream_tbENKUlT_T0_SI_SN_E_clISD_PjSD_S15_EEDaS11_S12_SI_SN_EUlS11_E_NS1_11comp_targetILNS1_3genE0ELNS1_11target_archE4294967295ELNS1_3gpuE0ELNS1_3repE0EEENS1_47radix_sort_onesweep_sort_config_static_selectorELNS0_4arch9wavefront6targetE1EEEvSI_: ; @_ZN7rocprim17ROCPRIM_400000_NS6detail17trampoline_kernelINS0_14default_configENS1_35radix_sort_onesweep_config_selectorIjjEEZZNS1_29radix_sort_onesweep_iterationIS3_Lb0EN6thrust23THRUST_200600_302600_NS6detail15normal_iteratorINS8_10device_ptrIjEEEESD_SD_SD_jNS0_19identity_decomposerENS1_16block_id_wrapperIjLb0EEEEE10hipError_tT1_PNSt15iterator_traitsISI_E10value_typeET2_T3_PNSJ_ISO_E10value_typeET4_T5_PST_SU_PNS1_23onesweep_lookback_stateEbbT6_jjT7_P12ihipStream_tbENKUlT_T0_SI_SN_E_clISD_PjSD_S15_EEDaS11_S12_SI_SN_EUlS11_E_NS1_11comp_targetILNS1_3genE0ELNS1_11target_archE4294967295ELNS1_3gpuE0ELNS1_3repE0EEENS1_47radix_sort_onesweep_sort_config_static_selectorELNS0_4arch9wavefront6targetE1EEEvSI_
; %bb.0:
	.section	.rodata,"a",@progbits
	.p2align	6, 0x0
	.amdhsa_kernel _ZN7rocprim17ROCPRIM_400000_NS6detail17trampoline_kernelINS0_14default_configENS1_35radix_sort_onesweep_config_selectorIjjEEZZNS1_29radix_sort_onesweep_iterationIS3_Lb0EN6thrust23THRUST_200600_302600_NS6detail15normal_iteratorINS8_10device_ptrIjEEEESD_SD_SD_jNS0_19identity_decomposerENS1_16block_id_wrapperIjLb0EEEEE10hipError_tT1_PNSt15iterator_traitsISI_E10value_typeET2_T3_PNSJ_ISO_E10value_typeET4_T5_PST_SU_PNS1_23onesweep_lookback_stateEbbT6_jjT7_P12ihipStream_tbENKUlT_T0_SI_SN_E_clISD_PjSD_S15_EEDaS11_S12_SI_SN_EUlS11_E_NS1_11comp_targetILNS1_3genE0ELNS1_11target_archE4294967295ELNS1_3gpuE0ELNS1_3repE0EEENS1_47radix_sort_onesweep_sort_config_static_selectorELNS0_4arch9wavefront6targetE1EEEvSI_
		.amdhsa_group_segment_fixed_size 0
		.amdhsa_private_segment_fixed_size 0
		.amdhsa_kernarg_size 88
		.amdhsa_user_sgpr_count 2
		.amdhsa_user_sgpr_dispatch_ptr 0
		.amdhsa_user_sgpr_queue_ptr 0
		.amdhsa_user_sgpr_kernarg_segment_ptr 1
		.amdhsa_user_sgpr_dispatch_id 0
		.amdhsa_user_sgpr_kernarg_preload_length 0
		.amdhsa_user_sgpr_kernarg_preload_offset 0
		.amdhsa_user_sgpr_private_segment_size 0
		.amdhsa_uses_dynamic_stack 0
		.amdhsa_enable_private_segment 0
		.amdhsa_system_sgpr_workgroup_id_x 1
		.amdhsa_system_sgpr_workgroup_id_y 0
		.amdhsa_system_sgpr_workgroup_id_z 0
		.amdhsa_system_sgpr_workgroup_info 0
		.amdhsa_system_vgpr_workitem_id 0
		.amdhsa_next_free_vgpr 1
		.amdhsa_next_free_sgpr 0
		.amdhsa_accum_offset 4
		.amdhsa_reserve_vcc 0
		.amdhsa_float_round_mode_32 0
		.amdhsa_float_round_mode_16_64 0
		.amdhsa_float_denorm_mode_32 3
		.amdhsa_float_denorm_mode_16_64 3
		.amdhsa_dx10_clamp 1
		.amdhsa_ieee_mode 1
		.amdhsa_fp16_overflow 0
		.amdhsa_tg_split 0
		.amdhsa_exception_fp_ieee_invalid_op 0
		.amdhsa_exception_fp_denorm_src 0
		.amdhsa_exception_fp_ieee_div_zero 0
		.amdhsa_exception_fp_ieee_overflow 0
		.amdhsa_exception_fp_ieee_underflow 0
		.amdhsa_exception_fp_ieee_inexact 0
		.amdhsa_exception_int_div_zero 0
	.end_amdhsa_kernel
	.section	.text._ZN7rocprim17ROCPRIM_400000_NS6detail17trampoline_kernelINS0_14default_configENS1_35radix_sort_onesweep_config_selectorIjjEEZZNS1_29radix_sort_onesweep_iterationIS3_Lb0EN6thrust23THRUST_200600_302600_NS6detail15normal_iteratorINS8_10device_ptrIjEEEESD_SD_SD_jNS0_19identity_decomposerENS1_16block_id_wrapperIjLb0EEEEE10hipError_tT1_PNSt15iterator_traitsISI_E10value_typeET2_T3_PNSJ_ISO_E10value_typeET4_T5_PST_SU_PNS1_23onesweep_lookback_stateEbbT6_jjT7_P12ihipStream_tbENKUlT_T0_SI_SN_E_clISD_PjSD_S15_EEDaS11_S12_SI_SN_EUlS11_E_NS1_11comp_targetILNS1_3genE0ELNS1_11target_archE4294967295ELNS1_3gpuE0ELNS1_3repE0EEENS1_47radix_sort_onesweep_sort_config_static_selectorELNS0_4arch9wavefront6targetE1EEEvSI_,"axG",@progbits,_ZN7rocprim17ROCPRIM_400000_NS6detail17trampoline_kernelINS0_14default_configENS1_35radix_sort_onesweep_config_selectorIjjEEZZNS1_29radix_sort_onesweep_iterationIS3_Lb0EN6thrust23THRUST_200600_302600_NS6detail15normal_iteratorINS8_10device_ptrIjEEEESD_SD_SD_jNS0_19identity_decomposerENS1_16block_id_wrapperIjLb0EEEEE10hipError_tT1_PNSt15iterator_traitsISI_E10value_typeET2_T3_PNSJ_ISO_E10value_typeET4_T5_PST_SU_PNS1_23onesweep_lookback_stateEbbT6_jjT7_P12ihipStream_tbENKUlT_T0_SI_SN_E_clISD_PjSD_S15_EEDaS11_S12_SI_SN_EUlS11_E_NS1_11comp_targetILNS1_3genE0ELNS1_11target_archE4294967295ELNS1_3gpuE0ELNS1_3repE0EEENS1_47radix_sort_onesweep_sort_config_static_selectorELNS0_4arch9wavefront6targetE1EEEvSI_,comdat
.Lfunc_end787:
	.size	_ZN7rocprim17ROCPRIM_400000_NS6detail17trampoline_kernelINS0_14default_configENS1_35radix_sort_onesweep_config_selectorIjjEEZZNS1_29radix_sort_onesweep_iterationIS3_Lb0EN6thrust23THRUST_200600_302600_NS6detail15normal_iteratorINS8_10device_ptrIjEEEESD_SD_SD_jNS0_19identity_decomposerENS1_16block_id_wrapperIjLb0EEEEE10hipError_tT1_PNSt15iterator_traitsISI_E10value_typeET2_T3_PNSJ_ISO_E10value_typeET4_T5_PST_SU_PNS1_23onesweep_lookback_stateEbbT6_jjT7_P12ihipStream_tbENKUlT_T0_SI_SN_E_clISD_PjSD_S15_EEDaS11_S12_SI_SN_EUlS11_E_NS1_11comp_targetILNS1_3genE0ELNS1_11target_archE4294967295ELNS1_3gpuE0ELNS1_3repE0EEENS1_47radix_sort_onesweep_sort_config_static_selectorELNS0_4arch9wavefront6targetE1EEEvSI_, .Lfunc_end787-_ZN7rocprim17ROCPRIM_400000_NS6detail17trampoline_kernelINS0_14default_configENS1_35radix_sort_onesweep_config_selectorIjjEEZZNS1_29radix_sort_onesweep_iterationIS3_Lb0EN6thrust23THRUST_200600_302600_NS6detail15normal_iteratorINS8_10device_ptrIjEEEESD_SD_SD_jNS0_19identity_decomposerENS1_16block_id_wrapperIjLb0EEEEE10hipError_tT1_PNSt15iterator_traitsISI_E10value_typeET2_T3_PNSJ_ISO_E10value_typeET4_T5_PST_SU_PNS1_23onesweep_lookback_stateEbbT6_jjT7_P12ihipStream_tbENKUlT_T0_SI_SN_E_clISD_PjSD_S15_EEDaS11_S12_SI_SN_EUlS11_E_NS1_11comp_targetILNS1_3genE0ELNS1_11target_archE4294967295ELNS1_3gpuE0ELNS1_3repE0EEENS1_47radix_sort_onesweep_sort_config_static_selectorELNS0_4arch9wavefront6targetE1EEEvSI_
                                        ; -- End function
	.set _ZN7rocprim17ROCPRIM_400000_NS6detail17trampoline_kernelINS0_14default_configENS1_35radix_sort_onesweep_config_selectorIjjEEZZNS1_29radix_sort_onesweep_iterationIS3_Lb0EN6thrust23THRUST_200600_302600_NS6detail15normal_iteratorINS8_10device_ptrIjEEEESD_SD_SD_jNS0_19identity_decomposerENS1_16block_id_wrapperIjLb0EEEEE10hipError_tT1_PNSt15iterator_traitsISI_E10value_typeET2_T3_PNSJ_ISO_E10value_typeET4_T5_PST_SU_PNS1_23onesweep_lookback_stateEbbT6_jjT7_P12ihipStream_tbENKUlT_T0_SI_SN_E_clISD_PjSD_S15_EEDaS11_S12_SI_SN_EUlS11_E_NS1_11comp_targetILNS1_3genE0ELNS1_11target_archE4294967295ELNS1_3gpuE0ELNS1_3repE0EEENS1_47radix_sort_onesweep_sort_config_static_selectorELNS0_4arch9wavefront6targetE1EEEvSI_.num_vgpr, 0
	.set _ZN7rocprim17ROCPRIM_400000_NS6detail17trampoline_kernelINS0_14default_configENS1_35radix_sort_onesweep_config_selectorIjjEEZZNS1_29radix_sort_onesweep_iterationIS3_Lb0EN6thrust23THRUST_200600_302600_NS6detail15normal_iteratorINS8_10device_ptrIjEEEESD_SD_SD_jNS0_19identity_decomposerENS1_16block_id_wrapperIjLb0EEEEE10hipError_tT1_PNSt15iterator_traitsISI_E10value_typeET2_T3_PNSJ_ISO_E10value_typeET4_T5_PST_SU_PNS1_23onesweep_lookback_stateEbbT6_jjT7_P12ihipStream_tbENKUlT_T0_SI_SN_E_clISD_PjSD_S15_EEDaS11_S12_SI_SN_EUlS11_E_NS1_11comp_targetILNS1_3genE0ELNS1_11target_archE4294967295ELNS1_3gpuE0ELNS1_3repE0EEENS1_47radix_sort_onesweep_sort_config_static_selectorELNS0_4arch9wavefront6targetE1EEEvSI_.num_agpr, 0
	.set _ZN7rocprim17ROCPRIM_400000_NS6detail17trampoline_kernelINS0_14default_configENS1_35radix_sort_onesweep_config_selectorIjjEEZZNS1_29radix_sort_onesweep_iterationIS3_Lb0EN6thrust23THRUST_200600_302600_NS6detail15normal_iteratorINS8_10device_ptrIjEEEESD_SD_SD_jNS0_19identity_decomposerENS1_16block_id_wrapperIjLb0EEEEE10hipError_tT1_PNSt15iterator_traitsISI_E10value_typeET2_T3_PNSJ_ISO_E10value_typeET4_T5_PST_SU_PNS1_23onesweep_lookback_stateEbbT6_jjT7_P12ihipStream_tbENKUlT_T0_SI_SN_E_clISD_PjSD_S15_EEDaS11_S12_SI_SN_EUlS11_E_NS1_11comp_targetILNS1_3genE0ELNS1_11target_archE4294967295ELNS1_3gpuE0ELNS1_3repE0EEENS1_47radix_sort_onesweep_sort_config_static_selectorELNS0_4arch9wavefront6targetE1EEEvSI_.numbered_sgpr, 0
	.set _ZN7rocprim17ROCPRIM_400000_NS6detail17trampoline_kernelINS0_14default_configENS1_35radix_sort_onesweep_config_selectorIjjEEZZNS1_29radix_sort_onesweep_iterationIS3_Lb0EN6thrust23THRUST_200600_302600_NS6detail15normal_iteratorINS8_10device_ptrIjEEEESD_SD_SD_jNS0_19identity_decomposerENS1_16block_id_wrapperIjLb0EEEEE10hipError_tT1_PNSt15iterator_traitsISI_E10value_typeET2_T3_PNSJ_ISO_E10value_typeET4_T5_PST_SU_PNS1_23onesweep_lookback_stateEbbT6_jjT7_P12ihipStream_tbENKUlT_T0_SI_SN_E_clISD_PjSD_S15_EEDaS11_S12_SI_SN_EUlS11_E_NS1_11comp_targetILNS1_3genE0ELNS1_11target_archE4294967295ELNS1_3gpuE0ELNS1_3repE0EEENS1_47radix_sort_onesweep_sort_config_static_selectorELNS0_4arch9wavefront6targetE1EEEvSI_.num_named_barrier, 0
	.set _ZN7rocprim17ROCPRIM_400000_NS6detail17trampoline_kernelINS0_14default_configENS1_35radix_sort_onesweep_config_selectorIjjEEZZNS1_29radix_sort_onesweep_iterationIS3_Lb0EN6thrust23THRUST_200600_302600_NS6detail15normal_iteratorINS8_10device_ptrIjEEEESD_SD_SD_jNS0_19identity_decomposerENS1_16block_id_wrapperIjLb0EEEEE10hipError_tT1_PNSt15iterator_traitsISI_E10value_typeET2_T3_PNSJ_ISO_E10value_typeET4_T5_PST_SU_PNS1_23onesweep_lookback_stateEbbT6_jjT7_P12ihipStream_tbENKUlT_T0_SI_SN_E_clISD_PjSD_S15_EEDaS11_S12_SI_SN_EUlS11_E_NS1_11comp_targetILNS1_3genE0ELNS1_11target_archE4294967295ELNS1_3gpuE0ELNS1_3repE0EEENS1_47radix_sort_onesweep_sort_config_static_selectorELNS0_4arch9wavefront6targetE1EEEvSI_.private_seg_size, 0
	.set _ZN7rocprim17ROCPRIM_400000_NS6detail17trampoline_kernelINS0_14default_configENS1_35radix_sort_onesweep_config_selectorIjjEEZZNS1_29radix_sort_onesweep_iterationIS3_Lb0EN6thrust23THRUST_200600_302600_NS6detail15normal_iteratorINS8_10device_ptrIjEEEESD_SD_SD_jNS0_19identity_decomposerENS1_16block_id_wrapperIjLb0EEEEE10hipError_tT1_PNSt15iterator_traitsISI_E10value_typeET2_T3_PNSJ_ISO_E10value_typeET4_T5_PST_SU_PNS1_23onesweep_lookback_stateEbbT6_jjT7_P12ihipStream_tbENKUlT_T0_SI_SN_E_clISD_PjSD_S15_EEDaS11_S12_SI_SN_EUlS11_E_NS1_11comp_targetILNS1_3genE0ELNS1_11target_archE4294967295ELNS1_3gpuE0ELNS1_3repE0EEENS1_47radix_sort_onesweep_sort_config_static_selectorELNS0_4arch9wavefront6targetE1EEEvSI_.uses_vcc, 0
	.set _ZN7rocprim17ROCPRIM_400000_NS6detail17trampoline_kernelINS0_14default_configENS1_35radix_sort_onesweep_config_selectorIjjEEZZNS1_29radix_sort_onesweep_iterationIS3_Lb0EN6thrust23THRUST_200600_302600_NS6detail15normal_iteratorINS8_10device_ptrIjEEEESD_SD_SD_jNS0_19identity_decomposerENS1_16block_id_wrapperIjLb0EEEEE10hipError_tT1_PNSt15iterator_traitsISI_E10value_typeET2_T3_PNSJ_ISO_E10value_typeET4_T5_PST_SU_PNS1_23onesweep_lookback_stateEbbT6_jjT7_P12ihipStream_tbENKUlT_T0_SI_SN_E_clISD_PjSD_S15_EEDaS11_S12_SI_SN_EUlS11_E_NS1_11comp_targetILNS1_3genE0ELNS1_11target_archE4294967295ELNS1_3gpuE0ELNS1_3repE0EEENS1_47radix_sort_onesweep_sort_config_static_selectorELNS0_4arch9wavefront6targetE1EEEvSI_.uses_flat_scratch, 0
	.set _ZN7rocprim17ROCPRIM_400000_NS6detail17trampoline_kernelINS0_14default_configENS1_35radix_sort_onesweep_config_selectorIjjEEZZNS1_29radix_sort_onesweep_iterationIS3_Lb0EN6thrust23THRUST_200600_302600_NS6detail15normal_iteratorINS8_10device_ptrIjEEEESD_SD_SD_jNS0_19identity_decomposerENS1_16block_id_wrapperIjLb0EEEEE10hipError_tT1_PNSt15iterator_traitsISI_E10value_typeET2_T3_PNSJ_ISO_E10value_typeET4_T5_PST_SU_PNS1_23onesweep_lookback_stateEbbT6_jjT7_P12ihipStream_tbENKUlT_T0_SI_SN_E_clISD_PjSD_S15_EEDaS11_S12_SI_SN_EUlS11_E_NS1_11comp_targetILNS1_3genE0ELNS1_11target_archE4294967295ELNS1_3gpuE0ELNS1_3repE0EEENS1_47radix_sort_onesweep_sort_config_static_selectorELNS0_4arch9wavefront6targetE1EEEvSI_.has_dyn_sized_stack, 0
	.set _ZN7rocprim17ROCPRIM_400000_NS6detail17trampoline_kernelINS0_14default_configENS1_35radix_sort_onesweep_config_selectorIjjEEZZNS1_29radix_sort_onesweep_iterationIS3_Lb0EN6thrust23THRUST_200600_302600_NS6detail15normal_iteratorINS8_10device_ptrIjEEEESD_SD_SD_jNS0_19identity_decomposerENS1_16block_id_wrapperIjLb0EEEEE10hipError_tT1_PNSt15iterator_traitsISI_E10value_typeET2_T3_PNSJ_ISO_E10value_typeET4_T5_PST_SU_PNS1_23onesweep_lookback_stateEbbT6_jjT7_P12ihipStream_tbENKUlT_T0_SI_SN_E_clISD_PjSD_S15_EEDaS11_S12_SI_SN_EUlS11_E_NS1_11comp_targetILNS1_3genE0ELNS1_11target_archE4294967295ELNS1_3gpuE0ELNS1_3repE0EEENS1_47radix_sort_onesweep_sort_config_static_selectorELNS0_4arch9wavefront6targetE1EEEvSI_.has_recursion, 0
	.set _ZN7rocprim17ROCPRIM_400000_NS6detail17trampoline_kernelINS0_14default_configENS1_35radix_sort_onesweep_config_selectorIjjEEZZNS1_29radix_sort_onesweep_iterationIS3_Lb0EN6thrust23THRUST_200600_302600_NS6detail15normal_iteratorINS8_10device_ptrIjEEEESD_SD_SD_jNS0_19identity_decomposerENS1_16block_id_wrapperIjLb0EEEEE10hipError_tT1_PNSt15iterator_traitsISI_E10value_typeET2_T3_PNSJ_ISO_E10value_typeET4_T5_PST_SU_PNS1_23onesweep_lookback_stateEbbT6_jjT7_P12ihipStream_tbENKUlT_T0_SI_SN_E_clISD_PjSD_S15_EEDaS11_S12_SI_SN_EUlS11_E_NS1_11comp_targetILNS1_3genE0ELNS1_11target_archE4294967295ELNS1_3gpuE0ELNS1_3repE0EEENS1_47radix_sort_onesweep_sort_config_static_selectorELNS0_4arch9wavefront6targetE1EEEvSI_.has_indirect_call, 0
	.section	.AMDGPU.csdata,"",@progbits
; Kernel info:
; codeLenInByte = 0
; TotalNumSgprs: 6
; NumVgprs: 0
; NumAgprs: 0
; TotalNumVgprs: 0
; ScratchSize: 0
; MemoryBound: 0
; FloatMode: 240
; IeeeMode: 1
; LDSByteSize: 0 bytes/workgroup (compile time only)
; SGPRBlocks: 0
; VGPRBlocks: 0
; NumSGPRsForWavesPerEU: 6
; NumVGPRsForWavesPerEU: 1
; AccumOffset: 4
; Occupancy: 8
; WaveLimiterHint : 0
; COMPUTE_PGM_RSRC2:SCRATCH_EN: 0
; COMPUTE_PGM_RSRC2:USER_SGPR: 2
; COMPUTE_PGM_RSRC2:TRAP_HANDLER: 0
; COMPUTE_PGM_RSRC2:TGID_X_EN: 1
; COMPUTE_PGM_RSRC2:TGID_Y_EN: 0
; COMPUTE_PGM_RSRC2:TGID_Z_EN: 0
; COMPUTE_PGM_RSRC2:TIDIG_COMP_CNT: 0
; COMPUTE_PGM_RSRC3_GFX90A:ACCUM_OFFSET: 0
; COMPUTE_PGM_RSRC3_GFX90A:TG_SPLIT: 0
	.section	.text._ZN7rocprim17ROCPRIM_400000_NS6detail17trampoline_kernelINS0_14default_configENS1_35radix_sort_onesweep_config_selectorIjjEEZZNS1_29radix_sort_onesweep_iterationIS3_Lb0EN6thrust23THRUST_200600_302600_NS6detail15normal_iteratorINS8_10device_ptrIjEEEESD_SD_SD_jNS0_19identity_decomposerENS1_16block_id_wrapperIjLb0EEEEE10hipError_tT1_PNSt15iterator_traitsISI_E10value_typeET2_T3_PNSJ_ISO_E10value_typeET4_T5_PST_SU_PNS1_23onesweep_lookback_stateEbbT6_jjT7_P12ihipStream_tbENKUlT_T0_SI_SN_E_clISD_PjSD_S15_EEDaS11_S12_SI_SN_EUlS11_E_NS1_11comp_targetILNS1_3genE6ELNS1_11target_archE950ELNS1_3gpuE13ELNS1_3repE0EEENS1_47radix_sort_onesweep_sort_config_static_selectorELNS0_4arch9wavefront6targetE1EEEvSI_,"axG",@progbits,_ZN7rocprim17ROCPRIM_400000_NS6detail17trampoline_kernelINS0_14default_configENS1_35radix_sort_onesweep_config_selectorIjjEEZZNS1_29radix_sort_onesweep_iterationIS3_Lb0EN6thrust23THRUST_200600_302600_NS6detail15normal_iteratorINS8_10device_ptrIjEEEESD_SD_SD_jNS0_19identity_decomposerENS1_16block_id_wrapperIjLb0EEEEE10hipError_tT1_PNSt15iterator_traitsISI_E10value_typeET2_T3_PNSJ_ISO_E10value_typeET4_T5_PST_SU_PNS1_23onesweep_lookback_stateEbbT6_jjT7_P12ihipStream_tbENKUlT_T0_SI_SN_E_clISD_PjSD_S15_EEDaS11_S12_SI_SN_EUlS11_E_NS1_11comp_targetILNS1_3genE6ELNS1_11target_archE950ELNS1_3gpuE13ELNS1_3repE0EEENS1_47radix_sort_onesweep_sort_config_static_selectorELNS0_4arch9wavefront6targetE1EEEvSI_,comdat
	.protected	_ZN7rocprim17ROCPRIM_400000_NS6detail17trampoline_kernelINS0_14default_configENS1_35radix_sort_onesweep_config_selectorIjjEEZZNS1_29radix_sort_onesweep_iterationIS3_Lb0EN6thrust23THRUST_200600_302600_NS6detail15normal_iteratorINS8_10device_ptrIjEEEESD_SD_SD_jNS0_19identity_decomposerENS1_16block_id_wrapperIjLb0EEEEE10hipError_tT1_PNSt15iterator_traitsISI_E10value_typeET2_T3_PNSJ_ISO_E10value_typeET4_T5_PST_SU_PNS1_23onesweep_lookback_stateEbbT6_jjT7_P12ihipStream_tbENKUlT_T0_SI_SN_E_clISD_PjSD_S15_EEDaS11_S12_SI_SN_EUlS11_E_NS1_11comp_targetILNS1_3genE6ELNS1_11target_archE950ELNS1_3gpuE13ELNS1_3repE0EEENS1_47radix_sort_onesweep_sort_config_static_selectorELNS0_4arch9wavefront6targetE1EEEvSI_ ; -- Begin function _ZN7rocprim17ROCPRIM_400000_NS6detail17trampoline_kernelINS0_14default_configENS1_35radix_sort_onesweep_config_selectorIjjEEZZNS1_29radix_sort_onesweep_iterationIS3_Lb0EN6thrust23THRUST_200600_302600_NS6detail15normal_iteratorINS8_10device_ptrIjEEEESD_SD_SD_jNS0_19identity_decomposerENS1_16block_id_wrapperIjLb0EEEEE10hipError_tT1_PNSt15iterator_traitsISI_E10value_typeET2_T3_PNSJ_ISO_E10value_typeET4_T5_PST_SU_PNS1_23onesweep_lookback_stateEbbT6_jjT7_P12ihipStream_tbENKUlT_T0_SI_SN_E_clISD_PjSD_S15_EEDaS11_S12_SI_SN_EUlS11_E_NS1_11comp_targetILNS1_3genE6ELNS1_11target_archE950ELNS1_3gpuE13ELNS1_3repE0EEENS1_47radix_sort_onesweep_sort_config_static_selectorELNS0_4arch9wavefront6targetE1EEEvSI_
	.globl	_ZN7rocprim17ROCPRIM_400000_NS6detail17trampoline_kernelINS0_14default_configENS1_35radix_sort_onesweep_config_selectorIjjEEZZNS1_29radix_sort_onesweep_iterationIS3_Lb0EN6thrust23THRUST_200600_302600_NS6detail15normal_iteratorINS8_10device_ptrIjEEEESD_SD_SD_jNS0_19identity_decomposerENS1_16block_id_wrapperIjLb0EEEEE10hipError_tT1_PNSt15iterator_traitsISI_E10value_typeET2_T3_PNSJ_ISO_E10value_typeET4_T5_PST_SU_PNS1_23onesweep_lookback_stateEbbT6_jjT7_P12ihipStream_tbENKUlT_T0_SI_SN_E_clISD_PjSD_S15_EEDaS11_S12_SI_SN_EUlS11_E_NS1_11comp_targetILNS1_3genE6ELNS1_11target_archE950ELNS1_3gpuE13ELNS1_3repE0EEENS1_47radix_sort_onesweep_sort_config_static_selectorELNS0_4arch9wavefront6targetE1EEEvSI_
	.p2align	8
	.type	_ZN7rocprim17ROCPRIM_400000_NS6detail17trampoline_kernelINS0_14default_configENS1_35radix_sort_onesweep_config_selectorIjjEEZZNS1_29radix_sort_onesweep_iterationIS3_Lb0EN6thrust23THRUST_200600_302600_NS6detail15normal_iteratorINS8_10device_ptrIjEEEESD_SD_SD_jNS0_19identity_decomposerENS1_16block_id_wrapperIjLb0EEEEE10hipError_tT1_PNSt15iterator_traitsISI_E10value_typeET2_T3_PNSJ_ISO_E10value_typeET4_T5_PST_SU_PNS1_23onesweep_lookback_stateEbbT6_jjT7_P12ihipStream_tbENKUlT_T0_SI_SN_E_clISD_PjSD_S15_EEDaS11_S12_SI_SN_EUlS11_E_NS1_11comp_targetILNS1_3genE6ELNS1_11target_archE950ELNS1_3gpuE13ELNS1_3repE0EEENS1_47radix_sort_onesweep_sort_config_static_selectorELNS0_4arch9wavefront6targetE1EEEvSI_,@function
_ZN7rocprim17ROCPRIM_400000_NS6detail17trampoline_kernelINS0_14default_configENS1_35radix_sort_onesweep_config_selectorIjjEEZZNS1_29radix_sort_onesweep_iterationIS3_Lb0EN6thrust23THRUST_200600_302600_NS6detail15normal_iteratorINS8_10device_ptrIjEEEESD_SD_SD_jNS0_19identity_decomposerENS1_16block_id_wrapperIjLb0EEEEE10hipError_tT1_PNSt15iterator_traitsISI_E10value_typeET2_T3_PNSJ_ISO_E10value_typeET4_T5_PST_SU_PNS1_23onesweep_lookback_stateEbbT6_jjT7_P12ihipStream_tbENKUlT_T0_SI_SN_E_clISD_PjSD_S15_EEDaS11_S12_SI_SN_EUlS11_E_NS1_11comp_targetILNS1_3genE6ELNS1_11target_archE950ELNS1_3gpuE13ELNS1_3repE0EEENS1_47radix_sort_onesweep_sort_config_static_selectorELNS0_4arch9wavefront6targetE1EEEvSI_: ; @_ZN7rocprim17ROCPRIM_400000_NS6detail17trampoline_kernelINS0_14default_configENS1_35radix_sort_onesweep_config_selectorIjjEEZZNS1_29radix_sort_onesweep_iterationIS3_Lb0EN6thrust23THRUST_200600_302600_NS6detail15normal_iteratorINS8_10device_ptrIjEEEESD_SD_SD_jNS0_19identity_decomposerENS1_16block_id_wrapperIjLb0EEEEE10hipError_tT1_PNSt15iterator_traitsISI_E10value_typeET2_T3_PNSJ_ISO_E10value_typeET4_T5_PST_SU_PNS1_23onesweep_lookback_stateEbbT6_jjT7_P12ihipStream_tbENKUlT_T0_SI_SN_E_clISD_PjSD_S15_EEDaS11_S12_SI_SN_EUlS11_E_NS1_11comp_targetILNS1_3genE6ELNS1_11target_archE950ELNS1_3gpuE13ELNS1_3repE0EEENS1_47radix_sort_onesweep_sort_config_static_selectorELNS0_4arch9wavefront6targetE1EEEvSI_
; %bb.0:
	s_load_dwordx8 s[52:59], s[0:1], 0x0
	s_load_dwordx4 s[64:67], s[0:1], 0x44
	s_load_dwordx4 s[60:63], s[0:1], 0x28
	s_load_dwordx2 s[50:51], s[0:1], 0x38
	s_mov_b64 s[4:5], -1
	v_mbcnt_lo_u32_b32 v1, -1, 0
	s_waitcnt lgkmcnt(0)
	s_cmp_ge_u32 s2, s66
	s_cbranch_scc0 .LBB788_204
; %bb.1:
	s_load_dword s3, s[0:1], 0x20
	s_lshl_b32 s6, s66, 14
	s_lshl_b32 s4, s2, 14
	s_mov_b32 s5, 0
	v_and_b32_e32 v2, 0x3ff, v0
	s_waitcnt lgkmcnt(0)
	s_sub_i32 s3, s3, s6
	s_lshl_b64 s[66:67], s[4:5], 2
	v_mbcnt_hi_u32_b32 v12, -1, v1
	s_add_u32 s4, s52, s66
	v_and_b32_e32 v10, 63, v12
	v_lshlrev_b32_e32 v4, 4, v2
	s_addc_u32 s5, s53, s67
	v_and_b32_e32 v11, 0x3c00, v4
	v_mov_b32_e32 v5, 0
	v_lshlrev_b32_e32 v4, 2, v10
	v_lshl_add_u64 v[8:9], s[4:5], 0, v[4:5]
	v_lshlrev_b32_e32 v6, 2, v11
	v_mov_b32_e32 v7, v5
	v_or_b32_e32 v10, v10, v11
	v_mov_b32_e32 v3, -1
	v_lshl_add_u64 v[8:9], v[8:9], 0, v[6:7]
	v_cmp_gt_u32_e32 vcc, s3, v10
	v_mov_b32_e32 v5, -1
	s_and_saveexec_b64 s[4:5], vcc
	s_cbranch_execz .LBB788_3
; %bb.2:
	global_load_dword v5, v[8:9], off
.LBB788_3:
	s_or_b64 exec, exec, s[4:5]
	v_or_b32_e32 v7, 64, v10
	v_cmp_gt_u32_e64 s[42:43], s3, v7
	s_and_saveexec_b64 s[4:5], s[42:43]
	s_cbranch_execz .LBB788_5
; %bb.4:
	global_load_dword v3, v[8:9], off offset:256
.LBB788_5:
	s_or_b64 exec, exec, s[4:5]
	v_or_b32_e32 v7, 0x80, v10
	v_cmp_gt_u32_e64 s[4:5], s3, v7
	v_mov_b32_e32 v7, -1
	v_mov_b32_e32 v14, -1
	s_and_saveexec_b64 s[6:7], s[4:5]
	s_cbranch_execz .LBB788_7
; %bb.6:
	global_load_dword v14, v[8:9], off offset:512
.LBB788_7:
	s_or_b64 exec, exec, s[6:7]
	v_or_b32_e32 v11, 0xc0, v10
	v_cmp_gt_u32_e64 s[6:7], s3, v11
	s_and_saveexec_b64 s[8:9], s[6:7]
	s_cbranch_execz .LBB788_9
; %bb.8:
	global_load_dword v7, v[8:9], off offset:768
.LBB788_9:
	s_or_b64 exec, exec, s[8:9]
	v_or_b32_e32 v11, 0x100, v10
	v_cmp_gt_u32_e64 s[8:9], s3, v11
	v_mov_b32_e32 v15, -1
	v_mov_b32_e32 v16, -1
	s_and_saveexec_b64 s[10:11], s[8:9]
	s_cbranch_execz .LBB788_11
; %bb.10:
	global_load_dword v16, v[8:9], off offset:1024
.LBB788_11:
	;; [unrolled: 18-line block ×7, first 2 shown]
	s_or_b64 exec, exec, s[30:31]
	v_or_b32_e32 v10, 0x3c0, v10
	v_cmp_gt_u32_e64 s[30:31], s3, v10
	s_and_saveexec_b64 s[34:35], s[30:31]
	s_cbranch_execz .LBB788_33
; %bb.32:
	global_load_dword v25, v[8:9], off offset:3840
.LBB788_33:
	s_or_b64 exec, exec, s[34:35]
	s_load_dword s34, s[0:1], 0x64
	s_load_dword s33, s[0:1], 0x58
	s_add_u32 s35, s0, 0x58
	s_addc_u32 s36, s1, 0
	v_mov_b32_e32 v9, 0
	s_waitcnt lgkmcnt(0)
	s_lshr_b32 s37, s34, 16
	s_cmp_lt_u32 s2, s33
	s_cselect_b32 s34, 12, 18
	s_add_u32 s34, s35, s34
	s_addc_u32 s35, s36, 0
	global_load_ushort v27, v9, s[34:35]
	s_waitcnt vmcnt(1)
	v_lshrrev_b32_e32 v29, s64, v5
	s_lshl_b32 s34, -1, s65
	v_bfe_u32 v8, v0, 10, 10
	v_bfe_u32 v11, v0, 20, 10
	v_bitop3_b32 v38, v29, s34, v29 bitop3:0x30
	s_movk_i32 s69, 0x44
	v_mad_u32_u24 v40, v11, s37, v8
	v_and_b32_e32 v8, 1, v38
	v_lshlrev_b32_e32 v11, 30, v38
	v_mov_b32_e32 v10, v9
	v_mov_b32_e32 v30, v9
	s_not_b32 s68, s34
	v_mul_lo_u32 v42, v38, s69
	v_lshlrev_b32_e32 v29, 29, v38
	v_lshlrev_b32_e32 v31, 28, v38
	;; [unrolled: 1-line block ×6, first 2 shown]
	v_lshl_add_u64 v[38:39], v[8:9], 0, -1
	v_cmp_ne_u32_e64 s[34:35], 0, v8
	v_not_b32_e32 v8, v11
	v_mov_b32_e32 v28, v9
	v_mov_b32_e32 v32, v9
	v_cmp_gt_i64_e64 s[36:37], 0, v[10:11]
	v_not_b32_e32 v10, v29
	v_cmp_gt_i64_e64 s[40:41], 0, v[30:31]
	v_not_b32_e32 v11, v31
	v_xor_b32_e32 v31, s35, v39
	v_ashrrev_i32_e32 v8, 31, v8
	v_mov_b32_e32 v34, v9
	v_cmp_gt_i64_e64 s[38:39], 0, v[28:29]
	v_cmp_gt_i64_e64 s[44:45], 0, v[32:33]
	v_not_b32_e32 v28, v33
	v_xor_b32_e32 v32, s34, v38
	v_ashrrev_i32_e32 v10, 31, v10
	v_and_b32_e32 v31, exec_hi, v31
	v_xor_b32_e32 v33, s37, v8
	v_cmp_gt_i64_e64 s[46:47], 0, v[34:35]
	v_ashrrev_i32_e32 v11, 31, v11
	v_and_b32_e32 v32, exec_lo, v32
	v_xor_b32_e32 v8, s36, v8
	v_xor_b32_e32 v34, s39, v10
	v_and_b32_e32 v31, v31, v33
	v_mov_b32_e32 v36, v9
	v_not_b32_e32 v29, v35
	v_ashrrev_i32_e32 v28, 31, v28
	v_xor_b32_e32 v10, s38, v10
	v_xor_b32_e32 v35, s41, v11
	v_and_b32_e32 v8, v32, v8
	v_and_b32_e32 v31, v31, v34
	v_cmp_gt_i64_e64 s[48:49], 0, v[36:37]
	v_not_b32_e32 v30, v37
	v_ashrrev_i32_e32 v29, 31, v29
	v_xor_b32_e32 v36, s45, v28
	v_and_b32_e32 v8, v8, v10
	v_and_b32_e32 v10, v31, v35
	v_ashrrev_i32_e32 v30, 31, v30
	v_xor_b32_e32 v11, s40, v11
	v_xor_b32_e32 v37, s47, v29
	v_and_b32_e32 v10, v10, v36
	v_xor_b32_e32 v28, s44, v28
	v_xor_b32_e32 v38, s49, v30
	v_and_b32_e32 v8, v8, v11
	v_and_b32_e32 v10, v10, v37
	;; [unrolled: 1-line block ×4, first 2 shown]
	v_xor_b32_e32 v29, s46, v29
	v_xor_b32_e32 v30, s48, v30
	v_and_b32_e32 v8, v8, v29
	v_and_b32_e32 v8, v8, v30
	v_mul_u32_u24_e32 v13, 20, v2
	ds_write2_b32 v13, v9, v9 offset0:16 offset1:17
	ds_write2_b32 v13, v9, v9 offset0:18 offset1:19
	ds_write_b32 v13, v9 offset:80
	s_waitcnt lgkmcnt(0)
	s_barrier
	s_waitcnt vmcnt(0)
	; wave barrier
	v_mad_u64_u32 v[10:11], s[34:35], v40, v27, v[2:3]
	v_lshrrev_b32_e32 v10, 4, v10
	v_and_b32_e32 v38, 0xffffffc, v10
	v_mov_b32_e32 v40, v9
	v_not_b32_e32 v10, v41
	v_cmp_gt_i64_e64 s[34:35], 0, v[40:41]
	v_ashrrev_i32_e32 v10, 31, v10
	v_add_u32_e32 v31, v38, v42
	v_xor_b32_e32 v11, s35, v10
	v_xor_b32_e32 v10, s34, v10
	v_and_b32_e32 v10, v8, v10
	v_and_b32_e32 v11, v28, v11
	v_mbcnt_lo_u32_b32 v8, v10, 0
	v_mbcnt_hi_u32_b32 v28, v11, v8
	v_cmp_eq_u32_e64 s[34:35], 0, v28
	v_cmp_ne_u64_e64 s[36:37], 0, v[10:11]
	s_and_b64 s[36:37], s[36:37], s[34:35]
	s_and_saveexec_b64 s[34:35], s[36:37]
; %bb.34:
	v_bcnt_u32_b32 v8, v10, 0
	v_bcnt_u32_b32 v8, v11, v8
	ds_write_b32 v31, v8 offset:64
; %bb.35:
	s_or_b64 exec, exec, s[34:35]
	v_lshrrev_b32_e32 v8, s64, v3
	v_and_b32_e32 v29, s68, v8
	v_mul_lo_u32 v8, v29, s69
	v_add_u32_e32 v33, v38, v8
	v_and_b32_e32 v8, 1, v29
	v_lshl_add_u64 v[10:11], v[8:9], 0, -1
	v_cmp_ne_u32_e64 s[34:35], 0, v8
	; wave barrier
	s_nop 1
	v_xor_b32_e32 v10, s34, v10
	v_xor_b32_e32 v8, s35, v11
	v_and_b32_e32 v30, exec_lo, v10
	v_lshlrev_b32_e32 v11, 30, v29
	v_mov_b32_e32 v10, v9
	v_cmp_gt_i64_e64 s[34:35], 0, v[10:11]
	v_not_b32_e32 v10, v11
	v_ashrrev_i32_e32 v10, 31, v10
	v_and_b32_e32 v8, exec_hi, v8
	v_xor_b32_e32 v11, s35, v10
	v_xor_b32_e32 v10, s34, v10
	v_and_b32_e32 v8, v8, v11
	v_and_b32_e32 v30, v30, v10
	v_lshlrev_b32_e32 v11, 29, v29
	v_mov_b32_e32 v10, v9
	v_cmp_gt_i64_e64 s[34:35], 0, v[10:11]
	v_not_b32_e32 v10, v11
	v_ashrrev_i32_e32 v10, 31, v10
	v_xor_b32_e32 v11, s35, v10
	v_xor_b32_e32 v10, s34, v10
	v_and_b32_e32 v8, v8, v11
	v_and_b32_e32 v30, v30, v10
	v_lshlrev_b32_e32 v11, 28, v29
	v_mov_b32_e32 v10, v9
	v_cmp_gt_i64_e64 s[34:35], 0, v[10:11]
	v_not_b32_e32 v10, v11
	v_ashrrev_i32_e32 v10, 31, v10
	;; [unrolled: 9-line block ×5, first 2 shown]
	v_xor_b32_e32 v11, s35, v10
	v_xor_b32_e32 v10, s34, v10
	v_and_b32_e32 v8, v8, v11
	v_lshlrev_b32_e32 v11, 24, v29
	v_and_b32_e32 v30, v30, v10
	v_mov_b32_e32 v10, v9
	v_not_b32_e32 v9, v11
	v_cmp_gt_i64_e64 s[34:35], 0, v[10:11]
	v_ashrrev_i32_e32 v9, 31, v9
	ds_read_b32 v27, v33 offset:64
	v_xor_b32_e32 v10, s35, v9
	v_xor_b32_e32 v11, s34, v9
	v_and_b32_e32 v9, v8, v10
	v_and_b32_e32 v8, v30, v11
	v_mbcnt_lo_u32_b32 v10, v8, 0
	v_mbcnt_hi_u32_b32 v29, v9, v10
	v_cmp_eq_u32_e64 s[34:35], 0, v29
	v_cmp_ne_u64_e64 s[36:37], 0, v[8:9]
	s_and_b64 s[36:37], s[36:37], s[34:35]
	; wave barrier
	s_and_saveexec_b64 s[34:35], s[36:37]
	s_cbranch_execz .LBB788_37
; %bb.36:
	v_bcnt_u32_b32 v8, v8, 0
	v_bcnt_u32_b32 v8, v9, v8
	s_waitcnt lgkmcnt(0)
	v_add_u32_e32 v8, v27, v8
	ds_write_b32 v33, v8 offset:64
.LBB788_37:
	s_or_b64 exec, exec, s[34:35]
	v_lshrrev_b32_e32 v8, s64, v14
	v_and_b32_e32 v32, s68, v8
	s_movk_i32 s38, 0x44
	v_mul_lo_u32 v8, v32, s38
	v_add_u32_e32 v36, v38, v8
	v_and_b32_e32 v8, 1, v32
	v_mov_b32_e32 v9, 0
	v_lshl_add_u64 v[10:11], v[8:9], 0, -1
	v_cmp_ne_u32_e64 s[34:35], 0, v8
	; wave barrier
	s_nop 1
	v_xor_b32_e32 v10, s34, v10
	v_xor_b32_e32 v8, s35, v11
	v_and_b32_e32 v34, exec_lo, v10
	v_lshlrev_b32_e32 v11, 30, v32
	v_mov_b32_e32 v10, v9
	v_cmp_gt_i64_e64 s[34:35], 0, v[10:11]
	v_not_b32_e32 v10, v11
	v_ashrrev_i32_e32 v10, 31, v10
	v_and_b32_e32 v8, exec_hi, v8
	v_xor_b32_e32 v11, s35, v10
	v_xor_b32_e32 v10, s34, v10
	v_and_b32_e32 v8, v8, v11
	v_and_b32_e32 v34, v34, v10
	v_lshlrev_b32_e32 v11, 29, v32
	v_mov_b32_e32 v10, v9
	v_cmp_gt_i64_e64 s[34:35], 0, v[10:11]
	v_not_b32_e32 v10, v11
	v_ashrrev_i32_e32 v10, 31, v10
	v_xor_b32_e32 v11, s35, v10
	v_xor_b32_e32 v10, s34, v10
	v_and_b32_e32 v8, v8, v11
	v_and_b32_e32 v34, v34, v10
	v_lshlrev_b32_e32 v11, 28, v32
	v_mov_b32_e32 v10, v9
	v_cmp_gt_i64_e64 s[34:35], 0, v[10:11]
	v_not_b32_e32 v10, v11
	v_ashrrev_i32_e32 v10, 31, v10
	v_xor_b32_e32 v11, s35, v10
	v_xor_b32_e32 v10, s34, v10
	v_and_b32_e32 v8, v8, v11
	v_and_b32_e32 v34, v34, v10
	v_lshlrev_b32_e32 v11, 27, v32
	v_mov_b32_e32 v10, v9
	v_cmp_gt_i64_e64 s[34:35], 0, v[10:11]
	v_not_b32_e32 v10, v11
	v_ashrrev_i32_e32 v10, 31, v10
	v_xor_b32_e32 v11, s35, v10
	v_xor_b32_e32 v10, s34, v10
	v_and_b32_e32 v8, v8, v11
	v_and_b32_e32 v34, v34, v10
	v_lshlrev_b32_e32 v11, 26, v32
	v_mov_b32_e32 v10, v9
	v_cmp_gt_i64_e64 s[34:35], 0, v[10:11]
	v_not_b32_e32 v10, v11
	v_ashrrev_i32_e32 v10, 31, v10
	v_xor_b32_e32 v11, s35, v10
	v_xor_b32_e32 v10, s34, v10
	v_and_b32_e32 v8, v8, v11
	v_and_b32_e32 v34, v34, v10
	v_lshlrev_b32_e32 v11, 25, v32
	v_mov_b32_e32 v10, v9
	v_cmp_gt_i64_e64 s[34:35], 0, v[10:11]
	v_not_b32_e32 v10, v11
	v_ashrrev_i32_e32 v10, 31, v10
	v_xor_b32_e32 v11, s35, v10
	v_xor_b32_e32 v10, s34, v10
	v_and_b32_e32 v8, v8, v11
	v_and_b32_e32 v34, v34, v10
	v_lshlrev_b32_e32 v11, 24, v32
	v_mov_b32_e32 v10, v9
	v_cmp_gt_i64_e64 s[34:35], 0, v[10:11]
	v_not_b32_e32 v10, v11
	v_ashrrev_i32_e32 v10, 31, v10
	v_xor_b32_e32 v11, s35, v10
	v_xor_b32_e32 v10, s34, v10
	ds_read_b32 v30, v36 offset:64
	v_and_b32_e32 v10, v34, v10
	v_and_b32_e32 v11, v8, v11
	v_mbcnt_lo_u32_b32 v8, v10, 0
	v_mbcnt_hi_u32_b32 v32, v11, v8
	v_cmp_eq_u32_e64 s[34:35], 0, v32
	v_cmp_ne_u64_e64 s[36:37], 0, v[10:11]
	s_and_b64 s[36:37], s[36:37], s[34:35]
	; wave barrier
	s_and_saveexec_b64 s[34:35], s[36:37]
	s_cbranch_execz .LBB788_39
; %bb.38:
	v_bcnt_u32_b32 v8, v10, 0
	v_bcnt_u32_b32 v8, v11, v8
	s_waitcnt lgkmcnt(0)
	v_add_u32_e32 v8, v30, v8
	ds_write_b32 v36, v8 offset:64
.LBB788_39:
	s_or_b64 exec, exec, s[34:35]
	v_lshrrev_b32_e32 v8, s64, v7
	v_and_b32_e32 v35, s68, v8
	v_mul_lo_u32 v8, v35, s38
	v_add_u32_e32 v40, v38, v8
	v_and_b32_e32 v8, 1, v35
	v_lshl_add_u64 v[10:11], v[8:9], 0, -1
	v_cmp_ne_u32_e64 s[34:35], 0, v8
	; wave barrier
	s_nop 1
	v_xor_b32_e32 v10, s34, v10
	v_xor_b32_e32 v8, s35, v11
	v_and_b32_e32 v37, exec_lo, v10
	v_lshlrev_b32_e32 v11, 30, v35
	v_mov_b32_e32 v10, v9
	v_cmp_gt_i64_e64 s[34:35], 0, v[10:11]
	v_not_b32_e32 v10, v11
	v_ashrrev_i32_e32 v10, 31, v10
	v_and_b32_e32 v8, exec_hi, v8
	v_xor_b32_e32 v11, s35, v10
	v_xor_b32_e32 v10, s34, v10
	v_and_b32_e32 v8, v8, v11
	v_and_b32_e32 v37, v37, v10
	v_lshlrev_b32_e32 v11, 29, v35
	v_mov_b32_e32 v10, v9
	v_cmp_gt_i64_e64 s[34:35], 0, v[10:11]
	v_not_b32_e32 v10, v11
	v_ashrrev_i32_e32 v10, 31, v10
	v_xor_b32_e32 v11, s35, v10
	v_xor_b32_e32 v10, s34, v10
	v_and_b32_e32 v8, v8, v11
	v_and_b32_e32 v37, v37, v10
	v_lshlrev_b32_e32 v11, 28, v35
	v_mov_b32_e32 v10, v9
	v_cmp_gt_i64_e64 s[34:35], 0, v[10:11]
	v_not_b32_e32 v10, v11
	v_ashrrev_i32_e32 v10, 31, v10
	;; [unrolled: 9-line block ×5, first 2 shown]
	v_xor_b32_e32 v11, s35, v10
	v_xor_b32_e32 v10, s34, v10
	v_and_b32_e32 v8, v8, v11
	v_lshlrev_b32_e32 v11, 24, v35
	v_and_b32_e32 v37, v37, v10
	v_mov_b32_e32 v10, v9
	v_not_b32_e32 v9, v11
	v_cmp_gt_i64_e64 s[34:35], 0, v[10:11]
	v_ashrrev_i32_e32 v9, 31, v9
	ds_read_b32 v34, v40 offset:64
	v_xor_b32_e32 v10, s35, v9
	v_xor_b32_e32 v11, s34, v9
	v_and_b32_e32 v9, v8, v10
	v_and_b32_e32 v8, v37, v11
	v_mbcnt_lo_u32_b32 v10, v8, 0
	v_mbcnt_hi_u32_b32 v35, v9, v10
	v_cmp_eq_u32_e64 s[34:35], 0, v35
	v_cmp_ne_u64_e64 s[36:37], 0, v[8:9]
	s_and_b64 s[36:37], s[36:37], s[34:35]
	; wave barrier
	s_and_saveexec_b64 s[34:35], s[36:37]
	s_cbranch_execz .LBB788_41
; %bb.40:
	v_bcnt_u32_b32 v8, v8, 0
	v_bcnt_u32_b32 v8, v9, v8
	s_waitcnt lgkmcnt(0)
	v_add_u32_e32 v8, v34, v8
	ds_write_b32 v40, v8 offset:64
.LBB788_41:
	s_or_b64 exec, exec, s[34:35]
	v_lshrrev_b32_e32 v8, s64, v16
	v_and_b32_e32 v39, s68, v8
	v_mul_lo_u32 v8, v39, s38
	v_add_u32_e32 v43, v38, v8
	v_and_b32_e32 v8, 1, v39
	v_mov_b32_e32 v9, 0
	v_lshl_add_u64 v[10:11], v[8:9], 0, -1
	v_cmp_ne_u32_e64 s[34:35], 0, v8
	; wave barrier
	s_nop 1
	v_xor_b32_e32 v10, s34, v10
	v_xor_b32_e32 v8, s35, v11
	v_and_b32_e32 v41, exec_lo, v10
	v_lshlrev_b32_e32 v11, 30, v39
	v_mov_b32_e32 v10, v9
	v_cmp_gt_i64_e64 s[34:35], 0, v[10:11]
	v_not_b32_e32 v10, v11
	v_ashrrev_i32_e32 v10, 31, v10
	v_and_b32_e32 v8, exec_hi, v8
	v_xor_b32_e32 v11, s35, v10
	v_xor_b32_e32 v10, s34, v10
	v_and_b32_e32 v8, v8, v11
	v_and_b32_e32 v41, v41, v10
	v_lshlrev_b32_e32 v11, 29, v39
	v_mov_b32_e32 v10, v9
	v_cmp_gt_i64_e64 s[34:35], 0, v[10:11]
	v_not_b32_e32 v10, v11
	v_ashrrev_i32_e32 v10, 31, v10
	v_xor_b32_e32 v11, s35, v10
	v_xor_b32_e32 v10, s34, v10
	v_and_b32_e32 v8, v8, v11
	v_and_b32_e32 v41, v41, v10
	v_lshlrev_b32_e32 v11, 28, v39
	v_mov_b32_e32 v10, v9
	v_cmp_gt_i64_e64 s[34:35], 0, v[10:11]
	v_not_b32_e32 v10, v11
	v_ashrrev_i32_e32 v10, 31, v10
	;; [unrolled: 9-line block ×6, first 2 shown]
	v_xor_b32_e32 v11, s35, v10
	v_xor_b32_e32 v10, s34, v10
	ds_read_b32 v37, v43 offset:64
	v_and_b32_e32 v10, v41, v10
	v_and_b32_e32 v11, v8, v11
	v_mbcnt_lo_u32_b32 v8, v10, 0
	v_mbcnt_hi_u32_b32 v39, v11, v8
	v_cmp_eq_u32_e64 s[34:35], 0, v39
	v_cmp_ne_u64_e64 s[36:37], 0, v[10:11]
	s_and_b64 s[36:37], s[36:37], s[34:35]
	; wave barrier
	s_and_saveexec_b64 s[34:35], s[36:37]
	s_cbranch_execz .LBB788_43
; %bb.42:
	v_bcnt_u32_b32 v8, v10, 0
	v_bcnt_u32_b32 v8, v11, v8
	s_waitcnt lgkmcnt(0)
	v_add_u32_e32 v8, v37, v8
	ds_write_b32 v43, v8 offset:64
.LBB788_43:
	s_or_b64 exec, exec, s[34:35]
	v_lshrrev_b32_e32 v8, s64, v15
	v_and_b32_e32 v42, s68, v8
	v_mul_lo_u32 v8, v42, s38
	v_add_u32_e32 v45, v38, v8
	v_and_b32_e32 v8, 1, v42
	v_lshl_add_u64 v[10:11], v[8:9], 0, -1
	v_cmp_ne_u32_e64 s[34:35], 0, v8
	; wave barrier
	s_nop 1
	v_xor_b32_e32 v10, s34, v10
	v_xor_b32_e32 v8, s35, v11
	v_and_b32_e32 v44, exec_lo, v10
	v_lshlrev_b32_e32 v11, 30, v42
	v_mov_b32_e32 v10, v9
	v_cmp_gt_i64_e64 s[34:35], 0, v[10:11]
	v_not_b32_e32 v10, v11
	v_ashrrev_i32_e32 v10, 31, v10
	v_and_b32_e32 v8, exec_hi, v8
	v_xor_b32_e32 v11, s35, v10
	v_xor_b32_e32 v10, s34, v10
	v_and_b32_e32 v8, v8, v11
	v_and_b32_e32 v44, v44, v10
	v_lshlrev_b32_e32 v11, 29, v42
	v_mov_b32_e32 v10, v9
	v_cmp_gt_i64_e64 s[34:35], 0, v[10:11]
	v_not_b32_e32 v10, v11
	v_ashrrev_i32_e32 v10, 31, v10
	v_xor_b32_e32 v11, s35, v10
	v_xor_b32_e32 v10, s34, v10
	v_and_b32_e32 v8, v8, v11
	v_and_b32_e32 v44, v44, v10
	v_lshlrev_b32_e32 v11, 28, v42
	v_mov_b32_e32 v10, v9
	v_cmp_gt_i64_e64 s[34:35], 0, v[10:11]
	v_not_b32_e32 v10, v11
	v_ashrrev_i32_e32 v10, 31, v10
	;; [unrolled: 9-line block ×5, first 2 shown]
	v_xor_b32_e32 v11, s35, v10
	v_xor_b32_e32 v10, s34, v10
	v_and_b32_e32 v8, v8, v11
	v_lshlrev_b32_e32 v11, 24, v42
	v_and_b32_e32 v44, v44, v10
	v_mov_b32_e32 v10, v9
	v_not_b32_e32 v9, v11
	v_cmp_gt_i64_e64 s[34:35], 0, v[10:11]
	v_ashrrev_i32_e32 v9, 31, v9
	ds_read_b32 v41, v45 offset:64
	v_xor_b32_e32 v10, s35, v9
	v_xor_b32_e32 v11, s34, v9
	v_and_b32_e32 v9, v8, v10
	v_and_b32_e32 v8, v44, v11
	v_mbcnt_lo_u32_b32 v10, v8, 0
	v_mbcnt_hi_u32_b32 v42, v9, v10
	v_cmp_eq_u32_e64 s[34:35], 0, v42
	v_cmp_ne_u64_e64 s[36:37], 0, v[8:9]
	s_and_b64 s[36:37], s[36:37], s[34:35]
	; wave barrier
	s_and_saveexec_b64 s[34:35], s[36:37]
	s_cbranch_execz .LBB788_45
; %bb.44:
	v_bcnt_u32_b32 v8, v8, 0
	v_bcnt_u32_b32 v8, v9, v8
	s_waitcnt lgkmcnt(0)
	v_add_u32_e32 v8, v41, v8
	ds_write_b32 v45, v8 offset:64
.LBB788_45:
	s_or_b64 exec, exec, s[34:35]
	v_lshrrev_b32_e32 v8, s64, v18
	v_and_b32_e32 v46, s68, v8
	v_mul_lo_u32 v8, v46, s38
	v_add_u32_e32 v48, v38, v8
	v_and_b32_e32 v8, 1, v46
	v_mov_b32_e32 v9, 0
	v_lshl_add_u64 v[10:11], v[8:9], 0, -1
	v_cmp_ne_u32_e64 s[34:35], 0, v8
	; wave barrier
	s_nop 1
	v_xor_b32_e32 v10, s34, v10
	v_xor_b32_e32 v8, s35, v11
	v_and_b32_e32 v47, exec_lo, v10
	v_lshlrev_b32_e32 v11, 30, v46
	v_mov_b32_e32 v10, v9
	v_cmp_gt_i64_e64 s[34:35], 0, v[10:11]
	v_not_b32_e32 v10, v11
	v_ashrrev_i32_e32 v10, 31, v10
	v_and_b32_e32 v8, exec_hi, v8
	v_xor_b32_e32 v11, s35, v10
	v_xor_b32_e32 v10, s34, v10
	v_and_b32_e32 v8, v8, v11
	v_and_b32_e32 v47, v47, v10
	v_lshlrev_b32_e32 v11, 29, v46
	v_mov_b32_e32 v10, v9
	v_cmp_gt_i64_e64 s[34:35], 0, v[10:11]
	v_not_b32_e32 v10, v11
	v_ashrrev_i32_e32 v10, 31, v10
	v_xor_b32_e32 v11, s35, v10
	v_xor_b32_e32 v10, s34, v10
	v_and_b32_e32 v8, v8, v11
	v_and_b32_e32 v47, v47, v10
	v_lshlrev_b32_e32 v11, 28, v46
	v_mov_b32_e32 v10, v9
	v_cmp_gt_i64_e64 s[34:35], 0, v[10:11]
	v_not_b32_e32 v10, v11
	v_ashrrev_i32_e32 v10, 31, v10
	;; [unrolled: 9-line block ×6, first 2 shown]
	v_xor_b32_e32 v11, s35, v10
	v_xor_b32_e32 v10, s34, v10
	ds_read_b32 v44, v48 offset:64
	v_and_b32_e32 v10, v47, v10
	v_and_b32_e32 v11, v8, v11
	v_mbcnt_lo_u32_b32 v8, v10, 0
	v_mbcnt_hi_u32_b32 v46, v11, v8
	v_cmp_eq_u32_e64 s[34:35], 0, v46
	v_cmp_ne_u64_e64 s[36:37], 0, v[10:11]
	s_and_b64 s[36:37], s[36:37], s[34:35]
	; wave barrier
	s_and_saveexec_b64 s[34:35], s[36:37]
	s_cbranch_execz .LBB788_47
; %bb.46:
	v_bcnt_u32_b32 v8, v10, 0
	v_bcnt_u32_b32 v8, v11, v8
	s_waitcnt lgkmcnt(0)
	v_add_u32_e32 v8, v44, v8
	ds_write_b32 v48, v8 offset:64
.LBB788_47:
	s_or_b64 exec, exec, s[34:35]
	v_lshrrev_b32_e32 v8, s64, v17
	v_and_b32_e32 v49, s68, v8
	v_mul_lo_u32 v8, v49, s38
	v_add_u32_e32 v51, v38, v8
	v_and_b32_e32 v8, 1, v49
	v_lshl_add_u64 v[10:11], v[8:9], 0, -1
	v_cmp_ne_u32_e64 s[34:35], 0, v8
	; wave barrier
	s_nop 1
	v_xor_b32_e32 v10, s34, v10
	v_xor_b32_e32 v8, s35, v11
	v_and_b32_e32 v50, exec_lo, v10
	v_lshlrev_b32_e32 v11, 30, v49
	v_mov_b32_e32 v10, v9
	v_cmp_gt_i64_e64 s[34:35], 0, v[10:11]
	v_not_b32_e32 v10, v11
	v_ashrrev_i32_e32 v10, 31, v10
	v_and_b32_e32 v8, exec_hi, v8
	v_xor_b32_e32 v11, s35, v10
	v_xor_b32_e32 v10, s34, v10
	v_and_b32_e32 v8, v8, v11
	v_and_b32_e32 v50, v50, v10
	v_lshlrev_b32_e32 v11, 29, v49
	v_mov_b32_e32 v10, v9
	v_cmp_gt_i64_e64 s[34:35], 0, v[10:11]
	v_not_b32_e32 v10, v11
	v_ashrrev_i32_e32 v10, 31, v10
	v_xor_b32_e32 v11, s35, v10
	v_xor_b32_e32 v10, s34, v10
	v_and_b32_e32 v8, v8, v11
	v_and_b32_e32 v50, v50, v10
	v_lshlrev_b32_e32 v11, 28, v49
	v_mov_b32_e32 v10, v9
	v_cmp_gt_i64_e64 s[34:35], 0, v[10:11]
	v_not_b32_e32 v10, v11
	v_ashrrev_i32_e32 v10, 31, v10
	;; [unrolled: 9-line block ×5, first 2 shown]
	v_xor_b32_e32 v11, s35, v10
	v_xor_b32_e32 v10, s34, v10
	v_and_b32_e32 v8, v8, v11
	v_lshlrev_b32_e32 v11, 24, v49
	v_and_b32_e32 v50, v50, v10
	v_mov_b32_e32 v10, v9
	v_not_b32_e32 v9, v11
	v_cmp_gt_i64_e64 s[34:35], 0, v[10:11]
	v_ashrrev_i32_e32 v9, 31, v9
	ds_read_b32 v47, v51 offset:64
	v_xor_b32_e32 v10, s35, v9
	v_xor_b32_e32 v11, s34, v9
	v_and_b32_e32 v9, v8, v10
	v_and_b32_e32 v8, v50, v11
	v_mbcnt_lo_u32_b32 v10, v8, 0
	v_mbcnt_hi_u32_b32 v49, v9, v10
	v_cmp_eq_u32_e64 s[34:35], 0, v49
	v_cmp_ne_u64_e64 s[36:37], 0, v[8:9]
	s_and_b64 s[36:37], s[36:37], s[34:35]
	; wave barrier
	s_and_saveexec_b64 s[34:35], s[36:37]
	s_cbranch_execz .LBB788_49
; %bb.48:
	v_bcnt_u32_b32 v8, v8, 0
	v_bcnt_u32_b32 v8, v9, v8
	s_waitcnt lgkmcnt(0)
	v_add_u32_e32 v8, v47, v8
	ds_write_b32 v51, v8 offset:64
.LBB788_49:
	s_or_b64 exec, exec, s[34:35]
	v_lshrrev_b32_e32 v8, s64, v20
	v_and_b32_e32 v52, s68, v8
	v_mul_lo_u32 v8, v52, s38
	v_add_u32_e32 v54, v38, v8
	v_and_b32_e32 v8, 1, v52
	v_mov_b32_e32 v9, 0
	v_lshl_add_u64 v[10:11], v[8:9], 0, -1
	v_cmp_ne_u32_e64 s[34:35], 0, v8
	; wave barrier
	s_nop 1
	v_xor_b32_e32 v10, s34, v10
	v_xor_b32_e32 v8, s35, v11
	v_and_b32_e32 v53, exec_lo, v10
	v_lshlrev_b32_e32 v11, 30, v52
	v_mov_b32_e32 v10, v9
	v_cmp_gt_i64_e64 s[34:35], 0, v[10:11]
	v_not_b32_e32 v10, v11
	v_ashrrev_i32_e32 v10, 31, v10
	v_and_b32_e32 v8, exec_hi, v8
	v_xor_b32_e32 v11, s35, v10
	v_xor_b32_e32 v10, s34, v10
	v_and_b32_e32 v8, v8, v11
	v_and_b32_e32 v53, v53, v10
	v_lshlrev_b32_e32 v11, 29, v52
	v_mov_b32_e32 v10, v9
	v_cmp_gt_i64_e64 s[34:35], 0, v[10:11]
	v_not_b32_e32 v10, v11
	v_ashrrev_i32_e32 v10, 31, v10
	v_xor_b32_e32 v11, s35, v10
	v_xor_b32_e32 v10, s34, v10
	v_and_b32_e32 v8, v8, v11
	v_and_b32_e32 v53, v53, v10
	v_lshlrev_b32_e32 v11, 28, v52
	v_mov_b32_e32 v10, v9
	v_cmp_gt_i64_e64 s[34:35], 0, v[10:11]
	v_not_b32_e32 v10, v11
	v_ashrrev_i32_e32 v10, 31, v10
	;; [unrolled: 9-line block ×6, first 2 shown]
	v_xor_b32_e32 v11, s35, v10
	v_xor_b32_e32 v10, s34, v10
	ds_read_b32 v50, v54 offset:64
	v_and_b32_e32 v10, v53, v10
	v_and_b32_e32 v11, v8, v11
	v_mbcnt_lo_u32_b32 v8, v10, 0
	v_mbcnt_hi_u32_b32 v52, v11, v8
	v_cmp_eq_u32_e64 s[34:35], 0, v52
	v_cmp_ne_u64_e64 s[36:37], 0, v[10:11]
	s_and_b64 s[36:37], s[36:37], s[34:35]
	; wave barrier
	s_and_saveexec_b64 s[34:35], s[36:37]
	s_cbranch_execz .LBB788_51
; %bb.50:
	v_bcnt_u32_b32 v8, v10, 0
	v_bcnt_u32_b32 v8, v11, v8
	s_waitcnt lgkmcnt(0)
	v_add_u32_e32 v8, v50, v8
	ds_write_b32 v54, v8 offset:64
.LBB788_51:
	s_or_b64 exec, exec, s[34:35]
	v_lshrrev_b32_e32 v8, s64, v19
	v_and_b32_e32 v55, s68, v8
	v_mul_lo_u32 v8, v55, s38
	v_add_u32_e32 v57, v38, v8
	v_and_b32_e32 v8, 1, v55
	v_lshl_add_u64 v[10:11], v[8:9], 0, -1
	v_cmp_ne_u32_e64 s[34:35], 0, v8
	; wave barrier
	s_nop 1
	v_xor_b32_e32 v10, s34, v10
	v_xor_b32_e32 v8, s35, v11
	v_and_b32_e32 v56, exec_lo, v10
	v_lshlrev_b32_e32 v11, 30, v55
	v_mov_b32_e32 v10, v9
	v_cmp_gt_i64_e64 s[34:35], 0, v[10:11]
	v_not_b32_e32 v10, v11
	v_ashrrev_i32_e32 v10, 31, v10
	v_and_b32_e32 v8, exec_hi, v8
	v_xor_b32_e32 v11, s35, v10
	v_xor_b32_e32 v10, s34, v10
	v_and_b32_e32 v8, v8, v11
	v_and_b32_e32 v56, v56, v10
	v_lshlrev_b32_e32 v11, 29, v55
	v_mov_b32_e32 v10, v9
	v_cmp_gt_i64_e64 s[34:35], 0, v[10:11]
	v_not_b32_e32 v10, v11
	v_ashrrev_i32_e32 v10, 31, v10
	v_xor_b32_e32 v11, s35, v10
	v_xor_b32_e32 v10, s34, v10
	v_and_b32_e32 v8, v8, v11
	v_and_b32_e32 v56, v56, v10
	v_lshlrev_b32_e32 v11, 28, v55
	v_mov_b32_e32 v10, v9
	v_cmp_gt_i64_e64 s[34:35], 0, v[10:11]
	v_not_b32_e32 v10, v11
	v_ashrrev_i32_e32 v10, 31, v10
	;; [unrolled: 9-line block ×5, first 2 shown]
	v_xor_b32_e32 v11, s35, v10
	v_xor_b32_e32 v10, s34, v10
	v_and_b32_e32 v8, v8, v11
	v_lshlrev_b32_e32 v11, 24, v55
	v_and_b32_e32 v56, v56, v10
	v_mov_b32_e32 v10, v9
	v_not_b32_e32 v9, v11
	v_cmp_gt_i64_e64 s[34:35], 0, v[10:11]
	v_ashrrev_i32_e32 v9, 31, v9
	ds_read_b32 v53, v57 offset:64
	v_xor_b32_e32 v10, s35, v9
	v_xor_b32_e32 v11, s34, v9
	v_and_b32_e32 v9, v8, v10
	v_and_b32_e32 v8, v56, v11
	v_mbcnt_lo_u32_b32 v10, v8, 0
	v_mbcnt_hi_u32_b32 v55, v9, v10
	v_cmp_eq_u32_e64 s[34:35], 0, v55
	v_cmp_ne_u64_e64 s[36:37], 0, v[8:9]
	s_and_b64 s[36:37], s[36:37], s[34:35]
	; wave barrier
	s_and_saveexec_b64 s[34:35], s[36:37]
	s_cbranch_execz .LBB788_53
; %bb.52:
	v_bcnt_u32_b32 v8, v8, 0
	v_bcnt_u32_b32 v8, v9, v8
	s_waitcnt lgkmcnt(0)
	v_add_u32_e32 v8, v53, v8
	ds_write_b32 v57, v8 offset:64
.LBB788_53:
	s_or_b64 exec, exec, s[34:35]
	v_lshrrev_b32_e32 v8, s64, v22
	v_and_b32_e32 v58, s68, v8
	v_mul_lo_u32 v8, v58, s38
	v_add_u32_e32 v60, v38, v8
	v_and_b32_e32 v8, 1, v58
	v_mov_b32_e32 v9, 0
	v_lshl_add_u64 v[10:11], v[8:9], 0, -1
	v_cmp_ne_u32_e64 s[34:35], 0, v8
	; wave barrier
	s_nop 1
	v_xor_b32_e32 v10, s34, v10
	v_xor_b32_e32 v8, s35, v11
	v_and_b32_e32 v59, exec_lo, v10
	v_lshlrev_b32_e32 v11, 30, v58
	v_mov_b32_e32 v10, v9
	v_cmp_gt_i64_e64 s[34:35], 0, v[10:11]
	v_not_b32_e32 v10, v11
	v_ashrrev_i32_e32 v10, 31, v10
	v_and_b32_e32 v8, exec_hi, v8
	v_xor_b32_e32 v11, s35, v10
	v_xor_b32_e32 v10, s34, v10
	v_and_b32_e32 v8, v8, v11
	v_and_b32_e32 v59, v59, v10
	v_lshlrev_b32_e32 v11, 29, v58
	v_mov_b32_e32 v10, v9
	v_cmp_gt_i64_e64 s[34:35], 0, v[10:11]
	v_not_b32_e32 v10, v11
	v_ashrrev_i32_e32 v10, 31, v10
	v_xor_b32_e32 v11, s35, v10
	v_xor_b32_e32 v10, s34, v10
	v_and_b32_e32 v8, v8, v11
	v_and_b32_e32 v59, v59, v10
	v_lshlrev_b32_e32 v11, 28, v58
	v_mov_b32_e32 v10, v9
	v_cmp_gt_i64_e64 s[34:35], 0, v[10:11]
	v_not_b32_e32 v10, v11
	v_ashrrev_i32_e32 v10, 31, v10
	;; [unrolled: 9-line block ×6, first 2 shown]
	v_xor_b32_e32 v11, s35, v10
	v_xor_b32_e32 v10, s34, v10
	ds_read_b32 v56, v60 offset:64
	v_and_b32_e32 v10, v59, v10
	v_and_b32_e32 v11, v8, v11
	v_mbcnt_lo_u32_b32 v8, v10, 0
	v_mbcnt_hi_u32_b32 v58, v11, v8
	v_cmp_eq_u32_e64 s[34:35], 0, v58
	v_cmp_ne_u64_e64 s[36:37], 0, v[10:11]
	s_and_b64 s[36:37], s[36:37], s[34:35]
	; wave barrier
	s_and_saveexec_b64 s[34:35], s[36:37]
	s_cbranch_execz .LBB788_55
; %bb.54:
	v_bcnt_u32_b32 v8, v10, 0
	v_bcnt_u32_b32 v8, v11, v8
	s_waitcnt lgkmcnt(0)
	v_add_u32_e32 v8, v56, v8
	ds_write_b32 v60, v8 offset:64
.LBB788_55:
	s_or_b64 exec, exec, s[34:35]
	v_lshrrev_b32_e32 v8, s64, v21
	v_and_b32_e32 v61, s68, v8
	v_mul_lo_u32 v8, v61, s38
	v_add_u32_e32 v63, v38, v8
	v_and_b32_e32 v8, 1, v61
	v_lshl_add_u64 v[10:11], v[8:9], 0, -1
	v_cmp_ne_u32_e64 s[34:35], 0, v8
	; wave barrier
	s_nop 1
	v_xor_b32_e32 v10, s34, v10
	v_xor_b32_e32 v8, s35, v11
	v_and_b32_e32 v62, exec_lo, v10
	v_lshlrev_b32_e32 v11, 30, v61
	v_mov_b32_e32 v10, v9
	v_cmp_gt_i64_e64 s[34:35], 0, v[10:11]
	v_not_b32_e32 v10, v11
	v_ashrrev_i32_e32 v10, 31, v10
	v_and_b32_e32 v8, exec_hi, v8
	v_xor_b32_e32 v11, s35, v10
	v_xor_b32_e32 v10, s34, v10
	v_and_b32_e32 v8, v8, v11
	v_and_b32_e32 v62, v62, v10
	v_lshlrev_b32_e32 v11, 29, v61
	v_mov_b32_e32 v10, v9
	v_cmp_gt_i64_e64 s[34:35], 0, v[10:11]
	v_not_b32_e32 v10, v11
	v_ashrrev_i32_e32 v10, 31, v10
	v_xor_b32_e32 v11, s35, v10
	v_xor_b32_e32 v10, s34, v10
	v_and_b32_e32 v8, v8, v11
	v_and_b32_e32 v62, v62, v10
	v_lshlrev_b32_e32 v11, 28, v61
	v_mov_b32_e32 v10, v9
	v_cmp_gt_i64_e64 s[34:35], 0, v[10:11]
	v_not_b32_e32 v10, v11
	v_ashrrev_i32_e32 v10, 31, v10
	;; [unrolled: 9-line block ×5, first 2 shown]
	v_xor_b32_e32 v11, s35, v10
	v_xor_b32_e32 v10, s34, v10
	v_and_b32_e32 v8, v8, v11
	v_lshlrev_b32_e32 v11, 24, v61
	v_and_b32_e32 v62, v62, v10
	v_mov_b32_e32 v10, v9
	v_not_b32_e32 v9, v11
	v_cmp_gt_i64_e64 s[34:35], 0, v[10:11]
	v_ashrrev_i32_e32 v9, 31, v9
	ds_read_b32 v59, v63 offset:64
	v_xor_b32_e32 v10, s35, v9
	v_xor_b32_e32 v11, s34, v9
	v_and_b32_e32 v9, v8, v10
	v_and_b32_e32 v8, v62, v11
	v_mbcnt_lo_u32_b32 v10, v8, 0
	v_mbcnt_hi_u32_b32 v61, v9, v10
	v_cmp_eq_u32_e64 s[34:35], 0, v61
	v_cmp_ne_u64_e64 s[36:37], 0, v[8:9]
	s_and_b64 s[36:37], s[36:37], s[34:35]
	; wave barrier
	s_and_saveexec_b64 s[34:35], s[36:37]
	s_cbranch_execz .LBB788_57
; %bb.56:
	v_bcnt_u32_b32 v8, v8, 0
	v_bcnt_u32_b32 v8, v9, v8
	s_waitcnt lgkmcnt(0)
	v_add_u32_e32 v8, v59, v8
	ds_write_b32 v63, v8 offset:64
.LBB788_57:
	s_or_b64 exec, exec, s[34:35]
	v_lshrrev_b32_e32 v8, s64, v24
	v_and_b32_e32 v64, s68, v8
	v_mul_lo_u32 v8, v64, s38
	v_add_u32_e32 v66, v38, v8
	v_and_b32_e32 v8, 1, v64
	v_mov_b32_e32 v9, 0
	v_lshl_add_u64 v[10:11], v[8:9], 0, -1
	v_cmp_ne_u32_e64 s[34:35], 0, v8
	; wave barrier
	s_nop 1
	v_xor_b32_e32 v10, s34, v10
	v_xor_b32_e32 v8, s35, v11
	v_and_b32_e32 v65, exec_lo, v10
	v_lshlrev_b32_e32 v11, 30, v64
	v_mov_b32_e32 v10, v9
	v_cmp_gt_i64_e64 s[34:35], 0, v[10:11]
	v_not_b32_e32 v10, v11
	v_ashrrev_i32_e32 v10, 31, v10
	v_and_b32_e32 v8, exec_hi, v8
	v_xor_b32_e32 v11, s35, v10
	v_xor_b32_e32 v10, s34, v10
	v_and_b32_e32 v8, v8, v11
	v_and_b32_e32 v65, v65, v10
	v_lshlrev_b32_e32 v11, 29, v64
	v_mov_b32_e32 v10, v9
	v_cmp_gt_i64_e64 s[34:35], 0, v[10:11]
	v_not_b32_e32 v10, v11
	v_ashrrev_i32_e32 v10, 31, v10
	v_xor_b32_e32 v11, s35, v10
	v_xor_b32_e32 v10, s34, v10
	v_and_b32_e32 v8, v8, v11
	v_and_b32_e32 v65, v65, v10
	v_lshlrev_b32_e32 v11, 28, v64
	v_mov_b32_e32 v10, v9
	v_cmp_gt_i64_e64 s[34:35], 0, v[10:11]
	v_not_b32_e32 v10, v11
	v_ashrrev_i32_e32 v10, 31, v10
	;; [unrolled: 9-line block ×6, first 2 shown]
	v_xor_b32_e32 v11, s35, v10
	v_xor_b32_e32 v10, s34, v10
	ds_read_b32 v62, v66 offset:64
	v_and_b32_e32 v10, v65, v10
	v_and_b32_e32 v11, v8, v11
	v_mbcnt_lo_u32_b32 v8, v10, 0
	v_mbcnt_hi_u32_b32 v64, v11, v8
	v_cmp_eq_u32_e64 s[34:35], 0, v64
	v_cmp_ne_u64_e64 s[36:37], 0, v[10:11]
	s_and_b64 s[36:37], s[36:37], s[34:35]
	; wave barrier
	s_and_saveexec_b64 s[34:35], s[36:37]
	s_cbranch_execz .LBB788_59
; %bb.58:
	v_bcnt_u32_b32 v8, v10, 0
	v_bcnt_u32_b32 v8, v11, v8
	s_waitcnt lgkmcnt(0)
	v_add_u32_e32 v8, v62, v8
	ds_write_b32 v66, v8 offset:64
.LBB788_59:
	s_or_b64 exec, exec, s[34:35]
	v_lshrrev_b32_e32 v8, s64, v23
	v_and_b32_e32 v67, s68, v8
	v_mul_lo_u32 v8, v67, s38
	v_add_u32_e32 v69, v38, v8
	v_and_b32_e32 v8, 1, v67
	v_lshl_add_u64 v[10:11], v[8:9], 0, -1
	v_cmp_ne_u32_e64 s[34:35], 0, v8
	; wave barrier
	s_nop 1
	v_xor_b32_e32 v10, s34, v10
	v_xor_b32_e32 v8, s35, v11
	v_and_b32_e32 v68, exec_lo, v10
	v_lshlrev_b32_e32 v11, 30, v67
	v_mov_b32_e32 v10, v9
	v_cmp_gt_i64_e64 s[34:35], 0, v[10:11]
	v_not_b32_e32 v10, v11
	v_ashrrev_i32_e32 v10, 31, v10
	v_and_b32_e32 v8, exec_hi, v8
	v_xor_b32_e32 v11, s35, v10
	v_xor_b32_e32 v10, s34, v10
	v_and_b32_e32 v8, v8, v11
	v_and_b32_e32 v68, v68, v10
	v_lshlrev_b32_e32 v11, 29, v67
	v_mov_b32_e32 v10, v9
	v_cmp_gt_i64_e64 s[34:35], 0, v[10:11]
	v_not_b32_e32 v10, v11
	v_ashrrev_i32_e32 v10, 31, v10
	v_xor_b32_e32 v11, s35, v10
	v_xor_b32_e32 v10, s34, v10
	v_and_b32_e32 v8, v8, v11
	v_and_b32_e32 v68, v68, v10
	v_lshlrev_b32_e32 v11, 28, v67
	v_mov_b32_e32 v10, v9
	v_cmp_gt_i64_e64 s[34:35], 0, v[10:11]
	v_not_b32_e32 v10, v11
	v_ashrrev_i32_e32 v10, 31, v10
	;; [unrolled: 9-line block ×5, first 2 shown]
	v_xor_b32_e32 v11, s35, v10
	v_xor_b32_e32 v10, s34, v10
	v_and_b32_e32 v8, v8, v11
	v_lshlrev_b32_e32 v11, 24, v67
	v_and_b32_e32 v68, v68, v10
	v_mov_b32_e32 v10, v9
	v_not_b32_e32 v9, v11
	v_cmp_gt_i64_e64 s[34:35], 0, v[10:11]
	v_ashrrev_i32_e32 v9, 31, v9
	ds_read_b32 v65, v69 offset:64
	v_xor_b32_e32 v10, s35, v9
	v_xor_b32_e32 v11, s34, v9
	v_and_b32_e32 v9, v8, v10
	v_and_b32_e32 v8, v68, v11
	v_mbcnt_lo_u32_b32 v10, v8, 0
	v_mbcnt_hi_u32_b32 v67, v9, v10
	v_cmp_eq_u32_e64 s[34:35], 0, v67
	v_cmp_ne_u64_e64 s[36:37], 0, v[8:9]
	s_and_b64 s[36:37], s[36:37], s[34:35]
	; wave barrier
	s_and_saveexec_b64 s[34:35], s[36:37]
	s_cbranch_execz .LBB788_61
; %bb.60:
	v_bcnt_u32_b32 v8, v8, 0
	v_bcnt_u32_b32 v8, v9, v8
	s_waitcnt lgkmcnt(0)
	v_add_u32_e32 v8, v65, v8
	ds_write_b32 v69, v8 offset:64
.LBB788_61:
	s_or_b64 exec, exec, s[34:35]
	v_lshrrev_b32_e32 v8, s64, v26
	v_and_b32_e32 v70, s68, v8
	v_mul_lo_u32 v8, v70, s38
	v_add_u32_e32 v72, v38, v8
	v_and_b32_e32 v8, 1, v70
	v_mov_b32_e32 v9, 0
	v_lshl_add_u64 v[10:11], v[8:9], 0, -1
	v_cmp_ne_u32_e64 s[34:35], 0, v8
	; wave barrier
	s_nop 1
	v_xor_b32_e32 v10, s34, v10
	v_xor_b32_e32 v8, s35, v11
	v_and_b32_e32 v71, exec_lo, v10
	v_lshlrev_b32_e32 v11, 30, v70
	v_mov_b32_e32 v10, v9
	v_cmp_gt_i64_e64 s[34:35], 0, v[10:11]
	v_not_b32_e32 v10, v11
	v_ashrrev_i32_e32 v10, 31, v10
	v_and_b32_e32 v8, exec_hi, v8
	v_xor_b32_e32 v11, s35, v10
	v_xor_b32_e32 v10, s34, v10
	v_and_b32_e32 v8, v8, v11
	v_and_b32_e32 v71, v71, v10
	v_lshlrev_b32_e32 v11, 29, v70
	v_mov_b32_e32 v10, v9
	v_cmp_gt_i64_e64 s[34:35], 0, v[10:11]
	v_not_b32_e32 v10, v11
	v_ashrrev_i32_e32 v10, 31, v10
	v_xor_b32_e32 v11, s35, v10
	v_xor_b32_e32 v10, s34, v10
	v_and_b32_e32 v8, v8, v11
	v_and_b32_e32 v71, v71, v10
	v_lshlrev_b32_e32 v11, 28, v70
	v_mov_b32_e32 v10, v9
	v_cmp_gt_i64_e64 s[34:35], 0, v[10:11]
	v_not_b32_e32 v10, v11
	v_ashrrev_i32_e32 v10, 31, v10
	;; [unrolled: 9-line block ×6, first 2 shown]
	v_xor_b32_e32 v11, s35, v10
	v_xor_b32_e32 v10, s34, v10
	ds_read_b32 v68, v72 offset:64
	v_and_b32_e32 v10, v71, v10
	v_and_b32_e32 v11, v8, v11
	v_mbcnt_lo_u32_b32 v8, v10, 0
	v_mbcnt_hi_u32_b32 v70, v11, v8
	v_cmp_eq_u32_e64 s[34:35], 0, v70
	v_cmp_ne_u64_e64 s[36:37], 0, v[10:11]
	s_and_b64 s[36:37], s[36:37], s[34:35]
	; wave barrier
	s_and_saveexec_b64 s[34:35], s[36:37]
	s_cbranch_execz .LBB788_63
; %bb.62:
	v_bcnt_u32_b32 v8, v10, 0
	v_bcnt_u32_b32 v8, v11, v8
	s_waitcnt lgkmcnt(0)
	v_add_u32_e32 v8, v68, v8
	ds_write_b32 v72, v8 offset:64
.LBB788_63:
	s_or_b64 exec, exec, s[34:35]
	v_lshrrev_b32_e32 v8, s64, v25
	v_and_b32_e32 v73, s68, v8
	v_mul_lo_u32 v8, v73, s38
	v_add_u32_e32 v74, v38, v8
	v_and_b32_e32 v8, 1, v73
	v_lshl_add_u64 v[10:11], v[8:9], 0, -1
	v_cmp_ne_u32_e64 s[34:35], 0, v8
	; wave barrier
	s_nop 1
	v_xor_b32_e32 v10, s34, v10
	v_xor_b32_e32 v8, s35, v11
	v_and_b32_e32 v38, exec_lo, v10
	v_lshlrev_b32_e32 v11, 30, v73
	v_mov_b32_e32 v10, v9
	v_cmp_gt_i64_e64 s[34:35], 0, v[10:11]
	v_not_b32_e32 v10, v11
	v_ashrrev_i32_e32 v10, 31, v10
	v_and_b32_e32 v8, exec_hi, v8
	v_xor_b32_e32 v11, s35, v10
	v_xor_b32_e32 v10, s34, v10
	v_and_b32_e32 v8, v8, v11
	v_and_b32_e32 v38, v38, v10
	v_lshlrev_b32_e32 v11, 29, v73
	v_mov_b32_e32 v10, v9
	v_cmp_gt_i64_e64 s[34:35], 0, v[10:11]
	v_not_b32_e32 v10, v11
	v_ashrrev_i32_e32 v10, 31, v10
	v_xor_b32_e32 v11, s35, v10
	v_xor_b32_e32 v10, s34, v10
	v_and_b32_e32 v8, v8, v11
	v_and_b32_e32 v38, v38, v10
	v_lshlrev_b32_e32 v11, 28, v73
	v_mov_b32_e32 v10, v9
	v_cmp_gt_i64_e64 s[34:35], 0, v[10:11]
	v_not_b32_e32 v10, v11
	v_ashrrev_i32_e32 v10, 31, v10
	;; [unrolled: 9-line block ×5, first 2 shown]
	v_xor_b32_e32 v11, s35, v10
	v_xor_b32_e32 v10, s34, v10
	v_and_b32_e32 v8, v8, v11
	v_lshlrev_b32_e32 v11, 24, v73
	v_and_b32_e32 v38, v38, v10
	v_mov_b32_e32 v10, v9
	v_not_b32_e32 v9, v11
	v_cmp_gt_i64_e64 s[34:35], 0, v[10:11]
	v_ashrrev_i32_e32 v9, 31, v9
	ds_read_b32 v71, v74 offset:64
	v_xor_b32_e32 v10, s35, v9
	v_xor_b32_e32 v11, s34, v9
	v_and_b32_e32 v9, v8, v10
	v_and_b32_e32 v8, v38, v11
	v_mbcnt_lo_u32_b32 v10, v8, 0
	v_mbcnt_hi_u32_b32 v73, v9, v10
	v_cmp_eq_u32_e64 s[34:35], 0, v73
	v_cmp_ne_u64_e64 s[36:37], 0, v[8:9]
	s_and_b64 s[36:37], s[36:37], s[34:35]
	; wave barrier
	s_and_saveexec_b64 s[34:35], s[36:37]
	s_cbranch_execz .LBB788_65
; %bb.64:
	v_bcnt_u32_b32 v8, v8, 0
	v_bcnt_u32_b32 v8, v9, v8
	s_waitcnt lgkmcnt(0)
	v_add_u32_e32 v8, v71, v8
	ds_write_b32 v74, v8 offset:64
.LBB788_65:
	s_or_b64 exec, exec, s[34:35]
	; wave barrier
	s_waitcnt lgkmcnt(0)
	s_barrier
	ds_read2_b32 v[10:11], v13 offset0:16 offset1:17
	ds_read2_b32 v[8:9], v13 offset0:18 offset1:19
	ds_read_b32 v38, v13 offset:80
	v_cmp_lt_u32_e64 s[44:45], 31, v12
	s_waitcnt lgkmcnt(1)
	v_add3_u32 v75, v11, v10, v8
	s_waitcnt lgkmcnt(0)
	v_add3_u32 v38, v75, v9, v38
	v_and_b32_e32 v75, 15, v12
	v_cmp_eq_u32_e64 s[34:35], 0, v75
	v_mov_b32_dpp v76, v38 row_shr:1 row_mask:0xf bank_mask:0xf
	v_cmp_lt_u32_e64 s[36:37], 1, v75
	v_cndmask_b32_e64 v76, v76, 0, s[34:35]
	v_add_u32_e32 v38, v76, v38
	v_cmp_lt_u32_e64 s[38:39], 3, v75
	v_cmp_lt_u32_e64 s[40:41], 7, v75
	v_mov_b32_dpp v76, v38 row_shr:2 row_mask:0xf bank_mask:0xf
	v_cndmask_b32_e64 v76, 0, v76, s[36:37]
	v_add_u32_e32 v38, v38, v76
	s_nop 1
	v_mov_b32_dpp v76, v38 row_shr:4 row_mask:0xf bank_mask:0xf
	v_cndmask_b32_e64 v76, 0, v76, s[38:39]
	v_add_u32_e32 v38, v38, v76
	s_nop 1
	v_mov_b32_dpp v76, v38 row_shr:8 row_mask:0xf bank_mask:0xf
	v_cndmask_b32_e64 v75, 0, v76, s[40:41]
	v_add_u32_e32 v38, v38, v75
	v_bfe_i32 v76, v12, 4, 1
	s_nop 0
	v_mov_b32_dpp v75, v38 row_bcast:15 row_mask:0xf bank_mask:0xf
	v_and_b32_e32 v75, v76, v75
	v_add_u32_e32 v38, v38, v75
	v_lshrrev_b32_e32 v76, 6, v2
	s_nop 0
	v_mov_b32_dpp v75, v38 row_bcast:31 row_mask:0xf bank_mask:0xf
	v_cndmask_b32_e64 v75, 0, v75, s[44:45]
	v_add_u32_e32 v75, v38, v75
	v_and_b32_e32 v38, 63, v2
	v_cmp_eq_u32_e64 s[44:45], 63, v38
	s_and_saveexec_b64 s[46:47], s[44:45]
; %bb.66:
	v_lshlrev_b32_e32 v38, 2, v76
	ds_write_b32 v38, v75
; %bb.67:
	s_or_b64 exec, exec, s[46:47]
	v_cmp_gt_u32_e64 s[44:45], 16, v2
	v_lshlrev_b32_e32 v38, 2, v2
	s_waitcnt lgkmcnt(0)
	s_barrier
	s_and_saveexec_b64 s[46:47], s[44:45]
	s_cbranch_execz .LBB788_69
; %bb.68:
	ds_read_b32 v77, v38
	s_waitcnt lgkmcnt(0)
	s_nop 0
	v_mov_b32_dpp v78, v77 row_shr:1 row_mask:0xf bank_mask:0xf
	v_cndmask_b32_e64 v78, v78, 0, s[34:35]
	v_add_u32_e32 v77, v78, v77
	s_nop 1
	v_mov_b32_dpp v78, v77 row_shr:2 row_mask:0xf bank_mask:0xf
	v_cndmask_b32_e64 v78, 0, v78, s[36:37]
	v_add_u32_e32 v77, v77, v78
	;; [unrolled: 4-line block ×4, first 2 shown]
	ds_write_b32 v38, v77
.LBB788_69:
	s_or_b64 exec, exec, s[46:47]
	v_cmp_lt_u32_e64 s[34:35], 63, v2
	v_mov_b32_e32 v77, 0
	s_waitcnt lgkmcnt(0)
	s_barrier
	s_and_saveexec_b64 s[36:37], s[34:35]
; %bb.70:
	v_lshl_add_u32 v76, v76, 2, -4
	ds_read_b32 v77, v76
; %bb.71:
	s_or_b64 exec, exec, s[36:37]
	v_subrev_co_u32_e64 v76, s[34:35], 1, v12
	v_and_b32_e32 v78, 64, v12
	v_cmp_lt_i32_e64 s[36:37], v76, v78
	s_waitcnt lgkmcnt(0)
	v_add_u32_e32 v75, v77, v75
	s_movk_i32 s38, 0x100
	v_cndmask_b32_e64 v12, v76, v12, s[36:37]
	v_lshlrev_b32_e32 v12, 2, v12
	ds_bpermute_b32 v12, v12, v75
	v_cmp_gt_u32_e64 s[36:37], s38, v2
	s_waitcnt lgkmcnt(0)
	v_cndmask_b32_e64 v12, v12, v77, s[34:35]
	v_cmp_ne_u32_e64 s[34:35], 0, v2
	s_nop 1
	v_cndmask_b32_e64 v12, 0, v12, s[34:35]
	v_add_u32_e32 v10, v12, v10
	v_add_u32_e32 v11, v10, v11
	;; [unrolled: 1-line block ×4, first 2 shown]
	ds_write2_b32 v13, v12, v10 offset0:16 offset1:17
	ds_write2_b32 v13, v11, v8 offset0:18 offset1:19
	ds_write_b32 v13, v9 offset:80
	s_waitcnt lgkmcnt(0)
	s_barrier
	ds_read_b32 v75, v33 offset:64
	ds_read_b32 v76, v36 offset:64
	ds_read_b32 v77, v40 offset:64
	ds_read_b32 v78, v43 offset:64
	ds_read_b32 v79, v45 offset:64
	ds_read_b32 v80, v48 offset:64
	ds_read_b32 v81, v51 offset:64
	ds_read_b32 v82, v54 offset:64
	ds_read_b32 v48, v31 offset:64
	ds_read_b32 v83, v57 offset:64
	ds_read_b32 v57, v60 offset:64
	ds_read_b32 v51, v63 offset:64
	ds_read_b32 v45, v66 offset:64
	ds_read_b32 v40, v69 offset:64
	ds_read_b32 v36, v72 offset:64
	ds_read_b32 v43, v74 offset:64
	s_movk_i32 s34, 0xff
	v_cmp_lt_u32_e64 s[34:35], s34, v2
                                        ; implicit-def: $vgpr31
                                        ; implicit-def: $vgpr33
	s_and_saveexec_b64 s[40:41], s[36:37]
	s_cbranch_execz .LBB788_75
; %bb.72:
	v_mul_u32_u24_e32 v8, 0x44, v2
	ds_read_b32 v31, v8 offset:64
	v_add_u32_e32 v9, 1, v2
	v_cmp_ne_u32_e64 s[38:39], s38, v9
	v_mov_b32_e32 v8, 0x4000
	s_and_saveexec_b64 s[44:45], s[38:39]
; %bb.73:
	v_mul_u32_u24_e32 v8, 0x44, v9
	ds_read_b32 v8, v8 offset:64
; %bb.74:
	s_or_b64 exec, exec, s[44:45]
	s_waitcnt lgkmcnt(0)
	v_sub_u32_e32 v33, v8, v31
.LBB788_75:
	s_or_b64 exec, exec, s[40:41]
	v_mov_b32_e32 v9, 0
	s_waitcnt lgkmcnt(0)
	s_barrier
	s_and_saveexec_b64 s[38:39], s[36:37]
	s_cbranch_execz .LBB788_85
; %bb.76:
	v_lshl_add_u32 v8, s2, 8, v2
	v_lshl_add_u64 v[10:11], v[8:9], 2, s[50:51]
	v_or_b32_e32 v8, 2.0, v33
	s_mov_b64 s[40:41], 0
	s_brev_b32 s48, -4
	s_mov_b32 s49, s2
	v_mov_b32_e32 v54, 0
	global_store_dword v[10:11], v8, off sc1
                                        ; implicit-def: $sgpr36_sgpr37
	s_branch .LBB788_79
.LBB788_77:                             ;   in Loop: Header=BB788_79 Depth=1
	s_or_b64 exec, exec, s[46:47]
.LBB788_78:                             ;   in Loop: Header=BB788_79 Depth=1
	s_or_b64 exec, exec, s[44:45]
	v_and_b32_e32 v12, 0x3fffffff, v8
	v_add_u32_e32 v54, v12, v54
	v_cmp_gt_i32_e64 s[36:37], -2.0, v8
	s_and_b64 s[44:45], exec, s[36:37]
	s_or_b64 s[40:41], s[44:45], s[40:41]
	s_andn2_b64 exec, exec, s[40:41]
	s_cbranch_execz .LBB788_84
.LBB788_79:                             ; =>This Loop Header: Depth=1
                                        ;     Child Loop BB788_82 Depth 2
	s_or_b64 s[36:37], s[36:37], exec
	s_cmp_eq_u32 s49, 0
	s_cbranch_scc1 .LBB788_83
; %bb.80:                               ;   in Loop: Header=BB788_79 Depth=1
	s_add_i32 s49, s49, -1
	v_lshl_or_b32 v8, s49, 8, v2
	v_lshl_add_u64 v[12:13], v[8:9], 2, s[50:51]
	global_load_dword v8, v[12:13], off sc1
	s_waitcnt vmcnt(0)
	v_cmp_gt_u32_e64 s[36:37], 2.0, v8
	s_and_saveexec_b64 s[44:45], s[36:37]
	s_cbranch_execz .LBB788_78
; %bb.81:                               ;   in Loop: Header=BB788_79 Depth=1
	s_mov_b64 s[46:47], 0
.LBB788_82:                             ;   Parent Loop BB788_79 Depth=1
                                        ; =>  This Inner Loop Header: Depth=2
	global_load_dword v8, v[12:13], off sc1
	s_waitcnt vmcnt(0)
	v_cmp_lt_u32_e64 s[36:37], s48, v8
	s_or_b64 s[46:47], s[36:37], s[46:47]
	s_andn2_b64 exec, exec, s[46:47]
	s_cbranch_execnz .LBB788_82
	s_branch .LBB788_77
.LBB788_83:                             ;   in Loop: Header=BB788_79 Depth=1
                                        ; implicit-def: $sgpr49
	s_and_b64 s[44:45], exec, s[36:37]
	s_or_b64 s[40:41], s[44:45], s[40:41]
	s_andn2_b64 exec, exec, s[40:41]
	s_cbranch_execnz .LBB788_79
.LBB788_84:
	s_or_b64 exec, exec, s[40:41]
	v_add_u32_e32 v8, v54, v33
	v_or_b32_e32 v8, 0x80000000, v8
	global_store_dword v[10:11], v8, off sc1
	global_load_dword v8, v38, s[60:61]
	v_sub_u32_e32 v9, v54, v31
	s_waitcnt vmcnt(0)
	v_add_u32_e32 v8, v9, v8
	ds_write_b32 v38, v8
.LBB788_85:
	s_or_b64 exec, exec, s[38:39]
	v_add_u32_e32 v10, v48, v28
	v_add3_u32 v8, v29, v27, v75
	v_add3_u32 v9, v32, v30, v76
	;; [unrolled: 1-line block ×15, first 2 shown]
	v_mov_b32_e32 v87, 0x400
	s_movk_i32 s40, 0x400
	v_lshl_add_u32 v11, v11, 2, v87
	v_add3_u32 v12, v73, v43, v71
	v_lshl_add_u32 v13, v13, 2, v87
	v_add3_u32 v28, v70, v36, v68
	;; [unrolled: 2-line block ×15, first 2 shown]
	v_lshl_add_u32 v29, v10, 2, v87
	s_mov_b32 s41, 0
	s_mov_b32 s44, 0
	s_movk_i32 s45, 0x1000
	v_mov_b32_e32 v9, 0
	s_movk_i32 s46, 0x800
	s_movk_i32 s47, 0xc00
	v_mov_b32_e32 v58, v2
	s_mov_b32 s48, 0
	s_branch .LBB788_87
.LBB788_86:                             ;   in Loop: Header=BB788_87 Depth=1
	s_or_b64 exec, exec, s[38:39]
	s_addk_i32 s48, 0xc000
	s_add_i32 s41, s41, 16
	s_addk_i32 s44, 0xf000
	s_cmp_eq_u32 s48, 0xffff0000
	v_add_u32_e32 v58, 0x1000, v58
	s_barrier
	s_cbranch_scc1 .LBB788_127
.LBB788_87:                             ; =>This Inner Loop Header: Depth=1
	v_add_u32_e32 v8, s44, v10
	v_cmp_gt_u32_e64 s[36:37], s45, v8
	s_and_saveexec_b64 s[38:39], s[36:37]
; %bb.88:                               ;   in Loop: Header=BB788_87 Depth=1
	v_add_u32_e32 v8, s48, v29
	ds_write_b32 v8, v5
; %bb.89:                               ;   in Loop: Header=BB788_87 Depth=1
	s_or_b64 exec, exec, s[38:39]
	v_add_u32_e32 v8, s44, v27
	v_cmp_gt_u32_e64 s[36:37], s45, v8
	s_and_saveexec_b64 s[38:39], s[36:37]
; %bb.90:                               ;   in Loop: Header=BB788_87 Depth=1
	v_add_u32_e32 v8, s48, v32
	ds_write_b32 v8, v3
; %bb.91:                               ;   in Loop: Header=BB788_87 Depth=1
	s_or_b64 exec, exec, s[38:39]
	;; [unrolled: 8-line block ×6, first 2 shown]
	v_add_u32_e32 v8, s44, v44
	v_cmp_gt_u32_e64 s[36:37], s45, v8
	s_and_saveexec_b64 s[38:39], s[36:37]
; %bb.100:                              ;   in Loop: Header=BB788_87 Depth=1
	v_add_u32_e32 v8, s48, v49
	ds_write_b32 v8, v18
; %bb.101:                              ;   in Loop: Header=BB788_87 Depth=1
	s_or_b64 exec, exec, s[38:39]
	v_add_u32_e32 v8, s44, v47
	v_cmp_gt_u32_e64 s[36:37], s45, v8
	s_and_saveexec_b64 s[38:39], s[36:37]
; %bb.102:                              ;   in Loop: Header=BB788_87 Depth=1
	v_add_u32_e32 v8, s48, v52
	ds_write_b32 v8, v17
; %bb.103:                              ;   in Loop: Header=BB788_87 Depth=1
	s_or_b64 exec, exec, s[38:39]
	;; [unrolled: 8-line block ×10, first 2 shown]
	v_cmp_gt_u32_e64 s[36:37], s3, v58
	s_waitcnt lgkmcnt(0)
	s_barrier
	s_and_saveexec_b64 s[38:39], s[36:37]
	s_cbranch_execz .LBB788_121
; %bb.120:                              ;   in Loop: Header=BB788_87 Depth=1
	ds_read_b32 v59, v38 offset:1024
	s_waitcnt lgkmcnt(0)
	v_lshrrev_b32_e32 v8, s64, v59
	v_and_b32_e32 v62, s68, v8
	v_lshlrev_b32_e32 v8, 2, v62
	ds_read_b32 v8, v8
	s_waitcnt lgkmcnt(0)
	v_add_u32_e32 v8, v58, v8
	v_lshl_add_u64 v[60:61], v[8:9], 2, s[54:55]
	global_store_dword v[60:61], v59, off
	scratch_store_dword off, v62, s41
.LBB788_121:                            ;   in Loop: Header=BB788_87 Depth=1
	s_or_b64 exec, exec, s[38:39]
	v_add_u32_e32 v8, 0x400, v58
	v_cmp_gt_u32_e64 s[36:37], s3, v8
	s_and_saveexec_b64 s[38:39], s[36:37]
	s_cbranch_execz .LBB788_123
; %bb.122:                              ;   in Loop: Header=BB788_87 Depth=1
	ds_read_b32 v59, v38 offset:5120
	s_add_i32 s36, s41, 4
	s_waitcnt lgkmcnt(0)
	v_lshrrev_b32_e32 v8, s64, v59
	v_and_b32_e32 v62, s68, v8
	v_lshlrev_b32_e32 v8, 2, v62
	ds_read_b32 v8, v8
	s_waitcnt lgkmcnt(0)
	v_add3_u32 v8, v58, v8, s40
	v_lshl_add_u64 v[60:61], v[8:9], 2, s[54:55]
	global_store_dword v[60:61], v59, off
	scratch_store_dword off, v62, s36
.LBB788_123:                            ;   in Loop: Header=BB788_87 Depth=1
	s_or_b64 exec, exec, s[38:39]
	v_add_u32_e32 v8, 0x800, v58
	v_cmp_gt_u32_e64 s[36:37], s3, v8
	s_and_saveexec_b64 s[38:39], s[36:37]
	s_cbranch_execz .LBB788_125
; %bb.124:                              ;   in Loop: Header=BB788_87 Depth=1
	ds_read_b32 v59, v38 offset:9216
	s_add_i32 s36, s41, 8
	s_waitcnt lgkmcnt(0)
	v_lshrrev_b32_e32 v8, s64, v59
	v_and_b32_e32 v62, s68, v8
	v_lshlrev_b32_e32 v8, 2, v62
	ds_read_b32 v8, v8
	s_waitcnt lgkmcnt(0)
	v_add3_u32 v8, v58, v8, s46
	v_lshl_add_u64 v[60:61], v[8:9], 2, s[54:55]
	global_store_dword v[60:61], v59, off
	scratch_store_dword off, v62, s36
.LBB788_125:                            ;   in Loop: Header=BB788_87 Depth=1
	s_or_b64 exec, exec, s[38:39]
	v_add_u32_e32 v8, 0xc00, v58
	v_cmp_gt_u32_e64 s[36:37], s3, v8
	s_and_saveexec_b64 s[38:39], s[36:37]
	s_cbranch_execz .LBB788_86
; %bb.126:                              ;   in Loop: Header=BB788_87 Depth=1
	ds_read_b32 v59, v38 offset:13312
	s_add_i32 s36, s41, 12
	s_waitcnt lgkmcnt(0)
	v_lshrrev_b32_e32 v8, s64, v59
	v_and_b32_e32 v62, s68, v8
	v_lshlrev_b32_e32 v8, 2, v62
	ds_read_b32 v8, v8
	s_waitcnt lgkmcnt(0)
	v_add3_u32 v8, v58, v8, s47
	v_lshl_add_u64 v[60:61], v[8:9], 2, s[54:55]
	global_store_dword v[60:61], v59, off
	scratch_store_dword off, v62, s36
	s_branch .LBB788_86
.LBB788_127:
	s_add_u32 s36, s56, s66
	s_addc_u32 s37, s57, s67
	v_mov_b32_e32 v5, 0
	v_lshl_add_u64 v[8:9], s[36:37], 0, v[4:5]
	v_mov_b32_e32 v7, v5
	v_lshl_add_u64 v[4:5], v[8:9], 0, v[6:7]
                                        ; implicit-def: $vgpr3
	s_and_saveexec_b64 s[36:37], vcc
	s_cbranch_execz .LBB788_143
; %bb.128:
	global_load_dword v3, v[4:5], off
	s_or_b64 exec, exec, s[36:37]
                                        ; implicit-def: $vgpr6
	s_and_saveexec_b64 s[36:37], s[42:43]
	s_cbranch_execnz .LBB788_144
.LBB788_129:
	s_or_b64 exec, exec, s[36:37]
                                        ; implicit-def: $vgpr7
	s_and_saveexec_b64 s[36:37], s[4:5]
	s_cbranch_execz .LBB788_145
.LBB788_130:
	global_load_dword v7, v[4:5], off offset:512
	s_or_b64 exec, exec, s[36:37]
                                        ; implicit-def: $vgpr8
	s_and_saveexec_b64 s[4:5], s[6:7]
	s_cbranch_execnz .LBB788_146
.LBB788_131:
	s_or_b64 exec, exec, s[4:5]
                                        ; implicit-def: $vgpr9
	s_and_saveexec_b64 s[4:5], s[8:9]
	s_cbranch_execz .LBB788_147
.LBB788_132:
	global_load_dword v9, v[4:5], off offset:1024
	s_or_b64 exec, exec, s[4:5]
                                        ; implicit-def: $vgpr14
	s_and_saveexec_b64 s[4:5], s[10:11]
	s_cbranch_execnz .LBB788_148
.LBB788_133:
	s_or_b64 exec, exec, s[4:5]
                                        ; implicit-def: $vgpr15
	s_and_saveexec_b64 s[4:5], s[12:13]
	s_cbranch_execz .LBB788_149
.LBB788_134:
	global_load_dword v15, v[4:5], off offset:1536
	s_or_b64 exec, exec, s[4:5]
                                        ; implicit-def: $vgpr16
	s_and_saveexec_b64 s[4:5], s[14:15]
	s_cbranch_execnz .LBB788_150
.LBB788_135:
	s_or_b64 exec, exec, s[4:5]
                                        ; implicit-def: $vgpr17
	s_and_saveexec_b64 s[4:5], s[16:17]
	s_cbranch_execz .LBB788_151
.LBB788_136:
	global_load_dword v17, v[4:5], off offset:2048
	s_or_b64 exec, exec, s[4:5]
                                        ; implicit-def: $vgpr18
	s_and_saveexec_b64 s[4:5], s[18:19]
	s_cbranch_execnz .LBB788_152
.LBB788_137:
	s_or_b64 exec, exec, s[4:5]
                                        ; implicit-def: $vgpr19
	s_and_saveexec_b64 s[4:5], s[20:21]
	s_cbranch_execz .LBB788_153
.LBB788_138:
	global_load_dword v19, v[4:5], off offset:2560
	s_or_b64 exec, exec, s[4:5]
                                        ; implicit-def: $vgpr20
	s_and_saveexec_b64 s[4:5], s[22:23]
	s_cbranch_execnz .LBB788_154
.LBB788_139:
	s_or_b64 exec, exec, s[4:5]
                                        ; implicit-def: $vgpr21
	s_and_saveexec_b64 s[4:5], s[24:25]
	s_cbranch_execz .LBB788_155
.LBB788_140:
	global_load_dword v21, v[4:5], off offset:3072
	s_or_b64 exec, exec, s[4:5]
                                        ; implicit-def: $vgpr22
	s_and_saveexec_b64 s[4:5], s[26:27]
	s_cbranch_execnz .LBB788_156
.LBB788_141:
	s_or_b64 exec, exec, s[4:5]
                                        ; implicit-def: $vgpr23
	s_and_saveexec_b64 s[4:5], s[28:29]
	s_cbranch_execz .LBB788_157
.LBB788_142:
	global_load_dword v23, v[4:5], off offset:3584
	s_or_b64 exec, exec, s[4:5]
                                        ; implicit-def: $vgpr24
	s_and_saveexec_b64 s[4:5], s[30:31]
	s_cbranch_execnz .LBB788_158
	s_branch .LBB788_159
.LBB788_143:
	s_or_b64 exec, exec, s[36:37]
                                        ; implicit-def: $vgpr6
	s_and_saveexec_b64 s[36:37], s[42:43]
	s_cbranch_execz .LBB788_129
.LBB788_144:
	global_load_dword v6, v[4:5], off offset:256
	s_or_b64 exec, exec, s[36:37]
                                        ; implicit-def: $vgpr7
	s_and_saveexec_b64 s[36:37], s[4:5]
	s_cbranch_execnz .LBB788_130
.LBB788_145:
	s_or_b64 exec, exec, s[36:37]
                                        ; implicit-def: $vgpr8
	s_and_saveexec_b64 s[4:5], s[6:7]
	s_cbranch_execz .LBB788_131
.LBB788_146:
	global_load_dword v8, v[4:5], off offset:768
	s_or_b64 exec, exec, s[4:5]
                                        ; implicit-def: $vgpr9
	s_and_saveexec_b64 s[4:5], s[8:9]
	s_cbranch_execnz .LBB788_132
.LBB788_147:
	s_or_b64 exec, exec, s[4:5]
                                        ; implicit-def: $vgpr14
	s_and_saveexec_b64 s[4:5], s[10:11]
	s_cbranch_execz .LBB788_133
.LBB788_148:
	global_load_dword v14, v[4:5], off offset:1280
	s_or_b64 exec, exec, s[4:5]
                                        ; implicit-def: $vgpr15
	s_and_saveexec_b64 s[4:5], s[12:13]
	s_cbranch_execnz .LBB788_134
.LBB788_149:
	s_or_b64 exec, exec, s[4:5]
                                        ; implicit-def: $vgpr16
	s_and_saveexec_b64 s[4:5], s[14:15]
	s_cbranch_execz .LBB788_135
.LBB788_150:
	global_load_dword v16, v[4:5], off offset:1792
	s_or_b64 exec, exec, s[4:5]
                                        ; implicit-def: $vgpr17
	s_and_saveexec_b64 s[4:5], s[16:17]
	s_cbranch_execnz .LBB788_136
.LBB788_151:
	s_or_b64 exec, exec, s[4:5]
                                        ; implicit-def: $vgpr18
	s_and_saveexec_b64 s[4:5], s[18:19]
	s_cbranch_execz .LBB788_137
.LBB788_152:
	global_load_dword v18, v[4:5], off offset:2304
	s_or_b64 exec, exec, s[4:5]
                                        ; implicit-def: $vgpr19
	s_and_saveexec_b64 s[4:5], s[20:21]
	s_cbranch_execnz .LBB788_138
.LBB788_153:
	s_or_b64 exec, exec, s[4:5]
                                        ; implicit-def: $vgpr20
	s_and_saveexec_b64 s[4:5], s[22:23]
	s_cbranch_execz .LBB788_139
.LBB788_154:
	global_load_dword v20, v[4:5], off offset:2816
	s_or_b64 exec, exec, s[4:5]
                                        ; implicit-def: $vgpr21
	s_and_saveexec_b64 s[4:5], s[24:25]
	s_cbranch_execnz .LBB788_140
.LBB788_155:
	s_or_b64 exec, exec, s[4:5]
                                        ; implicit-def: $vgpr22
	s_and_saveexec_b64 s[4:5], s[26:27]
	s_cbranch_execz .LBB788_141
.LBB788_156:
	global_load_dword v22, v[4:5], off offset:3328
	s_or_b64 exec, exec, s[4:5]
                                        ; implicit-def: $vgpr23
	s_and_saveexec_b64 s[4:5], s[28:29]
	s_cbranch_execnz .LBB788_142
.LBB788_157:
	s_or_b64 exec, exec, s[4:5]
                                        ; implicit-def: $vgpr24
	s_and_saveexec_b64 s[4:5], s[30:31]
	s_cbranch_execz .LBB788_159
.LBB788_158:
	global_load_dword v24, v[4:5], off offset:3840
.LBB788_159:
	s_or_b64 exec, exec, s[4:5]
	s_mov_b32 s6, 0
	s_mov_b32 s7, 0
	s_movk_i32 s8, 0x1000
	v_mov_b32_e32 v5, 0
	s_movk_i32 s9, 0x400
	s_movk_i32 s10, 0x800
	;; [unrolled: 1-line block ×3, first 2 shown]
	s_mov_b32 s12, 0
	s_branch .LBB788_161
.LBB788_160:                            ;   in Loop: Header=BB788_161 Depth=1
	s_or_b64 exec, exec, s[4:5]
	s_addk_i32 s12, 0xc000
	s_addk_i32 s7, 0xf000
	s_add_i32 s6, s6, 16
	s_cmp_eq_u32 s12, 0xffff0000
	v_add_u32_e32 v2, 0x1000, v2
	s_barrier
	s_cbranch_scc1 .LBB788_201
.LBB788_161:                            ; =>This Inner Loop Header: Depth=1
	v_add_u32_e32 v4, s7, v10
	v_cmp_gt_u32_e32 vcc, s8, v4
	s_and_saveexec_b64 s[4:5], vcc
	s_cbranch_execz .LBB788_163
; %bb.162:                              ;   in Loop: Header=BB788_161 Depth=1
	v_add_u32_e32 v4, s12, v29
	s_waitcnt vmcnt(0)
	ds_write_b32 v4, v3
.LBB788_163:                            ;   in Loop: Header=BB788_161 Depth=1
	s_or_b64 exec, exec, s[4:5]
	v_add_u32_e32 v4, s7, v27
	v_cmp_gt_u32_e32 vcc, s8, v4
	s_and_saveexec_b64 s[4:5], vcc
	s_cbranch_execz .LBB788_165
; %bb.164:                              ;   in Loop: Header=BB788_161 Depth=1
	v_add_u32_e32 v4, s12, v32
	s_waitcnt vmcnt(0)
	ds_write_b32 v4, v6
.LBB788_165:                            ;   in Loop: Header=BB788_161 Depth=1
	s_or_b64 exec, exec, s[4:5]
	;; [unrolled: 10-line block ×16, first 2 shown]
	v_cmp_gt_u32_e32 vcc, s3, v2
	s_waitcnt lgkmcnt(0)
	s_barrier
	s_and_saveexec_b64 s[4:5], vcc
	s_cbranch_execz .LBB788_195
; %bb.194:                              ;   in Loop: Header=BB788_161 Depth=1
	scratch_load_dword v4, off, s6
	s_waitcnt vmcnt(0)
	v_lshlrev_b32_e32 v4, 2, v4
	ds_read_b32 v4, v4
	ds_read_b32 v25, v38 offset:1024
	s_waitcnt lgkmcnt(1)
	v_add_u32_e32 v4, v2, v4
	v_lshl_add_u64 v[58:59], v[4:5], 2, s[58:59]
	s_waitcnt lgkmcnt(0)
	global_store_dword v[58:59], v25, off
.LBB788_195:                            ;   in Loop: Header=BB788_161 Depth=1
	s_or_b64 exec, exec, s[4:5]
	v_add_u32_e32 v4, 0x400, v2
	v_cmp_gt_u32_e32 vcc, s3, v4
	s_and_saveexec_b64 s[4:5], vcc
	s_cbranch_execz .LBB788_197
; %bb.196:                              ;   in Loop: Header=BB788_161 Depth=1
	s_add_i32 s13, s6, 4
	scratch_load_dword v4, off, s13
	s_waitcnt vmcnt(0)
	v_lshlrev_b32_e32 v4, 2, v4
	ds_read_b32 v4, v4
	ds_read_b32 v25, v38 offset:5120
	s_waitcnt lgkmcnt(1)
	v_add3_u32 v4, v2, v4, s9
	v_lshl_add_u64 v[58:59], v[4:5], 2, s[58:59]
	s_waitcnt lgkmcnt(0)
	global_store_dword v[58:59], v25, off
.LBB788_197:                            ;   in Loop: Header=BB788_161 Depth=1
	s_or_b64 exec, exec, s[4:5]
	v_add_u32_e32 v4, 0x800, v2
	v_cmp_gt_u32_e32 vcc, s3, v4
	s_and_saveexec_b64 s[4:5], vcc
	s_cbranch_execz .LBB788_199
; %bb.198:                              ;   in Loop: Header=BB788_161 Depth=1
	s_add_i32 s13, s6, 8
	scratch_load_dword v4, off, s13
	s_waitcnt vmcnt(0)
	v_lshlrev_b32_e32 v4, 2, v4
	ds_read_b32 v4, v4
	ds_read_b32 v25, v38 offset:9216
	s_waitcnt lgkmcnt(1)
	v_add3_u32 v4, v2, v4, s10
	v_lshl_add_u64 v[58:59], v[4:5], 2, s[58:59]
	s_waitcnt lgkmcnt(0)
	global_store_dword v[58:59], v25, off
.LBB788_199:                            ;   in Loop: Header=BB788_161 Depth=1
	s_or_b64 exec, exec, s[4:5]
	v_add_u32_e32 v4, 0xc00, v2
	v_cmp_gt_u32_e32 vcc, s3, v4
	s_and_saveexec_b64 s[4:5], vcc
	s_cbranch_execz .LBB788_160
; %bb.200:                              ;   in Loop: Header=BB788_161 Depth=1
	s_add_i32 s13, s6, 12
	scratch_load_dword v4, off, s13
	s_waitcnt vmcnt(0)
	v_lshlrev_b32_e32 v4, 2, v4
	ds_read_b32 v4, v4
	ds_read_b32 v25, v38 offset:13312
	s_waitcnt lgkmcnt(1)
	v_add3_u32 v4, v2, v4, s11
	v_lshl_add_u64 v[58:59], v[4:5], 2, s[58:59]
	s_waitcnt lgkmcnt(0)
	global_store_dword v[58:59], v25, off
	s_branch .LBB788_160
.LBB788_201:
	s_add_i32 s33, s33, -1
	s_cmp_eq_u32 s2, s33
	s_cselect_b64 s[4:5], -1, 0
	s_xor_b64 s[6:7], s[34:35], -1
	s_and_b64 s[6:7], s[6:7], s[4:5]
	s_and_saveexec_b64 s[4:5], s[6:7]
	s_cbranch_execz .LBB788_203
; %bb.202:
	ds_read_b32 v2, v38
	s_waitcnt lgkmcnt(0)
	v_add3_u32 v2, v31, v33, v2
	global_store_dword v38, v2, s[62:63]
.LBB788_203:
	s_or_b64 exec, exec, s[4:5]
	s_mov_b64 s[4:5], 0
.LBB788_204:
	s_and_b64 vcc, exec, s[4:5]
	s_cbranch_vccz .LBB788_327
; %bb.205:
	v_and_b32_e32 v2, 0x3ff, v0
	s_lshl_b32 s4, s2, 14
	s_mov_b32 s5, 0
	s_lshl_b64 s[10:11], s[4:5], 2
	v_mbcnt_hi_u32_b32 v10, -1, v1
	v_lshlrev_b32_e32 v1, 4, v2
	s_add_u32 s4, s52, s10
	s_waitcnt vmcnt(0)
	v_and_b32_e32 v3, 63, v10
	v_and_b32_e32 v6, 0x3c00, v1
	v_mov_b32_e32 v1, 0
	s_addc_u32 s5, s53, s11
	v_lshlrev_b32_e32 v4, 2, v3
	v_mov_b32_e32 v5, v1
	v_lshl_add_u64 v[8:9], s[4:5], 0, v[4:5]
	v_lshlrev_b32_e32 v6, 2, v6
	v_mov_b32_e32 v7, v1
	v_lshl_add_u64 v[8:9], v[8:9], 0, v[6:7]
	global_load_dword v3, v[8:9], off
	s_load_dword s4, s[0:1], 0x64
	s_load_dword s3, s[0:1], 0x58
	s_add_u32 s0, s0, 0x58
	s_addc_u32 s1, s1, 0
	v_mul_u32_u24_e32 v11, 20, v2
	s_waitcnt lgkmcnt(0)
	s_lshr_b32 s4, s4, 16
	s_cmp_lt_u32 s2, s3
	s_cselect_b32 s5, 12, 18
	s_add_u32 s0, s0, s5
	s_addc_u32 s1, s1, 0
	global_load_ushort v25, v1, s[0:1]
	ds_write2_b32 v11, v1, v1 offset0:16 offset1:17
	ds_write2_b32 v11, v1, v1 offset0:18 offset1:19
	ds_write_b32 v11, v1 offset:80
	global_load_dword v5, v[8:9], off offset:256
	global_load_dword v7, v[8:9], off offset:512
	;; [unrolled: 1-line block ×15, first 2 shown]
	v_bfe_u32 v27, v0, 10, 10
	v_bfe_u32 v0, v0, 20, 10
	v_mad_u32_u24 v32, v0, s4, v27
	s_lshl_b32 s0, -1, s65
	v_mov_b32_e32 v26, v1
	v_mov_b32_e32 v28, v1
	s_not_b32 s14, s0
	v_mov_b32_e32 v30, v1
	s_movk_i32 s8, 0x44
	s_waitcnt lgkmcnt(0)
	s_barrier
	s_waitcnt vmcnt(16)
	; wave barrier
	v_lshrrev_b32_e32 v0, s64, v3
	v_bitop3_b32 v33, v0, s0, v0 bitop3:0x30
	v_and_b32_e32 v0, 1, v33
	v_lshlrev_b32_e32 v27, 30, v33
	v_lshlrev_b32_e32 v29, 29, v33
	v_lshl_add_u64 v[8:9], v[0:1], 0, -1
	v_cmp_ne_u32_e32 vcc, 0, v0
	v_not_b32_e32 v0, v27
	v_lshlrev_b32_e32 v31, 28, v33
	v_cmp_gt_i64_e64 s[0:1], 0, v[26:27]
	v_cmp_gt_i64_e64 s[4:5], 0, v[28:29]
	v_not_b32_e32 v28, v29
	v_xor_b32_e32 v9, vcc_hi, v9
	v_xor_b32_e32 v8, vcc_lo, v8
	v_ashrrev_i32_e32 v0, 31, v0
	v_not_b32_e32 v29, v31
	s_waitcnt vmcnt(15)
	v_mad_u64_u32 v[26:27], s[12:13], v32, v25, v[2:3]
	v_ashrrev_i32_e32 v25, 31, v28
	v_and_b32_e32 v9, exec_hi, v9
	v_and_b32_e32 v8, exec_lo, v8
	v_xor_b32_e32 v28, s1, v0
	v_xor_b32_e32 v0, s0, v0
	v_cmp_gt_i64_e64 s[6:7], 0, v[30:31]
	v_ashrrev_i32_e32 v27, 31, v29
	v_xor_b32_e32 v29, s5, v25
	v_xor_b32_e32 v25, s4, v25
	v_and_b32_e32 v9, v9, v28
	v_and_b32_e32 v0, v8, v0
	v_xor_b32_e32 v30, s7, v27
	v_and_b32_e32 v8, v9, v29
	v_and_b32_e32 v0, v0, v25
	;; [unrolled: 3-line block ×3, first 2 shown]
	v_lshlrev_b32_e32 v9, 27, v33
	v_mov_b32_e32 v8, v1
	v_cmp_gt_i64_e32 vcc, 0, v[8:9]
	v_not_b32_e32 v8, v9
	v_ashrrev_i32_e32 v8, 31, v8
	v_xor_b32_e32 v9, vcc_hi, v8
	v_xor_b32_e32 v8, vcc_lo, v8
	v_and_b32_e32 v25, v25, v9
	v_and_b32_e32 v0, v0, v8
	v_lshlrev_b32_e32 v9, 26, v33
	v_mov_b32_e32 v8, v1
	v_cmp_gt_i64_e32 vcc, 0, v[8:9]
	v_not_b32_e32 v8, v9
	v_ashrrev_i32_e32 v8, 31, v8
	v_xor_b32_e32 v9, vcc_hi, v8
	v_xor_b32_e32 v8, vcc_lo, v8
	v_and_b32_e32 v25, v25, v9
	v_and_b32_e32 v0, v0, v8
	;; [unrolled: 9-line block ×3, first 2 shown]
	v_lshlrev_b32_e32 v9, 24, v33
	v_mov_b32_e32 v8, v1
	v_cmp_gt_i64_e32 vcc, 0, v[8:9]
	v_not_b32_e32 v8, v9
	v_ashrrev_i32_e32 v8, 31, v8
	v_xor_b32_e32 v9, vcc_hi, v8
	v_xor_b32_e32 v8, vcc_lo, v8
	v_and_b32_e32 v8, v0, v8
	v_lshrrev_b32_e32 v26, 4, v26
	v_and_b32_e32 v9, v25, v9
	v_mbcnt_lo_u32_b32 v0, v8, 0
	v_and_b32_e32 v36, 0xffffffc, v26
	v_mbcnt_hi_u32_b32 v26, v9, v0
	v_mul_lo_u32 v34, v33, s8
	v_cmp_eq_u32_e32 vcc, 0, v26
	v_cmp_ne_u64_e64 s[0:1], 0, v[8:9]
	s_and_b64 s[4:5], s[0:1], vcc
	v_add_u32_e32 v29, v36, v34
	s_and_saveexec_b64 s[0:1], s[4:5]
; %bb.206:
	v_bcnt_u32_b32 v0, v8, 0
	v_bcnt_u32_b32 v0, v9, v0
	ds_write_b32 v29, v0 offset:64
; %bb.207:
	s_or_b64 exec, exec, s[0:1]
	s_waitcnt vmcnt(14)
	v_lshrrev_b32_e32 v0, s64, v5
	v_and_b32_e32 v27, s14, v0
	v_mul_lo_u32 v0, v27, s8
	v_add_u32_e32 v31, v36, v0
	v_and_b32_e32 v0, 1, v27
	v_lshl_add_u64 v[8:9], v[0:1], 0, -1
	v_cmp_ne_u32_e32 vcc, 0, v0
	; wave barrier
	s_nop 1
	v_xor_b32_e32 v8, vcc_lo, v8
	v_xor_b32_e32 v0, vcc_hi, v9
	v_and_b32_e32 v28, exec_lo, v8
	v_lshlrev_b32_e32 v9, 30, v27
	v_mov_b32_e32 v8, v1
	v_cmp_gt_i64_e32 vcc, 0, v[8:9]
	v_not_b32_e32 v8, v9
	v_ashrrev_i32_e32 v8, 31, v8
	v_and_b32_e32 v0, exec_hi, v0
	v_xor_b32_e32 v9, vcc_hi, v8
	v_xor_b32_e32 v8, vcc_lo, v8
	v_and_b32_e32 v0, v0, v9
	v_and_b32_e32 v28, v28, v8
	v_lshlrev_b32_e32 v9, 29, v27
	v_mov_b32_e32 v8, v1
	v_cmp_gt_i64_e32 vcc, 0, v[8:9]
	v_not_b32_e32 v8, v9
	v_ashrrev_i32_e32 v8, 31, v8
	v_xor_b32_e32 v9, vcc_hi, v8
	v_xor_b32_e32 v8, vcc_lo, v8
	v_and_b32_e32 v0, v0, v9
	v_and_b32_e32 v28, v28, v8
	v_lshlrev_b32_e32 v9, 28, v27
	v_mov_b32_e32 v8, v1
	v_cmp_gt_i64_e32 vcc, 0, v[8:9]
	v_not_b32_e32 v8, v9
	v_ashrrev_i32_e32 v8, 31, v8
	;; [unrolled: 9-line block ×5, first 2 shown]
	v_xor_b32_e32 v9, vcc_hi, v8
	v_xor_b32_e32 v8, vcc_lo, v8
	v_and_b32_e32 v0, v0, v9
	v_lshlrev_b32_e32 v9, 24, v27
	v_and_b32_e32 v28, v28, v8
	v_mov_b32_e32 v8, v1
	v_not_b32_e32 v1, v9
	v_cmp_gt_i64_e32 vcc, 0, v[8:9]
	v_ashrrev_i32_e32 v1, 31, v1
	ds_read_b32 v25, v31 offset:64
	v_xor_b32_e32 v8, vcc_hi, v1
	v_xor_b32_e32 v9, vcc_lo, v1
	v_and_b32_e32 v1, v0, v8
	v_and_b32_e32 v0, v28, v9
	v_mbcnt_lo_u32_b32 v8, v0, 0
	v_mbcnt_hi_u32_b32 v27, v1, v8
	v_cmp_eq_u32_e32 vcc, 0, v27
	v_cmp_ne_u64_e64 s[0:1], 0, v[0:1]
	s_and_b64 s[4:5], s[0:1], vcc
	; wave barrier
	s_and_saveexec_b64 s[0:1], s[4:5]
	s_cbranch_execz .LBB788_209
; %bb.208:
	v_bcnt_u32_b32 v0, v0, 0
	v_bcnt_u32_b32 v0, v1, v0
	s_waitcnt lgkmcnt(0)
	v_add_u32_e32 v0, v25, v0
	ds_write_b32 v31, v0 offset:64
.LBB788_209:
	s_or_b64 exec, exec, s[0:1]
	s_waitcnt vmcnt(13)
	v_lshrrev_b32_e32 v0, s64, v7
	v_and_b32_e32 v30, s14, v0
	s_movk_i32 s4, 0x44
	v_mul_lo_u32 v0, v30, s4
	v_add_u32_e32 v34, v36, v0
	v_and_b32_e32 v0, 1, v30
	v_mov_b32_e32 v1, 0
	v_lshl_add_u64 v[8:9], v[0:1], 0, -1
	v_cmp_ne_u32_e32 vcc, 0, v0
	; wave barrier
	s_nop 1
	v_xor_b32_e32 v8, vcc_lo, v8
	v_xor_b32_e32 v0, vcc_hi, v9
	v_and_b32_e32 v32, exec_lo, v8
	v_lshlrev_b32_e32 v9, 30, v30
	v_mov_b32_e32 v8, v1
	v_cmp_gt_i64_e32 vcc, 0, v[8:9]
	v_not_b32_e32 v8, v9
	v_ashrrev_i32_e32 v8, 31, v8
	v_and_b32_e32 v0, exec_hi, v0
	v_xor_b32_e32 v9, vcc_hi, v8
	v_xor_b32_e32 v8, vcc_lo, v8
	v_and_b32_e32 v0, v0, v9
	v_and_b32_e32 v32, v32, v8
	v_lshlrev_b32_e32 v9, 29, v30
	v_mov_b32_e32 v8, v1
	v_cmp_gt_i64_e32 vcc, 0, v[8:9]
	v_not_b32_e32 v8, v9
	v_ashrrev_i32_e32 v8, 31, v8
	v_xor_b32_e32 v9, vcc_hi, v8
	v_xor_b32_e32 v8, vcc_lo, v8
	v_and_b32_e32 v0, v0, v9
	v_and_b32_e32 v32, v32, v8
	v_lshlrev_b32_e32 v9, 28, v30
	v_mov_b32_e32 v8, v1
	v_cmp_gt_i64_e32 vcc, 0, v[8:9]
	v_not_b32_e32 v8, v9
	v_ashrrev_i32_e32 v8, 31, v8
	;; [unrolled: 9-line block ×6, first 2 shown]
	v_xor_b32_e32 v9, vcc_hi, v8
	v_xor_b32_e32 v8, vcc_lo, v8
	ds_read_b32 v28, v34 offset:64
	v_and_b32_e32 v8, v32, v8
	v_and_b32_e32 v9, v0, v9
	v_mbcnt_lo_u32_b32 v0, v8, 0
	v_mbcnt_hi_u32_b32 v30, v9, v0
	v_cmp_eq_u32_e32 vcc, 0, v30
	v_cmp_ne_u64_e64 s[0:1], 0, v[8:9]
	s_and_b64 s[6:7], s[0:1], vcc
	; wave barrier
	s_and_saveexec_b64 s[0:1], s[6:7]
	s_cbranch_execz .LBB788_211
; %bb.210:
	v_bcnt_u32_b32 v0, v8, 0
	v_bcnt_u32_b32 v0, v9, v0
	s_waitcnt lgkmcnt(0)
	v_add_u32_e32 v0, v28, v0
	ds_write_b32 v34, v0 offset:64
.LBB788_211:
	s_or_b64 exec, exec, s[0:1]
	s_waitcnt vmcnt(12)
	v_lshrrev_b32_e32 v0, s64, v12
	v_and_b32_e32 v33, s14, v0
	v_mul_lo_u32 v0, v33, s4
	v_add_u32_e32 v38, v36, v0
	v_and_b32_e32 v0, 1, v33
	v_lshl_add_u64 v[8:9], v[0:1], 0, -1
	v_cmp_ne_u32_e32 vcc, 0, v0
	; wave barrier
	s_nop 1
	v_xor_b32_e32 v8, vcc_lo, v8
	v_xor_b32_e32 v0, vcc_hi, v9
	v_and_b32_e32 v35, exec_lo, v8
	v_lshlrev_b32_e32 v9, 30, v33
	v_mov_b32_e32 v8, v1
	v_cmp_gt_i64_e32 vcc, 0, v[8:9]
	v_not_b32_e32 v8, v9
	v_ashrrev_i32_e32 v8, 31, v8
	v_and_b32_e32 v0, exec_hi, v0
	v_xor_b32_e32 v9, vcc_hi, v8
	v_xor_b32_e32 v8, vcc_lo, v8
	v_and_b32_e32 v0, v0, v9
	v_and_b32_e32 v35, v35, v8
	v_lshlrev_b32_e32 v9, 29, v33
	v_mov_b32_e32 v8, v1
	v_cmp_gt_i64_e32 vcc, 0, v[8:9]
	v_not_b32_e32 v8, v9
	v_ashrrev_i32_e32 v8, 31, v8
	v_xor_b32_e32 v9, vcc_hi, v8
	v_xor_b32_e32 v8, vcc_lo, v8
	v_and_b32_e32 v0, v0, v9
	v_and_b32_e32 v35, v35, v8
	v_lshlrev_b32_e32 v9, 28, v33
	v_mov_b32_e32 v8, v1
	v_cmp_gt_i64_e32 vcc, 0, v[8:9]
	v_not_b32_e32 v8, v9
	v_ashrrev_i32_e32 v8, 31, v8
	;; [unrolled: 9-line block ×5, first 2 shown]
	v_xor_b32_e32 v9, vcc_hi, v8
	v_xor_b32_e32 v8, vcc_lo, v8
	v_and_b32_e32 v0, v0, v9
	v_lshlrev_b32_e32 v9, 24, v33
	v_and_b32_e32 v35, v35, v8
	v_mov_b32_e32 v8, v1
	v_not_b32_e32 v1, v9
	v_cmp_gt_i64_e32 vcc, 0, v[8:9]
	v_ashrrev_i32_e32 v1, 31, v1
	ds_read_b32 v32, v38 offset:64
	v_xor_b32_e32 v8, vcc_hi, v1
	v_xor_b32_e32 v9, vcc_lo, v1
	v_and_b32_e32 v1, v0, v8
	v_and_b32_e32 v0, v35, v9
	v_mbcnt_lo_u32_b32 v8, v0, 0
	v_mbcnt_hi_u32_b32 v33, v1, v8
	v_cmp_eq_u32_e32 vcc, 0, v33
	v_cmp_ne_u64_e64 s[0:1], 0, v[0:1]
	s_and_b64 s[4:5], s[0:1], vcc
	; wave barrier
	s_and_saveexec_b64 s[0:1], s[4:5]
	s_cbranch_execz .LBB788_213
; %bb.212:
	v_bcnt_u32_b32 v0, v0, 0
	v_bcnt_u32_b32 v0, v1, v0
	s_waitcnt lgkmcnt(0)
	v_add_u32_e32 v0, v32, v0
	ds_write_b32 v38, v0 offset:64
.LBB788_213:
	s_or_b64 exec, exec, s[0:1]
	s_waitcnt vmcnt(11)
	v_lshrrev_b32_e32 v0, s64, v13
	v_and_b32_e32 v37, s14, v0
	s_movk_i32 s4, 0x44
	v_mul_lo_u32 v0, v37, s4
	v_add_u32_e32 v41, v36, v0
	v_and_b32_e32 v0, 1, v37
	v_mov_b32_e32 v1, 0
	v_lshl_add_u64 v[8:9], v[0:1], 0, -1
	v_cmp_ne_u32_e32 vcc, 0, v0
	; wave barrier
	s_nop 1
	v_xor_b32_e32 v8, vcc_lo, v8
	v_xor_b32_e32 v0, vcc_hi, v9
	v_and_b32_e32 v39, exec_lo, v8
	v_lshlrev_b32_e32 v9, 30, v37
	v_mov_b32_e32 v8, v1
	v_cmp_gt_i64_e32 vcc, 0, v[8:9]
	v_not_b32_e32 v8, v9
	v_ashrrev_i32_e32 v8, 31, v8
	v_and_b32_e32 v0, exec_hi, v0
	v_xor_b32_e32 v9, vcc_hi, v8
	v_xor_b32_e32 v8, vcc_lo, v8
	v_and_b32_e32 v0, v0, v9
	v_and_b32_e32 v39, v39, v8
	v_lshlrev_b32_e32 v9, 29, v37
	v_mov_b32_e32 v8, v1
	v_cmp_gt_i64_e32 vcc, 0, v[8:9]
	v_not_b32_e32 v8, v9
	v_ashrrev_i32_e32 v8, 31, v8
	v_xor_b32_e32 v9, vcc_hi, v8
	v_xor_b32_e32 v8, vcc_lo, v8
	v_and_b32_e32 v0, v0, v9
	v_and_b32_e32 v39, v39, v8
	v_lshlrev_b32_e32 v9, 28, v37
	v_mov_b32_e32 v8, v1
	v_cmp_gt_i64_e32 vcc, 0, v[8:9]
	v_not_b32_e32 v8, v9
	v_ashrrev_i32_e32 v8, 31, v8
	;; [unrolled: 9-line block ×6, first 2 shown]
	v_xor_b32_e32 v9, vcc_hi, v8
	v_xor_b32_e32 v8, vcc_lo, v8
	ds_read_b32 v35, v41 offset:64
	v_and_b32_e32 v8, v39, v8
	v_and_b32_e32 v9, v0, v9
	v_mbcnt_lo_u32_b32 v0, v8, 0
	v_mbcnt_hi_u32_b32 v37, v9, v0
	v_cmp_eq_u32_e32 vcc, 0, v37
	v_cmp_ne_u64_e64 s[0:1], 0, v[8:9]
	s_and_b64 s[6:7], s[0:1], vcc
	; wave barrier
	s_and_saveexec_b64 s[0:1], s[6:7]
	s_cbranch_execz .LBB788_215
; %bb.214:
	v_bcnt_u32_b32 v0, v8, 0
	v_bcnt_u32_b32 v0, v9, v0
	s_waitcnt lgkmcnt(0)
	v_add_u32_e32 v0, v35, v0
	ds_write_b32 v41, v0 offset:64
.LBB788_215:
	s_or_b64 exec, exec, s[0:1]
	s_waitcnt vmcnt(10)
	v_lshrrev_b32_e32 v0, s64, v14
	v_and_b32_e32 v40, s14, v0
	v_mul_lo_u32 v0, v40, s4
	v_add_u32_e32 v44, v36, v0
	v_and_b32_e32 v0, 1, v40
	v_lshl_add_u64 v[8:9], v[0:1], 0, -1
	v_cmp_ne_u32_e32 vcc, 0, v0
	; wave barrier
	s_nop 1
	v_xor_b32_e32 v8, vcc_lo, v8
	v_xor_b32_e32 v0, vcc_hi, v9
	v_and_b32_e32 v42, exec_lo, v8
	v_lshlrev_b32_e32 v9, 30, v40
	v_mov_b32_e32 v8, v1
	v_cmp_gt_i64_e32 vcc, 0, v[8:9]
	v_not_b32_e32 v8, v9
	v_ashrrev_i32_e32 v8, 31, v8
	v_and_b32_e32 v0, exec_hi, v0
	v_xor_b32_e32 v9, vcc_hi, v8
	v_xor_b32_e32 v8, vcc_lo, v8
	v_and_b32_e32 v0, v0, v9
	v_and_b32_e32 v42, v42, v8
	v_lshlrev_b32_e32 v9, 29, v40
	v_mov_b32_e32 v8, v1
	v_cmp_gt_i64_e32 vcc, 0, v[8:9]
	v_not_b32_e32 v8, v9
	v_ashrrev_i32_e32 v8, 31, v8
	v_xor_b32_e32 v9, vcc_hi, v8
	v_xor_b32_e32 v8, vcc_lo, v8
	v_and_b32_e32 v0, v0, v9
	v_and_b32_e32 v42, v42, v8
	v_lshlrev_b32_e32 v9, 28, v40
	v_mov_b32_e32 v8, v1
	v_cmp_gt_i64_e32 vcc, 0, v[8:9]
	v_not_b32_e32 v8, v9
	v_ashrrev_i32_e32 v8, 31, v8
	;; [unrolled: 9-line block ×5, first 2 shown]
	v_xor_b32_e32 v9, vcc_hi, v8
	v_xor_b32_e32 v8, vcc_lo, v8
	v_and_b32_e32 v0, v0, v9
	v_lshlrev_b32_e32 v9, 24, v40
	v_and_b32_e32 v42, v42, v8
	v_mov_b32_e32 v8, v1
	v_not_b32_e32 v1, v9
	v_cmp_gt_i64_e32 vcc, 0, v[8:9]
	v_ashrrev_i32_e32 v1, 31, v1
	ds_read_b32 v39, v44 offset:64
	v_xor_b32_e32 v8, vcc_hi, v1
	v_xor_b32_e32 v9, vcc_lo, v1
	v_and_b32_e32 v1, v0, v8
	v_and_b32_e32 v0, v42, v9
	v_mbcnt_lo_u32_b32 v8, v0, 0
	v_mbcnt_hi_u32_b32 v40, v1, v8
	v_cmp_eq_u32_e32 vcc, 0, v40
	v_cmp_ne_u64_e64 s[0:1], 0, v[0:1]
	s_and_b64 s[4:5], s[0:1], vcc
	; wave barrier
	s_and_saveexec_b64 s[0:1], s[4:5]
	s_cbranch_execz .LBB788_217
; %bb.216:
	v_bcnt_u32_b32 v0, v0, 0
	v_bcnt_u32_b32 v0, v1, v0
	s_waitcnt lgkmcnt(0)
	v_add_u32_e32 v0, v39, v0
	ds_write_b32 v44, v0 offset:64
.LBB788_217:
	s_or_b64 exec, exec, s[0:1]
	s_waitcnt vmcnt(9)
	v_lshrrev_b32_e32 v0, s64, v15
	v_and_b32_e32 v43, s14, v0
	s_movk_i32 s4, 0x44
	v_mul_lo_u32 v0, v43, s4
	v_add_u32_e32 v47, v36, v0
	v_and_b32_e32 v0, 1, v43
	v_mov_b32_e32 v1, 0
	v_lshl_add_u64 v[8:9], v[0:1], 0, -1
	v_cmp_ne_u32_e32 vcc, 0, v0
	; wave barrier
	s_nop 1
	v_xor_b32_e32 v8, vcc_lo, v8
	v_xor_b32_e32 v0, vcc_hi, v9
	v_and_b32_e32 v45, exec_lo, v8
	v_lshlrev_b32_e32 v9, 30, v43
	v_mov_b32_e32 v8, v1
	v_cmp_gt_i64_e32 vcc, 0, v[8:9]
	v_not_b32_e32 v8, v9
	v_ashrrev_i32_e32 v8, 31, v8
	v_and_b32_e32 v0, exec_hi, v0
	v_xor_b32_e32 v9, vcc_hi, v8
	v_xor_b32_e32 v8, vcc_lo, v8
	v_and_b32_e32 v0, v0, v9
	v_and_b32_e32 v45, v45, v8
	v_lshlrev_b32_e32 v9, 29, v43
	v_mov_b32_e32 v8, v1
	v_cmp_gt_i64_e32 vcc, 0, v[8:9]
	v_not_b32_e32 v8, v9
	v_ashrrev_i32_e32 v8, 31, v8
	v_xor_b32_e32 v9, vcc_hi, v8
	v_xor_b32_e32 v8, vcc_lo, v8
	v_and_b32_e32 v0, v0, v9
	v_and_b32_e32 v45, v45, v8
	v_lshlrev_b32_e32 v9, 28, v43
	v_mov_b32_e32 v8, v1
	v_cmp_gt_i64_e32 vcc, 0, v[8:9]
	v_not_b32_e32 v8, v9
	v_ashrrev_i32_e32 v8, 31, v8
	;; [unrolled: 9-line block ×6, first 2 shown]
	v_xor_b32_e32 v9, vcc_hi, v8
	v_xor_b32_e32 v8, vcc_lo, v8
	ds_read_b32 v42, v47 offset:64
	v_and_b32_e32 v8, v45, v8
	v_and_b32_e32 v9, v0, v9
	v_mbcnt_lo_u32_b32 v0, v8, 0
	v_mbcnt_hi_u32_b32 v43, v9, v0
	v_cmp_eq_u32_e32 vcc, 0, v43
	v_cmp_ne_u64_e64 s[0:1], 0, v[8:9]
	s_and_b64 s[6:7], s[0:1], vcc
	; wave barrier
	s_and_saveexec_b64 s[0:1], s[6:7]
	s_cbranch_execz .LBB788_219
; %bb.218:
	v_bcnt_u32_b32 v0, v8, 0
	v_bcnt_u32_b32 v0, v9, v0
	s_waitcnt lgkmcnt(0)
	v_add_u32_e32 v0, v42, v0
	ds_write_b32 v47, v0 offset:64
.LBB788_219:
	s_or_b64 exec, exec, s[0:1]
	s_waitcnt vmcnt(8)
	v_lshrrev_b32_e32 v0, s64, v16
	v_and_b32_e32 v46, s14, v0
	v_mul_lo_u32 v0, v46, s4
	v_add_u32_e32 v49, v36, v0
	v_and_b32_e32 v0, 1, v46
	v_lshl_add_u64 v[8:9], v[0:1], 0, -1
	v_cmp_ne_u32_e32 vcc, 0, v0
	; wave barrier
	s_nop 1
	v_xor_b32_e32 v8, vcc_lo, v8
	v_xor_b32_e32 v0, vcc_hi, v9
	v_and_b32_e32 v48, exec_lo, v8
	v_lshlrev_b32_e32 v9, 30, v46
	v_mov_b32_e32 v8, v1
	v_cmp_gt_i64_e32 vcc, 0, v[8:9]
	v_not_b32_e32 v8, v9
	v_ashrrev_i32_e32 v8, 31, v8
	v_and_b32_e32 v0, exec_hi, v0
	v_xor_b32_e32 v9, vcc_hi, v8
	v_xor_b32_e32 v8, vcc_lo, v8
	v_and_b32_e32 v0, v0, v9
	v_and_b32_e32 v48, v48, v8
	v_lshlrev_b32_e32 v9, 29, v46
	v_mov_b32_e32 v8, v1
	v_cmp_gt_i64_e32 vcc, 0, v[8:9]
	v_not_b32_e32 v8, v9
	v_ashrrev_i32_e32 v8, 31, v8
	v_xor_b32_e32 v9, vcc_hi, v8
	v_xor_b32_e32 v8, vcc_lo, v8
	v_and_b32_e32 v0, v0, v9
	v_and_b32_e32 v48, v48, v8
	v_lshlrev_b32_e32 v9, 28, v46
	v_mov_b32_e32 v8, v1
	v_cmp_gt_i64_e32 vcc, 0, v[8:9]
	v_not_b32_e32 v8, v9
	v_ashrrev_i32_e32 v8, 31, v8
	;; [unrolled: 9-line block ×5, first 2 shown]
	v_xor_b32_e32 v9, vcc_hi, v8
	v_xor_b32_e32 v8, vcc_lo, v8
	v_and_b32_e32 v0, v0, v9
	v_lshlrev_b32_e32 v9, 24, v46
	v_and_b32_e32 v48, v48, v8
	v_mov_b32_e32 v8, v1
	v_not_b32_e32 v1, v9
	v_cmp_gt_i64_e32 vcc, 0, v[8:9]
	v_ashrrev_i32_e32 v1, 31, v1
	ds_read_b32 v45, v49 offset:64
	v_xor_b32_e32 v8, vcc_hi, v1
	v_xor_b32_e32 v9, vcc_lo, v1
	v_and_b32_e32 v1, v0, v8
	v_and_b32_e32 v0, v48, v9
	v_mbcnt_lo_u32_b32 v8, v0, 0
	v_mbcnt_hi_u32_b32 v46, v1, v8
	v_cmp_eq_u32_e32 vcc, 0, v46
	v_cmp_ne_u64_e64 s[0:1], 0, v[0:1]
	s_and_b64 s[4:5], s[0:1], vcc
	; wave barrier
	s_and_saveexec_b64 s[0:1], s[4:5]
	s_cbranch_execz .LBB788_221
; %bb.220:
	v_bcnt_u32_b32 v0, v0, 0
	v_bcnt_u32_b32 v0, v1, v0
	s_waitcnt lgkmcnt(0)
	v_add_u32_e32 v0, v45, v0
	ds_write_b32 v49, v0 offset:64
.LBB788_221:
	s_or_b64 exec, exec, s[0:1]
	s_waitcnt vmcnt(7)
	v_lshrrev_b32_e32 v0, s64, v17
	v_and_b32_e32 v50, s14, v0
	s_movk_i32 s4, 0x44
	v_mul_lo_u32 v0, v50, s4
	v_add_u32_e32 v52, v36, v0
	v_and_b32_e32 v0, 1, v50
	v_mov_b32_e32 v1, 0
	v_lshl_add_u64 v[8:9], v[0:1], 0, -1
	v_cmp_ne_u32_e32 vcc, 0, v0
	; wave barrier
	s_nop 1
	v_xor_b32_e32 v8, vcc_lo, v8
	v_xor_b32_e32 v0, vcc_hi, v9
	v_and_b32_e32 v51, exec_lo, v8
	v_lshlrev_b32_e32 v9, 30, v50
	v_mov_b32_e32 v8, v1
	v_cmp_gt_i64_e32 vcc, 0, v[8:9]
	v_not_b32_e32 v8, v9
	v_ashrrev_i32_e32 v8, 31, v8
	v_and_b32_e32 v0, exec_hi, v0
	v_xor_b32_e32 v9, vcc_hi, v8
	v_xor_b32_e32 v8, vcc_lo, v8
	v_and_b32_e32 v0, v0, v9
	v_and_b32_e32 v51, v51, v8
	v_lshlrev_b32_e32 v9, 29, v50
	v_mov_b32_e32 v8, v1
	v_cmp_gt_i64_e32 vcc, 0, v[8:9]
	v_not_b32_e32 v8, v9
	v_ashrrev_i32_e32 v8, 31, v8
	v_xor_b32_e32 v9, vcc_hi, v8
	v_xor_b32_e32 v8, vcc_lo, v8
	v_and_b32_e32 v0, v0, v9
	v_and_b32_e32 v51, v51, v8
	v_lshlrev_b32_e32 v9, 28, v50
	v_mov_b32_e32 v8, v1
	v_cmp_gt_i64_e32 vcc, 0, v[8:9]
	v_not_b32_e32 v8, v9
	v_ashrrev_i32_e32 v8, 31, v8
	;; [unrolled: 9-line block ×6, first 2 shown]
	v_xor_b32_e32 v9, vcc_hi, v8
	v_xor_b32_e32 v8, vcc_lo, v8
	ds_read_b32 v48, v52 offset:64
	v_and_b32_e32 v8, v51, v8
	v_and_b32_e32 v9, v0, v9
	v_mbcnt_lo_u32_b32 v0, v8, 0
	v_mbcnt_hi_u32_b32 v50, v9, v0
	v_cmp_eq_u32_e32 vcc, 0, v50
	v_cmp_ne_u64_e64 s[0:1], 0, v[8:9]
	s_and_b64 s[6:7], s[0:1], vcc
	; wave barrier
	s_and_saveexec_b64 s[0:1], s[6:7]
	s_cbranch_execz .LBB788_223
; %bb.222:
	v_bcnt_u32_b32 v0, v8, 0
	v_bcnt_u32_b32 v0, v9, v0
	s_waitcnt lgkmcnt(0)
	v_add_u32_e32 v0, v48, v0
	ds_write_b32 v52, v0 offset:64
.LBB788_223:
	s_or_b64 exec, exec, s[0:1]
	s_waitcnt vmcnt(6)
	v_lshrrev_b32_e32 v0, s64, v18
	v_and_b32_e32 v53, s14, v0
	v_mul_lo_u32 v0, v53, s4
	v_add_u32_e32 v55, v36, v0
	v_and_b32_e32 v0, 1, v53
	v_lshl_add_u64 v[8:9], v[0:1], 0, -1
	v_cmp_ne_u32_e32 vcc, 0, v0
	; wave barrier
	s_nop 1
	v_xor_b32_e32 v8, vcc_lo, v8
	v_xor_b32_e32 v0, vcc_hi, v9
	v_and_b32_e32 v54, exec_lo, v8
	v_lshlrev_b32_e32 v9, 30, v53
	v_mov_b32_e32 v8, v1
	v_cmp_gt_i64_e32 vcc, 0, v[8:9]
	v_not_b32_e32 v8, v9
	v_ashrrev_i32_e32 v8, 31, v8
	v_and_b32_e32 v0, exec_hi, v0
	v_xor_b32_e32 v9, vcc_hi, v8
	v_xor_b32_e32 v8, vcc_lo, v8
	v_and_b32_e32 v0, v0, v9
	v_and_b32_e32 v54, v54, v8
	v_lshlrev_b32_e32 v9, 29, v53
	v_mov_b32_e32 v8, v1
	v_cmp_gt_i64_e32 vcc, 0, v[8:9]
	v_not_b32_e32 v8, v9
	v_ashrrev_i32_e32 v8, 31, v8
	v_xor_b32_e32 v9, vcc_hi, v8
	v_xor_b32_e32 v8, vcc_lo, v8
	v_and_b32_e32 v0, v0, v9
	v_and_b32_e32 v54, v54, v8
	v_lshlrev_b32_e32 v9, 28, v53
	v_mov_b32_e32 v8, v1
	v_cmp_gt_i64_e32 vcc, 0, v[8:9]
	v_not_b32_e32 v8, v9
	v_ashrrev_i32_e32 v8, 31, v8
	;; [unrolled: 9-line block ×5, first 2 shown]
	v_xor_b32_e32 v9, vcc_hi, v8
	v_xor_b32_e32 v8, vcc_lo, v8
	v_and_b32_e32 v0, v0, v9
	v_lshlrev_b32_e32 v9, 24, v53
	v_and_b32_e32 v54, v54, v8
	v_mov_b32_e32 v8, v1
	v_not_b32_e32 v1, v9
	v_cmp_gt_i64_e32 vcc, 0, v[8:9]
	v_ashrrev_i32_e32 v1, 31, v1
	ds_read_b32 v51, v55 offset:64
	v_xor_b32_e32 v8, vcc_hi, v1
	v_xor_b32_e32 v9, vcc_lo, v1
	v_and_b32_e32 v1, v0, v8
	v_and_b32_e32 v0, v54, v9
	v_mbcnt_lo_u32_b32 v8, v0, 0
	v_mbcnt_hi_u32_b32 v53, v1, v8
	v_cmp_eq_u32_e32 vcc, 0, v53
	v_cmp_ne_u64_e64 s[0:1], 0, v[0:1]
	s_and_b64 s[4:5], s[0:1], vcc
	; wave barrier
	s_and_saveexec_b64 s[0:1], s[4:5]
	s_cbranch_execz .LBB788_225
; %bb.224:
	v_bcnt_u32_b32 v0, v0, 0
	v_bcnt_u32_b32 v0, v1, v0
	s_waitcnt lgkmcnt(0)
	v_add_u32_e32 v0, v51, v0
	ds_write_b32 v55, v0 offset:64
.LBB788_225:
	s_or_b64 exec, exec, s[0:1]
	s_waitcnt vmcnt(5)
	v_lshrrev_b32_e32 v0, s64, v19
	v_and_b32_e32 v56, s14, v0
	s_movk_i32 s4, 0x44
	v_mul_lo_u32 v0, v56, s4
	v_add_u32_e32 v58, v36, v0
	v_and_b32_e32 v0, 1, v56
	v_mov_b32_e32 v1, 0
	v_lshl_add_u64 v[8:9], v[0:1], 0, -1
	v_cmp_ne_u32_e32 vcc, 0, v0
	; wave barrier
	s_nop 1
	v_xor_b32_e32 v8, vcc_lo, v8
	v_xor_b32_e32 v0, vcc_hi, v9
	v_and_b32_e32 v57, exec_lo, v8
	v_lshlrev_b32_e32 v9, 30, v56
	v_mov_b32_e32 v8, v1
	v_cmp_gt_i64_e32 vcc, 0, v[8:9]
	v_not_b32_e32 v8, v9
	v_ashrrev_i32_e32 v8, 31, v8
	v_and_b32_e32 v0, exec_hi, v0
	v_xor_b32_e32 v9, vcc_hi, v8
	v_xor_b32_e32 v8, vcc_lo, v8
	v_and_b32_e32 v0, v0, v9
	v_and_b32_e32 v57, v57, v8
	v_lshlrev_b32_e32 v9, 29, v56
	v_mov_b32_e32 v8, v1
	v_cmp_gt_i64_e32 vcc, 0, v[8:9]
	v_not_b32_e32 v8, v9
	v_ashrrev_i32_e32 v8, 31, v8
	v_xor_b32_e32 v9, vcc_hi, v8
	v_xor_b32_e32 v8, vcc_lo, v8
	v_and_b32_e32 v0, v0, v9
	v_and_b32_e32 v57, v57, v8
	v_lshlrev_b32_e32 v9, 28, v56
	v_mov_b32_e32 v8, v1
	v_cmp_gt_i64_e32 vcc, 0, v[8:9]
	v_not_b32_e32 v8, v9
	v_ashrrev_i32_e32 v8, 31, v8
	;; [unrolled: 9-line block ×6, first 2 shown]
	v_xor_b32_e32 v9, vcc_hi, v8
	v_xor_b32_e32 v8, vcc_lo, v8
	ds_read_b32 v54, v58 offset:64
	v_and_b32_e32 v8, v57, v8
	v_and_b32_e32 v9, v0, v9
	v_mbcnt_lo_u32_b32 v0, v8, 0
	v_mbcnt_hi_u32_b32 v56, v9, v0
	v_cmp_eq_u32_e32 vcc, 0, v56
	v_cmp_ne_u64_e64 s[0:1], 0, v[8:9]
	s_and_b64 s[6:7], s[0:1], vcc
	; wave barrier
	s_and_saveexec_b64 s[0:1], s[6:7]
	s_cbranch_execz .LBB788_227
; %bb.226:
	v_bcnt_u32_b32 v0, v8, 0
	v_bcnt_u32_b32 v0, v9, v0
	s_waitcnt lgkmcnt(0)
	v_add_u32_e32 v0, v54, v0
	ds_write_b32 v58, v0 offset:64
.LBB788_227:
	s_or_b64 exec, exec, s[0:1]
	s_waitcnt vmcnt(4)
	v_lshrrev_b32_e32 v0, s64, v20
	v_and_b32_e32 v59, s14, v0
	v_mul_lo_u32 v0, v59, s4
	v_add_u32_e32 v61, v36, v0
	v_and_b32_e32 v0, 1, v59
	v_lshl_add_u64 v[8:9], v[0:1], 0, -1
	v_cmp_ne_u32_e32 vcc, 0, v0
	; wave barrier
	s_nop 1
	v_xor_b32_e32 v8, vcc_lo, v8
	v_xor_b32_e32 v0, vcc_hi, v9
	v_and_b32_e32 v60, exec_lo, v8
	v_lshlrev_b32_e32 v9, 30, v59
	v_mov_b32_e32 v8, v1
	v_cmp_gt_i64_e32 vcc, 0, v[8:9]
	v_not_b32_e32 v8, v9
	v_ashrrev_i32_e32 v8, 31, v8
	v_and_b32_e32 v0, exec_hi, v0
	v_xor_b32_e32 v9, vcc_hi, v8
	v_xor_b32_e32 v8, vcc_lo, v8
	v_and_b32_e32 v0, v0, v9
	v_and_b32_e32 v60, v60, v8
	v_lshlrev_b32_e32 v9, 29, v59
	v_mov_b32_e32 v8, v1
	v_cmp_gt_i64_e32 vcc, 0, v[8:9]
	v_not_b32_e32 v8, v9
	v_ashrrev_i32_e32 v8, 31, v8
	v_xor_b32_e32 v9, vcc_hi, v8
	v_xor_b32_e32 v8, vcc_lo, v8
	v_and_b32_e32 v0, v0, v9
	v_and_b32_e32 v60, v60, v8
	v_lshlrev_b32_e32 v9, 28, v59
	v_mov_b32_e32 v8, v1
	v_cmp_gt_i64_e32 vcc, 0, v[8:9]
	v_not_b32_e32 v8, v9
	v_ashrrev_i32_e32 v8, 31, v8
	;; [unrolled: 9-line block ×5, first 2 shown]
	v_xor_b32_e32 v9, vcc_hi, v8
	v_xor_b32_e32 v8, vcc_lo, v8
	v_and_b32_e32 v0, v0, v9
	v_lshlrev_b32_e32 v9, 24, v59
	v_and_b32_e32 v60, v60, v8
	v_mov_b32_e32 v8, v1
	v_not_b32_e32 v1, v9
	v_cmp_gt_i64_e32 vcc, 0, v[8:9]
	v_ashrrev_i32_e32 v1, 31, v1
	ds_read_b32 v57, v61 offset:64
	v_xor_b32_e32 v8, vcc_hi, v1
	v_xor_b32_e32 v9, vcc_lo, v1
	v_and_b32_e32 v1, v0, v8
	v_and_b32_e32 v0, v60, v9
	v_mbcnt_lo_u32_b32 v8, v0, 0
	v_mbcnt_hi_u32_b32 v59, v1, v8
	v_cmp_eq_u32_e32 vcc, 0, v59
	v_cmp_ne_u64_e64 s[0:1], 0, v[0:1]
	s_and_b64 s[4:5], s[0:1], vcc
	; wave barrier
	s_and_saveexec_b64 s[0:1], s[4:5]
	s_cbranch_execz .LBB788_229
; %bb.228:
	v_bcnt_u32_b32 v0, v0, 0
	v_bcnt_u32_b32 v0, v1, v0
	s_waitcnt lgkmcnt(0)
	v_add_u32_e32 v0, v57, v0
	ds_write_b32 v61, v0 offset:64
.LBB788_229:
	s_or_b64 exec, exec, s[0:1]
	s_waitcnt vmcnt(3)
	v_lshrrev_b32_e32 v0, s64, v21
	v_and_b32_e32 v62, s14, v0
	s_movk_i32 s4, 0x44
	v_mul_lo_u32 v0, v62, s4
	v_add_u32_e32 v64, v36, v0
	v_and_b32_e32 v0, 1, v62
	v_mov_b32_e32 v1, 0
	v_lshl_add_u64 v[8:9], v[0:1], 0, -1
	v_cmp_ne_u32_e32 vcc, 0, v0
	; wave barrier
	s_nop 1
	v_xor_b32_e32 v8, vcc_lo, v8
	v_xor_b32_e32 v0, vcc_hi, v9
	v_and_b32_e32 v63, exec_lo, v8
	v_lshlrev_b32_e32 v9, 30, v62
	v_mov_b32_e32 v8, v1
	v_cmp_gt_i64_e32 vcc, 0, v[8:9]
	v_not_b32_e32 v8, v9
	v_ashrrev_i32_e32 v8, 31, v8
	v_and_b32_e32 v0, exec_hi, v0
	v_xor_b32_e32 v9, vcc_hi, v8
	v_xor_b32_e32 v8, vcc_lo, v8
	v_and_b32_e32 v0, v0, v9
	v_and_b32_e32 v63, v63, v8
	v_lshlrev_b32_e32 v9, 29, v62
	v_mov_b32_e32 v8, v1
	v_cmp_gt_i64_e32 vcc, 0, v[8:9]
	v_not_b32_e32 v8, v9
	v_ashrrev_i32_e32 v8, 31, v8
	v_xor_b32_e32 v9, vcc_hi, v8
	v_xor_b32_e32 v8, vcc_lo, v8
	v_and_b32_e32 v0, v0, v9
	v_and_b32_e32 v63, v63, v8
	v_lshlrev_b32_e32 v9, 28, v62
	v_mov_b32_e32 v8, v1
	v_cmp_gt_i64_e32 vcc, 0, v[8:9]
	v_not_b32_e32 v8, v9
	v_ashrrev_i32_e32 v8, 31, v8
	;; [unrolled: 9-line block ×6, first 2 shown]
	v_xor_b32_e32 v9, vcc_hi, v8
	v_xor_b32_e32 v8, vcc_lo, v8
	ds_read_b32 v60, v64 offset:64
	v_and_b32_e32 v8, v63, v8
	v_and_b32_e32 v9, v0, v9
	v_mbcnt_lo_u32_b32 v0, v8, 0
	v_mbcnt_hi_u32_b32 v62, v9, v0
	v_cmp_eq_u32_e32 vcc, 0, v62
	v_cmp_ne_u64_e64 s[0:1], 0, v[8:9]
	s_and_b64 s[6:7], s[0:1], vcc
	; wave barrier
	s_and_saveexec_b64 s[0:1], s[6:7]
	s_cbranch_execz .LBB788_231
; %bb.230:
	v_bcnt_u32_b32 v0, v8, 0
	v_bcnt_u32_b32 v0, v9, v0
	s_waitcnt lgkmcnt(0)
	v_add_u32_e32 v0, v60, v0
	ds_write_b32 v64, v0 offset:64
.LBB788_231:
	s_or_b64 exec, exec, s[0:1]
	s_waitcnt vmcnt(2)
	v_lshrrev_b32_e32 v0, s64, v22
	v_and_b32_e32 v65, s14, v0
	v_mul_lo_u32 v0, v65, s4
	v_add_u32_e32 v67, v36, v0
	v_and_b32_e32 v0, 1, v65
	v_lshl_add_u64 v[8:9], v[0:1], 0, -1
	v_cmp_ne_u32_e32 vcc, 0, v0
	; wave barrier
	s_nop 1
	v_xor_b32_e32 v8, vcc_lo, v8
	v_xor_b32_e32 v0, vcc_hi, v9
	v_and_b32_e32 v66, exec_lo, v8
	v_lshlrev_b32_e32 v9, 30, v65
	v_mov_b32_e32 v8, v1
	v_cmp_gt_i64_e32 vcc, 0, v[8:9]
	v_not_b32_e32 v8, v9
	v_ashrrev_i32_e32 v8, 31, v8
	v_and_b32_e32 v0, exec_hi, v0
	v_xor_b32_e32 v9, vcc_hi, v8
	v_xor_b32_e32 v8, vcc_lo, v8
	v_and_b32_e32 v0, v0, v9
	v_and_b32_e32 v66, v66, v8
	v_lshlrev_b32_e32 v9, 29, v65
	v_mov_b32_e32 v8, v1
	v_cmp_gt_i64_e32 vcc, 0, v[8:9]
	v_not_b32_e32 v8, v9
	v_ashrrev_i32_e32 v8, 31, v8
	v_xor_b32_e32 v9, vcc_hi, v8
	v_xor_b32_e32 v8, vcc_lo, v8
	v_and_b32_e32 v0, v0, v9
	v_and_b32_e32 v66, v66, v8
	v_lshlrev_b32_e32 v9, 28, v65
	v_mov_b32_e32 v8, v1
	v_cmp_gt_i64_e32 vcc, 0, v[8:9]
	v_not_b32_e32 v8, v9
	v_ashrrev_i32_e32 v8, 31, v8
	;; [unrolled: 9-line block ×5, first 2 shown]
	v_xor_b32_e32 v9, vcc_hi, v8
	v_xor_b32_e32 v8, vcc_lo, v8
	v_and_b32_e32 v0, v0, v9
	v_lshlrev_b32_e32 v9, 24, v65
	v_and_b32_e32 v66, v66, v8
	v_mov_b32_e32 v8, v1
	v_not_b32_e32 v1, v9
	v_cmp_gt_i64_e32 vcc, 0, v[8:9]
	v_ashrrev_i32_e32 v1, 31, v1
	ds_read_b32 v63, v67 offset:64
	v_xor_b32_e32 v8, vcc_hi, v1
	v_xor_b32_e32 v9, vcc_lo, v1
	v_and_b32_e32 v1, v0, v8
	v_and_b32_e32 v0, v66, v9
	v_mbcnt_lo_u32_b32 v8, v0, 0
	v_mbcnt_hi_u32_b32 v65, v1, v8
	v_cmp_eq_u32_e32 vcc, 0, v65
	v_cmp_ne_u64_e64 s[0:1], 0, v[0:1]
	s_and_b64 s[4:5], s[0:1], vcc
	; wave barrier
	s_and_saveexec_b64 s[0:1], s[4:5]
	s_cbranch_execz .LBB788_233
; %bb.232:
	v_bcnt_u32_b32 v0, v0, 0
	v_bcnt_u32_b32 v0, v1, v0
	s_waitcnt lgkmcnt(0)
	v_add_u32_e32 v0, v63, v0
	ds_write_b32 v67, v0 offset:64
.LBB788_233:
	s_or_b64 exec, exec, s[0:1]
	s_waitcnt vmcnt(1)
	v_lshrrev_b32_e32 v0, s64, v23
	v_and_b32_e32 v68, s14, v0
	s_movk_i32 s4, 0x44
	v_mul_lo_u32 v0, v68, s4
	v_add_u32_e32 v70, v36, v0
	v_and_b32_e32 v0, 1, v68
	v_mov_b32_e32 v1, 0
	v_lshl_add_u64 v[8:9], v[0:1], 0, -1
	v_cmp_ne_u32_e32 vcc, 0, v0
	; wave barrier
	s_nop 1
	v_xor_b32_e32 v8, vcc_lo, v8
	v_xor_b32_e32 v0, vcc_hi, v9
	v_and_b32_e32 v69, exec_lo, v8
	v_lshlrev_b32_e32 v9, 30, v68
	v_mov_b32_e32 v8, v1
	v_cmp_gt_i64_e32 vcc, 0, v[8:9]
	v_not_b32_e32 v8, v9
	v_ashrrev_i32_e32 v8, 31, v8
	v_and_b32_e32 v0, exec_hi, v0
	v_xor_b32_e32 v9, vcc_hi, v8
	v_xor_b32_e32 v8, vcc_lo, v8
	v_and_b32_e32 v0, v0, v9
	v_and_b32_e32 v69, v69, v8
	v_lshlrev_b32_e32 v9, 29, v68
	v_mov_b32_e32 v8, v1
	v_cmp_gt_i64_e32 vcc, 0, v[8:9]
	v_not_b32_e32 v8, v9
	v_ashrrev_i32_e32 v8, 31, v8
	v_xor_b32_e32 v9, vcc_hi, v8
	v_xor_b32_e32 v8, vcc_lo, v8
	v_and_b32_e32 v0, v0, v9
	v_and_b32_e32 v69, v69, v8
	v_lshlrev_b32_e32 v9, 28, v68
	v_mov_b32_e32 v8, v1
	v_cmp_gt_i64_e32 vcc, 0, v[8:9]
	v_not_b32_e32 v8, v9
	v_ashrrev_i32_e32 v8, 31, v8
	;; [unrolled: 9-line block ×6, first 2 shown]
	v_xor_b32_e32 v9, vcc_hi, v8
	v_xor_b32_e32 v8, vcc_lo, v8
	ds_read_b32 v66, v70 offset:64
	v_and_b32_e32 v8, v69, v8
	v_and_b32_e32 v9, v0, v9
	v_mbcnt_lo_u32_b32 v0, v8, 0
	v_mbcnt_hi_u32_b32 v68, v9, v0
	v_cmp_eq_u32_e32 vcc, 0, v68
	v_cmp_ne_u64_e64 s[0:1], 0, v[8:9]
	s_and_b64 s[6:7], s[0:1], vcc
	; wave barrier
	s_and_saveexec_b64 s[0:1], s[6:7]
	s_cbranch_execz .LBB788_235
; %bb.234:
	v_bcnt_u32_b32 v0, v8, 0
	v_bcnt_u32_b32 v0, v9, v0
	s_waitcnt lgkmcnt(0)
	v_add_u32_e32 v0, v66, v0
	ds_write_b32 v70, v0 offset:64
.LBB788_235:
	s_or_b64 exec, exec, s[0:1]
	s_waitcnt vmcnt(0)
	v_lshrrev_b32_e32 v0, s64, v24
	v_and_b32_e32 v71, s14, v0
	v_mul_lo_u32 v0, v71, s4
	v_add_u32_e32 v72, v36, v0
	v_and_b32_e32 v0, 1, v71
	v_lshl_add_u64 v[8:9], v[0:1], 0, -1
	v_cmp_ne_u32_e32 vcc, 0, v0
	; wave barrier
	s_nop 1
	v_xor_b32_e32 v8, vcc_lo, v8
	v_xor_b32_e32 v0, vcc_hi, v9
	v_and_b32_e32 v36, exec_lo, v8
	v_lshlrev_b32_e32 v9, 30, v71
	v_mov_b32_e32 v8, v1
	v_cmp_gt_i64_e32 vcc, 0, v[8:9]
	v_not_b32_e32 v8, v9
	v_ashrrev_i32_e32 v8, 31, v8
	v_and_b32_e32 v0, exec_hi, v0
	v_xor_b32_e32 v9, vcc_hi, v8
	v_xor_b32_e32 v8, vcc_lo, v8
	v_and_b32_e32 v0, v0, v9
	v_and_b32_e32 v36, v36, v8
	v_lshlrev_b32_e32 v9, 29, v71
	v_mov_b32_e32 v8, v1
	v_cmp_gt_i64_e32 vcc, 0, v[8:9]
	v_not_b32_e32 v8, v9
	v_ashrrev_i32_e32 v8, 31, v8
	v_xor_b32_e32 v9, vcc_hi, v8
	v_xor_b32_e32 v8, vcc_lo, v8
	v_and_b32_e32 v0, v0, v9
	v_and_b32_e32 v36, v36, v8
	v_lshlrev_b32_e32 v9, 28, v71
	v_mov_b32_e32 v8, v1
	v_cmp_gt_i64_e32 vcc, 0, v[8:9]
	v_not_b32_e32 v8, v9
	v_ashrrev_i32_e32 v8, 31, v8
	;; [unrolled: 9-line block ×5, first 2 shown]
	v_xor_b32_e32 v9, vcc_hi, v8
	v_xor_b32_e32 v8, vcc_lo, v8
	v_and_b32_e32 v0, v0, v9
	v_lshlrev_b32_e32 v9, 24, v71
	v_and_b32_e32 v36, v36, v8
	v_mov_b32_e32 v8, v1
	v_not_b32_e32 v1, v9
	v_cmp_gt_i64_e32 vcc, 0, v[8:9]
	v_ashrrev_i32_e32 v1, 31, v1
	ds_read_b32 v69, v72 offset:64
	v_xor_b32_e32 v8, vcc_hi, v1
	v_xor_b32_e32 v9, vcc_lo, v1
	v_and_b32_e32 v1, v0, v8
	v_and_b32_e32 v0, v36, v9
	v_mbcnt_lo_u32_b32 v8, v0, 0
	v_mbcnt_hi_u32_b32 v71, v1, v8
	v_cmp_eq_u32_e32 vcc, 0, v71
	v_cmp_ne_u64_e64 s[0:1], 0, v[0:1]
	s_and_b64 s[4:5], s[0:1], vcc
	; wave barrier
	s_and_saveexec_b64 s[0:1], s[4:5]
	s_cbranch_execz .LBB788_237
; %bb.236:
	v_bcnt_u32_b32 v0, v0, 0
	v_bcnt_u32_b32 v0, v1, v0
	s_waitcnt lgkmcnt(0)
	v_add_u32_e32 v0, v69, v0
	ds_write_b32 v72, v0 offset:64
.LBB788_237:
	s_or_b64 exec, exec, s[0:1]
	; wave barrier
	s_waitcnt lgkmcnt(0)
	s_barrier
	ds_read2_b32 v[8:9], v11 offset0:16 offset1:17
	ds_read2_b32 v[0:1], v11 offset0:18 offset1:19
	ds_read_b32 v36, v11 offset:80
	v_cmp_lt_u32_e64 s[8:9], 31, v10
	s_waitcnt lgkmcnt(1)
	v_add3_u32 v73, v9, v8, v0
	s_waitcnt lgkmcnt(0)
	v_add3_u32 v36, v73, v1, v36
	v_and_b32_e32 v73, 15, v10
	v_cmp_eq_u32_e32 vcc, 0, v73
	v_mov_b32_dpp v74, v36 row_shr:1 row_mask:0xf bank_mask:0xf
	v_cmp_lt_u32_e64 s[0:1], 1, v73
	v_cndmask_b32_e64 v74, v74, 0, vcc
	v_add_u32_e32 v36, v74, v36
	v_cmp_lt_u32_e64 s[6:7], 3, v73
	v_cmp_lt_u32_e64 s[4:5], 7, v73
	v_mov_b32_dpp v74, v36 row_shr:2 row_mask:0xf bank_mask:0xf
	v_cndmask_b32_e64 v74, 0, v74, s[0:1]
	v_add_u32_e32 v36, v36, v74
	s_nop 1
	v_mov_b32_dpp v74, v36 row_shr:4 row_mask:0xf bank_mask:0xf
	v_cndmask_b32_e64 v74, 0, v74, s[6:7]
	v_add_u32_e32 v36, v36, v74
	s_nop 1
	v_mov_b32_dpp v74, v36 row_shr:8 row_mask:0xf bank_mask:0xf
	v_cndmask_b32_e64 v73, 0, v74, s[4:5]
	v_add_u32_e32 v36, v36, v73
	v_bfe_i32 v74, v10, 4, 1
	s_nop 0
	v_mov_b32_dpp v73, v36 row_bcast:15 row_mask:0xf bank_mask:0xf
	v_and_b32_e32 v73, v74, v73
	v_add_u32_e32 v36, v36, v73
	v_lshrrev_b32_e32 v74, 6, v2
	s_nop 0
	v_mov_b32_dpp v73, v36 row_bcast:31 row_mask:0xf bank_mask:0xf
	v_cndmask_b32_e64 v73, 0, v73, s[8:9]
	v_add_u32_e32 v73, v36, v73
	v_and_b32_e32 v36, 63, v2
	v_cmp_eq_u32_e64 s[8:9], 63, v36
	s_and_saveexec_b64 s[12:13], s[8:9]
; %bb.238:
	v_lshlrev_b32_e32 v36, 2, v74
	ds_write_b32 v36, v73
; %bb.239:
	s_or_b64 exec, exec, s[12:13]
	v_cmp_gt_u32_e64 s[8:9], 16, v2
	v_lshlrev_b32_e32 v36, 2, v2
	s_waitcnt lgkmcnt(0)
	s_barrier
	s_and_saveexec_b64 s[12:13], s[8:9]
	s_cbranch_execz .LBB788_241
; %bb.240:
	ds_read_b32 v75, v36
	s_waitcnt lgkmcnt(0)
	s_nop 0
	v_mov_b32_dpp v76, v75 row_shr:1 row_mask:0xf bank_mask:0xf
	v_cndmask_b32_e64 v76, v76, 0, vcc
	v_add_u32_e32 v75, v76, v75
	s_nop 1
	v_mov_b32_dpp v76, v75 row_shr:2 row_mask:0xf bank_mask:0xf
	v_cndmask_b32_e64 v76, 0, v76, s[0:1]
	v_add_u32_e32 v75, v75, v76
	s_nop 1
	v_mov_b32_dpp v76, v75 row_shr:4 row_mask:0xf bank_mask:0xf
	v_cndmask_b32_e64 v76, 0, v76, s[6:7]
	;; [unrolled: 4-line block ×3, first 2 shown]
	v_add_u32_e32 v75, v75, v76
	ds_write_b32 v36, v75
.LBB788_241:
	s_or_b64 exec, exec, s[12:13]
	v_cmp_lt_u32_e32 vcc, 63, v2
	v_mov_b32_e32 v75, 0
	s_waitcnt lgkmcnt(0)
	s_barrier
	s_and_saveexec_b64 s[0:1], vcc
; %bb.242:
	v_lshl_add_u32 v74, v74, 2, -4
	ds_read_b32 v75, v74
; %bb.243:
	s_or_b64 exec, exec, s[0:1]
	v_subrev_co_u32_e32 v74, vcc, 1, v10
	v_and_b32_e32 v76, 64, v10
	v_cmp_lt_i32_e64 s[0:1], v74, v76
	s_waitcnt lgkmcnt(0)
	v_add_u32_e32 v73, v75, v73
	s_movk_i32 s4, 0x100
	v_cndmask_b32_e64 v10, v74, v10, s[0:1]
	v_lshlrev_b32_e32 v10, 2, v10
	ds_bpermute_b32 v10, v10, v73
	s_movk_i32 s0, 0xff
	s_waitcnt lgkmcnt(0)
	v_cndmask_b32_e32 v10, v10, v75, vcc
	v_cmp_ne_u32_e32 vcc, 0, v2
	s_nop 1
	v_cndmask_b32_e32 v10, 0, v10, vcc
	v_add_u32_e32 v8, v10, v8
	v_add_u32_e32 v9, v8, v9
	;; [unrolled: 1-line block ×4, first 2 shown]
	ds_write2_b32 v11, v10, v8 offset0:16 offset1:17
	ds_write2_b32 v11, v9, v0 offset0:18 offset1:19
	ds_write_b32 v11, v1 offset:80
	s_waitcnt lgkmcnt(0)
	s_barrier
	ds_read_b32 v73, v31 offset:64
	ds_read_b32 v74, v34 offset:64
	;; [unrolled: 1-line block ×16, first 2 shown]
	v_cmp_lt_u32_e32 vcc, s0, v2
	v_cmp_gt_u32_e64 s[0:1], s4, v2
                                        ; implicit-def: $vgpr29
                                        ; implicit-def: $vgpr31
	s_and_saveexec_b64 s[6:7], s[0:1]
	s_cbranch_execz .LBB788_247
; %bb.244:
	v_mul_u32_u24_e32 v0, 0x44, v2
	ds_read_b32 v29, v0 offset:64
	v_add_u32_e32 v1, 1, v2
	v_cmp_ne_u32_e64 s[4:5], s4, v1
	v_mov_b32_e32 v0, 0x4000
	s_and_saveexec_b64 s[8:9], s[4:5]
; %bb.245:
	v_mul_u32_u24_e32 v0, 0x44, v1
	ds_read_b32 v0, v0 offset:64
; %bb.246:
	s_or_b64 exec, exec, s[8:9]
	s_waitcnt lgkmcnt(0)
	v_sub_u32_e32 v31, v0, v29
.LBB788_247:
	s_or_b64 exec, exec, s[6:7]
	v_mov_b32_e32 v1, 0
	s_waitcnt lgkmcnt(0)
	s_barrier
	s_and_saveexec_b64 s[4:5], s[0:1]
	s_cbranch_execz .LBB788_257
; %bb.248:
	v_lshl_add_u32 v0, s2, 8, v2
	v_lshl_add_u64 v[8:9], v[0:1], 2, s[50:51]
	v_or_b32_e32 v0, 2.0, v31
	s_mov_b64 s[6:7], 0
	s_brev_b32 s15, -4
	s_mov_b32 s16, s2
	v_mov_b32_e32 v52, 0
	global_store_dword v[8:9], v0, off sc1
                                        ; implicit-def: $sgpr0_sgpr1
	s_branch .LBB788_251
.LBB788_249:                            ;   in Loop: Header=BB788_251 Depth=1
	s_or_b64 exec, exec, s[12:13]
.LBB788_250:                            ;   in Loop: Header=BB788_251 Depth=1
	s_or_b64 exec, exec, s[8:9]
	v_and_b32_e32 v10, 0x3fffffff, v0
	v_add_u32_e32 v52, v10, v52
	v_cmp_gt_i32_e64 s[0:1], -2.0, v0
	s_and_b64 s[8:9], exec, s[0:1]
	s_or_b64 s[6:7], s[8:9], s[6:7]
	s_andn2_b64 exec, exec, s[6:7]
	s_cbranch_execz .LBB788_256
.LBB788_251:                            ; =>This Loop Header: Depth=1
                                        ;     Child Loop BB788_254 Depth 2
	s_or_b64 s[0:1], s[0:1], exec
	s_cmp_eq_u32 s16, 0
	s_cbranch_scc1 .LBB788_255
; %bb.252:                              ;   in Loop: Header=BB788_251 Depth=1
	s_add_i32 s16, s16, -1
	v_lshl_or_b32 v0, s16, 8, v2
	v_lshl_add_u64 v[10:11], v[0:1], 2, s[50:51]
	global_load_dword v0, v[10:11], off sc1
	s_waitcnt vmcnt(0)
	v_cmp_gt_u32_e64 s[0:1], 2.0, v0
	s_and_saveexec_b64 s[8:9], s[0:1]
	s_cbranch_execz .LBB788_250
; %bb.253:                              ;   in Loop: Header=BB788_251 Depth=1
	s_mov_b64 s[12:13], 0
.LBB788_254:                            ;   Parent Loop BB788_251 Depth=1
                                        ; =>  This Inner Loop Header: Depth=2
	global_load_dword v0, v[10:11], off sc1
	s_waitcnt vmcnt(0)
	v_cmp_lt_u32_e64 s[0:1], s15, v0
	s_or_b64 s[12:13], s[0:1], s[12:13]
	s_andn2_b64 exec, exec, s[12:13]
	s_cbranch_execnz .LBB788_254
	s_branch .LBB788_249
.LBB788_255:                            ;   in Loop: Header=BB788_251 Depth=1
                                        ; implicit-def: $sgpr16
	s_and_b64 s[8:9], exec, s[0:1]
	s_or_b64 s[6:7], s[8:9], s[6:7]
	s_andn2_b64 exec, exec, s[6:7]
	s_cbranch_execnz .LBB788_251
.LBB788_256:
	s_or_b64 exec, exec, s[6:7]
	v_add_u32_e32 v0, v52, v31
	v_or_b32_e32 v0, 0x80000000, v0
	global_store_dword v[8:9], v0, off sc1
	global_load_dword v0, v36, s[60:61]
	v_sub_u32_e32 v1, v52, v29
	s_waitcnt vmcnt(0)
	v_add_u32_e32 v0, v1, v0
	ds_write_b32 v36, v0
.LBB788_257:
	s_or_b64 exec, exec, s[4:5]
	v_add_u32_e32 v8, v47, v26
	v_add3_u32 v0, v27, v25, v73
	v_add3_u32 v1, v30, v28, v74
	;; [unrolled: 1-line block ×15, first 2 shown]
	v_mov_b32_e32 v85, 0x400
	s_mov_b32 s6, s64
	s_mov_b32 s7, s14
	s_movk_i32 s8, 0x400
	v_lshl_add_u32 v9, v9, 2, v85
	v_add3_u32 v10, v71, v41, v69
	v_lshl_add_u32 v11, v11, 2, v85
	v_add3_u32 v26, v68, v34, v66
	v_lshl_add_u32 v34, v84, 2, v85
	v_add3_u32 v38, v65, v38, v63
	v_lshl_add_u32 v41, v83, 2, v85
	v_add3_u32 v44, v62, v44, v60
	v_lshl_add_u32 v47, v47, 2, v85
	v_add3_u32 v49, v59, v49, v57
	v_lshl_add_u32 v52, v52, 2, v85
	v_add3_u32 v54, v56, v55, v54
	v_lshl_add_u32 v55, v82, 2, v85
	v_add3_u32 v51, v53, v81, v51
	v_lshl_add_u32 v53, v72, 2, v85
	v_add3_u32 v48, v50, v80, v48
	v_lshl_add_u32 v50, v70, 2, v85
	v_add3_u32 v45, v46, v79, v45
	v_lshl_add_u32 v46, v67, 2, v85
	v_add3_u32 v42, v43, v78, v42
	v_lshl_add_u32 v43, v64, 2, v85
	v_add3_u32 v39, v40, v77, v39
	v_lshl_add_u32 v40, v61, 2, v85
	v_add3_u32 v35, v37, v76, v35
	v_lshl_add_u32 v37, v58, 2, v85
	v_add3_u32 v32, v33, v75, v32
	v_lshl_add_u32 v33, v1, 2, v85
	v_add3_u32 v28, v30, v74, v28
	v_lshl_add_u32 v30, v0, 2, v85
	v_add3_u32 v25, v27, v73, v25
	v_lshl_add_u32 v27, v8, 2, v85
	s_mov_b32 s9, 0
	s_mov_b32 s12, 0
	s_movk_i32 s13, 0x1000
	v_mov_b32_e32 v1, 0
	s_movk_i32 s15, 0x800
	s_movk_i32 s16, 0xc00
	v_mov_b32_e32 v56, v2
	s_mov_b32 s17, 0
	s_branch .LBB788_259
.LBB788_258:                            ;   in Loop: Header=BB788_259 Depth=1
	s_or_b64 exec, exec, s[4:5]
	s_waitcnt lgkmcnt(0)
	s_barrier
	ds_read2st64_b32 v[62:63], v36 offset0:4 offset1:20
	ds_read2st64_b32 v[64:65], v36 offset0:36 offset1:52
	s_addk_i32 s17, 0xc000
	s_addk_i32 s12, 0xf000
	s_waitcnt lgkmcnt(1)
	v_lshrrev_b32_e32 v57, s64, v62
	v_lshrrev_b32_e32 v0, s6, v63
	v_and_b32_e32 v58, s14, v57
	v_and_b32_e32 v59, s7, v0
	v_lshlrev_b32_e32 v0, 2, v58
	ds_read_b32 v0, v0
	s_waitcnt lgkmcnt(1)
	v_lshrrev_b32_e32 v60, s6, v65
	v_lshrrev_b32_e32 v66, s64, v64
	v_lshlrev_b32_e32 v57, 2, v59
	v_and_b32_e32 v61, s7, v60
	v_and_b32_e32 v60, s14, v66
	v_lshlrev_b32_e32 v66, 2, v60
	v_lshlrev_b32_e32 v67, 2, v61
	ds_read_b32 v57, v57
	ds_read_b32 v68, v66
	;; [unrolled: 1-line block ×3, first 2 shown]
	s_waitcnt lgkmcnt(3)
	v_add_u32_e32 v0, v56, v0
	v_lshl_add_u64 v[66:67], v[0:1], 2, s[54:55]
	s_waitcnt lgkmcnt(2)
	v_add3_u32 v0, v56, v57, s8
	global_store_dword v[66:67], v62, off
	v_lshl_add_u64 v[66:67], v[0:1], 2, s[54:55]
	s_waitcnt lgkmcnt(1)
	v_add3_u32 v0, v56, v68, s15
	global_store_dword v[66:67], v63, off
	;; [unrolled: 4-line block ×3, first 2 shown]
	v_lshl_add_u64 v[62:63], v[0:1], 2, s[54:55]
	global_store_dword v[62:63], v65, off
	scratch_store_dwordx4 off, v[58:61], s9
	s_add_i32 s9, s9, 16
	s_cmp_eq_u32 s17, 0xffff0000
	v_add_u32_e32 v56, 0x1000, v56
	s_barrier
	s_cbranch_scc1 .LBB788_291
.LBB788_259:                            ; =>This Inner Loop Header: Depth=1
	v_add_u32_e32 v0, s12, v8
	v_cmp_gt_u32_e64 s[0:1], s13, v0
	s_and_saveexec_b64 s[4:5], s[0:1]
; %bb.260:                              ;   in Loop: Header=BB788_259 Depth=1
	v_add_u32_e32 v0, s17, v27
	ds_write_b32 v0, v3
; %bb.261:                              ;   in Loop: Header=BB788_259 Depth=1
	s_or_b64 exec, exec, s[4:5]
	v_add_u32_e32 v0, s12, v25
	v_cmp_gt_u32_e64 s[0:1], s13, v0
	s_and_saveexec_b64 s[4:5], s[0:1]
; %bb.262:                              ;   in Loop: Header=BB788_259 Depth=1
	v_add_u32_e32 v0, s17, v30
	ds_write_b32 v0, v5
; %bb.263:                              ;   in Loop: Header=BB788_259 Depth=1
	s_or_b64 exec, exec, s[4:5]
	v_add_u32_e32 v0, s12, v28
	v_cmp_gt_u32_e64 s[0:1], s13, v0
	s_and_saveexec_b64 s[4:5], s[0:1]
; %bb.264:                              ;   in Loop: Header=BB788_259 Depth=1
	v_add_u32_e32 v0, s17, v33
	ds_write_b32 v0, v7
; %bb.265:                              ;   in Loop: Header=BB788_259 Depth=1
	s_or_b64 exec, exec, s[4:5]
	v_add_u32_e32 v0, s12, v32
	v_cmp_gt_u32_e64 s[0:1], s13, v0
	s_and_saveexec_b64 s[4:5], s[0:1]
; %bb.266:                              ;   in Loop: Header=BB788_259 Depth=1
	v_add_u32_e32 v0, s17, v37
	ds_write_b32 v0, v12
; %bb.267:                              ;   in Loop: Header=BB788_259 Depth=1
	s_or_b64 exec, exec, s[4:5]
	v_add_u32_e32 v0, s12, v35
	v_cmp_gt_u32_e64 s[0:1], s13, v0
	s_and_saveexec_b64 s[4:5], s[0:1]
; %bb.268:                              ;   in Loop: Header=BB788_259 Depth=1
	v_add_u32_e32 v0, s17, v40
	ds_write_b32 v0, v13
; %bb.269:                              ;   in Loop: Header=BB788_259 Depth=1
	s_or_b64 exec, exec, s[4:5]
	v_add_u32_e32 v0, s12, v39
	v_cmp_gt_u32_e64 s[0:1], s13, v0
	s_and_saveexec_b64 s[4:5], s[0:1]
; %bb.270:                              ;   in Loop: Header=BB788_259 Depth=1
	v_add_u32_e32 v0, s17, v43
	ds_write_b32 v0, v14
; %bb.271:                              ;   in Loop: Header=BB788_259 Depth=1
	s_or_b64 exec, exec, s[4:5]
	v_add_u32_e32 v0, s12, v42
	v_cmp_gt_u32_e64 s[0:1], s13, v0
	s_and_saveexec_b64 s[4:5], s[0:1]
; %bb.272:                              ;   in Loop: Header=BB788_259 Depth=1
	v_add_u32_e32 v0, s17, v46
	ds_write_b32 v0, v15
; %bb.273:                              ;   in Loop: Header=BB788_259 Depth=1
	s_or_b64 exec, exec, s[4:5]
	v_add_u32_e32 v0, s12, v45
	v_cmp_gt_u32_e64 s[0:1], s13, v0
	s_and_saveexec_b64 s[4:5], s[0:1]
; %bb.274:                              ;   in Loop: Header=BB788_259 Depth=1
	v_add_u32_e32 v0, s17, v50
	ds_write_b32 v0, v16
; %bb.275:                              ;   in Loop: Header=BB788_259 Depth=1
	s_or_b64 exec, exec, s[4:5]
	v_add_u32_e32 v0, s12, v48
	v_cmp_gt_u32_e64 s[0:1], s13, v0
	s_and_saveexec_b64 s[4:5], s[0:1]
; %bb.276:                              ;   in Loop: Header=BB788_259 Depth=1
	v_add_u32_e32 v0, s17, v53
	ds_write_b32 v0, v17
; %bb.277:                              ;   in Loop: Header=BB788_259 Depth=1
	s_or_b64 exec, exec, s[4:5]
	v_add_u32_e32 v0, s12, v51
	v_cmp_gt_u32_e64 s[0:1], s13, v0
	s_and_saveexec_b64 s[4:5], s[0:1]
; %bb.278:                              ;   in Loop: Header=BB788_259 Depth=1
	v_add_u32_e32 v0, s17, v55
	ds_write_b32 v0, v18
; %bb.279:                              ;   in Loop: Header=BB788_259 Depth=1
	s_or_b64 exec, exec, s[4:5]
	v_add_u32_e32 v0, s12, v54
	v_cmp_gt_u32_e64 s[0:1], s13, v0
	s_and_saveexec_b64 s[4:5], s[0:1]
; %bb.280:                              ;   in Loop: Header=BB788_259 Depth=1
	v_add_u32_e32 v0, s17, v52
	ds_write_b32 v0, v19
; %bb.281:                              ;   in Loop: Header=BB788_259 Depth=1
	s_or_b64 exec, exec, s[4:5]
	v_add_u32_e32 v0, s12, v49
	v_cmp_gt_u32_e64 s[0:1], s13, v0
	s_and_saveexec_b64 s[4:5], s[0:1]
; %bb.282:                              ;   in Loop: Header=BB788_259 Depth=1
	v_add_u32_e32 v0, s17, v47
	ds_write_b32 v0, v20
; %bb.283:                              ;   in Loop: Header=BB788_259 Depth=1
	s_or_b64 exec, exec, s[4:5]
	v_add_u32_e32 v0, s12, v44
	v_cmp_gt_u32_e64 s[0:1], s13, v0
	s_and_saveexec_b64 s[4:5], s[0:1]
; %bb.284:                              ;   in Loop: Header=BB788_259 Depth=1
	v_add_u32_e32 v0, s17, v41
	ds_write_b32 v0, v21
; %bb.285:                              ;   in Loop: Header=BB788_259 Depth=1
	s_or_b64 exec, exec, s[4:5]
	v_add_u32_e32 v0, s12, v38
	v_cmp_gt_u32_e64 s[0:1], s13, v0
	s_and_saveexec_b64 s[4:5], s[0:1]
; %bb.286:                              ;   in Loop: Header=BB788_259 Depth=1
	v_add_u32_e32 v0, s17, v34
	ds_write_b32 v0, v22
; %bb.287:                              ;   in Loop: Header=BB788_259 Depth=1
	s_or_b64 exec, exec, s[4:5]
	v_add_u32_e32 v0, s12, v26
	v_cmp_gt_u32_e64 s[0:1], s13, v0
	s_and_saveexec_b64 s[4:5], s[0:1]
; %bb.288:                              ;   in Loop: Header=BB788_259 Depth=1
	v_add_u32_e32 v0, s17, v11
	ds_write_b32 v0, v23
; %bb.289:                              ;   in Loop: Header=BB788_259 Depth=1
	s_or_b64 exec, exec, s[4:5]
	v_add_u32_e32 v0, s12, v10
	v_cmp_gt_u32_e64 s[0:1], s13, v0
	s_and_saveexec_b64 s[4:5], s[0:1]
	s_cbranch_execz .LBB788_258
; %bb.290:                              ;   in Loop: Header=BB788_259 Depth=1
	v_add_u32_e32 v0, s17, v9
	ds_write_b32 v0, v24
	s_branch .LBB788_258
.LBB788_291:
	s_add_u32 s0, s56, s10
	s_addc_u32 s1, s57, s11
	v_mov_b32_e32 v5, 0
	v_lshl_add_u64 v[0:1], s[0:1], 0, v[4:5]
	v_mov_b32_e32 v7, v5
	v_lshl_add_u64 v[22:23], v[0:1], 0, v[6:7]
	global_load_dword v0, v[22:23], off
	global_load_dword v1, v[22:23], off offset:256
	global_load_dword v3, v[22:23], off offset:512
	;; [unrolled: 1-line block ×14, first 2 shown]
	s_nop 0
	global_load_dword v22, v[22:23], off offset:3840
	s_mov_b32 s6, 0
	s_mov_b32 s7, 0
	s_movk_i32 s8, 0x1000
	s_movk_i32 s9, 0x400
	;; [unrolled: 1-line block ×4, first 2 shown]
	s_mov_b32 s12, 0
	s_branch .LBB788_293
.LBB788_292:                            ;   in Loop: Header=BB788_293 Depth=1
	s_or_b64 exec, exec, s[4:5]
	s_waitcnt lgkmcnt(0)
	s_barrier
	scratch_load_dwordx4 v[56:59], off, s6
	ds_read2st64_b32 v[60:61], v36 offset0:4 offset1:20
	ds_read2st64_b32 v[62:63], v36 offset0:36 offset1:52
	s_addk_i32 s12, 0xc000
	s_addk_i32 s7, 0xf000
	s_add_i32 s6, s6, 16
	s_cmp_eq_u32 s12, 0xffff0000
	s_waitcnt vmcnt(0)
	v_lshlrev_b32_e32 v4, 2, v56
	ds_read_b32 v4, v4
	v_lshlrev_b32_e32 v23, 2, v57
	v_lshlrev_b32_e32 v24, 2, v58
	;; [unrolled: 1-line block ×3, first 2 shown]
	ds_read_b32 v23, v23
	ds_read_b32 v24, v24
	;; [unrolled: 1-line block ×3, first 2 shown]
	s_waitcnt lgkmcnt(3)
	v_add_u32_e32 v4, v2, v4
	v_lshl_add_u64 v[56:57], v[4:5], 2, s[58:59]
	s_waitcnt lgkmcnt(2)
	v_add3_u32 v4, v2, v23, s9
	global_store_dword v[56:57], v60, off
	v_lshl_add_u64 v[56:57], v[4:5], 2, s[58:59]
	s_waitcnt lgkmcnt(1)
	v_add3_u32 v4, v2, v24, s10
	global_store_dword v[56:57], v61, off
	v_lshl_add_u64 v[56:57], v[4:5], 2, s[58:59]
	s_waitcnt lgkmcnt(0)
	v_add3_u32 v4, v2, v58, s11
	global_store_dword v[56:57], v62, off
	v_lshl_add_u64 v[56:57], v[4:5], 2, s[58:59]
	v_add_u32_e32 v2, 0x1000, v2
	global_store_dword v[56:57], v63, off
	s_barrier
	s_cbranch_scc1 .LBB788_325
.LBB788_293:                            ; =>This Inner Loop Header: Depth=1
	v_add_u32_e32 v4, s7, v8
	v_cmp_gt_u32_e64 s[0:1], s8, v4
	s_and_saveexec_b64 s[4:5], s[0:1]
	s_cbranch_execz .LBB788_295
; %bb.294:                              ;   in Loop: Header=BB788_293 Depth=1
	v_add_u32_e32 v4, s12, v27
	s_waitcnt vmcnt(15)
	ds_write_b32 v4, v0
.LBB788_295:                            ;   in Loop: Header=BB788_293 Depth=1
	s_or_b64 exec, exec, s[4:5]
	v_add_u32_e32 v4, s7, v25
	v_cmp_gt_u32_e64 s[0:1], s8, v4
	s_and_saveexec_b64 s[4:5], s[0:1]
	s_cbranch_execz .LBB788_297
; %bb.296:                              ;   in Loop: Header=BB788_293 Depth=1
	v_add_u32_e32 v4, s12, v30
	s_waitcnt vmcnt(14)
	ds_write_b32 v4, v1
.LBB788_297:                            ;   in Loop: Header=BB788_293 Depth=1
	s_or_b64 exec, exec, s[4:5]
	;; [unrolled: 10-line block ×15, first 2 shown]
	v_add_u32_e32 v4, s7, v10
	v_cmp_gt_u32_e64 s[0:1], s8, v4
	s_and_saveexec_b64 s[4:5], s[0:1]
	s_cbranch_execz .LBB788_292
; %bb.324:                              ;   in Loop: Header=BB788_293 Depth=1
	v_add_u32_e32 v4, s12, v9
	s_waitcnt vmcnt(0)
	ds_write_b32 v4, v22
	s_branch .LBB788_292
.LBB788_325:
	s_add_i32 s3, s3, -1
	s_cmp_eq_u32 s2, s3
	s_cselect_b64 s[0:1], -1, 0
	s_xor_b64 s[2:3], vcc, -1
	s_and_b64 s[0:1], s[2:3], s[0:1]
	s_and_saveexec_b64 s[2:3], s[0:1]
	s_cbranch_execz .LBB788_327
; %bb.326:
	ds_read_b32 v0, v36
	s_waitcnt lgkmcnt(0)
	v_add3_u32 v0, v29, v31, v0
	global_store_dword v36, v0, s[62:63]
.LBB788_327:
	s_endpgm
	.section	.rodata,"a",@progbits
	.p2align	6, 0x0
	.amdhsa_kernel _ZN7rocprim17ROCPRIM_400000_NS6detail17trampoline_kernelINS0_14default_configENS1_35radix_sort_onesweep_config_selectorIjjEEZZNS1_29radix_sort_onesweep_iterationIS3_Lb0EN6thrust23THRUST_200600_302600_NS6detail15normal_iteratorINS8_10device_ptrIjEEEESD_SD_SD_jNS0_19identity_decomposerENS1_16block_id_wrapperIjLb0EEEEE10hipError_tT1_PNSt15iterator_traitsISI_E10value_typeET2_T3_PNSJ_ISO_E10value_typeET4_T5_PST_SU_PNS1_23onesweep_lookback_stateEbbT6_jjT7_P12ihipStream_tbENKUlT_T0_SI_SN_E_clISD_PjSD_S15_EEDaS11_S12_SI_SN_EUlS11_E_NS1_11comp_targetILNS1_3genE6ELNS1_11target_archE950ELNS1_3gpuE13ELNS1_3repE0EEENS1_47radix_sort_onesweep_sort_config_static_selectorELNS0_4arch9wavefront6targetE1EEEvSI_
		.amdhsa_group_segment_fixed_size 20552
		.amdhsa_private_segment_fixed_size 80
		.amdhsa_kernarg_size 344
		.amdhsa_user_sgpr_count 2
		.amdhsa_user_sgpr_dispatch_ptr 0
		.amdhsa_user_sgpr_queue_ptr 0
		.amdhsa_user_sgpr_kernarg_segment_ptr 1
		.amdhsa_user_sgpr_dispatch_id 0
		.amdhsa_user_sgpr_kernarg_preload_length 0
		.amdhsa_user_sgpr_kernarg_preload_offset 0
		.amdhsa_user_sgpr_private_segment_size 0
		.amdhsa_uses_dynamic_stack 0
		.amdhsa_enable_private_segment 1
		.amdhsa_system_sgpr_workgroup_id_x 1
		.amdhsa_system_sgpr_workgroup_id_y 0
		.amdhsa_system_sgpr_workgroup_id_z 0
		.amdhsa_system_sgpr_workgroup_info 0
		.amdhsa_system_vgpr_workitem_id 2
		.amdhsa_next_free_vgpr 88
		.amdhsa_next_free_sgpr 70
		.amdhsa_accum_offset 88
		.amdhsa_reserve_vcc 1
		.amdhsa_float_round_mode_32 0
		.amdhsa_float_round_mode_16_64 0
		.amdhsa_float_denorm_mode_32 3
		.amdhsa_float_denorm_mode_16_64 3
		.amdhsa_dx10_clamp 1
		.amdhsa_ieee_mode 1
		.amdhsa_fp16_overflow 0
		.amdhsa_tg_split 0
		.amdhsa_exception_fp_ieee_invalid_op 0
		.amdhsa_exception_fp_denorm_src 0
		.amdhsa_exception_fp_ieee_div_zero 0
		.amdhsa_exception_fp_ieee_overflow 0
		.amdhsa_exception_fp_ieee_underflow 0
		.amdhsa_exception_fp_ieee_inexact 0
		.amdhsa_exception_int_div_zero 0
	.end_amdhsa_kernel
	.section	.text._ZN7rocprim17ROCPRIM_400000_NS6detail17trampoline_kernelINS0_14default_configENS1_35radix_sort_onesweep_config_selectorIjjEEZZNS1_29radix_sort_onesweep_iterationIS3_Lb0EN6thrust23THRUST_200600_302600_NS6detail15normal_iteratorINS8_10device_ptrIjEEEESD_SD_SD_jNS0_19identity_decomposerENS1_16block_id_wrapperIjLb0EEEEE10hipError_tT1_PNSt15iterator_traitsISI_E10value_typeET2_T3_PNSJ_ISO_E10value_typeET4_T5_PST_SU_PNS1_23onesweep_lookback_stateEbbT6_jjT7_P12ihipStream_tbENKUlT_T0_SI_SN_E_clISD_PjSD_S15_EEDaS11_S12_SI_SN_EUlS11_E_NS1_11comp_targetILNS1_3genE6ELNS1_11target_archE950ELNS1_3gpuE13ELNS1_3repE0EEENS1_47radix_sort_onesweep_sort_config_static_selectorELNS0_4arch9wavefront6targetE1EEEvSI_,"axG",@progbits,_ZN7rocprim17ROCPRIM_400000_NS6detail17trampoline_kernelINS0_14default_configENS1_35radix_sort_onesweep_config_selectorIjjEEZZNS1_29radix_sort_onesweep_iterationIS3_Lb0EN6thrust23THRUST_200600_302600_NS6detail15normal_iteratorINS8_10device_ptrIjEEEESD_SD_SD_jNS0_19identity_decomposerENS1_16block_id_wrapperIjLb0EEEEE10hipError_tT1_PNSt15iterator_traitsISI_E10value_typeET2_T3_PNSJ_ISO_E10value_typeET4_T5_PST_SU_PNS1_23onesweep_lookback_stateEbbT6_jjT7_P12ihipStream_tbENKUlT_T0_SI_SN_E_clISD_PjSD_S15_EEDaS11_S12_SI_SN_EUlS11_E_NS1_11comp_targetILNS1_3genE6ELNS1_11target_archE950ELNS1_3gpuE13ELNS1_3repE0EEENS1_47radix_sort_onesweep_sort_config_static_selectorELNS0_4arch9wavefront6targetE1EEEvSI_,comdat
.Lfunc_end788:
	.size	_ZN7rocprim17ROCPRIM_400000_NS6detail17trampoline_kernelINS0_14default_configENS1_35radix_sort_onesweep_config_selectorIjjEEZZNS1_29radix_sort_onesweep_iterationIS3_Lb0EN6thrust23THRUST_200600_302600_NS6detail15normal_iteratorINS8_10device_ptrIjEEEESD_SD_SD_jNS0_19identity_decomposerENS1_16block_id_wrapperIjLb0EEEEE10hipError_tT1_PNSt15iterator_traitsISI_E10value_typeET2_T3_PNSJ_ISO_E10value_typeET4_T5_PST_SU_PNS1_23onesweep_lookback_stateEbbT6_jjT7_P12ihipStream_tbENKUlT_T0_SI_SN_E_clISD_PjSD_S15_EEDaS11_S12_SI_SN_EUlS11_E_NS1_11comp_targetILNS1_3genE6ELNS1_11target_archE950ELNS1_3gpuE13ELNS1_3repE0EEENS1_47radix_sort_onesweep_sort_config_static_selectorELNS0_4arch9wavefront6targetE1EEEvSI_, .Lfunc_end788-_ZN7rocprim17ROCPRIM_400000_NS6detail17trampoline_kernelINS0_14default_configENS1_35radix_sort_onesweep_config_selectorIjjEEZZNS1_29radix_sort_onesweep_iterationIS3_Lb0EN6thrust23THRUST_200600_302600_NS6detail15normal_iteratorINS8_10device_ptrIjEEEESD_SD_SD_jNS0_19identity_decomposerENS1_16block_id_wrapperIjLb0EEEEE10hipError_tT1_PNSt15iterator_traitsISI_E10value_typeET2_T3_PNSJ_ISO_E10value_typeET4_T5_PST_SU_PNS1_23onesweep_lookback_stateEbbT6_jjT7_P12ihipStream_tbENKUlT_T0_SI_SN_E_clISD_PjSD_S15_EEDaS11_S12_SI_SN_EUlS11_E_NS1_11comp_targetILNS1_3genE6ELNS1_11target_archE950ELNS1_3gpuE13ELNS1_3repE0EEENS1_47radix_sort_onesweep_sort_config_static_selectorELNS0_4arch9wavefront6targetE1EEEvSI_
                                        ; -- End function
	.set _ZN7rocprim17ROCPRIM_400000_NS6detail17trampoline_kernelINS0_14default_configENS1_35radix_sort_onesweep_config_selectorIjjEEZZNS1_29radix_sort_onesweep_iterationIS3_Lb0EN6thrust23THRUST_200600_302600_NS6detail15normal_iteratorINS8_10device_ptrIjEEEESD_SD_SD_jNS0_19identity_decomposerENS1_16block_id_wrapperIjLb0EEEEE10hipError_tT1_PNSt15iterator_traitsISI_E10value_typeET2_T3_PNSJ_ISO_E10value_typeET4_T5_PST_SU_PNS1_23onesweep_lookback_stateEbbT6_jjT7_P12ihipStream_tbENKUlT_T0_SI_SN_E_clISD_PjSD_S15_EEDaS11_S12_SI_SN_EUlS11_E_NS1_11comp_targetILNS1_3genE6ELNS1_11target_archE950ELNS1_3gpuE13ELNS1_3repE0EEENS1_47radix_sort_onesweep_sort_config_static_selectorELNS0_4arch9wavefront6targetE1EEEvSI_.num_vgpr, 88
	.set _ZN7rocprim17ROCPRIM_400000_NS6detail17trampoline_kernelINS0_14default_configENS1_35radix_sort_onesweep_config_selectorIjjEEZZNS1_29radix_sort_onesweep_iterationIS3_Lb0EN6thrust23THRUST_200600_302600_NS6detail15normal_iteratorINS8_10device_ptrIjEEEESD_SD_SD_jNS0_19identity_decomposerENS1_16block_id_wrapperIjLb0EEEEE10hipError_tT1_PNSt15iterator_traitsISI_E10value_typeET2_T3_PNSJ_ISO_E10value_typeET4_T5_PST_SU_PNS1_23onesweep_lookback_stateEbbT6_jjT7_P12ihipStream_tbENKUlT_T0_SI_SN_E_clISD_PjSD_S15_EEDaS11_S12_SI_SN_EUlS11_E_NS1_11comp_targetILNS1_3genE6ELNS1_11target_archE950ELNS1_3gpuE13ELNS1_3repE0EEENS1_47radix_sort_onesweep_sort_config_static_selectorELNS0_4arch9wavefront6targetE1EEEvSI_.num_agpr, 0
	.set _ZN7rocprim17ROCPRIM_400000_NS6detail17trampoline_kernelINS0_14default_configENS1_35radix_sort_onesweep_config_selectorIjjEEZZNS1_29radix_sort_onesweep_iterationIS3_Lb0EN6thrust23THRUST_200600_302600_NS6detail15normal_iteratorINS8_10device_ptrIjEEEESD_SD_SD_jNS0_19identity_decomposerENS1_16block_id_wrapperIjLb0EEEEE10hipError_tT1_PNSt15iterator_traitsISI_E10value_typeET2_T3_PNSJ_ISO_E10value_typeET4_T5_PST_SU_PNS1_23onesweep_lookback_stateEbbT6_jjT7_P12ihipStream_tbENKUlT_T0_SI_SN_E_clISD_PjSD_S15_EEDaS11_S12_SI_SN_EUlS11_E_NS1_11comp_targetILNS1_3genE6ELNS1_11target_archE950ELNS1_3gpuE13ELNS1_3repE0EEENS1_47radix_sort_onesweep_sort_config_static_selectorELNS0_4arch9wavefront6targetE1EEEvSI_.numbered_sgpr, 70
	.set _ZN7rocprim17ROCPRIM_400000_NS6detail17trampoline_kernelINS0_14default_configENS1_35radix_sort_onesweep_config_selectorIjjEEZZNS1_29radix_sort_onesweep_iterationIS3_Lb0EN6thrust23THRUST_200600_302600_NS6detail15normal_iteratorINS8_10device_ptrIjEEEESD_SD_SD_jNS0_19identity_decomposerENS1_16block_id_wrapperIjLb0EEEEE10hipError_tT1_PNSt15iterator_traitsISI_E10value_typeET2_T3_PNSJ_ISO_E10value_typeET4_T5_PST_SU_PNS1_23onesweep_lookback_stateEbbT6_jjT7_P12ihipStream_tbENKUlT_T0_SI_SN_E_clISD_PjSD_S15_EEDaS11_S12_SI_SN_EUlS11_E_NS1_11comp_targetILNS1_3genE6ELNS1_11target_archE950ELNS1_3gpuE13ELNS1_3repE0EEENS1_47radix_sort_onesweep_sort_config_static_selectorELNS0_4arch9wavefront6targetE1EEEvSI_.num_named_barrier, 0
	.set _ZN7rocprim17ROCPRIM_400000_NS6detail17trampoline_kernelINS0_14default_configENS1_35radix_sort_onesweep_config_selectorIjjEEZZNS1_29radix_sort_onesweep_iterationIS3_Lb0EN6thrust23THRUST_200600_302600_NS6detail15normal_iteratorINS8_10device_ptrIjEEEESD_SD_SD_jNS0_19identity_decomposerENS1_16block_id_wrapperIjLb0EEEEE10hipError_tT1_PNSt15iterator_traitsISI_E10value_typeET2_T3_PNSJ_ISO_E10value_typeET4_T5_PST_SU_PNS1_23onesweep_lookback_stateEbbT6_jjT7_P12ihipStream_tbENKUlT_T0_SI_SN_E_clISD_PjSD_S15_EEDaS11_S12_SI_SN_EUlS11_E_NS1_11comp_targetILNS1_3genE6ELNS1_11target_archE950ELNS1_3gpuE13ELNS1_3repE0EEENS1_47radix_sort_onesweep_sort_config_static_selectorELNS0_4arch9wavefront6targetE1EEEvSI_.private_seg_size, 80
	.set _ZN7rocprim17ROCPRIM_400000_NS6detail17trampoline_kernelINS0_14default_configENS1_35radix_sort_onesweep_config_selectorIjjEEZZNS1_29radix_sort_onesweep_iterationIS3_Lb0EN6thrust23THRUST_200600_302600_NS6detail15normal_iteratorINS8_10device_ptrIjEEEESD_SD_SD_jNS0_19identity_decomposerENS1_16block_id_wrapperIjLb0EEEEE10hipError_tT1_PNSt15iterator_traitsISI_E10value_typeET2_T3_PNSJ_ISO_E10value_typeET4_T5_PST_SU_PNS1_23onesweep_lookback_stateEbbT6_jjT7_P12ihipStream_tbENKUlT_T0_SI_SN_E_clISD_PjSD_S15_EEDaS11_S12_SI_SN_EUlS11_E_NS1_11comp_targetILNS1_3genE6ELNS1_11target_archE950ELNS1_3gpuE13ELNS1_3repE0EEENS1_47radix_sort_onesweep_sort_config_static_selectorELNS0_4arch9wavefront6targetE1EEEvSI_.uses_vcc, 1
	.set _ZN7rocprim17ROCPRIM_400000_NS6detail17trampoline_kernelINS0_14default_configENS1_35radix_sort_onesweep_config_selectorIjjEEZZNS1_29radix_sort_onesweep_iterationIS3_Lb0EN6thrust23THRUST_200600_302600_NS6detail15normal_iteratorINS8_10device_ptrIjEEEESD_SD_SD_jNS0_19identity_decomposerENS1_16block_id_wrapperIjLb0EEEEE10hipError_tT1_PNSt15iterator_traitsISI_E10value_typeET2_T3_PNSJ_ISO_E10value_typeET4_T5_PST_SU_PNS1_23onesweep_lookback_stateEbbT6_jjT7_P12ihipStream_tbENKUlT_T0_SI_SN_E_clISD_PjSD_S15_EEDaS11_S12_SI_SN_EUlS11_E_NS1_11comp_targetILNS1_3genE6ELNS1_11target_archE950ELNS1_3gpuE13ELNS1_3repE0EEENS1_47radix_sort_onesweep_sort_config_static_selectorELNS0_4arch9wavefront6targetE1EEEvSI_.uses_flat_scratch, 0
	.set _ZN7rocprim17ROCPRIM_400000_NS6detail17trampoline_kernelINS0_14default_configENS1_35radix_sort_onesweep_config_selectorIjjEEZZNS1_29radix_sort_onesweep_iterationIS3_Lb0EN6thrust23THRUST_200600_302600_NS6detail15normal_iteratorINS8_10device_ptrIjEEEESD_SD_SD_jNS0_19identity_decomposerENS1_16block_id_wrapperIjLb0EEEEE10hipError_tT1_PNSt15iterator_traitsISI_E10value_typeET2_T3_PNSJ_ISO_E10value_typeET4_T5_PST_SU_PNS1_23onesweep_lookback_stateEbbT6_jjT7_P12ihipStream_tbENKUlT_T0_SI_SN_E_clISD_PjSD_S15_EEDaS11_S12_SI_SN_EUlS11_E_NS1_11comp_targetILNS1_3genE6ELNS1_11target_archE950ELNS1_3gpuE13ELNS1_3repE0EEENS1_47radix_sort_onesweep_sort_config_static_selectorELNS0_4arch9wavefront6targetE1EEEvSI_.has_dyn_sized_stack, 0
	.set _ZN7rocprim17ROCPRIM_400000_NS6detail17trampoline_kernelINS0_14default_configENS1_35radix_sort_onesweep_config_selectorIjjEEZZNS1_29radix_sort_onesweep_iterationIS3_Lb0EN6thrust23THRUST_200600_302600_NS6detail15normal_iteratorINS8_10device_ptrIjEEEESD_SD_SD_jNS0_19identity_decomposerENS1_16block_id_wrapperIjLb0EEEEE10hipError_tT1_PNSt15iterator_traitsISI_E10value_typeET2_T3_PNSJ_ISO_E10value_typeET4_T5_PST_SU_PNS1_23onesweep_lookback_stateEbbT6_jjT7_P12ihipStream_tbENKUlT_T0_SI_SN_E_clISD_PjSD_S15_EEDaS11_S12_SI_SN_EUlS11_E_NS1_11comp_targetILNS1_3genE6ELNS1_11target_archE950ELNS1_3gpuE13ELNS1_3repE0EEENS1_47radix_sort_onesweep_sort_config_static_selectorELNS0_4arch9wavefront6targetE1EEEvSI_.has_recursion, 0
	.set _ZN7rocprim17ROCPRIM_400000_NS6detail17trampoline_kernelINS0_14default_configENS1_35radix_sort_onesweep_config_selectorIjjEEZZNS1_29radix_sort_onesweep_iterationIS3_Lb0EN6thrust23THRUST_200600_302600_NS6detail15normal_iteratorINS8_10device_ptrIjEEEESD_SD_SD_jNS0_19identity_decomposerENS1_16block_id_wrapperIjLb0EEEEE10hipError_tT1_PNSt15iterator_traitsISI_E10value_typeET2_T3_PNSJ_ISO_E10value_typeET4_T5_PST_SU_PNS1_23onesweep_lookback_stateEbbT6_jjT7_P12ihipStream_tbENKUlT_T0_SI_SN_E_clISD_PjSD_S15_EEDaS11_S12_SI_SN_EUlS11_E_NS1_11comp_targetILNS1_3genE6ELNS1_11target_archE950ELNS1_3gpuE13ELNS1_3repE0EEENS1_47radix_sort_onesweep_sort_config_static_selectorELNS0_4arch9wavefront6targetE1EEEvSI_.has_indirect_call, 0
	.section	.AMDGPU.csdata,"",@progbits
; Kernel info:
; codeLenInByte = 22092
; TotalNumSgprs: 76
; NumVgprs: 88
; NumAgprs: 0
; TotalNumVgprs: 88
; ScratchSize: 80
; MemoryBound: 0
; FloatMode: 240
; IeeeMode: 1
; LDSByteSize: 20552 bytes/workgroup (compile time only)
; SGPRBlocks: 9
; VGPRBlocks: 10
; NumSGPRsForWavesPerEU: 76
; NumVGPRsForWavesPerEU: 88
; AccumOffset: 88
; Occupancy: 5
; WaveLimiterHint : 1
; COMPUTE_PGM_RSRC2:SCRATCH_EN: 1
; COMPUTE_PGM_RSRC2:USER_SGPR: 2
; COMPUTE_PGM_RSRC2:TRAP_HANDLER: 0
; COMPUTE_PGM_RSRC2:TGID_X_EN: 1
; COMPUTE_PGM_RSRC2:TGID_Y_EN: 0
; COMPUTE_PGM_RSRC2:TGID_Z_EN: 0
; COMPUTE_PGM_RSRC2:TIDIG_COMP_CNT: 2
; COMPUTE_PGM_RSRC3_GFX90A:ACCUM_OFFSET: 21
; COMPUTE_PGM_RSRC3_GFX90A:TG_SPLIT: 0
	.section	.text._ZN7rocprim17ROCPRIM_400000_NS6detail17trampoline_kernelINS0_14default_configENS1_35radix_sort_onesweep_config_selectorIjjEEZZNS1_29radix_sort_onesweep_iterationIS3_Lb0EN6thrust23THRUST_200600_302600_NS6detail15normal_iteratorINS8_10device_ptrIjEEEESD_SD_SD_jNS0_19identity_decomposerENS1_16block_id_wrapperIjLb0EEEEE10hipError_tT1_PNSt15iterator_traitsISI_E10value_typeET2_T3_PNSJ_ISO_E10value_typeET4_T5_PST_SU_PNS1_23onesweep_lookback_stateEbbT6_jjT7_P12ihipStream_tbENKUlT_T0_SI_SN_E_clISD_PjSD_S15_EEDaS11_S12_SI_SN_EUlS11_E_NS1_11comp_targetILNS1_3genE5ELNS1_11target_archE942ELNS1_3gpuE9ELNS1_3repE0EEENS1_47radix_sort_onesweep_sort_config_static_selectorELNS0_4arch9wavefront6targetE1EEEvSI_,"axG",@progbits,_ZN7rocprim17ROCPRIM_400000_NS6detail17trampoline_kernelINS0_14default_configENS1_35radix_sort_onesweep_config_selectorIjjEEZZNS1_29radix_sort_onesweep_iterationIS3_Lb0EN6thrust23THRUST_200600_302600_NS6detail15normal_iteratorINS8_10device_ptrIjEEEESD_SD_SD_jNS0_19identity_decomposerENS1_16block_id_wrapperIjLb0EEEEE10hipError_tT1_PNSt15iterator_traitsISI_E10value_typeET2_T3_PNSJ_ISO_E10value_typeET4_T5_PST_SU_PNS1_23onesweep_lookback_stateEbbT6_jjT7_P12ihipStream_tbENKUlT_T0_SI_SN_E_clISD_PjSD_S15_EEDaS11_S12_SI_SN_EUlS11_E_NS1_11comp_targetILNS1_3genE5ELNS1_11target_archE942ELNS1_3gpuE9ELNS1_3repE0EEENS1_47radix_sort_onesweep_sort_config_static_selectorELNS0_4arch9wavefront6targetE1EEEvSI_,comdat
	.protected	_ZN7rocprim17ROCPRIM_400000_NS6detail17trampoline_kernelINS0_14default_configENS1_35radix_sort_onesweep_config_selectorIjjEEZZNS1_29radix_sort_onesweep_iterationIS3_Lb0EN6thrust23THRUST_200600_302600_NS6detail15normal_iteratorINS8_10device_ptrIjEEEESD_SD_SD_jNS0_19identity_decomposerENS1_16block_id_wrapperIjLb0EEEEE10hipError_tT1_PNSt15iterator_traitsISI_E10value_typeET2_T3_PNSJ_ISO_E10value_typeET4_T5_PST_SU_PNS1_23onesweep_lookback_stateEbbT6_jjT7_P12ihipStream_tbENKUlT_T0_SI_SN_E_clISD_PjSD_S15_EEDaS11_S12_SI_SN_EUlS11_E_NS1_11comp_targetILNS1_3genE5ELNS1_11target_archE942ELNS1_3gpuE9ELNS1_3repE0EEENS1_47radix_sort_onesweep_sort_config_static_selectorELNS0_4arch9wavefront6targetE1EEEvSI_ ; -- Begin function _ZN7rocprim17ROCPRIM_400000_NS6detail17trampoline_kernelINS0_14default_configENS1_35radix_sort_onesweep_config_selectorIjjEEZZNS1_29radix_sort_onesweep_iterationIS3_Lb0EN6thrust23THRUST_200600_302600_NS6detail15normal_iteratorINS8_10device_ptrIjEEEESD_SD_SD_jNS0_19identity_decomposerENS1_16block_id_wrapperIjLb0EEEEE10hipError_tT1_PNSt15iterator_traitsISI_E10value_typeET2_T3_PNSJ_ISO_E10value_typeET4_T5_PST_SU_PNS1_23onesweep_lookback_stateEbbT6_jjT7_P12ihipStream_tbENKUlT_T0_SI_SN_E_clISD_PjSD_S15_EEDaS11_S12_SI_SN_EUlS11_E_NS1_11comp_targetILNS1_3genE5ELNS1_11target_archE942ELNS1_3gpuE9ELNS1_3repE0EEENS1_47radix_sort_onesweep_sort_config_static_selectorELNS0_4arch9wavefront6targetE1EEEvSI_
	.globl	_ZN7rocprim17ROCPRIM_400000_NS6detail17trampoline_kernelINS0_14default_configENS1_35radix_sort_onesweep_config_selectorIjjEEZZNS1_29radix_sort_onesweep_iterationIS3_Lb0EN6thrust23THRUST_200600_302600_NS6detail15normal_iteratorINS8_10device_ptrIjEEEESD_SD_SD_jNS0_19identity_decomposerENS1_16block_id_wrapperIjLb0EEEEE10hipError_tT1_PNSt15iterator_traitsISI_E10value_typeET2_T3_PNSJ_ISO_E10value_typeET4_T5_PST_SU_PNS1_23onesweep_lookback_stateEbbT6_jjT7_P12ihipStream_tbENKUlT_T0_SI_SN_E_clISD_PjSD_S15_EEDaS11_S12_SI_SN_EUlS11_E_NS1_11comp_targetILNS1_3genE5ELNS1_11target_archE942ELNS1_3gpuE9ELNS1_3repE0EEENS1_47radix_sort_onesweep_sort_config_static_selectorELNS0_4arch9wavefront6targetE1EEEvSI_
	.p2align	8
	.type	_ZN7rocprim17ROCPRIM_400000_NS6detail17trampoline_kernelINS0_14default_configENS1_35radix_sort_onesweep_config_selectorIjjEEZZNS1_29radix_sort_onesweep_iterationIS3_Lb0EN6thrust23THRUST_200600_302600_NS6detail15normal_iteratorINS8_10device_ptrIjEEEESD_SD_SD_jNS0_19identity_decomposerENS1_16block_id_wrapperIjLb0EEEEE10hipError_tT1_PNSt15iterator_traitsISI_E10value_typeET2_T3_PNSJ_ISO_E10value_typeET4_T5_PST_SU_PNS1_23onesweep_lookback_stateEbbT6_jjT7_P12ihipStream_tbENKUlT_T0_SI_SN_E_clISD_PjSD_S15_EEDaS11_S12_SI_SN_EUlS11_E_NS1_11comp_targetILNS1_3genE5ELNS1_11target_archE942ELNS1_3gpuE9ELNS1_3repE0EEENS1_47radix_sort_onesweep_sort_config_static_selectorELNS0_4arch9wavefront6targetE1EEEvSI_,@function
_ZN7rocprim17ROCPRIM_400000_NS6detail17trampoline_kernelINS0_14default_configENS1_35radix_sort_onesweep_config_selectorIjjEEZZNS1_29radix_sort_onesweep_iterationIS3_Lb0EN6thrust23THRUST_200600_302600_NS6detail15normal_iteratorINS8_10device_ptrIjEEEESD_SD_SD_jNS0_19identity_decomposerENS1_16block_id_wrapperIjLb0EEEEE10hipError_tT1_PNSt15iterator_traitsISI_E10value_typeET2_T3_PNSJ_ISO_E10value_typeET4_T5_PST_SU_PNS1_23onesweep_lookback_stateEbbT6_jjT7_P12ihipStream_tbENKUlT_T0_SI_SN_E_clISD_PjSD_S15_EEDaS11_S12_SI_SN_EUlS11_E_NS1_11comp_targetILNS1_3genE5ELNS1_11target_archE942ELNS1_3gpuE9ELNS1_3repE0EEENS1_47radix_sort_onesweep_sort_config_static_selectorELNS0_4arch9wavefront6targetE1EEEvSI_: ; @_ZN7rocprim17ROCPRIM_400000_NS6detail17trampoline_kernelINS0_14default_configENS1_35radix_sort_onesweep_config_selectorIjjEEZZNS1_29radix_sort_onesweep_iterationIS3_Lb0EN6thrust23THRUST_200600_302600_NS6detail15normal_iteratorINS8_10device_ptrIjEEEESD_SD_SD_jNS0_19identity_decomposerENS1_16block_id_wrapperIjLb0EEEEE10hipError_tT1_PNSt15iterator_traitsISI_E10value_typeET2_T3_PNSJ_ISO_E10value_typeET4_T5_PST_SU_PNS1_23onesweep_lookback_stateEbbT6_jjT7_P12ihipStream_tbENKUlT_T0_SI_SN_E_clISD_PjSD_S15_EEDaS11_S12_SI_SN_EUlS11_E_NS1_11comp_targetILNS1_3genE5ELNS1_11target_archE942ELNS1_3gpuE9ELNS1_3repE0EEENS1_47radix_sort_onesweep_sort_config_static_selectorELNS0_4arch9wavefront6targetE1EEEvSI_
; %bb.0:
	.section	.rodata,"a",@progbits
	.p2align	6, 0x0
	.amdhsa_kernel _ZN7rocprim17ROCPRIM_400000_NS6detail17trampoline_kernelINS0_14default_configENS1_35radix_sort_onesweep_config_selectorIjjEEZZNS1_29radix_sort_onesweep_iterationIS3_Lb0EN6thrust23THRUST_200600_302600_NS6detail15normal_iteratorINS8_10device_ptrIjEEEESD_SD_SD_jNS0_19identity_decomposerENS1_16block_id_wrapperIjLb0EEEEE10hipError_tT1_PNSt15iterator_traitsISI_E10value_typeET2_T3_PNSJ_ISO_E10value_typeET4_T5_PST_SU_PNS1_23onesweep_lookback_stateEbbT6_jjT7_P12ihipStream_tbENKUlT_T0_SI_SN_E_clISD_PjSD_S15_EEDaS11_S12_SI_SN_EUlS11_E_NS1_11comp_targetILNS1_3genE5ELNS1_11target_archE942ELNS1_3gpuE9ELNS1_3repE0EEENS1_47radix_sort_onesweep_sort_config_static_selectorELNS0_4arch9wavefront6targetE1EEEvSI_
		.amdhsa_group_segment_fixed_size 0
		.amdhsa_private_segment_fixed_size 0
		.amdhsa_kernarg_size 88
		.amdhsa_user_sgpr_count 2
		.amdhsa_user_sgpr_dispatch_ptr 0
		.amdhsa_user_sgpr_queue_ptr 0
		.amdhsa_user_sgpr_kernarg_segment_ptr 1
		.amdhsa_user_sgpr_dispatch_id 0
		.amdhsa_user_sgpr_kernarg_preload_length 0
		.amdhsa_user_sgpr_kernarg_preload_offset 0
		.amdhsa_user_sgpr_private_segment_size 0
		.amdhsa_uses_dynamic_stack 0
		.amdhsa_enable_private_segment 0
		.amdhsa_system_sgpr_workgroup_id_x 1
		.amdhsa_system_sgpr_workgroup_id_y 0
		.amdhsa_system_sgpr_workgroup_id_z 0
		.amdhsa_system_sgpr_workgroup_info 0
		.amdhsa_system_vgpr_workitem_id 0
		.amdhsa_next_free_vgpr 1
		.amdhsa_next_free_sgpr 0
		.amdhsa_accum_offset 4
		.amdhsa_reserve_vcc 0
		.amdhsa_float_round_mode_32 0
		.amdhsa_float_round_mode_16_64 0
		.amdhsa_float_denorm_mode_32 3
		.amdhsa_float_denorm_mode_16_64 3
		.amdhsa_dx10_clamp 1
		.amdhsa_ieee_mode 1
		.amdhsa_fp16_overflow 0
		.amdhsa_tg_split 0
		.amdhsa_exception_fp_ieee_invalid_op 0
		.amdhsa_exception_fp_denorm_src 0
		.amdhsa_exception_fp_ieee_div_zero 0
		.amdhsa_exception_fp_ieee_overflow 0
		.amdhsa_exception_fp_ieee_underflow 0
		.amdhsa_exception_fp_ieee_inexact 0
		.amdhsa_exception_int_div_zero 0
	.end_amdhsa_kernel
	.section	.text._ZN7rocprim17ROCPRIM_400000_NS6detail17trampoline_kernelINS0_14default_configENS1_35radix_sort_onesweep_config_selectorIjjEEZZNS1_29radix_sort_onesweep_iterationIS3_Lb0EN6thrust23THRUST_200600_302600_NS6detail15normal_iteratorINS8_10device_ptrIjEEEESD_SD_SD_jNS0_19identity_decomposerENS1_16block_id_wrapperIjLb0EEEEE10hipError_tT1_PNSt15iterator_traitsISI_E10value_typeET2_T3_PNSJ_ISO_E10value_typeET4_T5_PST_SU_PNS1_23onesweep_lookback_stateEbbT6_jjT7_P12ihipStream_tbENKUlT_T0_SI_SN_E_clISD_PjSD_S15_EEDaS11_S12_SI_SN_EUlS11_E_NS1_11comp_targetILNS1_3genE5ELNS1_11target_archE942ELNS1_3gpuE9ELNS1_3repE0EEENS1_47radix_sort_onesweep_sort_config_static_selectorELNS0_4arch9wavefront6targetE1EEEvSI_,"axG",@progbits,_ZN7rocprim17ROCPRIM_400000_NS6detail17trampoline_kernelINS0_14default_configENS1_35radix_sort_onesweep_config_selectorIjjEEZZNS1_29radix_sort_onesweep_iterationIS3_Lb0EN6thrust23THRUST_200600_302600_NS6detail15normal_iteratorINS8_10device_ptrIjEEEESD_SD_SD_jNS0_19identity_decomposerENS1_16block_id_wrapperIjLb0EEEEE10hipError_tT1_PNSt15iterator_traitsISI_E10value_typeET2_T3_PNSJ_ISO_E10value_typeET4_T5_PST_SU_PNS1_23onesweep_lookback_stateEbbT6_jjT7_P12ihipStream_tbENKUlT_T0_SI_SN_E_clISD_PjSD_S15_EEDaS11_S12_SI_SN_EUlS11_E_NS1_11comp_targetILNS1_3genE5ELNS1_11target_archE942ELNS1_3gpuE9ELNS1_3repE0EEENS1_47radix_sort_onesweep_sort_config_static_selectorELNS0_4arch9wavefront6targetE1EEEvSI_,comdat
.Lfunc_end789:
	.size	_ZN7rocprim17ROCPRIM_400000_NS6detail17trampoline_kernelINS0_14default_configENS1_35radix_sort_onesweep_config_selectorIjjEEZZNS1_29radix_sort_onesweep_iterationIS3_Lb0EN6thrust23THRUST_200600_302600_NS6detail15normal_iteratorINS8_10device_ptrIjEEEESD_SD_SD_jNS0_19identity_decomposerENS1_16block_id_wrapperIjLb0EEEEE10hipError_tT1_PNSt15iterator_traitsISI_E10value_typeET2_T3_PNSJ_ISO_E10value_typeET4_T5_PST_SU_PNS1_23onesweep_lookback_stateEbbT6_jjT7_P12ihipStream_tbENKUlT_T0_SI_SN_E_clISD_PjSD_S15_EEDaS11_S12_SI_SN_EUlS11_E_NS1_11comp_targetILNS1_3genE5ELNS1_11target_archE942ELNS1_3gpuE9ELNS1_3repE0EEENS1_47radix_sort_onesweep_sort_config_static_selectorELNS0_4arch9wavefront6targetE1EEEvSI_, .Lfunc_end789-_ZN7rocprim17ROCPRIM_400000_NS6detail17trampoline_kernelINS0_14default_configENS1_35radix_sort_onesweep_config_selectorIjjEEZZNS1_29radix_sort_onesweep_iterationIS3_Lb0EN6thrust23THRUST_200600_302600_NS6detail15normal_iteratorINS8_10device_ptrIjEEEESD_SD_SD_jNS0_19identity_decomposerENS1_16block_id_wrapperIjLb0EEEEE10hipError_tT1_PNSt15iterator_traitsISI_E10value_typeET2_T3_PNSJ_ISO_E10value_typeET4_T5_PST_SU_PNS1_23onesweep_lookback_stateEbbT6_jjT7_P12ihipStream_tbENKUlT_T0_SI_SN_E_clISD_PjSD_S15_EEDaS11_S12_SI_SN_EUlS11_E_NS1_11comp_targetILNS1_3genE5ELNS1_11target_archE942ELNS1_3gpuE9ELNS1_3repE0EEENS1_47radix_sort_onesweep_sort_config_static_selectorELNS0_4arch9wavefront6targetE1EEEvSI_
                                        ; -- End function
	.set _ZN7rocprim17ROCPRIM_400000_NS6detail17trampoline_kernelINS0_14default_configENS1_35radix_sort_onesweep_config_selectorIjjEEZZNS1_29radix_sort_onesweep_iterationIS3_Lb0EN6thrust23THRUST_200600_302600_NS6detail15normal_iteratorINS8_10device_ptrIjEEEESD_SD_SD_jNS0_19identity_decomposerENS1_16block_id_wrapperIjLb0EEEEE10hipError_tT1_PNSt15iterator_traitsISI_E10value_typeET2_T3_PNSJ_ISO_E10value_typeET4_T5_PST_SU_PNS1_23onesweep_lookback_stateEbbT6_jjT7_P12ihipStream_tbENKUlT_T0_SI_SN_E_clISD_PjSD_S15_EEDaS11_S12_SI_SN_EUlS11_E_NS1_11comp_targetILNS1_3genE5ELNS1_11target_archE942ELNS1_3gpuE9ELNS1_3repE0EEENS1_47radix_sort_onesweep_sort_config_static_selectorELNS0_4arch9wavefront6targetE1EEEvSI_.num_vgpr, 0
	.set _ZN7rocprim17ROCPRIM_400000_NS6detail17trampoline_kernelINS0_14default_configENS1_35radix_sort_onesweep_config_selectorIjjEEZZNS1_29radix_sort_onesweep_iterationIS3_Lb0EN6thrust23THRUST_200600_302600_NS6detail15normal_iteratorINS8_10device_ptrIjEEEESD_SD_SD_jNS0_19identity_decomposerENS1_16block_id_wrapperIjLb0EEEEE10hipError_tT1_PNSt15iterator_traitsISI_E10value_typeET2_T3_PNSJ_ISO_E10value_typeET4_T5_PST_SU_PNS1_23onesweep_lookback_stateEbbT6_jjT7_P12ihipStream_tbENKUlT_T0_SI_SN_E_clISD_PjSD_S15_EEDaS11_S12_SI_SN_EUlS11_E_NS1_11comp_targetILNS1_3genE5ELNS1_11target_archE942ELNS1_3gpuE9ELNS1_3repE0EEENS1_47radix_sort_onesweep_sort_config_static_selectorELNS0_4arch9wavefront6targetE1EEEvSI_.num_agpr, 0
	.set _ZN7rocprim17ROCPRIM_400000_NS6detail17trampoline_kernelINS0_14default_configENS1_35radix_sort_onesweep_config_selectorIjjEEZZNS1_29radix_sort_onesweep_iterationIS3_Lb0EN6thrust23THRUST_200600_302600_NS6detail15normal_iteratorINS8_10device_ptrIjEEEESD_SD_SD_jNS0_19identity_decomposerENS1_16block_id_wrapperIjLb0EEEEE10hipError_tT1_PNSt15iterator_traitsISI_E10value_typeET2_T3_PNSJ_ISO_E10value_typeET4_T5_PST_SU_PNS1_23onesweep_lookback_stateEbbT6_jjT7_P12ihipStream_tbENKUlT_T0_SI_SN_E_clISD_PjSD_S15_EEDaS11_S12_SI_SN_EUlS11_E_NS1_11comp_targetILNS1_3genE5ELNS1_11target_archE942ELNS1_3gpuE9ELNS1_3repE0EEENS1_47radix_sort_onesweep_sort_config_static_selectorELNS0_4arch9wavefront6targetE1EEEvSI_.numbered_sgpr, 0
	.set _ZN7rocprim17ROCPRIM_400000_NS6detail17trampoline_kernelINS0_14default_configENS1_35radix_sort_onesweep_config_selectorIjjEEZZNS1_29radix_sort_onesweep_iterationIS3_Lb0EN6thrust23THRUST_200600_302600_NS6detail15normal_iteratorINS8_10device_ptrIjEEEESD_SD_SD_jNS0_19identity_decomposerENS1_16block_id_wrapperIjLb0EEEEE10hipError_tT1_PNSt15iterator_traitsISI_E10value_typeET2_T3_PNSJ_ISO_E10value_typeET4_T5_PST_SU_PNS1_23onesweep_lookback_stateEbbT6_jjT7_P12ihipStream_tbENKUlT_T0_SI_SN_E_clISD_PjSD_S15_EEDaS11_S12_SI_SN_EUlS11_E_NS1_11comp_targetILNS1_3genE5ELNS1_11target_archE942ELNS1_3gpuE9ELNS1_3repE0EEENS1_47radix_sort_onesweep_sort_config_static_selectorELNS0_4arch9wavefront6targetE1EEEvSI_.num_named_barrier, 0
	.set _ZN7rocprim17ROCPRIM_400000_NS6detail17trampoline_kernelINS0_14default_configENS1_35radix_sort_onesweep_config_selectorIjjEEZZNS1_29radix_sort_onesweep_iterationIS3_Lb0EN6thrust23THRUST_200600_302600_NS6detail15normal_iteratorINS8_10device_ptrIjEEEESD_SD_SD_jNS0_19identity_decomposerENS1_16block_id_wrapperIjLb0EEEEE10hipError_tT1_PNSt15iterator_traitsISI_E10value_typeET2_T3_PNSJ_ISO_E10value_typeET4_T5_PST_SU_PNS1_23onesweep_lookback_stateEbbT6_jjT7_P12ihipStream_tbENKUlT_T0_SI_SN_E_clISD_PjSD_S15_EEDaS11_S12_SI_SN_EUlS11_E_NS1_11comp_targetILNS1_3genE5ELNS1_11target_archE942ELNS1_3gpuE9ELNS1_3repE0EEENS1_47radix_sort_onesweep_sort_config_static_selectorELNS0_4arch9wavefront6targetE1EEEvSI_.private_seg_size, 0
	.set _ZN7rocprim17ROCPRIM_400000_NS6detail17trampoline_kernelINS0_14default_configENS1_35radix_sort_onesweep_config_selectorIjjEEZZNS1_29radix_sort_onesweep_iterationIS3_Lb0EN6thrust23THRUST_200600_302600_NS6detail15normal_iteratorINS8_10device_ptrIjEEEESD_SD_SD_jNS0_19identity_decomposerENS1_16block_id_wrapperIjLb0EEEEE10hipError_tT1_PNSt15iterator_traitsISI_E10value_typeET2_T3_PNSJ_ISO_E10value_typeET4_T5_PST_SU_PNS1_23onesweep_lookback_stateEbbT6_jjT7_P12ihipStream_tbENKUlT_T0_SI_SN_E_clISD_PjSD_S15_EEDaS11_S12_SI_SN_EUlS11_E_NS1_11comp_targetILNS1_3genE5ELNS1_11target_archE942ELNS1_3gpuE9ELNS1_3repE0EEENS1_47radix_sort_onesweep_sort_config_static_selectorELNS0_4arch9wavefront6targetE1EEEvSI_.uses_vcc, 0
	.set _ZN7rocprim17ROCPRIM_400000_NS6detail17trampoline_kernelINS0_14default_configENS1_35radix_sort_onesweep_config_selectorIjjEEZZNS1_29radix_sort_onesweep_iterationIS3_Lb0EN6thrust23THRUST_200600_302600_NS6detail15normal_iteratorINS8_10device_ptrIjEEEESD_SD_SD_jNS0_19identity_decomposerENS1_16block_id_wrapperIjLb0EEEEE10hipError_tT1_PNSt15iterator_traitsISI_E10value_typeET2_T3_PNSJ_ISO_E10value_typeET4_T5_PST_SU_PNS1_23onesweep_lookback_stateEbbT6_jjT7_P12ihipStream_tbENKUlT_T0_SI_SN_E_clISD_PjSD_S15_EEDaS11_S12_SI_SN_EUlS11_E_NS1_11comp_targetILNS1_3genE5ELNS1_11target_archE942ELNS1_3gpuE9ELNS1_3repE0EEENS1_47radix_sort_onesweep_sort_config_static_selectorELNS0_4arch9wavefront6targetE1EEEvSI_.uses_flat_scratch, 0
	.set _ZN7rocprim17ROCPRIM_400000_NS6detail17trampoline_kernelINS0_14default_configENS1_35radix_sort_onesweep_config_selectorIjjEEZZNS1_29radix_sort_onesweep_iterationIS3_Lb0EN6thrust23THRUST_200600_302600_NS6detail15normal_iteratorINS8_10device_ptrIjEEEESD_SD_SD_jNS0_19identity_decomposerENS1_16block_id_wrapperIjLb0EEEEE10hipError_tT1_PNSt15iterator_traitsISI_E10value_typeET2_T3_PNSJ_ISO_E10value_typeET4_T5_PST_SU_PNS1_23onesweep_lookback_stateEbbT6_jjT7_P12ihipStream_tbENKUlT_T0_SI_SN_E_clISD_PjSD_S15_EEDaS11_S12_SI_SN_EUlS11_E_NS1_11comp_targetILNS1_3genE5ELNS1_11target_archE942ELNS1_3gpuE9ELNS1_3repE0EEENS1_47radix_sort_onesweep_sort_config_static_selectorELNS0_4arch9wavefront6targetE1EEEvSI_.has_dyn_sized_stack, 0
	.set _ZN7rocprim17ROCPRIM_400000_NS6detail17trampoline_kernelINS0_14default_configENS1_35radix_sort_onesweep_config_selectorIjjEEZZNS1_29radix_sort_onesweep_iterationIS3_Lb0EN6thrust23THRUST_200600_302600_NS6detail15normal_iteratorINS8_10device_ptrIjEEEESD_SD_SD_jNS0_19identity_decomposerENS1_16block_id_wrapperIjLb0EEEEE10hipError_tT1_PNSt15iterator_traitsISI_E10value_typeET2_T3_PNSJ_ISO_E10value_typeET4_T5_PST_SU_PNS1_23onesweep_lookback_stateEbbT6_jjT7_P12ihipStream_tbENKUlT_T0_SI_SN_E_clISD_PjSD_S15_EEDaS11_S12_SI_SN_EUlS11_E_NS1_11comp_targetILNS1_3genE5ELNS1_11target_archE942ELNS1_3gpuE9ELNS1_3repE0EEENS1_47radix_sort_onesweep_sort_config_static_selectorELNS0_4arch9wavefront6targetE1EEEvSI_.has_recursion, 0
	.set _ZN7rocprim17ROCPRIM_400000_NS6detail17trampoline_kernelINS0_14default_configENS1_35radix_sort_onesweep_config_selectorIjjEEZZNS1_29radix_sort_onesweep_iterationIS3_Lb0EN6thrust23THRUST_200600_302600_NS6detail15normal_iteratorINS8_10device_ptrIjEEEESD_SD_SD_jNS0_19identity_decomposerENS1_16block_id_wrapperIjLb0EEEEE10hipError_tT1_PNSt15iterator_traitsISI_E10value_typeET2_T3_PNSJ_ISO_E10value_typeET4_T5_PST_SU_PNS1_23onesweep_lookback_stateEbbT6_jjT7_P12ihipStream_tbENKUlT_T0_SI_SN_E_clISD_PjSD_S15_EEDaS11_S12_SI_SN_EUlS11_E_NS1_11comp_targetILNS1_3genE5ELNS1_11target_archE942ELNS1_3gpuE9ELNS1_3repE0EEENS1_47radix_sort_onesweep_sort_config_static_selectorELNS0_4arch9wavefront6targetE1EEEvSI_.has_indirect_call, 0
	.section	.AMDGPU.csdata,"",@progbits
; Kernel info:
; codeLenInByte = 0
; TotalNumSgprs: 6
; NumVgprs: 0
; NumAgprs: 0
; TotalNumVgprs: 0
; ScratchSize: 0
; MemoryBound: 0
; FloatMode: 240
; IeeeMode: 1
; LDSByteSize: 0 bytes/workgroup (compile time only)
; SGPRBlocks: 0
; VGPRBlocks: 0
; NumSGPRsForWavesPerEU: 6
; NumVGPRsForWavesPerEU: 1
; AccumOffset: 4
; Occupancy: 8
; WaveLimiterHint : 0
; COMPUTE_PGM_RSRC2:SCRATCH_EN: 0
; COMPUTE_PGM_RSRC2:USER_SGPR: 2
; COMPUTE_PGM_RSRC2:TRAP_HANDLER: 0
; COMPUTE_PGM_RSRC2:TGID_X_EN: 1
; COMPUTE_PGM_RSRC2:TGID_Y_EN: 0
; COMPUTE_PGM_RSRC2:TGID_Z_EN: 0
; COMPUTE_PGM_RSRC2:TIDIG_COMP_CNT: 0
; COMPUTE_PGM_RSRC3_GFX90A:ACCUM_OFFSET: 0
; COMPUTE_PGM_RSRC3_GFX90A:TG_SPLIT: 0
	.section	.text._ZN7rocprim17ROCPRIM_400000_NS6detail17trampoline_kernelINS0_14default_configENS1_35radix_sort_onesweep_config_selectorIjjEEZZNS1_29radix_sort_onesweep_iterationIS3_Lb0EN6thrust23THRUST_200600_302600_NS6detail15normal_iteratorINS8_10device_ptrIjEEEESD_SD_SD_jNS0_19identity_decomposerENS1_16block_id_wrapperIjLb0EEEEE10hipError_tT1_PNSt15iterator_traitsISI_E10value_typeET2_T3_PNSJ_ISO_E10value_typeET4_T5_PST_SU_PNS1_23onesweep_lookback_stateEbbT6_jjT7_P12ihipStream_tbENKUlT_T0_SI_SN_E_clISD_PjSD_S15_EEDaS11_S12_SI_SN_EUlS11_E_NS1_11comp_targetILNS1_3genE2ELNS1_11target_archE906ELNS1_3gpuE6ELNS1_3repE0EEENS1_47radix_sort_onesweep_sort_config_static_selectorELNS0_4arch9wavefront6targetE1EEEvSI_,"axG",@progbits,_ZN7rocprim17ROCPRIM_400000_NS6detail17trampoline_kernelINS0_14default_configENS1_35radix_sort_onesweep_config_selectorIjjEEZZNS1_29radix_sort_onesweep_iterationIS3_Lb0EN6thrust23THRUST_200600_302600_NS6detail15normal_iteratorINS8_10device_ptrIjEEEESD_SD_SD_jNS0_19identity_decomposerENS1_16block_id_wrapperIjLb0EEEEE10hipError_tT1_PNSt15iterator_traitsISI_E10value_typeET2_T3_PNSJ_ISO_E10value_typeET4_T5_PST_SU_PNS1_23onesweep_lookback_stateEbbT6_jjT7_P12ihipStream_tbENKUlT_T0_SI_SN_E_clISD_PjSD_S15_EEDaS11_S12_SI_SN_EUlS11_E_NS1_11comp_targetILNS1_3genE2ELNS1_11target_archE906ELNS1_3gpuE6ELNS1_3repE0EEENS1_47radix_sort_onesweep_sort_config_static_selectorELNS0_4arch9wavefront6targetE1EEEvSI_,comdat
	.protected	_ZN7rocprim17ROCPRIM_400000_NS6detail17trampoline_kernelINS0_14default_configENS1_35radix_sort_onesweep_config_selectorIjjEEZZNS1_29radix_sort_onesweep_iterationIS3_Lb0EN6thrust23THRUST_200600_302600_NS6detail15normal_iteratorINS8_10device_ptrIjEEEESD_SD_SD_jNS0_19identity_decomposerENS1_16block_id_wrapperIjLb0EEEEE10hipError_tT1_PNSt15iterator_traitsISI_E10value_typeET2_T3_PNSJ_ISO_E10value_typeET4_T5_PST_SU_PNS1_23onesweep_lookback_stateEbbT6_jjT7_P12ihipStream_tbENKUlT_T0_SI_SN_E_clISD_PjSD_S15_EEDaS11_S12_SI_SN_EUlS11_E_NS1_11comp_targetILNS1_3genE2ELNS1_11target_archE906ELNS1_3gpuE6ELNS1_3repE0EEENS1_47radix_sort_onesweep_sort_config_static_selectorELNS0_4arch9wavefront6targetE1EEEvSI_ ; -- Begin function _ZN7rocprim17ROCPRIM_400000_NS6detail17trampoline_kernelINS0_14default_configENS1_35radix_sort_onesweep_config_selectorIjjEEZZNS1_29radix_sort_onesweep_iterationIS3_Lb0EN6thrust23THRUST_200600_302600_NS6detail15normal_iteratorINS8_10device_ptrIjEEEESD_SD_SD_jNS0_19identity_decomposerENS1_16block_id_wrapperIjLb0EEEEE10hipError_tT1_PNSt15iterator_traitsISI_E10value_typeET2_T3_PNSJ_ISO_E10value_typeET4_T5_PST_SU_PNS1_23onesweep_lookback_stateEbbT6_jjT7_P12ihipStream_tbENKUlT_T0_SI_SN_E_clISD_PjSD_S15_EEDaS11_S12_SI_SN_EUlS11_E_NS1_11comp_targetILNS1_3genE2ELNS1_11target_archE906ELNS1_3gpuE6ELNS1_3repE0EEENS1_47radix_sort_onesweep_sort_config_static_selectorELNS0_4arch9wavefront6targetE1EEEvSI_
	.globl	_ZN7rocprim17ROCPRIM_400000_NS6detail17trampoline_kernelINS0_14default_configENS1_35radix_sort_onesweep_config_selectorIjjEEZZNS1_29radix_sort_onesweep_iterationIS3_Lb0EN6thrust23THRUST_200600_302600_NS6detail15normal_iteratorINS8_10device_ptrIjEEEESD_SD_SD_jNS0_19identity_decomposerENS1_16block_id_wrapperIjLb0EEEEE10hipError_tT1_PNSt15iterator_traitsISI_E10value_typeET2_T3_PNSJ_ISO_E10value_typeET4_T5_PST_SU_PNS1_23onesweep_lookback_stateEbbT6_jjT7_P12ihipStream_tbENKUlT_T0_SI_SN_E_clISD_PjSD_S15_EEDaS11_S12_SI_SN_EUlS11_E_NS1_11comp_targetILNS1_3genE2ELNS1_11target_archE906ELNS1_3gpuE6ELNS1_3repE0EEENS1_47radix_sort_onesweep_sort_config_static_selectorELNS0_4arch9wavefront6targetE1EEEvSI_
	.p2align	8
	.type	_ZN7rocprim17ROCPRIM_400000_NS6detail17trampoline_kernelINS0_14default_configENS1_35radix_sort_onesweep_config_selectorIjjEEZZNS1_29radix_sort_onesweep_iterationIS3_Lb0EN6thrust23THRUST_200600_302600_NS6detail15normal_iteratorINS8_10device_ptrIjEEEESD_SD_SD_jNS0_19identity_decomposerENS1_16block_id_wrapperIjLb0EEEEE10hipError_tT1_PNSt15iterator_traitsISI_E10value_typeET2_T3_PNSJ_ISO_E10value_typeET4_T5_PST_SU_PNS1_23onesweep_lookback_stateEbbT6_jjT7_P12ihipStream_tbENKUlT_T0_SI_SN_E_clISD_PjSD_S15_EEDaS11_S12_SI_SN_EUlS11_E_NS1_11comp_targetILNS1_3genE2ELNS1_11target_archE906ELNS1_3gpuE6ELNS1_3repE0EEENS1_47radix_sort_onesweep_sort_config_static_selectorELNS0_4arch9wavefront6targetE1EEEvSI_,@function
_ZN7rocprim17ROCPRIM_400000_NS6detail17trampoline_kernelINS0_14default_configENS1_35radix_sort_onesweep_config_selectorIjjEEZZNS1_29radix_sort_onesweep_iterationIS3_Lb0EN6thrust23THRUST_200600_302600_NS6detail15normal_iteratorINS8_10device_ptrIjEEEESD_SD_SD_jNS0_19identity_decomposerENS1_16block_id_wrapperIjLb0EEEEE10hipError_tT1_PNSt15iterator_traitsISI_E10value_typeET2_T3_PNSJ_ISO_E10value_typeET4_T5_PST_SU_PNS1_23onesweep_lookback_stateEbbT6_jjT7_P12ihipStream_tbENKUlT_T0_SI_SN_E_clISD_PjSD_S15_EEDaS11_S12_SI_SN_EUlS11_E_NS1_11comp_targetILNS1_3genE2ELNS1_11target_archE906ELNS1_3gpuE6ELNS1_3repE0EEENS1_47radix_sort_onesweep_sort_config_static_selectorELNS0_4arch9wavefront6targetE1EEEvSI_: ; @_ZN7rocprim17ROCPRIM_400000_NS6detail17trampoline_kernelINS0_14default_configENS1_35radix_sort_onesweep_config_selectorIjjEEZZNS1_29radix_sort_onesweep_iterationIS3_Lb0EN6thrust23THRUST_200600_302600_NS6detail15normal_iteratorINS8_10device_ptrIjEEEESD_SD_SD_jNS0_19identity_decomposerENS1_16block_id_wrapperIjLb0EEEEE10hipError_tT1_PNSt15iterator_traitsISI_E10value_typeET2_T3_PNSJ_ISO_E10value_typeET4_T5_PST_SU_PNS1_23onesweep_lookback_stateEbbT6_jjT7_P12ihipStream_tbENKUlT_T0_SI_SN_E_clISD_PjSD_S15_EEDaS11_S12_SI_SN_EUlS11_E_NS1_11comp_targetILNS1_3genE2ELNS1_11target_archE906ELNS1_3gpuE6ELNS1_3repE0EEENS1_47radix_sort_onesweep_sort_config_static_selectorELNS0_4arch9wavefront6targetE1EEEvSI_
; %bb.0:
	.section	.rodata,"a",@progbits
	.p2align	6, 0x0
	.amdhsa_kernel _ZN7rocprim17ROCPRIM_400000_NS6detail17trampoline_kernelINS0_14default_configENS1_35radix_sort_onesweep_config_selectorIjjEEZZNS1_29radix_sort_onesweep_iterationIS3_Lb0EN6thrust23THRUST_200600_302600_NS6detail15normal_iteratorINS8_10device_ptrIjEEEESD_SD_SD_jNS0_19identity_decomposerENS1_16block_id_wrapperIjLb0EEEEE10hipError_tT1_PNSt15iterator_traitsISI_E10value_typeET2_T3_PNSJ_ISO_E10value_typeET4_T5_PST_SU_PNS1_23onesweep_lookback_stateEbbT6_jjT7_P12ihipStream_tbENKUlT_T0_SI_SN_E_clISD_PjSD_S15_EEDaS11_S12_SI_SN_EUlS11_E_NS1_11comp_targetILNS1_3genE2ELNS1_11target_archE906ELNS1_3gpuE6ELNS1_3repE0EEENS1_47radix_sort_onesweep_sort_config_static_selectorELNS0_4arch9wavefront6targetE1EEEvSI_
		.amdhsa_group_segment_fixed_size 0
		.amdhsa_private_segment_fixed_size 0
		.amdhsa_kernarg_size 88
		.amdhsa_user_sgpr_count 2
		.amdhsa_user_sgpr_dispatch_ptr 0
		.amdhsa_user_sgpr_queue_ptr 0
		.amdhsa_user_sgpr_kernarg_segment_ptr 1
		.amdhsa_user_sgpr_dispatch_id 0
		.amdhsa_user_sgpr_kernarg_preload_length 0
		.amdhsa_user_sgpr_kernarg_preload_offset 0
		.amdhsa_user_sgpr_private_segment_size 0
		.amdhsa_uses_dynamic_stack 0
		.amdhsa_enable_private_segment 0
		.amdhsa_system_sgpr_workgroup_id_x 1
		.amdhsa_system_sgpr_workgroup_id_y 0
		.amdhsa_system_sgpr_workgroup_id_z 0
		.amdhsa_system_sgpr_workgroup_info 0
		.amdhsa_system_vgpr_workitem_id 0
		.amdhsa_next_free_vgpr 1
		.amdhsa_next_free_sgpr 0
		.amdhsa_accum_offset 4
		.amdhsa_reserve_vcc 0
		.amdhsa_float_round_mode_32 0
		.amdhsa_float_round_mode_16_64 0
		.amdhsa_float_denorm_mode_32 3
		.amdhsa_float_denorm_mode_16_64 3
		.amdhsa_dx10_clamp 1
		.amdhsa_ieee_mode 1
		.amdhsa_fp16_overflow 0
		.amdhsa_tg_split 0
		.amdhsa_exception_fp_ieee_invalid_op 0
		.amdhsa_exception_fp_denorm_src 0
		.amdhsa_exception_fp_ieee_div_zero 0
		.amdhsa_exception_fp_ieee_overflow 0
		.amdhsa_exception_fp_ieee_underflow 0
		.amdhsa_exception_fp_ieee_inexact 0
		.amdhsa_exception_int_div_zero 0
	.end_amdhsa_kernel
	.section	.text._ZN7rocprim17ROCPRIM_400000_NS6detail17trampoline_kernelINS0_14default_configENS1_35radix_sort_onesweep_config_selectorIjjEEZZNS1_29radix_sort_onesweep_iterationIS3_Lb0EN6thrust23THRUST_200600_302600_NS6detail15normal_iteratorINS8_10device_ptrIjEEEESD_SD_SD_jNS0_19identity_decomposerENS1_16block_id_wrapperIjLb0EEEEE10hipError_tT1_PNSt15iterator_traitsISI_E10value_typeET2_T3_PNSJ_ISO_E10value_typeET4_T5_PST_SU_PNS1_23onesweep_lookback_stateEbbT6_jjT7_P12ihipStream_tbENKUlT_T0_SI_SN_E_clISD_PjSD_S15_EEDaS11_S12_SI_SN_EUlS11_E_NS1_11comp_targetILNS1_3genE2ELNS1_11target_archE906ELNS1_3gpuE6ELNS1_3repE0EEENS1_47radix_sort_onesweep_sort_config_static_selectorELNS0_4arch9wavefront6targetE1EEEvSI_,"axG",@progbits,_ZN7rocprim17ROCPRIM_400000_NS6detail17trampoline_kernelINS0_14default_configENS1_35radix_sort_onesweep_config_selectorIjjEEZZNS1_29radix_sort_onesweep_iterationIS3_Lb0EN6thrust23THRUST_200600_302600_NS6detail15normal_iteratorINS8_10device_ptrIjEEEESD_SD_SD_jNS0_19identity_decomposerENS1_16block_id_wrapperIjLb0EEEEE10hipError_tT1_PNSt15iterator_traitsISI_E10value_typeET2_T3_PNSJ_ISO_E10value_typeET4_T5_PST_SU_PNS1_23onesweep_lookback_stateEbbT6_jjT7_P12ihipStream_tbENKUlT_T0_SI_SN_E_clISD_PjSD_S15_EEDaS11_S12_SI_SN_EUlS11_E_NS1_11comp_targetILNS1_3genE2ELNS1_11target_archE906ELNS1_3gpuE6ELNS1_3repE0EEENS1_47radix_sort_onesweep_sort_config_static_selectorELNS0_4arch9wavefront6targetE1EEEvSI_,comdat
.Lfunc_end790:
	.size	_ZN7rocprim17ROCPRIM_400000_NS6detail17trampoline_kernelINS0_14default_configENS1_35radix_sort_onesweep_config_selectorIjjEEZZNS1_29radix_sort_onesweep_iterationIS3_Lb0EN6thrust23THRUST_200600_302600_NS6detail15normal_iteratorINS8_10device_ptrIjEEEESD_SD_SD_jNS0_19identity_decomposerENS1_16block_id_wrapperIjLb0EEEEE10hipError_tT1_PNSt15iterator_traitsISI_E10value_typeET2_T3_PNSJ_ISO_E10value_typeET4_T5_PST_SU_PNS1_23onesweep_lookback_stateEbbT6_jjT7_P12ihipStream_tbENKUlT_T0_SI_SN_E_clISD_PjSD_S15_EEDaS11_S12_SI_SN_EUlS11_E_NS1_11comp_targetILNS1_3genE2ELNS1_11target_archE906ELNS1_3gpuE6ELNS1_3repE0EEENS1_47radix_sort_onesweep_sort_config_static_selectorELNS0_4arch9wavefront6targetE1EEEvSI_, .Lfunc_end790-_ZN7rocprim17ROCPRIM_400000_NS6detail17trampoline_kernelINS0_14default_configENS1_35radix_sort_onesweep_config_selectorIjjEEZZNS1_29radix_sort_onesweep_iterationIS3_Lb0EN6thrust23THRUST_200600_302600_NS6detail15normal_iteratorINS8_10device_ptrIjEEEESD_SD_SD_jNS0_19identity_decomposerENS1_16block_id_wrapperIjLb0EEEEE10hipError_tT1_PNSt15iterator_traitsISI_E10value_typeET2_T3_PNSJ_ISO_E10value_typeET4_T5_PST_SU_PNS1_23onesweep_lookback_stateEbbT6_jjT7_P12ihipStream_tbENKUlT_T0_SI_SN_E_clISD_PjSD_S15_EEDaS11_S12_SI_SN_EUlS11_E_NS1_11comp_targetILNS1_3genE2ELNS1_11target_archE906ELNS1_3gpuE6ELNS1_3repE0EEENS1_47radix_sort_onesweep_sort_config_static_selectorELNS0_4arch9wavefront6targetE1EEEvSI_
                                        ; -- End function
	.set _ZN7rocprim17ROCPRIM_400000_NS6detail17trampoline_kernelINS0_14default_configENS1_35radix_sort_onesweep_config_selectorIjjEEZZNS1_29radix_sort_onesweep_iterationIS3_Lb0EN6thrust23THRUST_200600_302600_NS6detail15normal_iteratorINS8_10device_ptrIjEEEESD_SD_SD_jNS0_19identity_decomposerENS1_16block_id_wrapperIjLb0EEEEE10hipError_tT1_PNSt15iterator_traitsISI_E10value_typeET2_T3_PNSJ_ISO_E10value_typeET4_T5_PST_SU_PNS1_23onesweep_lookback_stateEbbT6_jjT7_P12ihipStream_tbENKUlT_T0_SI_SN_E_clISD_PjSD_S15_EEDaS11_S12_SI_SN_EUlS11_E_NS1_11comp_targetILNS1_3genE2ELNS1_11target_archE906ELNS1_3gpuE6ELNS1_3repE0EEENS1_47radix_sort_onesweep_sort_config_static_selectorELNS0_4arch9wavefront6targetE1EEEvSI_.num_vgpr, 0
	.set _ZN7rocprim17ROCPRIM_400000_NS6detail17trampoline_kernelINS0_14default_configENS1_35radix_sort_onesweep_config_selectorIjjEEZZNS1_29radix_sort_onesweep_iterationIS3_Lb0EN6thrust23THRUST_200600_302600_NS6detail15normal_iteratorINS8_10device_ptrIjEEEESD_SD_SD_jNS0_19identity_decomposerENS1_16block_id_wrapperIjLb0EEEEE10hipError_tT1_PNSt15iterator_traitsISI_E10value_typeET2_T3_PNSJ_ISO_E10value_typeET4_T5_PST_SU_PNS1_23onesweep_lookback_stateEbbT6_jjT7_P12ihipStream_tbENKUlT_T0_SI_SN_E_clISD_PjSD_S15_EEDaS11_S12_SI_SN_EUlS11_E_NS1_11comp_targetILNS1_3genE2ELNS1_11target_archE906ELNS1_3gpuE6ELNS1_3repE0EEENS1_47radix_sort_onesweep_sort_config_static_selectorELNS0_4arch9wavefront6targetE1EEEvSI_.num_agpr, 0
	.set _ZN7rocprim17ROCPRIM_400000_NS6detail17trampoline_kernelINS0_14default_configENS1_35radix_sort_onesweep_config_selectorIjjEEZZNS1_29radix_sort_onesweep_iterationIS3_Lb0EN6thrust23THRUST_200600_302600_NS6detail15normal_iteratorINS8_10device_ptrIjEEEESD_SD_SD_jNS0_19identity_decomposerENS1_16block_id_wrapperIjLb0EEEEE10hipError_tT1_PNSt15iterator_traitsISI_E10value_typeET2_T3_PNSJ_ISO_E10value_typeET4_T5_PST_SU_PNS1_23onesweep_lookback_stateEbbT6_jjT7_P12ihipStream_tbENKUlT_T0_SI_SN_E_clISD_PjSD_S15_EEDaS11_S12_SI_SN_EUlS11_E_NS1_11comp_targetILNS1_3genE2ELNS1_11target_archE906ELNS1_3gpuE6ELNS1_3repE0EEENS1_47radix_sort_onesweep_sort_config_static_selectorELNS0_4arch9wavefront6targetE1EEEvSI_.numbered_sgpr, 0
	.set _ZN7rocprim17ROCPRIM_400000_NS6detail17trampoline_kernelINS0_14default_configENS1_35radix_sort_onesweep_config_selectorIjjEEZZNS1_29radix_sort_onesweep_iterationIS3_Lb0EN6thrust23THRUST_200600_302600_NS6detail15normal_iteratorINS8_10device_ptrIjEEEESD_SD_SD_jNS0_19identity_decomposerENS1_16block_id_wrapperIjLb0EEEEE10hipError_tT1_PNSt15iterator_traitsISI_E10value_typeET2_T3_PNSJ_ISO_E10value_typeET4_T5_PST_SU_PNS1_23onesweep_lookback_stateEbbT6_jjT7_P12ihipStream_tbENKUlT_T0_SI_SN_E_clISD_PjSD_S15_EEDaS11_S12_SI_SN_EUlS11_E_NS1_11comp_targetILNS1_3genE2ELNS1_11target_archE906ELNS1_3gpuE6ELNS1_3repE0EEENS1_47radix_sort_onesweep_sort_config_static_selectorELNS0_4arch9wavefront6targetE1EEEvSI_.num_named_barrier, 0
	.set _ZN7rocprim17ROCPRIM_400000_NS6detail17trampoline_kernelINS0_14default_configENS1_35radix_sort_onesweep_config_selectorIjjEEZZNS1_29radix_sort_onesweep_iterationIS3_Lb0EN6thrust23THRUST_200600_302600_NS6detail15normal_iteratorINS8_10device_ptrIjEEEESD_SD_SD_jNS0_19identity_decomposerENS1_16block_id_wrapperIjLb0EEEEE10hipError_tT1_PNSt15iterator_traitsISI_E10value_typeET2_T3_PNSJ_ISO_E10value_typeET4_T5_PST_SU_PNS1_23onesweep_lookback_stateEbbT6_jjT7_P12ihipStream_tbENKUlT_T0_SI_SN_E_clISD_PjSD_S15_EEDaS11_S12_SI_SN_EUlS11_E_NS1_11comp_targetILNS1_3genE2ELNS1_11target_archE906ELNS1_3gpuE6ELNS1_3repE0EEENS1_47radix_sort_onesweep_sort_config_static_selectorELNS0_4arch9wavefront6targetE1EEEvSI_.private_seg_size, 0
	.set _ZN7rocprim17ROCPRIM_400000_NS6detail17trampoline_kernelINS0_14default_configENS1_35radix_sort_onesweep_config_selectorIjjEEZZNS1_29radix_sort_onesweep_iterationIS3_Lb0EN6thrust23THRUST_200600_302600_NS6detail15normal_iteratorINS8_10device_ptrIjEEEESD_SD_SD_jNS0_19identity_decomposerENS1_16block_id_wrapperIjLb0EEEEE10hipError_tT1_PNSt15iterator_traitsISI_E10value_typeET2_T3_PNSJ_ISO_E10value_typeET4_T5_PST_SU_PNS1_23onesweep_lookback_stateEbbT6_jjT7_P12ihipStream_tbENKUlT_T0_SI_SN_E_clISD_PjSD_S15_EEDaS11_S12_SI_SN_EUlS11_E_NS1_11comp_targetILNS1_3genE2ELNS1_11target_archE906ELNS1_3gpuE6ELNS1_3repE0EEENS1_47radix_sort_onesweep_sort_config_static_selectorELNS0_4arch9wavefront6targetE1EEEvSI_.uses_vcc, 0
	.set _ZN7rocprim17ROCPRIM_400000_NS6detail17trampoline_kernelINS0_14default_configENS1_35radix_sort_onesweep_config_selectorIjjEEZZNS1_29radix_sort_onesweep_iterationIS3_Lb0EN6thrust23THRUST_200600_302600_NS6detail15normal_iteratorINS8_10device_ptrIjEEEESD_SD_SD_jNS0_19identity_decomposerENS1_16block_id_wrapperIjLb0EEEEE10hipError_tT1_PNSt15iterator_traitsISI_E10value_typeET2_T3_PNSJ_ISO_E10value_typeET4_T5_PST_SU_PNS1_23onesweep_lookback_stateEbbT6_jjT7_P12ihipStream_tbENKUlT_T0_SI_SN_E_clISD_PjSD_S15_EEDaS11_S12_SI_SN_EUlS11_E_NS1_11comp_targetILNS1_3genE2ELNS1_11target_archE906ELNS1_3gpuE6ELNS1_3repE0EEENS1_47radix_sort_onesweep_sort_config_static_selectorELNS0_4arch9wavefront6targetE1EEEvSI_.uses_flat_scratch, 0
	.set _ZN7rocprim17ROCPRIM_400000_NS6detail17trampoline_kernelINS0_14default_configENS1_35radix_sort_onesweep_config_selectorIjjEEZZNS1_29radix_sort_onesweep_iterationIS3_Lb0EN6thrust23THRUST_200600_302600_NS6detail15normal_iteratorINS8_10device_ptrIjEEEESD_SD_SD_jNS0_19identity_decomposerENS1_16block_id_wrapperIjLb0EEEEE10hipError_tT1_PNSt15iterator_traitsISI_E10value_typeET2_T3_PNSJ_ISO_E10value_typeET4_T5_PST_SU_PNS1_23onesweep_lookback_stateEbbT6_jjT7_P12ihipStream_tbENKUlT_T0_SI_SN_E_clISD_PjSD_S15_EEDaS11_S12_SI_SN_EUlS11_E_NS1_11comp_targetILNS1_3genE2ELNS1_11target_archE906ELNS1_3gpuE6ELNS1_3repE0EEENS1_47radix_sort_onesweep_sort_config_static_selectorELNS0_4arch9wavefront6targetE1EEEvSI_.has_dyn_sized_stack, 0
	.set _ZN7rocprim17ROCPRIM_400000_NS6detail17trampoline_kernelINS0_14default_configENS1_35radix_sort_onesweep_config_selectorIjjEEZZNS1_29radix_sort_onesweep_iterationIS3_Lb0EN6thrust23THRUST_200600_302600_NS6detail15normal_iteratorINS8_10device_ptrIjEEEESD_SD_SD_jNS0_19identity_decomposerENS1_16block_id_wrapperIjLb0EEEEE10hipError_tT1_PNSt15iterator_traitsISI_E10value_typeET2_T3_PNSJ_ISO_E10value_typeET4_T5_PST_SU_PNS1_23onesweep_lookback_stateEbbT6_jjT7_P12ihipStream_tbENKUlT_T0_SI_SN_E_clISD_PjSD_S15_EEDaS11_S12_SI_SN_EUlS11_E_NS1_11comp_targetILNS1_3genE2ELNS1_11target_archE906ELNS1_3gpuE6ELNS1_3repE0EEENS1_47radix_sort_onesweep_sort_config_static_selectorELNS0_4arch9wavefront6targetE1EEEvSI_.has_recursion, 0
	.set _ZN7rocprim17ROCPRIM_400000_NS6detail17trampoline_kernelINS0_14default_configENS1_35radix_sort_onesweep_config_selectorIjjEEZZNS1_29radix_sort_onesweep_iterationIS3_Lb0EN6thrust23THRUST_200600_302600_NS6detail15normal_iteratorINS8_10device_ptrIjEEEESD_SD_SD_jNS0_19identity_decomposerENS1_16block_id_wrapperIjLb0EEEEE10hipError_tT1_PNSt15iterator_traitsISI_E10value_typeET2_T3_PNSJ_ISO_E10value_typeET4_T5_PST_SU_PNS1_23onesweep_lookback_stateEbbT6_jjT7_P12ihipStream_tbENKUlT_T0_SI_SN_E_clISD_PjSD_S15_EEDaS11_S12_SI_SN_EUlS11_E_NS1_11comp_targetILNS1_3genE2ELNS1_11target_archE906ELNS1_3gpuE6ELNS1_3repE0EEENS1_47radix_sort_onesweep_sort_config_static_selectorELNS0_4arch9wavefront6targetE1EEEvSI_.has_indirect_call, 0
	.section	.AMDGPU.csdata,"",@progbits
; Kernel info:
; codeLenInByte = 0
; TotalNumSgprs: 6
; NumVgprs: 0
; NumAgprs: 0
; TotalNumVgprs: 0
; ScratchSize: 0
; MemoryBound: 0
; FloatMode: 240
; IeeeMode: 1
; LDSByteSize: 0 bytes/workgroup (compile time only)
; SGPRBlocks: 0
; VGPRBlocks: 0
; NumSGPRsForWavesPerEU: 6
; NumVGPRsForWavesPerEU: 1
; AccumOffset: 4
; Occupancy: 8
; WaveLimiterHint : 0
; COMPUTE_PGM_RSRC2:SCRATCH_EN: 0
; COMPUTE_PGM_RSRC2:USER_SGPR: 2
; COMPUTE_PGM_RSRC2:TRAP_HANDLER: 0
; COMPUTE_PGM_RSRC2:TGID_X_EN: 1
; COMPUTE_PGM_RSRC2:TGID_Y_EN: 0
; COMPUTE_PGM_RSRC2:TGID_Z_EN: 0
; COMPUTE_PGM_RSRC2:TIDIG_COMP_CNT: 0
; COMPUTE_PGM_RSRC3_GFX90A:ACCUM_OFFSET: 0
; COMPUTE_PGM_RSRC3_GFX90A:TG_SPLIT: 0
	.section	.text._ZN7rocprim17ROCPRIM_400000_NS6detail17trampoline_kernelINS0_14default_configENS1_35radix_sort_onesweep_config_selectorIjjEEZZNS1_29radix_sort_onesweep_iterationIS3_Lb0EN6thrust23THRUST_200600_302600_NS6detail15normal_iteratorINS8_10device_ptrIjEEEESD_SD_SD_jNS0_19identity_decomposerENS1_16block_id_wrapperIjLb0EEEEE10hipError_tT1_PNSt15iterator_traitsISI_E10value_typeET2_T3_PNSJ_ISO_E10value_typeET4_T5_PST_SU_PNS1_23onesweep_lookback_stateEbbT6_jjT7_P12ihipStream_tbENKUlT_T0_SI_SN_E_clISD_PjSD_S15_EEDaS11_S12_SI_SN_EUlS11_E_NS1_11comp_targetILNS1_3genE4ELNS1_11target_archE910ELNS1_3gpuE8ELNS1_3repE0EEENS1_47radix_sort_onesweep_sort_config_static_selectorELNS0_4arch9wavefront6targetE1EEEvSI_,"axG",@progbits,_ZN7rocprim17ROCPRIM_400000_NS6detail17trampoline_kernelINS0_14default_configENS1_35radix_sort_onesweep_config_selectorIjjEEZZNS1_29radix_sort_onesweep_iterationIS3_Lb0EN6thrust23THRUST_200600_302600_NS6detail15normal_iteratorINS8_10device_ptrIjEEEESD_SD_SD_jNS0_19identity_decomposerENS1_16block_id_wrapperIjLb0EEEEE10hipError_tT1_PNSt15iterator_traitsISI_E10value_typeET2_T3_PNSJ_ISO_E10value_typeET4_T5_PST_SU_PNS1_23onesweep_lookback_stateEbbT6_jjT7_P12ihipStream_tbENKUlT_T0_SI_SN_E_clISD_PjSD_S15_EEDaS11_S12_SI_SN_EUlS11_E_NS1_11comp_targetILNS1_3genE4ELNS1_11target_archE910ELNS1_3gpuE8ELNS1_3repE0EEENS1_47radix_sort_onesweep_sort_config_static_selectorELNS0_4arch9wavefront6targetE1EEEvSI_,comdat
	.protected	_ZN7rocprim17ROCPRIM_400000_NS6detail17trampoline_kernelINS0_14default_configENS1_35radix_sort_onesweep_config_selectorIjjEEZZNS1_29radix_sort_onesweep_iterationIS3_Lb0EN6thrust23THRUST_200600_302600_NS6detail15normal_iteratorINS8_10device_ptrIjEEEESD_SD_SD_jNS0_19identity_decomposerENS1_16block_id_wrapperIjLb0EEEEE10hipError_tT1_PNSt15iterator_traitsISI_E10value_typeET2_T3_PNSJ_ISO_E10value_typeET4_T5_PST_SU_PNS1_23onesweep_lookback_stateEbbT6_jjT7_P12ihipStream_tbENKUlT_T0_SI_SN_E_clISD_PjSD_S15_EEDaS11_S12_SI_SN_EUlS11_E_NS1_11comp_targetILNS1_3genE4ELNS1_11target_archE910ELNS1_3gpuE8ELNS1_3repE0EEENS1_47radix_sort_onesweep_sort_config_static_selectorELNS0_4arch9wavefront6targetE1EEEvSI_ ; -- Begin function _ZN7rocprim17ROCPRIM_400000_NS6detail17trampoline_kernelINS0_14default_configENS1_35radix_sort_onesweep_config_selectorIjjEEZZNS1_29radix_sort_onesweep_iterationIS3_Lb0EN6thrust23THRUST_200600_302600_NS6detail15normal_iteratorINS8_10device_ptrIjEEEESD_SD_SD_jNS0_19identity_decomposerENS1_16block_id_wrapperIjLb0EEEEE10hipError_tT1_PNSt15iterator_traitsISI_E10value_typeET2_T3_PNSJ_ISO_E10value_typeET4_T5_PST_SU_PNS1_23onesweep_lookback_stateEbbT6_jjT7_P12ihipStream_tbENKUlT_T0_SI_SN_E_clISD_PjSD_S15_EEDaS11_S12_SI_SN_EUlS11_E_NS1_11comp_targetILNS1_3genE4ELNS1_11target_archE910ELNS1_3gpuE8ELNS1_3repE0EEENS1_47radix_sort_onesweep_sort_config_static_selectorELNS0_4arch9wavefront6targetE1EEEvSI_
	.globl	_ZN7rocprim17ROCPRIM_400000_NS6detail17trampoline_kernelINS0_14default_configENS1_35radix_sort_onesweep_config_selectorIjjEEZZNS1_29radix_sort_onesweep_iterationIS3_Lb0EN6thrust23THRUST_200600_302600_NS6detail15normal_iteratorINS8_10device_ptrIjEEEESD_SD_SD_jNS0_19identity_decomposerENS1_16block_id_wrapperIjLb0EEEEE10hipError_tT1_PNSt15iterator_traitsISI_E10value_typeET2_T3_PNSJ_ISO_E10value_typeET4_T5_PST_SU_PNS1_23onesweep_lookback_stateEbbT6_jjT7_P12ihipStream_tbENKUlT_T0_SI_SN_E_clISD_PjSD_S15_EEDaS11_S12_SI_SN_EUlS11_E_NS1_11comp_targetILNS1_3genE4ELNS1_11target_archE910ELNS1_3gpuE8ELNS1_3repE0EEENS1_47radix_sort_onesweep_sort_config_static_selectorELNS0_4arch9wavefront6targetE1EEEvSI_
	.p2align	8
	.type	_ZN7rocprim17ROCPRIM_400000_NS6detail17trampoline_kernelINS0_14default_configENS1_35radix_sort_onesweep_config_selectorIjjEEZZNS1_29radix_sort_onesweep_iterationIS3_Lb0EN6thrust23THRUST_200600_302600_NS6detail15normal_iteratorINS8_10device_ptrIjEEEESD_SD_SD_jNS0_19identity_decomposerENS1_16block_id_wrapperIjLb0EEEEE10hipError_tT1_PNSt15iterator_traitsISI_E10value_typeET2_T3_PNSJ_ISO_E10value_typeET4_T5_PST_SU_PNS1_23onesweep_lookback_stateEbbT6_jjT7_P12ihipStream_tbENKUlT_T0_SI_SN_E_clISD_PjSD_S15_EEDaS11_S12_SI_SN_EUlS11_E_NS1_11comp_targetILNS1_3genE4ELNS1_11target_archE910ELNS1_3gpuE8ELNS1_3repE0EEENS1_47radix_sort_onesweep_sort_config_static_selectorELNS0_4arch9wavefront6targetE1EEEvSI_,@function
_ZN7rocprim17ROCPRIM_400000_NS6detail17trampoline_kernelINS0_14default_configENS1_35radix_sort_onesweep_config_selectorIjjEEZZNS1_29radix_sort_onesweep_iterationIS3_Lb0EN6thrust23THRUST_200600_302600_NS6detail15normal_iteratorINS8_10device_ptrIjEEEESD_SD_SD_jNS0_19identity_decomposerENS1_16block_id_wrapperIjLb0EEEEE10hipError_tT1_PNSt15iterator_traitsISI_E10value_typeET2_T3_PNSJ_ISO_E10value_typeET4_T5_PST_SU_PNS1_23onesweep_lookback_stateEbbT6_jjT7_P12ihipStream_tbENKUlT_T0_SI_SN_E_clISD_PjSD_S15_EEDaS11_S12_SI_SN_EUlS11_E_NS1_11comp_targetILNS1_3genE4ELNS1_11target_archE910ELNS1_3gpuE8ELNS1_3repE0EEENS1_47radix_sort_onesweep_sort_config_static_selectorELNS0_4arch9wavefront6targetE1EEEvSI_: ; @_ZN7rocprim17ROCPRIM_400000_NS6detail17trampoline_kernelINS0_14default_configENS1_35radix_sort_onesweep_config_selectorIjjEEZZNS1_29radix_sort_onesweep_iterationIS3_Lb0EN6thrust23THRUST_200600_302600_NS6detail15normal_iteratorINS8_10device_ptrIjEEEESD_SD_SD_jNS0_19identity_decomposerENS1_16block_id_wrapperIjLb0EEEEE10hipError_tT1_PNSt15iterator_traitsISI_E10value_typeET2_T3_PNSJ_ISO_E10value_typeET4_T5_PST_SU_PNS1_23onesweep_lookback_stateEbbT6_jjT7_P12ihipStream_tbENKUlT_T0_SI_SN_E_clISD_PjSD_S15_EEDaS11_S12_SI_SN_EUlS11_E_NS1_11comp_targetILNS1_3genE4ELNS1_11target_archE910ELNS1_3gpuE8ELNS1_3repE0EEENS1_47radix_sort_onesweep_sort_config_static_selectorELNS0_4arch9wavefront6targetE1EEEvSI_
; %bb.0:
	.section	.rodata,"a",@progbits
	.p2align	6, 0x0
	.amdhsa_kernel _ZN7rocprim17ROCPRIM_400000_NS6detail17trampoline_kernelINS0_14default_configENS1_35radix_sort_onesweep_config_selectorIjjEEZZNS1_29radix_sort_onesweep_iterationIS3_Lb0EN6thrust23THRUST_200600_302600_NS6detail15normal_iteratorINS8_10device_ptrIjEEEESD_SD_SD_jNS0_19identity_decomposerENS1_16block_id_wrapperIjLb0EEEEE10hipError_tT1_PNSt15iterator_traitsISI_E10value_typeET2_T3_PNSJ_ISO_E10value_typeET4_T5_PST_SU_PNS1_23onesweep_lookback_stateEbbT6_jjT7_P12ihipStream_tbENKUlT_T0_SI_SN_E_clISD_PjSD_S15_EEDaS11_S12_SI_SN_EUlS11_E_NS1_11comp_targetILNS1_3genE4ELNS1_11target_archE910ELNS1_3gpuE8ELNS1_3repE0EEENS1_47radix_sort_onesweep_sort_config_static_selectorELNS0_4arch9wavefront6targetE1EEEvSI_
		.amdhsa_group_segment_fixed_size 0
		.amdhsa_private_segment_fixed_size 0
		.amdhsa_kernarg_size 88
		.amdhsa_user_sgpr_count 2
		.amdhsa_user_sgpr_dispatch_ptr 0
		.amdhsa_user_sgpr_queue_ptr 0
		.amdhsa_user_sgpr_kernarg_segment_ptr 1
		.amdhsa_user_sgpr_dispatch_id 0
		.amdhsa_user_sgpr_kernarg_preload_length 0
		.amdhsa_user_sgpr_kernarg_preload_offset 0
		.amdhsa_user_sgpr_private_segment_size 0
		.amdhsa_uses_dynamic_stack 0
		.amdhsa_enable_private_segment 0
		.amdhsa_system_sgpr_workgroup_id_x 1
		.amdhsa_system_sgpr_workgroup_id_y 0
		.amdhsa_system_sgpr_workgroup_id_z 0
		.amdhsa_system_sgpr_workgroup_info 0
		.amdhsa_system_vgpr_workitem_id 0
		.amdhsa_next_free_vgpr 1
		.amdhsa_next_free_sgpr 0
		.amdhsa_accum_offset 4
		.amdhsa_reserve_vcc 0
		.amdhsa_float_round_mode_32 0
		.amdhsa_float_round_mode_16_64 0
		.amdhsa_float_denorm_mode_32 3
		.amdhsa_float_denorm_mode_16_64 3
		.amdhsa_dx10_clamp 1
		.amdhsa_ieee_mode 1
		.amdhsa_fp16_overflow 0
		.amdhsa_tg_split 0
		.amdhsa_exception_fp_ieee_invalid_op 0
		.amdhsa_exception_fp_denorm_src 0
		.amdhsa_exception_fp_ieee_div_zero 0
		.amdhsa_exception_fp_ieee_overflow 0
		.amdhsa_exception_fp_ieee_underflow 0
		.amdhsa_exception_fp_ieee_inexact 0
		.amdhsa_exception_int_div_zero 0
	.end_amdhsa_kernel
	.section	.text._ZN7rocprim17ROCPRIM_400000_NS6detail17trampoline_kernelINS0_14default_configENS1_35radix_sort_onesweep_config_selectorIjjEEZZNS1_29radix_sort_onesweep_iterationIS3_Lb0EN6thrust23THRUST_200600_302600_NS6detail15normal_iteratorINS8_10device_ptrIjEEEESD_SD_SD_jNS0_19identity_decomposerENS1_16block_id_wrapperIjLb0EEEEE10hipError_tT1_PNSt15iterator_traitsISI_E10value_typeET2_T3_PNSJ_ISO_E10value_typeET4_T5_PST_SU_PNS1_23onesweep_lookback_stateEbbT6_jjT7_P12ihipStream_tbENKUlT_T0_SI_SN_E_clISD_PjSD_S15_EEDaS11_S12_SI_SN_EUlS11_E_NS1_11comp_targetILNS1_3genE4ELNS1_11target_archE910ELNS1_3gpuE8ELNS1_3repE0EEENS1_47radix_sort_onesweep_sort_config_static_selectorELNS0_4arch9wavefront6targetE1EEEvSI_,"axG",@progbits,_ZN7rocprim17ROCPRIM_400000_NS6detail17trampoline_kernelINS0_14default_configENS1_35radix_sort_onesweep_config_selectorIjjEEZZNS1_29radix_sort_onesweep_iterationIS3_Lb0EN6thrust23THRUST_200600_302600_NS6detail15normal_iteratorINS8_10device_ptrIjEEEESD_SD_SD_jNS0_19identity_decomposerENS1_16block_id_wrapperIjLb0EEEEE10hipError_tT1_PNSt15iterator_traitsISI_E10value_typeET2_T3_PNSJ_ISO_E10value_typeET4_T5_PST_SU_PNS1_23onesweep_lookback_stateEbbT6_jjT7_P12ihipStream_tbENKUlT_T0_SI_SN_E_clISD_PjSD_S15_EEDaS11_S12_SI_SN_EUlS11_E_NS1_11comp_targetILNS1_3genE4ELNS1_11target_archE910ELNS1_3gpuE8ELNS1_3repE0EEENS1_47radix_sort_onesweep_sort_config_static_selectorELNS0_4arch9wavefront6targetE1EEEvSI_,comdat
.Lfunc_end791:
	.size	_ZN7rocprim17ROCPRIM_400000_NS6detail17trampoline_kernelINS0_14default_configENS1_35radix_sort_onesweep_config_selectorIjjEEZZNS1_29radix_sort_onesweep_iterationIS3_Lb0EN6thrust23THRUST_200600_302600_NS6detail15normal_iteratorINS8_10device_ptrIjEEEESD_SD_SD_jNS0_19identity_decomposerENS1_16block_id_wrapperIjLb0EEEEE10hipError_tT1_PNSt15iterator_traitsISI_E10value_typeET2_T3_PNSJ_ISO_E10value_typeET4_T5_PST_SU_PNS1_23onesweep_lookback_stateEbbT6_jjT7_P12ihipStream_tbENKUlT_T0_SI_SN_E_clISD_PjSD_S15_EEDaS11_S12_SI_SN_EUlS11_E_NS1_11comp_targetILNS1_3genE4ELNS1_11target_archE910ELNS1_3gpuE8ELNS1_3repE0EEENS1_47radix_sort_onesweep_sort_config_static_selectorELNS0_4arch9wavefront6targetE1EEEvSI_, .Lfunc_end791-_ZN7rocprim17ROCPRIM_400000_NS6detail17trampoline_kernelINS0_14default_configENS1_35radix_sort_onesweep_config_selectorIjjEEZZNS1_29radix_sort_onesweep_iterationIS3_Lb0EN6thrust23THRUST_200600_302600_NS6detail15normal_iteratorINS8_10device_ptrIjEEEESD_SD_SD_jNS0_19identity_decomposerENS1_16block_id_wrapperIjLb0EEEEE10hipError_tT1_PNSt15iterator_traitsISI_E10value_typeET2_T3_PNSJ_ISO_E10value_typeET4_T5_PST_SU_PNS1_23onesweep_lookback_stateEbbT6_jjT7_P12ihipStream_tbENKUlT_T0_SI_SN_E_clISD_PjSD_S15_EEDaS11_S12_SI_SN_EUlS11_E_NS1_11comp_targetILNS1_3genE4ELNS1_11target_archE910ELNS1_3gpuE8ELNS1_3repE0EEENS1_47radix_sort_onesweep_sort_config_static_selectorELNS0_4arch9wavefront6targetE1EEEvSI_
                                        ; -- End function
	.set _ZN7rocprim17ROCPRIM_400000_NS6detail17trampoline_kernelINS0_14default_configENS1_35radix_sort_onesweep_config_selectorIjjEEZZNS1_29radix_sort_onesweep_iterationIS3_Lb0EN6thrust23THRUST_200600_302600_NS6detail15normal_iteratorINS8_10device_ptrIjEEEESD_SD_SD_jNS0_19identity_decomposerENS1_16block_id_wrapperIjLb0EEEEE10hipError_tT1_PNSt15iterator_traitsISI_E10value_typeET2_T3_PNSJ_ISO_E10value_typeET4_T5_PST_SU_PNS1_23onesweep_lookback_stateEbbT6_jjT7_P12ihipStream_tbENKUlT_T0_SI_SN_E_clISD_PjSD_S15_EEDaS11_S12_SI_SN_EUlS11_E_NS1_11comp_targetILNS1_3genE4ELNS1_11target_archE910ELNS1_3gpuE8ELNS1_3repE0EEENS1_47radix_sort_onesweep_sort_config_static_selectorELNS0_4arch9wavefront6targetE1EEEvSI_.num_vgpr, 0
	.set _ZN7rocprim17ROCPRIM_400000_NS6detail17trampoline_kernelINS0_14default_configENS1_35radix_sort_onesweep_config_selectorIjjEEZZNS1_29radix_sort_onesweep_iterationIS3_Lb0EN6thrust23THRUST_200600_302600_NS6detail15normal_iteratorINS8_10device_ptrIjEEEESD_SD_SD_jNS0_19identity_decomposerENS1_16block_id_wrapperIjLb0EEEEE10hipError_tT1_PNSt15iterator_traitsISI_E10value_typeET2_T3_PNSJ_ISO_E10value_typeET4_T5_PST_SU_PNS1_23onesweep_lookback_stateEbbT6_jjT7_P12ihipStream_tbENKUlT_T0_SI_SN_E_clISD_PjSD_S15_EEDaS11_S12_SI_SN_EUlS11_E_NS1_11comp_targetILNS1_3genE4ELNS1_11target_archE910ELNS1_3gpuE8ELNS1_3repE0EEENS1_47radix_sort_onesweep_sort_config_static_selectorELNS0_4arch9wavefront6targetE1EEEvSI_.num_agpr, 0
	.set _ZN7rocprim17ROCPRIM_400000_NS6detail17trampoline_kernelINS0_14default_configENS1_35radix_sort_onesweep_config_selectorIjjEEZZNS1_29radix_sort_onesweep_iterationIS3_Lb0EN6thrust23THRUST_200600_302600_NS6detail15normal_iteratorINS8_10device_ptrIjEEEESD_SD_SD_jNS0_19identity_decomposerENS1_16block_id_wrapperIjLb0EEEEE10hipError_tT1_PNSt15iterator_traitsISI_E10value_typeET2_T3_PNSJ_ISO_E10value_typeET4_T5_PST_SU_PNS1_23onesweep_lookback_stateEbbT6_jjT7_P12ihipStream_tbENKUlT_T0_SI_SN_E_clISD_PjSD_S15_EEDaS11_S12_SI_SN_EUlS11_E_NS1_11comp_targetILNS1_3genE4ELNS1_11target_archE910ELNS1_3gpuE8ELNS1_3repE0EEENS1_47radix_sort_onesweep_sort_config_static_selectorELNS0_4arch9wavefront6targetE1EEEvSI_.numbered_sgpr, 0
	.set _ZN7rocprim17ROCPRIM_400000_NS6detail17trampoline_kernelINS0_14default_configENS1_35radix_sort_onesweep_config_selectorIjjEEZZNS1_29radix_sort_onesweep_iterationIS3_Lb0EN6thrust23THRUST_200600_302600_NS6detail15normal_iteratorINS8_10device_ptrIjEEEESD_SD_SD_jNS0_19identity_decomposerENS1_16block_id_wrapperIjLb0EEEEE10hipError_tT1_PNSt15iterator_traitsISI_E10value_typeET2_T3_PNSJ_ISO_E10value_typeET4_T5_PST_SU_PNS1_23onesweep_lookback_stateEbbT6_jjT7_P12ihipStream_tbENKUlT_T0_SI_SN_E_clISD_PjSD_S15_EEDaS11_S12_SI_SN_EUlS11_E_NS1_11comp_targetILNS1_3genE4ELNS1_11target_archE910ELNS1_3gpuE8ELNS1_3repE0EEENS1_47radix_sort_onesweep_sort_config_static_selectorELNS0_4arch9wavefront6targetE1EEEvSI_.num_named_barrier, 0
	.set _ZN7rocprim17ROCPRIM_400000_NS6detail17trampoline_kernelINS0_14default_configENS1_35radix_sort_onesweep_config_selectorIjjEEZZNS1_29radix_sort_onesweep_iterationIS3_Lb0EN6thrust23THRUST_200600_302600_NS6detail15normal_iteratorINS8_10device_ptrIjEEEESD_SD_SD_jNS0_19identity_decomposerENS1_16block_id_wrapperIjLb0EEEEE10hipError_tT1_PNSt15iterator_traitsISI_E10value_typeET2_T3_PNSJ_ISO_E10value_typeET4_T5_PST_SU_PNS1_23onesweep_lookback_stateEbbT6_jjT7_P12ihipStream_tbENKUlT_T0_SI_SN_E_clISD_PjSD_S15_EEDaS11_S12_SI_SN_EUlS11_E_NS1_11comp_targetILNS1_3genE4ELNS1_11target_archE910ELNS1_3gpuE8ELNS1_3repE0EEENS1_47radix_sort_onesweep_sort_config_static_selectorELNS0_4arch9wavefront6targetE1EEEvSI_.private_seg_size, 0
	.set _ZN7rocprim17ROCPRIM_400000_NS6detail17trampoline_kernelINS0_14default_configENS1_35radix_sort_onesweep_config_selectorIjjEEZZNS1_29radix_sort_onesweep_iterationIS3_Lb0EN6thrust23THRUST_200600_302600_NS6detail15normal_iteratorINS8_10device_ptrIjEEEESD_SD_SD_jNS0_19identity_decomposerENS1_16block_id_wrapperIjLb0EEEEE10hipError_tT1_PNSt15iterator_traitsISI_E10value_typeET2_T3_PNSJ_ISO_E10value_typeET4_T5_PST_SU_PNS1_23onesweep_lookback_stateEbbT6_jjT7_P12ihipStream_tbENKUlT_T0_SI_SN_E_clISD_PjSD_S15_EEDaS11_S12_SI_SN_EUlS11_E_NS1_11comp_targetILNS1_3genE4ELNS1_11target_archE910ELNS1_3gpuE8ELNS1_3repE0EEENS1_47radix_sort_onesweep_sort_config_static_selectorELNS0_4arch9wavefront6targetE1EEEvSI_.uses_vcc, 0
	.set _ZN7rocprim17ROCPRIM_400000_NS6detail17trampoline_kernelINS0_14default_configENS1_35radix_sort_onesweep_config_selectorIjjEEZZNS1_29radix_sort_onesweep_iterationIS3_Lb0EN6thrust23THRUST_200600_302600_NS6detail15normal_iteratorINS8_10device_ptrIjEEEESD_SD_SD_jNS0_19identity_decomposerENS1_16block_id_wrapperIjLb0EEEEE10hipError_tT1_PNSt15iterator_traitsISI_E10value_typeET2_T3_PNSJ_ISO_E10value_typeET4_T5_PST_SU_PNS1_23onesweep_lookback_stateEbbT6_jjT7_P12ihipStream_tbENKUlT_T0_SI_SN_E_clISD_PjSD_S15_EEDaS11_S12_SI_SN_EUlS11_E_NS1_11comp_targetILNS1_3genE4ELNS1_11target_archE910ELNS1_3gpuE8ELNS1_3repE0EEENS1_47radix_sort_onesweep_sort_config_static_selectorELNS0_4arch9wavefront6targetE1EEEvSI_.uses_flat_scratch, 0
	.set _ZN7rocprim17ROCPRIM_400000_NS6detail17trampoline_kernelINS0_14default_configENS1_35radix_sort_onesweep_config_selectorIjjEEZZNS1_29radix_sort_onesweep_iterationIS3_Lb0EN6thrust23THRUST_200600_302600_NS6detail15normal_iteratorINS8_10device_ptrIjEEEESD_SD_SD_jNS0_19identity_decomposerENS1_16block_id_wrapperIjLb0EEEEE10hipError_tT1_PNSt15iterator_traitsISI_E10value_typeET2_T3_PNSJ_ISO_E10value_typeET4_T5_PST_SU_PNS1_23onesweep_lookback_stateEbbT6_jjT7_P12ihipStream_tbENKUlT_T0_SI_SN_E_clISD_PjSD_S15_EEDaS11_S12_SI_SN_EUlS11_E_NS1_11comp_targetILNS1_3genE4ELNS1_11target_archE910ELNS1_3gpuE8ELNS1_3repE0EEENS1_47radix_sort_onesweep_sort_config_static_selectorELNS0_4arch9wavefront6targetE1EEEvSI_.has_dyn_sized_stack, 0
	.set _ZN7rocprim17ROCPRIM_400000_NS6detail17trampoline_kernelINS0_14default_configENS1_35radix_sort_onesweep_config_selectorIjjEEZZNS1_29radix_sort_onesweep_iterationIS3_Lb0EN6thrust23THRUST_200600_302600_NS6detail15normal_iteratorINS8_10device_ptrIjEEEESD_SD_SD_jNS0_19identity_decomposerENS1_16block_id_wrapperIjLb0EEEEE10hipError_tT1_PNSt15iterator_traitsISI_E10value_typeET2_T3_PNSJ_ISO_E10value_typeET4_T5_PST_SU_PNS1_23onesweep_lookback_stateEbbT6_jjT7_P12ihipStream_tbENKUlT_T0_SI_SN_E_clISD_PjSD_S15_EEDaS11_S12_SI_SN_EUlS11_E_NS1_11comp_targetILNS1_3genE4ELNS1_11target_archE910ELNS1_3gpuE8ELNS1_3repE0EEENS1_47radix_sort_onesweep_sort_config_static_selectorELNS0_4arch9wavefront6targetE1EEEvSI_.has_recursion, 0
	.set _ZN7rocprim17ROCPRIM_400000_NS6detail17trampoline_kernelINS0_14default_configENS1_35radix_sort_onesweep_config_selectorIjjEEZZNS1_29radix_sort_onesweep_iterationIS3_Lb0EN6thrust23THRUST_200600_302600_NS6detail15normal_iteratorINS8_10device_ptrIjEEEESD_SD_SD_jNS0_19identity_decomposerENS1_16block_id_wrapperIjLb0EEEEE10hipError_tT1_PNSt15iterator_traitsISI_E10value_typeET2_T3_PNSJ_ISO_E10value_typeET4_T5_PST_SU_PNS1_23onesweep_lookback_stateEbbT6_jjT7_P12ihipStream_tbENKUlT_T0_SI_SN_E_clISD_PjSD_S15_EEDaS11_S12_SI_SN_EUlS11_E_NS1_11comp_targetILNS1_3genE4ELNS1_11target_archE910ELNS1_3gpuE8ELNS1_3repE0EEENS1_47radix_sort_onesweep_sort_config_static_selectorELNS0_4arch9wavefront6targetE1EEEvSI_.has_indirect_call, 0
	.section	.AMDGPU.csdata,"",@progbits
; Kernel info:
; codeLenInByte = 0
; TotalNumSgprs: 6
; NumVgprs: 0
; NumAgprs: 0
; TotalNumVgprs: 0
; ScratchSize: 0
; MemoryBound: 0
; FloatMode: 240
; IeeeMode: 1
; LDSByteSize: 0 bytes/workgroup (compile time only)
; SGPRBlocks: 0
; VGPRBlocks: 0
; NumSGPRsForWavesPerEU: 6
; NumVGPRsForWavesPerEU: 1
; AccumOffset: 4
; Occupancy: 8
; WaveLimiterHint : 0
; COMPUTE_PGM_RSRC2:SCRATCH_EN: 0
; COMPUTE_PGM_RSRC2:USER_SGPR: 2
; COMPUTE_PGM_RSRC2:TRAP_HANDLER: 0
; COMPUTE_PGM_RSRC2:TGID_X_EN: 1
; COMPUTE_PGM_RSRC2:TGID_Y_EN: 0
; COMPUTE_PGM_RSRC2:TGID_Z_EN: 0
; COMPUTE_PGM_RSRC2:TIDIG_COMP_CNT: 0
; COMPUTE_PGM_RSRC3_GFX90A:ACCUM_OFFSET: 0
; COMPUTE_PGM_RSRC3_GFX90A:TG_SPLIT: 0
	.section	.text._ZN7rocprim17ROCPRIM_400000_NS6detail17trampoline_kernelINS0_14default_configENS1_35radix_sort_onesweep_config_selectorIjjEEZZNS1_29radix_sort_onesweep_iterationIS3_Lb0EN6thrust23THRUST_200600_302600_NS6detail15normal_iteratorINS8_10device_ptrIjEEEESD_SD_SD_jNS0_19identity_decomposerENS1_16block_id_wrapperIjLb0EEEEE10hipError_tT1_PNSt15iterator_traitsISI_E10value_typeET2_T3_PNSJ_ISO_E10value_typeET4_T5_PST_SU_PNS1_23onesweep_lookback_stateEbbT6_jjT7_P12ihipStream_tbENKUlT_T0_SI_SN_E_clISD_PjSD_S15_EEDaS11_S12_SI_SN_EUlS11_E_NS1_11comp_targetILNS1_3genE3ELNS1_11target_archE908ELNS1_3gpuE7ELNS1_3repE0EEENS1_47radix_sort_onesweep_sort_config_static_selectorELNS0_4arch9wavefront6targetE1EEEvSI_,"axG",@progbits,_ZN7rocprim17ROCPRIM_400000_NS6detail17trampoline_kernelINS0_14default_configENS1_35radix_sort_onesweep_config_selectorIjjEEZZNS1_29radix_sort_onesweep_iterationIS3_Lb0EN6thrust23THRUST_200600_302600_NS6detail15normal_iteratorINS8_10device_ptrIjEEEESD_SD_SD_jNS0_19identity_decomposerENS1_16block_id_wrapperIjLb0EEEEE10hipError_tT1_PNSt15iterator_traitsISI_E10value_typeET2_T3_PNSJ_ISO_E10value_typeET4_T5_PST_SU_PNS1_23onesweep_lookback_stateEbbT6_jjT7_P12ihipStream_tbENKUlT_T0_SI_SN_E_clISD_PjSD_S15_EEDaS11_S12_SI_SN_EUlS11_E_NS1_11comp_targetILNS1_3genE3ELNS1_11target_archE908ELNS1_3gpuE7ELNS1_3repE0EEENS1_47radix_sort_onesweep_sort_config_static_selectorELNS0_4arch9wavefront6targetE1EEEvSI_,comdat
	.protected	_ZN7rocprim17ROCPRIM_400000_NS6detail17trampoline_kernelINS0_14default_configENS1_35radix_sort_onesweep_config_selectorIjjEEZZNS1_29radix_sort_onesweep_iterationIS3_Lb0EN6thrust23THRUST_200600_302600_NS6detail15normal_iteratorINS8_10device_ptrIjEEEESD_SD_SD_jNS0_19identity_decomposerENS1_16block_id_wrapperIjLb0EEEEE10hipError_tT1_PNSt15iterator_traitsISI_E10value_typeET2_T3_PNSJ_ISO_E10value_typeET4_T5_PST_SU_PNS1_23onesweep_lookback_stateEbbT6_jjT7_P12ihipStream_tbENKUlT_T0_SI_SN_E_clISD_PjSD_S15_EEDaS11_S12_SI_SN_EUlS11_E_NS1_11comp_targetILNS1_3genE3ELNS1_11target_archE908ELNS1_3gpuE7ELNS1_3repE0EEENS1_47radix_sort_onesweep_sort_config_static_selectorELNS0_4arch9wavefront6targetE1EEEvSI_ ; -- Begin function _ZN7rocprim17ROCPRIM_400000_NS6detail17trampoline_kernelINS0_14default_configENS1_35radix_sort_onesweep_config_selectorIjjEEZZNS1_29radix_sort_onesweep_iterationIS3_Lb0EN6thrust23THRUST_200600_302600_NS6detail15normal_iteratorINS8_10device_ptrIjEEEESD_SD_SD_jNS0_19identity_decomposerENS1_16block_id_wrapperIjLb0EEEEE10hipError_tT1_PNSt15iterator_traitsISI_E10value_typeET2_T3_PNSJ_ISO_E10value_typeET4_T5_PST_SU_PNS1_23onesweep_lookback_stateEbbT6_jjT7_P12ihipStream_tbENKUlT_T0_SI_SN_E_clISD_PjSD_S15_EEDaS11_S12_SI_SN_EUlS11_E_NS1_11comp_targetILNS1_3genE3ELNS1_11target_archE908ELNS1_3gpuE7ELNS1_3repE0EEENS1_47radix_sort_onesweep_sort_config_static_selectorELNS0_4arch9wavefront6targetE1EEEvSI_
	.globl	_ZN7rocprim17ROCPRIM_400000_NS6detail17trampoline_kernelINS0_14default_configENS1_35radix_sort_onesweep_config_selectorIjjEEZZNS1_29radix_sort_onesweep_iterationIS3_Lb0EN6thrust23THRUST_200600_302600_NS6detail15normal_iteratorINS8_10device_ptrIjEEEESD_SD_SD_jNS0_19identity_decomposerENS1_16block_id_wrapperIjLb0EEEEE10hipError_tT1_PNSt15iterator_traitsISI_E10value_typeET2_T3_PNSJ_ISO_E10value_typeET4_T5_PST_SU_PNS1_23onesweep_lookback_stateEbbT6_jjT7_P12ihipStream_tbENKUlT_T0_SI_SN_E_clISD_PjSD_S15_EEDaS11_S12_SI_SN_EUlS11_E_NS1_11comp_targetILNS1_3genE3ELNS1_11target_archE908ELNS1_3gpuE7ELNS1_3repE0EEENS1_47radix_sort_onesweep_sort_config_static_selectorELNS0_4arch9wavefront6targetE1EEEvSI_
	.p2align	8
	.type	_ZN7rocprim17ROCPRIM_400000_NS6detail17trampoline_kernelINS0_14default_configENS1_35radix_sort_onesweep_config_selectorIjjEEZZNS1_29radix_sort_onesweep_iterationIS3_Lb0EN6thrust23THRUST_200600_302600_NS6detail15normal_iteratorINS8_10device_ptrIjEEEESD_SD_SD_jNS0_19identity_decomposerENS1_16block_id_wrapperIjLb0EEEEE10hipError_tT1_PNSt15iterator_traitsISI_E10value_typeET2_T3_PNSJ_ISO_E10value_typeET4_T5_PST_SU_PNS1_23onesweep_lookback_stateEbbT6_jjT7_P12ihipStream_tbENKUlT_T0_SI_SN_E_clISD_PjSD_S15_EEDaS11_S12_SI_SN_EUlS11_E_NS1_11comp_targetILNS1_3genE3ELNS1_11target_archE908ELNS1_3gpuE7ELNS1_3repE0EEENS1_47radix_sort_onesweep_sort_config_static_selectorELNS0_4arch9wavefront6targetE1EEEvSI_,@function
_ZN7rocprim17ROCPRIM_400000_NS6detail17trampoline_kernelINS0_14default_configENS1_35radix_sort_onesweep_config_selectorIjjEEZZNS1_29radix_sort_onesweep_iterationIS3_Lb0EN6thrust23THRUST_200600_302600_NS6detail15normal_iteratorINS8_10device_ptrIjEEEESD_SD_SD_jNS0_19identity_decomposerENS1_16block_id_wrapperIjLb0EEEEE10hipError_tT1_PNSt15iterator_traitsISI_E10value_typeET2_T3_PNSJ_ISO_E10value_typeET4_T5_PST_SU_PNS1_23onesweep_lookback_stateEbbT6_jjT7_P12ihipStream_tbENKUlT_T0_SI_SN_E_clISD_PjSD_S15_EEDaS11_S12_SI_SN_EUlS11_E_NS1_11comp_targetILNS1_3genE3ELNS1_11target_archE908ELNS1_3gpuE7ELNS1_3repE0EEENS1_47radix_sort_onesweep_sort_config_static_selectorELNS0_4arch9wavefront6targetE1EEEvSI_: ; @_ZN7rocprim17ROCPRIM_400000_NS6detail17trampoline_kernelINS0_14default_configENS1_35radix_sort_onesweep_config_selectorIjjEEZZNS1_29radix_sort_onesweep_iterationIS3_Lb0EN6thrust23THRUST_200600_302600_NS6detail15normal_iteratorINS8_10device_ptrIjEEEESD_SD_SD_jNS0_19identity_decomposerENS1_16block_id_wrapperIjLb0EEEEE10hipError_tT1_PNSt15iterator_traitsISI_E10value_typeET2_T3_PNSJ_ISO_E10value_typeET4_T5_PST_SU_PNS1_23onesweep_lookback_stateEbbT6_jjT7_P12ihipStream_tbENKUlT_T0_SI_SN_E_clISD_PjSD_S15_EEDaS11_S12_SI_SN_EUlS11_E_NS1_11comp_targetILNS1_3genE3ELNS1_11target_archE908ELNS1_3gpuE7ELNS1_3repE0EEENS1_47radix_sort_onesweep_sort_config_static_selectorELNS0_4arch9wavefront6targetE1EEEvSI_
; %bb.0:
	.section	.rodata,"a",@progbits
	.p2align	6, 0x0
	.amdhsa_kernel _ZN7rocprim17ROCPRIM_400000_NS6detail17trampoline_kernelINS0_14default_configENS1_35radix_sort_onesweep_config_selectorIjjEEZZNS1_29radix_sort_onesweep_iterationIS3_Lb0EN6thrust23THRUST_200600_302600_NS6detail15normal_iteratorINS8_10device_ptrIjEEEESD_SD_SD_jNS0_19identity_decomposerENS1_16block_id_wrapperIjLb0EEEEE10hipError_tT1_PNSt15iterator_traitsISI_E10value_typeET2_T3_PNSJ_ISO_E10value_typeET4_T5_PST_SU_PNS1_23onesweep_lookback_stateEbbT6_jjT7_P12ihipStream_tbENKUlT_T0_SI_SN_E_clISD_PjSD_S15_EEDaS11_S12_SI_SN_EUlS11_E_NS1_11comp_targetILNS1_3genE3ELNS1_11target_archE908ELNS1_3gpuE7ELNS1_3repE0EEENS1_47radix_sort_onesweep_sort_config_static_selectorELNS0_4arch9wavefront6targetE1EEEvSI_
		.amdhsa_group_segment_fixed_size 0
		.amdhsa_private_segment_fixed_size 0
		.amdhsa_kernarg_size 88
		.amdhsa_user_sgpr_count 2
		.amdhsa_user_sgpr_dispatch_ptr 0
		.amdhsa_user_sgpr_queue_ptr 0
		.amdhsa_user_sgpr_kernarg_segment_ptr 1
		.amdhsa_user_sgpr_dispatch_id 0
		.amdhsa_user_sgpr_kernarg_preload_length 0
		.amdhsa_user_sgpr_kernarg_preload_offset 0
		.amdhsa_user_sgpr_private_segment_size 0
		.amdhsa_uses_dynamic_stack 0
		.amdhsa_enable_private_segment 0
		.amdhsa_system_sgpr_workgroup_id_x 1
		.amdhsa_system_sgpr_workgroup_id_y 0
		.amdhsa_system_sgpr_workgroup_id_z 0
		.amdhsa_system_sgpr_workgroup_info 0
		.amdhsa_system_vgpr_workitem_id 0
		.amdhsa_next_free_vgpr 1
		.amdhsa_next_free_sgpr 0
		.amdhsa_accum_offset 4
		.amdhsa_reserve_vcc 0
		.amdhsa_float_round_mode_32 0
		.amdhsa_float_round_mode_16_64 0
		.amdhsa_float_denorm_mode_32 3
		.amdhsa_float_denorm_mode_16_64 3
		.amdhsa_dx10_clamp 1
		.amdhsa_ieee_mode 1
		.amdhsa_fp16_overflow 0
		.amdhsa_tg_split 0
		.amdhsa_exception_fp_ieee_invalid_op 0
		.amdhsa_exception_fp_denorm_src 0
		.amdhsa_exception_fp_ieee_div_zero 0
		.amdhsa_exception_fp_ieee_overflow 0
		.amdhsa_exception_fp_ieee_underflow 0
		.amdhsa_exception_fp_ieee_inexact 0
		.amdhsa_exception_int_div_zero 0
	.end_amdhsa_kernel
	.section	.text._ZN7rocprim17ROCPRIM_400000_NS6detail17trampoline_kernelINS0_14default_configENS1_35radix_sort_onesweep_config_selectorIjjEEZZNS1_29radix_sort_onesweep_iterationIS3_Lb0EN6thrust23THRUST_200600_302600_NS6detail15normal_iteratorINS8_10device_ptrIjEEEESD_SD_SD_jNS0_19identity_decomposerENS1_16block_id_wrapperIjLb0EEEEE10hipError_tT1_PNSt15iterator_traitsISI_E10value_typeET2_T3_PNSJ_ISO_E10value_typeET4_T5_PST_SU_PNS1_23onesweep_lookback_stateEbbT6_jjT7_P12ihipStream_tbENKUlT_T0_SI_SN_E_clISD_PjSD_S15_EEDaS11_S12_SI_SN_EUlS11_E_NS1_11comp_targetILNS1_3genE3ELNS1_11target_archE908ELNS1_3gpuE7ELNS1_3repE0EEENS1_47radix_sort_onesweep_sort_config_static_selectorELNS0_4arch9wavefront6targetE1EEEvSI_,"axG",@progbits,_ZN7rocprim17ROCPRIM_400000_NS6detail17trampoline_kernelINS0_14default_configENS1_35radix_sort_onesweep_config_selectorIjjEEZZNS1_29radix_sort_onesweep_iterationIS3_Lb0EN6thrust23THRUST_200600_302600_NS6detail15normal_iteratorINS8_10device_ptrIjEEEESD_SD_SD_jNS0_19identity_decomposerENS1_16block_id_wrapperIjLb0EEEEE10hipError_tT1_PNSt15iterator_traitsISI_E10value_typeET2_T3_PNSJ_ISO_E10value_typeET4_T5_PST_SU_PNS1_23onesweep_lookback_stateEbbT6_jjT7_P12ihipStream_tbENKUlT_T0_SI_SN_E_clISD_PjSD_S15_EEDaS11_S12_SI_SN_EUlS11_E_NS1_11comp_targetILNS1_3genE3ELNS1_11target_archE908ELNS1_3gpuE7ELNS1_3repE0EEENS1_47radix_sort_onesweep_sort_config_static_selectorELNS0_4arch9wavefront6targetE1EEEvSI_,comdat
.Lfunc_end792:
	.size	_ZN7rocprim17ROCPRIM_400000_NS6detail17trampoline_kernelINS0_14default_configENS1_35radix_sort_onesweep_config_selectorIjjEEZZNS1_29radix_sort_onesweep_iterationIS3_Lb0EN6thrust23THRUST_200600_302600_NS6detail15normal_iteratorINS8_10device_ptrIjEEEESD_SD_SD_jNS0_19identity_decomposerENS1_16block_id_wrapperIjLb0EEEEE10hipError_tT1_PNSt15iterator_traitsISI_E10value_typeET2_T3_PNSJ_ISO_E10value_typeET4_T5_PST_SU_PNS1_23onesweep_lookback_stateEbbT6_jjT7_P12ihipStream_tbENKUlT_T0_SI_SN_E_clISD_PjSD_S15_EEDaS11_S12_SI_SN_EUlS11_E_NS1_11comp_targetILNS1_3genE3ELNS1_11target_archE908ELNS1_3gpuE7ELNS1_3repE0EEENS1_47radix_sort_onesweep_sort_config_static_selectorELNS0_4arch9wavefront6targetE1EEEvSI_, .Lfunc_end792-_ZN7rocprim17ROCPRIM_400000_NS6detail17trampoline_kernelINS0_14default_configENS1_35radix_sort_onesweep_config_selectorIjjEEZZNS1_29radix_sort_onesweep_iterationIS3_Lb0EN6thrust23THRUST_200600_302600_NS6detail15normal_iteratorINS8_10device_ptrIjEEEESD_SD_SD_jNS0_19identity_decomposerENS1_16block_id_wrapperIjLb0EEEEE10hipError_tT1_PNSt15iterator_traitsISI_E10value_typeET2_T3_PNSJ_ISO_E10value_typeET4_T5_PST_SU_PNS1_23onesweep_lookback_stateEbbT6_jjT7_P12ihipStream_tbENKUlT_T0_SI_SN_E_clISD_PjSD_S15_EEDaS11_S12_SI_SN_EUlS11_E_NS1_11comp_targetILNS1_3genE3ELNS1_11target_archE908ELNS1_3gpuE7ELNS1_3repE0EEENS1_47radix_sort_onesweep_sort_config_static_selectorELNS0_4arch9wavefront6targetE1EEEvSI_
                                        ; -- End function
	.set _ZN7rocprim17ROCPRIM_400000_NS6detail17trampoline_kernelINS0_14default_configENS1_35radix_sort_onesweep_config_selectorIjjEEZZNS1_29radix_sort_onesweep_iterationIS3_Lb0EN6thrust23THRUST_200600_302600_NS6detail15normal_iteratorINS8_10device_ptrIjEEEESD_SD_SD_jNS0_19identity_decomposerENS1_16block_id_wrapperIjLb0EEEEE10hipError_tT1_PNSt15iterator_traitsISI_E10value_typeET2_T3_PNSJ_ISO_E10value_typeET4_T5_PST_SU_PNS1_23onesweep_lookback_stateEbbT6_jjT7_P12ihipStream_tbENKUlT_T0_SI_SN_E_clISD_PjSD_S15_EEDaS11_S12_SI_SN_EUlS11_E_NS1_11comp_targetILNS1_3genE3ELNS1_11target_archE908ELNS1_3gpuE7ELNS1_3repE0EEENS1_47radix_sort_onesweep_sort_config_static_selectorELNS0_4arch9wavefront6targetE1EEEvSI_.num_vgpr, 0
	.set _ZN7rocprim17ROCPRIM_400000_NS6detail17trampoline_kernelINS0_14default_configENS1_35radix_sort_onesweep_config_selectorIjjEEZZNS1_29radix_sort_onesweep_iterationIS3_Lb0EN6thrust23THRUST_200600_302600_NS6detail15normal_iteratorINS8_10device_ptrIjEEEESD_SD_SD_jNS0_19identity_decomposerENS1_16block_id_wrapperIjLb0EEEEE10hipError_tT1_PNSt15iterator_traitsISI_E10value_typeET2_T3_PNSJ_ISO_E10value_typeET4_T5_PST_SU_PNS1_23onesweep_lookback_stateEbbT6_jjT7_P12ihipStream_tbENKUlT_T0_SI_SN_E_clISD_PjSD_S15_EEDaS11_S12_SI_SN_EUlS11_E_NS1_11comp_targetILNS1_3genE3ELNS1_11target_archE908ELNS1_3gpuE7ELNS1_3repE0EEENS1_47radix_sort_onesweep_sort_config_static_selectorELNS0_4arch9wavefront6targetE1EEEvSI_.num_agpr, 0
	.set _ZN7rocprim17ROCPRIM_400000_NS6detail17trampoline_kernelINS0_14default_configENS1_35radix_sort_onesweep_config_selectorIjjEEZZNS1_29radix_sort_onesweep_iterationIS3_Lb0EN6thrust23THRUST_200600_302600_NS6detail15normal_iteratorINS8_10device_ptrIjEEEESD_SD_SD_jNS0_19identity_decomposerENS1_16block_id_wrapperIjLb0EEEEE10hipError_tT1_PNSt15iterator_traitsISI_E10value_typeET2_T3_PNSJ_ISO_E10value_typeET4_T5_PST_SU_PNS1_23onesweep_lookback_stateEbbT6_jjT7_P12ihipStream_tbENKUlT_T0_SI_SN_E_clISD_PjSD_S15_EEDaS11_S12_SI_SN_EUlS11_E_NS1_11comp_targetILNS1_3genE3ELNS1_11target_archE908ELNS1_3gpuE7ELNS1_3repE0EEENS1_47radix_sort_onesweep_sort_config_static_selectorELNS0_4arch9wavefront6targetE1EEEvSI_.numbered_sgpr, 0
	.set _ZN7rocprim17ROCPRIM_400000_NS6detail17trampoline_kernelINS0_14default_configENS1_35radix_sort_onesweep_config_selectorIjjEEZZNS1_29radix_sort_onesweep_iterationIS3_Lb0EN6thrust23THRUST_200600_302600_NS6detail15normal_iteratorINS8_10device_ptrIjEEEESD_SD_SD_jNS0_19identity_decomposerENS1_16block_id_wrapperIjLb0EEEEE10hipError_tT1_PNSt15iterator_traitsISI_E10value_typeET2_T3_PNSJ_ISO_E10value_typeET4_T5_PST_SU_PNS1_23onesweep_lookback_stateEbbT6_jjT7_P12ihipStream_tbENKUlT_T0_SI_SN_E_clISD_PjSD_S15_EEDaS11_S12_SI_SN_EUlS11_E_NS1_11comp_targetILNS1_3genE3ELNS1_11target_archE908ELNS1_3gpuE7ELNS1_3repE0EEENS1_47radix_sort_onesweep_sort_config_static_selectorELNS0_4arch9wavefront6targetE1EEEvSI_.num_named_barrier, 0
	.set _ZN7rocprim17ROCPRIM_400000_NS6detail17trampoline_kernelINS0_14default_configENS1_35radix_sort_onesweep_config_selectorIjjEEZZNS1_29radix_sort_onesweep_iterationIS3_Lb0EN6thrust23THRUST_200600_302600_NS6detail15normal_iteratorINS8_10device_ptrIjEEEESD_SD_SD_jNS0_19identity_decomposerENS1_16block_id_wrapperIjLb0EEEEE10hipError_tT1_PNSt15iterator_traitsISI_E10value_typeET2_T3_PNSJ_ISO_E10value_typeET4_T5_PST_SU_PNS1_23onesweep_lookback_stateEbbT6_jjT7_P12ihipStream_tbENKUlT_T0_SI_SN_E_clISD_PjSD_S15_EEDaS11_S12_SI_SN_EUlS11_E_NS1_11comp_targetILNS1_3genE3ELNS1_11target_archE908ELNS1_3gpuE7ELNS1_3repE0EEENS1_47radix_sort_onesweep_sort_config_static_selectorELNS0_4arch9wavefront6targetE1EEEvSI_.private_seg_size, 0
	.set _ZN7rocprim17ROCPRIM_400000_NS6detail17trampoline_kernelINS0_14default_configENS1_35radix_sort_onesweep_config_selectorIjjEEZZNS1_29radix_sort_onesweep_iterationIS3_Lb0EN6thrust23THRUST_200600_302600_NS6detail15normal_iteratorINS8_10device_ptrIjEEEESD_SD_SD_jNS0_19identity_decomposerENS1_16block_id_wrapperIjLb0EEEEE10hipError_tT1_PNSt15iterator_traitsISI_E10value_typeET2_T3_PNSJ_ISO_E10value_typeET4_T5_PST_SU_PNS1_23onesweep_lookback_stateEbbT6_jjT7_P12ihipStream_tbENKUlT_T0_SI_SN_E_clISD_PjSD_S15_EEDaS11_S12_SI_SN_EUlS11_E_NS1_11comp_targetILNS1_3genE3ELNS1_11target_archE908ELNS1_3gpuE7ELNS1_3repE0EEENS1_47radix_sort_onesweep_sort_config_static_selectorELNS0_4arch9wavefront6targetE1EEEvSI_.uses_vcc, 0
	.set _ZN7rocprim17ROCPRIM_400000_NS6detail17trampoline_kernelINS0_14default_configENS1_35radix_sort_onesweep_config_selectorIjjEEZZNS1_29radix_sort_onesweep_iterationIS3_Lb0EN6thrust23THRUST_200600_302600_NS6detail15normal_iteratorINS8_10device_ptrIjEEEESD_SD_SD_jNS0_19identity_decomposerENS1_16block_id_wrapperIjLb0EEEEE10hipError_tT1_PNSt15iterator_traitsISI_E10value_typeET2_T3_PNSJ_ISO_E10value_typeET4_T5_PST_SU_PNS1_23onesweep_lookback_stateEbbT6_jjT7_P12ihipStream_tbENKUlT_T0_SI_SN_E_clISD_PjSD_S15_EEDaS11_S12_SI_SN_EUlS11_E_NS1_11comp_targetILNS1_3genE3ELNS1_11target_archE908ELNS1_3gpuE7ELNS1_3repE0EEENS1_47radix_sort_onesweep_sort_config_static_selectorELNS0_4arch9wavefront6targetE1EEEvSI_.uses_flat_scratch, 0
	.set _ZN7rocprim17ROCPRIM_400000_NS6detail17trampoline_kernelINS0_14default_configENS1_35radix_sort_onesweep_config_selectorIjjEEZZNS1_29radix_sort_onesweep_iterationIS3_Lb0EN6thrust23THRUST_200600_302600_NS6detail15normal_iteratorINS8_10device_ptrIjEEEESD_SD_SD_jNS0_19identity_decomposerENS1_16block_id_wrapperIjLb0EEEEE10hipError_tT1_PNSt15iterator_traitsISI_E10value_typeET2_T3_PNSJ_ISO_E10value_typeET4_T5_PST_SU_PNS1_23onesweep_lookback_stateEbbT6_jjT7_P12ihipStream_tbENKUlT_T0_SI_SN_E_clISD_PjSD_S15_EEDaS11_S12_SI_SN_EUlS11_E_NS1_11comp_targetILNS1_3genE3ELNS1_11target_archE908ELNS1_3gpuE7ELNS1_3repE0EEENS1_47radix_sort_onesweep_sort_config_static_selectorELNS0_4arch9wavefront6targetE1EEEvSI_.has_dyn_sized_stack, 0
	.set _ZN7rocprim17ROCPRIM_400000_NS6detail17trampoline_kernelINS0_14default_configENS1_35radix_sort_onesweep_config_selectorIjjEEZZNS1_29radix_sort_onesweep_iterationIS3_Lb0EN6thrust23THRUST_200600_302600_NS6detail15normal_iteratorINS8_10device_ptrIjEEEESD_SD_SD_jNS0_19identity_decomposerENS1_16block_id_wrapperIjLb0EEEEE10hipError_tT1_PNSt15iterator_traitsISI_E10value_typeET2_T3_PNSJ_ISO_E10value_typeET4_T5_PST_SU_PNS1_23onesweep_lookback_stateEbbT6_jjT7_P12ihipStream_tbENKUlT_T0_SI_SN_E_clISD_PjSD_S15_EEDaS11_S12_SI_SN_EUlS11_E_NS1_11comp_targetILNS1_3genE3ELNS1_11target_archE908ELNS1_3gpuE7ELNS1_3repE0EEENS1_47radix_sort_onesweep_sort_config_static_selectorELNS0_4arch9wavefront6targetE1EEEvSI_.has_recursion, 0
	.set _ZN7rocprim17ROCPRIM_400000_NS6detail17trampoline_kernelINS0_14default_configENS1_35radix_sort_onesweep_config_selectorIjjEEZZNS1_29radix_sort_onesweep_iterationIS3_Lb0EN6thrust23THRUST_200600_302600_NS6detail15normal_iteratorINS8_10device_ptrIjEEEESD_SD_SD_jNS0_19identity_decomposerENS1_16block_id_wrapperIjLb0EEEEE10hipError_tT1_PNSt15iterator_traitsISI_E10value_typeET2_T3_PNSJ_ISO_E10value_typeET4_T5_PST_SU_PNS1_23onesweep_lookback_stateEbbT6_jjT7_P12ihipStream_tbENKUlT_T0_SI_SN_E_clISD_PjSD_S15_EEDaS11_S12_SI_SN_EUlS11_E_NS1_11comp_targetILNS1_3genE3ELNS1_11target_archE908ELNS1_3gpuE7ELNS1_3repE0EEENS1_47radix_sort_onesweep_sort_config_static_selectorELNS0_4arch9wavefront6targetE1EEEvSI_.has_indirect_call, 0
	.section	.AMDGPU.csdata,"",@progbits
; Kernel info:
; codeLenInByte = 0
; TotalNumSgprs: 6
; NumVgprs: 0
; NumAgprs: 0
; TotalNumVgprs: 0
; ScratchSize: 0
; MemoryBound: 0
; FloatMode: 240
; IeeeMode: 1
; LDSByteSize: 0 bytes/workgroup (compile time only)
; SGPRBlocks: 0
; VGPRBlocks: 0
; NumSGPRsForWavesPerEU: 6
; NumVGPRsForWavesPerEU: 1
; AccumOffset: 4
; Occupancy: 8
; WaveLimiterHint : 0
; COMPUTE_PGM_RSRC2:SCRATCH_EN: 0
; COMPUTE_PGM_RSRC2:USER_SGPR: 2
; COMPUTE_PGM_RSRC2:TRAP_HANDLER: 0
; COMPUTE_PGM_RSRC2:TGID_X_EN: 1
; COMPUTE_PGM_RSRC2:TGID_Y_EN: 0
; COMPUTE_PGM_RSRC2:TGID_Z_EN: 0
; COMPUTE_PGM_RSRC2:TIDIG_COMP_CNT: 0
; COMPUTE_PGM_RSRC3_GFX90A:ACCUM_OFFSET: 0
; COMPUTE_PGM_RSRC3_GFX90A:TG_SPLIT: 0
	.section	.text._ZN7rocprim17ROCPRIM_400000_NS6detail17trampoline_kernelINS0_14default_configENS1_35radix_sort_onesweep_config_selectorIjjEEZZNS1_29radix_sort_onesweep_iterationIS3_Lb0EN6thrust23THRUST_200600_302600_NS6detail15normal_iteratorINS8_10device_ptrIjEEEESD_SD_SD_jNS0_19identity_decomposerENS1_16block_id_wrapperIjLb0EEEEE10hipError_tT1_PNSt15iterator_traitsISI_E10value_typeET2_T3_PNSJ_ISO_E10value_typeET4_T5_PST_SU_PNS1_23onesweep_lookback_stateEbbT6_jjT7_P12ihipStream_tbENKUlT_T0_SI_SN_E_clISD_PjSD_S15_EEDaS11_S12_SI_SN_EUlS11_E_NS1_11comp_targetILNS1_3genE10ELNS1_11target_archE1201ELNS1_3gpuE5ELNS1_3repE0EEENS1_47radix_sort_onesweep_sort_config_static_selectorELNS0_4arch9wavefront6targetE1EEEvSI_,"axG",@progbits,_ZN7rocprim17ROCPRIM_400000_NS6detail17trampoline_kernelINS0_14default_configENS1_35radix_sort_onesweep_config_selectorIjjEEZZNS1_29radix_sort_onesweep_iterationIS3_Lb0EN6thrust23THRUST_200600_302600_NS6detail15normal_iteratorINS8_10device_ptrIjEEEESD_SD_SD_jNS0_19identity_decomposerENS1_16block_id_wrapperIjLb0EEEEE10hipError_tT1_PNSt15iterator_traitsISI_E10value_typeET2_T3_PNSJ_ISO_E10value_typeET4_T5_PST_SU_PNS1_23onesweep_lookback_stateEbbT6_jjT7_P12ihipStream_tbENKUlT_T0_SI_SN_E_clISD_PjSD_S15_EEDaS11_S12_SI_SN_EUlS11_E_NS1_11comp_targetILNS1_3genE10ELNS1_11target_archE1201ELNS1_3gpuE5ELNS1_3repE0EEENS1_47radix_sort_onesweep_sort_config_static_selectorELNS0_4arch9wavefront6targetE1EEEvSI_,comdat
	.protected	_ZN7rocprim17ROCPRIM_400000_NS6detail17trampoline_kernelINS0_14default_configENS1_35radix_sort_onesweep_config_selectorIjjEEZZNS1_29radix_sort_onesweep_iterationIS3_Lb0EN6thrust23THRUST_200600_302600_NS6detail15normal_iteratorINS8_10device_ptrIjEEEESD_SD_SD_jNS0_19identity_decomposerENS1_16block_id_wrapperIjLb0EEEEE10hipError_tT1_PNSt15iterator_traitsISI_E10value_typeET2_T3_PNSJ_ISO_E10value_typeET4_T5_PST_SU_PNS1_23onesweep_lookback_stateEbbT6_jjT7_P12ihipStream_tbENKUlT_T0_SI_SN_E_clISD_PjSD_S15_EEDaS11_S12_SI_SN_EUlS11_E_NS1_11comp_targetILNS1_3genE10ELNS1_11target_archE1201ELNS1_3gpuE5ELNS1_3repE0EEENS1_47radix_sort_onesweep_sort_config_static_selectorELNS0_4arch9wavefront6targetE1EEEvSI_ ; -- Begin function _ZN7rocprim17ROCPRIM_400000_NS6detail17trampoline_kernelINS0_14default_configENS1_35radix_sort_onesweep_config_selectorIjjEEZZNS1_29radix_sort_onesweep_iterationIS3_Lb0EN6thrust23THRUST_200600_302600_NS6detail15normal_iteratorINS8_10device_ptrIjEEEESD_SD_SD_jNS0_19identity_decomposerENS1_16block_id_wrapperIjLb0EEEEE10hipError_tT1_PNSt15iterator_traitsISI_E10value_typeET2_T3_PNSJ_ISO_E10value_typeET4_T5_PST_SU_PNS1_23onesweep_lookback_stateEbbT6_jjT7_P12ihipStream_tbENKUlT_T0_SI_SN_E_clISD_PjSD_S15_EEDaS11_S12_SI_SN_EUlS11_E_NS1_11comp_targetILNS1_3genE10ELNS1_11target_archE1201ELNS1_3gpuE5ELNS1_3repE0EEENS1_47radix_sort_onesweep_sort_config_static_selectorELNS0_4arch9wavefront6targetE1EEEvSI_
	.globl	_ZN7rocprim17ROCPRIM_400000_NS6detail17trampoline_kernelINS0_14default_configENS1_35radix_sort_onesweep_config_selectorIjjEEZZNS1_29radix_sort_onesweep_iterationIS3_Lb0EN6thrust23THRUST_200600_302600_NS6detail15normal_iteratorINS8_10device_ptrIjEEEESD_SD_SD_jNS0_19identity_decomposerENS1_16block_id_wrapperIjLb0EEEEE10hipError_tT1_PNSt15iterator_traitsISI_E10value_typeET2_T3_PNSJ_ISO_E10value_typeET4_T5_PST_SU_PNS1_23onesweep_lookback_stateEbbT6_jjT7_P12ihipStream_tbENKUlT_T0_SI_SN_E_clISD_PjSD_S15_EEDaS11_S12_SI_SN_EUlS11_E_NS1_11comp_targetILNS1_3genE10ELNS1_11target_archE1201ELNS1_3gpuE5ELNS1_3repE0EEENS1_47radix_sort_onesweep_sort_config_static_selectorELNS0_4arch9wavefront6targetE1EEEvSI_
	.p2align	8
	.type	_ZN7rocprim17ROCPRIM_400000_NS6detail17trampoline_kernelINS0_14default_configENS1_35radix_sort_onesweep_config_selectorIjjEEZZNS1_29radix_sort_onesweep_iterationIS3_Lb0EN6thrust23THRUST_200600_302600_NS6detail15normal_iteratorINS8_10device_ptrIjEEEESD_SD_SD_jNS0_19identity_decomposerENS1_16block_id_wrapperIjLb0EEEEE10hipError_tT1_PNSt15iterator_traitsISI_E10value_typeET2_T3_PNSJ_ISO_E10value_typeET4_T5_PST_SU_PNS1_23onesweep_lookback_stateEbbT6_jjT7_P12ihipStream_tbENKUlT_T0_SI_SN_E_clISD_PjSD_S15_EEDaS11_S12_SI_SN_EUlS11_E_NS1_11comp_targetILNS1_3genE10ELNS1_11target_archE1201ELNS1_3gpuE5ELNS1_3repE0EEENS1_47radix_sort_onesweep_sort_config_static_selectorELNS0_4arch9wavefront6targetE1EEEvSI_,@function
_ZN7rocprim17ROCPRIM_400000_NS6detail17trampoline_kernelINS0_14default_configENS1_35radix_sort_onesweep_config_selectorIjjEEZZNS1_29radix_sort_onesweep_iterationIS3_Lb0EN6thrust23THRUST_200600_302600_NS6detail15normal_iteratorINS8_10device_ptrIjEEEESD_SD_SD_jNS0_19identity_decomposerENS1_16block_id_wrapperIjLb0EEEEE10hipError_tT1_PNSt15iterator_traitsISI_E10value_typeET2_T3_PNSJ_ISO_E10value_typeET4_T5_PST_SU_PNS1_23onesweep_lookback_stateEbbT6_jjT7_P12ihipStream_tbENKUlT_T0_SI_SN_E_clISD_PjSD_S15_EEDaS11_S12_SI_SN_EUlS11_E_NS1_11comp_targetILNS1_3genE10ELNS1_11target_archE1201ELNS1_3gpuE5ELNS1_3repE0EEENS1_47radix_sort_onesweep_sort_config_static_selectorELNS0_4arch9wavefront6targetE1EEEvSI_: ; @_ZN7rocprim17ROCPRIM_400000_NS6detail17trampoline_kernelINS0_14default_configENS1_35radix_sort_onesweep_config_selectorIjjEEZZNS1_29radix_sort_onesweep_iterationIS3_Lb0EN6thrust23THRUST_200600_302600_NS6detail15normal_iteratorINS8_10device_ptrIjEEEESD_SD_SD_jNS0_19identity_decomposerENS1_16block_id_wrapperIjLb0EEEEE10hipError_tT1_PNSt15iterator_traitsISI_E10value_typeET2_T3_PNSJ_ISO_E10value_typeET4_T5_PST_SU_PNS1_23onesweep_lookback_stateEbbT6_jjT7_P12ihipStream_tbENKUlT_T0_SI_SN_E_clISD_PjSD_S15_EEDaS11_S12_SI_SN_EUlS11_E_NS1_11comp_targetILNS1_3genE10ELNS1_11target_archE1201ELNS1_3gpuE5ELNS1_3repE0EEENS1_47radix_sort_onesweep_sort_config_static_selectorELNS0_4arch9wavefront6targetE1EEEvSI_
; %bb.0:
	.section	.rodata,"a",@progbits
	.p2align	6, 0x0
	.amdhsa_kernel _ZN7rocprim17ROCPRIM_400000_NS6detail17trampoline_kernelINS0_14default_configENS1_35radix_sort_onesweep_config_selectorIjjEEZZNS1_29radix_sort_onesweep_iterationIS3_Lb0EN6thrust23THRUST_200600_302600_NS6detail15normal_iteratorINS8_10device_ptrIjEEEESD_SD_SD_jNS0_19identity_decomposerENS1_16block_id_wrapperIjLb0EEEEE10hipError_tT1_PNSt15iterator_traitsISI_E10value_typeET2_T3_PNSJ_ISO_E10value_typeET4_T5_PST_SU_PNS1_23onesweep_lookback_stateEbbT6_jjT7_P12ihipStream_tbENKUlT_T0_SI_SN_E_clISD_PjSD_S15_EEDaS11_S12_SI_SN_EUlS11_E_NS1_11comp_targetILNS1_3genE10ELNS1_11target_archE1201ELNS1_3gpuE5ELNS1_3repE0EEENS1_47radix_sort_onesweep_sort_config_static_selectorELNS0_4arch9wavefront6targetE1EEEvSI_
		.amdhsa_group_segment_fixed_size 0
		.amdhsa_private_segment_fixed_size 0
		.amdhsa_kernarg_size 88
		.amdhsa_user_sgpr_count 2
		.amdhsa_user_sgpr_dispatch_ptr 0
		.amdhsa_user_sgpr_queue_ptr 0
		.amdhsa_user_sgpr_kernarg_segment_ptr 1
		.amdhsa_user_sgpr_dispatch_id 0
		.amdhsa_user_sgpr_kernarg_preload_length 0
		.amdhsa_user_sgpr_kernarg_preload_offset 0
		.amdhsa_user_sgpr_private_segment_size 0
		.amdhsa_uses_dynamic_stack 0
		.amdhsa_enable_private_segment 0
		.amdhsa_system_sgpr_workgroup_id_x 1
		.amdhsa_system_sgpr_workgroup_id_y 0
		.amdhsa_system_sgpr_workgroup_id_z 0
		.amdhsa_system_sgpr_workgroup_info 0
		.amdhsa_system_vgpr_workitem_id 0
		.amdhsa_next_free_vgpr 1
		.amdhsa_next_free_sgpr 0
		.amdhsa_accum_offset 4
		.amdhsa_reserve_vcc 0
		.amdhsa_float_round_mode_32 0
		.amdhsa_float_round_mode_16_64 0
		.amdhsa_float_denorm_mode_32 3
		.amdhsa_float_denorm_mode_16_64 3
		.amdhsa_dx10_clamp 1
		.amdhsa_ieee_mode 1
		.amdhsa_fp16_overflow 0
		.amdhsa_tg_split 0
		.amdhsa_exception_fp_ieee_invalid_op 0
		.amdhsa_exception_fp_denorm_src 0
		.amdhsa_exception_fp_ieee_div_zero 0
		.amdhsa_exception_fp_ieee_overflow 0
		.amdhsa_exception_fp_ieee_underflow 0
		.amdhsa_exception_fp_ieee_inexact 0
		.amdhsa_exception_int_div_zero 0
	.end_amdhsa_kernel
	.section	.text._ZN7rocprim17ROCPRIM_400000_NS6detail17trampoline_kernelINS0_14default_configENS1_35radix_sort_onesweep_config_selectorIjjEEZZNS1_29radix_sort_onesweep_iterationIS3_Lb0EN6thrust23THRUST_200600_302600_NS6detail15normal_iteratorINS8_10device_ptrIjEEEESD_SD_SD_jNS0_19identity_decomposerENS1_16block_id_wrapperIjLb0EEEEE10hipError_tT1_PNSt15iterator_traitsISI_E10value_typeET2_T3_PNSJ_ISO_E10value_typeET4_T5_PST_SU_PNS1_23onesweep_lookback_stateEbbT6_jjT7_P12ihipStream_tbENKUlT_T0_SI_SN_E_clISD_PjSD_S15_EEDaS11_S12_SI_SN_EUlS11_E_NS1_11comp_targetILNS1_3genE10ELNS1_11target_archE1201ELNS1_3gpuE5ELNS1_3repE0EEENS1_47radix_sort_onesweep_sort_config_static_selectorELNS0_4arch9wavefront6targetE1EEEvSI_,"axG",@progbits,_ZN7rocprim17ROCPRIM_400000_NS6detail17trampoline_kernelINS0_14default_configENS1_35radix_sort_onesweep_config_selectorIjjEEZZNS1_29radix_sort_onesweep_iterationIS3_Lb0EN6thrust23THRUST_200600_302600_NS6detail15normal_iteratorINS8_10device_ptrIjEEEESD_SD_SD_jNS0_19identity_decomposerENS1_16block_id_wrapperIjLb0EEEEE10hipError_tT1_PNSt15iterator_traitsISI_E10value_typeET2_T3_PNSJ_ISO_E10value_typeET4_T5_PST_SU_PNS1_23onesweep_lookback_stateEbbT6_jjT7_P12ihipStream_tbENKUlT_T0_SI_SN_E_clISD_PjSD_S15_EEDaS11_S12_SI_SN_EUlS11_E_NS1_11comp_targetILNS1_3genE10ELNS1_11target_archE1201ELNS1_3gpuE5ELNS1_3repE0EEENS1_47radix_sort_onesweep_sort_config_static_selectorELNS0_4arch9wavefront6targetE1EEEvSI_,comdat
.Lfunc_end793:
	.size	_ZN7rocprim17ROCPRIM_400000_NS6detail17trampoline_kernelINS0_14default_configENS1_35radix_sort_onesweep_config_selectorIjjEEZZNS1_29radix_sort_onesweep_iterationIS3_Lb0EN6thrust23THRUST_200600_302600_NS6detail15normal_iteratorINS8_10device_ptrIjEEEESD_SD_SD_jNS0_19identity_decomposerENS1_16block_id_wrapperIjLb0EEEEE10hipError_tT1_PNSt15iterator_traitsISI_E10value_typeET2_T3_PNSJ_ISO_E10value_typeET4_T5_PST_SU_PNS1_23onesweep_lookback_stateEbbT6_jjT7_P12ihipStream_tbENKUlT_T0_SI_SN_E_clISD_PjSD_S15_EEDaS11_S12_SI_SN_EUlS11_E_NS1_11comp_targetILNS1_3genE10ELNS1_11target_archE1201ELNS1_3gpuE5ELNS1_3repE0EEENS1_47radix_sort_onesweep_sort_config_static_selectorELNS0_4arch9wavefront6targetE1EEEvSI_, .Lfunc_end793-_ZN7rocprim17ROCPRIM_400000_NS6detail17trampoline_kernelINS0_14default_configENS1_35radix_sort_onesweep_config_selectorIjjEEZZNS1_29radix_sort_onesweep_iterationIS3_Lb0EN6thrust23THRUST_200600_302600_NS6detail15normal_iteratorINS8_10device_ptrIjEEEESD_SD_SD_jNS0_19identity_decomposerENS1_16block_id_wrapperIjLb0EEEEE10hipError_tT1_PNSt15iterator_traitsISI_E10value_typeET2_T3_PNSJ_ISO_E10value_typeET4_T5_PST_SU_PNS1_23onesweep_lookback_stateEbbT6_jjT7_P12ihipStream_tbENKUlT_T0_SI_SN_E_clISD_PjSD_S15_EEDaS11_S12_SI_SN_EUlS11_E_NS1_11comp_targetILNS1_3genE10ELNS1_11target_archE1201ELNS1_3gpuE5ELNS1_3repE0EEENS1_47radix_sort_onesweep_sort_config_static_selectorELNS0_4arch9wavefront6targetE1EEEvSI_
                                        ; -- End function
	.set _ZN7rocprim17ROCPRIM_400000_NS6detail17trampoline_kernelINS0_14default_configENS1_35radix_sort_onesweep_config_selectorIjjEEZZNS1_29radix_sort_onesweep_iterationIS3_Lb0EN6thrust23THRUST_200600_302600_NS6detail15normal_iteratorINS8_10device_ptrIjEEEESD_SD_SD_jNS0_19identity_decomposerENS1_16block_id_wrapperIjLb0EEEEE10hipError_tT1_PNSt15iterator_traitsISI_E10value_typeET2_T3_PNSJ_ISO_E10value_typeET4_T5_PST_SU_PNS1_23onesweep_lookback_stateEbbT6_jjT7_P12ihipStream_tbENKUlT_T0_SI_SN_E_clISD_PjSD_S15_EEDaS11_S12_SI_SN_EUlS11_E_NS1_11comp_targetILNS1_3genE10ELNS1_11target_archE1201ELNS1_3gpuE5ELNS1_3repE0EEENS1_47radix_sort_onesweep_sort_config_static_selectorELNS0_4arch9wavefront6targetE1EEEvSI_.num_vgpr, 0
	.set _ZN7rocprim17ROCPRIM_400000_NS6detail17trampoline_kernelINS0_14default_configENS1_35radix_sort_onesweep_config_selectorIjjEEZZNS1_29radix_sort_onesweep_iterationIS3_Lb0EN6thrust23THRUST_200600_302600_NS6detail15normal_iteratorINS8_10device_ptrIjEEEESD_SD_SD_jNS0_19identity_decomposerENS1_16block_id_wrapperIjLb0EEEEE10hipError_tT1_PNSt15iterator_traitsISI_E10value_typeET2_T3_PNSJ_ISO_E10value_typeET4_T5_PST_SU_PNS1_23onesweep_lookback_stateEbbT6_jjT7_P12ihipStream_tbENKUlT_T0_SI_SN_E_clISD_PjSD_S15_EEDaS11_S12_SI_SN_EUlS11_E_NS1_11comp_targetILNS1_3genE10ELNS1_11target_archE1201ELNS1_3gpuE5ELNS1_3repE0EEENS1_47radix_sort_onesweep_sort_config_static_selectorELNS0_4arch9wavefront6targetE1EEEvSI_.num_agpr, 0
	.set _ZN7rocprim17ROCPRIM_400000_NS6detail17trampoline_kernelINS0_14default_configENS1_35radix_sort_onesweep_config_selectorIjjEEZZNS1_29radix_sort_onesweep_iterationIS3_Lb0EN6thrust23THRUST_200600_302600_NS6detail15normal_iteratorINS8_10device_ptrIjEEEESD_SD_SD_jNS0_19identity_decomposerENS1_16block_id_wrapperIjLb0EEEEE10hipError_tT1_PNSt15iterator_traitsISI_E10value_typeET2_T3_PNSJ_ISO_E10value_typeET4_T5_PST_SU_PNS1_23onesweep_lookback_stateEbbT6_jjT7_P12ihipStream_tbENKUlT_T0_SI_SN_E_clISD_PjSD_S15_EEDaS11_S12_SI_SN_EUlS11_E_NS1_11comp_targetILNS1_3genE10ELNS1_11target_archE1201ELNS1_3gpuE5ELNS1_3repE0EEENS1_47radix_sort_onesweep_sort_config_static_selectorELNS0_4arch9wavefront6targetE1EEEvSI_.numbered_sgpr, 0
	.set _ZN7rocprim17ROCPRIM_400000_NS6detail17trampoline_kernelINS0_14default_configENS1_35radix_sort_onesweep_config_selectorIjjEEZZNS1_29radix_sort_onesweep_iterationIS3_Lb0EN6thrust23THRUST_200600_302600_NS6detail15normal_iteratorINS8_10device_ptrIjEEEESD_SD_SD_jNS0_19identity_decomposerENS1_16block_id_wrapperIjLb0EEEEE10hipError_tT1_PNSt15iterator_traitsISI_E10value_typeET2_T3_PNSJ_ISO_E10value_typeET4_T5_PST_SU_PNS1_23onesweep_lookback_stateEbbT6_jjT7_P12ihipStream_tbENKUlT_T0_SI_SN_E_clISD_PjSD_S15_EEDaS11_S12_SI_SN_EUlS11_E_NS1_11comp_targetILNS1_3genE10ELNS1_11target_archE1201ELNS1_3gpuE5ELNS1_3repE0EEENS1_47radix_sort_onesweep_sort_config_static_selectorELNS0_4arch9wavefront6targetE1EEEvSI_.num_named_barrier, 0
	.set _ZN7rocprim17ROCPRIM_400000_NS6detail17trampoline_kernelINS0_14default_configENS1_35radix_sort_onesweep_config_selectorIjjEEZZNS1_29radix_sort_onesweep_iterationIS3_Lb0EN6thrust23THRUST_200600_302600_NS6detail15normal_iteratorINS8_10device_ptrIjEEEESD_SD_SD_jNS0_19identity_decomposerENS1_16block_id_wrapperIjLb0EEEEE10hipError_tT1_PNSt15iterator_traitsISI_E10value_typeET2_T3_PNSJ_ISO_E10value_typeET4_T5_PST_SU_PNS1_23onesweep_lookback_stateEbbT6_jjT7_P12ihipStream_tbENKUlT_T0_SI_SN_E_clISD_PjSD_S15_EEDaS11_S12_SI_SN_EUlS11_E_NS1_11comp_targetILNS1_3genE10ELNS1_11target_archE1201ELNS1_3gpuE5ELNS1_3repE0EEENS1_47radix_sort_onesweep_sort_config_static_selectorELNS0_4arch9wavefront6targetE1EEEvSI_.private_seg_size, 0
	.set _ZN7rocprim17ROCPRIM_400000_NS6detail17trampoline_kernelINS0_14default_configENS1_35radix_sort_onesweep_config_selectorIjjEEZZNS1_29radix_sort_onesweep_iterationIS3_Lb0EN6thrust23THRUST_200600_302600_NS6detail15normal_iteratorINS8_10device_ptrIjEEEESD_SD_SD_jNS0_19identity_decomposerENS1_16block_id_wrapperIjLb0EEEEE10hipError_tT1_PNSt15iterator_traitsISI_E10value_typeET2_T3_PNSJ_ISO_E10value_typeET4_T5_PST_SU_PNS1_23onesweep_lookback_stateEbbT6_jjT7_P12ihipStream_tbENKUlT_T0_SI_SN_E_clISD_PjSD_S15_EEDaS11_S12_SI_SN_EUlS11_E_NS1_11comp_targetILNS1_3genE10ELNS1_11target_archE1201ELNS1_3gpuE5ELNS1_3repE0EEENS1_47radix_sort_onesweep_sort_config_static_selectorELNS0_4arch9wavefront6targetE1EEEvSI_.uses_vcc, 0
	.set _ZN7rocprim17ROCPRIM_400000_NS6detail17trampoline_kernelINS0_14default_configENS1_35radix_sort_onesweep_config_selectorIjjEEZZNS1_29radix_sort_onesweep_iterationIS3_Lb0EN6thrust23THRUST_200600_302600_NS6detail15normal_iteratorINS8_10device_ptrIjEEEESD_SD_SD_jNS0_19identity_decomposerENS1_16block_id_wrapperIjLb0EEEEE10hipError_tT1_PNSt15iterator_traitsISI_E10value_typeET2_T3_PNSJ_ISO_E10value_typeET4_T5_PST_SU_PNS1_23onesweep_lookback_stateEbbT6_jjT7_P12ihipStream_tbENKUlT_T0_SI_SN_E_clISD_PjSD_S15_EEDaS11_S12_SI_SN_EUlS11_E_NS1_11comp_targetILNS1_3genE10ELNS1_11target_archE1201ELNS1_3gpuE5ELNS1_3repE0EEENS1_47radix_sort_onesweep_sort_config_static_selectorELNS0_4arch9wavefront6targetE1EEEvSI_.uses_flat_scratch, 0
	.set _ZN7rocprim17ROCPRIM_400000_NS6detail17trampoline_kernelINS0_14default_configENS1_35radix_sort_onesweep_config_selectorIjjEEZZNS1_29radix_sort_onesweep_iterationIS3_Lb0EN6thrust23THRUST_200600_302600_NS6detail15normal_iteratorINS8_10device_ptrIjEEEESD_SD_SD_jNS0_19identity_decomposerENS1_16block_id_wrapperIjLb0EEEEE10hipError_tT1_PNSt15iterator_traitsISI_E10value_typeET2_T3_PNSJ_ISO_E10value_typeET4_T5_PST_SU_PNS1_23onesweep_lookback_stateEbbT6_jjT7_P12ihipStream_tbENKUlT_T0_SI_SN_E_clISD_PjSD_S15_EEDaS11_S12_SI_SN_EUlS11_E_NS1_11comp_targetILNS1_3genE10ELNS1_11target_archE1201ELNS1_3gpuE5ELNS1_3repE0EEENS1_47radix_sort_onesweep_sort_config_static_selectorELNS0_4arch9wavefront6targetE1EEEvSI_.has_dyn_sized_stack, 0
	.set _ZN7rocprim17ROCPRIM_400000_NS6detail17trampoline_kernelINS0_14default_configENS1_35radix_sort_onesweep_config_selectorIjjEEZZNS1_29radix_sort_onesweep_iterationIS3_Lb0EN6thrust23THRUST_200600_302600_NS6detail15normal_iteratorINS8_10device_ptrIjEEEESD_SD_SD_jNS0_19identity_decomposerENS1_16block_id_wrapperIjLb0EEEEE10hipError_tT1_PNSt15iterator_traitsISI_E10value_typeET2_T3_PNSJ_ISO_E10value_typeET4_T5_PST_SU_PNS1_23onesweep_lookback_stateEbbT6_jjT7_P12ihipStream_tbENKUlT_T0_SI_SN_E_clISD_PjSD_S15_EEDaS11_S12_SI_SN_EUlS11_E_NS1_11comp_targetILNS1_3genE10ELNS1_11target_archE1201ELNS1_3gpuE5ELNS1_3repE0EEENS1_47radix_sort_onesweep_sort_config_static_selectorELNS0_4arch9wavefront6targetE1EEEvSI_.has_recursion, 0
	.set _ZN7rocprim17ROCPRIM_400000_NS6detail17trampoline_kernelINS0_14default_configENS1_35radix_sort_onesweep_config_selectorIjjEEZZNS1_29radix_sort_onesweep_iterationIS3_Lb0EN6thrust23THRUST_200600_302600_NS6detail15normal_iteratorINS8_10device_ptrIjEEEESD_SD_SD_jNS0_19identity_decomposerENS1_16block_id_wrapperIjLb0EEEEE10hipError_tT1_PNSt15iterator_traitsISI_E10value_typeET2_T3_PNSJ_ISO_E10value_typeET4_T5_PST_SU_PNS1_23onesweep_lookback_stateEbbT6_jjT7_P12ihipStream_tbENKUlT_T0_SI_SN_E_clISD_PjSD_S15_EEDaS11_S12_SI_SN_EUlS11_E_NS1_11comp_targetILNS1_3genE10ELNS1_11target_archE1201ELNS1_3gpuE5ELNS1_3repE0EEENS1_47radix_sort_onesweep_sort_config_static_selectorELNS0_4arch9wavefront6targetE1EEEvSI_.has_indirect_call, 0
	.section	.AMDGPU.csdata,"",@progbits
; Kernel info:
; codeLenInByte = 0
; TotalNumSgprs: 6
; NumVgprs: 0
; NumAgprs: 0
; TotalNumVgprs: 0
; ScratchSize: 0
; MemoryBound: 0
; FloatMode: 240
; IeeeMode: 1
; LDSByteSize: 0 bytes/workgroup (compile time only)
; SGPRBlocks: 0
; VGPRBlocks: 0
; NumSGPRsForWavesPerEU: 6
; NumVGPRsForWavesPerEU: 1
; AccumOffset: 4
; Occupancy: 8
; WaveLimiterHint : 0
; COMPUTE_PGM_RSRC2:SCRATCH_EN: 0
; COMPUTE_PGM_RSRC2:USER_SGPR: 2
; COMPUTE_PGM_RSRC2:TRAP_HANDLER: 0
; COMPUTE_PGM_RSRC2:TGID_X_EN: 1
; COMPUTE_PGM_RSRC2:TGID_Y_EN: 0
; COMPUTE_PGM_RSRC2:TGID_Z_EN: 0
; COMPUTE_PGM_RSRC2:TIDIG_COMP_CNT: 0
; COMPUTE_PGM_RSRC3_GFX90A:ACCUM_OFFSET: 0
; COMPUTE_PGM_RSRC3_GFX90A:TG_SPLIT: 0
	.section	.text._ZN7rocprim17ROCPRIM_400000_NS6detail17trampoline_kernelINS0_14default_configENS1_35radix_sort_onesweep_config_selectorIjjEEZZNS1_29radix_sort_onesweep_iterationIS3_Lb0EN6thrust23THRUST_200600_302600_NS6detail15normal_iteratorINS8_10device_ptrIjEEEESD_SD_SD_jNS0_19identity_decomposerENS1_16block_id_wrapperIjLb0EEEEE10hipError_tT1_PNSt15iterator_traitsISI_E10value_typeET2_T3_PNSJ_ISO_E10value_typeET4_T5_PST_SU_PNS1_23onesweep_lookback_stateEbbT6_jjT7_P12ihipStream_tbENKUlT_T0_SI_SN_E_clISD_PjSD_S15_EEDaS11_S12_SI_SN_EUlS11_E_NS1_11comp_targetILNS1_3genE9ELNS1_11target_archE1100ELNS1_3gpuE3ELNS1_3repE0EEENS1_47radix_sort_onesweep_sort_config_static_selectorELNS0_4arch9wavefront6targetE1EEEvSI_,"axG",@progbits,_ZN7rocprim17ROCPRIM_400000_NS6detail17trampoline_kernelINS0_14default_configENS1_35radix_sort_onesweep_config_selectorIjjEEZZNS1_29radix_sort_onesweep_iterationIS3_Lb0EN6thrust23THRUST_200600_302600_NS6detail15normal_iteratorINS8_10device_ptrIjEEEESD_SD_SD_jNS0_19identity_decomposerENS1_16block_id_wrapperIjLb0EEEEE10hipError_tT1_PNSt15iterator_traitsISI_E10value_typeET2_T3_PNSJ_ISO_E10value_typeET4_T5_PST_SU_PNS1_23onesweep_lookback_stateEbbT6_jjT7_P12ihipStream_tbENKUlT_T0_SI_SN_E_clISD_PjSD_S15_EEDaS11_S12_SI_SN_EUlS11_E_NS1_11comp_targetILNS1_3genE9ELNS1_11target_archE1100ELNS1_3gpuE3ELNS1_3repE0EEENS1_47radix_sort_onesweep_sort_config_static_selectorELNS0_4arch9wavefront6targetE1EEEvSI_,comdat
	.protected	_ZN7rocprim17ROCPRIM_400000_NS6detail17trampoline_kernelINS0_14default_configENS1_35radix_sort_onesweep_config_selectorIjjEEZZNS1_29radix_sort_onesweep_iterationIS3_Lb0EN6thrust23THRUST_200600_302600_NS6detail15normal_iteratorINS8_10device_ptrIjEEEESD_SD_SD_jNS0_19identity_decomposerENS1_16block_id_wrapperIjLb0EEEEE10hipError_tT1_PNSt15iterator_traitsISI_E10value_typeET2_T3_PNSJ_ISO_E10value_typeET4_T5_PST_SU_PNS1_23onesweep_lookback_stateEbbT6_jjT7_P12ihipStream_tbENKUlT_T0_SI_SN_E_clISD_PjSD_S15_EEDaS11_S12_SI_SN_EUlS11_E_NS1_11comp_targetILNS1_3genE9ELNS1_11target_archE1100ELNS1_3gpuE3ELNS1_3repE0EEENS1_47radix_sort_onesweep_sort_config_static_selectorELNS0_4arch9wavefront6targetE1EEEvSI_ ; -- Begin function _ZN7rocprim17ROCPRIM_400000_NS6detail17trampoline_kernelINS0_14default_configENS1_35radix_sort_onesweep_config_selectorIjjEEZZNS1_29radix_sort_onesweep_iterationIS3_Lb0EN6thrust23THRUST_200600_302600_NS6detail15normal_iteratorINS8_10device_ptrIjEEEESD_SD_SD_jNS0_19identity_decomposerENS1_16block_id_wrapperIjLb0EEEEE10hipError_tT1_PNSt15iterator_traitsISI_E10value_typeET2_T3_PNSJ_ISO_E10value_typeET4_T5_PST_SU_PNS1_23onesweep_lookback_stateEbbT6_jjT7_P12ihipStream_tbENKUlT_T0_SI_SN_E_clISD_PjSD_S15_EEDaS11_S12_SI_SN_EUlS11_E_NS1_11comp_targetILNS1_3genE9ELNS1_11target_archE1100ELNS1_3gpuE3ELNS1_3repE0EEENS1_47radix_sort_onesweep_sort_config_static_selectorELNS0_4arch9wavefront6targetE1EEEvSI_
	.globl	_ZN7rocprim17ROCPRIM_400000_NS6detail17trampoline_kernelINS0_14default_configENS1_35radix_sort_onesweep_config_selectorIjjEEZZNS1_29radix_sort_onesweep_iterationIS3_Lb0EN6thrust23THRUST_200600_302600_NS6detail15normal_iteratorINS8_10device_ptrIjEEEESD_SD_SD_jNS0_19identity_decomposerENS1_16block_id_wrapperIjLb0EEEEE10hipError_tT1_PNSt15iterator_traitsISI_E10value_typeET2_T3_PNSJ_ISO_E10value_typeET4_T5_PST_SU_PNS1_23onesweep_lookback_stateEbbT6_jjT7_P12ihipStream_tbENKUlT_T0_SI_SN_E_clISD_PjSD_S15_EEDaS11_S12_SI_SN_EUlS11_E_NS1_11comp_targetILNS1_3genE9ELNS1_11target_archE1100ELNS1_3gpuE3ELNS1_3repE0EEENS1_47radix_sort_onesweep_sort_config_static_selectorELNS0_4arch9wavefront6targetE1EEEvSI_
	.p2align	8
	.type	_ZN7rocprim17ROCPRIM_400000_NS6detail17trampoline_kernelINS0_14default_configENS1_35radix_sort_onesweep_config_selectorIjjEEZZNS1_29radix_sort_onesweep_iterationIS3_Lb0EN6thrust23THRUST_200600_302600_NS6detail15normal_iteratorINS8_10device_ptrIjEEEESD_SD_SD_jNS0_19identity_decomposerENS1_16block_id_wrapperIjLb0EEEEE10hipError_tT1_PNSt15iterator_traitsISI_E10value_typeET2_T3_PNSJ_ISO_E10value_typeET4_T5_PST_SU_PNS1_23onesweep_lookback_stateEbbT6_jjT7_P12ihipStream_tbENKUlT_T0_SI_SN_E_clISD_PjSD_S15_EEDaS11_S12_SI_SN_EUlS11_E_NS1_11comp_targetILNS1_3genE9ELNS1_11target_archE1100ELNS1_3gpuE3ELNS1_3repE0EEENS1_47radix_sort_onesweep_sort_config_static_selectorELNS0_4arch9wavefront6targetE1EEEvSI_,@function
_ZN7rocprim17ROCPRIM_400000_NS6detail17trampoline_kernelINS0_14default_configENS1_35radix_sort_onesweep_config_selectorIjjEEZZNS1_29radix_sort_onesweep_iterationIS3_Lb0EN6thrust23THRUST_200600_302600_NS6detail15normal_iteratorINS8_10device_ptrIjEEEESD_SD_SD_jNS0_19identity_decomposerENS1_16block_id_wrapperIjLb0EEEEE10hipError_tT1_PNSt15iterator_traitsISI_E10value_typeET2_T3_PNSJ_ISO_E10value_typeET4_T5_PST_SU_PNS1_23onesweep_lookback_stateEbbT6_jjT7_P12ihipStream_tbENKUlT_T0_SI_SN_E_clISD_PjSD_S15_EEDaS11_S12_SI_SN_EUlS11_E_NS1_11comp_targetILNS1_3genE9ELNS1_11target_archE1100ELNS1_3gpuE3ELNS1_3repE0EEENS1_47radix_sort_onesweep_sort_config_static_selectorELNS0_4arch9wavefront6targetE1EEEvSI_: ; @_ZN7rocprim17ROCPRIM_400000_NS6detail17trampoline_kernelINS0_14default_configENS1_35radix_sort_onesweep_config_selectorIjjEEZZNS1_29radix_sort_onesweep_iterationIS3_Lb0EN6thrust23THRUST_200600_302600_NS6detail15normal_iteratorINS8_10device_ptrIjEEEESD_SD_SD_jNS0_19identity_decomposerENS1_16block_id_wrapperIjLb0EEEEE10hipError_tT1_PNSt15iterator_traitsISI_E10value_typeET2_T3_PNSJ_ISO_E10value_typeET4_T5_PST_SU_PNS1_23onesweep_lookback_stateEbbT6_jjT7_P12ihipStream_tbENKUlT_T0_SI_SN_E_clISD_PjSD_S15_EEDaS11_S12_SI_SN_EUlS11_E_NS1_11comp_targetILNS1_3genE9ELNS1_11target_archE1100ELNS1_3gpuE3ELNS1_3repE0EEENS1_47radix_sort_onesweep_sort_config_static_selectorELNS0_4arch9wavefront6targetE1EEEvSI_
; %bb.0:
	.section	.rodata,"a",@progbits
	.p2align	6, 0x0
	.amdhsa_kernel _ZN7rocprim17ROCPRIM_400000_NS6detail17trampoline_kernelINS0_14default_configENS1_35radix_sort_onesweep_config_selectorIjjEEZZNS1_29radix_sort_onesweep_iterationIS3_Lb0EN6thrust23THRUST_200600_302600_NS6detail15normal_iteratorINS8_10device_ptrIjEEEESD_SD_SD_jNS0_19identity_decomposerENS1_16block_id_wrapperIjLb0EEEEE10hipError_tT1_PNSt15iterator_traitsISI_E10value_typeET2_T3_PNSJ_ISO_E10value_typeET4_T5_PST_SU_PNS1_23onesweep_lookback_stateEbbT6_jjT7_P12ihipStream_tbENKUlT_T0_SI_SN_E_clISD_PjSD_S15_EEDaS11_S12_SI_SN_EUlS11_E_NS1_11comp_targetILNS1_3genE9ELNS1_11target_archE1100ELNS1_3gpuE3ELNS1_3repE0EEENS1_47radix_sort_onesweep_sort_config_static_selectorELNS0_4arch9wavefront6targetE1EEEvSI_
		.amdhsa_group_segment_fixed_size 0
		.amdhsa_private_segment_fixed_size 0
		.amdhsa_kernarg_size 88
		.amdhsa_user_sgpr_count 2
		.amdhsa_user_sgpr_dispatch_ptr 0
		.amdhsa_user_sgpr_queue_ptr 0
		.amdhsa_user_sgpr_kernarg_segment_ptr 1
		.amdhsa_user_sgpr_dispatch_id 0
		.amdhsa_user_sgpr_kernarg_preload_length 0
		.amdhsa_user_sgpr_kernarg_preload_offset 0
		.amdhsa_user_sgpr_private_segment_size 0
		.amdhsa_uses_dynamic_stack 0
		.amdhsa_enable_private_segment 0
		.amdhsa_system_sgpr_workgroup_id_x 1
		.amdhsa_system_sgpr_workgroup_id_y 0
		.amdhsa_system_sgpr_workgroup_id_z 0
		.amdhsa_system_sgpr_workgroup_info 0
		.amdhsa_system_vgpr_workitem_id 0
		.amdhsa_next_free_vgpr 1
		.amdhsa_next_free_sgpr 0
		.amdhsa_accum_offset 4
		.amdhsa_reserve_vcc 0
		.amdhsa_float_round_mode_32 0
		.amdhsa_float_round_mode_16_64 0
		.amdhsa_float_denorm_mode_32 3
		.amdhsa_float_denorm_mode_16_64 3
		.amdhsa_dx10_clamp 1
		.amdhsa_ieee_mode 1
		.amdhsa_fp16_overflow 0
		.amdhsa_tg_split 0
		.amdhsa_exception_fp_ieee_invalid_op 0
		.amdhsa_exception_fp_denorm_src 0
		.amdhsa_exception_fp_ieee_div_zero 0
		.amdhsa_exception_fp_ieee_overflow 0
		.amdhsa_exception_fp_ieee_underflow 0
		.amdhsa_exception_fp_ieee_inexact 0
		.amdhsa_exception_int_div_zero 0
	.end_amdhsa_kernel
	.section	.text._ZN7rocprim17ROCPRIM_400000_NS6detail17trampoline_kernelINS0_14default_configENS1_35radix_sort_onesweep_config_selectorIjjEEZZNS1_29radix_sort_onesweep_iterationIS3_Lb0EN6thrust23THRUST_200600_302600_NS6detail15normal_iteratorINS8_10device_ptrIjEEEESD_SD_SD_jNS0_19identity_decomposerENS1_16block_id_wrapperIjLb0EEEEE10hipError_tT1_PNSt15iterator_traitsISI_E10value_typeET2_T3_PNSJ_ISO_E10value_typeET4_T5_PST_SU_PNS1_23onesweep_lookback_stateEbbT6_jjT7_P12ihipStream_tbENKUlT_T0_SI_SN_E_clISD_PjSD_S15_EEDaS11_S12_SI_SN_EUlS11_E_NS1_11comp_targetILNS1_3genE9ELNS1_11target_archE1100ELNS1_3gpuE3ELNS1_3repE0EEENS1_47radix_sort_onesweep_sort_config_static_selectorELNS0_4arch9wavefront6targetE1EEEvSI_,"axG",@progbits,_ZN7rocprim17ROCPRIM_400000_NS6detail17trampoline_kernelINS0_14default_configENS1_35radix_sort_onesweep_config_selectorIjjEEZZNS1_29radix_sort_onesweep_iterationIS3_Lb0EN6thrust23THRUST_200600_302600_NS6detail15normal_iteratorINS8_10device_ptrIjEEEESD_SD_SD_jNS0_19identity_decomposerENS1_16block_id_wrapperIjLb0EEEEE10hipError_tT1_PNSt15iterator_traitsISI_E10value_typeET2_T3_PNSJ_ISO_E10value_typeET4_T5_PST_SU_PNS1_23onesweep_lookback_stateEbbT6_jjT7_P12ihipStream_tbENKUlT_T0_SI_SN_E_clISD_PjSD_S15_EEDaS11_S12_SI_SN_EUlS11_E_NS1_11comp_targetILNS1_3genE9ELNS1_11target_archE1100ELNS1_3gpuE3ELNS1_3repE0EEENS1_47radix_sort_onesweep_sort_config_static_selectorELNS0_4arch9wavefront6targetE1EEEvSI_,comdat
.Lfunc_end794:
	.size	_ZN7rocprim17ROCPRIM_400000_NS6detail17trampoline_kernelINS0_14default_configENS1_35radix_sort_onesweep_config_selectorIjjEEZZNS1_29radix_sort_onesweep_iterationIS3_Lb0EN6thrust23THRUST_200600_302600_NS6detail15normal_iteratorINS8_10device_ptrIjEEEESD_SD_SD_jNS0_19identity_decomposerENS1_16block_id_wrapperIjLb0EEEEE10hipError_tT1_PNSt15iterator_traitsISI_E10value_typeET2_T3_PNSJ_ISO_E10value_typeET4_T5_PST_SU_PNS1_23onesweep_lookback_stateEbbT6_jjT7_P12ihipStream_tbENKUlT_T0_SI_SN_E_clISD_PjSD_S15_EEDaS11_S12_SI_SN_EUlS11_E_NS1_11comp_targetILNS1_3genE9ELNS1_11target_archE1100ELNS1_3gpuE3ELNS1_3repE0EEENS1_47radix_sort_onesweep_sort_config_static_selectorELNS0_4arch9wavefront6targetE1EEEvSI_, .Lfunc_end794-_ZN7rocprim17ROCPRIM_400000_NS6detail17trampoline_kernelINS0_14default_configENS1_35radix_sort_onesweep_config_selectorIjjEEZZNS1_29radix_sort_onesweep_iterationIS3_Lb0EN6thrust23THRUST_200600_302600_NS6detail15normal_iteratorINS8_10device_ptrIjEEEESD_SD_SD_jNS0_19identity_decomposerENS1_16block_id_wrapperIjLb0EEEEE10hipError_tT1_PNSt15iterator_traitsISI_E10value_typeET2_T3_PNSJ_ISO_E10value_typeET4_T5_PST_SU_PNS1_23onesweep_lookback_stateEbbT6_jjT7_P12ihipStream_tbENKUlT_T0_SI_SN_E_clISD_PjSD_S15_EEDaS11_S12_SI_SN_EUlS11_E_NS1_11comp_targetILNS1_3genE9ELNS1_11target_archE1100ELNS1_3gpuE3ELNS1_3repE0EEENS1_47radix_sort_onesweep_sort_config_static_selectorELNS0_4arch9wavefront6targetE1EEEvSI_
                                        ; -- End function
	.set _ZN7rocprim17ROCPRIM_400000_NS6detail17trampoline_kernelINS0_14default_configENS1_35radix_sort_onesweep_config_selectorIjjEEZZNS1_29radix_sort_onesweep_iterationIS3_Lb0EN6thrust23THRUST_200600_302600_NS6detail15normal_iteratorINS8_10device_ptrIjEEEESD_SD_SD_jNS0_19identity_decomposerENS1_16block_id_wrapperIjLb0EEEEE10hipError_tT1_PNSt15iterator_traitsISI_E10value_typeET2_T3_PNSJ_ISO_E10value_typeET4_T5_PST_SU_PNS1_23onesweep_lookback_stateEbbT6_jjT7_P12ihipStream_tbENKUlT_T0_SI_SN_E_clISD_PjSD_S15_EEDaS11_S12_SI_SN_EUlS11_E_NS1_11comp_targetILNS1_3genE9ELNS1_11target_archE1100ELNS1_3gpuE3ELNS1_3repE0EEENS1_47radix_sort_onesweep_sort_config_static_selectorELNS0_4arch9wavefront6targetE1EEEvSI_.num_vgpr, 0
	.set _ZN7rocprim17ROCPRIM_400000_NS6detail17trampoline_kernelINS0_14default_configENS1_35radix_sort_onesweep_config_selectorIjjEEZZNS1_29radix_sort_onesweep_iterationIS3_Lb0EN6thrust23THRUST_200600_302600_NS6detail15normal_iteratorINS8_10device_ptrIjEEEESD_SD_SD_jNS0_19identity_decomposerENS1_16block_id_wrapperIjLb0EEEEE10hipError_tT1_PNSt15iterator_traitsISI_E10value_typeET2_T3_PNSJ_ISO_E10value_typeET4_T5_PST_SU_PNS1_23onesweep_lookback_stateEbbT6_jjT7_P12ihipStream_tbENKUlT_T0_SI_SN_E_clISD_PjSD_S15_EEDaS11_S12_SI_SN_EUlS11_E_NS1_11comp_targetILNS1_3genE9ELNS1_11target_archE1100ELNS1_3gpuE3ELNS1_3repE0EEENS1_47radix_sort_onesweep_sort_config_static_selectorELNS0_4arch9wavefront6targetE1EEEvSI_.num_agpr, 0
	.set _ZN7rocprim17ROCPRIM_400000_NS6detail17trampoline_kernelINS0_14default_configENS1_35radix_sort_onesweep_config_selectorIjjEEZZNS1_29radix_sort_onesweep_iterationIS3_Lb0EN6thrust23THRUST_200600_302600_NS6detail15normal_iteratorINS8_10device_ptrIjEEEESD_SD_SD_jNS0_19identity_decomposerENS1_16block_id_wrapperIjLb0EEEEE10hipError_tT1_PNSt15iterator_traitsISI_E10value_typeET2_T3_PNSJ_ISO_E10value_typeET4_T5_PST_SU_PNS1_23onesweep_lookback_stateEbbT6_jjT7_P12ihipStream_tbENKUlT_T0_SI_SN_E_clISD_PjSD_S15_EEDaS11_S12_SI_SN_EUlS11_E_NS1_11comp_targetILNS1_3genE9ELNS1_11target_archE1100ELNS1_3gpuE3ELNS1_3repE0EEENS1_47radix_sort_onesweep_sort_config_static_selectorELNS0_4arch9wavefront6targetE1EEEvSI_.numbered_sgpr, 0
	.set _ZN7rocprim17ROCPRIM_400000_NS6detail17trampoline_kernelINS0_14default_configENS1_35radix_sort_onesweep_config_selectorIjjEEZZNS1_29radix_sort_onesweep_iterationIS3_Lb0EN6thrust23THRUST_200600_302600_NS6detail15normal_iteratorINS8_10device_ptrIjEEEESD_SD_SD_jNS0_19identity_decomposerENS1_16block_id_wrapperIjLb0EEEEE10hipError_tT1_PNSt15iterator_traitsISI_E10value_typeET2_T3_PNSJ_ISO_E10value_typeET4_T5_PST_SU_PNS1_23onesweep_lookback_stateEbbT6_jjT7_P12ihipStream_tbENKUlT_T0_SI_SN_E_clISD_PjSD_S15_EEDaS11_S12_SI_SN_EUlS11_E_NS1_11comp_targetILNS1_3genE9ELNS1_11target_archE1100ELNS1_3gpuE3ELNS1_3repE0EEENS1_47radix_sort_onesweep_sort_config_static_selectorELNS0_4arch9wavefront6targetE1EEEvSI_.num_named_barrier, 0
	.set _ZN7rocprim17ROCPRIM_400000_NS6detail17trampoline_kernelINS0_14default_configENS1_35radix_sort_onesweep_config_selectorIjjEEZZNS1_29radix_sort_onesweep_iterationIS3_Lb0EN6thrust23THRUST_200600_302600_NS6detail15normal_iteratorINS8_10device_ptrIjEEEESD_SD_SD_jNS0_19identity_decomposerENS1_16block_id_wrapperIjLb0EEEEE10hipError_tT1_PNSt15iterator_traitsISI_E10value_typeET2_T3_PNSJ_ISO_E10value_typeET4_T5_PST_SU_PNS1_23onesweep_lookback_stateEbbT6_jjT7_P12ihipStream_tbENKUlT_T0_SI_SN_E_clISD_PjSD_S15_EEDaS11_S12_SI_SN_EUlS11_E_NS1_11comp_targetILNS1_3genE9ELNS1_11target_archE1100ELNS1_3gpuE3ELNS1_3repE0EEENS1_47radix_sort_onesweep_sort_config_static_selectorELNS0_4arch9wavefront6targetE1EEEvSI_.private_seg_size, 0
	.set _ZN7rocprim17ROCPRIM_400000_NS6detail17trampoline_kernelINS0_14default_configENS1_35radix_sort_onesweep_config_selectorIjjEEZZNS1_29radix_sort_onesweep_iterationIS3_Lb0EN6thrust23THRUST_200600_302600_NS6detail15normal_iteratorINS8_10device_ptrIjEEEESD_SD_SD_jNS0_19identity_decomposerENS1_16block_id_wrapperIjLb0EEEEE10hipError_tT1_PNSt15iterator_traitsISI_E10value_typeET2_T3_PNSJ_ISO_E10value_typeET4_T5_PST_SU_PNS1_23onesweep_lookback_stateEbbT6_jjT7_P12ihipStream_tbENKUlT_T0_SI_SN_E_clISD_PjSD_S15_EEDaS11_S12_SI_SN_EUlS11_E_NS1_11comp_targetILNS1_3genE9ELNS1_11target_archE1100ELNS1_3gpuE3ELNS1_3repE0EEENS1_47radix_sort_onesweep_sort_config_static_selectorELNS0_4arch9wavefront6targetE1EEEvSI_.uses_vcc, 0
	.set _ZN7rocprim17ROCPRIM_400000_NS6detail17trampoline_kernelINS0_14default_configENS1_35radix_sort_onesweep_config_selectorIjjEEZZNS1_29radix_sort_onesweep_iterationIS3_Lb0EN6thrust23THRUST_200600_302600_NS6detail15normal_iteratorINS8_10device_ptrIjEEEESD_SD_SD_jNS0_19identity_decomposerENS1_16block_id_wrapperIjLb0EEEEE10hipError_tT1_PNSt15iterator_traitsISI_E10value_typeET2_T3_PNSJ_ISO_E10value_typeET4_T5_PST_SU_PNS1_23onesweep_lookback_stateEbbT6_jjT7_P12ihipStream_tbENKUlT_T0_SI_SN_E_clISD_PjSD_S15_EEDaS11_S12_SI_SN_EUlS11_E_NS1_11comp_targetILNS1_3genE9ELNS1_11target_archE1100ELNS1_3gpuE3ELNS1_3repE0EEENS1_47radix_sort_onesweep_sort_config_static_selectorELNS0_4arch9wavefront6targetE1EEEvSI_.uses_flat_scratch, 0
	.set _ZN7rocprim17ROCPRIM_400000_NS6detail17trampoline_kernelINS0_14default_configENS1_35radix_sort_onesweep_config_selectorIjjEEZZNS1_29radix_sort_onesweep_iterationIS3_Lb0EN6thrust23THRUST_200600_302600_NS6detail15normal_iteratorINS8_10device_ptrIjEEEESD_SD_SD_jNS0_19identity_decomposerENS1_16block_id_wrapperIjLb0EEEEE10hipError_tT1_PNSt15iterator_traitsISI_E10value_typeET2_T3_PNSJ_ISO_E10value_typeET4_T5_PST_SU_PNS1_23onesweep_lookback_stateEbbT6_jjT7_P12ihipStream_tbENKUlT_T0_SI_SN_E_clISD_PjSD_S15_EEDaS11_S12_SI_SN_EUlS11_E_NS1_11comp_targetILNS1_3genE9ELNS1_11target_archE1100ELNS1_3gpuE3ELNS1_3repE0EEENS1_47radix_sort_onesweep_sort_config_static_selectorELNS0_4arch9wavefront6targetE1EEEvSI_.has_dyn_sized_stack, 0
	.set _ZN7rocprim17ROCPRIM_400000_NS6detail17trampoline_kernelINS0_14default_configENS1_35radix_sort_onesweep_config_selectorIjjEEZZNS1_29radix_sort_onesweep_iterationIS3_Lb0EN6thrust23THRUST_200600_302600_NS6detail15normal_iteratorINS8_10device_ptrIjEEEESD_SD_SD_jNS0_19identity_decomposerENS1_16block_id_wrapperIjLb0EEEEE10hipError_tT1_PNSt15iterator_traitsISI_E10value_typeET2_T3_PNSJ_ISO_E10value_typeET4_T5_PST_SU_PNS1_23onesweep_lookback_stateEbbT6_jjT7_P12ihipStream_tbENKUlT_T0_SI_SN_E_clISD_PjSD_S15_EEDaS11_S12_SI_SN_EUlS11_E_NS1_11comp_targetILNS1_3genE9ELNS1_11target_archE1100ELNS1_3gpuE3ELNS1_3repE0EEENS1_47radix_sort_onesweep_sort_config_static_selectorELNS0_4arch9wavefront6targetE1EEEvSI_.has_recursion, 0
	.set _ZN7rocprim17ROCPRIM_400000_NS6detail17trampoline_kernelINS0_14default_configENS1_35radix_sort_onesweep_config_selectorIjjEEZZNS1_29radix_sort_onesweep_iterationIS3_Lb0EN6thrust23THRUST_200600_302600_NS6detail15normal_iteratorINS8_10device_ptrIjEEEESD_SD_SD_jNS0_19identity_decomposerENS1_16block_id_wrapperIjLb0EEEEE10hipError_tT1_PNSt15iterator_traitsISI_E10value_typeET2_T3_PNSJ_ISO_E10value_typeET4_T5_PST_SU_PNS1_23onesweep_lookback_stateEbbT6_jjT7_P12ihipStream_tbENKUlT_T0_SI_SN_E_clISD_PjSD_S15_EEDaS11_S12_SI_SN_EUlS11_E_NS1_11comp_targetILNS1_3genE9ELNS1_11target_archE1100ELNS1_3gpuE3ELNS1_3repE0EEENS1_47radix_sort_onesweep_sort_config_static_selectorELNS0_4arch9wavefront6targetE1EEEvSI_.has_indirect_call, 0
	.section	.AMDGPU.csdata,"",@progbits
; Kernel info:
; codeLenInByte = 0
; TotalNumSgprs: 6
; NumVgprs: 0
; NumAgprs: 0
; TotalNumVgprs: 0
; ScratchSize: 0
; MemoryBound: 0
; FloatMode: 240
; IeeeMode: 1
; LDSByteSize: 0 bytes/workgroup (compile time only)
; SGPRBlocks: 0
; VGPRBlocks: 0
; NumSGPRsForWavesPerEU: 6
; NumVGPRsForWavesPerEU: 1
; AccumOffset: 4
; Occupancy: 8
; WaveLimiterHint : 0
; COMPUTE_PGM_RSRC2:SCRATCH_EN: 0
; COMPUTE_PGM_RSRC2:USER_SGPR: 2
; COMPUTE_PGM_RSRC2:TRAP_HANDLER: 0
; COMPUTE_PGM_RSRC2:TGID_X_EN: 1
; COMPUTE_PGM_RSRC2:TGID_Y_EN: 0
; COMPUTE_PGM_RSRC2:TGID_Z_EN: 0
; COMPUTE_PGM_RSRC2:TIDIG_COMP_CNT: 0
; COMPUTE_PGM_RSRC3_GFX90A:ACCUM_OFFSET: 0
; COMPUTE_PGM_RSRC3_GFX90A:TG_SPLIT: 0
	.section	.text._ZN7rocprim17ROCPRIM_400000_NS6detail17trampoline_kernelINS0_14default_configENS1_35radix_sort_onesweep_config_selectorIjjEEZZNS1_29radix_sort_onesweep_iterationIS3_Lb0EN6thrust23THRUST_200600_302600_NS6detail15normal_iteratorINS8_10device_ptrIjEEEESD_SD_SD_jNS0_19identity_decomposerENS1_16block_id_wrapperIjLb0EEEEE10hipError_tT1_PNSt15iterator_traitsISI_E10value_typeET2_T3_PNSJ_ISO_E10value_typeET4_T5_PST_SU_PNS1_23onesweep_lookback_stateEbbT6_jjT7_P12ihipStream_tbENKUlT_T0_SI_SN_E_clISD_PjSD_S15_EEDaS11_S12_SI_SN_EUlS11_E_NS1_11comp_targetILNS1_3genE8ELNS1_11target_archE1030ELNS1_3gpuE2ELNS1_3repE0EEENS1_47radix_sort_onesweep_sort_config_static_selectorELNS0_4arch9wavefront6targetE1EEEvSI_,"axG",@progbits,_ZN7rocprim17ROCPRIM_400000_NS6detail17trampoline_kernelINS0_14default_configENS1_35radix_sort_onesweep_config_selectorIjjEEZZNS1_29radix_sort_onesweep_iterationIS3_Lb0EN6thrust23THRUST_200600_302600_NS6detail15normal_iteratorINS8_10device_ptrIjEEEESD_SD_SD_jNS0_19identity_decomposerENS1_16block_id_wrapperIjLb0EEEEE10hipError_tT1_PNSt15iterator_traitsISI_E10value_typeET2_T3_PNSJ_ISO_E10value_typeET4_T5_PST_SU_PNS1_23onesweep_lookback_stateEbbT6_jjT7_P12ihipStream_tbENKUlT_T0_SI_SN_E_clISD_PjSD_S15_EEDaS11_S12_SI_SN_EUlS11_E_NS1_11comp_targetILNS1_3genE8ELNS1_11target_archE1030ELNS1_3gpuE2ELNS1_3repE0EEENS1_47radix_sort_onesweep_sort_config_static_selectorELNS0_4arch9wavefront6targetE1EEEvSI_,comdat
	.protected	_ZN7rocprim17ROCPRIM_400000_NS6detail17trampoline_kernelINS0_14default_configENS1_35radix_sort_onesweep_config_selectorIjjEEZZNS1_29radix_sort_onesweep_iterationIS3_Lb0EN6thrust23THRUST_200600_302600_NS6detail15normal_iteratorINS8_10device_ptrIjEEEESD_SD_SD_jNS0_19identity_decomposerENS1_16block_id_wrapperIjLb0EEEEE10hipError_tT1_PNSt15iterator_traitsISI_E10value_typeET2_T3_PNSJ_ISO_E10value_typeET4_T5_PST_SU_PNS1_23onesweep_lookback_stateEbbT6_jjT7_P12ihipStream_tbENKUlT_T0_SI_SN_E_clISD_PjSD_S15_EEDaS11_S12_SI_SN_EUlS11_E_NS1_11comp_targetILNS1_3genE8ELNS1_11target_archE1030ELNS1_3gpuE2ELNS1_3repE0EEENS1_47radix_sort_onesweep_sort_config_static_selectorELNS0_4arch9wavefront6targetE1EEEvSI_ ; -- Begin function _ZN7rocprim17ROCPRIM_400000_NS6detail17trampoline_kernelINS0_14default_configENS1_35radix_sort_onesweep_config_selectorIjjEEZZNS1_29radix_sort_onesweep_iterationIS3_Lb0EN6thrust23THRUST_200600_302600_NS6detail15normal_iteratorINS8_10device_ptrIjEEEESD_SD_SD_jNS0_19identity_decomposerENS1_16block_id_wrapperIjLb0EEEEE10hipError_tT1_PNSt15iterator_traitsISI_E10value_typeET2_T3_PNSJ_ISO_E10value_typeET4_T5_PST_SU_PNS1_23onesweep_lookback_stateEbbT6_jjT7_P12ihipStream_tbENKUlT_T0_SI_SN_E_clISD_PjSD_S15_EEDaS11_S12_SI_SN_EUlS11_E_NS1_11comp_targetILNS1_3genE8ELNS1_11target_archE1030ELNS1_3gpuE2ELNS1_3repE0EEENS1_47radix_sort_onesweep_sort_config_static_selectorELNS0_4arch9wavefront6targetE1EEEvSI_
	.globl	_ZN7rocprim17ROCPRIM_400000_NS6detail17trampoline_kernelINS0_14default_configENS1_35radix_sort_onesweep_config_selectorIjjEEZZNS1_29radix_sort_onesweep_iterationIS3_Lb0EN6thrust23THRUST_200600_302600_NS6detail15normal_iteratorINS8_10device_ptrIjEEEESD_SD_SD_jNS0_19identity_decomposerENS1_16block_id_wrapperIjLb0EEEEE10hipError_tT1_PNSt15iterator_traitsISI_E10value_typeET2_T3_PNSJ_ISO_E10value_typeET4_T5_PST_SU_PNS1_23onesweep_lookback_stateEbbT6_jjT7_P12ihipStream_tbENKUlT_T0_SI_SN_E_clISD_PjSD_S15_EEDaS11_S12_SI_SN_EUlS11_E_NS1_11comp_targetILNS1_3genE8ELNS1_11target_archE1030ELNS1_3gpuE2ELNS1_3repE0EEENS1_47radix_sort_onesweep_sort_config_static_selectorELNS0_4arch9wavefront6targetE1EEEvSI_
	.p2align	8
	.type	_ZN7rocprim17ROCPRIM_400000_NS6detail17trampoline_kernelINS0_14default_configENS1_35radix_sort_onesweep_config_selectorIjjEEZZNS1_29radix_sort_onesweep_iterationIS3_Lb0EN6thrust23THRUST_200600_302600_NS6detail15normal_iteratorINS8_10device_ptrIjEEEESD_SD_SD_jNS0_19identity_decomposerENS1_16block_id_wrapperIjLb0EEEEE10hipError_tT1_PNSt15iterator_traitsISI_E10value_typeET2_T3_PNSJ_ISO_E10value_typeET4_T5_PST_SU_PNS1_23onesweep_lookback_stateEbbT6_jjT7_P12ihipStream_tbENKUlT_T0_SI_SN_E_clISD_PjSD_S15_EEDaS11_S12_SI_SN_EUlS11_E_NS1_11comp_targetILNS1_3genE8ELNS1_11target_archE1030ELNS1_3gpuE2ELNS1_3repE0EEENS1_47radix_sort_onesweep_sort_config_static_selectorELNS0_4arch9wavefront6targetE1EEEvSI_,@function
_ZN7rocprim17ROCPRIM_400000_NS6detail17trampoline_kernelINS0_14default_configENS1_35radix_sort_onesweep_config_selectorIjjEEZZNS1_29radix_sort_onesweep_iterationIS3_Lb0EN6thrust23THRUST_200600_302600_NS6detail15normal_iteratorINS8_10device_ptrIjEEEESD_SD_SD_jNS0_19identity_decomposerENS1_16block_id_wrapperIjLb0EEEEE10hipError_tT1_PNSt15iterator_traitsISI_E10value_typeET2_T3_PNSJ_ISO_E10value_typeET4_T5_PST_SU_PNS1_23onesweep_lookback_stateEbbT6_jjT7_P12ihipStream_tbENKUlT_T0_SI_SN_E_clISD_PjSD_S15_EEDaS11_S12_SI_SN_EUlS11_E_NS1_11comp_targetILNS1_3genE8ELNS1_11target_archE1030ELNS1_3gpuE2ELNS1_3repE0EEENS1_47radix_sort_onesweep_sort_config_static_selectorELNS0_4arch9wavefront6targetE1EEEvSI_: ; @_ZN7rocprim17ROCPRIM_400000_NS6detail17trampoline_kernelINS0_14default_configENS1_35radix_sort_onesweep_config_selectorIjjEEZZNS1_29radix_sort_onesweep_iterationIS3_Lb0EN6thrust23THRUST_200600_302600_NS6detail15normal_iteratorINS8_10device_ptrIjEEEESD_SD_SD_jNS0_19identity_decomposerENS1_16block_id_wrapperIjLb0EEEEE10hipError_tT1_PNSt15iterator_traitsISI_E10value_typeET2_T3_PNSJ_ISO_E10value_typeET4_T5_PST_SU_PNS1_23onesweep_lookback_stateEbbT6_jjT7_P12ihipStream_tbENKUlT_T0_SI_SN_E_clISD_PjSD_S15_EEDaS11_S12_SI_SN_EUlS11_E_NS1_11comp_targetILNS1_3genE8ELNS1_11target_archE1030ELNS1_3gpuE2ELNS1_3repE0EEENS1_47radix_sort_onesweep_sort_config_static_selectorELNS0_4arch9wavefront6targetE1EEEvSI_
; %bb.0:
	.section	.rodata,"a",@progbits
	.p2align	6, 0x0
	.amdhsa_kernel _ZN7rocprim17ROCPRIM_400000_NS6detail17trampoline_kernelINS0_14default_configENS1_35radix_sort_onesweep_config_selectorIjjEEZZNS1_29radix_sort_onesweep_iterationIS3_Lb0EN6thrust23THRUST_200600_302600_NS6detail15normal_iteratorINS8_10device_ptrIjEEEESD_SD_SD_jNS0_19identity_decomposerENS1_16block_id_wrapperIjLb0EEEEE10hipError_tT1_PNSt15iterator_traitsISI_E10value_typeET2_T3_PNSJ_ISO_E10value_typeET4_T5_PST_SU_PNS1_23onesweep_lookback_stateEbbT6_jjT7_P12ihipStream_tbENKUlT_T0_SI_SN_E_clISD_PjSD_S15_EEDaS11_S12_SI_SN_EUlS11_E_NS1_11comp_targetILNS1_3genE8ELNS1_11target_archE1030ELNS1_3gpuE2ELNS1_3repE0EEENS1_47radix_sort_onesweep_sort_config_static_selectorELNS0_4arch9wavefront6targetE1EEEvSI_
		.amdhsa_group_segment_fixed_size 0
		.amdhsa_private_segment_fixed_size 0
		.amdhsa_kernarg_size 88
		.amdhsa_user_sgpr_count 2
		.amdhsa_user_sgpr_dispatch_ptr 0
		.amdhsa_user_sgpr_queue_ptr 0
		.amdhsa_user_sgpr_kernarg_segment_ptr 1
		.amdhsa_user_sgpr_dispatch_id 0
		.amdhsa_user_sgpr_kernarg_preload_length 0
		.amdhsa_user_sgpr_kernarg_preload_offset 0
		.amdhsa_user_sgpr_private_segment_size 0
		.amdhsa_uses_dynamic_stack 0
		.amdhsa_enable_private_segment 0
		.amdhsa_system_sgpr_workgroup_id_x 1
		.amdhsa_system_sgpr_workgroup_id_y 0
		.amdhsa_system_sgpr_workgroup_id_z 0
		.amdhsa_system_sgpr_workgroup_info 0
		.amdhsa_system_vgpr_workitem_id 0
		.amdhsa_next_free_vgpr 1
		.amdhsa_next_free_sgpr 0
		.amdhsa_accum_offset 4
		.amdhsa_reserve_vcc 0
		.amdhsa_float_round_mode_32 0
		.amdhsa_float_round_mode_16_64 0
		.amdhsa_float_denorm_mode_32 3
		.amdhsa_float_denorm_mode_16_64 3
		.amdhsa_dx10_clamp 1
		.amdhsa_ieee_mode 1
		.amdhsa_fp16_overflow 0
		.amdhsa_tg_split 0
		.amdhsa_exception_fp_ieee_invalid_op 0
		.amdhsa_exception_fp_denorm_src 0
		.amdhsa_exception_fp_ieee_div_zero 0
		.amdhsa_exception_fp_ieee_overflow 0
		.amdhsa_exception_fp_ieee_underflow 0
		.amdhsa_exception_fp_ieee_inexact 0
		.amdhsa_exception_int_div_zero 0
	.end_amdhsa_kernel
	.section	.text._ZN7rocprim17ROCPRIM_400000_NS6detail17trampoline_kernelINS0_14default_configENS1_35radix_sort_onesweep_config_selectorIjjEEZZNS1_29radix_sort_onesweep_iterationIS3_Lb0EN6thrust23THRUST_200600_302600_NS6detail15normal_iteratorINS8_10device_ptrIjEEEESD_SD_SD_jNS0_19identity_decomposerENS1_16block_id_wrapperIjLb0EEEEE10hipError_tT1_PNSt15iterator_traitsISI_E10value_typeET2_T3_PNSJ_ISO_E10value_typeET4_T5_PST_SU_PNS1_23onesweep_lookback_stateEbbT6_jjT7_P12ihipStream_tbENKUlT_T0_SI_SN_E_clISD_PjSD_S15_EEDaS11_S12_SI_SN_EUlS11_E_NS1_11comp_targetILNS1_3genE8ELNS1_11target_archE1030ELNS1_3gpuE2ELNS1_3repE0EEENS1_47radix_sort_onesweep_sort_config_static_selectorELNS0_4arch9wavefront6targetE1EEEvSI_,"axG",@progbits,_ZN7rocprim17ROCPRIM_400000_NS6detail17trampoline_kernelINS0_14default_configENS1_35radix_sort_onesweep_config_selectorIjjEEZZNS1_29radix_sort_onesweep_iterationIS3_Lb0EN6thrust23THRUST_200600_302600_NS6detail15normal_iteratorINS8_10device_ptrIjEEEESD_SD_SD_jNS0_19identity_decomposerENS1_16block_id_wrapperIjLb0EEEEE10hipError_tT1_PNSt15iterator_traitsISI_E10value_typeET2_T3_PNSJ_ISO_E10value_typeET4_T5_PST_SU_PNS1_23onesweep_lookback_stateEbbT6_jjT7_P12ihipStream_tbENKUlT_T0_SI_SN_E_clISD_PjSD_S15_EEDaS11_S12_SI_SN_EUlS11_E_NS1_11comp_targetILNS1_3genE8ELNS1_11target_archE1030ELNS1_3gpuE2ELNS1_3repE0EEENS1_47radix_sort_onesweep_sort_config_static_selectorELNS0_4arch9wavefront6targetE1EEEvSI_,comdat
.Lfunc_end795:
	.size	_ZN7rocprim17ROCPRIM_400000_NS6detail17trampoline_kernelINS0_14default_configENS1_35radix_sort_onesweep_config_selectorIjjEEZZNS1_29radix_sort_onesweep_iterationIS3_Lb0EN6thrust23THRUST_200600_302600_NS6detail15normal_iteratorINS8_10device_ptrIjEEEESD_SD_SD_jNS0_19identity_decomposerENS1_16block_id_wrapperIjLb0EEEEE10hipError_tT1_PNSt15iterator_traitsISI_E10value_typeET2_T3_PNSJ_ISO_E10value_typeET4_T5_PST_SU_PNS1_23onesweep_lookback_stateEbbT6_jjT7_P12ihipStream_tbENKUlT_T0_SI_SN_E_clISD_PjSD_S15_EEDaS11_S12_SI_SN_EUlS11_E_NS1_11comp_targetILNS1_3genE8ELNS1_11target_archE1030ELNS1_3gpuE2ELNS1_3repE0EEENS1_47radix_sort_onesweep_sort_config_static_selectorELNS0_4arch9wavefront6targetE1EEEvSI_, .Lfunc_end795-_ZN7rocprim17ROCPRIM_400000_NS6detail17trampoline_kernelINS0_14default_configENS1_35radix_sort_onesweep_config_selectorIjjEEZZNS1_29radix_sort_onesweep_iterationIS3_Lb0EN6thrust23THRUST_200600_302600_NS6detail15normal_iteratorINS8_10device_ptrIjEEEESD_SD_SD_jNS0_19identity_decomposerENS1_16block_id_wrapperIjLb0EEEEE10hipError_tT1_PNSt15iterator_traitsISI_E10value_typeET2_T3_PNSJ_ISO_E10value_typeET4_T5_PST_SU_PNS1_23onesweep_lookback_stateEbbT6_jjT7_P12ihipStream_tbENKUlT_T0_SI_SN_E_clISD_PjSD_S15_EEDaS11_S12_SI_SN_EUlS11_E_NS1_11comp_targetILNS1_3genE8ELNS1_11target_archE1030ELNS1_3gpuE2ELNS1_3repE0EEENS1_47radix_sort_onesweep_sort_config_static_selectorELNS0_4arch9wavefront6targetE1EEEvSI_
                                        ; -- End function
	.set _ZN7rocprim17ROCPRIM_400000_NS6detail17trampoline_kernelINS0_14default_configENS1_35radix_sort_onesweep_config_selectorIjjEEZZNS1_29radix_sort_onesweep_iterationIS3_Lb0EN6thrust23THRUST_200600_302600_NS6detail15normal_iteratorINS8_10device_ptrIjEEEESD_SD_SD_jNS0_19identity_decomposerENS1_16block_id_wrapperIjLb0EEEEE10hipError_tT1_PNSt15iterator_traitsISI_E10value_typeET2_T3_PNSJ_ISO_E10value_typeET4_T5_PST_SU_PNS1_23onesweep_lookback_stateEbbT6_jjT7_P12ihipStream_tbENKUlT_T0_SI_SN_E_clISD_PjSD_S15_EEDaS11_S12_SI_SN_EUlS11_E_NS1_11comp_targetILNS1_3genE8ELNS1_11target_archE1030ELNS1_3gpuE2ELNS1_3repE0EEENS1_47radix_sort_onesweep_sort_config_static_selectorELNS0_4arch9wavefront6targetE1EEEvSI_.num_vgpr, 0
	.set _ZN7rocprim17ROCPRIM_400000_NS6detail17trampoline_kernelINS0_14default_configENS1_35radix_sort_onesweep_config_selectorIjjEEZZNS1_29radix_sort_onesweep_iterationIS3_Lb0EN6thrust23THRUST_200600_302600_NS6detail15normal_iteratorINS8_10device_ptrIjEEEESD_SD_SD_jNS0_19identity_decomposerENS1_16block_id_wrapperIjLb0EEEEE10hipError_tT1_PNSt15iterator_traitsISI_E10value_typeET2_T3_PNSJ_ISO_E10value_typeET4_T5_PST_SU_PNS1_23onesweep_lookback_stateEbbT6_jjT7_P12ihipStream_tbENKUlT_T0_SI_SN_E_clISD_PjSD_S15_EEDaS11_S12_SI_SN_EUlS11_E_NS1_11comp_targetILNS1_3genE8ELNS1_11target_archE1030ELNS1_3gpuE2ELNS1_3repE0EEENS1_47radix_sort_onesweep_sort_config_static_selectorELNS0_4arch9wavefront6targetE1EEEvSI_.num_agpr, 0
	.set _ZN7rocprim17ROCPRIM_400000_NS6detail17trampoline_kernelINS0_14default_configENS1_35radix_sort_onesweep_config_selectorIjjEEZZNS1_29radix_sort_onesweep_iterationIS3_Lb0EN6thrust23THRUST_200600_302600_NS6detail15normal_iteratorINS8_10device_ptrIjEEEESD_SD_SD_jNS0_19identity_decomposerENS1_16block_id_wrapperIjLb0EEEEE10hipError_tT1_PNSt15iterator_traitsISI_E10value_typeET2_T3_PNSJ_ISO_E10value_typeET4_T5_PST_SU_PNS1_23onesweep_lookback_stateEbbT6_jjT7_P12ihipStream_tbENKUlT_T0_SI_SN_E_clISD_PjSD_S15_EEDaS11_S12_SI_SN_EUlS11_E_NS1_11comp_targetILNS1_3genE8ELNS1_11target_archE1030ELNS1_3gpuE2ELNS1_3repE0EEENS1_47radix_sort_onesweep_sort_config_static_selectorELNS0_4arch9wavefront6targetE1EEEvSI_.numbered_sgpr, 0
	.set _ZN7rocprim17ROCPRIM_400000_NS6detail17trampoline_kernelINS0_14default_configENS1_35radix_sort_onesweep_config_selectorIjjEEZZNS1_29radix_sort_onesweep_iterationIS3_Lb0EN6thrust23THRUST_200600_302600_NS6detail15normal_iteratorINS8_10device_ptrIjEEEESD_SD_SD_jNS0_19identity_decomposerENS1_16block_id_wrapperIjLb0EEEEE10hipError_tT1_PNSt15iterator_traitsISI_E10value_typeET2_T3_PNSJ_ISO_E10value_typeET4_T5_PST_SU_PNS1_23onesweep_lookback_stateEbbT6_jjT7_P12ihipStream_tbENKUlT_T0_SI_SN_E_clISD_PjSD_S15_EEDaS11_S12_SI_SN_EUlS11_E_NS1_11comp_targetILNS1_3genE8ELNS1_11target_archE1030ELNS1_3gpuE2ELNS1_3repE0EEENS1_47radix_sort_onesweep_sort_config_static_selectorELNS0_4arch9wavefront6targetE1EEEvSI_.num_named_barrier, 0
	.set _ZN7rocprim17ROCPRIM_400000_NS6detail17trampoline_kernelINS0_14default_configENS1_35radix_sort_onesweep_config_selectorIjjEEZZNS1_29radix_sort_onesweep_iterationIS3_Lb0EN6thrust23THRUST_200600_302600_NS6detail15normal_iteratorINS8_10device_ptrIjEEEESD_SD_SD_jNS0_19identity_decomposerENS1_16block_id_wrapperIjLb0EEEEE10hipError_tT1_PNSt15iterator_traitsISI_E10value_typeET2_T3_PNSJ_ISO_E10value_typeET4_T5_PST_SU_PNS1_23onesweep_lookback_stateEbbT6_jjT7_P12ihipStream_tbENKUlT_T0_SI_SN_E_clISD_PjSD_S15_EEDaS11_S12_SI_SN_EUlS11_E_NS1_11comp_targetILNS1_3genE8ELNS1_11target_archE1030ELNS1_3gpuE2ELNS1_3repE0EEENS1_47radix_sort_onesweep_sort_config_static_selectorELNS0_4arch9wavefront6targetE1EEEvSI_.private_seg_size, 0
	.set _ZN7rocprim17ROCPRIM_400000_NS6detail17trampoline_kernelINS0_14default_configENS1_35radix_sort_onesweep_config_selectorIjjEEZZNS1_29radix_sort_onesweep_iterationIS3_Lb0EN6thrust23THRUST_200600_302600_NS6detail15normal_iteratorINS8_10device_ptrIjEEEESD_SD_SD_jNS0_19identity_decomposerENS1_16block_id_wrapperIjLb0EEEEE10hipError_tT1_PNSt15iterator_traitsISI_E10value_typeET2_T3_PNSJ_ISO_E10value_typeET4_T5_PST_SU_PNS1_23onesweep_lookback_stateEbbT6_jjT7_P12ihipStream_tbENKUlT_T0_SI_SN_E_clISD_PjSD_S15_EEDaS11_S12_SI_SN_EUlS11_E_NS1_11comp_targetILNS1_3genE8ELNS1_11target_archE1030ELNS1_3gpuE2ELNS1_3repE0EEENS1_47radix_sort_onesweep_sort_config_static_selectorELNS0_4arch9wavefront6targetE1EEEvSI_.uses_vcc, 0
	.set _ZN7rocprim17ROCPRIM_400000_NS6detail17trampoline_kernelINS0_14default_configENS1_35radix_sort_onesweep_config_selectorIjjEEZZNS1_29radix_sort_onesweep_iterationIS3_Lb0EN6thrust23THRUST_200600_302600_NS6detail15normal_iteratorINS8_10device_ptrIjEEEESD_SD_SD_jNS0_19identity_decomposerENS1_16block_id_wrapperIjLb0EEEEE10hipError_tT1_PNSt15iterator_traitsISI_E10value_typeET2_T3_PNSJ_ISO_E10value_typeET4_T5_PST_SU_PNS1_23onesweep_lookback_stateEbbT6_jjT7_P12ihipStream_tbENKUlT_T0_SI_SN_E_clISD_PjSD_S15_EEDaS11_S12_SI_SN_EUlS11_E_NS1_11comp_targetILNS1_3genE8ELNS1_11target_archE1030ELNS1_3gpuE2ELNS1_3repE0EEENS1_47radix_sort_onesweep_sort_config_static_selectorELNS0_4arch9wavefront6targetE1EEEvSI_.uses_flat_scratch, 0
	.set _ZN7rocprim17ROCPRIM_400000_NS6detail17trampoline_kernelINS0_14default_configENS1_35radix_sort_onesweep_config_selectorIjjEEZZNS1_29radix_sort_onesweep_iterationIS3_Lb0EN6thrust23THRUST_200600_302600_NS6detail15normal_iteratorINS8_10device_ptrIjEEEESD_SD_SD_jNS0_19identity_decomposerENS1_16block_id_wrapperIjLb0EEEEE10hipError_tT1_PNSt15iterator_traitsISI_E10value_typeET2_T3_PNSJ_ISO_E10value_typeET4_T5_PST_SU_PNS1_23onesweep_lookback_stateEbbT6_jjT7_P12ihipStream_tbENKUlT_T0_SI_SN_E_clISD_PjSD_S15_EEDaS11_S12_SI_SN_EUlS11_E_NS1_11comp_targetILNS1_3genE8ELNS1_11target_archE1030ELNS1_3gpuE2ELNS1_3repE0EEENS1_47radix_sort_onesweep_sort_config_static_selectorELNS0_4arch9wavefront6targetE1EEEvSI_.has_dyn_sized_stack, 0
	.set _ZN7rocprim17ROCPRIM_400000_NS6detail17trampoline_kernelINS0_14default_configENS1_35radix_sort_onesweep_config_selectorIjjEEZZNS1_29radix_sort_onesweep_iterationIS3_Lb0EN6thrust23THRUST_200600_302600_NS6detail15normal_iteratorINS8_10device_ptrIjEEEESD_SD_SD_jNS0_19identity_decomposerENS1_16block_id_wrapperIjLb0EEEEE10hipError_tT1_PNSt15iterator_traitsISI_E10value_typeET2_T3_PNSJ_ISO_E10value_typeET4_T5_PST_SU_PNS1_23onesweep_lookback_stateEbbT6_jjT7_P12ihipStream_tbENKUlT_T0_SI_SN_E_clISD_PjSD_S15_EEDaS11_S12_SI_SN_EUlS11_E_NS1_11comp_targetILNS1_3genE8ELNS1_11target_archE1030ELNS1_3gpuE2ELNS1_3repE0EEENS1_47radix_sort_onesweep_sort_config_static_selectorELNS0_4arch9wavefront6targetE1EEEvSI_.has_recursion, 0
	.set _ZN7rocprim17ROCPRIM_400000_NS6detail17trampoline_kernelINS0_14default_configENS1_35radix_sort_onesweep_config_selectorIjjEEZZNS1_29radix_sort_onesweep_iterationIS3_Lb0EN6thrust23THRUST_200600_302600_NS6detail15normal_iteratorINS8_10device_ptrIjEEEESD_SD_SD_jNS0_19identity_decomposerENS1_16block_id_wrapperIjLb0EEEEE10hipError_tT1_PNSt15iterator_traitsISI_E10value_typeET2_T3_PNSJ_ISO_E10value_typeET4_T5_PST_SU_PNS1_23onesweep_lookback_stateEbbT6_jjT7_P12ihipStream_tbENKUlT_T0_SI_SN_E_clISD_PjSD_S15_EEDaS11_S12_SI_SN_EUlS11_E_NS1_11comp_targetILNS1_3genE8ELNS1_11target_archE1030ELNS1_3gpuE2ELNS1_3repE0EEENS1_47radix_sort_onesweep_sort_config_static_selectorELNS0_4arch9wavefront6targetE1EEEvSI_.has_indirect_call, 0
	.section	.AMDGPU.csdata,"",@progbits
; Kernel info:
; codeLenInByte = 0
; TotalNumSgprs: 6
; NumVgprs: 0
; NumAgprs: 0
; TotalNumVgprs: 0
; ScratchSize: 0
; MemoryBound: 0
; FloatMode: 240
; IeeeMode: 1
; LDSByteSize: 0 bytes/workgroup (compile time only)
; SGPRBlocks: 0
; VGPRBlocks: 0
; NumSGPRsForWavesPerEU: 6
; NumVGPRsForWavesPerEU: 1
; AccumOffset: 4
; Occupancy: 8
; WaveLimiterHint : 0
; COMPUTE_PGM_RSRC2:SCRATCH_EN: 0
; COMPUTE_PGM_RSRC2:USER_SGPR: 2
; COMPUTE_PGM_RSRC2:TRAP_HANDLER: 0
; COMPUTE_PGM_RSRC2:TGID_X_EN: 1
; COMPUTE_PGM_RSRC2:TGID_Y_EN: 0
; COMPUTE_PGM_RSRC2:TGID_Z_EN: 0
; COMPUTE_PGM_RSRC2:TIDIG_COMP_CNT: 0
; COMPUTE_PGM_RSRC3_GFX90A:ACCUM_OFFSET: 0
; COMPUTE_PGM_RSRC3_GFX90A:TG_SPLIT: 0
	.section	.text._ZN7rocprim17ROCPRIM_400000_NS6detail17trampoline_kernelINS0_14default_configENS1_35radix_sort_onesweep_config_selectorIjjEEZZNS1_29radix_sort_onesweep_iterationIS3_Lb0EN6thrust23THRUST_200600_302600_NS6detail15normal_iteratorINS8_10device_ptrIjEEEESD_SD_SD_jNS0_19identity_decomposerENS1_16block_id_wrapperIjLb0EEEEE10hipError_tT1_PNSt15iterator_traitsISI_E10value_typeET2_T3_PNSJ_ISO_E10value_typeET4_T5_PST_SU_PNS1_23onesweep_lookback_stateEbbT6_jjT7_P12ihipStream_tbENKUlT_T0_SI_SN_E_clIPjSD_S15_SD_EEDaS11_S12_SI_SN_EUlS11_E_NS1_11comp_targetILNS1_3genE0ELNS1_11target_archE4294967295ELNS1_3gpuE0ELNS1_3repE0EEENS1_47radix_sort_onesweep_sort_config_static_selectorELNS0_4arch9wavefront6targetE1EEEvSI_,"axG",@progbits,_ZN7rocprim17ROCPRIM_400000_NS6detail17trampoline_kernelINS0_14default_configENS1_35radix_sort_onesweep_config_selectorIjjEEZZNS1_29radix_sort_onesweep_iterationIS3_Lb0EN6thrust23THRUST_200600_302600_NS6detail15normal_iteratorINS8_10device_ptrIjEEEESD_SD_SD_jNS0_19identity_decomposerENS1_16block_id_wrapperIjLb0EEEEE10hipError_tT1_PNSt15iterator_traitsISI_E10value_typeET2_T3_PNSJ_ISO_E10value_typeET4_T5_PST_SU_PNS1_23onesweep_lookback_stateEbbT6_jjT7_P12ihipStream_tbENKUlT_T0_SI_SN_E_clIPjSD_S15_SD_EEDaS11_S12_SI_SN_EUlS11_E_NS1_11comp_targetILNS1_3genE0ELNS1_11target_archE4294967295ELNS1_3gpuE0ELNS1_3repE0EEENS1_47radix_sort_onesweep_sort_config_static_selectorELNS0_4arch9wavefront6targetE1EEEvSI_,comdat
	.protected	_ZN7rocprim17ROCPRIM_400000_NS6detail17trampoline_kernelINS0_14default_configENS1_35radix_sort_onesweep_config_selectorIjjEEZZNS1_29radix_sort_onesweep_iterationIS3_Lb0EN6thrust23THRUST_200600_302600_NS6detail15normal_iteratorINS8_10device_ptrIjEEEESD_SD_SD_jNS0_19identity_decomposerENS1_16block_id_wrapperIjLb0EEEEE10hipError_tT1_PNSt15iterator_traitsISI_E10value_typeET2_T3_PNSJ_ISO_E10value_typeET4_T5_PST_SU_PNS1_23onesweep_lookback_stateEbbT6_jjT7_P12ihipStream_tbENKUlT_T0_SI_SN_E_clIPjSD_S15_SD_EEDaS11_S12_SI_SN_EUlS11_E_NS1_11comp_targetILNS1_3genE0ELNS1_11target_archE4294967295ELNS1_3gpuE0ELNS1_3repE0EEENS1_47radix_sort_onesweep_sort_config_static_selectorELNS0_4arch9wavefront6targetE1EEEvSI_ ; -- Begin function _ZN7rocprim17ROCPRIM_400000_NS6detail17trampoline_kernelINS0_14default_configENS1_35radix_sort_onesweep_config_selectorIjjEEZZNS1_29radix_sort_onesweep_iterationIS3_Lb0EN6thrust23THRUST_200600_302600_NS6detail15normal_iteratorINS8_10device_ptrIjEEEESD_SD_SD_jNS0_19identity_decomposerENS1_16block_id_wrapperIjLb0EEEEE10hipError_tT1_PNSt15iterator_traitsISI_E10value_typeET2_T3_PNSJ_ISO_E10value_typeET4_T5_PST_SU_PNS1_23onesweep_lookback_stateEbbT6_jjT7_P12ihipStream_tbENKUlT_T0_SI_SN_E_clIPjSD_S15_SD_EEDaS11_S12_SI_SN_EUlS11_E_NS1_11comp_targetILNS1_3genE0ELNS1_11target_archE4294967295ELNS1_3gpuE0ELNS1_3repE0EEENS1_47radix_sort_onesweep_sort_config_static_selectorELNS0_4arch9wavefront6targetE1EEEvSI_
	.globl	_ZN7rocprim17ROCPRIM_400000_NS6detail17trampoline_kernelINS0_14default_configENS1_35radix_sort_onesweep_config_selectorIjjEEZZNS1_29radix_sort_onesweep_iterationIS3_Lb0EN6thrust23THRUST_200600_302600_NS6detail15normal_iteratorINS8_10device_ptrIjEEEESD_SD_SD_jNS0_19identity_decomposerENS1_16block_id_wrapperIjLb0EEEEE10hipError_tT1_PNSt15iterator_traitsISI_E10value_typeET2_T3_PNSJ_ISO_E10value_typeET4_T5_PST_SU_PNS1_23onesweep_lookback_stateEbbT6_jjT7_P12ihipStream_tbENKUlT_T0_SI_SN_E_clIPjSD_S15_SD_EEDaS11_S12_SI_SN_EUlS11_E_NS1_11comp_targetILNS1_3genE0ELNS1_11target_archE4294967295ELNS1_3gpuE0ELNS1_3repE0EEENS1_47radix_sort_onesweep_sort_config_static_selectorELNS0_4arch9wavefront6targetE1EEEvSI_
	.p2align	8
	.type	_ZN7rocprim17ROCPRIM_400000_NS6detail17trampoline_kernelINS0_14default_configENS1_35radix_sort_onesweep_config_selectorIjjEEZZNS1_29radix_sort_onesweep_iterationIS3_Lb0EN6thrust23THRUST_200600_302600_NS6detail15normal_iteratorINS8_10device_ptrIjEEEESD_SD_SD_jNS0_19identity_decomposerENS1_16block_id_wrapperIjLb0EEEEE10hipError_tT1_PNSt15iterator_traitsISI_E10value_typeET2_T3_PNSJ_ISO_E10value_typeET4_T5_PST_SU_PNS1_23onesweep_lookback_stateEbbT6_jjT7_P12ihipStream_tbENKUlT_T0_SI_SN_E_clIPjSD_S15_SD_EEDaS11_S12_SI_SN_EUlS11_E_NS1_11comp_targetILNS1_3genE0ELNS1_11target_archE4294967295ELNS1_3gpuE0ELNS1_3repE0EEENS1_47radix_sort_onesweep_sort_config_static_selectorELNS0_4arch9wavefront6targetE1EEEvSI_,@function
_ZN7rocprim17ROCPRIM_400000_NS6detail17trampoline_kernelINS0_14default_configENS1_35radix_sort_onesweep_config_selectorIjjEEZZNS1_29radix_sort_onesweep_iterationIS3_Lb0EN6thrust23THRUST_200600_302600_NS6detail15normal_iteratorINS8_10device_ptrIjEEEESD_SD_SD_jNS0_19identity_decomposerENS1_16block_id_wrapperIjLb0EEEEE10hipError_tT1_PNSt15iterator_traitsISI_E10value_typeET2_T3_PNSJ_ISO_E10value_typeET4_T5_PST_SU_PNS1_23onesweep_lookback_stateEbbT6_jjT7_P12ihipStream_tbENKUlT_T0_SI_SN_E_clIPjSD_S15_SD_EEDaS11_S12_SI_SN_EUlS11_E_NS1_11comp_targetILNS1_3genE0ELNS1_11target_archE4294967295ELNS1_3gpuE0ELNS1_3repE0EEENS1_47radix_sort_onesweep_sort_config_static_selectorELNS0_4arch9wavefront6targetE1EEEvSI_: ; @_ZN7rocprim17ROCPRIM_400000_NS6detail17trampoline_kernelINS0_14default_configENS1_35radix_sort_onesweep_config_selectorIjjEEZZNS1_29radix_sort_onesweep_iterationIS3_Lb0EN6thrust23THRUST_200600_302600_NS6detail15normal_iteratorINS8_10device_ptrIjEEEESD_SD_SD_jNS0_19identity_decomposerENS1_16block_id_wrapperIjLb0EEEEE10hipError_tT1_PNSt15iterator_traitsISI_E10value_typeET2_T3_PNSJ_ISO_E10value_typeET4_T5_PST_SU_PNS1_23onesweep_lookback_stateEbbT6_jjT7_P12ihipStream_tbENKUlT_T0_SI_SN_E_clIPjSD_S15_SD_EEDaS11_S12_SI_SN_EUlS11_E_NS1_11comp_targetILNS1_3genE0ELNS1_11target_archE4294967295ELNS1_3gpuE0ELNS1_3repE0EEENS1_47radix_sort_onesweep_sort_config_static_selectorELNS0_4arch9wavefront6targetE1EEEvSI_
; %bb.0:
	.section	.rodata,"a",@progbits
	.p2align	6, 0x0
	.amdhsa_kernel _ZN7rocprim17ROCPRIM_400000_NS6detail17trampoline_kernelINS0_14default_configENS1_35radix_sort_onesweep_config_selectorIjjEEZZNS1_29radix_sort_onesweep_iterationIS3_Lb0EN6thrust23THRUST_200600_302600_NS6detail15normal_iteratorINS8_10device_ptrIjEEEESD_SD_SD_jNS0_19identity_decomposerENS1_16block_id_wrapperIjLb0EEEEE10hipError_tT1_PNSt15iterator_traitsISI_E10value_typeET2_T3_PNSJ_ISO_E10value_typeET4_T5_PST_SU_PNS1_23onesweep_lookback_stateEbbT6_jjT7_P12ihipStream_tbENKUlT_T0_SI_SN_E_clIPjSD_S15_SD_EEDaS11_S12_SI_SN_EUlS11_E_NS1_11comp_targetILNS1_3genE0ELNS1_11target_archE4294967295ELNS1_3gpuE0ELNS1_3repE0EEENS1_47radix_sort_onesweep_sort_config_static_selectorELNS0_4arch9wavefront6targetE1EEEvSI_
		.amdhsa_group_segment_fixed_size 0
		.amdhsa_private_segment_fixed_size 0
		.amdhsa_kernarg_size 88
		.amdhsa_user_sgpr_count 2
		.amdhsa_user_sgpr_dispatch_ptr 0
		.amdhsa_user_sgpr_queue_ptr 0
		.amdhsa_user_sgpr_kernarg_segment_ptr 1
		.amdhsa_user_sgpr_dispatch_id 0
		.amdhsa_user_sgpr_kernarg_preload_length 0
		.amdhsa_user_sgpr_kernarg_preload_offset 0
		.amdhsa_user_sgpr_private_segment_size 0
		.amdhsa_uses_dynamic_stack 0
		.amdhsa_enable_private_segment 0
		.amdhsa_system_sgpr_workgroup_id_x 1
		.amdhsa_system_sgpr_workgroup_id_y 0
		.amdhsa_system_sgpr_workgroup_id_z 0
		.amdhsa_system_sgpr_workgroup_info 0
		.amdhsa_system_vgpr_workitem_id 0
		.amdhsa_next_free_vgpr 1
		.amdhsa_next_free_sgpr 0
		.amdhsa_accum_offset 4
		.amdhsa_reserve_vcc 0
		.amdhsa_float_round_mode_32 0
		.amdhsa_float_round_mode_16_64 0
		.amdhsa_float_denorm_mode_32 3
		.amdhsa_float_denorm_mode_16_64 3
		.amdhsa_dx10_clamp 1
		.amdhsa_ieee_mode 1
		.amdhsa_fp16_overflow 0
		.amdhsa_tg_split 0
		.amdhsa_exception_fp_ieee_invalid_op 0
		.amdhsa_exception_fp_denorm_src 0
		.amdhsa_exception_fp_ieee_div_zero 0
		.amdhsa_exception_fp_ieee_overflow 0
		.amdhsa_exception_fp_ieee_underflow 0
		.amdhsa_exception_fp_ieee_inexact 0
		.amdhsa_exception_int_div_zero 0
	.end_amdhsa_kernel
	.section	.text._ZN7rocprim17ROCPRIM_400000_NS6detail17trampoline_kernelINS0_14default_configENS1_35radix_sort_onesweep_config_selectorIjjEEZZNS1_29radix_sort_onesweep_iterationIS3_Lb0EN6thrust23THRUST_200600_302600_NS6detail15normal_iteratorINS8_10device_ptrIjEEEESD_SD_SD_jNS0_19identity_decomposerENS1_16block_id_wrapperIjLb0EEEEE10hipError_tT1_PNSt15iterator_traitsISI_E10value_typeET2_T3_PNSJ_ISO_E10value_typeET4_T5_PST_SU_PNS1_23onesweep_lookback_stateEbbT6_jjT7_P12ihipStream_tbENKUlT_T0_SI_SN_E_clIPjSD_S15_SD_EEDaS11_S12_SI_SN_EUlS11_E_NS1_11comp_targetILNS1_3genE0ELNS1_11target_archE4294967295ELNS1_3gpuE0ELNS1_3repE0EEENS1_47radix_sort_onesweep_sort_config_static_selectorELNS0_4arch9wavefront6targetE1EEEvSI_,"axG",@progbits,_ZN7rocprim17ROCPRIM_400000_NS6detail17trampoline_kernelINS0_14default_configENS1_35radix_sort_onesweep_config_selectorIjjEEZZNS1_29radix_sort_onesweep_iterationIS3_Lb0EN6thrust23THRUST_200600_302600_NS6detail15normal_iteratorINS8_10device_ptrIjEEEESD_SD_SD_jNS0_19identity_decomposerENS1_16block_id_wrapperIjLb0EEEEE10hipError_tT1_PNSt15iterator_traitsISI_E10value_typeET2_T3_PNSJ_ISO_E10value_typeET4_T5_PST_SU_PNS1_23onesweep_lookback_stateEbbT6_jjT7_P12ihipStream_tbENKUlT_T0_SI_SN_E_clIPjSD_S15_SD_EEDaS11_S12_SI_SN_EUlS11_E_NS1_11comp_targetILNS1_3genE0ELNS1_11target_archE4294967295ELNS1_3gpuE0ELNS1_3repE0EEENS1_47radix_sort_onesweep_sort_config_static_selectorELNS0_4arch9wavefront6targetE1EEEvSI_,comdat
.Lfunc_end796:
	.size	_ZN7rocprim17ROCPRIM_400000_NS6detail17trampoline_kernelINS0_14default_configENS1_35radix_sort_onesweep_config_selectorIjjEEZZNS1_29radix_sort_onesweep_iterationIS3_Lb0EN6thrust23THRUST_200600_302600_NS6detail15normal_iteratorINS8_10device_ptrIjEEEESD_SD_SD_jNS0_19identity_decomposerENS1_16block_id_wrapperIjLb0EEEEE10hipError_tT1_PNSt15iterator_traitsISI_E10value_typeET2_T3_PNSJ_ISO_E10value_typeET4_T5_PST_SU_PNS1_23onesweep_lookback_stateEbbT6_jjT7_P12ihipStream_tbENKUlT_T0_SI_SN_E_clIPjSD_S15_SD_EEDaS11_S12_SI_SN_EUlS11_E_NS1_11comp_targetILNS1_3genE0ELNS1_11target_archE4294967295ELNS1_3gpuE0ELNS1_3repE0EEENS1_47radix_sort_onesweep_sort_config_static_selectorELNS0_4arch9wavefront6targetE1EEEvSI_, .Lfunc_end796-_ZN7rocprim17ROCPRIM_400000_NS6detail17trampoline_kernelINS0_14default_configENS1_35radix_sort_onesweep_config_selectorIjjEEZZNS1_29radix_sort_onesweep_iterationIS3_Lb0EN6thrust23THRUST_200600_302600_NS6detail15normal_iteratorINS8_10device_ptrIjEEEESD_SD_SD_jNS0_19identity_decomposerENS1_16block_id_wrapperIjLb0EEEEE10hipError_tT1_PNSt15iterator_traitsISI_E10value_typeET2_T3_PNSJ_ISO_E10value_typeET4_T5_PST_SU_PNS1_23onesweep_lookback_stateEbbT6_jjT7_P12ihipStream_tbENKUlT_T0_SI_SN_E_clIPjSD_S15_SD_EEDaS11_S12_SI_SN_EUlS11_E_NS1_11comp_targetILNS1_3genE0ELNS1_11target_archE4294967295ELNS1_3gpuE0ELNS1_3repE0EEENS1_47radix_sort_onesweep_sort_config_static_selectorELNS0_4arch9wavefront6targetE1EEEvSI_
                                        ; -- End function
	.set _ZN7rocprim17ROCPRIM_400000_NS6detail17trampoline_kernelINS0_14default_configENS1_35radix_sort_onesweep_config_selectorIjjEEZZNS1_29radix_sort_onesweep_iterationIS3_Lb0EN6thrust23THRUST_200600_302600_NS6detail15normal_iteratorINS8_10device_ptrIjEEEESD_SD_SD_jNS0_19identity_decomposerENS1_16block_id_wrapperIjLb0EEEEE10hipError_tT1_PNSt15iterator_traitsISI_E10value_typeET2_T3_PNSJ_ISO_E10value_typeET4_T5_PST_SU_PNS1_23onesweep_lookback_stateEbbT6_jjT7_P12ihipStream_tbENKUlT_T0_SI_SN_E_clIPjSD_S15_SD_EEDaS11_S12_SI_SN_EUlS11_E_NS1_11comp_targetILNS1_3genE0ELNS1_11target_archE4294967295ELNS1_3gpuE0ELNS1_3repE0EEENS1_47radix_sort_onesweep_sort_config_static_selectorELNS0_4arch9wavefront6targetE1EEEvSI_.num_vgpr, 0
	.set _ZN7rocprim17ROCPRIM_400000_NS6detail17trampoline_kernelINS0_14default_configENS1_35radix_sort_onesweep_config_selectorIjjEEZZNS1_29radix_sort_onesweep_iterationIS3_Lb0EN6thrust23THRUST_200600_302600_NS6detail15normal_iteratorINS8_10device_ptrIjEEEESD_SD_SD_jNS0_19identity_decomposerENS1_16block_id_wrapperIjLb0EEEEE10hipError_tT1_PNSt15iterator_traitsISI_E10value_typeET2_T3_PNSJ_ISO_E10value_typeET4_T5_PST_SU_PNS1_23onesweep_lookback_stateEbbT6_jjT7_P12ihipStream_tbENKUlT_T0_SI_SN_E_clIPjSD_S15_SD_EEDaS11_S12_SI_SN_EUlS11_E_NS1_11comp_targetILNS1_3genE0ELNS1_11target_archE4294967295ELNS1_3gpuE0ELNS1_3repE0EEENS1_47radix_sort_onesweep_sort_config_static_selectorELNS0_4arch9wavefront6targetE1EEEvSI_.num_agpr, 0
	.set _ZN7rocprim17ROCPRIM_400000_NS6detail17trampoline_kernelINS0_14default_configENS1_35radix_sort_onesweep_config_selectorIjjEEZZNS1_29radix_sort_onesweep_iterationIS3_Lb0EN6thrust23THRUST_200600_302600_NS6detail15normal_iteratorINS8_10device_ptrIjEEEESD_SD_SD_jNS0_19identity_decomposerENS1_16block_id_wrapperIjLb0EEEEE10hipError_tT1_PNSt15iterator_traitsISI_E10value_typeET2_T3_PNSJ_ISO_E10value_typeET4_T5_PST_SU_PNS1_23onesweep_lookback_stateEbbT6_jjT7_P12ihipStream_tbENKUlT_T0_SI_SN_E_clIPjSD_S15_SD_EEDaS11_S12_SI_SN_EUlS11_E_NS1_11comp_targetILNS1_3genE0ELNS1_11target_archE4294967295ELNS1_3gpuE0ELNS1_3repE0EEENS1_47radix_sort_onesweep_sort_config_static_selectorELNS0_4arch9wavefront6targetE1EEEvSI_.numbered_sgpr, 0
	.set _ZN7rocprim17ROCPRIM_400000_NS6detail17trampoline_kernelINS0_14default_configENS1_35radix_sort_onesweep_config_selectorIjjEEZZNS1_29radix_sort_onesweep_iterationIS3_Lb0EN6thrust23THRUST_200600_302600_NS6detail15normal_iteratorINS8_10device_ptrIjEEEESD_SD_SD_jNS0_19identity_decomposerENS1_16block_id_wrapperIjLb0EEEEE10hipError_tT1_PNSt15iterator_traitsISI_E10value_typeET2_T3_PNSJ_ISO_E10value_typeET4_T5_PST_SU_PNS1_23onesweep_lookback_stateEbbT6_jjT7_P12ihipStream_tbENKUlT_T0_SI_SN_E_clIPjSD_S15_SD_EEDaS11_S12_SI_SN_EUlS11_E_NS1_11comp_targetILNS1_3genE0ELNS1_11target_archE4294967295ELNS1_3gpuE0ELNS1_3repE0EEENS1_47radix_sort_onesweep_sort_config_static_selectorELNS0_4arch9wavefront6targetE1EEEvSI_.num_named_barrier, 0
	.set _ZN7rocprim17ROCPRIM_400000_NS6detail17trampoline_kernelINS0_14default_configENS1_35radix_sort_onesweep_config_selectorIjjEEZZNS1_29radix_sort_onesweep_iterationIS3_Lb0EN6thrust23THRUST_200600_302600_NS6detail15normal_iteratorINS8_10device_ptrIjEEEESD_SD_SD_jNS0_19identity_decomposerENS1_16block_id_wrapperIjLb0EEEEE10hipError_tT1_PNSt15iterator_traitsISI_E10value_typeET2_T3_PNSJ_ISO_E10value_typeET4_T5_PST_SU_PNS1_23onesweep_lookback_stateEbbT6_jjT7_P12ihipStream_tbENKUlT_T0_SI_SN_E_clIPjSD_S15_SD_EEDaS11_S12_SI_SN_EUlS11_E_NS1_11comp_targetILNS1_3genE0ELNS1_11target_archE4294967295ELNS1_3gpuE0ELNS1_3repE0EEENS1_47radix_sort_onesweep_sort_config_static_selectorELNS0_4arch9wavefront6targetE1EEEvSI_.private_seg_size, 0
	.set _ZN7rocprim17ROCPRIM_400000_NS6detail17trampoline_kernelINS0_14default_configENS1_35radix_sort_onesweep_config_selectorIjjEEZZNS1_29radix_sort_onesweep_iterationIS3_Lb0EN6thrust23THRUST_200600_302600_NS6detail15normal_iteratorINS8_10device_ptrIjEEEESD_SD_SD_jNS0_19identity_decomposerENS1_16block_id_wrapperIjLb0EEEEE10hipError_tT1_PNSt15iterator_traitsISI_E10value_typeET2_T3_PNSJ_ISO_E10value_typeET4_T5_PST_SU_PNS1_23onesweep_lookback_stateEbbT6_jjT7_P12ihipStream_tbENKUlT_T0_SI_SN_E_clIPjSD_S15_SD_EEDaS11_S12_SI_SN_EUlS11_E_NS1_11comp_targetILNS1_3genE0ELNS1_11target_archE4294967295ELNS1_3gpuE0ELNS1_3repE0EEENS1_47radix_sort_onesweep_sort_config_static_selectorELNS0_4arch9wavefront6targetE1EEEvSI_.uses_vcc, 0
	.set _ZN7rocprim17ROCPRIM_400000_NS6detail17trampoline_kernelINS0_14default_configENS1_35radix_sort_onesweep_config_selectorIjjEEZZNS1_29radix_sort_onesweep_iterationIS3_Lb0EN6thrust23THRUST_200600_302600_NS6detail15normal_iteratorINS8_10device_ptrIjEEEESD_SD_SD_jNS0_19identity_decomposerENS1_16block_id_wrapperIjLb0EEEEE10hipError_tT1_PNSt15iterator_traitsISI_E10value_typeET2_T3_PNSJ_ISO_E10value_typeET4_T5_PST_SU_PNS1_23onesweep_lookback_stateEbbT6_jjT7_P12ihipStream_tbENKUlT_T0_SI_SN_E_clIPjSD_S15_SD_EEDaS11_S12_SI_SN_EUlS11_E_NS1_11comp_targetILNS1_3genE0ELNS1_11target_archE4294967295ELNS1_3gpuE0ELNS1_3repE0EEENS1_47radix_sort_onesweep_sort_config_static_selectorELNS0_4arch9wavefront6targetE1EEEvSI_.uses_flat_scratch, 0
	.set _ZN7rocprim17ROCPRIM_400000_NS6detail17trampoline_kernelINS0_14default_configENS1_35radix_sort_onesweep_config_selectorIjjEEZZNS1_29radix_sort_onesweep_iterationIS3_Lb0EN6thrust23THRUST_200600_302600_NS6detail15normal_iteratorINS8_10device_ptrIjEEEESD_SD_SD_jNS0_19identity_decomposerENS1_16block_id_wrapperIjLb0EEEEE10hipError_tT1_PNSt15iterator_traitsISI_E10value_typeET2_T3_PNSJ_ISO_E10value_typeET4_T5_PST_SU_PNS1_23onesweep_lookback_stateEbbT6_jjT7_P12ihipStream_tbENKUlT_T0_SI_SN_E_clIPjSD_S15_SD_EEDaS11_S12_SI_SN_EUlS11_E_NS1_11comp_targetILNS1_3genE0ELNS1_11target_archE4294967295ELNS1_3gpuE0ELNS1_3repE0EEENS1_47radix_sort_onesweep_sort_config_static_selectorELNS0_4arch9wavefront6targetE1EEEvSI_.has_dyn_sized_stack, 0
	.set _ZN7rocprim17ROCPRIM_400000_NS6detail17trampoline_kernelINS0_14default_configENS1_35radix_sort_onesweep_config_selectorIjjEEZZNS1_29radix_sort_onesweep_iterationIS3_Lb0EN6thrust23THRUST_200600_302600_NS6detail15normal_iteratorINS8_10device_ptrIjEEEESD_SD_SD_jNS0_19identity_decomposerENS1_16block_id_wrapperIjLb0EEEEE10hipError_tT1_PNSt15iterator_traitsISI_E10value_typeET2_T3_PNSJ_ISO_E10value_typeET4_T5_PST_SU_PNS1_23onesweep_lookback_stateEbbT6_jjT7_P12ihipStream_tbENKUlT_T0_SI_SN_E_clIPjSD_S15_SD_EEDaS11_S12_SI_SN_EUlS11_E_NS1_11comp_targetILNS1_3genE0ELNS1_11target_archE4294967295ELNS1_3gpuE0ELNS1_3repE0EEENS1_47radix_sort_onesweep_sort_config_static_selectorELNS0_4arch9wavefront6targetE1EEEvSI_.has_recursion, 0
	.set _ZN7rocprim17ROCPRIM_400000_NS6detail17trampoline_kernelINS0_14default_configENS1_35radix_sort_onesweep_config_selectorIjjEEZZNS1_29radix_sort_onesweep_iterationIS3_Lb0EN6thrust23THRUST_200600_302600_NS6detail15normal_iteratorINS8_10device_ptrIjEEEESD_SD_SD_jNS0_19identity_decomposerENS1_16block_id_wrapperIjLb0EEEEE10hipError_tT1_PNSt15iterator_traitsISI_E10value_typeET2_T3_PNSJ_ISO_E10value_typeET4_T5_PST_SU_PNS1_23onesweep_lookback_stateEbbT6_jjT7_P12ihipStream_tbENKUlT_T0_SI_SN_E_clIPjSD_S15_SD_EEDaS11_S12_SI_SN_EUlS11_E_NS1_11comp_targetILNS1_3genE0ELNS1_11target_archE4294967295ELNS1_3gpuE0ELNS1_3repE0EEENS1_47radix_sort_onesweep_sort_config_static_selectorELNS0_4arch9wavefront6targetE1EEEvSI_.has_indirect_call, 0
	.section	.AMDGPU.csdata,"",@progbits
; Kernel info:
; codeLenInByte = 0
; TotalNumSgprs: 6
; NumVgprs: 0
; NumAgprs: 0
; TotalNumVgprs: 0
; ScratchSize: 0
; MemoryBound: 0
; FloatMode: 240
; IeeeMode: 1
; LDSByteSize: 0 bytes/workgroup (compile time only)
; SGPRBlocks: 0
; VGPRBlocks: 0
; NumSGPRsForWavesPerEU: 6
; NumVGPRsForWavesPerEU: 1
; AccumOffset: 4
; Occupancy: 8
; WaveLimiterHint : 0
; COMPUTE_PGM_RSRC2:SCRATCH_EN: 0
; COMPUTE_PGM_RSRC2:USER_SGPR: 2
; COMPUTE_PGM_RSRC2:TRAP_HANDLER: 0
; COMPUTE_PGM_RSRC2:TGID_X_EN: 1
; COMPUTE_PGM_RSRC2:TGID_Y_EN: 0
; COMPUTE_PGM_RSRC2:TGID_Z_EN: 0
; COMPUTE_PGM_RSRC2:TIDIG_COMP_CNT: 0
; COMPUTE_PGM_RSRC3_GFX90A:ACCUM_OFFSET: 0
; COMPUTE_PGM_RSRC3_GFX90A:TG_SPLIT: 0
	.section	.text._ZN7rocprim17ROCPRIM_400000_NS6detail17trampoline_kernelINS0_14default_configENS1_35radix_sort_onesweep_config_selectorIjjEEZZNS1_29radix_sort_onesweep_iterationIS3_Lb0EN6thrust23THRUST_200600_302600_NS6detail15normal_iteratorINS8_10device_ptrIjEEEESD_SD_SD_jNS0_19identity_decomposerENS1_16block_id_wrapperIjLb0EEEEE10hipError_tT1_PNSt15iterator_traitsISI_E10value_typeET2_T3_PNSJ_ISO_E10value_typeET4_T5_PST_SU_PNS1_23onesweep_lookback_stateEbbT6_jjT7_P12ihipStream_tbENKUlT_T0_SI_SN_E_clIPjSD_S15_SD_EEDaS11_S12_SI_SN_EUlS11_E_NS1_11comp_targetILNS1_3genE6ELNS1_11target_archE950ELNS1_3gpuE13ELNS1_3repE0EEENS1_47radix_sort_onesweep_sort_config_static_selectorELNS0_4arch9wavefront6targetE1EEEvSI_,"axG",@progbits,_ZN7rocprim17ROCPRIM_400000_NS6detail17trampoline_kernelINS0_14default_configENS1_35radix_sort_onesweep_config_selectorIjjEEZZNS1_29radix_sort_onesweep_iterationIS3_Lb0EN6thrust23THRUST_200600_302600_NS6detail15normal_iteratorINS8_10device_ptrIjEEEESD_SD_SD_jNS0_19identity_decomposerENS1_16block_id_wrapperIjLb0EEEEE10hipError_tT1_PNSt15iterator_traitsISI_E10value_typeET2_T3_PNSJ_ISO_E10value_typeET4_T5_PST_SU_PNS1_23onesweep_lookback_stateEbbT6_jjT7_P12ihipStream_tbENKUlT_T0_SI_SN_E_clIPjSD_S15_SD_EEDaS11_S12_SI_SN_EUlS11_E_NS1_11comp_targetILNS1_3genE6ELNS1_11target_archE950ELNS1_3gpuE13ELNS1_3repE0EEENS1_47radix_sort_onesweep_sort_config_static_selectorELNS0_4arch9wavefront6targetE1EEEvSI_,comdat
	.protected	_ZN7rocprim17ROCPRIM_400000_NS6detail17trampoline_kernelINS0_14default_configENS1_35radix_sort_onesweep_config_selectorIjjEEZZNS1_29radix_sort_onesweep_iterationIS3_Lb0EN6thrust23THRUST_200600_302600_NS6detail15normal_iteratorINS8_10device_ptrIjEEEESD_SD_SD_jNS0_19identity_decomposerENS1_16block_id_wrapperIjLb0EEEEE10hipError_tT1_PNSt15iterator_traitsISI_E10value_typeET2_T3_PNSJ_ISO_E10value_typeET4_T5_PST_SU_PNS1_23onesweep_lookback_stateEbbT6_jjT7_P12ihipStream_tbENKUlT_T0_SI_SN_E_clIPjSD_S15_SD_EEDaS11_S12_SI_SN_EUlS11_E_NS1_11comp_targetILNS1_3genE6ELNS1_11target_archE950ELNS1_3gpuE13ELNS1_3repE0EEENS1_47radix_sort_onesweep_sort_config_static_selectorELNS0_4arch9wavefront6targetE1EEEvSI_ ; -- Begin function _ZN7rocprim17ROCPRIM_400000_NS6detail17trampoline_kernelINS0_14default_configENS1_35radix_sort_onesweep_config_selectorIjjEEZZNS1_29radix_sort_onesweep_iterationIS3_Lb0EN6thrust23THRUST_200600_302600_NS6detail15normal_iteratorINS8_10device_ptrIjEEEESD_SD_SD_jNS0_19identity_decomposerENS1_16block_id_wrapperIjLb0EEEEE10hipError_tT1_PNSt15iterator_traitsISI_E10value_typeET2_T3_PNSJ_ISO_E10value_typeET4_T5_PST_SU_PNS1_23onesweep_lookback_stateEbbT6_jjT7_P12ihipStream_tbENKUlT_T0_SI_SN_E_clIPjSD_S15_SD_EEDaS11_S12_SI_SN_EUlS11_E_NS1_11comp_targetILNS1_3genE6ELNS1_11target_archE950ELNS1_3gpuE13ELNS1_3repE0EEENS1_47radix_sort_onesweep_sort_config_static_selectorELNS0_4arch9wavefront6targetE1EEEvSI_
	.globl	_ZN7rocprim17ROCPRIM_400000_NS6detail17trampoline_kernelINS0_14default_configENS1_35radix_sort_onesweep_config_selectorIjjEEZZNS1_29radix_sort_onesweep_iterationIS3_Lb0EN6thrust23THRUST_200600_302600_NS6detail15normal_iteratorINS8_10device_ptrIjEEEESD_SD_SD_jNS0_19identity_decomposerENS1_16block_id_wrapperIjLb0EEEEE10hipError_tT1_PNSt15iterator_traitsISI_E10value_typeET2_T3_PNSJ_ISO_E10value_typeET4_T5_PST_SU_PNS1_23onesweep_lookback_stateEbbT6_jjT7_P12ihipStream_tbENKUlT_T0_SI_SN_E_clIPjSD_S15_SD_EEDaS11_S12_SI_SN_EUlS11_E_NS1_11comp_targetILNS1_3genE6ELNS1_11target_archE950ELNS1_3gpuE13ELNS1_3repE0EEENS1_47radix_sort_onesweep_sort_config_static_selectorELNS0_4arch9wavefront6targetE1EEEvSI_
	.p2align	8
	.type	_ZN7rocprim17ROCPRIM_400000_NS6detail17trampoline_kernelINS0_14default_configENS1_35radix_sort_onesweep_config_selectorIjjEEZZNS1_29radix_sort_onesweep_iterationIS3_Lb0EN6thrust23THRUST_200600_302600_NS6detail15normal_iteratorINS8_10device_ptrIjEEEESD_SD_SD_jNS0_19identity_decomposerENS1_16block_id_wrapperIjLb0EEEEE10hipError_tT1_PNSt15iterator_traitsISI_E10value_typeET2_T3_PNSJ_ISO_E10value_typeET4_T5_PST_SU_PNS1_23onesweep_lookback_stateEbbT6_jjT7_P12ihipStream_tbENKUlT_T0_SI_SN_E_clIPjSD_S15_SD_EEDaS11_S12_SI_SN_EUlS11_E_NS1_11comp_targetILNS1_3genE6ELNS1_11target_archE950ELNS1_3gpuE13ELNS1_3repE0EEENS1_47radix_sort_onesweep_sort_config_static_selectorELNS0_4arch9wavefront6targetE1EEEvSI_,@function
_ZN7rocprim17ROCPRIM_400000_NS6detail17trampoline_kernelINS0_14default_configENS1_35radix_sort_onesweep_config_selectorIjjEEZZNS1_29radix_sort_onesweep_iterationIS3_Lb0EN6thrust23THRUST_200600_302600_NS6detail15normal_iteratorINS8_10device_ptrIjEEEESD_SD_SD_jNS0_19identity_decomposerENS1_16block_id_wrapperIjLb0EEEEE10hipError_tT1_PNSt15iterator_traitsISI_E10value_typeET2_T3_PNSJ_ISO_E10value_typeET4_T5_PST_SU_PNS1_23onesweep_lookback_stateEbbT6_jjT7_P12ihipStream_tbENKUlT_T0_SI_SN_E_clIPjSD_S15_SD_EEDaS11_S12_SI_SN_EUlS11_E_NS1_11comp_targetILNS1_3genE6ELNS1_11target_archE950ELNS1_3gpuE13ELNS1_3repE0EEENS1_47radix_sort_onesweep_sort_config_static_selectorELNS0_4arch9wavefront6targetE1EEEvSI_: ; @_ZN7rocprim17ROCPRIM_400000_NS6detail17trampoline_kernelINS0_14default_configENS1_35radix_sort_onesweep_config_selectorIjjEEZZNS1_29radix_sort_onesweep_iterationIS3_Lb0EN6thrust23THRUST_200600_302600_NS6detail15normal_iteratorINS8_10device_ptrIjEEEESD_SD_SD_jNS0_19identity_decomposerENS1_16block_id_wrapperIjLb0EEEEE10hipError_tT1_PNSt15iterator_traitsISI_E10value_typeET2_T3_PNSJ_ISO_E10value_typeET4_T5_PST_SU_PNS1_23onesweep_lookback_stateEbbT6_jjT7_P12ihipStream_tbENKUlT_T0_SI_SN_E_clIPjSD_S15_SD_EEDaS11_S12_SI_SN_EUlS11_E_NS1_11comp_targetILNS1_3genE6ELNS1_11target_archE950ELNS1_3gpuE13ELNS1_3repE0EEENS1_47radix_sort_onesweep_sort_config_static_selectorELNS0_4arch9wavefront6targetE1EEEvSI_
; %bb.0:
	s_load_dwordx8 s[52:59], s[0:1], 0x0
	s_load_dwordx4 s[64:67], s[0:1], 0x44
	s_load_dwordx4 s[60:63], s[0:1], 0x28
	s_load_dwordx2 s[50:51], s[0:1], 0x38
	s_mov_b64 s[4:5], -1
	v_mbcnt_lo_u32_b32 v1, -1, 0
	s_waitcnt lgkmcnt(0)
	s_cmp_ge_u32 s2, s66
	s_cbranch_scc0 .LBB797_204
; %bb.1:
	s_load_dword s3, s[0:1], 0x20
	s_lshl_b32 s6, s66, 14
	s_lshl_b32 s4, s2, 14
	s_mov_b32 s5, 0
	v_and_b32_e32 v2, 0x3ff, v0
	s_waitcnt lgkmcnt(0)
	s_sub_i32 s3, s3, s6
	s_lshl_b64 s[66:67], s[4:5], 2
	v_mbcnt_hi_u32_b32 v12, -1, v1
	s_add_u32 s4, s52, s66
	v_and_b32_e32 v10, 63, v12
	v_lshlrev_b32_e32 v4, 4, v2
	s_addc_u32 s5, s53, s67
	v_and_b32_e32 v11, 0x3c00, v4
	v_mov_b32_e32 v5, 0
	v_lshlrev_b32_e32 v4, 2, v10
	v_lshl_add_u64 v[8:9], s[4:5], 0, v[4:5]
	v_lshlrev_b32_e32 v6, 2, v11
	v_mov_b32_e32 v7, v5
	v_or_b32_e32 v10, v10, v11
	v_mov_b32_e32 v3, -1
	v_lshl_add_u64 v[8:9], v[8:9], 0, v[6:7]
	v_cmp_gt_u32_e32 vcc, s3, v10
	v_mov_b32_e32 v5, -1
	s_and_saveexec_b64 s[4:5], vcc
	s_cbranch_execz .LBB797_3
; %bb.2:
	global_load_dword v5, v[8:9], off
.LBB797_3:
	s_or_b64 exec, exec, s[4:5]
	v_or_b32_e32 v7, 64, v10
	v_cmp_gt_u32_e64 s[42:43], s3, v7
	s_and_saveexec_b64 s[4:5], s[42:43]
	s_cbranch_execz .LBB797_5
; %bb.4:
	global_load_dword v3, v[8:9], off offset:256
.LBB797_5:
	s_or_b64 exec, exec, s[4:5]
	v_or_b32_e32 v7, 0x80, v10
	v_cmp_gt_u32_e64 s[4:5], s3, v7
	v_mov_b32_e32 v7, -1
	v_mov_b32_e32 v14, -1
	s_and_saveexec_b64 s[6:7], s[4:5]
	s_cbranch_execz .LBB797_7
; %bb.6:
	global_load_dword v14, v[8:9], off offset:512
.LBB797_7:
	s_or_b64 exec, exec, s[6:7]
	v_or_b32_e32 v11, 0xc0, v10
	v_cmp_gt_u32_e64 s[6:7], s3, v11
	s_and_saveexec_b64 s[8:9], s[6:7]
	s_cbranch_execz .LBB797_9
; %bb.8:
	global_load_dword v7, v[8:9], off offset:768
.LBB797_9:
	s_or_b64 exec, exec, s[8:9]
	v_or_b32_e32 v11, 0x100, v10
	v_cmp_gt_u32_e64 s[8:9], s3, v11
	v_mov_b32_e32 v15, -1
	v_mov_b32_e32 v16, -1
	s_and_saveexec_b64 s[10:11], s[8:9]
	s_cbranch_execz .LBB797_11
; %bb.10:
	global_load_dword v16, v[8:9], off offset:1024
.LBB797_11:
	;; [unrolled: 18-line block ×7, first 2 shown]
	s_or_b64 exec, exec, s[30:31]
	v_or_b32_e32 v10, 0x3c0, v10
	v_cmp_gt_u32_e64 s[30:31], s3, v10
	s_and_saveexec_b64 s[34:35], s[30:31]
	s_cbranch_execz .LBB797_33
; %bb.32:
	global_load_dword v25, v[8:9], off offset:3840
.LBB797_33:
	s_or_b64 exec, exec, s[34:35]
	s_load_dword s34, s[0:1], 0x64
	s_load_dword s33, s[0:1], 0x58
	s_add_u32 s35, s0, 0x58
	s_addc_u32 s36, s1, 0
	v_mov_b32_e32 v9, 0
	s_waitcnt lgkmcnt(0)
	s_lshr_b32 s37, s34, 16
	s_cmp_lt_u32 s2, s33
	s_cselect_b32 s34, 12, 18
	s_add_u32 s34, s35, s34
	s_addc_u32 s35, s36, 0
	global_load_ushort v27, v9, s[34:35]
	s_waitcnt vmcnt(1)
	v_lshrrev_b32_e32 v29, s64, v5
	s_lshl_b32 s34, -1, s65
	v_bfe_u32 v8, v0, 10, 10
	v_bfe_u32 v11, v0, 20, 10
	v_bitop3_b32 v38, v29, s34, v29 bitop3:0x30
	s_movk_i32 s69, 0x44
	v_mad_u32_u24 v40, v11, s37, v8
	v_and_b32_e32 v8, 1, v38
	v_lshlrev_b32_e32 v11, 30, v38
	v_mov_b32_e32 v10, v9
	v_mov_b32_e32 v30, v9
	s_not_b32 s68, s34
	v_mul_lo_u32 v42, v38, s69
	v_lshlrev_b32_e32 v29, 29, v38
	v_lshlrev_b32_e32 v31, 28, v38
	;; [unrolled: 1-line block ×6, first 2 shown]
	v_lshl_add_u64 v[38:39], v[8:9], 0, -1
	v_cmp_ne_u32_e64 s[34:35], 0, v8
	v_not_b32_e32 v8, v11
	v_mov_b32_e32 v28, v9
	v_mov_b32_e32 v32, v9
	v_cmp_gt_i64_e64 s[36:37], 0, v[10:11]
	v_not_b32_e32 v10, v29
	v_cmp_gt_i64_e64 s[40:41], 0, v[30:31]
	v_not_b32_e32 v11, v31
	v_xor_b32_e32 v31, s35, v39
	v_ashrrev_i32_e32 v8, 31, v8
	v_mov_b32_e32 v34, v9
	v_cmp_gt_i64_e64 s[38:39], 0, v[28:29]
	v_cmp_gt_i64_e64 s[44:45], 0, v[32:33]
	v_not_b32_e32 v28, v33
	v_xor_b32_e32 v32, s34, v38
	v_ashrrev_i32_e32 v10, 31, v10
	v_and_b32_e32 v31, exec_hi, v31
	v_xor_b32_e32 v33, s37, v8
	v_cmp_gt_i64_e64 s[46:47], 0, v[34:35]
	v_ashrrev_i32_e32 v11, 31, v11
	v_and_b32_e32 v32, exec_lo, v32
	v_xor_b32_e32 v8, s36, v8
	v_xor_b32_e32 v34, s39, v10
	v_and_b32_e32 v31, v31, v33
	v_mov_b32_e32 v36, v9
	v_not_b32_e32 v29, v35
	v_ashrrev_i32_e32 v28, 31, v28
	v_xor_b32_e32 v10, s38, v10
	v_xor_b32_e32 v35, s41, v11
	v_and_b32_e32 v8, v32, v8
	v_and_b32_e32 v31, v31, v34
	v_cmp_gt_i64_e64 s[48:49], 0, v[36:37]
	v_not_b32_e32 v30, v37
	v_ashrrev_i32_e32 v29, 31, v29
	v_xor_b32_e32 v36, s45, v28
	v_and_b32_e32 v8, v8, v10
	v_and_b32_e32 v10, v31, v35
	v_ashrrev_i32_e32 v30, 31, v30
	v_xor_b32_e32 v11, s40, v11
	v_xor_b32_e32 v37, s47, v29
	v_and_b32_e32 v10, v10, v36
	v_xor_b32_e32 v28, s44, v28
	v_xor_b32_e32 v38, s49, v30
	v_and_b32_e32 v8, v8, v11
	v_and_b32_e32 v10, v10, v37
	;; [unrolled: 1-line block ×4, first 2 shown]
	v_xor_b32_e32 v29, s46, v29
	v_xor_b32_e32 v30, s48, v30
	v_and_b32_e32 v8, v8, v29
	v_and_b32_e32 v8, v8, v30
	v_mul_u32_u24_e32 v13, 20, v2
	ds_write2_b32 v13, v9, v9 offset0:16 offset1:17
	ds_write2_b32 v13, v9, v9 offset0:18 offset1:19
	ds_write_b32 v13, v9 offset:80
	s_waitcnt lgkmcnt(0)
	s_barrier
	s_waitcnt vmcnt(0)
	; wave barrier
	v_mad_u64_u32 v[10:11], s[34:35], v40, v27, v[2:3]
	v_lshrrev_b32_e32 v10, 4, v10
	v_and_b32_e32 v38, 0xffffffc, v10
	v_mov_b32_e32 v40, v9
	v_not_b32_e32 v10, v41
	v_cmp_gt_i64_e64 s[34:35], 0, v[40:41]
	v_ashrrev_i32_e32 v10, 31, v10
	v_add_u32_e32 v31, v38, v42
	v_xor_b32_e32 v11, s35, v10
	v_xor_b32_e32 v10, s34, v10
	v_and_b32_e32 v10, v8, v10
	v_and_b32_e32 v11, v28, v11
	v_mbcnt_lo_u32_b32 v8, v10, 0
	v_mbcnt_hi_u32_b32 v28, v11, v8
	v_cmp_eq_u32_e64 s[34:35], 0, v28
	v_cmp_ne_u64_e64 s[36:37], 0, v[10:11]
	s_and_b64 s[36:37], s[36:37], s[34:35]
	s_and_saveexec_b64 s[34:35], s[36:37]
; %bb.34:
	v_bcnt_u32_b32 v8, v10, 0
	v_bcnt_u32_b32 v8, v11, v8
	ds_write_b32 v31, v8 offset:64
; %bb.35:
	s_or_b64 exec, exec, s[34:35]
	v_lshrrev_b32_e32 v8, s64, v3
	v_and_b32_e32 v29, s68, v8
	v_mul_lo_u32 v8, v29, s69
	v_add_u32_e32 v33, v38, v8
	v_and_b32_e32 v8, 1, v29
	v_lshl_add_u64 v[10:11], v[8:9], 0, -1
	v_cmp_ne_u32_e64 s[34:35], 0, v8
	; wave barrier
	s_nop 1
	v_xor_b32_e32 v10, s34, v10
	v_xor_b32_e32 v8, s35, v11
	v_and_b32_e32 v30, exec_lo, v10
	v_lshlrev_b32_e32 v11, 30, v29
	v_mov_b32_e32 v10, v9
	v_cmp_gt_i64_e64 s[34:35], 0, v[10:11]
	v_not_b32_e32 v10, v11
	v_ashrrev_i32_e32 v10, 31, v10
	v_and_b32_e32 v8, exec_hi, v8
	v_xor_b32_e32 v11, s35, v10
	v_xor_b32_e32 v10, s34, v10
	v_and_b32_e32 v8, v8, v11
	v_and_b32_e32 v30, v30, v10
	v_lshlrev_b32_e32 v11, 29, v29
	v_mov_b32_e32 v10, v9
	v_cmp_gt_i64_e64 s[34:35], 0, v[10:11]
	v_not_b32_e32 v10, v11
	v_ashrrev_i32_e32 v10, 31, v10
	v_xor_b32_e32 v11, s35, v10
	v_xor_b32_e32 v10, s34, v10
	v_and_b32_e32 v8, v8, v11
	v_and_b32_e32 v30, v30, v10
	v_lshlrev_b32_e32 v11, 28, v29
	v_mov_b32_e32 v10, v9
	v_cmp_gt_i64_e64 s[34:35], 0, v[10:11]
	v_not_b32_e32 v10, v11
	v_ashrrev_i32_e32 v10, 31, v10
	;; [unrolled: 9-line block ×5, first 2 shown]
	v_xor_b32_e32 v11, s35, v10
	v_xor_b32_e32 v10, s34, v10
	v_and_b32_e32 v8, v8, v11
	v_lshlrev_b32_e32 v11, 24, v29
	v_and_b32_e32 v30, v30, v10
	v_mov_b32_e32 v10, v9
	v_not_b32_e32 v9, v11
	v_cmp_gt_i64_e64 s[34:35], 0, v[10:11]
	v_ashrrev_i32_e32 v9, 31, v9
	ds_read_b32 v27, v33 offset:64
	v_xor_b32_e32 v10, s35, v9
	v_xor_b32_e32 v11, s34, v9
	v_and_b32_e32 v9, v8, v10
	v_and_b32_e32 v8, v30, v11
	v_mbcnt_lo_u32_b32 v10, v8, 0
	v_mbcnt_hi_u32_b32 v29, v9, v10
	v_cmp_eq_u32_e64 s[34:35], 0, v29
	v_cmp_ne_u64_e64 s[36:37], 0, v[8:9]
	s_and_b64 s[36:37], s[36:37], s[34:35]
	; wave barrier
	s_and_saveexec_b64 s[34:35], s[36:37]
	s_cbranch_execz .LBB797_37
; %bb.36:
	v_bcnt_u32_b32 v8, v8, 0
	v_bcnt_u32_b32 v8, v9, v8
	s_waitcnt lgkmcnt(0)
	v_add_u32_e32 v8, v27, v8
	ds_write_b32 v33, v8 offset:64
.LBB797_37:
	s_or_b64 exec, exec, s[34:35]
	v_lshrrev_b32_e32 v8, s64, v14
	v_and_b32_e32 v32, s68, v8
	s_movk_i32 s38, 0x44
	v_mul_lo_u32 v8, v32, s38
	v_add_u32_e32 v36, v38, v8
	v_and_b32_e32 v8, 1, v32
	v_mov_b32_e32 v9, 0
	v_lshl_add_u64 v[10:11], v[8:9], 0, -1
	v_cmp_ne_u32_e64 s[34:35], 0, v8
	; wave barrier
	s_nop 1
	v_xor_b32_e32 v10, s34, v10
	v_xor_b32_e32 v8, s35, v11
	v_and_b32_e32 v34, exec_lo, v10
	v_lshlrev_b32_e32 v11, 30, v32
	v_mov_b32_e32 v10, v9
	v_cmp_gt_i64_e64 s[34:35], 0, v[10:11]
	v_not_b32_e32 v10, v11
	v_ashrrev_i32_e32 v10, 31, v10
	v_and_b32_e32 v8, exec_hi, v8
	v_xor_b32_e32 v11, s35, v10
	v_xor_b32_e32 v10, s34, v10
	v_and_b32_e32 v8, v8, v11
	v_and_b32_e32 v34, v34, v10
	v_lshlrev_b32_e32 v11, 29, v32
	v_mov_b32_e32 v10, v9
	v_cmp_gt_i64_e64 s[34:35], 0, v[10:11]
	v_not_b32_e32 v10, v11
	v_ashrrev_i32_e32 v10, 31, v10
	v_xor_b32_e32 v11, s35, v10
	v_xor_b32_e32 v10, s34, v10
	v_and_b32_e32 v8, v8, v11
	v_and_b32_e32 v34, v34, v10
	v_lshlrev_b32_e32 v11, 28, v32
	v_mov_b32_e32 v10, v9
	v_cmp_gt_i64_e64 s[34:35], 0, v[10:11]
	v_not_b32_e32 v10, v11
	v_ashrrev_i32_e32 v10, 31, v10
	;; [unrolled: 9-line block ×6, first 2 shown]
	v_xor_b32_e32 v11, s35, v10
	v_xor_b32_e32 v10, s34, v10
	ds_read_b32 v30, v36 offset:64
	v_and_b32_e32 v10, v34, v10
	v_and_b32_e32 v11, v8, v11
	v_mbcnt_lo_u32_b32 v8, v10, 0
	v_mbcnt_hi_u32_b32 v32, v11, v8
	v_cmp_eq_u32_e64 s[34:35], 0, v32
	v_cmp_ne_u64_e64 s[36:37], 0, v[10:11]
	s_and_b64 s[36:37], s[36:37], s[34:35]
	; wave barrier
	s_and_saveexec_b64 s[34:35], s[36:37]
	s_cbranch_execz .LBB797_39
; %bb.38:
	v_bcnt_u32_b32 v8, v10, 0
	v_bcnt_u32_b32 v8, v11, v8
	s_waitcnt lgkmcnt(0)
	v_add_u32_e32 v8, v30, v8
	ds_write_b32 v36, v8 offset:64
.LBB797_39:
	s_or_b64 exec, exec, s[34:35]
	v_lshrrev_b32_e32 v8, s64, v7
	v_and_b32_e32 v35, s68, v8
	v_mul_lo_u32 v8, v35, s38
	v_add_u32_e32 v40, v38, v8
	v_and_b32_e32 v8, 1, v35
	v_lshl_add_u64 v[10:11], v[8:9], 0, -1
	v_cmp_ne_u32_e64 s[34:35], 0, v8
	; wave barrier
	s_nop 1
	v_xor_b32_e32 v10, s34, v10
	v_xor_b32_e32 v8, s35, v11
	v_and_b32_e32 v37, exec_lo, v10
	v_lshlrev_b32_e32 v11, 30, v35
	v_mov_b32_e32 v10, v9
	v_cmp_gt_i64_e64 s[34:35], 0, v[10:11]
	v_not_b32_e32 v10, v11
	v_ashrrev_i32_e32 v10, 31, v10
	v_and_b32_e32 v8, exec_hi, v8
	v_xor_b32_e32 v11, s35, v10
	v_xor_b32_e32 v10, s34, v10
	v_and_b32_e32 v8, v8, v11
	v_and_b32_e32 v37, v37, v10
	v_lshlrev_b32_e32 v11, 29, v35
	v_mov_b32_e32 v10, v9
	v_cmp_gt_i64_e64 s[34:35], 0, v[10:11]
	v_not_b32_e32 v10, v11
	v_ashrrev_i32_e32 v10, 31, v10
	v_xor_b32_e32 v11, s35, v10
	v_xor_b32_e32 v10, s34, v10
	v_and_b32_e32 v8, v8, v11
	v_and_b32_e32 v37, v37, v10
	v_lshlrev_b32_e32 v11, 28, v35
	v_mov_b32_e32 v10, v9
	v_cmp_gt_i64_e64 s[34:35], 0, v[10:11]
	v_not_b32_e32 v10, v11
	v_ashrrev_i32_e32 v10, 31, v10
	;; [unrolled: 9-line block ×5, first 2 shown]
	v_xor_b32_e32 v11, s35, v10
	v_xor_b32_e32 v10, s34, v10
	v_and_b32_e32 v8, v8, v11
	v_lshlrev_b32_e32 v11, 24, v35
	v_and_b32_e32 v37, v37, v10
	v_mov_b32_e32 v10, v9
	v_not_b32_e32 v9, v11
	v_cmp_gt_i64_e64 s[34:35], 0, v[10:11]
	v_ashrrev_i32_e32 v9, 31, v9
	ds_read_b32 v34, v40 offset:64
	v_xor_b32_e32 v10, s35, v9
	v_xor_b32_e32 v11, s34, v9
	v_and_b32_e32 v9, v8, v10
	v_and_b32_e32 v8, v37, v11
	v_mbcnt_lo_u32_b32 v10, v8, 0
	v_mbcnt_hi_u32_b32 v35, v9, v10
	v_cmp_eq_u32_e64 s[34:35], 0, v35
	v_cmp_ne_u64_e64 s[36:37], 0, v[8:9]
	s_and_b64 s[36:37], s[36:37], s[34:35]
	; wave barrier
	s_and_saveexec_b64 s[34:35], s[36:37]
	s_cbranch_execz .LBB797_41
; %bb.40:
	v_bcnt_u32_b32 v8, v8, 0
	v_bcnt_u32_b32 v8, v9, v8
	s_waitcnt lgkmcnt(0)
	v_add_u32_e32 v8, v34, v8
	ds_write_b32 v40, v8 offset:64
.LBB797_41:
	s_or_b64 exec, exec, s[34:35]
	v_lshrrev_b32_e32 v8, s64, v16
	v_and_b32_e32 v39, s68, v8
	v_mul_lo_u32 v8, v39, s38
	v_add_u32_e32 v43, v38, v8
	v_and_b32_e32 v8, 1, v39
	v_mov_b32_e32 v9, 0
	v_lshl_add_u64 v[10:11], v[8:9], 0, -1
	v_cmp_ne_u32_e64 s[34:35], 0, v8
	; wave barrier
	s_nop 1
	v_xor_b32_e32 v10, s34, v10
	v_xor_b32_e32 v8, s35, v11
	v_and_b32_e32 v41, exec_lo, v10
	v_lshlrev_b32_e32 v11, 30, v39
	v_mov_b32_e32 v10, v9
	v_cmp_gt_i64_e64 s[34:35], 0, v[10:11]
	v_not_b32_e32 v10, v11
	v_ashrrev_i32_e32 v10, 31, v10
	v_and_b32_e32 v8, exec_hi, v8
	v_xor_b32_e32 v11, s35, v10
	v_xor_b32_e32 v10, s34, v10
	v_and_b32_e32 v8, v8, v11
	v_and_b32_e32 v41, v41, v10
	v_lshlrev_b32_e32 v11, 29, v39
	v_mov_b32_e32 v10, v9
	v_cmp_gt_i64_e64 s[34:35], 0, v[10:11]
	v_not_b32_e32 v10, v11
	v_ashrrev_i32_e32 v10, 31, v10
	v_xor_b32_e32 v11, s35, v10
	v_xor_b32_e32 v10, s34, v10
	v_and_b32_e32 v8, v8, v11
	v_and_b32_e32 v41, v41, v10
	v_lshlrev_b32_e32 v11, 28, v39
	v_mov_b32_e32 v10, v9
	v_cmp_gt_i64_e64 s[34:35], 0, v[10:11]
	v_not_b32_e32 v10, v11
	v_ashrrev_i32_e32 v10, 31, v10
	;; [unrolled: 9-line block ×6, first 2 shown]
	v_xor_b32_e32 v11, s35, v10
	v_xor_b32_e32 v10, s34, v10
	ds_read_b32 v37, v43 offset:64
	v_and_b32_e32 v10, v41, v10
	v_and_b32_e32 v11, v8, v11
	v_mbcnt_lo_u32_b32 v8, v10, 0
	v_mbcnt_hi_u32_b32 v39, v11, v8
	v_cmp_eq_u32_e64 s[34:35], 0, v39
	v_cmp_ne_u64_e64 s[36:37], 0, v[10:11]
	s_and_b64 s[36:37], s[36:37], s[34:35]
	; wave barrier
	s_and_saveexec_b64 s[34:35], s[36:37]
	s_cbranch_execz .LBB797_43
; %bb.42:
	v_bcnt_u32_b32 v8, v10, 0
	v_bcnt_u32_b32 v8, v11, v8
	s_waitcnt lgkmcnt(0)
	v_add_u32_e32 v8, v37, v8
	ds_write_b32 v43, v8 offset:64
.LBB797_43:
	s_or_b64 exec, exec, s[34:35]
	v_lshrrev_b32_e32 v8, s64, v15
	v_and_b32_e32 v42, s68, v8
	v_mul_lo_u32 v8, v42, s38
	v_add_u32_e32 v45, v38, v8
	v_and_b32_e32 v8, 1, v42
	v_lshl_add_u64 v[10:11], v[8:9], 0, -1
	v_cmp_ne_u32_e64 s[34:35], 0, v8
	; wave barrier
	s_nop 1
	v_xor_b32_e32 v10, s34, v10
	v_xor_b32_e32 v8, s35, v11
	v_and_b32_e32 v44, exec_lo, v10
	v_lshlrev_b32_e32 v11, 30, v42
	v_mov_b32_e32 v10, v9
	v_cmp_gt_i64_e64 s[34:35], 0, v[10:11]
	v_not_b32_e32 v10, v11
	v_ashrrev_i32_e32 v10, 31, v10
	v_and_b32_e32 v8, exec_hi, v8
	v_xor_b32_e32 v11, s35, v10
	v_xor_b32_e32 v10, s34, v10
	v_and_b32_e32 v8, v8, v11
	v_and_b32_e32 v44, v44, v10
	v_lshlrev_b32_e32 v11, 29, v42
	v_mov_b32_e32 v10, v9
	v_cmp_gt_i64_e64 s[34:35], 0, v[10:11]
	v_not_b32_e32 v10, v11
	v_ashrrev_i32_e32 v10, 31, v10
	v_xor_b32_e32 v11, s35, v10
	v_xor_b32_e32 v10, s34, v10
	v_and_b32_e32 v8, v8, v11
	v_and_b32_e32 v44, v44, v10
	v_lshlrev_b32_e32 v11, 28, v42
	v_mov_b32_e32 v10, v9
	v_cmp_gt_i64_e64 s[34:35], 0, v[10:11]
	v_not_b32_e32 v10, v11
	v_ashrrev_i32_e32 v10, 31, v10
	;; [unrolled: 9-line block ×5, first 2 shown]
	v_xor_b32_e32 v11, s35, v10
	v_xor_b32_e32 v10, s34, v10
	v_and_b32_e32 v8, v8, v11
	v_lshlrev_b32_e32 v11, 24, v42
	v_and_b32_e32 v44, v44, v10
	v_mov_b32_e32 v10, v9
	v_not_b32_e32 v9, v11
	v_cmp_gt_i64_e64 s[34:35], 0, v[10:11]
	v_ashrrev_i32_e32 v9, 31, v9
	ds_read_b32 v41, v45 offset:64
	v_xor_b32_e32 v10, s35, v9
	v_xor_b32_e32 v11, s34, v9
	v_and_b32_e32 v9, v8, v10
	v_and_b32_e32 v8, v44, v11
	v_mbcnt_lo_u32_b32 v10, v8, 0
	v_mbcnt_hi_u32_b32 v42, v9, v10
	v_cmp_eq_u32_e64 s[34:35], 0, v42
	v_cmp_ne_u64_e64 s[36:37], 0, v[8:9]
	s_and_b64 s[36:37], s[36:37], s[34:35]
	; wave barrier
	s_and_saveexec_b64 s[34:35], s[36:37]
	s_cbranch_execz .LBB797_45
; %bb.44:
	v_bcnt_u32_b32 v8, v8, 0
	v_bcnt_u32_b32 v8, v9, v8
	s_waitcnt lgkmcnt(0)
	v_add_u32_e32 v8, v41, v8
	ds_write_b32 v45, v8 offset:64
.LBB797_45:
	s_or_b64 exec, exec, s[34:35]
	v_lshrrev_b32_e32 v8, s64, v18
	v_and_b32_e32 v46, s68, v8
	v_mul_lo_u32 v8, v46, s38
	v_add_u32_e32 v48, v38, v8
	v_and_b32_e32 v8, 1, v46
	v_mov_b32_e32 v9, 0
	v_lshl_add_u64 v[10:11], v[8:9], 0, -1
	v_cmp_ne_u32_e64 s[34:35], 0, v8
	; wave barrier
	s_nop 1
	v_xor_b32_e32 v10, s34, v10
	v_xor_b32_e32 v8, s35, v11
	v_and_b32_e32 v47, exec_lo, v10
	v_lshlrev_b32_e32 v11, 30, v46
	v_mov_b32_e32 v10, v9
	v_cmp_gt_i64_e64 s[34:35], 0, v[10:11]
	v_not_b32_e32 v10, v11
	v_ashrrev_i32_e32 v10, 31, v10
	v_and_b32_e32 v8, exec_hi, v8
	v_xor_b32_e32 v11, s35, v10
	v_xor_b32_e32 v10, s34, v10
	v_and_b32_e32 v8, v8, v11
	v_and_b32_e32 v47, v47, v10
	v_lshlrev_b32_e32 v11, 29, v46
	v_mov_b32_e32 v10, v9
	v_cmp_gt_i64_e64 s[34:35], 0, v[10:11]
	v_not_b32_e32 v10, v11
	v_ashrrev_i32_e32 v10, 31, v10
	v_xor_b32_e32 v11, s35, v10
	v_xor_b32_e32 v10, s34, v10
	v_and_b32_e32 v8, v8, v11
	v_and_b32_e32 v47, v47, v10
	v_lshlrev_b32_e32 v11, 28, v46
	v_mov_b32_e32 v10, v9
	v_cmp_gt_i64_e64 s[34:35], 0, v[10:11]
	v_not_b32_e32 v10, v11
	v_ashrrev_i32_e32 v10, 31, v10
	;; [unrolled: 9-line block ×6, first 2 shown]
	v_xor_b32_e32 v11, s35, v10
	v_xor_b32_e32 v10, s34, v10
	ds_read_b32 v44, v48 offset:64
	v_and_b32_e32 v10, v47, v10
	v_and_b32_e32 v11, v8, v11
	v_mbcnt_lo_u32_b32 v8, v10, 0
	v_mbcnt_hi_u32_b32 v46, v11, v8
	v_cmp_eq_u32_e64 s[34:35], 0, v46
	v_cmp_ne_u64_e64 s[36:37], 0, v[10:11]
	s_and_b64 s[36:37], s[36:37], s[34:35]
	; wave barrier
	s_and_saveexec_b64 s[34:35], s[36:37]
	s_cbranch_execz .LBB797_47
; %bb.46:
	v_bcnt_u32_b32 v8, v10, 0
	v_bcnt_u32_b32 v8, v11, v8
	s_waitcnt lgkmcnt(0)
	v_add_u32_e32 v8, v44, v8
	ds_write_b32 v48, v8 offset:64
.LBB797_47:
	s_or_b64 exec, exec, s[34:35]
	v_lshrrev_b32_e32 v8, s64, v17
	v_and_b32_e32 v49, s68, v8
	v_mul_lo_u32 v8, v49, s38
	v_add_u32_e32 v51, v38, v8
	v_and_b32_e32 v8, 1, v49
	v_lshl_add_u64 v[10:11], v[8:9], 0, -1
	v_cmp_ne_u32_e64 s[34:35], 0, v8
	; wave barrier
	s_nop 1
	v_xor_b32_e32 v10, s34, v10
	v_xor_b32_e32 v8, s35, v11
	v_and_b32_e32 v50, exec_lo, v10
	v_lshlrev_b32_e32 v11, 30, v49
	v_mov_b32_e32 v10, v9
	v_cmp_gt_i64_e64 s[34:35], 0, v[10:11]
	v_not_b32_e32 v10, v11
	v_ashrrev_i32_e32 v10, 31, v10
	v_and_b32_e32 v8, exec_hi, v8
	v_xor_b32_e32 v11, s35, v10
	v_xor_b32_e32 v10, s34, v10
	v_and_b32_e32 v8, v8, v11
	v_and_b32_e32 v50, v50, v10
	v_lshlrev_b32_e32 v11, 29, v49
	v_mov_b32_e32 v10, v9
	v_cmp_gt_i64_e64 s[34:35], 0, v[10:11]
	v_not_b32_e32 v10, v11
	v_ashrrev_i32_e32 v10, 31, v10
	v_xor_b32_e32 v11, s35, v10
	v_xor_b32_e32 v10, s34, v10
	v_and_b32_e32 v8, v8, v11
	v_and_b32_e32 v50, v50, v10
	v_lshlrev_b32_e32 v11, 28, v49
	v_mov_b32_e32 v10, v9
	v_cmp_gt_i64_e64 s[34:35], 0, v[10:11]
	v_not_b32_e32 v10, v11
	v_ashrrev_i32_e32 v10, 31, v10
	;; [unrolled: 9-line block ×5, first 2 shown]
	v_xor_b32_e32 v11, s35, v10
	v_xor_b32_e32 v10, s34, v10
	v_and_b32_e32 v8, v8, v11
	v_lshlrev_b32_e32 v11, 24, v49
	v_and_b32_e32 v50, v50, v10
	v_mov_b32_e32 v10, v9
	v_not_b32_e32 v9, v11
	v_cmp_gt_i64_e64 s[34:35], 0, v[10:11]
	v_ashrrev_i32_e32 v9, 31, v9
	ds_read_b32 v47, v51 offset:64
	v_xor_b32_e32 v10, s35, v9
	v_xor_b32_e32 v11, s34, v9
	v_and_b32_e32 v9, v8, v10
	v_and_b32_e32 v8, v50, v11
	v_mbcnt_lo_u32_b32 v10, v8, 0
	v_mbcnt_hi_u32_b32 v49, v9, v10
	v_cmp_eq_u32_e64 s[34:35], 0, v49
	v_cmp_ne_u64_e64 s[36:37], 0, v[8:9]
	s_and_b64 s[36:37], s[36:37], s[34:35]
	; wave barrier
	s_and_saveexec_b64 s[34:35], s[36:37]
	s_cbranch_execz .LBB797_49
; %bb.48:
	v_bcnt_u32_b32 v8, v8, 0
	v_bcnt_u32_b32 v8, v9, v8
	s_waitcnt lgkmcnt(0)
	v_add_u32_e32 v8, v47, v8
	ds_write_b32 v51, v8 offset:64
.LBB797_49:
	s_or_b64 exec, exec, s[34:35]
	v_lshrrev_b32_e32 v8, s64, v20
	v_and_b32_e32 v52, s68, v8
	v_mul_lo_u32 v8, v52, s38
	v_add_u32_e32 v54, v38, v8
	v_and_b32_e32 v8, 1, v52
	v_mov_b32_e32 v9, 0
	v_lshl_add_u64 v[10:11], v[8:9], 0, -1
	v_cmp_ne_u32_e64 s[34:35], 0, v8
	; wave barrier
	s_nop 1
	v_xor_b32_e32 v10, s34, v10
	v_xor_b32_e32 v8, s35, v11
	v_and_b32_e32 v53, exec_lo, v10
	v_lshlrev_b32_e32 v11, 30, v52
	v_mov_b32_e32 v10, v9
	v_cmp_gt_i64_e64 s[34:35], 0, v[10:11]
	v_not_b32_e32 v10, v11
	v_ashrrev_i32_e32 v10, 31, v10
	v_and_b32_e32 v8, exec_hi, v8
	v_xor_b32_e32 v11, s35, v10
	v_xor_b32_e32 v10, s34, v10
	v_and_b32_e32 v8, v8, v11
	v_and_b32_e32 v53, v53, v10
	v_lshlrev_b32_e32 v11, 29, v52
	v_mov_b32_e32 v10, v9
	v_cmp_gt_i64_e64 s[34:35], 0, v[10:11]
	v_not_b32_e32 v10, v11
	v_ashrrev_i32_e32 v10, 31, v10
	v_xor_b32_e32 v11, s35, v10
	v_xor_b32_e32 v10, s34, v10
	v_and_b32_e32 v8, v8, v11
	v_and_b32_e32 v53, v53, v10
	v_lshlrev_b32_e32 v11, 28, v52
	v_mov_b32_e32 v10, v9
	v_cmp_gt_i64_e64 s[34:35], 0, v[10:11]
	v_not_b32_e32 v10, v11
	v_ashrrev_i32_e32 v10, 31, v10
	;; [unrolled: 9-line block ×6, first 2 shown]
	v_xor_b32_e32 v11, s35, v10
	v_xor_b32_e32 v10, s34, v10
	ds_read_b32 v50, v54 offset:64
	v_and_b32_e32 v10, v53, v10
	v_and_b32_e32 v11, v8, v11
	v_mbcnt_lo_u32_b32 v8, v10, 0
	v_mbcnt_hi_u32_b32 v52, v11, v8
	v_cmp_eq_u32_e64 s[34:35], 0, v52
	v_cmp_ne_u64_e64 s[36:37], 0, v[10:11]
	s_and_b64 s[36:37], s[36:37], s[34:35]
	; wave barrier
	s_and_saveexec_b64 s[34:35], s[36:37]
	s_cbranch_execz .LBB797_51
; %bb.50:
	v_bcnt_u32_b32 v8, v10, 0
	v_bcnt_u32_b32 v8, v11, v8
	s_waitcnt lgkmcnt(0)
	v_add_u32_e32 v8, v50, v8
	ds_write_b32 v54, v8 offset:64
.LBB797_51:
	s_or_b64 exec, exec, s[34:35]
	v_lshrrev_b32_e32 v8, s64, v19
	v_and_b32_e32 v55, s68, v8
	v_mul_lo_u32 v8, v55, s38
	v_add_u32_e32 v57, v38, v8
	v_and_b32_e32 v8, 1, v55
	v_lshl_add_u64 v[10:11], v[8:9], 0, -1
	v_cmp_ne_u32_e64 s[34:35], 0, v8
	; wave barrier
	s_nop 1
	v_xor_b32_e32 v10, s34, v10
	v_xor_b32_e32 v8, s35, v11
	v_and_b32_e32 v56, exec_lo, v10
	v_lshlrev_b32_e32 v11, 30, v55
	v_mov_b32_e32 v10, v9
	v_cmp_gt_i64_e64 s[34:35], 0, v[10:11]
	v_not_b32_e32 v10, v11
	v_ashrrev_i32_e32 v10, 31, v10
	v_and_b32_e32 v8, exec_hi, v8
	v_xor_b32_e32 v11, s35, v10
	v_xor_b32_e32 v10, s34, v10
	v_and_b32_e32 v8, v8, v11
	v_and_b32_e32 v56, v56, v10
	v_lshlrev_b32_e32 v11, 29, v55
	v_mov_b32_e32 v10, v9
	v_cmp_gt_i64_e64 s[34:35], 0, v[10:11]
	v_not_b32_e32 v10, v11
	v_ashrrev_i32_e32 v10, 31, v10
	v_xor_b32_e32 v11, s35, v10
	v_xor_b32_e32 v10, s34, v10
	v_and_b32_e32 v8, v8, v11
	v_and_b32_e32 v56, v56, v10
	v_lshlrev_b32_e32 v11, 28, v55
	v_mov_b32_e32 v10, v9
	v_cmp_gt_i64_e64 s[34:35], 0, v[10:11]
	v_not_b32_e32 v10, v11
	v_ashrrev_i32_e32 v10, 31, v10
	;; [unrolled: 9-line block ×5, first 2 shown]
	v_xor_b32_e32 v11, s35, v10
	v_xor_b32_e32 v10, s34, v10
	v_and_b32_e32 v8, v8, v11
	v_lshlrev_b32_e32 v11, 24, v55
	v_and_b32_e32 v56, v56, v10
	v_mov_b32_e32 v10, v9
	v_not_b32_e32 v9, v11
	v_cmp_gt_i64_e64 s[34:35], 0, v[10:11]
	v_ashrrev_i32_e32 v9, 31, v9
	ds_read_b32 v53, v57 offset:64
	v_xor_b32_e32 v10, s35, v9
	v_xor_b32_e32 v11, s34, v9
	v_and_b32_e32 v9, v8, v10
	v_and_b32_e32 v8, v56, v11
	v_mbcnt_lo_u32_b32 v10, v8, 0
	v_mbcnt_hi_u32_b32 v55, v9, v10
	v_cmp_eq_u32_e64 s[34:35], 0, v55
	v_cmp_ne_u64_e64 s[36:37], 0, v[8:9]
	s_and_b64 s[36:37], s[36:37], s[34:35]
	; wave barrier
	s_and_saveexec_b64 s[34:35], s[36:37]
	s_cbranch_execz .LBB797_53
; %bb.52:
	v_bcnt_u32_b32 v8, v8, 0
	v_bcnt_u32_b32 v8, v9, v8
	s_waitcnt lgkmcnt(0)
	v_add_u32_e32 v8, v53, v8
	ds_write_b32 v57, v8 offset:64
.LBB797_53:
	s_or_b64 exec, exec, s[34:35]
	v_lshrrev_b32_e32 v8, s64, v22
	v_and_b32_e32 v58, s68, v8
	v_mul_lo_u32 v8, v58, s38
	v_add_u32_e32 v60, v38, v8
	v_and_b32_e32 v8, 1, v58
	v_mov_b32_e32 v9, 0
	v_lshl_add_u64 v[10:11], v[8:9], 0, -1
	v_cmp_ne_u32_e64 s[34:35], 0, v8
	; wave barrier
	s_nop 1
	v_xor_b32_e32 v10, s34, v10
	v_xor_b32_e32 v8, s35, v11
	v_and_b32_e32 v59, exec_lo, v10
	v_lshlrev_b32_e32 v11, 30, v58
	v_mov_b32_e32 v10, v9
	v_cmp_gt_i64_e64 s[34:35], 0, v[10:11]
	v_not_b32_e32 v10, v11
	v_ashrrev_i32_e32 v10, 31, v10
	v_and_b32_e32 v8, exec_hi, v8
	v_xor_b32_e32 v11, s35, v10
	v_xor_b32_e32 v10, s34, v10
	v_and_b32_e32 v8, v8, v11
	v_and_b32_e32 v59, v59, v10
	v_lshlrev_b32_e32 v11, 29, v58
	v_mov_b32_e32 v10, v9
	v_cmp_gt_i64_e64 s[34:35], 0, v[10:11]
	v_not_b32_e32 v10, v11
	v_ashrrev_i32_e32 v10, 31, v10
	v_xor_b32_e32 v11, s35, v10
	v_xor_b32_e32 v10, s34, v10
	v_and_b32_e32 v8, v8, v11
	v_and_b32_e32 v59, v59, v10
	v_lshlrev_b32_e32 v11, 28, v58
	v_mov_b32_e32 v10, v9
	v_cmp_gt_i64_e64 s[34:35], 0, v[10:11]
	v_not_b32_e32 v10, v11
	v_ashrrev_i32_e32 v10, 31, v10
	;; [unrolled: 9-line block ×6, first 2 shown]
	v_xor_b32_e32 v11, s35, v10
	v_xor_b32_e32 v10, s34, v10
	ds_read_b32 v56, v60 offset:64
	v_and_b32_e32 v10, v59, v10
	v_and_b32_e32 v11, v8, v11
	v_mbcnt_lo_u32_b32 v8, v10, 0
	v_mbcnt_hi_u32_b32 v58, v11, v8
	v_cmp_eq_u32_e64 s[34:35], 0, v58
	v_cmp_ne_u64_e64 s[36:37], 0, v[10:11]
	s_and_b64 s[36:37], s[36:37], s[34:35]
	; wave barrier
	s_and_saveexec_b64 s[34:35], s[36:37]
	s_cbranch_execz .LBB797_55
; %bb.54:
	v_bcnt_u32_b32 v8, v10, 0
	v_bcnt_u32_b32 v8, v11, v8
	s_waitcnt lgkmcnt(0)
	v_add_u32_e32 v8, v56, v8
	ds_write_b32 v60, v8 offset:64
.LBB797_55:
	s_or_b64 exec, exec, s[34:35]
	v_lshrrev_b32_e32 v8, s64, v21
	v_and_b32_e32 v61, s68, v8
	v_mul_lo_u32 v8, v61, s38
	v_add_u32_e32 v63, v38, v8
	v_and_b32_e32 v8, 1, v61
	v_lshl_add_u64 v[10:11], v[8:9], 0, -1
	v_cmp_ne_u32_e64 s[34:35], 0, v8
	; wave barrier
	s_nop 1
	v_xor_b32_e32 v10, s34, v10
	v_xor_b32_e32 v8, s35, v11
	v_and_b32_e32 v62, exec_lo, v10
	v_lshlrev_b32_e32 v11, 30, v61
	v_mov_b32_e32 v10, v9
	v_cmp_gt_i64_e64 s[34:35], 0, v[10:11]
	v_not_b32_e32 v10, v11
	v_ashrrev_i32_e32 v10, 31, v10
	v_and_b32_e32 v8, exec_hi, v8
	v_xor_b32_e32 v11, s35, v10
	v_xor_b32_e32 v10, s34, v10
	v_and_b32_e32 v8, v8, v11
	v_and_b32_e32 v62, v62, v10
	v_lshlrev_b32_e32 v11, 29, v61
	v_mov_b32_e32 v10, v9
	v_cmp_gt_i64_e64 s[34:35], 0, v[10:11]
	v_not_b32_e32 v10, v11
	v_ashrrev_i32_e32 v10, 31, v10
	v_xor_b32_e32 v11, s35, v10
	v_xor_b32_e32 v10, s34, v10
	v_and_b32_e32 v8, v8, v11
	v_and_b32_e32 v62, v62, v10
	v_lshlrev_b32_e32 v11, 28, v61
	v_mov_b32_e32 v10, v9
	v_cmp_gt_i64_e64 s[34:35], 0, v[10:11]
	v_not_b32_e32 v10, v11
	v_ashrrev_i32_e32 v10, 31, v10
	;; [unrolled: 9-line block ×5, first 2 shown]
	v_xor_b32_e32 v11, s35, v10
	v_xor_b32_e32 v10, s34, v10
	v_and_b32_e32 v8, v8, v11
	v_lshlrev_b32_e32 v11, 24, v61
	v_and_b32_e32 v62, v62, v10
	v_mov_b32_e32 v10, v9
	v_not_b32_e32 v9, v11
	v_cmp_gt_i64_e64 s[34:35], 0, v[10:11]
	v_ashrrev_i32_e32 v9, 31, v9
	ds_read_b32 v59, v63 offset:64
	v_xor_b32_e32 v10, s35, v9
	v_xor_b32_e32 v11, s34, v9
	v_and_b32_e32 v9, v8, v10
	v_and_b32_e32 v8, v62, v11
	v_mbcnt_lo_u32_b32 v10, v8, 0
	v_mbcnt_hi_u32_b32 v61, v9, v10
	v_cmp_eq_u32_e64 s[34:35], 0, v61
	v_cmp_ne_u64_e64 s[36:37], 0, v[8:9]
	s_and_b64 s[36:37], s[36:37], s[34:35]
	; wave barrier
	s_and_saveexec_b64 s[34:35], s[36:37]
	s_cbranch_execz .LBB797_57
; %bb.56:
	v_bcnt_u32_b32 v8, v8, 0
	v_bcnt_u32_b32 v8, v9, v8
	s_waitcnt lgkmcnt(0)
	v_add_u32_e32 v8, v59, v8
	ds_write_b32 v63, v8 offset:64
.LBB797_57:
	s_or_b64 exec, exec, s[34:35]
	v_lshrrev_b32_e32 v8, s64, v24
	v_and_b32_e32 v64, s68, v8
	v_mul_lo_u32 v8, v64, s38
	v_add_u32_e32 v66, v38, v8
	v_and_b32_e32 v8, 1, v64
	v_mov_b32_e32 v9, 0
	v_lshl_add_u64 v[10:11], v[8:9], 0, -1
	v_cmp_ne_u32_e64 s[34:35], 0, v8
	; wave barrier
	s_nop 1
	v_xor_b32_e32 v10, s34, v10
	v_xor_b32_e32 v8, s35, v11
	v_and_b32_e32 v65, exec_lo, v10
	v_lshlrev_b32_e32 v11, 30, v64
	v_mov_b32_e32 v10, v9
	v_cmp_gt_i64_e64 s[34:35], 0, v[10:11]
	v_not_b32_e32 v10, v11
	v_ashrrev_i32_e32 v10, 31, v10
	v_and_b32_e32 v8, exec_hi, v8
	v_xor_b32_e32 v11, s35, v10
	v_xor_b32_e32 v10, s34, v10
	v_and_b32_e32 v8, v8, v11
	v_and_b32_e32 v65, v65, v10
	v_lshlrev_b32_e32 v11, 29, v64
	v_mov_b32_e32 v10, v9
	v_cmp_gt_i64_e64 s[34:35], 0, v[10:11]
	v_not_b32_e32 v10, v11
	v_ashrrev_i32_e32 v10, 31, v10
	v_xor_b32_e32 v11, s35, v10
	v_xor_b32_e32 v10, s34, v10
	v_and_b32_e32 v8, v8, v11
	v_and_b32_e32 v65, v65, v10
	v_lshlrev_b32_e32 v11, 28, v64
	v_mov_b32_e32 v10, v9
	v_cmp_gt_i64_e64 s[34:35], 0, v[10:11]
	v_not_b32_e32 v10, v11
	v_ashrrev_i32_e32 v10, 31, v10
	;; [unrolled: 9-line block ×6, first 2 shown]
	v_xor_b32_e32 v11, s35, v10
	v_xor_b32_e32 v10, s34, v10
	ds_read_b32 v62, v66 offset:64
	v_and_b32_e32 v10, v65, v10
	v_and_b32_e32 v11, v8, v11
	v_mbcnt_lo_u32_b32 v8, v10, 0
	v_mbcnt_hi_u32_b32 v64, v11, v8
	v_cmp_eq_u32_e64 s[34:35], 0, v64
	v_cmp_ne_u64_e64 s[36:37], 0, v[10:11]
	s_and_b64 s[36:37], s[36:37], s[34:35]
	; wave barrier
	s_and_saveexec_b64 s[34:35], s[36:37]
	s_cbranch_execz .LBB797_59
; %bb.58:
	v_bcnt_u32_b32 v8, v10, 0
	v_bcnt_u32_b32 v8, v11, v8
	s_waitcnt lgkmcnt(0)
	v_add_u32_e32 v8, v62, v8
	ds_write_b32 v66, v8 offset:64
.LBB797_59:
	s_or_b64 exec, exec, s[34:35]
	v_lshrrev_b32_e32 v8, s64, v23
	v_and_b32_e32 v67, s68, v8
	v_mul_lo_u32 v8, v67, s38
	v_add_u32_e32 v69, v38, v8
	v_and_b32_e32 v8, 1, v67
	v_lshl_add_u64 v[10:11], v[8:9], 0, -1
	v_cmp_ne_u32_e64 s[34:35], 0, v8
	; wave barrier
	s_nop 1
	v_xor_b32_e32 v10, s34, v10
	v_xor_b32_e32 v8, s35, v11
	v_and_b32_e32 v68, exec_lo, v10
	v_lshlrev_b32_e32 v11, 30, v67
	v_mov_b32_e32 v10, v9
	v_cmp_gt_i64_e64 s[34:35], 0, v[10:11]
	v_not_b32_e32 v10, v11
	v_ashrrev_i32_e32 v10, 31, v10
	v_and_b32_e32 v8, exec_hi, v8
	v_xor_b32_e32 v11, s35, v10
	v_xor_b32_e32 v10, s34, v10
	v_and_b32_e32 v8, v8, v11
	v_and_b32_e32 v68, v68, v10
	v_lshlrev_b32_e32 v11, 29, v67
	v_mov_b32_e32 v10, v9
	v_cmp_gt_i64_e64 s[34:35], 0, v[10:11]
	v_not_b32_e32 v10, v11
	v_ashrrev_i32_e32 v10, 31, v10
	v_xor_b32_e32 v11, s35, v10
	v_xor_b32_e32 v10, s34, v10
	v_and_b32_e32 v8, v8, v11
	v_and_b32_e32 v68, v68, v10
	v_lshlrev_b32_e32 v11, 28, v67
	v_mov_b32_e32 v10, v9
	v_cmp_gt_i64_e64 s[34:35], 0, v[10:11]
	v_not_b32_e32 v10, v11
	v_ashrrev_i32_e32 v10, 31, v10
	v_xor_b32_e32 v11, s35, v10
	v_xor_b32_e32 v10, s34, v10
	v_and_b32_e32 v8, v8, v11
	v_and_b32_e32 v68, v68, v10
	v_lshlrev_b32_e32 v11, 27, v67
	v_mov_b32_e32 v10, v9
	v_cmp_gt_i64_e64 s[34:35], 0, v[10:11]
	v_not_b32_e32 v10, v11
	v_ashrrev_i32_e32 v10, 31, v10
	v_xor_b32_e32 v11, s35, v10
	v_xor_b32_e32 v10, s34, v10
	v_and_b32_e32 v8, v8, v11
	v_and_b32_e32 v68, v68, v10
	v_lshlrev_b32_e32 v11, 26, v67
	v_mov_b32_e32 v10, v9
	v_cmp_gt_i64_e64 s[34:35], 0, v[10:11]
	v_not_b32_e32 v10, v11
	v_ashrrev_i32_e32 v10, 31, v10
	v_xor_b32_e32 v11, s35, v10
	v_xor_b32_e32 v10, s34, v10
	v_and_b32_e32 v8, v8, v11
	v_and_b32_e32 v68, v68, v10
	v_lshlrev_b32_e32 v11, 25, v67
	v_mov_b32_e32 v10, v9
	v_cmp_gt_i64_e64 s[34:35], 0, v[10:11]
	v_not_b32_e32 v10, v11
	v_ashrrev_i32_e32 v10, 31, v10
	v_xor_b32_e32 v11, s35, v10
	v_xor_b32_e32 v10, s34, v10
	v_and_b32_e32 v8, v8, v11
	v_lshlrev_b32_e32 v11, 24, v67
	v_and_b32_e32 v68, v68, v10
	v_mov_b32_e32 v10, v9
	v_not_b32_e32 v9, v11
	v_cmp_gt_i64_e64 s[34:35], 0, v[10:11]
	v_ashrrev_i32_e32 v9, 31, v9
	ds_read_b32 v65, v69 offset:64
	v_xor_b32_e32 v10, s35, v9
	v_xor_b32_e32 v11, s34, v9
	v_and_b32_e32 v9, v8, v10
	v_and_b32_e32 v8, v68, v11
	v_mbcnt_lo_u32_b32 v10, v8, 0
	v_mbcnt_hi_u32_b32 v67, v9, v10
	v_cmp_eq_u32_e64 s[34:35], 0, v67
	v_cmp_ne_u64_e64 s[36:37], 0, v[8:9]
	s_and_b64 s[36:37], s[36:37], s[34:35]
	; wave barrier
	s_and_saveexec_b64 s[34:35], s[36:37]
	s_cbranch_execz .LBB797_61
; %bb.60:
	v_bcnt_u32_b32 v8, v8, 0
	v_bcnt_u32_b32 v8, v9, v8
	s_waitcnt lgkmcnt(0)
	v_add_u32_e32 v8, v65, v8
	ds_write_b32 v69, v8 offset:64
.LBB797_61:
	s_or_b64 exec, exec, s[34:35]
	v_lshrrev_b32_e32 v8, s64, v26
	v_and_b32_e32 v70, s68, v8
	v_mul_lo_u32 v8, v70, s38
	v_add_u32_e32 v72, v38, v8
	v_and_b32_e32 v8, 1, v70
	v_mov_b32_e32 v9, 0
	v_lshl_add_u64 v[10:11], v[8:9], 0, -1
	v_cmp_ne_u32_e64 s[34:35], 0, v8
	; wave barrier
	s_nop 1
	v_xor_b32_e32 v10, s34, v10
	v_xor_b32_e32 v8, s35, v11
	v_and_b32_e32 v71, exec_lo, v10
	v_lshlrev_b32_e32 v11, 30, v70
	v_mov_b32_e32 v10, v9
	v_cmp_gt_i64_e64 s[34:35], 0, v[10:11]
	v_not_b32_e32 v10, v11
	v_ashrrev_i32_e32 v10, 31, v10
	v_and_b32_e32 v8, exec_hi, v8
	v_xor_b32_e32 v11, s35, v10
	v_xor_b32_e32 v10, s34, v10
	v_and_b32_e32 v8, v8, v11
	v_and_b32_e32 v71, v71, v10
	v_lshlrev_b32_e32 v11, 29, v70
	v_mov_b32_e32 v10, v9
	v_cmp_gt_i64_e64 s[34:35], 0, v[10:11]
	v_not_b32_e32 v10, v11
	v_ashrrev_i32_e32 v10, 31, v10
	v_xor_b32_e32 v11, s35, v10
	v_xor_b32_e32 v10, s34, v10
	v_and_b32_e32 v8, v8, v11
	v_and_b32_e32 v71, v71, v10
	v_lshlrev_b32_e32 v11, 28, v70
	v_mov_b32_e32 v10, v9
	v_cmp_gt_i64_e64 s[34:35], 0, v[10:11]
	v_not_b32_e32 v10, v11
	v_ashrrev_i32_e32 v10, 31, v10
	;; [unrolled: 9-line block ×6, first 2 shown]
	v_xor_b32_e32 v11, s35, v10
	v_xor_b32_e32 v10, s34, v10
	ds_read_b32 v68, v72 offset:64
	v_and_b32_e32 v10, v71, v10
	v_and_b32_e32 v11, v8, v11
	v_mbcnt_lo_u32_b32 v8, v10, 0
	v_mbcnt_hi_u32_b32 v70, v11, v8
	v_cmp_eq_u32_e64 s[34:35], 0, v70
	v_cmp_ne_u64_e64 s[36:37], 0, v[10:11]
	s_and_b64 s[36:37], s[36:37], s[34:35]
	; wave barrier
	s_and_saveexec_b64 s[34:35], s[36:37]
	s_cbranch_execz .LBB797_63
; %bb.62:
	v_bcnt_u32_b32 v8, v10, 0
	v_bcnt_u32_b32 v8, v11, v8
	s_waitcnt lgkmcnt(0)
	v_add_u32_e32 v8, v68, v8
	ds_write_b32 v72, v8 offset:64
.LBB797_63:
	s_or_b64 exec, exec, s[34:35]
	v_lshrrev_b32_e32 v8, s64, v25
	v_and_b32_e32 v73, s68, v8
	v_mul_lo_u32 v8, v73, s38
	v_add_u32_e32 v74, v38, v8
	v_and_b32_e32 v8, 1, v73
	v_lshl_add_u64 v[10:11], v[8:9], 0, -1
	v_cmp_ne_u32_e64 s[34:35], 0, v8
	; wave barrier
	s_nop 1
	v_xor_b32_e32 v10, s34, v10
	v_xor_b32_e32 v8, s35, v11
	v_and_b32_e32 v38, exec_lo, v10
	v_lshlrev_b32_e32 v11, 30, v73
	v_mov_b32_e32 v10, v9
	v_cmp_gt_i64_e64 s[34:35], 0, v[10:11]
	v_not_b32_e32 v10, v11
	v_ashrrev_i32_e32 v10, 31, v10
	v_and_b32_e32 v8, exec_hi, v8
	v_xor_b32_e32 v11, s35, v10
	v_xor_b32_e32 v10, s34, v10
	v_and_b32_e32 v8, v8, v11
	v_and_b32_e32 v38, v38, v10
	v_lshlrev_b32_e32 v11, 29, v73
	v_mov_b32_e32 v10, v9
	v_cmp_gt_i64_e64 s[34:35], 0, v[10:11]
	v_not_b32_e32 v10, v11
	v_ashrrev_i32_e32 v10, 31, v10
	v_xor_b32_e32 v11, s35, v10
	v_xor_b32_e32 v10, s34, v10
	v_and_b32_e32 v8, v8, v11
	v_and_b32_e32 v38, v38, v10
	v_lshlrev_b32_e32 v11, 28, v73
	v_mov_b32_e32 v10, v9
	v_cmp_gt_i64_e64 s[34:35], 0, v[10:11]
	v_not_b32_e32 v10, v11
	v_ashrrev_i32_e32 v10, 31, v10
	;; [unrolled: 9-line block ×5, first 2 shown]
	v_xor_b32_e32 v11, s35, v10
	v_xor_b32_e32 v10, s34, v10
	v_and_b32_e32 v8, v8, v11
	v_lshlrev_b32_e32 v11, 24, v73
	v_and_b32_e32 v38, v38, v10
	v_mov_b32_e32 v10, v9
	v_not_b32_e32 v9, v11
	v_cmp_gt_i64_e64 s[34:35], 0, v[10:11]
	v_ashrrev_i32_e32 v9, 31, v9
	ds_read_b32 v71, v74 offset:64
	v_xor_b32_e32 v10, s35, v9
	v_xor_b32_e32 v11, s34, v9
	v_and_b32_e32 v9, v8, v10
	v_and_b32_e32 v8, v38, v11
	v_mbcnt_lo_u32_b32 v10, v8, 0
	v_mbcnt_hi_u32_b32 v73, v9, v10
	v_cmp_eq_u32_e64 s[34:35], 0, v73
	v_cmp_ne_u64_e64 s[36:37], 0, v[8:9]
	s_and_b64 s[36:37], s[36:37], s[34:35]
	; wave barrier
	s_and_saveexec_b64 s[34:35], s[36:37]
	s_cbranch_execz .LBB797_65
; %bb.64:
	v_bcnt_u32_b32 v8, v8, 0
	v_bcnt_u32_b32 v8, v9, v8
	s_waitcnt lgkmcnt(0)
	v_add_u32_e32 v8, v71, v8
	ds_write_b32 v74, v8 offset:64
.LBB797_65:
	s_or_b64 exec, exec, s[34:35]
	; wave barrier
	s_waitcnt lgkmcnt(0)
	s_barrier
	ds_read2_b32 v[10:11], v13 offset0:16 offset1:17
	ds_read2_b32 v[8:9], v13 offset0:18 offset1:19
	ds_read_b32 v38, v13 offset:80
	v_cmp_lt_u32_e64 s[44:45], 31, v12
	s_waitcnt lgkmcnt(1)
	v_add3_u32 v75, v11, v10, v8
	s_waitcnt lgkmcnt(0)
	v_add3_u32 v38, v75, v9, v38
	v_and_b32_e32 v75, 15, v12
	v_cmp_eq_u32_e64 s[34:35], 0, v75
	v_mov_b32_dpp v76, v38 row_shr:1 row_mask:0xf bank_mask:0xf
	v_cmp_lt_u32_e64 s[36:37], 1, v75
	v_cndmask_b32_e64 v76, v76, 0, s[34:35]
	v_add_u32_e32 v38, v76, v38
	v_cmp_lt_u32_e64 s[38:39], 3, v75
	v_cmp_lt_u32_e64 s[40:41], 7, v75
	v_mov_b32_dpp v76, v38 row_shr:2 row_mask:0xf bank_mask:0xf
	v_cndmask_b32_e64 v76, 0, v76, s[36:37]
	v_add_u32_e32 v38, v38, v76
	s_nop 1
	v_mov_b32_dpp v76, v38 row_shr:4 row_mask:0xf bank_mask:0xf
	v_cndmask_b32_e64 v76, 0, v76, s[38:39]
	v_add_u32_e32 v38, v38, v76
	s_nop 1
	v_mov_b32_dpp v76, v38 row_shr:8 row_mask:0xf bank_mask:0xf
	v_cndmask_b32_e64 v75, 0, v76, s[40:41]
	v_add_u32_e32 v38, v38, v75
	v_bfe_i32 v76, v12, 4, 1
	s_nop 0
	v_mov_b32_dpp v75, v38 row_bcast:15 row_mask:0xf bank_mask:0xf
	v_and_b32_e32 v75, v76, v75
	v_add_u32_e32 v38, v38, v75
	v_lshrrev_b32_e32 v76, 6, v2
	s_nop 0
	v_mov_b32_dpp v75, v38 row_bcast:31 row_mask:0xf bank_mask:0xf
	v_cndmask_b32_e64 v75, 0, v75, s[44:45]
	v_add_u32_e32 v75, v38, v75
	v_and_b32_e32 v38, 63, v2
	v_cmp_eq_u32_e64 s[44:45], 63, v38
	s_and_saveexec_b64 s[46:47], s[44:45]
; %bb.66:
	v_lshlrev_b32_e32 v38, 2, v76
	ds_write_b32 v38, v75
; %bb.67:
	s_or_b64 exec, exec, s[46:47]
	v_cmp_gt_u32_e64 s[44:45], 16, v2
	v_lshlrev_b32_e32 v38, 2, v2
	s_waitcnt lgkmcnt(0)
	s_barrier
	s_and_saveexec_b64 s[46:47], s[44:45]
	s_cbranch_execz .LBB797_69
; %bb.68:
	ds_read_b32 v77, v38
	s_waitcnt lgkmcnt(0)
	s_nop 0
	v_mov_b32_dpp v78, v77 row_shr:1 row_mask:0xf bank_mask:0xf
	v_cndmask_b32_e64 v78, v78, 0, s[34:35]
	v_add_u32_e32 v77, v78, v77
	s_nop 1
	v_mov_b32_dpp v78, v77 row_shr:2 row_mask:0xf bank_mask:0xf
	v_cndmask_b32_e64 v78, 0, v78, s[36:37]
	v_add_u32_e32 v77, v77, v78
	;; [unrolled: 4-line block ×4, first 2 shown]
	ds_write_b32 v38, v77
.LBB797_69:
	s_or_b64 exec, exec, s[46:47]
	v_cmp_lt_u32_e64 s[34:35], 63, v2
	v_mov_b32_e32 v77, 0
	s_waitcnt lgkmcnt(0)
	s_barrier
	s_and_saveexec_b64 s[36:37], s[34:35]
; %bb.70:
	v_lshl_add_u32 v76, v76, 2, -4
	ds_read_b32 v77, v76
; %bb.71:
	s_or_b64 exec, exec, s[36:37]
	v_subrev_co_u32_e64 v76, s[34:35], 1, v12
	v_and_b32_e32 v78, 64, v12
	v_cmp_lt_i32_e64 s[36:37], v76, v78
	s_waitcnt lgkmcnt(0)
	v_add_u32_e32 v75, v77, v75
	s_movk_i32 s38, 0x100
	v_cndmask_b32_e64 v12, v76, v12, s[36:37]
	v_lshlrev_b32_e32 v12, 2, v12
	ds_bpermute_b32 v12, v12, v75
	v_cmp_gt_u32_e64 s[36:37], s38, v2
	s_waitcnt lgkmcnt(0)
	v_cndmask_b32_e64 v12, v12, v77, s[34:35]
	v_cmp_ne_u32_e64 s[34:35], 0, v2
	s_nop 1
	v_cndmask_b32_e64 v12, 0, v12, s[34:35]
	v_add_u32_e32 v10, v12, v10
	v_add_u32_e32 v11, v10, v11
	;; [unrolled: 1-line block ×4, first 2 shown]
	ds_write2_b32 v13, v12, v10 offset0:16 offset1:17
	ds_write2_b32 v13, v11, v8 offset0:18 offset1:19
	ds_write_b32 v13, v9 offset:80
	s_waitcnt lgkmcnt(0)
	s_barrier
	ds_read_b32 v75, v33 offset:64
	ds_read_b32 v76, v36 offset:64
	;; [unrolled: 1-line block ×16, first 2 shown]
	s_movk_i32 s34, 0xff
	v_cmp_lt_u32_e64 s[34:35], s34, v2
                                        ; implicit-def: $vgpr31
                                        ; implicit-def: $vgpr33
	s_and_saveexec_b64 s[40:41], s[36:37]
	s_cbranch_execz .LBB797_75
; %bb.72:
	v_mul_u32_u24_e32 v8, 0x44, v2
	ds_read_b32 v31, v8 offset:64
	v_add_u32_e32 v9, 1, v2
	v_cmp_ne_u32_e64 s[38:39], s38, v9
	v_mov_b32_e32 v8, 0x4000
	s_and_saveexec_b64 s[44:45], s[38:39]
; %bb.73:
	v_mul_u32_u24_e32 v8, 0x44, v9
	ds_read_b32 v8, v8 offset:64
; %bb.74:
	s_or_b64 exec, exec, s[44:45]
	s_waitcnt lgkmcnt(0)
	v_sub_u32_e32 v33, v8, v31
.LBB797_75:
	s_or_b64 exec, exec, s[40:41]
	v_mov_b32_e32 v9, 0
	s_waitcnt lgkmcnt(0)
	s_barrier
	s_and_saveexec_b64 s[38:39], s[36:37]
	s_cbranch_execz .LBB797_85
; %bb.76:
	v_lshl_add_u32 v8, s2, 8, v2
	v_lshl_add_u64 v[10:11], v[8:9], 2, s[50:51]
	v_or_b32_e32 v8, 2.0, v33
	s_mov_b64 s[40:41], 0
	s_brev_b32 s48, -4
	s_mov_b32 s49, s2
	v_mov_b32_e32 v54, 0
	global_store_dword v[10:11], v8, off sc1
                                        ; implicit-def: $sgpr36_sgpr37
	s_branch .LBB797_79
.LBB797_77:                             ;   in Loop: Header=BB797_79 Depth=1
	s_or_b64 exec, exec, s[46:47]
.LBB797_78:                             ;   in Loop: Header=BB797_79 Depth=1
	s_or_b64 exec, exec, s[44:45]
	v_and_b32_e32 v12, 0x3fffffff, v8
	v_add_u32_e32 v54, v12, v54
	v_cmp_gt_i32_e64 s[36:37], -2.0, v8
	s_and_b64 s[44:45], exec, s[36:37]
	s_or_b64 s[40:41], s[44:45], s[40:41]
	s_andn2_b64 exec, exec, s[40:41]
	s_cbranch_execz .LBB797_84
.LBB797_79:                             ; =>This Loop Header: Depth=1
                                        ;     Child Loop BB797_82 Depth 2
	s_or_b64 s[36:37], s[36:37], exec
	s_cmp_eq_u32 s49, 0
	s_cbranch_scc1 .LBB797_83
; %bb.80:                               ;   in Loop: Header=BB797_79 Depth=1
	s_add_i32 s49, s49, -1
	v_lshl_or_b32 v8, s49, 8, v2
	v_lshl_add_u64 v[12:13], v[8:9], 2, s[50:51]
	global_load_dword v8, v[12:13], off sc1
	s_waitcnt vmcnt(0)
	v_cmp_gt_u32_e64 s[36:37], 2.0, v8
	s_and_saveexec_b64 s[44:45], s[36:37]
	s_cbranch_execz .LBB797_78
; %bb.81:                               ;   in Loop: Header=BB797_79 Depth=1
	s_mov_b64 s[46:47], 0
.LBB797_82:                             ;   Parent Loop BB797_79 Depth=1
                                        ; =>  This Inner Loop Header: Depth=2
	global_load_dword v8, v[12:13], off sc1
	s_waitcnt vmcnt(0)
	v_cmp_lt_u32_e64 s[36:37], s48, v8
	s_or_b64 s[46:47], s[36:37], s[46:47]
	s_andn2_b64 exec, exec, s[46:47]
	s_cbranch_execnz .LBB797_82
	s_branch .LBB797_77
.LBB797_83:                             ;   in Loop: Header=BB797_79 Depth=1
                                        ; implicit-def: $sgpr49
	s_and_b64 s[44:45], exec, s[36:37]
	s_or_b64 s[40:41], s[44:45], s[40:41]
	s_andn2_b64 exec, exec, s[40:41]
	s_cbranch_execnz .LBB797_79
.LBB797_84:
	s_or_b64 exec, exec, s[40:41]
	v_add_u32_e32 v8, v54, v33
	v_or_b32_e32 v8, 0x80000000, v8
	global_store_dword v[10:11], v8, off sc1
	global_load_dword v8, v38, s[60:61]
	v_sub_u32_e32 v9, v54, v31
	s_waitcnt vmcnt(0)
	v_add_u32_e32 v8, v9, v8
	ds_write_b32 v38, v8
.LBB797_85:
	s_or_b64 exec, exec, s[38:39]
	v_add_u32_e32 v10, v48, v28
	v_add3_u32 v8, v29, v27, v75
	v_add3_u32 v9, v32, v30, v76
	;; [unrolled: 1-line block ×15, first 2 shown]
	v_mov_b32_e32 v87, 0x400
	s_movk_i32 s40, 0x400
	v_lshl_add_u32 v11, v11, 2, v87
	v_add3_u32 v12, v73, v43, v71
	v_lshl_add_u32 v13, v13, 2, v87
	v_add3_u32 v28, v70, v36, v68
	;; [unrolled: 2-line block ×15, first 2 shown]
	v_lshl_add_u32 v29, v10, 2, v87
	s_mov_b32 s41, 0
	s_mov_b32 s44, 0
	s_movk_i32 s45, 0x1000
	v_mov_b32_e32 v9, 0
	s_movk_i32 s46, 0x800
	s_movk_i32 s47, 0xc00
	v_mov_b32_e32 v58, v2
	s_mov_b32 s48, 0
	s_branch .LBB797_87
.LBB797_86:                             ;   in Loop: Header=BB797_87 Depth=1
	s_or_b64 exec, exec, s[38:39]
	s_addk_i32 s48, 0xc000
	s_add_i32 s41, s41, 16
	s_addk_i32 s44, 0xf000
	s_cmp_eq_u32 s48, 0xffff0000
	v_add_u32_e32 v58, 0x1000, v58
	s_barrier
	s_cbranch_scc1 .LBB797_127
.LBB797_87:                             ; =>This Inner Loop Header: Depth=1
	v_add_u32_e32 v8, s44, v10
	v_cmp_gt_u32_e64 s[36:37], s45, v8
	s_and_saveexec_b64 s[38:39], s[36:37]
; %bb.88:                               ;   in Loop: Header=BB797_87 Depth=1
	v_add_u32_e32 v8, s48, v29
	ds_write_b32 v8, v5
; %bb.89:                               ;   in Loop: Header=BB797_87 Depth=1
	s_or_b64 exec, exec, s[38:39]
	v_add_u32_e32 v8, s44, v27
	v_cmp_gt_u32_e64 s[36:37], s45, v8
	s_and_saveexec_b64 s[38:39], s[36:37]
; %bb.90:                               ;   in Loop: Header=BB797_87 Depth=1
	v_add_u32_e32 v8, s48, v32
	ds_write_b32 v8, v3
; %bb.91:                               ;   in Loop: Header=BB797_87 Depth=1
	s_or_b64 exec, exec, s[38:39]
	;; [unrolled: 8-line block ×6, first 2 shown]
	v_add_u32_e32 v8, s44, v44
	v_cmp_gt_u32_e64 s[36:37], s45, v8
	s_and_saveexec_b64 s[38:39], s[36:37]
; %bb.100:                              ;   in Loop: Header=BB797_87 Depth=1
	v_add_u32_e32 v8, s48, v49
	ds_write_b32 v8, v18
; %bb.101:                              ;   in Loop: Header=BB797_87 Depth=1
	s_or_b64 exec, exec, s[38:39]
	v_add_u32_e32 v8, s44, v47
	v_cmp_gt_u32_e64 s[36:37], s45, v8
	s_and_saveexec_b64 s[38:39], s[36:37]
; %bb.102:                              ;   in Loop: Header=BB797_87 Depth=1
	v_add_u32_e32 v8, s48, v52
	ds_write_b32 v8, v17
; %bb.103:                              ;   in Loop: Header=BB797_87 Depth=1
	s_or_b64 exec, exec, s[38:39]
	;; [unrolled: 8-line block ×10, first 2 shown]
	v_cmp_gt_u32_e64 s[36:37], s3, v58
	s_waitcnt lgkmcnt(0)
	s_barrier
	s_and_saveexec_b64 s[38:39], s[36:37]
	s_cbranch_execz .LBB797_121
; %bb.120:                              ;   in Loop: Header=BB797_87 Depth=1
	ds_read_b32 v59, v38 offset:1024
	s_waitcnt lgkmcnt(0)
	v_lshrrev_b32_e32 v8, s64, v59
	v_and_b32_e32 v62, s68, v8
	v_lshlrev_b32_e32 v8, 2, v62
	ds_read_b32 v8, v8
	s_waitcnt lgkmcnt(0)
	v_add_u32_e32 v8, v58, v8
	v_lshl_add_u64 v[60:61], v[8:9], 2, s[54:55]
	global_store_dword v[60:61], v59, off
	scratch_store_dword off, v62, s41
.LBB797_121:                            ;   in Loop: Header=BB797_87 Depth=1
	s_or_b64 exec, exec, s[38:39]
	v_add_u32_e32 v8, 0x400, v58
	v_cmp_gt_u32_e64 s[36:37], s3, v8
	s_and_saveexec_b64 s[38:39], s[36:37]
	s_cbranch_execz .LBB797_123
; %bb.122:                              ;   in Loop: Header=BB797_87 Depth=1
	ds_read_b32 v59, v38 offset:5120
	s_add_i32 s36, s41, 4
	s_waitcnt lgkmcnt(0)
	v_lshrrev_b32_e32 v8, s64, v59
	v_and_b32_e32 v62, s68, v8
	v_lshlrev_b32_e32 v8, 2, v62
	ds_read_b32 v8, v8
	s_waitcnt lgkmcnt(0)
	v_add3_u32 v8, v58, v8, s40
	v_lshl_add_u64 v[60:61], v[8:9], 2, s[54:55]
	global_store_dword v[60:61], v59, off
	scratch_store_dword off, v62, s36
.LBB797_123:                            ;   in Loop: Header=BB797_87 Depth=1
	s_or_b64 exec, exec, s[38:39]
	v_add_u32_e32 v8, 0x800, v58
	v_cmp_gt_u32_e64 s[36:37], s3, v8
	s_and_saveexec_b64 s[38:39], s[36:37]
	s_cbranch_execz .LBB797_125
; %bb.124:                              ;   in Loop: Header=BB797_87 Depth=1
	ds_read_b32 v59, v38 offset:9216
	s_add_i32 s36, s41, 8
	s_waitcnt lgkmcnt(0)
	v_lshrrev_b32_e32 v8, s64, v59
	v_and_b32_e32 v62, s68, v8
	v_lshlrev_b32_e32 v8, 2, v62
	ds_read_b32 v8, v8
	s_waitcnt lgkmcnt(0)
	v_add3_u32 v8, v58, v8, s46
	v_lshl_add_u64 v[60:61], v[8:9], 2, s[54:55]
	global_store_dword v[60:61], v59, off
	scratch_store_dword off, v62, s36
.LBB797_125:                            ;   in Loop: Header=BB797_87 Depth=1
	s_or_b64 exec, exec, s[38:39]
	v_add_u32_e32 v8, 0xc00, v58
	v_cmp_gt_u32_e64 s[36:37], s3, v8
	s_and_saveexec_b64 s[38:39], s[36:37]
	s_cbranch_execz .LBB797_86
; %bb.126:                              ;   in Loop: Header=BB797_87 Depth=1
	ds_read_b32 v59, v38 offset:13312
	s_add_i32 s36, s41, 12
	s_waitcnt lgkmcnt(0)
	v_lshrrev_b32_e32 v8, s64, v59
	v_and_b32_e32 v62, s68, v8
	v_lshlrev_b32_e32 v8, 2, v62
	ds_read_b32 v8, v8
	s_waitcnt lgkmcnt(0)
	v_add3_u32 v8, v58, v8, s47
	v_lshl_add_u64 v[60:61], v[8:9], 2, s[54:55]
	global_store_dword v[60:61], v59, off
	scratch_store_dword off, v62, s36
	s_branch .LBB797_86
.LBB797_127:
	s_add_u32 s36, s56, s66
	s_addc_u32 s37, s57, s67
	v_mov_b32_e32 v5, 0
	v_lshl_add_u64 v[8:9], s[36:37], 0, v[4:5]
	v_mov_b32_e32 v7, v5
	v_lshl_add_u64 v[4:5], v[8:9], 0, v[6:7]
                                        ; implicit-def: $vgpr3
	s_and_saveexec_b64 s[36:37], vcc
	s_cbranch_execz .LBB797_143
; %bb.128:
	global_load_dword v3, v[4:5], off
	s_or_b64 exec, exec, s[36:37]
                                        ; implicit-def: $vgpr6
	s_and_saveexec_b64 s[36:37], s[42:43]
	s_cbranch_execnz .LBB797_144
.LBB797_129:
	s_or_b64 exec, exec, s[36:37]
                                        ; implicit-def: $vgpr7
	s_and_saveexec_b64 s[36:37], s[4:5]
	s_cbranch_execz .LBB797_145
.LBB797_130:
	global_load_dword v7, v[4:5], off offset:512
	s_or_b64 exec, exec, s[36:37]
                                        ; implicit-def: $vgpr8
	s_and_saveexec_b64 s[4:5], s[6:7]
	s_cbranch_execnz .LBB797_146
.LBB797_131:
	s_or_b64 exec, exec, s[4:5]
                                        ; implicit-def: $vgpr9
	s_and_saveexec_b64 s[4:5], s[8:9]
	s_cbranch_execz .LBB797_147
.LBB797_132:
	global_load_dword v9, v[4:5], off offset:1024
	s_or_b64 exec, exec, s[4:5]
                                        ; implicit-def: $vgpr14
	s_and_saveexec_b64 s[4:5], s[10:11]
	s_cbranch_execnz .LBB797_148
.LBB797_133:
	s_or_b64 exec, exec, s[4:5]
                                        ; implicit-def: $vgpr15
	s_and_saveexec_b64 s[4:5], s[12:13]
	s_cbranch_execz .LBB797_149
.LBB797_134:
	global_load_dword v15, v[4:5], off offset:1536
	s_or_b64 exec, exec, s[4:5]
                                        ; implicit-def: $vgpr16
	s_and_saveexec_b64 s[4:5], s[14:15]
	s_cbranch_execnz .LBB797_150
.LBB797_135:
	s_or_b64 exec, exec, s[4:5]
                                        ; implicit-def: $vgpr17
	s_and_saveexec_b64 s[4:5], s[16:17]
	s_cbranch_execz .LBB797_151
.LBB797_136:
	global_load_dword v17, v[4:5], off offset:2048
	s_or_b64 exec, exec, s[4:5]
                                        ; implicit-def: $vgpr18
	s_and_saveexec_b64 s[4:5], s[18:19]
	s_cbranch_execnz .LBB797_152
.LBB797_137:
	s_or_b64 exec, exec, s[4:5]
                                        ; implicit-def: $vgpr19
	s_and_saveexec_b64 s[4:5], s[20:21]
	s_cbranch_execz .LBB797_153
.LBB797_138:
	global_load_dword v19, v[4:5], off offset:2560
	s_or_b64 exec, exec, s[4:5]
                                        ; implicit-def: $vgpr20
	s_and_saveexec_b64 s[4:5], s[22:23]
	s_cbranch_execnz .LBB797_154
.LBB797_139:
	s_or_b64 exec, exec, s[4:5]
                                        ; implicit-def: $vgpr21
	s_and_saveexec_b64 s[4:5], s[24:25]
	s_cbranch_execz .LBB797_155
.LBB797_140:
	global_load_dword v21, v[4:5], off offset:3072
	s_or_b64 exec, exec, s[4:5]
                                        ; implicit-def: $vgpr22
	s_and_saveexec_b64 s[4:5], s[26:27]
	s_cbranch_execnz .LBB797_156
.LBB797_141:
	s_or_b64 exec, exec, s[4:5]
                                        ; implicit-def: $vgpr23
	s_and_saveexec_b64 s[4:5], s[28:29]
	s_cbranch_execz .LBB797_157
.LBB797_142:
	global_load_dword v23, v[4:5], off offset:3584
	s_or_b64 exec, exec, s[4:5]
                                        ; implicit-def: $vgpr24
	s_and_saveexec_b64 s[4:5], s[30:31]
	s_cbranch_execnz .LBB797_158
	s_branch .LBB797_159
.LBB797_143:
	s_or_b64 exec, exec, s[36:37]
                                        ; implicit-def: $vgpr6
	s_and_saveexec_b64 s[36:37], s[42:43]
	s_cbranch_execz .LBB797_129
.LBB797_144:
	global_load_dword v6, v[4:5], off offset:256
	s_or_b64 exec, exec, s[36:37]
                                        ; implicit-def: $vgpr7
	s_and_saveexec_b64 s[36:37], s[4:5]
	s_cbranch_execnz .LBB797_130
.LBB797_145:
	s_or_b64 exec, exec, s[36:37]
                                        ; implicit-def: $vgpr8
	s_and_saveexec_b64 s[4:5], s[6:7]
	s_cbranch_execz .LBB797_131
.LBB797_146:
	global_load_dword v8, v[4:5], off offset:768
	s_or_b64 exec, exec, s[4:5]
                                        ; implicit-def: $vgpr9
	s_and_saveexec_b64 s[4:5], s[8:9]
	s_cbranch_execnz .LBB797_132
.LBB797_147:
	s_or_b64 exec, exec, s[4:5]
                                        ; implicit-def: $vgpr14
	s_and_saveexec_b64 s[4:5], s[10:11]
	s_cbranch_execz .LBB797_133
.LBB797_148:
	global_load_dword v14, v[4:5], off offset:1280
	s_or_b64 exec, exec, s[4:5]
                                        ; implicit-def: $vgpr15
	s_and_saveexec_b64 s[4:5], s[12:13]
	s_cbranch_execnz .LBB797_134
.LBB797_149:
	s_or_b64 exec, exec, s[4:5]
                                        ; implicit-def: $vgpr16
	s_and_saveexec_b64 s[4:5], s[14:15]
	s_cbranch_execz .LBB797_135
.LBB797_150:
	global_load_dword v16, v[4:5], off offset:1792
	s_or_b64 exec, exec, s[4:5]
                                        ; implicit-def: $vgpr17
	s_and_saveexec_b64 s[4:5], s[16:17]
	s_cbranch_execnz .LBB797_136
.LBB797_151:
	s_or_b64 exec, exec, s[4:5]
                                        ; implicit-def: $vgpr18
	s_and_saveexec_b64 s[4:5], s[18:19]
	s_cbranch_execz .LBB797_137
.LBB797_152:
	global_load_dword v18, v[4:5], off offset:2304
	s_or_b64 exec, exec, s[4:5]
                                        ; implicit-def: $vgpr19
	s_and_saveexec_b64 s[4:5], s[20:21]
	s_cbranch_execnz .LBB797_138
.LBB797_153:
	s_or_b64 exec, exec, s[4:5]
                                        ; implicit-def: $vgpr20
	s_and_saveexec_b64 s[4:5], s[22:23]
	s_cbranch_execz .LBB797_139
.LBB797_154:
	global_load_dword v20, v[4:5], off offset:2816
	s_or_b64 exec, exec, s[4:5]
                                        ; implicit-def: $vgpr21
	s_and_saveexec_b64 s[4:5], s[24:25]
	s_cbranch_execnz .LBB797_140
.LBB797_155:
	s_or_b64 exec, exec, s[4:5]
                                        ; implicit-def: $vgpr22
	s_and_saveexec_b64 s[4:5], s[26:27]
	s_cbranch_execz .LBB797_141
.LBB797_156:
	global_load_dword v22, v[4:5], off offset:3328
	s_or_b64 exec, exec, s[4:5]
                                        ; implicit-def: $vgpr23
	s_and_saveexec_b64 s[4:5], s[28:29]
	s_cbranch_execnz .LBB797_142
.LBB797_157:
	s_or_b64 exec, exec, s[4:5]
                                        ; implicit-def: $vgpr24
	s_and_saveexec_b64 s[4:5], s[30:31]
	s_cbranch_execz .LBB797_159
.LBB797_158:
	global_load_dword v24, v[4:5], off offset:3840
.LBB797_159:
	s_or_b64 exec, exec, s[4:5]
	s_mov_b32 s6, 0
	s_mov_b32 s7, 0
	s_movk_i32 s8, 0x1000
	v_mov_b32_e32 v5, 0
	s_movk_i32 s9, 0x400
	s_movk_i32 s10, 0x800
	;; [unrolled: 1-line block ×3, first 2 shown]
	s_mov_b32 s12, 0
	s_branch .LBB797_161
.LBB797_160:                            ;   in Loop: Header=BB797_161 Depth=1
	s_or_b64 exec, exec, s[4:5]
	s_addk_i32 s12, 0xc000
	s_addk_i32 s7, 0xf000
	s_add_i32 s6, s6, 16
	s_cmp_eq_u32 s12, 0xffff0000
	v_add_u32_e32 v2, 0x1000, v2
	s_barrier
	s_cbranch_scc1 .LBB797_201
.LBB797_161:                            ; =>This Inner Loop Header: Depth=1
	v_add_u32_e32 v4, s7, v10
	v_cmp_gt_u32_e32 vcc, s8, v4
	s_and_saveexec_b64 s[4:5], vcc
	s_cbranch_execz .LBB797_163
; %bb.162:                              ;   in Loop: Header=BB797_161 Depth=1
	v_add_u32_e32 v4, s12, v29
	s_waitcnt vmcnt(0)
	ds_write_b32 v4, v3
.LBB797_163:                            ;   in Loop: Header=BB797_161 Depth=1
	s_or_b64 exec, exec, s[4:5]
	v_add_u32_e32 v4, s7, v27
	v_cmp_gt_u32_e32 vcc, s8, v4
	s_and_saveexec_b64 s[4:5], vcc
	s_cbranch_execz .LBB797_165
; %bb.164:                              ;   in Loop: Header=BB797_161 Depth=1
	v_add_u32_e32 v4, s12, v32
	s_waitcnt vmcnt(0)
	ds_write_b32 v4, v6
.LBB797_165:                            ;   in Loop: Header=BB797_161 Depth=1
	s_or_b64 exec, exec, s[4:5]
	;; [unrolled: 10-line block ×16, first 2 shown]
	v_cmp_gt_u32_e32 vcc, s3, v2
	s_waitcnt lgkmcnt(0)
	s_barrier
	s_and_saveexec_b64 s[4:5], vcc
	s_cbranch_execz .LBB797_195
; %bb.194:                              ;   in Loop: Header=BB797_161 Depth=1
	scratch_load_dword v4, off, s6
	s_waitcnt vmcnt(0)
	v_lshlrev_b32_e32 v4, 2, v4
	ds_read_b32 v4, v4
	ds_read_b32 v25, v38 offset:1024
	s_waitcnt lgkmcnt(1)
	v_add_u32_e32 v4, v2, v4
	v_lshl_add_u64 v[58:59], v[4:5], 2, s[58:59]
	s_waitcnt lgkmcnt(0)
	global_store_dword v[58:59], v25, off
.LBB797_195:                            ;   in Loop: Header=BB797_161 Depth=1
	s_or_b64 exec, exec, s[4:5]
	v_add_u32_e32 v4, 0x400, v2
	v_cmp_gt_u32_e32 vcc, s3, v4
	s_and_saveexec_b64 s[4:5], vcc
	s_cbranch_execz .LBB797_197
; %bb.196:                              ;   in Loop: Header=BB797_161 Depth=1
	s_add_i32 s13, s6, 4
	scratch_load_dword v4, off, s13
	s_waitcnt vmcnt(0)
	v_lshlrev_b32_e32 v4, 2, v4
	ds_read_b32 v4, v4
	ds_read_b32 v25, v38 offset:5120
	s_waitcnt lgkmcnt(1)
	v_add3_u32 v4, v2, v4, s9
	v_lshl_add_u64 v[58:59], v[4:5], 2, s[58:59]
	s_waitcnt lgkmcnt(0)
	global_store_dword v[58:59], v25, off
.LBB797_197:                            ;   in Loop: Header=BB797_161 Depth=1
	s_or_b64 exec, exec, s[4:5]
	v_add_u32_e32 v4, 0x800, v2
	v_cmp_gt_u32_e32 vcc, s3, v4
	s_and_saveexec_b64 s[4:5], vcc
	s_cbranch_execz .LBB797_199
; %bb.198:                              ;   in Loop: Header=BB797_161 Depth=1
	s_add_i32 s13, s6, 8
	scratch_load_dword v4, off, s13
	s_waitcnt vmcnt(0)
	v_lshlrev_b32_e32 v4, 2, v4
	ds_read_b32 v4, v4
	ds_read_b32 v25, v38 offset:9216
	s_waitcnt lgkmcnt(1)
	v_add3_u32 v4, v2, v4, s10
	v_lshl_add_u64 v[58:59], v[4:5], 2, s[58:59]
	s_waitcnt lgkmcnt(0)
	global_store_dword v[58:59], v25, off
.LBB797_199:                            ;   in Loop: Header=BB797_161 Depth=1
	s_or_b64 exec, exec, s[4:5]
	v_add_u32_e32 v4, 0xc00, v2
	v_cmp_gt_u32_e32 vcc, s3, v4
	s_and_saveexec_b64 s[4:5], vcc
	s_cbranch_execz .LBB797_160
; %bb.200:                              ;   in Loop: Header=BB797_161 Depth=1
	s_add_i32 s13, s6, 12
	scratch_load_dword v4, off, s13
	s_waitcnt vmcnt(0)
	v_lshlrev_b32_e32 v4, 2, v4
	ds_read_b32 v4, v4
	ds_read_b32 v25, v38 offset:13312
	s_waitcnt lgkmcnt(1)
	v_add3_u32 v4, v2, v4, s11
	v_lshl_add_u64 v[58:59], v[4:5], 2, s[58:59]
	s_waitcnt lgkmcnt(0)
	global_store_dword v[58:59], v25, off
	s_branch .LBB797_160
.LBB797_201:
	s_add_i32 s33, s33, -1
	s_cmp_eq_u32 s2, s33
	s_cselect_b64 s[4:5], -1, 0
	s_xor_b64 s[6:7], s[34:35], -1
	s_and_b64 s[6:7], s[6:7], s[4:5]
	s_and_saveexec_b64 s[4:5], s[6:7]
	s_cbranch_execz .LBB797_203
; %bb.202:
	ds_read_b32 v2, v38
	s_waitcnt lgkmcnt(0)
	v_add3_u32 v2, v31, v33, v2
	global_store_dword v38, v2, s[62:63]
.LBB797_203:
	s_or_b64 exec, exec, s[4:5]
	s_mov_b64 s[4:5], 0
.LBB797_204:
	s_and_b64 vcc, exec, s[4:5]
	s_cbranch_vccz .LBB797_327
; %bb.205:
	v_and_b32_e32 v2, 0x3ff, v0
	s_lshl_b32 s4, s2, 14
	s_mov_b32 s5, 0
	s_lshl_b64 s[10:11], s[4:5], 2
	v_mbcnt_hi_u32_b32 v10, -1, v1
	v_lshlrev_b32_e32 v1, 4, v2
	s_add_u32 s4, s52, s10
	s_waitcnt vmcnt(0)
	v_and_b32_e32 v3, 63, v10
	v_and_b32_e32 v6, 0x3c00, v1
	v_mov_b32_e32 v1, 0
	s_addc_u32 s5, s53, s11
	v_lshlrev_b32_e32 v4, 2, v3
	v_mov_b32_e32 v5, v1
	v_lshl_add_u64 v[8:9], s[4:5], 0, v[4:5]
	v_lshlrev_b32_e32 v6, 2, v6
	v_mov_b32_e32 v7, v1
	v_lshl_add_u64 v[8:9], v[8:9], 0, v[6:7]
	global_load_dword v3, v[8:9], off
	s_load_dword s4, s[0:1], 0x64
	s_load_dword s3, s[0:1], 0x58
	s_add_u32 s0, s0, 0x58
	s_addc_u32 s1, s1, 0
	v_mul_u32_u24_e32 v11, 20, v2
	s_waitcnt lgkmcnt(0)
	s_lshr_b32 s4, s4, 16
	s_cmp_lt_u32 s2, s3
	s_cselect_b32 s5, 12, 18
	s_add_u32 s0, s0, s5
	s_addc_u32 s1, s1, 0
	global_load_ushort v25, v1, s[0:1]
	ds_write2_b32 v11, v1, v1 offset0:16 offset1:17
	ds_write2_b32 v11, v1, v1 offset0:18 offset1:19
	ds_write_b32 v11, v1 offset:80
	global_load_dword v5, v[8:9], off offset:256
	global_load_dword v7, v[8:9], off offset:512
	global_load_dword v12, v[8:9], off offset:768
	global_load_dword v13, v[8:9], off offset:1024
	global_load_dword v14, v[8:9], off offset:1280
	global_load_dword v15, v[8:9], off offset:1536
	global_load_dword v16, v[8:9], off offset:1792
	global_load_dword v17, v[8:9], off offset:2048
	global_load_dword v18, v[8:9], off offset:2304
	global_load_dword v19, v[8:9], off offset:2560
	global_load_dword v20, v[8:9], off offset:2816
	global_load_dword v21, v[8:9], off offset:3072
	global_load_dword v22, v[8:9], off offset:3328
	global_load_dword v23, v[8:9], off offset:3584
	global_load_dword v24, v[8:9], off offset:3840
	v_bfe_u32 v27, v0, 10, 10
	v_bfe_u32 v0, v0, 20, 10
	v_mad_u32_u24 v32, v0, s4, v27
	s_lshl_b32 s0, -1, s65
	v_mov_b32_e32 v26, v1
	v_mov_b32_e32 v28, v1
	s_not_b32 s14, s0
	v_mov_b32_e32 v30, v1
	s_movk_i32 s8, 0x44
	s_waitcnt lgkmcnt(0)
	s_barrier
	s_waitcnt vmcnt(16)
	; wave barrier
	v_lshrrev_b32_e32 v0, s64, v3
	v_bitop3_b32 v33, v0, s0, v0 bitop3:0x30
	v_and_b32_e32 v0, 1, v33
	v_lshlrev_b32_e32 v27, 30, v33
	v_lshlrev_b32_e32 v29, 29, v33
	v_lshl_add_u64 v[8:9], v[0:1], 0, -1
	v_cmp_ne_u32_e32 vcc, 0, v0
	v_not_b32_e32 v0, v27
	v_lshlrev_b32_e32 v31, 28, v33
	v_cmp_gt_i64_e64 s[0:1], 0, v[26:27]
	v_cmp_gt_i64_e64 s[4:5], 0, v[28:29]
	v_not_b32_e32 v28, v29
	v_xor_b32_e32 v9, vcc_hi, v9
	v_xor_b32_e32 v8, vcc_lo, v8
	v_ashrrev_i32_e32 v0, 31, v0
	v_not_b32_e32 v29, v31
	s_waitcnt vmcnt(15)
	v_mad_u64_u32 v[26:27], s[12:13], v32, v25, v[2:3]
	v_ashrrev_i32_e32 v25, 31, v28
	v_and_b32_e32 v9, exec_hi, v9
	v_and_b32_e32 v8, exec_lo, v8
	v_xor_b32_e32 v28, s1, v0
	v_xor_b32_e32 v0, s0, v0
	v_cmp_gt_i64_e64 s[6:7], 0, v[30:31]
	v_ashrrev_i32_e32 v27, 31, v29
	v_xor_b32_e32 v29, s5, v25
	v_xor_b32_e32 v25, s4, v25
	v_and_b32_e32 v9, v9, v28
	v_and_b32_e32 v0, v8, v0
	v_xor_b32_e32 v30, s7, v27
	v_and_b32_e32 v8, v9, v29
	v_and_b32_e32 v0, v0, v25
	;; [unrolled: 3-line block ×3, first 2 shown]
	v_lshlrev_b32_e32 v9, 27, v33
	v_mov_b32_e32 v8, v1
	v_cmp_gt_i64_e32 vcc, 0, v[8:9]
	v_not_b32_e32 v8, v9
	v_ashrrev_i32_e32 v8, 31, v8
	v_xor_b32_e32 v9, vcc_hi, v8
	v_xor_b32_e32 v8, vcc_lo, v8
	v_and_b32_e32 v25, v25, v9
	v_and_b32_e32 v0, v0, v8
	v_lshlrev_b32_e32 v9, 26, v33
	v_mov_b32_e32 v8, v1
	v_cmp_gt_i64_e32 vcc, 0, v[8:9]
	v_not_b32_e32 v8, v9
	v_ashrrev_i32_e32 v8, 31, v8
	v_xor_b32_e32 v9, vcc_hi, v8
	v_xor_b32_e32 v8, vcc_lo, v8
	v_and_b32_e32 v25, v25, v9
	v_and_b32_e32 v0, v0, v8
	;; [unrolled: 9-line block ×3, first 2 shown]
	v_lshlrev_b32_e32 v9, 24, v33
	v_mov_b32_e32 v8, v1
	v_cmp_gt_i64_e32 vcc, 0, v[8:9]
	v_not_b32_e32 v8, v9
	v_ashrrev_i32_e32 v8, 31, v8
	v_xor_b32_e32 v9, vcc_hi, v8
	v_xor_b32_e32 v8, vcc_lo, v8
	v_and_b32_e32 v8, v0, v8
	v_lshrrev_b32_e32 v26, 4, v26
	v_and_b32_e32 v9, v25, v9
	v_mbcnt_lo_u32_b32 v0, v8, 0
	v_and_b32_e32 v36, 0xffffffc, v26
	v_mbcnt_hi_u32_b32 v26, v9, v0
	v_mul_lo_u32 v34, v33, s8
	v_cmp_eq_u32_e32 vcc, 0, v26
	v_cmp_ne_u64_e64 s[0:1], 0, v[8:9]
	s_and_b64 s[4:5], s[0:1], vcc
	v_add_u32_e32 v29, v36, v34
	s_and_saveexec_b64 s[0:1], s[4:5]
; %bb.206:
	v_bcnt_u32_b32 v0, v8, 0
	v_bcnt_u32_b32 v0, v9, v0
	ds_write_b32 v29, v0 offset:64
; %bb.207:
	s_or_b64 exec, exec, s[0:1]
	s_waitcnt vmcnt(14)
	v_lshrrev_b32_e32 v0, s64, v5
	v_and_b32_e32 v27, s14, v0
	v_mul_lo_u32 v0, v27, s8
	v_add_u32_e32 v31, v36, v0
	v_and_b32_e32 v0, 1, v27
	v_lshl_add_u64 v[8:9], v[0:1], 0, -1
	v_cmp_ne_u32_e32 vcc, 0, v0
	; wave barrier
	s_nop 1
	v_xor_b32_e32 v8, vcc_lo, v8
	v_xor_b32_e32 v0, vcc_hi, v9
	v_and_b32_e32 v28, exec_lo, v8
	v_lshlrev_b32_e32 v9, 30, v27
	v_mov_b32_e32 v8, v1
	v_cmp_gt_i64_e32 vcc, 0, v[8:9]
	v_not_b32_e32 v8, v9
	v_ashrrev_i32_e32 v8, 31, v8
	v_and_b32_e32 v0, exec_hi, v0
	v_xor_b32_e32 v9, vcc_hi, v8
	v_xor_b32_e32 v8, vcc_lo, v8
	v_and_b32_e32 v0, v0, v9
	v_and_b32_e32 v28, v28, v8
	v_lshlrev_b32_e32 v9, 29, v27
	v_mov_b32_e32 v8, v1
	v_cmp_gt_i64_e32 vcc, 0, v[8:9]
	v_not_b32_e32 v8, v9
	v_ashrrev_i32_e32 v8, 31, v8
	v_xor_b32_e32 v9, vcc_hi, v8
	v_xor_b32_e32 v8, vcc_lo, v8
	v_and_b32_e32 v0, v0, v9
	v_and_b32_e32 v28, v28, v8
	v_lshlrev_b32_e32 v9, 28, v27
	v_mov_b32_e32 v8, v1
	v_cmp_gt_i64_e32 vcc, 0, v[8:9]
	v_not_b32_e32 v8, v9
	v_ashrrev_i32_e32 v8, 31, v8
	;; [unrolled: 9-line block ×5, first 2 shown]
	v_xor_b32_e32 v9, vcc_hi, v8
	v_xor_b32_e32 v8, vcc_lo, v8
	v_and_b32_e32 v0, v0, v9
	v_lshlrev_b32_e32 v9, 24, v27
	v_and_b32_e32 v28, v28, v8
	v_mov_b32_e32 v8, v1
	v_not_b32_e32 v1, v9
	v_cmp_gt_i64_e32 vcc, 0, v[8:9]
	v_ashrrev_i32_e32 v1, 31, v1
	ds_read_b32 v25, v31 offset:64
	v_xor_b32_e32 v8, vcc_hi, v1
	v_xor_b32_e32 v9, vcc_lo, v1
	v_and_b32_e32 v1, v0, v8
	v_and_b32_e32 v0, v28, v9
	v_mbcnt_lo_u32_b32 v8, v0, 0
	v_mbcnt_hi_u32_b32 v27, v1, v8
	v_cmp_eq_u32_e32 vcc, 0, v27
	v_cmp_ne_u64_e64 s[0:1], 0, v[0:1]
	s_and_b64 s[4:5], s[0:1], vcc
	; wave barrier
	s_and_saveexec_b64 s[0:1], s[4:5]
	s_cbranch_execz .LBB797_209
; %bb.208:
	v_bcnt_u32_b32 v0, v0, 0
	v_bcnt_u32_b32 v0, v1, v0
	s_waitcnt lgkmcnt(0)
	v_add_u32_e32 v0, v25, v0
	ds_write_b32 v31, v0 offset:64
.LBB797_209:
	s_or_b64 exec, exec, s[0:1]
	s_waitcnt vmcnt(13)
	v_lshrrev_b32_e32 v0, s64, v7
	v_and_b32_e32 v30, s14, v0
	s_movk_i32 s4, 0x44
	v_mul_lo_u32 v0, v30, s4
	v_add_u32_e32 v34, v36, v0
	v_and_b32_e32 v0, 1, v30
	v_mov_b32_e32 v1, 0
	v_lshl_add_u64 v[8:9], v[0:1], 0, -1
	v_cmp_ne_u32_e32 vcc, 0, v0
	; wave barrier
	s_nop 1
	v_xor_b32_e32 v8, vcc_lo, v8
	v_xor_b32_e32 v0, vcc_hi, v9
	v_and_b32_e32 v32, exec_lo, v8
	v_lshlrev_b32_e32 v9, 30, v30
	v_mov_b32_e32 v8, v1
	v_cmp_gt_i64_e32 vcc, 0, v[8:9]
	v_not_b32_e32 v8, v9
	v_ashrrev_i32_e32 v8, 31, v8
	v_and_b32_e32 v0, exec_hi, v0
	v_xor_b32_e32 v9, vcc_hi, v8
	v_xor_b32_e32 v8, vcc_lo, v8
	v_and_b32_e32 v0, v0, v9
	v_and_b32_e32 v32, v32, v8
	v_lshlrev_b32_e32 v9, 29, v30
	v_mov_b32_e32 v8, v1
	v_cmp_gt_i64_e32 vcc, 0, v[8:9]
	v_not_b32_e32 v8, v9
	v_ashrrev_i32_e32 v8, 31, v8
	v_xor_b32_e32 v9, vcc_hi, v8
	v_xor_b32_e32 v8, vcc_lo, v8
	v_and_b32_e32 v0, v0, v9
	v_and_b32_e32 v32, v32, v8
	v_lshlrev_b32_e32 v9, 28, v30
	v_mov_b32_e32 v8, v1
	v_cmp_gt_i64_e32 vcc, 0, v[8:9]
	v_not_b32_e32 v8, v9
	v_ashrrev_i32_e32 v8, 31, v8
	;; [unrolled: 9-line block ×6, first 2 shown]
	v_xor_b32_e32 v9, vcc_hi, v8
	v_xor_b32_e32 v8, vcc_lo, v8
	ds_read_b32 v28, v34 offset:64
	v_and_b32_e32 v8, v32, v8
	v_and_b32_e32 v9, v0, v9
	v_mbcnt_lo_u32_b32 v0, v8, 0
	v_mbcnt_hi_u32_b32 v30, v9, v0
	v_cmp_eq_u32_e32 vcc, 0, v30
	v_cmp_ne_u64_e64 s[0:1], 0, v[8:9]
	s_and_b64 s[6:7], s[0:1], vcc
	; wave barrier
	s_and_saveexec_b64 s[0:1], s[6:7]
	s_cbranch_execz .LBB797_211
; %bb.210:
	v_bcnt_u32_b32 v0, v8, 0
	v_bcnt_u32_b32 v0, v9, v0
	s_waitcnt lgkmcnt(0)
	v_add_u32_e32 v0, v28, v0
	ds_write_b32 v34, v0 offset:64
.LBB797_211:
	s_or_b64 exec, exec, s[0:1]
	s_waitcnt vmcnt(12)
	v_lshrrev_b32_e32 v0, s64, v12
	v_and_b32_e32 v33, s14, v0
	v_mul_lo_u32 v0, v33, s4
	v_add_u32_e32 v38, v36, v0
	v_and_b32_e32 v0, 1, v33
	v_lshl_add_u64 v[8:9], v[0:1], 0, -1
	v_cmp_ne_u32_e32 vcc, 0, v0
	; wave barrier
	s_nop 1
	v_xor_b32_e32 v8, vcc_lo, v8
	v_xor_b32_e32 v0, vcc_hi, v9
	v_and_b32_e32 v35, exec_lo, v8
	v_lshlrev_b32_e32 v9, 30, v33
	v_mov_b32_e32 v8, v1
	v_cmp_gt_i64_e32 vcc, 0, v[8:9]
	v_not_b32_e32 v8, v9
	v_ashrrev_i32_e32 v8, 31, v8
	v_and_b32_e32 v0, exec_hi, v0
	v_xor_b32_e32 v9, vcc_hi, v8
	v_xor_b32_e32 v8, vcc_lo, v8
	v_and_b32_e32 v0, v0, v9
	v_and_b32_e32 v35, v35, v8
	v_lshlrev_b32_e32 v9, 29, v33
	v_mov_b32_e32 v8, v1
	v_cmp_gt_i64_e32 vcc, 0, v[8:9]
	v_not_b32_e32 v8, v9
	v_ashrrev_i32_e32 v8, 31, v8
	v_xor_b32_e32 v9, vcc_hi, v8
	v_xor_b32_e32 v8, vcc_lo, v8
	v_and_b32_e32 v0, v0, v9
	v_and_b32_e32 v35, v35, v8
	v_lshlrev_b32_e32 v9, 28, v33
	v_mov_b32_e32 v8, v1
	v_cmp_gt_i64_e32 vcc, 0, v[8:9]
	v_not_b32_e32 v8, v9
	v_ashrrev_i32_e32 v8, 31, v8
	;; [unrolled: 9-line block ×5, first 2 shown]
	v_xor_b32_e32 v9, vcc_hi, v8
	v_xor_b32_e32 v8, vcc_lo, v8
	v_and_b32_e32 v0, v0, v9
	v_lshlrev_b32_e32 v9, 24, v33
	v_and_b32_e32 v35, v35, v8
	v_mov_b32_e32 v8, v1
	v_not_b32_e32 v1, v9
	v_cmp_gt_i64_e32 vcc, 0, v[8:9]
	v_ashrrev_i32_e32 v1, 31, v1
	ds_read_b32 v32, v38 offset:64
	v_xor_b32_e32 v8, vcc_hi, v1
	v_xor_b32_e32 v9, vcc_lo, v1
	v_and_b32_e32 v1, v0, v8
	v_and_b32_e32 v0, v35, v9
	v_mbcnt_lo_u32_b32 v8, v0, 0
	v_mbcnt_hi_u32_b32 v33, v1, v8
	v_cmp_eq_u32_e32 vcc, 0, v33
	v_cmp_ne_u64_e64 s[0:1], 0, v[0:1]
	s_and_b64 s[4:5], s[0:1], vcc
	; wave barrier
	s_and_saveexec_b64 s[0:1], s[4:5]
	s_cbranch_execz .LBB797_213
; %bb.212:
	v_bcnt_u32_b32 v0, v0, 0
	v_bcnt_u32_b32 v0, v1, v0
	s_waitcnt lgkmcnt(0)
	v_add_u32_e32 v0, v32, v0
	ds_write_b32 v38, v0 offset:64
.LBB797_213:
	s_or_b64 exec, exec, s[0:1]
	s_waitcnt vmcnt(11)
	v_lshrrev_b32_e32 v0, s64, v13
	v_and_b32_e32 v37, s14, v0
	s_movk_i32 s4, 0x44
	v_mul_lo_u32 v0, v37, s4
	v_add_u32_e32 v41, v36, v0
	v_and_b32_e32 v0, 1, v37
	v_mov_b32_e32 v1, 0
	v_lshl_add_u64 v[8:9], v[0:1], 0, -1
	v_cmp_ne_u32_e32 vcc, 0, v0
	; wave barrier
	s_nop 1
	v_xor_b32_e32 v8, vcc_lo, v8
	v_xor_b32_e32 v0, vcc_hi, v9
	v_and_b32_e32 v39, exec_lo, v8
	v_lshlrev_b32_e32 v9, 30, v37
	v_mov_b32_e32 v8, v1
	v_cmp_gt_i64_e32 vcc, 0, v[8:9]
	v_not_b32_e32 v8, v9
	v_ashrrev_i32_e32 v8, 31, v8
	v_and_b32_e32 v0, exec_hi, v0
	v_xor_b32_e32 v9, vcc_hi, v8
	v_xor_b32_e32 v8, vcc_lo, v8
	v_and_b32_e32 v0, v0, v9
	v_and_b32_e32 v39, v39, v8
	v_lshlrev_b32_e32 v9, 29, v37
	v_mov_b32_e32 v8, v1
	v_cmp_gt_i64_e32 vcc, 0, v[8:9]
	v_not_b32_e32 v8, v9
	v_ashrrev_i32_e32 v8, 31, v8
	v_xor_b32_e32 v9, vcc_hi, v8
	v_xor_b32_e32 v8, vcc_lo, v8
	v_and_b32_e32 v0, v0, v9
	v_and_b32_e32 v39, v39, v8
	v_lshlrev_b32_e32 v9, 28, v37
	v_mov_b32_e32 v8, v1
	v_cmp_gt_i64_e32 vcc, 0, v[8:9]
	v_not_b32_e32 v8, v9
	v_ashrrev_i32_e32 v8, 31, v8
	;; [unrolled: 9-line block ×6, first 2 shown]
	v_xor_b32_e32 v9, vcc_hi, v8
	v_xor_b32_e32 v8, vcc_lo, v8
	ds_read_b32 v35, v41 offset:64
	v_and_b32_e32 v8, v39, v8
	v_and_b32_e32 v9, v0, v9
	v_mbcnt_lo_u32_b32 v0, v8, 0
	v_mbcnt_hi_u32_b32 v37, v9, v0
	v_cmp_eq_u32_e32 vcc, 0, v37
	v_cmp_ne_u64_e64 s[0:1], 0, v[8:9]
	s_and_b64 s[6:7], s[0:1], vcc
	; wave barrier
	s_and_saveexec_b64 s[0:1], s[6:7]
	s_cbranch_execz .LBB797_215
; %bb.214:
	v_bcnt_u32_b32 v0, v8, 0
	v_bcnt_u32_b32 v0, v9, v0
	s_waitcnt lgkmcnt(0)
	v_add_u32_e32 v0, v35, v0
	ds_write_b32 v41, v0 offset:64
.LBB797_215:
	s_or_b64 exec, exec, s[0:1]
	s_waitcnt vmcnt(10)
	v_lshrrev_b32_e32 v0, s64, v14
	v_and_b32_e32 v40, s14, v0
	v_mul_lo_u32 v0, v40, s4
	v_add_u32_e32 v44, v36, v0
	v_and_b32_e32 v0, 1, v40
	v_lshl_add_u64 v[8:9], v[0:1], 0, -1
	v_cmp_ne_u32_e32 vcc, 0, v0
	; wave barrier
	s_nop 1
	v_xor_b32_e32 v8, vcc_lo, v8
	v_xor_b32_e32 v0, vcc_hi, v9
	v_and_b32_e32 v42, exec_lo, v8
	v_lshlrev_b32_e32 v9, 30, v40
	v_mov_b32_e32 v8, v1
	v_cmp_gt_i64_e32 vcc, 0, v[8:9]
	v_not_b32_e32 v8, v9
	v_ashrrev_i32_e32 v8, 31, v8
	v_and_b32_e32 v0, exec_hi, v0
	v_xor_b32_e32 v9, vcc_hi, v8
	v_xor_b32_e32 v8, vcc_lo, v8
	v_and_b32_e32 v0, v0, v9
	v_and_b32_e32 v42, v42, v8
	v_lshlrev_b32_e32 v9, 29, v40
	v_mov_b32_e32 v8, v1
	v_cmp_gt_i64_e32 vcc, 0, v[8:9]
	v_not_b32_e32 v8, v9
	v_ashrrev_i32_e32 v8, 31, v8
	v_xor_b32_e32 v9, vcc_hi, v8
	v_xor_b32_e32 v8, vcc_lo, v8
	v_and_b32_e32 v0, v0, v9
	v_and_b32_e32 v42, v42, v8
	v_lshlrev_b32_e32 v9, 28, v40
	v_mov_b32_e32 v8, v1
	v_cmp_gt_i64_e32 vcc, 0, v[8:9]
	v_not_b32_e32 v8, v9
	v_ashrrev_i32_e32 v8, 31, v8
	v_xor_b32_e32 v9, vcc_hi, v8
	v_xor_b32_e32 v8, vcc_lo, v8
	v_and_b32_e32 v0, v0, v9
	v_and_b32_e32 v42, v42, v8
	v_lshlrev_b32_e32 v9, 27, v40
	v_mov_b32_e32 v8, v1
	v_cmp_gt_i64_e32 vcc, 0, v[8:9]
	v_not_b32_e32 v8, v9
	v_ashrrev_i32_e32 v8, 31, v8
	v_xor_b32_e32 v9, vcc_hi, v8
	v_xor_b32_e32 v8, vcc_lo, v8
	v_and_b32_e32 v0, v0, v9
	v_and_b32_e32 v42, v42, v8
	v_lshlrev_b32_e32 v9, 26, v40
	v_mov_b32_e32 v8, v1
	v_cmp_gt_i64_e32 vcc, 0, v[8:9]
	v_not_b32_e32 v8, v9
	v_ashrrev_i32_e32 v8, 31, v8
	v_xor_b32_e32 v9, vcc_hi, v8
	v_xor_b32_e32 v8, vcc_lo, v8
	v_and_b32_e32 v0, v0, v9
	v_and_b32_e32 v42, v42, v8
	v_lshlrev_b32_e32 v9, 25, v40
	v_mov_b32_e32 v8, v1
	v_cmp_gt_i64_e32 vcc, 0, v[8:9]
	v_not_b32_e32 v8, v9
	v_ashrrev_i32_e32 v8, 31, v8
	v_xor_b32_e32 v9, vcc_hi, v8
	v_xor_b32_e32 v8, vcc_lo, v8
	v_and_b32_e32 v0, v0, v9
	v_lshlrev_b32_e32 v9, 24, v40
	v_and_b32_e32 v42, v42, v8
	v_mov_b32_e32 v8, v1
	v_not_b32_e32 v1, v9
	v_cmp_gt_i64_e32 vcc, 0, v[8:9]
	v_ashrrev_i32_e32 v1, 31, v1
	ds_read_b32 v39, v44 offset:64
	v_xor_b32_e32 v8, vcc_hi, v1
	v_xor_b32_e32 v9, vcc_lo, v1
	v_and_b32_e32 v1, v0, v8
	v_and_b32_e32 v0, v42, v9
	v_mbcnt_lo_u32_b32 v8, v0, 0
	v_mbcnt_hi_u32_b32 v40, v1, v8
	v_cmp_eq_u32_e32 vcc, 0, v40
	v_cmp_ne_u64_e64 s[0:1], 0, v[0:1]
	s_and_b64 s[4:5], s[0:1], vcc
	; wave barrier
	s_and_saveexec_b64 s[0:1], s[4:5]
	s_cbranch_execz .LBB797_217
; %bb.216:
	v_bcnt_u32_b32 v0, v0, 0
	v_bcnt_u32_b32 v0, v1, v0
	s_waitcnt lgkmcnt(0)
	v_add_u32_e32 v0, v39, v0
	ds_write_b32 v44, v0 offset:64
.LBB797_217:
	s_or_b64 exec, exec, s[0:1]
	s_waitcnt vmcnt(9)
	v_lshrrev_b32_e32 v0, s64, v15
	v_and_b32_e32 v43, s14, v0
	s_movk_i32 s4, 0x44
	v_mul_lo_u32 v0, v43, s4
	v_add_u32_e32 v47, v36, v0
	v_and_b32_e32 v0, 1, v43
	v_mov_b32_e32 v1, 0
	v_lshl_add_u64 v[8:9], v[0:1], 0, -1
	v_cmp_ne_u32_e32 vcc, 0, v0
	; wave barrier
	s_nop 1
	v_xor_b32_e32 v8, vcc_lo, v8
	v_xor_b32_e32 v0, vcc_hi, v9
	v_and_b32_e32 v45, exec_lo, v8
	v_lshlrev_b32_e32 v9, 30, v43
	v_mov_b32_e32 v8, v1
	v_cmp_gt_i64_e32 vcc, 0, v[8:9]
	v_not_b32_e32 v8, v9
	v_ashrrev_i32_e32 v8, 31, v8
	v_and_b32_e32 v0, exec_hi, v0
	v_xor_b32_e32 v9, vcc_hi, v8
	v_xor_b32_e32 v8, vcc_lo, v8
	v_and_b32_e32 v0, v0, v9
	v_and_b32_e32 v45, v45, v8
	v_lshlrev_b32_e32 v9, 29, v43
	v_mov_b32_e32 v8, v1
	v_cmp_gt_i64_e32 vcc, 0, v[8:9]
	v_not_b32_e32 v8, v9
	v_ashrrev_i32_e32 v8, 31, v8
	v_xor_b32_e32 v9, vcc_hi, v8
	v_xor_b32_e32 v8, vcc_lo, v8
	v_and_b32_e32 v0, v0, v9
	v_and_b32_e32 v45, v45, v8
	v_lshlrev_b32_e32 v9, 28, v43
	v_mov_b32_e32 v8, v1
	v_cmp_gt_i64_e32 vcc, 0, v[8:9]
	v_not_b32_e32 v8, v9
	v_ashrrev_i32_e32 v8, 31, v8
	;; [unrolled: 9-line block ×6, first 2 shown]
	v_xor_b32_e32 v9, vcc_hi, v8
	v_xor_b32_e32 v8, vcc_lo, v8
	ds_read_b32 v42, v47 offset:64
	v_and_b32_e32 v8, v45, v8
	v_and_b32_e32 v9, v0, v9
	v_mbcnt_lo_u32_b32 v0, v8, 0
	v_mbcnt_hi_u32_b32 v43, v9, v0
	v_cmp_eq_u32_e32 vcc, 0, v43
	v_cmp_ne_u64_e64 s[0:1], 0, v[8:9]
	s_and_b64 s[6:7], s[0:1], vcc
	; wave barrier
	s_and_saveexec_b64 s[0:1], s[6:7]
	s_cbranch_execz .LBB797_219
; %bb.218:
	v_bcnt_u32_b32 v0, v8, 0
	v_bcnt_u32_b32 v0, v9, v0
	s_waitcnt lgkmcnt(0)
	v_add_u32_e32 v0, v42, v0
	ds_write_b32 v47, v0 offset:64
.LBB797_219:
	s_or_b64 exec, exec, s[0:1]
	s_waitcnt vmcnt(8)
	v_lshrrev_b32_e32 v0, s64, v16
	v_and_b32_e32 v46, s14, v0
	v_mul_lo_u32 v0, v46, s4
	v_add_u32_e32 v49, v36, v0
	v_and_b32_e32 v0, 1, v46
	v_lshl_add_u64 v[8:9], v[0:1], 0, -1
	v_cmp_ne_u32_e32 vcc, 0, v0
	; wave barrier
	s_nop 1
	v_xor_b32_e32 v8, vcc_lo, v8
	v_xor_b32_e32 v0, vcc_hi, v9
	v_and_b32_e32 v48, exec_lo, v8
	v_lshlrev_b32_e32 v9, 30, v46
	v_mov_b32_e32 v8, v1
	v_cmp_gt_i64_e32 vcc, 0, v[8:9]
	v_not_b32_e32 v8, v9
	v_ashrrev_i32_e32 v8, 31, v8
	v_and_b32_e32 v0, exec_hi, v0
	v_xor_b32_e32 v9, vcc_hi, v8
	v_xor_b32_e32 v8, vcc_lo, v8
	v_and_b32_e32 v0, v0, v9
	v_and_b32_e32 v48, v48, v8
	v_lshlrev_b32_e32 v9, 29, v46
	v_mov_b32_e32 v8, v1
	v_cmp_gt_i64_e32 vcc, 0, v[8:9]
	v_not_b32_e32 v8, v9
	v_ashrrev_i32_e32 v8, 31, v8
	v_xor_b32_e32 v9, vcc_hi, v8
	v_xor_b32_e32 v8, vcc_lo, v8
	v_and_b32_e32 v0, v0, v9
	v_and_b32_e32 v48, v48, v8
	v_lshlrev_b32_e32 v9, 28, v46
	v_mov_b32_e32 v8, v1
	v_cmp_gt_i64_e32 vcc, 0, v[8:9]
	v_not_b32_e32 v8, v9
	v_ashrrev_i32_e32 v8, 31, v8
	v_xor_b32_e32 v9, vcc_hi, v8
	v_xor_b32_e32 v8, vcc_lo, v8
	v_and_b32_e32 v0, v0, v9
	v_and_b32_e32 v48, v48, v8
	v_lshlrev_b32_e32 v9, 27, v46
	v_mov_b32_e32 v8, v1
	v_cmp_gt_i64_e32 vcc, 0, v[8:9]
	v_not_b32_e32 v8, v9
	v_ashrrev_i32_e32 v8, 31, v8
	v_xor_b32_e32 v9, vcc_hi, v8
	v_xor_b32_e32 v8, vcc_lo, v8
	v_and_b32_e32 v0, v0, v9
	v_and_b32_e32 v48, v48, v8
	v_lshlrev_b32_e32 v9, 26, v46
	v_mov_b32_e32 v8, v1
	v_cmp_gt_i64_e32 vcc, 0, v[8:9]
	v_not_b32_e32 v8, v9
	v_ashrrev_i32_e32 v8, 31, v8
	v_xor_b32_e32 v9, vcc_hi, v8
	v_xor_b32_e32 v8, vcc_lo, v8
	v_and_b32_e32 v0, v0, v9
	v_and_b32_e32 v48, v48, v8
	v_lshlrev_b32_e32 v9, 25, v46
	v_mov_b32_e32 v8, v1
	v_cmp_gt_i64_e32 vcc, 0, v[8:9]
	v_not_b32_e32 v8, v9
	v_ashrrev_i32_e32 v8, 31, v8
	v_xor_b32_e32 v9, vcc_hi, v8
	v_xor_b32_e32 v8, vcc_lo, v8
	v_and_b32_e32 v0, v0, v9
	v_lshlrev_b32_e32 v9, 24, v46
	v_and_b32_e32 v48, v48, v8
	v_mov_b32_e32 v8, v1
	v_not_b32_e32 v1, v9
	v_cmp_gt_i64_e32 vcc, 0, v[8:9]
	v_ashrrev_i32_e32 v1, 31, v1
	ds_read_b32 v45, v49 offset:64
	v_xor_b32_e32 v8, vcc_hi, v1
	v_xor_b32_e32 v9, vcc_lo, v1
	v_and_b32_e32 v1, v0, v8
	v_and_b32_e32 v0, v48, v9
	v_mbcnt_lo_u32_b32 v8, v0, 0
	v_mbcnt_hi_u32_b32 v46, v1, v8
	v_cmp_eq_u32_e32 vcc, 0, v46
	v_cmp_ne_u64_e64 s[0:1], 0, v[0:1]
	s_and_b64 s[4:5], s[0:1], vcc
	; wave barrier
	s_and_saveexec_b64 s[0:1], s[4:5]
	s_cbranch_execz .LBB797_221
; %bb.220:
	v_bcnt_u32_b32 v0, v0, 0
	v_bcnt_u32_b32 v0, v1, v0
	s_waitcnt lgkmcnt(0)
	v_add_u32_e32 v0, v45, v0
	ds_write_b32 v49, v0 offset:64
.LBB797_221:
	s_or_b64 exec, exec, s[0:1]
	s_waitcnt vmcnt(7)
	v_lshrrev_b32_e32 v0, s64, v17
	v_and_b32_e32 v50, s14, v0
	s_movk_i32 s4, 0x44
	v_mul_lo_u32 v0, v50, s4
	v_add_u32_e32 v52, v36, v0
	v_and_b32_e32 v0, 1, v50
	v_mov_b32_e32 v1, 0
	v_lshl_add_u64 v[8:9], v[0:1], 0, -1
	v_cmp_ne_u32_e32 vcc, 0, v0
	; wave barrier
	s_nop 1
	v_xor_b32_e32 v8, vcc_lo, v8
	v_xor_b32_e32 v0, vcc_hi, v9
	v_and_b32_e32 v51, exec_lo, v8
	v_lshlrev_b32_e32 v9, 30, v50
	v_mov_b32_e32 v8, v1
	v_cmp_gt_i64_e32 vcc, 0, v[8:9]
	v_not_b32_e32 v8, v9
	v_ashrrev_i32_e32 v8, 31, v8
	v_and_b32_e32 v0, exec_hi, v0
	v_xor_b32_e32 v9, vcc_hi, v8
	v_xor_b32_e32 v8, vcc_lo, v8
	v_and_b32_e32 v0, v0, v9
	v_and_b32_e32 v51, v51, v8
	v_lshlrev_b32_e32 v9, 29, v50
	v_mov_b32_e32 v8, v1
	v_cmp_gt_i64_e32 vcc, 0, v[8:9]
	v_not_b32_e32 v8, v9
	v_ashrrev_i32_e32 v8, 31, v8
	v_xor_b32_e32 v9, vcc_hi, v8
	v_xor_b32_e32 v8, vcc_lo, v8
	v_and_b32_e32 v0, v0, v9
	v_and_b32_e32 v51, v51, v8
	v_lshlrev_b32_e32 v9, 28, v50
	v_mov_b32_e32 v8, v1
	v_cmp_gt_i64_e32 vcc, 0, v[8:9]
	v_not_b32_e32 v8, v9
	v_ashrrev_i32_e32 v8, 31, v8
	;; [unrolled: 9-line block ×6, first 2 shown]
	v_xor_b32_e32 v9, vcc_hi, v8
	v_xor_b32_e32 v8, vcc_lo, v8
	ds_read_b32 v48, v52 offset:64
	v_and_b32_e32 v8, v51, v8
	v_and_b32_e32 v9, v0, v9
	v_mbcnt_lo_u32_b32 v0, v8, 0
	v_mbcnt_hi_u32_b32 v50, v9, v0
	v_cmp_eq_u32_e32 vcc, 0, v50
	v_cmp_ne_u64_e64 s[0:1], 0, v[8:9]
	s_and_b64 s[6:7], s[0:1], vcc
	; wave barrier
	s_and_saveexec_b64 s[0:1], s[6:7]
	s_cbranch_execz .LBB797_223
; %bb.222:
	v_bcnt_u32_b32 v0, v8, 0
	v_bcnt_u32_b32 v0, v9, v0
	s_waitcnt lgkmcnt(0)
	v_add_u32_e32 v0, v48, v0
	ds_write_b32 v52, v0 offset:64
.LBB797_223:
	s_or_b64 exec, exec, s[0:1]
	s_waitcnt vmcnt(6)
	v_lshrrev_b32_e32 v0, s64, v18
	v_and_b32_e32 v53, s14, v0
	v_mul_lo_u32 v0, v53, s4
	v_add_u32_e32 v55, v36, v0
	v_and_b32_e32 v0, 1, v53
	v_lshl_add_u64 v[8:9], v[0:1], 0, -1
	v_cmp_ne_u32_e32 vcc, 0, v0
	; wave barrier
	s_nop 1
	v_xor_b32_e32 v8, vcc_lo, v8
	v_xor_b32_e32 v0, vcc_hi, v9
	v_and_b32_e32 v54, exec_lo, v8
	v_lshlrev_b32_e32 v9, 30, v53
	v_mov_b32_e32 v8, v1
	v_cmp_gt_i64_e32 vcc, 0, v[8:9]
	v_not_b32_e32 v8, v9
	v_ashrrev_i32_e32 v8, 31, v8
	v_and_b32_e32 v0, exec_hi, v0
	v_xor_b32_e32 v9, vcc_hi, v8
	v_xor_b32_e32 v8, vcc_lo, v8
	v_and_b32_e32 v0, v0, v9
	v_and_b32_e32 v54, v54, v8
	v_lshlrev_b32_e32 v9, 29, v53
	v_mov_b32_e32 v8, v1
	v_cmp_gt_i64_e32 vcc, 0, v[8:9]
	v_not_b32_e32 v8, v9
	v_ashrrev_i32_e32 v8, 31, v8
	v_xor_b32_e32 v9, vcc_hi, v8
	v_xor_b32_e32 v8, vcc_lo, v8
	v_and_b32_e32 v0, v0, v9
	v_and_b32_e32 v54, v54, v8
	v_lshlrev_b32_e32 v9, 28, v53
	v_mov_b32_e32 v8, v1
	v_cmp_gt_i64_e32 vcc, 0, v[8:9]
	v_not_b32_e32 v8, v9
	v_ashrrev_i32_e32 v8, 31, v8
	;; [unrolled: 9-line block ×5, first 2 shown]
	v_xor_b32_e32 v9, vcc_hi, v8
	v_xor_b32_e32 v8, vcc_lo, v8
	v_and_b32_e32 v0, v0, v9
	v_lshlrev_b32_e32 v9, 24, v53
	v_and_b32_e32 v54, v54, v8
	v_mov_b32_e32 v8, v1
	v_not_b32_e32 v1, v9
	v_cmp_gt_i64_e32 vcc, 0, v[8:9]
	v_ashrrev_i32_e32 v1, 31, v1
	ds_read_b32 v51, v55 offset:64
	v_xor_b32_e32 v8, vcc_hi, v1
	v_xor_b32_e32 v9, vcc_lo, v1
	v_and_b32_e32 v1, v0, v8
	v_and_b32_e32 v0, v54, v9
	v_mbcnt_lo_u32_b32 v8, v0, 0
	v_mbcnt_hi_u32_b32 v53, v1, v8
	v_cmp_eq_u32_e32 vcc, 0, v53
	v_cmp_ne_u64_e64 s[0:1], 0, v[0:1]
	s_and_b64 s[4:5], s[0:1], vcc
	; wave barrier
	s_and_saveexec_b64 s[0:1], s[4:5]
	s_cbranch_execz .LBB797_225
; %bb.224:
	v_bcnt_u32_b32 v0, v0, 0
	v_bcnt_u32_b32 v0, v1, v0
	s_waitcnt lgkmcnt(0)
	v_add_u32_e32 v0, v51, v0
	ds_write_b32 v55, v0 offset:64
.LBB797_225:
	s_or_b64 exec, exec, s[0:1]
	s_waitcnt vmcnt(5)
	v_lshrrev_b32_e32 v0, s64, v19
	v_and_b32_e32 v56, s14, v0
	s_movk_i32 s4, 0x44
	v_mul_lo_u32 v0, v56, s4
	v_add_u32_e32 v58, v36, v0
	v_and_b32_e32 v0, 1, v56
	v_mov_b32_e32 v1, 0
	v_lshl_add_u64 v[8:9], v[0:1], 0, -1
	v_cmp_ne_u32_e32 vcc, 0, v0
	; wave barrier
	s_nop 1
	v_xor_b32_e32 v8, vcc_lo, v8
	v_xor_b32_e32 v0, vcc_hi, v9
	v_and_b32_e32 v57, exec_lo, v8
	v_lshlrev_b32_e32 v9, 30, v56
	v_mov_b32_e32 v8, v1
	v_cmp_gt_i64_e32 vcc, 0, v[8:9]
	v_not_b32_e32 v8, v9
	v_ashrrev_i32_e32 v8, 31, v8
	v_and_b32_e32 v0, exec_hi, v0
	v_xor_b32_e32 v9, vcc_hi, v8
	v_xor_b32_e32 v8, vcc_lo, v8
	v_and_b32_e32 v0, v0, v9
	v_and_b32_e32 v57, v57, v8
	v_lshlrev_b32_e32 v9, 29, v56
	v_mov_b32_e32 v8, v1
	v_cmp_gt_i64_e32 vcc, 0, v[8:9]
	v_not_b32_e32 v8, v9
	v_ashrrev_i32_e32 v8, 31, v8
	v_xor_b32_e32 v9, vcc_hi, v8
	v_xor_b32_e32 v8, vcc_lo, v8
	v_and_b32_e32 v0, v0, v9
	v_and_b32_e32 v57, v57, v8
	v_lshlrev_b32_e32 v9, 28, v56
	v_mov_b32_e32 v8, v1
	v_cmp_gt_i64_e32 vcc, 0, v[8:9]
	v_not_b32_e32 v8, v9
	v_ashrrev_i32_e32 v8, 31, v8
	;; [unrolled: 9-line block ×6, first 2 shown]
	v_xor_b32_e32 v9, vcc_hi, v8
	v_xor_b32_e32 v8, vcc_lo, v8
	ds_read_b32 v54, v58 offset:64
	v_and_b32_e32 v8, v57, v8
	v_and_b32_e32 v9, v0, v9
	v_mbcnt_lo_u32_b32 v0, v8, 0
	v_mbcnt_hi_u32_b32 v56, v9, v0
	v_cmp_eq_u32_e32 vcc, 0, v56
	v_cmp_ne_u64_e64 s[0:1], 0, v[8:9]
	s_and_b64 s[6:7], s[0:1], vcc
	; wave barrier
	s_and_saveexec_b64 s[0:1], s[6:7]
	s_cbranch_execz .LBB797_227
; %bb.226:
	v_bcnt_u32_b32 v0, v8, 0
	v_bcnt_u32_b32 v0, v9, v0
	s_waitcnt lgkmcnt(0)
	v_add_u32_e32 v0, v54, v0
	ds_write_b32 v58, v0 offset:64
.LBB797_227:
	s_or_b64 exec, exec, s[0:1]
	s_waitcnt vmcnt(4)
	v_lshrrev_b32_e32 v0, s64, v20
	v_and_b32_e32 v59, s14, v0
	v_mul_lo_u32 v0, v59, s4
	v_add_u32_e32 v61, v36, v0
	v_and_b32_e32 v0, 1, v59
	v_lshl_add_u64 v[8:9], v[0:1], 0, -1
	v_cmp_ne_u32_e32 vcc, 0, v0
	; wave barrier
	s_nop 1
	v_xor_b32_e32 v8, vcc_lo, v8
	v_xor_b32_e32 v0, vcc_hi, v9
	v_and_b32_e32 v60, exec_lo, v8
	v_lshlrev_b32_e32 v9, 30, v59
	v_mov_b32_e32 v8, v1
	v_cmp_gt_i64_e32 vcc, 0, v[8:9]
	v_not_b32_e32 v8, v9
	v_ashrrev_i32_e32 v8, 31, v8
	v_and_b32_e32 v0, exec_hi, v0
	v_xor_b32_e32 v9, vcc_hi, v8
	v_xor_b32_e32 v8, vcc_lo, v8
	v_and_b32_e32 v0, v0, v9
	v_and_b32_e32 v60, v60, v8
	v_lshlrev_b32_e32 v9, 29, v59
	v_mov_b32_e32 v8, v1
	v_cmp_gt_i64_e32 vcc, 0, v[8:9]
	v_not_b32_e32 v8, v9
	v_ashrrev_i32_e32 v8, 31, v8
	v_xor_b32_e32 v9, vcc_hi, v8
	v_xor_b32_e32 v8, vcc_lo, v8
	v_and_b32_e32 v0, v0, v9
	v_and_b32_e32 v60, v60, v8
	v_lshlrev_b32_e32 v9, 28, v59
	v_mov_b32_e32 v8, v1
	v_cmp_gt_i64_e32 vcc, 0, v[8:9]
	v_not_b32_e32 v8, v9
	v_ashrrev_i32_e32 v8, 31, v8
	;; [unrolled: 9-line block ×5, first 2 shown]
	v_xor_b32_e32 v9, vcc_hi, v8
	v_xor_b32_e32 v8, vcc_lo, v8
	v_and_b32_e32 v0, v0, v9
	v_lshlrev_b32_e32 v9, 24, v59
	v_and_b32_e32 v60, v60, v8
	v_mov_b32_e32 v8, v1
	v_not_b32_e32 v1, v9
	v_cmp_gt_i64_e32 vcc, 0, v[8:9]
	v_ashrrev_i32_e32 v1, 31, v1
	ds_read_b32 v57, v61 offset:64
	v_xor_b32_e32 v8, vcc_hi, v1
	v_xor_b32_e32 v9, vcc_lo, v1
	v_and_b32_e32 v1, v0, v8
	v_and_b32_e32 v0, v60, v9
	v_mbcnt_lo_u32_b32 v8, v0, 0
	v_mbcnt_hi_u32_b32 v59, v1, v8
	v_cmp_eq_u32_e32 vcc, 0, v59
	v_cmp_ne_u64_e64 s[0:1], 0, v[0:1]
	s_and_b64 s[4:5], s[0:1], vcc
	; wave barrier
	s_and_saveexec_b64 s[0:1], s[4:5]
	s_cbranch_execz .LBB797_229
; %bb.228:
	v_bcnt_u32_b32 v0, v0, 0
	v_bcnt_u32_b32 v0, v1, v0
	s_waitcnt lgkmcnt(0)
	v_add_u32_e32 v0, v57, v0
	ds_write_b32 v61, v0 offset:64
.LBB797_229:
	s_or_b64 exec, exec, s[0:1]
	s_waitcnt vmcnt(3)
	v_lshrrev_b32_e32 v0, s64, v21
	v_and_b32_e32 v62, s14, v0
	s_movk_i32 s4, 0x44
	v_mul_lo_u32 v0, v62, s4
	v_add_u32_e32 v64, v36, v0
	v_and_b32_e32 v0, 1, v62
	v_mov_b32_e32 v1, 0
	v_lshl_add_u64 v[8:9], v[0:1], 0, -1
	v_cmp_ne_u32_e32 vcc, 0, v0
	; wave barrier
	s_nop 1
	v_xor_b32_e32 v8, vcc_lo, v8
	v_xor_b32_e32 v0, vcc_hi, v9
	v_and_b32_e32 v63, exec_lo, v8
	v_lshlrev_b32_e32 v9, 30, v62
	v_mov_b32_e32 v8, v1
	v_cmp_gt_i64_e32 vcc, 0, v[8:9]
	v_not_b32_e32 v8, v9
	v_ashrrev_i32_e32 v8, 31, v8
	v_and_b32_e32 v0, exec_hi, v0
	v_xor_b32_e32 v9, vcc_hi, v8
	v_xor_b32_e32 v8, vcc_lo, v8
	v_and_b32_e32 v0, v0, v9
	v_and_b32_e32 v63, v63, v8
	v_lshlrev_b32_e32 v9, 29, v62
	v_mov_b32_e32 v8, v1
	v_cmp_gt_i64_e32 vcc, 0, v[8:9]
	v_not_b32_e32 v8, v9
	v_ashrrev_i32_e32 v8, 31, v8
	v_xor_b32_e32 v9, vcc_hi, v8
	v_xor_b32_e32 v8, vcc_lo, v8
	v_and_b32_e32 v0, v0, v9
	v_and_b32_e32 v63, v63, v8
	v_lshlrev_b32_e32 v9, 28, v62
	v_mov_b32_e32 v8, v1
	v_cmp_gt_i64_e32 vcc, 0, v[8:9]
	v_not_b32_e32 v8, v9
	v_ashrrev_i32_e32 v8, 31, v8
	;; [unrolled: 9-line block ×6, first 2 shown]
	v_xor_b32_e32 v9, vcc_hi, v8
	v_xor_b32_e32 v8, vcc_lo, v8
	ds_read_b32 v60, v64 offset:64
	v_and_b32_e32 v8, v63, v8
	v_and_b32_e32 v9, v0, v9
	v_mbcnt_lo_u32_b32 v0, v8, 0
	v_mbcnt_hi_u32_b32 v62, v9, v0
	v_cmp_eq_u32_e32 vcc, 0, v62
	v_cmp_ne_u64_e64 s[0:1], 0, v[8:9]
	s_and_b64 s[6:7], s[0:1], vcc
	; wave barrier
	s_and_saveexec_b64 s[0:1], s[6:7]
	s_cbranch_execz .LBB797_231
; %bb.230:
	v_bcnt_u32_b32 v0, v8, 0
	v_bcnt_u32_b32 v0, v9, v0
	s_waitcnt lgkmcnt(0)
	v_add_u32_e32 v0, v60, v0
	ds_write_b32 v64, v0 offset:64
.LBB797_231:
	s_or_b64 exec, exec, s[0:1]
	s_waitcnt vmcnt(2)
	v_lshrrev_b32_e32 v0, s64, v22
	v_and_b32_e32 v65, s14, v0
	v_mul_lo_u32 v0, v65, s4
	v_add_u32_e32 v67, v36, v0
	v_and_b32_e32 v0, 1, v65
	v_lshl_add_u64 v[8:9], v[0:1], 0, -1
	v_cmp_ne_u32_e32 vcc, 0, v0
	; wave barrier
	s_nop 1
	v_xor_b32_e32 v8, vcc_lo, v8
	v_xor_b32_e32 v0, vcc_hi, v9
	v_and_b32_e32 v66, exec_lo, v8
	v_lshlrev_b32_e32 v9, 30, v65
	v_mov_b32_e32 v8, v1
	v_cmp_gt_i64_e32 vcc, 0, v[8:9]
	v_not_b32_e32 v8, v9
	v_ashrrev_i32_e32 v8, 31, v8
	v_and_b32_e32 v0, exec_hi, v0
	v_xor_b32_e32 v9, vcc_hi, v8
	v_xor_b32_e32 v8, vcc_lo, v8
	v_and_b32_e32 v0, v0, v9
	v_and_b32_e32 v66, v66, v8
	v_lshlrev_b32_e32 v9, 29, v65
	v_mov_b32_e32 v8, v1
	v_cmp_gt_i64_e32 vcc, 0, v[8:9]
	v_not_b32_e32 v8, v9
	v_ashrrev_i32_e32 v8, 31, v8
	v_xor_b32_e32 v9, vcc_hi, v8
	v_xor_b32_e32 v8, vcc_lo, v8
	v_and_b32_e32 v0, v0, v9
	v_and_b32_e32 v66, v66, v8
	v_lshlrev_b32_e32 v9, 28, v65
	v_mov_b32_e32 v8, v1
	v_cmp_gt_i64_e32 vcc, 0, v[8:9]
	v_not_b32_e32 v8, v9
	v_ashrrev_i32_e32 v8, 31, v8
	;; [unrolled: 9-line block ×5, first 2 shown]
	v_xor_b32_e32 v9, vcc_hi, v8
	v_xor_b32_e32 v8, vcc_lo, v8
	v_and_b32_e32 v0, v0, v9
	v_lshlrev_b32_e32 v9, 24, v65
	v_and_b32_e32 v66, v66, v8
	v_mov_b32_e32 v8, v1
	v_not_b32_e32 v1, v9
	v_cmp_gt_i64_e32 vcc, 0, v[8:9]
	v_ashrrev_i32_e32 v1, 31, v1
	ds_read_b32 v63, v67 offset:64
	v_xor_b32_e32 v8, vcc_hi, v1
	v_xor_b32_e32 v9, vcc_lo, v1
	v_and_b32_e32 v1, v0, v8
	v_and_b32_e32 v0, v66, v9
	v_mbcnt_lo_u32_b32 v8, v0, 0
	v_mbcnt_hi_u32_b32 v65, v1, v8
	v_cmp_eq_u32_e32 vcc, 0, v65
	v_cmp_ne_u64_e64 s[0:1], 0, v[0:1]
	s_and_b64 s[4:5], s[0:1], vcc
	; wave barrier
	s_and_saveexec_b64 s[0:1], s[4:5]
	s_cbranch_execz .LBB797_233
; %bb.232:
	v_bcnt_u32_b32 v0, v0, 0
	v_bcnt_u32_b32 v0, v1, v0
	s_waitcnt lgkmcnt(0)
	v_add_u32_e32 v0, v63, v0
	ds_write_b32 v67, v0 offset:64
.LBB797_233:
	s_or_b64 exec, exec, s[0:1]
	s_waitcnt vmcnt(1)
	v_lshrrev_b32_e32 v0, s64, v23
	v_and_b32_e32 v68, s14, v0
	s_movk_i32 s4, 0x44
	v_mul_lo_u32 v0, v68, s4
	v_add_u32_e32 v70, v36, v0
	v_and_b32_e32 v0, 1, v68
	v_mov_b32_e32 v1, 0
	v_lshl_add_u64 v[8:9], v[0:1], 0, -1
	v_cmp_ne_u32_e32 vcc, 0, v0
	; wave barrier
	s_nop 1
	v_xor_b32_e32 v8, vcc_lo, v8
	v_xor_b32_e32 v0, vcc_hi, v9
	v_and_b32_e32 v69, exec_lo, v8
	v_lshlrev_b32_e32 v9, 30, v68
	v_mov_b32_e32 v8, v1
	v_cmp_gt_i64_e32 vcc, 0, v[8:9]
	v_not_b32_e32 v8, v9
	v_ashrrev_i32_e32 v8, 31, v8
	v_and_b32_e32 v0, exec_hi, v0
	v_xor_b32_e32 v9, vcc_hi, v8
	v_xor_b32_e32 v8, vcc_lo, v8
	v_and_b32_e32 v0, v0, v9
	v_and_b32_e32 v69, v69, v8
	v_lshlrev_b32_e32 v9, 29, v68
	v_mov_b32_e32 v8, v1
	v_cmp_gt_i64_e32 vcc, 0, v[8:9]
	v_not_b32_e32 v8, v9
	v_ashrrev_i32_e32 v8, 31, v8
	v_xor_b32_e32 v9, vcc_hi, v8
	v_xor_b32_e32 v8, vcc_lo, v8
	v_and_b32_e32 v0, v0, v9
	v_and_b32_e32 v69, v69, v8
	v_lshlrev_b32_e32 v9, 28, v68
	v_mov_b32_e32 v8, v1
	v_cmp_gt_i64_e32 vcc, 0, v[8:9]
	v_not_b32_e32 v8, v9
	v_ashrrev_i32_e32 v8, 31, v8
	;; [unrolled: 9-line block ×6, first 2 shown]
	v_xor_b32_e32 v9, vcc_hi, v8
	v_xor_b32_e32 v8, vcc_lo, v8
	ds_read_b32 v66, v70 offset:64
	v_and_b32_e32 v8, v69, v8
	v_and_b32_e32 v9, v0, v9
	v_mbcnt_lo_u32_b32 v0, v8, 0
	v_mbcnt_hi_u32_b32 v68, v9, v0
	v_cmp_eq_u32_e32 vcc, 0, v68
	v_cmp_ne_u64_e64 s[0:1], 0, v[8:9]
	s_and_b64 s[6:7], s[0:1], vcc
	; wave barrier
	s_and_saveexec_b64 s[0:1], s[6:7]
	s_cbranch_execz .LBB797_235
; %bb.234:
	v_bcnt_u32_b32 v0, v8, 0
	v_bcnt_u32_b32 v0, v9, v0
	s_waitcnt lgkmcnt(0)
	v_add_u32_e32 v0, v66, v0
	ds_write_b32 v70, v0 offset:64
.LBB797_235:
	s_or_b64 exec, exec, s[0:1]
	s_waitcnt vmcnt(0)
	v_lshrrev_b32_e32 v0, s64, v24
	v_and_b32_e32 v71, s14, v0
	v_mul_lo_u32 v0, v71, s4
	v_add_u32_e32 v72, v36, v0
	v_and_b32_e32 v0, 1, v71
	v_lshl_add_u64 v[8:9], v[0:1], 0, -1
	v_cmp_ne_u32_e32 vcc, 0, v0
	; wave barrier
	s_nop 1
	v_xor_b32_e32 v8, vcc_lo, v8
	v_xor_b32_e32 v0, vcc_hi, v9
	v_and_b32_e32 v36, exec_lo, v8
	v_lshlrev_b32_e32 v9, 30, v71
	v_mov_b32_e32 v8, v1
	v_cmp_gt_i64_e32 vcc, 0, v[8:9]
	v_not_b32_e32 v8, v9
	v_ashrrev_i32_e32 v8, 31, v8
	v_and_b32_e32 v0, exec_hi, v0
	v_xor_b32_e32 v9, vcc_hi, v8
	v_xor_b32_e32 v8, vcc_lo, v8
	v_and_b32_e32 v0, v0, v9
	v_and_b32_e32 v36, v36, v8
	v_lshlrev_b32_e32 v9, 29, v71
	v_mov_b32_e32 v8, v1
	v_cmp_gt_i64_e32 vcc, 0, v[8:9]
	v_not_b32_e32 v8, v9
	v_ashrrev_i32_e32 v8, 31, v8
	v_xor_b32_e32 v9, vcc_hi, v8
	v_xor_b32_e32 v8, vcc_lo, v8
	v_and_b32_e32 v0, v0, v9
	v_and_b32_e32 v36, v36, v8
	v_lshlrev_b32_e32 v9, 28, v71
	v_mov_b32_e32 v8, v1
	v_cmp_gt_i64_e32 vcc, 0, v[8:9]
	v_not_b32_e32 v8, v9
	v_ashrrev_i32_e32 v8, 31, v8
	;; [unrolled: 9-line block ×5, first 2 shown]
	v_xor_b32_e32 v9, vcc_hi, v8
	v_xor_b32_e32 v8, vcc_lo, v8
	v_and_b32_e32 v0, v0, v9
	v_lshlrev_b32_e32 v9, 24, v71
	v_and_b32_e32 v36, v36, v8
	v_mov_b32_e32 v8, v1
	v_not_b32_e32 v1, v9
	v_cmp_gt_i64_e32 vcc, 0, v[8:9]
	v_ashrrev_i32_e32 v1, 31, v1
	ds_read_b32 v69, v72 offset:64
	v_xor_b32_e32 v8, vcc_hi, v1
	v_xor_b32_e32 v9, vcc_lo, v1
	v_and_b32_e32 v1, v0, v8
	v_and_b32_e32 v0, v36, v9
	v_mbcnt_lo_u32_b32 v8, v0, 0
	v_mbcnt_hi_u32_b32 v71, v1, v8
	v_cmp_eq_u32_e32 vcc, 0, v71
	v_cmp_ne_u64_e64 s[0:1], 0, v[0:1]
	s_and_b64 s[4:5], s[0:1], vcc
	; wave barrier
	s_and_saveexec_b64 s[0:1], s[4:5]
	s_cbranch_execz .LBB797_237
; %bb.236:
	v_bcnt_u32_b32 v0, v0, 0
	v_bcnt_u32_b32 v0, v1, v0
	s_waitcnt lgkmcnt(0)
	v_add_u32_e32 v0, v69, v0
	ds_write_b32 v72, v0 offset:64
.LBB797_237:
	s_or_b64 exec, exec, s[0:1]
	; wave barrier
	s_waitcnt lgkmcnt(0)
	s_barrier
	ds_read2_b32 v[8:9], v11 offset0:16 offset1:17
	ds_read2_b32 v[0:1], v11 offset0:18 offset1:19
	ds_read_b32 v36, v11 offset:80
	v_cmp_lt_u32_e64 s[8:9], 31, v10
	s_waitcnt lgkmcnt(1)
	v_add3_u32 v73, v9, v8, v0
	s_waitcnt lgkmcnt(0)
	v_add3_u32 v36, v73, v1, v36
	v_and_b32_e32 v73, 15, v10
	v_cmp_eq_u32_e32 vcc, 0, v73
	v_mov_b32_dpp v74, v36 row_shr:1 row_mask:0xf bank_mask:0xf
	v_cmp_lt_u32_e64 s[0:1], 1, v73
	v_cndmask_b32_e64 v74, v74, 0, vcc
	v_add_u32_e32 v36, v74, v36
	v_cmp_lt_u32_e64 s[6:7], 3, v73
	v_cmp_lt_u32_e64 s[4:5], 7, v73
	v_mov_b32_dpp v74, v36 row_shr:2 row_mask:0xf bank_mask:0xf
	v_cndmask_b32_e64 v74, 0, v74, s[0:1]
	v_add_u32_e32 v36, v36, v74
	s_nop 1
	v_mov_b32_dpp v74, v36 row_shr:4 row_mask:0xf bank_mask:0xf
	v_cndmask_b32_e64 v74, 0, v74, s[6:7]
	v_add_u32_e32 v36, v36, v74
	s_nop 1
	v_mov_b32_dpp v74, v36 row_shr:8 row_mask:0xf bank_mask:0xf
	v_cndmask_b32_e64 v73, 0, v74, s[4:5]
	v_add_u32_e32 v36, v36, v73
	v_bfe_i32 v74, v10, 4, 1
	s_nop 0
	v_mov_b32_dpp v73, v36 row_bcast:15 row_mask:0xf bank_mask:0xf
	v_and_b32_e32 v73, v74, v73
	v_add_u32_e32 v36, v36, v73
	v_lshrrev_b32_e32 v74, 6, v2
	s_nop 0
	v_mov_b32_dpp v73, v36 row_bcast:31 row_mask:0xf bank_mask:0xf
	v_cndmask_b32_e64 v73, 0, v73, s[8:9]
	v_add_u32_e32 v73, v36, v73
	v_and_b32_e32 v36, 63, v2
	v_cmp_eq_u32_e64 s[8:9], 63, v36
	s_and_saveexec_b64 s[12:13], s[8:9]
; %bb.238:
	v_lshlrev_b32_e32 v36, 2, v74
	ds_write_b32 v36, v73
; %bb.239:
	s_or_b64 exec, exec, s[12:13]
	v_cmp_gt_u32_e64 s[8:9], 16, v2
	v_lshlrev_b32_e32 v36, 2, v2
	s_waitcnt lgkmcnt(0)
	s_barrier
	s_and_saveexec_b64 s[12:13], s[8:9]
	s_cbranch_execz .LBB797_241
; %bb.240:
	ds_read_b32 v75, v36
	s_waitcnt lgkmcnt(0)
	s_nop 0
	v_mov_b32_dpp v76, v75 row_shr:1 row_mask:0xf bank_mask:0xf
	v_cndmask_b32_e64 v76, v76, 0, vcc
	v_add_u32_e32 v75, v76, v75
	s_nop 1
	v_mov_b32_dpp v76, v75 row_shr:2 row_mask:0xf bank_mask:0xf
	v_cndmask_b32_e64 v76, 0, v76, s[0:1]
	v_add_u32_e32 v75, v75, v76
	s_nop 1
	v_mov_b32_dpp v76, v75 row_shr:4 row_mask:0xf bank_mask:0xf
	v_cndmask_b32_e64 v76, 0, v76, s[6:7]
	;; [unrolled: 4-line block ×3, first 2 shown]
	v_add_u32_e32 v75, v75, v76
	ds_write_b32 v36, v75
.LBB797_241:
	s_or_b64 exec, exec, s[12:13]
	v_cmp_lt_u32_e32 vcc, 63, v2
	v_mov_b32_e32 v75, 0
	s_waitcnt lgkmcnt(0)
	s_barrier
	s_and_saveexec_b64 s[0:1], vcc
; %bb.242:
	v_lshl_add_u32 v74, v74, 2, -4
	ds_read_b32 v75, v74
; %bb.243:
	s_or_b64 exec, exec, s[0:1]
	v_subrev_co_u32_e32 v74, vcc, 1, v10
	v_and_b32_e32 v76, 64, v10
	v_cmp_lt_i32_e64 s[0:1], v74, v76
	s_waitcnt lgkmcnt(0)
	v_add_u32_e32 v73, v75, v73
	s_movk_i32 s4, 0x100
	v_cndmask_b32_e64 v10, v74, v10, s[0:1]
	v_lshlrev_b32_e32 v10, 2, v10
	ds_bpermute_b32 v10, v10, v73
	s_movk_i32 s0, 0xff
	s_waitcnt lgkmcnt(0)
	v_cndmask_b32_e32 v10, v10, v75, vcc
	v_cmp_ne_u32_e32 vcc, 0, v2
	s_nop 1
	v_cndmask_b32_e32 v10, 0, v10, vcc
	v_add_u32_e32 v8, v10, v8
	v_add_u32_e32 v9, v8, v9
	;; [unrolled: 1-line block ×4, first 2 shown]
	ds_write2_b32 v11, v10, v8 offset0:16 offset1:17
	ds_write2_b32 v11, v9, v0 offset0:18 offset1:19
	ds_write_b32 v11, v1 offset:80
	s_waitcnt lgkmcnt(0)
	s_barrier
	ds_read_b32 v73, v31 offset:64
	ds_read_b32 v74, v34 offset:64
	;; [unrolled: 1-line block ×16, first 2 shown]
	v_cmp_lt_u32_e32 vcc, s0, v2
	v_cmp_gt_u32_e64 s[0:1], s4, v2
                                        ; implicit-def: $vgpr29
                                        ; implicit-def: $vgpr31
	s_and_saveexec_b64 s[6:7], s[0:1]
	s_cbranch_execz .LBB797_247
; %bb.244:
	v_mul_u32_u24_e32 v0, 0x44, v2
	ds_read_b32 v29, v0 offset:64
	v_add_u32_e32 v1, 1, v2
	v_cmp_ne_u32_e64 s[4:5], s4, v1
	v_mov_b32_e32 v0, 0x4000
	s_and_saveexec_b64 s[8:9], s[4:5]
; %bb.245:
	v_mul_u32_u24_e32 v0, 0x44, v1
	ds_read_b32 v0, v0 offset:64
; %bb.246:
	s_or_b64 exec, exec, s[8:9]
	s_waitcnt lgkmcnt(0)
	v_sub_u32_e32 v31, v0, v29
.LBB797_247:
	s_or_b64 exec, exec, s[6:7]
	v_mov_b32_e32 v1, 0
	s_waitcnt lgkmcnt(0)
	s_barrier
	s_and_saveexec_b64 s[4:5], s[0:1]
	s_cbranch_execz .LBB797_257
; %bb.248:
	v_lshl_add_u32 v0, s2, 8, v2
	v_lshl_add_u64 v[8:9], v[0:1], 2, s[50:51]
	v_or_b32_e32 v0, 2.0, v31
	s_mov_b64 s[6:7], 0
	s_brev_b32 s15, -4
	s_mov_b32 s16, s2
	v_mov_b32_e32 v52, 0
	global_store_dword v[8:9], v0, off sc1
                                        ; implicit-def: $sgpr0_sgpr1
	s_branch .LBB797_251
.LBB797_249:                            ;   in Loop: Header=BB797_251 Depth=1
	s_or_b64 exec, exec, s[12:13]
.LBB797_250:                            ;   in Loop: Header=BB797_251 Depth=1
	s_or_b64 exec, exec, s[8:9]
	v_and_b32_e32 v10, 0x3fffffff, v0
	v_add_u32_e32 v52, v10, v52
	v_cmp_gt_i32_e64 s[0:1], -2.0, v0
	s_and_b64 s[8:9], exec, s[0:1]
	s_or_b64 s[6:7], s[8:9], s[6:7]
	s_andn2_b64 exec, exec, s[6:7]
	s_cbranch_execz .LBB797_256
.LBB797_251:                            ; =>This Loop Header: Depth=1
                                        ;     Child Loop BB797_254 Depth 2
	s_or_b64 s[0:1], s[0:1], exec
	s_cmp_eq_u32 s16, 0
	s_cbranch_scc1 .LBB797_255
; %bb.252:                              ;   in Loop: Header=BB797_251 Depth=1
	s_add_i32 s16, s16, -1
	v_lshl_or_b32 v0, s16, 8, v2
	v_lshl_add_u64 v[10:11], v[0:1], 2, s[50:51]
	global_load_dword v0, v[10:11], off sc1
	s_waitcnt vmcnt(0)
	v_cmp_gt_u32_e64 s[0:1], 2.0, v0
	s_and_saveexec_b64 s[8:9], s[0:1]
	s_cbranch_execz .LBB797_250
; %bb.253:                              ;   in Loop: Header=BB797_251 Depth=1
	s_mov_b64 s[12:13], 0
.LBB797_254:                            ;   Parent Loop BB797_251 Depth=1
                                        ; =>  This Inner Loop Header: Depth=2
	global_load_dword v0, v[10:11], off sc1
	s_waitcnt vmcnt(0)
	v_cmp_lt_u32_e64 s[0:1], s15, v0
	s_or_b64 s[12:13], s[0:1], s[12:13]
	s_andn2_b64 exec, exec, s[12:13]
	s_cbranch_execnz .LBB797_254
	s_branch .LBB797_249
.LBB797_255:                            ;   in Loop: Header=BB797_251 Depth=1
                                        ; implicit-def: $sgpr16
	s_and_b64 s[8:9], exec, s[0:1]
	s_or_b64 s[6:7], s[8:9], s[6:7]
	s_andn2_b64 exec, exec, s[6:7]
	s_cbranch_execnz .LBB797_251
.LBB797_256:
	s_or_b64 exec, exec, s[6:7]
	v_add_u32_e32 v0, v52, v31
	v_or_b32_e32 v0, 0x80000000, v0
	global_store_dword v[8:9], v0, off sc1
	global_load_dword v0, v36, s[60:61]
	v_sub_u32_e32 v1, v52, v29
	s_waitcnt vmcnt(0)
	v_add_u32_e32 v0, v1, v0
	ds_write_b32 v36, v0
.LBB797_257:
	s_or_b64 exec, exec, s[4:5]
	v_add_u32_e32 v8, v47, v26
	v_add3_u32 v0, v27, v25, v73
	v_add3_u32 v1, v30, v28, v74
	;; [unrolled: 1-line block ×15, first 2 shown]
	v_mov_b32_e32 v85, 0x400
	s_mov_b32 s6, s64
	s_mov_b32 s7, s14
	s_movk_i32 s8, 0x400
	v_lshl_add_u32 v9, v9, 2, v85
	v_add3_u32 v10, v71, v41, v69
	v_lshl_add_u32 v11, v11, 2, v85
	v_add3_u32 v26, v68, v34, v66
	;; [unrolled: 2-line block ×15, first 2 shown]
	v_lshl_add_u32 v27, v8, 2, v85
	s_mov_b32 s9, 0
	s_mov_b32 s12, 0
	s_movk_i32 s13, 0x1000
	v_mov_b32_e32 v1, 0
	s_movk_i32 s15, 0x800
	s_movk_i32 s16, 0xc00
	v_mov_b32_e32 v56, v2
	s_mov_b32 s17, 0
	s_branch .LBB797_259
.LBB797_258:                            ;   in Loop: Header=BB797_259 Depth=1
	s_or_b64 exec, exec, s[4:5]
	s_waitcnt lgkmcnt(0)
	s_barrier
	ds_read2st64_b32 v[62:63], v36 offset0:4 offset1:20
	ds_read2st64_b32 v[64:65], v36 offset0:36 offset1:52
	s_addk_i32 s17, 0xc000
	s_addk_i32 s12, 0xf000
	s_waitcnt lgkmcnt(1)
	v_lshrrev_b32_e32 v57, s64, v62
	v_lshrrev_b32_e32 v0, s6, v63
	v_and_b32_e32 v58, s14, v57
	v_and_b32_e32 v59, s7, v0
	v_lshlrev_b32_e32 v0, 2, v58
	ds_read_b32 v0, v0
	s_waitcnt lgkmcnt(1)
	v_lshrrev_b32_e32 v60, s6, v65
	v_lshrrev_b32_e32 v66, s64, v64
	v_lshlrev_b32_e32 v57, 2, v59
	v_and_b32_e32 v61, s7, v60
	v_and_b32_e32 v60, s14, v66
	v_lshlrev_b32_e32 v66, 2, v60
	v_lshlrev_b32_e32 v67, 2, v61
	ds_read_b32 v57, v57
	ds_read_b32 v68, v66
	;; [unrolled: 1-line block ×3, first 2 shown]
	s_waitcnt lgkmcnt(3)
	v_add_u32_e32 v0, v56, v0
	v_lshl_add_u64 v[66:67], v[0:1], 2, s[54:55]
	s_waitcnt lgkmcnt(2)
	v_add3_u32 v0, v56, v57, s8
	global_store_dword v[66:67], v62, off
	v_lshl_add_u64 v[66:67], v[0:1], 2, s[54:55]
	s_waitcnt lgkmcnt(1)
	v_add3_u32 v0, v56, v68, s15
	global_store_dword v[66:67], v63, off
	v_lshl_add_u64 v[62:63], v[0:1], 2, s[54:55]
	s_waitcnt lgkmcnt(0)
	v_add3_u32 v0, v56, v69, s16
	global_store_dword v[62:63], v64, off
	v_lshl_add_u64 v[62:63], v[0:1], 2, s[54:55]
	global_store_dword v[62:63], v65, off
	scratch_store_dwordx4 off, v[58:61], s9
	s_add_i32 s9, s9, 16
	s_cmp_eq_u32 s17, 0xffff0000
	v_add_u32_e32 v56, 0x1000, v56
	s_barrier
	s_cbranch_scc1 .LBB797_291
.LBB797_259:                            ; =>This Inner Loop Header: Depth=1
	v_add_u32_e32 v0, s12, v8
	v_cmp_gt_u32_e64 s[0:1], s13, v0
	s_and_saveexec_b64 s[4:5], s[0:1]
; %bb.260:                              ;   in Loop: Header=BB797_259 Depth=1
	v_add_u32_e32 v0, s17, v27
	ds_write_b32 v0, v3
; %bb.261:                              ;   in Loop: Header=BB797_259 Depth=1
	s_or_b64 exec, exec, s[4:5]
	v_add_u32_e32 v0, s12, v25
	v_cmp_gt_u32_e64 s[0:1], s13, v0
	s_and_saveexec_b64 s[4:5], s[0:1]
; %bb.262:                              ;   in Loop: Header=BB797_259 Depth=1
	v_add_u32_e32 v0, s17, v30
	ds_write_b32 v0, v5
; %bb.263:                              ;   in Loop: Header=BB797_259 Depth=1
	s_or_b64 exec, exec, s[4:5]
	;; [unrolled: 8-line block ×15, first 2 shown]
	v_add_u32_e32 v0, s12, v10
	v_cmp_gt_u32_e64 s[0:1], s13, v0
	s_and_saveexec_b64 s[4:5], s[0:1]
	s_cbranch_execz .LBB797_258
; %bb.290:                              ;   in Loop: Header=BB797_259 Depth=1
	v_add_u32_e32 v0, s17, v9
	ds_write_b32 v0, v24
	s_branch .LBB797_258
.LBB797_291:
	s_add_u32 s0, s56, s10
	s_addc_u32 s1, s57, s11
	v_mov_b32_e32 v5, 0
	v_lshl_add_u64 v[0:1], s[0:1], 0, v[4:5]
	v_mov_b32_e32 v7, v5
	v_lshl_add_u64 v[22:23], v[0:1], 0, v[6:7]
	global_load_dword v0, v[22:23], off
	global_load_dword v1, v[22:23], off offset:256
	global_load_dword v3, v[22:23], off offset:512
	global_load_dword v6, v[22:23], off offset:768
	global_load_dword v7, v[22:23], off offset:1024
	global_load_dword v12, v[22:23], off offset:1280
	global_load_dword v13, v[22:23], off offset:1536
	global_load_dword v14, v[22:23], off offset:1792
	global_load_dword v15, v[22:23], off offset:2048
	global_load_dword v16, v[22:23], off offset:2304
	global_load_dword v17, v[22:23], off offset:2560
	global_load_dword v18, v[22:23], off offset:2816
	global_load_dword v19, v[22:23], off offset:3072
	global_load_dword v20, v[22:23], off offset:3328
	global_load_dword v21, v[22:23], off offset:3584
	s_nop 0
	global_load_dword v22, v[22:23], off offset:3840
	s_mov_b32 s6, 0
	s_mov_b32 s7, 0
	s_movk_i32 s8, 0x1000
	s_movk_i32 s9, 0x400
	;; [unrolled: 1-line block ×4, first 2 shown]
	s_mov_b32 s12, 0
	s_branch .LBB797_293
.LBB797_292:                            ;   in Loop: Header=BB797_293 Depth=1
	s_or_b64 exec, exec, s[4:5]
	s_waitcnt lgkmcnt(0)
	s_barrier
	scratch_load_dwordx4 v[56:59], off, s6
	ds_read2st64_b32 v[60:61], v36 offset0:4 offset1:20
	ds_read2st64_b32 v[62:63], v36 offset0:36 offset1:52
	s_addk_i32 s12, 0xc000
	s_addk_i32 s7, 0xf000
	s_add_i32 s6, s6, 16
	s_cmp_eq_u32 s12, 0xffff0000
	s_waitcnt vmcnt(0)
	v_lshlrev_b32_e32 v4, 2, v56
	ds_read_b32 v4, v4
	v_lshlrev_b32_e32 v23, 2, v57
	v_lshlrev_b32_e32 v24, 2, v58
	;; [unrolled: 1-line block ×3, first 2 shown]
	ds_read_b32 v23, v23
	ds_read_b32 v24, v24
	;; [unrolled: 1-line block ×3, first 2 shown]
	s_waitcnt lgkmcnt(3)
	v_add_u32_e32 v4, v2, v4
	v_lshl_add_u64 v[56:57], v[4:5], 2, s[58:59]
	s_waitcnt lgkmcnt(2)
	v_add3_u32 v4, v2, v23, s9
	global_store_dword v[56:57], v60, off
	v_lshl_add_u64 v[56:57], v[4:5], 2, s[58:59]
	s_waitcnt lgkmcnt(1)
	v_add3_u32 v4, v2, v24, s10
	global_store_dword v[56:57], v61, off
	;; [unrolled: 4-line block ×3, first 2 shown]
	v_lshl_add_u64 v[56:57], v[4:5], 2, s[58:59]
	v_add_u32_e32 v2, 0x1000, v2
	global_store_dword v[56:57], v63, off
	s_barrier
	s_cbranch_scc1 .LBB797_325
.LBB797_293:                            ; =>This Inner Loop Header: Depth=1
	v_add_u32_e32 v4, s7, v8
	v_cmp_gt_u32_e64 s[0:1], s8, v4
	s_and_saveexec_b64 s[4:5], s[0:1]
	s_cbranch_execz .LBB797_295
; %bb.294:                              ;   in Loop: Header=BB797_293 Depth=1
	v_add_u32_e32 v4, s12, v27
	s_waitcnt vmcnt(15)
	ds_write_b32 v4, v0
.LBB797_295:                            ;   in Loop: Header=BB797_293 Depth=1
	s_or_b64 exec, exec, s[4:5]
	v_add_u32_e32 v4, s7, v25
	v_cmp_gt_u32_e64 s[0:1], s8, v4
	s_and_saveexec_b64 s[4:5], s[0:1]
	s_cbranch_execz .LBB797_297
; %bb.296:                              ;   in Loop: Header=BB797_293 Depth=1
	v_add_u32_e32 v4, s12, v30
	s_waitcnt vmcnt(14)
	ds_write_b32 v4, v1
.LBB797_297:                            ;   in Loop: Header=BB797_293 Depth=1
	s_or_b64 exec, exec, s[4:5]
	;; [unrolled: 10-line block ×15, first 2 shown]
	v_add_u32_e32 v4, s7, v10
	v_cmp_gt_u32_e64 s[0:1], s8, v4
	s_and_saveexec_b64 s[4:5], s[0:1]
	s_cbranch_execz .LBB797_292
; %bb.324:                              ;   in Loop: Header=BB797_293 Depth=1
	v_add_u32_e32 v4, s12, v9
	s_waitcnt vmcnt(0)
	ds_write_b32 v4, v22
	s_branch .LBB797_292
.LBB797_325:
	s_add_i32 s3, s3, -1
	s_cmp_eq_u32 s2, s3
	s_cselect_b64 s[0:1], -1, 0
	s_xor_b64 s[2:3], vcc, -1
	s_and_b64 s[0:1], s[2:3], s[0:1]
	s_and_saveexec_b64 s[2:3], s[0:1]
	s_cbranch_execz .LBB797_327
; %bb.326:
	ds_read_b32 v0, v36
	s_waitcnt lgkmcnt(0)
	v_add3_u32 v0, v29, v31, v0
	global_store_dword v36, v0, s[62:63]
.LBB797_327:
	s_endpgm
	.section	.rodata,"a",@progbits
	.p2align	6, 0x0
	.amdhsa_kernel _ZN7rocprim17ROCPRIM_400000_NS6detail17trampoline_kernelINS0_14default_configENS1_35radix_sort_onesweep_config_selectorIjjEEZZNS1_29radix_sort_onesweep_iterationIS3_Lb0EN6thrust23THRUST_200600_302600_NS6detail15normal_iteratorINS8_10device_ptrIjEEEESD_SD_SD_jNS0_19identity_decomposerENS1_16block_id_wrapperIjLb0EEEEE10hipError_tT1_PNSt15iterator_traitsISI_E10value_typeET2_T3_PNSJ_ISO_E10value_typeET4_T5_PST_SU_PNS1_23onesweep_lookback_stateEbbT6_jjT7_P12ihipStream_tbENKUlT_T0_SI_SN_E_clIPjSD_S15_SD_EEDaS11_S12_SI_SN_EUlS11_E_NS1_11comp_targetILNS1_3genE6ELNS1_11target_archE950ELNS1_3gpuE13ELNS1_3repE0EEENS1_47radix_sort_onesweep_sort_config_static_selectorELNS0_4arch9wavefront6targetE1EEEvSI_
		.amdhsa_group_segment_fixed_size 20552
		.amdhsa_private_segment_fixed_size 80
		.amdhsa_kernarg_size 344
		.amdhsa_user_sgpr_count 2
		.amdhsa_user_sgpr_dispatch_ptr 0
		.amdhsa_user_sgpr_queue_ptr 0
		.amdhsa_user_sgpr_kernarg_segment_ptr 1
		.amdhsa_user_sgpr_dispatch_id 0
		.amdhsa_user_sgpr_kernarg_preload_length 0
		.amdhsa_user_sgpr_kernarg_preload_offset 0
		.amdhsa_user_sgpr_private_segment_size 0
		.amdhsa_uses_dynamic_stack 0
		.amdhsa_enable_private_segment 1
		.amdhsa_system_sgpr_workgroup_id_x 1
		.amdhsa_system_sgpr_workgroup_id_y 0
		.amdhsa_system_sgpr_workgroup_id_z 0
		.amdhsa_system_sgpr_workgroup_info 0
		.amdhsa_system_vgpr_workitem_id 2
		.amdhsa_next_free_vgpr 88
		.amdhsa_next_free_sgpr 70
		.amdhsa_accum_offset 88
		.amdhsa_reserve_vcc 1
		.amdhsa_float_round_mode_32 0
		.amdhsa_float_round_mode_16_64 0
		.amdhsa_float_denorm_mode_32 3
		.amdhsa_float_denorm_mode_16_64 3
		.amdhsa_dx10_clamp 1
		.amdhsa_ieee_mode 1
		.amdhsa_fp16_overflow 0
		.amdhsa_tg_split 0
		.amdhsa_exception_fp_ieee_invalid_op 0
		.amdhsa_exception_fp_denorm_src 0
		.amdhsa_exception_fp_ieee_div_zero 0
		.amdhsa_exception_fp_ieee_overflow 0
		.amdhsa_exception_fp_ieee_underflow 0
		.amdhsa_exception_fp_ieee_inexact 0
		.amdhsa_exception_int_div_zero 0
	.end_amdhsa_kernel
	.section	.text._ZN7rocprim17ROCPRIM_400000_NS6detail17trampoline_kernelINS0_14default_configENS1_35radix_sort_onesweep_config_selectorIjjEEZZNS1_29radix_sort_onesweep_iterationIS3_Lb0EN6thrust23THRUST_200600_302600_NS6detail15normal_iteratorINS8_10device_ptrIjEEEESD_SD_SD_jNS0_19identity_decomposerENS1_16block_id_wrapperIjLb0EEEEE10hipError_tT1_PNSt15iterator_traitsISI_E10value_typeET2_T3_PNSJ_ISO_E10value_typeET4_T5_PST_SU_PNS1_23onesweep_lookback_stateEbbT6_jjT7_P12ihipStream_tbENKUlT_T0_SI_SN_E_clIPjSD_S15_SD_EEDaS11_S12_SI_SN_EUlS11_E_NS1_11comp_targetILNS1_3genE6ELNS1_11target_archE950ELNS1_3gpuE13ELNS1_3repE0EEENS1_47radix_sort_onesweep_sort_config_static_selectorELNS0_4arch9wavefront6targetE1EEEvSI_,"axG",@progbits,_ZN7rocprim17ROCPRIM_400000_NS6detail17trampoline_kernelINS0_14default_configENS1_35radix_sort_onesweep_config_selectorIjjEEZZNS1_29radix_sort_onesweep_iterationIS3_Lb0EN6thrust23THRUST_200600_302600_NS6detail15normal_iteratorINS8_10device_ptrIjEEEESD_SD_SD_jNS0_19identity_decomposerENS1_16block_id_wrapperIjLb0EEEEE10hipError_tT1_PNSt15iterator_traitsISI_E10value_typeET2_T3_PNSJ_ISO_E10value_typeET4_T5_PST_SU_PNS1_23onesweep_lookback_stateEbbT6_jjT7_P12ihipStream_tbENKUlT_T0_SI_SN_E_clIPjSD_S15_SD_EEDaS11_S12_SI_SN_EUlS11_E_NS1_11comp_targetILNS1_3genE6ELNS1_11target_archE950ELNS1_3gpuE13ELNS1_3repE0EEENS1_47radix_sort_onesweep_sort_config_static_selectorELNS0_4arch9wavefront6targetE1EEEvSI_,comdat
.Lfunc_end797:
	.size	_ZN7rocprim17ROCPRIM_400000_NS6detail17trampoline_kernelINS0_14default_configENS1_35radix_sort_onesweep_config_selectorIjjEEZZNS1_29radix_sort_onesweep_iterationIS3_Lb0EN6thrust23THRUST_200600_302600_NS6detail15normal_iteratorINS8_10device_ptrIjEEEESD_SD_SD_jNS0_19identity_decomposerENS1_16block_id_wrapperIjLb0EEEEE10hipError_tT1_PNSt15iterator_traitsISI_E10value_typeET2_T3_PNSJ_ISO_E10value_typeET4_T5_PST_SU_PNS1_23onesweep_lookback_stateEbbT6_jjT7_P12ihipStream_tbENKUlT_T0_SI_SN_E_clIPjSD_S15_SD_EEDaS11_S12_SI_SN_EUlS11_E_NS1_11comp_targetILNS1_3genE6ELNS1_11target_archE950ELNS1_3gpuE13ELNS1_3repE0EEENS1_47radix_sort_onesweep_sort_config_static_selectorELNS0_4arch9wavefront6targetE1EEEvSI_, .Lfunc_end797-_ZN7rocprim17ROCPRIM_400000_NS6detail17trampoline_kernelINS0_14default_configENS1_35radix_sort_onesweep_config_selectorIjjEEZZNS1_29radix_sort_onesweep_iterationIS3_Lb0EN6thrust23THRUST_200600_302600_NS6detail15normal_iteratorINS8_10device_ptrIjEEEESD_SD_SD_jNS0_19identity_decomposerENS1_16block_id_wrapperIjLb0EEEEE10hipError_tT1_PNSt15iterator_traitsISI_E10value_typeET2_T3_PNSJ_ISO_E10value_typeET4_T5_PST_SU_PNS1_23onesweep_lookback_stateEbbT6_jjT7_P12ihipStream_tbENKUlT_T0_SI_SN_E_clIPjSD_S15_SD_EEDaS11_S12_SI_SN_EUlS11_E_NS1_11comp_targetILNS1_3genE6ELNS1_11target_archE950ELNS1_3gpuE13ELNS1_3repE0EEENS1_47radix_sort_onesweep_sort_config_static_selectorELNS0_4arch9wavefront6targetE1EEEvSI_
                                        ; -- End function
	.set _ZN7rocprim17ROCPRIM_400000_NS6detail17trampoline_kernelINS0_14default_configENS1_35radix_sort_onesweep_config_selectorIjjEEZZNS1_29radix_sort_onesweep_iterationIS3_Lb0EN6thrust23THRUST_200600_302600_NS6detail15normal_iteratorINS8_10device_ptrIjEEEESD_SD_SD_jNS0_19identity_decomposerENS1_16block_id_wrapperIjLb0EEEEE10hipError_tT1_PNSt15iterator_traitsISI_E10value_typeET2_T3_PNSJ_ISO_E10value_typeET4_T5_PST_SU_PNS1_23onesweep_lookback_stateEbbT6_jjT7_P12ihipStream_tbENKUlT_T0_SI_SN_E_clIPjSD_S15_SD_EEDaS11_S12_SI_SN_EUlS11_E_NS1_11comp_targetILNS1_3genE6ELNS1_11target_archE950ELNS1_3gpuE13ELNS1_3repE0EEENS1_47radix_sort_onesweep_sort_config_static_selectorELNS0_4arch9wavefront6targetE1EEEvSI_.num_vgpr, 88
	.set _ZN7rocprim17ROCPRIM_400000_NS6detail17trampoline_kernelINS0_14default_configENS1_35radix_sort_onesweep_config_selectorIjjEEZZNS1_29radix_sort_onesweep_iterationIS3_Lb0EN6thrust23THRUST_200600_302600_NS6detail15normal_iteratorINS8_10device_ptrIjEEEESD_SD_SD_jNS0_19identity_decomposerENS1_16block_id_wrapperIjLb0EEEEE10hipError_tT1_PNSt15iterator_traitsISI_E10value_typeET2_T3_PNSJ_ISO_E10value_typeET4_T5_PST_SU_PNS1_23onesweep_lookback_stateEbbT6_jjT7_P12ihipStream_tbENKUlT_T0_SI_SN_E_clIPjSD_S15_SD_EEDaS11_S12_SI_SN_EUlS11_E_NS1_11comp_targetILNS1_3genE6ELNS1_11target_archE950ELNS1_3gpuE13ELNS1_3repE0EEENS1_47radix_sort_onesweep_sort_config_static_selectorELNS0_4arch9wavefront6targetE1EEEvSI_.num_agpr, 0
	.set _ZN7rocprim17ROCPRIM_400000_NS6detail17trampoline_kernelINS0_14default_configENS1_35radix_sort_onesweep_config_selectorIjjEEZZNS1_29radix_sort_onesweep_iterationIS3_Lb0EN6thrust23THRUST_200600_302600_NS6detail15normal_iteratorINS8_10device_ptrIjEEEESD_SD_SD_jNS0_19identity_decomposerENS1_16block_id_wrapperIjLb0EEEEE10hipError_tT1_PNSt15iterator_traitsISI_E10value_typeET2_T3_PNSJ_ISO_E10value_typeET4_T5_PST_SU_PNS1_23onesweep_lookback_stateEbbT6_jjT7_P12ihipStream_tbENKUlT_T0_SI_SN_E_clIPjSD_S15_SD_EEDaS11_S12_SI_SN_EUlS11_E_NS1_11comp_targetILNS1_3genE6ELNS1_11target_archE950ELNS1_3gpuE13ELNS1_3repE0EEENS1_47radix_sort_onesweep_sort_config_static_selectorELNS0_4arch9wavefront6targetE1EEEvSI_.numbered_sgpr, 70
	.set _ZN7rocprim17ROCPRIM_400000_NS6detail17trampoline_kernelINS0_14default_configENS1_35radix_sort_onesweep_config_selectorIjjEEZZNS1_29radix_sort_onesweep_iterationIS3_Lb0EN6thrust23THRUST_200600_302600_NS6detail15normal_iteratorINS8_10device_ptrIjEEEESD_SD_SD_jNS0_19identity_decomposerENS1_16block_id_wrapperIjLb0EEEEE10hipError_tT1_PNSt15iterator_traitsISI_E10value_typeET2_T3_PNSJ_ISO_E10value_typeET4_T5_PST_SU_PNS1_23onesweep_lookback_stateEbbT6_jjT7_P12ihipStream_tbENKUlT_T0_SI_SN_E_clIPjSD_S15_SD_EEDaS11_S12_SI_SN_EUlS11_E_NS1_11comp_targetILNS1_3genE6ELNS1_11target_archE950ELNS1_3gpuE13ELNS1_3repE0EEENS1_47radix_sort_onesweep_sort_config_static_selectorELNS0_4arch9wavefront6targetE1EEEvSI_.num_named_barrier, 0
	.set _ZN7rocprim17ROCPRIM_400000_NS6detail17trampoline_kernelINS0_14default_configENS1_35radix_sort_onesweep_config_selectorIjjEEZZNS1_29radix_sort_onesweep_iterationIS3_Lb0EN6thrust23THRUST_200600_302600_NS6detail15normal_iteratorINS8_10device_ptrIjEEEESD_SD_SD_jNS0_19identity_decomposerENS1_16block_id_wrapperIjLb0EEEEE10hipError_tT1_PNSt15iterator_traitsISI_E10value_typeET2_T3_PNSJ_ISO_E10value_typeET4_T5_PST_SU_PNS1_23onesweep_lookback_stateEbbT6_jjT7_P12ihipStream_tbENKUlT_T0_SI_SN_E_clIPjSD_S15_SD_EEDaS11_S12_SI_SN_EUlS11_E_NS1_11comp_targetILNS1_3genE6ELNS1_11target_archE950ELNS1_3gpuE13ELNS1_3repE0EEENS1_47radix_sort_onesweep_sort_config_static_selectorELNS0_4arch9wavefront6targetE1EEEvSI_.private_seg_size, 80
	.set _ZN7rocprim17ROCPRIM_400000_NS6detail17trampoline_kernelINS0_14default_configENS1_35radix_sort_onesweep_config_selectorIjjEEZZNS1_29radix_sort_onesweep_iterationIS3_Lb0EN6thrust23THRUST_200600_302600_NS6detail15normal_iteratorINS8_10device_ptrIjEEEESD_SD_SD_jNS0_19identity_decomposerENS1_16block_id_wrapperIjLb0EEEEE10hipError_tT1_PNSt15iterator_traitsISI_E10value_typeET2_T3_PNSJ_ISO_E10value_typeET4_T5_PST_SU_PNS1_23onesweep_lookback_stateEbbT6_jjT7_P12ihipStream_tbENKUlT_T0_SI_SN_E_clIPjSD_S15_SD_EEDaS11_S12_SI_SN_EUlS11_E_NS1_11comp_targetILNS1_3genE6ELNS1_11target_archE950ELNS1_3gpuE13ELNS1_3repE0EEENS1_47radix_sort_onesweep_sort_config_static_selectorELNS0_4arch9wavefront6targetE1EEEvSI_.uses_vcc, 1
	.set _ZN7rocprim17ROCPRIM_400000_NS6detail17trampoline_kernelINS0_14default_configENS1_35radix_sort_onesweep_config_selectorIjjEEZZNS1_29radix_sort_onesweep_iterationIS3_Lb0EN6thrust23THRUST_200600_302600_NS6detail15normal_iteratorINS8_10device_ptrIjEEEESD_SD_SD_jNS0_19identity_decomposerENS1_16block_id_wrapperIjLb0EEEEE10hipError_tT1_PNSt15iterator_traitsISI_E10value_typeET2_T3_PNSJ_ISO_E10value_typeET4_T5_PST_SU_PNS1_23onesweep_lookback_stateEbbT6_jjT7_P12ihipStream_tbENKUlT_T0_SI_SN_E_clIPjSD_S15_SD_EEDaS11_S12_SI_SN_EUlS11_E_NS1_11comp_targetILNS1_3genE6ELNS1_11target_archE950ELNS1_3gpuE13ELNS1_3repE0EEENS1_47radix_sort_onesweep_sort_config_static_selectorELNS0_4arch9wavefront6targetE1EEEvSI_.uses_flat_scratch, 0
	.set _ZN7rocprim17ROCPRIM_400000_NS6detail17trampoline_kernelINS0_14default_configENS1_35radix_sort_onesweep_config_selectorIjjEEZZNS1_29radix_sort_onesweep_iterationIS3_Lb0EN6thrust23THRUST_200600_302600_NS6detail15normal_iteratorINS8_10device_ptrIjEEEESD_SD_SD_jNS0_19identity_decomposerENS1_16block_id_wrapperIjLb0EEEEE10hipError_tT1_PNSt15iterator_traitsISI_E10value_typeET2_T3_PNSJ_ISO_E10value_typeET4_T5_PST_SU_PNS1_23onesweep_lookback_stateEbbT6_jjT7_P12ihipStream_tbENKUlT_T0_SI_SN_E_clIPjSD_S15_SD_EEDaS11_S12_SI_SN_EUlS11_E_NS1_11comp_targetILNS1_3genE6ELNS1_11target_archE950ELNS1_3gpuE13ELNS1_3repE0EEENS1_47radix_sort_onesweep_sort_config_static_selectorELNS0_4arch9wavefront6targetE1EEEvSI_.has_dyn_sized_stack, 0
	.set _ZN7rocprim17ROCPRIM_400000_NS6detail17trampoline_kernelINS0_14default_configENS1_35radix_sort_onesweep_config_selectorIjjEEZZNS1_29radix_sort_onesweep_iterationIS3_Lb0EN6thrust23THRUST_200600_302600_NS6detail15normal_iteratorINS8_10device_ptrIjEEEESD_SD_SD_jNS0_19identity_decomposerENS1_16block_id_wrapperIjLb0EEEEE10hipError_tT1_PNSt15iterator_traitsISI_E10value_typeET2_T3_PNSJ_ISO_E10value_typeET4_T5_PST_SU_PNS1_23onesweep_lookback_stateEbbT6_jjT7_P12ihipStream_tbENKUlT_T0_SI_SN_E_clIPjSD_S15_SD_EEDaS11_S12_SI_SN_EUlS11_E_NS1_11comp_targetILNS1_3genE6ELNS1_11target_archE950ELNS1_3gpuE13ELNS1_3repE0EEENS1_47radix_sort_onesweep_sort_config_static_selectorELNS0_4arch9wavefront6targetE1EEEvSI_.has_recursion, 0
	.set _ZN7rocprim17ROCPRIM_400000_NS6detail17trampoline_kernelINS0_14default_configENS1_35radix_sort_onesweep_config_selectorIjjEEZZNS1_29radix_sort_onesweep_iterationIS3_Lb0EN6thrust23THRUST_200600_302600_NS6detail15normal_iteratorINS8_10device_ptrIjEEEESD_SD_SD_jNS0_19identity_decomposerENS1_16block_id_wrapperIjLb0EEEEE10hipError_tT1_PNSt15iterator_traitsISI_E10value_typeET2_T3_PNSJ_ISO_E10value_typeET4_T5_PST_SU_PNS1_23onesweep_lookback_stateEbbT6_jjT7_P12ihipStream_tbENKUlT_T0_SI_SN_E_clIPjSD_S15_SD_EEDaS11_S12_SI_SN_EUlS11_E_NS1_11comp_targetILNS1_3genE6ELNS1_11target_archE950ELNS1_3gpuE13ELNS1_3repE0EEENS1_47radix_sort_onesweep_sort_config_static_selectorELNS0_4arch9wavefront6targetE1EEEvSI_.has_indirect_call, 0
	.section	.AMDGPU.csdata,"",@progbits
; Kernel info:
; codeLenInByte = 22092
; TotalNumSgprs: 76
; NumVgprs: 88
; NumAgprs: 0
; TotalNumVgprs: 88
; ScratchSize: 80
; MemoryBound: 0
; FloatMode: 240
; IeeeMode: 1
; LDSByteSize: 20552 bytes/workgroup (compile time only)
; SGPRBlocks: 9
; VGPRBlocks: 10
; NumSGPRsForWavesPerEU: 76
; NumVGPRsForWavesPerEU: 88
; AccumOffset: 88
; Occupancy: 5
; WaveLimiterHint : 1
; COMPUTE_PGM_RSRC2:SCRATCH_EN: 1
; COMPUTE_PGM_RSRC2:USER_SGPR: 2
; COMPUTE_PGM_RSRC2:TRAP_HANDLER: 0
; COMPUTE_PGM_RSRC2:TGID_X_EN: 1
; COMPUTE_PGM_RSRC2:TGID_Y_EN: 0
; COMPUTE_PGM_RSRC2:TGID_Z_EN: 0
; COMPUTE_PGM_RSRC2:TIDIG_COMP_CNT: 2
; COMPUTE_PGM_RSRC3_GFX90A:ACCUM_OFFSET: 21
; COMPUTE_PGM_RSRC3_GFX90A:TG_SPLIT: 0
	.section	.text._ZN7rocprim17ROCPRIM_400000_NS6detail17trampoline_kernelINS0_14default_configENS1_35radix_sort_onesweep_config_selectorIjjEEZZNS1_29radix_sort_onesweep_iterationIS3_Lb0EN6thrust23THRUST_200600_302600_NS6detail15normal_iteratorINS8_10device_ptrIjEEEESD_SD_SD_jNS0_19identity_decomposerENS1_16block_id_wrapperIjLb0EEEEE10hipError_tT1_PNSt15iterator_traitsISI_E10value_typeET2_T3_PNSJ_ISO_E10value_typeET4_T5_PST_SU_PNS1_23onesweep_lookback_stateEbbT6_jjT7_P12ihipStream_tbENKUlT_T0_SI_SN_E_clIPjSD_S15_SD_EEDaS11_S12_SI_SN_EUlS11_E_NS1_11comp_targetILNS1_3genE5ELNS1_11target_archE942ELNS1_3gpuE9ELNS1_3repE0EEENS1_47radix_sort_onesweep_sort_config_static_selectorELNS0_4arch9wavefront6targetE1EEEvSI_,"axG",@progbits,_ZN7rocprim17ROCPRIM_400000_NS6detail17trampoline_kernelINS0_14default_configENS1_35radix_sort_onesweep_config_selectorIjjEEZZNS1_29radix_sort_onesweep_iterationIS3_Lb0EN6thrust23THRUST_200600_302600_NS6detail15normal_iteratorINS8_10device_ptrIjEEEESD_SD_SD_jNS0_19identity_decomposerENS1_16block_id_wrapperIjLb0EEEEE10hipError_tT1_PNSt15iterator_traitsISI_E10value_typeET2_T3_PNSJ_ISO_E10value_typeET4_T5_PST_SU_PNS1_23onesweep_lookback_stateEbbT6_jjT7_P12ihipStream_tbENKUlT_T0_SI_SN_E_clIPjSD_S15_SD_EEDaS11_S12_SI_SN_EUlS11_E_NS1_11comp_targetILNS1_3genE5ELNS1_11target_archE942ELNS1_3gpuE9ELNS1_3repE0EEENS1_47radix_sort_onesweep_sort_config_static_selectorELNS0_4arch9wavefront6targetE1EEEvSI_,comdat
	.protected	_ZN7rocprim17ROCPRIM_400000_NS6detail17trampoline_kernelINS0_14default_configENS1_35radix_sort_onesweep_config_selectorIjjEEZZNS1_29radix_sort_onesweep_iterationIS3_Lb0EN6thrust23THRUST_200600_302600_NS6detail15normal_iteratorINS8_10device_ptrIjEEEESD_SD_SD_jNS0_19identity_decomposerENS1_16block_id_wrapperIjLb0EEEEE10hipError_tT1_PNSt15iterator_traitsISI_E10value_typeET2_T3_PNSJ_ISO_E10value_typeET4_T5_PST_SU_PNS1_23onesweep_lookback_stateEbbT6_jjT7_P12ihipStream_tbENKUlT_T0_SI_SN_E_clIPjSD_S15_SD_EEDaS11_S12_SI_SN_EUlS11_E_NS1_11comp_targetILNS1_3genE5ELNS1_11target_archE942ELNS1_3gpuE9ELNS1_3repE0EEENS1_47radix_sort_onesweep_sort_config_static_selectorELNS0_4arch9wavefront6targetE1EEEvSI_ ; -- Begin function _ZN7rocprim17ROCPRIM_400000_NS6detail17trampoline_kernelINS0_14default_configENS1_35radix_sort_onesweep_config_selectorIjjEEZZNS1_29radix_sort_onesweep_iterationIS3_Lb0EN6thrust23THRUST_200600_302600_NS6detail15normal_iteratorINS8_10device_ptrIjEEEESD_SD_SD_jNS0_19identity_decomposerENS1_16block_id_wrapperIjLb0EEEEE10hipError_tT1_PNSt15iterator_traitsISI_E10value_typeET2_T3_PNSJ_ISO_E10value_typeET4_T5_PST_SU_PNS1_23onesweep_lookback_stateEbbT6_jjT7_P12ihipStream_tbENKUlT_T0_SI_SN_E_clIPjSD_S15_SD_EEDaS11_S12_SI_SN_EUlS11_E_NS1_11comp_targetILNS1_3genE5ELNS1_11target_archE942ELNS1_3gpuE9ELNS1_3repE0EEENS1_47radix_sort_onesweep_sort_config_static_selectorELNS0_4arch9wavefront6targetE1EEEvSI_
	.globl	_ZN7rocprim17ROCPRIM_400000_NS6detail17trampoline_kernelINS0_14default_configENS1_35radix_sort_onesweep_config_selectorIjjEEZZNS1_29radix_sort_onesweep_iterationIS3_Lb0EN6thrust23THRUST_200600_302600_NS6detail15normal_iteratorINS8_10device_ptrIjEEEESD_SD_SD_jNS0_19identity_decomposerENS1_16block_id_wrapperIjLb0EEEEE10hipError_tT1_PNSt15iterator_traitsISI_E10value_typeET2_T3_PNSJ_ISO_E10value_typeET4_T5_PST_SU_PNS1_23onesweep_lookback_stateEbbT6_jjT7_P12ihipStream_tbENKUlT_T0_SI_SN_E_clIPjSD_S15_SD_EEDaS11_S12_SI_SN_EUlS11_E_NS1_11comp_targetILNS1_3genE5ELNS1_11target_archE942ELNS1_3gpuE9ELNS1_3repE0EEENS1_47radix_sort_onesweep_sort_config_static_selectorELNS0_4arch9wavefront6targetE1EEEvSI_
	.p2align	8
	.type	_ZN7rocprim17ROCPRIM_400000_NS6detail17trampoline_kernelINS0_14default_configENS1_35radix_sort_onesweep_config_selectorIjjEEZZNS1_29radix_sort_onesweep_iterationIS3_Lb0EN6thrust23THRUST_200600_302600_NS6detail15normal_iteratorINS8_10device_ptrIjEEEESD_SD_SD_jNS0_19identity_decomposerENS1_16block_id_wrapperIjLb0EEEEE10hipError_tT1_PNSt15iterator_traitsISI_E10value_typeET2_T3_PNSJ_ISO_E10value_typeET4_T5_PST_SU_PNS1_23onesweep_lookback_stateEbbT6_jjT7_P12ihipStream_tbENKUlT_T0_SI_SN_E_clIPjSD_S15_SD_EEDaS11_S12_SI_SN_EUlS11_E_NS1_11comp_targetILNS1_3genE5ELNS1_11target_archE942ELNS1_3gpuE9ELNS1_3repE0EEENS1_47radix_sort_onesweep_sort_config_static_selectorELNS0_4arch9wavefront6targetE1EEEvSI_,@function
_ZN7rocprim17ROCPRIM_400000_NS6detail17trampoline_kernelINS0_14default_configENS1_35radix_sort_onesweep_config_selectorIjjEEZZNS1_29radix_sort_onesweep_iterationIS3_Lb0EN6thrust23THRUST_200600_302600_NS6detail15normal_iteratorINS8_10device_ptrIjEEEESD_SD_SD_jNS0_19identity_decomposerENS1_16block_id_wrapperIjLb0EEEEE10hipError_tT1_PNSt15iterator_traitsISI_E10value_typeET2_T3_PNSJ_ISO_E10value_typeET4_T5_PST_SU_PNS1_23onesweep_lookback_stateEbbT6_jjT7_P12ihipStream_tbENKUlT_T0_SI_SN_E_clIPjSD_S15_SD_EEDaS11_S12_SI_SN_EUlS11_E_NS1_11comp_targetILNS1_3genE5ELNS1_11target_archE942ELNS1_3gpuE9ELNS1_3repE0EEENS1_47radix_sort_onesweep_sort_config_static_selectorELNS0_4arch9wavefront6targetE1EEEvSI_: ; @_ZN7rocprim17ROCPRIM_400000_NS6detail17trampoline_kernelINS0_14default_configENS1_35radix_sort_onesweep_config_selectorIjjEEZZNS1_29radix_sort_onesweep_iterationIS3_Lb0EN6thrust23THRUST_200600_302600_NS6detail15normal_iteratorINS8_10device_ptrIjEEEESD_SD_SD_jNS0_19identity_decomposerENS1_16block_id_wrapperIjLb0EEEEE10hipError_tT1_PNSt15iterator_traitsISI_E10value_typeET2_T3_PNSJ_ISO_E10value_typeET4_T5_PST_SU_PNS1_23onesweep_lookback_stateEbbT6_jjT7_P12ihipStream_tbENKUlT_T0_SI_SN_E_clIPjSD_S15_SD_EEDaS11_S12_SI_SN_EUlS11_E_NS1_11comp_targetILNS1_3genE5ELNS1_11target_archE942ELNS1_3gpuE9ELNS1_3repE0EEENS1_47radix_sort_onesweep_sort_config_static_selectorELNS0_4arch9wavefront6targetE1EEEvSI_
; %bb.0:
	.section	.rodata,"a",@progbits
	.p2align	6, 0x0
	.amdhsa_kernel _ZN7rocprim17ROCPRIM_400000_NS6detail17trampoline_kernelINS0_14default_configENS1_35radix_sort_onesweep_config_selectorIjjEEZZNS1_29radix_sort_onesweep_iterationIS3_Lb0EN6thrust23THRUST_200600_302600_NS6detail15normal_iteratorINS8_10device_ptrIjEEEESD_SD_SD_jNS0_19identity_decomposerENS1_16block_id_wrapperIjLb0EEEEE10hipError_tT1_PNSt15iterator_traitsISI_E10value_typeET2_T3_PNSJ_ISO_E10value_typeET4_T5_PST_SU_PNS1_23onesweep_lookback_stateEbbT6_jjT7_P12ihipStream_tbENKUlT_T0_SI_SN_E_clIPjSD_S15_SD_EEDaS11_S12_SI_SN_EUlS11_E_NS1_11comp_targetILNS1_3genE5ELNS1_11target_archE942ELNS1_3gpuE9ELNS1_3repE0EEENS1_47radix_sort_onesweep_sort_config_static_selectorELNS0_4arch9wavefront6targetE1EEEvSI_
		.amdhsa_group_segment_fixed_size 0
		.amdhsa_private_segment_fixed_size 0
		.amdhsa_kernarg_size 88
		.amdhsa_user_sgpr_count 2
		.amdhsa_user_sgpr_dispatch_ptr 0
		.amdhsa_user_sgpr_queue_ptr 0
		.amdhsa_user_sgpr_kernarg_segment_ptr 1
		.amdhsa_user_sgpr_dispatch_id 0
		.amdhsa_user_sgpr_kernarg_preload_length 0
		.amdhsa_user_sgpr_kernarg_preload_offset 0
		.amdhsa_user_sgpr_private_segment_size 0
		.amdhsa_uses_dynamic_stack 0
		.amdhsa_enable_private_segment 0
		.amdhsa_system_sgpr_workgroup_id_x 1
		.amdhsa_system_sgpr_workgroup_id_y 0
		.amdhsa_system_sgpr_workgroup_id_z 0
		.amdhsa_system_sgpr_workgroup_info 0
		.amdhsa_system_vgpr_workitem_id 0
		.amdhsa_next_free_vgpr 1
		.amdhsa_next_free_sgpr 0
		.amdhsa_accum_offset 4
		.amdhsa_reserve_vcc 0
		.amdhsa_float_round_mode_32 0
		.amdhsa_float_round_mode_16_64 0
		.amdhsa_float_denorm_mode_32 3
		.amdhsa_float_denorm_mode_16_64 3
		.amdhsa_dx10_clamp 1
		.amdhsa_ieee_mode 1
		.amdhsa_fp16_overflow 0
		.amdhsa_tg_split 0
		.amdhsa_exception_fp_ieee_invalid_op 0
		.amdhsa_exception_fp_denorm_src 0
		.amdhsa_exception_fp_ieee_div_zero 0
		.amdhsa_exception_fp_ieee_overflow 0
		.amdhsa_exception_fp_ieee_underflow 0
		.amdhsa_exception_fp_ieee_inexact 0
		.amdhsa_exception_int_div_zero 0
	.end_amdhsa_kernel
	.section	.text._ZN7rocprim17ROCPRIM_400000_NS6detail17trampoline_kernelINS0_14default_configENS1_35radix_sort_onesweep_config_selectorIjjEEZZNS1_29radix_sort_onesweep_iterationIS3_Lb0EN6thrust23THRUST_200600_302600_NS6detail15normal_iteratorINS8_10device_ptrIjEEEESD_SD_SD_jNS0_19identity_decomposerENS1_16block_id_wrapperIjLb0EEEEE10hipError_tT1_PNSt15iterator_traitsISI_E10value_typeET2_T3_PNSJ_ISO_E10value_typeET4_T5_PST_SU_PNS1_23onesweep_lookback_stateEbbT6_jjT7_P12ihipStream_tbENKUlT_T0_SI_SN_E_clIPjSD_S15_SD_EEDaS11_S12_SI_SN_EUlS11_E_NS1_11comp_targetILNS1_3genE5ELNS1_11target_archE942ELNS1_3gpuE9ELNS1_3repE0EEENS1_47radix_sort_onesweep_sort_config_static_selectorELNS0_4arch9wavefront6targetE1EEEvSI_,"axG",@progbits,_ZN7rocprim17ROCPRIM_400000_NS6detail17trampoline_kernelINS0_14default_configENS1_35radix_sort_onesweep_config_selectorIjjEEZZNS1_29radix_sort_onesweep_iterationIS3_Lb0EN6thrust23THRUST_200600_302600_NS6detail15normal_iteratorINS8_10device_ptrIjEEEESD_SD_SD_jNS0_19identity_decomposerENS1_16block_id_wrapperIjLb0EEEEE10hipError_tT1_PNSt15iterator_traitsISI_E10value_typeET2_T3_PNSJ_ISO_E10value_typeET4_T5_PST_SU_PNS1_23onesweep_lookback_stateEbbT6_jjT7_P12ihipStream_tbENKUlT_T0_SI_SN_E_clIPjSD_S15_SD_EEDaS11_S12_SI_SN_EUlS11_E_NS1_11comp_targetILNS1_3genE5ELNS1_11target_archE942ELNS1_3gpuE9ELNS1_3repE0EEENS1_47radix_sort_onesweep_sort_config_static_selectorELNS0_4arch9wavefront6targetE1EEEvSI_,comdat
.Lfunc_end798:
	.size	_ZN7rocprim17ROCPRIM_400000_NS6detail17trampoline_kernelINS0_14default_configENS1_35radix_sort_onesweep_config_selectorIjjEEZZNS1_29radix_sort_onesweep_iterationIS3_Lb0EN6thrust23THRUST_200600_302600_NS6detail15normal_iteratorINS8_10device_ptrIjEEEESD_SD_SD_jNS0_19identity_decomposerENS1_16block_id_wrapperIjLb0EEEEE10hipError_tT1_PNSt15iterator_traitsISI_E10value_typeET2_T3_PNSJ_ISO_E10value_typeET4_T5_PST_SU_PNS1_23onesweep_lookback_stateEbbT6_jjT7_P12ihipStream_tbENKUlT_T0_SI_SN_E_clIPjSD_S15_SD_EEDaS11_S12_SI_SN_EUlS11_E_NS1_11comp_targetILNS1_3genE5ELNS1_11target_archE942ELNS1_3gpuE9ELNS1_3repE0EEENS1_47radix_sort_onesweep_sort_config_static_selectorELNS0_4arch9wavefront6targetE1EEEvSI_, .Lfunc_end798-_ZN7rocprim17ROCPRIM_400000_NS6detail17trampoline_kernelINS0_14default_configENS1_35radix_sort_onesweep_config_selectorIjjEEZZNS1_29radix_sort_onesweep_iterationIS3_Lb0EN6thrust23THRUST_200600_302600_NS6detail15normal_iteratorINS8_10device_ptrIjEEEESD_SD_SD_jNS0_19identity_decomposerENS1_16block_id_wrapperIjLb0EEEEE10hipError_tT1_PNSt15iterator_traitsISI_E10value_typeET2_T3_PNSJ_ISO_E10value_typeET4_T5_PST_SU_PNS1_23onesweep_lookback_stateEbbT6_jjT7_P12ihipStream_tbENKUlT_T0_SI_SN_E_clIPjSD_S15_SD_EEDaS11_S12_SI_SN_EUlS11_E_NS1_11comp_targetILNS1_3genE5ELNS1_11target_archE942ELNS1_3gpuE9ELNS1_3repE0EEENS1_47radix_sort_onesweep_sort_config_static_selectorELNS0_4arch9wavefront6targetE1EEEvSI_
                                        ; -- End function
	.set _ZN7rocprim17ROCPRIM_400000_NS6detail17trampoline_kernelINS0_14default_configENS1_35radix_sort_onesweep_config_selectorIjjEEZZNS1_29radix_sort_onesweep_iterationIS3_Lb0EN6thrust23THRUST_200600_302600_NS6detail15normal_iteratorINS8_10device_ptrIjEEEESD_SD_SD_jNS0_19identity_decomposerENS1_16block_id_wrapperIjLb0EEEEE10hipError_tT1_PNSt15iterator_traitsISI_E10value_typeET2_T3_PNSJ_ISO_E10value_typeET4_T5_PST_SU_PNS1_23onesweep_lookback_stateEbbT6_jjT7_P12ihipStream_tbENKUlT_T0_SI_SN_E_clIPjSD_S15_SD_EEDaS11_S12_SI_SN_EUlS11_E_NS1_11comp_targetILNS1_3genE5ELNS1_11target_archE942ELNS1_3gpuE9ELNS1_3repE0EEENS1_47radix_sort_onesweep_sort_config_static_selectorELNS0_4arch9wavefront6targetE1EEEvSI_.num_vgpr, 0
	.set _ZN7rocprim17ROCPRIM_400000_NS6detail17trampoline_kernelINS0_14default_configENS1_35radix_sort_onesweep_config_selectorIjjEEZZNS1_29radix_sort_onesweep_iterationIS3_Lb0EN6thrust23THRUST_200600_302600_NS6detail15normal_iteratorINS8_10device_ptrIjEEEESD_SD_SD_jNS0_19identity_decomposerENS1_16block_id_wrapperIjLb0EEEEE10hipError_tT1_PNSt15iterator_traitsISI_E10value_typeET2_T3_PNSJ_ISO_E10value_typeET4_T5_PST_SU_PNS1_23onesweep_lookback_stateEbbT6_jjT7_P12ihipStream_tbENKUlT_T0_SI_SN_E_clIPjSD_S15_SD_EEDaS11_S12_SI_SN_EUlS11_E_NS1_11comp_targetILNS1_3genE5ELNS1_11target_archE942ELNS1_3gpuE9ELNS1_3repE0EEENS1_47radix_sort_onesweep_sort_config_static_selectorELNS0_4arch9wavefront6targetE1EEEvSI_.num_agpr, 0
	.set _ZN7rocprim17ROCPRIM_400000_NS6detail17trampoline_kernelINS0_14default_configENS1_35radix_sort_onesweep_config_selectorIjjEEZZNS1_29radix_sort_onesweep_iterationIS3_Lb0EN6thrust23THRUST_200600_302600_NS6detail15normal_iteratorINS8_10device_ptrIjEEEESD_SD_SD_jNS0_19identity_decomposerENS1_16block_id_wrapperIjLb0EEEEE10hipError_tT1_PNSt15iterator_traitsISI_E10value_typeET2_T3_PNSJ_ISO_E10value_typeET4_T5_PST_SU_PNS1_23onesweep_lookback_stateEbbT6_jjT7_P12ihipStream_tbENKUlT_T0_SI_SN_E_clIPjSD_S15_SD_EEDaS11_S12_SI_SN_EUlS11_E_NS1_11comp_targetILNS1_3genE5ELNS1_11target_archE942ELNS1_3gpuE9ELNS1_3repE0EEENS1_47radix_sort_onesweep_sort_config_static_selectorELNS0_4arch9wavefront6targetE1EEEvSI_.numbered_sgpr, 0
	.set _ZN7rocprim17ROCPRIM_400000_NS6detail17trampoline_kernelINS0_14default_configENS1_35radix_sort_onesweep_config_selectorIjjEEZZNS1_29radix_sort_onesweep_iterationIS3_Lb0EN6thrust23THRUST_200600_302600_NS6detail15normal_iteratorINS8_10device_ptrIjEEEESD_SD_SD_jNS0_19identity_decomposerENS1_16block_id_wrapperIjLb0EEEEE10hipError_tT1_PNSt15iterator_traitsISI_E10value_typeET2_T3_PNSJ_ISO_E10value_typeET4_T5_PST_SU_PNS1_23onesweep_lookback_stateEbbT6_jjT7_P12ihipStream_tbENKUlT_T0_SI_SN_E_clIPjSD_S15_SD_EEDaS11_S12_SI_SN_EUlS11_E_NS1_11comp_targetILNS1_3genE5ELNS1_11target_archE942ELNS1_3gpuE9ELNS1_3repE0EEENS1_47radix_sort_onesweep_sort_config_static_selectorELNS0_4arch9wavefront6targetE1EEEvSI_.num_named_barrier, 0
	.set _ZN7rocprim17ROCPRIM_400000_NS6detail17trampoline_kernelINS0_14default_configENS1_35radix_sort_onesweep_config_selectorIjjEEZZNS1_29radix_sort_onesweep_iterationIS3_Lb0EN6thrust23THRUST_200600_302600_NS6detail15normal_iteratorINS8_10device_ptrIjEEEESD_SD_SD_jNS0_19identity_decomposerENS1_16block_id_wrapperIjLb0EEEEE10hipError_tT1_PNSt15iterator_traitsISI_E10value_typeET2_T3_PNSJ_ISO_E10value_typeET4_T5_PST_SU_PNS1_23onesweep_lookback_stateEbbT6_jjT7_P12ihipStream_tbENKUlT_T0_SI_SN_E_clIPjSD_S15_SD_EEDaS11_S12_SI_SN_EUlS11_E_NS1_11comp_targetILNS1_3genE5ELNS1_11target_archE942ELNS1_3gpuE9ELNS1_3repE0EEENS1_47radix_sort_onesweep_sort_config_static_selectorELNS0_4arch9wavefront6targetE1EEEvSI_.private_seg_size, 0
	.set _ZN7rocprim17ROCPRIM_400000_NS6detail17trampoline_kernelINS0_14default_configENS1_35radix_sort_onesweep_config_selectorIjjEEZZNS1_29radix_sort_onesweep_iterationIS3_Lb0EN6thrust23THRUST_200600_302600_NS6detail15normal_iteratorINS8_10device_ptrIjEEEESD_SD_SD_jNS0_19identity_decomposerENS1_16block_id_wrapperIjLb0EEEEE10hipError_tT1_PNSt15iterator_traitsISI_E10value_typeET2_T3_PNSJ_ISO_E10value_typeET4_T5_PST_SU_PNS1_23onesweep_lookback_stateEbbT6_jjT7_P12ihipStream_tbENKUlT_T0_SI_SN_E_clIPjSD_S15_SD_EEDaS11_S12_SI_SN_EUlS11_E_NS1_11comp_targetILNS1_3genE5ELNS1_11target_archE942ELNS1_3gpuE9ELNS1_3repE0EEENS1_47radix_sort_onesweep_sort_config_static_selectorELNS0_4arch9wavefront6targetE1EEEvSI_.uses_vcc, 0
	.set _ZN7rocprim17ROCPRIM_400000_NS6detail17trampoline_kernelINS0_14default_configENS1_35radix_sort_onesweep_config_selectorIjjEEZZNS1_29radix_sort_onesweep_iterationIS3_Lb0EN6thrust23THRUST_200600_302600_NS6detail15normal_iteratorINS8_10device_ptrIjEEEESD_SD_SD_jNS0_19identity_decomposerENS1_16block_id_wrapperIjLb0EEEEE10hipError_tT1_PNSt15iterator_traitsISI_E10value_typeET2_T3_PNSJ_ISO_E10value_typeET4_T5_PST_SU_PNS1_23onesweep_lookback_stateEbbT6_jjT7_P12ihipStream_tbENKUlT_T0_SI_SN_E_clIPjSD_S15_SD_EEDaS11_S12_SI_SN_EUlS11_E_NS1_11comp_targetILNS1_3genE5ELNS1_11target_archE942ELNS1_3gpuE9ELNS1_3repE0EEENS1_47radix_sort_onesweep_sort_config_static_selectorELNS0_4arch9wavefront6targetE1EEEvSI_.uses_flat_scratch, 0
	.set _ZN7rocprim17ROCPRIM_400000_NS6detail17trampoline_kernelINS0_14default_configENS1_35radix_sort_onesweep_config_selectorIjjEEZZNS1_29radix_sort_onesweep_iterationIS3_Lb0EN6thrust23THRUST_200600_302600_NS6detail15normal_iteratorINS8_10device_ptrIjEEEESD_SD_SD_jNS0_19identity_decomposerENS1_16block_id_wrapperIjLb0EEEEE10hipError_tT1_PNSt15iterator_traitsISI_E10value_typeET2_T3_PNSJ_ISO_E10value_typeET4_T5_PST_SU_PNS1_23onesweep_lookback_stateEbbT6_jjT7_P12ihipStream_tbENKUlT_T0_SI_SN_E_clIPjSD_S15_SD_EEDaS11_S12_SI_SN_EUlS11_E_NS1_11comp_targetILNS1_3genE5ELNS1_11target_archE942ELNS1_3gpuE9ELNS1_3repE0EEENS1_47radix_sort_onesweep_sort_config_static_selectorELNS0_4arch9wavefront6targetE1EEEvSI_.has_dyn_sized_stack, 0
	.set _ZN7rocprim17ROCPRIM_400000_NS6detail17trampoline_kernelINS0_14default_configENS1_35radix_sort_onesweep_config_selectorIjjEEZZNS1_29radix_sort_onesweep_iterationIS3_Lb0EN6thrust23THRUST_200600_302600_NS6detail15normal_iteratorINS8_10device_ptrIjEEEESD_SD_SD_jNS0_19identity_decomposerENS1_16block_id_wrapperIjLb0EEEEE10hipError_tT1_PNSt15iterator_traitsISI_E10value_typeET2_T3_PNSJ_ISO_E10value_typeET4_T5_PST_SU_PNS1_23onesweep_lookback_stateEbbT6_jjT7_P12ihipStream_tbENKUlT_T0_SI_SN_E_clIPjSD_S15_SD_EEDaS11_S12_SI_SN_EUlS11_E_NS1_11comp_targetILNS1_3genE5ELNS1_11target_archE942ELNS1_3gpuE9ELNS1_3repE0EEENS1_47radix_sort_onesweep_sort_config_static_selectorELNS0_4arch9wavefront6targetE1EEEvSI_.has_recursion, 0
	.set _ZN7rocprim17ROCPRIM_400000_NS6detail17trampoline_kernelINS0_14default_configENS1_35radix_sort_onesweep_config_selectorIjjEEZZNS1_29radix_sort_onesweep_iterationIS3_Lb0EN6thrust23THRUST_200600_302600_NS6detail15normal_iteratorINS8_10device_ptrIjEEEESD_SD_SD_jNS0_19identity_decomposerENS1_16block_id_wrapperIjLb0EEEEE10hipError_tT1_PNSt15iterator_traitsISI_E10value_typeET2_T3_PNSJ_ISO_E10value_typeET4_T5_PST_SU_PNS1_23onesweep_lookback_stateEbbT6_jjT7_P12ihipStream_tbENKUlT_T0_SI_SN_E_clIPjSD_S15_SD_EEDaS11_S12_SI_SN_EUlS11_E_NS1_11comp_targetILNS1_3genE5ELNS1_11target_archE942ELNS1_3gpuE9ELNS1_3repE0EEENS1_47radix_sort_onesweep_sort_config_static_selectorELNS0_4arch9wavefront6targetE1EEEvSI_.has_indirect_call, 0
	.section	.AMDGPU.csdata,"",@progbits
; Kernel info:
; codeLenInByte = 0
; TotalNumSgprs: 6
; NumVgprs: 0
; NumAgprs: 0
; TotalNumVgprs: 0
; ScratchSize: 0
; MemoryBound: 0
; FloatMode: 240
; IeeeMode: 1
; LDSByteSize: 0 bytes/workgroup (compile time only)
; SGPRBlocks: 0
; VGPRBlocks: 0
; NumSGPRsForWavesPerEU: 6
; NumVGPRsForWavesPerEU: 1
; AccumOffset: 4
; Occupancy: 8
; WaveLimiterHint : 0
; COMPUTE_PGM_RSRC2:SCRATCH_EN: 0
; COMPUTE_PGM_RSRC2:USER_SGPR: 2
; COMPUTE_PGM_RSRC2:TRAP_HANDLER: 0
; COMPUTE_PGM_RSRC2:TGID_X_EN: 1
; COMPUTE_PGM_RSRC2:TGID_Y_EN: 0
; COMPUTE_PGM_RSRC2:TGID_Z_EN: 0
; COMPUTE_PGM_RSRC2:TIDIG_COMP_CNT: 0
; COMPUTE_PGM_RSRC3_GFX90A:ACCUM_OFFSET: 0
; COMPUTE_PGM_RSRC3_GFX90A:TG_SPLIT: 0
	.section	.text._ZN7rocprim17ROCPRIM_400000_NS6detail17trampoline_kernelINS0_14default_configENS1_35radix_sort_onesweep_config_selectorIjjEEZZNS1_29radix_sort_onesweep_iterationIS3_Lb0EN6thrust23THRUST_200600_302600_NS6detail15normal_iteratorINS8_10device_ptrIjEEEESD_SD_SD_jNS0_19identity_decomposerENS1_16block_id_wrapperIjLb0EEEEE10hipError_tT1_PNSt15iterator_traitsISI_E10value_typeET2_T3_PNSJ_ISO_E10value_typeET4_T5_PST_SU_PNS1_23onesweep_lookback_stateEbbT6_jjT7_P12ihipStream_tbENKUlT_T0_SI_SN_E_clIPjSD_S15_SD_EEDaS11_S12_SI_SN_EUlS11_E_NS1_11comp_targetILNS1_3genE2ELNS1_11target_archE906ELNS1_3gpuE6ELNS1_3repE0EEENS1_47radix_sort_onesweep_sort_config_static_selectorELNS0_4arch9wavefront6targetE1EEEvSI_,"axG",@progbits,_ZN7rocprim17ROCPRIM_400000_NS6detail17trampoline_kernelINS0_14default_configENS1_35radix_sort_onesweep_config_selectorIjjEEZZNS1_29radix_sort_onesweep_iterationIS3_Lb0EN6thrust23THRUST_200600_302600_NS6detail15normal_iteratorINS8_10device_ptrIjEEEESD_SD_SD_jNS0_19identity_decomposerENS1_16block_id_wrapperIjLb0EEEEE10hipError_tT1_PNSt15iterator_traitsISI_E10value_typeET2_T3_PNSJ_ISO_E10value_typeET4_T5_PST_SU_PNS1_23onesweep_lookback_stateEbbT6_jjT7_P12ihipStream_tbENKUlT_T0_SI_SN_E_clIPjSD_S15_SD_EEDaS11_S12_SI_SN_EUlS11_E_NS1_11comp_targetILNS1_3genE2ELNS1_11target_archE906ELNS1_3gpuE6ELNS1_3repE0EEENS1_47radix_sort_onesweep_sort_config_static_selectorELNS0_4arch9wavefront6targetE1EEEvSI_,comdat
	.protected	_ZN7rocprim17ROCPRIM_400000_NS6detail17trampoline_kernelINS0_14default_configENS1_35radix_sort_onesweep_config_selectorIjjEEZZNS1_29radix_sort_onesweep_iterationIS3_Lb0EN6thrust23THRUST_200600_302600_NS6detail15normal_iteratorINS8_10device_ptrIjEEEESD_SD_SD_jNS0_19identity_decomposerENS1_16block_id_wrapperIjLb0EEEEE10hipError_tT1_PNSt15iterator_traitsISI_E10value_typeET2_T3_PNSJ_ISO_E10value_typeET4_T5_PST_SU_PNS1_23onesweep_lookback_stateEbbT6_jjT7_P12ihipStream_tbENKUlT_T0_SI_SN_E_clIPjSD_S15_SD_EEDaS11_S12_SI_SN_EUlS11_E_NS1_11comp_targetILNS1_3genE2ELNS1_11target_archE906ELNS1_3gpuE6ELNS1_3repE0EEENS1_47radix_sort_onesweep_sort_config_static_selectorELNS0_4arch9wavefront6targetE1EEEvSI_ ; -- Begin function _ZN7rocprim17ROCPRIM_400000_NS6detail17trampoline_kernelINS0_14default_configENS1_35radix_sort_onesweep_config_selectorIjjEEZZNS1_29radix_sort_onesweep_iterationIS3_Lb0EN6thrust23THRUST_200600_302600_NS6detail15normal_iteratorINS8_10device_ptrIjEEEESD_SD_SD_jNS0_19identity_decomposerENS1_16block_id_wrapperIjLb0EEEEE10hipError_tT1_PNSt15iterator_traitsISI_E10value_typeET2_T3_PNSJ_ISO_E10value_typeET4_T5_PST_SU_PNS1_23onesweep_lookback_stateEbbT6_jjT7_P12ihipStream_tbENKUlT_T0_SI_SN_E_clIPjSD_S15_SD_EEDaS11_S12_SI_SN_EUlS11_E_NS1_11comp_targetILNS1_3genE2ELNS1_11target_archE906ELNS1_3gpuE6ELNS1_3repE0EEENS1_47radix_sort_onesweep_sort_config_static_selectorELNS0_4arch9wavefront6targetE1EEEvSI_
	.globl	_ZN7rocprim17ROCPRIM_400000_NS6detail17trampoline_kernelINS0_14default_configENS1_35radix_sort_onesweep_config_selectorIjjEEZZNS1_29radix_sort_onesweep_iterationIS3_Lb0EN6thrust23THRUST_200600_302600_NS6detail15normal_iteratorINS8_10device_ptrIjEEEESD_SD_SD_jNS0_19identity_decomposerENS1_16block_id_wrapperIjLb0EEEEE10hipError_tT1_PNSt15iterator_traitsISI_E10value_typeET2_T3_PNSJ_ISO_E10value_typeET4_T5_PST_SU_PNS1_23onesweep_lookback_stateEbbT6_jjT7_P12ihipStream_tbENKUlT_T0_SI_SN_E_clIPjSD_S15_SD_EEDaS11_S12_SI_SN_EUlS11_E_NS1_11comp_targetILNS1_3genE2ELNS1_11target_archE906ELNS1_3gpuE6ELNS1_3repE0EEENS1_47radix_sort_onesweep_sort_config_static_selectorELNS0_4arch9wavefront6targetE1EEEvSI_
	.p2align	8
	.type	_ZN7rocprim17ROCPRIM_400000_NS6detail17trampoline_kernelINS0_14default_configENS1_35radix_sort_onesweep_config_selectorIjjEEZZNS1_29radix_sort_onesweep_iterationIS3_Lb0EN6thrust23THRUST_200600_302600_NS6detail15normal_iteratorINS8_10device_ptrIjEEEESD_SD_SD_jNS0_19identity_decomposerENS1_16block_id_wrapperIjLb0EEEEE10hipError_tT1_PNSt15iterator_traitsISI_E10value_typeET2_T3_PNSJ_ISO_E10value_typeET4_T5_PST_SU_PNS1_23onesweep_lookback_stateEbbT6_jjT7_P12ihipStream_tbENKUlT_T0_SI_SN_E_clIPjSD_S15_SD_EEDaS11_S12_SI_SN_EUlS11_E_NS1_11comp_targetILNS1_3genE2ELNS1_11target_archE906ELNS1_3gpuE6ELNS1_3repE0EEENS1_47radix_sort_onesweep_sort_config_static_selectorELNS0_4arch9wavefront6targetE1EEEvSI_,@function
_ZN7rocprim17ROCPRIM_400000_NS6detail17trampoline_kernelINS0_14default_configENS1_35radix_sort_onesweep_config_selectorIjjEEZZNS1_29radix_sort_onesweep_iterationIS3_Lb0EN6thrust23THRUST_200600_302600_NS6detail15normal_iteratorINS8_10device_ptrIjEEEESD_SD_SD_jNS0_19identity_decomposerENS1_16block_id_wrapperIjLb0EEEEE10hipError_tT1_PNSt15iterator_traitsISI_E10value_typeET2_T3_PNSJ_ISO_E10value_typeET4_T5_PST_SU_PNS1_23onesweep_lookback_stateEbbT6_jjT7_P12ihipStream_tbENKUlT_T0_SI_SN_E_clIPjSD_S15_SD_EEDaS11_S12_SI_SN_EUlS11_E_NS1_11comp_targetILNS1_3genE2ELNS1_11target_archE906ELNS1_3gpuE6ELNS1_3repE0EEENS1_47radix_sort_onesweep_sort_config_static_selectorELNS0_4arch9wavefront6targetE1EEEvSI_: ; @_ZN7rocprim17ROCPRIM_400000_NS6detail17trampoline_kernelINS0_14default_configENS1_35radix_sort_onesweep_config_selectorIjjEEZZNS1_29radix_sort_onesweep_iterationIS3_Lb0EN6thrust23THRUST_200600_302600_NS6detail15normal_iteratorINS8_10device_ptrIjEEEESD_SD_SD_jNS0_19identity_decomposerENS1_16block_id_wrapperIjLb0EEEEE10hipError_tT1_PNSt15iterator_traitsISI_E10value_typeET2_T3_PNSJ_ISO_E10value_typeET4_T5_PST_SU_PNS1_23onesweep_lookback_stateEbbT6_jjT7_P12ihipStream_tbENKUlT_T0_SI_SN_E_clIPjSD_S15_SD_EEDaS11_S12_SI_SN_EUlS11_E_NS1_11comp_targetILNS1_3genE2ELNS1_11target_archE906ELNS1_3gpuE6ELNS1_3repE0EEENS1_47radix_sort_onesweep_sort_config_static_selectorELNS0_4arch9wavefront6targetE1EEEvSI_
; %bb.0:
	.section	.rodata,"a",@progbits
	.p2align	6, 0x0
	.amdhsa_kernel _ZN7rocprim17ROCPRIM_400000_NS6detail17trampoline_kernelINS0_14default_configENS1_35radix_sort_onesweep_config_selectorIjjEEZZNS1_29radix_sort_onesweep_iterationIS3_Lb0EN6thrust23THRUST_200600_302600_NS6detail15normal_iteratorINS8_10device_ptrIjEEEESD_SD_SD_jNS0_19identity_decomposerENS1_16block_id_wrapperIjLb0EEEEE10hipError_tT1_PNSt15iterator_traitsISI_E10value_typeET2_T3_PNSJ_ISO_E10value_typeET4_T5_PST_SU_PNS1_23onesweep_lookback_stateEbbT6_jjT7_P12ihipStream_tbENKUlT_T0_SI_SN_E_clIPjSD_S15_SD_EEDaS11_S12_SI_SN_EUlS11_E_NS1_11comp_targetILNS1_3genE2ELNS1_11target_archE906ELNS1_3gpuE6ELNS1_3repE0EEENS1_47radix_sort_onesweep_sort_config_static_selectorELNS0_4arch9wavefront6targetE1EEEvSI_
		.amdhsa_group_segment_fixed_size 0
		.amdhsa_private_segment_fixed_size 0
		.amdhsa_kernarg_size 88
		.amdhsa_user_sgpr_count 2
		.amdhsa_user_sgpr_dispatch_ptr 0
		.amdhsa_user_sgpr_queue_ptr 0
		.amdhsa_user_sgpr_kernarg_segment_ptr 1
		.amdhsa_user_sgpr_dispatch_id 0
		.amdhsa_user_sgpr_kernarg_preload_length 0
		.amdhsa_user_sgpr_kernarg_preload_offset 0
		.amdhsa_user_sgpr_private_segment_size 0
		.amdhsa_uses_dynamic_stack 0
		.amdhsa_enable_private_segment 0
		.amdhsa_system_sgpr_workgroup_id_x 1
		.amdhsa_system_sgpr_workgroup_id_y 0
		.amdhsa_system_sgpr_workgroup_id_z 0
		.amdhsa_system_sgpr_workgroup_info 0
		.amdhsa_system_vgpr_workitem_id 0
		.amdhsa_next_free_vgpr 1
		.amdhsa_next_free_sgpr 0
		.amdhsa_accum_offset 4
		.amdhsa_reserve_vcc 0
		.amdhsa_float_round_mode_32 0
		.amdhsa_float_round_mode_16_64 0
		.amdhsa_float_denorm_mode_32 3
		.amdhsa_float_denorm_mode_16_64 3
		.amdhsa_dx10_clamp 1
		.amdhsa_ieee_mode 1
		.amdhsa_fp16_overflow 0
		.amdhsa_tg_split 0
		.amdhsa_exception_fp_ieee_invalid_op 0
		.amdhsa_exception_fp_denorm_src 0
		.amdhsa_exception_fp_ieee_div_zero 0
		.amdhsa_exception_fp_ieee_overflow 0
		.amdhsa_exception_fp_ieee_underflow 0
		.amdhsa_exception_fp_ieee_inexact 0
		.amdhsa_exception_int_div_zero 0
	.end_amdhsa_kernel
	.section	.text._ZN7rocprim17ROCPRIM_400000_NS6detail17trampoline_kernelINS0_14default_configENS1_35radix_sort_onesweep_config_selectorIjjEEZZNS1_29radix_sort_onesweep_iterationIS3_Lb0EN6thrust23THRUST_200600_302600_NS6detail15normal_iteratorINS8_10device_ptrIjEEEESD_SD_SD_jNS0_19identity_decomposerENS1_16block_id_wrapperIjLb0EEEEE10hipError_tT1_PNSt15iterator_traitsISI_E10value_typeET2_T3_PNSJ_ISO_E10value_typeET4_T5_PST_SU_PNS1_23onesweep_lookback_stateEbbT6_jjT7_P12ihipStream_tbENKUlT_T0_SI_SN_E_clIPjSD_S15_SD_EEDaS11_S12_SI_SN_EUlS11_E_NS1_11comp_targetILNS1_3genE2ELNS1_11target_archE906ELNS1_3gpuE6ELNS1_3repE0EEENS1_47radix_sort_onesweep_sort_config_static_selectorELNS0_4arch9wavefront6targetE1EEEvSI_,"axG",@progbits,_ZN7rocprim17ROCPRIM_400000_NS6detail17trampoline_kernelINS0_14default_configENS1_35radix_sort_onesweep_config_selectorIjjEEZZNS1_29radix_sort_onesweep_iterationIS3_Lb0EN6thrust23THRUST_200600_302600_NS6detail15normal_iteratorINS8_10device_ptrIjEEEESD_SD_SD_jNS0_19identity_decomposerENS1_16block_id_wrapperIjLb0EEEEE10hipError_tT1_PNSt15iterator_traitsISI_E10value_typeET2_T3_PNSJ_ISO_E10value_typeET4_T5_PST_SU_PNS1_23onesweep_lookback_stateEbbT6_jjT7_P12ihipStream_tbENKUlT_T0_SI_SN_E_clIPjSD_S15_SD_EEDaS11_S12_SI_SN_EUlS11_E_NS1_11comp_targetILNS1_3genE2ELNS1_11target_archE906ELNS1_3gpuE6ELNS1_3repE0EEENS1_47radix_sort_onesweep_sort_config_static_selectorELNS0_4arch9wavefront6targetE1EEEvSI_,comdat
.Lfunc_end799:
	.size	_ZN7rocprim17ROCPRIM_400000_NS6detail17trampoline_kernelINS0_14default_configENS1_35radix_sort_onesweep_config_selectorIjjEEZZNS1_29radix_sort_onesweep_iterationIS3_Lb0EN6thrust23THRUST_200600_302600_NS6detail15normal_iteratorINS8_10device_ptrIjEEEESD_SD_SD_jNS0_19identity_decomposerENS1_16block_id_wrapperIjLb0EEEEE10hipError_tT1_PNSt15iterator_traitsISI_E10value_typeET2_T3_PNSJ_ISO_E10value_typeET4_T5_PST_SU_PNS1_23onesweep_lookback_stateEbbT6_jjT7_P12ihipStream_tbENKUlT_T0_SI_SN_E_clIPjSD_S15_SD_EEDaS11_S12_SI_SN_EUlS11_E_NS1_11comp_targetILNS1_3genE2ELNS1_11target_archE906ELNS1_3gpuE6ELNS1_3repE0EEENS1_47radix_sort_onesweep_sort_config_static_selectorELNS0_4arch9wavefront6targetE1EEEvSI_, .Lfunc_end799-_ZN7rocprim17ROCPRIM_400000_NS6detail17trampoline_kernelINS0_14default_configENS1_35radix_sort_onesweep_config_selectorIjjEEZZNS1_29radix_sort_onesweep_iterationIS3_Lb0EN6thrust23THRUST_200600_302600_NS6detail15normal_iteratorINS8_10device_ptrIjEEEESD_SD_SD_jNS0_19identity_decomposerENS1_16block_id_wrapperIjLb0EEEEE10hipError_tT1_PNSt15iterator_traitsISI_E10value_typeET2_T3_PNSJ_ISO_E10value_typeET4_T5_PST_SU_PNS1_23onesweep_lookback_stateEbbT6_jjT7_P12ihipStream_tbENKUlT_T0_SI_SN_E_clIPjSD_S15_SD_EEDaS11_S12_SI_SN_EUlS11_E_NS1_11comp_targetILNS1_3genE2ELNS1_11target_archE906ELNS1_3gpuE6ELNS1_3repE0EEENS1_47radix_sort_onesweep_sort_config_static_selectorELNS0_4arch9wavefront6targetE1EEEvSI_
                                        ; -- End function
	.set _ZN7rocprim17ROCPRIM_400000_NS6detail17trampoline_kernelINS0_14default_configENS1_35radix_sort_onesweep_config_selectorIjjEEZZNS1_29radix_sort_onesweep_iterationIS3_Lb0EN6thrust23THRUST_200600_302600_NS6detail15normal_iteratorINS8_10device_ptrIjEEEESD_SD_SD_jNS0_19identity_decomposerENS1_16block_id_wrapperIjLb0EEEEE10hipError_tT1_PNSt15iterator_traitsISI_E10value_typeET2_T3_PNSJ_ISO_E10value_typeET4_T5_PST_SU_PNS1_23onesweep_lookback_stateEbbT6_jjT7_P12ihipStream_tbENKUlT_T0_SI_SN_E_clIPjSD_S15_SD_EEDaS11_S12_SI_SN_EUlS11_E_NS1_11comp_targetILNS1_3genE2ELNS1_11target_archE906ELNS1_3gpuE6ELNS1_3repE0EEENS1_47radix_sort_onesweep_sort_config_static_selectorELNS0_4arch9wavefront6targetE1EEEvSI_.num_vgpr, 0
	.set _ZN7rocprim17ROCPRIM_400000_NS6detail17trampoline_kernelINS0_14default_configENS1_35radix_sort_onesweep_config_selectorIjjEEZZNS1_29radix_sort_onesweep_iterationIS3_Lb0EN6thrust23THRUST_200600_302600_NS6detail15normal_iteratorINS8_10device_ptrIjEEEESD_SD_SD_jNS0_19identity_decomposerENS1_16block_id_wrapperIjLb0EEEEE10hipError_tT1_PNSt15iterator_traitsISI_E10value_typeET2_T3_PNSJ_ISO_E10value_typeET4_T5_PST_SU_PNS1_23onesweep_lookback_stateEbbT6_jjT7_P12ihipStream_tbENKUlT_T0_SI_SN_E_clIPjSD_S15_SD_EEDaS11_S12_SI_SN_EUlS11_E_NS1_11comp_targetILNS1_3genE2ELNS1_11target_archE906ELNS1_3gpuE6ELNS1_3repE0EEENS1_47radix_sort_onesweep_sort_config_static_selectorELNS0_4arch9wavefront6targetE1EEEvSI_.num_agpr, 0
	.set _ZN7rocprim17ROCPRIM_400000_NS6detail17trampoline_kernelINS0_14default_configENS1_35radix_sort_onesweep_config_selectorIjjEEZZNS1_29radix_sort_onesweep_iterationIS3_Lb0EN6thrust23THRUST_200600_302600_NS6detail15normal_iteratorINS8_10device_ptrIjEEEESD_SD_SD_jNS0_19identity_decomposerENS1_16block_id_wrapperIjLb0EEEEE10hipError_tT1_PNSt15iterator_traitsISI_E10value_typeET2_T3_PNSJ_ISO_E10value_typeET4_T5_PST_SU_PNS1_23onesweep_lookback_stateEbbT6_jjT7_P12ihipStream_tbENKUlT_T0_SI_SN_E_clIPjSD_S15_SD_EEDaS11_S12_SI_SN_EUlS11_E_NS1_11comp_targetILNS1_3genE2ELNS1_11target_archE906ELNS1_3gpuE6ELNS1_3repE0EEENS1_47radix_sort_onesweep_sort_config_static_selectorELNS0_4arch9wavefront6targetE1EEEvSI_.numbered_sgpr, 0
	.set _ZN7rocprim17ROCPRIM_400000_NS6detail17trampoline_kernelINS0_14default_configENS1_35radix_sort_onesweep_config_selectorIjjEEZZNS1_29radix_sort_onesweep_iterationIS3_Lb0EN6thrust23THRUST_200600_302600_NS6detail15normal_iteratorINS8_10device_ptrIjEEEESD_SD_SD_jNS0_19identity_decomposerENS1_16block_id_wrapperIjLb0EEEEE10hipError_tT1_PNSt15iterator_traitsISI_E10value_typeET2_T3_PNSJ_ISO_E10value_typeET4_T5_PST_SU_PNS1_23onesweep_lookback_stateEbbT6_jjT7_P12ihipStream_tbENKUlT_T0_SI_SN_E_clIPjSD_S15_SD_EEDaS11_S12_SI_SN_EUlS11_E_NS1_11comp_targetILNS1_3genE2ELNS1_11target_archE906ELNS1_3gpuE6ELNS1_3repE0EEENS1_47radix_sort_onesweep_sort_config_static_selectorELNS0_4arch9wavefront6targetE1EEEvSI_.num_named_barrier, 0
	.set _ZN7rocprim17ROCPRIM_400000_NS6detail17trampoline_kernelINS0_14default_configENS1_35radix_sort_onesweep_config_selectorIjjEEZZNS1_29radix_sort_onesweep_iterationIS3_Lb0EN6thrust23THRUST_200600_302600_NS6detail15normal_iteratorINS8_10device_ptrIjEEEESD_SD_SD_jNS0_19identity_decomposerENS1_16block_id_wrapperIjLb0EEEEE10hipError_tT1_PNSt15iterator_traitsISI_E10value_typeET2_T3_PNSJ_ISO_E10value_typeET4_T5_PST_SU_PNS1_23onesweep_lookback_stateEbbT6_jjT7_P12ihipStream_tbENKUlT_T0_SI_SN_E_clIPjSD_S15_SD_EEDaS11_S12_SI_SN_EUlS11_E_NS1_11comp_targetILNS1_3genE2ELNS1_11target_archE906ELNS1_3gpuE6ELNS1_3repE0EEENS1_47radix_sort_onesweep_sort_config_static_selectorELNS0_4arch9wavefront6targetE1EEEvSI_.private_seg_size, 0
	.set _ZN7rocprim17ROCPRIM_400000_NS6detail17trampoline_kernelINS0_14default_configENS1_35radix_sort_onesweep_config_selectorIjjEEZZNS1_29radix_sort_onesweep_iterationIS3_Lb0EN6thrust23THRUST_200600_302600_NS6detail15normal_iteratorINS8_10device_ptrIjEEEESD_SD_SD_jNS0_19identity_decomposerENS1_16block_id_wrapperIjLb0EEEEE10hipError_tT1_PNSt15iterator_traitsISI_E10value_typeET2_T3_PNSJ_ISO_E10value_typeET4_T5_PST_SU_PNS1_23onesweep_lookback_stateEbbT6_jjT7_P12ihipStream_tbENKUlT_T0_SI_SN_E_clIPjSD_S15_SD_EEDaS11_S12_SI_SN_EUlS11_E_NS1_11comp_targetILNS1_3genE2ELNS1_11target_archE906ELNS1_3gpuE6ELNS1_3repE0EEENS1_47radix_sort_onesweep_sort_config_static_selectorELNS0_4arch9wavefront6targetE1EEEvSI_.uses_vcc, 0
	.set _ZN7rocprim17ROCPRIM_400000_NS6detail17trampoline_kernelINS0_14default_configENS1_35radix_sort_onesweep_config_selectorIjjEEZZNS1_29radix_sort_onesweep_iterationIS3_Lb0EN6thrust23THRUST_200600_302600_NS6detail15normal_iteratorINS8_10device_ptrIjEEEESD_SD_SD_jNS0_19identity_decomposerENS1_16block_id_wrapperIjLb0EEEEE10hipError_tT1_PNSt15iterator_traitsISI_E10value_typeET2_T3_PNSJ_ISO_E10value_typeET4_T5_PST_SU_PNS1_23onesweep_lookback_stateEbbT6_jjT7_P12ihipStream_tbENKUlT_T0_SI_SN_E_clIPjSD_S15_SD_EEDaS11_S12_SI_SN_EUlS11_E_NS1_11comp_targetILNS1_3genE2ELNS1_11target_archE906ELNS1_3gpuE6ELNS1_3repE0EEENS1_47radix_sort_onesweep_sort_config_static_selectorELNS0_4arch9wavefront6targetE1EEEvSI_.uses_flat_scratch, 0
	.set _ZN7rocprim17ROCPRIM_400000_NS6detail17trampoline_kernelINS0_14default_configENS1_35radix_sort_onesweep_config_selectorIjjEEZZNS1_29radix_sort_onesweep_iterationIS3_Lb0EN6thrust23THRUST_200600_302600_NS6detail15normal_iteratorINS8_10device_ptrIjEEEESD_SD_SD_jNS0_19identity_decomposerENS1_16block_id_wrapperIjLb0EEEEE10hipError_tT1_PNSt15iterator_traitsISI_E10value_typeET2_T3_PNSJ_ISO_E10value_typeET4_T5_PST_SU_PNS1_23onesweep_lookback_stateEbbT6_jjT7_P12ihipStream_tbENKUlT_T0_SI_SN_E_clIPjSD_S15_SD_EEDaS11_S12_SI_SN_EUlS11_E_NS1_11comp_targetILNS1_3genE2ELNS1_11target_archE906ELNS1_3gpuE6ELNS1_3repE0EEENS1_47radix_sort_onesweep_sort_config_static_selectorELNS0_4arch9wavefront6targetE1EEEvSI_.has_dyn_sized_stack, 0
	.set _ZN7rocprim17ROCPRIM_400000_NS6detail17trampoline_kernelINS0_14default_configENS1_35radix_sort_onesweep_config_selectorIjjEEZZNS1_29radix_sort_onesweep_iterationIS3_Lb0EN6thrust23THRUST_200600_302600_NS6detail15normal_iteratorINS8_10device_ptrIjEEEESD_SD_SD_jNS0_19identity_decomposerENS1_16block_id_wrapperIjLb0EEEEE10hipError_tT1_PNSt15iterator_traitsISI_E10value_typeET2_T3_PNSJ_ISO_E10value_typeET4_T5_PST_SU_PNS1_23onesweep_lookback_stateEbbT6_jjT7_P12ihipStream_tbENKUlT_T0_SI_SN_E_clIPjSD_S15_SD_EEDaS11_S12_SI_SN_EUlS11_E_NS1_11comp_targetILNS1_3genE2ELNS1_11target_archE906ELNS1_3gpuE6ELNS1_3repE0EEENS1_47radix_sort_onesweep_sort_config_static_selectorELNS0_4arch9wavefront6targetE1EEEvSI_.has_recursion, 0
	.set _ZN7rocprim17ROCPRIM_400000_NS6detail17trampoline_kernelINS0_14default_configENS1_35radix_sort_onesweep_config_selectorIjjEEZZNS1_29radix_sort_onesweep_iterationIS3_Lb0EN6thrust23THRUST_200600_302600_NS6detail15normal_iteratorINS8_10device_ptrIjEEEESD_SD_SD_jNS0_19identity_decomposerENS1_16block_id_wrapperIjLb0EEEEE10hipError_tT1_PNSt15iterator_traitsISI_E10value_typeET2_T3_PNSJ_ISO_E10value_typeET4_T5_PST_SU_PNS1_23onesweep_lookback_stateEbbT6_jjT7_P12ihipStream_tbENKUlT_T0_SI_SN_E_clIPjSD_S15_SD_EEDaS11_S12_SI_SN_EUlS11_E_NS1_11comp_targetILNS1_3genE2ELNS1_11target_archE906ELNS1_3gpuE6ELNS1_3repE0EEENS1_47radix_sort_onesweep_sort_config_static_selectorELNS0_4arch9wavefront6targetE1EEEvSI_.has_indirect_call, 0
	.section	.AMDGPU.csdata,"",@progbits
; Kernel info:
; codeLenInByte = 0
; TotalNumSgprs: 6
; NumVgprs: 0
; NumAgprs: 0
; TotalNumVgprs: 0
; ScratchSize: 0
; MemoryBound: 0
; FloatMode: 240
; IeeeMode: 1
; LDSByteSize: 0 bytes/workgroup (compile time only)
; SGPRBlocks: 0
; VGPRBlocks: 0
; NumSGPRsForWavesPerEU: 6
; NumVGPRsForWavesPerEU: 1
; AccumOffset: 4
; Occupancy: 8
; WaveLimiterHint : 0
; COMPUTE_PGM_RSRC2:SCRATCH_EN: 0
; COMPUTE_PGM_RSRC2:USER_SGPR: 2
; COMPUTE_PGM_RSRC2:TRAP_HANDLER: 0
; COMPUTE_PGM_RSRC2:TGID_X_EN: 1
; COMPUTE_PGM_RSRC2:TGID_Y_EN: 0
; COMPUTE_PGM_RSRC2:TGID_Z_EN: 0
; COMPUTE_PGM_RSRC2:TIDIG_COMP_CNT: 0
; COMPUTE_PGM_RSRC3_GFX90A:ACCUM_OFFSET: 0
; COMPUTE_PGM_RSRC3_GFX90A:TG_SPLIT: 0
	.section	.text._ZN7rocprim17ROCPRIM_400000_NS6detail17trampoline_kernelINS0_14default_configENS1_35radix_sort_onesweep_config_selectorIjjEEZZNS1_29radix_sort_onesweep_iterationIS3_Lb0EN6thrust23THRUST_200600_302600_NS6detail15normal_iteratorINS8_10device_ptrIjEEEESD_SD_SD_jNS0_19identity_decomposerENS1_16block_id_wrapperIjLb0EEEEE10hipError_tT1_PNSt15iterator_traitsISI_E10value_typeET2_T3_PNSJ_ISO_E10value_typeET4_T5_PST_SU_PNS1_23onesweep_lookback_stateEbbT6_jjT7_P12ihipStream_tbENKUlT_T0_SI_SN_E_clIPjSD_S15_SD_EEDaS11_S12_SI_SN_EUlS11_E_NS1_11comp_targetILNS1_3genE4ELNS1_11target_archE910ELNS1_3gpuE8ELNS1_3repE0EEENS1_47radix_sort_onesweep_sort_config_static_selectorELNS0_4arch9wavefront6targetE1EEEvSI_,"axG",@progbits,_ZN7rocprim17ROCPRIM_400000_NS6detail17trampoline_kernelINS0_14default_configENS1_35radix_sort_onesweep_config_selectorIjjEEZZNS1_29radix_sort_onesweep_iterationIS3_Lb0EN6thrust23THRUST_200600_302600_NS6detail15normal_iteratorINS8_10device_ptrIjEEEESD_SD_SD_jNS0_19identity_decomposerENS1_16block_id_wrapperIjLb0EEEEE10hipError_tT1_PNSt15iterator_traitsISI_E10value_typeET2_T3_PNSJ_ISO_E10value_typeET4_T5_PST_SU_PNS1_23onesweep_lookback_stateEbbT6_jjT7_P12ihipStream_tbENKUlT_T0_SI_SN_E_clIPjSD_S15_SD_EEDaS11_S12_SI_SN_EUlS11_E_NS1_11comp_targetILNS1_3genE4ELNS1_11target_archE910ELNS1_3gpuE8ELNS1_3repE0EEENS1_47radix_sort_onesweep_sort_config_static_selectorELNS0_4arch9wavefront6targetE1EEEvSI_,comdat
	.protected	_ZN7rocprim17ROCPRIM_400000_NS6detail17trampoline_kernelINS0_14default_configENS1_35radix_sort_onesweep_config_selectorIjjEEZZNS1_29radix_sort_onesweep_iterationIS3_Lb0EN6thrust23THRUST_200600_302600_NS6detail15normal_iteratorINS8_10device_ptrIjEEEESD_SD_SD_jNS0_19identity_decomposerENS1_16block_id_wrapperIjLb0EEEEE10hipError_tT1_PNSt15iterator_traitsISI_E10value_typeET2_T3_PNSJ_ISO_E10value_typeET4_T5_PST_SU_PNS1_23onesweep_lookback_stateEbbT6_jjT7_P12ihipStream_tbENKUlT_T0_SI_SN_E_clIPjSD_S15_SD_EEDaS11_S12_SI_SN_EUlS11_E_NS1_11comp_targetILNS1_3genE4ELNS1_11target_archE910ELNS1_3gpuE8ELNS1_3repE0EEENS1_47radix_sort_onesweep_sort_config_static_selectorELNS0_4arch9wavefront6targetE1EEEvSI_ ; -- Begin function _ZN7rocprim17ROCPRIM_400000_NS6detail17trampoline_kernelINS0_14default_configENS1_35radix_sort_onesweep_config_selectorIjjEEZZNS1_29radix_sort_onesweep_iterationIS3_Lb0EN6thrust23THRUST_200600_302600_NS6detail15normal_iteratorINS8_10device_ptrIjEEEESD_SD_SD_jNS0_19identity_decomposerENS1_16block_id_wrapperIjLb0EEEEE10hipError_tT1_PNSt15iterator_traitsISI_E10value_typeET2_T3_PNSJ_ISO_E10value_typeET4_T5_PST_SU_PNS1_23onesweep_lookback_stateEbbT6_jjT7_P12ihipStream_tbENKUlT_T0_SI_SN_E_clIPjSD_S15_SD_EEDaS11_S12_SI_SN_EUlS11_E_NS1_11comp_targetILNS1_3genE4ELNS1_11target_archE910ELNS1_3gpuE8ELNS1_3repE0EEENS1_47radix_sort_onesweep_sort_config_static_selectorELNS0_4arch9wavefront6targetE1EEEvSI_
	.globl	_ZN7rocprim17ROCPRIM_400000_NS6detail17trampoline_kernelINS0_14default_configENS1_35radix_sort_onesweep_config_selectorIjjEEZZNS1_29radix_sort_onesweep_iterationIS3_Lb0EN6thrust23THRUST_200600_302600_NS6detail15normal_iteratorINS8_10device_ptrIjEEEESD_SD_SD_jNS0_19identity_decomposerENS1_16block_id_wrapperIjLb0EEEEE10hipError_tT1_PNSt15iterator_traitsISI_E10value_typeET2_T3_PNSJ_ISO_E10value_typeET4_T5_PST_SU_PNS1_23onesweep_lookback_stateEbbT6_jjT7_P12ihipStream_tbENKUlT_T0_SI_SN_E_clIPjSD_S15_SD_EEDaS11_S12_SI_SN_EUlS11_E_NS1_11comp_targetILNS1_3genE4ELNS1_11target_archE910ELNS1_3gpuE8ELNS1_3repE0EEENS1_47radix_sort_onesweep_sort_config_static_selectorELNS0_4arch9wavefront6targetE1EEEvSI_
	.p2align	8
	.type	_ZN7rocprim17ROCPRIM_400000_NS6detail17trampoline_kernelINS0_14default_configENS1_35radix_sort_onesweep_config_selectorIjjEEZZNS1_29radix_sort_onesweep_iterationIS3_Lb0EN6thrust23THRUST_200600_302600_NS6detail15normal_iteratorINS8_10device_ptrIjEEEESD_SD_SD_jNS0_19identity_decomposerENS1_16block_id_wrapperIjLb0EEEEE10hipError_tT1_PNSt15iterator_traitsISI_E10value_typeET2_T3_PNSJ_ISO_E10value_typeET4_T5_PST_SU_PNS1_23onesweep_lookback_stateEbbT6_jjT7_P12ihipStream_tbENKUlT_T0_SI_SN_E_clIPjSD_S15_SD_EEDaS11_S12_SI_SN_EUlS11_E_NS1_11comp_targetILNS1_3genE4ELNS1_11target_archE910ELNS1_3gpuE8ELNS1_3repE0EEENS1_47radix_sort_onesweep_sort_config_static_selectorELNS0_4arch9wavefront6targetE1EEEvSI_,@function
_ZN7rocprim17ROCPRIM_400000_NS6detail17trampoline_kernelINS0_14default_configENS1_35radix_sort_onesweep_config_selectorIjjEEZZNS1_29radix_sort_onesweep_iterationIS3_Lb0EN6thrust23THRUST_200600_302600_NS6detail15normal_iteratorINS8_10device_ptrIjEEEESD_SD_SD_jNS0_19identity_decomposerENS1_16block_id_wrapperIjLb0EEEEE10hipError_tT1_PNSt15iterator_traitsISI_E10value_typeET2_T3_PNSJ_ISO_E10value_typeET4_T5_PST_SU_PNS1_23onesweep_lookback_stateEbbT6_jjT7_P12ihipStream_tbENKUlT_T0_SI_SN_E_clIPjSD_S15_SD_EEDaS11_S12_SI_SN_EUlS11_E_NS1_11comp_targetILNS1_3genE4ELNS1_11target_archE910ELNS1_3gpuE8ELNS1_3repE0EEENS1_47radix_sort_onesweep_sort_config_static_selectorELNS0_4arch9wavefront6targetE1EEEvSI_: ; @_ZN7rocprim17ROCPRIM_400000_NS6detail17trampoline_kernelINS0_14default_configENS1_35radix_sort_onesweep_config_selectorIjjEEZZNS1_29radix_sort_onesweep_iterationIS3_Lb0EN6thrust23THRUST_200600_302600_NS6detail15normal_iteratorINS8_10device_ptrIjEEEESD_SD_SD_jNS0_19identity_decomposerENS1_16block_id_wrapperIjLb0EEEEE10hipError_tT1_PNSt15iterator_traitsISI_E10value_typeET2_T3_PNSJ_ISO_E10value_typeET4_T5_PST_SU_PNS1_23onesweep_lookback_stateEbbT6_jjT7_P12ihipStream_tbENKUlT_T0_SI_SN_E_clIPjSD_S15_SD_EEDaS11_S12_SI_SN_EUlS11_E_NS1_11comp_targetILNS1_3genE4ELNS1_11target_archE910ELNS1_3gpuE8ELNS1_3repE0EEENS1_47radix_sort_onesweep_sort_config_static_selectorELNS0_4arch9wavefront6targetE1EEEvSI_
; %bb.0:
	.section	.rodata,"a",@progbits
	.p2align	6, 0x0
	.amdhsa_kernel _ZN7rocprim17ROCPRIM_400000_NS6detail17trampoline_kernelINS0_14default_configENS1_35radix_sort_onesweep_config_selectorIjjEEZZNS1_29radix_sort_onesweep_iterationIS3_Lb0EN6thrust23THRUST_200600_302600_NS6detail15normal_iteratorINS8_10device_ptrIjEEEESD_SD_SD_jNS0_19identity_decomposerENS1_16block_id_wrapperIjLb0EEEEE10hipError_tT1_PNSt15iterator_traitsISI_E10value_typeET2_T3_PNSJ_ISO_E10value_typeET4_T5_PST_SU_PNS1_23onesweep_lookback_stateEbbT6_jjT7_P12ihipStream_tbENKUlT_T0_SI_SN_E_clIPjSD_S15_SD_EEDaS11_S12_SI_SN_EUlS11_E_NS1_11comp_targetILNS1_3genE4ELNS1_11target_archE910ELNS1_3gpuE8ELNS1_3repE0EEENS1_47radix_sort_onesweep_sort_config_static_selectorELNS0_4arch9wavefront6targetE1EEEvSI_
		.amdhsa_group_segment_fixed_size 0
		.amdhsa_private_segment_fixed_size 0
		.amdhsa_kernarg_size 88
		.amdhsa_user_sgpr_count 2
		.amdhsa_user_sgpr_dispatch_ptr 0
		.amdhsa_user_sgpr_queue_ptr 0
		.amdhsa_user_sgpr_kernarg_segment_ptr 1
		.amdhsa_user_sgpr_dispatch_id 0
		.amdhsa_user_sgpr_kernarg_preload_length 0
		.amdhsa_user_sgpr_kernarg_preload_offset 0
		.amdhsa_user_sgpr_private_segment_size 0
		.amdhsa_uses_dynamic_stack 0
		.amdhsa_enable_private_segment 0
		.amdhsa_system_sgpr_workgroup_id_x 1
		.amdhsa_system_sgpr_workgroup_id_y 0
		.amdhsa_system_sgpr_workgroup_id_z 0
		.amdhsa_system_sgpr_workgroup_info 0
		.amdhsa_system_vgpr_workitem_id 0
		.amdhsa_next_free_vgpr 1
		.amdhsa_next_free_sgpr 0
		.amdhsa_accum_offset 4
		.amdhsa_reserve_vcc 0
		.amdhsa_float_round_mode_32 0
		.amdhsa_float_round_mode_16_64 0
		.amdhsa_float_denorm_mode_32 3
		.amdhsa_float_denorm_mode_16_64 3
		.amdhsa_dx10_clamp 1
		.amdhsa_ieee_mode 1
		.amdhsa_fp16_overflow 0
		.amdhsa_tg_split 0
		.amdhsa_exception_fp_ieee_invalid_op 0
		.amdhsa_exception_fp_denorm_src 0
		.amdhsa_exception_fp_ieee_div_zero 0
		.amdhsa_exception_fp_ieee_overflow 0
		.amdhsa_exception_fp_ieee_underflow 0
		.amdhsa_exception_fp_ieee_inexact 0
		.amdhsa_exception_int_div_zero 0
	.end_amdhsa_kernel
	.section	.text._ZN7rocprim17ROCPRIM_400000_NS6detail17trampoline_kernelINS0_14default_configENS1_35radix_sort_onesweep_config_selectorIjjEEZZNS1_29radix_sort_onesweep_iterationIS3_Lb0EN6thrust23THRUST_200600_302600_NS6detail15normal_iteratorINS8_10device_ptrIjEEEESD_SD_SD_jNS0_19identity_decomposerENS1_16block_id_wrapperIjLb0EEEEE10hipError_tT1_PNSt15iterator_traitsISI_E10value_typeET2_T3_PNSJ_ISO_E10value_typeET4_T5_PST_SU_PNS1_23onesweep_lookback_stateEbbT6_jjT7_P12ihipStream_tbENKUlT_T0_SI_SN_E_clIPjSD_S15_SD_EEDaS11_S12_SI_SN_EUlS11_E_NS1_11comp_targetILNS1_3genE4ELNS1_11target_archE910ELNS1_3gpuE8ELNS1_3repE0EEENS1_47radix_sort_onesweep_sort_config_static_selectorELNS0_4arch9wavefront6targetE1EEEvSI_,"axG",@progbits,_ZN7rocprim17ROCPRIM_400000_NS6detail17trampoline_kernelINS0_14default_configENS1_35radix_sort_onesweep_config_selectorIjjEEZZNS1_29radix_sort_onesweep_iterationIS3_Lb0EN6thrust23THRUST_200600_302600_NS6detail15normal_iteratorINS8_10device_ptrIjEEEESD_SD_SD_jNS0_19identity_decomposerENS1_16block_id_wrapperIjLb0EEEEE10hipError_tT1_PNSt15iterator_traitsISI_E10value_typeET2_T3_PNSJ_ISO_E10value_typeET4_T5_PST_SU_PNS1_23onesweep_lookback_stateEbbT6_jjT7_P12ihipStream_tbENKUlT_T0_SI_SN_E_clIPjSD_S15_SD_EEDaS11_S12_SI_SN_EUlS11_E_NS1_11comp_targetILNS1_3genE4ELNS1_11target_archE910ELNS1_3gpuE8ELNS1_3repE0EEENS1_47radix_sort_onesweep_sort_config_static_selectorELNS0_4arch9wavefront6targetE1EEEvSI_,comdat
.Lfunc_end800:
	.size	_ZN7rocprim17ROCPRIM_400000_NS6detail17trampoline_kernelINS0_14default_configENS1_35radix_sort_onesweep_config_selectorIjjEEZZNS1_29radix_sort_onesweep_iterationIS3_Lb0EN6thrust23THRUST_200600_302600_NS6detail15normal_iteratorINS8_10device_ptrIjEEEESD_SD_SD_jNS0_19identity_decomposerENS1_16block_id_wrapperIjLb0EEEEE10hipError_tT1_PNSt15iterator_traitsISI_E10value_typeET2_T3_PNSJ_ISO_E10value_typeET4_T5_PST_SU_PNS1_23onesweep_lookback_stateEbbT6_jjT7_P12ihipStream_tbENKUlT_T0_SI_SN_E_clIPjSD_S15_SD_EEDaS11_S12_SI_SN_EUlS11_E_NS1_11comp_targetILNS1_3genE4ELNS1_11target_archE910ELNS1_3gpuE8ELNS1_3repE0EEENS1_47radix_sort_onesweep_sort_config_static_selectorELNS0_4arch9wavefront6targetE1EEEvSI_, .Lfunc_end800-_ZN7rocprim17ROCPRIM_400000_NS6detail17trampoline_kernelINS0_14default_configENS1_35radix_sort_onesweep_config_selectorIjjEEZZNS1_29radix_sort_onesweep_iterationIS3_Lb0EN6thrust23THRUST_200600_302600_NS6detail15normal_iteratorINS8_10device_ptrIjEEEESD_SD_SD_jNS0_19identity_decomposerENS1_16block_id_wrapperIjLb0EEEEE10hipError_tT1_PNSt15iterator_traitsISI_E10value_typeET2_T3_PNSJ_ISO_E10value_typeET4_T5_PST_SU_PNS1_23onesweep_lookback_stateEbbT6_jjT7_P12ihipStream_tbENKUlT_T0_SI_SN_E_clIPjSD_S15_SD_EEDaS11_S12_SI_SN_EUlS11_E_NS1_11comp_targetILNS1_3genE4ELNS1_11target_archE910ELNS1_3gpuE8ELNS1_3repE0EEENS1_47radix_sort_onesweep_sort_config_static_selectorELNS0_4arch9wavefront6targetE1EEEvSI_
                                        ; -- End function
	.set _ZN7rocprim17ROCPRIM_400000_NS6detail17trampoline_kernelINS0_14default_configENS1_35radix_sort_onesweep_config_selectorIjjEEZZNS1_29radix_sort_onesweep_iterationIS3_Lb0EN6thrust23THRUST_200600_302600_NS6detail15normal_iteratorINS8_10device_ptrIjEEEESD_SD_SD_jNS0_19identity_decomposerENS1_16block_id_wrapperIjLb0EEEEE10hipError_tT1_PNSt15iterator_traitsISI_E10value_typeET2_T3_PNSJ_ISO_E10value_typeET4_T5_PST_SU_PNS1_23onesweep_lookback_stateEbbT6_jjT7_P12ihipStream_tbENKUlT_T0_SI_SN_E_clIPjSD_S15_SD_EEDaS11_S12_SI_SN_EUlS11_E_NS1_11comp_targetILNS1_3genE4ELNS1_11target_archE910ELNS1_3gpuE8ELNS1_3repE0EEENS1_47radix_sort_onesweep_sort_config_static_selectorELNS0_4arch9wavefront6targetE1EEEvSI_.num_vgpr, 0
	.set _ZN7rocprim17ROCPRIM_400000_NS6detail17trampoline_kernelINS0_14default_configENS1_35radix_sort_onesweep_config_selectorIjjEEZZNS1_29radix_sort_onesweep_iterationIS3_Lb0EN6thrust23THRUST_200600_302600_NS6detail15normal_iteratorINS8_10device_ptrIjEEEESD_SD_SD_jNS0_19identity_decomposerENS1_16block_id_wrapperIjLb0EEEEE10hipError_tT1_PNSt15iterator_traitsISI_E10value_typeET2_T3_PNSJ_ISO_E10value_typeET4_T5_PST_SU_PNS1_23onesweep_lookback_stateEbbT6_jjT7_P12ihipStream_tbENKUlT_T0_SI_SN_E_clIPjSD_S15_SD_EEDaS11_S12_SI_SN_EUlS11_E_NS1_11comp_targetILNS1_3genE4ELNS1_11target_archE910ELNS1_3gpuE8ELNS1_3repE0EEENS1_47radix_sort_onesweep_sort_config_static_selectorELNS0_4arch9wavefront6targetE1EEEvSI_.num_agpr, 0
	.set _ZN7rocprim17ROCPRIM_400000_NS6detail17trampoline_kernelINS0_14default_configENS1_35radix_sort_onesweep_config_selectorIjjEEZZNS1_29radix_sort_onesweep_iterationIS3_Lb0EN6thrust23THRUST_200600_302600_NS6detail15normal_iteratorINS8_10device_ptrIjEEEESD_SD_SD_jNS0_19identity_decomposerENS1_16block_id_wrapperIjLb0EEEEE10hipError_tT1_PNSt15iterator_traitsISI_E10value_typeET2_T3_PNSJ_ISO_E10value_typeET4_T5_PST_SU_PNS1_23onesweep_lookback_stateEbbT6_jjT7_P12ihipStream_tbENKUlT_T0_SI_SN_E_clIPjSD_S15_SD_EEDaS11_S12_SI_SN_EUlS11_E_NS1_11comp_targetILNS1_3genE4ELNS1_11target_archE910ELNS1_3gpuE8ELNS1_3repE0EEENS1_47radix_sort_onesweep_sort_config_static_selectorELNS0_4arch9wavefront6targetE1EEEvSI_.numbered_sgpr, 0
	.set _ZN7rocprim17ROCPRIM_400000_NS6detail17trampoline_kernelINS0_14default_configENS1_35radix_sort_onesweep_config_selectorIjjEEZZNS1_29radix_sort_onesweep_iterationIS3_Lb0EN6thrust23THRUST_200600_302600_NS6detail15normal_iteratorINS8_10device_ptrIjEEEESD_SD_SD_jNS0_19identity_decomposerENS1_16block_id_wrapperIjLb0EEEEE10hipError_tT1_PNSt15iterator_traitsISI_E10value_typeET2_T3_PNSJ_ISO_E10value_typeET4_T5_PST_SU_PNS1_23onesweep_lookback_stateEbbT6_jjT7_P12ihipStream_tbENKUlT_T0_SI_SN_E_clIPjSD_S15_SD_EEDaS11_S12_SI_SN_EUlS11_E_NS1_11comp_targetILNS1_3genE4ELNS1_11target_archE910ELNS1_3gpuE8ELNS1_3repE0EEENS1_47radix_sort_onesweep_sort_config_static_selectorELNS0_4arch9wavefront6targetE1EEEvSI_.num_named_barrier, 0
	.set _ZN7rocprim17ROCPRIM_400000_NS6detail17trampoline_kernelINS0_14default_configENS1_35radix_sort_onesweep_config_selectorIjjEEZZNS1_29radix_sort_onesweep_iterationIS3_Lb0EN6thrust23THRUST_200600_302600_NS6detail15normal_iteratorINS8_10device_ptrIjEEEESD_SD_SD_jNS0_19identity_decomposerENS1_16block_id_wrapperIjLb0EEEEE10hipError_tT1_PNSt15iterator_traitsISI_E10value_typeET2_T3_PNSJ_ISO_E10value_typeET4_T5_PST_SU_PNS1_23onesweep_lookback_stateEbbT6_jjT7_P12ihipStream_tbENKUlT_T0_SI_SN_E_clIPjSD_S15_SD_EEDaS11_S12_SI_SN_EUlS11_E_NS1_11comp_targetILNS1_3genE4ELNS1_11target_archE910ELNS1_3gpuE8ELNS1_3repE0EEENS1_47radix_sort_onesweep_sort_config_static_selectorELNS0_4arch9wavefront6targetE1EEEvSI_.private_seg_size, 0
	.set _ZN7rocprim17ROCPRIM_400000_NS6detail17trampoline_kernelINS0_14default_configENS1_35radix_sort_onesweep_config_selectorIjjEEZZNS1_29radix_sort_onesweep_iterationIS3_Lb0EN6thrust23THRUST_200600_302600_NS6detail15normal_iteratorINS8_10device_ptrIjEEEESD_SD_SD_jNS0_19identity_decomposerENS1_16block_id_wrapperIjLb0EEEEE10hipError_tT1_PNSt15iterator_traitsISI_E10value_typeET2_T3_PNSJ_ISO_E10value_typeET4_T5_PST_SU_PNS1_23onesweep_lookback_stateEbbT6_jjT7_P12ihipStream_tbENKUlT_T0_SI_SN_E_clIPjSD_S15_SD_EEDaS11_S12_SI_SN_EUlS11_E_NS1_11comp_targetILNS1_3genE4ELNS1_11target_archE910ELNS1_3gpuE8ELNS1_3repE0EEENS1_47radix_sort_onesweep_sort_config_static_selectorELNS0_4arch9wavefront6targetE1EEEvSI_.uses_vcc, 0
	.set _ZN7rocprim17ROCPRIM_400000_NS6detail17trampoline_kernelINS0_14default_configENS1_35radix_sort_onesweep_config_selectorIjjEEZZNS1_29radix_sort_onesweep_iterationIS3_Lb0EN6thrust23THRUST_200600_302600_NS6detail15normal_iteratorINS8_10device_ptrIjEEEESD_SD_SD_jNS0_19identity_decomposerENS1_16block_id_wrapperIjLb0EEEEE10hipError_tT1_PNSt15iterator_traitsISI_E10value_typeET2_T3_PNSJ_ISO_E10value_typeET4_T5_PST_SU_PNS1_23onesweep_lookback_stateEbbT6_jjT7_P12ihipStream_tbENKUlT_T0_SI_SN_E_clIPjSD_S15_SD_EEDaS11_S12_SI_SN_EUlS11_E_NS1_11comp_targetILNS1_3genE4ELNS1_11target_archE910ELNS1_3gpuE8ELNS1_3repE0EEENS1_47radix_sort_onesweep_sort_config_static_selectorELNS0_4arch9wavefront6targetE1EEEvSI_.uses_flat_scratch, 0
	.set _ZN7rocprim17ROCPRIM_400000_NS6detail17trampoline_kernelINS0_14default_configENS1_35radix_sort_onesweep_config_selectorIjjEEZZNS1_29radix_sort_onesweep_iterationIS3_Lb0EN6thrust23THRUST_200600_302600_NS6detail15normal_iteratorINS8_10device_ptrIjEEEESD_SD_SD_jNS0_19identity_decomposerENS1_16block_id_wrapperIjLb0EEEEE10hipError_tT1_PNSt15iterator_traitsISI_E10value_typeET2_T3_PNSJ_ISO_E10value_typeET4_T5_PST_SU_PNS1_23onesweep_lookback_stateEbbT6_jjT7_P12ihipStream_tbENKUlT_T0_SI_SN_E_clIPjSD_S15_SD_EEDaS11_S12_SI_SN_EUlS11_E_NS1_11comp_targetILNS1_3genE4ELNS1_11target_archE910ELNS1_3gpuE8ELNS1_3repE0EEENS1_47radix_sort_onesweep_sort_config_static_selectorELNS0_4arch9wavefront6targetE1EEEvSI_.has_dyn_sized_stack, 0
	.set _ZN7rocprim17ROCPRIM_400000_NS6detail17trampoline_kernelINS0_14default_configENS1_35radix_sort_onesweep_config_selectorIjjEEZZNS1_29radix_sort_onesweep_iterationIS3_Lb0EN6thrust23THRUST_200600_302600_NS6detail15normal_iteratorINS8_10device_ptrIjEEEESD_SD_SD_jNS0_19identity_decomposerENS1_16block_id_wrapperIjLb0EEEEE10hipError_tT1_PNSt15iterator_traitsISI_E10value_typeET2_T3_PNSJ_ISO_E10value_typeET4_T5_PST_SU_PNS1_23onesweep_lookback_stateEbbT6_jjT7_P12ihipStream_tbENKUlT_T0_SI_SN_E_clIPjSD_S15_SD_EEDaS11_S12_SI_SN_EUlS11_E_NS1_11comp_targetILNS1_3genE4ELNS1_11target_archE910ELNS1_3gpuE8ELNS1_3repE0EEENS1_47radix_sort_onesweep_sort_config_static_selectorELNS0_4arch9wavefront6targetE1EEEvSI_.has_recursion, 0
	.set _ZN7rocprim17ROCPRIM_400000_NS6detail17trampoline_kernelINS0_14default_configENS1_35radix_sort_onesweep_config_selectorIjjEEZZNS1_29radix_sort_onesweep_iterationIS3_Lb0EN6thrust23THRUST_200600_302600_NS6detail15normal_iteratorINS8_10device_ptrIjEEEESD_SD_SD_jNS0_19identity_decomposerENS1_16block_id_wrapperIjLb0EEEEE10hipError_tT1_PNSt15iterator_traitsISI_E10value_typeET2_T3_PNSJ_ISO_E10value_typeET4_T5_PST_SU_PNS1_23onesweep_lookback_stateEbbT6_jjT7_P12ihipStream_tbENKUlT_T0_SI_SN_E_clIPjSD_S15_SD_EEDaS11_S12_SI_SN_EUlS11_E_NS1_11comp_targetILNS1_3genE4ELNS1_11target_archE910ELNS1_3gpuE8ELNS1_3repE0EEENS1_47radix_sort_onesweep_sort_config_static_selectorELNS0_4arch9wavefront6targetE1EEEvSI_.has_indirect_call, 0
	.section	.AMDGPU.csdata,"",@progbits
; Kernel info:
; codeLenInByte = 0
; TotalNumSgprs: 6
; NumVgprs: 0
; NumAgprs: 0
; TotalNumVgprs: 0
; ScratchSize: 0
; MemoryBound: 0
; FloatMode: 240
; IeeeMode: 1
; LDSByteSize: 0 bytes/workgroup (compile time only)
; SGPRBlocks: 0
; VGPRBlocks: 0
; NumSGPRsForWavesPerEU: 6
; NumVGPRsForWavesPerEU: 1
; AccumOffset: 4
; Occupancy: 8
; WaveLimiterHint : 0
; COMPUTE_PGM_RSRC2:SCRATCH_EN: 0
; COMPUTE_PGM_RSRC2:USER_SGPR: 2
; COMPUTE_PGM_RSRC2:TRAP_HANDLER: 0
; COMPUTE_PGM_RSRC2:TGID_X_EN: 1
; COMPUTE_PGM_RSRC2:TGID_Y_EN: 0
; COMPUTE_PGM_RSRC2:TGID_Z_EN: 0
; COMPUTE_PGM_RSRC2:TIDIG_COMP_CNT: 0
; COMPUTE_PGM_RSRC3_GFX90A:ACCUM_OFFSET: 0
; COMPUTE_PGM_RSRC3_GFX90A:TG_SPLIT: 0
	.section	.text._ZN7rocprim17ROCPRIM_400000_NS6detail17trampoline_kernelINS0_14default_configENS1_35radix_sort_onesweep_config_selectorIjjEEZZNS1_29radix_sort_onesweep_iterationIS3_Lb0EN6thrust23THRUST_200600_302600_NS6detail15normal_iteratorINS8_10device_ptrIjEEEESD_SD_SD_jNS0_19identity_decomposerENS1_16block_id_wrapperIjLb0EEEEE10hipError_tT1_PNSt15iterator_traitsISI_E10value_typeET2_T3_PNSJ_ISO_E10value_typeET4_T5_PST_SU_PNS1_23onesweep_lookback_stateEbbT6_jjT7_P12ihipStream_tbENKUlT_T0_SI_SN_E_clIPjSD_S15_SD_EEDaS11_S12_SI_SN_EUlS11_E_NS1_11comp_targetILNS1_3genE3ELNS1_11target_archE908ELNS1_3gpuE7ELNS1_3repE0EEENS1_47radix_sort_onesweep_sort_config_static_selectorELNS0_4arch9wavefront6targetE1EEEvSI_,"axG",@progbits,_ZN7rocprim17ROCPRIM_400000_NS6detail17trampoline_kernelINS0_14default_configENS1_35radix_sort_onesweep_config_selectorIjjEEZZNS1_29radix_sort_onesweep_iterationIS3_Lb0EN6thrust23THRUST_200600_302600_NS6detail15normal_iteratorINS8_10device_ptrIjEEEESD_SD_SD_jNS0_19identity_decomposerENS1_16block_id_wrapperIjLb0EEEEE10hipError_tT1_PNSt15iterator_traitsISI_E10value_typeET2_T3_PNSJ_ISO_E10value_typeET4_T5_PST_SU_PNS1_23onesweep_lookback_stateEbbT6_jjT7_P12ihipStream_tbENKUlT_T0_SI_SN_E_clIPjSD_S15_SD_EEDaS11_S12_SI_SN_EUlS11_E_NS1_11comp_targetILNS1_3genE3ELNS1_11target_archE908ELNS1_3gpuE7ELNS1_3repE0EEENS1_47radix_sort_onesweep_sort_config_static_selectorELNS0_4arch9wavefront6targetE1EEEvSI_,comdat
	.protected	_ZN7rocprim17ROCPRIM_400000_NS6detail17trampoline_kernelINS0_14default_configENS1_35radix_sort_onesweep_config_selectorIjjEEZZNS1_29radix_sort_onesweep_iterationIS3_Lb0EN6thrust23THRUST_200600_302600_NS6detail15normal_iteratorINS8_10device_ptrIjEEEESD_SD_SD_jNS0_19identity_decomposerENS1_16block_id_wrapperIjLb0EEEEE10hipError_tT1_PNSt15iterator_traitsISI_E10value_typeET2_T3_PNSJ_ISO_E10value_typeET4_T5_PST_SU_PNS1_23onesweep_lookback_stateEbbT6_jjT7_P12ihipStream_tbENKUlT_T0_SI_SN_E_clIPjSD_S15_SD_EEDaS11_S12_SI_SN_EUlS11_E_NS1_11comp_targetILNS1_3genE3ELNS1_11target_archE908ELNS1_3gpuE7ELNS1_3repE0EEENS1_47radix_sort_onesweep_sort_config_static_selectorELNS0_4arch9wavefront6targetE1EEEvSI_ ; -- Begin function _ZN7rocprim17ROCPRIM_400000_NS6detail17trampoline_kernelINS0_14default_configENS1_35radix_sort_onesweep_config_selectorIjjEEZZNS1_29radix_sort_onesweep_iterationIS3_Lb0EN6thrust23THRUST_200600_302600_NS6detail15normal_iteratorINS8_10device_ptrIjEEEESD_SD_SD_jNS0_19identity_decomposerENS1_16block_id_wrapperIjLb0EEEEE10hipError_tT1_PNSt15iterator_traitsISI_E10value_typeET2_T3_PNSJ_ISO_E10value_typeET4_T5_PST_SU_PNS1_23onesweep_lookback_stateEbbT6_jjT7_P12ihipStream_tbENKUlT_T0_SI_SN_E_clIPjSD_S15_SD_EEDaS11_S12_SI_SN_EUlS11_E_NS1_11comp_targetILNS1_3genE3ELNS1_11target_archE908ELNS1_3gpuE7ELNS1_3repE0EEENS1_47radix_sort_onesweep_sort_config_static_selectorELNS0_4arch9wavefront6targetE1EEEvSI_
	.globl	_ZN7rocprim17ROCPRIM_400000_NS6detail17trampoline_kernelINS0_14default_configENS1_35radix_sort_onesweep_config_selectorIjjEEZZNS1_29radix_sort_onesweep_iterationIS3_Lb0EN6thrust23THRUST_200600_302600_NS6detail15normal_iteratorINS8_10device_ptrIjEEEESD_SD_SD_jNS0_19identity_decomposerENS1_16block_id_wrapperIjLb0EEEEE10hipError_tT1_PNSt15iterator_traitsISI_E10value_typeET2_T3_PNSJ_ISO_E10value_typeET4_T5_PST_SU_PNS1_23onesweep_lookback_stateEbbT6_jjT7_P12ihipStream_tbENKUlT_T0_SI_SN_E_clIPjSD_S15_SD_EEDaS11_S12_SI_SN_EUlS11_E_NS1_11comp_targetILNS1_3genE3ELNS1_11target_archE908ELNS1_3gpuE7ELNS1_3repE0EEENS1_47radix_sort_onesweep_sort_config_static_selectorELNS0_4arch9wavefront6targetE1EEEvSI_
	.p2align	8
	.type	_ZN7rocprim17ROCPRIM_400000_NS6detail17trampoline_kernelINS0_14default_configENS1_35radix_sort_onesweep_config_selectorIjjEEZZNS1_29radix_sort_onesweep_iterationIS3_Lb0EN6thrust23THRUST_200600_302600_NS6detail15normal_iteratorINS8_10device_ptrIjEEEESD_SD_SD_jNS0_19identity_decomposerENS1_16block_id_wrapperIjLb0EEEEE10hipError_tT1_PNSt15iterator_traitsISI_E10value_typeET2_T3_PNSJ_ISO_E10value_typeET4_T5_PST_SU_PNS1_23onesweep_lookback_stateEbbT6_jjT7_P12ihipStream_tbENKUlT_T0_SI_SN_E_clIPjSD_S15_SD_EEDaS11_S12_SI_SN_EUlS11_E_NS1_11comp_targetILNS1_3genE3ELNS1_11target_archE908ELNS1_3gpuE7ELNS1_3repE0EEENS1_47radix_sort_onesweep_sort_config_static_selectorELNS0_4arch9wavefront6targetE1EEEvSI_,@function
_ZN7rocprim17ROCPRIM_400000_NS6detail17trampoline_kernelINS0_14default_configENS1_35radix_sort_onesweep_config_selectorIjjEEZZNS1_29radix_sort_onesweep_iterationIS3_Lb0EN6thrust23THRUST_200600_302600_NS6detail15normal_iteratorINS8_10device_ptrIjEEEESD_SD_SD_jNS0_19identity_decomposerENS1_16block_id_wrapperIjLb0EEEEE10hipError_tT1_PNSt15iterator_traitsISI_E10value_typeET2_T3_PNSJ_ISO_E10value_typeET4_T5_PST_SU_PNS1_23onesweep_lookback_stateEbbT6_jjT7_P12ihipStream_tbENKUlT_T0_SI_SN_E_clIPjSD_S15_SD_EEDaS11_S12_SI_SN_EUlS11_E_NS1_11comp_targetILNS1_3genE3ELNS1_11target_archE908ELNS1_3gpuE7ELNS1_3repE0EEENS1_47radix_sort_onesweep_sort_config_static_selectorELNS0_4arch9wavefront6targetE1EEEvSI_: ; @_ZN7rocprim17ROCPRIM_400000_NS6detail17trampoline_kernelINS0_14default_configENS1_35radix_sort_onesweep_config_selectorIjjEEZZNS1_29radix_sort_onesweep_iterationIS3_Lb0EN6thrust23THRUST_200600_302600_NS6detail15normal_iteratorINS8_10device_ptrIjEEEESD_SD_SD_jNS0_19identity_decomposerENS1_16block_id_wrapperIjLb0EEEEE10hipError_tT1_PNSt15iterator_traitsISI_E10value_typeET2_T3_PNSJ_ISO_E10value_typeET4_T5_PST_SU_PNS1_23onesweep_lookback_stateEbbT6_jjT7_P12ihipStream_tbENKUlT_T0_SI_SN_E_clIPjSD_S15_SD_EEDaS11_S12_SI_SN_EUlS11_E_NS1_11comp_targetILNS1_3genE3ELNS1_11target_archE908ELNS1_3gpuE7ELNS1_3repE0EEENS1_47radix_sort_onesweep_sort_config_static_selectorELNS0_4arch9wavefront6targetE1EEEvSI_
; %bb.0:
	.section	.rodata,"a",@progbits
	.p2align	6, 0x0
	.amdhsa_kernel _ZN7rocprim17ROCPRIM_400000_NS6detail17trampoline_kernelINS0_14default_configENS1_35radix_sort_onesweep_config_selectorIjjEEZZNS1_29radix_sort_onesweep_iterationIS3_Lb0EN6thrust23THRUST_200600_302600_NS6detail15normal_iteratorINS8_10device_ptrIjEEEESD_SD_SD_jNS0_19identity_decomposerENS1_16block_id_wrapperIjLb0EEEEE10hipError_tT1_PNSt15iterator_traitsISI_E10value_typeET2_T3_PNSJ_ISO_E10value_typeET4_T5_PST_SU_PNS1_23onesweep_lookback_stateEbbT6_jjT7_P12ihipStream_tbENKUlT_T0_SI_SN_E_clIPjSD_S15_SD_EEDaS11_S12_SI_SN_EUlS11_E_NS1_11comp_targetILNS1_3genE3ELNS1_11target_archE908ELNS1_3gpuE7ELNS1_3repE0EEENS1_47radix_sort_onesweep_sort_config_static_selectorELNS0_4arch9wavefront6targetE1EEEvSI_
		.amdhsa_group_segment_fixed_size 0
		.amdhsa_private_segment_fixed_size 0
		.amdhsa_kernarg_size 88
		.amdhsa_user_sgpr_count 2
		.amdhsa_user_sgpr_dispatch_ptr 0
		.amdhsa_user_sgpr_queue_ptr 0
		.amdhsa_user_sgpr_kernarg_segment_ptr 1
		.amdhsa_user_sgpr_dispatch_id 0
		.amdhsa_user_sgpr_kernarg_preload_length 0
		.amdhsa_user_sgpr_kernarg_preload_offset 0
		.amdhsa_user_sgpr_private_segment_size 0
		.amdhsa_uses_dynamic_stack 0
		.amdhsa_enable_private_segment 0
		.amdhsa_system_sgpr_workgroup_id_x 1
		.amdhsa_system_sgpr_workgroup_id_y 0
		.amdhsa_system_sgpr_workgroup_id_z 0
		.amdhsa_system_sgpr_workgroup_info 0
		.amdhsa_system_vgpr_workitem_id 0
		.amdhsa_next_free_vgpr 1
		.amdhsa_next_free_sgpr 0
		.amdhsa_accum_offset 4
		.amdhsa_reserve_vcc 0
		.amdhsa_float_round_mode_32 0
		.amdhsa_float_round_mode_16_64 0
		.amdhsa_float_denorm_mode_32 3
		.amdhsa_float_denorm_mode_16_64 3
		.amdhsa_dx10_clamp 1
		.amdhsa_ieee_mode 1
		.amdhsa_fp16_overflow 0
		.amdhsa_tg_split 0
		.amdhsa_exception_fp_ieee_invalid_op 0
		.amdhsa_exception_fp_denorm_src 0
		.amdhsa_exception_fp_ieee_div_zero 0
		.amdhsa_exception_fp_ieee_overflow 0
		.amdhsa_exception_fp_ieee_underflow 0
		.amdhsa_exception_fp_ieee_inexact 0
		.amdhsa_exception_int_div_zero 0
	.end_amdhsa_kernel
	.section	.text._ZN7rocprim17ROCPRIM_400000_NS6detail17trampoline_kernelINS0_14default_configENS1_35radix_sort_onesweep_config_selectorIjjEEZZNS1_29radix_sort_onesweep_iterationIS3_Lb0EN6thrust23THRUST_200600_302600_NS6detail15normal_iteratorINS8_10device_ptrIjEEEESD_SD_SD_jNS0_19identity_decomposerENS1_16block_id_wrapperIjLb0EEEEE10hipError_tT1_PNSt15iterator_traitsISI_E10value_typeET2_T3_PNSJ_ISO_E10value_typeET4_T5_PST_SU_PNS1_23onesweep_lookback_stateEbbT6_jjT7_P12ihipStream_tbENKUlT_T0_SI_SN_E_clIPjSD_S15_SD_EEDaS11_S12_SI_SN_EUlS11_E_NS1_11comp_targetILNS1_3genE3ELNS1_11target_archE908ELNS1_3gpuE7ELNS1_3repE0EEENS1_47radix_sort_onesweep_sort_config_static_selectorELNS0_4arch9wavefront6targetE1EEEvSI_,"axG",@progbits,_ZN7rocprim17ROCPRIM_400000_NS6detail17trampoline_kernelINS0_14default_configENS1_35radix_sort_onesweep_config_selectorIjjEEZZNS1_29radix_sort_onesweep_iterationIS3_Lb0EN6thrust23THRUST_200600_302600_NS6detail15normal_iteratorINS8_10device_ptrIjEEEESD_SD_SD_jNS0_19identity_decomposerENS1_16block_id_wrapperIjLb0EEEEE10hipError_tT1_PNSt15iterator_traitsISI_E10value_typeET2_T3_PNSJ_ISO_E10value_typeET4_T5_PST_SU_PNS1_23onesweep_lookback_stateEbbT6_jjT7_P12ihipStream_tbENKUlT_T0_SI_SN_E_clIPjSD_S15_SD_EEDaS11_S12_SI_SN_EUlS11_E_NS1_11comp_targetILNS1_3genE3ELNS1_11target_archE908ELNS1_3gpuE7ELNS1_3repE0EEENS1_47radix_sort_onesweep_sort_config_static_selectorELNS0_4arch9wavefront6targetE1EEEvSI_,comdat
.Lfunc_end801:
	.size	_ZN7rocprim17ROCPRIM_400000_NS6detail17trampoline_kernelINS0_14default_configENS1_35radix_sort_onesweep_config_selectorIjjEEZZNS1_29radix_sort_onesweep_iterationIS3_Lb0EN6thrust23THRUST_200600_302600_NS6detail15normal_iteratorINS8_10device_ptrIjEEEESD_SD_SD_jNS0_19identity_decomposerENS1_16block_id_wrapperIjLb0EEEEE10hipError_tT1_PNSt15iterator_traitsISI_E10value_typeET2_T3_PNSJ_ISO_E10value_typeET4_T5_PST_SU_PNS1_23onesweep_lookback_stateEbbT6_jjT7_P12ihipStream_tbENKUlT_T0_SI_SN_E_clIPjSD_S15_SD_EEDaS11_S12_SI_SN_EUlS11_E_NS1_11comp_targetILNS1_3genE3ELNS1_11target_archE908ELNS1_3gpuE7ELNS1_3repE0EEENS1_47radix_sort_onesweep_sort_config_static_selectorELNS0_4arch9wavefront6targetE1EEEvSI_, .Lfunc_end801-_ZN7rocprim17ROCPRIM_400000_NS6detail17trampoline_kernelINS0_14default_configENS1_35radix_sort_onesweep_config_selectorIjjEEZZNS1_29radix_sort_onesweep_iterationIS3_Lb0EN6thrust23THRUST_200600_302600_NS6detail15normal_iteratorINS8_10device_ptrIjEEEESD_SD_SD_jNS0_19identity_decomposerENS1_16block_id_wrapperIjLb0EEEEE10hipError_tT1_PNSt15iterator_traitsISI_E10value_typeET2_T3_PNSJ_ISO_E10value_typeET4_T5_PST_SU_PNS1_23onesweep_lookback_stateEbbT6_jjT7_P12ihipStream_tbENKUlT_T0_SI_SN_E_clIPjSD_S15_SD_EEDaS11_S12_SI_SN_EUlS11_E_NS1_11comp_targetILNS1_3genE3ELNS1_11target_archE908ELNS1_3gpuE7ELNS1_3repE0EEENS1_47radix_sort_onesweep_sort_config_static_selectorELNS0_4arch9wavefront6targetE1EEEvSI_
                                        ; -- End function
	.set _ZN7rocprim17ROCPRIM_400000_NS6detail17trampoline_kernelINS0_14default_configENS1_35radix_sort_onesweep_config_selectorIjjEEZZNS1_29radix_sort_onesweep_iterationIS3_Lb0EN6thrust23THRUST_200600_302600_NS6detail15normal_iteratorINS8_10device_ptrIjEEEESD_SD_SD_jNS0_19identity_decomposerENS1_16block_id_wrapperIjLb0EEEEE10hipError_tT1_PNSt15iterator_traitsISI_E10value_typeET2_T3_PNSJ_ISO_E10value_typeET4_T5_PST_SU_PNS1_23onesweep_lookback_stateEbbT6_jjT7_P12ihipStream_tbENKUlT_T0_SI_SN_E_clIPjSD_S15_SD_EEDaS11_S12_SI_SN_EUlS11_E_NS1_11comp_targetILNS1_3genE3ELNS1_11target_archE908ELNS1_3gpuE7ELNS1_3repE0EEENS1_47radix_sort_onesweep_sort_config_static_selectorELNS0_4arch9wavefront6targetE1EEEvSI_.num_vgpr, 0
	.set _ZN7rocprim17ROCPRIM_400000_NS6detail17trampoline_kernelINS0_14default_configENS1_35radix_sort_onesweep_config_selectorIjjEEZZNS1_29radix_sort_onesweep_iterationIS3_Lb0EN6thrust23THRUST_200600_302600_NS6detail15normal_iteratorINS8_10device_ptrIjEEEESD_SD_SD_jNS0_19identity_decomposerENS1_16block_id_wrapperIjLb0EEEEE10hipError_tT1_PNSt15iterator_traitsISI_E10value_typeET2_T3_PNSJ_ISO_E10value_typeET4_T5_PST_SU_PNS1_23onesweep_lookback_stateEbbT6_jjT7_P12ihipStream_tbENKUlT_T0_SI_SN_E_clIPjSD_S15_SD_EEDaS11_S12_SI_SN_EUlS11_E_NS1_11comp_targetILNS1_3genE3ELNS1_11target_archE908ELNS1_3gpuE7ELNS1_3repE0EEENS1_47radix_sort_onesweep_sort_config_static_selectorELNS0_4arch9wavefront6targetE1EEEvSI_.num_agpr, 0
	.set _ZN7rocprim17ROCPRIM_400000_NS6detail17trampoline_kernelINS0_14default_configENS1_35radix_sort_onesweep_config_selectorIjjEEZZNS1_29radix_sort_onesweep_iterationIS3_Lb0EN6thrust23THRUST_200600_302600_NS6detail15normal_iteratorINS8_10device_ptrIjEEEESD_SD_SD_jNS0_19identity_decomposerENS1_16block_id_wrapperIjLb0EEEEE10hipError_tT1_PNSt15iterator_traitsISI_E10value_typeET2_T3_PNSJ_ISO_E10value_typeET4_T5_PST_SU_PNS1_23onesweep_lookback_stateEbbT6_jjT7_P12ihipStream_tbENKUlT_T0_SI_SN_E_clIPjSD_S15_SD_EEDaS11_S12_SI_SN_EUlS11_E_NS1_11comp_targetILNS1_3genE3ELNS1_11target_archE908ELNS1_3gpuE7ELNS1_3repE0EEENS1_47radix_sort_onesweep_sort_config_static_selectorELNS0_4arch9wavefront6targetE1EEEvSI_.numbered_sgpr, 0
	.set _ZN7rocprim17ROCPRIM_400000_NS6detail17trampoline_kernelINS0_14default_configENS1_35radix_sort_onesweep_config_selectorIjjEEZZNS1_29radix_sort_onesweep_iterationIS3_Lb0EN6thrust23THRUST_200600_302600_NS6detail15normal_iteratorINS8_10device_ptrIjEEEESD_SD_SD_jNS0_19identity_decomposerENS1_16block_id_wrapperIjLb0EEEEE10hipError_tT1_PNSt15iterator_traitsISI_E10value_typeET2_T3_PNSJ_ISO_E10value_typeET4_T5_PST_SU_PNS1_23onesweep_lookback_stateEbbT6_jjT7_P12ihipStream_tbENKUlT_T0_SI_SN_E_clIPjSD_S15_SD_EEDaS11_S12_SI_SN_EUlS11_E_NS1_11comp_targetILNS1_3genE3ELNS1_11target_archE908ELNS1_3gpuE7ELNS1_3repE0EEENS1_47radix_sort_onesweep_sort_config_static_selectorELNS0_4arch9wavefront6targetE1EEEvSI_.num_named_barrier, 0
	.set _ZN7rocprim17ROCPRIM_400000_NS6detail17trampoline_kernelINS0_14default_configENS1_35radix_sort_onesweep_config_selectorIjjEEZZNS1_29radix_sort_onesweep_iterationIS3_Lb0EN6thrust23THRUST_200600_302600_NS6detail15normal_iteratorINS8_10device_ptrIjEEEESD_SD_SD_jNS0_19identity_decomposerENS1_16block_id_wrapperIjLb0EEEEE10hipError_tT1_PNSt15iterator_traitsISI_E10value_typeET2_T3_PNSJ_ISO_E10value_typeET4_T5_PST_SU_PNS1_23onesweep_lookback_stateEbbT6_jjT7_P12ihipStream_tbENKUlT_T0_SI_SN_E_clIPjSD_S15_SD_EEDaS11_S12_SI_SN_EUlS11_E_NS1_11comp_targetILNS1_3genE3ELNS1_11target_archE908ELNS1_3gpuE7ELNS1_3repE0EEENS1_47radix_sort_onesweep_sort_config_static_selectorELNS0_4arch9wavefront6targetE1EEEvSI_.private_seg_size, 0
	.set _ZN7rocprim17ROCPRIM_400000_NS6detail17trampoline_kernelINS0_14default_configENS1_35radix_sort_onesweep_config_selectorIjjEEZZNS1_29radix_sort_onesweep_iterationIS3_Lb0EN6thrust23THRUST_200600_302600_NS6detail15normal_iteratorINS8_10device_ptrIjEEEESD_SD_SD_jNS0_19identity_decomposerENS1_16block_id_wrapperIjLb0EEEEE10hipError_tT1_PNSt15iterator_traitsISI_E10value_typeET2_T3_PNSJ_ISO_E10value_typeET4_T5_PST_SU_PNS1_23onesweep_lookback_stateEbbT6_jjT7_P12ihipStream_tbENKUlT_T0_SI_SN_E_clIPjSD_S15_SD_EEDaS11_S12_SI_SN_EUlS11_E_NS1_11comp_targetILNS1_3genE3ELNS1_11target_archE908ELNS1_3gpuE7ELNS1_3repE0EEENS1_47radix_sort_onesweep_sort_config_static_selectorELNS0_4arch9wavefront6targetE1EEEvSI_.uses_vcc, 0
	.set _ZN7rocprim17ROCPRIM_400000_NS6detail17trampoline_kernelINS0_14default_configENS1_35radix_sort_onesweep_config_selectorIjjEEZZNS1_29radix_sort_onesweep_iterationIS3_Lb0EN6thrust23THRUST_200600_302600_NS6detail15normal_iteratorINS8_10device_ptrIjEEEESD_SD_SD_jNS0_19identity_decomposerENS1_16block_id_wrapperIjLb0EEEEE10hipError_tT1_PNSt15iterator_traitsISI_E10value_typeET2_T3_PNSJ_ISO_E10value_typeET4_T5_PST_SU_PNS1_23onesweep_lookback_stateEbbT6_jjT7_P12ihipStream_tbENKUlT_T0_SI_SN_E_clIPjSD_S15_SD_EEDaS11_S12_SI_SN_EUlS11_E_NS1_11comp_targetILNS1_3genE3ELNS1_11target_archE908ELNS1_3gpuE7ELNS1_3repE0EEENS1_47radix_sort_onesweep_sort_config_static_selectorELNS0_4arch9wavefront6targetE1EEEvSI_.uses_flat_scratch, 0
	.set _ZN7rocprim17ROCPRIM_400000_NS6detail17trampoline_kernelINS0_14default_configENS1_35radix_sort_onesweep_config_selectorIjjEEZZNS1_29radix_sort_onesweep_iterationIS3_Lb0EN6thrust23THRUST_200600_302600_NS6detail15normal_iteratorINS8_10device_ptrIjEEEESD_SD_SD_jNS0_19identity_decomposerENS1_16block_id_wrapperIjLb0EEEEE10hipError_tT1_PNSt15iterator_traitsISI_E10value_typeET2_T3_PNSJ_ISO_E10value_typeET4_T5_PST_SU_PNS1_23onesweep_lookback_stateEbbT6_jjT7_P12ihipStream_tbENKUlT_T0_SI_SN_E_clIPjSD_S15_SD_EEDaS11_S12_SI_SN_EUlS11_E_NS1_11comp_targetILNS1_3genE3ELNS1_11target_archE908ELNS1_3gpuE7ELNS1_3repE0EEENS1_47radix_sort_onesweep_sort_config_static_selectorELNS0_4arch9wavefront6targetE1EEEvSI_.has_dyn_sized_stack, 0
	.set _ZN7rocprim17ROCPRIM_400000_NS6detail17trampoline_kernelINS0_14default_configENS1_35radix_sort_onesweep_config_selectorIjjEEZZNS1_29radix_sort_onesweep_iterationIS3_Lb0EN6thrust23THRUST_200600_302600_NS6detail15normal_iteratorINS8_10device_ptrIjEEEESD_SD_SD_jNS0_19identity_decomposerENS1_16block_id_wrapperIjLb0EEEEE10hipError_tT1_PNSt15iterator_traitsISI_E10value_typeET2_T3_PNSJ_ISO_E10value_typeET4_T5_PST_SU_PNS1_23onesweep_lookback_stateEbbT6_jjT7_P12ihipStream_tbENKUlT_T0_SI_SN_E_clIPjSD_S15_SD_EEDaS11_S12_SI_SN_EUlS11_E_NS1_11comp_targetILNS1_3genE3ELNS1_11target_archE908ELNS1_3gpuE7ELNS1_3repE0EEENS1_47radix_sort_onesweep_sort_config_static_selectorELNS0_4arch9wavefront6targetE1EEEvSI_.has_recursion, 0
	.set _ZN7rocprim17ROCPRIM_400000_NS6detail17trampoline_kernelINS0_14default_configENS1_35radix_sort_onesweep_config_selectorIjjEEZZNS1_29radix_sort_onesweep_iterationIS3_Lb0EN6thrust23THRUST_200600_302600_NS6detail15normal_iteratorINS8_10device_ptrIjEEEESD_SD_SD_jNS0_19identity_decomposerENS1_16block_id_wrapperIjLb0EEEEE10hipError_tT1_PNSt15iterator_traitsISI_E10value_typeET2_T3_PNSJ_ISO_E10value_typeET4_T5_PST_SU_PNS1_23onesweep_lookback_stateEbbT6_jjT7_P12ihipStream_tbENKUlT_T0_SI_SN_E_clIPjSD_S15_SD_EEDaS11_S12_SI_SN_EUlS11_E_NS1_11comp_targetILNS1_3genE3ELNS1_11target_archE908ELNS1_3gpuE7ELNS1_3repE0EEENS1_47radix_sort_onesweep_sort_config_static_selectorELNS0_4arch9wavefront6targetE1EEEvSI_.has_indirect_call, 0
	.section	.AMDGPU.csdata,"",@progbits
; Kernel info:
; codeLenInByte = 0
; TotalNumSgprs: 6
; NumVgprs: 0
; NumAgprs: 0
; TotalNumVgprs: 0
; ScratchSize: 0
; MemoryBound: 0
; FloatMode: 240
; IeeeMode: 1
; LDSByteSize: 0 bytes/workgroup (compile time only)
; SGPRBlocks: 0
; VGPRBlocks: 0
; NumSGPRsForWavesPerEU: 6
; NumVGPRsForWavesPerEU: 1
; AccumOffset: 4
; Occupancy: 8
; WaveLimiterHint : 0
; COMPUTE_PGM_RSRC2:SCRATCH_EN: 0
; COMPUTE_PGM_RSRC2:USER_SGPR: 2
; COMPUTE_PGM_RSRC2:TRAP_HANDLER: 0
; COMPUTE_PGM_RSRC2:TGID_X_EN: 1
; COMPUTE_PGM_RSRC2:TGID_Y_EN: 0
; COMPUTE_PGM_RSRC2:TGID_Z_EN: 0
; COMPUTE_PGM_RSRC2:TIDIG_COMP_CNT: 0
; COMPUTE_PGM_RSRC3_GFX90A:ACCUM_OFFSET: 0
; COMPUTE_PGM_RSRC3_GFX90A:TG_SPLIT: 0
	.section	.text._ZN7rocprim17ROCPRIM_400000_NS6detail17trampoline_kernelINS0_14default_configENS1_35radix_sort_onesweep_config_selectorIjjEEZZNS1_29radix_sort_onesweep_iterationIS3_Lb0EN6thrust23THRUST_200600_302600_NS6detail15normal_iteratorINS8_10device_ptrIjEEEESD_SD_SD_jNS0_19identity_decomposerENS1_16block_id_wrapperIjLb0EEEEE10hipError_tT1_PNSt15iterator_traitsISI_E10value_typeET2_T3_PNSJ_ISO_E10value_typeET4_T5_PST_SU_PNS1_23onesweep_lookback_stateEbbT6_jjT7_P12ihipStream_tbENKUlT_T0_SI_SN_E_clIPjSD_S15_SD_EEDaS11_S12_SI_SN_EUlS11_E_NS1_11comp_targetILNS1_3genE10ELNS1_11target_archE1201ELNS1_3gpuE5ELNS1_3repE0EEENS1_47radix_sort_onesweep_sort_config_static_selectorELNS0_4arch9wavefront6targetE1EEEvSI_,"axG",@progbits,_ZN7rocprim17ROCPRIM_400000_NS6detail17trampoline_kernelINS0_14default_configENS1_35radix_sort_onesweep_config_selectorIjjEEZZNS1_29radix_sort_onesweep_iterationIS3_Lb0EN6thrust23THRUST_200600_302600_NS6detail15normal_iteratorINS8_10device_ptrIjEEEESD_SD_SD_jNS0_19identity_decomposerENS1_16block_id_wrapperIjLb0EEEEE10hipError_tT1_PNSt15iterator_traitsISI_E10value_typeET2_T3_PNSJ_ISO_E10value_typeET4_T5_PST_SU_PNS1_23onesweep_lookback_stateEbbT6_jjT7_P12ihipStream_tbENKUlT_T0_SI_SN_E_clIPjSD_S15_SD_EEDaS11_S12_SI_SN_EUlS11_E_NS1_11comp_targetILNS1_3genE10ELNS1_11target_archE1201ELNS1_3gpuE5ELNS1_3repE0EEENS1_47radix_sort_onesweep_sort_config_static_selectorELNS0_4arch9wavefront6targetE1EEEvSI_,comdat
	.protected	_ZN7rocprim17ROCPRIM_400000_NS6detail17trampoline_kernelINS0_14default_configENS1_35radix_sort_onesweep_config_selectorIjjEEZZNS1_29radix_sort_onesweep_iterationIS3_Lb0EN6thrust23THRUST_200600_302600_NS6detail15normal_iteratorINS8_10device_ptrIjEEEESD_SD_SD_jNS0_19identity_decomposerENS1_16block_id_wrapperIjLb0EEEEE10hipError_tT1_PNSt15iterator_traitsISI_E10value_typeET2_T3_PNSJ_ISO_E10value_typeET4_T5_PST_SU_PNS1_23onesweep_lookback_stateEbbT6_jjT7_P12ihipStream_tbENKUlT_T0_SI_SN_E_clIPjSD_S15_SD_EEDaS11_S12_SI_SN_EUlS11_E_NS1_11comp_targetILNS1_3genE10ELNS1_11target_archE1201ELNS1_3gpuE5ELNS1_3repE0EEENS1_47radix_sort_onesweep_sort_config_static_selectorELNS0_4arch9wavefront6targetE1EEEvSI_ ; -- Begin function _ZN7rocprim17ROCPRIM_400000_NS6detail17trampoline_kernelINS0_14default_configENS1_35radix_sort_onesweep_config_selectorIjjEEZZNS1_29radix_sort_onesweep_iterationIS3_Lb0EN6thrust23THRUST_200600_302600_NS6detail15normal_iteratorINS8_10device_ptrIjEEEESD_SD_SD_jNS0_19identity_decomposerENS1_16block_id_wrapperIjLb0EEEEE10hipError_tT1_PNSt15iterator_traitsISI_E10value_typeET2_T3_PNSJ_ISO_E10value_typeET4_T5_PST_SU_PNS1_23onesweep_lookback_stateEbbT6_jjT7_P12ihipStream_tbENKUlT_T0_SI_SN_E_clIPjSD_S15_SD_EEDaS11_S12_SI_SN_EUlS11_E_NS1_11comp_targetILNS1_3genE10ELNS1_11target_archE1201ELNS1_3gpuE5ELNS1_3repE0EEENS1_47radix_sort_onesweep_sort_config_static_selectorELNS0_4arch9wavefront6targetE1EEEvSI_
	.globl	_ZN7rocprim17ROCPRIM_400000_NS6detail17trampoline_kernelINS0_14default_configENS1_35radix_sort_onesweep_config_selectorIjjEEZZNS1_29radix_sort_onesweep_iterationIS3_Lb0EN6thrust23THRUST_200600_302600_NS6detail15normal_iteratorINS8_10device_ptrIjEEEESD_SD_SD_jNS0_19identity_decomposerENS1_16block_id_wrapperIjLb0EEEEE10hipError_tT1_PNSt15iterator_traitsISI_E10value_typeET2_T3_PNSJ_ISO_E10value_typeET4_T5_PST_SU_PNS1_23onesweep_lookback_stateEbbT6_jjT7_P12ihipStream_tbENKUlT_T0_SI_SN_E_clIPjSD_S15_SD_EEDaS11_S12_SI_SN_EUlS11_E_NS1_11comp_targetILNS1_3genE10ELNS1_11target_archE1201ELNS1_3gpuE5ELNS1_3repE0EEENS1_47radix_sort_onesweep_sort_config_static_selectorELNS0_4arch9wavefront6targetE1EEEvSI_
	.p2align	8
	.type	_ZN7rocprim17ROCPRIM_400000_NS6detail17trampoline_kernelINS0_14default_configENS1_35radix_sort_onesweep_config_selectorIjjEEZZNS1_29radix_sort_onesweep_iterationIS3_Lb0EN6thrust23THRUST_200600_302600_NS6detail15normal_iteratorINS8_10device_ptrIjEEEESD_SD_SD_jNS0_19identity_decomposerENS1_16block_id_wrapperIjLb0EEEEE10hipError_tT1_PNSt15iterator_traitsISI_E10value_typeET2_T3_PNSJ_ISO_E10value_typeET4_T5_PST_SU_PNS1_23onesweep_lookback_stateEbbT6_jjT7_P12ihipStream_tbENKUlT_T0_SI_SN_E_clIPjSD_S15_SD_EEDaS11_S12_SI_SN_EUlS11_E_NS1_11comp_targetILNS1_3genE10ELNS1_11target_archE1201ELNS1_3gpuE5ELNS1_3repE0EEENS1_47radix_sort_onesweep_sort_config_static_selectorELNS0_4arch9wavefront6targetE1EEEvSI_,@function
_ZN7rocprim17ROCPRIM_400000_NS6detail17trampoline_kernelINS0_14default_configENS1_35radix_sort_onesweep_config_selectorIjjEEZZNS1_29radix_sort_onesweep_iterationIS3_Lb0EN6thrust23THRUST_200600_302600_NS6detail15normal_iteratorINS8_10device_ptrIjEEEESD_SD_SD_jNS0_19identity_decomposerENS1_16block_id_wrapperIjLb0EEEEE10hipError_tT1_PNSt15iterator_traitsISI_E10value_typeET2_T3_PNSJ_ISO_E10value_typeET4_T5_PST_SU_PNS1_23onesweep_lookback_stateEbbT6_jjT7_P12ihipStream_tbENKUlT_T0_SI_SN_E_clIPjSD_S15_SD_EEDaS11_S12_SI_SN_EUlS11_E_NS1_11comp_targetILNS1_3genE10ELNS1_11target_archE1201ELNS1_3gpuE5ELNS1_3repE0EEENS1_47radix_sort_onesweep_sort_config_static_selectorELNS0_4arch9wavefront6targetE1EEEvSI_: ; @_ZN7rocprim17ROCPRIM_400000_NS6detail17trampoline_kernelINS0_14default_configENS1_35radix_sort_onesweep_config_selectorIjjEEZZNS1_29radix_sort_onesweep_iterationIS3_Lb0EN6thrust23THRUST_200600_302600_NS6detail15normal_iteratorINS8_10device_ptrIjEEEESD_SD_SD_jNS0_19identity_decomposerENS1_16block_id_wrapperIjLb0EEEEE10hipError_tT1_PNSt15iterator_traitsISI_E10value_typeET2_T3_PNSJ_ISO_E10value_typeET4_T5_PST_SU_PNS1_23onesweep_lookback_stateEbbT6_jjT7_P12ihipStream_tbENKUlT_T0_SI_SN_E_clIPjSD_S15_SD_EEDaS11_S12_SI_SN_EUlS11_E_NS1_11comp_targetILNS1_3genE10ELNS1_11target_archE1201ELNS1_3gpuE5ELNS1_3repE0EEENS1_47radix_sort_onesweep_sort_config_static_selectorELNS0_4arch9wavefront6targetE1EEEvSI_
; %bb.0:
	.section	.rodata,"a",@progbits
	.p2align	6, 0x0
	.amdhsa_kernel _ZN7rocprim17ROCPRIM_400000_NS6detail17trampoline_kernelINS0_14default_configENS1_35radix_sort_onesweep_config_selectorIjjEEZZNS1_29radix_sort_onesweep_iterationIS3_Lb0EN6thrust23THRUST_200600_302600_NS6detail15normal_iteratorINS8_10device_ptrIjEEEESD_SD_SD_jNS0_19identity_decomposerENS1_16block_id_wrapperIjLb0EEEEE10hipError_tT1_PNSt15iterator_traitsISI_E10value_typeET2_T3_PNSJ_ISO_E10value_typeET4_T5_PST_SU_PNS1_23onesweep_lookback_stateEbbT6_jjT7_P12ihipStream_tbENKUlT_T0_SI_SN_E_clIPjSD_S15_SD_EEDaS11_S12_SI_SN_EUlS11_E_NS1_11comp_targetILNS1_3genE10ELNS1_11target_archE1201ELNS1_3gpuE5ELNS1_3repE0EEENS1_47radix_sort_onesweep_sort_config_static_selectorELNS0_4arch9wavefront6targetE1EEEvSI_
		.amdhsa_group_segment_fixed_size 0
		.amdhsa_private_segment_fixed_size 0
		.amdhsa_kernarg_size 88
		.amdhsa_user_sgpr_count 2
		.amdhsa_user_sgpr_dispatch_ptr 0
		.amdhsa_user_sgpr_queue_ptr 0
		.amdhsa_user_sgpr_kernarg_segment_ptr 1
		.amdhsa_user_sgpr_dispatch_id 0
		.amdhsa_user_sgpr_kernarg_preload_length 0
		.amdhsa_user_sgpr_kernarg_preload_offset 0
		.amdhsa_user_sgpr_private_segment_size 0
		.amdhsa_uses_dynamic_stack 0
		.amdhsa_enable_private_segment 0
		.amdhsa_system_sgpr_workgroup_id_x 1
		.amdhsa_system_sgpr_workgroup_id_y 0
		.amdhsa_system_sgpr_workgroup_id_z 0
		.amdhsa_system_sgpr_workgroup_info 0
		.amdhsa_system_vgpr_workitem_id 0
		.amdhsa_next_free_vgpr 1
		.amdhsa_next_free_sgpr 0
		.amdhsa_accum_offset 4
		.amdhsa_reserve_vcc 0
		.amdhsa_float_round_mode_32 0
		.amdhsa_float_round_mode_16_64 0
		.amdhsa_float_denorm_mode_32 3
		.amdhsa_float_denorm_mode_16_64 3
		.amdhsa_dx10_clamp 1
		.amdhsa_ieee_mode 1
		.amdhsa_fp16_overflow 0
		.amdhsa_tg_split 0
		.amdhsa_exception_fp_ieee_invalid_op 0
		.amdhsa_exception_fp_denorm_src 0
		.amdhsa_exception_fp_ieee_div_zero 0
		.amdhsa_exception_fp_ieee_overflow 0
		.amdhsa_exception_fp_ieee_underflow 0
		.amdhsa_exception_fp_ieee_inexact 0
		.amdhsa_exception_int_div_zero 0
	.end_amdhsa_kernel
	.section	.text._ZN7rocprim17ROCPRIM_400000_NS6detail17trampoline_kernelINS0_14default_configENS1_35radix_sort_onesweep_config_selectorIjjEEZZNS1_29radix_sort_onesweep_iterationIS3_Lb0EN6thrust23THRUST_200600_302600_NS6detail15normal_iteratorINS8_10device_ptrIjEEEESD_SD_SD_jNS0_19identity_decomposerENS1_16block_id_wrapperIjLb0EEEEE10hipError_tT1_PNSt15iterator_traitsISI_E10value_typeET2_T3_PNSJ_ISO_E10value_typeET4_T5_PST_SU_PNS1_23onesweep_lookback_stateEbbT6_jjT7_P12ihipStream_tbENKUlT_T0_SI_SN_E_clIPjSD_S15_SD_EEDaS11_S12_SI_SN_EUlS11_E_NS1_11comp_targetILNS1_3genE10ELNS1_11target_archE1201ELNS1_3gpuE5ELNS1_3repE0EEENS1_47radix_sort_onesweep_sort_config_static_selectorELNS0_4arch9wavefront6targetE1EEEvSI_,"axG",@progbits,_ZN7rocprim17ROCPRIM_400000_NS6detail17trampoline_kernelINS0_14default_configENS1_35radix_sort_onesweep_config_selectorIjjEEZZNS1_29radix_sort_onesweep_iterationIS3_Lb0EN6thrust23THRUST_200600_302600_NS6detail15normal_iteratorINS8_10device_ptrIjEEEESD_SD_SD_jNS0_19identity_decomposerENS1_16block_id_wrapperIjLb0EEEEE10hipError_tT1_PNSt15iterator_traitsISI_E10value_typeET2_T3_PNSJ_ISO_E10value_typeET4_T5_PST_SU_PNS1_23onesweep_lookback_stateEbbT6_jjT7_P12ihipStream_tbENKUlT_T0_SI_SN_E_clIPjSD_S15_SD_EEDaS11_S12_SI_SN_EUlS11_E_NS1_11comp_targetILNS1_3genE10ELNS1_11target_archE1201ELNS1_3gpuE5ELNS1_3repE0EEENS1_47radix_sort_onesweep_sort_config_static_selectorELNS0_4arch9wavefront6targetE1EEEvSI_,comdat
.Lfunc_end802:
	.size	_ZN7rocprim17ROCPRIM_400000_NS6detail17trampoline_kernelINS0_14default_configENS1_35radix_sort_onesweep_config_selectorIjjEEZZNS1_29radix_sort_onesweep_iterationIS3_Lb0EN6thrust23THRUST_200600_302600_NS6detail15normal_iteratorINS8_10device_ptrIjEEEESD_SD_SD_jNS0_19identity_decomposerENS1_16block_id_wrapperIjLb0EEEEE10hipError_tT1_PNSt15iterator_traitsISI_E10value_typeET2_T3_PNSJ_ISO_E10value_typeET4_T5_PST_SU_PNS1_23onesweep_lookback_stateEbbT6_jjT7_P12ihipStream_tbENKUlT_T0_SI_SN_E_clIPjSD_S15_SD_EEDaS11_S12_SI_SN_EUlS11_E_NS1_11comp_targetILNS1_3genE10ELNS1_11target_archE1201ELNS1_3gpuE5ELNS1_3repE0EEENS1_47radix_sort_onesweep_sort_config_static_selectorELNS0_4arch9wavefront6targetE1EEEvSI_, .Lfunc_end802-_ZN7rocprim17ROCPRIM_400000_NS6detail17trampoline_kernelINS0_14default_configENS1_35radix_sort_onesweep_config_selectorIjjEEZZNS1_29radix_sort_onesweep_iterationIS3_Lb0EN6thrust23THRUST_200600_302600_NS6detail15normal_iteratorINS8_10device_ptrIjEEEESD_SD_SD_jNS0_19identity_decomposerENS1_16block_id_wrapperIjLb0EEEEE10hipError_tT1_PNSt15iterator_traitsISI_E10value_typeET2_T3_PNSJ_ISO_E10value_typeET4_T5_PST_SU_PNS1_23onesweep_lookback_stateEbbT6_jjT7_P12ihipStream_tbENKUlT_T0_SI_SN_E_clIPjSD_S15_SD_EEDaS11_S12_SI_SN_EUlS11_E_NS1_11comp_targetILNS1_3genE10ELNS1_11target_archE1201ELNS1_3gpuE5ELNS1_3repE0EEENS1_47radix_sort_onesweep_sort_config_static_selectorELNS0_4arch9wavefront6targetE1EEEvSI_
                                        ; -- End function
	.set _ZN7rocprim17ROCPRIM_400000_NS6detail17trampoline_kernelINS0_14default_configENS1_35radix_sort_onesweep_config_selectorIjjEEZZNS1_29radix_sort_onesweep_iterationIS3_Lb0EN6thrust23THRUST_200600_302600_NS6detail15normal_iteratorINS8_10device_ptrIjEEEESD_SD_SD_jNS0_19identity_decomposerENS1_16block_id_wrapperIjLb0EEEEE10hipError_tT1_PNSt15iterator_traitsISI_E10value_typeET2_T3_PNSJ_ISO_E10value_typeET4_T5_PST_SU_PNS1_23onesweep_lookback_stateEbbT6_jjT7_P12ihipStream_tbENKUlT_T0_SI_SN_E_clIPjSD_S15_SD_EEDaS11_S12_SI_SN_EUlS11_E_NS1_11comp_targetILNS1_3genE10ELNS1_11target_archE1201ELNS1_3gpuE5ELNS1_3repE0EEENS1_47radix_sort_onesweep_sort_config_static_selectorELNS0_4arch9wavefront6targetE1EEEvSI_.num_vgpr, 0
	.set _ZN7rocprim17ROCPRIM_400000_NS6detail17trampoline_kernelINS0_14default_configENS1_35radix_sort_onesweep_config_selectorIjjEEZZNS1_29radix_sort_onesweep_iterationIS3_Lb0EN6thrust23THRUST_200600_302600_NS6detail15normal_iteratorINS8_10device_ptrIjEEEESD_SD_SD_jNS0_19identity_decomposerENS1_16block_id_wrapperIjLb0EEEEE10hipError_tT1_PNSt15iterator_traitsISI_E10value_typeET2_T3_PNSJ_ISO_E10value_typeET4_T5_PST_SU_PNS1_23onesweep_lookback_stateEbbT6_jjT7_P12ihipStream_tbENKUlT_T0_SI_SN_E_clIPjSD_S15_SD_EEDaS11_S12_SI_SN_EUlS11_E_NS1_11comp_targetILNS1_3genE10ELNS1_11target_archE1201ELNS1_3gpuE5ELNS1_3repE0EEENS1_47radix_sort_onesweep_sort_config_static_selectorELNS0_4arch9wavefront6targetE1EEEvSI_.num_agpr, 0
	.set _ZN7rocprim17ROCPRIM_400000_NS6detail17trampoline_kernelINS0_14default_configENS1_35radix_sort_onesweep_config_selectorIjjEEZZNS1_29radix_sort_onesweep_iterationIS3_Lb0EN6thrust23THRUST_200600_302600_NS6detail15normal_iteratorINS8_10device_ptrIjEEEESD_SD_SD_jNS0_19identity_decomposerENS1_16block_id_wrapperIjLb0EEEEE10hipError_tT1_PNSt15iterator_traitsISI_E10value_typeET2_T3_PNSJ_ISO_E10value_typeET4_T5_PST_SU_PNS1_23onesweep_lookback_stateEbbT6_jjT7_P12ihipStream_tbENKUlT_T0_SI_SN_E_clIPjSD_S15_SD_EEDaS11_S12_SI_SN_EUlS11_E_NS1_11comp_targetILNS1_3genE10ELNS1_11target_archE1201ELNS1_3gpuE5ELNS1_3repE0EEENS1_47radix_sort_onesweep_sort_config_static_selectorELNS0_4arch9wavefront6targetE1EEEvSI_.numbered_sgpr, 0
	.set _ZN7rocprim17ROCPRIM_400000_NS6detail17trampoline_kernelINS0_14default_configENS1_35radix_sort_onesweep_config_selectorIjjEEZZNS1_29radix_sort_onesweep_iterationIS3_Lb0EN6thrust23THRUST_200600_302600_NS6detail15normal_iteratorINS8_10device_ptrIjEEEESD_SD_SD_jNS0_19identity_decomposerENS1_16block_id_wrapperIjLb0EEEEE10hipError_tT1_PNSt15iterator_traitsISI_E10value_typeET2_T3_PNSJ_ISO_E10value_typeET4_T5_PST_SU_PNS1_23onesweep_lookback_stateEbbT6_jjT7_P12ihipStream_tbENKUlT_T0_SI_SN_E_clIPjSD_S15_SD_EEDaS11_S12_SI_SN_EUlS11_E_NS1_11comp_targetILNS1_3genE10ELNS1_11target_archE1201ELNS1_3gpuE5ELNS1_3repE0EEENS1_47radix_sort_onesweep_sort_config_static_selectorELNS0_4arch9wavefront6targetE1EEEvSI_.num_named_barrier, 0
	.set _ZN7rocprim17ROCPRIM_400000_NS6detail17trampoline_kernelINS0_14default_configENS1_35radix_sort_onesweep_config_selectorIjjEEZZNS1_29radix_sort_onesweep_iterationIS3_Lb0EN6thrust23THRUST_200600_302600_NS6detail15normal_iteratorINS8_10device_ptrIjEEEESD_SD_SD_jNS0_19identity_decomposerENS1_16block_id_wrapperIjLb0EEEEE10hipError_tT1_PNSt15iterator_traitsISI_E10value_typeET2_T3_PNSJ_ISO_E10value_typeET4_T5_PST_SU_PNS1_23onesweep_lookback_stateEbbT6_jjT7_P12ihipStream_tbENKUlT_T0_SI_SN_E_clIPjSD_S15_SD_EEDaS11_S12_SI_SN_EUlS11_E_NS1_11comp_targetILNS1_3genE10ELNS1_11target_archE1201ELNS1_3gpuE5ELNS1_3repE0EEENS1_47radix_sort_onesweep_sort_config_static_selectorELNS0_4arch9wavefront6targetE1EEEvSI_.private_seg_size, 0
	.set _ZN7rocprim17ROCPRIM_400000_NS6detail17trampoline_kernelINS0_14default_configENS1_35radix_sort_onesweep_config_selectorIjjEEZZNS1_29radix_sort_onesweep_iterationIS3_Lb0EN6thrust23THRUST_200600_302600_NS6detail15normal_iteratorINS8_10device_ptrIjEEEESD_SD_SD_jNS0_19identity_decomposerENS1_16block_id_wrapperIjLb0EEEEE10hipError_tT1_PNSt15iterator_traitsISI_E10value_typeET2_T3_PNSJ_ISO_E10value_typeET4_T5_PST_SU_PNS1_23onesweep_lookback_stateEbbT6_jjT7_P12ihipStream_tbENKUlT_T0_SI_SN_E_clIPjSD_S15_SD_EEDaS11_S12_SI_SN_EUlS11_E_NS1_11comp_targetILNS1_3genE10ELNS1_11target_archE1201ELNS1_3gpuE5ELNS1_3repE0EEENS1_47radix_sort_onesweep_sort_config_static_selectorELNS0_4arch9wavefront6targetE1EEEvSI_.uses_vcc, 0
	.set _ZN7rocprim17ROCPRIM_400000_NS6detail17trampoline_kernelINS0_14default_configENS1_35radix_sort_onesweep_config_selectorIjjEEZZNS1_29radix_sort_onesweep_iterationIS3_Lb0EN6thrust23THRUST_200600_302600_NS6detail15normal_iteratorINS8_10device_ptrIjEEEESD_SD_SD_jNS0_19identity_decomposerENS1_16block_id_wrapperIjLb0EEEEE10hipError_tT1_PNSt15iterator_traitsISI_E10value_typeET2_T3_PNSJ_ISO_E10value_typeET4_T5_PST_SU_PNS1_23onesweep_lookback_stateEbbT6_jjT7_P12ihipStream_tbENKUlT_T0_SI_SN_E_clIPjSD_S15_SD_EEDaS11_S12_SI_SN_EUlS11_E_NS1_11comp_targetILNS1_3genE10ELNS1_11target_archE1201ELNS1_3gpuE5ELNS1_3repE0EEENS1_47radix_sort_onesweep_sort_config_static_selectorELNS0_4arch9wavefront6targetE1EEEvSI_.uses_flat_scratch, 0
	.set _ZN7rocprim17ROCPRIM_400000_NS6detail17trampoline_kernelINS0_14default_configENS1_35radix_sort_onesweep_config_selectorIjjEEZZNS1_29radix_sort_onesweep_iterationIS3_Lb0EN6thrust23THRUST_200600_302600_NS6detail15normal_iteratorINS8_10device_ptrIjEEEESD_SD_SD_jNS0_19identity_decomposerENS1_16block_id_wrapperIjLb0EEEEE10hipError_tT1_PNSt15iterator_traitsISI_E10value_typeET2_T3_PNSJ_ISO_E10value_typeET4_T5_PST_SU_PNS1_23onesweep_lookback_stateEbbT6_jjT7_P12ihipStream_tbENKUlT_T0_SI_SN_E_clIPjSD_S15_SD_EEDaS11_S12_SI_SN_EUlS11_E_NS1_11comp_targetILNS1_3genE10ELNS1_11target_archE1201ELNS1_3gpuE5ELNS1_3repE0EEENS1_47radix_sort_onesweep_sort_config_static_selectorELNS0_4arch9wavefront6targetE1EEEvSI_.has_dyn_sized_stack, 0
	.set _ZN7rocprim17ROCPRIM_400000_NS6detail17trampoline_kernelINS0_14default_configENS1_35radix_sort_onesweep_config_selectorIjjEEZZNS1_29radix_sort_onesweep_iterationIS3_Lb0EN6thrust23THRUST_200600_302600_NS6detail15normal_iteratorINS8_10device_ptrIjEEEESD_SD_SD_jNS0_19identity_decomposerENS1_16block_id_wrapperIjLb0EEEEE10hipError_tT1_PNSt15iterator_traitsISI_E10value_typeET2_T3_PNSJ_ISO_E10value_typeET4_T5_PST_SU_PNS1_23onesweep_lookback_stateEbbT6_jjT7_P12ihipStream_tbENKUlT_T0_SI_SN_E_clIPjSD_S15_SD_EEDaS11_S12_SI_SN_EUlS11_E_NS1_11comp_targetILNS1_3genE10ELNS1_11target_archE1201ELNS1_3gpuE5ELNS1_3repE0EEENS1_47radix_sort_onesweep_sort_config_static_selectorELNS0_4arch9wavefront6targetE1EEEvSI_.has_recursion, 0
	.set _ZN7rocprim17ROCPRIM_400000_NS6detail17trampoline_kernelINS0_14default_configENS1_35radix_sort_onesweep_config_selectorIjjEEZZNS1_29radix_sort_onesweep_iterationIS3_Lb0EN6thrust23THRUST_200600_302600_NS6detail15normal_iteratorINS8_10device_ptrIjEEEESD_SD_SD_jNS0_19identity_decomposerENS1_16block_id_wrapperIjLb0EEEEE10hipError_tT1_PNSt15iterator_traitsISI_E10value_typeET2_T3_PNSJ_ISO_E10value_typeET4_T5_PST_SU_PNS1_23onesweep_lookback_stateEbbT6_jjT7_P12ihipStream_tbENKUlT_T0_SI_SN_E_clIPjSD_S15_SD_EEDaS11_S12_SI_SN_EUlS11_E_NS1_11comp_targetILNS1_3genE10ELNS1_11target_archE1201ELNS1_3gpuE5ELNS1_3repE0EEENS1_47radix_sort_onesweep_sort_config_static_selectorELNS0_4arch9wavefront6targetE1EEEvSI_.has_indirect_call, 0
	.section	.AMDGPU.csdata,"",@progbits
; Kernel info:
; codeLenInByte = 0
; TotalNumSgprs: 6
; NumVgprs: 0
; NumAgprs: 0
; TotalNumVgprs: 0
; ScratchSize: 0
; MemoryBound: 0
; FloatMode: 240
; IeeeMode: 1
; LDSByteSize: 0 bytes/workgroup (compile time only)
; SGPRBlocks: 0
; VGPRBlocks: 0
; NumSGPRsForWavesPerEU: 6
; NumVGPRsForWavesPerEU: 1
; AccumOffset: 4
; Occupancy: 8
; WaveLimiterHint : 0
; COMPUTE_PGM_RSRC2:SCRATCH_EN: 0
; COMPUTE_PGM_RSRC2:USER_SGPR: 2
; COMPUTE_PGM_RSRC2:TRAP_HANDLER: 0
; COMPUTE_PGM_RSRC2:TGID_X_EN: 1
; COMPUTE_PGM_RSRC2:TGID_Y_EN: 0
; COMPUTE_PGM_RSRC2:TGID_Z_EN: 0
; COMPUTE_PGM_RSRC2:TIDIG_COMP_CNT: 0
; COMPUTE_PGM_RSRC3_GFX90A:ACCUM_OFFSET: 0
; COMPUTE_PGM_RSRC3_GFX90A:TG_SPLIT: 0
	.section	.text._ZN7rocprim17ROCPRIM_400000_NS6detail17trampoline_kernelINS0_14default_configENS1_35radix_sort_onesweep_config_selectorIjjEEZZNS1_29radix_sort_onesweep_iterationIS3_Lb0EN6thrust23THRUST_200600_302600_NS6detail15normal_iteratorINS8_10device_ptrIjEEEESD_SD_SD_jNS0_19identity_decomposerENS1_16block_id_wrapperIjLb0EEEEE10hipError_tT1_PNSt15iterator_traitsISI_E10value_typeET2_T3_PNSJ_ISO_E10value_typeET4_T5_PST_SU_PNS1_23onesweep_lookback_stateEbbT6_jjT7_P12ihipStream_tbENKUlT_T0_SI_SN_E_clIPjSD_S15_SD_EEDaS11_S12_SI_SN_EUlS11_E_NS1_11comp_targetILNS1_3genE9ELNS1_11target_archE1100ELNS1_3gpuE3ELNS1_3repE0EEENS1_47radix_sort_onesweep_sort_config_static_selectorELNS0_4arch9wavefront6targetE1EEEvSI_,"axG",@progbits,_ZN7rocprim17ROCPRIM_400000_NS6detail17trampoline_kernelINS0_14default_configENS1_35radix_sort_onesweep_config_selectorIjjEEZZNS1_29radix_sort_onesweep_iterationIS3_Lb0EN6thrust23THRUST_200600_302600_NS6detail15normal_iteratorINS8_10device_ptrIjEEEESD_SD_SD_jNS0_19identity_decomposerENS1_16block_id_wrapperIjLb0EEEEE10hipError_tT1_PNSt15iterator_traitsISI_E10value_typeET2_T3_PNSJ_ISO_E10value_typeET4_T5_PST_SU_PNS1_23onesweep_lookback_stateEbbT6_jjT7_P12ihipStream_tbENKUlT_T0_SI_SN_E_clIPjSD_S15_SD_EEDaS11_S12_SI_SN_EUlS11_E_NS1_11comp_targetILNS1_3genE9ELNS1_11target_archE1100ELNS1_3gpuE3ELNS1_3repE0EEENS1_47radix_sort_onesweep_sort_config_static_selectorELNS0_4arch9wavefront6targetE1EEEvSI_,comdat
	.protected	_ZN7rocprim17ROCPRIM_400000_NS6detail17trampoline_kernelINS0_14default_configENS1_35radix_sort_onesweep_config_selectorIjjEEZZNS1_29radix_sort_onesweep_iterationIS3_Lb0EN6thrust23THRUST_200600_302600_NS6detail15normal_iteratorINS8_10device_ptrIjEEEESD_SD_SD_jNS0_19identity_decomposerENS1_16block_id_wrapperIjLb0EEEEE10hipError_tT1_PNSt15iterator_traitsISI_E10value_typeET2_T3_PNSJ_ISO_E10value_typeET4_T5_PST_SU_PNS1_23onesweep_lookback_stateEbbT6_jjT7_P12ihipStream_tbENKUlT_T0_SI_SN_E_clIPjSD_S15_SD_EEDaS11_S12_SI_SN_EUlS11_E_NS1_11comp_targetILNS1_3genE9ELNS1_11target_archE1100ELNS1_3gpuE3ELNS1_3repE0EEENS1_47radix_sort_onesweep_sort_config_static_selectorELNS0_4arch9wavefront6targetE1EEEvSI_ ; -- Begin function _ZN7rocprim17ROCPRIM_400000_NS6detail17trampoline_kernelINS0_14default_configENS1_35radix_sort_onesweep_config_selectorIjjEEZZNS1_29radix_sort_onesweep_iterationIS3_Lb0EN6thrust23THRUST_200600_302600_NS6detail15normal_iteratorINS8_10device_ptrIjEEEESD_SD_SD_jNS0_19identity_decomposerENS1_16block_id_wrapperIjLb0EEEEE10hipError_tT1_PNSt15iterator_traitsISI_E10value_typeET2_T3_PNSJ_ISO_E10value_typeET4_T5_PST_SU_PNS1_23onesweep_lookback_stateEbbT6_jjT7_P12ihipStream_tbENKUlT_T0_SI_SN_E_clIPjSD_S15_SD_EEDaS11_S12_SI_SN_EUlS11_E_NS1_11comp_targetILNS1_3genE9ELNS1_11target_archE1100ELNS1_3gpuE3ELNS1_3repE0EEENS1_47radix_sort_onesweep_sort_config_static_selectorELNS0_4arch9wavefront6targetE1EEEvSI_
	.globl	_ZN7rocprim17ROCPRIM_400000_NS6detail17trampoline_kernelINS0_14default_configENS1_35radix_sort_onesweep_config_selectorIjjEEZZNS1_29radix_sort_onesweep_iterationIS3_Lb0EN6thrust23THRUST_200600_302600_NS6detail15normal_iteratorINS8_10device_ptrIjEEEESD_SD_SD_jNS0_19identity_decomposerENS1_16block_id_wrapperIjLb0EEEEE10hipError_tT1_PNSt15iterator_traitsISI_E10value_typeET2_T3_PNSJ_ISO_E10value_typeET4_T5_PST_SU_PNS1_23onesweep_lookback_stateEbbT6_jjT7_P12ihipStream_tbENKUlT_T0_SI_SN_E_clIPjSD_S15_SD_EEDaS11_S12_SI_SN_EUlS11_E_NS1_11comp_targetILNS1_3genE9ELNS1_11target_archE1100ELNS1_3gpuE3ELNS1_3repE0EEENS1_47radix_sort_onesweep_sort_config_static_selectorELNS0_4arch9wavefront6targetE1EEEvSI_
	.p2align	8
	.type	_ZN7rocprim17ROCPRIM_400000_NS6detail17trampoline_kernelINS0_14default_configENS1_35radix_sort_onesweep_config_selectorIjjEEZZNS1_29radix_sort_onesweep_iterationIS3_Lb0EN6thrust23THRUST_200600_302600_NS6detail15normal_iteratorINS8_10device_ptrIjEEEESD_SD_SD_jNS0_19identity_decomposerENS1_16block_id_wrapperIjLb0EEEEE10hipError_tT1_PNSt15iterator_traitsISI_E10value_typeET2_T3_PNSJ_ISO_E10value_typeET4_T5_PST_SU_PNS1_23onesweep_lookback_stateEbbT6_jjT7_P12ihipStream_tbENKUlT_T0_SI_SN_E_clIPjSD_S15_SD_EEDaS11_S12_SI_SN_EUlS11_E_NS1_11comp_targetILNS1_3genE9ELNS1_11target_archE1100ELNS1_3gpuE3ELNS1_3repE0EEENS1_47radix_sort_onesweep_sort_config_static_selectorELNS0_4arch9wavefront6targetE1EEEvSI_,@function
_ZN7rocprim17ROCPRIM_400000_NS6detail17trampoline_kernelINS0_14default_configENS1_35radix_sort_onesweep_config_selectorIjjEEZZNS1_29radix_sort_onesweep_iterationIS3_Lb0EN6thrust23THRUST_200600_302600_NS6detail15normal_iteratorINS8_10device_ptrIjEEEESD_SD_SD_jNS0_19identity_decomposerENS1_16block_id_wrapperIjLb0EEEEE10hipError_tT1_PNSt15iterator_traitsISI_E10value_typeET2_T3_PNSJ_ISO_E10value_typeET4_T5_PST_SU_PNS1_23onesweep_lookback_stateEbbT6_jjT7_P12ihipStream_tbENKUlT_T0_SI_SN_E_clIPjSD_S15_SD_EEDaS11_S12_SI_SN_EUlS11_E_NS1_11comp_targetILNS1_3genE9ELNS1_11target_archE1100ELNS1_3gpuE3ELNS1_3repE0EEENS1_47radix_sort_onesweep_sort_config_static_selectorELNS0_4arch9wavefront6targetE1EEEvSI_: ; @_ZN7rocprim17ROCPRIM_400000_NS6detail17trampoline_kernelINS0_14default_configENS1_35radix_sort_onesweep_config_selectorIjjEEZZNS1_29radix_sort_onesweep_iterationIS3_Lb0EN6thrust23THRUST_200600_302600_NS6detail15normal_iteratorINS8_10device_ptrIjEEEESD_SD_SD_jNS0_19identity_decomposerENS1_16block_id_wrapperIjLb0EEEEE10hipError_tT1_PNSt15iterator_traitsISI_E10value_typeET2_T3_PNSJ_ISO_E10value_typeET4_T5_PST_SU_PNS1_23onesweep_lookback_stateEbbT6_jjT7_P12ihipStream_tbENKUlT_T0_SI_SN_E_clIPjSD_S15_SD_EEDaS11_S12_SI_SN_EUlS11_E_NS1_11comp_targetILNS1_3genE9ELNS1_11target_archE1100ELNS1_3gpuE3ELNS1_3repE0EEENS1_47radix_sort_onesweep_sort_config_static_selectorELNS0_4arch9wavefront6targetE1EEEvSI_
; %bb.0:
	.section	.rodata,"a",@progbits
	.p2align	6, 0x0
	.amdhsa_kernel _ZN7rocprim17ROCPRIM_400000_NS6detail17trampoline_kernelINS0_14default_configENS1_35radix_sort_onesweep_config_selectorIjjEEZZNS1_29radix_sort_onesweep_iterationIS3_Lb0EN6thrust23THRUST_200600_302600_NS6detail15normal_iteratorINS8_10device_ptrIjEEEESD_SD_SD_jNS0_19identity_decomposerENS1_16block_id_wrapperIjLb0EEEEE10hipError_tT1_PNSt15iterator_traitsISI_E10value_typeET2_T3_PNSJ_ISO_E10value_typeET4_T5_PST_SU_PNS1_23onesweep_lookback_stateEbbT6_jjT7_P12ihipStream_tbENKUlT_T0_SI_SN_E_clIPjSD_S15_SD_EEDaS11_S12_SI_SN_EUlS11_E_NS1_11comp_targetILNS1_3genE9ELNS1_11target_archE1100ELNS1_3gpuE3ELNS1_3repE0EEENS1_47radix_sort_onesweep_sort_config_static_selectorELNS0_4arch9wavefront6targetE1EEEvSI_
		.amdhsa_group_segment_fixed_size 0
		.amdhsa_private_segment_fixed_size 0
		.amdhsa_kernarg_size 88
		.amdhsa_user_sgpr_count 2
		.amdhsa_user_sgpr_dispatch_ptr 0
		.amdhsa_user_sgpr_queue_ptr 0
		.amdhsa_user_sgpr_kernarg_segment_ptr 1
		.amdhsa_user_sgpr_dispatch_id 0
		.amdhsa_user_sgpr_kernarg_preload_length 0
		.amdhsa_user_sgpr_kernarg_preload_offset 0
		.amdhsa_user_sgpr_private_segment_size 0
		.amdhsa_uses_dynamic_stack 0
		.amdhsa_enable_private_segment 0
		.amdhsa_system_sgpr_workgroup_id_x 1
		.amdhsa_system_sgpr_workgroup_id_y 0
		.amdhsa_system_sgpr_workgroup_id_z 0
		.amdhsa_system_sgpr_workgroup_info 0
		.amdhsa_system_vgpr_workitem_id 0
		.amdhsa_next_free_vgpr 1
		.amdhsa_next_free_sgpr 0
		.amdhsa_accum_offset 4
		.amdhsa_reserve_vcc 0
		.amdhsa_float_round_mode_32 0
		.amdhsa_float_round_mode_16_64 0
		.amdhsa_float_denorm_mode_32 3
		.amdhsa_float_denorm_mode_16_64 3
		.amdhsa_dx10_clamp 1
		.amdhsa_ieee_mode 1
		.amdhsa_fp16_overflow 0
		.amdhsa_tg_split 0
		.amdhsa_exception_fp_ieee_invalid_op 0
		.amdhsa_exception_fp_denorm_src 0
		.amdhsa_exception_fp_ieee_div_zero 0
		.amdhsa_exception_fp_ieee_overflow 0
		.amdhsa_exception_fp_ieee_underflow 0
		.amdhsa_exception_fp_ieee_inexact 0
		.amdhsa_exception_int_div_zero 0
	.end_amdhsa_kernel
	.section	.text._ZN7rocprim17ROCPRIM_400000_NS6detail17trampoline_kernelINS0_14default_configENS1_35radix_sort_onesweep_config_selectorIjjEEZZNS1_29radix_sort_onesweep_iterationIS3_Lb0EN6thrust23THRUST_200600_302600_NS6detail15normal_iteratorINS8_10device_ptrIjEEEESD_SD_SD_jNS0_19identity_decomposerENS1_16block_id_wrapperIjLb0EEEEE10hipError_tT1_PNSt15iterator_traitsISI_E10value_typeET2_T3_PNSJ_ISO_E10value_typeET4_T5_PST_SU_PNS1_23onesweep_lookback_stateEbbT6_jjT7_P12ihipStream_tbENKUlT_T0_SI_SN_E_clIPjSD_S15_SD_EEDaS11_S12_SI_SN_EUlS11_E_NS1_11comp_targetILNS1_3genE9ELNS1_11target_archE1100ELNS1_3gpuE3ELNS1_3repE0EEENS1_47radix_sort_onesweep_sort_config_static_selectorELNS0_4arch9wavefront6targetE1EEEvSI_,"axG",@progbits,_ZN7rocprim17ROCPRIM_400000_NS6detail17trampoline_kernelINS0_14default_configENS1_35radix_sort_onesweep_config_selectorIjjEEZZNS1_29radix_sort_onesweep_iterationIS3_Lb0EN6thrust23THRUST_200600_302600_NS6detail15normal_iteratorINS8_10device_ptrIjEEEESD_SD_SD_jNS0_19identity_decomposerENS1_16block_id_wrapperIjLb0EEEEE10hipError_tT1_PNSt15iterator_traitsISI_E10value_typeET2_T3_PNSJ_ISO_E10value_typeET4_T5_PST_SU_PNS1_23onesweep_lookback_stateEbbT6_jjT7_P12ihipStream_tbENKUlT_T0_SI_SN_E_clIPjSD_S15_SD_EEDaS11_S12_SI_SN_EUlS11_E_NS1_11comp_targetILNS1_3genE9ELNS1_11target_archE1100ELNS1_3gpuE3ELNS1_3repE0EEENS1_47radix_sort_onesweep_sort_config_static_selectorELNS0_4arch9wavefront6targetE1EEEvSI_,comdat
.Lfunc_end803:
	.size	_ZN7rocprim17ROCPRIM_400000_NS6detail17trampoline_kernelINS0_14default_configENS1_35radix_sort_onesweep_config_selectorIjjEEZZNS1_29radix_sort_onesweep_iterationIS3_Lb0EN6thrust23THRUST_200600_302600_NS6detail15normal_iteratorINS8_10device_ptrIjEEEESD_SD_SD_jNS0_19identity_decomposerENS1_16block_id_wrapperIjLb0EEEEE10hipError_tT1_PNSt15iterator_traitsISI_E10value_typeET2_T3_PNSJ_ISO_E10value_typeET4_T5_PST_SU_PNS1_23onesweep_lookback_stateEbbT6_jjT7_P12ihipStream_tbENKUlT_T0_SI_SN_E_clIPjSD_S15_SD_EEDaS11_S12_SI_SN_EUlS11_E_NS1_11comp_targetILNS1_3genE9ELNS1_11target_archE1100ELNS1_3gpuE3ELNS1_3repE0EEENS1_47radix_sort_onesweep_sort_config_static_selectorELNS0_4arch9wavefront6targetE1EEEvSI_, .Lfunc_end803-_ZN7rocprim17ROCPRIM_400000_NS6detail17trampoline_kernelINS0_14default_configENS1_35radix_sort_onesweep_config_selectorIjjEEZZNS1_29radix_sort_onesweep_iterationIS3_Lb0EN6thrust23THRUST_200600_302600_NS6detail15normal_iteratorINS8_10device_ptrIjEEEESD_SD_SD_jNS0_19identity_decomposerENS1_16block_id_wrapperIjLb0EEEEE10hipError_tT1_PNSt15iterator_traitsISI_E10value_typeET2_T3_PNSJ_ISO_E10value_typeET4_T5_PST_SU_PNS1_23onesweep_lookback_stateEbbT6_jjT7_P12ihipStream_tbENKUlT_T0_SI_SN_E_clIPjSD_S15_SD_EEDaS11_S12_SI_SN_EUlS11_E_NS1_11comp_targetILNS1_3genE9ELNS1_11target_archE1100ELNS1_3gpuE3ELNS1_3repE0EEENS1_47radix_sort_onesweep_sort_config_static_selectorELNS0_4arch9wavefront6targetE1EEEvSI_
                                        ; -- End function
	.set _ZN7rocprim17ROCPRIM_400000_NS6detail17trampoline_kernelINS0_14default_configENS1_35radix_sort_onesweep_config_selectorIjjEEZZNS1_29radix_sort_onesweep_iterationIS3_Lb0EN6thrust23THRUST_200600_302600_NS6detail15normal_iteratorINS8_10device_ptrIjEEEESD_SD_SD_jNS0_19identity_decomposerENS1_16block_id_wrapperIjLb0EEEEE10hipError_tT1_PNSt15iterator_traitsISI_E10value_typeET2_T3_PNSJ_ISO_E10value_typeET4_T5_PST_SU_PNS1_23onesweep_lookback_stateEbbT6_jjT7_P12ihipStream_tbENKUlT_T0_SI_SN_E_clIPjSD_S15_SD_EEDaS11_S12_SI_SN_EUlS11_E_NS1_11comp_targetILNS1_3genE9ELNS1_11target_archE1100ELNS1_3gpuE3ELNS1_3repE0EEENS1_47radix_sort_onesweep_sort_config_static_selectorELNS0_4arch9wavefront6targetE1EEEvSI_.num_vgpr, 0
	.set _ZN7rocprim17ROCPRIM_400000_NS6detail17trampoline_kernelINS0_14default_configENS1_35radix_sort_onesweep_config_selectorIjjEEZZNS1_29radix_sort_onesweep_iterationIS3_Lb0EN6thrust23THRUST_200600_302600_NS6detail15normal_iteratorINS8_10device_ptrIjEEEESD_SD_SD_jNS0_19identity_decomposerENS1_16block_id_wrapperIjLb0EEEEE10hipError_tT1_PNSt15iterator_traitsISI_E10value_typeET2_T3_PNSJ_ISO_E10value_typeET4_T5_PST_SU_PNS1_23onesweep_lookback_stateEbbT6_jjT7_P12ihipStream_tbENKUlT_T0_SI_SN_E_clIPjSD_S15_SD_EEDaS11_S12_SI_SN_EUlS11_E_NS1_11comp_targetILNS1_3genE9ELNS1_11target_archE1100ELNS1_3gpuE3ELNS1_3repE0EEENS1_47radix_sort_onesweep_sort_config_static_selectorELNS0_4arch9wavefront6targetE1EEEvSI_.num_agpr, 0
	.set _ZN7rocprim17ROCPRIM_400000_NS6detail17trampoline_kernelINS0_14default_configENS1_35radix_sort_onesweep_config_selectorIjjEEZZNS1_29radix_sort_onesweep_iterationIS3_Lb0EN6thrust23THRUST_200600_302600_NS6detail15normal_iteratorINS8_10device_ptrIjEEEESD_SD_SD_jNS0_19identity_decomposerENS1_16block_id_wrapperIjLb0EEEEE10hipError_tT1_PNSt15iterator_traitsISI_E10value_typeET2_T3_PNSJ_ISO_E10value_typeET4_T5_PST_SU_PNS1_23onesweep_lookback_stateEbbT6_jjT7_P12ihipStream_tbENKUlT_T0_SI_SN_E_clIPjSD_S15_SD_EEDaS11_S12_SI_SN_EUlS11_E_NS1_11comp_targetILNS1_3genE9ELNS1_11target_archE1100ELNS1_3gpuE3ELNS1_3repE0EEENS1_47radix_sort_onesweep_sort_config_static_selectorELNS0_4arch9wavefront6targetE1EEEvSI_.numbered_sgpr, 0
	.set _ZN7rocprim17ROCPRIM_400000_NS6detail17trampoline_kernelINS0_14default_configENS1_35radix_sort_onesweep_config_selectorIjjEEZZNS1_29radix_sort_onesweep_iterationIS3_Lb0EN6thrust23THRUST_200600_302600_NS6detail15normal_iteratorINS8_10device_ptrIjEEEESD_SD_SD_jNS0_19identity_decomposerENS1_16block_id_wrapperIjLb0EEEEE10hipError_tT1_PNSt15iterator_traitsISI_E10value_typeET2_T3_PNSJ_ISO_E10value_typeET4_T5_PST_SU_PNS1_23onesweep_lookback_stateEbbT6_jjT7_P12ihipStream_tbENKUlT_T0_SI_SN_E_clIPjSD_S15_SD_EEDaS11_S12_SI_SN_EUlS11_E_NS1_11comp_targetILNS1_3genE9ELNS1_11target_archE1100ELNS1_3gpuE3ELNS1_3repE0EEENS1_47radix_sort_onesweep_sort_config_static_selectorELNS0_4arch9wavefront6targetE1EEEvSI_.num_named_barrier, 0
	.set _ZN7rocprim17ROCPRIM_400000_NS6detail17trampoline_kernelINS0_14default_configENS1_35radix_sort_onesweep_config_selectorIjjEEZZNS1_29radix_sort_onesweep_iterationIS3_Lb0EN6thrust23THRUST_200600_302600_NS6detail15normal_iteratorINS8_10device_ptrIjEEEESD_SD_SD_jNS0_19identity_decomposerENS1_16block_id_wrapperIjLb0EEEEE10hipError_tT1_PNSt15iterator_traitsISI_E10value_typeET2_T3_PNSJ_ISO_E10value_typeET4_T5_PST_SU_PNS1_23onesweep_lookback_stateEbbT6_jjT7_P12ihipStream_tbENKUlT_T0_SI_SN_E_clIPjSD_S15_SD_EEDaS11_S12_SI_SN_EUlS11_E_NS1_11comp_targetILNS1_3genE9ELNS1_11target_archE1100ELNS1_3gpuE3ELNS1_3repE0EEENS1_47radix_sort_onesweep_sort_config_static_selectorELNS0_4arch9wavefront6targetE1EEEvSI_.private_seg_size, 0
	.set _ZN7rocprim17ROCPRIM_400000_NS6detail17trampoline_kernelINS0_14default_configENS1_35radix_sort_onesweep_config_selectorIjjEEZZNS1_29radix_sort_onesweep_iterationIS3_Lb0EN6thrust23THRUST_200600_302600_NS6detail15normal_iteratorINS8_10device_ptrIjEEEESD_SD_SD_jNS0_19identity_decomposerENS1_16block_id_wrapperIjLb0EEEEE10hipError_tT1_PNSt15iterator_traitsISI_E10value_typeET2_T3_PNSJ_ISO_E10value_typeET4_T5_PST_SU_PNS1_23onesweep_lookback_stateEbbT6_jjT7_P12ihipStream_tbENKUlT_T0_SI_SN_E_clIPjSD_S15_SD_EEDaS11_S12_SI_SN_EUlS11_E_NS1_11comp_targetILNS1_3genE9ELNS1_11target_archE1100ELNS1_3gpuE3ELNS1_3repE0EEENS1_47radix_sort_onesweep_sort_config_static_selectorELNS0_4arch9wavefront6targetE1EEEvSI_.uses_vcc, 0
	.set _ZN7rocprim17ROCPRIM_400000_NS6detail17trampoline_kernelINS0_14default_configENS1_35radix_sort_onesweep_config_selectorIjjEEZZNS1_29radix_sort_onesweep_iterationIS3_Lb0EN6thrust23THRUST_200600_302600_NS6detail15normal_iteratorINS8_10device_ptrIjEEEESD_SD_SD_jNS0_19identity_decomposerENS1_16block_id_wrapperIjLb0EEEEE10hipError_tT1_PNSt15iterator_traitsISI_E10value_typeET2_T3_PNSJ_ISO_E10value_typeET4_T5_PST_SU_PNS1_23onesweep_lookback_stateEbbT6_jjT7_P12ihipStream_tbENKUlT_T0_SI_SN_E_clIPjSD_S15_SD_EEDaS11_S12_SI_SN_EUlS11_E_NS1_11comp_targetILNS1_3genE9ELNS1_11target_archE1100ELNS1_3gpuE3ELNS1_3repE0EEENS1_47radix_sort_onesweep_sort_config_static_selectorELNS0_4arch9wavefront6targetE1EEEvSI_.uses_flat_scratch, 0
	.set _ZN7rocprim17ROCPRIM_400000_NS6detail17trampoline_kernelINS0_14default_configENS1_35radix_sort_onesweep_config_selectorIjjEEZZNS1_29radix_sort_onesweep_iterationIS3_Lb0EN6thrust23THRUST_200600_302600_NS6detail15normal_iteratorINS8_10device_ptrIjEEEESD_SD_SD_jNS0_19identity_decomposerENS1_16block_id_wrapperIjLb0EEEEE10hipError_tT1_PNSt15iterator_traitsISI_E10value_typeET2_T3_PNSJ_ISO_E10value_typeET4_T5_PST_SU_PNS1_23onesweep_lookback_stateEbbT6_jjT7_P12ihipStream_tbENKUlT_T0_SI_SN_E_clIPjSD_S15_SD_EEDaS11_S12_SI_SN_EUlS11_E_NS1_11comp_targetILNS1_3genE9ELNS1_11target_archE1100ELNS1_3gpuE3ELNS1_3repE0EEENS1_47radix_sort_onesweep_sort_config_static_selectorELNS0_4arch9wavefront6targetE1EEEvSI_.has_dyn_sized_stack, 0
	.set _ZN7rocprim17ROCPRIM_400000_NS6detail17trampoline_kernelINS0_14default_configENS1_35radix_sort_onesweep_config_selectorIjjEEZZNS1_29radix_sort_onesweep_iterationIS3_Lb0EN6thrust23THRUST_200600_302600_NS6detail15normal_iteratorINS8_10device_ptrIjEEEESD_SD_SD_jNS0_19identity_decomposerENS1_16block_id_wrapperIjLb0EEEEE10hipError_tT1_PNSt15iterator_traitsISI_E10value_typeET2_T3_PNSJ_ISO_E10value_typeET4_T5_PST_SU_PNS1_23onesweep_lookback_stateEbbT6_jjT7_P12ihipStream_tbENKUlT_T0_SI_SN_E_clIPjSD_S15_SD_EEDaS11_S12_SI_SN_EUlS11_E_NS1_11comp_targetILNS1_3genE9ELNS1_11target_archE1100ELNS1_3gpuE3ELNS1_3repE0EEENS1_47radix_sort_onesweep_sort_config_static_selectorELNS0_4arch9wavefront6targetE1EEEvSI_.has_recursion, 0
	.set _ZN7rocprim17ROCPRIM_400000_NS6detail17trampoline_kernelINS0_14default_configENS1_35radix_sort_onesweep_config_selectorIjjEEZZNS1_29radix_sort_onesweep_iterationIS3_Lb0EN6thrust23THRUST_200600_302600_NS6detail15normal_iteratorINS8_10device_ptrIjEEEESD_SD_SD_jNS0_19identity_decomposerENS1_16block_id_wrapperIjLb0EEEEE10hipError_tT1_PNSt15iterator_traitsISI_E10value_typeET2_T3_PNSJ_ISO_E10value_typeET4_T5_PST_SU_PNS1_23onesweep_lookback_stateEbbT6_jjT7_P12ihipStream_tbENKUlT_T0_SI_SN_E_clIPjSD_S15_SD_EEDaS11_S12_SI_SN_EUlS11_E_NS1_11comp_targetILNS1_3genE9ELNS1_11target_archE1100ELNS1_3gpuE3ELNS1_3repE0EEENS1_47radix_sort_onesweep_sort_config_static_selectorELNS0_4arch9wavefront6targetE1EEEvSI_.has_indirect_call, 0
	.section	.AMDGPU.csdata,"",@progbits
; Kernel info:
; codeLenInByte = 0
; TotalNumSgprs: 6
; NumVgprs: 0
; NumAgprs: 0
; TotalNumVgprs: 0
; ScratchSize: 0
; MemoryBound: 0
; FloatMode: 240
; IeeeMode: 1
; LDSByteSize: 0 bytes/workgroup (compile time only)
; SGPRBlocks: 0
; VGPRBlocks: 0
; NumSGPRsForWavesPerEU: 6
; NumVGPRsForWavesPerEU: 1
; AccumOffset: 4
; Occupancy: 8
; WaveLimiterHint : 0
; COMPUTE_PGM_RSRC2:SCRATCH_EN: 0
; COMPUTE_PGM_RSRC2:USER_SGPR: 2
; COMPUTE_PGM_RSRC2:TRAP_HANDLER: 0
; COMPUTE_PGM_RSRC2:TGID_X_EN: 1
; COMPUTE_PGM_RSRC2:TGID_Y_EN: 0
; COMPUTE_PGM_RSRC2:TGID_Z_EN: 0
; COMPUTE_PGM_RSRC2:TIDIG_COMP_CNT: 0
; COMPUTE_PGM_RSRC3_GFX90A:ACCUM_OFFSET: 0
; COMPUTE_PGM_RSRC3_GFX90A:TG_SPLIT: 0
	.section	.text._ZN7rocprim17ROCPRIM_400000_NS6detail17trampoline_kernelINS0_14default_configENS1_35radix_sort_onesweep_config_selectorIjjEEZZNS1_29radix_sort_onesweep_iterationIS3_Lb0EN6thrust23THRUST_200600_302600_NS6detail15normal_iteratorINS8_10device_ptrIjEEEESD_SD_SD_jNS0_19identity_decomposerENS1_16block_id_wrapperIjLb0EEEEE10hipError_tT1_PNSt15iterator_traitsISI_E10value_typeET2_T3_PNSJ_ISO_E10value_typeET4_T5_PST_SU_PNS1_23onesweep_lookback_stateEbbT6_jjT7_P12ihipStream_tbENKUlT_T0_SI_SN_E_clIPjSD_S15_SD_EEDaS11_S12_SI_SN_EUlS11_E_NS1_11comp_targetILNS1_3genE8ELNS1_11target_archE1030ELNS1_3gpuE2ELNS1_3repE0EEENS1_47radix_sort_onesweep_sort_config_static_selectorELNS0_4arch9wavefront6targetE1EEEvSI_,"axG",@progbits,_ZN7rocprim17ROCPRIM_400000_NS6detail17trampoline_kernelINS0_14default_configENS1_35radix_sort_onesweep_config_selectorIjjEEZZNS1_29radix_sort_onesweep_iterationIS3_Lb0EN6thrust23THRUST_200600_302600_NS6detail15normal_iteratorINS8_10device_ptrIjEEEESD_SD_SD_jNS0_19identity_decomposerENS1_16block_id_wrapperIjLb0EEEEE10hipError_tT1_PNSt15iterator_traitsISI_E10value_typeET2_T3_PNSJ_ISO_E10value_typeET4_T5_PST_SU_PNS1_23onesweep_lookback_stateEbbT6_jjT7_P12ihipStream_tbENKUlT_T0_SI_SN_E_clIPjSD_S15_SD_EEDaS11_S12_SI_SN_EUlS11_E_NS1_11comp_targetILNS1_3genE8ELNS1_11target_archE1030ELNS1_3gpuE2ELNS1_3repE0EEENS1_47radix_sort_onesweep_sort_config_static_selectorELNS0_4arch9wavefront6targetE1EEEvSI_,comdat
	.protected	_ZN7rocprim17ROCPRIM_400000_NS6detail17trampoline_kernelINS0_14default_configENS1_35radix_sort_onesweep_config_selectorIjjEEZZNS1_29radix_sort_onesweep_iterationIS3_Lb0EN6thrust23THRUST_200600_302600_NS6detail15normal_iteratorINS8_10device_ptrIjEEEESD_SD_SD_jNS0_19identity_decomposerENS1_16block_id_wrapperIjLb0EEEEE10hipError_tT1_PNSt15iterator_traitsISI_E10value_typeET2_T3_PNSJ_ISO_E10value_typeET4_T5_PST_SU_PNS1_23onesweep_lookback_stateEbbT6_jjT7_P12ihipStream_tbENKUlT_T0_SI_SN_E_clIPjSD_S15_SD_EEDaS11_S12_SI_SN_EUlS11_E_NS1_11comp_targetILNS1_3genE8ELNS1_11target_archE1030ELNS1_3gpuE2ELNS1_3repE0EEENS1_47radix_sort_onesweep_sort_config_static_selectorELNS0_4arch9wavefront6targetE1EEEvSI_ ; -- Begin function _ZN7rocprim17ROCPRIM_400000_NS6detail17trampoline_kernelINS0_14default_configENS1_35radix_sort_onesweep_config_selectorIjjEEZZNS1_29radix_sort_onesweep_iterationIS3_Lb0EN6thrust23THRUST_200600_302600_NS6detail15normal_iteratorINS8_10device_ptrIjEEEESD_SD_SD_jNS0_19identity_decomposerENS1_16block_id_wrapperIjLb0EEEEE10hipError_tT1_PNSt15iterator_traitsISI_E10value_typeET2_T3_PNSJ_ISO_E10value_typeET4_T5_PST_SU_PNS1_23onesweep_lookback_stateEbbT6_jjT7_P12ihipStream_tbENKUlT_T0_SI_SN_E_clIPjSD_S15_SD_EEDaS11_S12_SI_SN_EUlS11_E_NS1_11comp_targetILNS1_3genE8ELNS1_11target_archE1030ELNS1_3gpuE2ELNS1_3repE0EEENS1_47radix_sort_onesweep_sort_config_static_selectorELNS0_4arch9wavefront6targetE1EEEvSI_
	.globl	_ZN7rocprim17ROCPRIM_400000_NS6detail17trampoline_kernelINS0_14default_configENS1_35radix_sort_onesweep_config_selectorIjjEEZZNS1_29radix_sort_onesweep_iterationIS3_Lb0EN6thrust23THRUST_200600_302600_NS6detail15normal_iteratorINS8_10device_ptrIjEEEESD_SD_SD_jNS0_19identity_decomposerENS1_16block_id_wrapperIjLb0EEEEE10hipError_tT1_PNSt15iterator_traitsISI_E10value_typeET2_T3_PNSJ_ISO_E10value_typeET4_T5_PST_SU_PNS1_23onesweep_lookback_stateEbbT6_jjT7_P12ihipStream_tbENKUlT_T0_SI_SN_E_clIPjSD_S15_SD_EEDaS11_S12_SI_SN_EUlS11_E_NS1_11comp_targetILNS1_3genE8ELNS1_11target_archE1030ELNS1_3gpuE2ELNS1_3repE0EEENS1_47radix_sort_onesweep_sort_config_static_selectorELNS0_4arch9wavefront6targetE1EEEvSI_
	.p2align	8
	.type	_ZN7rocprim17ROCPRIM_400000_NS6detail17trampoline_kernelINS0_14default_configENS1_35radix_sort_onesweep_config_selectorIjjEEZZNS1_29radix_sort_onesweep_iterationIS3_Lb0EN6thrust23THRUST_200600_302600_NS6detail15normal_iteratorINS8_10device_ptrIjEEEESD_SD_SD_jNS0_19identity_decomposerENS1_16block_id_wrapperIjLb0EEEEE10hipError_tT1_PNSt15iterator_traitsISI_E10value_typeET2_T3_PNSJ_ISO_E10value_typeET4_T5_PST_SU_PNS1_23onesweep_lookback_stateEbbT6_jjT7_P12ihipStream_tbENKUlT_T0_SI_SN_E_clIPjSD_S15_SD_EEDaS11_S12_SI_SN_EUlS11_E_NS1_11comp_targetILNS1_3genE8ELNS1_11target_archE1030ELNS1_3gpuE2ELNS1_3repE0EEENS1_47radix_sort_onesweep_sort_config_static_selectorELNS0_4arch9wavefront6targetE1EEEvSI_,@function
_ZN7rocprim17ROCPRIM_400000_NS6detail17trampoline_kernelINS0_14default_configENS1_35radix_sort_onesweep_config_selectorIjjEEZZNS1_29radix_sort_onesweep_iterationIS3_Lb0EN6thrust23THRUST_200600_302600_NS6detail15normal_iteratorINS8_10device_ptrIjEEEESD_SD_SD_jNS0_19identity_decomposerENS1_16block_id_wrapperIjLb0EEEEE10hipError_tT1_PNSt15iterator_traitsISI_E10value_typeET2_T3_PNSJ_ISO_E10value_typeET4_T5_PST_SU_PNS1_23onesweep_lookback_stateEbbT6_jjT7_P12ihipStream_tbENKUlT_T0_SI_SN_E_clIPjSD_S15_SD_EEDaS11_S12_SI_SN_EUlS11_E_NS1_11comp_targetILNS1_3genE8ELNS1_11target_archE1030ELNS1_3gpuE2ELNS1_3repE0EEENS1_47radix_sort_onesweep_sort_config_static_selectorELNS0_4arch9wavefront6targetE1EEEvSI_: ; @_ZN7rocprim17ROCPRIM_400000_NS6detail17trampoline_kernelINS0_14default_configENS1_35radix_sort_onesweep_config_selectorIjjEEZZNS1_29radix_sort_onesweep_iterationIS3_Lb0EN6thrust23THRUST_200600_302600_NS6detail15normal_iteratorINS8_10device_ptrIjEEEESD_SD_SD_jNS0_19identity_decomposerENS1_16block_id_wrapperIjLb0EEEEE10hipError_tT1_PNSt15iterator_traitsISI_E10value_typeET2_T3_PNSJ_ISO_E10value_typeET4_T5_PST_SU_PNS1_23onesweep_lookback_stateEbbT6_jjT7_P12ihipStream_tbENKUlT_T0_SI_SN_E_clIPjSD_S15_SD_EEDaS11_S12_SI_SN_EUlS11_E_NS1_11comp_targetILNS1_3genE8ELNS1_11target_archE1030ELNS1_3gpuE2ELNS1_3repE0EEENS1_47radix_sort_onesweep_sort_config_static_selectorELNS0_4arch9wavefront6targetE1EEEvSI_
; %bb.0:
	.section	.rodata,"a",@progbits
	.p2align	6, 0x0
	.amdhsa_kernel _ZN7rocprim17ROCPRIM_400000_NS6detail17trampoline_kernelINS0_14default_configENS1_35radix_sort_onesweep_config_selectorIjjEEZZNS1_29radix_sort_onesweep_iterationIS3_Lb0EN6thrust23THRUST_200600_302600_NS6detail15normal_iteratorINS8_10device_ptrIjEEEESD_SD_SD_jNS0_19identity_decomposerENS1_16block_id_wrapperIjLb0EEEEE10hipError_tT1_PNSt15iterator_traitsISI_E10value_typeET2_T3_PNSJ_ISO_E10value_typeET4_T5_PST_SU_PNS1_23onesweep_lookback_stateEbbT6_jjT7_P12ihipStream_tbENKUlT_T0_SI_SN_E_clIPjSD_S15_SD_EEDaS11_S12_SI_SN_EUlS11_E_NS1_11comp_targetILNS1_3genE8ELNS1_11target_archE1030ELNS1_3gpuE2ELNS1_3repE0EEENS1_47radix_sort_onesweep_sort_config_static_selectorELNS0_4arch9wavefront6targetE1EEEvSI_
		.amdhsa_group_segment_fixed_size 0
		.amdhsa_private_segment_fixed_size 0
		.amdhsa_kernarg_size 88
		.amdhsa_user_sgpr_count 2
		.amdhsa_user_sgpr_dispatch_ptr 0
		.amdhsa_user_sgpr_queue_ptr 0
		.amdhsa_user_sgpr_kernarg_segment_ptr 1
		.amdhsa_user_sgpr_dispatch_id 0
		.amdhsa_user_sgpr_kernarg_preload_length 0
		.amdhsa_user_sgpr_kernarg_preload_offset 0
		.amdhsa_user_sgpr_private_segment_size 0
		.amdhsa_uses_dynamic_stack 0
		.amdhsa_enable_private_segment 0
		.amdhsa_system_sgpr_workgroup_id_x 1
		.amdhsa_system_sgpr_workgroup_id_y 0
		.amdhsa_system_sgpr_workgroup_id_z 0
		.amdhsa_system_sgpr_workgroup_info 0
		.amdhsa_system_vgpr_workitem_id 0
		.amdhsa_next_free_vgpr 1
		.amdhsa_next_free_sgpr 0
		.amdhsa_accum_offset 4
		.amdhsa_reserve_vcc 0
		.amdhsa_float_round_mode_32 0
		.amdhsa_float_round_mode_16_64 0
		.amdhsa_float_denorm_mode_32 3
		.amdhsa_float_denorm_mode_16_64 3
		.amdhsa_dx10_clamp 1
		.amdhsa_ieee_mode 1
		.amdhsa_fp16_overflow 0
		.amdhsa_tg_split 0
		.amdhsa_exception_fp_ieee_invalid_op 0
		.amdhsa_exception_fp_denorm_src 0
		.amdhsa_exception_fp_ieee_div_zero 0
		.amdhsa_exception_fp_ieee_overflow 0
		.amdhsa_exception_fp_ieee_underflow 0
		.amdhsa_exception_fp_ieee_inexact 0
		.amdhsa_exception_int_div_zero 0
	.end_amdhsa_kernel
	.section	.text._ZN7rocprim17ROCPRIM_400000_NS6detail17trampoline_kernelINS0_14default_configENS1_35radix_sort_onesweep_config_selectorIjjEEZZNS1_29radix_sort_onesweep_iterationIS3_Lb0EN6thrust23THRUST_200600_302600_NS6detail15normal_iteratorINS8_10device_ptrIjEEEESD_SD_SD_jNS0_19identity_decomposerENS1_16block_id_wrapperIjLb0EEEEE10hipError_tT1_PNSt15iterator_traitsISI_E10value_typeET2_T3_PNSJ_ISO_E10value_typeET4_T5_PST_SU_PNS1_23onesweep_lookback_stateEbbT6_jjT7_P12ihipStream_tbENKUlT_T0_SI_SN_E_clIPjSD_S15_SD_EEDaS11_S12_SI_SN_EUlS11_E_NS1_11comp_targetILNS1_3genE8ELNS1_11target_archE1030ELNS1_3gpuE2ELNS1_3repE0EEENS1_47radix_sort_onesweep_sort_config_static_selectorELNS0_4arch9wavefront6targetE1EEEvSI_,"axG",@progbits,_ZN7rocprim17ROCPRIM_400000_NS6detail17trampoline_kernelINS0_14default_configENS1_35radix_sort_onesweep_config_selectorIjjEEZZNS1_29radix_sort_onesweep_iterationIS3_Lb0EN6thrust23THRUST_200600_302600_NS6detail15normal_iteratorINS8_10device_ptrIjEEEESD_SD_SD_jNS0_19identity_decomposerENS1_16block_id_wrapperIjLb0EEEEE10hipError_tT1_PNSt15iterator_traitsISI_E10value_typeET2_T3_PNSJ_ISO_E10value_typeET4_T5_PST_SU_PNS1_23onesweep_lookback_stateEbbT6_jjT7_P12ihipStream_tbENKUlT_T0_SI_SN_E_clIPjSD_S15_SD_EEDaS11_S12_SI_SN_EUlS11_E_NS1_11comp_targetILNS1_3genE8ELNS1_11target_archE1030ELNS1_3gpuE2ELNS1_3repE0EEENS1_47radix_sort_onesweep_sort_config_static_selectorELNS0_4arch9wavefront6targetE1EEEvSI_,comdat
.Lfunc_end804:
	.size	_ZN7rocprim17ROCPRIM_400000_NS6detail17trampoline_kernelINS0_14default_configENS1_35radix_sort_onesweep_config_selectorIjjEEZZNS1_29radix_sort_onesweep_iterationIS3_Lb0EN6thrust23THRUST_200600_302600_NS6detail15normal_iteratorINS8_10device_ptrIjEEEESD_SD_SD_jNS0_19identity_decomposerENS1_16block_id_wrapperIjLb0EEEEE10hipError_tT1_PNSt15iterator_traitsISI_E10value_typeET2_T3_PNSJ_ISO_E10value_typeET4_T5_PST_SU_PNS1_23onesweep_lookback_stateEbbT6_jjT7_P12ihipStream_tbENKUlT_T0_SI_SN_E_clIPjSD_S15_SD_EEDaS11_S12_SI_SN_EUlS11_E_NS1_11comp_targetILNS1_3genE8ELNS1_11target_archE1030ELNS1_3gpuE2ELNS1_3repE0EEENS1_47radix_sort_onesweep_sort_config_static_selectorELNS0_4arch9wavefront6targetE1EEEvSI_, .Lfunc_end804-_ZN7rocprim17ROCPRIM_400000_NS6detail17trampoline_kernelINS0_14default_configENS1_35radix_sort_onesweep_config_selectorIjjEEZZNS1_29radix_sort_onesweep_iterationIS3_Lb0EN6thrust23THRUST_200600_302600_NS6detail15normal_iteratorINS8_10device_ptrIjEEEESD_SD_SD_jNS0_19identity_decomposerENS1_16block_id_wrapperIjLb0EEEEE10hipError_tT1_PNSt15iterator_traitsISI_E10value_typeET2_T3_PNSJ_ISO_E10value_typeET4_T5_PST_SU_PNS1_23onesweep_lookback_stateEbbT6_jjT7_P12ihipStream_tbENKUlT_T0_SI_SN_E_clIPjSD_S15_SD_EEDaS11_S12_SI_SN_EUlS11_E_NS1_11comp_targetILNS1_3genE8ELNS1_11target_archE1030ELNS1_3gpuE2ELNS1_3repE0EEENS1_47radix_sort_onesweep_sort_config_static_selectorELNS0_4arch9wavefront6targetE1EEEvSI_
                                        ; -- End function
	.set _ZN7rocprim17ROCPRIM_400000_NS6detail17trampoline_kernelINS0_14default_configENS1_35radix_sort_onesweep_config_selectorIjjEEZZNS1_29radix_sort_onesweep_iterationIS3_Lb0EN6thrust23THRUST_200600_302600_NS6detail15normal_iteratorINS8_10device_ptrIjEEEESD_SD_SD_jNS0_19identity_decomposerENS1_16block_id_wrapperIjLb0EEEEE10hipError_tT1_PNSt15iterator_traitsISI_E10value_typeET2_T3_PNSJ_ISO_E10value_typeET4_T5_PST_SU_PNS1_23onesweep_lookback_stateEbbT6_jjT7_P12ihipStream_tbENKUlT_T0_SI_SN_E_clIPjSD_S15_SD_EEDaS11_S12_SI_SN_EUlS11_E_NS1_11comp_targetILNS1_3genE8ELNS1_11target_archE1030ELNS1_3gpuE2ELNS1_3repE0EEENS1_47radix_sort_onesweep_sort_config_static_selectorELNS0_4arch9wavefront6targetE1EEEvSI_.num_vgpr, 0
	.set _ZN7rocprim17ROCPRIM_400000_NS6detail17trampoline_kernelINS0_14default_configENS1_35radix_sort_onesweep_config_selectorIjjEEZZNS1_29radix_sort_onesweep_iterationIS3_Lb0EN6thrust23THRUST_200600_302600_NS6detail15normal_iteratorINS8_10device_ptrIjEEEESD_SD_SD_jNS0_19identity_decomposerENS1_16block_id_wrapperIjLb0EEEEE10hipError_tT1_PNSt15iterator_traitsISI_E10value_typeET2_T3_PNSJ_ISO_E10value_typeET4_T5_PST_SU_PNS1_23onesweep_lookback_stateEbbT6_jjT7_P12ihipStream_tbENKUlT_T0_SI_SN_E_clIPjSD_S15_SD_EEDaS11_S12_SI_SN_EUlS11_E_NS1_11comp_targetILNS1_3genE8ELNS1_11target_archE1030ELNS1_3gpuE2ELNS1_3repE0EEENS1_47radix_sort_onesweep_sort_config_static_selectorELNS0_4arch9wavefront6targetE1EEEvSI_.num_agpr, 0
	.set _ZN7rocprim17ROCPRIM_400000_NS6detail17trampoline_kernelINS0_14default_configENS1_35radix_sort_onesweep_config_selectorIjjEEZZNS1_29radix_sort_onesweep_iterationIS3_Lb0EN6thrust23THRUST_200600_302600_NS6detail15normal_iteratorINS8_10device_ptrIjEEEESD_SD_SD_jNS0_19identity_decomposerENS1_16block_id_wrapperIjLb0EEEEE10hipError_tT1_PNSt15iterator_traitsISI_E10value_typeET2_T3_PNSJ_ISO_E10value_typeET4_T5_PST_SU_PNS1_23onesweep_lookback_stateEbbT6_jjT7_P12ihipStream_tbENKUlT_T0_SI_SN_E_clIPjSD_S15_SD_EEDaS11_S12_SI_SN_EUlS11_E_NS1_11comp_targetILNS1_3genE8ELNS1_11target_archE1030ELNS1_3gpuE2ELNS1_3repE0EEENS1_47radix_sort_onesweep_sort_config_static_selectorELNS0_4arch9wavefront6targetE1EEEvSI_.numbered_sgpr, 0
	.set _ZN7rocprim17ROCPRIM_400000_NS6detail17trampoline_kernelINS0_14default_configENS1_35radix_sort_onesweep_config_selectorIjjEEZZNS1_29radix_sort_onesweep_iterationIS3_Lb0EN6thrust23THRUST_200600_302600_NS6detail15normal_iteratorINS8_10device_ptrIjEEEESD_SD_SD_jNS0_19identity_decomposerENS1_16block_id_wrapperIjLb0EEEEE10hipError_tT1_PNSt15iterator_traitsISI_E10value_typeET2_T3_PNSJ_ISO_E10value_typeET4_T5_PST_SU_PNS1_23onesweep_lookback_stateEbbT6_jjT7_P12ihipStream_tbENKUlT_T0_SI_SN_E_clIPjSD_S15_SD_EEDaS11_S12_SI_SN_EUlS11_E_NS1_11comp_targetILNS1_3genE8ELNS1_11target_archE1030ELNS1_3gpuE2ELNS1_3repE0EEENS1_47radix_sort_onesweep_sort_config_static_selectorELNS0_4arch9wavefront6targetE1EEEvSI_.num_named_barrier, 0
	.set _ZN7rocprim17ROCPRIM_400000_NS6detail17trampoline_kernelINS0_14default_configENS1_35radix_sort_onesweep_config_selectorIjjEEZZNS1_29radix_sort_onesweep_iterationIS3_Lb0EN6thrust23THRUST_200600_302600_NS6detail15normal_iteratorINS8_10device_ptrIjEEEESD_SD_SD_jNS0_19identity_decomposerENS1_16block_id_wrapperIjLb0EEEEE10hipError_tT1_PNSt15iterator_traitsISI_E10value_typeET2_T3_PNSJ_ISO_E10value_typeET4_T5_PST_SU_PNS1_23onesweep_lookback_stateEbbT6_jjT7_P12ihipStream_tbENKUlT_T0_SI_SN_E_clIPjSD_S15_SD_EEDaS11_S12_SI_SN_EUlS11_E_NS1_11comp_targetILNS1_3genE8ELNS1_11target_archE1030ELNS1_3gpuE2ELNS1_3repE0EEENS1_47radix_sort_onesweep_sort_config_static_selectorELNS0_4arch9wavefront6targetE1EEEvSI_.private_seg_size, 0
	.set _ZN7rocprim17ROCPRIM_400000_NS6detail17trampoline_kernelINS0_14default_configENS1_35radix_sort_onesweep_config_selectorIjjEEZZNS1_29radix_sort_onesweep_iterationIS3_Lb0EN6thrust23THRUST_200600_302600_NS6detail15normal_iteratorINS8_10device_ptrIjEEEESD_SD_SD_jNS0_19identity_decomposerENS1_16block_id_wrapperIjLb0EEEEE10hipError_tT1_PNSt15iterator_traitsISI_E10value_typeET2_T3_PNSJ_ISO_E10value_typeET4_T5_PST_SU_PNS1_23onesweep_lookback_stateEbbT6_jjT7_P12ihipStream_tbENKUlT_T0_SI_SN_E_clIPjSD_S15_SD_EEDaS11_S12_SI_SN_EUlS11_E_NS1_11comp_targetILNS1_3genE8ELNS1_11target_archE1030ELNS1_3gpuE2ELNS1_3repE0EEENS1_47radix_sort_onesweep_sort_config_static_selectorELNS0_4arch9wavefront6targetE1EEEvSI_.uses_vcc, 0
	.set _ZN7rocprim17ROCPRIM_400000_NS6detail17trampoline_kernelINS0_14default_configENS1_35radix_sort_onesweep_config_selectorIjjEEZZNS1_29radix_sort_onesweep_iterationIS3_Lb0EN6thrust23THRUST_200600_302600_NS6detail15normal_iteratorINS8_10device_ptrIjEEEESD_SD_SD_jNS0_19identity_decomposerENS1_16block_id_wrapperIjLb0EEEEE10hipError_tT1_PNSt15iterator_traitsISI_E10value_typeET2_T3_PNSJ_ISO_E10value_typeET4_T5_PST_SU_PNS1_23onesweep_lookback_stateEbbT6_jjT7_P12ihipStream_tbENKUlT_T0_SI_SN_E_clIPjSD_S15_SD_EEDaS11_S12_SI_SN_EUlS11_E_NS1_11comp_targetILNS1_3genE8ELNS1_11target_archE1030ELNS1_3gpuE2ELNS1_3repE0EEENS1_47radix_sort_onesweep_sort_config_static_selectorELNS0_4arch9wavefront6targetE1EEEvSI_.uses_flat_scratch, 0
	.set _ZN7rocprim17ROCPRIM_400000_NS6detail17trampoline_kernelINS0_14default_configENS1_35radix_sort_onesweep_config_selectorIjjEEZZNS1_29radix_sort_onesweep_iterationIS3_Lb0EN6thrust23THRUST_200600_302600_NS6detail15normal_iteratorINS8_10device_ptrIjEEEESD_SD_SD_jNS0_19identity_decomposerENS1_16block_id_wrapperIjLb0EEEEE10hipError_tT1_PNSt15iterator_traitsISI_E10value_typeET2_T3_PNSJ_ISO_E10value_typeET4_T5_PST_SU_PNS1_23onesweep_lookback_stateEbbT6_jjT7_P12ihipStream_tbENKUlT_T0_SI_SN_E_clIPjSD_S15_SD_EEDaS11_S12_SI_SN_EUlS11_E_NS1_11comp_targetILNS1_3genE8ELNS1_11target_archE1030ELNS1_3gpuE2ELNS1_3repE0EEENS1_47radix_sort_onesweep_sort_config_static_selectorELNS0_4arch9wavefront6targetE1EEEvSI_.has_dyn_sized_stack, 0
	.set _ZN7rocprim17ROCPRIM_400000_NS6detail17trampoline_kernelINS0_14default_configENS1_35radix_sort_onesweep_config_selectorIjjEEZZNS1_29radix_sort_onesweep_iterationIS3_Lb0EN6thrust23THRUST_200600_302600_NS6detail15normal_iteratorINS8_10device_ptrIjEEEESD_SD_SD_jNS0_19identity_decomposerENS1_16block_id_wrapperIjLb0EEEEE10hipError_tT1_PNSt15iterator_traitsISI_E10value_typeET2_T3_PNSJ_ISO_E10value_typeET4_T5_PST_SU_PNS1_23onesweep_lookback_stateEbbT6_jjT7_P12ihipStream_tbENKUlT_T0_SI_SN_E_clIPjSD_S15_SD_EEDaS11_S12_SI_SN_EUlS11_E_NS1_11comp_targetILNS1_3genE8ELNS1_11target_archE1030ELNS1_3gpuE2ELNS1_3repE0EEENS1_47radix_sort_onesweep_sort_config_static_selectorELNS0_4arch9wavefront6targetE1EEEvSI_.has_recursion, 0
	.set _ZN7rocprim17ROCPRIM_400000_NS6detail17trampoline_kernelINS0_14default_configENS1_35radix_sort_onesweep_config_selectorIjjEEZZNS1_29radix_sort_onesweep_iterationIS3_Lb0EN6thrust23THRUST_200600_302600_NS6detail15normal_iteratorINS8_10device_ptrIjEEEESD_SD_SD_jNS0_19identity_decomposerENS1_16block_id_wrapperIjLb0EEEEE10hipError_tT1_PNSt15iterator_traitsISI_E10value_typeET2_T3_PNSJ_ISO_E10value_typeET4_T5_PST_SU_PNS1_23onesweep_lookback_stateEbbT6_jjT7_P12ihipStream_tbENKUlT_T0_SI_SN_E_clIPjSD_S15_SD_EEDaS11_S12_SI_SN_EUlS11_E_NS1_11comp_targetILNS1_3genE8ELNS1_11target_archE1030ELNS1_3gpuE2ELNS1_3repE0EEENS1_47radix_sort_onesweep_sort_config_static_selectorELNS0_4arch9wavefront6targetE1EEEvSI_.has_indirect_call, 0
	.section	.AMDGPU.csdata,"",@progbits
; Kernel info:
; codeLenInByte = 0
; TotalNumSgprs: 6
; NumVgprs: 0
; NumAgprs: 0
; TotalNumVgprs: 0
; ScratchSize: 0
; MemoryBound: 0
; FloatMode: 240
; IeeeMode: 1
; LDSByteSize: 0 bytes/workgroup (compile time only)
; SGPRBlocks: 0
; VGPRBlocks: 0
; NumSGPRsForWavesPerEU: 6
; NumVGPRsForWavesPerEU: 1
; AccumOffset: 4
; Occupancy: 8
; WaveLimiterHint : 0
; COMPUTE_PGM_RSRC2:SCRATCH_EN: 0
; COMPUTE_PGM_RSRC2:USER_SGPR: 2
; COMPUTE_PGM_RSRC2:TRAP_HANDLER: 0
; COMPUTE_PGM_RSRC2:TGID_X_EN: 1
; COMPUTE_PGM_RSRC2:TGID_Y_EN: 0
; COMPUTE_PGM_RSRC2:TGID_Z_EN: 0
; COMPUTE_PGM_RSRC2:TIDIG_COMP_CNT: 0
; COMPUTE_PGM_RSRC3_GFX90A:ACCUM_OFFSET: 0
; COMPUTE_PGM_RSRC3_GFX90A:TG_SPLIT: 0
	.section	.text._ZN7rocprim17ROCPRIM_400000_NS6detail17trampoline_kernelINS0_14default_configENS1_22reduce_config_selectorIN6thrust23THRUST_200600_302600_NS5tupleIblNS6_9null_typeES8_S8_S8_S8_S8_S8_S8_EEEEZNS1_11reduce_implILb1ES3_NS6_12zip_iteratorINS7_INS6_11hip_rocprim26transform_input_iterator_tIbNSD_35transform_pair_of_input_iterators_tIbNS6_6detail15normal_iteratorINS6_10device_ptrIKjEEEESL_NS6_8equal_toIjEEEENSG_9not_fun_tINSD_8identityEEEEENSD_19counting_iterator_tIlEES8_S8_S8_S8_S8_S8_S8_S8_EEEEPS9_S9_NSD_9__find_if7functorIS9_EEEE10hipError_tPvRmT1_T2_T3_mT4_P12ihipStream_tbEUlT_E0_NS1_11comp_targetILNS1_3genE0ELNS1_11target_archE4294967295ELNS1_3gpuE0ELNS1_3repE0EEENS1_30default_config_static_selectorELNS0_4arch9wavefront6targetE1EEEvS14_,"axG",@progbits,_ZN7rocprim17ROCPRIM_400000_NS6detail17trampoline_kernelINS0_14default_configENS1_22reduce_config_selectorIN6thrust23THRUST_200600_302600_NS5tupleIblNS6_9null_typeES8_S8_S8_S8_S8_S8_S8_EEEEZNS1_11reduce_implILb1ES3_NS6_12zip_iteratorINS7_INS6_11hip_rocprim26transform_input_iterator_tIbNSD_35transform_pair_of_input_iterators_tIbNS6_6detail15normal_iteratorINS6_10device_ptrIKjEEEESL_NS6_8equal_toIjEEEENSG_9not_fun_tINSD_8identityEEEEENSD_19counting_iterator_tIlEES8_S8_S8_S8_S8_S8_S8_S8_EEEEPS9_S9_NSD_9__find_if7functorIS9_EEEE10hipError_tPvRmT1_T2_T3_mT4_P12ihipStream_tbEUlT_E0_NS1_11comp_targetILNS1_3genE0ELNS1_11target_archE4294967295ELNS1_3gpuE0ELNS1_3repE0EEENS1_30default_config_static_selectorELNS0_4arch9wavefront6targetE1EEEvS14_,comdat
	.protected	_ZN7rocprim17ROCPRIM_400000_NS6detail17trampoline_kernelINS0_14default_configENS1_22reduce_config_selectorIN6thrust23THRUST_200600_302600_NS5tupleIblNS6_9null_typeES8_S8_S8_S8_S8_S8_S8_EEEEZNS1_11reduce_implILb1ES3_NS6_12zip_iteratorINS7_INS6_11hip_rocprim26transform_input_iterator_tIbNSD_35transform_pair_of_input_iterators_tIbNS6_6detail15normal_iteratorINS6_10device_ptrIKjEEEESL_NS6_8equal_toIjEEEENSG_9not_fun_tINSD_8identityEEEEENSD_19counting_iterator_tIlEES8_S8_S8_S8_S8_S8_S8_S8_EEEEPS9_S9_NSD_9__find_if7functorIS9_EEEE10hipError_tPvRmT1_T2_T3_mT4_P12ihipStream_tbEUlT_E0_NS1_11comp_targetILNS1_3genE0ELNS1_11target_archE4294967295ELNS1_3gpuE0ELNS1_3repE0EEENS1_30default_config_static_selectorELNS0_4arch9wavefront6targetE1EEEvS14_ ; -- Begin function _ZN7rocprim17ROCPRIM_400000_NS6detail17trampoline_kernelINS0_14default_configENS1_22reduce_config_selectorIN6thrust23THRUST_200600_302600_NS5tupleIblNS6_9null_typeES8_S8_S8_S8_S8_S8_S8_EEEEZNS1_11reduce_implILb1ES3_NS6_12zip_iteratorINS7_INS6_11hip_rocprim26transform_input_iterator_tIbNSD_35transform_pair_of_input_iterators_tIbNS6_6detail15normal_iteratorINS6_10device_ptrIKjEEEESL_NS6_8equal_toIjEEEENSG_9not_fun_tINSD_8identityEEEEENSD_19counting_iterator_tIlEES8_S8_S8_S8_S8_S8_S8_S8_EEEEPS9_S9_NSD_9__find_if7functorIS9_EEEE10hipError_tPvRmT1_T2_T3_mT4_P12ihipStream_tbEUlT_E0_NS1_11comp_targetILNS1_3genE0ELNS1_11target_archE4294967295ELNS1_3gpuE0ELNS1_3repE0EEENS1_30default_config_static_selectorELNS0_4arch9wavefront6targetE1EEEvS14_
	.globl	_ZN7rocprim17ROCPRIM_400000_NS6detail17trampoline_kernelINS0_14default_configENS1_22reduce_config_selectorIN6thrust23THRUST_200600_302600_NS5tupleIblNS6_9null_typeES8_S8_S8_S8_S8_S8_S8_EEEEZNS1_11reduce_implILb1ES3_NS6_12zip_iteratorINS7_INS6_11hip_rocprim26transform_input_iterator_tIbNSD_35transform_pair_of_input_iterators_tIbNS6_6detail15normal_iteratorINS6_10device_ptrIKjEEEESL_NS6_8equal_toIjEEEENSG_9not_fun_tINSD_8identityEEEEENSD_19counting_iterator_tIlEES8_S8_S8_S8_S8_S8_S8_S8_EEEEPS9_S9_NSD_9__find_if7functorIS9_EEEE10hipError_tPvRmT1_T2_T3_mT4_P12ihipStream_tbEUlT_E0_NS1_11comp_targetILNS1_3genE0ELNS1_11target_archE4294967295ELNS1_3gpuE0ELNS1_3repE0EEENS1_30default_config_static_selectorELNS0_4arch9wavefront6targetE1EEEvS14_
	.p2align	8
	.type	_ZN7rocprim17ROCPRIM_400000_NS6detail17trampoline_kernelINS0_14default_configENS1_22reduce_config_selectorIN6thrust23THRUST_200600_302600_NS5tupleIblNS6_9null_typeES8_S8_S8_S8_S8_S8_S8_EEEEZNS1_11reduce_implILb1ES3_NS6_12zip_iteratorINS7_INS6_11hip_rocprim26transform_input_iterator_tIbNSD_35transform_pair_of_input_iterators_tIbNS6_6detail15normal_iteratorINS6_10device_ptrIKjEEEESL_NS6_8equal_toIjEEEENSG_9not_fun_tINSD_8identityEEEEENSD_19counting_iterator_tIlEES8_S8_S8_S8_S8_S8_S8_S8_EEEEPS9_S9_NSD_9__find_if7functorIS9_EEEE10hipError_tPvRmT1_T2_T3_mT4_P12ihipStream_tbEUlT_E0_NS1_11comp_targetILNS1_3genE0ELNS1_11target_archE4294967295ELNS1_3gpuE0ELNS1_3repE0EEENS1_30default_config_static_selectorELNS0_4arch9wavefront6targetE1EEEvS14_,@function
_ZN7rocprim17ROCPRIM_400000_NS6detail17trampoline_kernelINS0_14default_configENS1_22reduce_config_selectorIN6thrust23THRUST_200600_302600_NS5tupleIblNS6_9null_typeES8_S8_S8_S8_S8_S8_S8_EEEEZNS1_11reduce_implILb1ES3_NS6_12zip_iteratorINS7_INS6_11hip_rocprim26transform_input_iterator_tIbNSD_35transform_pair_of_input_iterators_tIbNS6_6detail15normal_iteratorINS6_10device_ptrIKjEEEESL_NS6_8equal_toIjEEEENSG_9not_fun_tINSD_8identityEEEEENSD_19counting_iterator_tIlEES8_S8_S8_S8_S8_S8_S8_S8_EEEEPS9_S9_NSD_9__find_if7functorIS9_EEEE10hipError_tPvRmT1_T2_T3_mT4_P12ihipStream_tbEUlT_E0_NS1_11comp_targetILNS1_3genE0ELNS1_11target_archE4294967295ELNS1_3gpuE0ELNS1_3repE0EEENS1_30default_config_static_selectorELNS0_4arch9wavefront6targetE1EEEvS14_: ; @_ZN7rocprim17ROCPRIM_400000_NS6detail17trampoline_kernelINS0_14default_configENS1_22reduce_config_selectorIN6thrust23THRUST_200600_302600_NS5tupleIblNS6_9null_typeES8_S8_S8_S8_S8_S8_S8_EEEEZNS1_11reduce_implILb1ES3_NS6_12zip_iteratorINS7_INS6_11hip_rocprim26transform_input_iterator_tIbNSD_35transform_pair_of_input_iterators_tIbNS6_6detail15normal_iteratorINS6_10device_ptrIKjEEEESL_NS6_8equal_toIjEEEENSG_9not_fun_tINSD_8identityEEEEENSD_19counting_iterator_tIlEES8_S8_S8_S8_S8_S8_S8_S8_EEEEPS9_S9_NSD_9__find_if7functorIS9_EEEE10hipError_tPvRmT1_T2_T3_mT4_P12ihipStream_tbEUlT_E0_NS1_11comp_targetILNS1_3genE0ELNS1_11target_archE4294967295ELNS1_3gpuE0ELNS1_3repE0EEENS1_30default_config_static_selectorELNS0_4arch9wavefront6targetE1EEEvS14_
; %bb.0:
	s_load_dwordx8 s[8:15], s[0:1], 0x20
	s_load_dwordx4 s[4:7], s[0:1], 0x0
	s_load_dwordx4 s[16:19], s[0:1], 0x40
	s_mov_b32 s27, 0
	s_mov_b32 s3, s27
	s_waitcnt lgkmcnt(0)
	s_lshl_b64 s[20:21], s[10:11], 2
	s_add_u32 s22, s4, s20
	s_addc_u32 s23, s5, s21
	s_add_u32 s24, s6, s20
	s_addc_u32 s25, s7, s21
	s_lshl_b32 s26, s2, 8
	s_lshr_b64 s[4:5], s[12:13], 8
	s_lshl_b64 s[6:7], s[26:27], 2
	s_add_u32 s20, s22, s6
	s_addc_u32 s21, s23, s7
	s_add_u32 s22, s24, s6
	s_addc_u32 s23, s25, s7
	s_add_u32 s6, s8, s26
	s_addc_u32 s7, s9, 0
	s_add_u32 s24, s6, s10
	s_addc_u32 s25, s7, s11
	s_cmp_lg_u64 s[4:5], s[2:3]
	v_lshlrev_b32_e32 v10, 2, v0
	v_mbcnt_lo_u32_b32 v9, -1, 0
	s_cbranch_scc0 .LBB805_10
; %bb.1:
	global_load_dword v5, v10, s[22:23]
	global_load_dword v8, v10, s[22:23] offset:512
	global_load_dword v11, v10, s[20:21] offset:512
	global_load_dword v12, v10, s[20:21]
	v_mov_b32_e32 v1, 0
	s_mov_b64 s[4:5], 0x80
	v_lshl_add_u64 v[2:3], s[24:25], 0, v[0:1]
	v_lshl_add_u64 v[6:7], v[2:3], 0, s[4:5]
	v_mbcnt_hi_u32_b32 v4, -1, v9
	v_lshlrev_b32_e32 v1, 2, v4
	v_or_b32_e32 v13, 0xfc, v1
	s_waitcnt vmcnt(1)
	v_cmp_ne_u32_e32 vcc, v11, v8
	s_waitcnt vmcnt(0)
	v_cmp_ne_u32_e64 s[4:5], v12, v5
	s_nop 1
	v_cndmask_b32_e64 v3, v7, v3, s[4:5]
	v_cndmask_b32_e64 v2, v6, v2, s[4:5]
	s_or_b64 s[4:5], s[4:5], vcc
	v_cndmask_b32_e64 v5, 0, 1, s[4:5]
	v_mov_b32_dpp v7, v3 quad_perm:[1,0,3,2] row_mask:0xf bank_mask:0xf bound_ctrl:1
	v_mov_b32_dpp v6, v2 quad_perm:[1,0,3,2] row_mask:0xf bank_mask:0xf bound_ctrl:1
	;; [unrolled: 1-line block ×3, first 2 shown]
	v_cmp_lt_i64_e32 vcc, v[2:3], v[6:7]
	v_and_b32_e32 v8, 1, v8
	s_and_b64 vcc, s[4:5], vcc
	v_cndmask_b32_e32 v6, v6, v2, vcc
	v_cndmask_b32_e32 v7, v7, v3, vcc
	v_cmp_eq_u32_e32 vcc, 1, v8
	s_nop 1
	v_cndmask_b32_e64 v5, v5, 1, vcc
	v_cndmask_b32_e32 v3, v3, v7, vcc
	v_cndmask_b32_e32 v2, v2, v6, vcc
	v_mov_b32_dpp v8, v5 quad_perm:[2,3,0,1] row_mask:0xf bank_mask:0xf bound_ctrl:1
	v_and_b32_e32 v8, 1, v8
	v_mov_b32_dpp v6, v2 quad_perm:[2,3,0,1] row_mask:0xf bank_mask:0xf bound_ctrl:1
	v_mov_b32_dpp v7, v3 quad_perm:[2,3,0,1] row_mask:0xf bank_mask:0xf bound_ctrl:1
	v_and_b32_e32 v11, 1, v5
	v_cmp_eq_u32_e64 s[6:7], 1, v8
	v_cmp_eq_u32_e32 vcc, 1, v11
	v_cmp_lt_i64_e64 s[4:5], v[2:3], v[6:7]
	v_cndmask_b32_e64 v5, v5, 1, s[6:7]
	s_and_b64 vcc, vcc, s[4:5]
	v_cndmask_b32_e32 v6, v6, v2, vcc
	v_mov_b32_dpp v8, v5 row_ror:4 row_mask:0xf bank_mask:0xf bound_ctrl:1
	v_cndmask_b32_e32 v7, v7, v3, vcc
	v_and_b32_e32 v8, 1, v8
	v_cndmask_b32_e64 v2, v2, v6, s[6:7]
	v_cndmask_b32_e64 v3, v3, v7, s[6:7]
	v_cmp_eq_u32_e64 s[4:5], 1, v8
	v_and_b32_e32 v11, 1, v5
	v_mov_b32_dpp v6, v2 row_ror:4 row_mask:0xf bank_mask:0xf bound_ctrl:1
	v_mov_b32_dpp v7, v3 row_ror:4 row_mask:0xf bank_mask:0xf bound_ctrl:1
	v_cndmask_b32_e64 v5, v5, 1, s[4:5]
	v_cmp_eq_u32_e32 vcc, 1, v11
	v_cmp_lt_i64_e64 s[6:7], v[2:3], v[6:7]
	v_mov_b32_dpp v8, v5 row_ror:8 row_mask:0xf bank_mask:0xf bound_ctrl:1
	s_and_b64 vcc, vcc, s[6:7]
	v_and_b32_e32 v8, 1, v8
	v_cndmask_b32_e32 v6, v6, v2, vcc
	v_cndmask_b32_e32 v7, v7, v3, vcc
	v_cmp_eq_u32_e32 vcc, 1, v8
	v_and_b32_e32 v11, 1, v5
	v_cndmask_b32_e64 v2, v2, v6, s[4:5]
	v_cndmask_b32_e64 v5, v5, 1, vcc
	v_cndmask_b32_e64 v3, v3, v7, s[4:5]
	v_mov_b32_dpp v6, v2 row_ror:8 row_mask:0xf bank_mask:0xf bound_ctrl:1
	v_mov_b32_dpp v8, v5 row_bcast:15 row_mask:0xf bank_mask:0xf bound_ctrl:1
	v_mov_b32_dpp v7, v3 row_ror:8 row_mask:0xf bank_mask:0xf bound_ctrl:1
	v_cmp_eq_u32_e64 s[6:7], 1, v11
	v_and_b32_e32 v8, 1, v8
	v_cmp_lt_i64_e64 s[8:9], v[2:3], v[6:7]
	v_cmp_eq_u32_e64 s[10:11], 1, v8
	s_and_b64 s[6:7], s[6:7], s[8:9]
	v_and_b32_e32 v11, 1, v5
	v_cndmask_b32_e64 v5, v5, 1, s[10:11]
	v_cndmask_b32_e64 v6, v6, v2, s[6:7]
	;; [unrolled: 1-line block ×3, first 2 shown]
	v_mov_b32_dpp v8, v5 row_bcast:31 row_mask:0xf bank_mask:0xf bound_ctrl:1
	v_cndmask_b32_e32 v2, v2, v6, vcc
	v_cndmask_b32_e32 v3, v3, v7, vcc
	v_and_b32_e32 v8, 1, v8
	v_mov_b32_dpp v6, v2 row_bcast:15 row_mask:0xf bank_mask:0xf bound_ctrl:1
	v_mov_b32_dpp v7, v3 row_bcast:15 row_mask:0xf bank_mask:0xf bound_ctrl:1
	v_cmp_eq_u32_e64 s[4:5], 1, v11
	v_cmp_eq_u32_e32 vcc, 1, v8
	v_cmp_lt_i64_e64 s[8:9], v[2:3], v[6:7]
	v_and_b32_e32 v11, 1, v5
	v_cndmask_b32_e64 v5, v5, 1, vcc
	s_and_b64 s[4:5], s[4:5], s[8:9]
	ds_bpermute_b32 v8, v13, v5
	v_cndmask_b32_e64 v5, v6, v2, s[4:5]
	v_cndmask_b32_e64 v6, v7, v3, s[4:5]
	;; [unrolled: 1-line block ×4, first 2 shown]
	v_cmp_eq_u32_e64 s[6:7], 1, v11
	v_mov_b32_dpp v6, v2 row_bcast:31 row_mask:0xf bank_mask:0xf bound_ctrl:1
	v_mov_b32_dpp v7, v3 row_bcast:31 row_mask:0xf bank_mask:0xf bound_ctrl:1
	v_cmp_lt_i64_e64 s[4:5], v[2:3], v[6:7]
	s_and_b64 s[4:5], s[6:7], s[4:5]
	s_nop 0
	v_cndmask_b32_e64 v5, v6, v2, s[4:5]
	v_cndmask_b32_e64 v6, v7, v3, s[4:5]
	v_cndmask_b32_e32 v2, v2, v5, vcc
	v_cndmask_b32_e32 v3, v3, v6, vcc
	ds_bpermute_b32 v2, v13, v2
	ds_bpermute_b32 v3, v13, v3
	v_cmp_eq_u32_e32 vcc, 0, v4
	s_and_saveexec_b64 s[4:5], vcc
	s_cbranch_execz .LBB805_3
; %bb.2:
	v_lshrrev_b32_e32 v5, 2, v0
	v_and_b32_e32 v5, 16, v5
	s_waitcnt lgkmcnt(2)
	ds_write_b8 v5, v8
	s_waitcnt lgkmcnt(1)
	ds_write_b64 v5, v[2:3] offset:8
.LBB805_3:
	s_or_b64 exec, exec, s[4:5]
	v_cmp_gt_u32_e32 vcc, 64, v0
	s_waitcnt lgkmcnt(0)
	s_barrier
	s_and_saveexec_b64 s[4:5], vcc
	s_cbranch_execz .LBB805_9
; %bb.4:
	v_and_b32_e32 v2, 1, v4
	v_lshlrev_b32_e32 v2, 4, v2
	ds_read_u8 v11, v2
	ds_read_b64 v[4:5], v2 offset:8
	v_or_b32_e32 v3, 4, v1
	s_waitcnt lgkmcnt(1)
	v_and_b32_e32 v2, 0xff, v11
	ds_bpermute_b32 v1, v3, v2
	s_waitcnt lgkmcnt(1)
	ds_bpermute_b32 v6, v3, v4
	ds_bpermute_b32 v7, v3, v5
	s_waitcnt lgkmcnt(2)
	v_and_b32_e32 v2, v11, v1
	v_and_b32_e32 v2, 1, v2
	v_cmp_eq_u32_e32 vcc, 1, v2
                                        ; implicit-def: $vgpr2_vgpr3
	s_and_saveexec_b64 s[6:7], vcc
	s_xor_b64 s[6:7], exec, s[6:7]
	s_cbranch_execz .LBB805_6
; %bb.5:
	s_waitcnt lgkmcnt(0)
	v_cmp_lt_i64_e32 vcc, v[6:7], v[4:5]
                                        ; implicit-def: $vgpr11
                                        ; implicit-def: $vgpr1
	s_nop 1
	v_cndmask_b32_e32 v3, v5, v7, vcc
	v_cndmask_b32_e32 v2, v4, v6, vcc
                                        ; implicit-def: $vgpr6_vgpr7
                                        ; implicit-def: $vgpr4_vgpr5
.LBB805_6:
	s_or_saveexec_b64 s[6:7], s[6:7]
	v_mov_b32_e32 v8, 1
	s_xor_b64 exec, exec, s[6:7]
	s_cbranch_execz .LBB805_8
; %bb.7:
	v_and_b32_e32 v2, 1, v11
	v_cmp_eq_u32_e32 vcc, 1, v2
	s_waitcnt lgkmcnt(0)
	s_nop 0
	v_cndmask_b32_e32 v3, v7, v5, vcc
	v_cndmask_b32_e32 v2, v6, v4, vcc
	v_cndmask_b32_e64 v8, v1, 1, vcc
.LBB805_8:
	s_or_b64 exec, exec, s[6:7]
.LBB805_9:
	s_or_b64 exec, exec, s[4:5]
	s_load_dword s10, s[0:1], 0x50
	s_load_dwordx2 s[8:9], s[0:1], 0x58
	s_branch .LBB805_62
.LBB805_10:
                                        ; implicit-def: $vgpr2_vgpr3
                                        ; implicit-def: $vgpr8
	s_load_dword s10, s[0:1], 0x50
	s_load_dwordx2 s[8:9], s[0:1], 0x58
	s_cbranch_execz .LBB805_62
; %bb.11:
	s_sub_i32 s11, s12, s26
	v_cmp_gt_u32_e32 vcc, s11, v0
	s_waitcnt lgkmcnt(0)
	v_mov_b32_e32 v7, 0
	v_mov_b64_e32 v[4:5], 0
	v_mov_b64_e32 v[2:3], 0
	v_mov_b32_e32 v1, 0
	s_and_saveexec_b64 s[0:1], vcc
	s_cbranch_execz .LBB805_13
; %bb.12:
	global_load_dword v6, v10, s[20:21]
	global_load_dword v8, v10, s[22:23]
	v_mov_b32_e32 v1, 0
	v_lshl_add_u64 v[2:3], s[24:25], 0, v[0:1]
	s_waitcnt vmcnt(0)
	v_cmp_ne_u32_e32 vcc, v6, v8
	s_nop 1
	v_cndmask_b32_e64 v1, 0, 1, vcc
.LBB805_13:
	s_or_b64 exec, exec, s[0:1]
	v_or_b32_e32 v6, 0x80, v0
	v_cmp_gt_u32_e32 vcc, s11, v6
	s_and_saveexec_b64 s[4:5], vcc
	s_cbranch_execz .LBB805_15
; %bb.14:
	global_load_dword v8, v10, s[20:21] offset:512
	global_load_dword v11, v10, s[22:23] offset:512
	v_mov_b32_e32 v7, 0
	v_lshl_add_u64 v[4:5], s[24:25], 0, v[6:7]
	s_waitcnt vmcnt(0)
	v_cmp_ne_u32_e64 s[0:1], v8, v11
	s_nop 1
	v_cndmask_b32_e64 v7, 0, 1, s[0:1]
.LBB805_15:
	s_or_b64 exec, exec, s[4:5]
	v_and_b32_e32 v8, 0xffff, v7
	v_and_b32_e32 v7, 1, v7
	;; [unrolled: 1-line block ×3, first 2 shown]
	v_cmp_eq_u32_e64 s[0:1], 1, v7
	v_and_b32_e32 v1, 1, v1
	v_cmp_lt_i64_e64 s[4:5], v[4:5], v[2:3]
	v_cmp_eq_u32_e64 s[6:7], 1, v1
	s_and_b64 s[0:1], s[0:1], s[4:5]
	v_cndmask_b32_e64 v7, v3, v5, s[0:1]
	v_cndmask_b32_e64 v1, v8, 1, s[6:7]
	;; [unrolled: 1-line block ×4, first 2 shown]
	v_cndmask_b32_e32 v8, v6, v1, vcc
	v_mbcnt_hi_u32_b32 v1, -1, v9
	v_cndmask_b32_e64 v5, v5, v7, s[6:7]
	v_and_b32_e32 v6, 63, v1
	v_cndmask_b32_e32 v3, v3, v5, vcc
	v_cndmask_b32_e32 v2, v2, v4, vcc
	v_cmp_ne_u32_e32 vcc, 63, v6
	s_min_u32 s6, s11, 0x80
	v_and_b32_e32 v7, 64, v0
	v_addc_co_u32_e32 v4, vcc, 0, v1, vcc
	v_lshlrev_b32_e32 v5, 2, v4
	ds_bpermute_b32 v9, v5, v8
	ds_bpermute_b32 v4, v5, v2
	;; [unrolled: 1-line block ×3, first 2 shown]
	v_sub_u32_e64 v7, s6, v7 clamp
	v_add_u32_e32 v10, 1, v6
	v_cmp_lt_u32_e32 vcc, v10, v7
	s_and_saveexec_b64 s[0:1], vcc
	s_cbranch_execz .LBB805_21
; %bb.16:
	s_waitcnt lgkmcnt(2)
	v_and_b32_e32 v10, v9, v8
	v_cmp_ne_u32_e32 vcc, 0, v10
	s_and_saveexec_b64 s[4:5], vcc
	s_xor_b64 s[4:5], exec, s[4:5]
	s_cbranch_execz .LBB805_18
; %bb.17:
	s_waitcnt lgkmcnt(0)
	v_cmp_lt_i64_e32 vcc, v[4:5], v[2:3]
                                        ; implicit-def: $vgpr8
                                        ; implicit-def: $vgpr9
	s_nop 1
	v_cndmask_b32_e32 v3, v3, v5, vcc
	v_cndmask_b32_e32 v2, v2, v4, vcc
                                        ; implicit-def: $vgpr4_vgpr5
.LBB805_18:
	s_or_saveexec_b64 s[4:5], s[4:5]
	v_mov_b32_e32 v10, 1
	s_xor_b64 exec, exec, s[4:5]
	s_cbranch_execz .LBB805_20
; %bb.19:
	v_and_b32_e32 v8, 1, v8
	v_cmp_eq_u32_e32 vcc, 1, v8
	s_waitcnt lgkmcnt(1)
	s_nop 0
	v_cndmask_b32_e32 v2, v4, v2, vcc
	v_and_b32_e32 v4, 0xff, v9
	s_waitcnt lgkmcnt(0)
	v_cndmask_b32_e32 v3, v5, v3, vcc
	v_cndmask_b32_e64 v10, v4, 1, vcc
.LBB805_20:
	s_or_b64 exec, exec, s[4:5]
	v_mov_b32_e32 v8, v10
.LBB805_21:
	s_or_b64 exec, exec, s[0:1]
	v_cmp_gt_u32_e32 vcc, 62, v6
	v_add_u32_e32 v10, 2, v6
	s_waitcnt lgkmcnt(1)
	v_cndmask_b32_e64 v4, 0, 2, vcc
	s_waitcnt lgkmcnt(0)
	v_add_lshl_u32 v5, v4, v1, 2
	ds_bpermute_b32 v9, v5, v8
	ds_bpermute_b32 v4, v5, v2
	ds_bpermute_b32 v5, v5, v3
	v_cmp_lt_u32_e32 vcc, v10, v7
	s_and_saveexec_b64 s[0:1], vcc
	s_cbranch_execz .LBB805_27
; %bb.22:
	s_waitcnt lgkmcnt(2)
	v_and_b32_e32 v10, v8, v9
	v_and_b32_e32 v10, 1, v10
	v_cmp_eq_u32_e32 vcc, 1, v10
	s_and_saveexec_b64 s[4:5], vcc
	s_xor_b64 s[4:5], exec, s[4:5]
	s_cbranch_execz .LBB805_24
; %bb.23:
	s_waitcnt lgkmcnt(0)
	v_cmp_lt_i64_e32 vcc, v[4:5], v[2:3]
                                        ; implicit-def: $vgpr8
                                        ; implicit-def: $vgpr9
	s_nop 1
	v_cndmask_b32_e32 v3, v3, v5, vcc
	v_cndmask_b32_e32 v2, v2, v4, vcc
                                        ; implicit-def: $vgpr4_vgpr5
.LBB805_24:
	s_or_saveexec_b64 s[4:5], s[4:5]
	v_mov_b32_e32 v10, 1
	s_xor_b64 exec, exec, s[4:5]
	s_cbranch_execz .LBB805_26
; %bb.25:
	v_and_b32_e32 v8, 1, v8
	v_cmp_eq_u32_e32 vcc, 1, v8
	s_waitcnt lgkmcnt(1)
	s_nop 0
	v_cndmask_b32_e32 v2, v4, v2, vcc
	v_and_b32_e32 v4, 0xff, v9
	s_waitcnt lgkmcnt(0)
	v_cndmask_b32_e32 v3, v5, v3, vcc
	v_cndmask_b32_e64 v10, v4, 1, vcc
.LBB805_26:
	s_or_b64 exec, exec, s[4:5]
	v_mov_b32_e32 v8, v10
.LBB805_27:
	s_or_b64 exec, exec, s[0:1]
	v_cmp_gt_u32_e32 vcc, 60, v6
	v_add_u32_e32 v10, 4, v6
	s_waitcnt lgkmcnt(1)
	v_cndmask_b32_e64 v4, 0, 4, vcc
	s_waitcnt lgkmcnt(0)
	v_add_lshl_u32 v5, v4, v1, 2
	ds_bpermute_b32 v9, v5, v8
	ds_bpermute_b32 v4, v5, v2
	ds_bpermute_b32 v5, v5, v3
	v_cmp_lt_u32_e32 vcc, v10, v7
	s_and_saveexec_b64 s[0:1], vcc
	s_cbranch_execz .LBB805_33
; %bb.28:
	s_waitcnt lgkmcnt(2)
	v_and_b32_e32 v10, v8, v9
	v_and_b32_e32 v10, 1, v10
	v_cmp_eq_u32_e32 vcc, 1, v10
	s_and_saveexec_b64 s[4:5], vcc
	s_xor_b64 s[4:5], exec, s[4:5]
	s_cbranch_execz .LBB805_30
; %bb.29:
	s_waitcnt lgkmcnt(0)
	v_cmp_lt_i64_e32 vcc, v[4:5], v[2:3]
                                        ; implicit-def: $vgpr8
                                        ; implicit-def: $vgpr9
	s_nop 1
	v_cndmask_b32_e32 v3, v3, v5, vcc
	v_cndmask_b32_e32 v2, v2, v4, vcc
                                        ; implicit-def: $vgpr4_vgpr5
.LBB805_30:
	s_or_saveexec_b64 s[4:5], s[4:5]
	v_mov_b32_e32 v10, 1
	s_xor_b64 exec, exec, s[4:5]
	s_cbranch_execz .LBB805_32
; %bb.31:
	v_and_b32_e32 v8, 1, v8
	v_cmp_eq_u32_e32 vcc, 1, v8
	s_waitcnt lgkmcnt(1)
	s_nop 0
	v_cndmask_b32_e32 v2, v4, v2, vcc
	v_and_b32_e32 v4, 0xff, v9
	s_waitcnt lgkmcnt(0)
	v_cndmask_b32_e32 v3, v5, v3, vcc
	v_cndmask_b32_e64 v10, v4, 1, vcc
.LBB805_32:
	s_or_b64 exec, exec, s[4:5]
	v_mov_b32_e32 v8, v10
.LBB805_33:
	;; [unrolled: 49-line block ×4, first 2 shown]
	s_or_b64 exec, exec, s[0:1]
	s_waitcnt lgkmcnt(2)
	v_lshlrev_b32_e32 v9, 2, v1
	s_waitcnt lgkmcnt(0)
	v_or_b32_e32 v5, 0x80, v9
	ds_bpermute_b32 v10, v5, v8
	ds_bpermute_b32 v4, v5, v2
	;; [unrolled: 1-line block ×3, first 2 shown]
	v_add_u32_e32 v6, 32, v6
	v_cmp_lt_u32_e32 vcc, v6, v7
	v_mov_b32_e32 v6, v8
	s_and_saveexec_b64 s[0:1], vcc
	s_cbranch_execz .LBB805_51
; %bb.46:
	s_waitcnt lgkmcnt(2)
	v_and_b32_e32 v6, v8, v10
	v_and_b32_e32 v6, 1, v6
	v_cmp_eq_u32_e32 vcc, 1, v6
	s_and_saveexec_b64 s[4:5], vcc
	s_xor_b64 s[4:5], exec, s[4:5]
	s_cbranch_execz .LBB805_48
; %bb.47:
	s_waitcnt lgkmcnt(0)
	v_cmp_lt_i64_e32 vcc, v[4:5], v[2:3]
                                        ; implicit-def: $vgpr8
                                        ; implicit-def: $vgpr10
	s_nop 1
	v_cndmask_b32_e32 v3, v3, v5, vcc
	v_cndmask_b32_e32 v2, v2, v4, vcc
                                        ; implicit-def: $vgpr4_vgpr5
.LBB805_48:
	s_or_saveexec_b64 s[4:5], s[4:5]
	v_mov_b32_e32 v6, 1
	s_xor_b64 exec, exec, s[4:5]
	s_cbranch_execz .LBB805_50
; %bb.49:
	v_and_b32_e32 v6, 1, v8
	v_cmp_eq_u32_e32 vcc, 1, v6
	s_nop 1
	v_cndmask_b32_e64 v6, v10, 1, vcc
	s_waitcnt lgkmcnt(0)
	v_cndmask_b32_e32 v3, v5, v3, vcc
	v_cndmask_b32_e32 v2, v4, v2, vcc
.LBB805_50:
	s_or_b64 exec, exec, s[4:5]
	v_and_b32_e32 v8, 0xff, v6
.LBB805_51:
	s_or_b64 exec, exec, s[0:1]
	v_cmp_eq_u32_e32 vcc, 0, v1
	s_and_saveexec_b64 s[0:1], vcc
	s_cbranch_execz .LBB805_53
; %bb.52:
	s_waitcnt lgkmcnt(1)
	v_lshrrev_b32_e32 v4, 2, v0
	v_and_b32_e32 v4, 16, v4
	ds_write_b8 v4, v6 offset:32
	ds_write_b64 v4, v[2:3] offset:40
.LBB805_53:
	s_or_b64 exec, exec, s[0:1]
	v_cmp_gt_u32_e32 vcc, 2, v0
	s_waitcnt lgkmcnt(0)
	s_barrier
	s_and_saveexec_b64 s[0:1], vcc
	s_cbranch_execz .LBB805_61
; %bb.54:
	v_lshlrev_b32_e32 v2, 4, v1
	ds_read_u8 v6, v2 offset:32
	ds_read_b64 v[2:3], v2 offset:40
	v_or_b32_e32 v5, 4, v9
	s_add_i32 s6, s6, 63
	v_and_b32_e32 v1, 1, v1
	s_waitcnt lgkmcnt(1)
	v_and_b32_e32 v8, 0xff, v6
	s_waitcnt lgkmcnt(0)
	ds_bpermute_b32 v4, v5, v2
	ds_bpermute_b32 v7, v5, v8
	;; [unrolled: 1-line block ×3, first 2 shown]
	s_lshr_b32 s4, s6, 6
	v_add_u32_e32 v1, 1, v1
	v_cmp_gt_u32_e32 vcc, s4, v1
	s_and_saveexec_b64 s[4:5], vcc
	s_cbranch_execz .LBB805_60
; %bb.55:
	s_waitcnt lgkmcnt(1)
	v_and_b32_e32 v1, v8, v7
	v_and_b32_e32 v1, 1, v1
	v_cmp_eq_u32_e32 vcc, 1, v1
	s_and_saveexec_b64 s[6:7], vcc
	s_xor_b64 s[6:7], exec, s[6:7]
	s_cbranch_execz .LBB805_57
; %bb.56:
	s_waitcnt lgkmcnt(0)
	v_cmp_lt_i64_e32 vcc, v[4:5], v[2:3]
                                        ; implicit-def: $vgpr6
                                        ; implicit-def: $vgpr7
	s_nop 1
	v_cndmask_b32_e32 v3, v3, v5, vcc
	v_cndmask_b32_e32 v2, v2, v4, vcc
                                        ; implicit-def: $vgpr4_vgpr5
.LBB805_57:
	s_or_saveexec_b64 s[6:7], s[6:7]
	v_mov_b32_e32 v8, 1
	s_xor_b64 exec, exec, s[6:7]
	s_cbranch_execz .LBB805_59
; %bb.58:
	v_and_b32_e32 v1, 1, v6
	v_cmp_eq_u32_e32 vcc, 1, v1
	s_waitcnt lgkmcnt(0)
	s_nop 0
	v_cndmask_b32_e32 v3, v5, v3, vcc
	v_cndmask_b32_e32 v2, v4, v2, vcc
	v_cndmask_b32_e64 v8, v7, 1, vcc
.LBB805_59:
	s_or_b64 exec, exec, s[6:7]
.LBB805_60:
	s_or_b64 exec, exec, s[4:5]
.LBB805_61:
	s_or_b64 exec, exec, s[0:1]
.LBB805_62:
	v_cmp_eq_u32_e32 vcc, 0, v0
	s_and_saveexec_b64 s[0:1], vcc
	s_cbranch_execnz .LBB805_64
; %bb.63:
	s_endpgm
.LBB805_64:
	s_mul_i32 s0, s18, s17
	s_mul_hi_u32 s1, s18, s16
	s_add_i32 s0, s1, s0
	s_mul_i32 s1, s19, s16
	s_add_i32 s1, s0, s1
	s_mul_i32 s0, s18, s16
	s_lshl_b64 s[0:1], s[0:1], 4
	s_add_u32 s4, s14, s0
	s_addc_u32 s5, s15, s1
	s_cmp_eq_u64 s[12:13], 0
	s_waitcnt lgkmcnt(0)
	v_mov_b32_e32 v0, s9
	s_cselect_b64 vcc, -1, 0
	v_cndmask_b32_e32 v1, v3, v0, vcc
	v_mov_b32_e32 v0, s8
	s_lshl_b64 s[0:1], s[2:3], 4
	v_cndmask_b32_e32 v0, v2, v0, vcc
	v_mov_b32_e32 v2, s10
	s_add_u32 s0, s4, s0
	v_cndmask_b32_e32 v2, v8, v2, vcc
	s_addc_u32 s1, s5, s1
	v_mov_b32_e32 v3, 0
	global_store_byte v3, v2, s[0:1]
	global_store_dwordx2 v3, v[0:1], s[0:1] offset:8
	s_endpgm
	.section	.rodata,"a",@progbits
	.p2align	6, 0x0
	.amdhsa_kernel _ZN7rocprim17ROCPRIM_400000_NS6detail17trampoline_kernelINS0_14default_configENS1_22reduce_config_selectorIN6thrust23THRUST_200600_302600_NS5tupleIblNS6_9null_typeES8_S8_S8_S8_S8_S8_S8_EEEEZNS1_11reduce_implILb1ES3_NS6_12zip_iteratorINS7_INS6_11hip_rocprim26transform_input_iterator_tIbNSD_35transform_pair_of_input_iterators_tIbNS6_6detail15normal_iteratorINS6_10device_ptrIKjEEEESL_NS6_8equal_toIjEEEENSG_9not_fun_tINSD_8identityEEEEENSD_19counting_iterator_tIlEES8_S8_S8_S8_S8_S8_S8_S8_EEEEPS9_S9_NSD_9__find_if7functorIS9_EEEE10hipError_tPvRmT1_T2_T3_mT4_P12ihipStream_tbEUlT_E0_NS1_11comp_targetILNS1_3genE0ELNS1_11target_archE4294967295ELNS1_3gpuE0ELNS1_3repE0EEENS1_30default_config_static_selectorELNS0_4arch9wavefront6targetE1EEEvS14_
		.amdhsa_group_segment_fixed_size 64
		.amdhsa_private_segment_fixed_size 0
		.amdhsa_kernarg_size 104
		.amdhsa_user_sgpr_count 2
		.amdhsa_user_sgpr_dispatch_ptr 0
		.amdhsa_user_sgpr_queue_ptr 0
		.amdhsa_user_sgpr_kernarg_segment_ptr 1
		.amdhsa_user_sgpr_dispatch_id 0
		.amdhsa_user_sgpr_kernarg_preload_length 0
		.amdhsa_user_sgpr_kernarg_preload_offset 0
		.amdhsa_user_sgpr_private_segment_size 0
		.amdhsa_uses_dynamic_stack 0
		.amdhsa_enable_private_segment 0
		.amdhsa_system_sgpr_workgroup_id_x 1
		.amdhsa_system_sgpr_workgroup_id_y 0
		.amdhsa_system_sgpr_workgroup_id_z 0
		.amdhsa_system_sgpr_workgroup_info 0
		.amdhsa_system_vgpr_workitem_id 0
		.amdhsa_next_free_vgpr 14
		.amdhsa_next_free_sgpr 28
		.amdhsa_accum_offset 16
		.amdhsa_reserve_vcc 1
		.amdhsa_float_round_mode_32 0
		.amdhsa_float_round_mode_16_64 0
		.amdhsa_float_denorm_mode_32 3
		.amdhsa_float_denorm_mode_16_64 3
		.amdhsa_dx10_clamp 1
		.amdhsa_ieee_mode 1
		.amdhsa_fp16_overflow 0
		.amdhsa_tg_split 0
		.amdhsa_exception_fp_ieee_invalid_op 0
		.amdhsa_exception_fp_denorm_src 0
		.amdhsa_exception_fp_ieee_div_zero 0
		.amdhsa_exception_fp_ieee_overflow 0
		.amdhsa_exception_fp_ieee_underflow 0
		.amdhsa_exception_fp_ieee_inexact 0
		.amdhsa_exception_int_div_zero 0
	.end_amdhsa_kernel
	.section	.text._ZN7rocprim17ROCPRIM_400000_NS6detail17trampoline_kernelINS0_14default_configENS1_22reduce_config_selectorIN6thrust23THRUST_200600_302600_NS5tupleIblNS6_9null_typeES8_S8_S8_S8_S8_S8_S8_EEEEZNS1_11reduce_implILb1ES3_NS6_12zip_iteratorINS7_INS6_11hip_rocprim26transform_input_iterator_tIbNSD_35transform_pair_of_input_iterators_tIbNS6_6detail15normal_iteratorINS6_10device_ptrIKjEEEESL_NS6_8equal_toIjEEEENSG_9not_fun_tINSD_8identityEEEEENSD_19counting_iterator_tIlEES8_S8_S8_S8_S8_S8_S8_S8_EEEEPS9_S9_NSD_9__find_if7functorIS9_EEEE10hipError_tPvRmT1_T2_T3_mT4_P12ihipStream_tbEUlT_E0_NS1_11comp_targetILNS1_3genE0ELNS1_11target_archE4294967295ELNS1_3gpuE0ELNS1_3repE0EEENS1_30default_config_static_selectorELNS0_4arch9wavefront6targetE1EEEvS14_,"axG",@progbits,_ZN7rocprim17ROCPRIM_400000_NS6detail17trampoline_kernelINS0_14default_configENS1_22reduce_config_selectorIN6thrust23THRUST_200600_302600_NS5tupleIblNS6_9null_typeES8_S8_S8_S8_S8_S8_S8_EEEEZNS1_11reduce_implILb1ES3_NS6_12zip_iteratorINS7_INS6_11hip_rocprim26transform_input_iterator_tIbNSD_35transform_pair_of_input_iterators_tIbNS6_6detail15normal_iteratorINS6_10device_ptrIKjEEEESL_NS6_8equal_toIjEEEENSG_9not_fun_tINSD_8identityEEEEENSD_19counting_iterator_tIlEES8_S8_S8_S8_S8_S8_S8_S8_EEEEPS9_S9_NSD_9__find_if7functorIS9_EEEE10hipError_tPvRmT1_T2_T3_mT4_P12ihipStream_tbEUlT_E0_NS1_11comp_targetILNS1_3genE0ELNS1_11target_archE4294967295ELNS1_3gpuE0ELNS1_3repE0EEENS1_30default_config_static_selectorELNS0_4arch9wavefront6targetE1EEEvS14_,comdat
.Lfunc_end805:
	.size	_ZN7rocprim17ROCPRIM_400000_NS6detail17trampoline_kernelINS0_14default_configENS1_22reduce_config_selectorIN6thrust23THRUST_200600_302600_NS5tupleIblNS6_9null_typeES8_S8_S8_S8_S8_S8_S8_EEEEZNS1_11reduce_implILb1ES3_NS6_12zip_iteratorINS7_INS6_11hip_rocprim26transform_input_iterator_tIbNSD_35transform_pair_of_input_iterators_tIbNS6_6detail15normal_iteratorINS6_10device_ptrIKjEEEESL_NS6_8equal_toIjEEEENSG_9not_fun_tINSD_8identityEEEEENSD_19counting_iterator_tIlEES8_S8_S8_S8_S8_S8_S8_S8_EEEEPS9_S9_NSD_9__find_if7functorIS9_EEEE10hipError_tPvRmT1_T2_T3_mT4_P12ihipStream_tbEUlT_E0_NS1_11comp_targetILNS1_3genE0ELNS1_11target_archE4294967295ELNS1_3gpuE0ELNS1_3repE0EEENS1_30default_config_static_selectorELNS0_4arch9wavefront6targetE1EEEvS14_, .Lfunc_end805-_ZN7rocprim17ROCPRIM_400000_NS6detail17trampoline_kernelINS0_14default_configENS1_22reduce_config_selectorIN6thrust23THRUST_200600_302600_NS5tupleIblNS6_9null_typeES8_S8_S8_S8_S8_S8_S8_EEEEZNS1_11reduce_implILb1ES3_NS6_12zip_iteratorINS7_INS6_11hip_rocprim26transform_input_iterator_tIbNSD_35transform_pair_of_input_iterators_tIbNS6_6detail15normal_iteratorINS6_10device_ptrIKjEEEESL_NS6_8equal_toIjEEEENSG_9not_fun_tINSD_8identityEEEEENSD_19counting_iterator_tIlEES8_S8_S8_S8_S8_S8_S8_S8_EEEEPS9_S9_NSD_9__find_if7functorIS9_EEEE10hipError_tPvRmT1_T2_T3_mT4_P12ihipStream_tbEUlT_E0_NS1_11comp_targetILNS1_3genE0ELNS1_11target_archE4294967295ELNS1_3gpuE0ELNS1_3repE0EEENS1_30default_config_static_selectorELNS0_4arch9wavefront6targetE1EEEvS14_
                                        ; -- End function
	.set _ZN7rocprim17ROCPRIM_400000_NS6detail17trampoline_kernelINS0_14default_configENS1_22reduce_config_selectorIN6thrust23THRUST_200600_302600_NS5tupleIblNS6_9null_typeES8_S8_S8_S8_S8_S8_S8_EEEEZNS1_11reduce_implILb1ES3_NS6_12zip_iteratorINS7_INS6_11hip_rocprim26transform_input_iterator_tIbNSD_35transform_pair_of_input_iterators_tIbNS6_6detail15normal_iteratorINS6_10device_ptrIKjEEEESL_NS6_8equal_toIjEEEENSG_9not_fun_tINSD_8identityEEEEENSD_19counting_iterator_tIlEES8_S8_S8_S8_S8_S8_S8_S8_EEEEPS9_S9_NSD_9__find_if7functorIS9_EEEE10hipError_tPvRmT1_T2_T3_mT4_P12ihipStream_tbEUlT_E0_NS1_11comp_targetILNS1_3genE0ELNS1_11target_archE4294967295ELNS1_3gpuE0ELNS1_3repE0EEENS1_30default_config_static_selectorELNS0_4arch9wavefront6targetE1EEEvS14_.num_vgpr, 14
	.set _ZN7rocprim17ROCPRIM_400000_NS6detail17trampoline_kernelINS0_14default_configENS1_22reduce_config_selectorIN6thrust23THRUST_200600_302600_NS5tupleIblNS6_9null_typeES8_S8_S8_S8_S8_S8_S8_EEEEZNS1_11reduce_implILb1ES3_NS6_12zip_iteratorINS7_INS6_11hip_rocprim26transform_input_iterator_tIbNSD_35transform_pair_of_input_iterators_tIbNS6_6detail15normal_iteratorINS6_10device_ptrIKjEEEESL_NS6_8equal_toIjEEEENSG_9not_fun_tINSD_8identityEEEEENSD_19counting_iterator_tIlEES8_S8_S8_S8_S8_S8_S8_S8_EEEEPS9_S9_NSD_9__find_if7functorIS9_EEEE10hipError_tPvRmT1_T2_T3_mT4_P12ihipStream_tbEUlT_E0_NS1_11comp_targetILNS1_3genE0ELNS1_11target_archE4294967295ELNS1_3gpuE0ELNS1_3repE0EEENS1_30default_config_static_selectorELNS0_4arch9wavefront6targetE1EEEvS14_.num_agpr, 0
	.set _ZN7rocprim17ROCPRIM_400000_NS6detail17trampoline_kernelINS0_14default_configENS1_22reduce_config_selectorIN6thrust23THRUST_200600_302600_NS5tupleIblNS6_9null_typeES8_S8_S8_S8_S8_S8_S8_EEEEZNS1_11reduce_implILb1ES3_NS6_12zip_iteratorINS7_INS6_11hip_rocprim26transform_input_iterator_tIbNSD_35transform_pair_of_input_iterators_tIbNS6_6detail15normal_iteratorINS6_10device_ptrIKjEEEESL_NS6_8equal_toIjEEEENSG_9not_fun_tINSD_8identityEEEEENSD_19counting_iterator_tIlEES8_S8_S8_S8_S8_S8_S8_S8_EEEEPS9_S9_NSD_9__find_if7functorIS9_EEEE10hipError_tPvRmT1_T2_T3_mT4_P12ihipStream_tbEUlT_E0_NS1_11comp_targetILNS1_3genE0ELNS1_11target_archE4294967295ELNS1_3gpuE0ELNS1_3repE0EEENS1_30default_config_static_selectorELNS0_4arch9wavefront6targetE1EEEvS14_.numbered_sgpr, 28
	.set _ZN7rocprim17ROCPRIM_400000_NS6detail17trampoline_kernelINS0_14default_configENS1_22reduce_config_selectorIN6thrust23THRUST_200600_302600_NS5tupleIblNS6_9null_typeES8_S8_S8_S8_S8_S8_S8_EEEEZNS1_11reduce_implILb1ES3_NS6_12zip_iteratorINS7_INS6_11hip_rocprim26transform_input_iterator_tIbNSD_35transform_pair_of_input_iterators_tIbNS6_6detail15normal_iteratorINS6_10device_ptrIKjEEEESL_NS6_8equal_toIjEEEENSG_9not_fun_tINSD_8identityEEEEENSD_19counting_iterator_tIlEES8_S8_S8_S8_S8_S8_S8_S8_EEEEPS9_S9_NSD_9__find_if7functorIS9_EEEE10hipError_tPvRmT1_T2_T3_mT4_P12ihipStream_tbEUlT_E0_NS1_11comp_targetILNS1_3genE0ELNS1_11target_archE4294967295ELNS1_3gpuE0ELNS1_3repE0EEENS1_30default_config_static_selectorELNS0_4arch9wavefront6targetE1EEEvS14_.num_named_barrier, 0
	.set _ZN7rocprim17ROCPRIM_400000_NS6detail17trampoline_kernelINS0_14default_configENS1_22reduce_config_selectorIN6thrust23THRUST_200600_302600_NS5tupleIblNS6_9null_typeES8_S8_S8_S8_S8_S8_S8_EEEEZNS1_11reduce_implILb1ES3_NS6_12zip_iteratorINS7_INS6_11hip_rocprim26transform_input_iterator_tIbNSD_35transform_pair_of_input_iterators_tIbNS6_6detail15normal_iteratorINS6_10device_ptrIKjEEEESL_NS6_8equal_toIjEEEENSG_9not_fun_tINSD_8identityEEEEENSD_19counting_iterator_tIlEES8_S8_S8_S8_S8_S8_S8_S8_EEEEPS9_S9_NSD_9__find_if7functorIS9_EEEE10hipError_tPvRmT1_T2_T3_mT4_P12ihipStream_tbEUlT_E0_NS1_11comp_targetILNS1_3genE0ELNS1_11target_archE4294967295ELNS1_3gpuE0ELNS1_3repE0EEENS1_30default_config_static_selectorELNS0_4arch9wavefront6targetE1EEEvS14_.private_seg_size, 0
	.set _ZN7rocprim17ROCPRIM_400000_NS6detail17trampoline_kernelINS0_14default_configENS1_22reduce_config_selectorIN6thrust23THRUST_200600_302600_NS5tupleIblNS6_9null_typeES8_S8_S8_S8_S8_S8_S8_EEEEZNS1_11reduce_implILb1ES3_NS6_12zip_iteratorINS7_INS6_11hip_rocprim26transform_input_iterator_tIbNSD_35transform_pair_of_input_iterators_tIbNS6_6detail15normal_iteratorINS6_10device_ptrIKjEEEESL_NS6_8equal_toIjEEEENSG_9not_fun_tINSD_8identityEEEEENSD_19counting_iterator_tIlEES8_S8_S8_S8_S8_S8_S8_S8_EEEEPS9_S9_NSD_9__find_if7functorIS9_EEEE10hipError_tPvRmT1_T2_T3_mT4_P12ihipStream_tbEUlT_E0_NS1_11comp_targetILNS1_3genE0ELNS1_11target_archE4294967295ELNS1_3gpuE0ELNS1_3repE0EEENS1_30default_config_static_selectorELNS0_4arch9wavefront6targetE1EEEvS14_.uses_vcc, 1
	.set _ZN7rocprim17ROCPRIM_400000_NS6detail17trampoline_kernelINS0_14default_configENS1_22reduce_config_selectorIN6thrust23THRUST_200600_302600_NS5tupleIblNS6_9null_typeES8_S8_S8_S8_S8_S8_S8_EEEEZNS1_11reduce_implILb1ES3_NS6_12zip_iteratorINS7_INS6_11hip_rocprim26transform_input_iterator_tIbNSD_35transform_pair_of_input_iterators_tIbNS6_6detail15normal_iteratorINS6_10device_ptrIKjEEEESL_NS6_8equal_toIjEEEENSG_9not_fun_tINSD_8identityEEEEENSD_19counting_iterator_tIlEES8_S8_S8_S8_S8_S8_S8_S8_EEEEPS9_S9_NSD_9__find_if7functorIS9_EEEE10hipError_tPvRmT1_T2_T3_mT4_P12ihipStream_tbEUlT_E0_NS1_11comp_targetILNS1_3genE0ELNS1_11target_archE4294967295ELNS1_3gpuE0ELNS1_3repE0EEENS1_30default_config_static_selectorELNS0_4arch9wavefront6targetE1EEEvS14_.uses_flat_scratch, 0
	.set _ZN7rocprim17ROCPRIM_400000_NS6detail17trampoline_kernelINS0_14default_configENS1_22reduce_config_selectorIN6thrust23THRUST_200600_302600_NS5tupleIblNS6_9null_typeES8_S8_S8_S8_S8_S8_S8_EEEEZNS1_11reduce_implILb1ES3_NS6_12zip_iteratorINS7_INS6_11hip_rocprim26transform_input_iterator_tIbNSD_35transform_pair_of_input_iterators_tIbNS6_6detail15normal_iteratorINS6_10device_ptrIKjEEEESL_NS6_8equal_toIjEEEENSG_9not_fun_tINSD_8identityEEEEENSD_19counting_iterator_tIlEES8_S8_S8_S8_S8_S8_S8_S8_EEEEPS9_S9_NSD_9__find_if7functorIS9_EEEE10hipError_tPvRmT1_T2_T3_mT4_P12ihipStream_tbEUlT_E0_NS1_11comp_targetILNS1_3genE0ELNS1_11target_archE4294967295ELNS1_3gpuE0ELNS1_3repE0EEENS1_30default_config_static_selectorELNS0_4arch9wavefront6targetE1EEEvS14_.has_dyn_sized_stack, 0
	.set _ZN7rocprim17ROCPRIM_400000_NS6detail17trampoline_kernelINS0_14default_configENS1_22reduce_config_selectorIN6thrust23THRUST_200600_302600_NS5tupleIblNS6_9null_typeES8_S8_S8_S8_S8_S8_S8_EEEEZNS1_11reduce_implILb1ES3_NS6_12zip_iteratorINS7_INS6_11hip_rocprim26transform_input_iterator_tIbNSD_35transform_pair_of_input_iterators_tIbNS6_6detail15normal_iteratorINS6_10device_ptrIKjEEEESL_NS6_8equal_toIjEEEENSG_9not_fun_tINSD_8identityEEEEENSD_19counting_iterator_tIlEES8_S8_S8_S8_S8_S8_S8_S8_EEEEPS9_S9_NSD_9__find_if7functorIS9_EEEE10hipError_tPvRmT1_T2_T3_mT4_P12ihipStream_tbEUlT_E0_NS1_11comp_targetILNS1_3genE0ELNS1_11target_archE4294967295ELNS1_3gpuE0ELNS1_3repE0EEENS1_30default_config_static_selectorELNS0_4arch9wavefront6targetE1EEEvS14_.has_recursion, 0
	.set _ZN7rocprim17ROCPRIM_400000_NS6detail17trampoline_kernelINS0_14default_configENS1_22reduce_config_selectorIN6thrust23THRUST_200600_302600_NS5tupleIblNS6_9null_typeES8_S8_S8_S8_S8_S8_S8_EEEEZNS1_11reduce_implILb1ES3_NS6_12zip_iteratorINS7_INS6_11hip_rocprim26transform_input_iterator_tIbNSD_35transform_pair_of_input_iterators_tIbNS6_6detail15normal_iteratorINS6_10device_ptrIKjEEEESL_NS6_8equal_toIjEEEENSG_9not_fun_tINSD_8identityEEEEENSD_19counting_iterator_tIlEES8_S8_S8_S8_S8_S8_S8_S8_EEEEPS9_S9_NSD_9__find_if7functorIS9_EEEE10hipError_tPvRmT1_T2_T3_mT4_P12ihipStream_tbEUlT_E0_NS1_11comp_targetILNS1_3genE0ELNS1_11target_archE4294967295ELNS1_3gpuE0ELNS1_3repE0EEENS1_30default_config_static_selectorELNS0_4arch9wavefront6targetE1EEEvS14_.has_indirect_call, 0
	.section	.AMDGPU.csdata,"",@progbits
; Kernel info:
; codeLenInByte = 2864
; TotalNumSgprs: 34
; NumVgprs: 14
; NumAgprs: 0
; TotalNumVgprs: 14
; ScratchSize: 0
; MemoryBound: 0
; FloatMode: 240
; IeeeMode: 1
; LDSByteSize: 64 bytes/workgroup (compile time only)
; SGPRBlocks: 4
; VGPRBlocks: 1
; NumSGPRsForWavesPerEU: 34
; NumVGPRsForWavesPerEU: 14
; AccumOffset: 16
; Occupancy: 8
; WaveLimiterHint : 0
; COMPUTE_PGM_RSRC2:SCRATCH_EN: 0
; COMPUTE_PGM_RSRC2:USER_SGPR: 2
; COMPUTE_PGM_RSRC2:TRAP_HANDLER: 0
; COMPUTE_PGM_RSRC2:TGID_X_EN: 1
; COMPUTE_PGM_RSRC2:TGID_Y_EN: 0
; COMPUTE_PGM_RSRC2:TGID_Z_EN: 0
; COMPUTE_PGM_RSRC2:TIDIG_COMP_CNT: 0
; COMPUTE_PGM_RSRC3_GFX90A:ACCUM_OFFSET: 3
; COMPUTE_PGM_RSRC3_GFX90A:TG_SPLIT: 0
	.section	.text._ZN7rocprim17ROCPRIM_400000_NS6detail17trampoline_kernelINS0_14default_configENS1_22reduce_config_selectorIN6thrust23THRUST_200600_302600_NS5tupleIblNS6_9null_typeES8_S8_S8_S8_S8_S8_S8_EEEEZNS1_11reduce_implILb1ES3_NS6_12zip_iteratorINS7_INS6_11hip_rocprim26transform_input_iterator_tIbNSD_35transform_pair_of_input_iterators_tIbNS6_6detail15normal_iteratorINS6_10device_ptrIKjEEEESL_NS6_8equal_toIjEEEENSG_9not_fun_tINSD_8identityEEEEENSD_19counting_iterator_tIlEES8_S8_S8_S8_S8_S8_S8_S8_EEEEPS9_S9_NSD_9__find_if7functorIS9_EEEE10hipError_tPvRmT1_T2_T3_mT4_P12ihipStream_tbEUlT_E0_NS1_11comp_targetILNS1_3genE5ELNS1_11target_archE942ELNS1_3gpuE9ELNS1_3repE0EEENS1_30default_config_static_selectorELNS0_4arch9wavefront6targetE1EEEvS14_,"axG",@progbits,_ZN7rocprim17ROCPRIM_400000_NS6detail17trampoline_kernelINS0_14default_configENS1_22reduce_config_selectorIN6thrust23THRUST_200600_302600_NS5tupleIblNS6_9null_typeES8_S8_S8_S8_S8_S8_S8_EEEEZNS1_11reduce_implILb1ES3_NS6_12zip_iteratorINS7_INS6_11hip_rocprim26transform_input_iterator_tIbNSD_35transform_pair_of_input_iterators_tIbNS6_6detail15normal_iteratorINS6_10device_ptrIKjEEEESL_NS6_8equal_toIjEEEENSG_9not_fun_tINSD_8identityEEEEENSD_19counting_iterator_tIlEES8_S8_S8_S8_S8_S8_S8_S8_EEEEPS9_S9_NSD_9__find_if7functorIS9_EEEE10hipError_tPvRmT1_T2_T3_mT4_P12ihipStream_tbEUlT_E0_NS1_11comp_targetILNS1_3genE5ELNS1_11target_archE942ELNS1_3gpuE9ELNS1_3repE0EEENS1_30default_config_static_selectorELNS0_4arch9wavefront6targetE1EEEvS14_,comdat
	.protected	_ZN7rocprim17ROCPRIM_400000_NS6detail17trampoline_kernelINS0_14default_configENS1_22reduce_config_selectorIN6thrust23THRUST_200600_302600_NS5tupleIblNS6_9null_typeES8_S8_S8_S8_S8_S8_S8_EEEEZNS1_11reduce_implILb1ES3_NS6_12zip_iteratorINS7_INS6_11hip_rocprim26transform_input_iterator_tIbNSD_35transform_pair_of_input_iterators_tIbNS6_6detail15normal_iteratorINS6_10device_ptrIKjEEEESL_NS6_8equal_toIjEEEENSG_9not_fun_tINSD_8identityEEEEENSD_19counting_iterator_tIlEES8_S8_S8_S8_S8_S8_S8_S8_EEEEPS9_S9_NSD_9__find_if7functorIS9_EEEE10hipError_tPvRmT1_T2_T3_mT4_P12ihipStream_tbEUlT_E0_NS1_11comp_targetILNS1_3genE5ELNS1_11target_archE942ELNS1_3gpuE9ELNS1_3repE0EEENS1_30default_config_static_selectorELNS0_4arch9wavefront6targetE1EEEvS14_ ; -- Begin function _ZN7rocprim17ROCPRIM_400000_NS6detail17trampoline_kernelINS0_14default_configENS1_22reduce_config_selectorIN6thrust23THRUST_200600_302600_NS5tupleIblNS6_9null_typeES8_S8_S8_S8_S8_S8_S8_EEEEZNS1_11reduce_implILb1ES3_NS6_12zip_iteratorINS7_INS6_11hip_rocprim26transform_input_iterator_tIbNSD_35transform_pair_of_input_iterators_tIbNS6_6detail15normal_iteratorINS6_10device_ptrIKjEEEESL_NS6_8equal_toIjEEEENSG_9not_fun_tINSD_8identityEEEEENSD_19counting_iterator_tIlEES8_S8_S8_S8_S8_S8_S8_S8_EEEEPS9_S9_NSD_9__find_if7functorIS9_EEEE10hipError_tPvRmT1_T2_T3_mT4_P12ihipStream_tbEUlT_E0_NS1_11comp_targetILNS1_3genE5ELNS1_11target_archE942ELNS1_3gpuE9ELNS1_3repE0EEENS1_30default_config_static_selectorELNS0_4arch9wavefront6targetE1EEEvS14_
	.globl	_ZN7rocprim17ROCPRIM_400000_NS6detail17trampoline_kernelINS0_14default_configENS1_22reduce_config_selectorIN6thrust23THRUST_200600_302600_NS5tupleIblNS6_9null_typeES8_S8_S8_S8_S8_S8_S8_EEEEZNS1_11reduce_implILb1ES3_NS6_12zip_iteratorINS7_INS6_11hip_rocprim26transform_input_iterator_tIbNSD_35transform_pair_of_input_iterators_tIbNS6_6detail15normal_iteratorINS6_10device_ptrIKjEEEESL_NS6_8equal_toIjEEEENSG_9not_fun_tINSD_8identityEEEEENSD_19counting_iterator_tIlEES8_S8_S8_S8_S8_S8_S8_S8_EEEEPS9_S9_NSD_9__find_if7functorIS9_EEEE10hipError_tPvRmT1_T2_T3_mT4_P12ihipStream_tbEUlT_E0_NS1_11comp_targetILNS1_3genE5ELNS1_11target_archE942ELNS1_3gpuE9ELNS1_3repE0EEENS1_30default_config_static_selectorELNS0_4arch9wavefront6targetE1EEEvS14_
	.p2align	8
	.type	_ZN7rocprim17ROCPRIM_400000_NS6detail17trampoline_kernelINS0_14default_configENS1_22reduce_config_selectorIN6thrust23THRUST_200600_302600_NS5tupleIblNS6_9null_typeES8_S8_S8_S8_S8_S8_S8_EEEEZNS1_11reduce_implILb1ES3_NS6_12zip_iteratorINS7_INS6_11hip_rocprim26transform_input_iterator_tIbNSD_35transform_pair_of_input_iterators_tIbNS6_6detail15normal_iteratorINS6_10device_ptrIKjEEEESL_NS6_8equal_toIjEEEENSG_9not_fun_tINSD_8identityEEEEENSD_19counting_iterator_tIlEES8_S8_S8_S8_S8_S8_S8_S8_EEEEPS9_S9_NSD_9__find_if7functorIS9_EEEE10hipError_tPvRmT1_T2_T3_mT4_P12ihipStream_tbEUlT_E0_NS1_11comp_targetILNS1_3genE5ELNS1_11target_archE942ELNS1_3gpuE9ELNS1_3repE0EEENS1_30default_config_static_selectorELNS0_4arch9wavefront6targetE1EEEvS14_,@function
_ZN7rocprim17ROCPRIM_400000_NS6detail17trampoline_kernelINS0_14default_configENS1_22reduce_config_selectorIN6thrust23THRUST_200600_302600_NS5tupleIblNS6_9null_typeES8_S8_S8_S8_S8_S8_S8_EEEEZNS1_11reduce_implILb1ES3_NS6_12zip_iteratorINS7_INS6_11hip_rocprim26transform_input_iterator_tIbNSD_35transform_pair_of_input_iterators_tIbNS6_6detail15normal_iteratorINS6_10device_ptrIKjEEEESL_NS6_8equal_toIjEEEENSG_9not_fun_tINSD_8identityEEEEENSD_19counting_iterator_tIlEES8_S8_S8_S8_S8_S8_S8_S8_EEEEPS9_S9_NSD_9__find_if7functorIS9_EEEE10hipError_tPvRmT1_T2_T3_mT4_P12ihipStream_tbEUlT_E0_NS1_11comp_targetILNS1_3genE5ELNS1_11target_archE942ELNS1_3gpuE9ELNS1_3repE0EEENS1_30default_config_static_selectorELNS0_4arch9wavefront6targetE1EEEvS14_: ; @_ZN7rocprim17ROCPRIM_400000_NS6detail17trampoline_kernelINS0_14default_configENS1_22reduce_config_selectorIN6thrust23THRUST_200600_302600_NS5tupleIblNS6_9null_typeES8_S8_S8_S8_S8_S8_S8_EEEEZNS1_11reduce_implILb1ES3_NS6_12zip_iteratorINS7_INS6_11hip_rocprim26transform_input_iterator_tIbNSD_35transform_pair_of_input_iterators_tIbNS6_6detail15normal_iteratorINS6_10device_ptrIKjEEEESL_NS6_8equal_toIjEEEENSG_9not_fun_tINSD_8identityEEEEENSD_19counting_iterator_tIlEES8_S8_S8_S8_S8_S8_S8_S8_EEEEPS9_S9_NSD_9__find_if7functorIS9_EEEE10hipError_tPvRmT1_T2_T3_mT4_P12ihipStream_tbEUlT_E0_NS1_11comp_targetILNS1_3genE5ELNS1_11target_archE942ELNS1_3gpuE9ELNS1_3repE0EEENS1_30default_config_static_selectorELNS0_4arch9wavefront6targetE1EEEvS14_
; %bb.0:
	.section	.rodata,"a",@progbits
	.p2align	6, 0x0
	.amdhsa_kernel _ZN7rocprim17ROCPRIM_400000_NS6detail17trampoline_kernelINS0_14default_configENS1_22reduce_config_selectorIN6thrust23THRUST_200600_302600_NS5tupleIblNS6_9null_typeES8_S8_S8_S8_S8_S8_S8_EEEEZNS1_11reduce_implILb1ES3_NS6_12zip_iteratorINS7_INS6_11hip_rocprim26transform_input_iterator_tIbNSD_35transform_pair_of_input_iterators_tIbNS6_6detail15normal_iteratorINS6_10device_ptrIKjEEEESL_NS6_8equal_toIjEEEENSG_9not_fun_tINSD_8identityEEEEENSD_19counting_iterator_tIlEES8_S8_S8_S8_S8_S8_S8_S8_EEEEPS9_S9_NSD_9__find_if7functorIS9_EEEE10hipError_tPvRmT1_T2_T3_mT4_P12ihipStream_tbEUlT_E0_NS1_11comp_targetILNS1_3genE5ELNS1_11target_archE942ELNS1_3gpuE9ELNS1_3repE0EEENS1_30default_config_static_selectorELNS0_4arch9wavefront6targetE1EEEvS14_
		.amdhsa_group_segment_fixed_size 0
		.amdhsa_private_segment_fixed_size 0
		.amdhsa_kernarg_size 104
		.amdhsa_user_sgpr_count 2
		.amdhsa_user_sgpr_dispatch_ptr 0
		.amdhsa_user_sgpr_queue_ptr 0
		.amdhsa_user_sgpr_kernarg_segment_ptr 1
		.amdhsa_user_sgpr_dispatch_id 0
		.amdhsa_user_sgpr_kernarg_preload_length 0
		.amdhsa_user_sgpr_kernarg_preload_offset 0
		.amdhsa_user_sgpr_private_segment_size 0
		.amdhsa_uses_dynamic_stack 0
		.amdhsa_enable_private_segment 0
		.amdhsa_system_sgpr_workgroup_id_x 1
		.amdhsa_system_sgpr_workgroup_id_y 0
		.amdhsa_system_sgpr_workgroup_id_z 0
		.amdhsa_system_sgpr_workgroup_info 0
		.amdhsa_system_vgpr_workitem_id 0
		.amdhsa_next_free_vgpr 1
		.amdhsa_next_free_sgpr 0
		.amdhsa_accum_offset 4
		.amdhsa_reserve_vcc 0
		.amdhsa_float_round_mode_32 0
		.amdhsa_float_round_mode_16_64 0
		.amdhsa_float_denorm_mode_32 3
		.amdhsa_float_denorm_mode_16_64 3
		.amdhsa_dx10_clamp 1
		.amdhsa_ieee_mode 1
		.amdhsa_fp16_overflow 0
		.amdhsa_tg_split 0
		.amdhsa_exception_fp_ieee_invalid_op 0
		.amdhsa_exception_fp_denorm_src 0
		.amdhsa_exception_fp_ieee_div_zero 0
		.amdhsa_exception_fp_ieee_overflow 0
		.amdhsa_exception_fp_ieee_underflow 0
		.amdhsa_exception_fp_ieee_inexact 0
		.amdhsa_exception_int_div_zero 0
	.end_amdhsa_kernel
	.section	.text._ZN7rocprim17ROCPRIM_400000_NS6detail17trampoline_kernelINS0_14default_configENS1_22reduce_config_selectorIN6thrust23THRUST_200600_302600_NS5tupleIblNS6_9null_typeES8_S8_S8_S8_S8_S8_S8_EEEEZNS1_11reduce_implILb1ES3_NS6_12zip_iteratorINS7_INS6_11hip_rocprim26transform_input_iterator_tIbNSD_35transform_pair_of_input_iterators_tIbNS6_6detail15normal_iteratorINS6_10device_ptrIKjEEEESL_NS6_8equal_toIjEEEENSG_9not_fun_tINSD_8identityEEEEENSD_19counting_iterator_tIlEES8_S8_S8_S8_S8_S8_S8_S8_EEEEPS9_S9_NSD_9__find_if7functorIS9_EEEE10hipError_tPvRmT1_T2_T3_mT4_P12ihipStream_tbEUlT_E0_NS1_11comp_targetILNS1_3genE5ELNS1_11target_archE942ELNS1_3gpuE9ELNS1_3repE0EEENS1_30default_config_static_selectorELNS0_4arch9wavefront6targetE1EEEvS14_,"axG",@progbits,_ZN7rocprim17ROCPRIM_400000_NS6detail17trampoline_kernelINS0_14default_configENS1_22reduce_config_selectorIN6thrust23THRUST_200600_302600_NS5tupleIblNS6_9null_typeES8_S8_S8_S8_S8_S8_S8_EEEEZNS1_11reduce_implILb1ES3_NS6_12zip_iteratorINS7_INS6_11hip_rocprim26transform_input_iterator_tIbNSD_35transform_pair_of_input_iterators_tIbNS6_6detail15normal_iteratorINS6_10device_ptrIKjEEEESL_NS6_8equal_toIjEEEENSG_9not_fun_tINSD_8identityEEEEENSD_19counting_iterator_tIlEES8_S8_S8_S8_S8_S8_S8_S8_EEEEPS9_S9_NSD_9__find_if7functorIS9_EEEE10hipError_tPvRmT1_T2_T3_mT4_P12ihipStream_tbEUlT_E0_NS1_11comp_targetILNS1_3genE5ELNS1_11target_archE942ELNS1_3gpuE9ELNS1_3repE0EEENS1_30default_config_static_selectorELNS0_4arch9wavefront6targetE1EEEvS14_,comdat
.Lfunc_end806:
	.size	_ZN7rocprim17ROCPRIM_400000_NS6detail17trampoline_kernelINS0_14default_configENS1_22reduce_config_selectorIN6thrust23THRUST_200600_302600_NS5tupleIblNS6_9null_typeES8_S8_S8_S8_S8_S8_S8_EEEEZNS1_11reduce_implILb1ES3_NS6_12zip_iteratorINS7_INS6_11hip_rocprim26transform_input_iterator_tIbNSD_35transform_pair_of_input_iterators_tIbNS6_6detail15normal_iteratorINS6_10device_ptrIKjEEEESL_NS6_8equal_toIjEEEENSG_9not_fun_tINSD_8identityEEEEENSD_19counting_iterator_tIlEES8_S8_S8_S8_S8_S8_S8_S8_EEEEPS9_S9_NSD_9__find_if7functorIS9_EEEE10hipError_tPvRmT1_T2_T3_mT4_P12ihipStream_tbEUlT_E0_NS1_11comp_targetILNS1_3genE5ELNS1_11target_archE942ELNS1_3gpuE9ELNS1_3repE0EEENS1_30default_config_static_selectorELNS0_4arch9wavefront6targetE1EEEvS14_, .Lfunc_end806-_ZN7rocprim17ROCPRIM_400000_NS6detail17trampoline_kernelINS0_14default_configENS1_22reduce_config_selectorIN6thrust23THRUST_200600_302600_NS5tupleIblNS6_9null_typeES8_S8_S8_S8_S8_S8_S8_EEEEZNS1_11reduce_implILb1ES3_NS6_12zip_iteratorINS7_INS6_11hip_rocprim26transform_input_iterator_tIbNSD_35transform_pair_of_input_iterators_tIbNS6_6detail15normal_iteratorINS6_10device_ptrIKjEEEESL_NS6_8equal_toIjEEEENSG_9not_fun_tINSD_8identityEEEEENSD_19counting_iterator_tIlEES8_S8_S8_S8_S8_S8_S8_S8_EEEEPS9_S9_NSD_9__find_if7functorIS9_EEEE10hipError_tPvRmT1_T2_T3_mT4_P12ihipStream_tbEUlT_E0_NS1_11comp_targetILNS1_3genE5ELNS1_11target_archE942ELNS1_3gpuE9ELNS1_3repE0EEENS1_30default_config_static_selectorELNS0_4arch9wavefront6targetE1EEEvS14_
                                        ; -- End function
	.set _ZN7rocprim17ROCPRIM_400000_NS6detail17trampoline_kernelINS0_14default_configENS1_22reduce_config_selectorIN6thrust23THRUST_200600_302600_NS5tupleIblNS6_9null_typeES8_S8_S8_S8_S8_S8_S8_EEEEZNS1_11reduce_implILb1ES3_NS6_12zip_iteratorINS7_INS6_11hip_rocprim26transform_input_iterator_tIbNSD_35transform_pair_of_input_iterators_tIbNS6_6detail15normal_iteratorINS6_10device_ptrIKjEEEESL_NS6_8equal_toIjEEEENSG_9not_fun_tINSD_8identityEEEEENSD_19counting_iterator_tIlEES8_S8_S8_S8_S8_S8_S8_S8_EEEEPS9_S9_NSD_9__find_if7functorIS9_EEEE10hipError_tPvRmT1_T2_T3_mT4_P12ihipStream_tbEUlT_E0_NS1_11comp_targetILNS1_3genE5ELNS1_11target_archE942ELNS1_3gpuE9ELNS1_3repE0EEENS1_30default_config_static_selectorELNS0_4arch9wavefront6targetE1EEEvS14_.num_vgpr, 0
	.set _ZN7rocprim17ROCPRIM_400000_NS6detail17trampoline_kernelINS0_14default_configENS1_22reduce_config_selectorIN6thrust23THRUST_200600_302600_NS5tupleIblNS6_9null_typeES8_S8_S8_S8_S8_S8_S8_EEEEZNS1_11reduce_implILb1ES3_NS6_12zip_iteratorINS7_INS6_11hip_rocprim26transform_input_iterator_tIbNSD_35transform_pair_of_input_iterators_tIbNS6_6detail15normal_iteratorINS6_10device_ptrIKjEEEESL_NS6_8equal_toIjEEEENSG_9not_fun_tINSD_8identityEEEEENSD_19counting_iterator_tIlEES8_S8_S8_S8_S8_S8_S8_S8_EEEEPS9_S9_NSD_9__find_if7functorIS9_EEEE10hipError_tPvRmT1_T2_T3_mT4_P12ihipStream_tbEUlT_E0_NS1_11comp_targetILNS1_3genE5ELNS1_11target_archE942ELNS1_3gpuE9ELNS1_3repE0EEENS1_30default_config_static_selectorELNS0_4arch9wavefront6targetE1EEEvS14_.num_agpr, 0
	.set _ZN7rocprim17ROCPRIM_400000_NS6detail17trampoline_kernelINS0_14default_configENS1_22reduce_config_selectorIN6thrust23THRUST_200600_302600_NS5tupleIblNS6_9null_typeES8_S8_S8_S8_S8_S8_S8_EEEEZNS1_11reduce_implILb1ES3_NS6_12zip_iteratorINS7_INS6_11hip_rocprim26transform_input_iterator_tIbNSD_35transform_pair_of_input_iterators_tIbNS6_6detail15normal_iteratorINS6_10device_ptrIKjEEEESL_NS6_8equal_toIjEEEENSG_9not_fun_tINSD_8identityEEEEENSD_19counting_iterator_tIlEES8_S8_S8_S8_S8_S8_S8_S8_EEEEPS9_S9_NSD_9__find_if7functorIS9_EEEE10hipError_tPvRmT1_T2_T3_mT4_P12ihipStream_tbEUlT_E0_NS1_11comp_targetILNS1_3genE5ELNS1_11target_archE942ELNS1_3gpuE9ELNS1_3repE0EEENS1_30default_config_static_selectorELNS0_4arch9wavefront6targetE1EEEvS14_.numbered_sgpr, 0
	.set _ZN7rocprim17ROCPRIM_400000_NS6detail17trampoline_kernelINS0_14default_configENS1_22reduce_config_selectorIN6thrust23THRUST_200600_302600_NS5tupleIblNS6_9null_typeES8_S8_S8_S8_S8_S8_S8_EEEEZNS1_11reduce_implILb1ES3_NS6_12zip_iteratorINS7_INS6_11hip_rocprim26transform_input_iterator_tIbNSD_35transform_pair_of_input_iterators_tIbNS6_6detail15normal_iteratorINS6_10device_ptrIKjEEEESL_NS6_8equal_toIjEEEENSG_9not_fun_tINSD_8identityEEEEENSD_19counting_iterator_tIlEES8_S8_S8_S8_S8_S8_S8_S8_EEEEPS9_S9_NSD_9__find_if7functorIS9_EEEE10hipError_tPvRmT1_T2_T3_mT4_P12ihipStream_tbEUlT_E0_NS1_11comp_targetILNS1_3genE5ELNS1_11target_archE942ELNS1_3gpuE9ELNS1_3repE0EEENS1_30default_config_static_selectorELNS0_4arch9wavefront6targetE1EEEvS14_.num_named_barrier, 0
	.set _ZN7rocprim17ROCPRIM_400000_NS6detail17trampoline_kernelINS0_14default_configENS1_22reduce_config_selectorIN6thrust23THRUST_200600_302600_NS5tupleIblNS6_9null_typeES8_S8_S8_S8_S8_S8_S8_EEEEZNS1_11reduce_implILb1ES3_NS6_12zip_iteratorINS7_INS6_11hip_rocprim26transform_input_iterator_tIbNSD_35transform_pair_of_input_iterators_tIbNS6_6detail15normal_iteratorINS6_10device_ptrIKjEEEESL_NS6_8equal_toIjEEEENSG_9not_fun_tINSD_8identityEEEEENSD_19counting_iterator_tIlEES8_S8_S8_S8_S8_S8_S8_S8_EEEEPS9_S9_NSD_9__find_if7functorIS9_EEEE10hipError_tPvRmT1_T2_T3_mT4_P12ihipStream_tbEUlT_E0_NS1_11comp_targetILNS1_3genE5ELNS1_11target_archE942ELNS1_3gpuE9ELNS1_3repE0EEENS1_30default_config_static_selectorELNS0_4arch9wavefront6targetE1EEEvS14_.private_seg_size, 0
	.set _ZN7rocprim17ROCPRIM_400000_NS6detail17trampoline_kernelINS0_14default_configENS1_22reduce_config_selectorIN6thrust23THRUST_200600_302600_NS5tupleIblNS6_9null_typeES8_S8_S8_S8_S8_S8_S8_EEEEZNS1_11reduce_implILb1ES3_NS6_12zip_iteratorINS7_INS6_11hip_rocprim26transform_input_iterator_tIbNSD_35transform_pair_of_input_iterators_tIbNS6_6detail15normal_iteratorINS6_10device_ptrIKjEEEESL_NS6_8equal_toIjEEEENSG_9not_fun_tINSD_8identityEEEEENSD_19counting_iterator_tIlEES8_S8_S8_S8_S8_S8_S8_S8_EEEEPS9_S9_NSD_9__find_if7functorIS9_EEEE10hipError_tPvRmT1_T2_T3_mT4_P12ihipStream_tbEUlT_E0_NS1_11comp_targetILNS1_3genE5ELNS1_11target_archE942ELNS1_3gpuE9ELNS1_3repE0EEENS1_30default_config_static_selectorELNS0_4arch9wavefront6targetE1EEEvS14_.uses_vcc, 0
	.set _ZN7rocprim17ROCPRIM_400000_NS6detail17trampoline_kernelINS0_14default_configENS1_22reduce_config_selectorIN6thrust23THRUST_200600_302600_NS5tupleIblNS6_9null_typeES8_S8_S8_S8_S8_S8_S8_EEEEZNS1_11reduce_implILb1ES3_NS6_12zip_iteratorINS7_INS6_11hip_rocprim26transform_input_iterator_tIbNSD_35transform_pair_of_input_iterators_tIbNS6_6detail15normal_iteratorINS6_10device_ptrIKjEEEESL_NS6_8equal_toIjEEEENSG_9not_fun_tINSD_8identityEEEEENSD_19counting_iterator_tIlEES8_S8_S8_S8_S8_S8_S8_S8_EEEEPS9_S9_NSD_9__find_if7functorIS9_EEEE10hipError_tPvRmT1_T2_T3_mT4_P12ihipStream_tbEUlT_E0_NS1_11comp_targetILNS1_3genE5ELNS1_11target_archE942ELNS1_3gpuE9ELNS1_3repE0EEENS1_30default_config_static_selectorELNS0_4arch9wavefront6targetE1EEEvS14_.uses_flat_scratch, 0
	.set _ZN7rocprim17ROCPRIM_400000_NS6detail17trampoline_kernelINS0_14default_configENS1_22reduce_config_selectorIN6thrust23THRUST_200600_302600_NS5tupleIblNS6_9null_typeES8_S8_S8_S8_S8_S8_S8_EEEEZNS1_11reduce_implILb1ES3_NS6_12zip_iteratorINS7_INS6_11hip_rocprim26transform_input_iterator_tIbNSD_35transform_pair_of_input_iterators_tIbNS6_6detail15normal_iteratorINS6_10device_ptrIKjEEEESL_NS6_8equal_toIjEEEENSG_9not_fun_tINSD_8identityEEEEENSD_19counting_iterator_tIlEES8_S8_S8_S8_S8_S8_S8_S8_EEEEPS9_S9_NSD_9__find_if7functorIS9_EEEE10hipError_tPvRmT1_T2_T3_mT4_P12ihipStream_tbEUlT_E0_NS1_11comp_targetILNS1_3genE5ELNS1_11target_archE942ELNS1_3gpuE9ELNS1_3repE0EEENS1_30default_config_static_selectorELNS0_4arch9wavefront6targetE1EEEvS14_.has_dyn_sized_stack, 0
	.set _ZN7rocprim17ROCPRIM_400000_NS6detail17trampoline_kernelINS0_14default_configENS1_22reduce_config_selectorIN6thrust23THRUST_200600_302600_NS5tupleIblNS6_9null_typeES8_S8_S8_S8_S8_S8_S8_EEEEZNS1_11reduce_implILb1ES3_NS6_12zip_iteratorINS7_INS6_11hip_rocprim26transform_input_iterator_tIbNSD_35transform_pair_of_input_iterators_tIbNS6_6detail15normal_iteratorINS6_10device_ptrIKjEEEESL_NS6_8equal_toIjEEEENSG_9not_fun_tINSD_8identityEEEEENSD_19counting_iterator_tIlEES8_S8_S8_S8_S8_S8_S8_S8_EEEEPS9_S9_NSD_9__find_if7functorIS9_EEEE10hipError_tPvRmT1_T2_T3_mT4_P12ihipStream_tbEUlT_E0_NS1_11comp_targetILNS1_3genE5ELNS1_11target_archE942ELNS1_3gpuE9ELNS1_3repE0EEENS1_30default_config_static_selectorELNS0_4arch9wavefront6targetE1EEEvS14_.has_recursion, 0
	.set _ZN7rocprim17ROCPRIM_400000_NS6detail17trampoline_kernelINS0_14default_configENS1_22reduce_config_selectorIN6thrust23THRUST_200600_302600_NS5tupleIblNS6_9null_typeES8_S8_S8_S8_S8_S8_S8_EEEEZNS1_11reduce_implILb1ES3_NS6_12zip_iteratorINS7_INS6_11hip_rocprim26transform_input_iterator_tIbNSD_35transform_pair_of_input_iterators_tIbNS6_6detail15normal_iteratorINS6_10device_ptrIKjEEEESL_NS6_8equal_toIjEEEENSG_9not_fun_tINSD_8identityEEEEENSD_19counting_iterator_tIlEES8_S8_S8_S8_S8_S8_S8_S8_EEEEPS9_S9_NSD_9__find_if7functorIS9_EEEE10hipError_tPvRmT1_T2_T3_mT4_P12ihipStream_tbEUlT_E0_NS1_11comp_targetILNS1_3genE5ELNS1_11target_archE942ELNS1_3gpuE9ELNS1_3repE0EEENS1_30default_config_static_selectorELNS0_4arch9wavefront6targetE1EEEvS14_.has_indirect_call, 0
	.section	.AMDGPU.csdata,"",@progbits
; Kernel info:
; codeLenInByte = 0
; TotalNumSgprs: 6
; NumVgprs: 0
; NumAgprs: 0
; TotalNumVgprs: 0
; ScratchSize: 0
; MemoryBound: 0
; FloatMode: 240
; IeeeMode: 1
; LDSByteSize: 0 bytes/workgroup (compile time only)
; SGPRBlocks: 0
; VGPRBlocks: 0
; NumSGPRsForWavesPerEU: 6
; NumVGPRsForWavesPerEU: 1
; AccumOffset: 4
; Occupancy: 8
; WaveLimiterHint : 0
; COMPUTE_PGM_RSRC2:SCRATCH_EN: 0
; COMPUTE_PGM_RSRC2:USER_SGPR: 2
; COMPUTE_PGM_RSRC2:TRAP_HANDLER: 0
; COMPUTE_PGM_RSRC2:TGID_X_EN: 1
; COMPUTE_PGM_RSRC2:TGID_Y_EN: 0
; COMPUTE_PGM_RSRC2:TGID_Z_EN: 0
; COMPUTE_PGM_RSRC2:TIDIG_COMP_CNT: 0
; COMPUTE_PGM_RSRC3_GFX90A:ACCUM_OFFSET: 0
; COMPUTE_PGM_RSRC3_GFX90A:TG_SPLIT: 0
	.section	.text._ZN7rocprim17ROCPRIM_400000_NS6detail17trampoline_kernelINS0_14default_configENS1_22reduce_config_selectorIN6thrust23THRUST_200600_302600_NS5tupleIblNS6_9null_typeES8_S8_S8_S8_S8_S8_S8_EEEEZNS1_11reduce_implILb1ES3_NS6_12zip_iteratorINS7_INS6_11hip_rocprim26transform_input_iterator_tIbNSD_35transform_pair_of_input_iterators_tIbNS6_6detail15normal_iteratorINS6_10device_ptrIKjEEEESL_NS6_8equal_toIjEEEENSG_9not_fun_tINSD_8identityEEEEENSD_19counting_iterator_tIlEES8_S8_S8_S8_S8_S8_S8_S8_EEEEPS9_S9_NSD_9__find_if7functorIS9_EEEE10hipError_tPvRmT1_T2_T3_mT4_P12ihipStream_tbEUlT_E0_NS1_11comp_targetILNS1_3genE4ELNS1_11target_archE910ELNS1_3gpuE8ELNS1_3repE0EEENS1_30default_config_static_selectorELNS0_4arch9wavefront6targetE1EEEvS14_,"axG",@progbits,_ZN7rocprim17ROCPRIM_400000_NS6detail17trampoline_kernelINS0_14default_configENS1_22reduce_config_selectorIN6thrust23THRUST_200600_302600_NS5tupleIblNS6_9null_typeES8_S8_S8_S8_S8_S8_S8_EEEEZNS1_11reduce_implILb1ES3_NS6_12zip_iteratorINS7_INS6_11hip_rocprim26transform_input_iterator_tIbNSD_35transform_pair_of_input_iterators_tIbNS6_6detail15normal_iteratorINS6_10device_ptrIKjEEEESL_NS6_8equal_toIjEEEENSG_9not_fun_tINSD_8identityEEEEENSD_19counting_iterator_tIlEES8_S8_S8_S8_S8_S8_S8_S8_EEEEPS9_S9_NSD_9__find_if7functorIS9_EEEE10hipError_tPvRmT1_T2_T3_mT4_P12ihipStream_tbEUlT_E0_NS1_11comp_targetILNS1_3genE4ELNS1_11target_archE910ELNS1_3gpuE8ELNS1_3repE0EEENS1_30default_config_static_selectorELNS0_4arch9wavefront6targetE1EEEvS14_,comdat
	.protected	_ZN7rocprim17ROCPRIM_400000_NS6detail17trampoline_kernelINS0_14default_configENS1_22reduce_config_selectorIN6thrust23THRUST_200600_302600_NS5tupleIblNS6_9null_typeES8_S8_S8_S8_S8_S8_S8_EEEEZNS1_11reduce_implILb1ES3_NS6_12zip_iteratorINS7_INS6_11hip_rocprim26transform_input_iterator_tIbNSD_35transform_pair_of_input_iterators_tIbNS6_6detail15normal_iteratorINS6_10device_ptrIKjEEEESL_NS6_8equal_toIjEEEENSG_9not_fun_tINSD_8identityEEEEENSD_19counting_iterator_tIlEES8_S8_S8_S8_S8_S8_S8_S8_EEEEPS9_S9_NSD_9__find_if7functorIS9_EEEE10hipError_tPvRmT1_T2_T3_mT4_P12ihipStream_tbEUlT_E0_NS1_11comp_targetILNS1_3genE4ELNS1_11target_archE910ELNS1_3gpuE8ELNS1_3repE0EEENS1_30default_config_static_selectorELNS0_4arch9wavefront6targetE1EEEvS14_ ; -- Begin function _ZN7rocprim17ROCPRIM_400000_NS6detail17trampoline_kernelINS0_14default_configENS1_22reduce_config_selectorIN6thrust23THRUST_200600_302600_NS5tupleIblNS6_9null_typeES8_S8_S8_S8_S8_S8_S8_EEEEZNS1_11reduce_implILb1ES3_NS6_12zip_iteratorINS7_INS6_11hip_rocprim26transform_input_iterator_tIbNSD_35transform_pair_of_input_iterators_tIbNS6_6detail15normal_iteratorINS6_10device_ptrIKjEEEESL_NS6_8equal_toIjEEEENSG_9not_fun_tINSD_8identityEEEEENSD_19counting_iterator_tIlEES8_S8_S8_S8_S8_S8_S8_S8_EEEEPS9_S9_NSD_9__find_if7functorIS9_EEEE10hipError_tPvRmT1_T2_T3_mT4_P12ihipStream_tbEUlT_E0_NS1_11comp_targetILNS1_3genE4ELNS1_11target_archE910ELNS1_3gpuE8ELNS1_3repE0EEENS1_30default_config_static_selectorELNS0_4arch9wavefront6targetE1EEEvS14_
	.globl	_ZN7rocprim17ROCPRIM_400000_NS6detail17trampoline_kernelINS0_14default_configENS1_22reduce_config_selectorIN6thrust23THRUST_200600_302600_NS5tupleIblNS6_9null_typeES8_S8_S8_S8_S8_S8_S8_EEEEZNS1_11reduce_implILb1ES3_NS6_12zip_iteratorINS7_INS6_11hip_rocprim26transform_input_iterator_tIbNSD_35transform_pair_of_input_iterators_tIbNS6_6detail15normal_iteratorINS6_10device_ptrIKjEEEESL_NS6_8equal_toIjEEEENSG_9not_fun_tINSD_8identityEEEEENSD_19counting_iterator_tIlEES8_S8_S8_S8_S8_S8_S8_S8_EEEEPS9_S9_NSD_9__find_if7functorIS9_EEEE10hipError_tPvRmT1_T2_T3_mT4_P12ihipStream_tbEUlT_E0_NS1_11comp_targetILNS1_3genE4ELNS1_11target_archE910ELNS1_3gpuE8ELNS1_3repE0EEENS1_30default_config_static_selectorELNS0_4arch9wavefront6targetE1EEEvS14_
	.p2align	8
	.type	_ZN7rocprim17ROCPRIM_400000_NS6detail17trampoline_kernelINS0_14default_configENS1_22reduce_config_selectorIN6thrust23THRUST_200600_302600_NS5tupleIblNS6_9null_typeES8_S8_S8_S8_S8_S8_S8_EEEEZNS1_11reduce_implILb1ES3_NS6_12zip_iteratorINS7_INS6_11hip_rocprim26transform_input_iterator_tIbNSD_35transform_pair_of_input_iterators_tIbNS6_6detail15normal_iteratorINS6_10device_ptrIKjEEEESL_NS6_8equal_toIjEEEENSG_9not_fun_tINSD_8identityEEEEENSD_19counting_iterator_tIlEES8_S8_S8_S8_S8_S8_S8_S8_EEEEPS9_S9_NSD_9__find_if7functorIS9_EEEE10hipError_tPvRmT1_T2_T3_mT4_P12ihipStream_tbEUlT_E0_NS1_11comp_targetILNS1_3genE4ELNS1_11target_archE910ELNS1_3gpuE8ELNS1_3repE0EEENS1_30default_config_static_selectorELNS0_4arch9wavefront6targetE1EEEvS14_,@function
_ZN7rocprim17ROCPRIM_400000_NS6detail17trampoline_kernelINS0_14default_configENS1_22reduce_config_selectorIN6thrust23THRUST_200600_302600_NS5tupleIblNS6_9null_typeES8_S8_S8_S8_S8_S8_S8_EEEEZNS1_11reduce_implILb1ES3_NS6_12zip_iteratorINS7_INS6_11hip_rocprim26transform_input_iterator_tIbNSD_35transform_pair_of_input_iterators_tIbNS6_6detail15normal_iteratorINS6_10device_ptrIKjEEEESL_NS6_8equal_toIjEEEENSG_9not_fun_tINSD_8identityEEEEENSD_19counting_iterator_tIlEES8_S8_S8_S8_S8_S8_S8_S8_EEEEPS9_S9_NSD_9__find_if7functorIS9_EEEE10hipError_tPvRmT1_T2_T3_mT4_P12ihipStream_tbEUlT_E0_NS1_11comp_targetILNS1_3genE4ELNS1_11target_archE910ELNS1_3gpuE8ELNS1_3repE0EEENS1_30default_config_static_selectorELNS0_4arch9wavefront6targetE1EEEvS14_: ; @_ZN7rocprim17ROCPRIM_400000_NS6detail17trampoline_kernelINS0_14default_configENS1_22reduce_config_selectorIN6thrust23THRUST_200600_302600_NS5tupleIblNS6_9null_typeES8_S8_S8_S8_S8_S8_S8_EEEEZNS1_11reduce_implILb1ES3_NS6_12zip_iteratorINS7_INS6_11hip_rocprim26transform_input_iterator_tIbNSD_35transform_pair_of_input_iterators_tIbNS6_6detail15normal_iteratorINS6_10device_ptrIKjEEEESL_NS6_8equal_toIjEEEENSG_9not_fun_tINSD_8identityEEEEENSD_19counting_iterator_tIlEES8_S8_S8_S8_S8_S8_S8_S8_EEEEPS9_S9_NSD_9__find_if7functorIS9_EEEE10hipError_tPvRmT1_T2_T3_mT4_P12ihipStream_tbEUlT_E0_NS1_11comp_targetILNS1_3genE4ELNS1_11target_archE910ELNS1_3gpuE8ELNS1_3repE0EEENS1_30default_config_static_selectorELNS0_4arch9wavefront6targetE1EEEvS14_
; %bb.0:
	.section	.rodata,"a",@progbits
	.p2align	6, 0x0
	.amdhsa_kernel _ZN7rocprim17ROCPRIM_400000_NS6detail17trampoline_kernelINS0_14default_configENS1_22reduce_config_selectorIN6thrust23THRUST_200600_302600_NS5tupleIblNS6_9null_typeES8_S8_S8_S8_S8_S8_S8_EEEEZNS1_11reduce_implILb1ES3_NS6_12zip_iteratorINS7_INS6_11hip_rocprim26transform_input_iterator_tIbNSD_35transform_pair_of_input_iterators_tIbNS6_6detail15normal_iteratorINS6_10device_ptrIKjEEEESL_NS6_8equal_toIjEEEENSG_9not_fun_tINSD_8identityEEEEENSD_19counting_iterator_tIlEES8_S8_S8_S8_S8_S8_S8_S8_EEEEPS9_S9_NSD_9__find_if7functorIS9_EEEE10hipError_tPvRmT1_T2_T3_mT4_P12ihipStream_tbEUlT_E0_NS1_11comp_targetILNS1_3genE4ELNS1_11target_archE910ELNS1_3gpuE8ELNS1_3repE0EEENS1_30default_config_static_selectorELNS0_4arch9wavefront6targetE1EEEvS14_
		.amdhsa_group_segment_fixed_size 0
		.amdhsa_private_segment_fixed_size 0
		.amdhsa_kernarg_size 104
		.amdhsa_user_sgpr_count 2
		.amdhsa_user_sgpr_dispatch_ptr 0
		.amdhsa_user_sgpr_queue_ptr 0
		.amdhsa_user_sgpr_kernarg_segment_ptr 1
		.amdhsa_user_sgpr_dispatch_id 0
		.amdhsa_user_sgpr_kernarg_preload_length 0
		.amdhsa_user_sgpr_kernarg_preload_offset 0
		.amdhsa_user_sgpr_private_segment_size 0
		.amdhsa_uses_dynamic_stack 0
		.amdhsa_enable_private_segment 0
		.amdhsa_system_sgpr_workgroup_id_x 1
		.amdhsa_system_sgpr_workgroup_id_y 0
		.amdhsa_system_sgpr_workgroup_id_z 0
		.amdhsa_system_sgpr_workgroup_info 0
		.amdhsa_system_vgpr_workitem_id 0
		.amdhsa_next_free_vgpr 1
		.amdhsa_next_free_sgpr 0
		.amdhsa_accum_offset 4
		.amdhsa_reserve_vcc 0
		.amdhsa_float_round_mode_32 0
		.amdhsa_float_round_mode_16_64 0
		.amdhsa_float_denorm_mode_32 3
		.amdhsa_float_denorm_mode_16_64 3
		.amdhsa_dx10_clamp 1
		.amdhsa_ieee_mode 1
		.amdhsa_fp16_overflow 0
		.amdhsa_tg_split 0
		.amdhsa_exception_fp_ieee_invalid_op 0
		.amdhsa_exception_fp_denorm_src 0
		.amdhsa_exception_fp_ieee_div_zero 0
		.amdhsa_exception_fp_ieee_overflow 0
		.amdhsa_exception_fp_ieee_underflow 0
		.amdhsa_exception_fp_ieee_inexact 0
		.amdhsa_exception_int_div_zero 0
	.end_amdhsa_kernel
	.section	.text._ZN7rocprim17ROCPRIM_400000_NS6detail17trampoline_kernelINS0_14default_configENS1_22reduce_config_selectorIN6thrust23THRUST_200600_302600_NS5tupleIblNS6_9null_typeES8_S8_S8_S8_S8_S8_S8_EEEEZNS1_11reduce_implILb1ES3_NS6_12zip_iteratorINS7_INS6_11hip_rocprim26transform_input_iterator_tIbNSD_35transform_pair_of_input_iterators_tIbNS6_6detail15normal_iteratorINS6_10device_ptrIKjEEEESL_NS6_8equal_toIjEEEENSG_9not_fun_tINSD_8identityEEEEENSD_19counting_iterator_tIlEES8_S8_S8_S8_S8_S8_S8_S8_EEEEPS9_S9_NSD_9__find_if7functorIS9_EEEE10hipError_tPvRmT1_T2_T3_mT4_P12ihipStream_tbEUlT_E0_NS1_11comp_targetILNS1_3genE4ELNS1_11target_archE910ELNS1_3gpuE8ELNS1_3repE0EEENS1_30default_config_static_selectorELNS0_4arch9wavefront6targetE1EEEvS14_,"axG",@progbits,_ZN7rocprim17ROCPRIM_400000_NS6detail17trampoline_kernelINS0_14default_configENS1_22reduce_config_selectorIN6thrust23THRUST_200600_302600_NS5tupleIblNS6_9null_typeES8_S8_S8_S8_S8_S8_S8_EEEEZNS1_11reduce_implILb1ES3_NS6_12zip_iteratorINS7_INS6_11hip_rocprim26transform_input_iterator_tIbNSD_35transform_pair_of_input_iterators_tIbNS6_6detail15normal_iteratorINS6_10device_ptrIKjEEEESL_NS6_8equal_toIjEEEENSG_9not_fun_tINSD_8identityEEEEENSD_19counting_iterator_tIlEES8_S8_S8_S8_S8_S8_S8_S8_EEEEPS9_S9_NSD_9__find_if7functorIS9_EEEE10hipError_tPvRmT1_T2_T3_mT4_P12ihipStream_tbEUlT_E0_NS1_11comp_targetILNS1_3genE4ELNS1_11target_archE910ELNS1_3gpuE8ELNS1_3repE0EEENS1_30default_config_static_selectorELNS0_4arch9wavefront6targetE1EEEvS14_,comdat
.Lfunc_end807:
	.size	_ZN7rocprim17ROCPRIM_400000_NS6detail17trampoline_kernelINS0_14default_configENS1_22reduce_config_selectorIN6thrust23THRUST_200600_302600_NS5tupleIblNS6_9null_typeES8_S8_S8_S8_S8_S8_S8_EEEEZNS1_11reduce_implILb1ES3_NS6_12zip_iteratorINS7_INS6_11hip_rocprim26transform_input_iterator_tIbNSD_35transform_pair_of_input_iterators_tIbNS6_6detail15normal_iteratorINS6_10device_ptrIKjEEEESL_NS6_8equal_toIjEEEENSG_9not_fun_tINSD_8identityEEEEENSD_19counting_iterator_tIlEES8_S8_S8_S8_S8_S8_S8_S8_EEEEPS9_S9_NSD_9__find_if7functorIS9_EEEE10hipError_tPvRmT1_T2_T3_mT4_P12ihipStream_tbEUlT_E0_NS1_11comp_targetILNS1_3genE4ELNS1_11target_archE910ELNS1_3gpuE8ELNS1_3repE0EEENS1_30default_config_static_selectorELNS0_4arch9wavefront6targetE1EEEvS14_, .Lfunc_end807-_ZN7rocprim17ROCPRIM_400000_NS6detail17trampoline_kernelINS0_14default_configENS1_22reduce_config_selectorIN6thrust23THRUST_200600_302600_NS5tupleIblNS6_9null_typeES8_S8_S8_S8_S8_S8_S8_EEEEZNS1_11reduce_implILb1ES3_NS6_12zip_iteratorINS7_INS6_11hip_rocprim26transform_input_iterator_tIbNSD_35transform_pair_of_input_iterators_tIbNS6_6detail15normal_iteratorINS6_10device_ptrIKjEEEESL_NS6_8equal_toIjEEEENSG_9not_fun_tINSD_8identityEEEEENSD_19counting_iterator_tIlEES8_S8_S8_S8_S8_S8_S8_S8_EEEEPS9_S9_NSD_9__find_if7functorIS9_EEEE10hipError_tPvRmT1_T2_T3_mT4_P12ihipStream_tbEUlT_E0_NS1_11comp_targetILNS1_3genE4ELNS1_11target_archE910ELNS1_3gpuE8ELNS1_3repE0EEENS1_30default_config_static_selectorELNS0_4arch9wavefront6targetE1EEEvS14_
                                        ; -- End function
	.set _ZN7rocprim17ROCPRIM_400000_NS6detail17trampoline_kernelINS0_14default_configENS1_22reduce_config_selectorIN6thrust23THRUST_200600_302600_NS5tupleIblNS6_9null_typeES8_S8_S8_S8_S8_S8_S8_EEEEZNS1_11reduce_implILb1ES3_NS6_12zip_iteratorINS7_INS6_11hip_rocprim26transform_input_iterator_tIbNSD_35transform_pair_of_input_iterators_tIbNS6_6detail15normal_iteratorINS6_10device_ptrIKjEEEESL_NS6_8equal_toIjEEEENSG_9not_fun_tINSD_8identityEEEEENSD_19counting_iterator_tIlEES8_S8_S8_S8_S8_S8_S8_S8_EEEEPS9_S9_NSD_9__find_if7functorIS9_EEEE10hipError_tPvRmT1_T2_T3_mT4_P12ihipStream_tbEUlT_E0_NS1_11comp_targetILNS1_3genE4ELNS1_11target_archE910ELNS1_3gpuE8ELNS1_3repE0EEENS1_30default_config_static_selectorELNS0_4arch9wavefront6targetE1EEEvS14_.num_vgpr, 0
	.set _ZN7rocprim17ROCPRIM_400000_NS6detail17trampoline_kernelINS0_14default_configENS1_22reduce_config_selectorIN6thrust23THRUST_200600_302600_NS5tupleIblNS6_9null_typeES8_S8_S8_S8_S8_S8_S8_EEEEZNS1_11reduce_implILb1ES3_NS6_12zip_iteratorINS7_INS6_11hip_rocprim26transform_input_iterator_tIbNSD_35transform_pair_of_input_iterators_tIbNS6_6detail15normal_iteratorINS6_10device_ptrIKjEEEESL_NS6_8equal_toIjEEEENSG_9not_fun_tINSD_8identityEEEEENSD_19counting_iterator_tIlEES8_S8_S8_S8_S8_S8_S8_S8_EEEEPS9_S9_NSD_9__find_if7functorIS9_EEEE10hipError_tPvRmT1_T2_T3_mT4_P12ihipStream_tbEUlT_E0_NS1_11comp_targetILNS1_3genE4ELNS1_11target_archE910ELNS1_3gpuE8ELNS1_3repE0EEENS1_30default_config_static_selectorELNS0_4arch9wavefront6targetE1EEEvS14_.num_agpr, 0
	.set _ZN7rocprim17ROCPRIM_400000_NS6detail17trampoline_kernelINS0_14default_configENS1_22reduce_config_selectorIN6thrust23THRUST_200600_302600_NS5tupleIblNS6_9null_typeES8_S8_S8_S8_S8_S8_S8_EEEEZNS1_11reduce_implILb1ES3_NS6_12zip_iteratorINS7_INS6_11hip_rocprim26transform_input_iterator_tIbNSD_35transform_pair_of_input_iterators_tIbNS6_6detail15normal_iteratorINS6_10device_ptrIKjEEEESL_NS6_8equal_toIjEEEENSG_9not_fun_tINSD_8identityEEEEENSD_19counting_iterator_tIlEES8_S8_S8_S8_S8_S8_S8_S8_EEEEPS9_S9_NSD_9__find_if7functorIS9_EEEE10hipError_tPvRmT1_T2_T3_mT4_P12ihipStream_tbEUlT_E0_NS1_11comp_targetILNS1_3genE4ELNS1_11target_archE910ELNS1_3gpuE8ELNS1_3repE0EEENS1_30default_config_static_selectorELNS0_4arch9wavefront6targetE1EEEvS14_.numbered_sgpr, 0
	.set _ZN7rocprim17ROCPRIM_400000_NS6detail17trampoline_kernelINS0_14default_configENS1_22reduce_config_selectorIN6thrust23THRUST_200600_302600_NS5tupleIblNS6_9null_typeES8_S8_S8_S8_S8_S8_S8_EEEEZNS1_11reduce_implILb1ES3_NS6_12zip_iteratorINS7_INS6_11hip_rocprim26transform_input_iterator_tIbNSD_35transform_pair_of_input_iterators_tIbNS6_6detail15normal_iteratorINS6_10device_ptrIKjEEEESL_NS6_8equal_toIjEEEENSG_9not_fun_tINSD_8identityEEEEENSD_19counting_iterator_tIlEES8_S8_S8_S8_S8_S8_S8_S8_EEEEPS9_S9_NSD_9__find_if7functorIS9_EEEE10hipError_tPvRmT1_T2_T3_mT4_P12ihipStream_tbEUlT_E0_NS1_11comp_targetILNS1_3genE4ELNS1_11target_archE910ELNS1_3gpuE8ELNS1_3repE0EEENS1_30default_config_static_selectorELNS0_4arch9wavefront6targetE1EEEvS14_.num_named_barrier, 0
	.set _ZN7rocprim17ROCPRIM_400000_NS6detail17trampoline_kernelINS0_14default_configENS1_22reduce_config_selectorIN6thrust23THRUST_200600_302600_NS5tupleIblNS6_9null_typeES8_S8_S8_S8_S8_S8_S8_EEEEZNS1_11reduce_implILb1ES3_NS6_12zip_iteratorINS7_INS6_11hip_rocprim26transform_input_iterator_tIbNSD_35transform_pair_of_input_iterators_tIbNS6_6detail15normal_iteratorINS6_10device_ptrIKjEEEESL_NS6_8equal_toIjEEEENSG_9not_fun_tINSD_8identityEEEEENSD_19counting_iterator_tIlEES8_S8_S8_S8_S8_S8_S8_S8_EEEEPS9_S9_NSD_9__find_if7functorIS9_EEEE10hipError_tPvRmT1_T2_T3_mT4_P12ihipStream_tbEUlT_E0_NS1_11comp_targetILNS1_3genE4ELNS1_11target_archE910ELNS1_3gpuE8ELNS1_3repE0EEENS1_30default_config_static_selectorELNS0_4arch9wavefront6targetE1EEEvS14_.private_seg_size, 0
	.set _ZN7rocprim17ROCPRIM_400000_NS6detail17trampoline_kernelINS0_14default_configENS1_22reduce_config_selectorIN6thrust23THRUST_200600_302600_NS5tupleIblNS6_9null_typeES8_S8_S8_S8_S8_S8_S8_EEEEZNS1_11reduce_implILb1ES3_NS6_12zip_iteratorINS7_INS6_11hip_rocprim26transform_input_iterator_tIbNSD_35transform_pair_of_input_iterators_tIbNS6_6detail15normal_iteratorINS6_10device_ptrIKjEEEESL_NS6_8equal_toIjEEEENSG_9not_fun_tINSD_8identityEEEEENSD_19counting_iterator_tIlEES8_S8_S8_S8_S8_S8_S8_S8_EEEEPS9_S9_NSD_9__find_if7functorIS9_EEEE10hipError_tPvRmT1_T2_T3_mT4_P12ihipStream_tbEUlT_E0_NS1_11comp_targetILNS1_3genE4ELNS1_11target_archE910ELNS1_3gpuE8ELNS1_3repE0EEENS1_30default_config_static_selectorELNS0_4arch9wavefront6targetE1EEEvS14_.uses_vcc, 0
	.set _ZN7rocprim17ROCPRIM_400000_NS6detail17trampoline_kernelINS0_14default_configENS1_22reduce_config_selectorIN6thrust23THRUST_200600_302600_NS5tupleIblNS6_9null_typeES8_S8_S8_S8_S8_S8_S8_EEEEZNS1_11reduce_implILb1ES3_NS6_12zip_iteratorINS7_INS6_11hip_rocprim26transform_input_iterator_tIbNSD_35transform_pair_of_input_iterators_tIbNS6_6detail15normal_iteratorINS6_10device_ptrIKjEEEESL_NS6_8equal_toIjEEEENSG_9not_fun_tINSD_8identityEEEEENSD_19counting_iterator_tIlEES8_S8_S8_S8_S8_S8_S8_S8_EEEEPS9_S9_NSD_9__find_if7functorIS9_EEEE10hipError_tPvRmT1_T2_T3_mT4_P12ihipStream_tbEUlT_E0_NS1_11comp_targetILNS1_3genE4ELNS1_11target_archE910ELNS1_3gpuE8ELNS1_3repE0EEENS1_30default_config_static_selectorELNS0_4arch9wavefront6targetE1EEEvS14_.uses_flat_scratch, 0
	.set _ZN7rocprim17ROCPRIM_400000_NS6detail17trampoline_kernelINS0_14default_configENS1_22reduce_config_selectorIN6thrust23THRUST_200600_302600_NS5tupleIblNS6_9null_typeES8_S8_S8_S8_S8_S8_S8_EEEEZNS1_11reduce_implILb1ES3_NS6_12zip_iteratorINS7_INS6_11hip_rocprim26transform_input_iterator_tIbNSD_35transform_pair_of_input_iterators_tIbNS6_6detail15normal_iteratorINS6_10device_ptrIKjEEEESL_NS6_8equal_toIjEEEENSG_9not_fun_tINSD_8identityEEEEENSD_19counting_iterator_tIlEES8_S8_S8_S8_S8_S8_S8_S8_EEEEPS9_S9_NSD_9__find_if7functorIS9_EEEE10hipError_tPvRmT1_T2_T3_mT4_P12ihipStream_tbEUlT_E0_NS1_11comp_targetILNS1_3genE4ELNS1_11target_archE910ELNS1_3gpuE8ELNS1_3repE0EEENS1_30default_config_static_selectorELNS0_4arch9wavefront6targetE1EEEvS14_.has_dyn_sized_stack, 0
	.set _ZN7rocprim17ROCPRIM_400000_NS6detail17trampoline_kernelINS0_14default_configENS1_22reduce_config_selectorIN6thrust23THRUST_200600_302600_NS5tupleIblNS6_9null_typeES8_S8_S8_S8_S8_S8_S8_EEEEZNS1_11reduce_implILb1ES3_NS6_12zip_iteratorINS7_INS6_11hip_rocprim26transform_input_iterator_tIbNSD_35transform_pair_of_input_iterators_tIbNS6_6detail15normal_iteratorINS6_10device_ptrIKjEEEESL_NS6_8equal_toIjEEEENSG_9not_fun_tINSD_8identityEEEEENSD_19counting_iterator_tIlEES8_S8_S8_S8_S8_S8_S8_S8_EEEEPS9_S9_NSD_9__find_if7functorIS9_EEEE10hipError_tPvRmT1_T2_T3_mT4_P12ihipStream_tbEUlT_E0_NS1_11comp_targetILNS1_3genE4ELNS1_11target_archE910ELNS1_3gpuE8ELNS1_3repE0EEENS1_30default_config_static_selectorELNS0_4arch9wavefront6targetE1EEEvS14_.has_recursion, 0
	.set _ZN7rocprim17ROCPRIM_400000_NS6detail17trampoline_kernelINS0_14default_configENS1_22reduce_config_selectorIN6thrust23THRUST_200600_302600_NS5tupleIblNS6_9null_typeES8_S8_S8_S8_S8_S8_S8_EEEEZNS1_11reduce_implILb1ES3_NS6_12zip_iteratorINS7_INS6_11hip_rocprim26transform_input_iterator_tIbNSD_35transform_pair_of_input_iterators_tIbNS6_6detail15normal_iteratorINS6_10device_ptrIKjEEEESL_NS6_8equal_toIjEEEENSG_9not_fun_tINSD_8identityEEEEENSD_19counting_iterator_tIlEES8_S8_S8_S8_S8_S8_S8_S8_EEEEPS9_S9_NSD_9__find_if7functorIS9_EEEE10hipError_tPvRmT1_T2_T3_mT4_P12ihipStream_tbEUlT_E0_NS1_11comp_targetILNS1_3genE4ELNS1_11target_archE910ELNS1_3gpuE8ELNS1_3repE0EEENS1_30default_config_static_selectorELNS0_4arch9wavefront6targetE1EEEvS14_.has_indirect_call, 0
	.section	.AMDGPU.csdata,"",@progbits
; Kernel info:
; codeLenInByte = 0
; TotalNumSgprs: 6
; NumVgprs: 0
; NumAgprs: 0
; TotalNumVgprs: 0
; ScratchSize: 0
; MemoryBound: 0
; FloatMode: 240
; IeeeMode: 1
; LDSByteSize: 0 bytes/workgroup (compile time only)
; SGPRBlocks: 0
; VGPRBlocks: 0
; NumSGPRsForWavesPerEU: 6
; NumVGPRsForWavesPerEU: 1
; AccumOffset: 4
; Occupancy: 8
; WaveLimiterHint : 0
; COMPUTE_PGM_RSRC2:SCRATCH_EN: 0
; COMPUTE_PGM_RSRC2:USER_SGPR: 2
; COMPUTE_PGM_RSRC2:TRAP_HANDLER: 0
; COMPUTE_PGM_RSRC2:TGID_X_EN: 1
; COMPUTE_PGM_RSRC2:TGID_Y_EN: 0
; COMPUTE_PGM_RSRC2:TGID_Z_EN: 0
; COMPUTE_PGM_RSRC2:TIDIG_COMP_CNT: 0
; COMPUTE_PGM_RSRC3_GFX90A:ACCUM_OFFSET: 0
; COMPUTE_PGM_RSRC3_GFX90A:TG_SPLIT: 0
	.section	.text._ZN7rocprim17ROCPRIM_400000_NS6detail17trampoline_kernelINS0_14default_configENS1_22reduce_config_selectorIN6thrust23THRUST_200600_302600_NS5tupleIblNS6_9null_typeES8_S8_S8_S8_S8_S8_S8_EEEEZNS1_11reduce_implILb1ES3_NS6_12zip_iteratorINS7_INS6_11hip_rocprim26transform_input_iterator_tIbNSD_35transform_pair_of_input_iterators_tIbNS6_6detail15normal_iteratorINS6_10device_ptrIKjEEEESL_NS6_8equal_toIjEEEENSG_9not_fun_tINSD_8identityEEEEENSD_19counting_iterator_tIlEES8_S8_S8_S8_S8_S8_S8_S8_EEEEPS9_S9_NSD_9__find_if7functorIS9_EEEE10hipError_tPvRmT1_T2_T3_mT4_P12ihipStream_tbEUlT_E0_NS1_11comp_targetILNS1_3genE3ELNS1_11target_archE908ELNS1_3gpuE7ELNS1_3repE0EEENS1_30default_config_static_selectorELNS0_4arch9wavefront6targetE1EEEvS14_,"axG",@progbits,_ZN7rocprim17ROCPRIM_400000_NS6detail17trampoline_kernelINS0_14default_configENS1_22reduce_config_selectorIN6thrust23THRUST_200600_302600_NS5tupleIblNS6_9null_typeES8_S8_S8_S8_S8_S8_S8_EEEEZNS1_11reduce_implILb1ES3_NS6_12zip_iteratorINS7_INS6_11hip_rocprim26transform_input_iterator_tIbNSD_35transform_pair_of_input_iterators_tIbNS6_6detail15normal_iteratorINS6_10device_ptrIKjEEEESL_NS6_8equal_toIjEEEENSG_9not_fun_tINSD_8identityEEEEENSD_19counting_iterator_tIlEES8_S8_S8_S8_S8_S8_S8_S8_EEEEPS9_S9_NSD_9__find_if7functorIS9_EEEE10hipError_tPvRmT1_T2_T3_mT4_P12ihipStream_tbEUlT_E0_NS1_11comp_targetILNS1_3genE3ELNS1_11target_archE908ELNS1_3gpuE7ELNS1_3repE0EEENS1_30default_config_static_selectorELNS0_4arch9wavefront6targetE1EEEvS14_,comdat
	.protected	_ZN7rocprim17ROCPRIM_400000_NS6detail17trampoline_kernelINS0_14default_configENS1_22reduce_config_selectorIN6thrust23THRUST_200600_302600_NS5tupleIblNS6_9null_typeES8_S8_S8_S8_S8_S8_S8_EEEEZNS1_11reduce_implILb1ES3_NS6_12zip_iteratorINS7_INS6_11hip_rocprim26transform_input_iterator_tIbNSD_35transform_pair_of_input_iterators_tIbNS6_6detail15normal_iteratorINS6_10device_ptrIKjEEEESL_NS6_8equal_toIjEEEENSG_9not_fun_tINSD_8identityEEEEENSD_19counting_iterator_tIlEES8_S8_S8_S8_S8_S8_S8_S8_EEEEPS9_S9_NSD_9__find_if7functorIS9_EEEE10hipError_tPvRmT1_T2_T3_mT4_P12ihipStream_tbEUlT_E0_NS1_11comp_targetILNS1_3genE3ELNS1_11target_archE908ELNS1_3gpuE7ELNS1_3repE0EEENS1_30default_config_static_selectorELNS0_4arch9wavefront6targetE1EEEvS14_ ; -- Begin function _ZN7rocprim17ROCPRIM_400000_NS6detail17trampoline_kernelINS0_14default_configENS1_22reduce_config_selectorIN6thrust23THRUST_200600_302600_NS5tupleIblNS6_9null_typeES8_S8_S8_S8_S8_S8_S8_EEEEZNS1_11reduce_implILb1ES3_NS6_12zip_iteratorINS7_INS6_11hip_rocprim26transform_input_iterator_tIbNSD_35transform_pair_of_input_iterators_tIbNS6_6detail15normal_iteratorINS6_10device_ptrIKjEEEESL_NS6_8equal_toIjEEEENSG_9not_fun_tINSD_8identityEEEEENSD_19counting_iterator_tIlEES8_S8_S8_S8_S8_S8_S8_S8_EEEEPS9_S9_NSD_9__find_if7functorIS9_EEEE10hipError_tPvRmT1_T2_T3_mT4_P12ihipStream_tbEUlT_E0_NS1_11comp_targetILNS1_3genE3ELNS1_11target_archE908ELNS1_3gpuE7ELNS1_3repE0EEENS1_30default_config_static_selectorELNS0_4arch9wavefront6targetE1EEEvS14_
	.globl	_ZN7rocprim17ROCPRIM_400000_NS6detail17trampoline_kernelINS0_14default_configENS1_22reduce_config_selectorIN6thrust23THRUST_200600_302600_NS5tupleIblNS6_9null_typeES8_S8_S8_S8_S8_S8_S8_EEEEZNS1_11reduce_implILb1ES3_NS6_12zip_iteratorINS7_INS6_11hip_rocprim26transform_input_iterator_tIbNSD_35transform_pair_of_input_iterators_tIbNS6_6detail15normal_iteratorINS6_10device_ptrIKjEEEESL_NS6_8equal_toIjEEEENSG_9not_fun_tINSD_8identityEEEEENSD_19counting_iterator_tIlEES8_S8_S8_S8_S8_S8_S8_S8_EEEEPS9_S9_NSD_9__find_if7functorIS9_EEEE10hipError_tPvRmT1_T2_T3_mT4_P12ihipStream_tbEUlT_E0_NS1_11comp_targetILNS1_3genE3ELNS1_11target_archE908ELNS1_3gpuE7ELNS1_3repE0EEENS1_30default_config_static_selectorELNS0_4arch9wavefront6targetE1EEEvS14_
	.p2align	8
	.type	_ZN7rocprim17ROCPRIM_400000_NS6detail17trampoline_kernelINS0_14default_configENS1_22reduce_config_selectorIN6thrust23THRUST_200600_302600_NS5tupleIblNS6_9null_typeES8_S8_S8_S8_S8_S8_S8_EEEEZNS1_11reduce_implILb1ES3_NS6_12zip_iteratorINS7_INS6_11hip_rocprim26transform_input_iterator_tIbNSD_35transform_pair_of_input_iterators_tIbNS6_6detail15normal_iteratorINS6_10device_ptrIKjEEEESL_NS6_8equal_toIjEEEENSG_9not_fun_tINSD_8identityEEEEENSD_19counting_iterator_tIlEES8_S8_S8_S8_S8_S8_S8_S8_EEEEPS9_S9_NSD_9__find_if7functorIS9_EEEE10hipError_tPvRmT1_T2_T3_mT4_P12ihipStream_tbEUlT_E0_NS1_11comp_targetILNS1_3genE3ELNS1_11target_archE908ELNS1_3gpuE7ELNS1_3repE0EEENS1_30default_config_static_selectorELNS0_4arch9wavefront6targetE1EEEvS14_,@function
_ZN7rocprim17ROCPRIM_400000_NS6detail17trampoline_kernelINS0_14default_configENS1_22reduce_config_selectorIN6thrust23THRUST_200600_302600_NS5tupleIblNS6_9null_typeES8_S8_S8_S8_S8_S8_S8_EEEEZNS1_11reduce_implILb1ES3_NS6_12zip_iteratorINS7_INS6_11hip_rocprim26transform_input_iterator_tIbNSD_35transform_pair_of_input_iterators_tIbNS6_6detail15normal_iteratorINS6_10device_ptrIKjEEEESL_NS6_8equal_toIjEEEENSG_9not_fun_tINSD_8identityEEEEENSD_19counting_iterator_tIlEES8_S8_S8_S8_S8_S8_S8_S8_EEEEPS9_S9_NSD_9__find_if7functorIS9_EEEE10hipError_tPvRmT1_T2_T3_mT4_P12ihipStream_tbEUlT_E0_NS1_11comp_targetILNS1_3genE3ELNS1_11target_archE908ELNS1_3gpuE7ELNS1_3repE0EEENS1_30default_config_static_selectorELNS0_4arch9wavefront6targetE1EEEvS14_: ; @_ZN7rocprim17ROCPRIM_400000_NS6detail17trampoline_kernelINS0_14default_configENS1_22reduce_config_selectorIN6thrust23THRUST_200600_302600_NS5tupleIblNS6_9null_typeES8_S8_S8_S8_S8_S8_S8_EEEEZNS1_11reduce_implILb1ES3_NS6_12zip_iteratorINS7_INS6_11hip_rocprim26transform_input_iterator_tIbNSD_35transform_pair_of_input_iterators_tIbNS6_6detail15normal_iteratorINS6_10device_ptrIKjEEEESL_NS6_8equal_toIjEEEENSG_9not_fun_tINSD_8identityEEEEENSD_19counting_iterator_tIlEES8_S8_S8_S8_S8_S8_S8_S8_EEEEPS9_S9_NSD_9__find_if7functorIS9_EEEE10hipError_tPvRmT1_T2_T3_mT4_P12ihipStream_tbEUlT_E0_NS1_11comp_targetILNS1_3genE3ELNS1_11target_archE908ELNS1_3gpuE7ELNS1_3repE0EEENS1_30default_config_static_selectorELNS0_4arch9wavefront6targetE1EEEvS14_
; %bb.0:
	.section	.rodata,"a",@progbits
	.p2align	6, 0x0
	.amdhsa_kernel _ZN7rocprim17ROCPRIM_400000_NS6detail17trampoline_kernelINS0_14default_configENS1_22reduce_config_selectorIN6thrust23THRUST_200600_302600_NS5tupleIblNS6_9null_typeES8_S8_S8_S8_S8_S8_S8_EEEEZNS1_11reduce_implILb1ES3_NS6_12zip_iteratorINS7_INS6_11hip_rocprim26transform_input_iterator_tIbNSD_35transform_pair_of_input_iterators_tIbNS6_6detail15normal_iteratorINS6_10device_ptrIKjEEEESL_NS6_8equal_toIjEEEENSG_9not_fun_tINSD_8identityEEEEENSD_19counting_iterator_tIlEES8_S8_S8_S8_S8_S8_S8_S8_EEEEPS9_S9_NSD_9__find_if7functorIS9_EEEE10hipError_tPvRmT1_T2_T3_mT4_P12ihipStream_tbEUlT_E0_NS1_11comp_targetILNS1_3genE3ELNS1_11target_archE908ELNS1_3gpuE7ELNS1_3repE0EEENS1_30default_config_static_selectorELNS0_4arch9wavefront6targetE1EEEvS14_
		.amdhsa_group_segment_fixed_size 0
		.amdhsa_private_segment_fixed_size 0
		.amdhsa_kernarg_size 104
		.amdhsa_user_sgpr_count 2
		.amdhsa_user_sgpr_dispatch_ptr 0
		.amdhsa_user_sgpr_queue_ptr 0
		.amdhsa_user_sgpr_kernarg_segment_ptr 1
		.amdhsa_user_sgpr_dispatch_id 0
		.amdhsa_user_sgpr_kernarg_preload_length 0
		.amdhsa_user_sgpr_kernarg_preload_offset 0
		.amdhsa_user_sgpr_private_segment_size 0
		.amdhsa_uses_dynamic_stack 0
		.amdhsa_enable_private_segment 0
		.amdhsa_system_sgpr_workgroup_id_x 1
		.amdhsa_system_sgpr_workgroup_id_y 0
		.amdhsa_system_sgpr_workgroup_id_z 0
		.amdhsa_system_sgpr_workgroup_info 0
		.amdhsa_system_vgpr_workitem_id 0
		.amdhsa_next_free_vgpr 1
		.amdhsa_next_free_sgpr 0
		.amdhsa_accum_offset 4
		.amdhsa_reserve_vcc 0
		.amdhsa_float_round_mode_32 0
		.amdhsa_float_round_mode_16_64 0
		.amdhsa_float_denorm_mode_32 3
		.amdhsa_float_denorm_mode_16_64 3
		.amdhsa_dx10_clamp 1
		.amdhsa_ieee_mode 1
		.amdhsa_fp16_overflow 0
		.amdhsa_tg_split 0
		.amdhsa_exception_fp_ieee_invalid_op 0
		.amdhsa_exception_fp_denorm_src 0
		.amdhsa_exception_fp_ieee_div_zero 0
		.amdhsa_exception_fp_ieee_overflow 0
		.amdhsa_exception_fp_ieee_underflow 0
		.amdhsa_exception_fp_ieee_inexact 0
		.amdhsa_exception_int_div_zero 0
	.end_amdhsa_kernel
	.section	.text._ZN7rocprim17ROCPRIM_400000_NS6detail17trampoline_kernelINS0_14default_configENS1_22reduce_config_selectorIN6thrust23THRUST_200600_302600_NS5tupleIblNS6_9null_typeES8_S8_S8_S8_S8_S8_S8_EEEEZNS1_11reduce_implILb1ES3_NS6_12zip_iteratorINS7_INS6_11hip_rocprim26transform_input_iterator_tIbNSD_35transform_pair_of_input_iterators_tIbNS6_6detail15normal_iteratorINS6_10device_ptrIKjEEEESL_NS6_8equal_toIjEEEENSG_9not_fun_tINSD_8identityEEEEENSD_19counting_iterator_tIlEES8_S8_S8_S8_S8_S8_S8_S8_EEEEPS9_S9_NSD_9__find_if7functorIS9_EEEE10hipError_tPvRmT1_T2_T3_mT4_P12ihipStream_tbEUlT_E0_NS1_11comp_targetILNS1_3genE3ELNS1_11target_archE908ELNS1_3gpuE7ELNS1_3repE0EEENS1_30default_config_static_selectorELNS0_4arch9wavefront6targetE1EEEvS14_,"axG",@progbits,_ZN7rocprim17ROCPRIM_400000_NS6detail17trampoline_kernelINS0_14default_configENS1_22reduce_config_selectorIN6thrust23THRUST_200600_302600_NS5tupleIblNS6_9null_typeES8_S8_S8_S8_S8_S8_S8_EEEEZNS1_11reduce_implILb1ES3_NS6_12zip_iteratorINS7_INS6_11hip_rocprim26transform_input_iterator_tIbNSD_35transform_pair_of_input_iterators_tIbNS6_6detail15normal_iteratorINS6_10device_ptrIKjEEEESL_NS6_8equal_toIjEEEENSG_9not_fun_tINSD_8identityEEEEENSD_19counting_iterator_tIlEES8_S8_S8_S8_S8_S8_S8_S8_EEEEPS9_S9_NSD_9__find_if7functorIS9_EEEE10hipError_tPvRmT1_T2_T3_mT4_P12ihipStream_tbEUlT_E0_NS1_11comp_targetILNS1_3genE3ELNS1_11target_archE908ELNS1_3gpuE7ELNS1_3repE0EEENS1_30default_config_static_selectorELNS0_4arch9wavefront6targetE1EEEvS14_,comdat
.Lfunc_end808:
	.size	_ZN7rocprim17ROCPRIM_400000_NS6detail17trampoline_kernelINS0_14default_configENS1_22reduce_config_selectorIN6thrust23THRUST_200600_302600_NS5tupleIblNS6_9null_typeES8_S8_S8_S8_S8_S8_S8_EEEEZNS1_11reduce_implILb1ES3_NS6_12zip_iteratorINS7_INS6_11hip_rocprim26transform_input_iterator_tIbNSD_35transform_pair_of_input_iterators_tIbNS6_6detail15normal_iteratorINS6_10device_ptrIKjEEEESL_NS6_8equal_toIjEEEENSG_9not_fun_tINSD_8identityEEEEENSD_19counting_iterator_tIlEES8_S8_S8_S8_S8_S8_S8_S8_EEEEPS9_S9_NSD_9__find_if7functorIS9_EEEE10hipError_tPvRmT1_T2_T3_mT4_P12ihipStream_tbEUlT_E0_NS1_11comp_targetILNS1_3genE3ELNS1_11target_archE908ELNS1_3gpuE7ELNS1_3repE0EEENS1_30default_config_static_selectorELNS0_4arch9wavefront6targetE1EEEvS14_, .Lfunc_end808-_ZN7rocprim17ROCPRIM_400000_NS6detail17trampoline_kernelINS0_14default_configENS1_22reduce_config_selectorIN6thrust23THRUST_200600_302600_NS5tupleIblNS6_9null_typeES8_S8_S8_S8_S8_S8_S8_EEEEZNS1_11reduce_implILb1ES3_NS6_12zip_iteratorINS7_INS6_11hip_rocprim26transform_input_iterator_tIbNSD_35transform_pair_of_input_iterators_tIbNS6_6detail15normal_iteratorINS6_10device_ptrIKjEEEESL_NS6_8equal_toIjEEEENSG_9not_fun_tINSD_8identityEEEEENSD_19counting_iterator_tIlEES8_S8_S8_S8_S8_S8_S8_S8_EEEEPS9_S9_NSD_9__find_if7functorIS9_EEEE10hipError_tPvRmT1_T2_T3_mT4_P12ihipStream_tbEUlT_E0_NS1_11comp_targetILNS1_3genE3ELNS1_11target_archE908ELNS1_3gpuE7ELNS1_3repE0EEENS1_30default_config_static_selectorELNS0_4arch9wavefront6targetE1EEEvS14_
                                        ; -- End function
	.set _ZN7rocprim17ROCPRIM_400000_NS6detail17trampoline_kernelINS0_14default_configENS1_22reduce_config_selectorIN6thrust23THRUST_200600_302600_NS5tupleIblNS6_9null_typeES8_S8_S8_S8_S8_S8_S8_EEEEZNS1_11reduce_implILb1ES3_NS6_12zip_iteratorINS7_INS6_11hip_rocprim26transform_input_iterator_tIbNSD_35transform_pair_of_input_iterators_tIbNS6_6detail15normal_iteratorINS6_10device_ptrIKjEEEESL_NS6_8equal_toIjEEEENSG_9not_fun_tINSD_8identityEEEEENSD_19counting_iterator_tIlEES8_S8_S8_S8_S8_S8_S8_S8_EEEEPS9_S9_NSD_9__find_if7functorIS9_EEEE10hipError_tPvRmT1_T2_T3_mT4_P12ihipStream_tbEUlT_E0_NS1_11comp_targetILNS1_3genE3ELNS1_11target_archE908ELNS1_3gpuE7ELNS1_3repE0EEENS1_30default_config_static_selectorELNS0_4arch9wavefront6targetE1EEEvS14_.num_vgpr, 0
	.set _ZN7rocprim17ROCPRIM_400000_NS6detail17trampoline_kernelINS0_14default_configENS1_22reduce_config_selectorIN6thrust23THRUST_200600_302600_NS5tupleIblNS6_9null_typeES8_S8_S8_S8_S8_S8_S8_EEEEZNS1_11reduce_implILb1ES3_NS6_12zip_iteratorINS7_INS6_11hip_rocprim26transform_input_iterator_tIbNSD_35transform_pair_of_input_iterators_tIbNS6_6detail15normal_iteratorINS6_10device_ptrIKjEEEESL_NS6_8equal_toIjEEEENSG_9not_fun_tINSD_8identityEEEEENSD_19counting_iterator_tIlEES8_S8_S8_S8_S8_S8_S8_S8_EEEEPS9_S9_NSD_9__find_if7functorIS9_EEEE10hipError_tPvRmT1_T2_T3_mT4_P12ihipStream_tbEUlT_E0_NS1_11comp_targetILNS1_3genE3ELNS1_11target_archE908ELNS1_3gpuE7ELNS1_3repE0EEENS1_30default_config_static_selectorELNS0_4arch9wavefront6targetE1EEEvS14_.num_agpr, 0
	.set _ZN7rocprim17ROCPRIM_400000_NS6detail17trampoline_kernelINS0_14default_configENS1_22reduce_config_selectorIN6thrust23THRUST_200600_302600_NS5tupleIblNS6_9null_typeES8_S8_S8_S8_S8_S8_S8_EEEEZNS1_11reduce_implILb1ES3_NS6_12zip_iteratorINS7_INS6_11hip_rocprim26transform_input_iterator_tIbNSD_35transform_pair_of_input_iterators_tIbNS6_6detail15normal_iteratorINS6_10device_ptrIKjEEEESL_NS6_8equal_toIjEEEENSG_9not_fun_tINSD_8identityEEEEENSD_19counting_iterator_tIlEES8_S8_S8_S8_S8_S8_S8_S8_EEEEPS9_S9_NSD_9__find_if7functorIS9_EEEE10hipError_tPvRmT1_T2_T3_mT4_P12ihipStream_tbEUlT_E0_NS1_11comp_targetILNS1_3genE3ELNS1_11target_archE908ELNS1_3gpuE7ELNS1_3repE0EEENS1_30default_config_static_selectorELNS0_4arch9wavefront6targetE1EEEvS14_.numbered_sgpr, 0
	.set _ZN7rocprim17ROCPRIM_400000_NS6detail17trampoline_kernelINS0_14default_configENS1_22reduce_config_selectorIN6thrust23THRUST_200600_302600_NS5tupleIblNS6_9null_typeES8_S8_S8_S8_S8_S8_S8_EEEEZNS1_11reduce_implILb1ES3_NS6_12zip_iteratorINS7_INS6_11hip_rocprim26transform_input_iterator_tIbNSD_35transform_pair_of_input_iterators_tIbNS6_6detail15normal_iteratorINS6_10device_ptrIKjEEEESL_NS6_8equal_toIjEEEENSG_9not_fun_tINSD_8identityEEEEENSD_19counting_iterator_tIlEES8_S8_S8_S8_S8_S8_S8_S8_EEEEPS9_S9_NSD_9__find_if7functorIS9_EEEE10hipError_tPvRmT1_T2_T3_mT4_P12ihipStream_tbEUlT_E0_NS1_11comp_targetILNS1_3genE3ELNS1_11target_archE908ELNS1_3gpuE7ELNS1_3repE0EEENS1_30default_config_static_selectorELNS0_4arch9wavefront6targetE1EEEvS14_.num_named_barrier, 0
	.set _ZN7rocprim17ROCPRIM_400000_NS6detail17trampoline_kernelINS0_14default_configENS1_22reduce_config_selectorIN6thrust23THRUST_200600_302600_NS5tupleIblNS6_9null_typeES8_S8_S8_S8_S8_S8_S8_EEEEZNS1_11reduce_implILb1ES3_NS6_12zip_iteratorINS7_INS6_11hip_rocprim26transform_input_iterator_tIbNSD_35transform_pair_of_input_iterators_tIbNS6_6detail15normal_iteratorINS6_10device_ptrIKjEEEESL_NS6_8equal_toIjEEEENSG_9not_fun_tINSD_8identityEEEEENSD_19counting_iterator_tIlEES8_S8_S8_S8_S8_S8_S8_S8_EEEEPS9_S9_NSD_9__find_if7functorIS9_EEEE10hipError_tPvRmT1_T2_T3_mT4_P12ihipStream_tbEUlT_E0_NS1_11comp_targetILNS1_3genE3ELNS1_11target_archE908ELNS1_3gpuE7ELNS1_3repE0EEENS1_30default_config_static_selectorELNS0_4arch9wavefront6targetE1EEEvS14_.private_seg_size, 0
	.set _ZN7rocprim17ROCPRIM_400000_NS6detail17trampoline_kernelINS0_14default_configENS1_22reduce_config_selectorIN6thrust23THRUST_200600_302600_NS5tupleIblNS6_9null_typeES8_S8_S8_S8_S8_S8_S8_EEEEZNS1_11reduce_implILb1ES3_NS6_12zip_iteratorINS7_INS6_11hip_rocprim26transform_input_iterator_tIbNSD_35transform_pair_of_input_iterators_tIbNS6_6detail15normal_iteratorINS6_10device_ptrIKjEEEESL_NS6_8equal_toIjEEEENSG_9not_fun_tINSD_8identityEEEEENSD_19counting_iterator_tIlEES8_S8_S8_S8_S8_S8_S8_S8_EEEEPS9_S9_NSD_9__find_if7functorIS9_EEEE10hipError_tPvRmT1_T2_T3_mT4_P12ihipStream_tbEUlT_E0_NS1_11comp_targetILNS1_3genE3ELNS1_11target_archE908ELNS1_3gpuE7ELNS1_3repE0EEENS1_30default_config_static_selectorELNS0_4arch9wavefront6targetE1EEEvS14_.uses_vcc, 0
	.set _ZN7rocprim17ROCPRIM_400000_NS6detail17trampoline_kernelINS0_14default_configENS1_22reduce_config_selectorIN6thrust23THRUST_200600_302600_NS5tupleIblNS6_9null_typeES8_S8_S8_S8_S8_S8_S8_EEEEZNS1_11reduce_implILb1ES3_NS6_12zip_iteratorINS7_INS6_11hip_rocprim26transform_input_iterator_tIbNSD_35transform_pair_of_input_iterators_tIbNS6_6detail15normal_iteratorINS6_10device_ptrIKjEEEESL_NS6_8equal_toIjEEEENSG_9not_fun_tINSD_8identityEEEEENSD_19counting_iterator_tIlEES8_S8_S8_S8_S8_S8_S8_S8_EEEEPS9_S9_NSD_9__find_if7functorIS9_EEEE10hipError_tPvRmT1_T2_T3_mT4_P12ihipStream_tbEUlT_E0_NS1_11comp_targetILNS1_3genE3ELNS1_11target_archE908ELNS1_3gpuE7ELNS1_3repE0EEENS1_30default_config_static_selectorELNS0_4arch9wavefront6targetE1EEEvS14_.uses_flat_scratch, 0
	.set _ZN7rocprim17ROCPRIM_400000_NS6detail17trampoline_kernelINS0_14default_configENS1_22reduce_config_selectorIN6thrust23THRUST_200600_302600_NS5tupleIblNS6_9null_typeES8_S8_S8_S8_S8_S8_S8_EEEEZNS1_11reduce_implILb1ES3_NS6_12zip_iteratorINS7_INS6_11hip_rocprim26transform_input_iterator_tIbNSD_35transform_pair_of_input_iterators_tIbNS6_6detail15normal_iteratorINS6_10device_ptrIKjEEEESL_NS6_8equal_toIjEEEENSG_9not_fun_tINSD_8identityEEEEENSD_19counting_iterator_tIlEES8_S8_S8_S8_S8_S8_S8_S8_EEEEPS9_S9_NSD_9__find_if7functorIS9_EEEE10hipError_tPvRmT1_T2_T3_mT4_P12ihipStream_tbEUlT_E0_NS1_11comp_targetILNS1_3genE3ELNS1_11target_archE908ELNS1_3gpuE7ELNS1_3repE0EEENS1_30default_config_static_selectorELNS0_4arch9wavefront6targetE1EEEvS14_.has_dyn_sized_stack, 0
	.set _ZN7rocprim17ROCPRIM_400000_NS6detail17trampoline_kernelINS0_14default_configENS1_22reduce_config_selectorIN6thrust23THRUST_200600_302600_NS5tupleIblNS6_9null_typeES8_S8_S8_S8_S8_S8_S8_EEEEZNS1_11reduce_implILb1ES3_NS6_12zip_iteratorINS7_INS6_11hip_rocprim26transform_input_iterator_tIbNSD_35transform_pair_of_input_iterators_tIbNS6_6detail15normal_iteratorINS6_10device_ptrIKjEEEESL_NS6_8equal_toIjEEEENSG_9not_fun_tINSD_8identityEEEEENSD_19counting_iterator_tIlEES8_S8_S8_S8_S8_S8_S8_S8_EEEEPS9_S9_NSD_9__find_if7functorIS9_EEEE10hipError_tPvRmT1_T2_T3_mT4_P12ihipStream_tbEUlT_E0_NS1_11comp_targetILNS1_3genE3ELNS1_11target_archE908ELNS1_3gpuE7ELNS1_3repE0EEENS1_30default_config_static_selectorELNS0_4arch9wavefront6targetE1EEEvS14_.has_recursion, 0
	.set _ZN7rocprim17ROCPRIM_400000_NS6detail17trampoline_kernelINS0_14default_configENS1_22reduce_config_selectorIN6thrust23THRUST_200600_302600_NS5tupleIblNS6_9null_typeES8_S8_S8_S8_S8_S8_S8_EEEEZNS1_11reduce_implILb1ES3_NS6_12zip_iteratorINS7_INS6_11hip_rocprim26transform_input_iterator_tIbNSD_35transform_pair_of_input_iterators_tIbNS6_6detail15normal_iteratorINS6_10device_ptrIKjEEEESL_NS6_8equal_toIjEEEENSG_9not_fun_tINSD_8identityEEEEENSD_19counting_iterator_tIlEES8_S8_S8_S8_S8_S8_S8_S8_EEEEPS9_S9_NSD_9__find_if7functorIS9_EEEE10hipError_tPvRmT1_T2_T3_mT4_P12ihipStream_tbEUlT_E0_NS1_11comp_targetILNS1_3genE3ELNS1_11target_archE908ELNS1_3gpuE7ELNS1_3repE0EEENS1_30default_config_static_selectorELNS0_4arch9wavefront6targetE1EEEvS14_.has_indirect_call, 0
	.section	.AMDGPU.csdata,"",@progbits
; Kernel info:
; codeLenInByte = 0
; TotalNumSgprs: 6
; NumVgprs: 0
; NumAgprs: 0
; TotalNumVgprs: 0
; ScratchSize: 0
; MemoryBound: 0
; FloatMode: 240
; IeeeMode: 1
; LDSByteSize: 0 bytes/workgroup (compile time only)
; SGPRBlocks: 0
; VGPRBlocks: 0
; NumSGPRsForWavesPerEU: 6
; NumVGPRsForWavesPerEU: 1
; AccumOffset: 4
; Occupancy: 8
; WaveLimiterHint : 0
; COMPUTE_PGM_RSRC2:SCRATCH_EN: 0
; COMPUTE_PGM_RSRC2:USER_SGPR: 2
; COMPUTE_PGM_RSRC2:TRAP_HANDLER: 0
; COMPUTE_PGM_RSRC2:TGID_X_EN: 1
; COMPUTE_PGM_RSRC2:TGID_Y_EN: 0
; COMPUTE_PGM_RSRC2:TGID_Z_EN: 0
; COMPUTE_PGM_RSRC2:TIDIG_COMP_CNT: 0
; COMPUTE_PGM_RSRC3_GFX90A:ACCUM_OFFSET: 0
; COMPUTE_PGM_RSRC3_GFX90A:TG_SPLIT: 0
	.section	.text._ZN7rocprim17ROCPRIM_400000_NS6detail17trampoline_kernelINS0_14default_configENS1_22reduce_config_selectorIN6thrust23THRUST_200600_302600_NS5tupleIblNS6_9null_typeES8_S8_S8_S8_S8_S8_S8_EEEEZNS1_11reduce_implILb1ES3_NS6_12zip_iteratorINS7_INS6_11hip_rocprim26transform_input_iterator_tIbNSD_35transform_pair_of_input_iterators_tIbNS6_6detail15normal_iteratorINS6_10device_ptrIKjEEEESL_NS6_8equal_toIjEEEENSG_9not_fun_tINSD_8identityEEEEENSD_19counting_iterator_tIlEES8_S8_S8_S8_S8_S8_S8_S8_EEEEPS9_S9_NSD_9__find_if7functorIS9_EEEE10hipError_tPvRmT1_T2_T3_mT4_P12ihipStream_tbEUlT_E0_NS1_11comp_targetILNS1_3genE2ELNS1_11target_archE906ELNS1_3gpuE6ELNS1_3repE0EEENS1_30default_config_static_selectorELNS0_4arch9wavefront6targetE1EEEvS14_,"axG",@progbits,_ZN7rocprim17ROCPRIM_400000_NS6detail17trampoline_kernelINS0_14default_configENS1_22reduce_config_selectorIN6thrust23THRUST_200600_302600_NS5tupleIblNS6_9null_typeES8_S8_S8_S8_S8_S8_S8_EEEEZNS1_11reduce_implILb1ES3_NS6_12zip_iteratorINS7_INS6_11hip_rocprim26transform_input_iterator_tIbNSD_35transform_pair_of_input_iterators_tIbNS6_6detail15normal_iteratorINS6_10device_ptrIKjEEEESL_NS6_8equal_toIjEEEENSG_9not_fun_tINSD_8identityEEEEENSD_19counting_iterator_tIlEES8_S8_S8_S8_S8_S8_S8_S8_EEEEPS9_S9_NSD_9__find_if7functorIS9_EEEE10hipError_tPvRmT1_T2_T3_mT4_P12ihipStream_tbEUlT_E0_NS1_11comp_targetILNS1_3genE2ELNS1_11target_archE906ELNS1_3gpuE6ELNS1_3repE0EEENS1_30default_config_static_selectorELNS0_4arch9wavefront6targetE1EEEvS14_,comdat
	.protected	_ZN7rocprim17ROCPRIM_400000_NS6detail17trampoline_kernelINS0_14default_configENS1_22reduce_config_selectorIN6thrust23THRUST_200600_302600_NS5tupleIblNS6_9null_typeES8_S8_S8_S8_S8_S8_S8_EEEEZNS1_11reduce_implILb1ES3_NS6_12zip_iteratorINS7_INS6_11hip_rocprim26transform_input_iterator_tIbNSD_35transform_pair_of_input_iterators_tIbNS6_6detail15normal_iteratorINS6_10device_ptrIKjEEEESL_NS6_8equal_toIjEEEENSG_9not_fun_tINSD_8identityEEEEENSD_19counting_iterator_tIlEES8_S8_S8_S8_S8_S8_S8_S8_EEEEPS9_S9_NSD_9__find_if7functorIS9_EEEE10hipError_tPvRmT1_T2_T3_mT4_P12ihipStream_tbEUlT_E0_NS1_11comp_targetILNS1_3genE2ELNS1_11target_archE906ELNS1_3gpuE6ELNS1_3repE0EEENS1_30default_config_static_selectorELNS0_4arch9wavefront6targetE1EEEvS14_ ; -- Begin function _ZN7rocprim17ROCPRIM_400000_NS6detail17trampoline_kernelINS0_14default_configENS1_22reduce_config_selectorIN6thrust23THRUST_200600_302600_NS5tupleIblNS6_9null_typeES8_S8_S8_S8_S8_S8_S8_EEEEZNS1_11reduce_implILb1ES3_NS6_12zip_iteratorINS7_INS6_11hip_rocprim26transform_input_iterator_tIbNSD_35transform_pair_of_input_iterators_tIbNS6_6detail15normal_iteratorINS6_10device_ptrIKjEEEESL_NS6_8equal_toIjEEEENSG_9not_fun_tINSD_8identityEEEEENSD_19counting_iterator_tIlEES8_S8_S8_S8_S8_S8_S8_S8_EEEEPS9_S9_NSD_9__find_if7functorIS9_EEEE10hipError_tPvRmT1_T2_T3_mT4_P12ihipStream_tbEUlT_E0_NS1_11comp_targetILNS1_3genE2ELNS1_11target_archE906ELNS1_3gpuE6ELNS1_3repE0EEENS1_30default_config_static_selectorELNS0_4arch9wavefront6targetE1EEEvS14_
	.globl	_ZN7rocprim17ROCPRIM_400000_NS6detail17trampoline_kernelINS0_14default_configENS1_22reduce_config_selectorIN6thrust23THRUST_200600_302600_NS5tupleIblNS6_9null_typeES8_S8_S8_S8_S8_S8_S8_EEEEZNS1_11reduce_implILb1ES3_NS6_12zip_iteratorINS7_INS6_11hip_rocprim26transform_input_iterator_tIbNSD_35transform_pair_of_input_iterators_tIbNS6_6detail15normal_iteratorINS6_10device_ptrIKjEEEESL_NS6_8equal_toIjEEEENSG_9not_fun_tINSD_8identityEEEEENSD_19counting_iterator_tIlEES8_S8_S8_S8_S8_S8_S8_S8_EEEEPS9_S9_NSD_9__find_if7functorIS9_EEEE10hipError_tPvRmT1_T2_T3_mT4_P12ihipStream_tbEUlT_E0_NS1_11comp_targetILNS1_3genE2ELNS1_11target_archE906ELNS1_3gpuE6ELNS1_3repE0EEENS1_30default_config_static_selectorELNS0_4arch9wavefront6targetE1EEEvS14_
	.p2align	8
	.type	_ZN7rocprim17ROCPRIM_400000_NS6detail17trampoline_kernelINS0_14default_configENS1_22reduce_config_selectorIN6thrust23THRUST_200600_302600_NS5tupleIblNS6_9null_typeES8_S8_S8_S8_S8_S8_S8_EEEEZNS1_11reduce_implILb1ES3_NS6_12zip_iteratorINS7_INS6_11hip_rocprim26transform_input_iterator_tIbNSD_35transform_pair_of_input_iterators_tIbNS6_6detail15normal_iteratorINS6_10device_ptrIKjEEEESL_NS6_8equal_toIjEEEENSG_9not_fun_tINSD_8identityEEEEENSD_19counting_iterator_tIlEES8_S8_S8_S8_S8_S8_S8_S8_EEEEPS9_S9_NSD_9__find_if7functorIS9_EEEE10hipError_tPvRmT1_T2_T3_mT4_P12ihipStream_tbEUlT_E0_NS1_11comp_targetILNS1_3genE2ELNS1_11target_archE906ELNS1_3gpuE6ELNS1_3repE0EEENS1_30default_config_static_selectorELNS0_4arch9wavefront6targetE1EEEvS14_,@function
_ZN7rocprim17ROCPRIM_400000_NS6detail17trampoline_kernelINS0_14default_configENS1_22reduce_config_selectorIN6thrust23THRUST_200600_302600_NS5tupleIblNS6_9null_typeES8_S8_S8_S8_S8_S8_S8_EEEEZNS1_11reduce_implILb1ES3_NS6_12zip_iteratorINS7_INS6_11hip_rocprim26transform_input_iterator_tIbNSD_35transform_pair_of_input_iterators_tIbNS6_6detail15normal_iteratorINS6_10device_ptrIKjEEEESL_NS6_8equal_toIjEEEENSG_9not_fun_tINSD_8identityEEEEENSD_19counting_iterator_tIlEES8_S8_S8_S8_S8_S8_S8_S8_EEEEPS9_S9_NSD_9__find_if7functorIS9_EEEE10hipError_tPvRmT1_T2_T3_mT4_P12ihipStream_tbEUlT_E0_NS1_11comp_targetILNS1_3genE2ELNS1_11target_archE906ELNS1_3gpuE6ELNS1_3repE0EEENS1_30default_config_static_selectorELNS0_4arch9wavefront6targetE1EEEvS14_: ; @_ZN7rocprim17ROCPRIM_400000_NS6detail17trampoline_kernelINS0_14default_configENS1_22reduce_config_selectorIN6thrust23THRUST_200600_302600_NS5tupleIblNS6_9null_typeES8_S8_S8_S8_S8_S8_S8_EEEEZNS1_11reduce_implILb1ES3_NS6_12zip_iteratorINS7_INS6_11hip_rocprim26transform_input_iterator_tIbNSD_35transform_pair_of_input_iterators_tIbNS6_6detail15normal_iteratorINS6_10device_ptrIKjEEEESL_NS6_8equal_toIjEEEENSG_9not_fun_tINSD_8identityEEEEENSD_19counting_iterator_tIlEES8_S8_S8_S8_S8_S8_S8_S8_EEEEPS9_S9_NSD_9__find_if7functorIS9_EEEE10hipError_tPvRmT1_T2_T3_mT4_P12ihipStream_tbEUlT_E0_NS1_11comp_targetILNS1_3genE2ELNS1_11target_archE906ELNS1_3gpuE6ELNS1_3repE0EEENS1_30default_config_static_selectorELNS0_4arch9wavefront6targetE1EEEvS14_
; %bb.0:
	.section	.rodata,"a",@progbits
	.p2align	6, 0x0
	.amdhsa_kernel _ZN7rocprim17ROCPRIM_400000_NS6detail17trampoline_kernelINS0_14default_configENS1_22reduce_config_selectorIN6thrust23THRUST_200600_302600_NS5tupleIblNS6_9null_typeES8_S8_S8_S8_S8_S8_S8_EEEEZNS1_11reduce_implILb1ES3_NS6_12zip_iteratorINS7_INS6_11hip_rocprim26transform_input_iterator_tIbNSD_35transform_pair_of_input_iterators_tIbNS6_6detail15normal_iteratorINS6_10device_ptrIKjEEEESL_NS6_8equal_toIjEEEENSG_9not_fun_tINSD_8identityEEEEENSD_19counting_iterator_tIlEES8_S8_S8_S8_S8_S8_S8_S8_EEEEPS9_S9_NSD_9__find_if7functorIS9_EEEE10hipError_tPvRmT1_T2_T3_mT4_P12ihipStream_tbEUlT_E0_NS1_11comp_targetILNS1_3genE2ELNS1_11target_archE906ELNS1_3gpuE6ELNS1_3repE0EEENS1_30default_config_static_selectorELNS0_4arch9wavefront6targetE1EEEvS14_
		.amdhsa_group_segment_fixed_size 0
		.amdhsa_private_segment_fixed_size 0
		.amdhsa_kernarg_size 104
		.amdhsa_user_sgpr_count 2
		.amdhsa_user_sgpr_dispatch_ptr 0
		.amdhsa_user_sgpr_queue_ptr 0
		.amdhsa_user_sgpr_kernarg_segment_ptr 1
		.amdhsa_user_sgpr_dispatch_id 0
		.amdhsa_user_sgpr_kernarg_preload_length 0
		.amdhsa_user_sgpr_kernarg_preload_offset 0
		.amdhsa_user_sgpr_private_segment_size 0
		.amdhsa_uses_dynamic_stack 0
		.amdhsa_enable_private_segment 0
		.amdhsa_system_sgpr_workgroup_id_x 1
		.amdhsa_system_sgpr_workgroup_id_y 0
		.amdhsa_system_sgpr_workgroup_id_z 0
		.amdhsa_system_sgpr_workgroup_info 0
		.amdhsa_system_vgpr_workitem_id 0
		.amdhsa_next_free_vgpr 1
		.amdhsa_next_free_sgpr 0
		.amdhsa_accum_offset 4
		.amdhsa_reserve_vcc 0
		.amdhsa_float_round_mode_32 0
		.amdhsa_float_round_mode_16_64 0
		.amdhsa_float_denorm_mode_32 3
		.amdhsa_float_denorm_mode_16_64 3
		.amdhsa_dx10_clamp 1
		.amdhsa_ieee_mode 1
		.amdhsa_fp16_overflow 0
		.amdhsa_tg_split 0
		.amdhsa_exception_fp_ieee_invalid_op 0
		.amdhsa_exception_fp_denorm_src 0
		.amdhsa_exception_fp_ieee_div_zero 0
		.amdhsa_exception_fp_ieee_overflow 0
		.amdhsa_exception_fp_ieee_underflow 0
		.amdhsa_exception_fp_ieee_inexact 0
		.amdhsa_exception_int_div_zero 0
	.end_amdhsa_kernel
	.section	.text._ZN7rocprim17ROCPRIM_400000_NS6detail17trampoline_kernelINS0_14default_configENS1_22reduce_config_selectorIN6thrust23THRUST_200600_302600_NS5tupleIblNS6_9null_typeES8_S8_S8_S8_S8_S8_S8_EEEEZNS1_11reduce_implILb1ES3_NS6_12zip_iteratorINS7_INS6_11hip_rocprim26transform_input_iterator_tIbNSD_35transform_pair_of_input_iterators_tIbNS6_6detail15normal_iteratorINS6_10device_ptrIKjEEEESL_NS6_8equal_toIjEEEENSG_9not_fun_tINSD_8identityEEEEENSD_19counting_iterator_tIlEES8_S8_S8_S8_S8_S8_S8_S8_EEEEPS9_S9_NSD_9__find_if7functorIS9_EEEE10hipError_tPvRmT1_T2_T3_mT4_P12ihipStream_tbEUlT_E0_NS1_11comp_targetILNS1_3genE2ELNS1_11target_archE906ELNS1_3gpuE6ELNS1_3repE0EEENS1_30default_config_static_selectorELNS0_4arch9wavefront6targetE1EEEvS14_,"axG",@progbits,_ZN7rocprim17ROCPRIM_400000_NS6detail17trampoline_kernelINS0_14default_configENS1_22reduce_config_selectorIN6thrust23THRUST_200600_302600_NS5tupleIblNS6_9null_typeES8_S8_S8_S8_S8_S8_S8_EEEEZNS1_11reduce_implILb1ES3_NS6_12zip_iteratorINS7_INS6_11hip_rocprim26transform_input_iterator_tIbNSD_35transform_pair_of_input_iterators_tIbNS6_6detail15normal_iteratorINS6_10device_ptrIKjEEEESL_NS6_8equal_toIjEEEENSG_9not_fun_tINSD_8identityEEEEENSD_19counting_iterator_tIlEES8_S8_S8_S8_S8_S8_S8_S8_EEEEPS9_S9_NSD_9__find_if7functorIS9_EEEE10hipError_tPvRmT1_T2_T3_mT4_P12ihipStream_tbEUlT_E0_NS1_11comp_targetILNS1_3genE2ELNS1_11target_archE906ELNS1_3gpuE6ELNS1_3repE0EEENS1_30default_config_static_selectorELNS0_4arch9wavefront6targetE1EEEvS14_,comdat
.Lfunc_end809:
	.size	_ZN7rocprim17ROCPRIM_400000_NS6detail17trampoline_kernelINS0_14default_configENS1_22reduce_config_selectorIN6thrust23THRUST_200600_302600_NS5tupleIblNS6_9null_typeES8_S8_S8_S8_S8_S8_S8_EEEEZNS1_11reduce_implILb1ES3_NS6_12zip_iteratorINS7_INS6_11hip_rocprim26transform_input_iterator_tIbNSD_35transform_pair_of_input_iterators_tIbNS6_6detail15normal_iteratorINS6_10device_ptrIKjEEEESL_NS6_8equal_toIjEEEENSG_9not_fun_tINSD_8identityEEEEENSD_19counting_iterator_tIlEES8_S8_S8_S8_S8_S8_S8_S8_EEEEPS9_S9_NSD_9__find_if7functorIS9_EEEE10hipError_tPvRmT1_T2_T3_mT4_P12ihipStream_tbEUlT_E0_NS1_11comp_targetILNS1_3genE2ELNS1_11target_archE906ELNS1_3gpuE6ELNS1_3repE0EEENS1_30default_config_static_selectorELNS0_4arch9wavefront6targetE1EEEvS14_, .Lfunc_end809-_ZN7rocprim17ROCPRIM_400000_NS6detail17trampoline_kernelINS0_14default_configENS1_22reduce_config_selectorIN6thrust23THRUST_200600_302600_NS5tupleIblNS6_9null_typeES8_S8_S8_S8_S8_S8_S8_EEEEZNS1_11reduce_implILb1ES3_NS6_12zip_iteratorINS7_INS6_11hip_rocprim26transform_input_iterator_tIbNSD_35transform_pair_of_input_iterators_tIbNS6_6detail15normal_iteratorINS6_10device_ptrIKjEEEESL_NS6_8equal_toIjEEEENSG_9not_fun_tINSD_8identityEEEEENSD_19counting_iterator_tIlEES8_S8_S8_S8_S8_S8_S8_S8_EEEEPS9_S9_NSD_9__find_if7functorIS9_EEEE10hipError_tPvRmT1_T2_T3_mT4_P12ihipStream_tbEUlT_E0_NS1_11comp_targetILNS1_3genE2ELNS1_11target_archE906ELNS1_3gpuE6ELNS1_3repE0EEENS1_30default_config_static_selectorELNS0_4arch9wavefront6targetE1EEEvS14_
                                        ; -- End function
	.set _ZN7rocprim17ROCPRIM_400000_NS6detail17trampoline_kernelINS0_14default_configENS1_22reduce_config_selectorIN6thrust23THRUST_200600_302600_NS5tupleIblNS6_9null_typeES8_S8_S8_S8_S8_S8_S8_EEEEZNS1_11reduce_implILb1ES3_NS6_12zip_iteratorINS7_INS6_11hip_rocprim26transform_input_iterator_tIbNSD_35transform_pair_of_input_iterators_tIbNS6_6detail15normal_iteratorINS6_10device_ptrIKjEEEESL_NS6_8equal_toIjEEEENSG_9not_fun_tINSD_8identityEEEEENSD_19counting_iterator_tIlEES8_S8_S8_S8_S8_S8_S8_S8_EEEEPS9_S9_NSD_9__find_if7functorIS9_EEEE10hipError_tPvRmT1_T2_T3_mT4_P12ihipStream_tbEUlT_E0_NS1_11comp_targetILNS1_3genE2ELNS1_11target_archE906ELNS1_3gpuE6ELNS1_3repE0EEENS1_30default_config_static_selectorELNS0_4arch9wavefront6targetE1EEEvS14_.num_vgpr, 0
	.set _ZN7rocprim17ROCPRIM_400000_NS6detail17trampoline_kernelINS0_14default_configENS1_22reduce_config_selectorIN6thrust23THRUST_200600_302600_NS5tupleIblNS6_9null_typeES8_S8_S8_S8_S8_S8_S8_EEEEZNS1_11reduce_implILb1ES3_NS6_12zip_iteratorINS7_INS6_11hip_rocprim26transform_input_iterator_tIbNSD_35transform_pair_of_input_iterators_tIbNS6_6detail15normal_iteratorINS6_10device_ptrIKjEEEESL_NS6_8equal_toIjEEEENSG_9not_fun_tINSD_8identityEEEEENSD_19counting_iterator_tIlEES8_S8_S8_S8_S8_S8_S8_S8_EEEEPS9_S9_NSD_9__find_if7functorIS9_EEEE10hipError_tPvRmT1_T2_T3_mT4_P12ihipStream_tbEUlT_E0_NS1_11comp_targetILNS1_3genE2ELNS1_11target_archE906ELNS1_3gpuE6ELNS1_3repE0EEENS1_30default_config_static_selectorELNS0_4arch9wavefront6targetE1EEEvS14_.num_agpr, 0
	.set _ZN7rocprim17ROCPRIM_400000_NS6detail17trampoline_kernelINS0_14default_configENS1_22reduce_config_selectorIN6thrust23THRUST_200600_302600_NS5tupleIblNS6_9null_typeES8_S8_S8_S8_S8_S8_S8_EEEEZNS1_11reduce_implILb1ES3_NS6_12zip_iteratorINS7_INS6_11hip_rocprim26transform_input_iterator_tIbNSD_35transform_pair_of_input_iterators_tIbNS6_6detail15normal_iteratorINS6_10device_ptrIKjEEEESL_NS6_8equal_toIjEEEENSG_9not_fun_tINSD_8identityEEEEENSD_19counting_iterator_tIlEES8_S8_S8_S8_S8_S8_S8_S8_EEEEPS9_S9_NSD_9__find_if7functorIS9_EEEE10hipError_tPvRmT1_T2_T3_mT4_P12ihipStream_tbEUlT_E0_NS1_11comp_targetILNS1_3genE2ELNS1_11target_archE906ELNS1_3gpuE6ELNS1_3repE0EEENS1_30default_config_static_selectorELNS0_4arch9wavefront6targetE1EEEvS14_.numbered_sgpr, 0
	.set _ZN7rocprim17ROCPRIM_400000_NS6detail17trampoline_kernelINS0_14default_configENS1_22reduce_config_selectorIN6thrust23THRUST_200600_302600_NS5tupleIblNS6_9null_typeES8_S8_S8_S8_S8_S8_S8_EEEEZNS1_11reduce_implILb1ES3_NS6_12zip_iteratorINS7_INS6_11hip_rocprim26transform_input_iterator_tIbNSD_35transform_pair_of_input_iterators_tIbNS6_6detail15normal_iteratorINS6_10device_ptrIKjEEEESL_NS6_8equal_toIjEEEENSG_9not_fun_tINSD_8identityEEEEENSD_19counting_iterator_tIlEES8_S8_S8_S8_S8_S8_S8_S8_EEEEPS9_S9_NSD_9__find_if7functorIS9_EEEE10hipError_tPvRmT1_T2_T3_mT4_P12ihipStream_tbEUlT_E0_NS1_11comp_targetILNS1_3genE2ELNS1_11target_archE906ELNS1_3gpuE6ELNS1_3repE0EEENS1_30default_config_static_selectorELNS0_4arch9wavefront6targetE1EEEvS14_.num_named_barrier, 0
	.set _ZN7rocprim17ROCPRIM_400000_NS6detail17trampoline_kernelINS0_14default_configENS1_22reduce_config_selectorIN6thrust23THRUST_200600_302600_NS5tupleIblNS6_9null_typeES8_S8_S8_S8_S8_S8_S8_EEEEZNS1_11reduce_implILb1ES3_NS6_12zip_iteratorINS7_INS6_11hip_rocprim26transform_input_iterator_tIbNSD_35transform_pair_of_input_iterators_tIbNS6_6detail15normal_iteratorINS6_10device_ptrIKjEEEESL_NS6_8equal_toIjEEEENSG_9not_fun_tINSD_8identityEEEEENSD_19counting_iterator_tIlEES8_S8_S8_S8_S8_S8_S8_S8_EEEEPS9_S9_NSD_9__find_if7functorIS9_EEEE10hipError_tPvRmT1_T2_T3_mT4_P12ihipStream_tbEUlT_E0_NS1_11comp_targetILNS1_3genE2ELNS1_11target_archE906ELNS1_3gpuE6ELNS1_3repE0EEENS1_30default_config_static_selectorELNS0_4arch9wavefront6targetE1EEEvS14_.private_seg_size, 0
	.set _ZN7rocprim17ROCPRIM_400000_NS6detail17trampoline_kernelINS0_14default_configENS1_22reduce_config_selectorIN6thrust23THRUST_200600_302600_NS5tupleIblNS6_9null_typeES8_S8_S8_S8_S8_S8_S8_EEEEZNS1_11reduce_implILb1ES3_NS6_12zip_iteratorINS7_INS6_11hip_rocprim26transform_input_iterator_tIbNSD_35transform_pair_of_input_iterators_tIbNS6_6detail15normal_iteratorINS6_10device_ptrIKjEEEESL_NS6_8equal_toIjEEEENSG_9not_fun_tINSD_8identityEEEEENSD_19counting_iterator_tIlEES8_S8_S8_S8_S8_S8_S8_S8_EEEEPS9_S9_NSD_9__find_if7functorIS9_EEEE10hipError_tPvRmT1_T2_T3_mT4_P12ihipStream_tbEUlT_E0_NS1_11comp_targetILNS1_3genE2ELNS1_11target_archE906ELNS1_3gpuE6ELNS1_3repE0EEENS1_30default_config_static_selectorELNS0_4arch9wavefront6targetE1EEEvS14_.uses_vcc, 0
	.set _ZN7rocprim17ROCPRIM_400000_NS6detail17trampoline_kernelINS0_14default_configENS1_22reduce_config_selectorIN6thrust23THRUST_200600_302600_NS5tupleIblNS6_9null_typeES8_S8_S8_S8_S8_S8_S8_EEEEZNS1_11reduce_implILb1ES3_NS6_12zip_iteratorINS7_INS6_11hip_rocprim26transform_input_iterator_tIbNSD_35transform_pair_of_input_iterators_tIbNS6_6detail15normal_iteratorINS6_10device_ptrIKjEEEESL_NS6_8equal_toIjEEEENSG_9not_fun_tINSD_8identityEEEEENSD_19counting_iterator_tIlEES8_S8_S8_S8_S8_S8_S8_S8_EEEEPS9_S9_NSD_9__find_if7functorIS9_EEEE10hipError_tPvRmT1_T2_T3_mT4_P12ihipStream_tbEUlT_E0_NS1_11comp_targetILNS1_3genE2ELNS1_11target_archE906ELNS1_3gpuE6ELNS1_3repE0EEENS1_30default_config_static_selectorELNS0_4arch9wavefront6targetE1EEEvS14_.uses_flat_scratch, 0
	.set _ZN7rocprim17ROCPRIM_400000_NS6detail17trampoline_kernelINS0_14default_configENS1_22reduce_config_selectorIN6thrust23THRUST_200600_302600_NS5tupleIblNS6_9null_typeES8_S8_S8_S8_S8_S8_S8_EEEEZNS1_11reduce_implILb1ES3_NS6_12zip_iteratorINS7_INS6_11hip_rocprim26transform_input_iterator_tIbNSD_35transform_pair_of_input_iterators_tIbNS6_6detail15normal_iteratorINS6_10device_ptrIKjEEEESL_NS6_8equal_toIjEEEENSG_9not_fun_tINSD_8identityEEEEENSD_19counting_iterator_tIlEES8_S8_S8_S8_S8_S8_S8_S8_EEEEPS9_S9_NSD_9__find_if7functorIS9_EEEE10hipError_tPvRmT1_T2_T3_mT4_P12ihipStream_tbEUlT_E0_NS1_11comp_targetILNS1_3genE2ELNS1_11target_archE906ELNS1_3gpuE6ELNS1_3repE0EEENS1_30default_config_static_selectorELNS0_4arch9wavefront6targetE1EEEvS14_.has_dyn_sized_stack, 0
	.set _ZN7rocprim17ROCPRIM_400000_NS6detail17trampoline_kernelINS0_14default_configENS1_22reduce_config_selectorIN6thrust23THRUST_200600_302600_NS5tupleIblNS6_9null_typeES8_S8_S8_S8_S8_S8_S8_EEEEZNS1_11reduce_implILb1ES3_NS6_12zip_iteratorINS7_INS6_11hip_rocprim26transform_input_iterator_tIbNSD_35transform_pair_of_input_iterators_tIbNS6_6detail15normal_iteratorINS6_10device_ptrIKjEEEESL_NS6_8equal_toIjEEEENSG_9not_fun_tINSD_8identityEEEEENSD_19counting_iterator_tIlEES8_S8_S8_S8_S8_S8_S8_S8_EEEEPS9_S9_NSD_9__find_if7functorIS9_EEEE10hipError_tPvRmT1_T2_T3_mT4_P12ihipStream_tbEUlT_E0_NS1_11comp_targetILNS1_3genE2ELNS1_11target_archE906ELNS1_3gpuE6ELNS1_3repE0EEENS1_30default_config_static_selectorELNS0_4arch9wavefront6targetE1EEEvS14_.has_recursion, 0
	.set _ZN7rocprim17ROCPRIM_400000_NS6detail17trampoline_kernelINS0_14default_configENS1_22reduce_config_selectorIN6thrust23THRUST_200600_302600_NS5tupleIblNS6_9null_typeES8_S8_S8_S8_S8_S8_S8_EEEEZNS1_11reduce_implILb1ES3_NS6_12zip_iteratorINS7_INS6_11hip_rocprim26transform_input_iterator_tIbNSD_35transform_pair_of_input_iterators_tIbNS6_6detail15normal_iteratorINS6_10device_ptrIKjEEEESL_NS6_8equal_toIjEEEENSG_9not_fun_tINSD_8identityEEEEENSD_19counting_iterator_tIlEES8_S8_S8_S8_S8_S8_S8_S8_EEEEPS9_S9_NSD_9__find_if7functorIS9_EEEE10hipError_tPvRmT1_T2_T3_mT4_P12ihipStream_tbEUlT_E0_NS1_11comp_targetILNS1_3genE2ELNS1_11target_archE906ELNS1_3gpuE6ELNS1_3repE0EEENS1_30default_config_static_selectorELNS0_4arch9wavefront6targetE1EEEvS14_.has_indirect_call, 0
	.section	.AMDGPU.csdata,"",@progbits
; Kernel info:
; codeLenInByte = 0
; TotalNumSgprs: 6
; NumVgprs: 0
; NumAgprs: 0
; TotalNumVgprs: 0
; ScratchSize: 0
; MemoryBound: 0
; FloatMode: 240
; IeeeMode: 1
; LDSByteSize: 0 bytes/workgroup (compile time only)
; SGPRBlocks: 0
; VGPRBlocks: 0
; NumSGPRsForWavesPerEU: 6
; NumVGPRsForWavesPerEU: 1
; AccumOffset: 4
; Occupancy: 8
; WaveLimiterHint : 0
; COMPUTE_PGM_RSRC2:SCRATCH_EN: 0
; COMPUTE_PGM_RSRC2:USER_SGPR: 2
; COMPUTE_PGM_RSRC2:TRAP_HANDLER: 0
; COMPUTE_PGM_RSRC2:TGID_X_EN: 1
; COMPUTE_PGM_RSRC2:TGID_Y_EN: 0
; COMPUTE_PGM_RSRC2:TGID_Z_EN: 0
; COMPUTE_PGM_RSRC2:TIDIG_COMP_CNT: 0
; COMPUTE_PGM_RSRC3_GFX90A:ACCUM_OFFSET: 0
; COMPUTE_PGM_RSRC3_GFX90A:TG_SPLIT: 0
	.section	.text._ZN7rocprim17ROCPRIM_400000_NS6detail17trampoline_kernelINS0_14default_configENS1_22reduce_config_selectorIN6thrust23THRUST_200600_302600_NS5tupleIblNS6_9null_typeES8_S8_S8_S8_S8_S8_S8_EEEEZNS1_11reduce_implILb1ES3_NS6_12zip_iteratorINS7_INS6_11hip_rocprim26transform_input_iterator_tIbNSD_35transform_pair_of_input_iterators_tIbNS6_6detail15normal_iteratorINS6_10device_ptrIKjEEEESL_NS6_8equal_toIjEEEENSG_9not_fun_tINSD_8identityEEEEENSD_19counting_iterator_tIlEES8_S8_S8_S8_S8_S8_S8_S8_EEEEPS9_S9_NSD_9__find_if7functorIS9_EEEE10hipError_tPvRmT1_T2_T3_mT4_P12ihipStream_tbEUlT_E0_NS1_11comp_targetILNS1_3genE10ELNS1_11target_archE1201ELNS1_3gpuE5ELNS1_3repE0EEENS1_30default_config_static_selectorELNS0_4arch9wavefront6targetE1EEEvS14_,"axG",@progbits,_ZN7rocprim17ROCPRIM_400000_NS6detail17trampoline_kernelINS0_14default_configENS1_22reduce_config_selectorIN6thrust23THRUST_200600_302600_NS5tupleIblNS6_9null_typeES8_S8_S8_S8_S8_S8_S8_EEEEZNS1_11reduce_implILb1ES3_NS6_12zip_iteratorINS7_INS6_11hip_rocprim26transform_input_iterator_tIbNSD_35transform_pair_of_input_iterators_tIbNS6_6detail15normal_iteratorINS6_10device_ptrIKjEEEESL_NS6_8equal_toIjEEEENSG_9not_fun_tINSD_8identityEEEEENSD_19counting_iterator_tIlEES8_S8_S8_S8_S8_S8_S8_S8_EEEEPS9_S9_NSD_9__find_if7functorIS9_EEEE10hipError_tPvRmT1_T2_T3_mT4_P12ihipStream_tbEUlT_E0_NS1_11comp_targetILNS1_3genE10ELNS1_11target_archE1201ELNS1_3gpuE5ELNS1_3repE0EEENS1_30default_config_static_selectorELNS0_4arch9wavefront6targetE1EEEvS14_,comdat
	.protected	_ZN7rocprim17ROCPRIM_400000_NS6detail17trampoline_kernelINS0_14default_configENS1_22reduce_config_selectorIN6thrust23THRUST_200600_302600_NS5tupleIblNS6_9null_typeES8_S8_S8_S8_S8_S8_S8_EEEEZNS1_11reduce_implILb1ES3_NS6_12zip_iteratorINS7_INS6_11hip_rocprim26transform_input_iterator_tIbNSD_35transform_pair_of_input_iterators_tIbNS6_6detail15normal_iteratorINS6_10device_ptrIKjEEEESL_NS6_8equal_toIjEEEENSG_9not_fun_tINSD_8identityEEEEENSD_19counting_iterator_tIlEES8_S8_S8_S8_S8_S8_S8_S8_EEEEPS9_S9_NSD_9__find_if7functorIS9_EEEE10hipError_tPvRmT1_T2_T3_mT4_P12ihipStream_tbEUlT_E0_NS1_11comp_targetILNS1_3genE10ELNS1_11target_archE1201ELNS1_3gpuE5ELNS1_3repE0EEENS1_30default_config_static_selectorELNS0_4arch9wavefront6targetE1EEEvS14_ ; -- Begin function _ZN7rocprim17ROCPRIM_400000_NS6detail17trampoline_kernelINS0_14default_configENS1_22reduce_config_selectorIN6thrust23THRUST_200600_302600_NS5tupleIblNS6_9null_typeES8_S8_S8_S8_S8_S8_S8_EEEEZNS1_11reduce_implILb1ES3_NS6_12zip_iteratorINS7_INS6_11hip_rocprim26transform_input_iterator_tIbNSD_35transform_pair_of_input_iterators_tIbNS6_6detail15normal_iteratorINS6_10device_ptrIKjEEEESL_NS6_8equal_toIjEEEENSG_9not_fun_tINSD_8identityEEEEENSD_19counting_iterator_tIlEES8_S8_S8_S8_S8_S8_S8_S8_EEEEPS9_S9_NSD_9__find_if7functorIS9_EEEE10hipError_tPvRmT1_T2_T3_mT4_P12ihipStream_tbEUlT_E0_NS1_11comp_targetILNS1_3genE10ELNS1_11target_archE1201ELNS1_3gpuE5ELNS1_3repE0EEENS1_30default_config_static_selectorELNS0_4arch9wavefront6targetE1EEEvS14_
	.globl	_ZN7rocprim17ROCPRIM_400000_NS6detail17trampoline_kernelINS0_14default_configENS1_22reduce_config_selectorIN6thrust23THRUST_200600_302600_NS5tupleIblNS6_9null_typeES8_S8_S8_S8_S8_S8_S8_EEEEZNS1_11reduce_implILb1ES3_NS6_12zip_iteratorINS7_INS6_11hip_rocprim26transform_input_iterator_tIbNSD_35transform_pair_of_input_iterators_tIbNS6_6detail15normal_iteratorINS6_10device_ptrIKjEEEESL_NS6_8equal_toIjEEEENSG_9not_fun_tINSD_8identityEEEEENSD_19counting_iterator_tIlEES8_S8_S8_S8_S8_S8_S8_S8_EEEEPS9_S9_NSD_9__find_if7functorIS9_EEEE10hipError_tPvRmT1_T2_T3_mT4_P12ihipStream_tbEUlT_E0_NS1_11comp_targetILNS1_3genE10ELNS1_11target_archE1201ELNS1_3gpuE5ELNS1_3repE0EEENS1_30default_config_static_selectorELNS0_4arch9wavefront6targetE1EEEvS14_
	.p2align	8
	.type	_ZN7rocprim17ROCPRIM_400000_NS6detail17trampoline_kernelINS0_14default_configENS1_22reduce_config_selectorIN6thrust23THRUST_200600_302600_NS5tupleIblNS6_9null_typeES8_S8_S8_S8_S8_S8_S8_EEEEZNS1_11reduce_implILb1ES3_NS6_12zip_iteratorINS7_INS6_11hip_rocprim26transform_input_iterator_tIbNSD_35transform_pair_of_input_iterators_tIbNS6_6detail15normal_iteratorINS6_10device_ptrIKjEEEESL_NS6_8equal_toIjEEEENSG_9not_fun_tINSD_8identityEEEEENSD_19counting_iterator_tIlEES8_S8_S8_S8_S8_S8_S8_S8_EEEEPS9_S9_NSD_9__find_if7functorIS9_EEEE10hipError_tPvRmT1_T2_T3_mT4_P12ihipStream_tbEUlT_E0_NS1_11comp_targetILNS1_3genE10ELNS1_11target_archE1201ELNS1_3gpuE5ELNS1_3repE0EEENS1_30default_config_static_selectorELNS0_4arch9wavefront6targetE1EEEvS14_,@function
_ZN7rocprim17ROCPRIM_400000_NS6detail17trampoline_kernelINS0_14default_configENS1_22reduce_config_selectorIN6thrust23THRUST_200600_302600_NS5tupleIblNS6_9null_typeES8_S8_S8_S8_S8_S8_S8_EEEEZNS1_11reduce_implILb1ES3_NS6_12zip_iteratorINS7_INS6_11hip_rocprim26transform_input_iterator_tIbNSD_35transform_pair_of_input_iterators_tIbNS6_6detail15normal_iteratorINS6_10device_ptrIKjEEEESL_NS6_8equal_toIjEEEENSG_9not_fun_tINSD_8identityEEEEENSD_19counting_iterator_tIlEES8_S8_S8_S8_S8_S8_S8_S8_EEEEPS9_S9_NSD_9__find_if7functorIS9_EEEE10hipError_tPvRmT1_T2_T3_mT4_P12ihipStream_tbEUlT_E0_NS1_11comp_targetILNS1_3genE10ELNS1_11target_archE1201ELNS1_3gpuE5ELNS1_3repE0EEENS1_30default_config_static_selectorELNS0_4arch9wavefront6targetE1EEEvS14_: ; @_ZN7rocprim17ROCPRIM_400000_NS6detail17trampoline_kernelINS0_14default_configENS1_22reduce_config_selectorIN6thrust23THRUST_200600_302600_NS5tupleIblNS6_9null_typeES8_S8_S8_S8_S8_S8_S8_EEEEZNS1_11reduce_implILb1ES3_NS6_12zip_iteratorINS7_INS6_11hip_rocprim26transform_input_iterator_tIbNSD_35transform_pair_of_input_iterators_tIbNS6_6detail15normal_iteratorINS6_10device_ptrIKjEEEESL_NS6_8equal_toIjEEEENSG_9not_fun_tINSD_8identityEEEEENSD_19counting_iterator_tIlEES8_S8_S8_S8_S8_S8_S8_S8_EEEEPS9_S9_NSD_9__find_if7functorIS9_EEEE10hipError_tPvRmT1_T2_T3_mT4_P12ihipStream_tbEUlT_E0_NS1_11comp_targetILNS1_3genE10ELNS1_11target_archE1201ELNS1_3gpuE5ELNS1_3repE0EEENS1_30default_config_static_selectorELNS0_4arch9wavefront6targetE1EEEvS14_
; %bb.0:
	.section	.rodata,"a",@progbits
	.p2align	6, 0x0
	.amdhsa_kernel _ZN7rocprim17ROCPRIM_400000_NS6detail17trampoline_kernelINS0_14default_configENS1_22reduce_config_selectorIN6thrust23THRUST_200600_302600_NS5tupleIblNS6_9null_typeES8_S8_S8_S8_S8_S8_S8_EEEEZNS1_11reduce_implILb1ES3_NS6_12zip_iteratorINS7_INS6_11hip_rocprim26transform_input_iterator_tIbNSD_35transform_pair_of_input_iterators_tIbNS6_6detail15normal_iteratorINS6_10device_ptrIKjEEEESL_NS6_8equal_toIjEEEENSG_9not_fun_tINSD_8identityEEEEENSD_19counting_iterator_tIlEES8_S8_S8_S8_S8_S8_S8_S8_EEEEPS9_S9_NSD_9__find_if7functorIS9_EEEE10hipError_tPvRmT1_T2_T3_mT4_P12ihipStream_tbEUlT_E0_NS1_11comp_targetILNS1_3genE10ELNS1_11target_archE1201ELNS1_3gpuE5ELNS1_3repE0EEENS1_30default_config_static_selectorELNS0_4arch9wavefront6targetE1EEEvS14_
		.amdhsa_group_segment_fixed_size 0
		.amdhsa_private_segment_fixed_size 0
		.amdhsa_kernarg_size 104
		.amdhsa_user_sgpr_count 2
		.amdhsa_user_sgpr_dispatch_ptr 0
		.amdhsa_user_sgpr_queue_ptr 0
		.amdhsa_user_sgpr_kernarg_segment_ptr 1
		.amdhsa_user_sgpr_dispatch_id 0
		.amdhsa_user_sgpr_kernarg_preload_length 0
		.amdhsa_user_sgpr_kernarg_preload_offset 0
		.amdhsa_user_sgpr_private_segment_size 0
		.amdhsa_uses_dynamic_stack 0
		.amdhsa_enable_private_segment 0
		.amdhsa_system_sgpr_workgroup_id_x 1
		.amdhsa_system_sgpr_workgroup_id_y 0
		.amdhsa_system_sgpr_workgroup_id_z 0
		.amdhsa_system_sgpr_workgroup_info 0
		.amdhsa_system_vgpr_workitem_id 0
		.amdhsa_next_free_vgpr 1
		.amdhsa_next_free_sgpr 0
		.amdhsa_accum_offset 4
		.amdhsa_reserve_vcc 0
		.amdhsa_float_round_mode_32 0
		.amdhsa_float_round_mode_16_64 0
		.amdhsa_float_denorm_mode_32 3
		.amdhsa_float_denorm_mode_16_64 3
		.amdhsa_dx10_clamp 1
		.amdhsa_ieee_mode 1
		.amdhsa_fp16_overflow 0
		.amdhsa_tg_split 0
		.amdhsa_exception_fp_ieee_invalid_op 0
		.amdhsa_exception_fp_denorm_src 0
		.amdhsa_exception_fp_ieee_div_zero 0
		.amdhsa_exception_fp_ieee_overflow 0
		.amdhsa_exception_fp_ieee_underflow 0
		.amdhsa_exception_fp_ieee_inexact 0
		.amdhsa_exception_int_div_zero 0
	.end_amdhsa_kernel
	.section	.text._ZN7rocprim17ROCPRIM_400000_NS6detail17trampoline_kernelINS0_14default_configENS1_22reduce_config_selectorIN6thrust23THRUST_200600_302600_NS5tupleIblNS6_9null_typeES8_S8_S8_S8_S8_S8_S8_EEEEZNS1_11reduce_implILb1ES3_NS6_12zip_iteratorINS7_INS6_11hip_rocprim26transform_input_iterator_tIbNSD_35transform_pair_of_input_iterators_tIbNS6_6detail15normal_iteratorINS6_10device_ptrIKjEEEESL_NS6_8equal_toIjEEEENSG_9not_fun_tINSD_8identityEEEEENSD_19counting_iterator_tIlEES8_S8_S8_S8_S8_S8_S8_S8_EEEEPS9_S9_NSD_9__find_if7functorIS9_EEEE10hipError_tPvRmT1_T2_T3_mT4_P12ihipStream_tbEUlT_E0_NS1_11comp_targetILNS1_3genE10ELNS1_11target_archE1201ELNS1_3gpuE5ELNS1_3repE0EEENS1_30default_config_static_selectorELNS0_4arch9wavefront6targetE1EEEvS14_,"axG",@progbits,_ZN7rocprim17ROCPRIM_400000_NS6detail17trampoline_kernelINS0_14default_configENS1_22reduce_config_selectorIN6thrust23THRUST_200600_302600_NS5tupleIblNS6_9null_typeES8_S8_S8_S8_S8_S8_S8_EEEEZNS1_11reduce_implILb1ES3_NS6_12zip_iteratorINS7_INS6_11hip_rocprim26transform_input_iterator_tIbNSD_35transform_pair_of_input_iterators_tIbNS6_6detail15normal_iteratorINS6_10device_ptrIKjEEEESL_NS6_8equal_toIjEEEENSG_9not_fun_tINSD_8identityEEEEENSD_19counting_iterator_tIlEES8_S8_S8_S8_S8_S8_S8_S8_EEEEPS9_S9_NSD_9__find_if7functorIS9_EEEE10hipError_tPvRmT1_T2_T3_mT4_P12ihipStream_tbEUlT_E0_NS1_11comp_targetILNS1_3genE10ELNS1_11target_archE1201ELNS1_3gpuE5ELNS1_3repE0EEENS1_30default_config_static_selectorELNS0_4arch9wavefront6targetE1EEEvS14_,comdat
.Lfunc_end810:
	.size	_ZN7rocprim17ROCPRIM_400000_NS6detail17trampoline_kernelINS0_14default_configENS1_22reduce_config_selectorIN6thrust23THRUST_200600_302600_NS5tupleIblNS6_9null_typeES8_S8_S8_S8_S8_S8_S8_EEEEZNS1_11reduce_implILb1ES3_NS6_12zip_iteratorINS7_INS6_11hip_rocprim26transform_input_iterator_tIbNSD_35transform_pair_of_input_iterators_tIbNS6_6detail15normal_iteratorINS6_10device_ptrIKjEEEESL_NS6_8equal_toIjEEEENSG_9not_fun_tINSD_8identityEEEEENSD_19counting_iterator_tIlEES8_S8_S8_S8_S8_S8_S8_S8_EEEEPS9_S9_NSD_9__find_if7functorIS9_EEEE10hipError_tPvRmT1_T2_T3_mT4_P12ihipStream_tbEUlT_E0_NS1_11comp_targetILNS1_3genE10ELNS1_11target_archE1201ELNS1_3gpuE5ELNS1_3repE0EEENS1_30default_config_static_selectorELNS0_4arch9wavefront6targetE1EEEvS14_, .Lfunc_end810-_ZN7rocprim17ROCPRIM_400000_NS6detail17trampoline_kernelINS0_14default_configENS1_22reduce_config_selectorIN6thrust23THRUST_200600_302600_NS5tupleIblNS6_9null_typeES8_S8_S8_S8_S8_S8_S8_EEEEZNS1_11reduce_implILb1ES3_NS6_12zip_iteratorINS7_INS6_11hip_rocprim26transform_input_iterator_tIbNSD_35transform_pair_of_input_iterators_tIbNS6_6detail15normal_iteratorINS6_10device_ptrIKjEEEESL_NS6_8equal_toIjEEEENSG_9not_fun_tINSD_8identityEEEEENSD_19counting_iterator_tIlEES8_S8_S8_S8_S8_S8_S8_S8_EEEEPS9_S9_NSD_9__find_if7functorIS9_EEEE10hipError_tPvRmT1_T2_T3_mT4_P12ihipStream_tbEUlT_E0_NS1_11comp_targetILNS1_3genE10ELNS1_11target_archE1201ELNS1_3gpuE5ELNS1_3repE0EEENS1_30default_config_static_selectorELNS0_4arch9wavefront6targetE1EEEvS14_
                                        ; -- End function
	.set _ZN7rocprim17ROCPRIM_400000_NS6detail17trampoline_kernelINS0_14default_configENS1_22reduce_config_selectorIN6thrust23THRUST_200600_302600_NS5tupleIblNS6_9null_typeES8_S8_S8_S8_S8_S8_S8_EEEEZNS1_11reduce_implILb1ES3_NS6_12zip_iteratorINS7_INS6_11hip_rocprim26transform_input_iterator_tIbNSD_35transform_pair_of_input_iterators_tIbNS6_6detail15normal_iteratorINS6_10device_ptrIKjEEEESL_NS6_8equal_toIjEEEENSG_9not_fun_tINSD_8identityEEEEENSD_19counting_iterator_tIlEES8_S8_S8_S8_S8_S8_S8_S8_EEEEPS9_S9_NSD_9__find_if7functorIS9_EEEE10hipError_tPvRmT1_T2_T3_mT4_P12ihipStream_tbEUlT_E0_NS1_11comp_targetILNS1_3genE10ELNS1_11target_archE1201ELNS1_3gpuE5ELNS1_3repE0EEENS1_30default_config_static_selectorELNS0_4arch9wavefront6targetE1EEEvS14_.num_vgpr, 0
	.set _ZN7rocprim17ROCPRIM_400000_NS6detail17trampoline_kernelINS0_14default_configENS1_22reduce_config_selectorIN6thrust23THRUST_200600_302600_NS5tupleIblNS6_9null_typeES8_S8_S8_S8_S8_S8_S8_EEEEZNS1_11reduce_implILb1ES3_NS6_12zip_iteratorINS7_INS6_11hip_rocprim26transform_input_iterator_tIbNSD_35transform_pair_of_input_iterators_tIbNS6_6detail15normal_iteratorINS6_10device_ptrIKjEEEESL_NS6_8equal_toIjEEEENSG_9not_fun_tINSD_8identityEEEEENSD_19counting_iterator_tIlEES8_S8_S8_S8_S8_S8_S8_S8_EEEEPS9_S9_NSD_9__find_if7functorIS9_EEEE10hipError_tPvRmT1_T2_T3_mT4_P12ihipStream_tbEUlT_E0_NS1_11comp_targetILNS1_3genE10ELNS1_11target_archE1201ELNS1_3gpuE5ELNS1_3repE0EEENS1_30default_config_static_selectorELNS0_4arch9wavefront6targetE1EEEvS14_.num_agpr, 0
	.set _ZN7rocprim17ROCPRIM_400000_NS6detail17trampoline_kernelINS0_14default_configENS1_22reduce_config_selectorIN6thrust23THRUST_200600_302600_NS5tupleIblNS6_9null_typeES8_S8_S8_S8_S8_S8_S8_EEEEZNS1_11reduce_implILb1ES3_NS6_12zip_iteratorINS7_INS6_11hip_rocprim26transform_input_iterator_tIbNSD_35transform_pair_of_input_iterators_tIbNS6_6detail15normal_iteratorINS6_10device_ptrIKjEEEESL_NS6_8equal_toIjEEEENSG_9not_fun_tINSD_8identityEEEEENSD_19counting_iterator_tIlEES8_S8_S8_S8_S8_S8_S8_S8_EEEEPS9_S9_NSD_9__find_if7functorIS9_EEEE10hipError_tPvRmT1_T2_T3_mT4_P12ihipStream_tbEUlT_E0_NS1_11comp_targetILNS1_3genE10ELNS1_11target_archE1201ELNS1_3gpuE5ELNS1_3repE0EEENS1_30default_config_static_selectorELNS0_4arch9wavefront6targetE1EEEvS14_.numbered_sgpr, 0
	.set _ZN7rocprim17ROCPRIM_400000_NS6detail17trampoline_kernelINS0_14default_configENS1_22reduce_config_selectorIN6thrust23THRUST_200600_302600_NS5tupleIblNS6_9null_typeES8_S8_S8_S8_S8_S8_S8_EEEEZNS1_11reduce_implILb1ES3_NS6_12zip_iteratorINS7_INS6_11hip_rocprim26transform_input_iterator_tIbNSD_35transform_pair_of_input_iterators_tIbNS6_6detail15normal_iteratorINS6_10device_ptrIKjEEEESL_NS6_8equal_toIjEEEENSG_9not_fun_tINSD_8identityEEEEENSD_19counting_iterator_tIlEES8_S8_S8_S8_S8_S8_S8_S8_EEEEPS9_S9_NSD_9__find_if7functorIS9_EEEE10hipError_tPvRmT1_T2_T3_mT4_P12ihipStream_tbEUlT_E0_NS1_11comp_targetILNS1_3genE10ELNS1_11target_archE1201ELNS1_3gpuE5ELNS1_3repE0EEENS1_30default_config_static_selectorELNS0_4arch9wavefront6targetE1EEEvS14_.num_named_barrier, 0
	.set _ZN7rocprim17ROCPRIM_400000_NS6detail17trampoline_kernelINS0_14default_configENS1_22reduce_config_selectorIN6thrust23THRUST_200600_302600_NS5tupleIblNS6_9null_typeES8_S8_S8_S8_S8_S8_S8_EEEEZNS1_11reduce_implILb1ES3_NS6_12zip_iteratorINS7_INS6_11hip_rocprim26transform_input_iterator_tIbNSD_35transform_pair_of_input_iterators_tIbNS6_6detail15normal_iteratorINS6_10device_ptrIKjEEEESL_NS6_8equal_toIjEEEENSG_9not_fun_tINSD_8identityEEEEENSD_19counting_iterator_tIlEES8_S8_S8_S8_S8_S8_S8_S8_EEEEPS9_S9_NSD_9__find_if7functorIS9_EEEE10hipError_tPvRmT1_T2_T3_mT4_P12ihipStream_tbEUlT_E0_NS1_11comp_targetILNS1_3genE10ELNS1_11target_archE1201ELNS1_3gpuE5ELNS1_3repE0EEENS1_30default_config_static_selectorELNS0_4arch9wavefront6targetE1EEEvS14_.private_seg_size, 0
	.set _ZN7rocprim17ROCPRIM_400000_NS6detail17trampoline_kernelINS0_14default_configENS1_22reduce_config_selectorIN6thrust23THRUST_200600_302600_NS5tupleIblNS6_9null_typeES8_S8_S8_S8_S8_S8_S8_EEEEZNS1_11reduce_implILb1ES3_NS6_12zip_iteratorINS7_INS6_11hip_rocprim26transform_input_iterator_tIbNSD_35transform_pair_of_input_iterators_tIbNS6_6detail15normal_iteratorINS6_10device_ptrIKjEEEESL_NS6_8equal_toIjEEEENSG_9not_fun_tINSD_8identityEEEEENSD_19counting_iterator_tIlEES8_S8_S8_S8_S8_S8_S8_S8_EEEEPS9_S9_NSD_9__find_if7functorIS9_EEEE10hipError_tPvRmT1_T2_T3_mT4_P12ihipStream_tbEUlT_E0_NS1_11comp_targetILNS1_3genE10ELNS1_11target_archE1201ELNS1_3gpuE5ELNS1_3repE0EEENS1_30default_config_static_selectorELNS0_4arch9wavefront6targetE1EEEvS14_.uses_vcc, 0
	.set _ZN7rocprim17ROCPRIM_400000_NS6detail17trampoline_kernelINS0_14default_configENS1_22reduce_config_selectorIN6thrust23THRUST_200600_302600_NS5tupleIblNS6_9null_typeES8_S8_S8_S8_S8_S8_S8_EEEEZNS1_11reduce_implILb1ES3_NS6_12zip_iteratorINS7_INS6_11hip_rocprim26transform_input_iterator_tIbNSD_35transform_pair_of_input_iterators_tIbNS6_6detail15normal_iteratorINS6_10device_ptrIKjEEEESL_NS6_8equal_toIjEEEENSG_9not_fun_tINSD_8identityEEEEENSD_19counting_iterator_tIlEES8_S8_S8_S8_S8_S8_S8_S8_EEEEPS9_S9_NSD_9__find_if7functorIS9_EEEE10hipError_tPvRmT1_T2_T3_mT4_P12ihipStream_tbEUlT_E0_NS1_11comp_targetILNS1_3genE10ELNS1_11target_archE1201ELNS1_3gpuE5ELNS1_3repE0EEENS1_30default_config_static_selectorELNS0_4arch9wavefront6targetE1EEEvS14_.uses_flat_scratch, 0
	.set _ZN7rocprim17ROCPRIM_400000_NS6detail17trampoline_kernelINS0_14default_configENS1_22reduce_config_selectorIN6thrust23THRUST_200600_302600_NS5tupleIblNS6_9null_typeES8_S8_S8_S8_S8_S8_S8_EEEEZNS1_11reduce_implILb1ES3_NS6_12zip_iteratorINS7_INS6_11hip_rocprim26transform_input_iterator_tIbNSD_35transform_pair_of_input_iterators_tIbNS6_6detail15normal_iteratorINS6_10device_ptrIKjEEEESL_NS6_8equal_toIjEEEENSG_9not_fun_tINSD_8identityEEEEENSD_19counting_iterator_tIlEES8_S8_S8_S8_S8_S8_S8_S8_EEEEPS9_S9_NSD_9__find_if7functorIS9_EEEE10hipError_tPvRmT1_T2_T3_mT4_P12ihipStream_tbEUlT_E0_NS1_11comp_targetILNS1_3genE10ELNS1_11target_archE1201ELNS1_3gpuE5ELNS1_3repE0EEENS1_30default_config_static_selectorELNS0_4arch9wavefront6targetE1EEEvS14_.has_dyn_sized_stack, 0
	.set _ZN7rocprim17ROCPRIM_400000_NS6detail17trampoline_kernelINS0_14default_configENS1_22reduce_config_selectorIN6thrust23THRUST_200600_302600_NS5tupleIblNS6_9null_typeES8_S8_S8_S8_S8_S8_S8_EEEEZNS1_11reduce_implILb1ES3_NS6_12zip_iteratorINS7_INS6_11hip_rocprim26transform_input_iterator_tIbNSD_35transform_pair_of_input_iterators_tIbNS6_6detail15normal_iteratorINS6_10device_ptrIKjEEEESL_NS6_8equal_toIjEEEENSG_9not_fun_tINSD_8identityEEEEENSD_19counting_iterator_tIlEES8_S8_S8_S8_S8_S8_S8_S8_EEEEPS9_S9_NSD_9__find_if7functorIS9_EEEE10hipError_tPvRmT1_T2_T3_mT4_P12ihipStream_tbEUlT_E0_NS1_11comp_targetILNS1_3genE10ELNS1_11target_archE1201ELNS1_3gpuE5ELNS1_3repE0EEENS1_30default_config_static_selectorELNS0_4arch9wavefront6targetE1EEEvS14_.has_recursion, 0
	.set _ZN7rocprim17ROCPRIM_400000_NS6detail17trampoline_kernelINS0_14default_configENS1_22reduce_config_selectorIN6thrust23THRUST_200600_302600_NS5tupleIblNS6_9null_typeES8_S8_S8_S8_S8_S8_S8_EEEEZNS1_11reduce_implILb1ES3_NS6_12zip_iteratorINS7_INS6_11hip_rocprim26transform_input_iterator_tIbNSD_35transform_pair_of_input_iterators_tIbNS6_6detail15normal_iteratorINS6_10device_ptrIKjEEEESL_NS6_8equal_toIjEEEENSG_9not_fun_tINSD_8identityEEEEENSD_19counting_iterator_tIlEES8_S8_S8_S8_S8_S8_S8_S8_EEEEPS9_S9_NSD_9__find_if7functorIS9_EEEE10hipError_tPvRmT1_T2_T3_mT4_P12ihipStream_tbEUlT_E0_NS1_11comp_targetILNS1_3genE10ELNS1_11target_archE1201ELNS1_3gpuE5ELNS1_3repE0EEENS1_30default_config_static_selectorELNS0_4arch9wavefront6targetE1EEEvS14_.has_indirect_call, 0
	.section	.AMDGPU.csdata,"",@progbits
; Kernel info:
; codeLenInByte = 0
; TotalNumSgprs: 6
; NumVgprs: 0
; NumAgprs: 0
; TotalNumVgprs: 0
; ScratchSize: 0
; MemoryBound: 0
; FloatMode: 240
; IeeeMode: 1
; LDSByteSize: 0 bytes/workgroup (compile time only)
; SGPRBlocks: 0
; VGPRBlocks: 0
; NumSGPRsForWavesPerEU: 6
; NumVGPRsForWavesPerEU: 1
; AccumOffset: 4
; Occupancy: 8
; WaveLimiterHint : 0
; COMPUTE_PGM_RSRC2:SCRATCH_EN: 0
; COMPUTE_PGM_RSRC2:USER_SGPR: 2
; COMPUTE_PGM_RSRC2:TRAP_HANDLER: 0
; COMPUTE_PGM_RSRC2:TGID_X_EN: 1
; COMPUTE_PGM_RSRC2:TGID_Y_EN: 0
; COMPUTE_PGM_RSRC2:TGID_Z_EN: 0
; COMPUTE_PGM_RSRC2:TIDIG_COMP_CNT: 0
; COMPUTE_PGM_RSRC3_GFX90A:ACCUM_OFFSET: 0
; COMPUTE_PGM_RSRC3_GFX90A:TG_SPLIT: 0
	.section	.text._ZN7rocprim17ROCPRIM_400000_NS6detail17trampoline_kernelINS0_14default_configENS1_22reduce_config_selectorIN6thrust23THRUST_200600_302600_NS5tupleIblNS6_9null_typeES8_S8_S8_S8_S8_S8_S8_EEEEZNS1_11reduce_implILb1ES3_NS6_12zip_iteratorINS7_INS6_11hip_rocprim26transform_input_iterator_tIbNSD_35transform_pair_of_input_iterators_tIbNS6_6detail15normal_iteratorINS6_10device_ptrIKjEEEESL_NS6_8equal_toIjEEEENSG_9not_fun_tINSD_8identityEEEEENSD_19counting_iterator_tIlEES8_S8_S8_S8_S8_S8_S8_S8_EEEEPS9_S9_NSD_9__find_if7functorIS9_EEEE10hipError_tPvRmT1_T2_T3_mT4_P12ihipStream_tbEUlT_E0_NS1_11comp_targetILNS1_3genE10ELNS1_11target_archE1200ELNS1_3gpuE4ELNS1_3repE0EEENS1_30default_config_static_selectorELNS0_4arch9wavefront6targetE1EEEvS14_,"axG",@progbits,_ZN7rocprim17ROCPRIM_400000_NS6detail17trampoline_kernelINS0_14default_configENS1_22reduce_config_selectorIN6thrust23THRUST_200600_302600_NS5tupleIblNS6_9null_typeES8_S8_S8_S8_S8_S8_S8_EEEEZNS1_11reduce_implILb1ES3_NS6_12zip_iteratorINS7_INS6_11hip_rocprim26transform_input_iterator_tIbNSD_35transform_pair_of_input_iterators_tIbNS6_6detail15normal_iteratorINS6_10device_ptrIKjEEEESL_NS6_8equal_toIjEEEENSG_9not_fun_tINSD_8identityEEEEENSD_19counting_iterator_tIlEES8_S8_S8_S8_S8_S8_S8_S8_EEEEPS9_S9_NSD_9__find_if7functorIS9_EEEE10hipError_tPvRmT1_T2_T3_mT4_P12ihipStream_tbEUlT_E0_NS1_11comp_targetILNS1_3genE10ELNS1_11target_archE1200ELNS1_3gpuE4ELNS1_3repE0EEENS1_30default_config_static_selectorELNS0_4arch9wavefront6targetE1EEEvS14_,comdat
	.protected	_ZN7rocprim17ROCPRIM_400000_NS6detail17trampoline_kernelINS0_14default_configENS1_22reduce_config_selectorIN6thrust23THRUST_200600_302600_NS5tupleIblNS6_9null_typeES8_S8_S8_S8_S8_S8_S8_EEEEZNS1_11reduce_implILb1ES3_NS6_12zip_iteratorINS7_INS6_11hip_rocprim26transform_input_iterator_tIbNSD_35transform_pair_of_input_iterators_tIbNS6_6detail15normal_iteratorINS6_10device_ptrIKjEEEESL_NS6_8equal_toIjEEEENSG_9not_fun_tINSD_8identityEEEEENSD_19counting_iterator_tIlEES8_S8_S8_S8_S8_S8_S8_S8_EEEEPS9_S9_NSD_9__find_if7functorIS9_EEEE10hipError_tPvRmT1_T2_T3_mT4_P12ihipStream_tbEUlT_E0_NS1_11comp_targetILNS1_3genE10ELNS1_11target_archE1200ELNS1_3gpuE4ELNS1_3repE0EEENS1_30default_config_static_selectorELNS0_4arch9wavefront6targetE1EEEvS14_ ; -- Begin function _ZN7rocprim17ROCPRIM_400000_NS6detail17trampoline_kernelINS0_14default_configENS1_22reduce_config_selectorIN6thrust23THRUST_200600_302600_NS5tupleIblNS6_9null_typeES8_S8_S8_S8_S8_S8_S8_EEEEZNS1_11reduce_implILb1ES3_NS6_12zip_iteratorINS7_INS6_11hip_rocprim26transform_input_iterator_tIbNSD_35transform_pair_of_input_iterators_tIbNS6_6detail15normal_iteratorINS6_10device_ptrIKjEEEESL_NS6_8equal_toIjEEEENSG_9not_fun_tINSD_8identityEEEEENSD_19counting_iterator_tIlEES8_S8_S8_S8_S8_S8_S8_S8_EEEEPS9_S9_NSD_9__find_if7functorIS9_EEEE10hipError_tPvRmT1_T2_T3_mT4_P12ihipStream_tbEUlT_E0_NS1_11comp_targetILNS1_3genE10ELNS1_11target_archE1200ELNS1_3gpuE4ELNS1_3repE0EEENS1_30default_config_static_selectorELNS0_4arch9wavefront6targetE1EEEvS14_
	.globl	_ZN7rocprim17ROCPRIM_400000_NS6detail17trampoline_kernelINS0_14default_configENS1_22reduce_config_selectorIN6thrust23THRUST_200600_302600_NS5tupleIblNS6_9null_typeES8_S8_S8_S8_S8_S8_S8_EEEEZNS1_11reduce_implILb1ES3_NS6_12zip_iteratorINS7_INS6_11hip_rocprim26transform_input_iterator_tIbNSD_35transform_pair_of_input_iterators_tIbNS6_6detail15normal_iteratorINS6_10device_ptrIKjEEEESL_NS6_8equal_toIjEEEENSG_9not_fun_tINSD_8identityEEEEENSD_19counting_iterator_tIlEES8_S8_S8_S8_S8_S8_S8_S8_EEEEPS9_S9_NSD_9__find_if7functorIS9_EEEE10hipError_tPvRmT1_T2_T3_mT4_P12ihipStream_tbEUlT_E0_NS1_11comp_targetILNS1_3genE10ELNS1_11target_archE1200ELNS1_3gpuE4ELNS1_3repE0EEENS1_30default_config_static_selectorELNS0_4arch9wavefront6targetE1EEEvS14_
	.p2align	8
	.type	_ZN7rocprim17ROCPRIM_400000_NS6detail17trampoline_kernelINS0_14default_configENS1_22reduce_config_selectorIN6thrust23THRUST_200600_302600_NS5tupleIblNS6_9null_typeES8_S8_S8_S8_S8_S8_S8_EEEEZNS1_11reduce_implILb1ES3_NS6_12zip_iteratorINS7_INS6_11hip_rocprim26transform_input_iterator_tIbNSD_35transform_pair_of_input_iterators_tIbNS6_6detail15normal_iteratorINS6_10device_ptrIKjEEEESL_NS6_8equal_toIjEEEENSG_9not_fun_tINSD_8identityEEEEENSD_19counting_iterator_tIlEES8_S8_S8_S8_S8_S8_S8_S8_EEEEPS9_S9_NSD_9__find_if7functorIS9_EEEE10hipError_tPvRmT1_T2_T3_mT4_P12ihipStream_tbEUlT_E0_NS1_11comp_targetILNS1_3genE10ELNS1_11target_archE1200ELNS1_3gpuE4ELNS1_3repE0EEENS1_30default_config_static_selectorELNS0_4arch9wavefront6targetE1EEEvS14_,@function
_ZN7rocprim17ROCPRIM_400000_NS6detail17trampoline_kernelINS0_14default_configENS1_22reduce_config_selectorIN6thrust23THRUST_200600_302600_NS5tupleIblNS6_9null_typeES8_S8_S8_S8_S8_S8_S8_EEEEZNS1_11reduce_implILb1ES3_NS6_12zip_iteratorINS7_INS6_11hip_rocprim26transform_input_iterator_tIbNSD_35transform_pair_of_input_iterators_tIbNS6_6detail15normal_iteratorINS6_10device_ptrIKjEEEESL_NS6_8equal_toIjEEEENSG_9not_fun_tINSD_8identityEEEEENSD_19counting_iterator_tIlEES8_S8_S8_S8_S8_S8_S8_S8_EEEEPS9_S9_NSD_9__find_if7functorIS9_EEEE10hipError_tPvRmT1_T2_T3_mT4_P12ihipStream_tbEUlT_E0_NS1_11comp_targetILNS1_3genE10ELNS1_11target_archE1200ELNS1_3gpuE4ELNS1_3repE0EEENS1_30default_config_static_selectorELNS0_4arch9wavefront6targetE1EEEvS14_: ; @_ZN7rocprim17ROCPRIM_400000_NS6detail17trampoline_kernelINS0_14default_configENS1_22reduce_config_selectorIN6thrust23THRUST_200600_302600_NS5tupleIblNS6_9null_typeES8_S8_S8_S8_S8_S8_S8_EEEEZNS1_11reduce_implILb1ES3_NS6_12zip_iteratorINS7_INS6_11hip_rocprim26transform_input_iterator_tIbNSD_35transform_pair_of_input_iterators_tIbNS6_6detail15normal_iteratorINS6_10device_ptrIKjEEEESL_NS6_8equal_toIjEEEENSG_9not_fun_tINSD_8identityEEEEENSD_19counting_iterator_tIlEES8_S8_S8_S8_S8_S8_S8_S8_EEEEPS9_S9_NSD_9__find_if7functorIS9_EEEE10hipError_tPvRmT1_T2_T3_mT4_P12ihipStream_tbEUlT_E0_NS1_11comp_targetILNS1_3genE10ELNS1_11target_archE1200ELNS1_3gpuE4ELNS1_3repE0EEENS1_30default_config_static_selectorELNS0_4arch9wavefront6targetE1EEEvS14_
; %bb.0:
	.section	.rodata,"a",@progbits
	.p2align	6, 0x0
	.amdhsa_kernel _ZN7rocprim17ROCPRIM_400000_NS6detail17trampoline_kernelINS0_14default_configENS1_22reduce_config_selectorIN6thrust23THRUST_200600_302600_NS5tupleIblNS6_9null_typeES8_S8_S8_S8_S8_S8_S8_EEEEZNS1_11reduce_implILb1ES3_NS6_12zip_iteratorINS7_INS6_11hip_rocprim26transform_input_iterator_tIbNSD_35transform_pair_of_input_iterators_tIbNS6_6detail15normal_iteratorINS6_10device_ptrIKjEEEESL_NS6_8equal_toIjEEEENSG_9not_fun_tINSD_8identityEEEEENSD_19counting_iterator_tIlEES8_S8_S8_S8_S8_S8_S8_S8_EEEEPS9_S9_NSD_9__find_if7functorIS9_EEEE10hipError_tPvRmT1_T2_T3_mT4_P12ihipStream_tbEUlT_E0_NS1_11comp_targetILNS1_3genE10ELNS1_11target_archE1200ELNS1_3gpuE4ELNS1_3repE0EEENS1_30default_config_static_selectorELNS0_4arch9wavefront6targetE1EEEvS14_
		.amdhsa_group_segment_fixed_size 0
		.amdhsa_private_segment_fixed_size 0
		.amdhsa_kernarg_size 104
		.amdhsa_user_sgpr_count 2
		.amdhsa_user_sgpr_dispatch_ptr 0
		.amdhsa_user_sgpr_queue_ptr 0
		.amdhsa_user_sgpr_kernarg_segment_ptr 1
		.amdhsa_user_sgpr_dispatch_id 0
		.amdhsa_user_sgpr_kernarg_preload_length 0
		.amdhsa_user_sgpr_kernarg_preload_offset 0
		.amdhsa_user_sgpr_private_segment_size 0
		.amdhsa_uses_dynamic_stack 0
		.amdhsa_enable_private_segment 0
		.amdhsa_system_sgpr_workgroup_id_x 1
		.amdhsa_system_sgpr_workgroup_id_y 0
		.amdhsa_system_sgpr_workgroup_id_z 0
		.amdhsa_system_sgpr_workgroup_info 0
		.amdhsa_system_vgpr_workitem_id 0
		.amdhsa_next_free_vgpr 1
		.amdhsa_next_free_sgpr 0
		.amdhsa_accum_offset 4
		.amdhsa_reserve_vcc 0
		.amdhsa_float_round_mode_32 0
		.amdhsa_float_round_mode_16_64 0
		.amdhsa_float_denorm_mode_32 3
		.amdhsa_float_denorm_mode_16_64 3
		.amdhsa_dx10_clamp 1
		.amdhsa_ieee_mode 1
		.amdhsa_fp16_overflow 0
		.amdhsa_tg_split 0
		.amdhsa_exception_fp_ieee_invalid_op 0
		.amdhsa_exception_fp_denorm_src 0
		.amdhsa_exception_fp_ieee_div_zero 0
		.amdhsa_exception_fp_ieee_overflow 0
		.amdhsa_exception_fp_ieee_underflow 0
		.amdhsa_exception_fp_ieee_inexact 0
		.amdhsa_exception_int_div_zero 0
	.end_amdhsa_kernel
	.section	.text._ZN7rocprim17ROCPRIM_400000_NS6detail17trampoline_kernelINS0_14default_configENS1_22reduce_config_selectorIN6thrust23THRUST_200600_302600_NS5tupleIblNS6_9null_typeES8_S8_S8_S8_S8_S8_S8_EEEEZNS1_11reduce_implILb1ES3_NS6_12zip_iteratorINS7_INS6_11hip_rocprim26transform_input_iterator_tIbNSD_35transform_pair_of_input_iterators_tIbNS6_6detail15normal_iteratorINS6_10device_ptrIKjEEEESL_NS6_8equal_toIjEEEENSG_9not_fun_tINSD_8identityEEEEENSD_19counting_iterator_tIlEES8_S8_S8_S8_S8_S8_S8_S8_EEEEPS9_S9_NSD_9__find_if7functorIS9_EEEE10hipError_tPvRmT1_T2_T3_mT4_P12ihipStream_tbEUlT_E0_NS1_11comp_targetILNS1_3genE10ELNS1_11target_archE1200ELNS1_3gpuE4ELNS1_3repE0EEENS1_30default_config_static_selectorELNS0_4arch9wavefront6targetE1EEEvS14_,"axG",@progbits,_ZN7rocprim17ROCPRIM_400000_NS6detail17trampoline_kernelINS0_14default_configENS1_22reduce_config_selectorIN6thrust23THRUST_200600_302600_NS5tupleIblNS6_9null_typeES8_S8_S8_S8_S8_S8_S8_EEEEZNS1_11reduce_implILb1ES3_NS6_12zip_iteratorINS7_INS6_11hip_rocprim26transform_input_iterator_tIbNSD_35transform_pair_of_input_iterators_tIbNS6_6detail15normal_iteratorINS6_10device_ptrIKjEEEESL_NS6_8equal_toIjEEEENSG_9not_fun_tINSD_8identityEEEEENSD_19counting_iterator_tIlEES8_S8_S8_S8_S8_S8_S8_S8_EEEEPS9_S9_NSD_9__find_if7functorIS9_EEEE10hipError_tPvRmT1_T2_T3_mT4_P12ihipStream_tbEUlT_E0_NS1_11comp_targetILNS1_3genE10ELNS1_11target_archE1200ELNS1_3gpuE4ELNS1_3repE0EEENS1_30default_config_static_selectorELNS0_4arch9wavefront6targetE1EEEvS14_,comdat
.Lfunc_end811:
	.size	_ZN7rocprim17ROCPRIM_400000_NS6detail17trampoline_kernelINS0_14default_configENS1_22reduce_config_selectorIN6thrust23THRUST_200600_302600_NS5tupleIblNS6_9null_typeES8_S8_S8_S8_S8_S8_S8_EEEEZNS1_11reduce_implILb1ES3_NS6_12zip_iteratorINS7_INS6_11hip_rocprim26transform_input_iterator_tIbNSD_35transform_pair_of_input_iterators_tIbNS6_6detail15normal_iteratorINS6_10device_ptrIKjEEEESL_NS6_8equal_toIjEEEENSG_9not_fun_tINSD_8identityEEEEENSD_19counting_iterator_tIlEES8_S8_S8_S8_S8_S8_S8_S8_EEEEPS9_S9_NSD_9__find_if7functorIS9_EEEE10hipError_tPvRmT1_T2_T3_mT4_P12ihipStream_tbEUlT_E0_NS1_11comp_targetILNS1_3genE10ELNS1_11target_archE1200ELNS1_3gpuE4ELNS1_3repE0EEENS1_30default_config_static_selectorELNS0_4arch9wavefront6targetE1EEEvS14_, .Lfunc_end811-_ZN7rocprim17ROCPRIM_400000_NS6detail17trampoline_kernelINS0_14default_configENS1_22reduce_config_selectorIN6thrust23THRUST_200600_302600_NS5tupleIblNS6_9null_typeES8_S8_S8_S8_S8_S8_S8_EEEEZNS1_11reduce_implILb1ES3_NS6_12zip_iteratorINS7_INS6_11hip_rocprim26transform_input_iterator_tIbNSD_35transform_pair_of_input_iterators_tIbNS6_6detail15normal_iteratorINS6_10device_ptrIKjEEEESL_NS6_8equal_toIjEEEENSG_9not_fun_tINSD_8identityEEEEENSD_19counting_iterator_tIlEES8_S8_S8_S8_S8_S8_S8_S8_EEEEPS9_S9_NSD_9__find_if7functorIS9_EEEE10hipError_tPvRmT1_T2_T3_mT4_P12ihipStream_tbEUlT_E0_NS1_11comp_targetILNS1_3genE10ELNS1_11target_archE1200ELNS1_3gpuE4ELNS1_3repE0EEENS1_30default_config_static_selectorELNS0_4arch9wavefront6targetE1EEEvS14_
                                        ; -- End function
	.set _ZN7rocprim17ROCPRIM_400000_NS6detail17trampoline_kernelINS0_14default_configENS1_22reduce_config_selectorIN6thrust23THRUST_200600_302600_NS5tupleIblNS6_9null_typeES8_S8_S8_S8_S8_S8_S8_EEEEZNS1_11reduce_implILb1ES3_NS6_12zip_iteratorINS7_INS6_11hip_rocprim26transform_input_iterator_tIbNSD_35transform_pair_of_input_iterators_tIbNS6_6detail15normal_iteratorINS6_10device_ptrIKjEEEESL_NS6_8equal_toIjEEEENSG_9not_fun_tINSD_8identityEEEEENSD_19counting_iterator_tIlEES8_S8_S8_S8_S8_S8_S8_S8_EEEEPS9_S9_NSD_9__find_if7functorIS9_EEEE10hipError_tPvRmT1_T2_T3_mT4_P12ihipStream_tbEUlT_E0_NS1_11comp_targetILNS1_3genE10ELNS1_11target_archE1200ELNS1_3gpuE4ELNS1_3repE0EEENS1_30default_config_static_selectorELNS0_4arch9wavefront6targetE1EEEvS14_.num_vgpr, 0
	.set _ZN7rocprim17ROCPRIM_400000_NS6detail17trampoline_kernelINS0_14default_configENS1_22reduce_config_selectorIN6thrust23THRUST_200600_302600_NS5tupleIblNS6_9null_typeES8_S8_S8_S8_S8_S8_S8_EEEEZNS1_11reduce_implILb1ES3_NS6_12zip_iteratorINS7_INS6_11hip_rocprim26transform_input_iterator_tIbNSD_35transform_pair_of_input_iterators_tIbNS6_6detail15normal_iteratorINS6_10device_ptrIKjEEEESL_NS6_8equal_toIjEEEENSG_9not_fun_tINSD_8identityEEEEENSD_19counting_iterator_tIlEES8_S8_S8_S8_S8_S8_S8_S8_EEEEPS9_S9_NSD_9__find_if7functorIS9_EEEE10hipError_tPvRmT1_T2_T3_mT4_P12ihipStream_tbEUlT_E0_NS1_11comp_targetILNS1_3genE10ELNS1_11target_archE1200ELNS1_3gpuE4ELNS1_3repE0EEENS1_30default_config_static_selectorELNS0_4arch9wavefront6targetE1EEEvS14_.num_agpr, 0
	.set _ZN7rocprim17ROCPRIM_400000_NS6detail17trampoline_kernelINS0_14default_configENS1_22reduce_config_selectorIN6thrust23THRUST_200600_302600_NS5tupleIblNS6_9null_typeES8_S8_S8_S8_S8_S8_S8_EEEEZNS1_11reduce_implILb1ES3_NS6_12zip_iteratorINS7_INS6_11hip_rocprim26transform_input_iterator_tIbNSD_35transform_pair_of_input_iterators_tIbNS6_6detail15normal_iteratorINS6_10device_ptrIKjEEEESL_NS6_8equal_toIjEEEENSG_9not_fun_tINSD_8identityEEEEENSD_19counting_iterator_tIlEES8_S8_S8_S8_S8_S8_S8_S8_EEEEPS9_S9_NSD_9__find_if7functorIS9_EEEE10hipError_tPvRmT1_T2_T3_mT4_P12ihipStream_tbEUlT_E0_NS1_11comp_targetILNS1_3genE10ELNS1_11target_archE1200ELNS1_3gpuE4ELNS1_3repE0EEENS1_30default_config_static_selectorELNS0_4arch9wavefront6targetE1EEEvS14_.numbered_sgpr, 0
	.set _ZN7rocprim17ROCPRIM_400000_NS6detail17trampoline_kernelINS0_14default_configENS1_22reduce_config_selectorIN6thrust23THRUST_200600_302600_NS5tupleIblNS6_9null_typeES8_S8_S8_S8_S8_S8_S8_EEEEZNS1_11reduce_implILb1ES3_NS6_12zip_iteratorINS7_INS6_11hip_rocprim26transform_input_iterator_tIbNSD_35transform_pair_of_input_iterators_tIbNS6_6detail15normal_iteratorINS6_10device_ptrIKjEEEESL_NS6_8equal_toIjEEEENSG_9not_fun_tINSD_8identityEEEEENSD_19counting_iterator_tIlEES8_S8_S8_S8_S8_S8_S8_S8_EEEEPS9_S9_NSD_9__find_if7functorIS9_EEEE10hipError_tPvRmT1_T2_T3_mT4_P12ihipStream_tbEUlT_E0_NS1_11comp_targetILNS1_3genE10ELNS1_11target_archE1200ELNS1_3gpuE4ELNS1_3repE0EEENS1_30default_config_static_selectorELNS0_4arch9wavefront6targetE1EEEvS14_.num_named_barrier, 0
	.set _ZN7rocprim17ROCPRIM_400000_NS6detail17trampoline_kernelINS0_14default_configENS1_22reduce_config_selectorIN6thrust23THRUST_200600_302600_NS5tupleIblNS6_9null_typeES8_S8_S8_S8_S8_S8_S8_EEEEZNS1_11reduce_implILb1ES3_NS6_12zip_iteratorINS7_INS6_11hip_rocprim26transform_input_iterator_tIbNSD_35transform_pair_of_input_iterators_tIbNS6_6detail15normal_iteratorINS6_10device_ptrIKjEEEESL_NS6_8equal_toIjEEEENSG_9not_fun_tINSD_8identityEEEEENSD_19counting_iterator_tIlEES8_S8_S8_S8_S8_S8_S8_S8_EEEEPS9_S9_NSD_9__find_if7functorIS9_EEEE10hipError_tPvRmT1_T2_T3_mT4_P12ihipStream_tbEUlT_E0_NS1_11comp_targetILNS1_3genE10ELNS1_11target_archE1200ELNS1_3gpuE4ELNS1_3repE0EEENS1_30default_config_static_selectorELNS0_4arch9wavefront6targetE1EEEvS14_.private_seg_size, 0
	.set _ZN7rocprim17ROCPRIM_400000_NS6detail17trampoline_kernelINS0_14default_configENS1_22reduce_config_selectorIN6thrust23THRUST_200600_302600_NS5tupleIblNS6_9null_typeES8_S8_S8_S8_S8_S8_S8_EEEEZNS1_11reduce_implILb1ES3_NS6_12zip_iteratorINS7_INS6_11hip_rocprim26transform_input_iterator_tIbNSD_35transform_pair_of_input_iterators_tIbNS6_6detail15normal_iteratorINS6_10device_ptrIKjEEEESL_NS6_8equal_toIjEEEENSG_9not_fun_tINSD_8identityEEEEENSD_19counting_iterator_tIlEES8_S8_S8_S8_S8_S8_S8_S8_EEEEPS9_S9_NSD_9__find_if7functorIS9_EEEE10hipError_tPvRmT1_T2_T3_mT4_P12ihipStream_tbEUlT_E0_NS1_11comp_targetILNS1_3genE10ELNS1_11target_archE1200ELNS1_3gpuE4ELNS1_3repE0EEENS1_30default_config_static_selectorELNS0_4arch9wavefront6targetE1EEEvS14_.uses_vcc, 0
	.set _ZN7rocprim17ROCPRIM_400000_NS6detail17trampoline_kernelINS0_14default_configENS1_22reduce_config_selectorIN6thrust23THRUST_200600_302600_NS5tupleIblNS6_9null_typeES8_S8_S8_S8_S8_S8_S8_EEEEZNS1_11reduce_implILb1ES3_NS6_12zip_iteratorINS7_INS6_11hip_rocprim26transform_input_iterator_tIbNSD_35transform_pair_of_input_iterators_tIbNS6_6detail15normal_iteratorINS6_10device_ptrIKjEEEESL_NS6_8equal_toIjEEEENSG_9not_fun_tINSD_8identityEEEEENSD_19counting_iterator_tIlEES8_S8_S8_S8_S8_S8_S8_S8_EEEEPS9_S9_NSD_9__find_if7functorIS9_EEEE10hipError_tPvRmT1_T2_T3_mT4_P12ihipStream_tbEUlT_E0_NS1_11comp_targetILNS1_3genE10ELNS1_11target_archE1200ELNS1_3gpuE4ELNS1_3repE0EEENS1_30default_config_static_selectorELNS0_4arch9wavefront6targetE1EEEvS14_.uses_flat_scratch, 0
	.set _ZN7rocprim17ROCPRIM_400000_NS6detail17trampoline_kernelINS0_14default_configENS1_22reduce_config_selectorIN6thrust23THRUST_200600_302600_NS5tupleIblNS6_9null_typeES8_S8_S8_S8_S8_S8_S8_EEEEZNS1_11reduce_implILb1ES3_NS6_12zip_iteratorINS7_INS6_11hip_rocprim26transform_input_iterator_tIbNSD_35transform_pair_of_input_iterators_tIbNS6_6detail15normal_iteratorINS6_10device_ptrIKjEEEESL_NS6_8equal_toIjEEEENSG_9not_fun_tINSD_8identityEEEEENSD_19counting_iterator_tIlEES8_S8_S8_S8_S8_S8_S8_S8_EEEEPS9_S9_NSD_9__find_if7functorIS9_EEEE10hipError_tPvRmT1_T2_T3_mT4_P12ihipStream_tbEUlT_E0_NS1_11comp_targetILNS1_3genE10ELNS1_11target_archE1200ELNS1_3gpuE4ELNS1_3repE0EEENS1_30default_config_static_selectorELNS0_4arch9wavefront6targetE1EEEvS14_.has_dyn_sized_stack, 0
	.set _ZN7rocprim17ROCPRIM_400000_NS6detail17trampoline_kernelINS0_14default_configENS1_22reduce_config_selectorIN6thrust23THRUST_200600_302600_NS5tupleIblNS6_9null_typeES8_S8_S8_S8_S8_S8_S8_EEEEZNS1_11reduce_implILb1ES3_NS6_12zip_iteratorINS7_INS6_11hip_rocprim26transform_input_iterator_tIbNSD_35transform_pair_of_input_iterators_tIbNS6_6detail15normal_iteratorINS6_10device_ptrIKjEEEESL_NS6_8equal_toIjEEEENSG_9not_fun_tINSD_8identityEEEEENSD_19counting_iterator_tIlEES8_S8_S8_S8_S8_S8_S8_S8_EEEEPS9_S9_NSD_9__find_if7functorIS9_EEEE10hipError_tPvRmT1_T2_T3_mT4_P12ihipStream_tbEUlT_E0_NS1_11comp_targetILNS1_3genE10ELNS1_11target_archE1200ELNS1_3gpuE4ELNS1_3repE0EEENS1_30default_config_static_selectorELNS0_4arch9wavefront6targetE1EEEvS14_.has_recursion, 0
	.set _ZN7rocprim17ROCPRIM_400000_NS6detail17trampoline_kernelINS0_14default_configENS1_22reduce_config_selectorIN6thrust23THRUST_200600_302600_NS5tupleIblNS6_9null_typeES8_S8_S8_S8_S8_S8_S8_EEEEZNS1_11reduce_implILb1ES3_NS6_12zip_iteratorINS7_INS6_11hip_rocprim26transform_input_iterator_tIbNSD_35transform_pair_of_input_iterators_tIbNS6_6detail15normal_iteratorINS6_10device_ptrIKjEEEESL_NS6_8equal_toIjEEEENSG_9not_fun_tINSD_8identityEEEEENSD_19counting_iterator_tIlEES8_S8_S8_S8_S8_S8_S8_S8_EEEEPS9_S9_NSD_9__find_if7functorIS9_EEEE10hipError_tPvRmT1_T2_T3_mT4_P12ihipStream_tbEUlT_E0_NS1_11comp_targetILNS1_3genE10ELNS1_11target_archE1200ELNS1_3gpuE4ELNS1_3repE0EEENS1_30default_config_static_selectorELNS0_4arch9wavefront6targetE1EEEvS14_.has_indirect_call, 0
	.section	.AMDGPU.csdata,"",@progbits
; Kernel info:
; codeLenInByte = 0
; TotalNumSgprs: 6
; NumVgprs: 0
; NumAgprs: 0
; TotalNumVgprs: 0
; ScratchSize: 0
; MemoryBound: 0
; FloatMode: 240
; IeeeMode: 1
; LDSByteSize: 0 bytes/workgroup (compile time only)
; SGPRBlocks: 0
; VGPRBlocks: 0
; NumSGPRsForWavesPerEU: 6
; NumVGPRsForWavesPerEU: 1
; AccumOffset: 4
; Occupancy: 8
; WaveLimiterHint : 0
; COMPUTE_PGM_RSRC2:SCRATCH_EN: 0
; COMPUTE_PGM_RSRC2:USER_SGPR: 2
; COMPUTE_PGM_RSRC2:TRAP_HANDLER: 0
; COMPUTE_PGM_RSRC2:TGID_X_EN: 1
; COMPUTE_PGM_RSRC2:TGID_Y_EN: 0
; COMPUTE_PGM_RSRC2:TGID_Z_EN: 0
; COMPUTE_PGM_RSRC2:TIDIG_COMP_CNT: 0
; COMPUTE_PGM_RSRC3_GFX90A:ACCUM_OFFSET: 0
; COMPUTE_PGM_RSRC3_GFX90A:TG_SPLIT: 0
	.section	.text._ZN7rocprim17ROCPRIM_400000_NS6detail17trampoline_kernelINS0_14default_configENS1_22reduce_config_selectorIN6thrust23THRUST_200600_302600_NS5tupleIblNS6_9null_typeES8_S8_S8_S8_S8_S8_S8_EEEEZNS1_11reduce_implILb1ES3_NS6_12zip_iteratorINS7_INS6_11hip_rocprim26transform_input_iterator_tIbNSD_35transform_pair_of_input_iterators_tIbNS6_6detail15normal_iteratorINS6_10device_ptrIKjEEEESL_NS6_8equal_toIjEEEENSG_9not_fun_tINSD_8identityEEEEENSD_19counting_iterator_tIlEES8_S8_S8_S8_S8_S8_S8_S8_EEEEPS9_S9_NSD_9__find_if7functorIS9_EEEE10hipError_tPvRmT1_T2_T3_mT4_P12ihipStream_tbEUlT_E0_NS1_11comp_targetILNS1_3genE9ELNS1_11target_archE1100ELNS1_3gpuE3ELNS1_3repE0EEENS1_30default_config_static_selectorELNS0_4arch9wavefront6targetE1EEEvS14_,"axG",@progbits,_ZN7rocprim17ROCPRIM_400000_NS6detail17trampoline_kernelINS0_14default_configENS1_22reduce_config_selectorIN6thrust23THRUST_200600_302600_NS5tupleIblNS6_9null_typeES8_S8_S8_S8_S8_S8_S8_EEEEZNS1_11reduce_implILb1ES3_NS6_12zip_iteratorINS7_INS6_11hip_rocprim26transform_input_iterator_tIbNSD_35transform_pair_of_input_iterators_tIbNS6_6detail15normal_iteratorINS6_10device_ptrIKjEEEESL_NS6_8equal_toIjEEEENSG_9not_fun_tINSD_8identityEEEEENSD_19counting_iterator_tIlEES8_S8_S8_S8_S8_S8_S8_S8_EEEEPS9_S9_NSD_9__find_if7functorIS9_EEEE10hipError_tPvRmT1_T2_T3_mT4_P12ihipStream_tbEUlT_E0_NS1_11comp_targetILNS1_3genE9ELNS1_11target_archE1100ELNS1_3gpuE3ELNS1_3repE0EEENS1_30default_config_static_selectorELNS0_4arch9wavefront6targetE1EEEvS14_,comdat
	.protected	_ZN7rocprim17ROCPRIM_400000_NS6detail17trampoline_kernelINS0_14default_configENS1_22reduce_config_selectorIN6thrust23THRUST_200600_302600_NS5tupleIblNS6_9null_typeES8_S8_S8_S8_S8_S8_S8_EEEEZNS1_11reduce_implILb1ES3_NS6_12zip_iteratorINS7_INS6_11hip_rocprim26transform_input_iterator_tIbNSD_35transform_pair_of_input_iterators_tIbNS6_6detail15normal_iteratorINS6_10device_ptrIKjEEEESL_NS6_8equal_toIjEEEENSG_9not_fun_tINSD_8identityEEEEENSD_19counting_iterator_tIlEES8_S8_S8_S8_S8_S8_S8_S8_EEEEPS9_S9_NSD_9__find_if7functorIS9_EEEE10hipError_tPvRmT1_T2_T3_mT4_P12ihipStream_tbEUlT_E0_NS1_11comp_targetILNS1_3genE9ELNS1_11target_archE1100ELNS1_3gpuE3ELNS1_3repE0EEENS1_30default_config_static_selectorELNS0_4arch9wavefront6targetE1EEEvS14_ ; -- Begin function _ZN7rocprim17ROCPRIM_400000_NS6detail17trampoline_kernelINS0_14default_configENS1_22reduce_config_selectorIN6thrust23THRUST_200600_302600_NS5tupleIblNS6_9null_typeES8_S8_S8_S8_S8_S8_S8_EEEEZNS1_11reduce_implILb1ES3_NS6_12zip_iteratorINS7_INS6_11hip_rocprim26transform_input_iterator_tIbNSD_35transform_pair_of_input_iterators_tIbNS6_6detail15normal_iteratorINS6_10device_ptrIKjEEEESL_NS6_8equal_toIjEEEENSG_9not_fun_tINSD_8identityEEEEENSD_19counting_iterator_tIlEES8_S8_S8_S8_S8_S8_S8_S8_EEEEPS9_S9_NSD_9__find_if7functorIS9_EEEE10hipError_tPvRmT1_T2_T3_mT4_P12ihipStream_tbEUlT_E0_NS1_11comp_targetILNS1_3genE9ELNS1_11target_archE1100ELNS1_3gpuE3ELNS1_3repE0EEENS1_30default_config_static_selectorELNS0_4arch9wavefront6targetE1EEEvS14_
	.globl	_ZN7rocprim17ROCPRIM_400000_NS6detail17trampoline_kernelINS0_14default_configENS1_22reduce_config_selectorIN6thrust23THRUST_200600_302600_NS5tupleIblNS6_9null_typeES8_S8_S8_S8_S8_S8_S8_EEEEZNS1_11reduce_implILb1ES3_NS6_12zip_iteratorINS7_INS6_11hip_rocprim26transform_input_iterator_tIbNSD_35transform_pair_of_input_iterators_tIbNS6_6detail15normal_iteratorINS6_10device_ptrIKjEEEESL_NS6_8equal_toIjEEEENSG_9not_fun_tINSD_8identityEEEEENSD_19counting_iterator_tIlEES8_S8_S8_S8_S8_S8_S8_S8_EEEEPS9_S9_NSD_9__find_if7functorIS9_EEEE10hipError_tPvRmT1_T2_T3_mT4_P12ihipStream_tbEUlT_E0_NS1_11comp_targetILNS1_3genE9ELNS1_11target_archE1100ELNS1_3gpuE3ELNS1_3repE0EEENS1_30default_config_static_selectorELNS0_4arch9wavefront6targetE1EEEvS14_
	.p2align	8
	.type	_ZN7rocprim17ROCPRIM_400000_NS6detail17trampoline_kernelINS0_14default_configENS1_22reduce_config_selectorIN6thrust23THRUST_200600_302600_NS5tupleIblNS6_9null_typeES8_S8_S8_S8_S8_S8_S8_EEEEZNS1_11reduce_implILb1ES3_NS6_12zip_iteratorINS7_INS6_11hip_rocprim26transform_input_iterator_tIbNSD_35transform_pair_of_input_iterators_tIbNS6_6detail15normal_iteratorINS6_10device_ptrIKjEEEESL_NS6_8equal_toIjEEEENSG_9not_fun_tINSD_8identityEEEEENSD_19counting_iterator_tIlEES8_S8_S8_S8_S8_S8_S8_S8_EEEEPS9_S9_NSD_9__find_if7functorIS9_EEEE10hipError_tPvRmT1_T2_T3_mT4_P12ihipStream_tbEUlT_E0_NS1_11comp_targetILNS1_3genE9ELNS1_11target_archE1100ELNS1_3gpuE3ELNS1_3repE0EEENS1_30default_config_static_selectorELNS0_4arch9wavefront6targetE1EEEvS14_,@function
_ZN7rocprim17ROCPRIM_400000_NS6detail17trampoline_kernelINS0_14default_configENS1_22reduce_config_selectorIN6thrust23THRUST_200600_302600_NS5tupleIblNS6_9null_typeES8_S8_S8_S8_S8_S8_S8_EEEEZNS1_11reduce_implILb1ES3_NS6_12zip_iteratorINS7_INS6_11hip_rocprim26transform_input_iterator_tIbNSD_35transform_pair_of_input_iterators_tIbNS6_6detail15normal_iteratorINS6_10device_ptrIKjEEEESL_NS6_8equal_toIjEEEENSG_9not_fun_tINSD_8identityEEEEENSD_19counting_iterator_tIlEES8_S8_S8_S8_S8_S8_S8_S8_EEEEPS9_S9_NSD_9__find_if7functorIS9_EEEE10hipError_tPvRmT1_T2_T3_mT4_P12ihipStream_tbEUlT_E0_NS1_11comp_targetILNS1_3genE9ELNS1_11target_archE1100ELNS1_3gpuE3ELNS1_3repE0EEENS1_30default_config_static_selectorELNS0_4arch9wavefront6targetE1EEEvS14_: ; @_ZN7rocprim17ROCPRIM_400000_NS6detail17trampoline_kernelINS0_14default_configENS1_22reduce_config_selectorIN6thrust23THRUST_200600_302600_NS5tupleIblNS6_9null_typeES8_S8_S8_S8_S8_S8_S8_EEEEZNS1_11reduce_implILb1ES3_NS6_12zip_iteratorINS7_INS6_11hip_rocprim26transform_input_iterator_tIbNSD_35transform_pair_of_input_iterators_tIbNS6_6detail15normal_iteratorINS6_10device_ptrIKjEEEESL_NS6_8equal_toIjEEEENSG_9not_fun_tINSD_8identityEEEEENSD_19counting_iterator_tIlEES8_S8_S8_S8_S8_S8_S8_S8_EEEEPS9_S9_NSD_9__find_if7functorIS9_EEEE10hipError_tPvRmT1_T2_T3_mT4_P12ihipStream_tbEUlT_E0_NS1_11comp_targetILNS1_3genE9ELNS1_11target_archE1100ELNS1_3gpuE3ELNS1_3repE0EEENS1_30default_config_static_selectorELNS0_4arch9wavefront6targetE1EEEvS14_
; %bb.0:
	.section	.rodata,"a",@progbits
	.p2align	6, 0x0
	.amdhsa_kernel _ZN7rocprim17ROCPRIM_400000_NS6detail17trampoline_kernelINS0_14default_configENS1_22reduce_config_selectorIN6thrust23THRUST_200600_302600_NS5tupleIblNS6_9null_typeES8_S8_S8_S8_S8_S8_S8_EEEEZNS1_11reduce_implILb1ES3_NS6_12zip_iteratorINS7_INS6_11hip_rocprim26transform_input_iterator_tIbNSD_35transform_pair_of_input_iterators_tIbNS6_6detail15normal_iteratorINS6_10device_ptrIKjEEEESL_NS6_8equal_toIjEEEENSG_9not_fun_tINSD_8identityEEEEENSD_19counting_iterator_tIlEES8_S8_S8_S8_S8_S8_S8_S8_EEEEPS9_S9_NSD_9__find_if7functorIS9_EEEE10hipError_tPvRmT1_T2_T3_mT4_P12ihipStream_tbEUlT_E0_NS1_11comp_targetILNS1_3genE9ELNS1_11target_archE1100ELNS1_3gpuE3ELNS1_3repE0EEENS1_30default_config_static_selectorELNS0_4arch9wavefront6targetE1EEEvS14_
		.amdhsa_group_segment_fixed_size 0
		.amdhsa_private_segment_fixed_size 0
		.amdhsa_kernarg_size 104
		.amdhsa_user_sgpr_count 2
		.amdhsa_user_sgpr_dispatch_ptr 0
		.amdhsa_user_sgpr_queue_ptr 0
		.amdhsa_user_sgpr_kernarg_segment_ptr 1
		.amdhsa_user_sgpr_dispatch_id 0
		.amdhsa_user_sgpr_kernarg_preload_length 0
		.amdhsa_user_sgpr_kernarg_preload_offset 0
		.amdhsa_user_sgpr_private_segment_size 0
		.amdhsa_uses_dynamic_stack 0
		.amdhsa_enable_private_segment 0
		.amdhsa_system_sgpr_workgroup_id_x 1
		.amdhsa_system_sgpr_workgroup_id_y 0
		.amdhsa_system_sgpr_workgroup_id_z 0
		.amdhsa_system_sgpr_workgroup_info 0
		.amdhsa_system_vgpr_workitem_id 0
		.amdhsa_next_free_vgpr 1
		.amdhsa_next_free_sgpr 0
		.amdhsa_accum_offset 4
		.amdhsa_reserve_vcc 0
		.amdhsa_float_round_mode_32 0
		.amdhsa_float_round_mode_16_64 0
		.amdhsa_float_denorm_mode_32 3
		.amdhsa_float_denorm_mode_16_64 3
		.amdhsa_dx10_clamp 1
		.amdhsa_ieee_mode 1
		.amdhsa_fp16_overflow 0
		.amdhsa_tg_split 0
		.amdhsa_exception_fp_ieee_invalid_op 0
		.amdhsa_exception_fp_denorm_src 0
		.amdhsa_exception_fp_ieee_div_zero 0
		.amdhsa_exception_fp_ieee_overflow 0
		.amdhsa_exception_fp_ieee_underflow 0
		.amdhsa_exception_fp_ieee_inexact 0
		.amdhsa_exception_int_div_zero 0
	.end_amdhsa_kernel
	.section	.text._ZN7rocprim17ROCPRIM_400000_NS6detail17trampoline_kernelINS0_14default_configENS1_22reduce_config_selectorIN6thrust23THRUST_200600_302600_NS5tupleIblNS6_9null_typeES8_S8_S8_S8_S8_S8_S8_EEEEZNS1_11reduce_implILb1ES3_NS6_12zip_iteratorINS7_INS6_11hip_rocprim26transform_input_iterator_tIbNSD_35transform_pair_of_input_iterators_tIbNS6_6detail15normal_iteratorINS6_10device_ptrIKjEEEESL_NS6_8equal_toIjEEEENSG_9not_fun_tINSD_8identityEEEEENSD_19counting_iterator_tIlEES8_S8_S8_S8_S8_S8_S8_S8_EEEEPS9_S9_NSD_9__find_if7functorIS9_EEEE10hipError_tPvRmT1_T2_T3_mT4_P12ihipStream_tbEUlT_E0_NS1_11comp_targetILNS1_3genE9ELNS1_11target_archE1100ELNS1_3gpuE3ELNS1_3repE0EEENS1_30default_config_static_selectorELNS0_4arch9wavefront6targetE1EEEvS14_,"axG",@progbits,_ZN7rocprim17ROCPRIM_400000_NS6detail17trampoline_kernelINS0_14default_configENS1_22reduce_config_selectorIN6thrust23THRUST_200600_302600_NS5tupleIblNS6_9null_typeES8_S8_S8_S8_S8_S8_S8_EEEEZNS1_11reduce_implILb1ES3_NS6_12zip_iteratorINS7_INS6_11hip_rocprim26transform_input_iterator_tIbNSD_35transform_pair_of_input_iterators_tIbNS6_6detail15normal_iteratorINS6_10device_ptrIKjEEEESL_NS6_8equal_toIjEEEENSG_9not_fun_tINSD_8identityEEEEENSD_19counting_iterator_tIlEES8_S8_S8_S8_S8_S8_S8_S8_EEEEPS9_S9_NSD_9__find_if7functorIS9_EEEE10hipError_tPvRmT1_T2_T3_mT4_P12ihipStream_tbEUlT_E0_NS1_11comp_targetILNS1_3genE9ELNS1_11target_archE1100ELNS1_3gpuE3ELNS1_3repE0EEENS1_30default_config_static_selectorELNS0_4arch9wavefront6targetE1EEEvS14_,comdat
.Lfunc_end812:
	.size	_ZN7rocprim17ROCPRIM_400000_NS6detail17trampoline_kernelINS0_14default_configENS1_22reduce_config_selectorIN6thrust23THRUST_200600_302600_NS5tupleIblNS6_9null_typeES8_S8_S8_S8_S8_S8_S8_EEEEZNS1_11reduce_implILb1ES3_NS6_12zip_iteratorINS7_INS6_11hip_rocprim26transform_input_iterator_tIbNSD_35transform_pair_of_input_iterators_tIbNS6_6detail15normal_iteratorINS6_10device_ptrIKjEEEESL_NS6_8equal_toIjEEEENSG_9not_fun_tINSD_8identityEEEEENSD_19counting_iterator_tIlEES8_S8_S8_S8_S8_S8_S8_S8_EEEEPS9_S9_NSD_9__find_if7functorIS9_EEEE10hipError_tPvRmT1_T2_T3_mT4_P12ihipStream_tbEUlT_E0_NS1_11comp_targetILNS1_3genE9ELNS1_11target_archE1100ELNS1_3gpuE3ELNS1_3repE0EEENS1_30default_config_static_selectorELNS0_4arch9wavefront6targetE1EEEvS14_, .Lfunc_end812-_ZN7rocprim17ROCPRIM_400000_NS6detail17trampoline_kernelINS0_14default_configENS1_22reduce_config_selectorIN6thrust23THRUST_200600_302600_NS5tupleIblNS6_9null_typeES8_S8_S8_S8_S8_S8_S8_EEEEZNS1_11reduce_implILb1ES3_NS6_12zip_iteratorINS7_INS6_11hip_rocprim26transform_input_iterator_tIbNSD_35transform_pair_of_input_iterators_tIbNS6_6detail15normal_iteratorINS6_10device_ptrIKjEEEESL_NS6_8equal_toIjEEEENSG_9not_fun_tINSD_8identityEEEEENSD_19counting_iterator_tIlEES8_S8_S8_S8_S8_S8_S8_S8_EEEEPS9_S9_NSD_9__find_if7functorIS9_EEEE10hipError_tPvRmT1_T2_T3_mT4_P12ihipStream_tbEUlT_E0_NS1_11comp_targetILNS1_3genE9ELNS1_11target_archE1100ELNS1_3gpuE3ELNS1_3repE0EEENS1_30default_config_static_selectorELNS0_4arch9wavefront6targetE1EEEvS14_
                                        ; -- End function
	.set _ZN7rocprim17ROCPRIM_400000_NS6detail17trampoline_kernelINS0_14default_configENS1_22reduce_config_selectorIN6thrust23THRUST_200600_302600_NS5tupleIblNS6_9null_typeES8_S8_S8_S8_S8_S8_S8_EEEEZNS1_11reduce_implILb1ES3_NS6_12zip_iteratorINS7_INS6_11hip_rocprim26transform_input_iterator_tIbNSD_35transform_pair_of_input_iterators_tIbNS6_6detail15normal_iteratorINS6_10device_ptrIKjEEEESL_NS6_8equal_toIjEEEENSG_9not_fun_tINSD_8identityEEEEENSD_19counting_iterator_tIlEES8_S8_S8_S8_S8_S8_S8_S8_EEEEPS9_S9_NSD_9__find_if7functorIS9_EEEE10hipError_tPvRmT1_T2_T3_mT4_P12ihipStream_tbEUlT_E0_NS1_11comp_targetILNS1_3genE9ELNS1_11target_archE1100ELNS1_3gpuE3ELNS1_3repE0EEENS1_30default_config_static_selectorELNS0_4arch9wavefront6targetE1EEEvS14_.num_vgpr, 0
	.set _ZN7rocprim17ROCPRIM_400000_NS6detail17trampoline_kernelINS0_14default_configENS1_22reduce_config_selectorIN6thrust23THRUST_200600_302600_NS5tupleIblNS6_9null_typeES8_S8_S8_S8_S8_S8_S8_EEEEZNS1_11reduce_implILb1ES3_NS6_12zip_iteratorINS7_INS6_11hip_rocprim26transform_input_iterator_tIbNSD_35transform_pair_of_input_iterators_tIbNS6_6detail15normal_iteratorINS6_10device_ptrIKjEEEESL_NS6_8equal_toIjEEEENSG_9not_fun_tINSD_8identityEEEEENSD_19counting_iterator_tIlEES8_S8_S8_S8_S8_S8_S8_S8_EEEEPS9_S9_NSD_9__find_if7functorIS9_EEEE10hipError_tPvRmT1_T2_T3_mT4_P12ihipStream_tbEUlT_E0_NS1_11comp_targetILNS1_3genE9ELNS1_11target_archE1100ELNS1_3gpuE3ELNS1_3repE0EEENS1_30default_config_static_selectorELNS0_4arch9wavefront6targetE1EEEvS14_.num_agpr, 0
	.set _ZN7rocprim17ROCPRIM_400000_NS6detail17trampoline_kernelINS0_14default_configENS1_22reduce_config_selectorIN6thrust23THRUST_200600_302600_NS5tupleIblNS6_9null_typeES8_S8_S8_S8_S8_S8_S8_EEEEZNS1_11reduce_implILb1ES3_NS6_12zip_iteratorINS7_INS6_11hip_rocprim26transform_input_iterator_tIbNSD_35transform_pair_of_input_iterators_tIbNS6_6detail15normal_iteratorINS6_10device_ptrIKjEEEESL_NS6_8equal_toIjEEEENSG_9not_fun_tINSD_8identityEEEEENSD_19counting_iterator_tIlEES8_S8_S8_S8_S8_S8_S8_S8_EEEEPS9_S9_NSD_9__find_if7functorIS9_EEEE10hipError_tPvRmT1_T2_T3_mT4_P12ihipStream_tbEUlT_E0_NS1_11comp_targetILNS1_3genE9ELNS1_11target_archE1100ELNS1_3gpuE3ELNS1_3repE0EEENS1_30default_config_static_selectorELNS0_4arch9wavefront6targetE1EEEvS14_.numbered_sgpr, 0
	.set _ZN7rocprim17ROCPRIM_400000_NS6detail17trampoline_kernelINS0_14default_configENS1_22reduce_config_selectorIN6thrust23THRUST_200600_302600_NS5tupleIblNS6_9null_typeES8_S8_S8_S8_S8_S8_S8_EEEEZNS1_11reduce_implILb1ES3_NS6_12zip_iteratorINS7_INS6_11hip_rocprim26transform_input_iterator_tIbNSD_35transform_pair_of_input_iterators_tIbNS6_6detail15normal_iteratorINS6_10device_ptrIKjEEEESL_NS6_8equal_toIjEEEENSG_9not_fun_tINSD_8identityEEEEENSD_19counting_iterator_tIlEES8_S8_S8_S8_S8_S8_S8_S8_EEEEPS9_S9_NSD_9__find_if7functorIS9_EEEE10hipError_tPvRmT1_T2_T3_mT4_P12ihipStream_tbEUlT_E0_NS1_11comp_targetILNS1_3genE9ELNS1_11target_archE1100ELNS1_3gpuE3ELNS1_3repE0EEENS1_30default_config_static_selectorELNS0_4arch9wavefront6targetE1EEEvS14_.num_named_barrier, 0
	.set _ZN7rocprim17ROCPRIM_400000_NS6detail17trampoline_kernelINS0_14default_configENS1_22reduce_config_selectorIN6thrust23THRUST_200600_302600_NS5tupleIblNS6_9null_typeES8_S8_S8_S8_S8_S8_S8_EEEEZNS1_11reduce_implILb1ES3_NS6_12zip_iteratorINS7_INS6_11hip_rocprim26transform_input_iterator_tIbNSD_35transform_pair_of_input_iterators_tIbNS6_6detail15normal_iteratorINS6_10device_ptrIKjEEEESL_NS6_8equal_toIjEEEENSG_9not_fun_tINSD_8identityEEEEENSD_19counting_iterator_tIlEES8_S8_S8_S8_S8_S8_S8_S8_EEEEPS9_S9_NSD_9__find_if7functorIS9_EEEE10hipError_tPvRmT1_T2_T3_mT4_P12ihipStream_tbEUlT_E0_NS1_11comp_targetILNS1_3genE9ELNS1_11target_archE1100ELNS1_3gpuE3ELNS1_3repE0EEENS1_30default_config_static_selectorELNS0_4arch9wavefront6targetE1EEEvS14_.private_seg_size, 0
	.set _ZN7rocprim17ROCPRIM_400000_NS6detail17trampoline_kernelINS0_14default_configENS1_22reduce_config_selectorIN6thrust23THRUST_200600_302600_NS5tupleIblNS6_9null_typeES8_S8_S8_S8_S8_S8_S8_EEEEZNS1_11reduce_implILb1ES3_NS6_12zip_iteratorINS7_INS6_11hip_rocprim26transform_input_iterator_tIbNSD_35transform_pair_of_input_iterators_tIbNS6_6detail15normal_iteratorINS6_10device_ptrIKjEEEESL_NS6_8equal_toIjEEEENSG_9not_fun_tINSD_8identityEEEEENSD_19counting_iterator_tIlEES8_S8_S8_S8_S8_S8_S8_S8_EEEEPS9_S9_NSD_9__find_if7functorIS9_EEEE10hipError_tPvRmT1_T2_T3_mT4_P12ihipStream_tbEUlT_E0_NS1_11comp_targetILNS1_3genE9ELNS1_11target_archE1100ELNS1_3gpuE3ELNS1_3repE0EEENS1_30default_config_static_selectorELNS0_4arch9wavefront6targetE1EEEvS14_.uses_vcc, 0
	.set _ZN7rocprim17ROCPRIM_400000_NS6detail17trampoline_kernelINS0_14default_configENS1_22reduce_config_selectorIN6thrust23THRUST_200600_302600_NS5tupleIblNS6_9null_typeES8_S8_S8_S8_S8_S8_S8_EEEEZNS1_11reduce_implILb1ES3_NS6_12zip_iteratorINS7_INS6_11hip_rocprim26transform_input_iterator_tIbNSD_35transform_pair_of_input_iterators_tIbNS6_6detail15normal_iteratorINS6_10device_ptrIKjEEEESL_NS6_8equal_toIjEEEENSG_9not_fun_tINSD_8identityEEEEENSD_19counting_iterator_tIlEES8_S8_S8_S8_S8_S8_S8_S8_EEEEPS9_S9_NSD_9__find_if7functorIS9_EEEE10hipError_tPvRmT1_T2_T3_mT4_P12ihipStream_tbEUlT_E0_NS1_11comp_targetILNS1_3genE9ELNS1_11target_archE1100ELNS1_3gpuE3ELNS1_3repE0EEENS1_30default_config_static_selectorELNS0_4arch9wavefront6targetE1EEEvS14_.uses_flat_scratch, 0
	.set _ZN7rocprim17ROCPRIM_400000_NS6detail17trampoline_kernelINS0_14default_configENS1_22reduce_config_selectorIN6thrust23THRUST_200600_302600_NS5tupleIblNS6_9null_typeES8_S8_S8_S8_S8_S8_S8_EEEEZNS1_11reduce_implILb1ES3_NS6_12zip_iteratorINS7_INS6_11hip_rocprim26transform_input_iterator_tIbNSD_35transform_pair_of_input_iterators_tIbNS6_6detail15normal_iteratorINS6_10device_ptrIKjEEEESL_NS6_8equal_toIjEEEENSG_9not_fun_tINSD_8identityEEEEENSD_19counting_iterator_tIlEES8_S8_S8_S8_S8_S8_S8_S8_EEEEPS9_S9_NSD_9__find_if7functorIS9_EEEE10hipError_tPvRmT1_T2_T3_mT4_P12ihipStream_tbEUlT_E0_NS1_11comp_targetILNS1_3genE9ELNS1_11target_archE1100ELNS1_3gpuE3ELNS1_3repE0EEENS1_30default_config_static_selectorELNS0_4arch9wavefront6targetE1EEEvS14_.has_dyn_sized_stack, 0
	.set _ZN7rocprim17ROCPRIM_400000_NS6detail17trampoline_kernelINS0_14default_configENS1_22reduce_config_selectorIN6thrust23THRUST_200600_302600_NS5tupleIblNS6_9null_typeES8_S8_S8_S8_S8_S8_S8_EEEEZNS1_11reduce_implILb1ES3_NS6_12zip_iteratorINS7_INS6_11hip_rocprim26transform_input_iterator_tIbNSD_35transform_pair_of_input_iterators_tIbNS6_6detail15normal_iteratorINS6_10device_ptrIKjEEEESL_NS6_8equal_toIjEEEENSG_9not_fun_tINSD_8identityEEEEENSD_19counting_iterator_tIlEES8_S8_S8_S8_S8_S8_S8_S8_EEEEPS9_S9_NSD_9__find_if7functorIS9_EEEE10hipError_tPvRmT1_T2_T3_mT4_P12ihipStream_tbEUlT_E0_NS1_11comp_targetILNS1_3genE9ELNS1_11target_archE1100ELNS1_3gpuE3ELNS1_3repE0EEENS1_30default_config_static_selectorELNS0_4arch9wavefront6targetE1EEEvS14_.has_recursion, 0
	.set _ZN7rocprim17ROCPRIM_400000_NS6detail17trampoline_kernelINS0_14default_configENS1_22reduce_config_selectorIN6thrust23THRUST_200600_302600_NS5tupleIblNS6_9null_typeES8_S8_S8_S8_S8_S8_S8_EEEEZNS1_11reduce_implILb1ES3_NS6_12zip_iteratorINS7_INS6_11hip_rocprim26transform_input_iterator_tIbNSD_35transform_pair_of_input_iterators_tIbNS6_6detail15normal_iteratorINS6_10device_ptrIKjEEEESL_NS6_8equal_toIjEEEENSG_9not_fun_tINSD_8identityEEEEENSD_19counting_iterator_tIlEES8_S8_S8_S8_S8_S8_S8_S8_EEEEPS9_S9_NSD_9__find_if7functorIS9_EEEE10hipError_tPvRmT1_T2_T3_mT4_P12ihipStream_tbEUlT_E0_NS1_11comp_targetILNS1_3genE9ELNS1_11target_archE1100ELNS1_3gpuE3ELNS1_3repE0EEENS1_30default_config_static_selectorELNS0_4arch9wavefront6targetE1EEEvS14_.has_indirect_call, 0
	.section	.AMDGPU.csdata,"",@progbits
; Kernel info:
; codeLenInByte = 0
; TotalNumSgprs: 6
; NumVgprs: 0
; NumAgprs: 0
; TotalNumVgprs: 0
; ScratchSize: 0
; MemoryBound: 0
; FloatMode: 240
; IeeeMode: 1
; LDSByteSize: 0 bytes/workgroup (compile time only)
; SGPRBlocks: 0
; VGPRBlocks: 0
; NumSGPRsForWavesPerEU: 6
; NumVGPRsForWavesPerEU: 1
; AccumOffset: 4
; Occupancy: 8
; WaveLimiterHint : 0
; COMPUTE_PGM_RSRC2:SCRATCH_EN: 0
; COMPUTE_PGM_RSRC2:USER_SGPR: 2
; COMPUTE_PGM_RSRC2:TRAP_HANDLER: 0
; COMPUTE_PGM_RSRC2:TGID_X_EN: 1
; COMPUTE_PGM_RSRC2:TGID_Y_EN: 0
; COMPUTE_PGM_RSRC2:TGID_Z_EN: 0
; COMPUTE_PGM_RSRC2:TIDIG_COMP_CNT: 0
; COMPUTE_PGM_RSRC3_GFX90A:ACCUM_OFFSET: 0
; COMPUTE_PGM_RSRC3_GFX90A:TG_SPLIT: 0
	.section	.text._ZN7rocprim17ROCPRIM_400000_NS6detail17trampoline_kernelINS0_14default_configENS1_22reduce_config_selectorIN6thrust23THRUST_200600_302600_NS5tupleIblNS6_9null_typeES8_S8_S8_S8_S8_S8_S8_EEEEZNS1_11reduce_implILb1ES3_NS6_12zip_iteratorINS7_INS6_11hip_rocprim26transform_input_iterator_tIbNSD_35transform_pair_of_input_iterators_tIbNS6_6detail15normal_iteratorINS6_10device_ptrIKjEEEESL_NS6_8equal_toIjEEEENSG_9not_fun_tINSD_8identityEEEEENSD_19counting_iterator_tIlEES8_S8_S8_S8_S8_S8_S8_S8_EEEEPS9_S9_NSD_9__find_if7functorIS9_EEEE10hipError_tPvRmT1_T2_T3_mT4_P12ihipStream_tbEUlT_E0_NS1_11comp_targetILNS1_3genE8ELNS1_11target_archE1030ELNS1_3gpuE2ELNS1_3repE0EEENS1_30default_config_static_selectorELNS0_4arch9wavefront6targetE1EEEvS14_,"axG",@progbits,_ZN7rocprim17ROCPRIM_400000_NS6detail17trampoline_kernelINS0_14default_configENS1_22reduce_config_selectorIN6thrust23THRUST_200600_302600_NS5tupleIblNS6_9null_typeES8_S8_S8_S8_S8_S8_S8_EEEEZNS1_11reduce_implILb1ES3_NS6_12zip_iteratorINS7_INS6_11hip_rocprim26transform_input_iterator_tIbNSD_35transform_pair_of_input_iterators_tIbNS6_6detail15normal_iteratorINS6_10device_ptrIKjEEEESL_NS6_8equal_toIjEEEENSG_9not_fun_tINSD_8identityEEEEENSD_19counting_iterator_tIlEES8_S8_S8_S8_S8_S8_S8_S8_EEEEPS9_S9_NSD_9__find_if7functorIS9_EEEE10hipError_tPvRmT1_T2_T3_mT4_P12ihipStream_tbEUlT_E0_NS1_11comp_targetILNS1_3genE8ELNS1_11target_archE1030ELNS1_3gpuE2ELNS1_3repE0EEENS1_30default_config_static_selectorELNS0_4arch9wavefront6targetE1EEEvS14_,comdat
	.protected	_ZN7rocprim17ROCPRIM_400000_NS6detail17trampoline_kernelINS0_14default_configENS1_22reduce_config_selectorIN6thrust23THRUST_200600_302600_NS5tupleIblNS6_9null_typeES8_S8_S8_S8_S8_S8_S8_EEEEZNS1_11reduce_implILb1ES3_NS6_12zip_iteratorINS7_INS6_11hip_rocprim26transform_input_iterator_tIbNSD_35transform_pair_of_input_iterators_tIbNS6_6detail15normal_iteratorINS6_10device_ptrIKjEEEESL_NS6_8equal_toIjEEEENSG_9not_fun_tINSD_8identityEEEEENSD_19counting_iterator_tIlEES8_S8_S8_S8_S8_S8_S8_S8_EEEEPS9_S9_NSD_9__find_if7functorIS9_EEEE10hipError_tPvRmT1_T2_T3_mT4_P12ihipStream_tbEUlT_E0_NS1_11comp_targetILNS1_3genE8ELNS1_11target_archE1030ELNS1_3gpuE2ELNS1_3repE0EEENS1_30default_config_static_selectorELNS0_4arch9wavefront6targetE1EEEvS14_ ; -- Begin function _ZN7rocprim17ROCPRIM_400000_NS6detail17trampoline_kernelINS0_14default_configENS1_22reduce_config_selectorIN6thrust23THRUST_200600_302600_NS5tupleIblNS6_9null_typeES8_S8_S8_S8_S8_S8_S8_EEEEZNS1_11reduce_implILb1ES3_NS6_12zip_iteratorINS7_INS6_11hip_rocprim26transform_input_iterator_tIbNSD_35transform_pair_of_input_iterators_tIbNS6_6detail15normal_iteratorINS6_10device_ptrIKjEEEESL_NS6_8equal_toIjEEEENSG_9not_fun_tINSD_8identityEEEEENSD_19counting_iterator_tIlEES8_S8_S8_S8_S8_S8_S8_S8_EEEEPS9_S9_NSD_9__find_if7functorIS9_EEEE10hipError_tPvRmT1_T2_T3_mT4_P12ihipStream_tbEUlT_E0_NS1_11comp_targetILNS1_3genE8ELNS1_11target_archE1030ELNS1_3gpuE2ELNS1_3repE0EEENS1_30default_config_static_selectorELNS0_4arch9wavefront6targetE1EEEvS14_
	.globl	_ZN7rocprim17ROCPRIM_400000_NS6detail17trampoline_kernelINS0_14default_configENS1_22reduce_config_selectorIN6thrust23THRUST_200600_302600_NS5tupleIblNS6_9null_typeES8_S8_S8_S8_S8_S8_S8_EEEEZNS1_11reduce_implILb1ES3_NS6_12zip_iteratorINS7_INS6_11hip_rocprim26transform_input_iterator_tIbNSD_35transform_pair_of_input_iterators_tIbNS6_6detail15normal_iteratorINS6_10device_ptrIKjEEEESL_NS6_8equal_toIjEEEENSG_9not_fun_tINSD_8identityEEEEENSD_19counting_iterator_tIlEES8_S8_S8_S8_S8_S8_S8_S8_EEEEPS9_S9_NSD_9__find_if7functorIS9_EEEE10hipError_tPvRmT1_T2_T3_mT4_P12ihipStream_tbEUlT_E0_NS1_11comp_targetILNS1_3genE8ELNS1_11target_archE1030ELNS1_3gpuE2ELNS1_3repE0EEENS1_30default_config_static_selectorELNS0_4arch9wavefront6targetE1EEEvS14_
	.p2align	8
	.type	_ZN7rocprim17ROCPRIM_400000_NS6detail17trampoline_kernelINS0_14default_configENS1_22reduce_config_selectorIN6thrust23THRUST_200600_302600_NS5tupleIblNS6_9null_typeES8_S8_S8_S8_S8_S8_S8_EEEEZNS1_11reduce_implILb1ES3_NS6_12zip_iteratorINS7_INS6_11hip_rocprim26transform_input_iterator_tIbNSD_35transform_pair_of_input_iterators_tIbNS6_6detail15normal_iteratorINS6_10device_ptrIKjEEEESL_NS6_8equal_toIjEEEENSG_9not_fun_tINSD_8identityEEEEENSD_19counting_iterator_tIlEES8_S8_S8_S8_S8_S8_S8_S8_EEEEPS9_S9_NSD_9__find_if7functorIS9_EEEE10hipError_tPvRmT1_T2_T3_mT4_P12ihipStream_tbEUlT_E0_NS1_11comp_targetILNS1_3genE8ELNS1_11target_archE1030ELNS1_3gpuE2ELNS1_3repE0EEENS1_30default_config_static_selectorELNS0_4arch9wavefront6targetE1EEEvS14_,@function
_ZN7rocprim17ROCPRIM_400000_NS6detail17trampoline_kernelINS0_14default_configENS1_22reduce_config_selectorIN6thrust23THRUST_200600_302600_NS5tupleIblNS6_9null_typeES8_S8_S8_S8_S8_S8_S8_EEEEZNS1_11reduce_implILb1ES3_NS6_12zip_iteratorINS7_INS6_11hip_rocprim26transform_input_iterator_tIbNSD_35transform_pair_of_input_iterators_tIbNS6_6detail15normal_iteratorINS6_10device_ptrIKjEEEESL_NS6_8equal_toIjEEEENSG_9not_fun_tINSD_8identityEEEEENSD_19counting_iterator_tIlEES8_S8_S8_S8_S8_S8_S8_S8_EEEEPS9_S9_NSD_9__find_if7functorIS9_EEEE10hipError_tPvRmT1_T2_T3_mT4_P12ihipStream_tbEUlT_E0_NS1_11comp_targetILNS1_3genE8ELNS1_11target_archE1030ELNS1_3gpuE2ELNS1_3repE0EEENS1_30default_config_static_selectorELNS0_4arch9wavefront6targetE1EEEvS14_: ; @_ZN7rocprim17ROCPRIM_400000_NS6detail17trampoline_kernelINS0_14default_configENS1_22reduce_config_selectorIN6thrust23THRUST_200600_302600_NS5tupleIblNS6_9null_typeES8_S8_S8_S8_S8_S8_S8_EEEEZNS1_11reduce_implILb1ES3_NS6_12zip_iteratorINS7_INS6_11hip_rocprim26transform_input_iterator_tIbNSD_35transform_pair_of_input_iterators_tIbNS6_6detail15normal_iteratorINS6_10device_ptrIKjEEEESL_NS6_8equal_toIjEEEENSG_9not_fun_tINSD_8identityEEEEENSD_19counting_iterator_tIlEES8_S8_S8_S8_S8_S8_S8_S8_EEEEPS9_S9_NSD_9__find_if7functorIS9_EEEE10hipError_tPvRmT1_T2_T3_mT4_P12ihipStream_tbEUlT_E0_NS1_11comp_targetILNS1_3genE8ELNS1_11target_archE1030ELNS1_3gpuE2ELNS1_3repE0EEENS1_30default_config_static_selectorELNS0_4arch9wavefront6targetE1EEEvS14_
; %bb.0:
	.section	.rodata,"a",@progbits
	.p2align	6, 0x0
	.amdhsa_kernel _ZN7rocprim17ROCPRIM_400000_NS6detail17trampoline_kernelINS0_14default_configENS1_22reduce_config_selectorIN6thrust23THRUST_200600_302600_NS5tupleIblNS6_9null_typeES8_S8_S8_S8_S8_S8_S8_EEEEZNS1_11reduce_implILb1ES3_NS6_12zip_iteratorINS7_INS6_11hip_rocprim26transform_input_iterator_tIbNSD_35transform_pair_of_input_iterators_tIbNS6_6detail15normal_iteratorINS6_10device_ptrIKjEEEESL_NS6_8equal_toIjEEEENSG_9not_fun_tINSD_8identityEEEEENSD_19counting_iterator_tIlEES8_S8_S8_S8_S8_S8_S8_S8_EEEEPS9_S9_NSD_9__find_if7functorIS9_EEEE10hipError_tPvRmT1_T2_T3_mT4_P12ihipStream_tbEUlT_E0_NS1_11comp_targetILNS1_3genE8ELNS1_11target_archE1030ELNS1_3gpuE2ELNS1_3repE0EEENS1_30default_config_static_selectorELNS0_4arch9wavefront6targetE1EEEvS14_
		.amdhsa_group_segment_fixed_size 0
		.amdhsa_private_segment_fixed_size 0
		.amdhsa_kernarg_size 104
		.amdhsa_user_sgpr_count 2
		.amdhsa_user_sgpr_dispatch_ptr 0
		.amdhsa_user_sgpr_queue_ptr 0
		.amdhsa_user_sgpr_kernarg_segment_ptr 1
		.amdhsa_user_sgpr_dispatch_id 0
		.amdhsa_user_sgpr_kernarg_preload_length 0
		.amdhsa_user_sgpr_kernarg_preload_offset 0
		.amdhsa_user_sgpr_private_segment_size 0
		.amdhsa_uses_dynamic_stack 0
		.amdhsa_enable_private_segment 0
		.amdhsa_system_sgpr_workgroup_id_x 1
		.amdhsa_system_sgpr_workgroup_id_y 0
		.amdhsa_system_sgpr_workgroup_id_z 0
		.amdhsa_system_sgpr_workgroup_info 0
		.amdhsa_system_vgpr_workitem_id 0
		.amdhsa_next_free_vgpr 1
		.amdhsa_next_free_sgpr 0
		.amdhsa_accum_offset 4
		.amdhsa_reserve_vcc 0
		.amdhsa_float_round_mode_32 0
		.amdhsa_float_round_mode_16_64 0
		.amdhsa_float_denorm_mode_32 3
		.amdhsa_float_denorm_mode_16_64 3
		.amdhsa_dx10_clamp 1
		.amdhsa_ieee_mode 1
		.amdhsa_fp16_overflow 0
		.amdhsa_tg_split 0
		.amdhsa_exception_fp_ieee_invalid_op 0
		.amdhsa_exception_fp_denorm_src 0
		.amdhsa_exception_fp_ieee_div_zero 0
		.amdhsa_exception_fp_ieee_overflow 0
		.amdhsa_exception_fp_ieee_underflow 0
		.amdhsa_exception_fp_ieee_inexact 0
		.amdhsa_exception_int_div_zero 0
	.end_amdhsa_kernel
	.section	.text._ZN7rocprim17ROCPRIM_400000_NS6detail17trampoline_kernelINS0_14default_configENS1_22reduce_config_selectorIN6thrust23THRUST_200600_302600_NS5tupleIblNS6_9null_typeES8_S8_S8_S8_S8_S8_S8_EEEEZNS1_11reduce_implILb1ES3_NS6_12zip_iteratorINS7_INS6_11hip_rocprim26transform_input_iterator_tIbNSD_35transform_pair_of_input_iterators_tIbNS6_6detail15normal_iteratorINS6_10device_ptrIKjEEEESL_NS6_8equal_toIjEEEENSG_9not_fun_tINSD_8identityEEEEENSD_19counting_iterator_tIlEES8_S8_S8_S8_S8_S8_S8_S8_EEEEPS9_S9_NSD_9__find_if7functorIS9_EEEE10hipError_tPvRmT1_T2_T3_mT4_P12ihipStream_tbEUlT_E0_NS1_11comp_targetILNS1_3genE8ELNS1_11target_archE1030ELNS1_3gpuE2ELNS1_3repE0EEENS1_30default_config_static_selectorELNS0_4arch9wavefront6targetE1EEEvS14_,"axG",@progbits,_ZN7rocprim17ROCPRIM_400000_NS6detail17trampoline_kernelINS0_14default_configENS1_22reduce_config_selectorIN6thrust23THRUST_200600_302600_NS5tupleIblNS6_9null_typeES8_S8_S8_S8_S8_S8_S8_EEEEZNS1_11reduce_implILb1ES3_NS6_12zip_iteratorINS7_INS6_11hip_rocprim26transform_input_iterator_tIbNSD_35transform_pair_of_input_iterators_tIbNS6_6detail15normal_iteratorINS6_10device_ptrIKjEEEESL_NS6_8equal_toIjEEEENSG_9not_fun_tINSD_8identityEEEEENSD_19counting_iterator_tIlEES8_S8_S8_S8_S8_S8_S8_S8_EEEEPS9_S9_NSD_9__find_if7functorIS9_EEEE10hipError_tPvRmT1_T2_T3_mT4_P12ihipStream_tbEUlT_E0_NS1_11comp_targetILNS1_3genE8ELNS1_11target_archE1030ELNS1_3gpuE2ELNS1_3repE0EEENS1_30default_config_static_selectorELNS0_4arch9wavefront6targetE1EEEvS14_,comdat
.Lfunc_end813:
	.size	_ZN7rocprim17ROCPRIM_400000_NS6detail17trampoline_kernelINS0_14default_configENS1_22reduce_config_selectorIN6thrust23THRUST_200600_302600_NS5tupleIblNS6_9null_typeES8_S8_S8_S8_S8_S8_S8_EEEEZNS1_11reduce_implILb1ES3_NS6_12zip_iteratorINS7_INS6_11hip_rocprim26transform_input_iterator_tIbNSD_35transform_pair_of_input_iterators_tIbNS6_6detail15normal_iteratorINS6_10device_ptrIKjEEEESL_NS6_8equal_toIjEEEENSG_9not_fun_tINSD_8identityEEEEENSD_19counting_iterator_tIlEES8_S8_S8_S8_S8_S8_S8_S8_EEEEPS9_S9_NSD_9__find_if7functorIS9_EEEE10hipError_tPvRmT1_T2_T3_mT4_P12ihipStream_tbEUlT_E0_NS1_11comp_targetILNS1_3genE8ELNS1_11target_archE1030ELNS1_3gpuE2ELNS1_3repE0EEENS1_30default_config_static_selectorELNS0_4arch9wavefront6targetE1EEEvS14_, .Lfunc_end813-_ZN7rocprim17ROCPRIM_400000_NS6detail17trampoline_kernelINS0_14default_configENS1_22reduce_config_selectorIN6thrust23THRUST_200600_302600_NS5tupleIblNS6_9null_typeES8_S8_S8_S8_S8_S8_S8_EEEEZNS1_11reduce_implILb1ES3_NS6_12zip_iteratorINS7_INS6_11hip_rocprim26transform_input_iterator_tIbNSD_35transform_pair_of_input_iterators_tIbNS6_6detail15normal_iteratorINS6_10device_ptrIKjEEEESL_NS6_8equal_toIjEEEENSG_9not_fun_tINSD_8identityEEEEENSD_19counting_iterator_tIlEES8_S8_S8_S8_S8_S8_S8_S8_EEEEPS9_S9_NSD_9__find_if7functorIS9_EEEE10hipError_tPvRmT1_T2_T3_mT4_P12ihipStream_tbEUlT_E0_NS1_11comp_targetILNS1_3genE8ELNS1_11target_archE1030ELNS1_3gpuE2ELNS1_3repE0EEENS1_30default_config_static_selectorELNS0_4arch9wavefront6targetE1EEEvS14_
                                        ; -- End function
	.set _ZN7rocprim17ROCPRIM_400000_NS6detail17trampoline_kernelINS0_14default_configENS1_22reduce_config_selectorIN6thrust23THRUST_200600_302600_NS5tupleIblNS6_9null_typeES8_S8_S8_S8_S8_S8_S8_EEEEZNS1_11reduce_implILb1ES3_NS6_12zip_iteratorINS7_INS6_11hip_rocprim26transform_input_iterator_tIbNSD_35transform_pair_of_input_iterators_tIbNS6_6detail15normal_iteratorINS6_10device_ptrIKjEEEESL_NS6_8equal_toIjEEEENSG_9not_fun_tINSD_8identityEEEEENSD_19counting_iterator_tIlEES8_S8_S8_S8_S8_S8_S8_S8_EEEEPS9_S9_NSD_9__find_if7functorIS9_EEEE10hipError_tPvRmT1_T2_T3_mT4_P12ihipStream_tbEUlT_E0_NS1_11comp_targetILNS1_3genE8ELNS1_11target_archE1030ELNS1_3gpuE2ELNS1_3repE0EEENS1_30default_config_static_selectorELNS0_4arch9wavefront6targetE1EEEvS14_.num_vgpr, 0
	.set _ZN7rocprim17ROCPRIM_400000_NS6detail17trampoline_kernelINS0_14default_configENS1_22reduce_config_selectorIN6thrust23THRUST_200600_302600_NS5tupleIblNS6_9null_typeES8_S8_S8_S8_S8_S8_S8_EEEEZNS1_11reduce_implILb1ES3_NS6_12zip_iteratorINS7_INS6_11hip_rocprim26transform_input_iterator_tIbNSD_35transform_pair_of_input_iterators_tIbNS6_6detail15normal_iteratorINS6_10device_ptrIKjEEEESL_NS6_8equal_toIjEEEENSG_9not_fun_tINSD_8identityEEEEENSD_19counting_iterator_tIlEES8_S8_S8_S8_S8_S8_S8_S8_EEEEPS9_S9_NSD_9__find_if7functorIS9_EEEE10hipError_tPvRmT1_T2_T3_mT4_P12ihipStream_tbEUlT_E0_NS1_11comp_targetILNS1_3genE8ELNS1_11target_archE1030ELNS1_3gpuE2ELNS1_3repE0EEENS1_30default_config_static_selectorELNS0_4arch9wavefront6targetE1EEEvS14_.num_agpr, 0
	.set _ZN7rocprim17ROCPRIM_400000_NS6detail17trampoline_kernelINS0_14default_configENS1_22reduce_config_selectorIN6thrust23THRUST_200600_302600_NS5tupleIblNS6_9null_typeES8_S8_S8_S8_S8_S8_S8_EEEEZNS1_11reduce_implILb1ES3_NS6_12zip_iteratorINS7_INS6_11hip_rocprim26transform_input_iterator_tIbNSD_35transform_pair_of_input_iterators_tIbNS6_6detail15normal_iteratorINS6_10device_ptrIKjEEEESL_NS6_8equal_toIjEEEENSG_9not_fun_tINSD_8identityEEEEENSD_19counting_iterator_tIlEES8_S8_S8_S8_S8_S8_S8_S8_EEEEPS9_S9_NSD_9__find_if7functorIS9_EEEE10hipError_tPvRmT1_T2_T3_mT4_P12ihipStream_tbEUlT_E0_NS1_11comp_targetILNS1_3genE8ELNS1_11target_archE1030ELNS1_3gpuE2ELNS1_3repE0EEENS1_30default_config_static_selectorELNS0_4arch9wavefront6targetE1EEEvS14_.numbered_sgpr, 0
	.set _ZN7rocprim17ROCPRIM_400000_NS6detail17trampoline_kernelINS0_14default_configENS1_22reduce_config_selectorIN6thrust23THRUST_200600_302600_NS5tupleIblNS6_9null_typeES8_S8_S8_S8_S8_S8_S8_EEEEZNS1_11reduce_implILb1ES3_NS6_12zip_iteratorINS7_INS6_11hip_rocprim26transform_input_iterator_tIbNSD_35transform_pair_of_input_iterators_tIbNS6_6detail15normal_iteratorINS6_10device_ptrIKjEEEESL_NS6_8equal_toIjEEEENSG_9not_fun_tINSD_8identityEEEEENSD_19counting_iterator_tIlEES8_S8_S8_S8_S8_S8_S8_S8_EEEEPS9_S9_NSD_9__find_if7functorIS9_EEEE10hipError_tPvRmT1_T2_T3_mT4_P12ihipStream_tbEUlT_E0_NS1_11comp_targetILNS1_3genE8ELNS1_11target_archE1030ELNS1_3gpuE2ELNS1_3repE0EEENS1_30default_config_static_selectorELNS0_4arch9wavefront6targetE1EEEvS14_.num_named_barrier, 0
	.set _ZN7rocprim17ROCPRIM_400000_NS6detail17trampoline_kernelINS0_14default_configENS1_22reduce_config_selectorIN6thrust23THRUST_200600_302600_NS5tupleIblNS6_9null_typeES8_S8_S8_S8_S8_S8_S8_EEEEZNS1_11reduce_implILb1ES3_NS6_12zip_iteratorINS7_INS6_11hip_rocprim26transform_input_iterator_tIbNSD_35transform_pair_of_input_iterators_tIbNS6_6detail15normal_iteratorINS6_10device_ptrIKjEEEESL_NS6_8equal_toIjEEEENSG_9not_fun_tINSD_8identityEEEEENSD_19counting_iterator_tIlEES8_S8_S8_S8_S8_S8_S8_S8_EEEEPS9_S9_NSD_9__find_if7functorIS9_EEEE10hipError_tPvRmT1_T2_T3_mT4_P12ihipStream_tbEUlT_E0_NS1_11comp_targetILNS1_3genE8ELNS1_11target_archE1030ELNS1_3gpuE2ELNS1_3repE0EEENS1_30default_config_static_selectorELNS0_4arch9wavefront6targetE1EEEvS14_.private_seg_size, 0
	.set _ZN7rocprim17ROCPRIM_400000_NS6detail17trampoline_kernelINS0_14default_configENS1_22reduce_config_selectorIN6thrust23THRUST_200600_302600_NS5tupleIblNS6_9null_typeES8_S8_S8_S8_S8_S8_S8_EEEEZNS1_11reduce_implILb1ES3_NS6_12zip_iteratorINS7_INS6_11hip_rocprim26transform_input_iterator_tIbNSD_35transform_pair_of_input_iterators_tIbNS6_6detail15normal_iteratorINS6_10device_ptrIKjEEEESL_NS6_8equal_toIjEEEENSG_9not_fun_tINSD_8identityEEEEENSD_19counting_iterator_tIlEES8_S8_S8_S8_S8_S8_S8_S8_EEEEPS9_S9_NSD_9__find_if7functorIS9_EEEE10hipError_tPvRmT1_T2_T3_mT4_P12ihipStream_tbEUlT_E0_NS1_11comp_targetILNS1_3genE8ELNS1_11target_archE1030ELNS1_3gpuE2ELNS1_3repE0EEENS1_30default_config_static_selectorELNS0_4arch9wavefront6targetE1EEEvS14_.uses_vcc, 0
	.set _ZN7rocprim17ROCPRIM_400000_NS6detail17trampoline_kernelINS0_14default_configENS1_22reduce_config_selectorIN6thrust23THRUST_200600_302600_NS5tupleIblNS6_9null_typeES8_S8_S8_S8_S8_S8_S8_EEEEZNS1_11reduce_implILb1ES3_NS6_12zip_iteratorINS7_INS6_11hip_rocprim26transform_input_iterator_tIbNSD_35transform_pair_of_input_iterators_tIbNS6_6detail15normal_iteratorINS6_10device_ptrIKjEEEESL_NS6_8equal_toIjEEEENSG_9not_fun_tINSD_8identityEEEEENSD_19counting_iterator_tIlEES8_S8_S8_S8_S8_S8_S8_S8_EEEEPS9_S9_NSD_9__find_if7functorIS9_EEEE10hipError_tPvRmT1_T2_T3_mT4_P12ihipStream_tbEUlT_E0_NS1_11comp_targetILNS1_3genE8ELNS1_11target_archE1030ELNS1_3gpuE2ELNS1_3repE0EEENS1_30default_config_static_selectorELNS0_4arch9wavefront6targetE1EEEvS14_.uses_flat_scratch, 0
	.set _ZN7rocprim17ROCPRIM_400000_NS6detail17trampoline_kernelINS0_14default_configENS1_22reduce_config_selectorIN6thrust23THRUST_200600_302600_NS5tupleIblNS6_9null_typeES8_S8_S8_S8_S8_S8_S8_EEEEZNS1_11reduce_implILb1ES3_NS6_12zip_iteratorINS7_INS6_11hip_rocprim26transform_input_iterator_tIbNSD_35transform_pair_of_input_iterators_tIbNS6_6detail15normal_iteratorINS6_10device_ptrIKjEEEESL_NS6_8equal_toIjEEEENSG_9not_fun_tINSD_8identityEEEEENSD_19counting_iterator_tIlEES8_S8_S8_S8_S8_S8_S8_S8_EEEEPS9_S9_NSD_9__find_if7functorIS9_EEEE10hipError_tPvRmT1_T2_T3_mT4_P12ihipStream_tbEUlT_E0_NS1_11comp_targetILNS1_3genE8ELNS1_11target_archE1030ELNS1_3gpuE2ELNS1_3repE0EEENS1_30default_config_static_selectorELNS0_4arch9wavefront6targetE1EEEvS14_.has_dyn_sized_stack, 0
	.set _ZN7rocprim17ROCPRIM_400000_NS6detail17trampoline_kernelINS0_14default_configENS1_22reduce_config_selectorIN6thrust23THRUST_200600_302600_NS5tupleIblNS6_9null_typeES8_S8_S8_S8_S8_S8_S8_EEEEZNS1_11reduce_implILb1ES3_NS6_12zip_iteratorINS7_INS6_11hip_rocprim26transform_input_iterator_tIbNSD_35transform_pair_of_input_iterators_tIbNS6_6detail15normal_iteratorINS6_10device_ptrIKjEEEESL_NS6_8equal_toIjEEEENSG_9not_fun_tINSD_8identityEEEEENSD_19counting_iterator_tIlEES8_S8_S8_S8_S8_S8_S8_S8_EEEEPS9_S9_NSD_9__find_if7functorIS9_EEEE10hipError_tPvRmT1_T2_T3_mT4_P12ihipStream_tbEUlT_E0_NS1_11comp_targetILNS1_3genE8ELNS1_11target_archE1030ELNS1_3gpuE2ELNS1_3repE0EEENS1_30default_config_static_selectorELNS0_4arch9wavefront6targetE1EEEvS14_.has_recursion, 0
	.set _ZN7rocprim17ROCPRIM_400000_NS6detail17trampoline_kernelINS0_14default_configENS1_22reduce_config_selectorIN6thrust23THRUST_200600_302600_NS5tupleIblNS6_9null_typeES8_S8_S8_S8_S8_S8_S8_EEEEZNS1_11reduce_implILb1ES3_NS6_12zip_iteratorINS7_INS6_11hip_rocprim26transform_input_iterator_tIbNSD_35transform_pair_of_input_iterators_tIbNS6_6detail15normal_iteratorINS6_10device_ptrIKjEEEESL_NS6_8equal_toIjEEEENSG_9not_fun_tINSD_8identityEEEEENSD_19counting_iterator_tIlEES8_S8_S8_S8_S8_S8_S8_S8_EEEEPS9_S9_NSD_9__find_if7functorIS9_EEEE10hipError_tPvRmT1_T2_T3_mT4_P12ihipStream_tbEUlT_E0_NS1_11comp_targetILNS1_3genE8ELNS1_11target_archE1030ELNS1_3gpuE2ELNS1_3repE0EEENS1_30default_config_static_selectorELNS0_4arch9wavefront6targetE1EEEvS14_.has_indirect_call, 0
	.section	.AMDGPU.csdata,"",@progbits
; Kernel info:
; codeLenInByte = 0
; TotalNumSgprs: 6
; NumVgprs: 0
; NumAgprs: 0
; TotalNumVgprs: 0
; ScratchSize: 0
; MemoryBound: 0
; FloatMode: 240
; IeeeMode: 1
; LDSByteSize: 0 bytes/workgroup (compile time only)
; SGPRBlocks: 0
; VGPRBlocks: 0
; NumSGPRsForWavesPerEU: 6
; NumVGPRsForWavesPerEU: 1
; AccumOffset: 4
; Occupancy: 8
; WaveLimiterHint : 0
; COMPUTE_PGM_RSRC2:SCRATCH_EN: 0
; COMPUTE_PGM_RSRC2:USER_SGPR: 2
; COMPUTE_PGM_RSRC2:TRAP_HANDLER: 0
; COMPUTE_PGM_RSRC2:TGID_X_EN: 1
; COMPUTE_PGM_RSRC2:TGID_Y_EN: 0
; COMPUTE_PGM_RSRC2:TGID_Z_EN: 0
; COMPUTE_PGM_RSRC2:TIDIG_COMP_CNT: 0
; COMPUTE_PGM_RSRC3_GFX90A:ACCUM_OFFSET: 0
; COMPUTE_PGM_RSRC3_GFX90A:TG_SPLIT: 0
	.section	.text._ZN7rocprim17ROCPRIM_400000_NS6detail17trampoline_kernelINS0_14default_configENS1_22reduce_config_selectorIN6thrust23THRUST_200600_302600_NS5tupleIblNS6_9null_typeES8_S8_S8_S8_S8_S8_S8_EEEEZNS1_11reduce_implILb1ES3_NS6_12zip_iteratorINS7_INS6_11hip_rocprim26transform_input_iterator_tIbNSD_35transform_pair_of_input_iterators_tIbNS6_6detail15normal_iteratorINS6_10device_ptrIKjEEEESL_NS6_8equal_toIjEEEENSG_9not_fun_tINSD_8identityEEEEENSD_19counting_iterator_tIlEES8_S8_S8_S8_S8_S8_S8_S8_EEEEPS9_S9_NSD_9__find_if7functorIS9_EEEE10hipError_tPvRmT1_T2_T3_mT4_P12ihipStream_tbEUlT_E1_NS1_11comp_targetILNS1_3genE0ELNS1_11target_archE4294967295ELNS1_3gpuE0ELNS1_3repE0EEENS1_30default_config_static_selectorELNS0_4arch9wavefront6targetE1EEEvS14_,"axG",@progbits,_ZN7rocprim17ROCPRIM_400000_NS6detail17trampoline_kernelINS0_14default_configENS1_22reduce_config_selectorIN6thrust23THRUST_200600_302600_NS5tupleIblNS6_9null_typeES8_S8_S8_S8_S8_S8_S8_EEEEZNS1_11reduce_implILb1ES3_NS6_12zip_iteratorINS7_INS6_11hip_rocprim26transform_input_iterator_tIbNSD_35transform_pair_of_input_iterators_tIbNS6_6detail15normal_iteratorINS6_10device_ptrIKjEEEESL_NS6_8equal_toIjEEEENSG_9not_fun_tINSD_8identityEEEEENSD_19counting_iterator_tIlEES8_S8_S8_S8_S8_S8_S8_S8_EEEEPS9_S9_NSD_9__find_if7functorIS9_EEEE10hipError_tPvRmT1_T2_T3_mT4_P12ihipStream_tbEUlT_E1_NS1_11comp_targetILNS1_3genE0ELNS1_11target_archE4294967295ELNS1_3gpuE0ELNS1_3repE0EEENS1_30default_config_static_selectorELNS0_4arch9wavefront6targetE1EEEvS14_,comdat
	.protected	_ZN7rocprim17ROCPRIM_400000_NS6detail17trampoline_kernelINS0_14default_configENS1_22reduce_config_selectorIN6thrust23THRUST_200600_302600_NS5tupleIblNS6_9null_typeES8_S8_S8_S8_S8_S8_S8_EEEEZNS1_11reduce_implILb1ES3_NS6_12zip_iteratorINS7_INS6_11hip_rocprim26transform_input_iterator_tIbNSD_35transform_pair_of_input_iterators_tIbNS6_6detail15normal_iteratorINS6_10device_ptrIKjEEEESL_NS6_8equal_toIjEEEENSG_9not_fun_tINSD_8identityEEEEENSD_19counting_iterator_tIlEES8_S8_S8_S8_S8_S8_S8_S8_EEEEPS9_S9_NSD_9__find_if7functorIS9_EEEE10hipError_tPvRmT1_T2_T3_mT4_P12ihipStream_tbEUlT_E1_NS1_11comp_targetILNS1_3genE0ELNS1_11target_archE4294967295ELNS1_3gpuE0ELNS1_3repE0EEENS1_30default_config_static_selectorELNS0_4arch9wavefront6targetE1EEEvS14_ ; -- Begin function _ZN7rocprim17ROCPRIM_400000_NS6detail17trampoline_kernelINS0_14default_configENS1_22reduce_config_selectorIN6thrust23THRUST_200600_302600_NS5tupleIblNS6_9null_typeES8_S8_S8_S8_S8_S8_S8_EEEEZNS1_11reduce_implILb1ES3_NS6_12zip_iteratorINS7_INS6_11hip_rocprim26transform_input_iterator_tIbNSD_35transform_pair_of_input_iterators_tIbNS6_6detail15normal_iteratorINS6_10device_ptrIKjEEEESL_NS6_8equal_toIjEEEENSG_9not_fun_tINSD_8identityEEEEENSD_19counting_iterator_tIlEES8_S8_S8_S8_S8_S8_S8_S8_EEEEPS9_S9_NSD_9__find_if7functorIS9_EEEE10hipError_tPvRmT1_T2_T3_mT4_P12ihipStream_tbEUlT_E1_NS1_11comp_targetILNS1_3genE0ELNS1_11target_archE4294967295ELNS1_3gpuE0ELNS1_3repE0EEENS1_30default_config_static_selectorELNS0_4arch9wavefront6targetE1EEEvS14_
	.globl	_ZN7rocprim17ROCPRIM_400000_NS6detail17trampoline_kernelINS0_14default_configENS1_22reduce_config_selectorIN6thrust23THRUST_200600_302600_NS5tupleIblNS6_9null_typeES8_S8_S8_S8_S8_S8_S8_EEEEZNS1_11reduce_implILb1ES3_NS6_12zip_iteratorINS7_INS6_11hip_rocprim26transform_input_iterator_tIbNSD_35transform_pair_of_input_iterators_tIbNS6_6detail15normal_iteratorINS6_10device_ptrIKjEEEESL_NS6_8equal_toIjEEEENSG_9not_fun_tINSD_8identityEEEEENSD_19counting_iterator_tIlEES8_S8_S8_S8_S8_S8_S8_S8_EEEEPS9_S9_NSD_9__find_if7functorIS9_EEEE10hipError_tPvRmT1_T2_T3_mT4_P12ihipStream_tbEUlT_E1_NS1_11comp_targetILNS1_3genE0ELNS1_11target_archE4294967295ELNS1_3gpuE0ELNS1_3repE0EEENS1_30default_config_static_selectorELNS0_4arch9wavefront6targetE1EEEvS14_
	.p2align	8
	.type	_ZN7rocprim17ROCPRIM_400000_NS6detail17trampoline_kernelINS0_14default_configENS1_22reduce_config_selectorIN6thrust23THRUST_200600_302600_NS5tupleIblNS6_9null_typeES8_S8_S8_S8_S8_S8_S8_EEEEZNS1_11reduce_implILb1ES3_NS6_12zip_iteratorINS7_INS6_11hip_rocprim26transform_input_iterator_tIbNSD_35transform_pair_of_input_iterators_tIbNS6_6detail15normal_iteratorINS6_10device_ptrIKjEEEESL_NS6_8equal_toIjEEEENSG_9not_fun_tINSD_8identityEEEEENSD_19counting_iterator_tIlEES8_S8_S8_S8_S8_S8_S8_S8_EEEEPS9_S9_NSD_9__find_if7functorIS9_EEEE10hipError_tPvRmT1_T2_T3_mT4_P12ihipStream_tbEUlT_E1_NS1_11comp_targetILNS1_3genE0ELNS1_11target_archE4294967295ELNS1_3gpuE0ELNS1_3repE0EEENS1_30default_config_static_selectorELNS0_4arch9wavefront6targetE1EEEvS14_,@function
_ZN7rocprim17ROCPRIM_400000_NS6detail17trampoline_kernelINS0_14default_configENS1_22reduce_config_selectorIN6thrust23THRUST_200600_302600_NS5tupleIblNS6_9null_typeES8_S8_S8_S8_S8_S8_S8_EEEEZNS1_11reduce_implILb1ES3_NS6_12zip_iteratorINS7_INS6_11hip_rocprim26transform_input_iterator_tIbNSD_35transform_pair_of_input_iterators_tIbNS6_6detail15normal_iteratorINS6_10device_ptrIKjEEEESL_NS6_8equal_toIjEEEENSG_9not_fun_tINSD_8identityEEEEENSD_19counting_iterator_tIlEES8_S8_S8_S8_S8_S8_S8_S8_EEEEPS9_S9_NSD_9__find_if7functorIS9_EEEE10hipError_tPvRmT1_T2_T3_mT4_P12ihipStream_tbEUlT_E1_NS1_11comp_targetILNS1_3genE0ELNS1_11target_archE4294967295ELNS1_3gpuE0ELNS1_3repE0EEENS1_30default_config_static_selectorELNS0_4arch9wavefront6targetE1EEEvS14_: ; @_ZN7rocprim17ROCPRIM_400000_NS6detail17trampoline_kernelINS0_14default_configENS1_22reduce_config_selectorIN6thrust23THRUST_200600_302600_NS5tupleIblNS6_9null_typeES8_S8_S8_S8_S8_S8_S8_EEEEZNS1_11reduce_implILb1ES3_NS6_12zip_iteratorINS7_INS6_11hip_rocprim26transform_input_iterator_tIbNSD_35transform_pair_of_input_iterators_tIbNS6_6detail15normal_iteratorINS6_10device_ptrIKjEEEESL_NS6_8equal_toIjEEEENSG_9not_fun_tINSD_8identityEEEEENSD_19counting_iterator_tIlEES8_S8_S8_S8_S8_S8_S8_S8_EEEEPS9_S9_NSD_9__find_if7functorIS9_EEEE10hipError_tPvRmT1_T2_T3_mT4_P12ihipStream_tbEUlT_E1_NS1_11comp_targetILNS1_3genE0ELNS1_11target_archE4294967295ELNS1_3gpuE0ELNS1_3repE0EEENS1_30default_config_static_selectorELNS0_4arch9wavefront6targetE1EEEvS14_
; %bb.0:
	s_load_dword s40, s[0:1], 0x4
	s_load_dwordx4 s[24:27], s[0:1], 0x8
	s_load_dwordx4 s[20:23], s[0:1], 0x28
	s_load_dword s33, s[0:1], 0x40
	s_load_dwordx2 s[18:19], s[0:1], 0x48
	s_waitcnt lgkmcnt(0)
	s_cmp_lt_i32 s40, 4
	s_cbranch_scc1 .LBB814_13
; %bb.1:
	s_cmp_gt_i32 s40, 7
	s_cbranch_scc0 .LBB814_14
; %bb.2:
	s_cmp_eq_u32 s40, 8
	s_mov_b64 s[28:29], 0
	s_cbranch_scc0 .LBB814_15
; %bb.3:
	s_mov_b32 s3, 0
	s_lshl_b32 s38, s2, 10
	s_mov_b32 s39, s3
	s_lshr_b64 s[4:5], s[22:23], 10
	s_lshl_b64 s[6:7], s[38:39], 2
	s_add_u32 s30, s24, s6
	s_addc_u32 s31, s25, s7
	s_add_u32 s34, s26, s6
	s_addc_u32 s35, s27, s7
	;; [unrolled: 2-line block ×3, first 2 shown]
	s_cmp_lg_u64 s[4:5], s[2:3]
	s_cbranch_scc0 .LBB814_28
; %bb.4:
	v_lshlrev_b32_e32 v1, 2, v0
	global_load_dword v5, v1, s[34:35] offset:512
	global_load_dword v6, v1, s[34:35] offset:1024
	global_load_dword v8, v1, s[34:35] offset:2048
	global_load_dword v9, v1, s[34:35] offset:3072
	global_load_dword v10, v1, s[34:35] offset:3584
	global_load_dword v11, v1, s[30:31] offset:1024
	global_load_dword v12, v1, s[30:31] offset:2048
	global_load_dword v13, v1, s[30:31] offset:3072
	global_load_dword v14, v1, s[30:31] offset:3584
	global_load_dword v15, v1, s[30:31] offset:512
	global_load_dword v16, v1, s[30:31] offset:1536
	global_load_dword v17, v1, s[34:35] offset:1536
	global_load_dword v18, v1, s[34:35] offset:2560
	global_load_dword v19, v1, s[30:31] offset:2560
	global_load_dword v20, v1, s[30:31]
	global_load_dword v21, v1, s[34:35]
	v_mov_b32_e32 v1, 0
	v_mov_b32_e32 v22, 0x100
	;; [unrolled: 1-line block ×3, first 2 shown]
	v_lshl_add_u64 v[2:3], s[36:37], 0, v[0:1]
	v_mov_b32_e32 v7, v1
	v_mov_b32_e32 v24, 0x200
	;; [unrolled: 1-line block ×6, first 2 shown]
	v_mbcnt_lo_u32_b32 v4, -1, 0
	v_mbcnt_hi_u32_b32 v4, -1, v4
	s_waitcnt vmcnt(10)
	v_cmp_ne_u32_e32 vcc, v11, v6
	s_waitcnt vmcnt(9)
	v_cmp_ne_u32_e64 s[4:5], v12, v8
	s_waitcnt vmcnt(8)
	v_cmp_ne_u32_e64 s[6:7], v13, v9
	;; [unrolled: 2-line block ×5, first 2 shown]
	v_cndmask_b32_e64 v1, v22, v23, s[10:11]
	s_nop 0
	v_cndmask_b32_e64 v5, v24, v25, s[12:13]
	s_waitcnt vmcnt(2)
	v_cmp_ne_u32_e64 s[14:15], v19, v18
	s_waitcnt vmcnt(0)
	v_cmp_ne_u32_e64 s[16:17], v20, v21
	s_or_b64 s[10:11], s[16:17], s[10:11]
	s_or_b64 vcc, s[10:11], vcc
	v_cndmask_b32_e64 v1, v1, 0, s[16:17]
	s_or_b64 s[10:11], vcc, s[12:13]
	v_cndmask_b32_e32 v1, v5, v1, vcc
	s_or_b64 vcc, s[10:11], s[4:5]
	v_cndmask_b32_e64 v6, v26, v27, s[14:15]
	s_or_b64 s[4:5], vcc, s[14:15]
	v_cndmask_b32_e32 v1, v6, v1, vcc
	s_or_b64 vcc, s[4:5], s[6:7]
	v_cndmask_b32_e32 v6, v28, v1, vcc
	v_lshl_add_u64 v[2:3], v[2:3], 0, v[6:7]
	s_or_b64 s[4:5], vcc, s[8:9]
	v_cndmask_b32_e64 v1, 0, 1, s[4:5]
	v_mov_b32_dpp v6, v2 quad_perm:[1,0,3,2] row_mask:0xf bank_mask:0xf bound_ctrl:1
	v_mov_b32_dpp v7, v3 quad_perm:[1,0,3,2] row_mask:0xf bank_mask:0xf bound_ctrl:1
	;; [unrolled: 1-line block ×3, first 2 shown]
	v_cmp_lt_i64_e32 vcc, v[2:3], v[6:7]
	v_and_b32_e32 v5, 1, v5
	s_and_b64 vcc, s[4:5], vcc
	v_cndmask_b32_e32 v6, v6, v2, vcc
	v_cndmask_b32_e32 v7, v7, v3, vcc
	v_cmp_eq_u32_e32 vcc, 1, v5
	s_nop 1
	v_cndmask_b32_e32 v3, v3, v7, vcc
	v_cndmask_b32_e32 v2, v2, v6, vcc
	v_cndmask_b32_e64 v1, v1, 1, vcc
	v_mov_b32_dpp v7, v3 quad_perm:[2,3,0,1] row_mask:0xf bank_mask:0xf bound_ctrl:1
	v_mov_b32_dpp v6, v2 quad_perm:[2,3,0,1] row_mask:0xf bank_mask:0xf bound_ctrl:1
	;; [unrolled: 1-line block ×3, first 2 shown]
	v_and_b32_e32 v8, 1, v1
	v_and_b32_e32 v5, 1, v5
	v_cmp_eq_u32_e32 vcc, 1, v8
	v_cmp_lt_i64_e64 s[4:5], v[2:3], v[6:7]
	v_cmp_eq_u32_e64 s[6:7], 1, v5
	s_and_b64 vcc, vcc, s[4:5]
	v_cndmask_b32_e32 v5, v6, v2, vcc
	v_cndmask_b32_e64 v1, v1, 1, s[6:7]
	v_cndmask_b32_e32 v6, v7, v3, vcc
	v_cndmask_b32_e64 v2, v2, v5, s[6:7]
	v_and_b32_e32 v7, 1, v1
	v_cndmask_b32_e64 v3, v3, v6, s[6:7]
	v_mov_b32_dpp v6, v2 row_ror:4 row_mask:0xf bank_mask:0xf bound_ctrl:1
	v_cmp_eq_u32_e32 vcc, 1, v7
	v_mov_b32_dpp v7, v3 row_ror:4 row_mask:0xf bank_mask:0xf bound_ctrl:1
	v_mov_b32_dpp v5, v1 row_ror:4 row_mask:0xf bank_mask:0xf bound_ctrl:1
	v_cmp_lt_i64_e64 s[6:7], v[2:3], v[6:7]
	v_and_b32_e32 v5, 1, v5
	s_and_b64 vcc, vcc, s[6:7]
	v_cmp_eq_u32_e64 s[4:5], 1, v5
	v_cndmask_b32_e32 v6, v6, v2, vcc
	v_cndmask_b32_e32 v7, v7, v3, vcc
	v_cndmask_b32_e64 v1, v1, 1, s[4:5]
	v_cndmask_b32_e64 v2, v2, v6, s[4:5]
	;; [unrolled: 1-line block ×3, first 2 shown]
	v_and_b32_e32 v8, 1, v1
	v_mov_b32_dpp v6, v2 row_ror:8 row_mask:0xf bank_mask:0xf bound_ctrl:1
	v_mov_b32_dpp v7, v3 row_ror:8 row_mask:0xf bank_mask:0xf bound_ctrl:1
	;; [unrolled: 1-line block ×3, first 2 shown]
	v_cmp_eq_u32_e64 s[6:7], 1, v8
	v_cmp_lt_i64_e64 s[4:5], v[2:3], v[6:7]
	v_and_b32_e32 v5, 1, v5
	s_and_b64 s[4:5], s[6:7], s[4:5]
	v_cmp_eq_u32_e32 vcc, 1, v5
	v_cndmask_b32_e64 v6, v6, v2, s[4:5]
	v_cndmask_b32_e64 v7, v7, v3, s[4:5]
	v_cndmask_b32_e64 v1, v1, 1, vcc
	v_cndmask_b32_e32 v2, v2, v6, vcc
	v_cndmask_b32_e32 v3, v3, v7, vcc
	v_and_b32_e32 v8, 1, v1
	v_mov_b32_dpp v6, v2 row_bcast:15 row_mask:0xf bank_mask:0xf bound_ctrl:1
	v_mov_b32_dpp v7, v3 row_bcast:15 row_mask:0xf bank_mask:0xf bound_ctrl:1
	;; [unrolled: 1-line block ×3, first 2 shown]
	v_cmp_eq_u32_e32 vcc, 1, v8
	v_cmp_lt_i64_e64 s[4:5], v[2:3], v[6:7]
	v_and_b32_e32 v5, 1, v5
	s_and_b64 vcc, vcc, s[4:5]
	v_cmp_eq_u32_e64 s[6:7], 1, v5
	v_cndmask_b32_e32 v5, v6, v2, vcc
	v_cndmask_b32_e32 v6, v7, v3, vcc
	v_cndmask_b32_e64 v1, v1, 1, s[6:7]
	v_cndmask_b32_e64 v3, v3, v6, s[6:7]
	;; [unrolled: 1-line block ×3, first 2 shown]
	v_and_b32_e32 v8, 1, v1
	v_mov_b32_dpp v7, v3 row_bcast:31 row_mask:0xf bank_mask:0xf bound_ctrl:1
	v_mov_b32_dpp v6, v2 row_bcast:31 row_mask:0xf bank_mask:0xf bound_ctrl:1
	;; [unrolled: 1-line block ×3, first 2 shown]
	v_cmp_eq_u32_e32 vcc, 1, v8
	v_cmp_lt_i64_e64 s[4:5], v[2:3], v[6:7]
	v_and_b32_e32 v5, 1, v5
	s_and_b64 vcc, vcc, s[4:5]
	v_cmp_eq_u32_e64 s[6:7], 1, v5
	v_cndmask_b32_e32 v5, v6, v2, vcc
	v_cndmask_b32_e32 v6, v7, v3, vcc
	v_cndmask_b32_e64 v3, v3, v6, s[6:7]
	v_lshlrev_b32_e32 v6, 2, v4
	v_cndmask_b32_e64 v1, v1, 1, s[6:7]
	v_cndmask_b32_e64 v2, v2, v5, s[6:7]
	v_or_b32_e32 v5, 0xfc, v6
	ds_bpermute_b32 v1, v5, v1
	ds_bpermute_b32 v2, v5, v2
	;; [unrolled: 1-line block ×3, first 2 shown]
	v_cmp_eq_u32_e32 vcc, 0, v4
	s_and_saveexec_b64 s[4:5], vcc
	s_cbranch_execz .LBB814_6
; %bb.5:
	v_lshrrev_b32_e32 v5, 2, v0
	v_and_b32_e32 v5, 16, v5
	s_waitcnt lgkmcnt(2)
	ds_write_b8 v5, v1 offset:96
	s_waitcnt lgkmcnt(1)
	ds_write_b64 v5, v[2:3] offset:104
.LBB814_6:
	s_or_b64 exec, exec, s[4:5]
	v_cmp_gt_u32_e32 vcc, 64, v0
	s_waitcnt lgkmcnt(0)
	s_barrier
	s_and_saveexec_b64 s[4:5], vcc
	s_cbranch_execz .LBB814_12
; %bb.7:
	v_and_b32_e32 v1, 1, v4
	v_lshlrev_b32_e32 v1, 4, v1
	ds_read_u8 v8, v1 offset:96
	ds_read_b64 v[4:5], v1 offset:104
	v_or_b32_e32 v2, 4, v6
	s_waitcnt lgkmcnt(1)
	v_and_b32_e32 v1, 0xff, v8
	ds_bpermute_b32 v9, v2, v1
	s_waitcnt lgkmcnt(1)
	ds_bpermute_b32 v6, v2, v4
	ds_bpermute_b32 v7, v2, v5
                                        ; implicit-def: $vgpr2_vgpr3
	s_waitcnt lgkmcnt(2)
	v_and_b32_e32 v1, v8, v9
	v_and_b32_e32 v1, 1, v1
	v_cmp_eq_u32_e32 vcc, 1, v1
	s_and_saveexec_b64 s[6:7], vcc
	s_xor_b64 s[6:7], exec, s[6:7]
	s_cbranch_execz .LBB814_9
; %bb.8:
	s_waitcnt lgkmcnt(0)
	v_cmp_lt_i64_e32 vcc, v[6:7], v[4:5]
                                        ; implicit-def: $vgpr8
                                        ; implicit-def: $vgpr9
	s_nop 1
	v_cndmask_b32_e32 v3, v5, v7, vcc
	v_cndmask_b32_e32 v2, v4, v6, vcc
                                        ; implicit-def: $vgpr6_vgpr7
                                        ; implicit-def: $vgpr4_vgpr5
.LBB814_9:
	s_or_saveexec_b64 s[6:7], s[6:7]
	v_mov_b32_e32 v1, 1
	s_xor_b64 exec, exec, s[6:7]
	s_cbranch_execz .LBB814_11
; %bb.10:
	v_and_b32_e32 v1, 1, v8
	v_cmp_eq_u32_e32 vcc, 1, v1
	s_waitcnt lgkmcnt(0)
	s_nop 0
	v_cndmask_b32_e32 v3, v7, v5, vcc
	v_cndmask_b32_e32 v2, v6, v4, vcc
	v_cndmask_b32_e64 v1, v9, 1, vcc
.LBB814_11:
	s_or_b64 exec, exec, s[6:7]
.LBB814_12:
	s_or_b64 exec, exec, s[4:5]
	s_branch .LBB814_145
.LBB814_13:
	s_mov_b64 s[12:13], 0
                                        ; implicit-def: $vgpr4_vgpr5
                                        ; implicit-def: $vgpr6
                                        ; implicit-def: $vgpr2_vgpr3
	s_cbranch_execnz .LBB814_219
	s_branch .LBB814_306
.LBB814_14:
	s_mov_b64 s[28:29], -1
.LBB814_15:
	s_mov_b64 s[12:13], 0
                                        ; implicit-def: $vgpr4_vgpr5
                                        ; implicit-def: $vgpr6
                                        ; implicit-def: $vgpr2_vgpr3
	s_and_b64 vcc, exec, s[28:29]
	s_cbranch_vccz .LBB814_150
.LBB814_16:
	s_cmp_eq_u32 s40, 4
	s_cbranch_scc0 .LBB814_27
; %bb.17:
	s_mov_b32 s3, 0
	s_lshl_b32 s30, s2, 9
	s_mov_b32 s31, s3
	s_lshr_b64 s[4:5], s[22:23], 9
	s_lshl_b64 s[6:7], s[30:31], 2
	s_add_u32 s14, s24, s6
	s_addc_u32 s15, s25, s7
	s_add_u32 s16, s26, s6
	s_addc_u32 s17, s27, s7
	;; [unrolled: 2-line block ×3, first 2 shown]
	s_cmp_lg_u64 s[4:5], s[2:3]
	s_cbranch_scc0 .LBB814_51
; %bb.18:
	v_lshlrev_b32_e32 v1, 2, v0
	s_waitcnt lgkmcnt(0)
	global_load_dword v5, v1, s[16:17] offset:512
	global_load_dword v7, v1, s[14:15] offset:1024
	global_load_dword v8, v1, s[16:17] offset:1024
	global_load_dword v10, v1, s[16:17] offset:1536
	global_load_dword v11, v1, s[14:15] offset:1536
	global_load_dword v12, v1, s[14:15] offset:512
	global_load_dword v13, v1, s[16:17]
	global_load_dword v14, v1, s[14:15]
	v_mov_b32_e32 v1, 0
	v_mov_b32_e32 v15, 0x100
	;; [unrolled: 1-line block ×3, first 2 shown]
	v_lshl_add_u64 v[2:3], s[28:29], 0, v[0:1]
	v_mov_b32_e32 v9, v1
	v_mov_b32_e32 v17, 0x180
	v_mbcnt_lo_u32_b32 v4, -1, 0
	v_mbcnt_hi_u32_b32 v4, -1, v4
	v_lshlrev_b32_e32 v6, 2, v4
	v_or_b32_e32 v18, 0xfc, v6
	s_waitcnt vmcnt(5)
	v_cmp_ne_u32_e32 vcc, v7, v8
	s_waitcnt vmcnt(3)
	v_cmp_ne_u32_e64 s[4:5], v11, v10
	s_waitcnt vmcnt(2)
	v_cmp_ne_u32_e64 s[6:7], v12, v5
	;; [unrolled: 2-line block ×3, first 2 shown]
	v_cndmask_b32_e64 v1, v15, v16, s[6:7]
	s_or_b64 s[6:7], s[8:9], s[6:7]
	v_cndmask_b32_e64 v1, v1, 0, s[8:9]
	s_or_b64 vcc, s[6:7], vcc
	v_cndmask_b32_e32 v8, v17, v1, vcc
	v_lshl_add_u64 v[2:3], v[2:3], 0, v[8:9]
	s_or_b64 s[4:5], vcc, s[4:5]
	v_cndmask_b32_e64 v1, 0, 1, s[4:5]
	v_mov_b32_dpp v8, v2 quad_perm:[1,0,3,2] row_mask:0xf bank_mask:0xf bound_ctrl:1
	v_mov_b32_dpp v9, v3 quad_perm:[1,0,3,2] row_mask:0xf bank_mask:0xf bound_ctrl:1
	;; [unrolled: 1-line block ×3, first 2 shown]
	v_cmp_lt_i64_e32 vcc, v[2:3], v[8:9]
	v_and_b32_e32 v5, 1, v5
	s_and_b64 vcc, s[4:5], vcc
	v_cndmask_b32_e32 v7, v8, v2, vcc
	v_cndmask_b32_e32 v8, v9, v3, vcc
	v_cmp_eq_u32_e32 vcc, 1, v5
	s_nop 1
	v_cndmask_b32_e32 v3, v3, v8, vcc
	v_cndmask_b32_e32 v2, v2, v7, vcc
	v_cndmask_b32_e64 v1, v1, 1, vcc
	v_mov_b32_dpp v9, v3 quad_perm:[2,3,0,1] row_mask:0xf bank_mask:0xf bound_ctrl:1
	v_mov_b32_dpp v8, v2 quad_perm:[2,3,0,1] row_mask:0xf bank_mask:0xf bound_ctrl:1
	;; [unrolled: 1-line block ×3, first 2 shown]
	v_and_b32_e32 v7, 1, v1
	v_and_b32_e32 v5, 1, v5
	v_cmp_eq_u32_e32 vcc, 1, v7
	v_cmp_lt_i64_e64 s[4:5], v[2:3], v[8:9]
	v_cmp_eq_u32_e64 s[6:7], 1, v5
	s_and_b64 vcc, vcc, s[4:5]
	v_cndmask_b32_e32 v5, v8, v2, vcc
	v_cndmask_b32_e64 v1, v1, 1, s[6:7]
	v_cndmask_b32_e64 v2, v2, v5, s[6:7]
	v_cndmask_b32_e32 v7, v9, v3, vcc
	v_mov_b32_dpp v5, v1 row_ror:4 row_mask:0xf bank_mask:0xf bound_ctrl:1
	v_and_b32_e32 v5, 1, v5
	v_and_b32_e32 v9, 1, v1
	v_cndmask_b32_e64 v3, v3, v7, s[6:7]
	v_cmp_eq_u32_e64 s[4:5], 1, v5
	v_mov_b32_dpp v8, v2 row_ror:4 row_mask:0xf bank_mask:0xf bound_ctrl:1
	v_cmp_eq_u32_e32 vcc, 1, v9
	v_mov_b32_dpp v9, v3 row_ror:4 row_mask:0xf bank_mask:0xf bound_ctrl:1
	v_cndmask_b32_e64 v1, v1, 1, s[4:5]
	v_cmp_lt_i64_e64 s[6:7], v[2:3], v[8:9]
	v_and_b32_e32 v7, 1, v1
	v_mov_b32_dpp v5, v1 row_ror:8 row_mask:0xf bank_mask:0xf bound_ctrl:1
	s_and_b64 vcc, vcc, s[6:7]
	v_and_b32_e32 v5, 1, v5
	v_cndmask_b32_e32 v8, v8, v2, vcc
	v_cmp_eq_u32_e64 s[6:7], 1, v7
	v_cndmask_b32_e32 v7, v9, v3, vcc
	v_cmp_eq_u32_e32 vcc, 1, v5
	v_cndmask_b32_e64 v2, v2, v8, s[4:5]
	v_cndmask_b32_e64 v3, v3, v7, s[4:5]
	v_cndmask_b32_e64 v1, v1, 1, vcc
	v_mov_b32_dpp v8, v2 row_ror:8 row_mask:0xf bank_mask:0xf bound_ctrl:1
	v_mov_b32_dpp v9, v3 row_ror:8 row_mask:0xf bank_mask:0xf bound_ctrl:1
	v_mov_b32_dpp v5, v1 row_bcast:15 row_mask:0xf bank_mask:0xf bound_ctrl:1
	v_and_b32_e32 v5, 1, v5
	v_cmp_lt_i64_e64 s[8:9], v[2:3], v[8:9]
	v_cmp_eq_u32_e64 s[10:11], 1, v5
	s_and_b64 s[6:7], s[6:7], s[8:9]
	v_and_b32_e32 v7, 1, v1
	v_cndmask_b32_e64 v1, v1, 1, s[10:11]
	v_cndmask_b32_e64 v5, v8, v2, s[6:7]
	;; [unrolled: 1-line block ×3, first 2 shown]
	v_and_b32_e32 v8, 1, v1
	v_cndmask_b32_e32 v2, v2, v5, vcc
	v_cndmask_b32_e32 v3, v3, v9, vcc
	v_cmp_eq_u32_e64 s[6:7], 1, v8
	v_mov_b32_dpp v8, v2 row_bcast:15 row_mask:0xf bank_mask:0xf bound_ctrl:1
	v_mov_b32_dpp v9, v3 row_bcast:15 row_mask:0xf bank_mask:0xf bound_ctrl:1
	v_cmp_eq_u32_e64 s[4:5], 1, v7
	v_mov_b32_dpp v7, v1 row_bcast:31 row_mask:0xf bank_mask:0xf bound_ctrl:1
	v_cmp_lt_i64_e64 s[8:9], v[2:3], v[8:9]
	v_and_b32_e32 v5, 1, v7
	s_and_b64 s[4:5], s[4:5], s[8:9]
	v_cmp_eq_u32_e32 vcc, 1, v5
	v_cndmask_b32_e64 v5, v8, v2, s[4:5]
	v_cndmask_b32_e64 v7, v9, v3, s[4:5]
	;; [unrolled: 1-line block ×4, first 2 shown]
	v_cndmask_b32_e64 v1, v1, 1, vcc
	v_mov_b32_dpp v8, v2 row_bcast:31 row_mask:0xf bank_mask:0xf bound_ctrl:1
	v_mov_b32_dpp v9, v3 row_bcast:31 row_mask:0xf bank_mask:0xf bound_ctrl:1
	v_cmp_lt_i64_e64 s[4:5], v[2:3], v[8:9]
	s_and_b64 s[4:5], s[6:7], s[4:5]
	ds_bpermute_b32 v1, v18, v1
	v_cndmask_b32_e64 v5, v8, v2, s[4:5]
	v_cndmask_b32_e64 v7, v9, v3, s[4:5]
	v_cndmask_b32_e32 v2, v2, v5, vcc
	v_cndmask_b32_e32 v3, v3, v7, vcc
	ds_bpermute_b32 v2, v18, v2
	ds_bpermute_b32 v3, v18, v3
	v_cmp_eq_u32_e32 vcc, 0, v4
	s_and_saveexec_b64 s[4:5], vcc
	s_cbranch_execz .LBB814_20
; %bb.19:
	v_lshrrev_b32_e32 v5, 2, v0
	v_and_b32_e32 v5, 16, v5
	s_waitcnt lgkmcnt(2)
	ds_write_b8 v5, v1 offset:64
	s_waitcnt lgkmcnt(1)
	ds_write_b64 v5, v[2:3] offset:72
.LBB814_20:
	s_or_b64 exec, exec, s[4:5]
	v_cmp_gt_u32_e32 vcc, 64, v0
	s_waitcnt lgkmcnt(0)
	s_barrier
	s_and_saveexec_b64 s[4:5], vcc
	s_cbranch_execz .LBB814_26
; %bb.21:
	v_and_b32_e32 v1, 1, v4
	v_lshlrev_b32_e32 v1, 4, v1
	ds_read_u8 v8, v1 offset:64
	ds_read_b64 v[4:5], v1 offset:72
	v_or_b32_e32 v2, 4, v6
	s_waitcnt lgkmcnt(1)
	v_and_b32_e32 v1, 0xff, v8
	ds_bpermute_b32 v9, v2, v1
	s_waitcnt lgkmcnt(1)
	ds_bpermute_b32 v6, v2, v4
	ds_bpermute_b32 v7, v2, v5
                                        ; implicit-def: $vgpr2_vgpr3
	s_waitcnt lgkmcnt(2)
	v_and_b32_e32 v1, v8, v9
	v_and_b32_e32 v1, 1, v1
	v_cmp_eq_u32_e32 vcc, 1, v1
	s_and_saveexec_b64 s[6:7], vcc
	s_xor_b64 s[6:7], exec, s[6:7]
	s_cbranch_execz .LBB814_23
; %bb.22:
	s_waitcnt lgkmcnt(0)
	v_cmp_lt_i64_e32 vcc, v[6:7], v[4:5]
                                        ; implicit-def: $vgpr8
                                        ; implicit-def: $vgpr9
	s_nop 1
	v_cndmask_b32_e32 v3, v5, v7, vcc
	v_cndmask_b32_e32 v2, v4, v6, vcc
                                        ; implicit-def: $vgpr6_vgpr7
                                        ; implicit-def: $vgpr4_vgpr5
.LBB814_23:
	s_or_saveexec_b64 s[6:7], s[6:7]
	v_mov_b32_e32 v1, 1
	s_xor_b64 exec, exec, s[6:7]
	s_cbranch_execz .LBB814_25
; %bb.24:
	v_and_b32_e32 v1, 1, v8
	v_cmp_eq_u32_e32 vcc, 1, v1
	s_waitcnt lgkmcnt(0)
	s_nop 0
	v_cndmask_b32_e32 v3, v7, v5, vcc
	v_cndmask_b32_e32 v2, v6, v4, vcc
	v_cndmask_b32_e64 v1, v9, 1, vcc
.LBB814_25:
	s_or_b64 exec, exec, s[6:7]
.LBB814_26:
	s_or_b64 exec, exec, s[4:5]
	s_branch .LBB814_214
.LBB814_27:
                                        ; implicit-def: $vgpr4_vgpr5
                                        ; implicit-def: $vgpr6
                                        ; implicit-def: $vgpr2_vgpr3
	s_branch .LBB814_306
.LBB814_28:
                                        ; implicit-def: $vgpr2_vgpr3
                                        ; implicit-def: $vgpr1
	s_cbranch_execz .LBB814_145
; %bb.29:
	s_sub_i32 s41, s22, s38
	v_cmp_gt_u32_e32 vcc, s41, v0
	v_mov_b32_e32 v26, 0
	v_mov_b64_e32 v[16:17], 0
	v_mov_b64_e32 v[2:3], 0
	v_mov_b32_e32 v1, 0
	s_and_saveexec_b64 s[4:5], vcc
	s_cbranch_execz .LBB814_31
; %bb.30:
	v_lshlrev_b32_e32 v1, 2, v0
	global_load_dword v4, v1, s[30:31]
	global_load_dword v5, v1, s[34:35]
	v_mov_b32_e32 v1, 0
	v_lshl_add_u64 v[2:3], s[36:37], 0, v[0:1]
	s_waitcnt vmcnt(0)
	v_cmp_ne_u32_e32 vcc, v4, v5
	s_nop 1
	v_cndmask_b32_e64 v1, 0, 1, vcc
.LBB814_31:
	s_or_b64 exec, exec, s[4:5]
	v_or_b32_e32 v4, 0x80, v0
	v_cmp_gt_u32_e64 s[14:15], s41, v4
	s_and_saveexec_b64 s[4:5], s[14:15]
	s_cbranch_execz .LBB814_33
; %bb.32:
	v_lshlrev_b32_e32 v5, 2, v0
	s_waitcnt lgkmcnt(1)
	global_load_dword v6, v5, s[30:31] offset:512
	s_waitcnt lgkmcnt(0)
	global_load_dword v7, v5, s[34:35] offset:512
	v_mov_b32_e32 v5, 0
	v_lshl_add_u64 v[16:17], s[36:37], 0, v[4:5]
	s_waitcnt vmcnt(0)
	v_cmp_ne_u32_e32 vcc, v6, v7
	s_nop 1
	v_cndmask_b32_e64 v26, 0, 1, vcc
.LBB814_33:
	s_or_b64 exec, exec, s[4:5]
	v_or_b32_e32 v4, 0x100, v0
	v_cmp_gt_u32_e64 s[12:13], s41, v4
	v_mov_b32_e32 v24, 0
	v_mov_b64_e32 v[12:13], 0
	v_mov_b64_e32 v[14:15], 0
	v_mov_b32_e32 v25, 0
	s_and_saveexec_b64 s[4:5], s[12:13]
	s_cbranch_execz .LBB814_35
; %bb.34:
	v_lshlrev_b32_e32 v5, 2, v0
	s_waitcnt lgkmcnt(1)
	global_load_dword v6, v5, s[30:31] offset:1024
	s_waitcnt lgkmcnt(0)
	global_load_dword v7, v5, s[34:35] offset:1024
	v_mov_b32_e32 v5, 0
	v_lshl_add_u64 v[14:15], s[36:37], 0, v[4:5]
	s_waitcnt vmcnt(0)
	v_cmp_ne_u32_e32 vcc, v6, v7
	s_nop 1
	v_cndmask_b32_e64 v25, 0, 1, vcc
.LBB814_35:
	s_or_b64 exec, exec, s[4:5]
	v_or_b32_e32 v4, 0x180, v0
	v_cmp_gt_u32_e64 s[10:11], s41, v4
	s_and_saveexec_b64 s[4:5], s[10:11]
	s_cbranch_execz .LBB814_37
; %bb.36:
	v_lshlrev_b32_e32 v5, 2, v0
	s_waitcnt lgkmcnt(1)
	global_load_dword v6, v5, s[30:31] offset:1536
	s_waitcnt lgkmcnt(0)
	global_load_dword v7, v5, s[34:35] offset:1536
	v_mov_b32_e32 v5, 0
	v_lshl_add_u64 v[12:13], s[36:37], 0, v[4:5]
	s_waitcnt vmcnt(0)
	v_cmp_ne_u32_e32 vcc, v6, v7
	s_nop 1
	v_cndmask_b32_e64 v24, 0, 1, vcc
.LBB814_37:
	s_or_b64 exec, exec, s[4:5]
	v_or_b32_e32 v4, 0x200, v0
	v_cmp_gt_u32_e64 s[8:9], s41, v4
	v_mov_b32_e32 v22, 0
	v_mov_b64_e32 v[8:9], 0
	v_mov_b64_e32 v[10:11], 0
	v_mov_b32_e32 v23, 0
	s_and_saveexec_b64 s[4:5], s[8:9]
	s_cbranch_execz .LBB814_39
; %bb.38:
	v_lshlrev_b32_e32 v5, 2, v0
	s_waitcnt lgkmcnt(1)
	global_load_dword v6, v5, s[30:31] offset:2048
	s_waitcnt lgkmcnt(0)
	global_load_dword v7, v5, s[34:35] offset:2048
	v_mov_b32_e32 v5, 0
	v_lshl_add_u64 v[10:11], s[36:37], 0, v[4:5]
	s_waitcnt vmcnt(0)
	v_cmp_ne_u32_e32 vcc, v6, v7
	s_nop 1
	v_cndmask_b32_e64 v23, 0, 1, vcc
.LBB814_39:
	s_or_b64 exec, exec, s[4:5]
	v_or_b32_e32 v4, 0x280, v0
	v_cmp_gt_u32_e64 s[6:7], s41, v4
	s_and_saveexec_b64 s[4:5], s[6:7]
	s_cbranch_execz .LBB814_41
; %bb.40:
	v_lshlrev_b32_e32 v5, 2, v0
	s_waitcnt lgkmcnt(1)
	global_load_dword v6, v5, s[30:31] offset:2560
	s_waitcnt lgkmcnt(0)
	global_load_dword v7, v5, s[34:35] offset:2560
	v_mov_b32_e32 v5, 0
	v_lshl_add_u64 v[8:9], s[36:37], 0, v[4:5]
	s_waitcnt vmcnt(0)
	v_cmp_ne_u32_e32 vcc, v6, v7
	s_nop 1
	v_cndmask_b32_e64 v22, 0, 1, vcc
.LBB814_41:
	s_or_b64 exec, exec, s[4:5]
	v_or_b32_e32 v18, 0x300, v0
	v_cmp_gt_u32_e64 s[4:5], s41, v18
	v_mov_b64_e32 v[4:5], 0
	v_mov_b32_e32 v20, 0
	v_mov_b32_e32 v21, 0
	s_waitcnt lgkmcnt(0)
	v_mov_b64_e32 v[6:7], 0
	s_and_saveexec_b64 s[16:17], s[4:5]
	s_cbranch_execz .LBB814_43
; %bb.42:
	v_lshlrev_b32_e32 v6, 2, v0
	global_load_dword v21, v6, s[30:31] offset:3072
	global_load_dword v27, v6, s[34:35] offset:3072
	v_mov_b32_e32 v19, 0
	v_lshl_add_u64 v[6:7], s[36:37], 0, v[18:19]
	s_waitcnt vmcnt(0)
	v_cmp_ne_u32_e32 vcc, v21, v27
	s_nop 1
	v_cndmask_b32_e64 v21, 0, 1, vcc
.LBB814_43:
	s_or_b64 exec, exec, s[16:17]
	v_or_b32_e32 v18, 0x380, v0
	v_cmp_gt_u32_e32 vcc, s41, v18
	s_and_saveexec_b64 s[38:39], vcc
	s_cbranch_execnz .LBB814_62
; %bb.44:
	s_or_b64 exec, exec, s[38:39]
	s_and_saveexec_b64 s[30:31], s[14:15]
	s_cbranch_execnz .LBB814_63
.LBB814_45:
	s_or_b64 exec, exec, s[30:31]
	s_and_saveexec_b64 s[16:17], s[12:13]
	s_cbranch_execnz .LBB814_68
.LBB814_46:
	s_or_b64 exec, exec, s[16:17]
	s_and_saveexec_b64 s[14:15], s[10:11]
	s_cbranch_execnz .LBB814_73
.LBB814_47:
	s_or_b64 exec, exec, s[14:15]
	s_and_saveexec_b64 s[12:13], s[8:9]
	s_cbranch_execnz .LBB814_78
.LBB814_48:
	s_or_b64 exec, exec, s[12:13]
	s_and_saveexec_b64 s[10:11], s[6:7]
	s_cbranch_execnz .LBB814_83
.LBB814_49:
	s_or_b64 exec, exec, s[10:11]
	s_and_saveexec_b64 s[8:9], s[4:5]
	s_cbranch_execnz .LBB814_88
.LBB814_50:
	s_or_b64 exec, exec, s[8:9]
	s_and_saveexec_b64 s[6:7], vcc
	s_cbranch_execnz .LBB814_93
	s_branch .LBB814_98
.LBB814_51:
                                        ; implicit-def: $vgpr2_vgpr3
                                        ; implicit-def: $vgpr1
	s_cbranch_execz .LBB814_214
; %bb.52:
	s_sub_i32 s30, s22, s30
	v_cmp_gt_u32_e32 vcc, s30, v0
	v_mov_b32_e32 v14, 0
	s_waitcnt lgkmcnt(1)
	v_mov_b64_e32 v[8:9], 0
	v_mov_b64_e32 v[2:3], 0
	v_mov_b32_e32 v1, 0
	s_and_saveexec_b64 s[4:5], vcc
	s_cbranch_execz .LBB814_54
; %bb.53:
	v_lshlrev_b32_e32 v1, 2, v0
	global_load_dword v4, v1, s[14:15]
	s_waitcnt lgkmcnt(0)
	global_load_dword v5, v1, s[16:17]
	v_mov_b32_e32 v1, 0
	v_lshl_add_u64 v[2:3], s[28:29], 0, v[0:1]
	s_waitcnt vmcnt(0)
	v_cmp_ne_u32_e32 vcc, v4, v5
	s_nop 1
	v_cndmask_b32_e64 v1, 0, 1, vcc
.LBB814_54:
	s_or_b64 exec, exec, s[4:5]
	v_or_b32_e32 v4, 0x80, v0
	v_cmp_gt_u32_e64 s[6:7], s30, v4
	s_and_saveexec_b64 s[4:5], s[6:7]
	s_cbranch_execz .LBB814_56
; %bb.55:
	s_waitcnt lgkmcnt(0)
	v_lshlrev_b32_e32 v5, 2, v0
	global_load_dword v6, v5, s[14:15] offset:512
	global_load_dword v7, v5, s[16:17] offset:512
	v_mov_b32_e32 v5, 0
	v_lshl_add_u64 v[8:9], s[28:29], 0, v[4:5]
	s_waitcnt vmcnt(0)
	v_cmp_ne_u32_e32 vcc, v6, v7
	s_nop 1
	v_cndmask_b32_e64 v14, 0, 1, vcc
.LBB814_56:
	s_or_b64 exec, exec, s[4:5]
	v_or_b32_e32 v10, 0x100, v0
	v_cmp_gt_u32_e64 s[4:5], s30, v10
	v_mov_b32_e32 v12, 0
	s_waitcnt lgkmcnt(0)
	v_mov_b64_e32 v[4:5], 0
	v_mov_b64_e32 v[6:7], 0
	v_mov_b32_e32 v13, 0
	s_and_saveexec_b64 s[8:9], s[4:5]
	s_cbranch_execz .LBB814_58
; %bb.57:
	v_lshlrev_b32_e32 v6, 2, v0
	global_load_dword v13, v6, s[14:15] offset:1024
	global_load_dword v15, v6, s[16:17] offset:1024
	v_mov_b32_e32 v11, 0
	v_lshl_add_u64 v[6:7], s[28:29], 0, v[10:11]
	s_waitcnt vmcnt(0)
	v_cmp_ne_u32_e32 vcc, v13, v15
	s_nop 1
	v_cndmask_b32_e64 v13, 0, 1, vcc
.LBB814_58:
	s_or_b64 exec, exec, s[8:9]
	v_or_b32_e32 v10, 0x180, v0
	v_cmp_gt_u32_e32 vcc, s30, v10
	s_and_saveexec_b64 s[10:11], vcc
	s_cbranch_execnz .LBB814_151
; %bb.59:
	s_or_b64 exec, exec, s[10:11]
	s_and_saveexec_b64 s[10:11], s[6:7]
	s_cbranch_execnz .LBB814_152
.LBB814_60:
	s_or_b64 exec, exec, s[10:11]
	s_and_saveexec_b64 s[8:9], s[4:5]
	s_cbranch_execnz .LBB814_157
.LBB814_61:
	s_or_b64 exec, exec, s[8:9]
	s_and_saveexec_b64 s[6:7], vcc
	s_cbranch_execnz .LBB814_162
	s_branch .LBB814_167
.LBB814_62:
	v_lshlrev_b32_e32 v4, 2, v0
	global_load_dword v20, v4, s[30:31] offset:3584
	global_load_dword v27, v4, s[34:35] offset:3584
	v_mov_b32_e32 v19, 0
	v_lshl_add_u64 v[4:5], s[36:37], 0, v[18:19]
	s_waitcnt vmcnt(0)
	v_cmp_ne_u32_e64 s[16:17], v20, v27
	s_nop 1
	v_cndmask_b32_e64 v20, 0, 1, s[16:17]
	s_or_b64 exec, exec, s[38:39]
	s_and_saveexec_b64 s[30:31], s[14:15]
	s_cbranch_execz .LBB814_45
.LBB814_63:
	v_and_b32_e32 v1, 1, v1
	v_cmp_eq_u32_e64 s[14:15], 1, v1
	v_and_b32_e32 v1, 1, v26
	v_cmp_eq_u32_e64 s[16:17], 1, v1
	s_and_b64 s[16:17], s[14:15], s[16:17]
	s_xor_b64 s[16:17], s[16:17], -1
                                        ; implicit-def: $vgpr1
	s_and_saveexec_b64 s[34:35], s[16:17]
	s_xor_b64 s[16:17], exec, s[34:35]
; %bb.64:
	v_and_b32_e32 v1, 0xffff, v26
	v_cndmask_b32_e64 v1, v1, 1, s[14:15]
	v_cndmask_b32_e64 v3, v17, v3, s[14:15]
	;; [unrolled: 1-line block ×3, first 2 shown]
                                        ; implicit-def: $vgpr16_vgpr17
; %bb.65:
	s_andn2_saveexec_b64 s[16:17], s[16:17]
; %bb.66:
	v_cmp_lt_i64_e64 s[14:15], v[16:17], v[2:3]
	v_mov_b32_e32 v1, 1
	s_nop 0
	v_cndmask_b32_e64 v3, v3, v17, s[14:15]
	v_cndmask_b32_e64 v2, v2, v16, s[14:15]
; %bb.67:
	s_or_b64 exec, exec, s[16:17]
	s_or_b64 exec, exec, s[30:31]
	s_and_saveexec_b64 s[16:17], s[12:13]
	s_cbranch_execz .LBB814_46
.LBB814_68:
	v_and_b32_e32 v1, 1, v1
	v_cmp_eq_u32_e64 s[12:13], 1, v1
	v_and_b32_e32 v1, 1, v25
	v_cmp_eq_u32_e64 s[14:15], 1, v1
	s_and_b64 s[14:15], s[12:13], s[14:15]
	s_xor_b64 s[14:15], s[14:15], -1
                                        ; implicit-def: $vgpr1
	s_and_saveexec_b64 s[30:31], s[14:15]
	s_xor_b64 s[14:15], exec, s[30:31]
; %bb.69:
	v_and_b32_e32 v1, 0xffff, v25
	v_cndmask_b32_e64 v1, v1, 1, s[12:13]
	v_cndmask_b32_e64 v3, v15, v3, s[12:13]
	;; [unrolled: 1-line block ×3, first 2 shown]
                                        ; implicit-def: $vgpr14_vgpr15
; %bb.70:
	s_andn2_saveexec_b64 s[14:15], s[14:15]
; %bb.71:
	v_cmp_lt_i64_e64 s[12:13], v[14:15], v[2:3]
	v_mov_b32_e32 v1, 1
	s_nop 0
	v_cndmask_b32_e64 v3, v3, v15, s[12:13]
	v_cndmask_b32_e64 v2, v2, v14, s[12:13]
; %bb.72:
	s_or_b64 exec, exec, s[14:15]
	s_or_b64 exec, exec, s[16:17]
	s_and_saveexec_b64 s[14:15], s[10:11]
	s_cbranch_execz .LBB814_47
.LBB814_73:
	v_and_b32_e32 v1, 1, v1
	v_cmp_eq_u32_e64 s[10:11], 1, v1
	v_and_b32_e32 v1, 1, v24
	v_cmp_eq_u32_e64 s[12:13], 1, v1
	s_and_b64 s[12:13], s[10:11], s[12:13]
	s_xor_b64 s[12:13], s[12:13], -1
                                        ; implicit-def: $vgpr1
	s_and_saveexec_b64 s[16:17], s[12:13]
	s_xor_b64 s[12:13], exec, s[16:17]
; %bb.74:
	v_and_b32_e32 v1, 0xffff, v24
	v_cndmask_b32_e64 v1, v1, 1, s[10:11]
	v_cndmask_b32_e64 v3, v13, v3, s[10:11]
	;; [unrolled: 1-line block ×3, first 2 shown]
                                        ; implicit-def: $vgpr12_vgpr13
; %bb.75:
	s_andn2_saveexec_b64 s[12:13], s[12:13]
; %bb.76:
	v_cmp_lt_i64_e64 s[10:11], v[12:13], v[2:3]
	v_mov_b32_e32 v1, 1
	s_nop 0
	v_cndmask_b32_e64 v3, v3, v13, s[10:11]
	v_cndmask_b32_e64 v2, v2, v12, s[10:11]
; %bb.77:
	s_or_b64 exec, exec, s[12:13]
	s_or_b64 exec, exec, s[14:15]
	s_and_saveexec_b64 s[12:13], s[8:9]
	s_cbranch_execz .LBB814_48
.LBB814_78:
	v_and_b32_e32 v1, 1, v1
	v_cmp_eq_u32_e64 s[8:9], 1, v1
	v_and_b32_e32 v1, 1, v23
	v_cmp_eq_u32_e64 s[10:11], 1, v1
	s_and_b64 s[10:11], s[8:9], s[10:11]
	s_xor_b64 s[10:11], s[10:11], -1
                                        ; implicit-def: $vgpr1
	s_and_saveexec_b64 s[14:15], s[10:11]
	s_xor_b64 s[10:11], exec, s[14:15]
; %bb.79:
	v_and_b32_e32 v1, 0xffff, v23
	v_cndmask_b32_e64 v1, v1, 1, s[8:9]
	v_cndmask_b32_e64 v3, v11, v3, s[8:9]
	;; [unrolled: 1-line block ×3, first 2 shown]
                                        ; implicit-def: $vgpr10_vgpr11
; %bb.80:
	s_andn2_saveexec_b64 s[10:11], s[10:11]
; %bb.81:
	v_cmp_lt_i64_e64 s[8:9], v[10:11], v[2:3]
	v_mov_b32_e32 v1, 1
	s_nop 0
	v_cndmask_b32_e64 v3, v3, v11, s[8:9]
	v_cndmask_b32_e64 v2, v2, v10, s[8:9]
; %bb.82:
	s_or_b64 exec, exec, s[10:11]
	s_or_b64 exec, exec, s[12:13]
	s_and_saveexec_b64 s[10:11], s[6:7]
	s_cbranch_execz .LBB814_49
.LBB814_83:
	v_and_b32_e32 v1, 1, v1
	v_cmp_eq_u32_e64 s[6:7], 1, v1
	v_and_b32_e32 v1, 1, v22
	v_cmp_eq_u32_e64 s[8:9], 1, v1
	s_and_b64 s[8:9], s[6:7], s[8:9]
	s_xor_b64 s[8:9], s[8:9], -1
                                        ; implicit-def: $vgpr1
	s_and_saveexec_b64 s[12:13], s[8:9]
	s_xor_b64 s[8:9], exec, s[12:13]
; %bb.84:
	v_and_b32_e32 v1, 0xffff, v22
	v_cndmask_b32_e64 v1, v1, 1, s[6:7]
	v_cndmask_b32_e64 v3, v9, v3, s[6:7]
	;; [unrolled: 1-line block ×3, first 2 shown]
                                        ; implicit-def: $vgpr8_vgpr9
; %bb.85:
	s_andn2_saveexec_b64 s[8:9], s[8:9]
; %bb.86:
	v_cmp_lt_i64_e64 s[6:7], v[8:9], v[2:3]
	v_mov_b32_e32 v1, 1
	s_nop 0
	v_cndmask_b32_e64 v3, v3, v9, s[6:7]
	v_cndmask_b32_e64 v2, v2, v8, s[6:7]
; %bb.87:
	s_or_b64 exec, exec, s[8:9]
	s_or_b64 exec, exec, s[10:11]
	s_and_saveexec_b64 s[8:9], s[4:5]
	s_cbranch_execz .LBB814_50
.LBB814_88:
	v_and_b32_e32 v1, 1, v1
	v_cmp_eq_u32_e64 s[4:5], 1, v1
	v_and_b32_e32 v1, 1, v21
	v_cmp_eq_u32_e64 s[6:7], 1, v1
	s_and_b64 s[6:7], s[4:5], s[6:7]
	s_xor_b64 s[6:7], s[6:7], -1
                                        ; implicit-def: $vgpr1
	s_and_saveexec_b64 s[10:11], s[6:7]
	s_xor_b64 s[6:7], exec, s[10:11]
; %bb.89:
	v_and_b32_e32 v1, 0xffff, v21
	v_cndmask_b32_e64 v1, v1, 1, s[4:5]
	v_cndmask_b32_e64 v3, v7, v3, s[4:5]
	;; [unrolled: 1-line block ×3, first 2 shown]
                                        ; implicit-def: $vgpr6_vgpr7
; %bb.90:
	s_andn2_saveexec_b64 s[6:7], s[6:7]
; %bb.91:
	v_cmp_lt_i64_e64 s[4:5], v[6:7], v[2:3]
	v_mov_b32_e32 v1, 1
	s_nop 0
	v_cndmask_b32_e64 v3, v3, v7, s[4:5]
	v_cndmask_b32_e64 v2, v2, v6, s[4:5]
; %bb.92:
	s_or_b64 exec, exec, s[6:7]
	s_or_b64 exec, exec, s[8:9]
	s_and_saveexec_b64 s[6:7], vcc
	s_cbranch_execz .LBB814_98
.LBB814_93:
	v_and_b32_e32 v1, 1, v1
	v_cmp_eq_u32_e32 vcc, 1, v1
	v_and_b32_e32 v1, 1, v20
	v_cmp_eq_u32_e64 s[4:5], 1, v1
	s_and_b64 s[4:5], vcc, s[4:5]
	s_xor_b64 s[4:5], s[4:5], -1
                                        ; implicit-def: $vgpr1
	s_and_saveexec_b64 s[8:9], s[4:5]
	s_xor_b64 s[4:5], exec, s[8:9]
; %bb.94:
	v_and_b32_e32 v1, 0xffff, v20
	v_cndmask_b32_e64 v1, v1, 1, vcc
	v_cndmask_b32_e32 v3, v5, v3, vcc
	v_cndmask_b32_e32 v2, v4, v2, vcc
                                        ; implicit-def: $vgpr4_vgpr5
; %bb.95:
	s_andn2_saveexec_b64 s[4:5], s[4:5]
; %bb.96:
	v_cmp_lt_i64_e32 vcc, v[4:5], v[2:3]
	v_mov_b32_e32 v1, 1
	s_nop 0
	v_cndmask_b32_e32 v3, v3, v5, vcc
	v_cndmask_b32_e32 v2, v2, v4, vcc
; %bb.97:
	s_or_b64 exec, exec, s[4:5]
.LBB814_98:
	s_or_b64 exec, exec, s[6:7]
	v_mbcnt_lo_u32_b32 v4, -1, 0
	v_mbcnt_hi_u32_b32 v6, -1, v4
	v_and_b32_e32 v7, 63, v6
	v_cmp_ne_u32_e32 vcc, 63, v7
	s_min_u32 s8, s41, 0x80
	v_and_b32_e32 v8, 64, v0
	v_addc_co_u32_e32 v4, vcc, 0, v6, vcc
	v_lshlrev_b32_e32 v5, 2, v4
	ds_bpermute_b32 v9, v5, v1
	ds_bpermute_b32 v4, v5, v2
	;; [unrolled: 1-line block ×3, first 2 shown]
	v_sub_u32_e64 v8, s8, v8 clamp
	v_add_u32_e32 v10, 1, v7
	v_cmp_lt_u32_e32 vcc, v10, v8
	s_and_saveexec_b64 s[4:5], vcc
	s_xor_b64 s[4:5], exec, s[4:5]
	s_cbranch_execz .LBB814_104
; %bb.99:
	s_waitcnt lgkmcnt(2)
	v_and_b32_e32 v10, v9, v1
	v_cmp_ne_u32_e32 vcc, 0, v10
	s_and_saveexec_b64 s[6:7], vcc
	s_xor_b64 s[6:7], exec, s[6:7]
	s_cbranch_execz .LBB814_101
; %bb.100:
	s_waitcnt lgkmcnt(0)
	v_cmp_lt_i64_e32 vcc, v[4:5], v[2:3]
                                        ; implicit-def: $vgpr1
                                        ; implicit-def: $vgpr9
	s_nop 1
	v_cndmask_b32_e32 v3, v3, v5, vcc
	v_cndmask_b32_e32 v2, v2, v4, vcc
                                        ; implicit-def: $vgpr4_vgpr5
.LBB814_101:
	s_or_saveexec_b64 s[6:7], s[6:7]
	v_mov_b32_e32 v10, 1
	s_xor_b64 exec, exec, s[6:7]
	s_cbranch_execz .LBB814_103
; %bb.102:
	v_and_b32_e32 v1, 1, v1
	v_cmp_eq_u32_e32 vcc, 1, v1
	v_and_b32_e32 v1, 0xff, v9
	s_waitcnt lgkmcnt(0)
	v_cndmask_b32_e32 v3, v5, v3, vcc
	v_cndmask_b32_e32 v2, v4, v2, vcc
	v_cndmask_b32_e64 v10, v1, 1, vcc
.LBB814_103:
	s_or_b64 exec, exec, s[6:7]
	v_mov_b32_e32 v1, v10
.LBB814_104:
	s_or_b64 exec, exec, s[4:5]
	v_cmp_gt_u32_e32 vcc, 62, v7
	v_add_u32_e32 v10, 2, v7
	s_waitcnt lgkmcnt(1)
	v_cndmask_b32_e64 v4, 0, 2, vcc
	s_waitcnt lgkmcnt(0)
	v_add_lshl_u32 v5, v4, v6, 2
	ds_bpermute_b32 v9, v5, v1
	ds_bpermute_b32 v4, v5, v2
	ds_bpermute_b32 v5, v5, v3
	v_cmp_lt_u32_e32 vcc, v10, v8
	s_and_saveexec_b64 s[4:5], vcc
	s_cbranch_execz .LBB814_110
; %bb.105:
	s_waitcnt lgkmcnt(2)
	v_and_b32_e32 v10, v1, v9
	v_and_b32_e32 v10, 1, v10
	v_cmp_eq_u32_e32 vcc, 1, v10
	s_and_saveexec_b64 s[6:7], vcc
	s_xor_b64 s[6:7], exec, s[6:7]
	s_cbranch_execz .LBB814_107
; %bb.106:
	s_waitcnt lgkmcnt(0)
	v_cmp_lt_i64_e32 vcc, v[4:5], v[2:3]
                                        ; implicit-def: $vgpr1
                                        ; implicit-def: $vgpr9
	s_nop 1
	v_cndmask_b32_e32 v3, v3, v5, vcc
	v_cndmask_b32_e32 v2, v2, v4, vcc
                                        ; implicit-def: $vgpr4_vgpr5
.LBB814_107:
	s_or_saveexec_b64 s[6:7], s[6:7]
	v_mov_b32_e32 v10, 1
	s_xor_b64 exec, exec, s[6:7]
	s_cbranch_execz .LBB814_109
; %bb.108:
	v_and_b32_e32 v1, 1, v1
	v_cmp_eq_u32_e32 vcc, 1, v1
	v_and_b32_e32 v1, 0xff, v9
	s_waitcnt lgkmcnt(0)
	v_cndmask_b32_e32 v3, v5, v3, vcc
	v_cndmask_b32_e32 v2, v4, v2, vcc
	v_cndmask_b32_e64 v10, v1, 1, vcc
.LBB814_109:
	s_or_b64 exec, exec, s[6:7]
	v_mov_b32_e32 v1, v10
.LBB814_110:
	s_or_b64 exec, exec, s[4:5]
	v_cmp_gt_u32_e32 vcc, 60, v7
	v_add_u32_e32 v10, 4, v7
	s_waitcnt lgkmcnt(1)
	v_cndmask_b32_e64 v4, 0, 4, vcc
	s_waitcnt lgkmcnt(0)
	v_add_lshl_u32 v5, v4, v6, 2
	ds_bpermute_b32 v9, v5, v1
	ds_bpermute_b32 v4, v5, v2
	ds_bpermute_b32 v5, v5, v3
	v_cmp_lt_u32_e32 vcc, v10, v8
	s_and_saveexec_b64 s[4:5], vcc
	s_cbranch_execz .LBB814_116
; %bb.111:
	s_waitcnt lgkmcnt(2)
	v_and_b32_e32 v10, v1, v9
	v_and_b32_e32 v10, 1, v10
	v_cmp_eq_u32_e32 vcc, 1, v10
	s_and_saveexec_b64 s[6:7], vcc
	s_xor_b64 s[6:7], exec, s[6:7]
	s_cbranch_execz .LBB814_113
; %bb.112:
	s_waitcnt lgkmcnt(0)
	v_cmp_lt_i64_e32 vcc, v[4:5], v[2:3]
                                        ; implicit-def: $vgpr1
                                        ; implicit-def: $vgpr9
	s_nop 1
	v_cndmask_b32_e32 v3, v3, v5, vcc
	v_cndmask_b32_e32 v2, v2, v4, vcc
                                        ; implicit-def: $vgpr4_vgpr5
.LBB814_113:
	s_or_saveexec_b64 s[6:7], s[6:7]
	v_mov_b32_e32 v10, 1
	s_xor_b64 exec, exec, s[6:7]
	s_cbranch_execz .LBB814_115
; %bb.114:
	v_and_b32_e32 v1, 1, v1
	v_cmp_eq_u32_e32 vcc, 1, v1
	v_and_b32_e32 v1, 0xff, v9
	s_waitcnt lgkmcnt(0)
	v_cndmask_b32_e32 v3, v5, v3, vcc
	v_cndmask_b32_e32 v2, v4, v2, vcc
	v_cndmask_b32_e64 v10, v1, 1, vcc
.LBB814_115:
	s_or_b64 exec, exec, s[6:7]
	v_mov_b32_e32 v1, v10
.LBB814_116:
	;; [unrolled: 47-line block ×4, first 2 shown]
	s_or_b64 exec, exec, s[4:5]
	s_waitcnt lgkmcnt(2)
	v_lshlrev_b32_e32 v9, 2, v6
	s_waitcnt lgkmcnt(0)
	v_or_b32_e32 v5, 0x80, v9
	ds_bpermute_b32 v10, v5, v1
	ds_bpermute_b32 v4, v5, v2
	;; [unrolled: 1-line block ×3, first 2 shown]
	v_add_u32_e32 v7, 32, v7
	v_cmp_lt_u32_e32 vcc, v7, v8
	v_mov_b32_e32 v7, v1
	s_and_saveexec_b64 s[4:5], vcc
	s_cbranch_execz .LBB814_134
; %bb.129:
	s_waitcnt lgkmcnt(2)
	v_and_b32_e32 v7, v1, v10
	v_and_b32_e32 v7, 1, v7
	v_cmp_eq_u32_e32 vcc, 1, v7
	s_and_saveexec_b64 s[6:7], vcc
	s_xor_b64 s[6:7], exec, s[6:7]
	s_cbranch_execz .LBB814_131
; %bb.130:
	s_waitcnt lgkmcnt(0)
	v_cmp_lt_i64_e32 vcc, v[4:5], v[2:3]
                                        ; implicit-def: $vgpr1
                                        ; implicit-def: $vgpr10
	s_nop 1
	v_cndmask_b32_e32 v3, v3, v5, vcc
	v_cndmask_b32_e32 v2, v2, v4, vcc
                                        ; implicit-def: $vgpr4_vgpr5
.LBB814_131:
	s_or_saveexec_b64 s[6:7], s[6:7]
	v_mov_b32_e32 v7, 1
	s_xor_b64 exec, exec, s[6:7]
	s_cbranch_execz .LBB814_133
; %bb.132:
	v_and_b32_e32 v1, 1, v1
	v_cmp_eq_u32_e32 vcc, 1, v1
	s_nop 1
	v_cndmask_b32_e64 v7, v10, 1, vcc
	s_waitcnt lgkmcnt(0)
	v_cndmask_b32_e32 v3, v5, v3, vcc
	v_cndmask_b32_e32 v2, v4, v2, vcc
.LBB814_133:
	s_or_b64 exec, exec, s[6:7]
	v_and_b32_e32 v1, 0xff, v7
.LBB814_134:
	s_or_b64 exec, exec, s[4:5]
	v_cmp_eq_u32_e32 vcc, 0, v6
	s_and_saveexec_b64 s[4:5], vcc
	s_cbranch_execz .LBB814_136
; %bb.135:
	s_waitcnt lgkmcnt(1)
	v_lshrrev_b32_e32 v4, 2, v0
	v_and_b32_e32 v4, 16, v4
	ds_write_b8 v4, v7 offset:128
	ds_write_b64 v4, v[2:3] offset:136
.LBB814_136:
	s_or_b64 exec, exec, s[4:5]
	v_cmp_gt_u32_e32 vcc, 2, v0
	s_waitcnt lgkmcnt(0)
	s_barrier
	s_and_saveexec_b64 s[4:5], vcc
	s_cbranch_execz .LBB814_144
; %bb.137:
	v_lshlrev_b32_e32 v1, 4, v6
	ds_read_u8 v7, v1 offset:128
	ds_read_b64 v[2:3], v1 offset:136
	v_or_b32_e32 v5, 4, v9
	s_add_i32 s8, s8, 63
	v_and_b32_e32 v6, 1, v6
	s_waitcnt lgkmcnt(1)
	v_and_b32_e32 v1, 0xff, v7
	s_waitcnt lgkmcnt(0)
	ds_bpermute_b32 v4, v5, v2
	ds_bpermute_b32 v8, v5, v1
	;; [unrolled: 1-line block ×3, first 2 shown]
	s_lshr_b32 s6, s8, 6
	v_add_u32_e32 v6, 1, v6
	v_cmp_gt_u32_e32 vcc, s6, v6
	s_and_saveexec_b64 s[6:7], vcc
	s_cbranch_execz .LBB814_143
; %bb.138:
	s_waitcnt lgkmcnt(1)
	v_and_b32_e32 v1, v1, v8
	v_and_b32_e32 v1, 1, v1
	v_cmp_eq_u32_e32 vcc, 1, v1
	s_and_saveexec_b64 s[8:9], vcc
	s_xor_b64 s[8:9], exec, s[8:9]
	s_cbranch_execz .LBB814_140
; %bb.139:
	s_waitcnt lgkmcnt(0)
	v_cmp_lt_i64_e32 vcc, v[4:5], v[2:3]
                                        ; implicit-def: $vgpr7
                                        ; implicit-def: $vgpr8
	s_nop 1
	v_cndmask_b32_e32 v3, v3, v5, vcc
	v_cndmask_b32_e32 v2, v2, v4, vcc
                                        ; implicit-def: $vgpr4_vgpr5
.LBB814_140:
	s_or_saveexec_b64 s[8:9], s[8:9]
	v_mov_b32_e32 v1, 1
	s_xor_b64 exec, exec, s[8:9]
	s_cbranch_execz .LBB814_142
; %bb.141:
	v_and_b32_e32 v1, 1, v7
	v_cmp_eq_u32_e32 vcc, 1, v1
	s_waitcnt lgkmcnt(0)
	s_nop 0
	v_cndmask_b32_e32 v3, v5, v3, vcc
	v_cndmask_b32_e32 v2, v4, v2, vcc
	v_cndmask_b32_e64 v1, v8, 1, vcc
.LBB814_142:
	s_or_b64 exec, exec, s[8:9]
.LBB814_143:
	s_or_b64 exec, exec, s[6:7]
.LBB814_144:
	s_or_b64 exec, exec, s[4:5]
.LBB814_145:
	v_cmp_eq_u32_e32 vcc, 0, v0
	s_mov_b64 s[12:13], 0
                                        ; implicit-def: $vgpr4_vgpr5
                                        ; implicit-def: $vgpr6
	s_and_saveexec_b64 s[4:5], vcc
	s_xor_b64 s[8:9], exec, s[4:5]
	s_cbranch_execz .LBB814_149
; %bb.146:
	s_cmp_eq_u64 s[22:23], 0
	s_waitcnt lgkmcnt(0)
	v_mov_b64_e32 v[4:5], s[18:19]
	v_mov_b32_e32 v6, s33
	s_cbranch_scc1 .LBB814_148
; %bb.147:
	s_bitcmp1_b32 s33, 0
	v_and_b32_e32 v4, 1, v1
	v_cmp_eq_u32_e32 vcc, 1, v4
	v_cmp_gt_i64_e64 s[4:5], s[18:19], v[2:3]
	s_cselect_b64 s[6:7], -1, 0
	v_cndmask_b32_e64 v6, v1, 1, s[6:7]
	v_mov_b32_e32 v1, s18
	s_and_b64 vcc, vcc, s[4:5]
	v_mov_b32_e32 v4, s19
	v_cndmask_b32_e32 v1, v1, v2, vcc
	v_cndmask_b32_e32 v4, v4, v3, vcc
	v_cndmask_b32_e64 v5, v3, v4, s[6:7]
	v_cndmask_b32_e64 v4, v2, v1, s[6:7]
.LBB814_148:
	s_mov_b64 s[12:13], exec
.LBB814_149:
	s_or_b64 exec, exec, s[8:9]
	v_mov_b64_e32 v[2:3], s[2:3]
	s_and_b64 vcc, exec, s[28:29]
	s_cbranch_vccnz .LBB814_16
.LBB814_150:
	s_branch .LBB814_306
.LBB814_151:
	v_lshlrev_b32_e32 v4, 2, v0
	global_load_dword v12, v4, s[14:15] offset:1536
	global_load_dword v15, v4, s[16:17] offset:1536
	v_mov_b32_e32 v11, 0
	v_lshl_add_u64 v[4:5], s[28:29], 0, v[10:11]
	s_waitcnt vmcnt(0)
	v_cmp_ne_u32_e64 s[8:9], v12, v15
	s_nop 1
	v_cndmask_b32_e64 v12, 0, 1, s[8:9]
	s_or_b64 exec, exec, s[10:11]
	s_and_saveexec_b64 s[10:11], s[6:7]
	s_cbranch_execz .LBB814_60
.LBB814_152:
	v_and_b32_e32 v1, 1, v1
	v_cmp_eq_u32_e64 s[6:7], 1, v1
	v_and_b32_e32 v1, 1, v14
	v_cmp_eq_u32_e64 s[8:9], 1, v1
	s_and_b64 s[8:9], s[6:7], s[8:9]
	s_xor_b64 s[8:9], s[8:9], -1
                                        ; implicit-def: $vgpr1
	s_and_saveexec_b64 s[14:15], s[8:9]
	s_xor_b64 s[8:9], exec, s[14:15]
; %bb.153:
	v_and_b32_e32 v1, 0xffff, v14
	v_cndmask_b32_e64 v1, v1, 1, s[6:7]
	v_cndmask_b32_e64 v3, v9, v3, s[6:7]
	;; [unrolled: 1-line block ×3, first 2 shown]
                                        ; implicit-def: $vgpr8_vgpr9
; %bb.154:
	s_andn2_saveexec_b64 s[8:9], s[8:9]
; %bb.155:
	v_cmp_lt_i64_e64 s[6:7], v[8:9], v[2:3]
	v_mov_b32_e32 v1, 1
	s_nop 0
	v_cndmask_b32_e64 v3, v3, v9, s[6:7]
	v_cndmask_b32_e64 v2, v2, v8, s[6:7]
; %bb.156:
	s_or_b64 exec, exec, s[8:9]
	s_or_b64 exec, exec, s[10:11]
	s_and_saveexec_b64 s[8:9], s[4:5]
	s_cbranch_execz .LBB814_61
.LBB814_157:
	v_and_b32_e32 v1, 1, v1
	v_cmp_eq_u32_e64 s[4:5], 1, v1
	v_and_b32_e32 v1, 1, v13
	v_cmp_eq_u32_e64 s[6:7], 1, v1
	s_and_b64 s[6:7], s[4:5], s[6:7]
	s_xor_b64 s[6:7], s[6:7], -1
                                        ; implicit-def: $vgpr1
	s_and_saveexec_b64 s[10:11], s[6:7]
	s_xor_b64 s[6:7], exec, s[10:11]
; %bb.158:
	v_and_b32_e32 v1, 0xffff, v13
	v_cndmask_b32_e64 v1, v1, 1, s[4:5]
	v_cndmask_b32_e64 v3, v7, v3, s[4:5]
	;; [unrolled: 1-line block ×3, first 2 shown]
                                        ; implicit-def: $vgpr6_vgpr7
; %bb.159:
	s_andn2_saveexec_b64 s[6:7], s[6:7]
; %bb.160:
	v_cmp_lt_i64_e64 s[4:5], v[6:7], v[2:3]
	v_mov_b32_e32 v1, 1
	s_nop 0
	v_cndmask_b32_e64 v3, v3, v7, s[4:5]
	v_cndmask_b32_e64 v2, v2, v6, s[4:5]
; %bb.161:
	s_or_b64 exec, exec, s[6:7]
	s_or_b64 exec, exec, s[8:9]
	s_and_saveexec_b64 s[6:7], vcc
	s_cbranch_execz .LBB814_167
.LBB814_162:
	v_and_b32_e32 v1, 1, v1
	v_cmp_eq_u32_e32 vcc, 1, v1
	v_and_b32_e32 v1, 1, v12
	v_cmp_eq_u32_e64 s[4:5], 1, v1
	s_and_b64 s[4:5], vcc, s[4:5]
	s_xor_b64 s[4:5], s[4:5], -1
                                        ; implicit-def: $vgpr1
	s_and_saveexec_b64 s[8:9], s[4:5]
	s_xor_b64 s[4:5], exec, s[8:9]
; %bb.163:
	v_and_b32_e32 v1, 0xffff, v12
	v_cndmask_b32_e64 v1, v1, 1, vcc
	v_cndmask_b32_e32 v3, v5, v3, vcc
	v_cndmask_b32_e32 v2, v4, v2, vcc
                                        ; implicit-def: $vgpr4_vgpr5
; %bb.164:
	s_andn2_saveexec_b64 s[4:5], s[4:5]
; %bb.165:
	v_cmp_lt_i64_e32 vcc, v[4:5], v[2:3]
	v_mov_b32_e32 v1, 1
	s_nop 0
	v_cndmask_b32_e32 v3, v3, v5, vcc
	v_cndmask_b32_e32 v2, v2, v4, vcc
; %bb.166:
	s_or_b64 exec, exec, s[4:5]
.LBB814_167:
	s_or_b64 exec, exec, s[6:7]
	v_mbcnt_lo_u32_b32 v4, -1, 0
	v_mbcnt_hi_u32_b32 v6, -1, v4
	v_and_b32_e32 v7, 63, v6
	v_cmp_ne_u32_e32 vcc, 63, v7
	s_min_u32 s8, s30, 0x80
	v_and_b32_e32 v8, 64, v0
	v_addc_co_u32_e32 v4, vcc, 0, v6, vcc
	v_lshlrev_b32_e32 v5, 2, v4
	ds_bpermute_b32 v9, v5, v1
	ds_bpermute_b32 v4, v5, v2
	;; [unrolled: 1-line block ×3, first 2 shown]
	v_sub_u32_e64 v8, s8, v8 clamp
	v_add_u32_e32 v10, 1, v7
	v_cmp_lt_u32_e32 vcc, v10, v8
	s_and_saveexec_b64 s[4:5], vcc
	s_xor_b64 s[4:5], exec, s[4:5]
	s_cbranch_execz .LBB814_173
; %bb.168:
	s_waitcnt lgkmcnt(2)
	v_and_b32_e32 v10, v9, v1
	v_cmp_ne_u32_e32 vcc, 0, v10
	s_and_saveexec_b64 s[6:7], vcc
	s_xor_b64 s[6:7], exec, s[6:7]
	s_cbranch_execz .LBB814_170
; %bb.169:
	s_waitcnt lgkmcnt(0)
	v_cmp_lt_i64_e32 vcc, v[4:5], v[2:3]
                                        ; implicit-def: $vgpr1
                                        ; implicit-def: $vgpr9
	s_nop 1
	v_cndmask_b32_e32 v3, v3, v5, vcc
	v_cndmask_b32_e32 v2, v2, v4, vcc
                                        ; implicit-def: $vgpr4_vgpr5
.LBB814_170:
	s_or_saveexec_b64 s[6:7], s[6:7]
	v_mov_b32_e32 v10, 1
	s_xor_b64 exec, exec, s[6:7]
	s_cbranch_execz .LBB814_172
; %bb.171:
	v_and_b32_e32 v1, 1, v1
	v_cmp_eq_u32_e32 vcc, 1, v1
	v_and_b32_e32 v1, 0xff, v9
	s_waitcnt lgkmcnt(0)
	v_cndmask_b32_e32 v3, v5, v3, vcc
	v_cndmask_b32_e32 v2, v4, v2, vcc
	v_cndmask_b32_e64 v10, v1, 1, vcc
.LBB814_172:
	s_or_b64 exec, exec, s[6:7]
	v_mov_b32_e32 v1, v10
.LBB814_173:
	s_or_b64 exec, exec, s[4:5]
	v_cmp_gt_u32_e32 vcc, 62, v7
	v_add_u32_e32 v10, 2, v7
	s_waitcnt lgkmcnt(1)
	v_cndmask_b32_e64 v4, 0, 2, vcc
	s_waitcnt lgkmcnt(0)
	v_add_lshl_u32 v5, v4, v6, 2
	ds_bpermute_b32 v9, v5, v1
	ds_bpermute_b32 v4, v5, v2
	ds_bpermute_b32 v5, v5, v3
	v_cmp_lt_u32_e32 vcc, v10, v8
	s_and_saveexec_b64 s[4:5], vcc
	s_cbranch_execz .LBB814_179
; %bb.174:
	s_waitcnt lgkmcnt(2)
	v_and_b32_e32 v10, v1, v9
	v_and_b32_e32 v10, 1, v10
	v_cmp_eq_u32_e32 vcc, 1, v10
	s_and_saveexec_b64 s[6:7], vcc
	s_xor_b64 s[6:7], exec, s[6:7]
	s_cbranch_execz .LBB814_176
; %bb.175:
	s_waitcnt lgkmcnt(0)
	v_cmp_lt_i64_e32 vcc, v[4:5], v[2:3]
                                        ; implicit-def: $vgpr1
                                        ; implicit-def: $vgpr9
	s_nop 1
	v_cndmask_b32_e32 v3, v3, v5, vcc
	v_cndmask_b32_e32 v2, v2, v4, vcc
                                        ; implicit-def: $vgpr4_vgpr5
.LBB814_176:
	s_or_saveexec_b64 s[6:7], s[6:7]
	v_mov_b32_e32 v10, 1
	s_xor_b64 exec, exec, s[6:7]
	s_cbranch_execz .LBB814_178
; %bb.177:
	v_and_b32_e32 v1, 1, v1
	v_cmp_eq_u32_e32 vcc, 1, v1
	v_and_b32_e32 v1, 0xff, v9
	s_waitcnt lgkmcnt(0)
	v_cndmask_b32_e32 v3, v5, v3, vcc
	v_cndmask_b32_e32 v2, v4, v2, vcc
	v_cndmask_b32_e64 v10, v1, 1, vcc
.LBB814_178:
	s_or_b64 exec, exec, s[6:7]
	v_mov_b32_e32 v1, v10
.LBB814_179:
	s_or_b64 exec, exec, s[4:5]
	v_cmp_gt_u32_e32 vcc, 60, v7
	v_add_u32_e32 v10, 4, v7
	s_waitcnt lgkmcnt(1)
	v_cndmask_b32_e64 v4, 0, 4, vcc
	s_waitcnt lgkmcnt(0)
	v_add_lshl_u32 v5, v4, v6, 2
	ds_bpermute_b32 v9, v5, v1
	ds_bpermute_b32 v4, v5, v2
	ds_bpermute_b32 v5, v5, v3
	v_cmp_lt_u32_e32 vcc, v10, v8
	s_and_saveexec_b64 s[4:5], vcc
	s_cbranch_execz .LBB814_185
; %bb.180:
	s_waitcnt lgkmcnt(2)
	v_and_b32_e32 v10, v1, v9
	v_and_b32_e32 v10, 1, v10
	v_cmp_eq_u32_e32 vcc, 1, v10
	s_and_saveexec_b64 s[6:7], vcc
	s_xor_b64 s[6:7], exec, s[6:7]
	s_cbranch_execz .LBB814_182
; %bb.181:
	s_waitcnt lgkmcnt(0)
	v_cmp_lt_i64_e32 vcc, v[4:5], v[2:3]
                                        ; implicit-def: $vgpr1
                                        ; implicit-def: $vgpr9
	s_nop 1
	v_cndmask_b32_e32 v3, v3, v5, vcc
	v_cndmask_b32_e32 v2, v2, v4, vcc
                                        ; implicit-def: $vgpr4_vgpr5
.LBB814_182:
	s_or_saveexec_b64 s[6:7], s[6:7]
	v_mov_b32_e32 v10, 1
	s_xor_b64 exec, exec, s[6:7]
	s_cbranch_execz .LBB814_184
; %bb.183:
	v_and_b32_e32 v1, 1, v1
	v_cmp_eq_u32_e32 vcc, 1, v1
	v_and_b32_e32 v1, 0xff, v9
	s_waitcnt lgkmcnt(0)
	v_cndmask_b32_e32 v3, v5, v3, vcc
	v_cndmask_b32_e32 v2, v4, v2, vcc
	v_cndmask_b32_e64 v10, v1, 1, vcc
.LBB814_184:
	s_or_b64 exec, exec, s[6:7]
	v_mov_b32_e32 v1, v10
.LBB814_185:
	;; [unrolled: 47-line block ×4, first 2 shown]
	s_or_b64 exec, exec, s[4:5]
	s_waitcnt lgkmcnt(2)
	v_lshlrev_b32_e32 v9, 2, v6
	s_waitcnt lgkmcnt(0)
	v_or_b32_e32 v5, 0x80, v9
	ds_bpermute_b32 v10, v5, v1
	ds_bpermute_b32 v4, v5, v2
	;; [unrolled: 1-line block ×3, first 2 shown]
	v_add_u32_e32 v7, 32, v7
	v_cmp_lt_u32_e32 vcc, v7, v8
	v_mov_b32_e32 v7, v1
	s_and_saveexec_b64 s[4:5], vcc
	s_cbranch_execz .LBB814_203
; %bb.198:
	s_waitcnt lgkmcnt(2)
	v_and_b32_e32 v7, v1, v10
	v_and_b32_e32 v7, 1, v7
	v_cmp_eq_u32_e32 vcc, 1, v7
	s_and_saveexec_b64 s[6:7], vcc
	s_xor_b64 s[6:7], exec, s[6:7]
	s_cbranch_execz .LBB814_200
; %bb.199:
	s_waitcnt lgkmcnt(0)
	v_cmp_lt_i64_e32 vcc, v[4:5], v[2:3]
                                        ; implicit-def: $vgpr1
                                        ; implicit-def: $vgpr10
	s_nop 1
	v_cndmask_b32_e32 v3, v3, v5, vcc
	v_cndmask_b32_e32 v2, v2, v4, vcc
                                        ; implicit-def: $vgpr4_vgpr5
.LBB814_200:
	s_or_saveexec_b64 s[6:7], s[6:7]
	v_mov_b32_e32 v7, 1
	s_xor_b64 exec, exec, s[6:7]
	s_cbranch_execz .LBB814_202
; %bb.201:
	v_and_b32_e32 v1, 1, v1
	v_cmp_eq_u32_e32 vcc, 1, v1
	s_nop 1
	v_cndmask_b32_e64 v7, v10, 1, vcc
	s_waitcnt lgkmcnt(0)
	v_cndmask_b32_e32 v3, v5, v3, vcc
	v_cndmask_b32_e32 v2, v4, v2, vcc
.LBB814_202:
	s_or_b64 exec, exec, s[6:7]
	v_and_b32_e32 v1, 0xff, v7
.LBB814_203:
	s_or_b64 exec, exec, s[4:5]
	v_cmp_eq_u32_e32 vcc, 0, v6
	s_and_saveexec_b64 s[4:5], vcc
	s_cbranch_execz .LBB814_205
; %bb.204:
	s_waitcnt lgkmcnt(1)
	v_lshrrev_b32_e32 v4, 2, v0
	v_and_b32_e32 v4, 16, v4
	ds_write_b8 v4, v7 offset:128
	ds_write_b64 v4, v[2:3] offset:136
.LBB814_205:
	s_or_b64 exec, exec, s[4:5]
	v_cmp_gt_u32_e32 vcc, 2, v0
	s_waitcnt lgkmcnt(0)
	s_barrier
	s_and_saveexec_b64 s[4:5], vcc
	s_cbranch_execz .LBB814_213
; %bb.206:
	v_lshlrev_b32_e32 v1, 4, v6
	ds_read_u8 v7, v1 offset:128
	ds_read_b64 v[2:3], v1 offset:136
	v_or_b32_e32 v5, 4, v9
	s_add_i32 s8, s8, 63
	v_and_b32_e32 v6, 1, v6
	s_waitcnt lgkmcnt(1)
	v_and_b32_e32 v1, 0xff, v7
	s_waitcnt lgkmcnt(0)
	ds_bpermute_b32 v4, v5, v2
	ds_bpermute_b32 v8, v5, v1
	;; [unrolled: 1-line block ×3, first 2 shown]
	s_lshr_b32 s6, s8, 6
	v_add_u32_e32 v6, 1, v6
	v_cmp_gt_u32_e32 vcc, s6, v6
	s_and_saveexec_b64 s[6:7], vcc
	s_cbranch_execz .LBB814_212
; %bb.207:
	s_waitcnt lgkmcnt(1)
	v_and_b32_e32 v1, v1, v8
	v_and_b32_e32 v1, 1, v1
	v_cmp_eq_u32_e32 vcc, 1, v1
	s_and_saveexec_b64 s[8:9], vcc
	s_xor_b64 s[8:9], exec, s[8:9]
	s_cbranch_execz .LBB814_209
; %bb.208:
	s_waitcnt lgkmcnt(0)
	v_cmp_lt_i64_e32 vcc, v[4:5], v[2:3]
                                        ; implicit-def: $vgpr7
                                        ; implicit-def: $vgpr8
	s_nop 1
	v_cndmask_b32_e32 v3, v3, v5, vcc
	v_cndmask_b32_e32 v2, v2, v4, vcc
                                        ; implicit-def: $vgpr4_vgpr5
.LBB814_209:
	s_or_saveexec_b64 s[8:9], s[8:9]
	v_mov_b32_e32 v1, 1
	s_xor_b64 exec, exec, s[8:9]
	s_cbranch_execz .LBB814_211
; %bb.210:
	v_and_b32_e32 v1, 1, v7
	v_cmp_eq_u32_e32 vcc, 1, v1
	s_waitcnt lgkmcnt(0)
	s_nop 0
	v_cndmask_b32_e32 v3, v5, v3, vcc
	v_cndmask_b32_e32 v2, v4, v2, vcc
	v_cndmask_b32_e64 v1, v8, 1, vcc
.LBB814_211:
	s_or_b64 exec, exec, s[8:9]
.LBB814_212:
	s_or_b64 exec, exec, s[6:7]
.LBB814_213:
	s_or_b64 exec, exec, s[4:5]
.LBB814_214:
	v_cmp_eq_u32_e32 vcc, 0, v0
                                        ; implicit-def: $vgpr4_vgpr5
                                        ; implicit-def: $vgpr6
	s_and_saveexec_b64 s[4:5], vcc
	s_xor_b64 s[8:9], exec, s[4:5]
	s_cbranch_execz .LBB814_218
; %bb.215:
	s_cmp_eq_u64 s[22:23], 0
	s_waitcnt lgkmcnt(0)
	v_mov_b64_e32 v[4:5], s[18:19]
	v_mov_b32_e32 v6, s33
	s_cbranch_scc1 .LBB814_217
; %bb.216:
	s_bitcmp1_b32 s33, 0
	v_and_b32_e32 v4, 1, v1
	v_cmp_eq_u32_e32 vcc, 1, v4
	v_cmp_gt_i64_e64 s[4:5], s[18:19], v[2:3]
	s_cselect_b64 s[6:7], -1, 0
	v_cndmask_b32_e64 v6, v1, 1, s[6:7]
	v_mov_b32_e32 v1, s18
	s_and_b64 vcc, vcc, s[4:5]
	v_mov_b32_e32 v4, s19
	v_cndmask_b32_e32 v1, v1, v2, vcc
	v_cndmask_b32_e32 v4, v4, v3, vcc
	v_cndmask_b32_e64 v5, v3, v4, s[6:7]
	v_cndmask_b32_e64 v4, v2, v1, s[6:7]
.LBB814_217:
	s_or_b64 s[12:13], s[12:13], exec
.LBB814_218:
	s_or_b64 exec, exec, s[8:9]
	v_mov_b64_e32 v[2:3], s[2:3]
	s_branch .LBB814_306
.LBB814_219:
	s_cmp_gt_i32 s40, 1
	s_cbranch_scc0 .LBB814_231
; %bb.220:
	s_cmp_eq_u32 s40, 2
	s_cbranch_scc0 .LBB814_232
; %bb.221:
	s_mov_b32 s3, 0
	s_lshl_b32 s30, s2, 8
	s_mov_b32 s31, s3
	s_lshr_b64 s[4:5], s[22:23], 8
	s_lshl_b64 s[6:7], s[30:31], 2
	s_add_u32 s14, s24, s6
	s_addc_u32 s15, s25, s7
	s_add_u32 s16, s26, s6
	s_addc_u32 s17, s27, s7
	;; [unrolled: 2-line block ×3, first 2 shown]
	s_cmp_lg_u64 s[4:5], s[2:3]
	s_cbranch_scc0 .LBB814_233
; %bb.222:
	v_lshlrev_b32_e32 v1, 2, v0
	s_waitcnt lgkmcnt(0)
	global_load_dword v7, v1, s[16:17]
	global_load_dword v8, v1, s[16:17] offset:512
	global_load_dword v9, v1, s[14:15] offset:512
	global_load_dword v10, v1, s[14:15]
	v_mov_b32_e32 v1, 0
	s_mov_b64 s[4:5], 0x80
	v_mbcnt_lo_u32_b32 v4, -1, 0
	v_lshl_add_u64 v[2:3], s[28:29], 0, v[0:1]
	v_mbcnt_hi_u32_b32 v1, -1, v4
	v_lshl_add_u64 v[4:5], v[2:3], 0, s[4:5]
	v_lshlrev_b32_e32 v6, 2, v1
	v_or_b32_e32 v11, 0xfc, v6
	s_waitcnt vmcnt(1)
	v_cmp_ne_u32_e32 vcc, v9, v8
	s_waitcnt vmcnt(0)
	v_cmp_ne_u32_e64 s[4:5], v10, v7
	s_nop 1
	v_cndmask_b32_e64 v3, v5, v3, s[4:5]
	v_cndmask_b32_e64 v2, v4, v2, s[4:5]
	s_or_b64 s[4:5], s[4:5], vcc
	v_cndmask_b32_e64 v7, 0, 1, s[4:5]
	v_mov_b32_dpp v5, v3 quad_perm:[1,0,3,2] row_mask:0xf bank_mask:0xf bound_ctrl:1
	v_mov_b32_dpp v4, v2 quad_perm:[1,0,3,2] row_mask:0xf bank_mask:0xf bound_ctrl:1
	;; [unrolled: 1-line block ×3, first 2 shown]
	v_cmp_lt_i64_e32 vcc, v[2:3], v[4:5]
	v_and_b32_e32 v8, 1, v8
	s_and_b64 vcc, s[4:5], vcc
	v_cndmask_b32_e32 v4, v4, v2, vcc
	v_cndmask_b32_e32 v5, v5, v3, vcc
	v_cmp_eq_u32_e32 vcc, 1, v8
	s_nop 1
	v_cndmask_b32_e32 v3, v3, v5, vcc
	v_cndmask_b32_e32 v2, v2, v4, vcc
	v_cndmask_b32_e64 v7, v7, 1, vcc
	v_mov_b32_dpp v5, v3 quad_perm:[2,3,0,1] row_mask:0xf bank_mask:0xf bound_ctrl:1
	v_mov_b32_dpp v4, v2 quad_perm:[2,3,0,1] row_mask:0xf bank_mask:0xf bound_ctrl:1
	v_and_b32_e32 v9, 1, v7
	v_mov_b32_dpp v8, v7 quad_perm:[2,3,0,1] row_mask:0xf bank_mask:0xf bound_ctrl:1
	v_cmp_eq_u32_e32 vcc, 1, v9
	v_cmp_lt_i64_e64 s[4:5], v[2:3], v[4:5]
	v_and_b32_e32 v8, 1, v8
	s_and_b64 vcc, vcc, s[4:5]
	v_cmp_eq_u32_e64 s[6:7], 1, v8
	v_cndmask_b32_e32 v4, v4, v2, vcc
	v_cndmask_b32_e32 v5, v5, v3, vcc
	v_cndmask_b32_e64 v7, v7, 1, s[6:7]
	v_cndmask_b32_e64 v2, v2, v4, s[6:7]
	;; [unrolled: 1-line block ×3, first 2 shown]
	v_and_b32_e32 v9, 1, v7
	v_mov_b32_dpp v4, v2 row_ror:4 row_mask:0xf bank_mask:0xf bound_ctrl:1
	v_mov_b32_dpp v5, v3 row_ror:4 row_mask:0xf bank_mask:0xf bound_ctrl:1
	;; [unrolled: 1-line block ×3, first 2 shown]
	v_cmp_eq_u32_e32 vcc, 1, v9
	v_cmp_lt_i64_e64 s[6:7], v[2:3], v[4:5]
	v_and_b32_e32 v8, 1, v8
	s_and_b64 vcc, vcc, s[6:7]
	v_cmp_eq_u32_e64 s[4:5], 1, v8
	v_cndmask_b32_e32 v4, v4, v2, vcc
	v_cndmask_b32_e32 v5, v5, v3, vcc
	v_cndmask_b32_e64 v7, v7, 1, s[4:5]
	v_cndmask_b32_e64 v2, v2, v4, s[4:5]
	;; [unrolled: 1-line block ×3, first 2 shown]
	v_and_b32_e32 v9, 1, v7
	v_mov_b32_dpp v4, v2 row_ror:8 row_mask:0xf bank_mask:0xf bound_ctrl:1
	v_mov_b32_dpp v5, v3 row_ror:8 row_mask:0xf bank_mask:0xf bound_ctrl:1
	;; [unrolled: 1-line block ×3, first 2 shown]
	v_cmp_eq_u32_e64 s[6:7], 1, v9
	v_cmp_lt_i64_e64 s[8:9], v[2:3], v[4:5]
	v_and_b32_e32 v8, 1, v8
	s_and_b64 s[6:7], s[6:7], s[8:9]
	v_cmp_eq_u32_e32 vcc, 1, v8
	v_cndmask_b32_e64 v4, v4, v2, s[6:7]
	v_cndmask_b32_e64 v5, v5, v3, s[6:7]
	v_cndmask_b32_e64 v7, v7, 1, vcc
	v_cndmask_b32_e32 v2, v2, v4, vcc
	v_cndmask_b32_e32 v3, v3, v5, vcc
	v_and_b32_e32 v9, 1, v7
	v_mov_b32_dpp v4, v2 row_bcast:15 row_mask:0xf bank_mask:0xf bound_ctrl:1
	v_mov_b32_dpp v5, v3 row_bcast:15 row_mask:0xf bank_mask:0xf bound_ctrl:1
	;; [unrolled: 1-line block ×3, first 2 shown]
	v_cmp_eq_u32_e64 s[4:5], 1, v9
	v_cmp_lt_i64_e64 s[8:9], v[2:3], v[4:5]
	v_and_b32_e32 v8, 1, v8
	s_and_b64 s[4:5], s[4:5], s[8:9]
	v_cmp_eq_u32_e64 s[10:11], 1, v8
	v_cndmask_b32_e64 v4, v4, v2, s[4:5]
	v_cndmask_b32_e64 v5, v5, v3, s[4:5]
	;; [unrolled: 1-line block ×5, first 2 shown]
	v_and_b32_e32 v9, 1, v7
	v_mov_b32_dpp v4, v2 row_bcast:31 row_mask:0xf bank_mask:0xf bound_ctrl:1
	v_mov_b32_dpp v5, v3 row_bcast:31 row_mask:0xf bank_mask:0xf bound_ctrl:1
	;; [unrolled: 1-line block ×3, first 2 shown]
	v_cmp_eq_u32_e64 s[6:7], 1, v9
	v_cmp_lt_i64_e64 s[4:5], v[2:3], v[4:5]
	v_and_b32_e32 v8, 1, v8
	s_and_b64 s[4:5], s[6:7], s[4:5]
	v_cmp_eq_u32_e32 vcc, 1, v8
	v_cndmask_b32_e64 v4, v4, v2, s[4:5]
	v_cndmask_b32_e64 v5, v5, v3, s[4:5]
	v_cndmask_b32_e64 v7, v7, 1, vcc
	v_cndmask_b32_e32 v2, v2, v4, vcc
	v_cndmask_b32_e32 v3, v3, v5, vcc
	ds_bpermute_b32 v8, v11, v7
	ds_bpermute_b32 v2, v11, v2
	;; [unrolled: 1-line block ×3, first 2 shown]
	v_cmp_eq_u32_e32 vcc, 0, v1
	s_and_saveexec_b64 s[4:5], vcc
	s_cbranch_execz .LBB814_224
; %bb.223:
	v_lshrrev_b32_e32 v4, 2, v0
	v_and_b32_e32 v4, 16, v4
	s_waitcnt lgkmcnt(2)
	ds_write_b8 v4, v8 offset:32
	s_waitcnt lgkmcnt(1)
	ds_write_b64 v4, v[2:3] offset:40
.LBB814_224:
	s_or_b64 exec, exec, s[4:5]
	v_cmp_gt_u32_e32 vcc, 64, v0
	s_waitcnt lgkmcnt(0)
	s_barrier
	s_and_saveexec_b64 s[4:5], vcc
	s_cbranch_execz .LBB814_230
; %bb.225:
	v_and_b32_e32 v1, 1, v1
	v_lshlrev_b32_e32 v2, 4, v1
	ds_read_u8 v1, v2 offset:32
	ds_read_b64 v[4:5], v2 offset:40
	v_or_b32_e32 v3, 4, v6
	s_waitcnt lgkmcnt(1)
	v_and_b32_e32 v2, 0xff, v1
	ds_bpermute_b32 v9, v3, v2
	s_waitcnt lgkmcnt(1)
	ds_bpermute_b32 v6, v3, v4
	ds_bpermute_b32 v7, v3, v5
	s_waitcnt lgkmcnt(2)
	v_and_b32_e32 v2, v1, v9
	v_and_b32_e32 v2, 1, v2
	v_cmp_eq_u32_e32 vcc, 1, v2
                                        ; implicit-def: $vgpr2_vgpr3
	s_and_saveexec_b64 s[6:7], vcc
	s_xor_b64 s[6:7], exec, s[6:7]
	s_cbranch_execz .LBB814_227
; %bb.226:
	s_waitcnt lgkmcnt(0)
	v_cmp_lt_i64_e32 vcc, v[6:7], v[4:5]
                                        ; implicit-def: $vgpr1
                                        ; implicit-def: $vgpr9
	s_nop 1
	v_cndmask_b32_e32 v3, v5, v7, vcc
	v_cndmask_b32_e32 v2, v4, v6, vcc
                                        ; implicit-def: $vgpr6_vgpr7
                                        ; implicit-def: $vgpr4_vgpr5
.LBB814_227:
	s_or_saveexec_b64 s[6:7], s[6:7]
	v_mov_b32_e32 v8, 1
	s_xor_b64 exec, exec, s[6:7]
	s_cbranch_execz .LBB814_229
; %bb.228:
	v_and_b32_e32 v1, 1, v1
	v_cmp_eq_u32_e32 vcc, 1, v1
	s_waitcnt lgkmcnt(0)
	s_nop 0
	v_cndmask_b32_e32 v3, v7, v5, vcc
	v_cndmask_b32_e32 v2, v6, v4, vcc
	v_cndmask_b32_e64 v8, v9, 1, vcc
.LBB814_229:
	s_or_b64 exec, exec, s[6:7]
.LBB814_230:
	s_or_b64 exec, exec, s[4:5]
	s_branch .LBB814_285
.LBB814_231:
                                        ; implicit-def: $vgpr4_vgpr5
                                        ; implicit-def: $vgpr6
                                        ; implicit-def: $vgpr2_vgpr3
	s_cbranch_execnz .LBB814_290
	s_branch .LBB814_306
.LBB814_232:
                                        ; implicit-def: $vgpr4_vgpr5
                                        ; implicit-def: $vgpr6
                                        ; implicit-def: $vgpr2_vgpr3
	s_branch .LBB814_306
.LBB814_233:
                                        ; implicit-def: $vgpr2_vgpr3
                                        ; implicit-def: $vgpr8
	s_cbranch_execz .LBB814_285
; %bb.234:
	s_sub_i32 s10, s22, s30
	v_cmp_gt_u32_e32 vcc, s10, v0
	s_waitcnt lgkmcnt(0)
	v_mov_b32_e32 v7, 0
	v_mov_b64_e32 v[4:5], 0
	v_mov_b64_e32 v[2:3], 0
	v_mov_b32_e32 v1, 0
	s_and_saveexec_b64 s[4:5], vcc
	s_cbranch_execz .LBB814_236
; %bb.235:
	v_lshlrev_b32_e32 v1, 2, v0
	global_load_dword v6, v1, s[14:15]
	global_load_dword v8, v1, s[16:17]
	v_mov_b32_e32 v1, 0
	v_lshl_add_u64 v[2:3], s[28:29], 0, v[0:1]
	s_waitcnt vmcnt(0)
	v_cmp_ne_u32_e32 vcc, v6, v8
	s_nop 1
	v_cndmask_b32_e64 v1, 0, 1, vcc
.LBB814_236:
	s_or_b64 exec, exec, s[4:5]
	v_or_b32_e32 v6, 0x80, v0
	v_cmp_gt_u32_e32 vcc, s10, v6
	s_and_saveexec_b64 s[6:7], vcc
	s_cbranch_execz .LBB814_238
; %bb.237:
	v_lshlrev_b32_e32 v4, 2, v0
	global_load_dword v8, v4, s[14:15] offset:512
	global_load_dword v9, v4, s[16:17] offset:512
	v_mov_b32_e32 v7, 0
	v_lshl_add_u64 v[4:5], s[28:29], 0, v[6:7]
	s_waitcnt vmcnt(0)
	v_cmp_ne_u32_e64 s[4:5], v8, v9
	s_nop 1
	v_cndmask_b32_e64 v7, 0, 1, s[4:5]
.LBB814_238:
	s_or_b64 exec, exec, s[6:7]
	v_and_b32_e32 v8, 0xffff, v7
	v_and_b32_e32 v7, 1, v7
	;; [unrolled: 1-line block ×3, first 2 shown]
	v_cmp_eq_u32_e64 s[4:5], 1, v7
	v_and_b32_e32 v1, 1, v1
	v_cmp_lt_i64_e64 s[6:7], v[4:5], v[2:3]
	v_cmp_eq_u32_e64 s[8:9], 1, v1
	s_and_b64 s[4:5], s[4:5], s[6:7]
	v_cndmask_b32_e64 v7, v3, v5, s[4:5]
	v_cndmask_b32_e64 v1, v8, 1, s[8:9]
	;; [unrolled: 1-line block ×4, first 2 shown]
	v_cndmask_b32_e32 v8, v6, v1, vcc
	v_mbcnt_lo_u32_b32 v1, -1, 0
	v_mbcnt_hi_u32_b32 v1, -1, v1
	v_cndmask_b32_e64 v5, v5, v7, s[8:9]
	v_and_b32_e32 v6, 63, v1
	v_cndmask_b32_e32 v3, v3, v5, vcc
	v_cndmask_b32_e32 v2, v2, v4, vcc
	v_cmp_ne_u32_e32 vcc, 63, v6
	s_min_u32 s8, s10, 0x80
	v_and_b32_e32 v7, 64, v0
	v_addc_co_u32_e32 v4, vcc, 0, v1, vcc
	v_lshlrev_b32_e32 v5, 2, v4
	ds_bpermute_b32 v9, v5, v8
	ds_bpermute_b32 v4, v5, v2
	;; [unrolled: 1-line block ×3, first 2 shown]
	v_sub_u32_e64 v7, s8, v7 clamp
	v_add_u32_e32 v10, 1, v6
	v_cmp_lt_u32_e32 vcc, v10, v7
	s_and_saveexec_b64 s[4:5], vcc
	s_cbranch_execz .LBB814_244
; %bb.239:
	s_waitcnt lgkmcnt(2)
	v_and_b32_e32 v10, v9, v8
	v_cmp_ne_u32_e32 vcc, 0, v10
	s_and_saveexec_b64 s[6:7], vcc
	s_xor_b64 s[6:7], exec, s[6:7]
	s_cbranch_execz .LBB814_241
; %bb.240:
	s_waitcnt lgkmcnt(0)
	v_cmp_lt_i64_e32 vcc, v[4:5], v[2:3]
                                        ; implicit-def: $vgpr8
                                        ; implicit-def: $vgpr9
	s_nop 1
	v_cndmask_b32_e32 v3, v3, v5, vcc
	v_cndmask_b32_e32 v2, v2, v4, vcc
                                        ; implicit-def: $vgpr4_vgpr5
.LBB814_241:
	s_or_saveexec_b64 s[6:7], s[6:7]
	v_mov_b32_e32 v10, 1
	s_xor_b64 exec, exec, s[6:7]
	s_cbranch_execz .LBB814_243
; %bb.242:
	v_and_b32_e32 v8, 1, v8
	v_cmp_eq_u32_e32 vcc, 1, v8
	s_waitcnt lgkmcnt(1)
	s_nop 0
	v_cndmask_b32_e32 v2, v4, v2, vcc
	v_and_b32_e32 v4, 0xff, v9
	s_waitcnt lgkmcnt(0)
	v_cndmask_b32_e32 v3, v5, v3, vcc
	v_cndmask_b32_e64 v10, v4, 1, vcc
.LBB814_243:
	s_or_b64 exec, exec, s[6:7]
	v_mov_b32_e32 v8, v10
.LBB814_244:
	s_or_b64 exec, exec, s[4:5]
	v_cmp_gt_u32_e32 vcc, 62, v6
	v_add_u32_e32 v10, 2, v6
	s_waitcnt lgkmcnt(1)
	v_cndmask_b32_e64 v4, 0, 2, vcc
	s_waitcnt lgkmcnt(0)
	v_add_lshl_u32 v5, v4, v1, 2
	ds_bpermute_b32 v9, v5, v8
	ds_bpermute_b32 v4, v5, v2
	ds_bpermute_b32 v5, v5, v3
	v_cmp_lt_u32_e32 vcc, v10, v7
	s_and_saveexec_b64 s[4:5], vcc
	s_cbranch_execz .LBB814_250
; %bb.245:
	s_waitcnt lgkmcnt(2)
	v_and_b32_e32 v10, v8, v9
	v_and_b32_e32 v10, 1, v10
	v_cmp_eq_u32_e32 vcc, 1, v10
	s_and_saveexec_b64 s[6:7], vcc
	s_xor_b64 s[6:7], exec, s[6:7]
	s_cbranch_execz .LBB814_247
; %bb.246:
	s_waitcnt lgkmcnt(0)
	v_cmp_lt_i64_e32 vcc, v[4:5], v[2:3]
                                        ; implicit-def: $vgpr8
                                        ; implicit-def: $vgpr9
	s_nop 1
	v_cndmask_b32_e32 v3, v3, v5, vcc
	v_cndmask_b32_e32 v2, v2, v4, vcc
                                        ; implicit-def: $vgpr4_vgpr5
.LBB814_247:
	s_or_saveexec_b64 s[6:7], s[6:7]
	v_mov_b32_e32 v10, 1
	s_xor_b64 exec, exec, s[6:7]
	s_cbranch_execz .LBB814_249
; %bb.248:
	v_and_b32_e32 v8, 1, v8
	v_cmp_eq_u32_e32 vcc, 1, v8
	s_waitcnt lgkmcnt(1)
	s_nop 0
	v_cndmask_b32_e32 v2, v4, v2, vcc
	v_and_b32_e32 v4, 0xff, v9
	s_waitcnt lgkmcnt(0)
	v_cndmask_b32_e32 v3, v5, v3, vcc
	v_cndmask_b32_e64 v10, v4, 1, vcc
.LBB814_249:
	s_or_b64 exec, exec, s[6:7]
	v_mov_b32_e32 v8, v10
.LBB814_250:
	s_or_b64 exec, exec, s[4:5]
	v_cmp_gt_u32_e32 vcc, 60, v6
	v_add_u32_e32 v10, 4, v6
	s_waitcnt lgkmcnt(1)
	v_cndmask_b32_e64 v4, 0, 4, vcc
	s_waitcnt lgkmcnt(0)
	v_add_lshl_u32 v5, v4, v1, 2
	ds_bpermute_b32 v9, v5, v8
	ds_bpermute_b32 v4, v5, v2
	ds_bpermute_b32 v5, v5, v3
	v_cmp_lt_u32_e32 vcc, v10, v7
	s_and_saveexec_b64 s[4:5], vcc
	s_cbranch_execz .LBB814_256
; %bb.251:
	s_waitcnt lgkmcnt(2)
	v_and_b32_e32 v10, v8, v9
	v_and_b32_e32 v10, 1, v10
	v_cmp_eq_u32_e32 vcc, 1, v10
	s_and_saveexec_b64 s[6:7], vcc
	s_xor_b64 s[6:7], exec, s[6:7]
	s_cbranch_execz .LBB814_253
; %bb.252:
	s_waitcnt lgkmcnt(0)
	v_cmp_lt_i64_e32 vcc, v[4:5], v[2:3]
                                        ; implicit-def: $vgpr8
                                        ; implicit-def: $vgpr9
	s_nop 1
	v_cndmask_b32_e32 v3, v3, v5, vcc
	v_cndmask_b32_e32 v2, v2, v4, vcc
                                        ; implicit-def: $vgpr4_vgpr5
.LBB814_253:
	s_or_saveexec_b64 s[6:7], s[6:7]
	v_mov_b32_e32 v10, 1
	s_xor_b64 exec, exec, s[6:7]
	s_cbranch_execz .LBB814_255
; %bb.254:
	v_and_b32_e32 v8, 1, v8
	v_cmp_eq_u32_e32 vcc, 1, v8
	s_waitcnt lgkmcnt(1)
	s_nop 0
	v_cndmask_b32_e32 v2, v4, v2, vcc
	v_and_b32_e32 v4, 0xff, v9
	s_waitcnt lgkmcnt(0)
	v_cndmask_b32_e32 v3, v5, v3, vcc
	v_cndmask_b32_e64 v10, v4, 1, vcc
.LBB814_255:
	s_or_b64 exec, exec, s[6:7]
	v_mov_b32_e32 v8, v10
.LBB814_256:
	;; [unrolled: 49-line block ×4, first 2 shown]
	s_or_b64 exec, exec, s[4:5]
	s_waitcnt lgkmcnt(2)
	v_lshlrev_b32_e32 v9, 2, v1
	s_waitcnt lgkmcnt(0)
	v_or_b32_e32 v5, 0x80, v9
	ds_bpermute_b32 v10, v5, v8
	ds_bpermute_b32 v4, v5, v2
	;; [unrolled: 1-line block ×3, first 2 shown]
	v_add_u32_e32 v6, 32, v6
	v_cmp_lt_u32_e32 vcc, v6, v7
	v_mov_b32_e32 v6, v8
	s_and_saveexec_b64 s[4:5], vcc
	s_cbranch_execz .LBB814_274
; %bb.269:
	s_waitcnt lgkmcnt(2)
	v_and_b32_e32 v6, v8, v10
	v_and_b32_e32 v6, 1, v6
	v_cmp_eq_u32_e32 vcc, 1, v6
	s_and_saveexec_b64 s[6:7], vcc
	s_xor_b64 s[6:7], exec, s[6:7]
	s_cbranch_execz .LBB814_271
; %bb.270:
	s_waitcnt lgkmcnt(0)
	v_cmp_lt_i64_e32 vcc, v[4:5], v[2:3]
                                        ; implicit-def: $vgpr8
                                        ; implicit-def: $vgpr10
	s_nop 1
	v_cndmask_b32_e32 v3, v3, v5, vcc
	v_cndmask_b32_e32 v2, v2, v4, vcc
                                        ; implicit-def: $vgpr4_vgpr5
.LBB814_271:
	s_or_saveexec_b64 s[6:7], s[6:7]
	v_mov_b32_e32 v6, 1
	s_xor_b64 exec, exec, s[6:7]
	s_cbranch_execz .LBB814_273
; %bb.272:
	v_and_b32_e32 v6, 1, v8
	v_cmp_eq_u32_e32 vcc, 1, v6
	s_nop 1
	v_cndmask_b32_e64 v6, v10, 1, vcc
	s_waitcnt lgkmcnt(0)
	v_cndmask_b32_e32 v3, v5, v3, vcc
	v_cndmask_b32_e32 v2, v4, v2, vcc
.LBB814_273:
	s_or_b64 exec, exec, s[6:7]
	v_and_b32_e32 v8, 0xff, v6
.LBB814_274:
	s_or_b64 exec, exec, s[4:5]
	v_cmp_eq_u32_e32 vcc, 0, v1
	s_and_saveexec_b64 s[4:5], vcc
	s_cbranch_execz .LBB814_276
; %bb.275:
	s_waitcnt lgkmcnt(1)
	v_lshrrev_b32_e32 v4, 2, v0
	v_and_b32_e32 v4, 16, v4
	ds_write_b8 v4, v6 offset:128
	ds_write_b64 v4, v[2:3] offset:136
.LBB814_276:
	s_or_b64 exec, exec, s[4:5]
	v_cmp_gt_u32_e32 vcc, 2, v0
	s_waitcnt lgkmcnt(0)
	s_barrier
	s_and_saveexec_b64 s[4:5], vcc
	s_cbranch_execz .LBB814_284
; %bb.277:
	v_lshlrev_b32_e32 v2, 4, v1
	ds_read_u8 v6, v2 offset:128
	ds_read_b64 v[2:3], v2 offset:136
	v_or_b32_e32 v5, 4, v9
	s_add_i32 s8, s8, 63
	v_and_b32_e32 v1, 1, v1
	s_waitcnt lgkmcnt(1)
	v_and_b32_e32 v8, 0xff, v6
	s_waitcnt lgkmcnt(0)
	ds_bpermute_b32 v4, v5, v2
	ds_bpermute_b32 v7, v5, v8
	;; [unrolled: 1-line block ×3, first 2 shown]
	s_lshr_b32 s6, s8, 6
	v_add_u32_e32 v1, 1, v1
	v_cmp_gt_u32_e32 vcc, s6, v1
	s_and_saveexec_b64 s[6:7], vcc
	s_cbranch_execz .LBB814_283
; %bb.278:
	s_waitcnt lgkmcnt(1)
	v_and_b32_e32 v1, v8, v7
	v_and_b32_e32 v1, 1, v1
	v_cmp_eq_u32_e32 vcc, 1, v1
	s_and_saveexec_b64 s[8:9], vcc
	s_xor_b64 s[8:9], exec, s[8:9]
	s_cbranch_execz .LBB814_280
; %bb.279:
	s_waitcnt lgkmcnt(0)
	v_cmp_lt_i64_e32 vcc, v[4:5], v[2:3]
                                        ; implicit-def: $vgpr6
                                        ; implicit-def: $vgpr7
	s_nop 1
	v_cndmask_b32_e32 v3, v3, v5, vcc
	v_cndmask_b32_e32 v2, v2, v4, vcc
                                        ; implicit-def: $vgpr4_vgpr5
.LBB814_280:
	s_or_saveexec_b64 s[8:9], s[8:9]
	v_mov_b32_e32 v8, 1
	s_xor_b64 exec, exec, s[8:9]
	s_cbranch_execz .LBB814_282
; %bb.281:
	v_and_b32_e32 v1, 1, v6
	v_cmp_eq_u32_e32 vcc, 1, v1
	s_waitcnt lgkmcnt(0)
	s_nop 0
	v_cndmask_b32_e32 v3, v5, v3, vcc
	v_cndmask_b32_e32 v2, v4, v2, vcc
	v_cndmask_b32_e64 v8, v7, 1, vcc
.LBB814_282:
	s_or_b64 exec, exec, s[8:9]
.LBB814_283:
	s_or_b64 exec, exec, s[6:7]
.LBB814_284:
	s_or_b64 exec, exec, s[4:5]
.LBB814_285:
	v_cmp_eq_u32_e32 vcc, 0, v0
                                        ; implicit-def: $vgpr4_vgpr5
                                        ; implicit-def: $vgpr6
	s_and_saveexec_b64 s[4:5], vcc
	s_xor_b64 s[8:9], exec, s[4:5]
	s_cbranch_execz .LBB814_289
; %bb.286:
	s_cmp_eq_u64 s[22:23], 0
	s_waitcnt lgkmcnt(0)
	v_mov_b64_e32 v[4:5], s[18:19]
	v_mov_b32_e32 v6, s33
	s_cbranch_scc1 .LBB814_288
; %bb.287:
	v_and_b32_e32 v1, 1, v8
	s_bitcmp1_b32 s33, 0
	v_cmp_eq_u32_e32 vcc, 1, v1
	v_cmp_gt_i64_e64 s[4:5], s[18:19], v[2:3]
	s_cselect_b64 s[6:7], -1, 0
	v_mov_b32_e32 v1, s18
	s_and_b64 vcc, vcc, s[4:5]
	v_mov_b32_e32 v4, s19
	v_cndmask_b32_e32 v1, v1, v2, vcc
	v_cndmask_b32_e32 v4, v4, v3, vcc
	v_cndmask_b32_e64 v6, v8, 1, s[6:7]
	v_cndmask_b32_e64 v5, v3, v4, s[6:7]
	;; [unrolled: 1-line block ×3, first 2 shown]
.LBB814_288:
	s_or_b64 s[12:13], s[12:13], exec
.LBB814_289:
	s_or_b64 exec, exec, s[8:9]
	v_mov_b64_e32 v[2:3], s[2:3]
	s_branch .LBB814_306
.LBB814_290:
	s_cmp_eq_u32 s40, 1
	s_cbranch_scc0 .LBB814_305
; %bb.291:
	s_mov_b32 s9, 0
	s_lshl_b32 s8, s2, 7
	s_mov_b32 s3, s9
	s_lshr_b64 s[4:5], s[22:23], 7
	s_cmp_lg_u64 s[4:5], s[2:3]
	s_cbranch_scc0 .LBB814_309
; %bb.292:
	s_lshl_b64 s[4:5], s[8:9], 2
	s_add_u32 s6, s24, s4
	s_addc_u32 s7, s25, s5
	s_add_u32 s4, s26, s4
	v_lshlrev_b32_e32 v1, 2, v0
	s_addc_u32 s5, s27, s5
	s_waitcnt lgkmcnt(1)
	global_load_dword v6, v1, s[6:7]
	s_waitcnt lgkmcnt(0)
	global_load_dword v7, v1, s[4:5]
	s_add_u32 s4, s20, s8
	v_mov_b32_e32 v1, 0
	s_addc_u32 s5, s21, 0
	v_lshl_add_u64 v[2:3], s[4:5], 0, v[0:1]
                                        ; implicit-def: $vgpr8
	s_waitcnt vmcnt(0)
	v_cmp_ne_u32_e64 s[4:5], v6, v7
	v_mov_b32_dpp v4, v2 quad_perm:[1,0,3,2] row_mask:0xf bank_mask:0xf bound_ctrl:1
	v_mov_b32_dpp v5, v3 quad_perm:[1,0,3,2] row_mask:0xf bank_mask:0xf bound_ctrl:1
	v_cndmask_b32_e64 v1, 0, 1, s[4:5]
	v_cmp_lt_i64_e32 vcc, v[2:3], v[4:5]
	s_and_b64 vcc, s[4:5], vcc
	v_mov_b32_dpp v1, v1 quad_perm:[1,0,3,2] row_mask:0xf bank_mask:0xf bound_ctrl:1
	v_and_b32_e32 v1, 1, v1
	v_cndmask_b32_e32 v4, v4, v2, vcc
	v_cndmask_b32_e32 v5, v5, v3, vcc
	v_cmp_eq_u32_e32 vcc, 1, v1
	s_or_b64 s[4:5], vcc, s[4:5]
	v_cndmask_b32_e64 v1, 0, 1, s[4:5]
	v_cndmask_b32_e32 v5, v3, v5, vcc
	v_cndmask_b32_e32 v4, v2, v4, vcc
	v_mov_b32_dpp v1, v1 quad_perm:[2,3,0,1] row_mask:0xf bank_mask:0xf bound_ctrl:1
	v_and_b32_e32 v1, 1, v1
	v_cmp_eq_u32_e32 vcc, 1, v1
	s_and_b64 s[6:7], vcc, s[4:5]
	v_mov_b32_dpp v6, v4 quad_perm:[2,3,0,1] row_mask:0xf bank_mask:0xf bound_ctrl:1
	v_mov_b32_dpp v7, v5 quad_perm:[2,3,0,1] row_mask:0xf bank_mask:0xf bound_ctrl:1
	s_xor_b64 s[6:7], s[6:7], -1
                                        ; implicit-def: $vgpr2_vgpr3
	s_and_saveexec_b64 s[10:11], s[6:7]
	s_xor_b64 s[6:7], exec, s[10:11]
; %bb.293:
	s_or_b64 s[4:5], vcc, s[4:5]
	v_cndmask_b32_e32 v3, v5, v7, vcc
	v_cndmask_b32_e32 v2, v4, v6, vcc
	v_cndmask_b32_e64 v8, 0, 1, s[4:5]
                                        ; implicit-def: $vgpr4_vgpr5
                                        ; implicit-def: $vgpr6_vgpr7
; %bb.294:
	s_andn2_saveexec_b64 s[4:5], s[6:7]
; %bb.295:
	v_cmp_lt_i64_e32 vcc, v[4:5], v[6:7]
	v_mov_b32_e32 v8, 1
	s_nop 0
	v_cndmask_b32_e32 v3, v7, v5, vcc
	v_cndmask_b32_e32 v2, v6, v4, vcc
; %bb.296:
	s_or_b64 exec, exec, s[4:5]
	s_nop 0
	v_mov_b32_dpp v4, v2 row_ror:4 row_mask:0xf bank_mask:0xf bound_ctrl:1
	v_mov_b32_dpp v5, v3 row_ror:4 row_mask:0xf bank_mask:0xf bound_ctrl:1
	v_and_b32_e32 v7, 1, v8
	v_mov_b32_dpp v6, v8 row_ror:4 row_mask:0xf bank_mask:0xf bound_ctrl:1
	v_cmp_eq_u32_e32 vcc, 1, v7
	v_cmp_lt_i64_e64 s[4:5], v[2:3], v[4:5]
	v_and_b32_e32 v6, 1, v6
	s_and_b64 vcc, vcc, s[4:5]
	v_cmp_eq_u32_e64 s[6:7], 1, v6
	v_cndmask_b32_e32 v4, v4, v2, vcc
	v_cndmask_b32_e32 v5, v5, v3, vcc
	v_cndmask_b32_e64 v6, v8, 1, s[6:7]
	v_cndmask_b32_e64 v3, v3, v5, s[6:7]
	;; [unrolled: 1-line block ×3, first 2 shown]
	v_and_b32_e32 v8, 1, v6
	v_mov_b32_dpp v5, v3 row_ror:8 row_mask:0xf bank_mask:0xf bound_ctrl:1
	v_mov_b32_dpp v4, v2 row_ror:8 row_mask:0xf bank_mask:0xf bound_ctrl:1
	;; [unrolled: 1-line block ×3, first 2 shown]
	v_cmp_eq_u32_e32 vcc, 1, v8
	v_cmp_lt_i64_e64 s[4:5], v[2:3], v[4:5]
	v_and_b32_e32 v7, 1, v7
	s_and_b64 vcc, vcc, s[4:5]
	v_cmp_eq_u32_e64 s[6:7], 1, v7
	v_cndmask_b32_e32 v4, v4, v2, vcc
	v_cndmask_b32_e32 v5, v5, v3, vcc
	v_cndmask_b32_e64 v6, v6, 1, s[6:7]
	v_cndmask_b32_e64 v3, v3, v5, s[6:7]
	;; [unrolled: 1-line block ×3, first 2 shown]
	v_and_b32_e32 v8, 1, v6
	v_mov_b32_dpp v5, v3 row_bcast:15 row_mask:0xf bank_mask:0xf bound_ctrl:1
	v_mov_b32_dpp v4, v2 row_bcast:15 row_mask:0xf bank_mask:0xf bound_ctrl:1
	;; [unrolled: 1-line block ×3, first 2 shown]
	v_cmp_eq_u32_e32 vcc, 1, v8
	v_cmp_lt_i64_e64 s[4:5], v[2:3], v[4:5]
	v_and_b32_e32 v7, 1, v7
	s_and_b64 vcc, vcc, s[4:5]
	v_cmp_eq_u32_e64 s[6:7], 1, v7
	v_cndmask_b32_e32 v4, v4, v2, vcc
	v_cndmask_b32_e32 v5, v5, v3, vcc
	v_cndmask_b32_e64 v6, v6, 1, s[6:7]
	v_cndmask_b32_e64 v3, v3, v5, s[6:7]
	;; [unrolled: 1-line block ×3, first 2 shown]
	v_mov_b32_dpp v7, v6 row_bcast:31 row_mask:0xf bank_mask:0xf bound_ctrl:1
	v_mov_b32_dpp v5, v3 row_bcast:31 row_mask:0xf bank_mask:0xf bound_ctrl:1
	;; [unrolled: 1-line block ×3, first 2 shown]
	v_and_b32_e32 v8, 1, v6
	v_mbcnt_lo_u32_b32 v1, -1, 0
	v_and_b32_e32 v7, 1, v7
	v_cmp_eq_u32_e32 vcc, 1, v8
	v_cmp_lt_i64_e64 s[4:5], v[2:3], v[4:5]
	v_mbcnt_hi_u32_b32 v1, -1, v1
	v_cmp_eq_u32_e64 s[6:7], 1, v7
	s_and_b64 vcc, vcc, s[4:5]
	v_cndmask_b32_e32 v4, v4, v2, vcc
	v_cndmask_b32_e64 v7, v6, 1, s[6:7]
	v_cndmask_b32_e32 v5, v5, v3, vcc
	v_lshlrev_b32_e32 v6, 2, v1
	v_cndmask_b32_e64 v3, v3, v5, s[6:7]
	v_cndmask_b32_e64 v2, v2, v4, s[6:7]
	v_or_b32_e32 v4, 0xfc, v6
	ds_bpermute_b32 v8, v4, v7
	ds_bpermute_b32 v2, v4, v2
	;; [unrolled: 1-line block ×3, first 2 shown]
	v_cmp_eq_u32_e32 vcc, 0, v1
	s_and_saveexec_b64 s[4:5], vcc
	s_cbranch_execz .LBB814_298
; %bb.297:
	v_lshrrev_b32_e32 v4, 2, v0
	v_and_b32_e32 v4, 16, v4
	s_waitcnt lgkmcnt(2)
	ds_write_b8 v4, v8
	s_waitcnt lgkmcnt(1)
	ds_write_b64 v4, v[2:3] offset:8
.LBB814_298:
	s_or_b64 exec, exec, s[4:5]
	v_cmp_gt_u32_e32 vcc, 64, v0
	s_waitcnt lgkmcnt(0)
	s_barrier
	s_and_saveexec_b64 s[4:5], vcc
	s_cbranch_execz .LBB814_304
; %bb.299:
	v_and_b32_e32 v1, 1, v1
	v_lshlrev_b32_e32 v2, 4, v1
	ds_read_u8 v1, v2
	ds_read_b64 v[4:5], v2 offset:8
	v_or_b32_e32 v3, 4, v6
	s_waitcnt lgkmcnt(1)
	v_and_b32_e32 v2, 0xff, v1
	ds_bpermute_b32 v9, v3, v2
	s_waitcnt lgkmcnt(1)
	ds_bpermute_b32 v6, v3, v4
	ds_bpermute_b32 v7, v3, v5
	s_waitcnt lgkmcnt(2)
	v_and_b32_e32 v2, v1, v9
	v_and_b32_e32 v2, 1, v2
	v_cmp_eq_u32_e32 vcc, 1, v2
                                        ; implicit-def: $vgpr2_vgpr3
	s_and_saveexec_b64 s[6:7], vcc
	s_xor_b64 s[6:7], exec, s[6:7]
	s_cbranch_execz .LBB814_301
; %bb.300:
	s_waitcnt lgkmcnt(0)
	v_cmp_lt_i64_e32 vcc, v[6:7], v[4:5]
                                        ; implicit-def: $vgpr1
                                        ; implicit-def: $vgpr9
	s_nop 1
	v_cndmask_b32_e32 v3, v5, v7, vcc
	v_cndmask_b32_e32 v2, v4, v6, vcc
                                        ; implicit-def: $vgpr6_vgpr7
                                        ; implicit-def: $vgpr4_vgpr5
.LBB814_301:
	s_or_saveexec_b64 s[6:7], s[6:7]
	v_mov_b32_e32 v8, 1
	s_xor_b64 exec, exec, s[6:7]
	s_cbranch_execz .LBB814_303
; %bb.302:
	v_and_b32_e32 v1, 1, v1
	v_cmp_eq_u32_e32 vcc, 1, v1
	s_waitcnt lgkmcnt(0)
	s_nop 0
	v_cndmask_b32_e32 v3, v7, v5, vcc
	v_cndmask_b32_e32 v2, v6, v4, vcc
	v_cndmask_b32_e64 v8, v9, 1, vcc
.LBB814_303:
	s_or_b64 exec, exec, s[6:7]
.LBB814_304:
	s_or_b64 exec, exec, s[4:5]
	s_branch .LBB814_359
.LBB814_305:
                                        ; implicit-def: $vgpr4_vgpr5
                                        ; implicit-def: $vgpr6
                                        ; implicit-def: $vgpr2_vgpr3
.LBB814_306:
	s_and_saveexec_b64 s[2:3], s[12:13]
	s_cbranch_execz .LBB814_308
.LBB814_307:
	s_load_dwordx2 s[0:1], s[0:1], 0x38
	v_lshlrev_b64 v[0:1], 4, v[2:3]
	s_waitcnt lgkmcnt(0)
	v_lshl_add_u64 v[0:1], s[0:1], 0, v[0:1]
	global_store_byte v[0:1], v6, off
	global_store_dwordx2 v[0:1], v[4:5], off offset:8
.LBB814_308:
	s_endpgm
.LBB814_309:
                                        ; implicit-def: $vgpr2_vgpr3
                                        ; implicit-def: $vgpr8
	s_cbranch_execz .LBB814_359
; %bb.310:
	s_sub_i32 s6, s22, s8
	v_cmp_gt_u32_e32 vcc, s6, v0
	v_mov_b32_e32 v9, 0
	v_mov_b64_e32 v[2:3], 0
	s_and_saveexec_b64 s[4:5], vcc
	s_cbranch_execz .LBB814_312
; %bb.311:
	s_lshl_b64 s[10:11], s[8:9], 2
	s_add_u32 s14, s26, s10
	s_addc_u32 s15, s27, s11
	s_add_u32 s10, s24, s10
	s_addc_u32 s11, s25, s11
	v_lshlrev_b32_e32 v1, 2, v0
	s_waitcnt lgkmcnt(2)
	global_load_dword v4, v1, s[10:11]
	s_waitcnt lgkmcnt(0)
	global_load_dword v5, v1, s[14:15]
	s_add_u32 s8, s20, s8
	v_mov_b32_e32 v1, 0
	s_addc_u32 s9, s21, 0
	v_lshl_add_u64 v[2:3], s[8:9], 0, v[0:1]
	s_waitcnt vmcnt(0)
	v_cmp_ne_u32_e32 vcc, v4, v5
	s_nop 1
	v_cndmask_b32_e64 v9, 0, 1, vcc
.LBB814_312:
	s_or_b64 exec, exec, s[4:5]
	v_mbcnt_lo_u32_b32 v1, -1, 0
	v_mbcnt_hi_u32_b32 v1, -1, v1
	s_waitcnt lgkmcnt(1)
	v_and_b32_e32 v6, 63, v1
	v_cmp_ne_u32_e32 vcc, 63, v6
	v_and_b32_e32 v8, 0xffff, v9
	s_min_u32 s8, s6, 0x80
	v_addc_co_u32_e32 v4, vcc, 0, v1, vcc
	s_waitcnt lgkmcnt(0)
	v_lshlrev_b32_e32 v5, 2, v4
	ds_bpermute_b32 v10, v5, v8
	ds_bpermute_b32 v4, v5, v2
	;; [unrolled: 1-line block ×3, first 2 shown]
	v_and_b32_e32 v7, 64, v0
	v_sub_u32_e64 v7, s8, v7 clamp
	v_add_u32_e32 v11, 1, v6
	v_cmp_lt_u32_e32 vcc, v11, v7
	s_and_saveexec_b64 s[4:5], vcc
	s_cbranch_execz .LBB814_318
; %bb.313:
	s_waitcnt lgkmcnt(2)
	v_and_b32_e32 v8, v10, v8
	v_and_b32_e32 v8, 1, v8
	v_cmp_eq_u32_e32 vcc, 1, v8
	s_and_saveexec_b64 s[6:7], vcc
	s_xor_b64 s[6:7], exec, s[6:7]
	s_cbranch_execz .LBB814_315
; %bb.314:
	s_waitcnt lgkmcnt(0)
	v_cmp_lt_i64_e32 vcc, v[4:5], v[2:3]
                                        ; implicit-def: $vgpr9
                                        ; implicit-def: $vgpr10
	s_nop 1
	v_cndmask_b32_e32 v3, v3, v5, vcc
	v_cndmask_b32_e32 v2, v2, v4, vcc
                                        ; implicit-def: $vgpr4_vgpr5
.LBB814_315:
	s_or_saveexec_b64 s[6:7], s[6:7]
	v_mov_b32_e32 v8, 1
	s_xor_b64 exec, exec, s[6:7]
	s_cbranch_execz .LBB814_317
; %bb.316:
	v_and_b32_e32 v8, 1, v9
	v_cmp_eq_u32_e32 vcc, 1, v8
	s_waitcnt lgkmcnt(1)
	s_nop 0
	v_cndmask_b32_e32 v2, v4, v2, vcc
	v_and_b32_e32 v4, 0xff, v10
	s_waitcnt lgkmcnt(0)
	v_cndmask_b32_e32 v3, v5, v3, vcc
	v_cndmask_b32_e64 v8, v4, 1, vcc
.LBB814_317:
	s_or_b64 exec, exec, s[6:7]
.LBB814_318:
	s_or_b64 exec, exec, s[4:5]
	v_cmp_gt_u32_e32 vcc, 62, v6
	s_waitcnt lgkmcnt(2)
	v_add_u32_e32 v10, 2, v6
	s_waitcnt lgkmcnt(1)
	v_cndmask_b32_e64 v4, 0, 2, vcc
	s_waitcnt lgkmcnt(0)
	v_add_lshl_u32 v5, v4, v1, 2
	ds_bpermute_b32 v9, v5, v8
	ds_bpermute_b32 v4, v5, v2
	ds_bpermute_b32 v5, v5, v3
	v_cmp_lt_u32_e32 vcc, v10, v7
	s_and_saveexec_b64 s[4:5], vcc
	s_cbranch_execz .LBB814_324
; %bb.319:
	s_waitcnt lgkmcnt(2)
	v_and_b32_e32 v10, v8, v9
	v_and_b32_e32 v10, 1, v10
	v_cmp_eq_u32_e32 vcc, 1, v10
	s_and_saveexec_b64 s[6:7], vcc
	s_xor_b64 s[6:7], exec, s[6:7]
	s_cbranch_execz .LBB814_321
; %bb.320:
	s_waitcnt lgkmcnt(0)
	v_cmp_lt_i64_e32 vcc, v[4:5], v[2:3]
                                        ; implicit-def: $vgpr8
                                        ; implicit-def: $vgpr9
	s_nop 1
	v_cndmask_b32_e32 v3, v3, v5, vcc
	v_cndmask_b32_e32 v2, v2, v4, vcc
                                        ; implicit-def: $vgpr4_vgpr5
.LBB814_321:
	s_or_saveexec_b64 s[6:7], s[6:7]
	v_mov_b32_e32 v10, 1
	s_xor_b64 exec, exec, s[6:7]
	s_cbranch_execz .LBB814_323
; %bb.322:
	v_and_b32_e32 v8, 1, v8
	v_cmp_eq_u32_e32 vcc, 1, v8
	s_waitcnt lgkmcnt(1)
	s_nop 0
	v_cndmask_b32_e32 v2, v4, v2, vcc
	v_and_b32_e32 v4, 0xff, v9
	s_waitcnt lgkmcnt(0)
	v_cndmask_b32_e32 v3, v5, v3, vcc
	v_cndmask_b32_e64 v10, v4, 1, vcc
.LBB814_323:
	s_or_b64 exec, exec, s[6:7]
	v_mov_b32_e32 v8, v10
.LBB814_324:
	s_or_b64 exec, exec, s[4:5]
	v_cmp_gt_u32_e32 vcc, 60, v6
	v_add_u32_e32 v10, 4, v6
	s_waitcnt lgkmcnt(1)
	v_cndmask_b32_e64 v4, 0, 4, vcc
	s_waitcnt lgkmcnt(0)
	v_add_lshl_u32 v5, v4, v1, 2
	ds_bpermute_b32 v9, v5, v8
	ds_bpermute_b32 v4, v5, v2
	ds_bpermute_b32 v5, v5, v3
	v_cmp_lt_u32_e32 vcc, v10, v7
	s_and_saveexec_b64 s[4:5], vcc
	s_cbranch_execz .LBB814_330
; %bb.325:
	s_waitcnt lgkmcnt(2)
	v_and_b32_e32 v10, v8, v9
	v_and_b32_e32 v10, 1, v10
	v_cmp_eq_u32_e32 vcc, 1, v10
	s_and_saveexec_b64 s[6:7], vcc
	s_xor_b64 s[6:7], exec, s[6:7]
	s_cbranch_execz .LBB814_327
; %bb.326:
	s_waitcnt lgkmcnt(0)
	v_cmp_lt_i64_e32 vcc, v[4:5], v[2:3]
                                        ; implicit-def: $vgpr8
                                        ; implicit-def: $vgpr9
	s_nop 1
	v_cndmask_b32_e32 v3, v3, v5, vcc
	v_cndmask_b32_e32 v2, v2, v4, vcc
                                        ; implicit-def: $vgpr4_vgpr5
.LBB814_327:
	s_or_saveexec_b64 s[6:7], s[6:7]
	v_mov_b32_e32 v10, 1
	s_xor_b64 exec, exec, s[6:7]
	s_cbranch_execz .LBB814_329
; %bb.328:
	v_and_b32_e32 v8, 1, v8
	v_cmp_eq_u32_e32 vcc, 1, v8
	s_waitcnt lgkmcnt(1)
	s_nop 0
	v_cndmask_b32_e32 v2, v4, v2, vcc
	v_and_b32_e32 v4, 0xff, v9
	s_waitcnt lgkmcnt(0)
	v_cndmask_b32_e32 v3, v5, v3, vcc
	v_cndmask_b32_e64 v10, v4, 1, vcc
.LBB814_329:
	s_or_b64 exec, exec, s[6:7]
	v_mov_b32_e32 v8, v10
.LBB814_330:
	s_or_b64 exec, exec, s[4:5]
	v_cmp_gt_u32_e32 vcc, 56, v6
	;; [unrolled: 49-line block ×3, first 2 shown]
	v_add_u32_e32 v10, 16, v6
	s_waitcnt lgkmcnt(1)
	v_cndmask_b32_e64 v4, 0, 16, vcc
	s_waitcnt lgkmcnt(0)
	v_add_lshl_u32 v5, v4, v1, 2
	ds_bpermute_b32 v9, v5, v8
	ds_bpermute_b32 v4, v5, v2
	ds_bpermute_b32 v5, v5, v3
	v_cmp_lt_u32_e32 vcc, v10, v7
	s_and_saveexec_b64 s[4:5], vcc
	s_cbranch_execz .LBB814_342
; %bb.337:
	s_waitcnt lgkmcnt(2)
	v_and_b32_e32 v10, v8, v9
	v_and_b32_e32 v10, 1, v10
	v_cmp_eq_u32_e32 vcc, 1, v10
	s_and_saveexec_b64 s[6:7], vcc
	s_xor_b64 s[6:7], exec, s[6:7]
	s_cbranch_execz .LBB814_339
; %bb.338:
	s_waitcnt lgkmcnt(0)
	v_cmp_lt_i64_e32 vcc, v[4:5], v[2:3]
                                        ; implicit-def: $vgpr8
                                        ; implicit-def: $vgpr9
	s_nop 1
	v_cndmask_b32_e32 v3, v3, v5, vcc
	v_cndmask_b32_e32 v2, v2, v4, vcc
                                        ; implicit-def: $vgpr4_vgpr5
.LBB814_339:
	s_or_saveexec_b64 s[6:7], s[6:7]
	v_mov_b32_e32 v10, 1
	s_xor_b64 exec, exec, s[6:7]
	s_cbranch_execz .LBB814_341
; %bb.340:
	v_and_b32_e32 v8, 1, v8
	v_cmp_eq_u32_e32 vcc, 1, v8
	s_waitcnt lgkmcnt(1)
	s_nop 0
	v_cndmask_b32_e32 v2, v4, v2, vcc
	v_and_b32_e32 v4, 0xff, v9
	s_waitcnt lgkmcnt(0)
	v_cndmask_b32_e32 v3, v5, v3, vcc
	v_cndmask_b32_e64 v10, v4, 1, vcc
.LBB814_341:
	s_or_b64 exec, exec, s[6:7]
	v_mov_b32_e32 v8, v10
.LBB814_342:
	s_or_b64 exec, exec, s[4:5]
	s_waitcnt lgkmcnt(2)
	v_lshlrev_b32_e32 v9, 2, v1
	s_waitcnt lgkmcnt(0)
	v_or_b32_e32 v5, 0x80, v9
	ds_bpermute_b32 v10, v5, v8
	ds_bpermute_b32 v4, v5, v2
	;; [unrolled: 1-line block ×3, first 2 shown]
	v_add_u32_e32 v6, 32, v6
	v_cmp_lt_u32_e32 vcc, v6, v7
	v_mov_b32_e32 v6, v8
	s_and_saveexec_b64 s[4:5], vcc
	s_cbranch_execz .LBB814_348
; %bb.343:
	s_waitcnt lgkmcnt(2)
	v_and_b32_e32 v6, v8, v10
	v_and_b32_e32 v6, 1, v6
	v_cmp_eq_u32_e32 vcc, 1, v6
	s_and_saveexec_b64 s[6:7], vcc
	s_xor_b64 s[6:7], exec, s[6:7]
	s_cbranch_execz .LBB814_345
; %bb.344:
	s_waitcnt lgkmcnt(0)
	v_cmp_lt_i64_e32 vcc, v[4:5], v[2:3]
                                        ; implicit-def: $vgpr8
                                        ; implicit-def: $vgpr10
	s_nop 1
	v_cndmask_b32_e32 v3, v3, v5, vcc
	v_cndmask_b32_e32 v2, v2, v4, vcc
                                        ; implicit-def: $vgpr4_vgpr5
.LBB814_345:
	s_or_saveexec_b64 s[6:7], s[6:7]
	v_mov_b32_e32 v6, 1
	s_xor_b64 exec, exec, s[6:7]
	s_cbranch_execz .LBB814_347
; %bb.346:
	v_and_b32_e32 v6, 1, v8
	v_cmp_eq_u32_e32 vcc, 1, v6
	s_nop 1
	v_cndmask_b32_e64 v6, v10, 1, vcc
	s_waitcnt lgkmcnt(0)
	v_cndmask_b32_e32 v3, v5, v3, vcc
	v_cndmask_b32_e32 v2, v4, v2, vcc
.LBB814_347:
	s_or_b64 exec, exec, s[6:7]
	v_and_b32_e32 v8, 0xff, v6
.LBB814_348:
	s_or_b64 exec, exec, s[4:5]
	v_cmp_eq_u32_e32 vcc, 0, v1
	s_and_saveexec_b64 s[4:5], vcc
	s_cbranch_execz .LBB814_350
; %bb.349:
	s_waitcnt lgkmcnt(1)
	v_lshrrev_b32_e32 v4, 2, v0
	v_and_b32_e32 v4, 16, v4
	ds_write_b8 v4, v6 offset:128
	ds_write_b64 v4, v[2:3] offset:136
.LBB814_350:
	s_or_b64 exec, exec, s[4:5]
	v_cmp_gt_u32_e32 vcc, 2, v0
	s_waitcnt lgkmcnt(0)
	s_barrier
	s_and_saveexec_b64 s[4:5], vcc
	s_cbranch_execz .LBB814_358
; %bb.351:
	v_lshlrev_b32_e32 v2, 4, v1
	ds_read_u8 v6, v2 offset:128
	ds_read_b64 v[2:3], v2 offset:136
	v_or_b32_e32 v5, 4, v9
	s_add_i32 s8, s8, 63
	v_and_b32_e32 v1, 1, v1
	s_waitcnt lgkmcnt(1)
	v_and_b32_e32 v8, 0xff, v6
	s_waitcnt lgkmcnt(0)
	ds_bpermute_b32 v4, v5, v2
	ds_bpermute_b32 v7, v5, v8
	;; [unrolled: 1-line block ×3, first 2 shown]
	s_lshr_b32 s6, s8, 6
	v_add_u32_e32 v1, 1, v1
	v_cmp_gt_u32_e32 vcc, s6, v1
	s_and_saveexec_b64 s[6:7], vcc
	s_cbranch_execz .LBB814_357
; %bb.352:
	s_waitcnt lgkmcnt(1)
	v_and_b32_e32 v1, v8, v7
	v_and_b32_e32 v1, 1, v1
	v_cmp_eq_u32_e32 vcc, 1, v1
	s_and_saveexec_b64 s[8:9], vcc
	s_xor_b64 s[8:9], exec, s[8:9]
	s_cbranch_execz .LBB814_354
; %bb.353:
	s_waitcnt lgkmcnt(0)
	v_cmp_lt_i64_e32 vcc, v[4:5], v[2:3]
                                        ; implicit-def: $vgpr6
                                        ; implicit-def: $vgpr7
	s_nop 1
	v_cndmask_b32_e32 v3, v3, v5, vcc
	v_cndmask_b32_e32 v2, v2, v4, vcc
                                        ; implicit-def: $vgpr4_vgpr5
.LBB814_354:
	s_or_saveexec_b64 s[8:9], s[8:9]
	v_mov_b32_e32 v8, 1
	s_xor_b64 exec, exec, s[8:9]
	s_cbranch_execz .LBB814_356
; %bb.355:
	v_and_b32_e32 v1, 1, v6
	v_cmp_eq_u32_e32 vcc, 1, v1
	s_waitcnt lgkmcnt(0)
	s_nop 0
	v_cndmask_b32_e32 v3, v5, v3, vcc
	v_cndmask_b32_e32 v2, v4, v2, vcc
	v_cndmask_b32_e64 v8, v7, 1, vcc
.LBB814_356:
	s_or_b64 exec, exec, s[8:9]
.LBB814_357:
	s_or_b64 exec, exec, s[6:7]
.LBB814_358:
	s_or_b64 exec, exec, s[4:5]
.LBB814_359:
	v_cmp_eq_u32_e32 vcc, 0, v0
                                        ; implicit-def: $vgpr4_vgpr5
                                        ; implicit-def: $vgpr6
	s_and_saveexec_b64 s[8:9], vcc
	s_cbranch_execz .LBB814_363
; %bb.360:
	s_cmp_eq_u64 s[22:23], 0
	s_waitcnt lgkmcnt(0)
	v_mov_b64_e32 v[4:5], s[18:19]
	v_mov_b32_e32 v6, s33
	s_cbranch_scc1 .LBB814_362
; %bb.361:
	v_and_b32_e32 v0, 1, v8
	s_bitcmp1_b32 s33, 0
	v_cmp_eq_u32_e32 vcc, 1, v0
	v_cmp_gt_i64_e64 s[4:5], s[18:19], v[2:3]
	s_cselect_b64 s[6:7], -1, 0
	v_mov_b32_e32 v0, s18
	s_and_b64 vcc, vcc, s[4:5]
	v_mov_b32_e32 v1, s19
	v_cndmask_b32_e32 v0, v0, v2, vcc
	v_cndmask_b32_e32 v1, v1, v3, vcc
	v_cndmask_b32_e64 v6, v8, 1, s[6:7]
	v_cndmask_b32_e64 v5, v3, v1, s[6:7]
	v_cndmask_b32_e64 v4, v2, v0, s[6:7]
.LBB814_362:
	s_or_b64 s[12:13], s[12:13], exec
.LBB814_363:
	s_or_b64 exec, exec, s[8:9]
	v_mov_b64_e32 v[2:3], s[2:3]
	s_and_saveexec_b64 s[2:3], s[12:13]
	s_cbranch_execnz .LBB814_307
	s_branch .LBB814_308
	.section	.rodata,"a",@progbits
	.p2align	6, 0x0
	.amdhsa_kernel _ZN7rocprim17ROCPRIM_400000_NS6detail17trampoline_kernelINS0_14default_configENS1_22reduce_config_selectorIN6thrust23THRUST_200600_302600_NS5tupleIblNS6_9null_typeES8_S8_S8_S8_S8_S8_S8_EEEEZNS1_11reduce_implILb1ES3_NS6_12zip_iteratorINS7_INS6_11hip_rocprim26transform_input_iterator_tIbNSD_35transform_pair_of_input_iterators_tIbNS6_6detail15normal_iteratorINS6_10device_ptrIKjEEEESL_NS6_8equal_toIjEEEENSG_9not_fun_tINSD_8identityEEEEENSD_19counting_iterator_tIlEES8_S8_S8_S8_S8_S8_S8_S8_EEEEPS9_S9_NSD_9__find_if7functorIS9_EEEE10hipError_tPvRmT1_T2_T3_mT4_P12ihipStream_tbEUlT_E1_NS1_11comp_targetILNS1_3genE0ELNS1_11target_archE4294967295ELNS1_3gpuE0ELNS1_3repE0EEENS1_30default_config_static_selectorELNS0_4arch9wavefront6targetE1EEEvS14_
		.amdhsa_group_segment_fixed_size 160
		.amdhsa_private_segment_fixed_size 0
		.amdhsa_kernarg_size 88
		.amdhsa_user_sgpr_count 2
		.amdhsa_user_sgpr_dispatch_ptr 0
		.amdhsa_user_sgpr_queue_ptr 0
		.amdhsa_user_sgpr_kernarg_segment_ptr 1
		.amdhsa_user_sgpr_dispatch_id 0
		.amdhsa_user_sgpr_kernarg_preload_length 0
		.amdhsa_user_sgpr_kernarg_preload_offset 0
		.amdhsa_user_sgpr_private_segment_size 0
		.amdhsa_uses_dynamic_stack 0
		.amdhsa_enable_private_segment 0
		.amdhsa_system_sgpr_workgroup_id_x 1
		.amdhsa_system_sgpr_workgroup_id_y 0
		.amdhsa_system_sgpr_workgroup_id_z 0
		.amdhsa_system_sgpr_workgroup_info 0
		.amdhsa_system_vgpr_workitem_id 0
		.amdhsa_next_free_vgpr 29
		.amdhsa_next_free_sgpr 42
		.amdhsa_accum_offset 32
		.amdhsa_reserve_vcc 1
		.amdhsa_float_round_mode_32 0
		.amdhsa_float_round_mode_16_64 0
		.amdhsa_float_denorm_mode_32 3
		.amdhsa_float_denorm_mode_16_64 3
		.amdhsa_dx10_clamp 1
		.amdhsa_ieee_mode 1
		.amdhsa_fp16_overflow 0
		.amdhsa_tg_split 0
		.amdhsa_exception_fp_ieee_invalid_op 0
		.amdhsa_exception_fp_denorm_src 0
		.amdhsa_exception_fp_ieee_div_zero 0
		.amdhsa_exception_fp_ieee_overflow 0
		.amdhsa_exception_fp_ieee_underflow 0
		.amdhsa_exception_fp_ieee_inexact 0
		.amdhsa_exception_int_div_zero 0
	.end_amdhsa_kernel
	.section	.text._ZN7rocprim17ROCPRIM_400000_NS6detail17trampoline_kernelINS0_14default_configENS1_22reduce_config_selectorIN6thrust23THRUST_200600_302600_NS5tupleIblNS6_9null_typeES8_S8_S8_S8_S8_S8_S8_EEEEZNS1_11reduce_implILb1ES3_NS6_12zip_iteratorINS7_INS6_11hip_rocprim26transform_input_iterator_tIbNSD_35transform_pair_of_input_iterators_tIbNS6_6detail15normal_iteratorINS6_10device_ptrIKjEEEESL_NS6_8equal_toIjEEEENSG_9not_fun_tINSD_8identityEEEEENSD_19counting_iterator_tIlEES8_S8_S8_S8_S8_S8_S8_S8_EEEEPS9_S9_NSD_9__find_if7functorIS9_EEEE10hipError_tPvRmT1_T2_T3_mT4_P12ihipStream_tbEUlT_E1_NS1_11comp_targetILNS1_3genE0ELNS1_11target_archE4294967295ELNS1_3gpuE0ELNS1_3repE0EEENS1_30default_config_static_selectorELNS0_4arch9wavefront6targetE1EEEvS14_,"axG",@progbits,_ZN7rocprim17ROCPRIM_400000_NS6detail17trampoline_kernelINS0_14default_configENS1_22reduce_config_selectorIN6thrust23THRUST_200600_302600_NS5tupleIblNS6_9null_typeES8_S8_S8_S8_S8_S8_S8_EEEEZNS1_11reduce_implILb1ES3_NS6_12zip_iteratorINS7_INS6_11hip_rocprim26transform_input_iterator_tIbNSD_35transform_pair_of_input_iterators_tIbNS6_6detail15normal_iteratorINS6_10device_ptrIKjEEEESL_NS6_8equal_toIjEEEENSG_9not_fun_tINSD_8identityEEEEENSD_19counting_iterator_tIlEES8_S8_S8_S8_S8_S8_S8_S8_EEEEPS9_S9_NSD_9__find_if7functorIS9_EEEE10hipError_tPvRmT1_T2_T3_mT4_P12ihipStream_tbEUlT_E1_NS1_11comp_targetILNS1_3genE0ELNS1_11target_archE4294967295ELNS1_3gpuE0ELNS1_3repE0EEENS1_30default_config_static_selectorELNS0_4arch9wavefront6targetE1EEEvS14_,comdat
.Lfunc_end814:
	.size	_ZN7rocprim17ROCPRIM_400000_NS6detail17trampoline_kernelINS0_14default_configENS1_22reduce_config_selectorIN6thrust23THRUST_200600_302600_NS5tupleIblNS6_9null_typeES8_S8_S8_S8_S8_S8_S8_EEEEZNS1_11reduce_implILb1ES3_NS6_12zip_iteratorINS7_INS6_11hip_rocprim26transform_input_iterator_tIbNSD_35transform_pair_of_input_iterators_tIbNS6_6detail15normal_iteratorINS6_10device_ptrIKjEEEESL_NS6_8equal_toIjEEEENSG_9not_fun_tINSD_8identityEEEEENSD_19counting_iterator_tIlEES8_S8_S8_S8_S8_S8_S8_S8_EEEEPS9_S9_NSD_9__find_if7functorIS9_EEEE10hipError_tPvRmT1_T2_T3_mT4_P12ihipStream_tbEUlT_E1_NS1_11comp_targetILNS1_3genE0ELNS1_11target_archE4294967295ELNS1_3gpuE0ELNS1_3repE0EEENS1_30default_config_static_selectorELNS0_4arch9wavefront6targetE1EEEvS14_, .Lfunc_end814-_ZN7rocprim17ROCPRIM_400000_NS6detail17trampoline_kernelINS0_14default_configENS1_22reduce_config_selectorIN6thrust23THRUST_200600_302600_NS5tupleIblNS6_9null_typeES8_S8_S8_S8_S8_S8_S8_EEEEZNS1_11reduce_implILb1ES3_NS6_12zip_iteratorINS7_INS6_11hip_rocprim26transform_input_iterator_tIbNSD_35transform_pair_of_input_iterators_tIbNS6_6detail15normal_iteratorINS6_10device_ptrIKjEEEESL_NS6_8equal_toIjEEEENSG_9not_fun_tINSD_8identityEEEEENSD_19counting_iterator_tIlEES8_S8_S8_S8_S8_S8_S8_S8_EEEEPS9_S9_NSD_9__find_if7functorIS9_EEEE10hipError_tPvRmT1_T2_T3_mT4_P12ihipStream_tbEUlT_E1_NS1_11comp_targetILNS1_3genE0ELNS1_11target_archE4294967295ELNS1_3gpuE0ELNS1_3repE0EEENS1_30default_config_static_selectorELNS0_4arch9wavefront6targetE1EEEvS14_
                                        ; -- End function
	.set _ZN7rocprim17ROCPRIM_400000_NS6detail17trampoline_kernelINS0_14default_configENS1_22reduce_config_selectorIN6thrust23THRUST_200600_302600_NS5tupleIblNS6_9null_typeES8_S8_S8_S8_S8_S8_S8_EEEEZNS1_11reduce_implILb1ES3_NS6_12zip_iteratorINS7_INS6_11hip_rocprim26transform_input_iterator_tIbNSD_35transform_pair_of_input_iterators_tIbNS6_6detail15normal_iteratorINS6_10device_ptrIKjEEEESL_NS6_8equal_toIjEEEENSG_9not_fun_tINSD_8identityEEEEENSD_19counting_iterator_tIlEES8_S8_S8_S8_S8_S8_S8_S8_EEEEPS9_S9_NSD_9__find_if7functorIS9_EEEE10hipError_tPvRmT1_T2_T3_mT4_P12ihipStream_tbEUlT_E1_NS1_11comp_targetILNS1_3genE0ELNS1_11target_archE4294967295ELNS1_3gpuE0ELNS1_3repE0EEENS1_30default_config_static_selectorELNS0_4arch9wavefront6targetE1EEEvS14_.num_vgpr, 29
	.set _ZN7rocprim17ROCPRIM_400000_NS6detail17trampoline_kernelINS0_14default_configENS1_22reduce_config_selectorIN6thrust23THRUST_200600_302600_NS5tupleIblNS6_9null_typeES8_S8_S8_S8_S8_S8_S8_EEEEZNS1_11reduce_implILb1ES3_NS6_12zip_iteratorINS7_INS6_11hip_rocprim26transform_input_iterator_tIbNSD_35transform_pair_of_input_iterators_tIbNS6_6detail15normal_iteratorINS6_10device_ptrIKjEEEESL_NS6_8equal_toIjEEEENSG_9not_fun_tINSD_8identityEEEEENSD_19counting_iterator_tIlEES8_S8_S8_S8_S8_S8_S8_S8_EEEEPS9_S9_NSD_9__find_if7functorIS9_EEEE10hipError_tPvRmT1_T2_T3_mT4_P12ihipStream_tbEUlT_E1_NS1_11comp_targetILNS1_3genE0ELNS1_11target_archE4294967295ELNS1_3gpuE0ELNS1_3repE0EEENS1_30default_config_static_selectorELNS0_4arch9wavefront6targetE1EEEvS14_.num_agpr, 0
	.set _ZN7rocprim17ROCPRIM_400000_NS6detail17trampoline_kernelINS0_14default_configENS1_22reduce_config_selectorIN6thrust23THRUST_200600_302600_NS5tupleIblNS6_9null_typeES8_S8_S8_S8_S8_S8_S8_EEEEZNS1_11reduce_implILb1ES3_NS6_12zip_iteratorINS7_INS6_11hip_rocprim26transform_input_iterator_tIbNSD_35transform_pair_of_input_iterators_tIbNS6_6detail15normal_iteratorINS6_10device_ptrIKjEEEESL_NS6_8equal_toIjEEEENSG_9not_fun_tINSD_8identityEEEEENSD_19counting_iterator_tIlEES8_S8_S8_S8_S8_S8_S8_S8_EEEEPS9_S9_NSD_9__find_if7functorIS9_EEEE10hipError_tPvRmT1_T2_T3_mT4_P12ihipStream_tbEUlT_E1_NS1_11comp_targetILNS1_3genE0ELNS1_11target_archE4294967295ELNS1_3gpuE0ELNS1_3repE0EEENS1_30default_config_static_selectorELNS0_4arch9wavefront6targetE1EEEvS14_.numbered_sgpr, 42
	.set _ZN7rocprim17ROCPRIM_400000_NS6detail17trampoline_kernelINS0_14default_configENS1_22reduce_config_selectorIN6thrust23THRUST_200600_302600_NS5tupleIblNS6_9null_typeES8_S8_S8_S8_S8_S8_S8_EEEEZNS1_11reduce_implILb1ES3_NS6_12zip_iteratorINS7_INS6_11hip_rocprim26transform_input_iterator_tIbNSD_35transform_pair_of_input_iterators_tIbNS6_6detail15normal_iteratorINS6_10device_ptrIKjEEEESL_NS6_8equal_toIjEEEENSG_9not_fun_tINSD_8identityEEEEENSD_19counting_iterator_tIlEES8_S8_S8_S8_S8_S8_S8_S8_EEEEPS9_S9_NSD_9__find_if7functorIS9_EEEE10hipError_tPvRmT1_T2_T3_mT4_P12ihipStream_tbEUlT_E1_NS1_11comp_targetILNS1_3genE0ELNS1_11target_archE4294967295ELNS1_3gpuE0ELNS1_3repE0EEENS1_30default_config_static_selectorELNS0_4arch9wavefront6targetE1EEEvS14_.num_named_barrier, 0
	.set _ZN7rocprim17ROCPRIM_400000_NS6detail17trampoline_kernelINS0_14default_configENS1_22reduce_config_selectorIN6thrust23THRUST_200600_302600_NS5tupleIblNS6_9null_typeES8_S8_S8_S8_S8_S8_S8_EEEEZNS1_11reduce_implILb1ES3_NS6_12zip_iteratorINS7_INS6_11hip_rocprim26transform_input_iterator_tIbNSD_35transform_pair_of_input_iterators_tIbNS6_6detail15normal_iteratorINS6_10device_ptrIKjEEEESL_NS6_8equal_toIjEEEENSG_9not_fun_tINSD_8identityEEEEENSD_19counting_iterator_tIlEES8_S8_S8_S8_S8_S8_S8_S8_EEEEPS9_S9_NSD_9__find_if7functorIS9_EEEE10hipError_tPvRmT1_T2_T3_mT4_P12ihipStream_tbEUlT_E1_NS1_11comp_targetILNS1_3genE0ELNS1_11target_archE4294967295ELNS1_3gpuE0ELNS1_3repE0EEENS1_30default_config_static_selectorELNS0_4arch9wavefront6targetE1EEEvS14_.private_seg_size, 0
	.set _ZN7rocprim17ROCPRIM_400000_NS6detail17trampoline_kernelINS0_14default_configENS1_22reduce_config_selectorIN6thrust23THRUST_200600_302600_NS5tupleIblNS6_9null_typeES8_S8_S8_S8_S8_S8_S8_EEEEZNS1_11reduce_implILb1ES3_NS6_12zip_iteratorINS7_INS6_11hip_rocprim26transform_input_iterator_tIbNSD_35transform_pair_of_input_iterators_tIbNS6_6detail15normal_iteratorINS6_10device_ptrIKjEEEESL_NS6_8equal_toIjEEEENSG_9not_fun_tINSD_8identityEEEEENSD_19counting_iterator_tIlEES8_S8_S8_S8_S8_S8_S8_S8_EEEEPS9_S9_NSD_9__find_if7functorIS9_EEEE10hipError_tPvRmT1_T2_T3_mT4_P12ihipStream_tbEUlT_E1_NS1_11comp_targetILNS1_3genE0ELNS1_11target_archE4294967295ELNS1_3gpuE0ELNS1_3repE0EEENS1_30default_config_static_selectorELNS0_4arch9wavefront6targetE1EEEvS14_.uses_vcc, 1
	.set _ZN7rocprim17ROCPRIM_400000_NS6detail17trampoline_kernelINS0_14default_configENS1_22reduce_config_selectorIN6thrust23THRUST_200600_302600_NS5tupleIblNS6_9null_typeES8_S8_S8_S8_S8_S8_S8_EEEEZNS1_11reduce_implILb1ES3_NS6_12zip_iteratorINS7_INS6_11hip_rocprim26transform_input_iterator_tIbNSD_35transform_pair_of_input_iterators_tIbNS6_6detail15normal_iteratorINS6_10device_ptrIKjEEEESL_NS6_8equal_toIjEEEENSG_9not_fun_tINSD_8identityEEEEENSD_19counting_iterator_tIlEES8_S8_S8_S8_S8_S8_S8_S8_EEEEPS9_S9_NSD_9__find_if7functorIS9_EEEE10hipError_tPvRmT1_T2_T3_mT4_P12ihipStream_tbEUlT_E1_NS1_11comp_targetILNS1_3genE0ELNS1_11target_archE4294967295ELNS1_3gpuE0ELNS1_3repE0EEENS1_30default_config_static_selectorELNS0_4arch9wavefront6targetE1EEEvS14_.uses_flat_scratch, 0
	.set _ZN7rocprim17ROCPRIM_400000_NS6detail17trampoline_kernelINS0_14default_configENS1_22reduce_config_selectorIN6thrust23THRUST_200600_302600_NS5tupleIblNS6_9null_typeES8_S8_S8_S8_S8_S8_S8_EEEEZNS1_11reduce_implILb1ES3_NS6_12zip_iteratorINS7_INS6_11hip_rocprim26transform_input_iterator_tIbNSD_35transform_pair_of_input_iterators_tIbNS6_6detail15normal_iteratorINS6_10device_ptrIKjEEEESL_NS6_8equal_toIjEEEENSG_9not_fun_tINSD_8identityEEEEENSD_19counting_iterator_tIlEES8_S8_S8_S8_S8_S8_S8_S8_EEEEPS9_S9_NSD_9__find_if7functorIS9_EEEE10hipError_tPvRmT1_T2_T3_mT4_P12ihipStream_tbEUlT_E1_NS1_11comp_targetILNS1_3genE0ELNS1_11target_archE4294967295ELNS1_3gpuE0ELNS1_3repE0EEENS1_30default_config_static_selectorELNS0_4arch9wavefront6targetE1EEEvS14_.has_dyn_sized_stack, 0
	.set _ZN7rocprim17ROCPRIM_400000_NS6detail17trampoline_kernelINS0_14default_configENS1_22reduce_config_selectorIN6thrust23THRUST_200600_302600_NS5tupleIblNS6_9null_typeES8_S8_S8_S8_S8_S8_S8_EEEEZNS1_11reduce_implILb1ES3_NS6_12zip_iteratorINS7_INS6_11hip_rocprim26transform_input_iterator_tIbNSD_35transform_pair_of_input_iterators_tIbNS6_6detail15normal_iteratorINS6_10device_ptrIKjEEEESL_NS6_8equal_toIjEEEENSG_9not_fun_tINSD_8identityEEEEENSD_19counting_iterator_tIlEES8_S8_S8_S8_S8_S8_S8_S8_EEEEPS9_S9_NSD_9__find_if7functorIS9_EEEE10hipError_tPvRmT1_T2_T3_mT4_P12ihipStream_tbEUlT_E1_NS1_11comp_targetILNS1_3genE0ELNS1_11target_archE4294967295ELNS1_3gpuE0ELNS1_3repE0EEENS1_30default_config_static_selectorELNS0_4arch9wavefront6targetE1EEEvS14_.has_recursion, 0
	.set _ZN7rocprim17ROCPRIM_400000_NS6detail17trampoline_kernelINS0_14default_configENS1_22reduce_config_selectorIN6thrust23THRUST_200600_302600_NS5tupleIblNS6_9null_typeES8_S8_S8_S8_S8_S8_S8_EEEEZNS1_11reduce_implILb1ES3_NS6_12zip_iteratorINS7_INS6_11hip_rocprim26transform_input_iterator_tIbNSD_35transform_pair_of_input_iterators_tIbNS6_6detail15normal_iteratorINS6_10device_ptrIKjEEEESL_NS6_8equal_toIjEEEENSG_9not_fun_tINSD_8identityEEEEENSD_19counting_iterator_tIlEES8_S8_S8_S8_S8_S8_S8_S8_EEEEPS9_S9_NSD_9__find_if7functorIS9_EEEE10hipError_tPvRmT1_T2_T3_mT4_P12ihipStream_tbEUlT_E1_NS1_11comp_targetILNS1_3genE0ELNS1_11target_archE4294967295ELNS1_3gpuE0ELNS1_3repE0EEENS1_30default_config_static_selectorELNS0_4arch9wavefront6targetE1EEEvS14_.has_indirect_call, 0
	.section	.AMDGPU.csdata,"",@progbits
; Kernel info:
; codeLenInByte = 13308
; TotalNumSgprs: 48
; NumVgprs: 29
; NumAgprs: 0
; TotalNumVgprs: 29
; ScratchSize: 0
; MemoryBound: 0
; FloatMode: 240
; IeeeMode: 1
; LDSByteSize: 160 bytes/workgroup (compile time only)
; SGPRBlocks: 5
; VGPRBlocks: 3
; NumSGPRsForWavesPerEU: 48
; NumVGPRsForWavesPerEU: 29
; AccumOffset: 32
; Occupancy: 8
; WaveLimiterHint : 0
; COMPUTE_PGM_RSRC2:SCRATCH_EN: 0
; COMPUTE_PGM_RSRC2:USER_SGPR: 2
; COMPUTE_PGM_RSRC2:TRAP_HANDLER: 0
; COMPUTE_PGM_RSRC2:TGID_X_EN: 1
; COMPUTE_PGM_RSRC2:TGID_Y_EN: 0
; COMPUTE_PGM_RSRC2:TGID_Z_EN: 0
; COMPUTE_PGM_RSRC2:TIDIG_COMP_CNT: 0
; COMPUTE_PGM_RSRC3_GFX90A:ACCUM_OFFSET: 7
; COMPUTE_PGM_RSRC3_GFX90A:TG_SPLIT: 0
	.section	.text._ZN7rocprim17ROCPRIM_400000_NS6detail17trampoline_kernelINS0_14default_configENS1_22reduce_config_selectorIN6thrust23THRUST_200600_302600_NS5tupleIblNS6_9null_typeES8_S8_S8_S8_S8_S8_S8_EEEEZNS1_11reduce_implILb1ES3_NS6_12zip_iteratorINS7_INS6_11hip_rocprim26transform_input_iterator_tIbNSD_35transform_pair_of_input_iterators_tIbNS6_6detail15normal_iteratorINS6_10device_ptrIKjEEEESL_NS6_8equal_toIjEEEENSG_9not_fun_tINSD_8identityEEEEENSD_19counting_iterator_tIlEES8_S8_S8_S8_S8_S8_S8_S8_EEEEPS9_S9_NSD_9__find_if7functorIS9_EEEE10hipError_tPvRmT1_T2_T3_mT4_P12ihipStream_tbEUlT_E1_NS1_11comp_targetILNS1_3genE5ELNS1_11target_archE942ELNS1_3gpuE9ELNS1_3repE0EEENS1_30default_config_static_selectorELNS0_4arch9wavefront6targetE1EEEvS14_,"axG",@progbits,_ZN7rocprim17ROCPRIM_400000_NS6detail17trampoline_kernelINS0_14default_configENS1_22reduce_config_selectorIN6thrust23THRUST_200600_302600_NS5tupleIblNS6_9null_typeES8_S8_S8_S8_S8_S8_S8_EEEEZNS1_11reduce_implILb1ES3_NS6_12zip_iteratorINS7_INS6_11hip_rocprim26transform_input_iterator_tIbNSD_35transform_pair_of_input_iterators_tIbNS6_6detail15normal_iteratorINS6_10device_ptrIKjEEEESL_NS6_8equal_toIjEEEENSG_9not_fun_tINSD_8identityEEEEENSD_19counting_iterator_tIlEES8_S8_S8_S8_S8_S8_S8_S8_EEEEPS9_S9_NSD_9__find_if7functorIS9_EEEE10hipError_tPvRmT1_T2_T3_mT4_P12ihipStream_tbEUlT_E1_NS1_11comp_targetILNS1_3genE5ELNS1_11target_archE942ELNS1_3gpuE9ELNS1_3repE0EEENS1_30default_config_static_selectorELNS0_4arch9wavefront6targetE1EEEvS14_,comdat
	.protected	_ZN7rocprim17ROCPRIM_400000_NS6detail17trampoline_kernelINS0_14default_configENS1_22reduce_config_selectorIN6thrust23THRUST_200600_302600_NS5tupleIblNS6_9null_typeES8_S8_S8_S8_S8_S8_S8_EEEEZNS1_11reduce_implILb1ES3_NS6_12zip_iteratorINS7_INS6_11hip_rocprim26transform_input_iterator_tIbNSD_35transform_pair_of_input_iterators_tIbNS6_6detail15normal_iteratorINS6_10device_ptrIKjEEEESL_NS6_8equal_toIjEEEENSG_9not_fun_tINSD_8identityEEEEENSD_19counting_iterator_tIlEES8_S8_S8_S8_S8_S8_S8_S8_EEEEPS9_S9_NSD_9__find_if7functorIS9_EEEE10hipError_tPvRmT1_T2_T3_mT4_P12ihipStream_tbEUlT_E1_NS1_11comp_targetILNS1_3genE5ELNS1_11target_archE942ELNS1_3gpuE9ELNS1_3repE0EEENS1_30default_config_static_selectorELNS0_4arch9wavefront6targetE1EEEvS14_ ; -- Begin function _ZN7rocprim17ROCPRIM_400000_NS6detail17trampoline_kernelINS0_14default_configENS1_22reduce_config_selectorIN6thrust23THRUST_200600_302600_NS5tupleIblNS6_9null_typeES8_S8_S8_S8_S8_S8_S8_EEEEZNS1_11reduce_implILb1ES3_NS6_12zip_iteratorINS7_INS6_11hip_rocprim26transform_input_iterator_tIbNSD_35transform_pair_of_input_iterators_tIbNS6_6detail15normal_iteratorINS6_10device_ptrIKjEEEESL_NS6_8equal_toIjEEEENSG_9not_fun_tINSD_8identityEEEEENSD_19counting_iterator_tIlEES8_S8_S8_S8_S8_S8_S8_S8_EEEEPS9_S9_NSD_9__find_if7functorIS9_EEEE10hipError_tPvRmT1_T2_T3_mT4_P12ihipStream_tbEUlT_E1_NS1_11comp_targetILNS1_3genE5ELNS1_11target_archE942ELNS1_3gpuE9ELNS1_3repE0EEENS1_30default_config_static_selectorELNS0_4arch9wavefront6targetE1EEEvS14_
	.globl	_ZN7rocprim17ROCPRIM_400000_NS6detail17trampoline_kernelINS0_14default_configENS1_22reduce_config_selectorIN6thrust23THRUST_200600_302600_NS5tupleIblNS6_9null_typeES8_S8_S8_S8_S8_S8_S8_EEEEZNS1_11reduce_implILb1ES3_NS6_12zip_iteratorINS7_INS6_11hip_rocprim26transform_input_iterator_tIbNSD_35transform_pair_of_input_iterators_tIbNS6_6detail15normal_iteratorINS6_10device_ptrIKjEEEESL_NS6_8equal_toIjEEEENSG_9not_fun_tINSD_8identityEEEEENSD_19counting_iterator_tIlEES8_S8_S8_S8_S8_S8_S8_S8_EEEEPS9_S9_NSD_9__find_if7functorIS9_EEEE10hipError_tPvRmT1_T2_T3_mT4_P12ihipStream_tbEUlT_E1_NS1_11comp_targetILNS1_3genE5ELNS1_11target_archE942ELNS1_3gpuE9ELNS1_3repE0EEENS1_30default_config_static_selectorELNS0_4arch9wavefront6targetE1EEEvS14_
	.p2align	8
	.type	_ZN7rocprim17ROCPRIM_400000_NS6detail17trampoline_kernelINS0_14default_configENS1_22reduce_config_selectorIN6thrust23THRUST_200600_302600_NS5tupleIblNS6_9null_typeES8_S8_S8_S8_S8_S8_S8_EEEEZNS1_11reduce_implILb1ES3_NS6_12zip_iteratorINS7_INS6_11hip_rocprim26transform_input_iterator_tIbNSD_35transform_pair_of_input_iterators_tIbNS6_6detail15normal_iteratorINS6_10device_ptrIKjEEEESL_NS6_8equal_toIjEEEENSG_9not_fun_tINSD_8identityEEEEENSD_19counting_iterator_tIlEES8_S8_S8_S8_S8_S8_S8_S8_EEEEPS9_S9_NSD_9__find_if7functorIS9_EEEE10hipError_tPvRmT1_T2_T3_mT4_P12ihipStream_tbEUlT_E1_NS1_11comp_targetILNS1_3genE5ELNS1_11target_archE942ELNS1_3gpuE9ELNS1_3repE0EEENS1_30default_config_static_selectorELNS0_4arch9wavefront6targetE1EEEvS14_,@function
_ZN7rocprim17ROCPRIM_400000_NS6detail17trampoline_kernelINS0_14default_configENS1_22reduce_config_selectorIN6thrust23THRUST_200600_302600_NS5tupleIblNS6_9null_typeES8_S8_S8_S8_S8_S8_S8_EEEEZNS1_11reduce_implILb1ES3_NS6_12zip_iteratorINS7_INS6_11hip_rocprim26transform_input_iterator_tIbNSD_35transform_pair_of_input_iterators_tIbNS6_6detail15normal_iteratorINS6_10device_ptrIKjEEEESL_NS6_8equal_toIjEEEENSG_9not_fun_tINSD_8identityEEEEENSD_19counting_iterator_tIlEES8_S8_S8_S8_S8_S8_S8_S8_EEEEPS9_S9_NSD_9__find_if7functorIS9_EEEE10hipError_tPvRmT1_T2_T3_mT4_P12ihipStream_tbEUlT_E1_NS1_11comp_targetILNS1_3genE5ELNS1_11target_archE942ELNS1_3gpuE9ELNS1_3repE0EEENS1_30default_config_static_selectorELNS0_4arch9wavefront6targetE1EEEvS14_: ; @_ZN7rocprim17ROCPRIM_400000_NS6detail17trampoline_kernelINS0_14default_configENS1_22reduce_config_selectorIN6thrust23THRUST_200600_302600_NS5tupleIblNS6_9null_typeES8_S8_S8_S8_S8_S8_S8_EEEEZNS1_11reduce_implILb1ES3_NS6_12zip_iteratorINS7_INS6_11hip_rocprim26transform_input_iterator_tIbNSD_35transform_pair_of_input_iterators_tIbNS6_6detail15normal_iteratorINS6_10device_ptrIKjEEEESL_NS6_8equal_toIjEEEENSG_9not_fun_tINSD_8identityEEEEENSD_19counting_iterator_tIlEES8_S8_S8_S8_S8_S8_S8_S8_EEEEPS9_S9_NSD_9__find_if7functorIS9_EEEE10hipError_tPvRmT1_T2_T3_mT4_P12ihipStream_tbEUlT_E1_NS1_11comp_targetILNS1_3genE5ELNS1_11target_archE942ELNS1_3gpuE9ELNS1_3repE0EEENS1_30default_config_static_selectorELNS0_4arch9wavefront6targetE1EEEvS14_
; %bb.0:
	.section	.rodata,"a",@progbits
	.p2align	6, 0x0
	.amdhsa_kernel _ZN7rocprim17ROCPRIM_400000_NS6detail17trampoline_kernelINS0_14default_configENS1_22reduce_config_selectorIN6thrust23THRUST_200600_302600_NS5tupleIblNS6_9null_typeES8_S8_S8_S8_S8_S8_S8_EEEEZNS1_11reduce_implILb1ES3_NS6_12zip_iteratorINS7_INS6_11hip_rocprim26transform_input_iterator_tIbNSD_35transform_pair_of_input_iterators_tIbNS6_6detail15normal_iteratorINS6_10device_ptrIKjEEEESL_NS6_8equal_toIjEEEENSG_9not_fun_tINSD_8identityEEEEENSD_19counting_iterator_tIlEES8_S8_S8_S8_S8_S8_S8_S8_EEEEPS9_S9_NSD_9__find_if7functorIS9_EEEE10hipError_tPvRmT1_T2_T3_mT4_P12ihipStream_tbEUlT_E1_NS1_11comp_targetILNS1_3genE5ELNS1_11target_archE942ELNS1_3gpuE9ELNS1_3repE0EEENS1_30default_config_static_selectorELNS0_4arch9wavefront6targetE1EEEvS14_
		.amdhsa_group_segment_fixed_size 0
		.amdhsa_private_segment_fixed_size 0
		.amdhsa_kernarg_size 88
		.amdhsa_user_sgpr_count 2
		.amdhsa_user_sgpr_dispatch_ptr 0
		.amdhsa_user_sgpr_queue_ptr 0
		.amdhsa_user_sgpr_kernarg_segment_ptr 1
		.amdhsa_user_sgpr_dispatch_id 0
		.amdhsa_user_sgpr_kernarg_preload_length 0
		.amdhsa_user_sgpr_kernarg_preload_offset 0
		.amdhsa_user_sgpr_private_segment_size 0
		.amdhsa_uses_dynamic_stack 0
		.amdhsa_enable_private_segment 0
		.amdhsa_system_sgpr_workgroup_id_x 1
		.amdhsa_system_sgpr_workgroup_id_y 0
		.amdhsa_system_sgpr_workgroup_id_z 0
		.amdhsa_system_sgpr_workgroup_info 0
		.amdhsa_system_vgpr_workitem_id 0
		.amdhsa_next_free_vgpr 1
		.amdhsa_next_free_sgpr 0
		.amdhsa_accum_offset 4
		.amdhsa_reserve_vcc 0
		.amdhsa_float_round_mode_32 0
		.amdhsa_float_round_mode_16_64 0
		.amdhsa_float_denorm_mode_32 3
		.amdhsa_float_denorm_mode_16_64 3
		.amdhsa_dx10_clamp 1
		.amdhsa_ieee_mode 1
		.amdhsa_fp16_overflow 0
		.amdhsa_tg_split 0
		.amdhsa_exception_fp_ieee_invalid_op 0
		.amdhsa_exception_fp_denorm_src 0
		.amdhsa_exception_fp_ieee_div_zero 0
		.amdhsa_exception_fp_ieee_overflow 0
		.amdhsa_exception_fp_ieee_underflow 0
		.amdhsa_exception_fp_ieee_inexact 0
		.amdhsa_exception_int_div_zero 0
	.end_amdhsa_kernel
	.section	.text._ZN7rocprim17ROCPRIM_400000_NS6detail17trampoline_kernelINS0_14default_configENS1_22reduce_config_selectorIN6thrust23THRUST_200600_302600_NS5tupleIblNS6_9null_typeES8_S8_S8_S8_S8_S8_S8_EEEEZNS1_11reduce_implILb1ES3_NS6_12zip_iteratorINS7_INS6_11hip_rocprim26transform_input_iterator_tIbNSD_35transform_pair_of_input_iterators_tIbNS6_6detail15normal_iteratorINS6_10device_ptrIKjEEEESL_NS6_8equal_toIjEEEENSG_9not_fun_tINSD_8identityEEEEENSD_19counting_iterator_tIlEES8_S8_S8_S8_S8_S8_S8_S8_EEEEPS9_S9_NSD_9__find_if7functorIS9_EEEE10hipError_tPvRmT1_T2_T3_mT4_P12ihipStream_tbEUlT_E1_NS1_11comp_targetILNS1_3genE5ELNS1_11target_archE942ELNS1_3gpuE9ELNS1_3repE0EEENS1_30default_config_static_selectorELNS0_4arch9wavefront6targetE1EEEvS14_,"axG",@progbits,_ZN7rocprim17ROCPRIM_400000_NS6detail17trampoline_kernelINS0_14default_configENS1_22reduce_config_selectorIN6thrust23THRUST_200600_302600_NS5tupleIblNS6_9null_typeES8_S8_S8_S8_S8_S8_S8_EEEEZNS1_11reduce_implILb1ES3_NS6_12zip_iteratorINS7_INS6_11hip_rocprim26transform_input_iterator_tIbNSD_35transform_pair_of_input_iterators_tIbNS6_6detail15normal_iteratorINS6_10device_ptrIKjEEEESL_NS6_8equal_toIjEEEENSG_9not_fun_tINSD_8identityEEEEENSD_19counting_iterator_tIlEES8_S8_S8_S8_S8_S8_S8_S8_EEEEPS9_S9_NSD_9__find_if7functorIS9_EEEE10hipError_tPvRmT1_T2_T3_mT4_P12ihipStream_tbEUlT_E1_NS1_11comp_targetILNS1_3genE5ELNS1_11target_archE942ELNS1_3gpuE9ELNS1_3repE0EEENS1_30default_config_static_selectorELNS0_4arch9wavefront6targetE1EEEvS14_,comdat
.Lfunc_end815:
	.size	_ZN7rocprim17ROCPRIM_400000_NS6detail17trampoline_kernelINS0_14default_configENS1_22reduce_config_selectorIN6thrust23THRUST_200600_302600_NS5tupleIblNS6_9null_typeES8_S8_S8_S8_S8_S8_S8_EEEEZNS1_11reduce_implILb1ES3_NS6_12zip_iteratorINS7_INS6_11hip_rocprim26transform_input_iterator_tIbNSD_35transform_pair_of_input_iterators_tIbNS6_6detail15normal_iteratorINS6_10device_ptrIKjEEEESL_NS6_8equal_toIjEEEENSG_9not_fun_tINSD_8identityEEEEENSD_19counting_iterator_tIlEES8_S8_S8_S8_S8_S8_S8_S8_EEEEPS9_S9_NSD_9__find_if7functorIS9_EEEE10hipError_tPvRmT1_T2_T3_mT4_P12ihipStream_tbEUlT_E1_NS1_11comp_targetILNS1_3genE5ELNS1_11target_archE942ELNS1_3gpuE9ELNS1_3repE0EEENS1_30default_config_static_selectorELNS0_4arch9wavefront6targetE1EEEvS14_, .Lfunc_end815-_ZN7rocprim17ROCPRIM_400000_NS6detail17trampoline_kernelINS0_14default_configENS1_22reduce_config_selectorIN6thrust23THRUST_200600_302600_NS5tupleIblNS6_9null_typeES8_S8_S8_S8_S8_S8_S8_EEEEZNS1_11reduce_implILb1ES3_NS6_12zip_iteratorINS7_INS6_11hip_rocprim26transform_input_iterator_tIbNSD_35transform_pair_of_input_iterators_tIbNS6_6detail15normal_iteratorINS6_10device_ptrIKjEEEESL_NS6_8equal_toIjEEEENSG_9not_fun_tINSD_8identityEEEEENSD_19counting_iterator_tIlEES8_S8_S8_S8_S8_S8_S8_S8_EEEEPS9_S9_NSD_9__find_if7functorIS9_EEEE10hipError_tPvRmT1_T2_T3_mT4_P12ihipStream_tbEUlT_E1_NS1_11comp_targetILNS1_3genE5ELNS1_11target_archE942ELNS1_3gpuE9ELNS1_3repE0EEENS1_30default_config_static_selectorELNS0_4arch9wavefront6targetE1EEEvS14_
                                        ; -- End function
	.set _ZN7rocprim17ROCPRIM_400000_NS6detail17trampoline_kernelINS0_14default_configENS1_22reduce_config_selectorIN6thrust23THRUST_200600_302600_NS5tupleIblNS6_9null_typeES8_S8_S8_S8_S8_S8_S8_EEEEZNS1_11reduce_implILb1ES3_NS6_12zip_iteratorINS7_INS6_11hip_rocprim26transform_input_iterator_tIbNSD_35transform_pair_of_input_iterators_tIbNS6_6detail15normal_iteratorINS6_10device_ptrIKjEEEESL_NS6_8equal_toIjEEEENSG_9not_fun_tINSD_8identityEEEEENSD_19counting_iterator_tIlEES8_S8_S8_S8_S8_S8_S8_S8_EEEEPS9_S9_NSD_9__find_if7functorIS9_EEEE10hipError_tPvRmT1_T2_T3_mT4_P12ihipStream_tbEUlT_E1_NS1_11comp_targetILNS1_3genE5ELNS1_11target_archE942ELNS1_3gpuE9ELNS1_3repE0EEENS1_30default_config_static_selectorELNS0_4arch9wavefront6targetE1EEEvS14_.num_vgpr, 0
	.set _ZN7rocprim17ROCPRIM_400000_NS6detail17trampoline_kernelINS0_14default_configENS1_22reduce_config_selectorIN6thrust23THRUST_200600_302600_NS5tupleIblNS6_9null_typeES8_S8_S8_S8_S8_S8_S8_EEEEZNS1_11reduce_implILb1ES3_NS6_12zip_iteratorINS7_INS6_11hip_rocprim26transform_input_iterator_tIbNSD_35transform_pair_of_input_iterators_tIbNS6_6detail15normal_iteratorINS6_10device_ptrIKjEEEESL_NS6_8equal_toIjEEEENSG_9not_fun_tINSD_8identityEEEEENSD_19counting_iterator_tIlEES8_S8_S8_S8_S8_S8_S8_S8_EEEEPS9_S9_NSD_9__find_if7functorIS9_EEEE10hipError_tPvRmT1_T2_T3_mT4_P12ihipStream_tbEUlT_E1_NS1_11comp_targetILNS1_3genE5ELNS1_11target_archE942ELNS1_3gpuE9ELNS1_3repE0EEENS1_30default_config_static_selectorELNS0_4arch9wavefront6targetE1EEEvS14_.num_agpr, 0
	.set _ZN7rocprim17ROCPRIM_400000_NS6detail17trampoline_kernelINS0_14default_configENS1_22reduce_config_selectorIN6thrust23THRUST_200600_302600_NS5tupleIblNS6_9null_typeES8_S8_S8_S8_S8_S8_S8_EEEEZNS1_11reduce_implILb1ES3_NS6_12zip_iteratorINS7_INS6_11hip_rocprim26transform_input_iterator_tIbNSD_35transform_pair_of_input_iterators_tIbNS6_6detail15normal_iteratorINS6_10device_ptrIKjEEEESL_NS6_8equal_toIjEEEENSG_9not_fun_tINSD_8identityEEEEENSD_19counting_iterator_tIlEES8_S8_S8_S8_S8_S8_S8_S8_EEEEPS9_S9_NSD_9__find_if7functorIS9_EEEE10hipError_tPvRmT1_T2_T3_mT4_P12ihipStream_tbEUlT_E1_NS1_11comp_targetILNS1_3genE5ELNS1_11target_archE942ELNS1_3gpuE9ELNS1_3repE0EEENS1_30default_config_static_selectorELNS0_4arch9wavefront6targetE1EEEvS14_.numbered_sgpr, 0
	.set _ZN7rocprim17ROCPRIM_400000_NS6detail17trampoline_kernelINS0_14default_configENS1_22reduce_config_selectorIN6thrust23THRUST_200600_302600_NS5tupleIblNS6_9null_typeES8_S8_S8_S8_S8_S8_S8_EEEEZNS1_11reduce_implILb1ES3_NS6_12zip_iteratorINS7_INS6_11hip_rocprim26transform_input_iterator_tIbNSD_35transform_pair_of_input_iterators_tIbNS6_6detail15normal_iteratorINS6_10device_ptrIKjEEEESL_NS6_8equal_toIjEEEENSG_9not_fun_tINSD_8identityEEEEENSD_19counting_iterator_tIlEES8_S8_S8_S8_S8_S8_S8_S8_EEEEPS9_S9_NSD_9__find_if7functorIS9_EEEE10hipError_tPvRmT1_T2_T3_mT4_P12ihipStream_tbEUlT_E1_NS1_11comp_targetILNS1_3genE5ELNS1_11target_archE942ELNS1_3gpuE9ELNS1_3repE0EEENS1_30default_config_static_selectorELNS0_4arch9wavefront6targetE1EEEvS14_.num_named_barrier, 0
	.set _ZN7rocprim17ROCPRIM_400000_NS6detail17trampoline_kernelINS0_14default_configENS1_22reduce_config_selectorIN6thrust23THRUST_200600_302600_NS5tupleIblNS6_9null_typeES8_S8_S8_S8_S8_S8_S8_EEEEZNS1_11reduce_implILb1ES3_NS6_12zip_iteratorINS7_INS6_11hip_rocprim26transform_input_iterator_tIbNSD_35transform_pair_of_input_iterators_tIbNS6_6detail15normal_iteratorINS6_10device_ptrIKjEEEESL_NS6_8equal_toIjEEEENSG_9not_fun_tINSD_8identityEEEEENSD_19counting_iterator_tIlEES8_S8_S8_S8_S8_S8_S8_S8_EEEEPS9_S9_NSD_9__find_if7functorIS9_EEEE10hipError_tPvRmT1_T2_T3_mT4_P12ihipStream_tbEUlT_E1_NS1_11comp_targetILNS1_3genE5ELNS1_11target_archE942ELNS1_3gpuE9ELNS1_3repE0EEENS1_30default_config_static_selectorELNS0_4arch9wavefront6targetE1EEEvS14_.private_seg_size, 0
	.set _ZN7rocprim17ROCPRIM_400000_NS6detail17trampoline_kernelINS0_14default_configENS1_22reduce_config_selectorIN6thrust23THRUST_200600_302600_NS5tupleIblNS6_9null_typeES8_S8_S8_S8_S8_S8_S8_EEEEZNS1_11reduce_implILb1ES3_NS6_12zip_iteratorINS7_INS6_11hip_rocprim26transform_input_iterator_tIbNSD_35transform_pair_of_input_iterators_tIbNS6_6detail15normal_iteratorINS6_10device_ptrIKjEEEESL_NS6_8equal_toIjEEEENSG_9not_fun_tINSD_8identityEEEEENSD_19counting_iterator_tIlEES8_S8_S8_S8_S8_S8_S8_S8_EEEEPS9_S9_NSD_9__find_if7functorIS9_EEEE10hipError_tPvRmT1_T2_T3_mT4_P12ihipStream_tbEUlT_E1_NS1_11comp_targetILNS1_3genE5ELNS1_11target_archE942ELNS1_3gpuE9ELNS1_3repE0EEENS1_30default_config_static_selectorELNS0_4arch9wavefront6targetE1EEEvS14_.uses_vcc, 0
	.set _ZN7rocprim17ROCPRIM_400000_NS6detail17trampoline_kernelINS0_14default_configENS1_22reduce_config_selectorIN6thrust23THRUST_200600_302600_NS5tupleIblNS6_9null_typeES8_S8_S8_S8_S8_S8_S8_EEEEZNS1_11reduce_implILb1ES3_NS6_12zip_iteratorINS7_INS6_11hip_rocprim26transform_input_iterator_tIbNSD_35transform_pair_of_input_iterators_tIbNS6_6detail15normal_iteratorINS6_10device_ptrIKjEEEESL_NS6_8equal_toIjEEEENSG_9not_fun_tINSD_8identityEEEEENSD_19counting_iterator_tIlEES8_S8_S8_S8_S8_S8_S8_S8_EEEEPS9_S9_NSD_9__find_if7functorIS9_EEEE10hipError_tPvRmT1_T2_T3_mT4_P12ihipStream_tbEUlT_E1_NS1_11comp_targetILNS1_3genE5ELNS1_11target_archE942ELNS1_3gpuE9ELNS1_3repE0EEENS1_30default_config_static_selectorELNS0_4arch9wavefront6targetE1EEEvS14_.uses_flat_scratch, 0
	.set _ZN7rocprim17ROCPRIM_400000_NS6detail17trampoline_kernelINS0_14default_configENS1_22reduce_config_selectorIN6thrust23THRUST_200600_302600_NS5tupleIblNS6_9null_typeES8_S8_S8_S8_S8_S8_S8_EEEEZNS1_11reduce_implILb1ES3_NS6_12zip_iteratorINS7_INS6_11hip_rocprim26transform_input_iterator_tIbNSD_35transform_pair_of_input_iterators_tIbNS6_6detail15normal_iteratorINS6_10device_ptrIKjEEEESL_NS6_8equal_toIjEEEENSG_9not_fun_tINSD_8identityEEEEENSD_19counting_iterator_tIlEES8_S8_S8_S8_S8_S8_S8_S8_EEEEPS9_S9_NSD_9__find_if7functorIS9_EEEE10hipError_tPvRmT1_T2_T3_mT4_P12ihipStream_tbEUlT_E1_NS1_11comp_targetILNS1_3genE5ELNS1_11target_archE942ELNS1_3gpuE9ELNS1_3repE0EEENS1_30default_config_static_selectorELNS0_4arch9wavefront6targetE1EEEvS14_.has_dyn_sized_stack, 0
	.set _ZN7rocprim17ROCPRIM_400000_NS6detail17trampoline_kernelINS0_14default_configENS1_22reduce_config_selectorIN6thrust23THRUST_200600_302600_NS5tupleIblNS6_9null_typeES8_S8_S8_S8_S8_S8_S8_EEEEZNS1_11reduce_implILb1ES3_NS6_12zip_iteratorINS7_INS6_11hip_rocprim26transform_input_iterator_tIbNSD_35transform_pair_of_input_iterators_tIbNS6_6detail15normal_iteratorINS6_10device_ptrIKjEEEESL_NS6_8equal_toIjEEEENSG_9not_fun_tINSD_8identityEEEEENSD_19counting_iterator_tIlEES8_S8_S8_S8_S8_S8_S8_S8_EEEEPS9_S9_NSD_9__find_if7functorIS9_EEEE10hipError_tPvRmT1_T2_T3_mT4_P12ihipStream_tbEUlT_E1_NS1_11comp_targetILNS1_3genE5ELNS1_11target_archE942ELNS1_3gpuE9ELNS1_3repE0EEENS1_30default_config_static_selectorELNS0_4arch9wavefront6targetE1EEEvS14_.has_recursion, 0
	.set _ZN7rocprim17ROCPRIM_400000_NS6detail17trampoline_kernelINS0_14default_configENS1_22reduce_config_selectorIN6thrust23THRUST_200600_302600_NS5tupleIblNS6_9null_typeES8_S8_S8_S8_S8_S8_S8_EEEEZNS1_11reduce_implILb1ES3_NS6_12zip_iteratorINS7_INS6_11hip_rocprim26transform_input_iterator_tIbNSD_35transform_pair_of_input_iterators_tIbNS6_6detail15normal_iteratorINS6_10device_ptrIKjEEEESL_NS6_8equal_toIjEEEENSG_9not_fun_tINSD_8identityEEEEENSD_19counting_iterator_tIlEES8_S8_S8_S8_S8_S8_S8_S8_EEEEPS9_S9_NSD_9__find_if7functorIS9_EEEE10hipError_tPvRmT1_T2_T3_mT4_P12ihipStream_tbEUlT_E1_NS1_11comp_targetILNS1_3genE5ELNS1_11target_archE942ELNS1_3gpuE9ELNS1_3repE0EEENS1_30default_config_static_selectorELNS0_4arch9wavefront6targetE1EEEvS14_.has_indirect_call, 0
	.section	.AMDGPU.csdata,"",@progbits
; Kernel info:
; codeLenInByte = 0
; TotalNumSgprs: 6
; NumVgprs: 0
; NumAgprs: 0
; TotalNumVgprs: 0
; ScratchSize: 0
; MemoryBound: 0
; FloatMode: 240
; IeeeMode: 1
; LDSByteSize: 0 bytes/workgroup (compile time only)
; SGPRBlocks: 0
; VGPRBlocks: 0
; NumSGPRsForWavesPerEU: 6
; NumVGPRsForWavesPerEU: 1
; AccumOffset: 4
; Occupancy: 8
; WaveLimiterHint : 0
; COMPUTE_PGM_RSRC2:SCRATCH_EN: 0
; COMPUTE_PGM_RSRC2:USER_SGPR: 2
; COMPUTE_PGM_RSRC2:TRAP_HANDLER: 0
; COMPUTE_PGM_RSRC2:TGID_X_EN: 1
; COMPUTE_PGM_RSRC2:TGID_Y_EN: 0
; COMPUTE_PGM_RSRC2:TGID_Z_EN: 0
; COMPUTE_PGM_RSRC2:TIDIG_COMP_CNT: 0
; COMPUTE_PGM_RSRC3_GFX90A:ACCUM_OFFSET: 0
; COMPUTE_PGM_RSRC3_GFX90A:TG_SPLIT: 0
	.section	.text._ZN7rocprim17ROCPRIM_400000_NS6detail17trampoline_kernelINS0_14default_configENS1_22reduce_config_selectorIN6thrust23THRUST_200600_302600_NS5tupleIblNS6_9null_typeES8_S8_S8_S8_S8_S8_S8_EEEEZNS1_11reduce_implILb1ES3_NS6_12zip_iteratorINS7_INS6_11hip_rocprim26transform_input_iterator_tIbNSD_35transform_pair_of_input_iterators_tIbNS6_6detail15normal_iteratorINS6_10device_ptrIKjEEEESL_NS6_8equal_toIjEEEENSG_9not_fun_tINSD_8identityEEEEENSD_19counting_iterator_tIlEES8_S8_S8_S8_S8_S8_S8_S8_EEEEPS9_S9_NSD_9__find_if7functorIS9_EEEE10hipError_tPvRmT1_T2_T3_mT4_P12ihipStream_tbEUlT_E1_NS1_11comp_targetILNS1_3genE4ELNS1_11target_archE910ELNS1_3gpuE8ELNS1_3repE0EEENS1_30default_config_static_selectorELNS0_4arch9wavefront6targetE1EEEvS14_,"axG",@progbits,_ZN7rocprim17ROCPRIM_400000_NS6detail17trampoline_kernelINS0_14default_configENS1_22reduce_config_selectorIN6thrust23THRUST_200600_302600_NS5tupleIblNS6_9null_typeES8_S8_S8_S8_S8_S8_S8_EEEEZNS1_11reduce_implILb1ES3_NS6_12zip_iteratorINS7_INS6_11hip_rocprim26transform_input_iterator_tIbNSD_35transform_pair_of_input_iterators_tIbNS6_6detail15normal_iteratorINS6_10device_ptrIKjEEEESL_NS6_8equal_toIjEEEENSG_9not_fun_tINSD_8identityEEEEENSD_19counting_iterator_tIlEES8_S8_S8_S8_S8_S8_S8_S8_EEEEPS9_S9_NSD_9__find_if7functorIS9_EEEE10hipError_tPvRmT1_T2_T3_mT4_P12ihipStream_tbEUlT_E1_NS1_11comp_targetILNS1_3genE4ELNS1_11target_archE910ELNS1_3gpuE8ELNS1_3repE0EEENS1_30default_config_static_selectorELNS0_4arch9wavefront6targetE1EEEvS14_,comdat
	.protected	_ZN7rocprim17ROCPRIM_400000_NS6detail17trampoline_kernelINS0_14default_configENS1_22reduce_config_selectorIN6thrust23THRUST_200600_302600_NS5tupleIblNS6_9null_typeES8_S8_S8_S8_S8_S8_S8_EEEEZNS1_11reduce_implILb1ES3_NS6_12zip_iteratorINS7_INS6_11hip_rocprim26transform_input_iterator_tIbNSD_35transform_pair_of_input_iterators_tIbNS6_6detail15normal_iteratorINS6_10device_ptrIKjEEEESL_NS6_8equal_toIjEEEENSG_9not_fun_tINSD_8identityEEEEENSD_19counting_iterator_tIlEES8_S8_S8_S8_S8_S8_S8_S8_EEEEPS9_S9_NSD_9__find_if7functorIS9_EEEE10hipError_tPvRmT1_T2_T3_mT4_P12ihipStream_tbEUlT_E1_NS1_11comp_targetILNS1_3genE4ELNS1_11target_archE910ELNS1_3gpuE8ELNS1_3repE0EEENS1_30default_config_static_selectorELNS0_4arch9wavefront6targetE1EEEvS14_ ; -- Begin function _ZN7rocprim17ROCPRIM_400000_NS6detail17trampoline_kernelINS0_14default_configENS1_22reduce_config_selectorIN6thrust23THRUST_200600_302600_NS5tupleIblNS6_9null_typeES8_S8_S8_S8_S8_S8_S8_EEEEZNS1_11reduce_implILb1ES3_NS6_12zip_iteratorINS7_INS6_11hip_rocprim26transform_input_iterator_tIbNSD_35transform_pair_of_input_iterators_tIbNS6_6detail15normal_iteratorINS6_10device_ptrIKjEEEESL_NS6_8equal_toIjEEEENSG_9not_fun_tINSD_8identityEEEEENSD_19counting_iterator_tIlEES8_S8_S8_S8_S8_S8_S8_S8_EEEEPS9_S9_NSD_9__find_if7functorIS9_EEEE10hipError_tPvRmT1_T2_T3_mT4_P12ihipStream_tbEUlT_E1_NS1_11comp_targetILNS1_3genE4ELNS1_11target_archE910ELNS1_3gpuE8ELNS1_3repE0EEENS1_30default_config_static_selectorELNS0_4arch9wavefront6targetE1EEEvS14_
	.globl	_ZN7rocprim17ROCPRIM_400000_NS6detail17trampoline_kernelINS0_14default_configENS1_22reduce_config_selectorIN6thrust23THRUST_200600_302600_NS5tupleIblNS6_9null_typeES8_S8_S8_S8_S8_S8_S8_EEEEZNS1_11reduce_implILb1ES3_NS6_12zip_iteratorINS7_INS6_11hip_rocprim26transform_input_iterator_tIbNSD_35transform_pair_of_input_iterators_tIbNS6_6detail15normal_iteratorINS6_10device_ptrIKjEEEESL_NS6_8equal_toIjEEEENSG_9not_fun_tINSD_8identityEEEEENSD_19counting_iterator_tIlEES8_S8_S8_S8_S8_S8_S8_S8_EEEEPS9_S9_NSD_9__find_if7functorIS9_EEEE10hipError_tPvRmT1_T2_T3_mT4_P12ihipStream_tbEUlT_E1_NS1_11comp_targetILNS1_3genE4ELNS1_11target_archE910ELNS1_3gpuE8ELNS1_3repE0EEENS1_30default_config_static_selectorELNS0_4arch9wavefront6targetE1EEEvS14_
	.p2align	8
	.type	_ZN7rocprim17ROCPRIM_400000_NS6detail17trampoline_kernelINS0_14default_configENS1_22reduce_config_selectorIN6thrust23THRUST_200600_302600_NS5tupleIblNS6_9null_typeES8_S8_S8_S8_S8_S8_S8_EEEEZNS1_11reduce_implILb1ES3_NS6_12zip_iteratorINS7_INS6_11hip_rocprim26transform_input_iterator_tIbNSD_35transform_pair_of_input_iterators_tIbNS6_6detail15normal_iteratorINS6_10device_ptrIKjEEEESL_NS6_8equal_toIjEEEENSG_9not_fun_tINSD_8identityEEEEENSD_19counting_iterator_tIlEES8_S8_S8_S8_S8_S8_S8_S8_EEEEPS9_S9_NSD_9__find_if7functorIS9_EEEE10hipError_tPvRmT1_T2_T3_mT4_P12ihipStream_tbEUlT_E1_NS1_11comp_targetILNS1_3genE4ELNS1_11target_archE910ELNS1_3gpuE8ELNS1_3repE0EEENS1_30default_config_static_selectorELNS0_4arch9wavefront6targetE1EEEvS14_,@function
_ZN7rocprim17ROCPRIM_400000_NS6detail17trampoline_kernelINS0_14default_configENS1_22reduce_config_selectorIN6thrust23THRUST_200600_302600_NS5tupleIblNS6_9null_typeES8_S8_S8_S8_S8_S8_S8_EEEEZNS1_11reduce_implILb1ES3_NS6_12zip_iteratorINS7_INS6_11hip_rocprim26transform_input_iterator_tIbNSD_35transform_pair_of_input_iterators_tIbNS6_6detail15normal_iteratorINS6_10device_ptrIKjEEEESL_NS6_8equal_toIjEEEENSG_9not_fun_tINSD_8identityEEEEENSD_19counting_iterator_tIlEES8_S8_S8_S8_S8_S8_S8_S8_EEEEPS9_S9_NSD_9__find_if7functorIS9_EEEE10hipError_tPvRmT1_T2_T3_mT4_P12ihipStream_tbEUlT_E1_NS1_11comp_targetILNS1_3genE4ELNS1_11target_archE910ELNS1_3gpuE8ELNS1_3repE0EEENS1_30default_config_static_selectorELNS0_4arch9wavefront6targetE1EEEvS14_: ; @_ZN7rocprim17ROCPRIM_400000_NS6detail17trampoline_kernelINS0_14default_configENS1_22reduce_config_selectorIN6thrust23THRUST_200600_302600_NS5tupleIblNS6_9null_typeES8_S8_S8_S8_S8_S8_S8_EEEEZNS1_11reduce_implILb1ES3_NS6_12zip_iteratorINS7_INS6_11hip_rocprim26transform_input_iterator_tIbNSD_35transform_pair_of_input_iterators_tIbNS6_6detail15normal_iteratorINS6_10device_ptrIKjEEEESL_NS6_8equal_toIjEEEENSG_9not_fun_tINSD_8identityEEEEENSD_19counting_iterator_tIlEES8_S8_S8_S8_S8_S8_S8_S8_EEEEPS9_S9_NSD_9__find_if7functorIS9_EEEE10hipError_tPvRmT1_T2_T3_mT4_P12ihipStream_tbEUlT_E1_NS1_11comp_targetILNS1_3genE4ELNS1_11target_archE910ELNS1_3gpuE8ELNS1_3repE0EEENS1_30default_config_static_selectorELNS0_4arch9wavefront6targetE1EEEvS14_
; %bb.0:
	.section	.rodata,"a",@progbits
	.p2align	6, 0x0
	.amdhsa_kernel _ZN7rocprim17ROCPRIM_400000_NS6detail17trampoline_kernelINS0_14default_configENS1_22reduce_config_selectorIN6thrust23THRUST_200600_302600_NS5tupleIblNS6_9null_typeES8_S8_S8_S8_S8_S8_S8_EEEEZNS1_11reduce_implILb1ES3_NS6_12zip_iteratorINS7_INS6_11hip_rocprim26transform_input_iterator_tIbNSD_35transform_pair_of_input_iterators_tIbNS6_6detail15normal_iteratorINS6_10device_ptrIKjEEEESL_NS6_8equal_toIjEEEENSG_9not_fun_tINSD_8identityEEEEENSD_19counting_iterator_tIlEES8_S8_S8_S8_S8_S8_S8_S8_EEEEPS9_S9_NSD_9__find_if7functorIS9_EEEE10hipError_tPvRmT1_T2_T3_mT4_P12ihipStream_tbEUlT_E1_NS1_11comp_targetILNS1_3genE4ELNS1_11target_archE910ELNS1_3gpuE8ELNS1_3repE0EEENS1_30default_config_static_selectorELNS0_4arch9wavefront6targetE1EEEvS14_
		.amdhsa_group_segment_fixed_size 0
		.amdhsa_private_segment_fixed_size 0
		.amdhsa_kernarg_size 88
		.amdhsa_user_sgpr_count 2
		.amdhsa_user_sgpr_dispatch_ptr 0
		.amdhsa_user_sgpr_queue_ptr 0
		.amdhsa_user_sgpr_kernarg_segment_ptr 1
		.amdhsa_user_sgpr_dispatch_id 0
		.amdhsa_user_sgpr_kernarg_preload_length 0
		.amdhsa_user_sgpr_kernarg_preload_offset 0
		.amdhsa_user_sgpr_private_segment_size 0
		.amdhsa_uses_dynamic_stack 0
		.amdhsa_enable_private_segment 0
		.amdhsa_system_sgpr_workgroup_id_x 1
		.amdhsa_system_sgpr_workgroup_id_y 0
		.amdhsa_system_sgpr_workgroup_id_z 0
		.amdhsa_system_sgpr_workgroup_info 0
		.amdhsa_system_vgpr_workitem_id 0
		.amdhsa_next_free_vgpr 1
		.amdhsa_next_free_sgpr 0
		.amdhsa_accum_offset 4
		.amdhsa_reserve_vcc 0
		.amdhsa_float_round_mode_32 0
		.amdhsa_float_round_mode_16_64 0
		.amdhsa_float_denorm_mode_32 3
		.amdhsa_float_denorm_mode_16_64 3
		.amdhsa_dx10_clamp 1
		.amdhsa_ieee_mode 1
		.amdhsa_fp16_overflow 0
		.amdhsa_tg_split 0
		.amdhsa_exception_fp_ieee_invalid_op 0
		.amdhsa_exception_fp_denorm_src 0
		.amdhsa_exception_fp_ieee_div_zero 0
		.amdhsa_exception_fp_ieee_overflow 0
		.amdhsa_exception_fp_ieee_underflow 0
		.amdhsa_exception_fp_ieee_inexact 0
		.amdhsa_exception_int_div_zero 0
	.end_amdhsa_kernel
	.section	.text._ZN7rocprim17ROCPRIM_400000_NS6detail17trampoline_kernelINS0_14default_configENS1_22reduce_config_selectorIN6thrust23THRUST_200600_302600_NS5tupleIblNS6_9null_typeES8_S8_S8_S8_S8_S8_S8_EEEEZNS1_11reduce_implILb1ES3_NS6_12zip_iteratorINS7_INS6_11hip_rocprim26transform_input_iterator_tIbNSD_35transform_pair_of_input_iterators_tIbNS6_6detail15normal_iteratorINS6_10device_ptrIKjEEEESL_NS6_8equal_toIjEEEENSG_9not_fun_tINSD_8identityEEEEENSD_19counting_iterator_tIlEES8_S8_S8_S8_S8_S8_S8_S8_EEEEPS9_S9_NSD_9__find_if7functorIS9_EEEE10hipError_tPvRmT1_T2_T3_mT4_P12ihipStream_tbEUlT_E1_NS1_11comp_targetILNS1_3genE4ELNS1_11target_archE910ELNS1_3gpuE8ELNS1_3repE0EEENS1_30default_config_static_selectorELNS0_4arch9wavefront6targetE1EEEvS14_,"axG",@progbits,_ZN7rocprim17ROCPRIM_400000_NS6detail17trampoline_kernelINS0_14default_configENS1_22reduce_config_selectorIN6thrust23THRUST_200600_302600_NS5tupleIblNS6_9null_typeES8_S8_S8_S8_S8_S8_S8_EEEEZNS1_11reduce_implILb1ES3_NS6_12zip_iteratorINS7_INS6_11hip_rocprim26transform_input_iterator_tIbNSD_35transform_pair_of_input_iterators_tIbNS6_6detail15normal_iteratorINS6_10device_ptrIKjEEEESL_NS6_8equal_toIjEEEENSG_9not_fun_tINSD_8identityEEEEENSD_19counting_iterator_tIlEES8_S8_S8_S8_S8_S8_S8_S8_EEEEPS9_S9_NSD_9__find_if7functorIS9_EEEE10hipError_tPvRmT1_T2_T3_mT4_P12ihipStream_tbEUlT_E1_NS1_11comp_targetILNS1_3genE4ELNS1_11target_archE910ELNS1_3gpuE8ELNS1_3repE0EEENS1_30default_config_static_selectorELNS0_4arch9wavefront6targetE1EEEvS14_,comdat
.Lfunc_end816:
	.size	_ZN7rocprim17ROCPRIM_400000_NS6detail17trampoline_kernelINS0_14default_configENS1_22reduce_config_selectorIN6thrust23THRUST_200600_302600_NS5tupleIblNS6_9null_typeES8_S8_S8_S8_S8_S8_S8_EEEEZNS1_11reduce_implILb1ES3_NS6_12zip_iteratorINS7_INS6_11hip_rocprim26transform_input_iterator_tIbNSD_35transform_pair_of_input_iterators_tIbNS6_6detail15normal_iteratorINS6_10device_ptrIKjEEEESL_NS6_8equal_toIjEEEENSG_9not_fun_tINSD_8identityEEEEENSD_19counting_iterator_tIlEES8_S8_S8_S8_S8_S8_S8_S8_EEEEPS9_S9_NSD_9__find_if7functorIS9_EEEE10hipError_tPvRmT1_T2_T3_mT4_P12ihipStream_tbEUlT_E1_NS1_11comp_targetILNS1_3genE4ELNS1_11target_archE910ELNS1_3gpuE8ELNS1_3repE0EEENS1_30default_config_static_selectorELNS0_4arch9wavefront6targetE1EEEvS14_, .Lfunc_end816-_ZN7rocprim17ROCPRIM_400000_NS6detail17trampoline_kernelINS0_14default_configENS1_22reduce_config_selectorIN6thrust23THRUST_200600_302600_NS5tupleIblNS6_9null_typeES8_S8_S8_S8_S8_S8_S8_EEEEZNS1_11reduce_implILb1ES3_NS6_12zip_iteratorINS7_INS6_11hip_rocprim26transform_input_iterator_tIbNSD_35transform_pair_of_input_iterators_tIbNS6_6detail15normal_iteratorINS6_10device_ptrIKjEEEESL_NS6_8equal_toIjEEEENSG_9not_fun_tINSD_8identityEEEEENSD_19counting_iterator_tIlEES8_S8_S8_S8_S8_S8_S8_S8_EEEEPS9_S9_NSD_9__find_if7functorIS9_EEEE10hipError_tPvRmT1_T2_T3_mT4_P12ihipStream_tbEUlT_E1_NS1_11comp_targetILNS1_3genE4ELNS1_11target_archE910ELNS1_3gpuE8ELNS1_3repE0EEENS1_30default_config_static_selectorELNS0_4arch9wavefront6targetE1EEEvS14_
                                        ; -- End function
	.set _ZN7rocprim17ROCPRIM_400000_NS6detail17trampoline_kernelINS0_14default_configENS1_22reduce_config_selectorIN6thrust23THRUST_200600_302600_NS5tupleIblNS6_9null_typeES8_S8_S8_S8_S8_S8_S8_EEEEZNS1_11reduce_implILb1ES3_NS6_12zip_iteratorINS7_INS6_11hip_rocprim26transform_input_iterator_tIbNSD_35transform_pair_of_input_iterators_tIbNS6_6detail15normal_iteratorINS6_10device_ptrIKjEEEESL_NS6_8equal_toIjEEEENSG_9not_fun_tINSD_8identityEEEEENSD_19counting_iterator_tIlEES8_S8_S8_S8_S8_S8_S8_S8_EEEEPS9_S9_NSD_9__find_if7functorIS9_EEEE10hipError_tPvRmT1_T2_T3_mT4_P12ihipStream_tbEUlT_E1_NS1_11comp_targetILNS1_3genE4ELNS1_11target_archE910ELNS1_3gpuE8ELNS1_3repE0EEENS1_30default_config_static_selectorELNS0_4arch9wavefront6targetE1EEEvS14_.num_vgpr, 0
	.set _ZN7rocprim17ROCPRIM_400000_NS6detail17trampoline_kernelINS0_14default_configENS1_22reduce_config_selectorIN6thrust23THRUST_200600_302600_NS5tupleIblNS6_9null_typeES8_S8_S8_S8_S8_S8_S8_EEEEZNS1_11reduce_implILb1ES3_NS6_12zip_iteratorINS7_INS6_11hip_rocprim26transform_input_iterator_tIbNSD_35transform_pair_of_input_iterators_tIbNS6_6detail15normal_iteratorINS6_10device_ptrIKjEEEESL_NS6_8equal_toIjEEEENSG_9not_fun_tINSD_8identityEEEEENSD_19counting_iterator_tIlEES8_S8_S8_S8_S8_S8_S8_S8_EEEEPS9_S9_NSD_9__find_if7functorIS9_EEEE10hipError_tPvRmT1_T2_T3_mT4_P12ihipStream_tbEUlT_E1_NS1_11comp_targetILNS1_3genE4ELNS1_11target_archE910ELNS1_3gpuE8ELNS1_3repE0EEENS1_30default_config_static_selectorELNS0_4arch9wavefront6targetE1EEEvS14_.num_agpr, 0
	.set _ZN7rocprim17ROCPRIM_400000_NS6detail17trampoline_kernelINS0_14default_configENS1_22reduce_config_selectorIN6thrust23THRUST_200600_302600_NS5tupleIblNS6_9null_typeES8_S8_S8_S8_S8_S8_S8_EEEEZNS1_11reduce_implILb1ES3_NS6_12zip_iteratorINS7_INS6_11hip_rocprim26transform_input_iterator_tIbNSD_35transform_pair_of_input_iterators_tIbNS6_6detail15normal_iteratorINS6_10device_ptrIKjEEEESL_NS6_8equal_toIjEEEENSG_9not_fun_tINSD_8identityEEEEENSD_19counting_iterator_tIlEES8_S8_S8_S8_S8_S8_S8_S8_EEEEPS9_S9_NSD_9__find_if7functorIS9_EEEE10hipError_tPvRmT1_T2_T3_mT4_P12ihipStream_tbEUlT_E1_NS1_11comp_targetILNS1_3genE4ELNS1_11target_archE910ELNS1_3gpuE8ELNS1_3repE0EEENS1_30default_config_static_selectorELNS0_4arch9wavefront6targetE1EEEvS14_.numbered_sgpr, 0
	.set _ZN7rocprim17ROCPRIM_400000_NS6detail17trampoline_kernelINS0_14default_configENS1_22reduce_config_selectorIN6thrust23THRUST_200600_302600_NS5tupleIblNS6_9null_typeES8_S8_S8_S8_S8_S8_S8_EEEEZNS1_11reduce_implILb1ES3_NS6_12zip_iteratorINS7_INS6_11hip_rocprim26transform_input_iterator_tIbNSD_35transform_pair_of_input_iterators_tIbNS6_6detail15normal_iteratorINS6_10device_ptrIKjEEEESL_NS6_8equal_toIjEEEENSG_9not_fun_tINSD_8identityEEEEENSD_19counting_iterator_tIlEES8_S8_S8_S8_S8_S8_S8_S8_EEEEPS9_S9_NSD_9__find_if7functorIS9_EEEE10hipError_tPvRmT1_T2_T3_mT4_P12ihipStream_tbEUlT_E1_NS1_11comp_targetILNS1_3genE4ELNS1_11target_archE910ELNS1_3gpuE8ELNS1_3repE0EEENS1_30default_config_static_selectorELNS0_4arch9wavefront6targetE1EEEvS14_.num_named_barrier, 0
	.set _ZN7rocprim17ROCPRIM_400000_NS6detail17trampoline_kernelINS0_14default_configENS1_22reduce_config_selectorIN6thrust23THRUST_200600_302600_NS5tupleIblNS6_9null_typeES8_S8_S8_S8_S8_S8_S8_EEEEZNS1_11reduce_implILb1ES3_NS6_12zip_iteratorINS7_INS6_11hip_rocprim26transform_input_iterator_tIbNSD_35transform_pair_of_input_iterators_tIbNS6_6detail15normal_iteratorINS6_10device_ptrIKjEEEESL_NS6_8equal_toIjEEEENSG_9not_fun_tINSD_8identityEEEEENSD_19counting_iterator_tIlEES8_S8_S8_S8_S8_S8_S8_S8_EEEEPS9_S9_NSD_9__find_if7functorIS9_EEEE10hipError_tPvRmT1_T2_T3_mT4_P12ihipStream_tbEUlT_E1_NS1_11comp_targetILNS1_3genE4ELNS1_11target_archE910ELNS1_3gpuE8ELNS1_3repE0EEENS1_30default_config_static_selectorELNS0_4arch9wavefront6targetE1EEEvS14_.private_seg_size, 0
	.set _ZN7rocprim17ROCPRIM_400000_NS6detail17trampoline_kernelINS0_14default_configENS1_22reduce_config_selectorIN6thrust23THRUST_200600_302600_NS5tupleIblNS6_9null_typeES8_S8_S8_S8_S8_S8_S8_EEEEZNS1_11reduce_implILb1ES3_NS6_12zip_iteratorINS7_INS6_11hip_rocprim26transform_input_iterator_tIbNSD_35transform_pair_of_input_iterators_tIbNS6_6detail15normal_iteratorINS6_10device_ptrIKjEEEESL_NS6_8equal_toIjEEEENSG_9not_fun_tINSD_8identityEEEEENSD_19counting_iterator_tIlEES8_S8_S8_S8_S8_S8_S8_S8_EEEEPS9_S9_NSD_9__find_if7functorIS9_EEEE10hipError_tPvRmT1_T2_T3_mT4_P12ihipStream_tbEUlT_E1_NS1_11comp_targetILNS1_3genE4ELNS1_11target_archE910ELNS1_3gpuE8ELNS1_3repE0EEENS1_30default_config_static_selectorELNS0_4arch9wavefront6targetE1EEEvS14_.uses_vcc, 0
	.set _ZN7rocprim17ROCPRIM_400000_NS6detail17trampoline_kernelINS0_14default_configENS1_22reduce_config_selectorIN6thrust23THRUST_200600_302600_NS5tupleIblNS6_9null_typeES8_S8_S8_S8_S8_S8_S8_EEEEZNS1_11reduce_implILb1ES3_NS6_12zip_iteratorINS7_INS6_11hip_rocprim26transform_input_iterator_tIbNSD_35transform_pair_of_input_iterators_tIbNS6_6detail15normal_iteratorINS6_10device_ptrIKjEEEESL_NS6_8equal_toIjEEEENSG_9not_fun_tINSD_8identityEEEEENSD_19counting_iterator_tIlEES8_S8_S8_S8_S8_S8_S8_S8_EEEEPS9_S9_NSD_9__find_if7functorIS9_EEEE10hipError_tPvRmT1_T2_T3_mT4_P12ihipStream_tbEUlT_E1_NS1_11comp_targetILNS1_3genE4ELNS1_11target_archE910ELNS1_3gpuE8ELNS1_3repE0EEENS1_30default_config_static_selectorELNS0_4arch9wavefront6targetE1EEEvS14_.uses_flat_scratch, 0
	.set _ZN7rocprim17ROCPRIM_400000_NS6detail17trampoline_kernelINS0_14default_configENS1_22reduce_config_selectorIN6thrust23THRUST_200600_302600_NS5tupleIblNS6_9null_typeES8_S8_S8_S8_S8_S8_S8_EEEEZNS1_11reduce_implILb1ES3_NS6_12zip_iteratorINS7_INS6_11hip_rocprim26transform_input_iterator_tIbNSD_35transform_pair_of_input_iterators_tIbNS6_6detail15normal_iteratorINS6_10device_ptrIKjEEEESL_NS6_8equal_toIjEEEENSG_9not_fun_tINSD_8identityEEEEENSD_19counting_iterator_tIlEES8_S8_S8_S8_S8_S8_S8_S8_EEEEPS9_S9_NSD_9__find_if7functorIS9_EEEE10hipError_tPvRmT1_T2_T3_mT4_P12ihipStream_tbEUlT_E1_NS1_11comp_targetILNS1_3genE4ELNS1_11target_archE910ELNS1_3gpuE8ELNS1_3repE0EEENS1_30default_config_static_selectorELNS0_4arch9wavefront6targetE1EEEvS14_.has_dyn_sized_stack, 0
	.set _ZN7rocprim17ROCPRIM_400000_NS6detail17trampoline_kernelINS0_14default_configENS1_22reduce_config_selectorIN6thrust23THRUST_200600_302600_NS5tupleIblNS6_9null_typeES8_S8_S8_S8_S8_S8_S8_EEEEZNS1_11reduce_implILb1ES3_NS6_12zip_iteratorINS7_INS6_11hip_rocprim26transform_input_iterator_tIbNSD_35transform_pair_of_input_iterators_tIbNS6_6detail15normal_iteratorINS6_10device_ptrIKjEEEESL_NS6_8equal_toIjEEEENSG_9not_fun_tINSD_8identityEEEEENSD_19counting_iterator_tIlEES8_S8_S8_S8_S8_S8_S8_S8_EEEEPS9_S9_NSD_9__find_if7functorIS9_EEEE10hipError_tPvRmT1_T2_T3_mT4_P12ihipStream_tbEUlT_E1_NS1_11comp_targetILNS1_3genE4ELNS1_11target_archE910ELNS1_3gpuE8ELNS1_3repE0EEENS1_30default_config_static_selectorELNS0_4arch9wavefront6targetE1EEEvS14_.has_recursion, 0
	.set _ZN7rocprim17ROCPRIM_400000_NS6detail17trampoline_kernelINS0_14default_configENS1_22reduce_config_selectorIN6thrust23THRUST_200600_302600_NS5tupleIblNS6_9null_typeES8_S8_S8_S8_S8_S8_S8_EEEEZNS1_11reduce_implILb1ES3_NS6_12zip_iteratorINS7_INS6_11hip_rocprim26transform_input_iterator_tIbNSD_35transform_pair_of_input_iterators_tIbNS6_6detail15normal_iteratorINS6_10device_ptrIKjEEEESL_NS6_8equal_toIjEEEENSG_9not_fun_tINSD_8identityEEEEENSD_19counting_iterator_tIlEES8_S8_S8_S8_S8_S8_S8_S8_EEEEPS9_S9_NSD_9__find_if7functorIS9_EEEE10hipError_tPvRmT1_T2_T3_mT4_P12ihipStream_tbEUlT_E1_NS1_11comp_targetILNS1_3genE4ELNS1_11target_archE910ELNS1_3gpuE8ELNS1_3repE0EEENS1_30default_config_static_selectorELNS0_4arch9wavefront6targetE1EEEvS14_.has_indirect_call, 0
	.section	.AMDGPU.csdata,"",@progbits
; Kernel info:
; codeLenInByte = 0
; TotalNumSgprs: 6
; NumVgprs: 0
; NumAgprs: 0
; TotalNumVgprs: 0
; ScratchSize: 0
; MemoryBound: 0
; FloatMode: 240
; IeeeMode: 1
; LDSByteSize: 0 bytes/workgroup (compile time only)
; SGPRBlocks: 0
; VGPRBlocks: 0
; NumSGPRsForWavesPerEU: 6
; NumVGPRsForWavesPerEU: 1
; AccumOffset: 4
; Occupancy: 8
; WaveLimiterHint : 0
; COMPUTE_PGM_RSRC2:SCRATCH_EN: 0
; COMPUTE_PGM_RSRC2:USER_SGPR: 2
; COMPUTE_PGM_RSRC2:TRAP_HANDLER: 0
; COMPUTE_PGM_RSRC2:TGID_X_EN: 1
; COMPUTE_PGM_RSRC2:TGID_Y_EN: 0
; COMPUTE_PGM_RSRC2:TGID_Z_EN: 0
; COMPUTE_PGM_RSRC2:TIDIG_COMP_CNT: 0
; COMPUTE_PGM_RSRC3_GFX90A:ACCUM_OFFSET: 0
; COMPUTE_PGM_RSRC3_GFX90A:TG_SPLIT: 0
	.section	.text._ZN7rocprim17ROCPRIM_400000_NS6detail17trampoline_kernelINS0_14default_configENS1_22reduce_config_selectorIN6thrust23THRUST_200600_302600_NS5tupleIblNS6_9null_typeES8_S8_S8_S8_S8_S8_S8_EEEEZNS1_11reduce_implILb1ES3_NS6_12zip_iteratorINS7_INS6_11hip_rocprim26transform_input_iterator_tIbNSD_35transform_pair_of_input_iterators_tIbNS6_6detail15normal_iteratorINS6_10device_ptrIKjEEEESL_NS6_8equal_toIjEEEENSG_9not_fun_tINSD_8identityEEEEENSD_19counting_iterator_tIlEES8_S8_S8_S8_S8_S8_S8_S8_EEEEPS9_S9_NSD_9__find_if7functorIS9_EEEE10hipError_tPvRmT1_T2_T3_mT4_P12ihipStream_tbEUlT_E1_NS1_11comp_targetILNS1_3genE3ELNS1_11target_archE908ELNS1_3gpuE7ELNS1_3repE0EEENS1_30default_config_static_selectorELNS0_4arch9wavefront6targetE1EEEvS14_,"axG",@progbits,_ZN7rocprim17ROCPRIM_400000_NS6detail17trampoline_kernelINS0_14default_configENS1_22reduce_config_selectorIN6thrust23THRUST_200600_302600_NS5tupleIblNS6_9null_typeES8_S8_S8_S8_S8_S8_S8_EEEEZNS1_11reduce_implILb1ES3_NS6_12zip_iteratorINS7_INS6_11hip_rocprim26transform_input_iterator_tIbNSD_35transform_pair_of_input_iterators_tIbNS6_6detail15normal_iteratorINS6_10device_ptrIKjEEEESL_NS6_8equal_toIjEEEENSG_9not_fun_tINSD_8identityEEEEENSD_19counting_iterator_tIlEES8_S8_S8_S8_S8_S8_S8_S8_EEEEPS9_S9_NSD_9__find_if7functorIS9_EEEE10hipError_tPvRmT1_T2_T3_mT4_P12ihipStream_tbEUlT_E1_NS1_11comp_targetILNS1_3genE3ELNS1_11target_archE908ELNS1_3gpuE7ELNS1_3repE0EEENS1_30default_config_static_selectorELNS0_4arch9wavefront6targetE1EEEvS14_,comdat
	.protected	_ZN7rocprim17ROCPRIM_400000_NS6detail17trampoline_kernelINS0_14default_configENS1_22reduce_config_selectorIN6thrust23THRUST_200600_302600_NS5tupleIblNS6_9null_typeES8_S8_S8_S8_S8_S8_S8_EEEEZNS1_11reduce_implILb1ES3_NS6_12zip_iteratorINS7_INS6_11hip_rocprim26transform_input_iterator_tIbNSD_35transform_pair_of_input_iterators_tIbNS6_6detail15normal_iteratorINS6_10device_ptrIKjEEEESL_NS6_8equal_toIjEEEENSG_9not_fun_tINSD_8identityEEEEENSD_19counting_iterator_tIlEES8_S8_S8_S8_S8_S8_S8_S8_EEEEPS9_S9_NSD_9__find_if7functorIS9_EEEE10hipError_tPvRmT1_T2_T3_mT4_P12ihipStream_tbEUlT_E1_NS1_11comp_targetILNS1_3genE3ELNS1_11target_archE908ELNS1_3gpuE7ELNS1_3repE0EEENS1_30default_config_static_selectorELNS0_4arch9wavefront6targetE1EEEvS14_ ; -- Begin function _ZN7rocprim17ROCPRIM_400000_NS6detail17trampoline_kernelINS0_14default_configENS1_22reduce_config_selectorIN6thrust23THRUST_200600_302600_NS5tupleIblNS6_9null_typeES8_S8_S8_S8_S8_S8_S8_EEEEZNS1_11reduce_implILb1ES3_NS6_12zip_iteratorINS7_INS6_11hip_rocprim26transform_input_iterator_tIbNSD_35transform_pair_of_input_iterators_tIbNS6_6detail15normal_iteratorINS6_10device_ptrIKjEEEESL_NS6_8equal_toIjEEEENSG_9not_fun_tINSD_8identityEEEEENSD_19counting_iterator_tIlEES8_S8_S8_S8_S8_S8_S8_S8_EEEEPS9_S9_NSD_9__find_if7functorIS9_EEEE10hipError_tPvRmT1_T2_T3_mT4_P12ihipStream_tbEUlT_E1_NS1_11comp_targetILNS1_3genE3ELNS1_11target_archE908ELNS1_3gpuE7ELNS1_3repE0EEENS1_30default_config_static_selectorELNS0_4arch9wavefront6targetE1EEEvS14_
	.globl	_ZN7rocprim17ROCPRIM_400000_NS6detail17trampoline_kernelINS0_14default_configENS1_22reduce_config_selectorIN6thrust23THRUST_200600_302600_NS5tupleIblNS6_9null_typeES8_S8_S8_S8_S8_S8_S8_EEEEZNS1_11reduce_implILb1ES3_NS6_12zip_iteratorINS7_INS6_11hip_rocprim26transform_input_iterator_tIbNSD_35transform_pair_of_input_iterators_tIbNS6_6detail15normal_iteratorINS6_10device_ptrIKjEEEESL_NS6_8equal_toIjEEEENSG_9not_fun_tINSD_8identityEEEEENSD_19counting_iterator_tIlEES8_S8_S8_S8_S8_S8_S8_S8_EEEEPS9_S9_NSD_9__find_if7functorIS9_EEEE10hipError_tPvRmT1_T2_T3_mT4_P12ihipStream_tbEUlT_E1_NS1_11comp_targetILNS1_3genE3ELNS1_11target_archE908ELNS1_3gpuE7ELNS1_3repE0EEENS1_30default_config_static_selectorELNS0_4arch9wavefront6targetE1EEEvS14_
	.p2align	8
	.type	_ZN7rocprim17ROCPRIM_400000_NS6detail17trampoline_kernelINS0_14default_configENS1_22reduce_config_selectorIN6thrust23THRUST_200600_302600_NS5tupleIblNS6_9null_typeES8_S8_S8_S8_S8_S8_S8_EEEEZNS1_11reduce_implILb1ES3_NS6_12zip_iteratorINS7_INS6_11hip_rocprim26transform_input_iterator_tIbNSD_35transform_pair_of_input_iterators_tIbNS6_6detail15normal_iteratorINS6_10device_ptrIKjEEEESL_NS6_8equal_toIjEEEENSG_9not_fun_tINSD_8identityEEEEENSD_19counting_iterator_tIlEES8_S8_S8_S8_S8_S8_S8_S8_EEEEPS9_S9_NSD_9__find_if7functorIS9_EEEE10hipError_tPvRmT1_T2_T3_mT4_P12ihipStream_tbEUlT_E1_NS1_11comp_targetILNS1_3genE3ELNS1_11target_archE908ELNS1_3gpuE7ELNS1_3repE0EEENS1_30default_config_static_selectorELNS0_4arch9wavefront6targetE1EEEvS14_,@function
_ZN7rocprim17ROCPRIM_400000_NS6detail17trampoline_kernelINS0_14default_configENS1_22reduce_config_selectorIN6thrust23THRUST_200600_302600_NS5tupleIblNS6_9null_typeES8_S8_S8_S8_S8_S8_S8_EEEEZNS1_11reduce_implILb1ES3_NS6_12zip_iteratorINS7_INS6_11hip_rocprim26transform_input_iterator_tIbNSD_35transform_pair_of_input_iterators_tIbNS6_6detail15normal_iteratorINS6_10device_ptrIKjEEEESL_NS6_8equal_toIjEEEENSG_9not_fun_tINSD_8identityEEEEENSD_19counting_iterator_tIlEES8_S8_S8_S8_S8_S8_S8_S8_EEEEPS9_S9_NSD_9__find_if7functorIS9_EEEE10hipError_tPvRmT1_T2_T3_mT4_P12ihipStream_tbEUlT_E1_NS1_11comp_targetILNS1_3genE3ELNS1_11target_archE908ELNS1_3gpuE7ELNS1_3repE0EEENS1_30default_config_static_selectorELNS0_4arch9wavefront6targetE1EEEvS14_: ; @_ZN7rocprim17ROCPRIM_400000_NS6detail17trampoline_kernelINS0_14default_configENS1_22reduce_config_selectorIN6thrust23THRUST_200600_302600_NS5tupleIblNS6_9null_typeES8_S8_S8_S8_S8_S8_S8_EEEEZNS1_11reduce_implILb1ES3_NS6_12zip_iteratorINS7_INS6_11hip_rocprim26transform_input_iterator_tIbNSD_35transform_pair_of_input_iterators_tIbNS6_6detail15normal_iteratorINS6_10device_ptrIKjEEEESL_NS6_8equal_toIjEEEENSG_9not_fun_tINSD_8identityEEEEENSD_19counting_iterator_tIlEES8_S8_S8_S8_S8_S8_S8_S8_EEEEPS9_S9_NSD_9__find_if7functorIS9_EEEE10hipError_tPvRmT1_T2_T3_mT4_P12ihipStream_tbEUlT_E1_NS1_11comp_targetILNS1_3genE3ELNS1_11target_archE908ELNS1_3gpuE7ELNS1_3repE0EEENS1_30default_config_static_selectorELNS0_4arch9wavefront6targetE1EEEvS14_
; %bb.0:
	.section	.rodata,"a",@progbits
	.p2align	6, 0x0
	.amdhsa_kernel _ZN7rocprim17ROCPRIM_400000_NS6detail17trampoline_kernelINS0_14default_configENS1_22reduce_config_selectorIN6thrust23THRUST_200600_302600_NS5tupleIblNS6_9null_typeES8_S8_S8_S8_S8_S8_S8_EEEEZNS1_11reduce_implILb1ES3_NS6_12zip_iteratorINS7_INS6_11hip_rocprim26transform_input_iterator_tIbNSD_35transform_pair_of_input_iterators_tIbNS6_6detail15normal_iteratorINS6_10device_ptrIKjEEEESL_NS6_8equal_toIjEEEENSG_9not_fun_tINSD_8identityEEEEENSD_19counting_iterator_tIlEES8_S8_S8_S8_S8_S8_S8_S8_EEEEPS9_S9_NSD_9__find_if7functorIS9_EEEE10hipError_tPvRmT1_T2_T3_mT4_P12ihipStream_tbEUlT_E1_NS1_11comp_targetILNS1_3genE3ELNS1_11target_archE908ELNS1_3gpuE7ELNS1_3repE0EEENS1_30default_config_static_selectorELNS0_4arch9wavefront6targetE1EEEvS14_
		.amdhsa_group_segment_fixed_size 0
		.amdhsa_private_segment_fixed_size 0
		.amdhsa_kernarg_size 88
		.amdhsa_user_sgpr_count 2
		.amdhsa_user_sgpr_dispatch_ptr 0
		.amdhsa_user_sgpr_queue_ptr 0
		.amdhsa_user_sgpr_kernarg_segment_ptr 1
		.amdhsa_user_sgpr_dispatch_id 0
		.amdhsa_user_sgpr_kernarg_preload_length 0
		.amdhsa_user_sgpr_kernarg_preload_offset 0
		.amdhsa_user_sgpr_private_segment_size 0
		.amdhsa_uses_dynamic_stack 0
		.amdhsa_enable_private_segment 0
		.amdhsa_system_sgpr_workgroup_id_x 1
		.amdhsa_system_sgpr_workgroup_id_y 0
		.amdhsa_system_sgpr_workgroup_id_z 0
		.amdhsa_system_sgpr_workgroup_info 0
		.amdhsa_system_vgpr_workitem_id 0
		.amdhsa_next_free_vgpr 1
		.amdhsa_next_free_sgpr 0
		.amdhsa_accum_offset 4
		.amdhsa_reserve_vcc 0
		.amdhsa_float_round_mode_32 0
		.amdhsa_float_round_mode_16_64 0
		.amdhsa_float_denorm_mode_32 3
		.amdhsa_float_denorm_mode_16_64 3
		.amdhsa_dx10_clamp 1
		.amdhsa_ieee_mode 1
		.amdhsa_fp16_overflow 0
		.amdhsa_tg_split 0
		.amdhsa_exception_fp_ieee_invalid_op 0
		.amdhsa_exception_fp_denorm_src 0
		.amdhsa_exception_fp_ieee_div_zero 0
		.amdhsa_exception_fp_ieee_overflow 0
		.amdhsa_exception_fp_ieee_underflow 0
		.amdhsa_exception_fp_ieee_inexact 0
		.amdhsa_exception_int_div_zero 0
	.end_amdhsa_kernel
	.section	.text._ZN7rocprim17ROCPRIM_400000_NS6detail17trampoline_kernelINS0_14default_configENS1_22reduce_config_selectorIN6thrust23THRUST_200600_302600_NS5tupleIblNS6_9null_typeES8_S8_S8_S8_S8_S8_S8_EEEEZNS1_11reduce_implILb1ES3_NS6_12zip_iteratorINS7_INS6_11hip_rocprim26transform_input_iterator_tIbNSD_35transform_pair_of_input_iterators_tIbNS6_6detail15normal_iteratorINS6_10device_ptrIKjEEEESL_NS6_8equal_toIjEEEENSG_9not_fun_tINSD_8identityEEEEENSD_19counting_iterator_tIlEES8_S8_S8_S8_S8_S8_S8_S8_EEEEPS9_S9_NSD_9__find_if7functorIS9_EEEE10hipError_tPvRmT1_T2_T3_mT4_P12ihipStream_tbEUlT_E1_NS1_11comp_targetILNS1_3genE3ELNS1_11target_archE908ELNS1_3gpuE7ELNS1_3repE0EEENS1_30default_config_static_selectorELNS0_4arch9wavefront6targetE1EEEvS14_,"axG",@progbits,_ZN7rocprim17ROCPRIM_400000_NS6detail17trampoline_kernelINS0_14default_configENS1_22reduce_config_selectorIN6thrust23THRUST_200600_302600_NS5tupleIblNS6_9null_typeES8_S8_S8_S8_S8_S8_S8_EEEEZNS1_11reduce_implILb1ES3_NS6_12zip_iteratorINS7_INS6_11hip_rocprim26transform_input_iterator_tIbNSD_35transform_pair_of_input_iterators_tIbNS6_6detail15normal_iteratorINS6_10device_ptrIKjEEEESL_NS6_8equal_toIjEEEENSG_9not_fun_tINSD_8identityEEEEENSD_19counting_iterator_tIlEES8_S8_S8_S8_S8_S8_S8_S8_EEEEPS9_S9_NSD_9__find_if7functorIS9_EEEE10hipError_tPvRmT1_T2_T3_mT4_P12ihipStream_tbEUlT_E1_NS1_11comp_targetILNS1_3genE3ELNS1_11target_archE908ELNS1_3gpuE7ELNS1_3repE0EEENS1_30default_config_static_selectorELNS0_4arch9wavefront6targetE1EEEvS14_,comdat
.Lfunc_end817:
	.size	_ZN7rocprim17ROCPRIM_400000_NS6detail17trampoline_kernelINS0_14default_configENS1_22reduce_config_selectorIN6thrust23THRUST_200600_302600_NS5tupleIblNS6_9null_typeES8_S8_S8_S8_S8_S8_S8_EEEEZNS1_11reduce_implILb1ES3_NS6_12zip_iteratorINS7_INS6_11hip_rocprim26transform_input_iterator_tIbNSD_35transform_pair_of_input_iterators_tIbNS6_6detail15normal_iteratorINS6_10device_ptrIKjEEEESL_NS6_8equal_toIjEEEENSG_9not_fun_tINSD_8identityEEEEENSD_19counting_iterator_tIlEES8_S8_S8_S8_S8_S8_S8_S8_EEEEPS9_S9_NSD_9__find_if7functorIS9_EEEE10hipError_tPvRmT1_T2_T3_mT4_P12ihipStream_tbEUlT_E1_NS1_11comp_targetILNS1_3genE3ELNS1_11target_archE908ELNS1_3gpuE7ELNS1_3repE0EEENS1_30default_config_static_selectorELNS0_4arch9wavefront6targetE1EEEvS14_, .Lfunc_end817-_ZN7rocprim17ROCPRIM_400000_NS6detail17trampoline_kernelINS0_14default_configENS1_22reduce_config_selectorIN6thrust23THRUST_200600_302600_NS5tupleIblNS6_9null_typeES8_S8_S8_S8_S8_S8_S8_EEEEZNS1_11reduce_implILb1ES3_NS6_12zip_iteratorINS7_INS6_11hip_rocprim26transform_input_iterator_tIbNSD_35transform_pair_of_input_iterators_tIbNS6_6detail15normal_iteratorINS6_10device_ptrIKjEEEESL_NS6_8equal_toIjEEEENSG_9not_fun_tINSD_8identityEEEEENSD_19counting_iterator_tIlEES8_S8_S8_S8_S8_S8_S8_S8_EEEEPS9_S9_NSD_9__find_if7functorIS9_EEEE10hipError_tPvRmT1_T2_T3_mT4_P12ihipStream_tbEUlT_E1_NS1_11comp_targetILNS1_3genE3ELNS1_11target_archE908ELNS1_3gpuE7ELNS1_3repE0EEENS1_30default_config_static_selectorELNS0_4arch9wavefront6targetE1EEEvS14_
                                        ; -- End function
	.set _ZN7rocprim17ROCPRIM_400000_NS6detail17trampoline_kernelINS0_14default_configENS1_22reduce_config_selectorIN6thrust23THRUST_200600_302600_NS5tupleIblNS6_9null_typeES8_S8_S8_S8_S8_S8_S8_EEEEZNS1_11reduce_implILb1ES3_NS6_12zip_iteratorINS7_INS6_11hip_rocprim26transform_input_iterator_tIbNSD_35transform_pair_of_input_iterators_tIbNS6_6detail15normal_iteratorINS6_10device_ptrIKjEEEESL_NS6_8equal_toIjEEEENSG_9not_fun_tINSD_8identityEEEEENSD_19counting_iterator_tIlEES8_S8_S8_S8_S8_S8_S8_S8_EEEEPS9_S9_NSD_9__find_if7functorIS9_EEEE10hipError_tPvRmT1_T2_T3_mT4_P12ihipStream_tbEUlT_E1_NS1_11comp_targetILNS1_3genE3ELNS1_11target_archE908ELNS1_3gpuE7ELNS1_3repE0EEENS1_30default_config_static_selectorELNS0_4arch9wavefront6targetE1EEEvS14_.num_vgpr, 0
	.set _ZN7rocprim17ROCPRIM_400000_NS6detail17trampoline_kernelINS0_14default_configENS1_22reduce_config_selectorIN6thrust23THRUST_200600_302600_NS5tupleIblNS6_9null_typeES8_S8_S8_S8_S8_S8_S8_EEEEZNS1_11reduce_implILb1ES3_NS6_12zip_iteratorINS7_INS6_11hip_rocprim26transform_input_iterator_tIbNSD_35transform_pair_of_input_iterators_tIbNS6_6detail15normal_iteratorINS6_10device_ptrIKjEEEESL_NS6_8equal_toIjEEEENSG_9not_fun_tINSD_8identityEEEEENSD_19counting_iterator_tIlEES8_S8_S8_S8_S8_S8_S8_S8_EEEEPS9_S9_NSD_9__find_if7functorIS9_EEEE10hipError_tPvRmT1_T2_T3_mT4_P12ihipStream_tbEUlT_E1_NS1_11comp_targetILNS1_3genE3ELNS1_11target_archE908ELNS1_3gpuE7ELNS1_3repE0EEENS1_30default_config_static_selectorELNS0_4arch9wavefront6targetE1EEEvS14_.num_agpr, 0
	.set _ZN7rocprim17ROCPRIM_400000_NS6detail17trampoline_kernelINS0_14default_configENS1_22reduce_config_selectorIN6thrust23THRUST_200600_302600_NS5tupleIblNS6_9null_typeES8_S8_S8_S8_S8_S8_S8_EEEEZNS1_11reduce_implILb1ES3_NS6_12zip_iteratorINS7_INS6_11hip_rocprim26transform_input_iterator_tIbNSD_35transform_pair_of_input_iterators_tIbNS6_6detail15normal_iteratorINS6_10device_ptrIKjEEEESL_NS6_8equal_toIjEEEENSG_9not_fun_tINSD_8identityEEEEENSD_19counting_iterator_tIlEES8_S8_S8_S8_S8_S8_S8_S8_EEEEPS9_S9_NSD_9__find_if7functorIS9_EEEE10hipError_tPvRmT1_T2_T3_mT4_P12ihipStream_tbEUlT_E1_NS1_11comp_targetILNS1_3genE3ELNS1_11target_archE908ELNS1_3gpuE7ELNS1_3repE0EEENS1_30default_config_static_selectorELNS0_4arch9wavefront6targetE1EEEvS14_.numbered_sgpr, 0
	.set _ZN7rocprim17ROCPRIM_400000_NS6detail17trampoline_kernelINS0_14default_configENS1_22reduce_config_selectorIN6thrust23THRUST_200600_302600_NS5tupleIblNS6_9null_typeES8_S8_S8_S8_S8_S8_S8_EEEEZNS1_11reduce_implILb1ES3_NS6_12zip_iteratorINS7_INS6_11hip_rocprim26transform_input_iterator_tIbNSD_35transform_pair_of_input_iterators_tIbNS6_6detail15normal_iteratorINS6_10device_ptrIKjEEEESL_NS6_8equal_toIjEEEENSG_9not_fun_tINSD_8identityEEEEENSD_19counting_iterator_tIlEES8_S8_S8_S8_S8_S8_S8_S8_EEEEPS9_S9_NSD_9__find_if7functorIS9_EEEE10hipError_tPvRmT1_T2_T3_mT4_P12ihipStream_tbEUlT_E1_NS1_11comp_targetILNS1_3genE3ELNS1_11target_archE908ELNS1_3gpuE7ELNS1_3repE0EEENS1_30default_config_static_selectorELNS0_4arch9wavefront6targetE1EEEvS14_.num_named_barrier, 0
	.set _ZN7rocprim17ROCPRIM_400000_NS6detail17trampoline_kernelINS0_14default_configENS1_22reduce_config_selectorIN6thrust23THRUST_200600_302600_NS5tupleIblNS6_9null_typeES8_S8_S8_S8_S8_S8_S8_EEEEZNS1_11reduce_implILb1ES3_NS6_12zip_iteratorINS7_INS6_11hip_rocprim26transform_input_iterator_tIbNSD_35transform_pair_of_input_iterators_tIbNS6_6detail15normal_iteratorINS6_10device_ptrIKjEEEESL_NS6_8equal_toIjEEEENSG_9not_fun_tINSD_8identityEEEEENSD_19counting_iterator_tIlEES8_S8_S8_S8_S8_S8_S8_S8_EEEEPS9_S9_NSD_9__find_if7functorIS9_EEEE10hipError_tPvRmT1_T2_T3_mT4_P12ihipStream_tbEUlT_E1_NS1_11comp_targetILNS1_3genE3ELNS1_11target_archE908ELNS1_3gpuE7ELNS1_3repE0EEENS1_30default_config_static_selectorELNS0_4arch9wavefront6targetE1EEEvS14_.private_seg_size, 0
	.set _ZN7rocprim17ROCPRIM_400000_NS6detail17trampoline_kernelINS0_14default_configENS1_22reduce_config_selectorIN6thrust23THRUST_200600_302600_NS5tupleIblNS6_9null_typeES8_S8_S8_S8_S8_S8_S8_EEEEZNS1_11reduce_implILb1ES3_NS6_12zip_iteratorINS7_INS6_11hip_rocprim26transform_input_iterator_tIbNSD_35transform_pair_of_input_iterators_tIbNS6_6detail15normal_iteratorINS6_10device_ptrIKjEEEESL_NS6_8equal_toIjEEEENSG_9not_fun_tINSD_8identityEEEEENSD_19counting_iterator_tIlEES8_S8_S8_S8_S8_S8_S8_S8_EEEEPS9_S9_NSD_9__find_if7functorIS9_EEEE10hipError_tPvRmT1_T2_T3_mT4_P12ihipStream_tbEUlT_E1_NS1_11comp_targetILNS1_3genE3ELNS1_11target_archE908ELNS1_3gpuE7ELNS1_3repE0EEENS1_30default_config_static_selectorELNS0_4arch9wavefront6targetE1EEEvS14_.uses_vcc, 0
	.set _ZN7rocprim17ROCPRIM_400000_NS6detail17trampoline_kernelINS0_14default_configENS1_22reduce_config_selectorIN6thrust23THRUST_200600_302600_NS5tupleIblNS6_9null_typeES8_S8_S8_S8_S8_S8_S8_EEEEZNS1_11reduce_implILb1ES3_NS6_12zip_iteratorINS7_INS6_11hip_rocprim26transform_input_iterator_tIbNSD_35transform_pair_of_input_iterators_tIbNS6_6detail15normal_iteratorINS6_10device_ptrIKjEEEESL_NS6_8equal_toIjEEEENSG_9not_fun_tINSD_8identityEEEEENSD_19counting_iterator_tIlEES8_S8_S8_S8_S8_S8_S8_S8_EEEEPS9_S9_NSD_9__find_if7functorIS9_EEEE10hipError_tPvRmT1_T2_T3_mT4_P12ihipStream_tbEUlT_E1_NS1_11comp_targetILNS1_3genE3ELNS1_11target_archE908ELNS1_3gpuE7ELNS1_3repE0EEENS1_30default_config_static_selectorELNS0_4arch9wavefront6targetE1EEEvS14_.uses_flat_scratch, 0
	.set _ZN7rocprim17ROCPRIM_400000_NS6detail17trampoline_kernelINS0_14default_configENS1_22reduce_config_selectorIN6thrust23THRUST_200600_302600_NS5tupleIblNS6_9null_typeES8_S8_S8_S8_S8_S8_S8_EEEEZNS1_11reduce_implILb1ES3_NS6_12zip_iteratorINS7_INS6_11hip_rocprim26transform_input_iterator_tIbNSD_35transform_pair_of_input_iterators_tIbNS6_6detail15normal_iteratorINS6_10device_ptrIKjEEEESL_NS6_8equal_toIjEEEENSG_9not_fun_tINSD_8identityEEEEENSD_19counting_iterator_tIlEES8_S8_S8_S8_S8_S8_S8_S8_EEEEPS9_S9_NSD_9__find_if7functorIS9_EEEE10hipError_tPvRmT1_T2_T3_mT4_P12ihipStream_tbEUlT_E1_NS1_11comp_targetILNS1_3genE3ELNS1_11target_archE908ELNS1_3gpuE7ELNS1_3repE0EEENS1_30default_config_static_selectorELNS0_4arch9wavefront6targetE1EEEvS14_.has_dyn_sized_stack, 0
	.set _ZN7rocprim17ROCPRIM_400000_NS6detail17trampoline_kernelINS0_14default_configENS1_22reduce_config_selectorIN6thrust23THRUST_200600_302600_NS5tupleIblNS6_9null_typeES8_S8_S8_S8_S8_S8_S8_EEEEZNS1_11reduce_implILb1ES3_NS6_12zip_iteratorINS7_INS6_11hip_rocprim26transform_input_iterator_tIbNSD_35transform_pair_of_input_iterators_tIbNS6_6detail15normal_iteratorINS6_10device_ptrIKjEEEESL_NS6_8equal_toIjEEEENSG_9not_fun_tINSD_8identityEEEEENSD_19counting_iterator_tIlEES8_S8_S8_S8_S8_S8_S8_S8_EEEEPS9_S9_NSD_9__find_if7functorIS9_EEEE10hipError_tPvRmT1_T2_T3_mT4_P12ihipStream_tbEUlT_E1_NS1_11comp_targetILNS1_3genE3ELNS1_11target_archE908ELNS1_3gpuE7ELNS1_3repE0EEENS1_30default_config_static_selectorELNS0_4arch9wavefront6targetE1EEEvS14_.has_recursion, 0
	.set _ZN7rocprim17ROCPRIM_400000_NS6detail17trampoline_kernelINS0_14default_configENS1_22reduce_config_selectorIN6thrust23THRUST_200600_302600_NS5tupleIblNS6_9null_typeES8_S8_S8_S8_S8_S8_S8_EEEEZNS1_11reduce_implILb1ES3_NS6_12zip_iteratorINS7_INS6_11hip_rocprim26transform_input_iterator_tIbNSD_35transform_pair_of_input_iterators_tIbNS6_6detail15normal_iteratorINS6_10device_ptrIKjEEEESL_NS6_8equal_toIjEEEENSG_9not_fun_tINSD_8identityEEEEENSD_19counting_iterator_tIlEES8_S8_S8_S8_S8_S8_S8_S8_EEEEPS9_S9_NSD_9__find_if7functorIS9_EEEE10hipError_tPvRmT1_T2_T3_mT4_P12ihipStream_tbEUlT_E1_NS1_11comp_targetILNS1_3genE3ELNS1_11target_archE908ELNS1_3gpuE7ELNS1_3repE0EEENS1_30default_config_static_selectorELNS0_4arch9wavefront6targetE1EEEvS14_.has_indirect_call, 0
	.section	.AMDGPU.csdata,"",@progbits
; Kernel info:
; codeLenInByte = 0
; TotalNumSgprs: 6
; NumVgprs: 0
; NumAgprs: 0
; TotalNumVgprs: 0
; ScratchSize: 0
; MemoryBound: 0
; FloatMode: 240
; IeeeMode: 1
; LDSByteSize: 0 bytes/workgroup (compile time only)
; SGPRBlocks: 0
; VGPRBlocks: 0
; NumSGPRsForWavesPerEU: 6
; NumVGPRsForWavesPerEU: 1
; AccumOffset: 4
; Occupancy: 8
; WaveLimiterHint : 0
; COMPUTE_PGM_RSRC2:SCRATCH_EN: 0
; COMPUTE_PGM_RSRC2:USER_SGPR: 2
; COMPUTE_PGM_RSRC2:TRAP_HANDLER: 0
; COMPUTE_PGM_RSRC2:TGID_X_EN: 1
; COMPUTE_PGM_RSRC2:TGID_Y_EN: 0
; COMPUTE_PGM_RSRC2:TGID_Z_EN: 0
; COMPUTE_PGM_RSRC2:TIDIG_COMP_CNT: 0
; COMPUTE_PGM_RSRC3_GFX90A:ACCUM_OFFSET: 0
; COMPUTE_PGM_RSRC3_GFX90A:TG_SPLIT: 0
	.section	.text._ZN7rocprim17ROCPRIM_400000_NS6detail17trampoline_kernelINS0_14default_configENS1_22reduce_config_selectorIN6thrust23THRUST_200600_302600_NS5tupleIblNS6_9null_typeES8_S8_S8_S8_S8_S8_S8_EEEEZNS1_11reduce_implILb1ES3_NS6_12zip_iteratorINS7_INS6_11hip_rocprim26transform_input_iterator_tIbNSD_35transform_pair_of_input_iterators_tIbNS6_6detail15normal_iteratorINS6_10device_ptrIKjEEEESL_NS6_8equal_toIjEEEENSG_9not_fun_tINSD_8identityEEEEENSD_19counting_iterator_tIlEES8_S8_S8_S8_S8_S8_S8_S8_EEEEPS9_S9_NSD_9__find_if7functorIS9_EEEE10hipError_tPvRmT1_T2_T3_mT4_P12ihipStream_tbEUlT_E1_NS1_11comp_targetILNS1_3genE2ELNS1_11target_archE906ELNS1_3gpuE6ELNS1_3repE0EEENS1_30default_config_static_selectorELNS0_4arch9wavefront6targetE1EEEvS14_,"axG",@progbits,_ZN7rocprim17ROCPRIM_400000_NS6detail17trampoline_kernelINS0_14default_configENS1_22reduce_config_selectorIN6thrust23THRUST_200600_302600_NS5tupleIblNS6_9null_typeES8_S8_S8_S8_S8_S8_S8_EEEEZNS1_11reduce_implILb1ES3_NS6_12zip_iteratorINS7_INS6_11hip_rocprim26transform_input_iterator_tIbNSD_35transform_pair_of_input_iterators_tIbNS6_6detail15normal_iteratorINS6_10device_ptrIKjEEEESL_NS6_8equal_toIjEEEENSG_9not_fun_tINSD_8identityEEEEENSD_19counting_iterator_tIlEES8_S8_S8_S8_S8_S8_S8_S8_EEEEPS9_S9_NSD_9__find_if7functorIS9_EEEE10hipError_tPvRmT1_T2_T3_mT4_P12ihipStream_tbEUlT_E1_NS1_11comp_targetILNS1_3genE2ELNS1_11target_archE906ELNS1_3gpuE6ELNS1_3repE0EEENS1_30default_config_static_selectorELNS0_4arch9wavefront6targetE1EEEvS14_,comdat
	.protected	_ZN7rocprim17ROCPRIM_400000_NS6detail17trampoline_kernelINS0_14default_configENS1_22reduce_config_selectorIN6thrust23THRUST_200600_302600_NS5tupleIblNS6_9null_typeES8_S8_S8_S8_S8_S8_S8_EEEEZNS1_11reduce_implILb1ES3_NS6_12zip_iteratorINS7_INS6_11hip_rocprim26transform_input_iterator_tIbNSD_35transform_pair_of_input_iterators_tIbNS6_6detail15normal_iteratorINS6_10device_ptrIKjEEEESL_NS6_8equal_toIjEEEENSG_9not_fun_tINSD_8identityEEEEENSD_19counting_iterator_tIlEES8_S8_S8_S8_S8_S8_S8_S8_EEEEPS9_S9_NSD_9__find_if7functorIS9_EEEE10hipError_tPvRmT1_T2_T3_mT4_P12ihipStream_tbEUlT_E1_NS1_11comp_targetILNS1_3genE2ELNS1_11target_archE906ELNS1_3gpuE6ELNS1_3repE0EEENS1_30default_config_static_selectorELNS0_4arch9wavefront6targetE1EEEvS14_ ; -- Begin function _ZN7rocprim17ROCPRIM_400000_NS6detail17trampoline_kernelINS0_14default_configENS1_22reduce_config_selectorIN6thrust23THRUST_200600_302600_NS5tupleIblNS6_9null_typeES8_S8_S8_S8_S8_S8_S8_EEEEZNS1_11reduce_implILb1ES3_NS6_12zip_iteratorINS7_INS6_11hip_rocprim26transform_input_iterator_tIbNSD_35transform_pair_of_input_iterators_tIbNS6_6detail15normal_iteratorINS6_10device_ptrIKjEEEESL_NS6_8equal_toIjEEEENSG_9not_fun_tINSD_8identityEEEEENSD_19counting_iterator_tIlEES8_S8_S8_S8_S8_S8_S8_S8_EEEEPS9_S9_NSD_9__find_if7functorIS9_EEEE10hipError_tPvRmT1_T2_T3_mT4_P12ihipStream_tbEUlT_E1_NS1_11comp_targetILNS1_3genE2ELNS1_11target_archE906ELNS1_3gpuE6ELNS1_3repE0EEENS1_30default_config_static_selectorELNS0_4arch9wavefront6targetE1EEEvS14_
	.globl	_ZN7rocprim17ROCPRIM_400000_NS6detail17trampoline_kernelINS0_14default_configENS1_22reduce_config_selectorIN6thrust23THRUST_200600_302600_NS5tupleIblNS6_9null_typeES8_S8_S8_S8_S8_S8_S8_EEEEZNS1_11reduce_implILb1ES3_NS6_12zip_iteratorINS7_INS6_11hip_rocprim26transform_input_iterator_tIbNSD_35transform_pair_of_input_iterators_tIbNS6_6detail15normal_iteratorINS6_10device_ptrIKjEEEESL_NS6_8equal_toIjEEEENSG_9not_fun_tINSD_8identityEEEEENSD_19counting_iterator_tIlEES8_S8_S8_S8_S8_S8_S8_S8_EEEEPS9_S9_NSD_9__find_if7functorIS9_EEEE10hipError_tPvRmT1_T2_T3_mT4_P12ihipStream_tbEUlT_E1_NS1_11comp_targetILNS1_3genE2ELNS1_11target_archE906ELNS1_3gpuE6ELNS1_3repE0EEENS1_30default_config_static_selectorELNS0_4arch9wavefront6targetE1EEEvS14_
	.p2align	8
	.type	_ZN7rocprim17ROCPRIM_400000_NS6detail17trampoline_kernelINS0_14default_configENS1_22reduce_config_selectorIN6thrust23THRUST_200600_302600_NS5tupleIblNS6_9null_typeES8_S8_S8_S8_S8_S8_S8_EEEEZNS1_11reduce_implILb1ES3_NS6_12zip_iteratorINS7_INS6_11hip_rocprim26transform_input_iterator_tIbNSD_35transform_pair_of_input_iterators_tIbNS6_6detail15normal_iteratorINS6_10device_ptrIKjEEEESL_NS6_8equal_toIjEEEENSG_9not_fun_tINSD_8identityEEEEENSD_19counting_iterator_tIlEES8_S8_S8_S8_S8_S8_S8_S8_EEEEPS9_S9_NSD_9__find_if7functorIS9_EEEE10hipError_tPvRmT1_T2_T3_mT4_P12ihipStream_tbEUlT_E1_NS1_11comp_targetILNS1_3genE2ELNS1_11target_archE906ELNS1_3gpuE6ELNS1_3repE0EEENS1_30default_config_static_selectorELNS0_4arch9wavefront6targetE1EEEvS14_,@function
_ZN7rocprim17ROCPRIM_400000_NS6detail17trampoline_kernelINS0_14default_configENS1_22reduce_config_selectorIN6thrust23THRUST_200600_302600_NS5tupleIblNS6_9null_typeES8_S8_S8_S8_S8_S8_S8_EEEEZNS1_11reduce_implILb1ES3_NS6_12zip_iteratorINS7_INS6_11hip_rocprim26transform_input_iterator_tIbNSD_35transform_pair_of_input_iterators_tIbNS6_6detail15normal_iteratorINS6_10device_ptrIKjEEEESL_NS6_8equal_toIjEEEENSG_9not_fun_tINSD_8identityEEEEENSD_19counting_iterator_tIlEES8_S8_S8_S8_S8_S8_S8_S8_EEEEPS9_S9_NSD_9__find_if7functorIS9_EEEE10hipError_tPvRmT1_T2_T3_mT4_P12ihipStream_tbEUlT_E1_NS1_11comp_targetILNS1_3genE2ELNS1_11target_archE906ELNS1_3gpuE6ELNS1_3repE0EEENS1_30default_config_static_selectorELNS0_4arch9wavefront6targetE1EEEvS14_: ; @_ZN7rocprim17ROCPRIM_400000_NS6detail17trampoline_kernelINS0_14default_configENS1_22reduce_config_selectorIN6thrust23THRUST_200600_302600_NS5tupleIblNS6_9null_typeES8_S8_S8_S8_S8_S8_S8_EEEEZNS1_11reduce_implILb1ES3_NS6_12zip_iteratorINS7_INS6_11hip_rocprim26transform_input_iterator_tIbNSD_35transform_pair_of_input_iterators_tIbNS6_6detail15normal_iteratorINS6_10device_ptrIKjEEEESL_NS6_8equal_toIjEEEENSG_9not_fun_tINSD_8identityEEEEENSD_19counting_iterator_tIlEES8_S8_S8_S8_S8_S8_S8_S8_EEEEPS9_S9_NSD_9__find_if7functorIS9_EEEE10hipError_tPvRmT1_T2_T3_mT4_P12ihipStream_tbEUlT_E1_NS1_11comp_targetILNS1_3genE2ELNS1_11target_archE906ELNS1_3gpuE6ELNS1_3repE0EEENS1_30default_config_static_selectorELNS0_4arch9wavefront6targetE1EEEvS14_
; %bb.0:
	.section	.rodata,"a",@progbits
	.p2align	6, 0x0
	.amdhsa_kernel _ZN7rocprim17ROCPRIM_400000_NS6detail17trampoline_kernelINS0_14default_configENS1_22reduce_config_selectorIN6thrust23THRUST_200600_302600_NS5tupleIblNS6_9null_typeES8_S8_S8_S8_S8_S8_S8_EEEEZNS1_11reduce_implILb1ES3_NS6_12zip_iteratorINS7_INS6_11hip_rocprim26transform_input_iterator_tIbNSD_35transform_pair_of_input_iterators_tIbNS6_6detail15normal_iteratorINS6_10device_ptrIKjEEEESL_NS6_8equal_toIjEEEENSG_9not_fun_tINSD_8identityEEEEENSD_19counting_iterator_tIlEES8_S8_S8_S8_S8_S8_S8_S8_EEEEPS9_S9_NSD_9__find_if7functorIS9_EEEE10hipError_tPvRmT1_T2_T3_mT4_P12ihipStream_tbEUlT_E1_NS1_11comp_targetILNS1_3genE2ELNS1_11target_archE906ELNS1_3gpuE6ELNS1_3repE0EEENS1_30default_config_static_selectorELNS0_4arch9wavefront6targetE1EEEvS14_
		.amdhsa_group_segment_fixed_size 0
		.amdhsa_private_segment_fixed_size 0
		.amdhsa_kernarg_size 88
		.amdhsa_user_sgpr_count 2
		.amdhsa_user_sgpr_dispatch_ptr 0
		.amdhsa_user_sgpr_queue_ptr 0
		.amdhsa_user_sgpr_kernarg_segment_ptr 1
		.amdhsa_user_sgpr_dispatch_id 0
		.amdhsa_user_sgpr_kernarg_preload_length 0
		.amdhsa_user_sgpr_kernarg_preload_offset 0
		.amdhsa_user_sgpr_private_segment_size 0
		.amdhsa_uses_dynamic_stack 0
		.amdhsa_enable_private_segment 0
		.amdhsa_system_sgpr_workgroup_id_x 1
		.amdhsa_system_sgpr_workgroup_id_y 0
		.amdhsa_system_sgpr_workgroup_id_z 0
		.amdhsa_system_sgpr_workgroup_info 0
		.amdhsa_system_vgpr_workitem_id 0
		.amdhsa_next_free_vgpr 1
		.amdhsa_next_free_sgpr 0
		.amdhsa_accum_offset 4
		.amdhsa_reserve_vcc 0
		.amdhsa_float_round_mode_32 0
		.amdhsa_float_round_mode_16_64 0
		.amdhsa_float_denorm_mode_32 3
		.amdhsa_float_denorm_mode_16_64 3
		.amdhsa_dx10_clamp 1
		.amdhsa_ieee_mode 1
		.amdhsa_fp16_overflow 0
		.amdhsa_tg_split 0
		.amdhsa_exception_fp_ieee_invalid_op 0
		.amdhsa_exception_fp_denorm_src 0
		.amdhsa_exception_fp_ieee_div_zero 0
		.amdhsa_exception_fp_ieee_overflow 0
		.amdhsa_exception_fp_ieee_underflow 0
		.amdhsa_exception_fp_ieee_inexact 0
		.amdhsa_exception_int_div_zero 0
	.end_amdhsa_kernel
	.section	.text._ZN7rocprim17ROCPRIM_400000_NS6detail17trampoline_kernelINS0_14default_configENS1_22reduce_config_selectorIN6thrust23THRUST_200600_302600_NS5tupleIblNS6_9null_typeES8_S8_S8_S8_S8_S8_S8_EEEEZNS1_11reduce_implILb1ES3_NS6_12zip_iteratorINS7_INS6_11hip_rocprim26transform_input_iterator_tIbNSD_35transform_pair_of_input_iterators_tIbNS6_6detail15normal_iteratorINS6_10device_ptrIKjEEEESL_NS6_8equal_toIjEEEENSG_9not_fun_tINSD_8identityEEEEENSD_19counting_iterator_tIlEES8_S8_S8_S8_S8_S8_S8_S8_EEEEPS9_S9_NSD_9__find_if7functorIS9_EEEE10hipError_tPvRmT1_T2_T3_mT4_P12ihipStream_tbEUlT_E1_NS1_11comp_targetILNS1_3genE2ELNS1_11target_archE906ELNS1_3gpuE6ELNS1_3repE0EEENS1_30default_config_static_selectorELNS0_4arch9wavefront6targetE1EEEvS14_,"axG",@progbits,_ZN7rocprim17ROCPRIM_400000_NS6detail17trampoline_kernelINS0_14default_configENS1_22reduce_config_selectorIN6thrust23THRUST_200600_302600_NS5tupleIblNS6_9null_typeES8_S8_S8_S8_S8_S8_S8_EEEEZNS1_11reduce_implILb1ES3_NS6_12zip_iteratorINS7_INS6_11hip_rocprim26transform_input_iterator_tIbNSD_35transform_pair_of_input_iterators_tIbNS6_6detail15normal_iteratorINS6_10device_ptrIKjEEEESL_NS6_8equal_toIjEEEENSG_9not_fun_tINSD_8identityEEEEENSD_19counting_iterator_tIlEES8_S8_S8_S8_S8_S8_S8_S8_EEEEPS9_S9_NSD_9__find_if7functorIS9_EEEE10hipError_tPvRmT1_T2_T3_mT4_P12ihipStream_tbEUlT_E1_NS1_11comp_targetILNS1_3genE2ELNS1_11target_archE906ELNS1_3gpuE6ELNS1_3repE0EEENS1_30default_config_static_selectorELNS0_4arch9wavefront6targetE1EEEvS14_,comdat
.Lfunc_end818:
	.size	_ZN7rocprim17ROCPRIM_400000_NS6detail17trampoline_kernelINS0_14default_configENS1_22reduce_config_selectorIN6thrust23THRUST_200600_302600_NS5tupleIblNS6_9null_typeES8_S8_S8_S8_S8_S8_S8_EEEEZNS1_11reduce_implILb1ES3_NS6_12zip_iteratorINS7_INS6_11hip_rocprim26transform_input_iterator_tIbNSD_35transform_pair_of_input_iterators_tIbNS6_6detail15normal_iteratorINS6_10device_ptrIKjEEEESL_NS6_8equal_toIjEEEENSG_9not_fun_tINSD_8identityEEEEENSD_19counting_iterator_tIlEES8_S8_S8_S8_S8_S8_S8_S8_EEEEPS9_S9_NSD_9__find_if7functorIS9_EEEE10hipError_tPvRmT1_T2_T3_mT4_P12ihipStream_tbEUlT_E1_NS1_11comp_targetILNS1_3genE2ELNS1_11target_archE906ELNS1_3gpuE6ELNS1_3repE0EEENS1_30default_config_static_selectorELNS0_4arch9wavefront6targetE1EEEvS14_, .Lfunc_end818-_ZN7rocprim17ROCPRIM_400000_NS6detail17trampoline_kernelINS0_14default_configENS1_22reduce_config_selectorIN6thrust23THRUST_200600_302600_NS5tupleIblNS6_9null_typeES8_S8_S8_S8_S8_S8_S8_EEEEZNS1_11reduce_implILb1ES3_NS6_12zip_iteratorINS7_INS6_11hip_rocprim26transform_input_iterator_tIbNSD_35transform_pair_of_input_iterators_tIbNS6_6detail15normal_iteratorINS6_10device_ptrIKjEEEESL_NS6_8equal_toIjEEEENSG_9not_fun_tINSD_8identityEEEEENSD_19counting_iterator_tIlEES8_S8_S8_S8_S8_S8_S8_S8_EEEEPS9_S9_NSD_9__find_if7functorIS9_EEEE10hipError_tPvRmT1_T2_T3_mT4_P12ihipStream_tbEUlT_E1_NS1_11comp_targetILNS1_3genE2ELNS1_11target_archE906ELNS1_3gpuE6ELNS1_3repE0EEENS1_30default_config_static_selectorELNS0_4arch9wavefront6targetE1EEEvS14_
                                        ; -- End function
	.set _ZN7rocprim17ROCPRIM_400000_NS6detail17trampoline_kernelINS0_14default_configENS1_22reduce_config_selectorIN6thrust23THRUST_200600_302600_NS5tupleIblNS6_9null_typeES8_S8_S8_S8_S8_S8_S8_EEEEZNS1_11reduce_implILb1ES3_NS6_12zip_iteratorINS7_INS6_11hip_rocprim26transform_input_iterator_tIbNSD_35transform_pair_of_input_iterators_tIbNS6_6detail15normal_iteratorINS6_10device_ptrIKjEEEESL_NS6_8equal_toIjEEEENSG_9not_fun_tINSD_8identityEEEEENSD_19counting_iterator_tIlEES8_S8_S8_S8_S8_S8_S8_S8_EEEEPS9_S9_NSD_9__find_if7functorIS9_EEEE10hipError_tPvRmT1_T2_T3_mT4_P12ihipStream_tbEUlT_E1_NS1_11comp_targetILNS1_3genE2ELNS1_11target_archE906ELNS1_3gpuE6ELNS1_3repE0EEENS1_30default_config_static_selectorELNS0_4arch9wavefront6targetE1EEEvS14_.num_vgpr, 0
	.set _ZN7rocprim17ROCPRIM_400000_NS6detail17trampoline_kernelINS0_14default_configENS1_22reduce_config_selectorIN6thrust23THRUST_200600_302600_NS5tupleIblNS6_9null_typeES8_S8_S8_S8_S8_S8_S8_EEEEZNS1_11reduce_implILb1ES3_NS6_12zip_iteratorINS7_INS6_11hip_rocprim26transform_input_iterator_tIbNSD_35transform_pair_of_input_iterators_tIbNS6_6detail15normal_iteratorINS6_10device_ptrIKjEEEESL_NS6_8equal_toIjEEEENSG_9not_fun_tINSD_8identityEEEEENSD_19counting_iterator_tIlEES8_S8_S8_S8_S8_S8_S8_S8_EEEEPS9_S9_NSD_9__find_if7functorIS9_EEEE10hipError_tPvRmT1_T2_T3_mT4_P12ihipStream_tbEUlT_E1_NS1_11comp_targetILNS1_3genE2ELNS1_11target_archE906ELNS1_3gpuE6ELNS1_3repE0EEENS1_30default_config_static_selectorELNS0_4arch9wavefront6targetE1EEEvS14_.num_agpr, 0
	.set _ZN7rocprim17ROCPRIM_400000_NS6detail17trampoline_kernelINS0_14default_configENS1_22reduce_config_selectorIN6thrust23THRUST_200600_302600_NS5tupleIblNS6_9null_typeES8_S8_S8_S8_S8_S8_S8_EEEEZNS1_11reduce_implILb1ES3_NS6_12zip_iteratorINS7_INS6_11hip_rocprim26transform_input_iterator_tIbNSD_35transform_pair_of_input_iterators_tIbNS6_6detail15normal_iteratorINS6_10device_ptrIKjEEEESL_NS6_8equal_toIjEEEENSG_9not_fun_tINSD_8identityEEEEENSD_19counting_iterator_tIlEES8_S8_S8_S8_S8_S8_S8_S8_EEEEPS9_S9_NSD_9__find_if7functorIS9_EEEE10hipError_tPvRmT1_T2_T3_mT4_P12ihipStream_tbEUlT_E1_NS1_11comp_targetILNS1_3genE2ELNS1_11target_archE906ELNS1_3gpuE6ELNS1_3repE0EEENS1_30default_config_static_selectorELNS0_4arch9wavefront6targetE1EEEvS14_.numbered_sgpr, 0
	.set _ZN7rocprim17ROCPRIM_400000_NS6detail17trampoline_kernelINS0_14default_configENS1_22reduce_config_selectorIN6thrust23THRUST_200600_302600_NS5tupleIblNS6_9null_typeES8_S8_S8_S8_S8_S8_S8_EEEEZNS1_11reduce_implILb1ES3_NS6_12zip_iteratorINS7_INS6_11hip_rocprim26transform_input_iterator_tIbNSD_35transform_pair_of_input_iterators_tIbNS6_6detail15normal_iteratorINS6_10device_ptrIKjEEEESL_NS6_8equal_toIjEEEENSG_9not_fun_tINSD_8identityEEEEENSD_19counting_iterator_tIlEES8_S8_S8_S8_S8_S8_S8_S8_EEEEPS9_S9_NSD_9__find_if7functorIS9_EEEE10hipError_tPvRmT1_T2_T3_mT4_P12ihipStream_tbEUlT_E1_NS1_11comp_targetILNS1_3genE2ELNS1_11target_archE906ELNS1_3gpuE6ELNS1_3repE0EEENS1_30default_config_static_selectorELNS0_4arch9wavefront6targetE1EEEvS14_.num_named_barrier, 0
	.set _ZN7rocprim17ROCPRIM_400000_NS6detail17trampoline_kernelINS0_14default_configENS1_22reduce_config_selectorIN6thrust23THRUST_200600_302600_NS5tupleIblNS6_9null_typeES8_S8_S8_S8_S8_S8_S8_EEEEZNS1_11reduce_implILb1ES3_NS6_12zip_iteratorINS7_INS6_11hip_rocprim26transform_input_iterator_tIbNSD_35transform_pair_of_input_iterators_tIbNS6_6detail15normal_iteratorINS6_10device_ptrIKjEEEESL_NS6_8equal_toIjEEEENSG_9not_fun_tINSD_8identityEEEEENSD_19counting_iterator_tIlEES8_S8_S8_S8_S8_S8_S8_S8_EEEEPS9_S9_NSD_9__find_if7functorIS9_EEEE10hipError_tPvRmT1_T2_T3_mT4_P12ihipStream_tbEUlT_E1_NS1_11comp_targetILNS1_3genE2ELNS1_11target_archE906ELNS1_3gpuE6ELNS1_3repE0EEENS1_30default_config_static_selectorELNS0_4arch9wavefront6targetE1EEEvS14_.private_seg_size, 0
	.set _ZN7rocprim17ROCPRIM_400000_NS6detail17trampoline_kernelINS0_14default_configENS1_22reduce_config_selectorIN6thrust23THRUST_200600_302600_NS5tupleIblNS6_9null_typeES8_S8_S8_S8_S8_S8_S8_EEEEZNS1_11reduce_implILb1ES3_NS6_12zip_iteratorINS7_INS6_11hip_rocprim26transform_input_iterator_tIbNSD_35transform_pair_of_input_iterators_tIbNS6_6detail15normal_iteratorINS6_10device_ptrIKjEEEESL_NS6_8equal_toIjEEEENSG_9not_fun_tINSD_8identityEEEEENSD_19counting_iterator_tIlEES8_S8_S8_S8_S8_S8_S8_S8_EEEEPS9_S9_NSD_9__find_if7functorIS9_EEEE10hipError_tPvRmT1_T2_T3_mT4_P12ihipStream_tbEUlT_E1_NS1_11comp_targetILNS1_3genE2ELNS1_11target_archE906ELNS1_3gpuE6ELNS1_3repE0EEENS1_30default_config_static_selectorELNS0_4arch9wavefront6targetE1EEEvS14_.uses_vcc, 0
	.set _ZN7rocprim17ROCPRIM_400000_NS6detail17trampoline_kernelINS0_14default_configENS1_22reduce_config_selectorIN6thrust23THRUST_200600_302600_NS5tupleIblNS6_9null_typeES8_S8_S8_S8_S8_S8_S8_EEEEZNS1_11reduce_implILb1ES3_NS6_12zip_iteratorINS7_INS6_11hip_rocprim26transform_input_iterator_tIbNSD_35transform_pair_of_input_iterators_tIbNS6_6detail15normal_iteratorINS6_10device_ptrIKjEEEESL_NS6_8equal_toIjEEEENSG_9not_fun_tINSD_8identityEEEEENSD_19counting_iterator_tIlEES8_S8_S8_S8_S8_S8_S8_S8_EEEEPS9_S9_NSD_9__find_if7functorIS9_EEEE10hipError_tPvRmT1_T2_T3_mT4_P12ihipStream_tbEUlT_E1_NS1_11comp_targetILNS1_3genE2ELNS1_11target_archE906ELNS1_3gpuE6ELNS1_3repE0EEENS1_30default_config_static_selectorELNS0_4arch9wavefront6targetE1EEEvS14_.uses_flat_scratch, 0
	.set _ZN7rocprim17ROCPRIM_400000_NS6detail17trampoline_kernelINS0_14default_configENS1_22reduce_config_selectorIN6thrust23THRUST_200600_302600_NS5tupleIblNS6_9null_typeES8_S8_S8_S8_S8_S8_S8_EEEEZNS1_11reduce_implILb1ES3_NS6_12zip_iteratorINS7_INS6_11hip_rocprim26transform_input_iterator_tIbNSD_35transform_pair_of_input_iterators_tIbNS6_6detail15normal_iteratorINS6_10device_ptrIKjEEEESL_NS6_8equal_toIjEEEENSG_9not_fun_tINSD_8identityEEEEENSD_19counting_iterator_tIlEES8_S8_S8_S8_S8_S8_S8_S8_EEEEPS9_S9_NSD_9__find_if7functorIS9_EEEE10hipError_tPvRmT1_T2_T3_mT4_P12ihipStream_tbEUlT_E1_NS1_11comp_targetILNS1_3genE2ELNS1_11target_archE906ELNS1_3gpuE6ELNS1_3repE0EEENS1_30default_config_static_selectorELNS0_4arch9wavefront6targetE1EEEvS14_.has_dyn_sized_stack, 0
	.set _ZN7rocprim17ROCPRIM_400000_NS6detail17trampoline_kernelINS0_14default_configENS1_22reduce_config_selectorIN6thrust23THRUST_200600_302600_NS5tupleIblNS6_9null_typeES8_S8_S8_S8_S8_S8_S8_EEEEZNS1_11reduce_implILb1ES3_NS6_12zip_iteratorINS7_INS6_11hip_rocprim26transform_input_iterator_tIbNSD_35transform_pair_of_input_iterators_tIbNS6_6detail15normal_iteratorINS6_10device_ptrIKjEEEESL_NS6_8equal_toIjEEEENSG_9not_fun_tINSD_8identityEEEEENSD_19counting_iterator_tIlEES8_S8_S8_S8_S8_S8_S8_S8_EEEEPS9_S9_NSD_9__find_if7functorIS9_EEEE10hipError_tPvRmT1_T2_T3_mT4_P12ihipStream_tbEUlT_E1_NS1_11comp_targetILNS1_3genE2ELNS1_11target_archE906ELNS1_3gpuE6ELNS1_3repE0EEENS1_30default_config_static_selectorELNS0_4arch9wavefront6targetE1EEEvS14_.has_recursion, 0
	.set _ZN7rocprim17ROCPRIM_400000_NS6detail17trampoline_kernelINS0_14default_configENS1_22reduce_config_selectorIN6thrust23THRUST_200600_302600_NS5tupleIblNS6_9null_typeES8_S8_S8_S8_S8_S8_S8_EEEEZNS1_11reduce_implILb1ES3_NS6_12zip_iteratorINS7_INS6_11hip_rocprim26transform_input_iterator_tIbNSD_35transform_pair_of_input_iterators_tIbNS6_6detail15normal_iteratorINS6_10device_ptrIKjEEEESL_NS6_8equal_toIjEEEENSG_9not_fun_tINSD_8identityEEEEENSD_19counting_iterator_tIlEES8_S8_S8_S8_S8_S8_S8_S8_EEEEPS9_S9_NSD_9__find_if7functorIS9_EEEE10hipError_tPvRmT1_T2_T3_mT4_P12ihipStream_tbEUlT_E1_NS1_11comp_targetILNS1_3genE2ELNS1_11target_archE906ELNS1_3gpuE6ELNS1_3repE0EEENS1_30default_config_static_selectorELNS0_4arch9wavefront6targetE1EEEvS14_.has_indirect_call, 0
	.section	.AMDGPU.csdata,"",@progbits
; Kernel info:
; codeLenInByte = 0
; TotalNumSgprs: 6
; NumVgprs: 0
; NumAgprs: 0
; TotalNumVgprs: 0
; ScratchSize: 0
; MemoryBound: 0
; FloatMode: 240
; IeeeMode: 1
; LDSByteSize: 0 bytes/workgroup (compile time only)
; SGPRBlocks: 0
; VGPRBlocks: 0
; NumSGPRsForWavesPerEU: 6
; NumVGPRsForWavesPerEU: 1
; AccumOffset: 4
; Occupancy: 8
; WaveLimiterHint : 0
; COMPUTE_PGM_RSRC2:SCRATCH_EN: 0
; COMPUTE_PGM_RSRC2:USER_SGPR: 2
; COMPUTE_PGM_RSRC2:TRAP_HANDLER: 0
; COMPUTE_PGM_RSRC2:TGID_X_EN: 1
; COMPUTE_PGM_RSRC2:TGID_Y_EN: 0
; COMPUTE_PGM_RSRC2:TGID_Z_EN: 0
; COMPUTE_PGM_RSRC2:TIDIG_COMP_CNT: 0
; COMPUTE_PGM_RSRC3_GFX90A:ACCUM_OFFSET: 0
; COMPUTE_PGM_RSRC3_GFX90A:TG_SPLIT: 0
	.section	.text._ZN7rocprim17ROCPRIM_400000_NS6detail17trampoline_kernelINS0_14default_configENS1_22reduce_config_selectorIN6thrust23THRUST_200600_302600_NS5tupleIblNS6_9null_typeES8_S8_S8_S8_S8_S8_S8_EEEEZNS1_11reduce_implILb1ES3_NS6_12zip_iteratorINS7_INS6_11hip_rocprim26transform_input_iterator_tIbNSD_35transform_pair_of_input_iterators_tIbNS6_6detail15normal_iteratorINS6_10device_ptrIKjEEEESL_NS6_8equal_toIjEEEENSG_9not_fun_tINSD_8identityEEEEENSD_19counting_iterator_tIlEES8_S8_S8_S8_S8_S8_S8_S8_EEEEPS9_S9_NSD_9__find_if7functorIS9_EEEE10hipError_tPvRmT1_T2_T3_mT4_P12ihipStream_tbEUlT_E1_NS1_11comp_targetILNS1_3genE10ELNS1_11target_archE1201ELNS1_3gpuE5ELNS1_3repE0EEENS1_30default_config_static_selectorELNS0_4arch9wavefront6targetE1EEEvS14_,"axG",@progbits,_ZN7rocprim17ROCPRIM_400000_NS6detail17trampoline_kernelINS0_14default_configENS1_22reduce_config_selectorIN6thrust23THRUST_200600_302600_NS5tupleIblNS6_9null_typeES8_S8_S8_S8_S8_S8_S8_EEEEZNS1_11reduce_implILb1ES3_NS6_12zip_iteratorINS7_INS6_11hip_rocprim26transform_input_iterator_tIbNSD_35transform_pair_of_input_iterators_tIbNS6_6detail15normal_iteratorINS6_10device_ptrIKjEEEESL_NS6_8equal_toIjEEEENSG_9not_fun_tINSD_8identityEEEEENSD_19counting_iterator_tIlEES8_S8_S8_S8_S8_S8_S8_S8_EEEEPS9_S9_NSD_9__find_if7functorIS9_EEEE10hipError_tPvRmT1_T2_T3_mT4_P12ihipStream_tbEUlT_E1_NS1_11comp_targetILNS1_3genE10ELNS1_11target_archE1201ELNS1_3gpuE5ELNS1_3repE0EEENS1_30default_config_static_selectorELNS0_4arch9wavefront6targetE1EEEvS14_,comdat
	.protected	_ZN7rocprim17ROCPRIM_400000_NS6detail17trampoline_kernelINS0_14default_configENS1_22reduce_config_selectorIN6thrust23THRUST_200600_302600_NS5tupleIblNS6_9null_typeES8_S8_S8_S8_S8_S8_S8_EEEEZNS1_11reduce_implILb1ES3_NS6_12zip_iteratorINS7_INS6_11hip_rocprim26transform_input_iterator_tIbNSD_35transform_pair_of_input_iterators_tIbNS6_6detail15normal_iteratorINS6_10device_ptrIKjEEEESL_NS6_8equal_toIjEEEENSG_9not_fun_tINSD_8identityEEEEENSD_19counting_iterator_tIlEES8_S8_S8_S8_S8_S8_S8_S8_EEEEPS9_S9_NSD_9__find_if7functorIS9_EEEE10hipError_tPvRmT1_T2_T3_mT4_P12ihipStream_tbEUlT_E1_NS1_11comp_targetILNS1_3genE10ELNS1_11target_archE1201ELNS1_3gpuE5ELNS1_3repE0EEENS1_30default_config_static_selectorELNS0_4arch9wavefront6targetE1EEEvS14_ ; -- Begin function _ZN7rocprim17ROCPRIM_400000_NS6detail17trampoline_kernelINS0_14default_configENS1_22reduce_config_selectorIN6thrust23THRUST_200600_302600_NS5tupleIblNS6_9null_typeES8_S8_S8_S8_S8_S8_S8_EEEEZNS1_11reduce_implILb1ES3_NS6_12zip_iteratorINS7_INS6_11hip_rocprim26transform_input_iterator_tIbNSD_35transform_pair_of_input_iterators_tIbNS6_6detail15normal_iteratorINS6_10device_ptrIKjEEEESL_NS6_8equal_toIjEEEENSG_9not_fun_tINSD_8identityEEEEENSD_19counting_iterator_tIlEES8_S8_S8_S8_S8_S8_S8_S8_EEEEPS9_S9_NSD_9__find_if7functorIS9_EEEE10hipError_tPvRmT1_T2_T3_mT4_P12ihipStream_tbEUlT_E1_NS1_11comp_targetILNS1_3genE10ELNS1_11target_archE1201ELNS1_3gpuE5ELNS1_3repE0EEENS1_30default_config_static_selectorELNS0_4arch9wavefront6targetE1EEEvS14_
	.globl	_ZN7rocprim17ROCPRIM_400000_NS6detail17trampoline_kernelINS0_14default_configENS1_22reduce_config_selectorIN6thrust23THRUST_200600_302600_NS5tupleIblNS6_9null_typeES8_S8_S8_S8_S8_S8_S8_EEEEZNS1_11reduce_implILb1ES3_NS6_12zip_iteratorINS7_INS6_11hip_rocprim26transform_input_iterator_tIbNSD_35transform_pair_of_input_iterators_tIbNS6_6detail15normal_iteratorINS6_10device_ptrIKjEEEESL_NS6_8equal_toIjEEEENSG_9not_fun_tINSD_8identityEEEEENSD_19counting_iterator_tIlEES8_S8_S8_S8_S8_S8_S8_S8_EEEEPS9_S9_NSD_9__find_if7functorIS9_EEEE10hipError_tPvRmT1_T2_T3_mT4_P12ihipStream_tbEUlT_E1_NS1_11comp_targetILNS1_3genE10ELNS1_11target_archE1201ELNS1_3gpuE5ELNS1_3repE0EEENS1_30default_config_static_selectorELNS0_4arch9wavefront6targetE1EEEvS14_
	.p2align	8
	.type	_ZN7rocprim17ROCPRIM_400000_NS6detail17trampoline_kernelINS0_14default_configENS1_22reduce_config_selectorIN6thrust23THRUST_200600_302600_NS5tupleIblNS6_9null_typeES8_S8_S8_S8_S8_S8_S8_EEEEZNS1_11reduce_implILb1ES3_NS6_12zip_iteratorINS7_INS6_11hip_rocprim26transform_input_iterator_tIbNSD_35transform_pair_of_input_iterators_tIbNS6_6detail15normal_iteratorINS6_10device_ptrIKjEEEESL_NS6_8equal_toIjEEEENSG_9not_fun_tINSD_8identityEEEEENSD_19counting_iterator_tIlEES8_S8_S8_S8_S8_S8_S8_S8_EEEEPS9_S9_NSD_9__find_if7functorIS9_EEEE10hipError_tPvRmT1_T2_T3_mT4_P12ihipStream_tbEUlT_E1_NS1_11comp_targetILNS1_3genE10ELNS1_11target_archE1201ELNS1_3gpuE5ELNS1_3repE0EEENS1_30default_config_static_selectorELNS0_4arch9wavefront6targetE1EEEvS14_,@function
_ZN7rocprim17ROCPRIM_400000_NS6detail17trampoline_kernelINS0_14default_configENS1_22reduce_config_selectorIN6thrust23THRUST_200600_302600_NS5tupleIblNS6_9null_typeES8_S8_S8_S8_S8_S8_S8_EEEEZNS1_11reduce_implILb1ES3_NS6_12zip_iteratorINS7_INS6_11hip_rocprim26transform_input_iterator_tIbNSD_35transform_pair_of_input_iterators_tIbNS6_6detail15normal_iteratorINS6_10device_ptrIKjEEEESL_NS6_8equal_toIjEEEENSG_9not_fun_tINSD_8identityEEEEENSD_19counting_iterator_tIlEES8_S8_S8_S8_S8_S8_S8_S8_EEEEPS9_S9_NSD_9__find_if7functorIS9_EEEE10hipError_tPvRmT1_T2_T3_mT4_P12ihipStream_tbEUlT_E1_NS1_11comp_targetILNS1_3genE10ELNS1_11target_archE1201ELNS1_3gpuE5ELNS1_3repE0EEENS1_30default_config_static_selectorELNS0_4arch9wavefront6targetE1EEEvS14_: ; @_ZN7rocprim17ROCPRIM_400000_NS6detail17trampoline_kernelINS0_14default_configENS1_22reduce_config_selectorIN6thrust23THRUST_200600_302600_NS5tupleIblNS6_9null_typeES8_S8_S8_S8_S8_S8_S8_EEEEZNS1_11reduce_implILb1ES3_NS6_12zip_iteratorINS7_INS6_11hip_rocprim26transform_input_iterator_tIbNSD_35transform_pair_of_input_iterators_tIbNS6_6detail15normal_iteratorINS6_10device_ptrIKjEEEESL_NS6_8equal_toIjEEEENSG_9not_fun_tINSD_8identityEEEEENSD_19counting_iterator_tIlEES8_S8_S8_S8_S8_S8_S8_S8_EEEEPS9_S9_NSD_9__find_if7functorIS9_EEEE10hipError_tPvRmT1_T2_T3_mT4_P12ihipStream_tbEUlT_E1_NS1_11comp_targetILNS1_3genE10ELNS1_11target_archE1201ELNS1_3gpuE5ELNS1_3repE0EEENS1_30default_config_static_selectorELNS0_4arch9wavefront6targetE1EEEvS14_
; %bb.0:
	.section	.rodata,"a",@progbits
	.p2align	6, 0x0
	.amdhsa_kernel _ZN7rocprim17ROCPRIM_400000_NS6detail17trampoline_kernelINS0_14default_configENS1_22reduce_config_selectorIN6thrust23THRUST_200600_302600_NS5tupleIblNS6_9null_typeES8_S8_S8_S8_S8_S8_S8_EEEEZNS1_11reduce_implILb1ES3_NS6_12zip_iteratorINS7_INS6_11hip_rocprim26transform_input_iterator_tIbNSD_35transform_pair_of_input_iterators_tIbNS6_6detail15normal_iteratorINS6_10device_ptrIKjEEEESL_NS6_8equal_toIjEEEENSG_9not_fun_tINSD_8identityEEEEENSD_19counting_iterator_tIlEES8_S8_S8_S8_S8_S8_S8_S8_EEEEPS9_S9_NSD_9__find_if7functorIS9_EEEE10hipError_tPvRmT1_T2_T3_mT4_P12ihipStream_tbEUlT_E1_NS1_11comp_targetILNS1_3genE10ELNS1_11target_archE1201ELNS1_3gpuE5ELNS1_3repE0EEENS1_30default_config_static_selectorELNS0_4arch9wavefront6targetE1EEEvS14_
		.amdhsa_group_segment_fixed_size 0
		.amdhsa_private_segment_fixed_size 0
		.amdhsa_kernarg_size 88
		.amdhsa_user_sgpr_count 2
		.amdhsa_user_sgpr_dispatch_ptr 0
		.amdhsa_user_sgpr_queue_ptr 0
		.amdhsa_user_sgpr_kernarg_segment_ptr 1
		.amdhsa_user_sgpr_dispatch_id 0
		.amdhsa_user_sgpr_kernarg_preload_length 0
		.amdhsa_user_sgpr_kernarg_preload_offset 0
		.amdhsa_user_sgpr_private_segment_size 0
		.amdhsa_uses_dynamic_stack 0
		.amdhsa_enable_private_segment 0
		.amdhsa_system_sgpr_workgroup_id_x 1
		.amdhsa_system_sgpr_workgroup_id_y 0
		.amdhsa_system_sgpr_workgroup_id_z 0
		.amdhsa_system_sgpr_workgroup_info 0
		.amdhsa_system_vgpr_workitem_id 0
		.amdhsa_next_free_vgpr 1
		.amdhsa_next_free_sgpr 0
		.amdhsa_accum_offset 4
		.amdhsa_reserve_vcc 0
		.amdhsa_float_round_mode_32 0
		.amdhsa_float_round_mode_16_64 0
		.amdhsa_float_denorm_mode_32 3
		.amdhsa_float_denorm_mode_16_64 3
		.amdhsa_dx10_clamp 1
		.amdhsa_ieee_mode 1
		.amdhsa_fp16_overflow 0
		.amdhsa_tg_split 0
		.amdhsa_exception_fp_ieee_invalid_op 0
		.amdhsa_exception_fp_denorm_src 0
		.amdhsa_exception_fp_ieee_div_zero 0
		.amdhsa_exception_fp_ieee_overflow 0
		.amdhsa_exception_fp_ieee_underflow 0
		.amdhsa_exception_fp_ieee_inexact 0
		.amdhsa_exception_int_div_zero 0
	.end_amdhsa_kernel
	.section	.text._ZN7rocprim17ROCPRIM_400000_NS6detail17trampoline_kernelINS0_14default_configENS1_22reduce_config_selectorIN6thrust23THRUST_200600_302600_NS5tupleIblNS6_9null_typeES8_S8_S8_S8_S8_S8_S8_EEEEZNS1_11reduce_implILb1ES3_NS6_12zip_iteratorINS7_INS6_11hip_rocprim26transform_input_iterator_tIbNSD_35transform_pair_of_input_iterators_tIbNS6_6detail15normal_iteratorINS6_10device_ptrIKjEEEESL_NS6_8equal_toIjEEEENSG_9not_fun_tINSD_8identityEEEEENSD_19counting_iterator_tIlEES8_S8_S8_S8_S8_S8_S8_S8_EEEEPS9_S9_NSD_9__find_if7functorIS9_EEEE10hipError_tPvRmT1_T2_T3_mT4_P12ihipStream_tbEUlT_E1_NS1_11comp_targetILNS1_3genE10ELNS1_11target_archE1201ELNS1_3gpuE5ELNS1_3repE0EEENS1_30default_config_static_selectorELNS0_4arch9wavefront6targetE1EEEvS14_,"axG",@progbits,_ZN7rocprim17ROCPRIM_400000_NS6detail17trampoline_kernelINS0_14default_configENS1_22reduce_config_selectorIN6thrust23THRUST_200600_302600_NS5tupleIblNS6_9null_typeES8_S8_S8_S8_S8_S8_S8_EEEEZNS1_11reduce_implILb1ES3_NS6_12zip_iteratorINS7_INS6_11hip_rocprim26transform_input_iterator_tIbNSD_35transform_pair_of_input_iterators_tIbNS6_6detail15normal_iteratorINS6_10device_ptrIKjEEEESL_NS6_8equal_toIjEEEENSG_9not_fun_tINSD_8identityEEEEENSD_19counting_iterator_tIlEES8_S8_S8_S8_S8_S8_S8_S8_EEEEPS9_S9_NSD_9__find_if7functorIS9_EEEE10hipError_tPvRmT1_T2_T3_mT4_P12ihipStream_tbEUlT_E1_NS1_11comp_targetILNS1_3genE10ELNS1_11target_archE1201ELNS1_3gpuE5ELNS1_3repE0EEENS1_30default_config_static_selectorELNS0_4arch9wavefront6targetE1EEEvS14_,comdat
.Lfunc_end819:
	.size	_ZN7rocprim17ROCPRIM_400000_NS6detail17trampoline_kernelINS0_14default_configENS1_22reduce_config_selectorIN6thrust23THRUST_200600_302600_NS5tupleIblNS6_9null_typeES8_S8_S8_S8_S8_S8_S8_EEEEZNS1_11reduce_implILb1ES3_NS6_12zip_iteratorINS7_INS6_11hip_rocprim26transform_input_iterator_tIbNSD_35transform_pair_of_input_iterators_tIbNS6_6detail15normal_iteratorINS6_10device_ptrIKjEEEESL_NS6_8equal_toIjEEEENSG_9not_fun_tINSD_8identityEEEEENSD_19counting_iterator_tIlEES8_S8_S8_S8_S8_S8_S8_S8_EEEEPS9_S9_NSD_9__find_if7functorIS9_EEEE10hipError_tPvRmT1_T2_T3_mT4_P12ihipStream_tbEUlT_E1_NS1_11comp_targetILNS1_3genE10ELNS1_11target_archE1201ELNS1_3gpuE5ELNS1_3repE0EEENS1_30default_config_static_selectorELNS0_4arch9wavefront6targetE1EEEvS14_, .Lfunc_end819-_ZN7rocprim17ROCPRIM_400000_NS6detail17trampoline_kernelINS0_14default_configENS1_22reduce_config_selectorIN6thrust23THRUST_200600_302600_NS5tupleIblNS6_9null_typeES8_S8_S8_S8_S8_S8_S8_EEEEZNS1_11reduce_implILb1ES3_NS6_12zip_iteratorINS7_INS6_11hip_rocprim26transform_input_iterator_tIbNSD_35transform_pair_of_input_iterators_tIbNS6_6detail15normal_iteratorINS6_10device_ptrIKjEEEESL_NS6_8equal_toIjEEEENSG_9not_fun_tINSD_8identityEEEEENSD_19counting_iterator_tIlEES8_S8_S8_S8_S8_S8_S8_S8_EEEEPS9_S9_NSD_9__find_if7functorIS9_EEEE10hipError_tPvRmT1_T2_T3_mT4_P12ihipStream_tbEUlT_E1_NS1_11comp_targetILNS1_3genE10ELNS1_11target_archE1201ELNS1_3gpuE5ELNS1_3repE0EEENS1_30default_config_static_selectorELNS0_4arch9wavefront6targetE1EEEvS14_
                                        ; -- End function
	.set _ZN7rocprim17ROCPRIM_400000_NS6detail17trampoline_kernelINS0_14default_configENS1_22reduce_config_selectorIN6thrust23THRUST_200600_302600_NS5tupleIblNS6_9null_typeES8_S8_S8_S8_S8_S8_S8_EEEEZNS1_11reduce_implILb1ES3_NS6_12zip_iteratorINS7_INS6_11hip_rocprim26transform_input_iterator_tIbNSD_35transform_pair_of_input_iterators_tIbNS6_6detail15normal_iteratorINS6_10device_ptrIKjEEEESL_NS6_8equal_toIjEEEENSG_9not_fun_tINSD_8identityEEEEENSD_19counting_iterator_tIlEES8_S8_S8_S8_S8_S8_S8_S8_EEEEPS9_S9_NSD_9__find_if7functorIS9_EEEE10hipError_tPvRmT1_T2_T3_mT4_P12ihipStream_tbEUlT_E1_NS1_11comp_targetILNS1_3genE10ELNS1_11target_archE1201ELNS1_3gpuE5ELNS1_3repE0EEENS1_30default_config_static_selectorELNS0_4arch9wavefront6targetE1EEEvS14_.num_vgpr, 0
	.set _ZN7rocprim17ROCPRIM_400000_NS6detail17trampoline_kernelINS0_14default_configENS1_22reduce_config_selectorIN6thrust23THRUST_200600_302600_NS5tupleIblNS6_9null_typeES8_S8_S8_S8_S8_S8_S8_EEEEZNS1_11reduce_implILb1ES3_NS6_12zip_iteratorINS7_INS6_11hip_rocprim26transform_input_iterator_tIbNSD_35transform_pair_of_input_iterators_tIbNS6_6detail15normal_iteratorINS6_10device_ptrIKjEEEESL_NS6_8equal_toIjEEEENSG_9not_fun_tINSD_8identityEEEEENSD_19counting_iterator_tIlEES8_S8_S8_S8_S8_S8_S8_S8_EEEEPS9_S9_NSD_9__find_if7functorIS9_EEEE10hipError_tPvRmT1_T2_T3_mT4_P12ihipStream_tbEUlT_E1_NS1_11comp_targetILNS1_3genE10ELNS1_11target_archE1201ELNS1_3gpuE5ELNS1_3repE0EEENS1_30default_config_static_selectorELNS0_4arch9wavefront6targetE1EEEvS14_.num_agpr, 0
	.set _ZN7rocprim17ROCPRIM_400000_NS6detail17trampoline_kernelINS0_14default_configENS1_22reduce_config_selectorIN6thrust23THRUST_200600_302600_NS5tupleIblNS6_9null_typeES8_S8_S8_S8_S8_S8_S8_EEEEZNS1_11reduce_implILb1ES3_NS6_12zip_iteratorINS7_INS6_11hip_rocprim26transform_input_iterator_tIbNSD_35transform_pair_of_input_iterators_tIbNS6_6detail15normal_iteratorINS6_10device_ptrIKjEEEESL_NS6_8equal_toIjEEEENSG_9not_fun_tINSD_8identityEEEEENSD_19counting_iterator_tIlEES8_S8_S8_S8_S8_S8_S8_S8_EEEEPS9_S9_NSD_9__find_if7functorIS9_EEEE10hipError_tPvRmT1_T2_T3_mT4_P12ihipStream_tbEUlT_E1_NS1_11comp_targetILNS1_3genE10ELNS1_11target_archE1201ELNS1_3gpuE5ELNS1_3repE0EEENS1_30default_config_static_selectorELNS0_4arch9wavefront6targetE1EEEvS14_.numbered_sgpr, 0
	.set _ZN7rocprim17ROCPRIM_400000_NS6detail17trampoline_kernelINS0_14default_configENS1_22reduce_config_selectorIN6thrust23THRUST_200600_302600_NS5tupleIblNS6_9null_typeES8_S8_S8_S8_S8_S8_S8_EEEEZNS1_11reduce_implILb1ES3_NS6_12zip_iteratorINS7_INS6_11hip_rocprim26transform_input_iterator_tIbNSD_35transform_pair_of_input_iterators_tIbNS6_6detail15normal_iteratorINS6_10device_ptrIKjEEEESL_NS6_8equal_toIjEEEENSG_9not_fun_tINSD_8identityEEEEENSD_19counting_iterator_tIlEES8_S8_S8_S8_S8_S8_S8_S8_EEEEPS9_S9_NSD_9__find_if7functorIS9_EEEE10hipError_tPvRmT1_T2_T3_mT4_P12ihipStream_tbEUlT_E1_NS1_11comp_targetILNS1_3genE10ELNS1_11target_archE1201ELNS1_3gpuE5ELNS1_3repE0EEENS1_30default_config_static_selectorELNS0_4arch9wavefront6targetE1EEEvS14_.num_named_barrier, 0
	.set _ZN7rocprim17ROCPRIM_400000_NS6detail17trampoline_kernelINS0_14default_configENS1_22reduce_config_selectorIN6thrust23THRUST_200600_302600_NS5tupleIblNS6_9null_typeES8_S8_S8_S8_S8_S8_S8_EEEEZNS1_11reduce_implILb1ES3_NS6_12zip_iteratorINS7_INS6_11hip_rocprim26transform_input_iterator_tIbNSD_35transform_pair_of_input_iterators_tIbNS6_6detail15normal_iteratorINS6_10device_ptrIKjEEEESL_NS6_8equal_toIjEEEENSG_9not_fun_tINSD_8identityEEEEENSD_19counting_iterator_tIlEES8_S8_S8_S8_S8_S8_S8_S8_EEEEPS9_S9_NSD_9__find_if7functorIS9_EEEE10hipError_tPvRmT1_T2_T3_mT4_P12ihipStream_tbEUlT_E1_NS1_11comp_targetILNS1_3genE10ELNS1_11target_archE1201ELNS1_3gpuE5ELNS1_3repE0EEENS1_30default_config_static_selectorELNS0_4arch9wavefront6targetE1EEEvS14_.private_seg_size, 0
	.set _ZN7rocprim17ROCPRIM_400000_NS6detail17trampoline_kernelINS0_14default_configENS1_22reduce_config_selectorIN6thrust23THRUST_200600_302600_NS5tupleIblNS6_9null_typeES8_S8_S8_S8_S8_S8_S8_EEEEZNS1_11reduce_implILb1ES3_NS6_12zip_iteratorINS7_INS6_11hip_rocprim26transform_input_iterator_tIbNSD_35transform_pair_of_input_iterators_tIbNS6_6detail15normal_iteratorINS6_10device_ptrIKjEEEESL_NS6_8equal_toIjEEEENSG_9not_fun_tINSD_8identityEEEEENSD_19counting_iterator_tIlEES8_S8_S8_S8_S8_S8_S8_S8_EEEEPS9_S9_NSD_9__find_if7functorIS9_EEEE10hipError_tPvRmT1_T2_T3_mT4_P12ihipStream_tbEUlT_E1_NS1_11comp_targetILNS1_3genE10ELNS1_11target_archE1201ELNS1_3gpuE5ELNS1_3repE0EEENS1_30default_config_static_selectorELNS0_4arch9wavefront6targetE1EEEvS14_.uses_vcc, 0
	.set _ZN7rocprim17ROCPRIM_400000_NS6detail17trampoline_kernelINS0_14default_configENS1_22reduce_config_selectorIN6thrust23THRUST_200600_302600_NS5tupleIblNS6_9null_typeES8_S8_S8_S8_S8_S8_S8_EEEEZNS1_11reduce_implILb1ES3_NS6_12zip_iteratorINS7_INS6_11hip_rocprim26transform_input_iterator_tIbNSD_35transform_pair_of_input_iterators_tIbNS6_6detail15normal_iteratorINS6_10device_ptrIKjEEEESL_NS6_8equal_toIjEEEENSG_9not_fun_tINSD_8identityEEEEENSD_19counting_iterator_tIlEES8_S8_S8_S8_S8_S8_S8_S8_EEEEPS9_S9_NSD_9__find_if7functorIS9_EEEE10hipError_tPvRmT1_T2_T3_mT4_P12ihipStream_tbEUlT_E1_NS1_11comp_targetILNS1_3genE10ELNS1_11target_archE1201ELNS1_3gpuE5ELNS1_3repE0EEENS1_30default_config_static_selectorELNS0_4arch9wavefront6targetE1EEEvS14_.uses_flat_scratch, 0
	.set _ZN7rocprim17ROCPRIM_400000_NS6detail17trampoline_kernelINS0_14default_configENS1_22reduce_config_selectorIN6thrust23THRUST_200600_302600_NS5tupleIblNS6_9null_typeES8_S8_S8_S8_S8_S8_S8_EEEEZNS1_11reduce_implILb1ES3_NS6_12zip_iteratorINS7_INS6_11hip_rocprim26transform_input_iterator_tIbNSD_35transform_pair_of_input_iterators_tIbNS6_6detail15normal_iteratorINS6_10device_ptrIKjEEEESL_NS6_8equal_toIjEEEENSG_9not_fun_tINSD_8identityEEEEENSD_19counting_iterator_tIlEES8_S8_S8_S8_S8_S8_S8_S8_EEEEPS9_S9_NSD_9__find_if7functorIS9_EEEE10hipError_tPvRmT1_T2_T3_mT4_P12ihipStream_tbEUlT_E1_NS1_11comp_targetILNS1_3genE10ELNS1_11target_archE1201ELNS1_3gpuE5ELNS1_3repE0EEENS1_30default_config_static_selectorELNS0_4arch9wavefront6targetE1EEEvS14_.has_dyn_sized_stack, 0
	.set _ZN7rocprim17ROCPRIM_400000_NS6detail17trampoline_kernelINS0_14default_configENS1_22reduce_config_selectorIN6thrust23THRUST_200600_302600_NS5tupleIblNS6_9null_typeES8_S8_S8_S8_S8_S8_S8_EEEEZNS1_11reduce_implILb1ES3_NS6_12zip_iteratorINS7_INS6_11hip_rocprim26transform_input_iterator_tIbNSD_35transform_pair_of_input_iterators_tIbNS6_6detail15normal_iteratorINS6_10device_ptrIKjEEEESL_NS6_8equal_toIjEEEENSG_9not_fun_tINSD_8identityEEEEENSD_19counting_iterator_tIlEES8_S8_S8_S8_S8_S8_S8_S8_EEEEPS9_S9_NSD_9__find_if7functorIS9_EEEE10hipError_tPvRmT1_T2_T3_mT4_P12ihipStream_tbEUlT_E1_NS1_11comp_targetILNS1_3genE10ELNS1_11target_archE1201ELNS1_3gpuE5ELNS1_3repE0EEENS1_30default_config_static_selectorELNS0_4arch9wavefront6targetE1EEEvS14_.has_recursion, 0
	.set _ZN7rocprim17ROCPRIM_400000_NS6detail17trampoline_kernelINS0_14default_configENS1_22reduce_config_selectorIN6thrust23THRUST_200600_302600_NS5tupleIblNS6_9null_typeES8_S8_S8_S8_S8_S8_S8_EEEEZNS1_11reduce_implILb1ES3_NS6_12zip_iteratorINS7_INS6_11hip_rocprim26transform_input_iterator_tIbNSD_35transform_pair_of_input_iterators_tIbNS6_6detail15normal_iteratorINS6_10device_ptrIKjEEEESL_NS6_8equal_toIjEEEENSG_9not_fun_tINSD_8identityEEEEENSD_19counting_iterator_tIlEES8_S8_S8_S8_S8_S8_S8_S8_EEEEPS9_S9_NSD_9__find_if7functorIS9_EEEE10hipError_tPvRmT1_T2_T3_mT4_P12ihipStream_tbEUlT_E1_NS1_11comp_targetILNS1_3genE10ELNS1_11target_archE1201ELNS1_3gpuE5ELNS1_3repE0EEENS1_30default_config_static_selectorELNS0_4arch9wavefront6targetE1EEEvS14_.has_indirect_call, 0
	.section	.AMDGPU.csdata,"",@progbits
; Kernel info:
; codeLenInByte = 0
; TotalNumSgprs: 6
; NumVgprs: 0
; NumAgprs: 0
; TotalNumVgprs: 0
; ScratchSize: 0
; MemoryBound: 0
; FloatMode: 240
; IeeeMode: 1
; LDSByteSize: 0 bytes/workgroup (compile time only)
; SGPRBlocks: 0
; VGPRBlocks: 0
; NumSGPRsForWavesPerEU: 6
; NumVGPRsForWavesPerEU: 1
; AccumOffset: 4
; Occupancy: 8
; WaveLimiterHint : 0
; COMPUTE_PGM_RSRC2:SCRATCH_EN: 0
; COMPUTE_PGM_RSRC2:USER_SGPR: 2
; COMPUTE_PGM_RSRC2:TRAP_HANDLER: 0
; COMPUTE_PGM_RSRC2:TGID_X_EN: 1
; COMPUTE_PGM_RSRC2:TGID_Y_EN: 0
; COMPUTE_PGM_RSRC2:TGID_Z_EN: 0
; COMPUTE_PGM_RSRC2:TIDIG_COMP_CNT: 0
; COMPUTE_PGM_RSRC3_GFX90A:ACCUM_OFFSET: 0
; COMPUTE_PGM_RSRC3_GFX90A:TG_SPLIT: 0
	.section	.text._ZN7rocprim17ROCPRIM_400000_NS6detail17trampoline_kernelINS0_14default_configENS1_22reduce_config_selectorIN6thrust23THRUST_200600_302600_NS5tupleIblNS6_9null_typeES8_S8_S8_S8_S8_S8_S8_EEEEZNS1_11reduce_implILb1ES3_NS6_12zip_iteratorINS7_INS6_11hip_rocprim26transform_input_iterator_tIbNSD_35transform_pair_of_input_iterators_tIbNS6_6detail15normal_iteratorINS6_10device_ptrIKjEEEESL_NS6_8equal_toIjEEEENSG_9not_fun_tINSD_8identityEEEEENSD_19counting_iterator_tIlEES8_S8_S8_S8_S8_S8_S8_S8_EEEEPS9_S9_NSD_9__find_if7functorIS9_EEEE10hipError_tPvRmT1_T2_T3_mT4_P12ihipStream_tbEUlT_E1_NS1_11comp_targetILNS1_3genE10ELNS1_11target_archE1200ELNS1_3gpuE4ELNS1_3repE0EEENS1_30default_config_static_selectorELNS0_4arch9wavefront6targetE1EEEvS14_,"axG",@progbits,_ZN7rocprim17ROCPRIM_400000_NS6detail17trampoline_kernelINS0_14default_configENS1_22reduce_config_selectorIN6thrust23THRUST_200600_302600_NS5tupleIblNS6_9null_typeES8_S8_S8_S8_S8_S8_S8_EEEEZNS1_11reduce_implILb1ES3_NS6_12zip_iteratorINS7_INS6_11hip_rocprim26transform_input_iterator_tIbNSD_35transform_pair_of_input_iterators_tIbNS6_6detail15normal_iteratorINS6_10device_ptrIKjEEEESL_NS6_8equal_toIjEEEENSG_9not_fun_tINSD_8identityEEEEENSD_19counting_iterator_tIlEES8_S8_S8_S8_S8_S8_S8_S8_EEEEPS9_S9_NSD_9__find_if7functorIS9_EEEE10hipError_tPvRmT1_T2_T3_mT4_P12ihipStream_tbEUlT_E1_NS1_11comp_targetILNS1_3genE10ELNS1_11target_archE1200ELNS1_3gpuE4ELNS1_3repE0EEENS1_30default_config_static_selectorELNS0_4arch9wavefront6targetE1EEEvS14_,comdat
	.protected	_ZN7rocprim17ROCPRIM_400000_NS6detail17trampoline_kernelINS0_14default_configENS1_22reduce_config_selectorIN6thrust23THRUST_200600_302600_NS5tupleIblNS6_9null_typeES8_S8_S8_S8_S8_S8_S8_EEEEZNS1_11reduce_implILb1ES3_NS6_12zip_iteratorINS7_INS6_11hip_rocprim26transform_input_iterator_tIbNSD_35transform_pair_of_input_iterators_tIbNS6_6detail15normal_iteratorINS6_10device_ptrIKjEEEESL_NS6_8equal_toIjEEEENSG_9not_fun_tINSD_8identityEEEEENSD_19counting_iterator_tIlEES8_S8_S8_S8_S8_S8_S8_S8_EEEEPS9_S9_NSD_9__find_if7functorIS9_EEEE10hipError_tPvRmT1_T2_T3_mT4_P12ihipStream_tbEUlT_E1_NS1_11comp_targetILNS1_3genE10ELNS1_11target_archE1200ELNS1_3gpuE4ELNS1_3repE0EEENS1_30default_config_static_selectorELNS0_4arch9wavefront6targetE1EEEvS14_ ; -- Begin function _ZN7rocprim17ROCPRIM_400000_NS6detail17trampoline_kernelINS0_14default_configENS1_22reduce_config_selectorIN6thrust23THRUST_200600_302600_NS5tupleIblNS6_9null_typeES8_S8_S8_S8_S8_S8_S8_EEEEZNS1_11reduce_implILb1ES3_NS6_12zip_iteratorINS7_INS6_11hip_rocprim26transform_input_iterator_tIbNSD_35transform_pair_of_input_iterators_tIbNS6_6detail15normal_iteratorINS6_10device_ptrIKjEEEESL_NS6_8equal_toIjEEEENSG_9not_fun_tINSD_8identityEEEEENSD_19counting_iterator_tIlEES8_S8_S8_S8_S8_S8_S8_S8_EEEEPS9_S9_NSD_9__find_if7functorIS9_EEEE10hipError_tPvRmT1_T2_T3_mT4_P12ihipStream_tbEUlT_E1_NS1_11comp_targetILNS1_3genE10ELNS1_11target_archE1200ELNS1_3gpuE4ELNS1_3repE0EEENS1_30default_config_static_selectorELNS0_4arch9wavefront6targetE1EEEvS14_
	.globl	_ZN7rocprim17ROCPRIM_400000_NS6detail17trampoline_kernelINS0_14default_configENS1_22reduce_config_selectorIN6thrust23THRUST_200600_302600_NS5tupleIblNS6_9null_typeES8_S8_S8_S8_S8_S8_S8_EEEEZNS1_11reduce_implILb1ES3_NS6_12zip_iteratorINS7_INS6_11hip_rocprim26transform_input_iterator_tIbNSD_35transform_pair_of_input_iterators_tIbNS6_6detail15normal_iteratorINS6_10device_ptrIKjEEEESL_NS6_8equal_toIjEEEENSG_9not_fun_tINSD_8identityEEEEENSD_19counting_iterator_tIlEES8_S8_S8_S8_S8_S8_S8_S8_EEEEPS9_S9_NSD_9__find_if7functorIS9_EEEE10hipError_tPvRmT1_T2_T3_mT4_P12ihipStream_tbEUlT_E1_NS1_11comp_targetILNS1_3genE10ELNS1_11target_archE1200ELNS1_3gpuE4ELNS1_3repE0EEENS1_30default_config_static_selectorELNS0_4arch9wavefront6targetE1EEEvS14_
	.p2align	8
	.type	_ZN7rocprim17ROCPRIM_400000_NS6detail17trampoline_kernelINS0_14default_configENS1_22reduce_config_selectorIN6thrust23THRUST_200600_302600_NS5tupleIblNS6_9null_typeES8_S8_S8_S8_S8_S8_S8_EEEEZNS1_11reduce_implILb1ES3_NS6_12zip_iteratorINS7_INS6_11hip_rocprim26transform_input_iterator_tIbNSD_35transform_pair_of_input_iterators_tIbNS6_6detail15normal_iteratorINS6_10device_ptrIKjEEEESL_NS6_8equal_toIjEEEENSG_9not_fun_tINSD_8identityEEEEENSD_19counting_iterator_tIlEES8_S8_S8_S8_S8_S8_S8_S8_EEEEPS9_S9_NSD_9__find_if7functorIS9_EEEE10hipError_tPvRmT1_T2_T3_mT4_P12ihipStream_tbEUlT_E1_NS1_11comp_targetILNS1_3genE10ELNS1_11target_archE1200ELNS1_3gpuE4ELNS1_3repE0EEENS1_30default_config_static_selectorELNS0_4arch9wavefront6targetE1EEEvS14_,@function
_ZN7rocprim17ROCPRIM_400000_NS6detail17trampoline_kernelINS0_14default_configENS1_22reduce_config_selectorIN6thrust23THRUST_200600_302600_NS5tupleIblNS6_9null_typeES8_S8_S8_S8_S8_S8_S8_EEEEZNS1_11reduce_implILb1ES3_NS6_12zip_iteratorINS7_INS6_11hip_rocprim26transform_input_iterator_tIbNSD_35transform_pair_of_input_iterators_tIbNS6_6detail15normal_iteratorINS6_10device_ptrIKjEEEESL_NS6_8equal_toIjEEEENSG_9not_fun_tINSD_8identityEEEEENSD_19counting_iterator_tIlEES8_S8_S8_S8_S8_S8_S8_S8_EEEEPS9_S9_NSD_9__find_if7functorIS9_EEEE10hipError_tPvRmT1_T2_T3_mT4_P12ihipStream_tbEUlT_E1_NS1_11comp_targetILNS1_3genE10ELNS1_11target_archE1200ELNS1_3gpuE4ELNS1_3repE0EEENS1_30default_config_static_selectorELNS0_4arch9wavefront6targetE1EEEvS14_: ; @_ZN7rocprim17ROCPRIM_400000_NS6detail17trampoline_kernelINS0_14default_configENS1_22reduce_config_selectorIN6thrust23THRUST_200600_302600_NS5tupleIblNS6_9null_typeES8_S8_S8_S8_S8_S8_S8_EEEEZNS1_11reduce_implILb1ES3_NS6_12zip_iteratorINS7_INS6_11hip_rocprim26transform_input_iterator_tIbNSD_35transform_pair_of_input_iterators_tIbNS6_6detail15normal_iteratorINS6_10device_ptrIKjEEEESL_NS6_8equal_toIjEEEENSG_9not_fun_tINSD_8identityEEEEENSD_19counting_iterator_tIlEES8_S8_S8_S8_S8_S8_S8_S8_EEEEPS9_S9_NSD_9__find_if7functorIS9_EEEE10hipError_tPvRmT1_T2_T3_mT4_P12ihipStream_tbEUlT_E1_NS1_11comp_targetILNS1_3genE10ELNS1_11target_archE1200ELNS1_3gpuE4ELNS1_3repE0EEENS1_30default_config_static_selectorELNS0_4arch9wavefront6targetE1EEEvS14_
; %bb.0:
	.section	.rodata,"a",@progbits
	.p2align	6, 0x0
	.amdhsa_kernel _ZN7rocprim17ROCPRIM_400000_NS6detail17trampoline_kernelINS0_14default_configENS1_22reduce_config_selectorIN6thrust23THRUST_200600_302600_NS5tupleIblNS6_9null_typeES8_S8_S8_S8_S8_S8_S8_EEEEZNS1_11reduce_implILb1ES3_NS6_12zip_iteratorINS7_INS6_11hip_rocprim26transform_input_iterator_tIbNSD_35transform_pair_of_input_iterators_tIbNS6_6detail15normal_iteratorINS6_10device_ptrIKjEEEESL_NS6_8equal_toIjEEEENSG_9not_fun_tINSD_8identityEEEEENSD_19counting_iterator_tIlEES8_S8_S8_S8_S8_S8_S8_S8_EEEEPS9_S9_NSD_9__find_if7functorIS9_EEEE10hipError_tPvRmT1_T2_T3_mT4_P12ihipStream_tbEUlT_E1_NS1_11comp_targetILNS1_3genE10ELNS1_11target_archE1200ELNS1_3gpuE4ELNS1_3repE0EEENS1_30default_config_static_selectorELNS0_4arch9wavefront6targetE1EEEvS14_
		.amdhsa_group_segment_fixed_size 0
		.amdhsa_private_segment_fixed_size 0
		.amdhsa_kernarg_size 88
		.amdhsa_user_sgpr_count 2
		.amdhsa_user_sgpr_dispatch_ptr 0
		.amdhsa_user_sgpr_queue_ptr 0
		.amdhsa_user_sgpr_kernarg_segment_ptr 1
		.amdhsa_user_sgpr_dispatch_id 0
		.amdhsa_user_sgpr_kernarg_preload_length 0
		.amdhsa_user_sgpr_kernarg_preload_offset 0
		.amdhsa_user_sgpr_private_segment_size 0
		.amdhsa_uses_dynamic_stack 0
		.amdhsa_enable_private_segment 0
		.amdhsa_system_sgpr_workgroup_id_x 1
		.amdhsa_system_sgpr_workgroup_id_y 0
		.amdhsa_system_sgpr_workgroup_id_z 0
		.amdhsa_system_sgpr_workgroup_info 0
		.amdhsa_system_vgpr_workitem_id 0
		.amdhsa_next_free_vgpr 1
		.amdhsa_next_free_sgpr 0
		.amdhsa_accum_offset 4
		.amdhsa_reserve_vcc 0
		.amdhsa_float_round_mode_32 0
		.amdhsa_float_round_mode_16_64 0
		.amdhsa_float_denorm_mode_32 3
		.amdhsa_float_denorm_mode_16_64 3
		.amdhsa_dx10_clamp 1
		.amdhsa_ieee_mode 1
		.amdhsa_fp16_overflow 0
		.amdhsa_tg_split 0
		.amdhsa_exception_fp_ieee_invalid_op 0
		.amdhsa_exception_fp_denorm_src 0
		.amdhsa_exception_fp_ieee_div_zero 0
		.amdhsa_exception_fp_ieee_overflow 0
		.amdhsa_exception_fp_ieee_underflow 0
		.amdhsa_exception_fp_ieee_inexact 0
		.amdhsa_exception_int_div_zero 0
	.end_amdhsa_kernel
	.section	.text._ZN7rocprim17ROCPRIM_400000_NS6detail17trampoline_kernelINS0_14default_configENS1_22reduce_config_selectorIN6thrust23THRUST_200600_302600_NS5tupleIblNS6_9null_typeES8_S8_S8_S8_S8_S8_S8_EEEEZNS1_11reduce_implILb1ES3_NS6_12zip_iteratorINS7_INS6_11hip_rocprim26transform_input_iterator_tIbNSD_35transform_pair_of_input_iterators_tIbNS6_6detail15normal_iteratorINS6_10device_ptrIKjEEEESL_NS6_8equal_toIjEEEENSG_9not_fun_tINSD_8identityEEEEENSD_19counting_iterator_tIlEES8_S8_S8_S8_S8_S8_S8_S8_EEEEPS9_S9_NSD_9__find_if7functorIS9_EEEE10hipError_tPvRmT1_T2_T3_mT4_P12ihipStream_tbEUlT_E1_NS1_11comp_targetILNS1_3genE10ELNS1_11target_archE1200ELNS1_3gpuE4ELNS1_3repE0EEENS1_30default_config_static_selectorELNS0_4arch9wavefront6targetE1EEEvS14_,"axG",@progbits,_ZN7rocprim17ROCPRIM_400000_NS6detail17trampoline_kernelINS0_14default_configENS1_22reduce_config_selectorIN6thrust23THRUST_200600_302600_NS5tupleIblNS6_9null_typeES8_S8_S8_S8_S8_S8_S8_EEEEZNS1_11reduce_implILb1ES3_NS6_12zip_iteratorINS7_INS6_11hip_rocprim26transform_input_iterator_tIbNSD_35transform_pair_of_input_iterators_tIbNS6_6detail15normal_iteratorINS6_10device_ptrIKjEEEESL_NS6_8equal_toIjEEEENSG_9not_fun_tINSD_8identityEEEEENSD_19counting_iterator_tIlEES8_S8_S8_S8_S8_S8_S8_S8_EEEEPS9_S9_NSD_9__find_if7functorIS9_EEEE10hipError_tPvRmT1_T2_T3_mT4_P12ihipStream_tbEUlT_E1_NS1_11comp_targetILNS1_3genE10ELNS1_11target_archE1200ELNS1_3gpuE4ELNS1_3repE0EEENS1_30default_config_static_selectorELNS0_4arch9wavefront6targetE1EEEvS14_,comdat
.Lfunc_end820:
	.size	_ZN7rocprim17ROCPRIM_400000_NS6detail17trampoline_kernelINS0_14default_configENS1_22reduce_config_selectorIN6thrust23THRUST_200600_302600_NS5tupleIblNS6_9null_typeES8_S8_S8_S8_S8_S8_S8_EEEEZNS1_11reduce_implILb1ES3_NS6_12zip_iteratorINS7_INS6_11hip_rocprim26transform_input_iterator_tIbNSD_35transform_pair_of_input_iterators_tIbNS6_6detail15normal_iteratorINS6_10device_ptrIKjEEEESL_NS6_8equal_toIjEEEENSG_9not_fun_tINSD_8identityEEEEENSD_19counting_iterator_tIlEES8_S8_S8_S8_S8_S8_S8_S8_EEEEPS9_S9_NSD_9__find_if7functorIS9_EEEE10hipError_tPvRmT1_T2_T3_mT4_P12ihipStream_tbEUlT_E1_NS1_11comp_targetILNS1_3genE10ELNS1_11target_archE1200ELNS1_3gpuE4ELNS1_3repE0EEENS1_30default_config_static_selectorELNS0_4arch9wavefront6targetE1EEEvS14_, .Lfunc_end820-_ZN7rocprim17ROCPRIM_400000_NS6detail17trampoline_kernelINS0_14default_configENS1_22reduce_config_selectorIN6thrust23THRUST_200600_302600_NS5tupleIblNS6_9null_typeES8_S8_S8_S8_S8_S8_S8_EEEEZNS1_11reduce_implILb1ES3_NS6_12zip_iteratorINS7_INS6_11hip_rocprim26transform_input_iterator_tIbNSD_35transform_pair_of_input_iterators_tIbNS6_6detail15normal_iteratorINS6_10device_ptrIKjEEEESL_NS6_8equal_toIjEEEENSG_9not_fun_tINSD_8identityEEEEENSD_19counting_iterator_tIlEES8_S8_S8_S8_S8_S8_S8_S8_EEEEPS9_S9_NSD_9__find_if7functorIS9_EEEE10hipError_tPvRmT1_T2_T3_mT4_P12ihipStream_tbEUlT_E1_NS1_11comp_targetILNS1_3genE10ELNS1_11target_archE1200ELNS1_3gpuE4ELNS1_3repE0EEENS1_30default_config_static_selectorELNS0_4arch9wavefront6targetE1EEEvS14_
                                        ; -- End function
	.set _ZN7rocprim17ROCPRIM_400000_NS6detail17trampoline_kernelINS0_14default_configENS1_22reduce_config_selectorIN6thrust23THRUST_200600_302600_NS5tupleIblNS6_9null_typeES8_S8_S8_S8_S8_S8_S8_EEEEZNS1_11reduce_implILb1ES3_NS6_12zip_iteratorINS7_INS6_11hip_rocprim26transform_input_iterator_tIbNSD_35transform_pair_of_input_iterators_tIbNS6_6detail15normal_iteratorINS6_10device_ptrIKjEEEESL_NS6_8equal_toIjEEEENSG_9not_fun_tINSD_8identityEEEEENSD_19counting_iterator_tIlEES8_S8_S8_S8_S8_S8_S8_S8_EEEEPS9_S9_NSD_9__find_if7functorIS9_EEEE10hipError_tPvRmT1_T2_T3_mT4_P12ihipStream_tbEUlT_E1_NS1_11comp_targetILNS1_3genE10ELNS1_11target_archE1200ELNS1_3gpuE4ELNS1_3repE0EEENS1_30default_config_static_selectorELNS0_4arch9wavefront6targetE1EEEvS14_.num_vgpr, 0
	.set _ZN7rocprim17ROCPRIM_400000_NS6detail17trampoline_kernelINS0_14default_configENS1_22reduce_config_selectorIN6thrust23THRUST_200600_302600_NS5tupleIblNS6_9null_typeES8_S8_S8_S8_S8_S8_S8_EEEEZNS1_11reduce_implILb1ES3_NS6_12zip_iteratorINS7_INS6_11hip_rocprim26transform_input_iterator_tIbNSD_35transform_pair_of_input_iterators_tIbNS6_6detail15normal_iteratorINS6_10device_ptrIKjEEEESL_NS6_8equal_toIjEEEENSG_9not_fun_tINSD_8identityEEEEENSD_19counting_iterator_tIlEES8_S8_S8_S8_S8_S8_S8_S8_EEEEPS9_S9_NSD_9__find_if7functorIS9_EEEE10hipError_tPvRmT1_T2_T3_mT4_P12ihipStream_tbEUlT_E1_NS1_11comp_targetILNS1_3genE10ELNS1_11target_archE1200ELNS1_3gpuE4ELNS1_3repE0EEENS1_30default_config_static_selectorELNS0_4arch9wavefront6targetE1EEEvS14_.num_agpr, 0
	.set _ZN7rocprim17ROCPRIM_400000_NS6detail17trampoline_kernelINS0_14default_configENS1_22reduce_config_selectorIN6thrust23THRUST_200600_302600_NS5tupleIblNS6_9null_typeES8_S8_S8_S8_S8_S8_S8_EEEEZNS1_11reduce_implILb1ES3_NS6_12zip_iteratorINS7_INS6_11hip_rocprim26transform_input_iterator_tIbNSD_35transform_pair_of_input_iterators_tIbNS6_6detail15normal_iteratorINS6_10device_ptrIKjEEEESL_NS6_8equal_toIjEEEENSG_9not_fun_tINSD_8identityEEEEENSD_19counting_iterator_tIlEES8_S8_S8_S8_S8_S8_S8_S8_EEEEPS9_S9_NSD_9__find_if7functorIS9_EEEE10hipError_tPvRmT1_T2_T3_mT4_P12ihipStream_tbEUlT_E1_NS1_11comp_targetILNS1_3genE10ELNS1_11target_archE1200ELNS1_3gpuE4ELNS1_3repE0EEENS1_30default_config_static_selectorELNS0_4arch9wavefront6targetE1EEEvS14_.numbered_sgpr, 0
	.set _ZN7rocprim17ROCPRIM_400000_NS6detail17trampoline_kernelINS0_14default_configENS1_22reduce_config_selectorIN6thrust23THRUST_200600_302600_NS5tupleIblNS6_9null_typeES8_S8_S8_S8_S8_S8_S8_EEEEZNS1_11reduce_implILb1ES3_NS6_12zip_iteratorINS7_INS6_11hip_rocprim26transform_input_iterator_tIbNSD_35transform_pair_of_input_iterators_tIbNS6_6detail15normal_iteratorINS6_10device_ptrIKjEEEESL_NS6_8equal_toIjEEEENSG_9not_fun_tINSD_8identityEEEEENSD_19counting_iterator_tIlEES8_S8_S8_S8_S8_S8_S8_S8_EEEEPS9_S9_NSD_9__find_if7functorIS9_EEEE10hipError_tPvRmT1_T2_T3_mT4_P12ihipStream_tbEUlT_E1_NS1_11comp_targetILNS1_3genE10ELNS1_11target_archE1200ELNS1_3gpuE4ELNS1_3repE0EEENS1_30default_config_static_selectorELNS0_4arch9wavefront6targetE1EEEvS14_.num_named_barrier, 0
	.set _ZN7rocprim17ROCPRIM_400000_NS6detail17trampoline_kernelINS0_14default_configENS1_22reduce_config_selectorIN6thrust23THRUST_200600_302600_NS5tupleIblNS6_9null_typeES8_S8_S8_S8_S8_S8_S8_EEEEZNS1_11reduce_implILb1ES3_NS6_12zip_iteratorINS7_INS6_11hip_rocprim26transform_input_iterator_tIbNSD_35transform_pair_of_input_iterators_tIbNS6_6detail15normal_iteratorINS6_10device_ptrIKjEEEESL_NS6_8equal_toIjEEEENSG_9not_fun_tINSD_8identityEEEEENSD_19counting_iterator_tIlEES8_S8_S8_S8_S8_S8_S8_S8_EEEEPS9_S9_NSD_9__find_if7functorIS9_EEEE10hipError_tPvRmT1_T2_T3_mT4_P12ihipStream_tbEUlT_E1_NS1_11comp_targetILNS1_3genE10ELNS1_11target_archE1200ELNS1_3gpuE4ELNS1_3repE0EEENS1_30default_config_static_selectorELNS0_4arch9wavefront6targetE1EEEvS14_.private_seg_size, 0
	.set _ZN7rocprim17ROCPRIM_400000_NS6detail17trampoline_kernelINS0_14default_configENS1_22reduce_config_selectorIN6thrust23THRUST_200600_302600_NS5tupleIblNS6_9null_typeES8_S8_S8_S8_S8_S8_S8_EEEEZNS1_11reduce_implILb1ES3_NS6_12zip_iteratorINS7_INS6_11hip_rocprim26transform_input_iterator_tIbNSD_35transform_pair_of_input_iterators_tIbNS6_6detail15normal_iteratorINS6_10device_ptrIKjEEEESL_NS6_8equal_toIjEEEENSG_9not_fun_tINSD_8identityEEEEENSD_19counting_iterator_tIlEES8_S8_S8_S8_S8_S8_S8_S8_EEEEPS9_S9_NSD_9__find_if7functorIS9_EEEE10hipError_tPvRmT1_T2_T3_mT4_P12ihipStream_tbEUlT_E1_NS1_11comp_targetILNS1_3genE10ELNS1_11target_archE1200ELNS1_3gpuE4ELNS1_3repE0EEENS1_30default_config_static_selectorELNS0_4arch9wavefront6targetE1EEEvS14_.uses_vcc, 0
	.set _ZN7rocprim17ROCPRIM_400000_NS6detail17trampoline_kernelINS0_14default_configENS1_22reduce_config_selectorIN6thrust23THRUST_200600_302600_NS5tupleIblNS6_9null_typeES8_S8_S8_S8_S8_S8_S8_EEEEZNS1_11reduce_implILb1ES3_NS6_12zip_iteratorINS7_INS6_11hip_rocprim26transform_input_iterator_tIbNSD_35transform_pair_of_input_iterators_tIbNS6_6detail15normal_iteratorINS6_10device_ptrIKjEEEESL_NS6_8equal_toIjEEEENSG_9not_fun_tINSD_8identityEEEEENSD_19counting_iterator_tIlEES8_S8_S8_S8_S8_S8_S8_S8_EEEEPS9_S9_NSD_9__find_if7functorIS9_EEEE10hipError_tPvRmT1_T2_T3_mT4_P12ihipStream_tbEUlT_E1_NS1_11comp_targetILNS1_3genE10ELNS1_11target_archE1200ELNS1_3gpuE4ELNS1_3repE0EEENS1_30default_config_static_selectorELNS0_4arch9wavefront6targetE1EEEvS14_.uses_flat_scratch, 0
	.set _ZN7rocprim17ROCPRIM_400000_NS6detail17trampoline_kernelINS0_14default_configENS1_22reduce_config_selectorIN6thrust23THRUST_200600_302600_NS5tupleIblNS6_9null_typeES8_S8_S8_S8_S8_S8_S8_EEEEZNS1_11reduce_implILb1ES3_NS6_12zip_iteratorINS7_INS6_11hip_rocprim26transform_input_iterator_tIbNSD_35transform_pair_of_input_iterators_tIbNS6_6detail15normal_iteratorINS6_10device_ptrIKjEEEESL_NS6_8equal_toIjEEEENSG_9not_fun_tINSD_8identityEEEEENSD_19counting_iterator_tIlEES8_S8_S8_S8_S8_S8_S8_S8_EEEEPS9_S9_NSD_9__find_if7functorIS9_EEEE10hipError_tPvRmT1_T2_T3_mT4_P12ihipStream_tbEUlT_E1_NS1_11comp_targetILNS1_3genE10ELNS1_11target_archE1200ELNS1_3gpuE4ELNS1_3repE0EEENS1_30default_config_static_selectorELNS0_4arch9wavefront6targetE1EEEvS14_.has_dyn_sized_stack, 0
	.set _ZN7rocprim17ROCPRIM_400000_NS6detail17trampoline_kernelINS0_14default_configENS1_22reduce_config_selectorIN6thrust23THRUST_200600_302600_NS5tupleIblNS6_9null_typeES8_S8_S8_S8_S8_S8_S8_EEEEZNS1_11reduce_implILb1ES3_NS6_12zip_iteratorINS7_INS6_11hip_rocprim26transform_input_iterator_tIbNSD_35transform_pair_of_input_iterators_tIbNS6_6detail15normal_iteratorINS6_10device_ptrIKjEEEESL_NS6_8equal_toIjEEEENSG_9not_fun_tINSD_8identityEEEEENSD_19counting_iterator_tIlEES8_S8_S8_S8_S8_S8_S8_S8_EEEEPS9_S9_NSD_9__find_if7functorIS9_EEEE10hipError_tPvRmT1_T2_T3_mT4_P12ihipStream_tbEUlT_E1_NS1_11comp_targetILNS1_3genE10ELNS1_11target_archE1200ELNS1_3gpuE4ELNS1_3repE0EEENS1_30default_config_static_selectorELNS0_4arch9wavefront6targetE1EEEvS14_.has_recursion, 0
	.set _ZN7rocprim17ROCPRIM_400000_NS6detail17trampoline_kernelINS0_14default_configENS1_22reduce_config_selectorIN6thrust23THRUST_200600_302600_NS5tupleIblNS6_9null_typeES8_S8_S8_S8_S8_S8_S8_EEEEZNS1_11reduce_implILb1ES3_NS6_12zip_iteratorINS7_INS6_11hip_rocprim26transform_input_iterator_tIbNSD_35transform_pair_of_input_iterators_tIbNS6_6detail15normal_iteratorINS6_10device_ptrIKjEEEESL_NS6_8equal_toIjEEEENSG_9not_fun_tINSD_8identityEEEEENSD_19counting_iterator_tIlEES8_S8_S8_S8_S8_S8_S8_S8_EEEEPS9_S9_NSD_9__find_if7functorIS9_EEEE10hipError_tPvRmT1_T2_T3_mT4_P12ihipStream_tbEUlT_E1_NS1_11comp_targetILNS1_3genE10ELNS1_11target_archE1200ELNS1_3gpuE4ELNS1_3repE0EEENS1_30default_config_static_selectorELNS0_4arch9wavefront6targetE1EEEvS14_.has_indirect_call, 0
	.section	.AMDGPU.csdata,"",@progbits
; Kernel info:
; codeLenInByte = 0
; TotalNumSgprs: 6
; NumVgprs: 0
; NumAgprs: 0
; TotalNumVgprs: 0
; ScratchSize: 0
; MemoryBound: 0
; FloatMode: 240
; IeeeMode: 1
; LDSByteSize: 0 bytes/workgroup (compile time only)
; SGPRBlocks: 0
; VGPRBlocks: 0
; NumSGPRsForWavesPerEU: 6
; NumVGPRsForWavesPerEU: 1
; AccumOffset: 4
; Occupancy: 8
; WaveLimiterHint : 0
; COMPUTE_PGM_RSRC2:SCRATCH_EN: 0
; COMPUTE_PGM_RSRC2:USER_SGPR: 2
; COMPUTE_PGM_RSRC2:TRAP_HANDLER: 0
; COMPUTE_PGM_RSRC2:TGID_X_EN: 1
; COMPUTE_PGM_RSRC2:TGID_Y_EN: 0
; COMPUTE_PGM_RSRC2:TGID_Z_EN: 0
; COMPUTE_PGM_RSRC2:TIDIG_COMP_CNT: 0
; COMPUTE_PGM_RSRC3_GFX90A:ACCUM_OFFSET: 0
; COMPUTE_PGM_RSRC3_GFX90A:TG_SPLIT: 0
	.section	.text._ZN7rocprim17ROCPRIM_400000_NS6detail17trampoline_kernelINS0_14default_configENS1_22reduce_config_selectorIN6thrust23THRUST_200600_302600_NS5tupleIblNS6_9null_typeES8_S8_S8_S8_S8_S8_S8_EEEEZNS1_11reduce_implILb1ES3_NS6_12zip_iteratorINS7_INS6_11hip_rocprim26transform_input_iterator_tIbNSD_35transform_pair_of_input_iterators_tIbNS6_6detail15normal_iteratorINS6_10device_ptrIKjEEEESL_NS6_8equal_toIjEEEENSG_9not_fun_tINSD_8identityEEEEENSD_19counting_iterator_tIlEES8_S8_S8_S8_S8_S8_S8_S8_EEEEPS9_S9_NSD_9__find_if7functorIS9_EEEE10hipError_tPvRmT1_T2_T3_mT4_P12ihipStream_tbEUlT_E1_NS1_11comp_targetILNS1_3genE9ELNS1_11target_archE1100ELNS1_3gpuE3ELNS1_3repE0EEENS1_30default_config_static_selectorELNS0_4arch9wavefront6targetE1EEEvS14_,"axG",@progbits,_ZN7rocprim17ROCPRIM_400000_NS6detail17trampoline_kernelINS0_14default_configENS1_22reduce_config_selectorIN6thrust23THRUST_200600_302600_NS5tupleIblNS6_9null_typeES8_S8_S8_S8_S8_S8_S8_EEEEZNS1_11reduce_implILb1ES3_NS6_12zip_iteratorINS7_INS6_11hip_rocprim26transform_input_iterator_tIbNSD_35transform_pair_of_input_iterators_tIbNS6_6detail15normal_iteratorINS6_10device_ptrIKjEEEESL_NS6_8equal_toIjEEEENSG_9not_fun_tINSD_8identityEEEEENSD_19counting_iterator_tIlEES8_S8_S8_S8_S8_S8_S8_S8_EEEEPS9_S9_NSD_9__find_if7functorIS9_EEEE10hipError_tPvRmT1_T2_T3_mT4_P12ihipStream_tbEUlT_E1_NS1_11comp_targetILNS1_3genE9ELNS1_11target_archE1100ELNS1_3gpuE3ELNS1_3repE0EEENS1_30default_config_static_selectorELNS0_4arch9wavefront6targetE1EEEvS14_,comdat
	.protected	_ZN7rocprim17ROCPRIM_400000_NS6detail17trampoline_kernelINS0_14default_configENS1_22reduce_config_selectorIN6thrust23THRUST_200600_302600_NS5tupleIblNS6_9null_typeES8_S8_S8_S8_S8_S8_S8_EEEEZNS1_11reduce_implILb1ES3_NS6_12zip_iteratorINS7_INS6_11hip_rocprim26transform_input_iterator_tIbNSD_35transform_pair_of_input_iterators_tIbNS6_6detail15normal_iteratorINS6_10device_ptrIKjEEEESL_NS6_8equal_toIjEEEENSG_9not_fun_tINSD_8identityEEEEENSD_19counting_iterator_tIlEES8_S8_S8_S8_S8_S8_S8_S8_EEEEPS9_S9_NSD_9__find_if7functorIS9_EEEE10hipError_tPvRmT1_T2_T3_mT4_P12ihipStream_tbEUlT_E1_NS1_11comp_targetILNS1_3genE9ELNS1_11target_archE1100ELNS1_3gpuE3ELNS1_3repE0EEENS1_30default_config_static_selectorELNS0_4arch9wavefront6targetE1EEEvS14_ ; -- Begin function _ZN7rocprim17ROCPRIM_400000_NS6detail17trampoline_kernelINS0_14default_configENS1_22reduce_config_selectorIN6thrust23THRUST_200600_302600_NS5tupleIblNS6_9null_typeES8_S8_S8_S8_S8_S8_S8_EEEEZNS1_11reduce_implILb1ES3_NS6_12zip_iteratorINS7_INS6_11hip_rocprim26transform_input_iterator_tIbNSD_35transform_pair_of_input_iterators_tIbNS6_6detail15normal_iteratorINS6_10device_ptrIKjEEEESL_NS6_8equal_toIjEEEENSG_9not_fun_tINSD_8identityEEEEENSD_19counting_iterator_tIlEES8_S8_S8_S8_S8_S8_S8_S8_EEEEPS9_S9_NSD_9__find_if7functorIS9_EEEE10hipError_tPvRmT1_T2_T3_mT4_P12ihipStream_tbEUlT_E1_NS1_11comp_targetILNS1_3genE9ELNS1_11target_archE1100ELNS1_3gpuE3ELNS1_3repE0EEENS1_30default_config_static_selectorELNS0_4arch9wavefront6targetE1EEEvS14_
	.globl	_ZN7rocprim17ROCPRIM_400000_NS6detail17trampoline_kernelINS0_14default_configENS1_22reduce_config_selectorIN6thrust23THRUST_200600_302600_NS5tupleIblNS6_9null_typeES8_S8_S8_S8_S8_S8_S8_EEEEZNS1_11reduce_implILb1ES3_NS6_12zip_iteratorINS7_INS6_11hip_rocprim26transform_input_iterator_tIbNSD_35transform_pair_of_input_iterators_tIbNS6_6detail15normal_iteratorINS6_10device_ptrIKjEEEESL_NS6_8equal_toIjEEEENSG_9not_fun_tINSD_8identityEEEEENSD_19counting_iterator_tIlEES8_S8_S8_S8_S8_S8_S8_S8_EEEEPS9_S9_NSD_9__find_if7functorIS9_EEEE10hipError_tPvRmT1_T2_T3_mT4_P12ihipStream_tbEUlT_E1_NS1_11comp_targetILNS1_3genE9ELNS1_11target_archE1100ELNS1_3gpuE3ELNS1_3repE0EEENS1_30default_config_static_selectorELNS0_4arch9wavefront6targetE1EEEvS14_
	.p2align	8
	.type	_ZN7rocprim17ROCPRIM_400000_NS6detail17trampoline_kernelINS0_14default_configENS1_22reduce_config_selectorIN6thrust23THRUST_200600_302600_NS5tupleIblNS6_9null_typeES8_S8_S8_S8_S8_S8_S8_EEEEZNS1_11reduce_implILb1ES3_NS6_12zip_iteratorINS7_INS6_11hip_rocprim26transform_input_iterator_tIbNSD_35transform_pair_of_input_iterators_tIbNS6_6detail15normal_iteratorINS6_10device_ptrIKjEEEESL_NS6_8equal_toIjEEEENSG_9not_fun_tINSD_8identityEEEEENSD_19counting_iterator_tIlEES8_S8_S8_S8_S8_S8_S8_S8_EEEEPS9_S9_NSD_9__find_if7functorIS9_EEEE10hipError_tPvRmT1_T2_T3_mT4_P12ihipStream_tbEUlT_E1_NS1_11comp_targetILNS1_3genE9ELNS1_11target_archE1100ELNS1_3gpuE3ELNS1_3repE0EEENS1_30default_config_static_selectorELNS0_4arch9wavefront6targetE1EEEvS14_,@function
_ZN7rocprim17ROCPRIM_400000_NS6detail17trampoline_kernelINS0_14default_configENS1_22reduce_config_selectorIN6thrust23THRUST_200600_302600_NS5tupleIblNS6_9null_typeES8_S8_S8_S8_S8_S8_S8_EEEEZNS1_11reduce_implILb1ES3_NS6_12zip_iteratorINS7_INS6_11hip_rocprim26transform_input_iterator_tIbNSD_35transform_pair_of_input_iterators_tIbNS6_6detail15normal_iteratorINS6_10device_ptrIKjEEEESL_NS6_8equal_toIjEEEENSG_9not_fun_tINSD_8identityEEEEENSD_19counting_iterator_tIlEES8_S8_S8_S8_S8_S8_S8_S8_EEEEPS9_S9_NSD_9__find_if7functorIS9_EEEE10hipError_tPvRmT1_T2_T3_mT4_P12ihipStream_tbEUlT_E1_NS1_11comp_targetILNS1_3genE9ELNS1_11target_archE1100ELNS1_3gpuE3ELNS1_3repE0EEENS1_30default_config_static_selectorELNS0_4arch9wavefront6targetE1EEEvS14_: ; @_ZN7rocprim17ROCPRIM_400000_NS6detail17trampoline_kernelINS0_14default_configENS1_22reduce_config_selectorIN6thrust23THRUST_200600_302600_NS5tupleIblNS6_9null_typeES8_S8_S8_S8_S8_S8_S8_EEEEZNS1_11reduce_implILb1ES3_NS6_12zip_iteratorINS7_INS6_11hip_rocprim26transform_input_iterator_tIbNSD_35transform_pair_of_input_iterators_tIbNS6_6detail15normal_iteratorINS6_10device_ptrIKjEEEESL_NS6_8equal_toIjEEEENSG_9not_fun_tINSD_8identityEEEEENSD_19counting_iterator_tIlEES8_S8_S8_S8_S8_S8_S8_S8_EEEEPS9_S9_NSD_9__find_if7functorIS9_EEEE10hipError_tPvRmT1_T2_T3_mT4_P12ihipStream_tbEUlT_E1_NS1_11comp_targetILNS1_3genE9ELNS1_11target_archE1100ELNS1_3gpuE3ELNS1_3repE0EEENS1_30default_config_static_selectorELNS0_4arch9wavefront6targetE1EEEvS14_
; %bb.0:
	.section	.rodata,"a",@progbits
	.p2align	6, 0x0
	.amdhsa_kernel _ZN7rocprim17ROCPRIM_400000_NS6detail17trampoline_kernelINS0_14default_configENS1_22reduce_config_selectorIN6thrust23THRUST_200600_302600_NS5tupleIblNS6_9null_typeES8_S8_S8_S8_S8_S8_S8_EEEEZNS1_11reduce_implILb1ES3_NS6_12zip_iteratorINS7_INS6_11hip_rocprim26transform_input_iterator_tIbNSD_35transform_pair_of_input_iterators_tIbNS6_6detail15normal_iteratorINS6_10device_ptrIKjEEEESL_NS6_8equal_toIjEEEENSG_9not_fun_tINSD_8identityEEEEENSD_19counting_iterator_tIlEES8_S8_S8_S8_S8_S8_S8_S8_EEEEPS9_S9_NSD_9__find_if7functorIS9_EEEE10hipError_tPvRmT1_T2_T3_mT4_P12ihipStream_tbEUlT_E1_NS1_11comp_targetILNS1_3genE9ELNS1_11target_archE1100ELNS1_3gpuE3ELNS1_3repE0EEENS1_30default_config_static_selectorELNS0_4arch9wavefront6targetE1EEEvS14_
		.amdhsa_group_segment_fixed_size 0
		.amdhsa_private_segment_fixed_size 0
		.amdhsa_kernarg_size 88
		.amdhsa_user_sgpr_count 2
		.amdhsa_user_sgpr_dispatch_ptr 0
		.amdhsa_user_sgpr_queue_ptr 0
		.amdhsa_user_sgpr_kernarg_segment_ptr 1
		.amdhsa_user_sgpr_dispatch_id 0
		.amdhsa_user_sgpr_kernarg_preload_length 0
		.amdhsa_user_sgpr_kernarg_preload_offset 0
		.amdhsa_user_sgpr_private_segment_size 0
		.amdhsa_uses_dynamic_stack 0
		.amdhsa_enable_private_segment 0
		.amdhsa_system_sgpr_workgroup_id_x 1
		.amdhsa_system_sgpr_workgroup_id_y 0
		.amdhsa_system_sgpr_workgroup_id_z 0
		.amdhsa_system_sgpr_workgroup_info 0
		.amdhsa_system_vgpr_workitem_id 0
		.amdhsa_next_free_vgpr 1
		.amdhsa_next_free_sgpr 0
		.amdhsa_accum_offset 4
		.amdhsa_reserve_vcc 0
		.amdhsa_float_round_mode_32 0
		.amdhsa_float_round_mode_16_64 0
		.amdhsa_float_denorm_mode_32 3
		.amdhsa_float_denorm_mode_16_64 3
		.amdhsa_dx10_clamp 1
		.amdhsa_ieee_mode 1
		.amdhsa_fp16_overflow 0
		.amdhsa_tg_split 0
		.amdhsa_exception_fp_ieee_invalid_op 0
		.amdhsa_exception_fp_denorm_src 0
		.amdhsa_exception_fp_ieee_div_zero 0
		.amdhsa_exception_fp_ieee_overflow 0
		.amdhsa_exception_fp_ieee_underflow 0
		.amdhsa_exception_fp_ieee_inexact 0
		.amdhsa_exception_int_div_zero 0
	.end_amdhsa_kernel
	.section	.text._ZN7rocprim17ROCPRIM_400000_NS6detail17trampoline_kernelINS0_14default_configENS1_22reduce_config_selectorIN6thrust23THRUST_200600_302600_NS5tupleIblNS6_9null_typeES8_S8_S8_S8_S8_S8_S8_EEEEZNS1_11reduce_implILb1ES3_NS6_12zip_iteratorINS7_INS6_11hip_rocprim26transform_input_iterator_tIbNSD_35transform_pair_of_input_iterators_tIbNS6_6detail15normal_iteratorINS6_10device_ptrIKjEEEESL_NS6_8equal_toIjEEEENSG_9not_fun_tINSD_8identityEEEEENSD_19counting_iterator_tIlEES8_S8_S8_S8_S8_S8_S8_S8_EEEEPS9_S9_NSD_9__find_if7functorIS9_EEEE10hipError_tPvRmT1_T2_T3_mT4_P12ihipStream_tbEUlT_E1_NS1_11comp_targetILNS1_3genE9ELNS1_11target_archE1100ELNS1_3gpuE3ELNS1_3repE0EEENS1_30default_config_static_selectorELNS0_4arch9wavefront6targetE1EEEvS14_,"axG",@progbits,_ZN7rocprim17ROCPRIM_400000_NS6detail17trampoline_kernelINS0_14default_configENS1_22reduce_config_selectorIN6thrust23THRUST_200600_302600_NS5tupleIblNS6_9null_typeES8_S8_S8_S8_S8_S8_S8_EEEEZNS1_11reduce_implILb1ES3_NS6_12zip_iteratorINS7_INS6_11hip_rocprim26transform_input_iterator_tIbNSD_35transform_pair_of_input_iterators_tIbNS6_6detail15normal_iteratorINS6_10device_ptrIKjEEEESL_NS6_8equal_toIjEEEENSG_9not_fun_tINSD_8identityEEEEENSD_19counting_iterator_tIlEES8_S8_S8_S8_S8_S8_S8_S8_EEEEPS9_S9_NSD_9__find_if7functorIS9_EEEE10hipError_tPvRmT1_T2_T3_mT4_P12ihipStream_tbEUlT_E1_NS1_11comp_targetILNS1_3genE9ELNS1_11target_archE1100ELNS1_3gpuE3ELNS1_3repE0EEENS1_30default_config_static_selectorELNS0_4arch9wavefront6targetE1EEEvS14_,comdat
.Lfunc_end821:
	.size	_ZN7rocprim17ROCPRIM_400000_NS6detail17trampoline_kernelINS0_14default_configENS1_22reduce_config_selectorIN6thrust23THRUST_200600_302600_NS5tupleIblNS6_9null_typeES8_S8_S8_S8_S8_S8_S8_EEEEZNS1_11reduce_implILb1ES3_NS6_12zip_iteratorINS7_INS6_11hip_rocprim26transform_input_iterator_tIbNSD_35transform_pair_of_input_iterators_tIbNS6_6detail15normal_iteratorINS6_10device_ptrIKjEEEESL_NS6_8equal_toIjEEEENSG_9not_fun_tINSD_8identityEEEEENSD_19counting_iterator_tIlEES8_S8_S8_S8_S8_S8_S8_S8_EEEEPS9_S9_NSD_9__find_if7functorIS9_EEEE10hipError_tPvRmT1_T2_T3_mT4_P12ihipStream_tbEUlT_E1_NS1_11comp_targetILNS1_3genE9ELNS1_11target_archE1100ELNS1_3gpuE3ELNS1_3repE0EEENS1_30default_config_static_selectorELNS0_4arch9wavefront6targetE1EEEvS14_, .Lfunc_end821-_ZN7rocprim17ROCPRIM_400000_NS6detail17trampoline_kernelINS0_14default_configENS1_22reduce_config_selectorIN6thrust23THRUST_200600_302600_NS5tupleIblNS6_9null_typeES8_S8_S8_S8_S8_S8_S8_EEEEZNS1_11reduce_implILb1ES3_NS6_12zip_iteratorINS7_INS6_11hip_rocprim26transform_input_iterator_tIbNSD_35transform_pair_of_input_iterators_tIbNS6_6detail15normal_iteratorINS6_10device_ptrIKjEEEESL_NS6_8equal_toIjEEEENSG_9not_fun_tINSD_8identityEEEEENSD_19counting_iterator_tIlEES8_S8_S8_S8_S8_S8_S8_S8_EEEEPS9_S9_NSD_9__find_if7functorIS9_EEEE10hipError_tPvRmT1_T2_T3_mT4_P12ihipStream_tbEUlT_E1_NS1_11comp_targetILNS1_3genE9ELNS1_11target_archE1100ELNS1_3gpuE3ELNS1_3repE0EEENS1_30default_config_static_selectorELNS0_4arch9wavefront6targetE1EEEvS14_
                                        ; -- End function
	.set _ZN7rocprim17ROCPRIM_400000_NS6detail17trampoline_kernelINS0_14default_configENS1_22reduce_config_selectorIN6thrust23THRUST_200600_302600_NS5tupleIblNS6_9null_typeES8_S8_S8_S8_S8_S8_S8_EEEEZNS1_11reduce_implILb1ES3_NS6_12zip_iteratorINS7_INS6_11hip_rocprim26transform_input_iterator_tIbNSD_35transform_pair_of_input_iterators_tIbNS6_6detail15normal_iteratorINS6_10device_ptrIKjEEEESL_NS6_8equal_toIjEEEENSG_9not_fun_tINSD_8identityEEEEENSD_19counting_iterator_tIlEES8_S8_S8_S8_S8_S8_S8_S8_EEEEPS9_S9_NSD_9__find_if7functorIS9_EEEE10hipError_tPvRmT1_T2_T3_mT4_P12ihipStream_tbEUlT_E1_NS1_11comp_targetILNS1_3genE9ELNS1_11target_archE1100ELNS1_3gpuE3ELNS1_3repE0EEENS1_30default_config_static_selectorELNS0_4arch9wavefront6targetE1EEEvS14_.num_vgpr, 0
	.set _ZN7rocprim17ROCPRIM_400000_NS6detail17trampoline_kernelINS0_14default_configENS1_22reduce_config_selectorIN6thrust23THRUST_200600_302600_NS5tupleIblNS6_9null_typeES8_S8_S8_S8_S8_S8_S8_EEEEZNS1_11reduce_implILb1ES3_NS6_12zip_iteratorINS7_INS6_11hip_rocprim26transform_input_iterator_tIbNSD_35transform_pair_of_input_iterators_tIbNS6_6detail15normal_iteratorINS6_10device_ptrIKjEEEESL_NS6_8equal_toIjEEEENSG_9not_fun_tINSD_8identityEEEEENSD_19counting_iterator_tIlEES8_S8_S8_S8_S8_S8_S8_S8_EEEEPS9_S9_NSD_9__find_if7functorIS9_EEEE10hipError_tPvRmT1_T2_T3_mT4_P12ihipStream_tbEUlT_E1_NS1_11comp_targetILNS1_3genE9ELNS1_11target_archE1100ELNS1_3gpuE3ELNS1_3repE0EEENS1_30default_config_static_selectorELNS0_4arch9wavefront6targetE1EEEvS14_.num_agpr, 0
	.set _ZN7rocprim17ROCPRIM_400000_NS6detail17trampoline_kernelINS0_14default_configENS1_22reduce_config_selectorIN6thrust23THRUST_200600_302600_NS5tupleIblNS6_9null_typeES8_S8_S8_S8_S8_S8_S8_EEEEZNS1_11reduce_implILb1ES3_NS6_12zip_iteratorINS7_INS6_11hip_rocprim26transform_input_iterator_tIbNSD_35transform_pair_of_input_iterators_tIbNS6_6detail15normal_iteratorINS6_10device_ptrIKjEEEESL_NS6_8equal_toIjEEEENSG_9not_fun_tINSD_8identityEEEEENSD_19counting_iterator_tIlEES8_S8_S8_S8_S8_S8_S8_S8_EEEEPS9_S9_NSD_9__find_if7functorIS9_EEEE10hipError_tPvRmT1_T2_T3_mT4_P12ihipStream_tbEUlT_E1_NS1_11comp_targetILNS1_3genE9ELNS1_11target_archE1100ELNS1_3gpuE3ELNS1_3repE0EEENS1_30default_config_static_selectorELNS0_4arch9wavefront6targetE1EEEvS14_.numbered_sgpr, 0
	.set _ZN7rocprim17ROCPRIM_400000_NS6detail17trampoline_kernelINS0_14default_configENS1_22reduce_config_selectorIN6thrust23THRUST_200600_302600_NS5tupleIblNS6_9null_typeES8_S8_S8_S8_S8_S8_S8_EEEEZNS1_11reduce_implILb1ES3_NS6_12zip_iteratorINS7_INS6_11hip_rocprim26transform_input_iterator_tIbNSD_35transform_pair_of_input_iterators_tIbNS6_6detail15normal_iteratorINS6_10device_ptrIKjEEEESL_NS6_8equal_toIjEEEENSG_9not_fun_tINSD_8identityEEEEENSD_19counting_iterator_tIlEES8_S8_S8_S8_S8_S8_S8_S8_EEEEPS9_S9_NSD_9__find_if7functorIS9_EEEE10hipError_tPvRmT1_T2_T3_mT4_P12ihipStream_tbEUlT_E1_NS1_11comp_targetILNS1_3genE9ELNS1_11target_archE1100ELNS1_3gpuE3ELNS1_3repE0EEENS1_30default_config_static_selectorELNS0_4arch9wavefront6targetE1EEEvS14_.num_named_barrier, 0
	.set _ZN7rocprim17ROCPRIM_400000_NS6detail17trampoline_kernelINS0_14default_configENS1_22reduce_config_selectorIN6thrust23THRUST_200600_302600_NS5tupleIblNS6_9null_typeES8_S8_S8_S8_S8_S8_S8_EEEEZNS1_11reduce_implILb1ES3_NS6_12zip_iteratorINS7_INS6_11hip_rocprim26transform_input_iterator_tIbNSD_35transform_pair_of_input_iterators_tIbNS6_6detail15normal_iteratorINS6_10device_ptrIKjEEEESL_NS6_8equal_toIjEEEENSG_9not_fun_tINSD_8identityEEEEENSD_19counting_iterator_tIlEES8_S8_S8_S8_S8_S8_S8_S8_EEEEPS9_S9_NSD_9__find_if7functorIS9_EEEE10hipError_tPvRmT1_T2_T3_mT4_P12ihipStream_tbEUlT_E1_NS1_11comp_targetILNS1_3genE9ELNS1_11target_archE1100ELNS1_3gpuE3ELNS1_3repE0EEENS1_30default_config_static_selectorELNS0_4arch9wavefront6targetE1EEEvS14_.private_seg_size, 0
	.set _ZN7rocprim17ROCPRIM_400000_NS6detail17trampoline_kernelINS0_14default_configENS1_22reduce_config_selectorIN6thrust23THRUST_200600_302600_NS5tupleIblNS6_9null_typeES8_S8_S8_S8_S8_S8_S8_EEEEZNS1_11reduce_implILb1ES3_NS6_12zip_iteratorINS7_INS6_11hip_rocprim26transform_input_iterator_tIbNSD_35transform_pair_of_input_iterators_tIbNS6_6detail15normal_iteratorINS6_10device_ptrIKjEEEESL_NS6_8equal_toIjEEEENSG_9not_fun_tINSD_8identityEEEEENSD_19counting_iterator_tIlEES8_S8_S8_S8_S8_S8_S8_S8_EEEEPS9_S9_NSD_9__find_if7functorIS9_EEEE10hipError_tPvRmT1_T2_T3_mT4_P12ihipStream_tbEUlT_E1_NS1_11comp_targetILNS1_3genE9ELNS1_11target_archE1100ELNS1_3gpuE3ELNS1_3repE0EEENS1_30default_config_static_selectorELNS0_4arch9wavefront6targetE1EEEvS14_.uses_vcc, 0
	.set _ZN7rocprim17ROCPRIM_400000_NS6detail17trampoline_kernelINS0_14default_configENS1_22reduce_config_selectorIN6thrust23THRUST_200600_302600_NS5tupleIblNS6_9null_typeES8_S8_S8_S8_S8_S8_S8_EEEEZNS1_11reduce_implILb1ES3_NS6_12zip_iteratorINS7_INS6_11hip_rocprim26transform_input_iterator_tIbNSD_35transform_pair_of_input_iterators_tIbNS6_6detail15normal_iteratorINS6_10device_ptrIKjEEEESL_NS6_8equal_toIjEEEENSG_9not_fun_tINSD_8identityEEEEENSD_19counting_iterator_tIlEES8_S8_S8_S8_S8_S8_S8_S8_EEEEPS9_S9_NSD_9__find_if7functorIS9_EEEE10hipError_tPvRmT1_T2_T3_mT4_P12ihipStream_tbEUlT_E1_NS1_11comp_targetILNS1_3genE9ELNS1_11target_archE1100ELNS1_3gpuE3ELNS1_3repE0EEENS1_30default_config_static_selectorELNS0_4arch9wavefront6targetE1EEEvS14_.uses_flat_scratch, 0
	.set _ZN7rocprim17ROCPRIM_400000_NS6detail17trampoline_kernelINS0_14default_configENS1_22reduce_config_selectorIN6thrust23THRUST_200600_302600_NS5tupleIblNS6_9null_typeES8_S8_S8_S8_S8_S8_S8_EEEEZNS1_11reduce_implILb1ES3_NS6_12zip_iteratorINS7_INS6_11hip_rocprim26transform_input_iterator_tIbNSD_35transform_pair_of_input_iterators_tIbNS6_6detail15normal_iteratorINS6_10device_ptrIKjEEEESL_NS6_8equal_toIjEEEENSG_9not_fun_tINSD_8identityEEEEENSD_19counting_iterator_tIlEES8_S8_S8_S8_S8_S8_S8_S8_EEEEPS9_S9_NSD_9__find_if7functorIS9_EEEE10hipError_tPvRmT1_T2_T3_mT4_P12ihipStream_tbEUlT_E1_NS1_11comp_targetILNS1_3genE9ELNS1_11target_archE1100ELNS1_3gpuE3ELNS1_3repE0EEENS1_30default_config_static_selectorELNS0_4arch9wavefront6targetE1EEEvS14_.has_dyn_sized_stack, 0
	.set _ZN7rocprim17ROCPRIM_400000_NS6detail17trampoline_kernelINS0_14default_configENS1_22reduce_config_selectorIN6thrust23THRUST_200600_302600_NS5tupleIblNS6_9null_typeES8_S8_S8_S8_S8_S8_S8_EEEEZNS1_11reduce_implILb1ES3_NS6_12zip_iteratorINS7_INS6_11hip_rocprim26transform_input_iterator_tIbNSD_35transform_pair_of_input_iterators_tIbNS6_6detail15normal_iteratorINS6_10device_ptrIKjEEEESL_NS6_8equal_toIjEEEENSG_9not_fun_tINSD_8identityEEEEENSD_19counting_iterator_tIlEES8_S8_S8_S8_S8_S8_S8_S8_EEEEPS9_S9_NSD_9__find_if7functorIS9_EEEE10hipError_tPvRmT1_T2_T3_mT4_P12ihipStream_tbEUlT_E1_NS1_11comp_targetILNS1_3genE9ELNS1_11target_archE1100ELNS1_3gpuE3ELNS1_3repE0EEENS1_30default_config_static_selectorELNS0_4arch9wavefront6targetE1EEEvS14_.has_recursion, 0
	.set _ZN7rocprim17ROCPRIM_400000_NS6detail17trampoline_kernelINS0_14default_configENS1_22reduce_config_selectorIN6thrust23THRUST_200600_302600_NS5tupleIblNS6_9null_typeES8_S8_S8_S8_S8_S8_S8_EEEEZNS1_11reduce_implILb1ES3_NS6_12zip_iteratorINS7_INS6_11hip_rocprim26transform_input_iterator_tIbNSD_35transform_pair_of_input_iterators_tIbNS6_6detail15normal_iteratorINS6_10device_ptrIKjEEEESL_NS6_8equal_toIjEEEENSG_9not_fun_tINSD_8identityEEEEENSD_19counting_iterator_tIlEES8_S8_S8_S8_S8_S8_S8_S8_EEEEPS9_S9_NSD_9__find_if7functorIS9_EEEE10hipError_tPvRmT1_T2_T3_mT4_P12ihipStream_tbEUlT_E1_NS1_11comp_targetILNS1_3genE9ELNS1_11target_archE1100ELNS1_3gpuE3ELNS1_3repE0EEENS1_30default_config_static_selectorELNS0_4arch9wavefront6targetE1EEEvS14_.has_indirect_call, 0
	.section	.AMDGPU.csdata,"",@progbits
; Kernel info:
; codeLenInByte = 0
; TotalNumSgprs: 6
; NumVgprs: 0
; NumAgprs: 0
; TotalNumVgprs: 0
; ScratchSize: 0
; MemoryBound: 0
; FloatMode: 240
; IeeeMode: 1
; LDSByteSize: 0 bytes/workgroup (compile time only)
; SGPRBlocks: 0
; VGPRBlocks: 0
; NumSGPRsForWavesPerEU: 6
; NumVGPRsForWavesPerEU: 1
; AccumOffset: 4
; Occupancy: 8
; WaveLimiterHint : 0
; COMPUTE_PGM_RSRC2:SCRATCH_EN: 0
; COMPUTE_PGM_RSRC2:USER_SGPR: 2
; COMPUTE_PGM_RSRC2:TRAP_HANDLER: 0
; COMPUTE_PGM_RSRC2:TGID_X_EN: 1
; COMPUTE_PGM_RSRC2:TGID_Y_EN: 0
; COMPUTE_PGM_RSRC2:TGID_Z_EN: 0
; COMPUTE_PGM_RSRC2:TIDIG_COMP_CNT: 0
; COMPUTE_PGM_RSRC3_GFX90A:ACCUM_OFFSET: 0
; COMPUTE_PGM_RSRC3_GFX90A:TG_SPLIT: 0
	.section	.text._ZN7rocprim17ROCPRIM_400000_NS6detail17trampoline_kernelINS0_14default_configENS1_22reduce_config_selectorIN6thrust23THRUST_200600_302600_NS5tupleIblNS6_9null_typeES8_S8_S8_S8_S8_S8_S8_EEEEZNS1_11reduce_implILb1ES3_NS6_12zip_iteratorINS7_INS6_11hip_rocprim26transform_input_iterator_tIbNSD_35transform_pair_of_input_iterators_tIbNS6_6detail15normal_iteratorINS6_10device_ptrIKjEEEESL_NS6_8equal_toIjEEEENSG_9not_fun_tINSD_8identityEEEEENSD_19counting_iterator_tIlEES8_S8_S8_S8_S8_S8_S8_S8_EEEEPS9_S9_NSD_9__find_if7functorIS9_EEEE10hipError_tPvRmT1_T2_T3_mT4_P12ihipStream_tbEUlT_E1_NS1_11comp_targetILNS1_3genE8ELNS1_11target_archE1030ELNS1_3gpuE2ELNS1_3repE0EEENS1_30default_config_static_selectorELNS0_4arch9wavefront6targetE1EEEvS14_,"axG",@progbits,_ZN7rocprim17ROCPRIM_400000_NS6detail17trampoline_kernelINS0_14default_configENS1_22reduce_config_selectorIN6thrust23THRUST_200600_302600_NS5tupleIblNS6_9null_typeES8_S8_S8_S8_S8_S8_S8_EEEEZNS1_11reduce_implILb1ES3_NS6_12zip_iteratorINS7_INS6_11hip_rocprim26transform_input_iterator_tIbNSD_35transform_pair_of_input_iterators_tIbNS6_6detail15normal_iteratorINS6_10device_ptrIKjEEEESL_NS6_8equal_toIjEEEENSG_9not_fun_tINSD_8identityEEEEENSD_19counting_iterator_tIlEES8_S8_S8_S8_S8_S8_S8_S8_EEEEPS9_S9_NSD_9__find_if7functorIS9_EEEE10hipError_tPvRmT1_T2_T3_mT4_P12ihipStream_tbEUlT_E1_NS1_11comp_targetILNS1_3genE8ELNS1_11target_archE1030ELNS1_3gpuE2ELNS1_3repE0EEENS1_30default_config_static_selectorELNS0_4arch9wavefront6targetE1EEEvS14_,comdat
	.protected	_ZN7rocprim17ROCPRIM_400000_NS6detail17trampoline_kernelINS0_14default_configENS1_22reduce_config_selectorIN6thrust23THRUST_200600_302600_NS5tupleIblNS6_9null_typeES8_S8_S8_S8_S8_S8_S8_EEEEZNS1_11reduce_implILb1ES3_NS6_12zip_iteratorINS7_INS6_11hip_rocprim26transform_input_iterator_tIbNSD_35transform_pair_of_input_iterators_tIbNS6_6detail15normal_iteratorINS6_10device_ptrIKjEEEESL_NS6_8equal_toIjEEEENSG_9not_fun_tINSD_8identityEEEEENSD_19counting_iterator_tIlEES8_S8_S8_S8_S8_S8_S8_S8_EEEEPS9_S9_NSD_9__find_if7functorIS9_EEEE10hipError_tPvRmT1_T2_T3_mT4_P12ihipStream_tbEUlT_E1_NS1_11comp_targetILNS1_3genE8ELNS1_11target_archE1030ELNS1_3gpuE2ELNS1_3repE0EEENS1_30default_config_static_selectorELNS0_4arch9wavefront6targetE1EEEvS14_ ; -- Begin function _ZN7rocprim17ROCPRIM_400000_NS6detail17trampoline_kernelINS0_14default_configENS1_22reduce_config_selectorIN6thrust23THRUST_200600_302600_NS5tupleIblNS6_9null_typeES8_S8_S8_S8_S8_S8_S8_EEEEZNS1_11reduce_implILb1ES3_NS6_12zip_iteratorINS7_INS6_11hip_rocprim26transform_input_iterator_tIbNSD_35transform_pair_of_input_iterators_tIbNS6_6detail15normal_iteratorINS6_10device_ptrIKjEEEESL_NS6_8equal_toIjEEEENSG_9not_fun_tINSD_8identityEEEEENSD_19counting_iterator_tIlEES8_S8_S8_S8_S8_S8_S8_S8_EEEEPS9_S9_NSD_9__find_if7functorIS9_EEEE10hipError_tPvRmT1_T2_T3_mT4_P12ihipStream_tbEUlT_E1_NS1_11comp_targetILNS1_3genE8ELNS1_11target_archE1030ELNS1_3gpuE2ELNS1_3repE0EEENS1_30default_config_static_selectorELNS0_4arch9wavefront6targetE1EEEvS14_
	.globl	_ZN7rocprim17ROCPRIM_400000_NS6detail17trampoline_kernelINS0_14default_configENS1_22reduce_config_selectorIN6thrust23THRUST_200600_302600_NS5tupleIblNS6_9null_typeES8_S8_S8_S8_S8_S8_S8_EEEEZNS1_11reduce_implILb1ES3_NS6_12zip_iteratorINS7_INS6_11hip_rocprim26transform_input_iterator_tIbNSD_35transform_pair_of_input_iterators_tIbNS6_6detail15normal_iteratorINS6_10device_ptrIKjEEEESL_NS6_8equal_toIjEEEENSG_9not_fun_tINSD_8identityEEEEENSD_19counting_iterator_tIlEES8_S8_S8_S8_S8_S8_S8_S8_EEEEPS9_S9_NSD_9__find_if7functorIS9_EEEE10hipError_tPvRmT1_T2_T3_mT4_P12ihipStream_tbEUlT_E1_NS1_11comp_targetILNS1_3genE8ELNS1_11target_archE1030ELNS1_3gpuE2ELNS1_3repE0EEENS1_30default_config_static_selectorELNS0_4arch9wavefront6targetE1EEEvS14_
	.p2align	8
	.type	_ZN7rocprim17ROCPRIM_400000_NS6detail17trampoline_kernelINS0_14default_configENS1_22reduce_config_selectorIN6thrust23THRUST_200600_302600_NS5tupleIblNS6_9null_typeES8_S8_S8_S8_S8_S8_S8_EEEEZNS1_11reduce_implILb1ES3_NS6_12zip_iteratorINS7_INS6_11hip_rocprim26transform_input_iterator_tIbNSD_35transform_pair_of_input_iterators_tIbNS6_6detail15normal_iteratorINS6_10device_ptrIKjEEEESL_NS6_8equal_toIjEEEENSG_9not_fun_tINSD_8identityEEEEENSD_19counting_iterator_tIlEES8_S8_S8_S8_S8_S8_S8_S8_EEEEPS9_S9_NSD_9__find_if7functorIS9_EEEE10hipError_tPvRmT1_T2_T3_mT4_P12ihipStream_tbEUlT_E1_NS1_11comp_targetILNS1_3genE8ELNS1_11target_archE1030ELNS1_3gpuE2ELNS1_3repE0EEENS1_30default_config_static_selectorELNS0_4arch9wavefront6targetE1EEEvS14_,@function
_ZN7rocprim17ROCPRIM_400000_NS6detail17trampoline_kernelINS0_14default_configENS1_22reduce_config_selectorIN6thrust23THRUST_200600_302600_NS5tupleIblNS6_9null_typeES8_S8_S8_S8_S8_S8_S8_EEEEZNS1_11reduce_implILb1ES3_NS6_12zip_iteratorINS7_INS6_11hip_rocprim26transform_input_iterator_tIbNSD_35transform_pair_of_input_iterators_tIbNS6_6detail15normal_iteratorINS6_10device_ptrIKjEEEESL_NS6_8equal_toIjEEEENSG_9not_fun_tINSD_8identityEEEEENSD_19counting_iterator_tIlEES8_S8_S8_S8_S8_S8_S8_S8_EEEEPS9_S9_NSD_9__find_if7functorIS9_EEEE10hipError_tPvRmT1_T2_T3_mT4_P12ihipStream_tbEUlT_E1_NS1_11comp_targetILNS1_3genE8ELNS1_11target_archE1030ELNS1_3gpuE2ELNS1_3repE0EEENS1_30default_config_static_selectorELNS0_4arch9wavefront6targetE1EEEvS14_: ; @_ZN7rocprim17ROCPRIM_400000_NS6detail17trampoline_kernelINS0_14default_configENS1_22reduce_config_selectorIN6thrust23THRUST_200600_302600_NS5tupleIblNS6_9null_typeES8_S8_S8_S8_S8_S8_S8_EEEEZNS1_11reduce_implILb1ES3_NS6_12zip_iteratorINS7_INS6_11hip_rocprim26transform_input_iterator_tIbNSD_35transform_pair_of_input_iterators_tIbNS6_6detail15normal_iteratorINS6_10device_ptrIKjEEEESL_NS6_8equal_toIjEEEENSG_9not_fun_tINSD_8identityEEEEENSD_19counting_iterator_tIlEES8_S8_S8_S8_S8_S8_S8_S8_EEEEPS9_S9_NSD_9__find_if7functorIS9_EEEE10hipError_tPvRmT1_T2_T3_mT4_P12ihipStream_tbEUlT_E1_NS1_11comp_targetILNS1_3genE8ELNS1_11target_archE1030ELNS1_3gpuE2ELNS1_3repE0EEENS1_30default_config_static_selectorELNS0_4arch9wavefront6targetE1EEEvS14_
; %bb.0:
	.section	.rodata,"a",@progbits
	.p2align	6, 0x0
	.amdhsa_kernel _ZN7rocprim17ROCPRIM_400000_NS6detail17trampoline_kernelINS0_14default_configENS1_22reduce_config_selectorIN6thrust23THRUST_200600_302600_NS5tupleIblNS6_9null_typeES8_S8_S8_S8_S8_S8_S8_EEEEZNS1_11reduce_implILb1ES3_NS6_12zip_iteratorINS7_INS6_11hip_rocprim26transform_input_iterator_tIbNSD_35transform_pair_of_input_iterators_tIbNS6_6detail15normal_iteratorINS6_10device_ptrIKjEEEESL_NS6_8equal_toIjEEEENSG_9not_fun_tINSD_8identityEEEEENSD_19counting_iterator_tIlEES8_S8_S8_S8_S8_S8_S8_S8_EEEEPS9_S9_NSD_9__find_if7functorIS9_EEEE10hipError_tPvRmT1_T2_T3_mT4_P12ihipStream_tbEUlT_E1_NS1_11comp_targetILNS1_3genE8ELNS1_11target_archE1030ELNS1_3gpuE2ELNS1_3repE0EEENS1_30default_config_static_selectorELNS0_4arch9wavefront6targetE1EEEvS14_
		.amdhsa_group_segment_fixed_size 0
		.amdhsa_private_segment_fixed_size 0
		.amdhsa_kernarg_size 88
		.amdhsa_user_sgpr_count 2
		.amdhsa_user_sgpr_dispatch_ptr 0
		.amdhsa_user_sgpr_queue_ptr 0
		.amdhsa_user_sgpr_kernarg_segment_ptr 1
		.amdhsa_user_sgpr_dispatch_id 0
		.amdhsa_user_sgpr_kernarg_preload_length 0
		.amdhsa_user_sgpr_kernarg_preload_offset 0
		.amdhsa_user_sgpr_private_segment_size 0
		.amdhsa_uses_dynamic_stack 0
		.amdhsa_enable_private_segment 0
		.amdhsa_system_sgpr_workgroup_id_x 1
		.amdhsa_system_sgpr_workgroup_id_y 0
		.amdhsa_system_sgpr_workgroup_id_z 0
		.amdhsa_system_sgpr_workgroup_info 0
		.amdhsa_system_vgpr_workitem_id 0
		.amdhsa_next_free_vgpr 1
		.amdhsa_next_free_sgpr 0
		.amdhsa_accum_offset 4
		.amdhsa_reserve_vcc 0
		.amdhsa_float_round_mode_32 0
		.amdhsa_float_round_mode_16_64 0
		.amdhsa_float_denorm_mode_32 3
		.amdhsa_float_denorm_mode_16_64 3
		.amdhsa_dx10_clamp 1
		.amdhsa_ieee_mode 1
		.amdhsa_fp16_overflow 0
		.amdhsa_tg_split 0
		.amdhsa_exception_fp_ieee_invalid_op 0
		.amdhsa_exception_fp_denorm_src 0
		.amdhsa_exception_fp_ieee_div_zero 0
		.amdhsa_exception_fp_ieee_overflow 0
		.amdhsa_exception_fp_ieee_underflow 0
		.amdhsa_exception_fp_ieee_inexact 0
		.amdhsa_exception_int_div_zero 0
	.end_amdhsa_kernel
	.section	.text._ZN7rocprim17ROCPRIM_400000_NS6detail17trampoline_kernelINS0_14default_configENS1_22reduce_config_selectorIN6thrust23THRUST_200600_302600_NS5tupleIblNS6_9null_typeES8_S8_S8_S8_S8_S8_S8_EEEEZNS1_11reduce_implILb1ES3_NS6_12zip_iteratorINS7_INS6_11hip_rocprim26transform_input_iterator_tIbNSD_35transform_pair_of_input_iterators_tIbNS6_6detail15normal_iteratorINS6_10device_ptrIKjEEEESL_NS6_8equal_toIjEEEENSG_9not_fun_tINSD_8identityEEEEENSD_19counting_iterator_tIlEES8_S8_S8_S8_S8_S8_S8_S8_EEEEPS9_S9_NSD_9__find_if7functorIS9_EEEE10hipError_tPvRmT1_T2_T3_mT4_P12ihipStream_tbEUlT_E1_NS1_11comp_targetILNS1_3genE8ELNS1_11target_archE1030ELNS1_3gpuE2ELNS1_3repE0EEENS1_30default_config_static_selectorELNS0_4arch9wavefront6targetE1EEEvS14_,"axG",@progbits,_ZN7rocprim17ROCPRIM_400000_NS6detail17trampoline_kernelINS0_14default_configENS1_22reduce_config_selectorIN6thrust23THRUST_200600_302600_NS5tupleIblNS6_9null_typeES8_S8_S8_S8_S8_S8_S8_EEEEZNS1_11reduce_implILb1ES3_NS6_12zip_iteratorINS7_INS6_11hip_rocprim26transform_input_iterator_tIbNSD_35transform_pair_of_input_iterators_tIbNS6_6detail15normal_iteratorINS6_10device_ptrIKjEEEESL_NS6_8equal_toIjEEEENSG_9not_fun_tINSD_8identityEEEEENSD_19counting_iterator_tIlEES8_S8_S8_S8_S8_S8_S8_S8_EEEEPS9_S9_NSD_9__find_if7functorIS9_EEEE10hipError_tPvRmT1_T2_T3_mT4_P12ihipStream_tbEUlT_E1_NS1_11comp_targetILNS1_3genE8ELNS1_11target_archE1030ELNS1_3gpuE2ELNS1_3repE0EEENS1_30default_config_static_selectorELNS0_4arch9wavefront6targetE1EEEvS14_,comdat
.Lfunc_end822:
	.size	_ZN7rocprim17ROCPRIM_400000_NS6detail17trampoline_kernelINS0_14default_configENS1_22reduce_config_selectorIN6thrust23THRUST_200600_302600_NS5tupleIblNS6_9null_typeES8_S8_S8_S8_S8_S8_S8_EEEEZNS1_11reduce_implILb1ES3_NS6_12zip_iteratorINS7_INS6_11hip_rocprim26transform_input_iterator_tIbNSD_35transform_pair_of_input_iterators_tIbNS6_6detail15normal_iteratorINS6_10device_ptrIKjEEEESL_NS6_8equal_toIjEEEENSG_9not_fun_tINSD_8identityEEEEENSD_19counting_iterator_tIlEES8_S8_S8_S8_S8_S8_S8_S8_EEEEPS9_S9_NSD_9__find_if7functorIS9_EEEE10hipError_tPvRmT1_T2_T3_mT4_P12ihipStream_tbEUlT_E1_NS1_11comp_targetILNS1_3genE8ELNS1_11target_archE1030ELNS1_3gpuE2ELNS1_3repE0EEENS1_30default_config_static_selectorELNS0_4arch9wavefront6targetE1EEEvS14_, .Lfunc_end822-_ZN7rocprim17ROCPRIM_400000_NS6detail17trampoline_kernelINS0_14default_configENS1_22reduce_config_selectorIN6thrust23THRUST_200600_302600_NS5tupleIblNS6_9null_typeES8_S8_S8_S8_S8_S8_S8_EEEEZNS1_11reduce_implILb1ES3_NS6_12zip_iteratorINS7_INS6_11hip_rocprim26transform_input_iterator_tIbNSD_35transform_pair_of_input_iterators_tIbNS6_6detail15normal_iteratorINS6_10device_ptrIKjEEEESL_NS6_8equal_toIjEEEENSG_9not_fun_tINSD_8identityEEEEENSD_19counting_iterator_tIlEES8_S8_S8_S8_S8_S8_S8_S8_EEEEPS9_S9_NSD_9__find_if7functorIS9_EEEE10hipError_tPvRmT1_T2_T3_mT4_P12ihipStream_tbEUlT_E1_NS1_11comp_targetILNS1_3genE8ELNS1_11target_archE1030ELNS1_3gpuE2ELNS1_3repE0EEENS1_30default_config_static_selectorELNS0_4arch9wavefront6targetE1EEEvS14_
                                        ; -- End function
	.set _ZN7rocprim17ROCPRIM_400000_NS6detail17trampoline_kernelINS0_14default_configENS1_22reduce_config_selectorIN6thrust23THRUST_200600_302600_NS5tupleIblNS6_9null_typeES8_S8_S8_S8_S8_S8_S8_EEEEZNS1_11reduce_implILb1ES3_NS6_12zip_iteratorINS7_INS6_11hip_rocprim26transform_input_iterator_tIbNSD_35transform_pair_of_input_iterators_tIbNS6_6detail15normal_iteratorINS6_10device_ptrIKjEEEESL_NS6_8equal_toIjEEEENSG_9not_fun_tINSD_8identityEEEEENSD_19counting_iterator_tIlEES8_S8_S8_S8_S8_S8_S8_S8_EEEEPS9_S9_NSD_9__find_if7functorIS9_EEEE10hipError_tPvRmT1_T2_T3_mT4_P12ihipStream_tbEUlT_E1_NS1_11comp_targetILNS1_3genE8ELNS1_11target_archE1030ELNS1_3gpuE2ELNS1_3repE0EEENS1_30default_config_static_selectorELNS0_4arch9wavefront6targetE1EEEvS14_.num_vgpr, 0
	.set _ZN7rocprim17ROCPRIM_400000_NS6detail17trampoline_kernelINS0_14default_configENS1_22reduce_config_selectorIN6thrust23THRUST_200600_302600_NS5tupleIblNS6_9null_typeES8_S8_S8_S8_S8_S8_S8_EEEEZNS1_11reduce_implILb1ES3_NS6_12zip_iteratorINS7_INS6_11hip_rocprim26transform_input_iterator_tIbNSD_35transform_pair_of_input_iterators_tIbNS6_6detail15normal_iteratorINS6_10device_ptrIKjEEEESL_NS6_8equal_toIjEEEENSG_9not_fun_tINSD_8identityEEEEENSD_19counting_iterator_tIlEES8_S8_S8_S8_S8_S8_S8_S8_EEEEPS9_S9_NSD_9__find_if7functorIS9_EEEE10hipError_tPvRmT1_T2_T3_mT4_P12ihipStream_tbEUlT_E1_NS1_11comp_targetILNS1_3genE8ELNS1_11target_archE1030ELNS1_3gpuE2ELNS1_3repE0EEENS1_30default_config_static_selectorELNS0_4arch9wavefront6targetE1EEEvS14_.num_agpr, 0
	.set _ZN7rocprim17ROCPRIM_400000_NS6detail17trampoline_kernelINS0_14default_configENS1_22reduce_config_selectorIN6thrust23THRUST_200600_302600_NS5tupleIblNS6_9null_typeES8_S8_S8_S8_S8_S8_S8_EEEEZNS1_11reduce_implILb1ES3_NS6_12zip_iteratorINS7_INS6_11hip_rocprim26transform_input_iterator_tIbNSD_35transform_pair_of_input_iterators_tIbNS6_6detail15normal_iteratorINS6_10device_ptrIKjEEEESL_NS6_8equal_toIjEEEENSG_9not_fun_tINSD_8identityEEEEENSD_19counting_iterator_tIlEES8_S8_S8_S8_S8_S8_S8_S8_EEEEPS9_S9_NSD_9__find_if7functorIS9_EEEE10hipError_tPvRmT1_T2_T3_mT4_P12ihipStream_tbEUlT_E1_NS1_11comp_targetILNS1_3genE8ELNS1_11target_archE1030ELNS1_3gpuE2ELNS1_3repE0EEENS1_30default_config_static_selectorELNS0_4arch9wavefront6targetE1EEEvS14_.numbered_sgpr, 0
	.set _ZN7rocprim17ROCPRIM_400000_NS6detail17trampoline_kernelINS0_14default_configENS1_22reduce_config_selectorIN6thrust23THRUST_200600_302600_NS5tupleIblNS6_9null_typeES8_S8_S8_S8_S8_S8_S8_EEEEZNS1_11reduce_implILb1ES3_NS6_12zip_iteratorINS7_INS6_11hip_rocprim26transform_input_iterator_tIbNSD_35transform_pair_of_input_iterators_tIbNS6_6detail15normal_iteratorINS6_10device_ptrIKjEEEESL_NS6_8equal_toIjEEEENSG_9not_fun_tINSD_8identityEEEEENSD_19counting_iterator_tIlEES8_S8_S8_S8_S8_S8_S8_S8_EEEEPS9_S9_NSD_9__find_if7functorIS9_EEEE10hipError_tPvRmT1_T2_T3_mT4_P12ihipStream_tbEUlT_E1_NS1_11comp_targetILNS1_3genE8ELNS1_11target_archE1030ELNS1_3gpuE2ELNS1_3repE0EEENS1_30default_config_static_selectorELNS0_4arch9wavefront6targetE1EEEvS14_.num_named_barrier, 0
	.set _ZN7rocprim17ROCPRIM_400000_NS6detail17trampoline_kernelINS0_14default_configENS1_22reduce_config_selectorIN6thrust23THRUST_200600_302600_NS5tupleIblNS6_9null_typeES8_S8_S8_S8_S8_S8_S8_EEEEZNS1_11reduce_implILb1ES3_NS6_12zip_iteratorINS7_INS6_11hip_rocprim26transform_input_iterator_tIbNSD_35transform_pair_of_input_iterators_tIbNS6_6detail15normal_iteratorINS6_10device_ptrIKjEEEESL_NS6_8equal_toIjEEEENSG_9not_fun_tINSD_8identityEEEEENSD_19counting_iterator_tIlEES8_S8_S8_S8_S8_S8_S8_S8_EEEEPS9_S9_NSD_9__find_if7functorIS9_EEEE10hipError_tPvRmT1_T2_T3_mT4_P12ihipStream_tbEUlT_E1_NS1_11comp_targetILNS1_3genE8ELNS1_11target_archE1030ELNS1_3gpuE2ELNS1_3repE0EEENS1_30default_config_static_selectorELNS0_4arch9wavefront6targetE1EEEvS14_.private_seg_size, 0
	.set _ZN7rocprim17ROCPRIM_400000_NS6detail17trampoline_kernelINS0_14default_configENS1_22reduce_config_selectorIN6thrust23THRUST_200600_302600_NS5tupleIblNS6_9null_typeES8_S8_S8_S8_S8_S8_S8_EEEEZNS1_11reduce_implILb1ES3_NS6_12zip_iteratorINS7_INS6_11hip_rocprim26transform_input_iterator_tIbNSD_35transform_pair_of_input_iterators_tIbNS6_6detail15normal_iteratorINS6_10device_ptrIKjEEEESL_NS6_8equal_toIjEEEENSG_9not_fun_tINSD_8identityEEEEENSD_19counting_iterator_tIlEES8_S8_S8_S8_S8_S8_S8_S8_EEEEPS9_S9_NSD_9__find_if7functorIS9_EEEE10hipError_tPvRmT1_T2_T3_mT4_P12ihipStream_tbEUlT_E1_NS1_11comp_targetILNS1_3genE8ELNS1_11target_archE1030ELNS1_3gpuE2ELNS1_3repE0EEENS1_30default_config_static_selectorELNS0_4arch9wavefront6targetE1EEEvS14_.uses_vcc, 0
	.set _ZN7rocprim17ROCPRIM_400000_NS6detail17trampoline_kernelINS0_14default_configENS1_22reduce_config_selectorIN6thrust23THRUST_200600_302600_NS5tupleIblNS6_9null_typeES8_S8_S8_S8_S8_S8_S8_EEEEZNS1_11reduce_implILb1ES3_NS6_12zip_iteratorINS7_INS6_11hip_rocprim26transform_input_iterator_tIbNSD_35transform_pair_of_input_iterators_tIbNS6_6detail15normal_iteratorINS6_10device_ptrIKjEEEESL_NS6_8equal_toIjEEEENSG_9not_fun_tINSD_8identityEEEEENSD_19counting_iterator_tIlEES8_S8_S8_S8_S8_S8_S8_S8_EEEEPS9_S9_NSD_9__find_if7functorIS9_EEEE10hipError_tPvRmT1_T2_T3_mT4_P12ihipStream_tbEUlT_E1_NS1_11comp_targetILNS1_3genE8ELNS1_11target_archE1030ELNS1_3gpuE2ELNS1_3repE0EEENS1_30default_config_static_selectorELNS0_4arch9wavefront6targetE1EEEvS14_.uses_flat_scratch, 0
	.set _ZN7rocprim17ROCPRIM_400000_NS6detail17trampoline_kernelINS0_14default_configENS1_22reduce_config_selectorIN6thrust23THRUST_200600_302600_NS5tupleIblNS6_9null_typeES8_S8_S8_S8_S8_S8_S8_EEEEZNS1_11reduce_implILb1ES3_NS6_12zip_iteratorINS7_INS6_11hip_rocprim26transform_input_iterator_tIbNSD_35transform_pair_of_input_iterators_tIbNS6_6detail15normal_iteratorINS6_10device_ptrIKjEEEESL_NS6_8equal_toIjEEEENSG_9not_fun_tINSD_8identityEEEEENSD_19counting_iterator_tIlEES8_S8_S8_S8_S8_S8_S8_S8_EEEEPS9_S9_NSD_9__find_if7functorIS9_EEEE10hipError_tPvRmT1_T2_T3_mT4_P12ihipStream_tbEUlT_E1_NS1_11comp_targetILNS1_3genE8ELNS1_11target_archE1030ELNS1_3gpuE2ELNS1_3repE0EEENS1_30default_config_static_selectorELNS0_4arch9wavefront6targetE1EEEvS14_.has_dyn_sized_stack, 0
	.set _ZN7rocprim17ROCPRIM_400000_NS6detail17trampoline_kernelINS0_14default_configENS1_22reduce_config_selectorIN6thrust23THRUST_200600_302600_NS5tupleIblNS6_9null_typeES8_S8_S8_S8_S8_S8_S8_EEEEZNS1_11reduce_implILb1ES3_NS6_12zip_iteratorINS7_INS6_11hip_rocprim26transform_input_iterator_tIbNSD_35transform_pair_of_input_iterators_tIbNS6_6detail15normal_iteratorINS6_10device_ptrIKjEEEESL_NS6_8equal_toIjEEEENSG_9not_fun_tINSD_8identityEEEEENSD_19counting_iterator_tIlEES8_S8_S8_S8_S8_S8_S8_S8_EEEEPS9_S9_NSD_9__find_if7functorIS9_EEEE10hipError_tPvRmT1_T2_T3_mT4_P12ihipStream_tbEUlT_E1_NS1_11comp_targetILNS1_3genE8ELNS1_11target_archE1030ELNS1_3gpuE2ELNS1_3repE0EEENS1_30default_config_static_selectorELNS0_4arch9wavefront6targetE1EEEvS14_.has_recursion, 0
	.set _ZN7rocprim17ROCPRIM_400000_NS6detail17trampoline_kernelINS0_14default_configENS1_22reduce_config_selectorIN6thrust23THRUST_200600_302600_NS5tupleIblNS6_9null_typeES8_S8_S8_S8_S8_S8_S8_EEEEZNS1_11reduce_implILb1ES3_NS6_12zip_iteratorINS7_INS6_11hip_rocprim26transform_input_iterator_tIbNSD_35transform_pair_of_input_iterators_tIbNS6_6detail15normal_iteratorINS6_10device_ptrIKjEEEESL_NS6_8equal_toIjEEEENSG_9not_fun_tINSD_8identityEEEEENSD_19counting_iterator_tIlEES8_S8_S8_S8_S8_S8_S8_S8_EEEEPS9_S9_NSD_9__find_if7functorIS9_EEEE10hipError_tPvRmT1_T2_T3_mT4_P12ihipStream_tbEUlT_E1_NS1_11comp_targetILNS1_3genE8ELNS1_11target_archE1030ELNS1_3gpuE2ELNS1_3repE0EEENS1_30default_config_static_selectorELNS0_4arch9wavefront6targetE1EEEvS14_.has_indirect_call, 0
	.section	.AMDGPU.csdata,"",@progbits
; Kernel info:
; codeLenInByte = 0
; TotalNumSgprs: 6
; NumVgprs: 0
; NumAgprs: 0
; TotalNumVgprs: 0
; ScratchSize: 0
; MemoryBound: 0
; FloatMode: 240
; IeeeMode: 1
; LDSByteSize: 0 bytes/workgroup (compile time only)
; SGPRBlocks: 0
; VGPRBlocks: 0
; NumSGPRsForWavesPerEU: 6
; NumVGPRsForWavesPerEU: 1
; AccumOffset: 4
; Occupancy: 8
; WaveLimiterHint : 0
; COMPUTE_PGM_RSRC2:SCRATCH_EN: 0
; COMPUTE_PGM_RSRC2:USER_SGPR: 2
; COMPUTE_PGM_RSRC2:TRAP_HANDLER: 0
; COMPUTE_PGM_RSRC2:TGID_X_EN: 1
; COMPUTE_PGM_RSRC2:TGID_Y_EN: 0
; COMPUTE_PGM_RSRC2:TGID_Z_EN: 0
; COMPUTE_PGM_RSRC2:TIDIG_COMP_CNT: 0
; COMPUTE_PGM_RSRC3_GFX90A:ACCUM_OFFSET: 0
; COMPUTE_PGM_RSRC3_GFX90A:TG_SPLIT: 0
	.section	.text._ZN6thrust23THRUST_200600_302600_NS11hip_rocprim14__parallel_for6kernelILj256ENS1_20__uninitialized_fill7functorINS0_10device_ptrItEEtEEmLj1EEEvT0_T1_SA_,"axG",@progbits,_ZN6thrust23THRUST_200600_302600_NS11hip_rocprim14__parallel_for6kernelILj256ENS1_20__uninitialized_fill7functorINS0_10device_ptrItEEtEEmLj1EEEvT0_T1_SA_,comdat
	.protected	_ZN6thrust23THRUST_200600_302600_NS11hip_rocprim14__parallel_for6kernelILj256ENS1_20__uninitialized_fill7functorINS0_10device_ptrItEEtEEmLj1EEEvT0_T1_SA_ ; -- Begin function _ZN6thrust23THRUST_200600_302600_NS11hip_rocprim14__parallel_for6kernelILj256ENS1_20__uninitialized_fill7functorINS0_10device_ptrItEEtEEmLj1EEEvT0_T1_SA_
	.globl	_ZN6thrust23THRUST_200600_302600_NS11hip_rocprim14__parallel_for6kernelILj256ENS1_20__uninitialized_fill7functorINS0_10device_ptrItEEtEEmLj1EEEvT0_T1_SA_
	.p2align	8
	.type	_ZN6thrust23THRUST_200600_302600_NS11hip_rocprim14__parallel_for6kernelILj256ENS1_20__uninitialized_fill7functorINS0_10device_ptrItEEtEEmLj1EEEvT0_T1_SA_,@function
_ZN6thrust23THRUST_200600_302600_NS11hip_rocprim14__parallel_for6kernelILj256ENS1_20__uninitialized_fill7functorINS0_10device_ptrItEEtEEmLj1EEEvT0_T1_SA_: ; @_ZN6thrust23THRUST_200600_302600_NS11hip_rocprim14__parallel_for6kernelILj256ENS1_20__uninitialized_fill7functorINS0_10device_ptrItEEtEEmLj1EEEvT0_T1_SA_
; %bb.0:
	s_load_dwordx4 s[12:15], s[0:1], 0x10
	s_load_dwordx2 s[4:5], s[0:1], 0x0
	s_load_dword s8, s[0:1], 0x8
	s_lshl_b32 s0, s2, 8
	v_mov_b64_e32 v[2:3], 0xff
	s_waitcnt lgkmcnt(0)
	s_add_u32 s0, s14, s0
	s_addc_u32 s1, s15, 0
	s_sub_u32 s2, s12, s0
	s_subb_u32 s3, s13, s1
	v_cmp_gt_u64_e32 vcc, s[2:3], v[2:3]
	s_mov_b64 s[6:7], -1
	s_cbranch_vccz .LBB823_3
; %bb.1:
	s_andn2_b64 vcc, exec, s[6:7]
	s_cbranch_vccz .LBB823_6
.LBB823_2:
	s_endpgm
.LBB823_3:
	v_cmp_gt_u32_e32 vcc, s2, v0
	s_and_saveexec_b64 s[2:3], vcc
	s_cbranch_execz .LBB823_5
; %bb.4:
	s_lshl_b64 s[6:7], s[0:1], 1
	s_add_u32 s6, s4, s6
	s_addc_u32 s7, s5, s7
	v_lshlrev_b32_e32 v2, 1, v0
	v_mov_b32_e32 v3, 0
	v_lshl_add_u64 v[2:3], s[6:7], 0, v[2:3]
	v_mov_b32_e32 v1, s8
	flat_store_short v[2:3], v1
.LBB823_5:
	s_or_b64 exec, exec, s[2:3]
	s_cbranch_execnz .LBB823_2
.LBB823_6:
	s_lshl_b64 s[0:1], s[0:1], 1
	s_add_u32 s0, s4, s0
	s_addc_u32 s1, s5, s1
	v_lshlrev_b32_e32 v0, 1, v0
	v_mov_b32_e32 v1, 0
	v_lshl_add_u64 v[0:1], s[0:1], 0, v[0:1]
	v_mov_b32_e32 v2, s8
	flat_store_short v[0:1], v2
	s_endpgm
	.section	.rodata,"a",@progbits
	.p2align	6, 0x0
	.amdhsa_kernel _ZN6thrust23THRUST_200600_302600_NS11hip_rocprim14__parallel_for6kernelILj256ENS1_20__uninitialized_fill7functorINS0_10device_ptrItEEtEEmLj1EEEvT0_T1_SA_
		.amdhsa_group_segment_fixed_size 0
		.amdhsa_private_segment_fixed_size 0
		.amdhsa_kernarg_size 32
		.amdhsa_user_sgpr_count 2
		.amdhsa_user_sgpr_dispatch_ptr 0
		.amdhsa_user_sgpr_queue_ptr 0
		.amdhsa_user_sgpr_kernarg_segment_ptr 1
		.amdhsa_user_sgpr_dispatch_id 0
		.amdhsa_user_sgpr_kernarg_preload_length 0
		.amdhsa_user_sgpr_kernarg_preload_offset 0
		.amdhsa_user_sgpr_private_segment_size 0
		.amdhsa_uses_dynamic_stack 0
		.amdhsa_enable_private_segment 0
		.amdhsa_system_sgpr_workgroup_id_x 1
		.amdhsa_system_sgpr_workgroup_id_y 0
		.amdhsa_system_sgpr_workgroup_id_z 0
		.amdhsa_system_sgpr_workgroup_info 0
		.amdhsa_system_vgpr_workitem_id 0
		.amdhsa_next_free_vgpr 4
		.amdhsa_next_free_sgpr 16
		.amdhsa_accum_offset 4
		.amdhsa_reserve_vcc 1
		.amdhsa_float_round_mode_32 0
		.amdhsa_float_round_mode_16_64 0
		.amdhsa_float_denorm_mode_32 3
		.amdhsa_float_denorm_mode_16_64 3
		.amdhsa_dx10_clamp 1
		.amdhsa_ieee_mode 1
		.amdhsa_fp16_overflow 0
		.amdhsa_tg_split 0
		.amdhsa_exception_fp_ieee_invalid_op 0
		.amdhsa_exception_fp_denorm_src 0
		.amdhsa_exception_fp_ieee_div_zero 0
		.amdhsa_exception_fp_ieee_overflow 0
		.amdhsa_exception_fp_ieee_underflow 0
		.amdhsa_exception_fp_ieee_inexact 0
		.amdhsa_exception_int_div_zero 0
	.end_amdhsa_kernel
	.section	.text._ZN6thrust23THRUST_200600_302600_NS11hip_rocprim14__parallel_for6kernelILj256ENS1_20__uninitialized_fill7functorINS0_10device_ptrItEEtEEmLj1EEEvT0_T1_SA_,"axG",@progbits,_ZN6thrust23THRUST_200600_302600_NS11hip_rocprim14__parallel_for6kernelILj256ENS1_20__uninitialized_fill7functorINS0_10device_ptrItEEtEEmLj1EEEvT0_T1_SA_,comdat
.Lfunc_end823:
	.size	_ZN6thrust23THRUST_200600_302600_NS11hip_rocprim14__parallel_for6kernelILj256ENS1_20__uninitialized_fill7functorINS0_10device_ptrItEEtEEmLj1EEEvT0_T1_SA_, .Lfunc_end823-_ZN6thrust23THRUST_200600_302600_NS11hip_rocprim14__parallel_for6kernelILj256ENS1_20__uninitialized_fill7functorINS0_10device_ptrItEEtEEmLj1EEEvT0_T1_SA_
                                        ; -- End function
	.set _ZN6thrust23THRUST_200600_302600_NS11hip_rocprim14__parallel_for6kernelILj256ENS1_20__uninitialized_fill7functorINS0_10device_ptrItEEtEEmLj1EEEvT0_T1_SA_.num_vgpr, 4
	.set _ZN6thrust23THRUST_200600_302600_NS11hip_rocprim14__parallel_for6kernelILj256ENS1_20__uninitialized_fill7functorINS0_10device_ptrItEEtEEmLj1EEEvT0_T1_SA_.num_agpr, 0
	.set _ZN6thrust23THRUST_200600_302600_NS11hip_rocprim14__parallel_for6kernelILj256ENS1_20__uninitialized_fill7functorINS0_10device_ptrItEEtEEmLj1EEEvT0_T1_SA_.numbered_sgpr, 16
	.set _ZN6thrust23THRUST_200600_302600_NS11hip_rocprim14__parallel_for6kernelILj256ENS1_20__uninitialized_fill7functorINS0_10device_ptrItEEtEEmLj1EEEvT0_T1_SA_.num_named_barrier, 0
	.set _ZN6thrust23THRUST_200600_302600_NS11hip_rocprim14__parallel_for6kernelILj256ENS1_20__uninitialized_fill7functorINS0_10device_ptrItEEtEEmLj1EEEvT0_T1_SA_.private_seg_size, 0
	.set _ZN6thrust23THRUST_200600_302600_NS11hip_rocprim14__parallel_for6kernelILj256ENS1_20__uninitialized_fill7functorINS0_10device_ptrItEEtEEmLj1EEEvT0_T1_SA_.uses_vcc, 1
	.set _ZN6thrust23THRUST_200600_302600_NS11hip_rocprim14__parallel_for6kernelILj256ENS1_20__uninitialized_fill7functorINS0_10device_ptrItEEtEEmLj1EEEvT0_T1_SA_.uses_flat_scratch, 0
	.set _ZN6thrust23THRUST_200600_302600_NS11hip_rocprim14__parallel_for6kernelILj256ENS1_20__uninitialized_fill7functorINS0_10device_ptrItEEtEEmLj1EEEvT0_T1_SA_.has_dyn_sized_stack, 0
	.set _ZN6thrust23THRUST_200600_302600_NS11hip_rocprim14__parallel_for6kernelILj256ENS1_20__uninitialized_fill7functorINS0_10device_ptrItEEtEEmLj1EEEvT0_T1_SA_.has_recursion, 0
	.set _ZN6thrust23THRUST_200600_302600_NS11hip_rocprim14__parallel_for6kernelILj256ENS1_20__uninitialized_fill7functorINS0_10device_ptrItEEtEEmLj1EEEvT0_T1_SA_.has_indirect_call, 0
	.section	.AMDGPU.csdata,"",@progbits
; Kernel info:
; codeLenInByte = 184
; TotalNumSgprs: 22
; NumVgprs: 4
; NumAgprs: 0
; TotalNumVgprs: 4
; ScratchSize: 0
; MemoryBound: 0
; FloatMode: 240
; IeeeMode: 1
; LDSByteSize: 0 bytes/workgroup (compile time only)
; SGPRBlocks: 2
; VGPRBlocks: 0
; NumSGPRsForWavesPerEU: 22
; NumVGPRsForWavesPerEU: 4
; AccumOffset: 4
; Occupancy: 8
; WaveLimiterHint : 0
; COMPUTE_PGM_RSRC2:SCRATCH_EN: 0
; COMPUTE_PGM_RSRC2:USER_SGPR: 2
; COMPUTE_PGM_RSRC2:TRAP_HANDLER: 0
; COMPUTE_PGM_RSRC2:TGID_X_EN: 1
; COMPUTE_PGM_RSRC2:TGID_Y_EN: 0
; COMPUTE_PGM_RSRC2:TGID_Z_EN: 0
; COMPUTE_PGM_RSRC2:TIDIG_COMP_CNT: 0
; COMPUTE_PGM_RSRC3_GFX90A:ACCUM_OFFSET: 0
; COMPUTE_PGM_RSRC3_GFX90A:TG_SPLIT: 0
	.section	.text._ZN7rocprim17ROCPRIM_400000_NS6detail17trampoline_kernelINS0_13kernel_configILj256ELj4ELj4294967295EEENS1_37radix_sort_block_sort_config_selectorIttEEZNS1_21radix_sort_block_sortIS4_Lb0EN6thrust23THRUST_200600_302600_NS6detail15normal_iteratorINS9_10device_ptrItEEEESE_SE_SE_NS0_19identity_decomposerEEE10hipError_tT1_T2_T3_T4_jRjT5_jjP12ihipStream_tbEUlT_E_NS1_11comp_targetILNS1_3genE0ELNS1_11target_archE4294967295ELNS1_3gpuE0ELNS1_3repE0EEENS1_44radix_sort_block_sort_config_static_selectorELNS0_4arch9wavefront6targetE1EEEvSH_,"axG",@progbits,_ZN7rocprim17ROCPRIM_400000_NS6detail17trampoline_kernelINS0_13kernel_configILj256ELj4ELj4294967295EEENS1_37radix_sort_block_sort_config_selectorIttEEZNS1_21radix_sort_block_sortIS4_Lb0EN6thrust23THRUST_200600_302600_NS6detail15normal_iteratorINS9_10device_ptrItEEEESE_SE_SE_NS0_19identity_decomposerEEE10hipError_tT1_T2_T3_T4_jRjT5_jjP12ihipStream_tbEUlT_E_NS1_11comp_targetILNS1_3genE0ELNS1_11target_archE4294967295ELNS1_3gpuE0ELNS1_3repE0EEENS1_44radix_sort_block_sort_config_static_selectorELNS0_4arch9wavefront6targetE1EEEvSH_,comdat
	.protected	_ZN7rocprim17ROCPRIM_400000_NS6detail17trampoline_kernelINS0_13kernel_configILj256ELj4ELj4294967295EEENS1_37radix_sort_block_sort_config_selectorIttEEZNS1_21radix_sort_block_sortIS4_Lb0EN6thrust23THRUST_200600_302600_NS6detail15normal_iteratorINS9_10device_ptrItEEEESE_SE_SE_NS0_19identity_decomposerEEE10hipError_tT1_T2_T3_T4_jRjT5_jjP12ihipStream_tbEUlT_E_NS1_11comp_targetILNS1_3genE0ELNS1_11target_archE4294967295ELNS1_3gpuE0ELNS1_3repE0EEENS1_44radix_sort_block_sort_config_static_selectorELNS0_4arch9wavefront6targetE1EEEvSH_ ; -- Begin function _ZN7rocprim17ROCPRIM_400000_NS6detail17trampoline_kernelINS0_13kernel_configILj256ELj4ELj4294967295EEENS1_37radix_sort_block_sort_config_selectorIttEEZNS1_21radix_sort_block_sortIS4_Lb0EN6thrust23THRUST_200600_302600_NS6detail15normal_iteratorINS9_10device_ptrItEEEESE_SE_SE_NS0_19identity_decomposerEEE10hipError_tT1_T2_T3_T4_jRjT5_jjP12ihipStream_tbEUlT_E_NS1_11comp_targetILNS1_3genE0ELNS1_11target_archE4294967295ELNS1_3gpuE0ELNS1_3repE0EEENS1_44radix_sort_block_sort_config_static_selectorELNS0_4arch9wavefront6targetE1EEEvSH_
	.globl	_ZN7rocprim17ROCPRIM_400000_NS6detail17trampoline_kernelINS0_13kernel_configILj256ELj4ELj4294967295EEENS1_37radix_sort_block_sort_config_selectorIttEEZNS1_21radix_sort_block_sortIS4_Lb0EN6thrust23THRUST_200600_302600_NS6detail15normal_iteratorINS9_10device_ptrItEEEESE_SE_SE_NS0_19identity_decomposerEEE10hipError_tT1_T2_T3_T4_jRjT5_jjP12ihipStream_tbEUlT_E_NS1_11comp_targetILNS1_3genE0ELNS1_11target_archE4294967295ELNS1_3gpuE0ELNS1_3repE0EEENS1_44radix_sort_block_sort_config_static_selectorELNS0_4arch9wavefront6targetE1EEEvSH_
	.p2align	8
	.type	_ZN7rocprim17ROCPRIM_400000_NS6detail17trampoline_kernelINS0_13kernel_configILj256ELj4ELj4294967295EEENS1_37radix_sort_block_sort_config_selectorIttEEZNS1_21radix_sort_block_sortIS4_Lb0EN6thrust23THRUST_200600_302600_NS6detail15normal_iteratorINS9_10device_ptrItEEEESE_SE_SE_NS0_19identity_decomposerEEE10hipError_tT1_T2_T3_T4_jRjT5_jjP12ihipStream_tbEUlT_E_NS1_11comp_targetILNS1_3genE0ELNS1_11target_archE4294967295ELNS1_3gpuE0ELNS1_3repE0EEENS1_44radix_sort_block_sort_config_static_selectorELNS0_4arch9wavefront6targetE1EEEvSH_,@function
_ZN7rocprim17ROCPRIM_400000_NS6detail17trampoline_kernelINS0_13kernel_configILj256ELj4ELj4294967295EEENS1_37radix_sort_block_sort_config_selectorIttEEZNS1_21radix_sort_block_sortIS4_Lb0EN6thrust23THRUST_200600_302600_NS6detail15normal_iteratorINS9_10device_ptrItEEEESE_SE_SE_NS0_19identity_decomposerEEE10hipError_tT1_T2_T3_T4_jRjT5_jjP12ihipStream_tbEUlT_E_NS1_11comp_targetILNS1_3genE0ELNS1_11target_archE4294967295ELNS1_3gpuE0ELNS1_3repE0EEENS1_44radix_sort_block_sort_config_static_selectorELNS0_4arch9wavefront6targetE1EEEvSH_: ; @_ZN7rocprim17ROCPRIM_400000_NS6detail17trampoline_kernelINS0_13kernel_configILj256ELj4ELj4294967295EEENS1_37radix_sort_block_sort_config_selectorIttEEZNS1_21radix_sort_block_sortIS4_Lb0EN6thrust23THRUST_200600_302600_NS6detail15normal_iteratorINS9_10device_ptrItEEEESE_SE_SE_NS0_19identity_decomposerEEE10hipError_tT1_T2_T3_T4_jRjT5_jjP12ihipStream_tbEUlT_E_NS1_11comp_targetILNS1_3genE0ELNS1_11target_archE4294967295ELNS1_3gpuE0ELNS1_3repE0EEENS1_44radix_sort_block_sort_config_static_selectorELNS0_4arch9wavefront6targetE1EEEvSH_
; %bb.0:
	s_load_dword s8, s[0:1], 0x20
	s_load_dwordx8 s[36:43], s[0:1], 0x0
	s_lshl_b32 s4, s2, 10
	s_mov_b32 s5, 0
	v_mbcnt_lo_u32_b32 v1, -1, 0
	s_waitcnt lgkmcnt(0)
	s_lshr_b32 s3, s8, 10
	s_cmp_lg_u32 s2, s3
	v_and_b32_e32 v4, 0x3ff, v0
	s_cselect_b64 s[30:31], -1, 0
	s_lshl_b64 s[28:29], s[4:5], 1
	v_mbcnt_hi_u32_b32 v12, -1, v1
	s_add_u32 s6, s36, s28
	v_and_b32_e32 v1, 63, v12
	v_lshlrev_b32_e32 v2, 2, v4
	s_addc_u32 s7, s37, s29
	v_and_b32_e32 v5, 0x300, v2
	v_mov_b32_e32 v9, 0
	v_lshlrev_b32_e32 v8, 1, v1
	v_lshl_add_u64 v[2:3], s[6:7], 0, v[8:9]
	v_lshlrev_b32_e32 v6, 1, v5
	v_mov_b32_e32 v7, v9
	s_cmp_eq_u32 s2, s3
	v_lshl_add_u64 v[10:11], v[2:3], 0, v[6:7]
	s_cbranch_scc1 .LBB824_2
; %bb.1:
	s_add_u32 s2, s40, s28
	s_addc_u32 s3, s41, s29
	v_lshl_add_u64 v[2:3], s[2:3], 0, v[8:9]
	global_load_ushort v13, v[10:11], off
	global_load_ushort v14, v[10:11], off offset:128
	global_load_ushort v15, v[10:11], off offset:256
	;; [unrolled: 1-line block ×3, first 2 shown]
	v_lshl_add_u64 v[2:3], v[2:3], 0, v[6:7]
	global_load_ushort v7, v[2:3], off
	global_load_ushort v9, v[2:3], off offset:128
	global_load_ushort v17, v[2:3], off offset:256
	s_mov_b32 s5, 0x5040100
	s_mov_b64 s[6:7], -1
	s_waitcnt vmcnt(5)
	v_perm_b32 v2, v14, v13, s5
	s_waitcnt vmcnt(3)
	v_perm_b32 v3, v16, v15, s5
	s_waitcnt vmcnt(1)
	v_perm_b32 v16, v9, v7, s5
	s_load_dwordx2 s[34:35], s[0:1], 0x28
	s_sub_i32 s33, s8, s4
	s_cbranch_execz .LBB824_3
	s_branch .LBB824_16
.LBB824_2:
	s_mov_b64 s[6:7], 0
                                        ; implicit-def: $vgpr2_vgpr3
                                        ; implicit-def: $vgpr16_vgpr17
	s_load_dwordx2 s[34:35], s[0:1], 0x28
	s_sub_i32 s33, s8, s4
.LBB824_3:
	v_or_b32_e32 v5, v1, v5
	v_mov_b32_e32 v2, -1
	v_cmp_gt_u32_e32 vcc, s33, v5
	v_mov_b32_e32 v3, v2
	s_and_saveexec_b64 s[2:3], vcc
	s_cbranch_execz .LBB824_5
; %bb.4:
	global_load_ushort v3, v[10:11], off
	v_mov_b32_e32 v7, 0x5040100
	v_mov_b32_e32 v15, v2
	s_waitcnt vmcnt(0)
	v_perm_b32 v14, -1, v3, v7
	v_mov_b64_e32 v[2:3], v[14:15]
.LBB824_5:
	s_or_b64 exec, exec, s[2:3]
	v_or_b32_e32 v7, 64, v5
	v_cmp_gt_u32_e64 s[2:3], s33, v7
	s_and_saveexec_b64 s[4:5], s[2:3]
	s_cbranch_execz .LBB824_7
; %bb.6:
	global_load_ushort v7, v[10:11], off offset:128
	s_mov_b32 s6, 0x5040100
	s_waitcnt vmcnt(0)
	v_perm_b32 v2, v7, v2, s6
.LBB824_7:
	s_or_b64 exec, exec, s[4:5]
	v_or_b32_e32 v7, 0x80, v5
	v_cmp_gt_u32_e64 s[4:5], s33, v7
	s_and_saveexec_b64 s[6:7], s[4:5]
	s_cbranch_execz .LBB824_9
; %bb.8:
	global_load_ushort v7, v[10:11], off offset:256
	s_mov_b32 s8, 0xffff
	s_waitcnt vmcnt(0)
	v_bfi_b32 v3, s8, v7, v3
.LBB824_9:
	s_or_b64 exec, exec, s[6:7]
	v_or_b32_e32 v5, 0xc0, v5
	v_cmp_gt_u32_e64 s[6:7], s33, v5
	s_and_saveexec_b64 s[8:9], s[6:7]
	s_cbranch_execz .LBB824_11
; %bb.10:
	global_load_ushort v5, v[10:11], off offset:384
	s_mov_b32 s10, 0x5040100
	s_waitcnt vmcnt(0)
	v_perm_b32 v3, v5, v3, s10
.LBB824_11:
	s_or_b64 exec, exec, s[8:9]
	s_add_u32 s8, s40, s28
	s_addc_u32 s9, s41, s29
	v_mov_b32_e32 v9, 0
	v_lshl_add_u64 v[10:11], s[8:9], 0, v[8:9]
	v_mov_b32_e32 v7, v9
	v_lshl_add_u64 v[10:11], v[10:11], 0, v[6:7]
	v_mov_b32_e32 v16, v9
	s_waitcnt vmcnt(0)
	v_mov_b32_e32 v17, v9
	s_and_saveexec_b64 s[8:9], vcc
	s_cbranch_execnz .LBB824_55
; %bb.12:
	s_or_b64 exec, exec, s[8:9]
	s_and_saveexec_b64 s[8:9], s[2:3]
	s_cbranch_execnz .LBB824_56
.LBB824_13:
	s_or_b64 exec, exec, s[8:9]
	s_and_saveexec_b64 s[2:3], s[4:5]
	s_cbranch_execz .LBB824_15
.LBB824_14:
	global_load_ushort v5, v[10:11], off offset:256
	s_mov_b32 s4, 0xffff
	s_waitcnt vmcnt(0)
	v_bfi_b32 v17, s4, v5, v17
.LBB824_15:
	s_or_b64 exec, exec, s[2:3]
.LBB824_16:
	s_and_saveexec_b64 s[2:3], s[6:7]
	s_cbranch_execz .LBB824_18
; %bb.17:
	s_add_u32 s4, s40, s28
	s_addc_u32 s5, s41, s29
	v_mov_b32_e32 v9, 0
	v_lshl_add_u64 v[10:11], s[4:5], 0, v[8:9]
	v_mov_b32_e32 v7, v9
	v_lshl_add_u64 v[8:9], v[10:11], 0, v[6:7]
	global_load_ushort v5, v[8:9], off offset:384
	s_mov_b32 s4, 0x5040100
	s_waitcnt vmcnt(0)
	v_perm_b32 v17, v5, v17, s4
.LBB824_18:
	s_or_b64 exec, exec, s[2:3]
	s_load_dword s2, s[0:1], 0x3c
	s_waitcnt lgkmcnt(0)
	s_add_i32 s36, s35, s34
	s_getpc_b64 s[0:1]
	s_add_u32 s0, s0, _ZN7rocprim17ROCPRIM_400000_NS16block_radix_sortItLj256ELj4EtLj1ELj1ELj0ELNS0_26block_radix_rank_algorithmE1ELNS0_18block_padding_hintE2ELNS0_4arch9wavefront6targetE1EE19radix_bits_per_passE@rel32@lo+4
	s_addc_u32 s1, s1, _ZN7rocprim17ROCPRIM_400000_NS16block_radix_sortItLj256ELj4EtLj1ELj1ELj0ELNS0_26block_radix_rank_algorithmE1ELNS0_18block_padding_hintE2ELNS0_4arch9wavefront6targetE1EE19radix_bits_per_passE@rel32@hi+12
	s_load_dword s37, s[0:1], 0x0
	v_bfe_u32 v5, v0, 10, 10
	s_lshr_b32 s0, s2, 16
	v_bfe_u32 v0, v0, 20, 10
	s_and_b32 s1, s2, 0xffff
	v_mad_u32_u24 v0, v0, s0, v5
	v_mad_u64_u32 v[8:9], s[0:1], v0, s1, v[4:5]
	v_lshrrev_b32_e32 v0, 4, v8
	v_and_b32_e32 v18, 0xffffffc, v0
	v_and_b32_e32 v0, 15, v12
	v_cmp_eq_u32_e64 s[0:1], 0, v0
	v_cmp_lt_u32_e64 s[2:3], 1, v0
	v_cmp_lt_u32_e64 s[4:5], 3, v0
	;; [unrolled: 1-line block ×3, first 2 shown]
	v_and_b32_e32 v0, 16, v12
	v_cmp_eq_u32_e64 s[8:9], 0, v0
	v_and_b32_e32 v0, 0x3c0, v4
	v_min_u32_e32 v0, 0xc0, v0
	v_or_b32_e32 v0, 63, v0
	v_cmp_eq_u32_e64 s[12:13], v4, v0
	v_subrev_co_u32_e64 v0, s[18:19], 1, v12
	v_and_b32_e32 v7, 64, v12
	v_cmp_lt_i32_e32 vcc, v0, v7
	s_mov_b32 s26, 0
	v_lshlrev_b32_e32 v5, 4, v4
	v_cndmask_b32_e32 v0, v0, v12, vcc
	v_lshlrev_b32_e32 v19, 2, v0
	v_lshrrev_b32_e32 v0, 4, v4
	v_and_b32_e32 v20, 60, v0
	v_mul_i32_i24_e32 v0, -12, v4
	v_and_b32_e32 v7, 3, v12
	s_mov_b32 s27, s26
	s_mov_b32 s40, s26
	;; [unrolled: 1-line block ×3, first 2 shown]
	v_cmp_lt_u32_e64 s[10:11], 31, v12
	v_cmp_gt_u32_e64 s[14:15], 4, v4
	v_cmp_lt_u32_e64 s[16:17], 63, v4
	v_cmp_eq_u32_e64 s[20:21], 0, v4
	v_cmp_eq_u32_e64 s[22:23], 0, v7
	v_cmp_lt_u32_e64 s[24:25], 1, v7
	v_add_u32_e32 v21, -4, v20
	v_lshl_add_u32 v22, v1, 1, v6
	v_mov_b64_e32 v[8:9], s[26:27]
	v_mov_b64_e32 v[10:11], s[40:41]
	v_mov_b32_e32 v13, 0
	v_add_u32_e32 v23, v5, v0
	s_mov_b32 s40, 0x5040100
	s_branch .LBB824_20
.LBB824_19:                             ;   in Loop: Header=BB824_20 Depth=1
	s_andn2_b64 vcc, exec, s[26:27]
	s_cbranch_vccz .LBB824_36
.LBB824_20:                             ; =>This Inner Loop Header: Depth=1
	v_mov_b64_e32 v[14:15], v[2:3]
	s_waitcnt lgkmcnt(0)
	s_min_u32 s26, s37, s35
	s_lshl_b32 s41, -1, s26
	v_lshrrev_b32_sdwa v0, s34, v14 dst_sel:DWORD dst_unused:UNUSED_PAD src0_sel:DWORD src1_sel:WORD_0
	v_bitop3_b32 v2, v0, s41, v0 bitop3:0x30
	v_and_b32_e32 v12, 1, v2
	v_lshl_add_u64 v[0:1], v[12:13], 0, -1
	v_cmp_ne_u32_e32 vcc, 0, v12
	s_waitcnt vmcnt(0)
	v_mov_b64_e32 v[6:7], v[16:17]
	v_lshlrev_b32_e32 v3, 4, v2
	v_xor_b32_e32 v1, vcc_hi, v1
	v_xor_b32_e32 v0, vcc_lo, v0
	v_and_b32_e32 v12, exec_hi, v1
	v_and_b32_e32 v16, exec_lo, v0
	v_lshlrev_b32_e32 v1, 30, v2
	v_mov_b32_e32 v0, v13
	v_cmp_gt_i64_e32 vcc, 0, v[0:1]
	v_not_b32_e32 v0, v1
	v_ashrrev_i32_e32 v0, 31, v0
	v_xor_b32_e32 v1, vcc_hi, v0
	v_xor_b32_e32 v0, vcc_lo, v0
	v_and_b32_e32 v12, v12, v1
	v_and_b32_e32 v16, v16, v0
	v_lshlrev_b32_e32 v1, 29, v2
	v_mov_b32_e32 v0, v13
	v_cmp_gt_i64_e32 vcc, 0, v[0:1]
	v_not_b32_e32 v0, v1
	v_ashrrev_i32_e32 v0, 31, v0
	v_xor_b32_e32 v1, vcc_hi, v0
	v_xor_b32_e32 v0, vcc_lo, v0
	v_and_b32_e32 v12, v12, v1
	v_and_b32_e32 v16, v16, v0
	;; [unrolled: 9-line block ×7, first 2 shown]
	v_mbcnt_lo_u32_b32 v2, v0, 0
	v_mbcnt_hi_u32_b32 v16, v1, v2
	v_cmp_eq_u32_e32 vcc, 0, v16
	v_cmp_ne_u64_e64 s[26:27], 0, v[0:1]
	s_and_b64 s[44:45], s[26:27], vcc
	v_add_u32_e32 v17, v18, v3
	ds_write2_b64 v5, v[8:9], v[10:11] offset0:2 offset1:3
	s_waitcnt lgkmcnt(0)
	s_barrier
	; wave barrier
	s_and_saveexec_b64 s[26:27], s[44:45]
; %bb.21:                               ;   in Loop: Header=BB824_20 Depth=1
	v_bcnt_u32_b32 v0, v0, 0
	v_bcnt_u32_b32 v0, v1, v0
	ds_write_b32 v17, v0 offset:16
; %bb.22:                               ;   in Loop: Header=BB824_20 Depth=1
	s_or_b64 exec, exec, s[26:27]
	v_lshrrev_b32_e32 v24, 16, v14
	s_not_b32 s41, s41
	v_lshrrev_b32_e32 v0, s34, v24
	v_and_b32_e32 v2, s41, v0
	v_lshlrev_b32_e32 v0, 4, v2
	v_and_b32_e32 v12, 1, v2
	v_add_u32_e32 v26, v18, v0
	v_lshl_add_u64 v[0:1], v[12:13], 0, -1
	v_cmp_ne_u32_e32 vcc, 0, v12
	; wave barrier
	s_nop 1
	v_xor_b32_e32 v1, vcc_hi, v1
	v_xor_b32_e32 v0, vcc_lo, v0
	v_and_b32_e32 v3, exec_hi, v1
	v_and_b32_e32 v12, exec_lo, v0
	v_lshlrev_b32_e32 v1, 30, v2
	v_mov_b32_e32 v0, v13
	v_cmp_gt_i64_e32 vcc, 0, v[0:1]
	v_not_b32_e32 v0, v1
	v_ashrrev_i32_e32 v0, 31, v0
	v_xor_b32_e32 v1, vcc_hi, v0
	v_xor_b32_e32 v0, vcc_lo, v0
	v_and_b32_e32 v3, v3, v1
	v_and_b32_e32 v12, v12, v0
	v_lshlrev_b32_e32 v1, 29, v2
	v_mov_b32_e32 v0, v13
	v_cmp_gt_i64_e32 vcc, 0, v[0:1]
	v_not_b32_e32 v0, v1
	v_ashrrev_i32_e32 v0, 31, v0
	v_xor_b32_e32 v1, vcc_hi, v0
	v_xor_b32_e32 v0, vcc_lo, v0
	v_and_b32_e32 v3, v3, v1
	v_and_b32_e32 v12, v12, v0
	;; [unrolled: 9-line block ×6, first 2 shown]
	v_lshlrev_b32_e32 v1, 24, v2
	v_mov_b32_e32 v0, v13
	v_cmp_gt_i64_e32 vcc, 0, v[0:1]
	v_not_b32_e32 v0, v1
	v_ashrrev_i32_e32 v0, 31, v0
	v_xor_b32_e32 v1, vcc_hi, v0
	v_xor_b32_e32 v0, vcc_lo, v0
	ds_read_b32 v25, v26 offset:16
	v_and_b32_e32 v0, v12, v0
	v_and_b32_e32 v1, v3, v1
	v_mbcnt_lo_u32_b32 v2, v0, 0
	v_mbcnt_hi_u32_b32 v27, v1, v2
	v_cmp_eq_u32_e32 vcc, 0, v27
	v_cmp_ne_u64_e64 s[26:27], 0, v[0:1]
	s_and_b64 s[44:45], s[26:27], vcc
	; wave barrier
	s_and_saveexec_b64 s[26:27], s[44:45]
	s_cbranch_execz .LBB824_24
; %bb.23:                               ;   in Loop: Header=BB824_20 Depth=1
	v_bcnt_u32_b32 v0, v0, 0
	v_bcnt_u32_b32 v0, v1, v0
	s_waitcnt lgkmcnt(0)
	v_add_u32_e32 v0, v25, v0
	ds_write_b32 v26, v0 offset:16
.LBB824_24:                             ;   in Loop: Header=BB824_20 Depth=1
	s_or_b64 exec, exec, s[26:27]
	v_lshrrev_b32_sdwa v0, s34, v15 dst_sel:DWORD dst_unused:UNUSED_PAD src0_sel:DWORD src1_sel:WORD_0
	v_and_b32_e32 v2, s41, v0
	v_lshlrev_b32_e32 v0, 4, v2
	v_and_b32_e32 v12, 1, v2
	v_add_u32_e32 v29, v18, v0
	v_lshl_add_u64 v[0:1], v[12:13], 0, -1
	v_cmp_ne_u32_e32 vcc, 0, v12
	; wave barrier
	s_nop 1
	v_xor_b32_e32 v1, vcc_hi, v1
	v_xor_b32_e32 v0, vcc_lo, v0
	v_and_b32_e32 v3, exec_hi, v1
	v_and_b32_e32 v12, exec_lo, v0
	v_lshlrev_b32_e32 v1, 30, v2
	v_mov_b32_e32 v0, v13
	v_cmp_gt_i64_e32 vcc, 0, v[0:1]
	v_not_b32_e32 v0, v1
	v_ashrrev_i32_e32 v0, 31, v0
	v_xor_b32_e32 v1, vcc_hi, v0
	v_xor_b32_e32 v0, vcc_lo, v0
	v_and_b32_e32 v3, v3, v1
	v_and_b32_e32 v12, v12, v0
	v_lshlrev_b32_e32 v1, 29, v2
	v_mov_b32_e32 v0, v13
	v_cmp_gt_i64_e32 vcc, 0, v[0:1]
	v_not_b32_e32 v0, v1
	v_ashrrev_i32_e32 v0, 31, v0
	v_xor_b32_e32 v1, vcc_hi, v0
	v_xor_b32_e32 v0, vcc_lo, v0
	v_and_b32_e32 v3, v3, v1
	v_and_b32_e32 v12, v12, v0
	;; [unrolled: 9-line block ×6, first 2 shown]
	v_lshlrev_b32_e32 v1, 24, v2
	v_mov_b32_e32 v0, v13
	v_cmp_gt_i64_e32 vcc, 0, v[0:1]
	v_not_b32_e32 v0, v1
	v_ashrrev_i32_e32 v0, 31, v0
	v_xor_b32_e32 v1, vcc_hi, v0
	v_xor_b32_e32 v0, vcc_lo, v0
	ds_read_b32 v28, v29 offset:16
	v_and_b32_e32 v0, v12, v0
	v_and_b32_e32 v1, v3, v1
	v_mbcnt_lo_u32_b32 v2, v0, 0
	v_mbcnt_hi_u32_b32 v31, v1, v2
	v_cmp_eq_u32_e32 vcc, 0, v31
	v_cmp_ne_u64_e64 s[26:27], 0, v[0:1]
	s_and_b64 s[44:45], s[26:27], vcc
	; wave barrier
	s_and_saveexec_b64 s[26:27], s[44:45]
	s_cbranch_execz .LBB824_26
; %bb.25:                               ;   in Loop: Header=BB824_20 Depth=1
	v_bcnt_u32_b32 v0, v0, 0
	v_bcnt_u32_b32 v0, v1, v0
	s_waitcnt lgkmcnt(0)
	v_add_u32_e32 v0, v28, v0
	ds_write_b32 v29, v0 offset:16
.LBB824_26:                             ;   in Loop: Header=BB824_20 Depth=1
	s_or_b64 exec, exec, s[26:27]
	v_lshrrev_b32_e32 v30, 16, v15
	v_lshrrev_b32_e32 v0, s34, v30
	v_and_b32_e32 v2, s41, v0
	v_lshlrev_b32_e32 v0, 4, v2
	v_and_b32_e32 v12, 1, v2
	v_add_u32_e32 v33, v18, v0
	v_lshl_add_u64 v[0:1], v[12:13], 0, -1
	v_cmp_ne_u32_e32 vcc, 0, v12
	; wave barrier
	s_nop 1
	v_xor_b32_e32 v1, vcc_hi, v1
	v_xor_b32_e32 v0, vcc_lo, v0
	v_and_b32_e32 v3, exec_hi, v1
	v_and_b32_e32 v12, exec_lo, v0
	v_lshlrev_b32_e32 v1, 30, v2
	v_mov_b32_e32 v0, v13
	v_cmp_gt_i64_e32 vcc, 0, v[0:1]
	v_not_b32_e32 v0, v1
	v_ashrrev_i32_e32 v0, 31, v0
	v_xor_b32_e32 v1, vcc_hi, v0
	v_xor_b32_e32 v0, vcc_lo, v0
	v_and_b32_e32 v3, v3, v1
	v_and_b32_e32 v12, v12, v0
	v_lshlrev_b32_e32 v1, 29, v2
	v_mov_b32_e32 v0, v13
	v_cmp_gt_i64_e32 vcc, 0, v[0:1]
	v_not_b32_e32 v0, v1
	v_ashrrev_i32_e32 v0, 31, v0
	v_xor_b32_e32 v1, vcc_hi, v0
	v_xor_b32_e32 v0, vcc_lo, v0
	v_and_b32_e32 v3, v3, v1
	v_and_b32_e32 v12, v12, v0
	;; [unrolled: 9-line block ×6, first 2 shown]
	v_lshlrev_b32_e32 v1, 24, v2
	v_mov_b32_e32 v0, v13
	v_cmp_gt_i64_e32 vcc, 0, v[0:1]
	v_not_b32_e32 v0, v1
	v_ashrrev_i32_e32 v0, 31, v0
	v_xor_b32_e32 v1, vcc_hi, v0
	v_xor_b32_e32 v0, vcc_lo, v0
	ds_read_b32 v32, v33 offset:16
	v_and_b32_e32 v0, v12, v0
	v_and_b32_e32 v1, v3, v1
	v_mbcnt_lo_u32_b32 v2, v0, 0
	v_mbcnt_hi_u32_b32 v12, v1, v2
	v_cmp_eq_u32_e32 vcc, 0, v12
	v_cmp_ne_u64_e64 s[26:27], 0, v[0:1]
	s_and_b64 s[44:45], s[26:27], vcc
	; wave barrier
	s_and_saveexec_b64 s[26:27], s[44:45]
	s_cbranch_execz .LBB824_28
; %bb.27:                               ;   in Loop: Header=BB824_20 Depth=1
	v_bcnt_u32_b32 v0, v0, 0
	v_bcnt_u32_b32 v0, v1, v0
	s_waitcnt lgkmcnt(0)
	v_add_u32_e32 v0, v32, v0
	ds_write_b32 v33, v0 offset:16
.LBB824_28:                             ;   in Loop: Header=BB824_20 Depth=1
	s_or_b64 exec, exec, s[26:27]
	; wave barrier
	s_waitcnt lgkmcnt(0)
	s_barrier
	ds_read2_b64 v[0:3], v5 offset0:2 offset1:3
	s_waitcnt lgkmcnt(0)
	v_add_u32_e32 v34, v1, v0
	v_add3_u32 v3, v34, v2, v3
	s_nop 1
	v_mov_b32_dpp v34, v3 row_shr:1 row_mask:0xf bank_mask:0xf
	v_cndmask_b32_e64 v34, v34, 0, s[0:1]
	v_add_u32_e32 v3, v34, v3
	s_nop 1
	v_mov_b32_dpp v34, v3 row_shr:2 row_mask:0xf bank_mask:0xf
	v_cndmask_b32_e64 v34, 0, v34, s[2:3]
	v_add_u32_e32 v3, v3, v34
	;; [unrolled: 4-line block ×4, first 2 shown]
	s_nop 1
	v_mov_b32_dpp v34, v3 row_bcast:15 row_mask:0xf bank_mask:0xf
	v_cndmask_b32_e64 v34, v34, 0, s[8:9]
	v_add_u32_e32 v3, v3, v34
	s_nop 1
	v_mov_b32_dpp v34, v3 row_bcast:31 row_mask:0xf bank_mask:0xf
	v_cndmask_b32_e64 v34, 0, v34, s[10:11]
	v_add_u32_e32 v3, v3, v34
	s_and_saveexec_b64 s[26:27], s[12:13]
; %bb.29:                               ;   in Loop: Header=BB824_20 Depth=1
	ds_write_b32 v20, v3
; %bb.30:                               ;   in Loop: Header=BB824_20 Depth=1
	s_or_b64 exec, exec, s[26:27]
	s_waitcnt lgkmcnt(0)
	s_barrier
	s_and_saveexec_b64 s[26:27], s[14:15]
	s_cbranch_execz .LBB824_32
; %bb.31:                               ;   in Loop: Header=BB824_20 Depth=1
	ds_read_b32 v34, v23
	s_waitcnt lgkmcnt(0)
	s_nop 0
	v_mov_b32_dpp v35, v34 row_shr:1 row_mask:0xf bank_mask:0xf
	v_cndmask_b32_e64 v35, v35, 0, s[22:23]
	v_add_u32_e32 v34, v35, v34
	s_nop 1
	v_mov_b32_dpp v35, v34 row_shr:2 row_mask:0xf bank_mask:0xf
	v_cndmask_b32_e64 v35, 0, v35, s[24:25]
	v_add_u32_e32 v34, v34, v35
	ds_write_b32 v23, v34
.LBB824_32:                             ;   in Loop: Header=BB824_20 Depth=1
	s_or_b64 exec, exec, s[26:27]
	v_mov_b32_e32 v34, 0
	s_waitcnt lgkmcnt(0)
	s_barrier
	s_and_saveexec_b64 s[26:27], s[16:17]
; %bb.33:                               ;   in Loop: Header=BB824_20 Depth=1
	ds_read_b32 v34, v21
; %bb.34:                               ;   in Loop: Header=BB824_20 Depth=1
	s_or_b64 exec, exec, s[26:27]
	s_waitcnt lgkmcnt(0)
	v_add_u32_e32 v3, v34, v3
	ds_bpermute_b32 v3, v19, v3
	s_add_i32 s34, s34, 8
	s_cmp_ge_u32 s34, s36
	s_mov_b64 s[26:27], -1
	s_waitcnt lgkmcnt(0)
	v_cndmask_b32_e64 v3, v3, v34, s[18:19]
	v_cndmask_b32_e64 v34, v3, 0, s[20:21]
	v_add_u32_e32 v35, v34, v0
	v_add_u32_e32 v0, v35, v1
	;; [unrolled: 1-line block ×3, first 2 shown]
	ds_write2_b64 v5, v[34:35], v[0:1] offset0:2 offset1:3
	s_waitcnt lgkmcnt(0)
	s_barrier
	ds_read_b32 v0, v17 offset:16
	ds_read_b32 v2, v26 offset:16
	ds_read_b32 v3, v29 offset:16
	ds_read_b32 v17, v33 offset:16
	v_lshlrev_b32_e32 v1, 1, v16
	s_waitcnt lgkmcnt(3)
	v_lshl_add_u32 v1, v0, 1, v1
	v_lshlrev_b32_e32 v0, 1, v27
	v_lshlrev_b32_e32 v16, 1, v25
	s_waitcnt lgkmcnt(2)
	v_lshlrev_b32_e32 v2, 1, v2
	v_add3_u32 v25, v0, v16, v2
	v_lshlrev_b32_e32 v0, 1, v31
	v_lshlrev_b32_e32 v2, 1, v28
	s_waitcnt lgkmcnt(1)
	v_lshlrev_b32_e32 v3, 1, v3
	v_add3_u32 v26, v0, v2, v3
	;; [unrolled: 5-line block ×3, first 2 shown]
                                        ; implicit-def: $vgpr2_vgpr3
                                        ; implicit-def: $vgpr16_vgpr17
	s_cbranch_scc1 .LBB824_19
; %bb.35:                               ;   in Loop: Header=BB824_20 Depth=1
	s_barrier
	ds_write_b16 v1, v14
	ds_write_b16 v25, v24
	;; [unrolled: 1-line block ×4, first 2 shown]
	s_waitcnt lgkmcnt(0)
	s_barrier
	ds_read_u16 v0, v22
	ds_read_u16 v2, v22 offset:128
	ds_read_u16 v3, v22 offset:256
	;; [unrolled: 1-line block ×3, first 2 shown]
	s_waitcnt lgkmcnt(0)
	s_barrier
	ds_write_b16 v1, v6
	ds_write_b16_d16_hi v25, v6
	ds_write_b16 v26, v7
	ds_write_b16_d16_hi v12, v7
	s_waitcnt lgkmcnt(0)
	s_barrier
	ds_read_u16 v27, v22
	ds_read_u16 v17, v22 offset:256
	ds_read_u16 v28, v22 offset:384
	;; [unrolled: 1-line block ×3, first 2 shown]
	v_perm_b32 v3, v16, v3, s40
	v_perm_b32 v2, v2, v0, s40
	s_add_i32 s35, s35, -8
	s_waitcnt lgkmcnt(1)
	v_perm_b32 v17, v28, v17, s40
	s_waitcnt lgkmcnt(0)
	v_perm_b32 v16, v29, v27, s40
	s_mov_b64 s[26:27], 0
	s_barrier
	s_branch .LBB824_19
.LBB824_36:
	v_lshlrev_b32_e32 v0, 1, v4
	s_barrier
	ds_write_b16 v1, v14
	ds_write_b16 v25, v24
	;; [unrolled: 1-line block ×4, first 2 shown]
	s_waitcnt lgkmcnt(0)
	s_barrier
	ds_read_u16 v13, v0
	ds_read_u16 v11, v0 offset:512
	ds_read_u16 v10, v0 offset:1024
	;; [unrolled: 1-line block ×3, first 2 shown]
	s_waitcnt lgkmcnt(0)
	s_barrier
	ds_write_b16 v1, v6
	ds_write_b16_d16_hi v25, v6
	ds_write_b16 v26, v7
	ds_write_b16_d16_hi v12, v7
	s_waitcnt lgkmcnt(0)
	s_barrier
	ds_read_u16 v8, v0
	ds_read_u16 v7, v0 offset:512
	ds_read_u16 v6, v0 offset:1024
	;; [unrolled: 1-line block ×3, first 2 shown]
	s_add_u32 s0, s38, s28
	s_addc_u32 s1, s39, s29
	v_mov_b32_e32 v1, 0
	s_andn2_b64 vcc, exec, s[30:31]
	v_lshl_add_u64 v[2:3], s[0:1], 0, v[0:1]
	s_cbranch_vccnz .LBB824_38
; %bb.37:
	s_add_u32 s0, s42, s28
	s_addc_u32 s1, s43, s29
	global_store_short v[2:3], v13, off
	global_store_short v[2:3], v11, off offset:512
	global_store_short v[2:3], v10, off offset:1024
	;; [unrolled: 1-line block ×3, first 2 shown]
	s_waitcnt lgkmcnt(3)
	global_store_short v0, v8, s[0:1]
	s_waitcnt lgkmcnt(2)
	global_store_short v0, v7, s[0:1] offset:512
	s_waitcnt lgkmcnt(1)
	global_store_short v0, v6, s[0:1] offset:1024
	s_mov_b64 s[4:5], -1
	s_cbranch_execz .LBB824_39
	s_branch .LBB824_52
.LBB824_38:
	s_mov_b64 s[4:5], 0
.LBB824_39:
	v_cmp_gt_u32_e32 vcc, s33, v4
	s_and_saveexec_b64 s[0:1], vcc
	s_cbranch_execz .LBB824_41
; %bb.40:
	global_store_short v[2:3], v13, off
.LBB824_41:
	s_or_b64 exec, exec, s[0:1]
	v_add_u32_e32 v1, 0x100, v4
	v_cmp_gt_u32_e64 s[0:1], s33, v1
	s_and_saveexec_b64 s[2:3], s[0:1]
	s_cbranch_execz .LBB824_43
; %bb.42:
	global_store_short v[2:3], v11, off offset:512
.LBB824_43:
	s_or_b64 exec, exec, s[2:3]
	v_add_u32_e32 v1, 0x200, v4
	v_cmp_gt_u32_e64 s[2:3], s33, v1
	s_and_saveexec_b64 s[4:5], s[2:3]
	s_cbranch_execz .LBB824_45
; %bb.44:
	global_store_short v[2:3], v10, off offset:1024
.LBB824_45:
	s_or_b64 exec, exec, s[4:5]
	v_add_u32_e32 v1, 0x300, v4
	v_cmp_gt_u32_e64 s[4:5], s33, v1
	s_and_saveexec_b64 s[6:7], s[4:5]
	s_cbranch_execz .LBB824_47
; %bb.46:
	global_store_short v[2:3], v9, off offset:1536
.LBB824_47:
	s_or_b64 exec, exec, s[6:7]
	s_add_u32 s6, s42, s28
	s_addc_u32 s7, s43, s29
	v_mov_b32_e32 v1, 0
	v_lshl_add_u64 v[2:3], s[6:7], 0, v[0:1]
	s_and_saveexec_b64 s[6:7], vcc
	s_cbranch_execnz .LBB824_57
; %bb.48:
	s_or_b64 exec, exec, s[6:7]
	s_and_saveexec_b64 s[6:7], s[0:1]
	s_cbranch_execnz .LBB824_58
.LBB824_49:
	s_or_b64 exec, exec, s[6:7]
	s_and_saveexec_b64 s[0:1], s[2:3]
	s_cbranch_execz .LBB824_51
.LBB824_50:
	s_waitcnt lgkmcnt(1)
	global_store_short v[2:3], v6, off offset:1024
.LBB824_51:
	s_or_b64 exec, exec, s[0:1]
.LBB824_52:
	s_and_saveexec_b64 s[0:1], s[4:5]
	s_cbranch_execnz .LBB824_54
; %bb.53:
	s_endpgm
.LBB824_54:
	s_add_u32 s0, s42, s28
	s_addc_u32 s1, s43, s29
	s_waitcnt lgkmcnt(0)
	global_store_short v0, v5, s[0:1] offset:1536
	s_endpgm
.LBB824_55:
	global_load_ushort v5, v[10:11], off
	v_mov_b32_e32 v17, v9
	s_waitcnt vmcnt(0)
	v_and_b32_e32 v16, 0xffff, v5
	s_or_b64 exec, exec, s[8:9]
	s_and_saveexec_b64 s[8:9], s[2:3]
	s_cbranch_execz .LBB824_13
.LBB824_56:
	global_load_ushort v5, v[10:11], off offset:128
	s_mov_b32 s2, 0x5040100
	s_waitcnt vmcnt(0)
	v_perm_b32 v16, v5, v16, s2
	s_or_b64 exec, exec, s[8:9]
	s_and_saveexec_b64 s[2:3], s[4:5]
	s_cbranch_execnz .LBB824_14
	s_branch .LBB824_15
.LBB824_57:
	s_waitcnt lgkmcnt(3)
	global_store_short v[2:3], v8, off
	s_or_b64 exec, exec, s[6:7]
	s_and_saveexec_b64 s[6:7], s[0:1]
	s_cbranch_execz .LBB824_49
.LBB824_58:
	s_waitcnt lgkmcnt(2)
	global_store_short v[2:3], v7, off offset:512
	s_or_b64 exec, exec, s[6:7]
	s_and_saveexec_b64 s[0:1], s[2:3]
	s_cbranch_execnz .LBB824_50
	s_branch .LBB824_51
	.section	.rodata,"a",@progbits
	.p2align	6, 0x0
	.amdhsa_kernel _ZN7rocprim17ROCPRIM_400000_NS6detail17trampoline_kernelINS0_13kernel_configILj256ELj4ELj4294967295EEENS1_37radix_sort_block_sort_config_selectorIttEEZNS1_21radix_sort_block_sortIS4_Lb0EN6thrust23THRUST_200600_302600_NS6detail15normal_iteratorINS9_10device_ptrItEEEESE_SE_SE_NS0_19identity_decomposerEEE10hipError_tT1_T2_T3_T4_jRjT5_jjP12ihipStream_tbEUlT_E_NS1_11comp_targetILNS1_3genE0ELNS1_11target_archE4294967295ELNS1_3gpuE0ELNS1_3repE0EEENS1_44radix_sort_block_sort_config_static_selectorELNS0_4arch9wavefront6targetE1EEEvSH_
		.amdhsa_group_segment_fixed_size 4112
		.amdhsa_private_segment_fixed_size 0
		.amdhsa_kernarg_size 304
		.amdhsa_user_sgpr_count 2
		.amdhsa_user_sgpr_dispatch_ptr 0
		.amdhsa_user_sgpr_queue_ptr 0
		.amdhsa_user_sgpr_kernarg_segment_ptr 1
		.amdhsa_user_sgpr_dispatch_id 0
		.amdhsa_user_sgpr_kernarg_preload_length 0
		.amdhsa_user_sgpr_kernarg_preload_offset 0
		.amdhsa_user_sgpr_private_segment_size 0
		.amdhsa_uses_dynamic_stack 0
		.amdhsa_enable_private_segment 0
		.amdhsa_system_sgpr_workgroup_id_x 1
		.amdhsa_system_sgpr_workgroup_id_y 0
		.amdhsa_system_sgpr_workgroup_id_z 0
		.amdhsa_system_sgpr_workgroup_info 0
		.amdhsa_system_vgpr_workitem_id 2
		.amdhsa_next_free_vgpr 36
		.amdhsa_next_free_sgpr 46
		.amdhsa_accum_offset 36
		.amdhsa_reserve_vcc 1
		.amdhsa_float_round_mode_32 0
		.amdhsa_float_round_mode_16_64 0
		.amdhsa_float_denorm_mode_32 3
		.amdhsa_float_denorm_mode_16_64 3
		.amdhsa_dx10_clamp 1
		.amdhsa_ieee_mode 1
		.amdhsa_fp16_overflow 0
		.amdhsa_tg_split 0
		.amdhsa_exception_fp_ieee_invalid_op 0
		.amdhsa_exception_fp_denorm_src 0
		.amdhsa_exception_fp_ieee_div_zero 0
		.amdhsa_exception_fp_ieee_overflow 0
		.amdhsa_exception_fp_ieee_underflow 0
		.amdhsa_exception_fp_ieee_inexact 0
		.amdhsa_exception_int_div_zero 0
	.end_amdhsa_kernel
	.section	.text._ZN7rocprim17ROCPRIM_400000_NS6detail17trampoline_kernelINS0_13kernel_configILj256ELj4ELj4294967295EEENS1_37radix_sort_block_sort_config_selectorIttEEZNS1_21radix_sort_block_sortIS4_Lb0EN6thrust23THRUST_200600_302600_NS6detail15normal_iteratorINS9_10device_ptrItEEEESE_SE_SE_NS0_19identity_decomposerEEE10hipError_tT1_T2_T3_T4_jRjT5_jjP12ihipStream_tbEUlT_E_NS1_11comp_targetILNS1_3genE0ELNS1_11target_archE4294967295ELNS1_3gpuE0ELNS1_3repE0EEENS1_44radix_sort_block_sort_config_static_selectorELNS0_4arch9wavefront6targetE1EEEvSH_,"axG",@progbits,_ZN7rocprim17ROCPRIM_400000_NS6detail17trampoline_kernelINS0_13kernel_configILj256ELj4ELj4294967295EEENS1_37radix_sort_block_sort_config_selectorIttEEZNS1_21radix_sort_block_sortIS4_Lb0EN6thrust23THRUST_200600_302600_NS6detail15normal_iteratorINS9_10device_ptrItEEEESE_SE_SE_NS0_19identity_decomposerEEE10hipError_tT1_T2_T3_T4_jRjT5_jjP12ihipStream_tbEUlT_E_NS1_11comp_targetILNS1_3genE0ELNS1_11target_archE4294967295ELNS1_3gpuE0ELNS1_3repE0EEENS1_44radix_sort_block_sort_config_static_selectorELNS0_4arch9wavefront6targetE1EEEvSH_,comdat
.Lfunc_end824:
	.size	_ZN7rocprim17ROCPRIM_400000_NS6detail17trampoline_kernelINS0_13kernel_configILj256ELj4ELj4294967295EEENS1_37radix_sort_block_sort_config_selectorIttEEZNS1_21radix_sort_block_sortIS4_Lb0EN6thrust23THRUST_200600_302600_NS6detail15normal_iteratorINS9_10device_ptrItEEEESE_SE_SE_NS0_19identity_decomposerEEE10hipError_tT1_T2_T3_T4_jRjT5_jjP12ihipStream_tbEUlT_E_NS1_11comp_targetILNS1_3genE0ELNS1_11target_archE4294967295ELNS1_3gpuE0ELNS1_3repE0EEENS1_44radix_sort_block_sort_config_static_selectorELNS0_4arch9wavefront6targetE1EEEvSH_, .Lfunc_end824-_ZN7rocprim17ROCPRIM_400000_NS6detail17trampoline_kernelINS0_13kernel_configILj256ELj4ELj4294967295EEENS1_37radix_sort_block_sort_config_selectorIttEEZNS1_21radix_sort_block_sortIS4_Lb0EN6thrust23THRUST_200600_302600_NS6detail15normal_iteratorINS9_10device_ptrItEEEESE_SE_SE_NS0_19identity_decomposerEEE10hipError_tT1_T2_T3_T4_jRjT5_jjP12ihipStream_tbEUlT_E_NS1_11comp_targetILNS1_3genE0ELNS1_11target_archE4294967295ELNS1_3gpuE0ELNS1_3repE0EEENS1_44radix_sort_block_sort_config_static_selectorELNS0_4arch9wavefront6targetE1EEEvSH_
                                        ; -- End function
	.set _ZN7rocprim17ROCPRIM_400000_NS6detail17trampoline_kernelINS0_13kernel_configILj256ELj4ELj4294967295EEENS1_37radix_sort_block_sort_config_selectorIttEEZNS1_21radix_sort_block_sortIS4_Lb0EN6thrust23THRUST_200600_302600_NS6detail15normal_iteratorINS9_10device_ptrItEEEESE_SE_SE_NS0_19identity_decomposerEEE10hipError_tT1_T2_T3_T4_jRjT5_jjP12ihipStream_tbEUlT_E_NS1_11comp_targetILNS1_3genE0ELNS1_11target_archE4294967295ELNS1_3gpuE0ELNS1_3repE0EEENS1_44radix_sort_block_sort_config_static_selectorELNS0_4arch9wavefront6targetE1EEEvSH_.num_vgpr, 36
	.set _ZN7rocprim17ROCPRIM_400000_NS6detail17trampoline_kernelINS0_13kernel_configILj256ELj4ELj4294967295EEENS1_37radix_sort_block_sort_config_selectorIttEEZNS1_21radix_sort_block_sortIS4_Lb0EN6thrust23THRUST_200600_302600_NS6detail15normal_iteratorINS9_10device_ptrItEEEESE_SE_SE_NS0_19identity_decomposerEEE10hipError_tT1_T2_T3_T4_jRjT5_jjP12ihipStream_tbEUlT_E_NS1_11comp_targetILNS1_3genE0ELNS1_11target_archE4294967295ELNS1_3gpuE0ELNS1_3repE0EEENS1_44radix_sort_block_sort_config_static_selectorELNS0_4arch9wavefront6targetE1EEEvSH_.num_agpr, 0
	.set _ZN7rocprim17ROCPRIM_400000_NS6detail17trampoline_kernelINS0_13kernel_configILj256ELj4ELj4294967295EEENS1_37radix_sort_block_sort_config_selectorIttEEZNS1_21radix_sort_block_sortIS4_Lb0EN6thrust23THRUST_200600_302600_NS6detail15normal_iteratorINS9_10device_ptrItEEEESE_SE_SE_NS0_19identity_decomposerEEE10hipError_tT1_T2_T3_T4_jRjT5_jjP12ihipStream_tbEUlT_E_NS1_11comp_targetILNS1_3genE0ELNS1_11target_archE4294967295ELNS1_3gpuE0ELNS1_3repE0EEENS1_44radix_sort_block_sort_config_static_selectorELNS0_4arch9wavefront6targetE1EEEvSH_.numbered_sgpr, 46
	.set _ZN7rocprim17ROCPRIM_400000_NS6detail17trampoline_kernelINS0_13kernel_configILj256ELj4ELj4294967295EEENS1_37radix_sort_block_sort_config_selectorIttEEZNS1_21radix_sort_block_sortIS4_Lb0EN6thrust23THRUST_200600_302600_NS6detail15normal_iteratorINS9_10device_ptrItEEEESE_SE_SE_NS0_19identity_decomposerEEE10hipError_tT1_T2_T3_T4_jRjT5_jjP12ihipStream_tbEUlT_E_NS1_11comp_targetILNS1_3genE0ELNS1_11target_archE4294967295ELNS1_3gpuE0ELNS1_3repE0EEENS1_44radix_sort_block_sort_config_static_selectorELNS0_4arch9wavefront6targetE1EEEvSH_.num_named_barrier, 0
	.set _ZN7rocprim17ROCPRIM_400000_NS6detail17trampoline_kernelINS0_13kernel_configILj256ELj4ELj4294967295EEENS1_37radix_sort_block_sort_config_selectorIttEEZNS1_21radix_sort_block_sortIS4_Lb0EN6thrust23THRUST_200600_302600_NS6detail15normal_iteratorINS9_10device_ptrItEEEESE_SE_SE_NS0_19identity_decomposerEEE10hipError_tT1_T2_T3_T4_jRjT5_jjP12ihipStream_tbEUlT_E_NS1_11comp_targetILNS1_3genE0ELNS1_11target_archE4294967295ELNS1_3gpuE0ELNS1_3repE0EEENS1_44radix_sort_block_sort_config_static_selectorELNS0_4arch9wavefront6targetE1EEEvSH_.private_seg_size, 0
	.set _ZN7rocprim17ROCPRIM_400000_NS6detail17trampoline_kernelINS0_13kernel_configILj256ELj4ELj4294967295EEENS1_37radix_sort_block_sort_config_selectorIttEEZNS1_21radix_sort_block_sortIS4_Lb0EN6thrust23THRUST_200600_302600_NS6detail15normal_iteratorINS9_10device_ptrItEEEESE_SE_SE_NS0_19identity_decomposerEEE10hipError_tT1_T2_T3_T4_jRjT5_jjP12ihipStream_tbEUlT_E_NS1_11comp_targetILNS1_3genE0ELNS1_11target_archE4294967295ELNS1_3gpuE0ELNS1_3repE0EEENS1_44radix_sort_block_sort_config_static_selectorELNS0_4arch9wavefront6targetE1EEEvSH_.uses_vcc, 1
	.set _ZN7rocprim17ROCPRIM_400000_NS6detail17trampoline_kernelINS0_13kernel_configILj256ELj4ELj4294967295EEENS1_37radix_sort_block_sort_config_selectorIttEEZNS1_21radix_sort_block_sortIS4_Lb0EN6thrust23THRUST_200600_302600_NS6detail15normal_iteratorINS9_10device_ptrItEEEESE_SE_SE_NS0_19identity_decomposerEEE10hipError_tT1_T2_T3_T4_jRjT5_jjP12ihipStream_tbEUlT_E_NS1_11comp_targetILNS1_3genE0ELNS1_11target_archE4294967295ELNS1_3gpuE0ELNS1_3repE0EEENS1_44radix_sort_block_sort_config_static_selectorELNS0_4arch9wavefront6targetE1EEEvSH_.uses_flat_scratch, 0
	.set _ZN7rocprim17ROCPRIM_400000_NS6detail17trampoline_kernelINS0_13kernel_configILj256ELj4ELj4294967295EEENS1_37radix_sort_block_sort_config_selectorIttEEZNS1_21radix_sort_block_sortIS4_Lb0EN6thrust23THRUST_200600_302600_NS6detail15normal_iteratorINS9_10device_ptrItEEEESE_SE_SE_NS0_19identity_decomposerEEE10hipError_tT1_T2_T3_T4_jRjT5_jjP12ihipStream_tbEUlT_E_NS1_11comp_targetILNS1_3genE0ELNS1_11target_archE4294967295ELNS1_3gpuE0ELNS1_3repE0EEENS1_44radix_sort_block_sort_config_static_selectorELNS0_4arch9wavefront6targetE1EEEvSH_.has_dyn_sized_stack, 0
	.set _ZN7rocprim17ROCPRIM_400000_NS6detail17trampoline_kernelINS0_13kernel_configILj256ELj4ELj4294967295EEENS1_37radix_sort_block_sort_config_selectorIttEEZNS1_21radix_sort_block_sortIS4_Lb0EN6thrust23THRUST_200600_302600_NS6detail15normal_iteratorINS9_10device_ptrItEEEESE_SE_SE_NS0_19identity_decomposerEEE10hipError_tT1_T2_T3_T4_jRjT5_jjP12ihipStream_tbEUlT_E_NS1_11comp_targetILNS1_3genE0ELNS1_11target_archE4294967295ELNS1_3gpuE0ELNS1_3repE0EEENS1_44radix_sort_block_sort_config_static_selectorELNS0_4arch9wavefront6targetE1EEEvSH_.has_recursion, 0
	.set _ZN7rocprim17ROCPRIM_400000_NS6detail17trampoline_kernelINS0_13kernel_configILj256ELj4ELj4294967295EEENS1_37radix_sort_block_sort_config_selectorIttEEZNS1_21radix_sort_block_sortIS4_Lb0EN6thrust23THRUST_200600_302600_NS6detail15normal_iteratorINS9_10device_ptrItEEEESE_SE_SE_NS0_19identity_decomposerEEE10hipError_tT1_T2_T3_T4_jRjT5_jjP12ihipStream_tbEUlT_E_NS1_11comp_targetILNS1_3genE0ELNS1_11target_archE4294967295ELNS1_3gpuE0ELNS1_3repE0EEENS1_44radix_sort_block_sort_config_static_selectorELNS0_4arch9wavefront6targetE1EEEvSH_.has_indirect_call, 0
	.section	.AMDGPU.csdata,"",@progbits
; Kernel info:
; codeLenInByte = 3996
; TotalNumSgprs: 52
; NumVgprs: 36
; NumAgprs: 0
; TotalNumVgprs: 36
; ScratchSize: 0
; MemoryBound: 0
; FloatMode: 240
; IeeeMode: 1
; LDSByteSize: 4112 bytes/workgroup (compile time only)
; SGPRBlocks: 6
; VGPRBlocks: 4
; NumSGPRsForWavesPerEU: 52
; NumVGPRsForWavesPerEU: 36
; AccumOffset: 36
; Occupancy: 8
; WaveLimiterHint : 1
; COMPUTE_PGM_RSRC2:SCRATCH_EN: 0
; COMPUTE_PGM_RSRC2:USER_SGPR: 2
; COMPUTE_PGM_RSRC2:TRAP_HANDLER: 0
; COMPUTE_PGM_RSRC2:TGID_X_EN: 1
; COMPUTE_PGM_RSRC2:TGID_Y_EN: 0
; COMPUTE_PGM_RSRC2:TGID_Z_EN: 0
; COMPUTE_PGM_RSRC2:TIDIG_COMP_CNT: 2
; COMPUTE_PGM_RSRC3_GFX90A:ACCUM_OFFSET: 8
; COMPUTE_PGM_RSRC3_GFX90A:TG_SPLIT: 0
	.section	.text._ZN7rocprim17ROCPRIM_400000_NS6detail17trampoline_kernelINS0_13kernel_configILj256ELj4ELj4294967295EEENS1_37radix_sort_block_sort_config_selectorIttEEZNS1_21radix_sort_block_sortIS4_Lb0EN6thrust23THRUST_200600_302600_NS6detail15normal_iteratorINS9_10device_ptrItEEEESE_SE_SE_NS0_19identity_decomposerEEE10hipError_tT1_T2_T3_T4_jRjT5_jjP12ihipStream_tbEUlT_E_NS1_11comp_targetILNS1_3genE5ELNS1_11target_archE942ELNS1_3gpuE9ELNS1_3repE0EEENS1_44radix_sort_block_sort_config_static_selectorELNS0_4arch9wavefront6targetE1EEEvSH_,"axG",@progbits,_ZN7rocprim17ROCPRIM_400000_NS6detail17trampoline_kernelINS0_13kernel_configILj256ELj4ELj4294967295EEENS1_37radix_sort_block_sort_config_selectorIttEEZNS1_21radix_sort_block_sortIS4_Lb0EN6thrust23THRUST_200600_302600_NS6detail15normal_iteratorINS9_10device_ptrItEEEESE_SE_SE_NS0_19identity_decomposerEEE10hipError_tT1_T2_T3_T4_jRjT5_jjP12ihipStream_tbEUlT_E_NS1_11comp_targetILNS1_3genE5ELNS1_11target_archE942ELNS1_3gpuE9ELNS1_3repE0EEENS1_44radix_sort_block_sort_config_static_selectorELNS0_4arch9wavefront6targetE1EEEvSH_,comdat
	.protected	_ZN7rocprim17ROCPRIM_400000_NS6detail17trampoline_kernelINS0_13kernel_configILj256ELj4ELj4294967295EEENS1_37radix_sort_block_sort_config_selectorIttEEZNS1_21radix_sort_block_sortIS4_Lb0EN6thrust23THRUST_200600_302600_NS6detail15normal_iteratorINS9_10device_ptrItEEEESE_SE_SE_NS0_19identity_decomposerEEE10hipError_tT1_T2_T3_T4_jRjT5_jjP12ihipStream_tbEUlT_E_NS1_11comp_targetILNS1_3genE5ELNS1_11target_archE942ELNS1_3gpuE9ELNS1_3repE0EEENS1_44radix_sort_block_sort_config_static_selectorELNS0_4arch9wavefront6targetE1EEEvSH_ ; -- Begin function _ZN7rocprim17ROCPRIM_400000_NS6detail17trampoline_kernelINS0_13kernel_configILj256ELj4ELj4294967295EEENS1_37radix_sort_block_sort_config_selectorIttEEZNS1_21radix_sort_block_sortIS4_Lb0EN6thrust23THRUST_200600_302600_NS6detail15normal_iteratorINS9_10device_ptrItEEEESE_SE_SE_NS0_19identity_decomposerEEE10hipError_tT1_T2_T3_T4_jRjT5_jjP12ihipStream_tbEUlT_E_NS1_11comp_targetILNS1_3genE5ELNS1_11target_archE942ELNS1_3gpuE9ELNS1_3repE0EEENS1_44radix_sort_block_sort_config_static_selectorELNS0_4arch9wavefront6targetE1EEEvSH_
	.globl	_ZN7rocprim17ROCPRIM_400000_NS6detail17trampoline_kernelINS0_13kernel_configILj256ELj4ELj4294967295EEENS1_37radix_sort_block_sort_config_selectorIttEEZNS1_21radix_sort_block_sortIS4_Lb0EN6thrust23THRUST_200600_302600_NS6detail15normal_iteratorINS9_10device_ptrItEEEESE_SE_SE_NS0_19identity_decomposerEEE10hipError_tT1_T2_T3_T4_jRjT5_jjP12ihipStream_tbEUlT_E_NS1_11comp_targetILNS1_3genE5ELNS1_11target_archE942ELNS1_3gpuE9ELNS1_3repE0EEENS1_44radix_sort_block_sort_config_static_selectorELNS0_4arch9wavefront6targetE1EEEvSH_
	.p2align	8
	.type	_ZN7rocprim17ROCPRIM_400000_NS6detail17trampoline_kernelINS0_13kernel_configILj256ELj4ELj4294967295EEENS1_37radix_sort_block_sort_config_selectorIttEEZNS1_21radix_sort_block_sortIS4_Lb0EN6thrust23THRUST_200600_302600_NS6detail15normal_iteratorINS9_10device_ptrItEEEESE_SE_SE_NS0_19identity_decomposerEEE10hipError_tT1_T2_T3_T4_jRjT5_jjP12ihipStream_tbEUlT_E_NS1_11comp_targetILNS1_3genE5ELNS1_11target_archE942ELNS1_3gpuE9ELNS1_3repE0EEENS1_44radix_sort_block_sort_config_static_selectorELNS0_4arch9wavefront6targetE1EEEvSH_,@function
_ZN7rocprim17ROCPRIM_400000_NS6detail17trampoline_kernelINS0_13kernel_configILj256ELj4ELj4294967295EEENS1_37radix_sort_block_sort_config_selectorIttEEZNS1_21radix_sort_block_sortIS4_Lb0EN6thrust23THRUST_200600_302600_NS6detail15normal_iteratorINS9_10device_ptrItEEEESE_SE_SE_NS0_19identity_decomposerEEE10hipError_tT1_T2_T3_T4_jRjT5_jjP12ihipStream_tbEUlT_E_NS1_11comp_targetILNS1_3genE5ELNS1_11target_archE942ELNS1_3gpuE9ELNS1_3repE0EEENS1_44radix_sort_block_sort_config_static_selectorELNS0_4arch9wavefront6targetE1EEEvSH_: ; @_ZN7rocprim17ROCPRIM_400000_NS6detail17trampoline_kernelINS0_13kernel_configILj256ELj4ELj4294967295EEENS1_37radix_sort_block_sort_config_selectorIttEEZNS1_21radix_sort_block_sortIS4_Lb0EN6thrust23THRUST_200600_302600_NS6detail15normal_iteratorINS9_10device_ptrItEEEESE_SE_SE_NS0_19identity_decomposerEEE10hipError_tT1_T2_T3_T4_jRjT5_jjP12ihipStream_tbEUlT_E_NS1_11comp_targetILNS1_3genE5ELNS1_11target_archE942ELNS1_3gpuE9ELNS1_3repE0EEENS1_44radix_sort_block_sort_config_static_selectorELNS0_4arch9wavefront6targetE1EEEvSH_
; %bb.0:
	.section	.rodata,"a",@progbits
	.p2align	6, 0x0
	.amdhsa_kernel _ZN7rocprim17ROCPRIM_400000_NS6detail17trampoline_kernelINS0_13kernel_configILj256ELj4ELj4294967295EEENS1_37radix_sort_block_sort_config_selectorIttEEZNS1_21radix_sort_block_sortIS4_Lb0EN6thrust23THRUST_200600_302600_NS6detail15normal_iteratorINS9_10device_ptrItEEEESE_SE_SE_NS0_19identity_decomposerEEE10hipError_tT1_T2_T3_T4_jRjT5_jjP12ihipStream_tbEUlT_E_NS1_11comp_targetILNS1_3genE5ELNS1_11target_archE942ELNS1_3gpuE9ELNS1_3repE0EEENS1_44radix_sort_block_sort_config_static_selectorELNS0_4arch9wavefront6targetE1EEEvSH_
		.amdhsa_group_segment_fixed_size 0
		.amdhsa_private_segment_fixed_size 0
		.amdhsa_kernarg_size 48
		.amdhsa_user_sgpr_count 2
		.amdhsa_user_sgpr_dispatch_ptr 0
		.amdhsa_user_sgpr_queue_ptr 0
		.amdhsa_user_sgpr_kernarg_segment_ptr 1
		.amdhsa_user_sgpr_dispatch_id 0
		.amdhsa_user_sgpr_kernarg_preload_length 0
		.amdhsa_user_sgpr_kernarg_preload_offset 0
		.amdhsa_user_sgpr_private_segment_size 0
		.amdhsa_uses_dynamic_stack 0
		.amdhsa_enable_private_segment 0
		.amdhsa_system_sgpr_workgroup_id_x 1
		.amdhsa_system_sgpr_workgroup_id_y 0
		.amdhsa_system_sgpr_workgroup_id_z 0
		.amdhsa_system_sgpr_workgroup_info 0
		.amdhsa_system_vgpr_workitem_id 0
		.amdhsa_next_free_vgpr 1
		.amdhsa_next_free_sgpr 0
		.amdhsa_accum_offset 4
		.amdhsa_reserve_vcc 0
		.amdhsa_float_round_mode_32 0
		.amdhsa_float_round_mode_16_64 0
		.amdhsa_float_denorm_mode_32 3
		.amdhsa_float_denorm_mode_16_64 3
		.amdhsa_dx10_clamp 1
		.amdhsa_ieee_mode 1
		.amdhsa_fp16_overflow 0
		.amdhsa_tg_split 0
		.amdhsa_exception_fp_ieee_invalid_op 0
		.amdhsa_exception_fp_denorm_src 0
		.amdhsa_exception_fp_ieee_div_zero 0
		.amdhsa_exception_fp_ieee_overflow 0
		.amdhsa_exception_fp_ieee_underflow 0
		.amdhsa_exception_fp_ieee_inexact 0
		.amdhsa_exception_int_div_zero 0
	.end_amdhsa_kernel
	.section	.text._ZN7rocprim17ROCPRIM_400000_NS6detail17trampoline_kernelINS0_13kernel_configILj256ELj4ELj4294967295EEENS1_37radix_sort_block_sort_config_selectorIttEEZNS1_21radix_sort_block_sortIS4_Lb0EN6thrust23THRUST_200600_302600_NS6detail15normal_iteratorINS9_10device_ptrItEEEESE_SE_SE_NS0_19identity_decomposerEEE10hipError_tT1_T2_T3_T4_jRjT5_jjP12ihipStream_tbEUlT_E_NS1_11comp_targetILNS1_3genE5ELNS1_11target_archE942ELNS1_3gpuE9ELNS1_3repE0EEENS1_44radix_sort_block_sort_config_static_selectorELNS0_4arch9wavefront6targetE1EEEvSH_,"axG",@progbits,_ZN7rocprim17ROCPRIM_400000_NS6detail17trampoline_kernelINS0_13kernel_configILj256ELj4ELj4294967295EEENS1_37radix_sort_block_sort_config_selectorIttEEZNS1_21radix_sort_block_sortIS4_Lb0EN6thrust23THRUST_200600_302600_NS6detail15normal_iteratorINS9_10device_ptrItEEEESE_SE_SE_NS0_19identity_decomposerEEE10hipError_tT1_T2_T3_T4_jRjT5_jjP12ihipStream_tbEUlT_E_NS1_11comp_targetILNS1_3genE5ELNS1_11target_archE942ELNS1_3gpuE9ELNS1_3repE0EEENS1_44radix_sort_block_sort_config_static_selectorELNS0_4arch9wavefront6targetE1EEEvSH_,comdat
.Lfunc_end825:
	.size	_ZN7rocprim17ROCPRIM_400000_NS6detail17trampoline_kernelINS0_13kernel_configILj256ELj4ELj4294967295EEENS1_37radix_sort_block_sort_config_selectorIttEEZNS1_21radix_sort_block_sortIS4_Lb0EN6thrust23THRUST_200600_302600_NS6detail15normal_iteratorINS9_10device_ptrItEEEESE_SE_SE_NS0_19identity_decomposerEEE10hipError_tT1_T2_T3_T4_jRjT5_jjP12ihipStream_tbEUlT_E_NS1_11comp_targetILNS1_3genE5ELNS1_11target_archE942ELNS1_3gpuE9ELNS1_3repE0EEENS1_44radix_sort_block_sort_config_static_selectorELNS0_4arch9wavefront6targetE1EEEvSH_, .Lfunc_end825-_ZN7rocprim17ROCPRIM_400000_NS6detail17trampoline_kernelINS0_13kernel_configILj256ELj4ELj4294967295EEENS1_37radix_sort_block_sort_config_selectorIttEEZNS1_21radix_sort_block_sortIS4_Lb0EN6thrust23THRUST_200600_302600_NS6detail15normal_iteratorINS9_10device_ptrItEEEESE_SE_SE_NS0_19identity_decomposerEEE10hipError_tT1_T2_T3_T4_jRjT5_jjP12ihipStream_tbEUlT_E_NS1_11comp_targetILNS1_3genE5ELNS1_11target_archE942ELNS1_3gpuE9ELNS1_3repE0EEENS1_44radix_sort_block_sort_config_static_selectorELNS0_4arch9wavefront6targetE1EEEvSH_
                                        ; -- End function
	.set _ZN7rocprim17ROCPRIM_400000_NS6detail17trampoline_kernelINS0_13kernel_configILj256ELj4ELj4294967295EEENS1_37radix_sort_block_sort_config_selectorIttEEZNS1_21radix_sort_block_sortIS4_Lb0EN6thrust23THRUST_200600_302600_NS6detail15normal_iteratorINS9_10device_ptrItEEEESE_SE_SE_NS0_19identity_decomposerEEE10hipError_tT1_T2_T3_T4_jRjT5_jjP12ihipStream_tbEUlT_E_NS1_11comp_targetILNS1_3genE5ELNS1_11target_archE942ELNS1_3gpuE9ELNS1_3repE0EEENS1_44radix_sort_block_sort_config_static_selectorELNS0_4arch9wavefront6targetE1EEEvSH_.num_vgpr, 0
	.set _ZN7rocprim17ROCPRIM_400000_NS6detail17trampoline_kernelINS0_13kernel_configILj256ELj4ELj4294967295EEENS1_37radix_sort_block_sort_config_selectorIttEEZNS1_21radix_sort_block_sortIS4_Lb0EN6thrust23THRUST_200600_302600_NS6detail15normal_iteratorINS9_10device_ptrItEEEESE_SE_SE_NS0_19identity_decomposerEEE10hipError_tT1_T2_T3_T4_jRjT5_jjP12ihipStream_tbEUlT_E_NS1_11comp_targetILNS1_3genE5ELNS1_11target_archE942ELNS1_3gpuE9ELNS1_3repE0EEENS1_44radix_sort_block_sort_config_static_selectorELNS0_4arch9wavefront6targetE1EEEvSH_.num_agpr, 0
	.set _ZN7rocprim17ROCPRIM_400000_NS6detail17trampoline_kernelINS0_13kernel_configILj256ELj4ELj4294967295EEENS1_37radix_sort_block_sort_config_selectorIttEEZNS1_21radix_sort_block_sortIS4_Lb0EN6thrust23THRUST_200600_302600_NS6detail15normal_iteratorINS9_10device_ptrItEEEESE_SE_SE_NS0_19identity_decomposerEEE10hipError_tT1_T2_T3_T4_jRjT5_jjP12ihipStream_tbEUlT_E_NS1_11comp_targetILNS1_3genE5ELNS1_11target_archE942ELNS1_3gpuE9ELNS1_3repE0EEENS1_44radix_sort_block_sort_config_static_selectorELNS0_4arch9wavefront6targetE1EEEvSH_.numbered_sgpr, 0
	.set _ZN7rocprim17ROCPRIM_400000_NS6detail17trampoline_kernelINS0_13kernel_configILj256ELj4ELj4294967295EEENS1_37radix_sort_block_sort_config_selectorIttEEZNS1_21radix_sort_block_sortIS4_Lb0EN6thrust23THRUST_200600_302600_NS6detail15normal_iteratorINS9_10device_ptrItEEEESE_SE_SE_NS0_19identity_decomposerEEE10hipError_tT1_T2_T3_T4_jRjT5_jjP12ihipStream_tbEUlT_E_NS1_11comp_targetILNS1_3genE5ELNS1_11target_archE942ELNS1_3gpuE9ELNS1_3repE0EEENS1_44radix_sort_block_sort_config_static_selectorELNS0_4arch9wavefront6targetE1EEEvSH_.num_named_barrier, 0
	.set _ZN7rocprim17ROCPRIM_400000_NS6detail17trampoline_kernelINS0_13kernel_configILj256ELj4ELj4294967295EEENS1_37radix_sort_block_sort_config_selectorIttEEZNS1_21radix_sort_block_sortIS4_Lb0EN6thrust23THRUST_200600_302600_NS6detail15normal_iteratorINS9_10device_ptrItEEEESE_SE_SE_NS0_19identity_decomposerEEE10hipError_tT1_T2_T3_T4_jRjT5_jjP12ihipStream_tbEUlT_E_NS1_11comp_targetILNS1_3genE5ELNS1_11target_archE942ELNS1_3gpuE9ELNS1_3repE0EEENS1_44radix_sort_block_sort_config_static_selectorELNS0_4arch9wavefront6targetE1EEEvSH_.private_seg_size, 0
	.set _ZN7rocprim17ROCPRIM_400000_NS6detail17trampoline_kernelINS0_13kernel_configILj256ELj4ELj4294967295EEENS1_37radix_sort_block_sort_config_selectorIttEEZNS1_21radix_sort_block_sortIS4_Lb0EN6thrust23THRUST_200600_302600_NS6detail15normal_iteratorINS9_10device_ptrItEEEESE_SE_SE_NS0_19identity_decomposerEEE10hipError_tT1_T2_T3_T4_jRjT5_jjP12ihipStream_tbEUlT_E_NS1_11comp_targetILNS1_3genE5ELNS1_11target_archE942ELNS1_3gpuE9ELNS1_3repE0EEENS1_44radix_sort_block_sort_config_static_selectorELNS0_4arch9wavefront6targetE1EEEvSH_.uses_vcc, 0
	.set _ZN7rocprim17ROCPRIM_400000_NS6detail17trampoline_kernelINS0_13kernel_configILj256ELj4ELj4294967295EEENS1_37radix_sort_block_sort_config_selectorIttEEZNS1_21radix_sort_block_sortIS4_Lb0EN6thrust23THRUST_200600_302600_NS6detail15normal_iteratorINS9_10device_ptrItEEEESE_SE_SE_NS0_19identity_decomposerEEE10hipError_tT1_T2_T3_T4_jRjT5_jjP12ihipStream_tbEUlT_E_NS1_11comp_targetILNS1_3genE5ELNS1_11target_archE942ELNS1_3gpuE9ELNS1_3repE0EEENS1_44radix_sort_block_sort_config_static_selectorELNS0_4arch9wavefront6targetE1EEEvSH_.uses_flat_scratch, 0
	.set _ZN7rocprim17ROCPRIM_400000_NS6detail17trampoline_kernelINS0_13kernel_configILj256ELj4ELj4294967295EEENS1_37radix_sort_block_sort_config_selectorIttEEZNS1_21radix_sort_block_sortIS4_Lb0EN6thrust23THRUST_200600_302600_NS6detail15normal_iteratorINS9_10device_ptrItEEEESE_SE_SE_NS0_19identity_decomposerEEE10hipError_tT1_T2_T3_T4_jRjT5_jjP12ihipStream_tbEUlT_E_NS1_11comp_targetILNS1_3genE5ELNS1_11target_archE942ELNS1_3gpuE9ELNS1_3repE0EEENS1_44radix_sort_block_sort_config_static_selectorELNS0_4arch9wavefront6targetE1EEEvSH_.has_dyn_sized_stack, 0
	.set _ZN7rocprim17ROCPRIM_400000_NS6detail17trampoline_kernelINS0_13kernel_configILj256ELj4ELj4294967295EEENS1_37radix_sort_block_sort_config_selectorIttEEZNS1_21radix_sort_block_sortIS4_Lb0EN6thrust23THRUST_200600_302600_NS6detail15normal_iteratorINS9_10device_ptrItEEEESE_SE_SE_NS0_19identity_decomposerEEE10hipError_tT1_T2_T3_T4_jRjT5_jjP12ihipStream_tbEUlT_E_NS1_11comp_targetILNS1_3genE5ELNS1_11target_archE942ELNS1_3gpuE9ELNS1_3repE0EEENS1_44radix_sort_block_sort_config_static_selectorELNS0_4arch9wavefront6targetE1EEEvSH_.has_recursion, 0
	.set _ZN7rocprim17ROCPRIM_400000_NS6detail17trampoline_kernelINS0_13kernel_configILj256ELj4ELj4294967295EEENS1_37radix_sort_block_sort_config_selectorIttEEZNS1_21radix_sort_block_sortIS4_Lb0EN6thrust23THRUST_200600_302600_NS6detail15normal_iteratorINS9_10device_ptrItEEEESE_SE_SE_NS0_19identity_decomposerEEE10hipError_tT1_T2_T3_T4_jRjT5_jjP12ihipStream_tbEUlT_E_NS1_11comp_targetILNS1_3genE5ELNS1_11target_archE942ELNS1_3gpuE9ELNS1_3repE0EEENS1_44radix_sort_block_sort_config_static_selectorELNS0_4arch9wavefront6targetE1EEEvSH_.has_indirect_call, 0
	.section	.AMDGPU.csdata,"",@progbits
; Kernel info:
; codeLenInByte = 0
; TotalNumSgprs: 6
; NumVgprs: 0
; NumAgprs: 0
; TotalNumVgprs: 0
; ScratchSize: 0
; MemoryBound: 0
; FloatMode: 240
; IeeeMode: 1
; LDSByteSize: 0 bytes/workgroup (compile time only)
; SGPRBlocks: 0
; VGPRBlocks: 0
; NumSGPRsForWavesPerEU: 6
; NumVGPRsForWavesPerEU: 1
; AccumOffset: 4
; Occupancy: 8
; WaveLimiterHint : 0
; COMPUTE_PGM_RSRC2:SCRATCH_EN: 0
; COMPUTE_PGM_RSRC2:USER_SGPR: 2
; COMPUTE_PGM_RSRC2:TRAP_HANDLER: 0
; COMPUTE_PGM_RSRC2:TGID_X_EN: 1
; COMPUTE_PGM_RSRC2:TGID_Y_EN: 0
; COMPUTE_PGM_RSRC2:TGID_Z_EN: 0
; COMPUTE_PGM_RSRC2:TIDIG_COMP_CNT: 0
; COMPUTE_PGM_RSRC3_GFX90A:ACCUM_OFFSET: 0
; COMPUTE_PGM_RSRC3_GFX90A:TG_SPLIT: 0
	.section	.text._ZN7rocprim17ROCPRIM_400000_NS6detail17trampoline_kernelINS0_13kernel_configILj256ELj4ELj4294967295EEENS1_37radix_sort_block_sort_config_selectorIttEEZNS1_21radix_sort_block_sortIS4_Lb0EN6thrust23THRUST_200600_302600_NS6detail15normal_iteratorINS9_10device_ptrItEEEESE_SE_SE_NS0_19identity_decomposerEEE10hipError_tT1_T2_T3_T4_jRjT5_jjP12ihipStream_tbEUlT_E_NS1_11comp_targetILNS1_3genE4ELNS1_11target_archE910ELNS1_3gpuE8ELNS1_3repE0EEENS1_44radix_sort_block_sort_config_static_selectorELNS0_4arch9wavefront6targetE1EEEvSH_,"axG",@progbits,_ZN7rocprim17ROCPRIM_400000_NS6detail17trampoline_kernelINS0_13kernel_configILj256ELj4ELj4294967295EEENS1_37radix_sort_block_sort_config_selectorIttEEZNS1_21radix_sort_block_sortIS4_Lb0EN6thrust23THRUST_200600_302600_NS6detail15normal_iteratorINS9_10device_ptrItEEEESE_SE_SE_NS0_19identity_decomposerEEE10hipError_tT1_T2_T3_T4_jRjT5_jjP12ihipStream_tbEUlT_E_NS1_11comp_targetILNS1_3genE4ELNS1_11target_archE910ELNS1_3gpuE8ELNS1_3repE0EEENS1_44radix_sort_block_sort_config_static_selectorELNS0_4arch9wavefront6targetE1EEEvSH_,comdat
	.protected	_ZN7rocprim17ROCPRIM_400000_NS6detail17trampoline_kernelINS0_13kernel_configILj256ELj4ELj4294967295EEENS1_37radix_sort_block_sort_config_selectorIttEEZNS1_21radix_sort_block_sortIS4_Lb0EN6thrust23THRUST_200600_302600_NS6detail15normal_iteratorINS9_10device_ptrItEEEESE_SE_SE_NS0_19identity_decomposerEEE10hipError_tT1_T2_T3_T4_jRjT5_jjP12ihipStream_tbEUlT_E_NS1_11comp_targetILNS1_3genE4ELNS1_11target_archE910ELNS1_3gpuE8ELNS1_3repE0EEENS1_44radix_sort_block_sort_config_static_selectorELNS0_4arch9wavefront6targetE1EEEvSH_ ; -- Begin function _ZN7rocprim17ROCPRIM_400000_NS6detail17trampoline_kernelINS0_13kernel_configILj256ELj4ELj4294967295EEENS1_37radix_sort_block_sort_config_selectorIttEEZNS1_21radix_sort_block_sortIS4_Lb0EN6thrust23THRUST_200600_302600_NS6detail15normal_iteratorINS9_10device_ptrItEEEESE_SE_SE_NS0_19identity_decomposerEEE10hipError_tT1_T2_T3_T4_jRjT5_jjP12ihipStream_tbEUlT_E_NS1_11comp_targetILNS1_3genE4ELNS1_11target_archE910ELNS1_3gpuE8ELNS1_3repE0EEENS1_44radix_sort_block_sort_config_static_selectorELNS0_4arch9wavefront6targetE1EEEvSH_
	.globl	_ZN7rocprim17ROCPRIM_400000_NS6detail17trampoline_kernelINS0_13kernel_configILj256ELj4ELj4294967295EEENS1_37radix_sort_block_sort_config_selectorIttEEZNS1_21radix_sort_block_sortIS4_Lb0EN6thrust23THRUST_200600_302600_NS6detail15normal_iteratorINS9_10device_ptrItEEEESE_SE_SE_NS0_19identity_decomposerEEE10hipError_tT1_T2_T3_T4_jRjT5_jjP12ihipStream_tbEUlT_E_NS1_11comp_targetILNS1_3genE4ELNS1_11target_archE910ELNS1_3gpuE8ELNS1_3repE0EEENS1_44radix_sort_block_sort_config_static_selectorELNS0_4arch9wavefront6targetE1EEEvSH_
	.p2align	8
	.type	_ZN7rocprim17ROCPRIM_400000_NS6detail17trampoline_kernelINS0_13kernel_configILj256ELj4ELj4294967295EEENS1_37radix_sort_block_sort_config_selectorIttEEZNS1_21radix_sort_block_sortIS4_Lb0EN6thrust23THRUST_200600_302600_NS6detail15normal_iteratorINS9_10device_ptrItEEEESE_SE_SE_NS0_19identity_decomposerEEE10hipError_tT1_T2_T3_T4_jRjT5_jjP12ihipStream_tbEUlT_E_NS1_11comp_targetILNS1_3genE4ELNS1_11target_archE910ELNS1_3gpuE8ELNS1_3repE0EEENS1_44radix_sort_block_sort_config_static_selectorELNS0_4arch9wavefront6targetE1EEEvSH_,@function
_ZN7rocprim17ROCPRIM_400000_NS6detail17trampoline_kernelINS0_13kernel_configILj256ELj4ELj4294967295EEENS1_37radix_sort_block_sort_config_selectorIttEEZNS1_21radix_sort_block_sortIS4_Lb0EN6thrust23THRUST_200600_302600_NS6detail15normal_iteratorINS9_10device_ptrItEEEESE_SE_SE_NS0_19identity_decomposerEEE10hipError_tT1_T2_T3_T4_jRjT5_jjP12ihipStream_tbEUlT_E_NS1_11comp_targetILNS1_3genE4ELNS1_11target_archE910ELNS1_3gpuE8ELNS1_3repE0EEENS1_44radix_sort_block_sort_config_static_selectorELNS0_4arch9wavefront6targetE1EEEvSH_: ; @_ZN7rocprim17ROCPRIM_400000_NS6detail17trampoline_kernelINS0_13kernel_configILj256ELj4ELj4294967295EEENS1_37radix_sort_block_sort_config_selectorIttEEZNS1_21radix_sort_block_sortIS4_Lb0EN6thrust23THRUST_200600_302600_NS6detail15normal_iteratorINS9_10device_ptrItEEEESE_SE_SE_NS0_19identity_decomposerEEE10hipError_tT1_T2_T3_T4_jRjT5_jjP12ihipStream_tbEUlT_E_NS1_11comp_targetILNS1_3genE4ELNS1_11target_archE910ELNS1_3gpuE8ELNS1_3repE0EEENS1_44radix_sort_block_sort_config_static_selectorELNS0_4arch9wavefront6targetE1EEEvSH_
; %bb.0:
	.section	.rodata,"a",@progbits
	.p2align	6, 0x0
	.amdhsa_kernel _ZN7rocprim17ROCPRIM_400000_NS6detail17trampoline_kernelINS0_13kernel_configILj256ELj4ELj4294967295EEENS1_37radix_sort_block_sort_config_selectorIttEEZNS1_21radix_sort_block_sortIS4_Lb0EN6thrust23THRUST_200600_302600_NS6detail15normal_iteratorINS9_10device_ptrItEEEESE_SE_SE_NS0_19identity_decomposerEEE10hipError_tT1_T2_T3_T4_jRjT5_jjP12ihipStream_tbEUlT_E_NS1_11comp_targetILNS1_3genE4ELNS1_11target_archE910ELNS1_3gpuE8ELNS1_3repE0EEENS1_44radix_sort_block_sort_config_static_selectorELNS0_4arch9wavefront6targetE1EEEvSH_
		.amdhsa_group_segment_fixed_size 0
		.amdhsa_private_segment_fixed_size 0
		.amdhsa_kernarg_size 48
		.amdhsa_user_sgpr_count 2
		.amdhsa_user_sgpr_dispatch_ptr 0
		.amdhsa_user_sgpr_queue_ptr 0
		.amdhsa_user_sgpr_kernarg_segment_ptr 1
		.amdhsa_user_sgpr_dispatch_id 0
		.amdhsa_user_sgpr_kernarg_preload_length 0
		.amdhsa_user_sgpr_kernarg_preload_offset 0
		.amdhsa_user_sgpr_private_segment_size 0
		.amdhsa_uses_dynamic_stack 0
		.amdhsa_enable_private_segment 0
		.amdhsa_system_sgpr_workgroup_id_x 1
		.amdhsa_system_sgpr_workgroup_id_y 0
		.amdhsa_system_sgpr_workgroup_id_z 0
		.amdhsa_system_sgpr_workgroup_info 0
		.amdhsa_system_vgpr_workitem_id 0
		.amdhsa_next_free_vgpr 1
		.amdhsa_next_free_sgpr 0
		.amdhsa_accum_offset 4
		.amdhsa_reserve_vcc 0
		.amdhsa_float_round_mode_32 0
		.amdhsa_float_round_mode_16_64 0
		.amdhsa_float_denorm_mode_32 3
		.amdhsa_float_denorm_mode_16_64 3
		.amdhsa_dx10_clamp 1
		.amdhsa_ieee_mode 1
		.amdhsa_fp16_overflow 0
		.amdhsa_tg_split 0
		.amdhsa_exception_fp_ieee_invalid_op 0
		.amdhsa_exception_fp_denorm_src 0
		.amdhsa_exception_fp_ieee_div_zero 0
		.amdhsa_exception_fp_ieee_overflow 0
		.amdhsa_exception_fp_ieee_underflow 0
		.amdhsa_exception_fp_ieee_inexact 0
		.amdhsa_exception_int_div_zero 0
	.end_amdhsa_kernel
	.section	.text._ZN7rocprim17ROCPRIM_400000_NS6detail17trampoline_kernelINS0_13kernel_configILj256ELj4ELj4294967295EEENS1_37radix_sort_block_sort_config_selectorIttEEZNS1_21radix_sort_block_sortIS4_Lb0EN6thrust23THRUST_200600_302600_NS6detail15normal_iteratorINS9_10device_ptrItEEEESE_SE_SE_NS0_19identity_decomposerEEE10hipError_tT1_T2_T3_T4_jRjT5_jjP12ihipStream_tbEUlT_E_NS1_11comp_targetILNS1_3genE4ELNS1_11target_archE910ELNS1_3gpuE8ELNS1_3repE0EEENS1_44radix_sort_block_sort_config_static_selectorELNS0_4arch9wavefront6targetE1EEEvSH_,"axG",@progbits,_ZN7rocprim17ROCPRIM_400000_NS6detail17trampoline_kernelINS0_13kernel_configILj256ELj4ELj4294967295EEENS1_37radix_sort_block_sort_config_selectorIttEEZNS1_21radix_sort_block_sortIS4_Lb0EN6thrust23THRUST_200600_302600_NS6detail15normal_iteratorINS9_10device_ptrItEEEESE_SE_SE_NS0_19identity_decomposerEEE10hipError_tT1_T2_T3_T4_jRjT5_jjP12ihipStream_tbEUlT_E_NS1_11comp_targetILNS1_3genE4ELNS1_11target_archE910ELNS1_3gpuE8ELNS1_3repE0EEENS1_44radix_sort_block_sort_config_static_selectorELNS0_4arch9wavefront6targetE1EEEvSH_,comdat
.Lfunc_end826:
	.size	_ZN7rocprim17ROCPRIM_400000_NS6detail17trampoline_kernelINS0_13kernel_configILj256ELj4ELj4294967295EEENS1_37radix_sort_block_sort_config_selectorIttEEZNS1_21radix_sort_block_sortIS4_Lb0EN6thrust23THRUST_200600_302600_NS6detail15normal_iteratorINS9_10device_ptrItEEEESE_SE_SE_NS0_19identity_decomposerEEE10hipError_tT1_T2_T3_T4_jRjT5_jjP12ihipStream_tbEUlT_E_NS1_11comp_targetILNS1_3genE4ELNS1_11target_archE910ELNS1_3gpuE8ELNS1_3repE0EEENS1_44radix_sort_block_sort_config_static_selectorELNS0_4arch9wavefront6targetE1EEEvSH_, .Lfunc_end826-_ZN7rocprim17ROCPRIM_400000_NS6detail17trampoline_kernelINS0_13kernel_configILj256ELj4ELj4294967295EEENS1_37radix_sort_block_sort_config_selectorIttEEZNS1_21radix_sort_block_sortIS4_Lb0EN6thrust23THRUST_200600_302600_NS6detail15normal_iteratorINS9_10device_ptrItEEEESE_SE_SE_NS0_19identity_decomposerEEE10hipError_tT1_T2_T3_T4_jRjT5_jjP12ihipStream_tbEUlT_E_NS1_11comp_targetILNS1_3genE4ELNS1_11target_archE910ELNS1_3gpuE8ELNS1_3repE0EEENS1_44radix_sort_block_sort_config_static_selectorELNS0_4arch9wavefront6targetE1EEEvSH_
                                        ; -- End function
	.set _ZN7rocprim17ROCPRIM_400000_NS6detail17trampoline_kernelINS0_13kernel_configILj256ELj4ELj4294967295EEENS1_37radix_sort_block_sort_config_selectorIttEEZNS1_21radix_sort_block_sortIS4_Lb0EN6thrust23THRUST_200600_302600_NS6detail15normal_iteratorINS9_10device_ptrItEEEESE_SE_SE_NS0_19identity_decomposerEEE10hipError_tT1_T2_T3_T4_jRjT5_jjP12ihipStream_tbEUlT_E_NS1_11comp_targetILNS1_3genE4ELNS1_11target_archE910ELNS1_3gpuE8ELNS1_3repE0EEENS1_44radix_sort_block_sort_config_static_selectorELNS0_4arch9wavefront6targetE1EEEvSH_.num_vgpr, 0
	.set _ZN7rocprim17ROCPRIM_400000_NS6detail17trampoline_kernelINS0_13kernel_configILj256ELj4ELj4294967295EEENS1_37radix_sort_block_sort_config_selectorIttEEZNS1_21radix_sort_block_sortIS4_Lb0EN6thrust23THRUST_200600_302600_NS6detail15normal_iteratorINS9_10device_ptrItEEEESE_SE_SE_NS0_19identity_decomposerEEE10hipError_tT1_T2_T3_T4_jRjT5_jjP12ihipStream_tbEUlT_E_NS1_11comp_targetILNS1_3genE4ELNS1_11target_archE910ELNS1_3gpuE8ELNS1_3repE0EEENS1_44radix_sort_block_sort_config_static_selectorELNS0_4arch9wavefront6targetE1EEEvSH_.num_agpr, 0
	.set _ZN7rocprim17ROCPRIM_400000_NS6detail17trampoline_kernelINS0_13kernel_configILj256ELj4ELj4294967295EEENS1_37radix_sort_block_sort_config_selectorIttEEZNS1_21radix_sort_block_sortIS4_Lb0EN6thrust23THRUST_200600_302600_NS6detail15normal_iteratorINS9_10device_ptrItEEEESE_SE_SE_NS0_19identity_decomposerEEE10hipError_tT1_T2_T3_T4_jRjT5_jjP12ihipStream_tbEUlT_E_NS1_11comp_targetILNS1_3genE4ELNS1_11target_archE910ELNS1_3gpuE8ELNS1_3repE0EEENS1_44radix_sort_block_sort_config_static_selectorELNS0_4arch9wavefront6targetE1EEEvSH_.numbered_sgpr, 0
	.set _ZN7rocprim17ROCPRIM_400000_NS6detail17trampoline_kernelINS0_13kernel_configILj256ELj4ELj4294967295EEENS1_37radix_sort_block_sort_config_selectorIttEEZNS1_21radix_sort_block_sortIS4_Lb0EN6thrust23THRUST_200600_302600_NS6detail15normal_iteratorINS9_10device_ptrItEEEESE_SE_SE_NS0_19identity_decomposerEEE10hipError_tT1_T2_T3_T4_jRjT5_jjP12ihipStream_tbEUlT_E_NS1_11comp_targetILNS1_3genE4ELNS1_11target_archE910ELNS1_3gpuE8ELNS1_3repE0EEENS1_44radix_sort_block_sort_config_static_selectorELNS0_4arch9wavefront6targetE1EEEvSH_.num_named_barrier, 0
	.set _ZN7rocprim17ROCPRIM_400000_NS6detail17trampoline_kernelINS0_13kernel_configILj256ELj4ELj4294967295EEENS1_37radix_sort_block_sort_config_selectorIttEEZNS1_21radix_sort_block_sortIS4_Lb0EN6thrust23THRUST_200600_302600_NS6detail15normal_iteratorINS9_10device_ptrItEEEESE_SE_SE_NS0_19identity_decomposerEEE10hipError_tT1_T2_T3_T4_jRjT5_jjP12ihipStream_tbEUlT_E_NS1_11comp_targetILNS1_3genE4ELNS1_11target_archE910ELNS1_3gpuE8ELNS1_3repE0EEENS1_44radix_sort_block_sort_config_static_selectorELNS0_4arch9wavefront6targetE1EEEvSH_.private_seg_size, 0
	.set _ZN7rocprim17ROCPRIM_400000_NS6detail17trampoline_kernelINS0_13kernel_configILj256ELj4ELj4294967295EEENS1_37radix_sort_block_sort_config_selectorIttEEZNS1_21radix_sort_block_sortIS4_Lb0EN6thrust23THRUST_200600_302600_NS6detail15normal_iteratorINS9_10device_ptrItEEEESE_SE_SE_NS0_19identity_decomposerEEE10hipError_tT1_T2_T3_T4_jRjT5_jjP12ihipStream_tbEUlT_E_NS1_11comp_targetILNS1_3genE4ELNS1_11target_archE910ELNS1_3gpuE8ELNS1_3repE0EEENS1_44radix_sort_block_sort_config_static_selectorELNS0_4arch9wavefront6targetE1EEEvSH_.uses_vcc, 0
	.set _ZN7rocprim17ROCPRIM_400000_NS6detail17trampoline_kernelINS0_13kernel_configILj256ELj4ELj4294967295EEENS1_37radix_sort_block_sort_config_selectorIttEEZNS1_21radix_sort_block_sortIS4_Lb0EN6thrust23THRUST_200600_302600_NS6detail15normal_iteratorINS9_10device_ptrItEEEESE_SE_SE_NS0_19identity_decomposerEEE10hipError_tT1_T2_T3_T4_jRjT5_jjP12ihipStream_tbEUlT_E_NS1_11comp_targetILNS1_3genE4ELNS1_11target_archE910ELNS1_3gpuE8ELNS1_3repE0EEENS1_44radix_sort_block_sort_config_static_selectorELNS0_4arch9wavefront6targetE1EEEvSH_.uses_flat_scratch, 0
	.set _ZN7rocprim17ROCPRIM_400000_NS6detail17trampoline_kernelINS0_13kernel_configILj256ELj4ELj4294967295EEENS1_37radix_sort_block_sort_config_selectorIttEEZNS1_21radix_sort_block_sortIS4_Lb0EN6thrust23THRUST_200600_302600_NS6detail15normal_iteratorINS9_10device_ptrItEEEESE_SE_SE_NS0_19identity_decomposerEEE10hipError_tT1_T2_T3_T4_jRjT5_jjP12ihipStream_tbEUlT_E_NS1_11comp_targetILNS1_3genE4ELNS1_11target_archE910ELNS1_3gpuE8ELNS1_3repE0EEENS1_44radix_sort_block_sort_config_static_selectorELNS0_4arch9wavefront6targetE1EEEvSH_.has_dyn_sized_stack, 0
	.set _ZN7rocprim17ROCPRIM_400000_NS6detail17trampoline_kernelINS0_13kernel_configILj256ELj4ELj4294967295EEENS1_37radix_sort_block_sort_config_selectorIttEEZNS1_21radix_sort_block_sortIS4_Lb0EN6thrust23THRUST_200600_302600_NS6detail15normal_iteratorINS9_10device_ptrItEEEESE_SE_SE_NS0_19identity_decomposerEEE10hipError_tT1_T2_T3_T4_jRjT5_jjP12ihipStream_tbEUlT_E_NS1_11comp_targetILNS1_3genE4ELNS1_11target_archE910ELNS1_3gpuE8ELNS1_3repE0EEENS1_44radix_sort_block_sort_config_static_selectorELNS0_4arch9wavefront6targetE1EEEvSH_.has_recursion, 0
	.set _ZN7rocprim17ROCPRIM_400000_NS6detail17trampoline_kernelINS0_13kernel_configILj256ELj4ELj4294967295EEENS1_37radix_sort_block_sort_config_selectorIttEEZNS1_21radix_sort_block_sortIS4_Lb0EN6thrust23THRUST_200600_302600_NS6detail15normal_iteratorINS9_10device_ptrItEEEESE_SE_SE_NS0_19identity_decomposerEEE10hipError_tT1_T2_T3_T4_jRjT5_jjP12ihipStream_tbEUlT_E_NS1_11comp_targetILNS1_3genE4ELNS1_11target_archE910ELNS1_3gpuE8ELNS1_3repE0EEENS1_44radix_sort_block_sort_config_static_selectorELNS0_4arch9wavefront6targetE1EEEvSH_.has_indirect_call, 0
	.section	.AMDGPU.csdata,"",@progbits
; Kernel info:
; codeLenInByte = 0
; TotalNumSgprs: 6
; NumVgprs: 0
; NumAgprs: 0
; TotalNumVgprs: 0
; ScratchSize: 0
; MemoryBound: 0
; FloatMode: 240
; IeeeMode: 1
; LDSByteSize: 0 bytes/workgroup (compile time only)
; SGPRBlocks: 0
; VGPRBlocks: 0
; NumSGPRsForWavesPerEU: 6
; NumVGPRsForWavesPerEU: 1
; AccumOffset: 4
; Occupancy: 8
; WaveLimiterHint : 0
; COMPUTE_PGM_RSRC2:SCRATCH_EN: 0
; COMPUTE_PGM_RSRC2:USER_SGPR: 2
; COMPUTE_PGM_RSRC2:TRAP_HANDLER: 0
; COMPUTE_PGM_RSRC2:TGID_X_EN: 1
; COMPUTE_PGM_RSRC2:TGID_Y_EN: 0
; COMPUTE_PGM_RSRC2:TGID_Z_EN: 0
; COMPUTE_PGM_RSRC2:TIDIG_COMP_CNT: 0
; COMPUTE_PGM_RSRC3_GFX90A:ACCUM_OFFSET: 0
; COMPUTE_PGM_RSRC3_GFX90A:TG_SPLIT: 0
	.section	.text._ZN7rocprim17ROCPRIM_400000_NS6detail17trampoline_kernelINS0_13kernel_configILj256ELj4ELj4294967295EEENS1_37radix_sort_block_sort_config_selectorIttEEZNS1_21radix_sort_block_sortIS4_Lb0EN6thrust23THRUST_200600_302600_NS6detail15normal_iteratorINS9_10device_ptrItEEEESE_SE_SE_NS0_19identity_decomposerEEE10hipError_tT1_T2_T3_T4_jRjT5_jjP12ihipStream_tbEUlT_E_NS1_11comp_targetILNS1_3genE3ELNS1_11target_archE908ELNS1_3gpuE7ELNS1_3repE0EEENS1_44radix_sort_block_sort_config_static_selectorELNS0_4arch9wavefront6targetE1EEEvSH_,"axG",@progbits,_ZN7rocprim17ROCPRIM_400000_NS6detail17trampoline_kernelINS0_13kernel_configILj256ELj4ELj4294967295EEENS1_37radix_sort_block_sort_config_selectorIttEEZNS1_21radix_sort_block_sortIS4_Lb0EN6thrust23THRUST_200600_302600_NS6detail15normal_iteratorINS9_10device_ptrItEEEESE_SE_SE_NS0_19identity_decomposerEEE10hipError_tT1_T2_T3_T4_jRjT5_jjP12ihipStream_tbEUlT_E_NS1_11comp_targetILNS1_3genE3ELNS1_11target_archE908ELNS1_3gpuE7ELNS1_3repE0EEENS1_44radix_sort_block_sort_config_static_selectorELNS0_4arch9wavefront6targetE1EEEvSH_,comdat
	.protected	_ZN7rocprim17ROCPRIM_400000_NS6detail17trampoline_kernelINS0_13kernel_configILj256ELj4ELj4294967295EEENS1_37radix_sort_block_sort_config_selectorIttEEZNS1_21radix_sort_block_sortIS4_Lb0EN6thrust23THRUST_200600_302600_NS6detail15normal_iteratorINS9_10device_ptrItEEEESE_SE_SE_NS0_19identity_decomposerEEE10hipError_tT1_T2_T3_T4_jRjT5_jjP12ihipStream_tbEUlT_E_NS1_11comp_targetILNS1_3genE3ELNS1_11target_archE908ELNS1_3gpuE7ELNS1_3repE0EEENS1_44radix_sort_block_sort_config_static_selectorELNS0_4arch9wavefront6targetE1EEEvSH_ ; -- Begin function _ZN7rocprim17ROCPRIM_400000_NS6detail17trampoline_kernelINS0_13kernel_configILj256ELj4ELj4294967295EEENS1_37radix_sort_block_sort_config_selectorIttEEZNS1_21radix_sort_block_sortIS4_Lb0EN6thrust23THRUST_200600_302600_NS6detail15normal_iteratorINS9_10device_ptrItEEEESE_SE_SE_NS0_19identity_decomposerEEE10hipError_tT1_T2_T3_T4_jRjT5_jjP12ihipStream_tbEUlT_E_NS1_11comp_targetILNS1_3genE3ELNS1_11target_archE908ELNS1_3gpuE7ELNS1_3repE0EEENS1_44radix_sort_block_sort_config_static_selectorELNS0_4arch9wavefront6targetE1EEEvSH_
	.globl	_ZN7rocprim17ROCPRIM_400000_NS6detail17trampoline_kernelINS0_13kernel_configILj256ELj4ELj4294967295EEENS1_37radix_sort_block_sort_config_selectorIttEEZNS1_21radix_sort_block_sortIS4_Lb0EN6thrust23THRUST_200600_302600_NS6detail15normal_iteratorINS9_10device_ptrItEEEESE_SE_SE_NS0_19identity_decomposerEEE10hipError_tT1_T2_T3_T4_jRjT5_jjP12ihipStream_tbEUlT_E_NS1_11comp_targetILNS1_3genE3ELNS1_11target_archE908ELNS1_3gpuE7ELNS1_3repE0EEENS1_44radix_sort_block_sort_config_static_selectorELNS0_4arch9wavefront6targetE1EEEvSH_
	.p2align	8
	.type	_ZN7rocprim17ROCPRIM_400000_NS6detail17trampoline_kernelINS0_13kernel_configILj256ELj4ELj4294967295EEENS1_37radix_sort_block_sort_config_selectorIttEEZNS1_21radix_sort_block_sortIS4_Lb0EN6thrust23THRUST_200600_302600_NS6detail15normal_iteratorINS9_10device_ptrItEEEESE_SE_SE_NS0_19identity_decomposerEEE10hipError_tT1_T2_T3_T4_jRjT5_jjP12ihipStream_tbEUlT_E_NS1_11comp_targetILNS1_3genE3ELNS1_11target_archE908ELNS1_3gpuE7ELNS1_3repE0EEENS1_44radix_sort_block_sort_config_static_selectorELNS0_4arch9wavefront6targetE1EEEvSH_,@function
_ZN7rocprim17ROCPRIM_400000_NS6detail17trampoline_kernelINS0_13kernel_configILj256ELj4ELj4294967295EEENS1_37radix_sort_block_sort_config_selectorIttEEZNS1_21radix_sort_block_sortIS4_Lb0EN6thrust23THRUST_200600_302600_NS6detail15normal_iteratorINS9_10device_ptrItEEEESE_SE_SE_NS0_19identity_decomposerEEE10hipError_tT1_T2_T3_T4_jRjT5_jjP12ihipStream_tbEUlT_E_NS1_11comp_targetILNS1_3genE3ELNS1_11target_archE908ELNS1_3gpuE7ELNS1_3repE0EEENS1_44radix_sort_block_sort_config_static_selectorELNS0_4arch9wavefront6targetE1EEEvSH_: ; @_ZN7rocprim17ROCPRIM_400000_NS6detail17trampoline_kernelINS0_13kernel_configILj256ELj4ELj4294967295EEENS1_37radix_sort_block_sort_config_selectorIttEEZNS1_21radix_sort_block_sortIS4_Lb0EN6thrust23THRUST_200600_302600_NS6detail15normal_iteratorINS9_10device_ptrItEEEESE_SE_SE_NS0_19identity_decomposerEEE10hipError_tT1_T2_T3_T4_jRjT5_jjP12ihipStream_tbEUlT_E_NS1_11comp_targetILNS1_3genE3ELNS1_11target_archE908ELNS1_3gpuE7ELNS1_3repE0EEENS1_44radix_sort_block_sort_config_static_selectorELNS0_4arch9wavefront6targetE1EEEvSH_
; %bb.0:
	.section	.rodata,"a",@progbits
	.p2align	6, 0x0
	.amdhsa_kernel _ZN7rocprim17ROCPRIM_400000_NS6detail17trampoline_kernelINS0_13kernel_configILj256ELj4ELj4294967295EEENS1_37radix_sort_block_sort_config_selectorIttEEZNS1_21radix_sort_block_sortIS4_Lb0EN6thrust23THRUST_200600_302600_NS6detail15normal_iteratorINS9_10device_ptrItEEEESE_SE_SE_NS0_19identity_decomposerEEE10hipError_tT1_T2_T3_T4_jRjT5_jjP12ihipStream_tbEUlT_E_NS1_11comp_targetILNS1_3genE3ELNS1_11target_archE908ELNS1_3gpuE7ELNS1_3repE0EEENS1_44radix_sort_block_sort_config_static_selectorELNS0_4arch9wavefront6targetE1EEEvSH_
		.amdhsa_group_segment_fixed_size 0
		.amdhsa_private_segment_fixed_size 0
		.amdhsa_kernarg_size 48
		.amdhsa_user_sgpr_count 2
		.amdhsa_user_sgpr_dispatch_ptr 0
		.amdhsa_user_sgpr_queue_ptr 0
		.amdhsa_user_sgpr_kernarg_segment_ptr 1
		.amdhsa_user_sgpr_dispatch_id 0
		.amdhsa_user_sgpr_kernarg_preload_length 0
		.amdhsa_user_sgpr_kernarg_preload_offset 0
		.amdhsa_user_sgpr_private_segment_size 0
		.amdhsa_uses_dynamic_stack 0
		.amdhsa_enable_private_segment 0
		.amdhsa_system_sgpr_workgroup_id_x 1
		.amdhsa_system_sgpr_workgroup_id_y 0
		.amdhsa_system_sgpr_workgroup_id_z 0
		.amdhsa_system_sgpr_workgroup_info 0
		.amdhsa_system_vgpr_workitem_id 0
		.amdhsa_next_free_vgpr 1
		.amdhsa_next_free_sgpr 0
		.amdhsa_accum_offset 4
		.amdhsa_reserve_vcc 0
		.amdhsa_float_round_mode_32 0
		.amdhsa_float_round_mode_16_64 0
		.amdhsa_float_denorm_mode_32 3
		.amdhsa_float_denorm_mode_16_64 3
		.amdhsa_dx10_clamp 1
		.amdhsa_ieee_mode 1
		.amdhsa_fp16_overflow 0
		.amdhsa_tg_split 0
		.amdhsa_exception_fp_ieee_invalid_op 0
		.amdhsa_exception_fp_denorm_src 0
		.amdhsa_exception_fp_ieee_div_zero 0
		.amdhsa_exception_fp_ieee_overflow 0
		.amdhsa_exception_fp_ieee_underflow 0
		.amdhsa_exception_fp_ieee_inexact 0
		.amdhsa_exception_int_div_zero 0
	.end_amdhsa_kernel
	.section	.text._ZN7rocprim17ROCPRIM_400000_NS6detail17trampoline_kernelINS0_13kernel_configILj256ELj4ELj4294967295EEENS1_37radix_sort_block_sort_config_selectorIttEEZNS1_21radix_sort_block_sortIS4_Lb0EN6thrust23THRUST_200600_302600_NS6detail15normal_iteratorINS9_10device_ptrItEEEESE_SE_SE_NS0_19identity_decomposerEEE10hipError_tT1_T2_T3_T4_jRjT5_jjP12ihipStream_tbEUlT_E_NS1_11comp_targetILNS1_3genE3ELNS1_11target_archE908ELNS1_3gpuE7ELNS1_3repE0EEENS1_44radix_sort_block_sort_config_static_selectorELNS0_4arch9wavefront6targetE1EEEvSH_,"axG",@progbits,_ZN7rocprim17ROCPRIM_400000_NS6detail17trampoline_kernelINS0_13kernel_configILj256ELj4ELj4294967295EEENS1_37radix_sort_block_sort_config_selectorIttEEZNS1_21radix_sort_block_sortIS4_Lb0EN6thrust23THRUST_200600_302600_NS6detail15normal_iteratorINS9_10device_ptrItEEEESE_SE_SE_NS0_19identity_decomposerEEE10hipError_tT1_T2_T3_T4_jRjT5_jjP12ihipStream_tbEUlT_E_NS1_11comp_targetILNS1_3genE3ELNS1_11target_archE908ELNS1_3gpuE7ELNS1_3repE0EEENS1_44radix_sort_block_sort_config_static_selectorELNS0_4arch9wavefront6targetE1EEEvSH_,comdat
.Lfunc_end827:
	.size	_ZN7rocprim17ROCPRIM_400000_NS6detail17trampoline_kernelINS0_13kernel_configILj256ELj4ELj4294967295EEENS1_37radix_sort_block_sort_config_selectorIttEEZNS1_21radix_sort_block_sortIS4_Lb0EN6thrust23THRUST_200600_302600_NS6detail15normal_iteratorINS9_10device_ptrItEEEESE_SE_SE_NS0_19identity_decomposerEEE10hipError_tT1_T2_T3_T4_jRjT5_jjP12ihipStream_tbEUlT_E_NS1_11comp_targetILNS1_3genE3ELNS1_11target_archE908ELNS1_3gpuE7ELNS1_3repE0EEENS1_44radix_sort_block_sort_config_static_selectorELNS0_4arch9wavefront6targetE1EEEvSH_, .Lfunc_end827-_ZN7rocprim17ROCPRIM_400000_NS6detail17trampoline_kernelINS0_13kernel_configILj256ELj4ELj4294967295EEENS1_37radix_sort_block_sort_config_selectorIttEEZNS1_21radix_sort_block_sortIS4_Lb0EN6thrust23THRUST_200600_302600_NS6detail15normal_iteratorINS9_10device_ptrItEEEESE_SE_SE_NS0_19identity_decomposerEEE10hipError_tT1_T2_T3_T4_jRjT5_jjP12ihipStream_tbEUlT_E_NS1_11comp_targetILNS1_3genE3ELNS1_11target_archE908ELNS1_3gpuE7ELNS1_3repE0EEENS1_44radix_sort_block_sort_config_static_selectorELNS0_4arch9wavefront6targetE1EEEvSH_
                                        ; -- End function
	.set _ZN7rocprim17ROCPRIM_400000_NS6detail17trampoline_kernelINS0_13kernel_configILj256ELj4ELj4294967295EEENS1_37radix_sort_block_sort_config_selectorIttEEZNS1_21radix_sort_block_sortIS4_Lb0EN6thrust23THRUST_200600_302600_NS6detail15normal_iteratorINS9_10device_ptrItEEEESE_SE_SE_NS0_19identity_decomposerEEE10hipError_tT1_T2_T3_T4_jRjT5_jjP12ihipStream_tbEUlT_E_NS1_11comp_targetILNS1_3genE3ELNS1_11target_archE908ELNS1_3gpuE7ELNS1_3repE0EEENS1_44radix_sort_block_sort_config_static_selectorELNS0_4arch9wavefront6targetE1EEEvSH_.num_vgpr, 0
	.set _ZN7rocprim17ROCPRIM_400000_NS6detail17trampoline_kernelINS0_13kernel_configILj256ELj4ELj4294967295EEENS1_37radix_sort_block_sort_config_selectorIttEEZNS1_21radix_sort_block_sortIS4_Lb0EN6thrust23THRUST_200600_302600_NS6detail15normal_iteratorINS9_10device_ptrItEEEESE_SE_SE_NS0_19identity_decomposerEEE10hipError_tT1_T2_T3_T4_jRjT5_jjP12ihipStream_tbEUlT_E_NS1_11comp_targetILNS1_3genE3ELNS1_11target_archE908ELNS1_3gpuE7ELNS1_3repE0EEENS1_44radix_sort_block_sort_config_static_selectorELNS0_4arch9wavefront6targetE1EEEvSH_.num_agpr, 0
	.set _ZN7rocprim17ROCPRIM_400000_NS6detail17trampoline_kernelINS0_13kernel_configILj256ELj4ELj4294967295EEENS1_37radix_sort_block_sort_config_selectorIttEEZNS1_21radix_sort_block_sortIS4_Lb0EN6thrust23THRUST_200600_302600_NS6detail15normal_iteratorINS9_10device_ptrItEEEESE_SE_SE_NS0_19identity_decomposerEEE10hipError_tT1_T2_T3_T4_jRjT5_jjP12ihipStream_tbEUlT_E_NS1_11comp_targetILNS1_3genE3ELNS1_11target_archE908ELNS1_3gpuE7ELNS1_3repE0EEENS1_44radix_sort_block_sort_config_static_selectorELNS0_4arch9wavefront6targetE1EEEvSH_.numbered_sgpr, 0
	.set _ZN7rocprim17ROCPRIM_400000_NS6detail17trampoline_kernelINS0_13kernel_configILj256ELj4ELj4294967295EEENS1_37radix_sort_block_sort_config_selectorIttEEZNS1_21radix_sort_block_sortIS4_Lb0EN6thrust23THRUST_200600_302600_NS6detail15normal_iteratorINS9_10device_ptrItEEEESE_SE_SE_NS0_19identity_decomposerEEE10hipError_tT1_T2_T3_T4_jRjT5_jjP12ihipStream_tbEUlT_E_NS1_11comp_targetILNS1_3genE3ELNS1_11target_archE908ELNS1_3gpuE7ELNS1_3repE0EEENS1_44radix_sort_block_sort_config_static_selectorELNS0_4arch9wavefront6targetE1EEEvSH_.num_named_barrier, 0
	.set _ZN7rocprim17ROCPRIM_400000_NS6detail17trampoline_kernelINS0_13kernel_configILj256ELj4ELj4294967295EEENS1_37radix_sort_block_sort_config_selectorIttEEZNS1_21radix_sort_block_sortIS4_Lb0EN6thrust23THRUST_200600_302600_NS6detail15normal_iteratorINS9_10device_ptrItEEEESE_SE_SE_NS0_19identity_decomposerEEE10hipError_tT1_T2_T3_T4_jRjT5_jjP12ihipStream_tbEUlT_E_NS1_11comp_targetILNS1_3genE3ELNS1_11target_archE908ELNS1_3gpuE7ELNS1_3repE0EEENS1_44radix_sort_block_sort_config_static_selectorELNS0_4arch9wavefront6targetE1EEEvSH_.private_seg_size, 0
	.set _ZN7rocprim17ROCPRIM_400000_NS6detail17trampoline_kernelINS0_13kernel_configILj256ELj4ELj4294967295EEENS1_37radix_sort_block_sort_config_selectorIttEEZNS1_21radix_sort_block_sortIS4_Lb0EN6thrust23THRUST_200600_302600_NS6detail15normal_iteratorINS9_10device_ptrItEEEESE_SE_SE_NS0_19identity_decomposerEEE10hipError_tT1_T2_T3_T4_jRjT5_jjP12ihipStream_tbEUlT_E_NS1_11comp_targetILNS1_3genE3ELNS1_11target_archE908ELNS1_3gpuE7ELNS1_3repE0EEENS1_44radix_sort_block_sort_config_static_selectorELNS0_4arch9wavefront6targetE1EEEvSH_.uses_vcc, 0
	.set _ZN7rocprim17ROCPRIM_400000_NS6detail17trampoline_kernelINS0_13kernel_configILj256ELj4ELj4294967295EEENS1_37radix_sort_block_sort_config_selectorIttEEZNS1_21radix_sort_block_sortIS4_Lb0EN6thrust23THRUST_200600_302600_NS6detail15normal_iteratorINS9_10device_ptrItEEEESE_SE_SE_NS0_19identity_decomposerEEE10hipError_tT1_T2_T3_T4_jRjT5_jjP12ihipStream_tbEUlT_E_NS1_11comp_targetILNS1_3genE3ELNS1_11target_archE908ELNS1_3gpuE7ELNS1_3repE0EEENS1_44radix_sort_block_sort_config_static_selectorELNS0_4arch9wavefront6targetE1EEEvSH_.uses_flat_scratch, 0
	.set _ZN7rocprim17ROCPRIM_400000_NS6detail17trampoline_kernelINS0_13kernel_configILj256ELj4ELj4294967295EEENS1_37radix_sort_block_sort_config_selectorIttEEZNS1_21radix_sort_block_sortIS4_Lb0EN6thrust23THRUST_200600_302600_NS6detail15normal_iteratorINS9_10device_ptrItEEEESE_SE_SE_NS0_19identity_decomposerEEE10hipError_tT1_T2_T3_T4_jRjT5_jjP12ihipStream_tbEUlT_E_NS1_11comp_targetILNS1_3genE3ELNS1_11target_archE908ELNS1_3gpuE7ELNS1_3repE0EEENS1_44radix_sort_block_sort_config_static_selectorELNS0_4arch9wavefront6targetE1EEEvSH_.has_dyn_sized_stack, 0
	.set _ZN7rocprim17ROCPRIM_400000_NS6detail17trampoline_kernelINS0_13kernel_configILj256ELj4ELj4294967295EEENS1_37radix_sort_block_sort_config_selectorIttEEZNS1_21radix_sort_block_sortIS4_Lb0EN6thrust23THRUST_200600_302600_NS6detail15normal_iteratorINS9_10device_ptrItEEEESE_SE_SE_NS0_19identity_decomposerEEE10hipError_tT1_T2_T3_T4_jRjT5_jjP12ihipStream_tbEUlT_E_NS1_11comp_targetILNS1_3genE3ELNS1_11target_archE908ELNS1_3gpuE7ELNS1_3repE0EEENS1_44radix_sort_block_sort_config_static_selectorELNS0_4arch9wavefront6targetE1EEEvSH_.has_recursion, 0
	.set _ZN7rocprim17ROCPRIM_400000_NS6detail17trampoline_kernelINS0_13kernel_configILj256ELj4ELj4294967295EEENS1_37radix_sort_block_sort_config_selectorIttEEZNS1_21radix_sort_block_sortIS4_Lb0EN6thrust23THRUST_200600_302600_NS6detail15normal_iteratorINS9_10device_ptrItEEEESE_SE_SE_NS0_19identity_decomposerEEE10hipError_tT1_T2_T3_T4_jRjT5_jjP12ihipStream_tbEUlT_E_NS1_11comp_targetILNS1_3genE3ELNS1_11target_archE908ELNS1_3gpuE7ELNS1_3repE0EEENS1_44radix_sort_block_sort_config_static_selectorELNS0_4arch9wavefront6targetE1EEEvSH_.has_indirect_call, 0
	.section	.AMDGPU.csdata,"",@progbits
; Kernel info:
; codeLenInByte = 0
; TotalNumSgprs: 6
; NumVgprs: 0
; NumAgprs: 0
; TotalNumVgprs: 0
; ScratchSize: 0
; MemoryBound: 0
; FloatMode: 240
; IeeeMode: 1
; LDSByteSize: 0 bytes/workgroup (compile time only)
; SGPRBlocks: 0
; VGPRBlocks: 0
; NumSGPRsForWavesPerEU: 6
; NumVGPRsForWavesPerEU: 1
; AccumOffset: 4
; Occupancy: 8
; WaveLimiterHint : 0
; COMPUTE_PGM_RSRC2:SCRATCH_EN: 0
; COMPUTE_PGM_RSRC2:USER_SGPR: 2
; COMPUTE_PGM_RSRC2:TRAP_HANDLER: 0
; COMPUTE_PGM_RSRC2:TGID_X_EN: 1
; COMPUTE_PGM_RSRC2:TGID_Y_EN: 0
; COMPUTE_PGM_RSRC2:TGID_Z_EN: 0
; COMPUTE_PGM_RSRC2:TIDIG_COMP_CNT: 0
; COMPUTE_PGM_RSRC3_GFX90A:ACCUM_OFFSET: 0
; COMPUTE_PGM_RSRC3_GFX90A:TG_SPLIT: 0
	.section	.text._ZN7rocprim17ROCPRIM_400000_NS6detail17trampoline_kernelINS0_13kernel_configILj256ELj4ELj4294967295EEENS1_37radix_sort_block_sort_config_selectorIttEEZNS1_21radix_sort_block_sortIS4_Lb0EN6thrust23THRUST_200600_302600_NS6detail15normal_iteratorINS9_10device_ptrItEEEESE_SE_SE_NS0_19identity_decomposerEEE10hipError_tT1_T2_T3_T4_jRjT5_jjP12ihipStream_tbEUlT_E_NS1_11comp_targetILNS1_3genE2ELNS1_11target_archE906ELNS1_3gpuE6ELNS1_3repE0EEENS1_44radix_sort_block_sort_config_static_selectorELNS0_4arch9wavefront6targetE1EEEvSH_,"axG",@progbits,_ZN7rocprim17ROCPRIM_400000_NS6detail17trampoline_kernelINS0_13kernel_configILj256ELj4ELj4294967295EEENS1_37radix_sort_block_sort_config_selectorIttEEZNS1_21radix_sort_block_sortIS4_Lb0EN6thrust23THRUST_200600_302600_NS6detail15normal_iteratorINS9_10device_ptrItEEEESE_SE_SE_NS0_19identity_decomposerEEE10hipError_tT1_T2_T3_T4_jRjT5_jjP12ihipStream_tbEUlT_E_NS1_11comp_targetILNS1_3genE2ELNS1_11target_archE906ELNS1_3gpuE6ELNS1_3repE0EEENS1_44radix_sort_block_sort_config_static_selectorELNS0_4arch9wavefront6targetE1EEEvSH_,comdat
	.protected	_ZN7rocprim17ROCPRIM_400000_NS6detail17trampoline_kernelINS0_13kernel_configILj256ELj4ELj4294967295EEENS1_37radix_sort_block_sort_config_selectorIttEEZNS1_21radix_sort_block_sortIS4_Lb0EN6thrust23THRUST_200600_302600_NS6detail15normal_iteratorINS9_10device_ptrItEEEESE_SE_SE_NS0_19identity_decomposerEEE10hipError_tT1_T2_T3_T4_jRjT5_jjP12ihipStream_tbEUlT_E_NS1_11comp_targetILNS1_3genE2ELNS1_11target_archE906ELNS1_3gpuE6ELNS1_3repE0EEENS1_44radix_sort_block_sort_config_static_selectorELNS0_4arch9wavefront6targetE1EEEvSH_ ; -- Begin function _ZN7rocprim17ROCPRIM_400000_NS6detail17trampoline_kernelINS0_13kernel_configILj256ELj4ELj4294967295EEENS1_37radix_sort_block_sort_config_selectorIttEEZNS1_21radix_sort_block_sortIS4_Lb0EN6thrust23THRUST_200600_302600_NS6detail15normal_iteratorINS9_10device_ptrItEEEESE_SE_SE_NS0_19identity_decomposerEEE10hipError_tT1_T2_T3_T4_jRjT5_jjP12ihipStream_tbEUlT_E_NS1_11comp_targetILNS1_3genE2ELNS1_11target_archE906ELNS1_3gpuE6ELNS1_3repE0EEENS1_44radix_sort_block_sort_config_static_selectorELNS0_4arch9wavefront6targetE1EEEvSH_
	.globl	_ZN7rocprim17ROCPRIM_400000_NS6detail17trampoline_kernelINS0_13kernel_configILj256ELj4ELj4294967295EEENS1_37radix_sort_block_sort_config_selectorIttEEZNS1_21radix_sort_block_sortIS4_Lb0EN6thrust23THRUST_200600_302600_NS6detail15normal_iteratorINS9_10device_ptrItEEEESE_SE_SE_NS0_19identity_decomposerEEE10hipError_tT1_T2_T3_T4_jRjT5_jjP12ihipStream_tbEUlT_E_NS1_11comp_targetILNS1_3genE2ELNS1_11target_archE906ELNS1_3gpuE6ELNS1_3repE0EEENS1_44radix_sort_block_sort_config_static_selectorELNS0_4arch9wavefront6targetE1EEEvSH_
	.p2align	8
	.type	_ZN7rocprim17ROCPRIM_400000_NS6detail17trampoline_kernelINS0_13kernel_configILj256ELj4ELj4294967295EEENS1_37radix_sort_block_sort_config_selectorIttEEZNS1_21radix_sort_block_sortIS4_Lb0EN6thrust23THRUST_200600_302600_NS6detail15normal_iteratorINS9_10device_ptrItEEEESE_SE_SE_NS0_19identity_decomposerEEE10hipError_tT1_T2_T3_T4_jRjT5_jjP12ihipStream_tbEUlT_E_NS1_11comp_targetILNS1_3genE2ELNS1_11target_archE906ELNS1_3gpuE6ELNS1_3repE0EEENS1_44radix_sort_block_sort_config_static_selectorELNS0_4arch9wavefront6targetE1EEEvSH_,@function
_ZN7rocprim17ROCPRIM_400000_NS6detail17trampoline_kernelINS0_13kernel_configILj256ELj4ELj4294967295EEENS1_37radix_sort_block_sort_config_selectorIttEEZNS1_21radix_sort_block_sortIS4_Lb0EN6thrust23THRUST_200600_302600_NS6detail15normal_iteratorINS9_10device_ptrItEEEESE_SE_SE_NS0_19identity_decomposerEEE10hipError_tT1_T2_T3_T4_jRjT5_jjP12ihipStream_tbEUlT_E_NS1_11comp_targetILNS1_3genE2ELNS1_11target_archE906ELNS1_3gpuE6ELNS1_3repE0EEENS1_44radix_sort_block_sort_config_static_selectorELNS0_4arch9wavefront6targetE1EEEvSH_: ; @_ZN7rocprim17ROCPRIM_400000_NS6detail17trampoline_kernelINS0_13kernel_configILj256ELj4ELj4294967295EEENS1_37radix_sort_block_sort_config_selectorIttEEZNS1_21radix_sort_block_sortIS4_Lb0EN6thrust23THRUST_200600_302600_NS6detail15normal_iteratorINS9_10device_ptrItEEEESE_SE_SE_NS0_19identity_decomposerEEE10hipError_tT1_T2_T3_T4_jRjT5_jjP12ihipStream_tbEUlT_E_NS1_11comp_targetILNS1_3genE2ELNS1_11target_archE906ELNS1_3gpuE6ELNS1_3repE0EEENS1_44radix_sort_block_sort_config_static_selectorELNS0_4arch9wavefront6targetE1EEEvSH_
; %bb.0:
	.section	.rodata,"a",@progbits
	.p2align	6, 0x0
	.amdhsa_kernel _ZN7rocprim17ROCPRIM_400000_NS6detail17trampoline_kernelINS0_13kernel_configILj256ELj4ELj4294967295EEENS1_37radix_sort_block_sort_config_selectorIttEEZNS1_21radix_sort_block_sortIS4_Lb0EN6thrust23THRUST_200600_302600_NS6detail15normal_iteratorINS9_10device_ptrItEEEESE_SE_SE_NS0_19identity_decomposerEEE10hipError_tT1_T2_T3_T4_jRjT5_jjP12ihipStream_tbEUlT_E_NS1_11comp_targetILNS1_3genE2ELNS1_11target_archE906ELNS1_3gpuE6ELNS1_3repE0EEENS1_44radix_sort_block_sort_config_static_selectorELNS0_4arch9wavefront6targetE1EEEvSH_
		.amdhsa_group_segment_fixed_size 0
		.amdhsa_private_segment_fixed_size 0
		.amdhsa_kernarg_size 48
		.amdhsa_user_sgpr_count 2
		.amdhsa_user_sgpr_dispatch_ptr 0
		.amdhsa_user_sgpr_queue_ptr 0
		.amdhsa_user_sgpr_kernarg_segment_ptr 1
		.amdhsa_user_sgpr_dispatch_id 0
		.amdhsa_user_sgpr_kernarg_preload_length 0
		.amdhsa_user_sgpr_kernarg_preload_offset 0
		.amdhsa_user_sgpr_private_segment_size 0
		.amdhsa_uses_dynamic_stack 0
		.amdhsa_enable_private_segment 0
		.amdhsa_system_sgpr_workgroup_id_x 1
		.amdhsa_system_sgpr_workgroup_id_y 0
		.amdhsa_system_sgpr_workgroup_id_z 0
		.amdhsa_system_sgpr_workgroup_info 0
		.amdhsa_system_vgpr_workitem_id 0
		.amdhsa_next_free_vgpr 1
		.amdhsa_next_free_sgpr 0
		.amdhsa_accum_offset 4
		.amdhsa_reserve_vcc 0
		.amdhsa_float_round_mode_32 0
		.amdhsa_float_round_mode_16_64 0
		.amdhsa_float_denorm_mode_32 3
		.amdhsa_float_denorm_mode_16_64 3
		.amdhsa_dx10_clamp 1
		.amdhsa_ieee_mode 1
		.amdhsa_fp16_overflow 0
		.amdhsa_tg_split 0
		.amdhsa_exception_fp_ieee_invalid_op 0
		.amdhsa_exception_fp_denorm_src 0
		.amdhsa_exception_fp_ieee_div_zero 0
		.amdhsa_exception_fp_ieee_overflow 0
		.amdhsa_exception_fp_ieee_underflow 0
		.amdhsa_exception_fp_ieee_inexact 0
		.amdhsa_exception_int_div_zero 0
	.end_amdhsa_kernel
	.section	.text._ZN7rocprim17ROCPRIM_400000_NS6detail17trampoline_kernelINS0_13kernel_configILj256ELj4ELj4294967295EEENS1_37radix_sort_block_sort_config_selectorIttEEZNS1_21radix_sort_block_sortIS4_Lb0EN6thrust23THRUST_200600_302600_NS6detail15normal_iteratorINS9_10device_ptrItEEEESE_SE_SE_NS0_19identity_decomposerEEE10hipError_tT1_T2_T3_T4_jRjT5_jjP12ihipStream_tbEUlT_E_NS1_11comp_targetILNS1_3genE2ELNS1_11target_archE906ELNS1_3gpuE6ELNS1_3repE0EEENS1_44radix_sort_block_sort_config_static_selectorELNS0_4arch9wavefront6targetE1EEEvSH_,"axG",@progbits,_ZN7rocprim17ROCPRIM_400000_NS6detail17trampoline_kernelINS0_13kernel_configILj256ELj4ELj4294967295EEENS1_37radix_sort_block_sort_config_selectorIttEEZNS1_21radix_sort_block_sortIS4_Lb0EN6thrust23THRUST_200600_302600_NS6detail15normal_iteratorINS9_10device_ptrItEEEESE_SE_SE_NS0_19identity_decomposerEEE10hipError_tT1_T2_T3_T4_jRjT5_jjP12ihipStream_tbEUlT_E_NS1_11comp_targetILNS1_3genE2ELNS1_11target_archE906ELNS1_3gpuE6ELNS1_3repE0EEENS1_44radix_sort_block_sort_config_static_selectorELNS0_4arch9wavefront6targetE1EEEvSH_,comdat
.Lfunc_end828:
	.size	_ZN7rocprim17ROCPRIM_400000_NS6detail17trampoline_kernelINS0_13kernel_configILj256ELj4ELj4294967295EEENS1_37radix_sort_block_sort_config_selectorIttEEZNS1_21radix_sort_block_sortIS4_Lb0EN6thrust23THRUST_200600_302600_NS6detail15normal_iteratorINS9_10device_ptrItEEEESE_SE_SE_NS0_19identity_decomposerEEE10hipError_tT1_T2_T3_T4_jRjT5_jjP12ihipStream_tbEUlT_E_NS1_11comp_targetILNS1_3genE2ELNS1_11target_archE906ELNS1_3gpuE6ELNS1_3repE0EEENS1_44radix_sort_block_sort_config_static_selectorELNS0_4arch9wavefront6targetE1EEEvSH_, .Lfunc_end828-_ZN7rocprim17ROCPRIM_400000_NS6detail17trampoline_kernelINS0_13kernel_configILj256ELj4ELj4294967295EEENS1_37radix_sort_block_sort_config_selectorIttEEZNS1_21radix_sort_block_sortIS4_Lb0EN6thrust23THRUST_200600_302600_NS6detail15normal_iteratorINS9_10device_ptrItEEEESE_SE_SE_NS0_19identity_decomposerEEE10hipError_tT1_T2_T3_T4_jRjT5_jjP12ihipStream_tbEUlT_E_NS1_11comp_targetILNS1_3genE2ELNS1_11target_archE906ELNS1_3gpuE6ELNS1_3repE0EEENS1_44radix_sort_block_sort_config_static_selectorELNS0_4arch9wavefront6targetE1EEEvSH_
                                        ; -- End function
	.set _ZN7rocprim17ROCPRIM_400000_NS6detail17trampoline_kernelINS0_13kernel_configILj256ELj4ELj4294967295EEENS1_37radix_sort_block_sort_config_selectorIttEEZNS1_21radix_sort_block_sortIS4_Lb0EN6thrust23THRUST_200600_302600_NS6detail15normal_iteratorINS9_10device_ptrItEEEESE_SE_SE_NS0_19identity_decomposerEEE10hipError_tT1_T2_T3_T4_jRjT5_jjP12ihipStream_tbEUlT_E_NS1_11comp_targetILNS1_3genE2ELNS1_11target_archE906ELNS1_3gpuE6ELNS1_3repE0EEENS1_44radix_sort_block_sort_config_static_selectorELNS0_4arch9wavefront6targetE1EEEvSH_.num_vgpr, 0
	.set _ZN7rocprim17ROCPRIM_400000_NS6detail17trampoline_kernelINS0_13kernel_configILj256ELj4ELj4294967295EEENS1_37radix_sort_block_sort_config_selectorIttEEZNS1_21radix_sort_block_sortIS4_Lb0EN6thrust23THRUST_200600_302600_NS6detail15normal_iteratorINS9_10device_ptrItEEEESE_SE_SE_NS0_19identity_decomposerEEE10hipError_tT1_T2_T3_T4_jRjT5_jjP12ihipStream_tbEUlT_E_NS1_11comp_targetILNS1_3genE2ELNS1_11target_archE906ELNS1_3gpuE6ELNS1_3repE0EEENS1_44radix_sort_block_sort_config_static_selectorELNS0_4arch9wavefront6targetE1EEEvSH_.num_agpr, 0
	.set _ZN7rocprim17ROCPRIM_400000_NS6detail17trampoline_kernelINS0_13kernel_configILj256ELj4ELj4294967295EEENS1_37radix_sort_block_sort_config_selectorIttEEZNS1_21radix_sort_block_sortIS4_Lb0EN6thrust23THRUST_200600_302600_NS6detail15normal_iteratorINS9_10device_ptrItEEEESE_SE_SE_NS0_19identity_decomposerEEE10hipError_tT1_T2_T3_T4_jRjT5_jjP12ihipStream_tbEUlT_E_NS1_11comp_targetILNS1_3genE2ELNS1_11target_archE906ELNS1_3gpuE6ELNS1_3repE0EEENS1_44radix_sort_block_sort_config_static_selectorELNS0_4arch9wavefront6targetE1EEEvSH_.numbered_sgpr, 0
	.set _ZN7rocprim17ROCPRIM_400000_NS6detail17trampoline_kernelINS0_13kernel_configILj256ELj4ELj4294967295EEENS1_37radix_sort_block_sort_config_selectorIttEEZNS1_21radix_sort_block_sortIS4_Lb0EN6thrust23THRUST_200600_302600_NS6detail15normal_iteratorINS9_10device_ptrItEEEESE_SE_SE_NS0_19identity_decomposerEEE10hipError_tT1_T2_T3_T4_jRjT5_jjP12ihipStream_tbEUlT_E_NS1_11comp_targetILNS1_3genE2ELNS1_11target_archE906ELNS1_3gpuE6ELNS1_3repE0EEENS1_44radix_sort_block_sort_config_static_selectorELNS0_4arch9wavefront6targetE1EEEvSH_.num_named_barrier, 0
	.set _ZN7rocprim17ROCPRIM_400000_NS6detail17trampoline_kernelINS0_13kernel_configILj256ELj4ELj4294967295EEENS1_37radix_sort_block_sort_config_selectorIttEEZNS1_21radix_sort_block_sortIS4_Lb0EN6thrust23THRUST_200600_302600_NS6detail15normal_iteratorINS9_10device_ptrItEEEESE_SE_SE_NS0_19identity_decomposerEEE10hipError_tT1_T2_T3_T4_jRjT5_jjP12ihipStream_tbEUlT_E_NS1_11comp_targetILNS1_3genE2ELNS1_11target_archE906ELNS1_3gpuE6ELNS1_3repE0EEENS1_44radix_sort_block_sort_config_static_selectorELNS0_4arch9wavefront6targetE1EEEvSH_.private_seg_size, 0
	.set _ZN7rocprim17ROCPRIM_400000_NS6detail17trampoline_kernelINS0_13kernel_configILj256ELj4ELj4294967295EEENS1_37radix_sort_block_sort_config_selectorIttEEZNS1_21radix_sort_block_sortIS4_Lb0EN6thrust23THRUST_200600_302600_NS6detail15normal_iteratorINS9_10device_ptrItEEEESE_SE_SE_NS0_19identity_decomposerEEE10hipError_tT1_T2_T3_T4_jRjT5_jjP12ihipStream_tbEUlT_E_NS1_11comp_targetILNS1_3genE2ELNS1_11target_archE906ELNS1_3gpuE6ELNS1_3repE0EEENS1_44radix_sort_block_sort_config_static_selectorELNS0_4arch9wavefront6targetE1EEEvSH_.uses_vcc, 0
	.set _ZN7rocprim17ROCPRIM_400000_NS6detail17trampoline_kernelINS0_13kernel_configILj256ELj4ELj4294967295EEENS1_37radix_sort_block_sort_config_selectorIttEEZNS1_21radix_sort_block_sortIS4_Lb0EN6thrust23THRUST_200600_302600_NS6detail15normal_iteratorINS9_10device_ptrItEEEESE_SE_SE_NS0_19identity_decomposerEEE10hipError_tT1_T2_T3_T4_jRjT5_jjP12ihipStream_tbEUlT_E_NS1_11comp_targetILNS1_3genE2ELNS1_11target_archE906ELNS1_3gpuE6ELNS1_3repE0EEENS1_44radix_sort_block_sort_config_static_selectorELNS0_4arch9wavefront6targetE1EEEvSH_.uses_flat_scratch, 0
	.set _ZN7rocprim17ROCPRIM_400000_NS6detail17trampoline_kernelINS0_13kernel_configILj256ELj4ELj4294967295EEENS1_37radix_sort_block_sort_config_selectorIttEEZNS1_21radix_sort_block_sortIS4_Lb0EN6thrust23THRUST_200600_302600_NS6detail15normal_iteratorINS9_10device_ptrItEEEESE_SE_SE_NS0_19identity_decomposerEEE10hipError_tT1_T2_T3_T4_jRjT5_jjP12ihipStream_tbEUlT_E_NS1_11comp_targetILNS1_3genE2ELNS1_11target_archE906ELNS1_3gpuE6ELNS1_3repE0EEENS1_44radix_sort_block_sort_config_static_selectorELNS0_4arch9wavefront6targetE1EEEvSH_.has_dyn_sized_stack, 0
	.set _ZN7rocprim17ROCPRIM_400000_NS6detail17trampoline_kernelINS0_13kernel_configILj256ELj4ELj4294967295EEENS1_37radix_sort_block_sort_config_selectorIttEEZNS1_21radix_sort_block_sortIS4_Lb0EN6thrust23THRUST_200600_302600_NS6detail15normal_iteratorINS9_10device_ptrItEEEESE_SE_SE_NS0_19identity_decomposerEEE10hipError_tT1_T2_T3_T4_jRjT5_jjP12ihipStream_tbEUlT_E_NS1_11comp_targetILNS1_3genE2ELNS1_11target_archE906ELNS1_3gpuE6ELNS1_3repE0EEENS1_44radix_sort_block_sort_config_static_selectorELNS0_4arch9wavefront6targetE1EEEvSH_.has_recursion, 0
	.set _ZN7rocprim17ROCPRIM_400000_NS6detail17trampoline_kernelINS0_13kernel_configILj256ELj4ELj4294967295EEENS1_37radix_sort_block_sort_config_selectorIttEEZNS1_21radix_sort_block_sortIS4_Lb0EN6thrust23THRUST_200600_302600_NS6detail15normal_iteratorINS9_10device_ptrItEEEESE_SE_SE_NS0_19identity_decomposerEEE10hipError_tT1_T2_T3_T4_jRjT5_jjP12ihipStream_tbEUlT_E_NS1_11comp_targetILNS1_3genE2ELNS1_11target_archE906ELNS1_3gpuE6ELNS1_3repE0EEENS1_44radix_sort_block_sort_config_static_selectorELNS0_4arch9wavefront6targetE1EEEvSH_.has_indirect_call, 0
	.section	.AMDGPU.csdata,"",@progbits
; Kernel info:
; codeLenInByte = 0
; TotalNumSgprs: 6
; NumVgprs: 0
; NumAgprs: 0
; TotalNumVgprs: 0
; ScratchSize: 0
; MemoryBound: 0
; FloatMode: 240
; IeeeMode: 1
; LDSByteSize: 0 bytes/workgroup (compile time only)
; SGPRBlocks: 0
; VGPRBlocks: 0
; NumSGPRsForWavesPerEU: 6
; NumVGPRsForWavesPerEU: 1
; AccumOffset: 4
; Occupancy: 8
; WaveLimiterHint : 0
; COMPUTE_PGM_RSRC2:SCRATCH_EN: 0
; COMPUTE_PGM_RSRC2:USER_SGPR: 2
; COMPUTE_PGM_RSRC2:TRAP_HANDLER: 0
; COMPUTE_PGM_RSRC2:TGID_X_EN: 1
; COMPUTE_PGM_RSRC2:TGID_Y_EN: 0
; COMPUTE_PGM_RSRC2:TGID_Z_EN: 0
; COMPUTE_PGM_RSRC2:TIDIG_COMP_CNT: 0
; COMPUTE_PGM_RSRC3_GFX90A:ACCUM_OFFSET: 0
; COMPUTE_PGM_RSRC3_GFX90A:TG_SPLIT: 0
	.section	.text._ZN7rocprim17ROCPRIM_400000_NS6detail17trampoline_kernelINS0_13kernel_configILj256ELj4ELj4294967295EEENS1_37radix_sort_block_sort_config_selectorIttEEZNS1_21radix_sort_block_sortIS4_Lb0EN6thrust23THRUST_200600_302600_NS6detail15normal_iteratorINS9_10device_ptrItEEEESE_SE_SE_NS0_19identity_decomposerEEE10hipError_tT1_T2_T3_T4_jRjT5_jjP12ihipStream_tbEUlT_E_NS1_11comp_targetILNS1_3genE10ELNS1_11target_archE1201ELNS1_3gpuE5ELNS1_3repE0EEENS1_44radix_sort_block_sort_config_static_selectorELNS0_4arch9wavefront6targetE1EEEvSH_,"axG",@progbits,_ZN7rocprim17ROCPRIM_400000_NS6detail17trampoline_kernelINS0_13kernel_configILj256ELj4ELj4294967295EEENS1_37radix_sort_block_sort_config_selectorIttEEZNS1_21radix_sort_block_sortIS4_Lb0EN6thrust23THRUST_200600_302600_NS6detail15normal_iteratorINS9_10device_ptrItEEEESE_SE_SE_NS0_19identity_decomposerEEE10hipError_tT1_T2_T3_T4_jRjT5_jjP12ihipStream_tbEUlT_E_NS1_11comp_targetILNS1_3genE10ELNS1_11target_archE1201ELNS1_3gpuE5ELNS1_3repE0EEENS1_44radix_sort_block_sort_config_static_selectorELNS0_4arch9wavefront6targetE1EEEvSH_,comdat
	.protected	_ZN7rocprim17ROCPRIM_400000_NS6detail17trampoline_kernelINS0_13kernel_configILj256ELj4ELj4294967295EEENS1_37radix_sort_block_sort_config_selectorIttEEZNS1_21radix_sort_block_sortIS4_Lb0EN6thrust23THRUST_200600_302600_NS6detail15normal_iteratorINS9_10device_ptrItEEEESE_SE_SE_NS0_19identity_decomposerEEE10hipError_tT1_T2_T3_T4_jRjT5_jjP12ihipStream_tbEUlT_E_NS1_11comp_targetILNS1_3genE10ELNS1_11target_archE1201ELNS1_3gpuE5ELNS1_3repE0EEENS1_44radix_sort_block_sort_config_static_selectorELNS0_4arch9wavefront6targetE1EEEvSH_ ; -- Begin function _ZN7rocprim17ROCPRIM_400000_NS6detail17trampoline_kernelINS0_13kernel_configILj256ELj4ELj4294967295EEENS1_37radix_sort_block_sort_config_selectorIttEEZNS1_21radix_sort_block_sortIS4_Lb0EN6thrust23THRUST_200600_302600_NS6detail15normal_iteratorINS9_10device_ptrItEEEESE_SE_SE_NS0_19identity_decomposerEEE10hipError_tT1_T2_T3_T4_jRjT5_jjP12ihipStream_tbEUlT_E_NS1_11comp_targetILNS1_3genE10ELNS1_11target_archE1201ELNS1_3gpuE5ELNS1_3repE0EEENS1_44radix_sort_block_sort_config_static_selectorELNS0_4arch9wavefront6targetE1EEEvSH_
	.globl	_ZN7rocprim17ROCPRIM_400000_NS6detail17trampoline_kernelINS0_13kernel_configILj256ELj4ELj4294967295EEENS1_37radix_sort_block_sort_config_selectorIttEEZNS1_21radix_sort_block_sortIS4_Lb0EN6thrust23THRUST_200600_302600_NS6detail15normal_iteratorINS9_10device_ptrItEEEESE_SE_SE_NS0_19identity_decomposerEEE10hipError_tT1_T2_T3_T4_jRjT5_jjP12ihipStream_tbEUlT_E_NS1_11comp_targetILNS1_3genE10ELNS1_11target_archE1201ELNS1_3gpuE5ELNS1_3repE0EEENS1_44radix_sort_block_sort_config_static_selectorELNS0_4arch9wavefront6targetE1EEEvSH_
	.p2align	8
	.type	_ZN7rocprim17ROCPRIM_400000_NS6detail17trampoline_kernelINS0_13kernel_configILj256ELj4ELj4294967295EEENS1_37radix_sort_block_sort_config_selectorIttEEZNS1_21radix_sort_block_sortIS4_Lb0EN6thrust23THRUST_200600_302600_NS6detail15normal_iteratorINS9_10device_ptrItEEEESE_SE_SE_NS0_19identity_decomposerEEE10hipError_tT1_T2_T3_T4_jRjT5_jjP12ihipStream_tbEUlT_E_NS1_11comp_targetILNS1_3genE10ELNS1_11target_archE1201ELNS1_3gpuE5ELNS1_3repE0EEENS1_44radix_sort_block_sort_config_static_selectorELNS0_4arch9wavefront6targetE1EEEvSH_,@function
_ZN7rocprim17ROCPRIM_400000_NS6detail17trampoline_kernelINS0_13kernel_configILj256ELj4ELj4294967295EEENS1_37radix_sort_block_sort_config_selectorIttEEZNS1_21radix_sort_block_sortIS4_Lb0EN6thrust23THRUST_200600_302600_NS6detail15normal_iteratorINS9_10device_ptrItEEEESE_SE_SE_NS0_19identity_decomposerEEE10hipError_tT1_T2_T3_T4_jRjT5_jjP12ihipStream_tbEUlT_E_NS1_11comp_targetILNS1_3genE10ELNS1_11target_archE1201ELNS1_3gpuE5ELNS1_3repE0EEENS1_44radix_sort_block_sort_config_static_selectorELNS0_4arch9wavefront6targetE1EEEvSH_: ; @_ZN7rocprim17ROCPRIM_400000_NS6detail17trampoline_kernelINS0_13kernel_configILj256ELj4ELj4294967295EEENS1_37radix_sort_block_sort_config_selectorIttEEZNS1_21radix_sort_block_sortIS4_Lb0EN6thrust23THRUST_200600_302600_NS6detail15normal_iteratorINS9_10device_ptrItEEEESE_SE_SE_NS0_19identity_decomposerEEE10hipError_tT1_T2_T3_T4_jRjT5_jjP12ihipStream_tbEUlT_E_NS1_11comp_targetILNS1_3genE10ELNS1_11target_archE1201ELNS1_3gpuE5ELNS1_3repE0EEENS1_44radix_sort_block_sort_config_static_selectorELNS0_4arch9wavefront6targetE1EEEvSH_
; %bb.0:
	.section	.rodata,"a",@progbits
	.p2align	6, 0x0
	.amdhsa_kernel _ZN7rocprim17ROCPRIM_400000_NS6detail17trampoline_kernelINS0_13kernel_configILj256ELj4ELj4294967295EEENS1_37radix_sort_block_sort_config_selectorIttEEZNS1_21radix_sort_block_sortIS4_Lb0EN6thrust23THRUST_200600_302600_NS6detail15normal_iteratorINS9_10device_ptrItEEEESE_SE_SE_NS0_19identity_decomposerEEE10hipError_tT1_T2_T3_T4_jRjT5_jjP12ihipStream_tbEUlT_E_NS1_11comp_targetILNS1_3genE10ELNS1_11target_archE1201ELNS1_3gpuE5ELNS1_3repE0EEENS1_44radix_sort_block_sort_config_static_selectorELNS0_4arch9wavefront6targetE1EEEvSH_
		.amdhsa_group_segment_fixed_size 0
		.amdhsa_private_segment_fixed_size 0
		.amdhsa_kernarg_size 48
		.amdhsa_user_sgpr_count 2
		.amdhsa_user_sgpr_dispatch_ptr 0
		.amdhsa_user_sgpr_queue_ptr 0
		.amdhsa_user_sgpr_kernarg_segment_ptr 1
		.amdhsa_user_sgpr_dispatch_id 0
		.amdhsa_user_sgpr_kernarg_preload_length 0
		.amdhsa_user_sgpr_kernarg_preload_offset 0
		.amdhsa_user_sgpr_private_segment_size 0
		.amdhsa_uses_dynamic_stack 0
		.amdhsa_enable_private_segment 0
		.amdhsa_system_sgpr_workgroup_id_x 1
		.amdhsa_system_sgpr_workgroup_id_y 0
		.amdhsa_system_sgpr_workgroup_id_z 0
		.amdhsa_system_sgpr_workgroup_info 0
		.amdhsa_system_vgpr_workitem_id 0
		.amdhsa_next_free_vgpr 1
		.amdhsa_next_free_sgpr 0
		.amdhsa_accum_offset 4
		.amdhsa_reserve_vcc 0
		.amdhsa_float_round_mode_32 0
		.amdhsa_float_round_mode_16_64 0
		.amdhsa_float_denorm_mode_32 3
		.amdhsa_float_denorm_mode_16_64 3
		.amdhsa_dx10_clamp 1
		.amdhsa_ieee_mode 1
		.amdhsa_fp16_overflow 0
		.amdhsa_tg_split 0
		.amdhsa_exception_fp_ieee_invalid_op 0
		.amdhsa_exception_fp_denorm_src 0
		.amdhsa_exception_fp_ieee_div_zero 0
		.amdhsa_exception_fp_ieee_overflow 0
		.amdhsa_exception_fp_ieee_underflow 0
		.amdhsa_exception_fp_ieee_inexact 0
		.amdhsa_exception_int_div_zero 0
	.end_amdhsa_kernel
	.section	.text._ZN7rocprim17ROCPRIM_400000_NS6detail17trampoline_kernelINS0_13kernel_configILj256ELj4ELj4294967295EEENS1_37radix_sort_block_sort_config_selectorIttEEZNS1_21radix_sort_block_sortIS4_Lb0EN6thrust23THRUST_200600_302600_NS6detail15normal_iteratorINS9_10device_ptrItEEEESE_SE_SE_NS0_19identity_decomposerEEE10hipError_tT1_T2_T3_T4_jRjT5_jjP12ihipStream_tbEUlT_E_NS1_11comp_targetILNS1_3genE10ELNS1_11target_archE1201ELNS1_3gpuE5ELNS1_3repE0EEENS1_44radix_sort_block_sort_config_static_selectorELNS0_4arch9wavefront6targetE1EEEvSH_,"axG",@progbits,_ZN7rocprim17ROCPRIM_400000_NS6detail17trampoline_kernelINS0_13kernel_configILj256ELj4ELj4294967295EEENS1_37radix_sort_block_sort_config_selectorIttEEZNS1_21radix_sort_block_sortIS4_Lb0EN6thrust23THRUST_200600_302600_NS6detail15normal_iteratorINS9_10device_ptrItEEEESE_SE_SE_NS0_19identity_decomposerEEE10hipError_tT1_T2_T3_T4_jRjT5_jjP12ihipStream_tbEUlT_E_NS1_11comp_targetILNS1_3genE10ELNS1_11target_archE1201ELNS1_3gpuE5ELNS1_3repE0EEENS1_44radix_sort_block_sort_config_static_selectorELNS0_4arch9wavefront6targetE1EEEvSH_,comdat
.Lfunc_end829:
	.size	_ZN7rocprim17ROCPRIM_400000_NS6detail17trampoline_kernelINS0_13kernel_configILj256ELj4ELj4294967295EEENS1_37radix_sort_block_sort_config_selectorIttEEZNS1_21radix_sort_block_sortIS4_Lb0EN6thrust23THRUST_200600_302600_NS6detail15normal_iteratorINS9_10device_ptrItEEEESE_SE_SE_NS0_19identity_decomposerEEE10hipError_tT1_T2_T3_T4_jRjT5_jjP12ihipStream_tbEUlT_E_NS1_11comp_targetILNS1_3genE10ELNS1_11target_archE1201ELNS1_3gpuE5ELNS1_3repE0EEENS1_44radix_sort_block_sort_config_static_selectorELNS0_4arch9wavefront6targetE1EEEvSH_, .Lfunc_end829-_ZN7rocprim17ROCPRIM_400000_NS6detail17trampoline_kernelINS0_13kernel_configILj256ELj4ELj4294967295EEENS1_37radix_sort_block_sort_config_selectorIttEEZNS1_21radix_sort_block_sortIS4_Lb0EN6thrust23THRUST_200600_302600_NS6detail15normal_iteratorINS9_10device_ptrItEEEESE_SE_SE_NS0_19identity_decomposerEEE10hipError_tT1_T2_T3_T4_jRjT5_jjP12ihipStream_tbEUlT_E_NS1_11comp_targetILNS1_3genE10ELNS1_11target_archE1201ELNS1_3gpuE5ELNS1_3repE0EEENS1_44radix_sort_block_sort_config_static_selectorELNS0_4arch9wavefront6targetE1EEEvSH_
                                        ; -- End function
	.set _ZN7rocprim17ROCPRIM_400000_NS6detail17trampoline_kernelINS0_13kernel_configILj256ELj4ELj4294967295EEENS1_37radix_sort_block_sort_config_selectorIttEEZNS1_21radix_sort_block_sortIS4_Lb0EN6thrust23THRUST_200600_302600_NS6detail15normal_iteratorINS9_10device_ptrItEEEESE_SE_SE_NS0_19identity_decomposerEEE10hipError_tT1_T2_T3_T4_jRjT5_jjP12ihipStream_tbEUlT_E_NS1_11comp_targetILNS1_3genE10ELNS1_11target_archE1201ELNS1_3gpuE5ELNS1_3repE0EEENS1_44radix_sort_block_sort_config_static_selectorELNS0_4arch9wavefront6targetE1EEEvSH_.num_vgpr, 0
	.set _ZN7rocprim17ROCPRIM_400000_NS6detail17trampoline_kernelINS0_13kernel_configILj256ELj4ELj4294967295EEENS1_37radix_sort_block_sort_config_selectorIttEEZNS1_21radix_sort_block_sortIS4_Lb0EN6thrust23THRUST_200600_302600_NS6detail15normal_iteratorINS9_10device_ptrItEEEESE_SE_SE_NS0_19identity_decomposerEEE10hipError_tT1_T2_T3_T4_jRjT5_jjP12ihipStream_tbEUlT_E_NS1_11comp_targetILNS1_3genE10ELNS1_11target_archE1201ELNS1_3gpuE5ELNS1_3repE0EEENS1_44radix_sort_block_sort_config_static_selectorELNS0_4arch9wavefront6targetE1EEEvSH_.num_agpr, 0
	.set _ZN7rocprim17ROCPRIM_400000_NS6detail17trampoline_kernelINS0_13kernel_configILj256ELj4ELj4294967295EEENS1_37radix_sort_block_sort_config_selectorIttEEZNS1_21radix_sort_block_sortIS4_Lb0EN6thrust23THRUST_200600_302600_NS6detail15normal_iteratorINS9_10device_ptrItEEEESE_SE_SE_NS0_19identity_decomposerEEE10hipError_tT1_T2_T3_T4_jRjT5_jjP12ihipStream_tbEUlT_E_NS1_11comp_targetILNS1_3genE10ELNS1_11target_archE1201ELNS1_3gpuE5ELNS1_3repE0EEENS1_44radix_sort_block_sort_config_static_selectorELNS0_4arch9wavefront6targetE1EEEvSH_.numbered_sgpr, 0
	.set _ZN7rocprim17ROCPRIM_400000_NS6detail17trampoline_kernelINS0_13kernel_configILj256ELj4ELj4294967295EEENS1_37radix_sort_block_sort_config_selectorIttEEZNS1_21radix_sort_block_sortIS4_Lb0EN6thrust23THRUST_200600_302600_NS6detail15normal_iteratorINS9_10device_ptrItEEEESE_SE_SE_NS0_19identity_decomposerEEE10hipError_tT1_T2_T3_T4_jRjT5_jjP12ihipStream_tbEUlT_E_NS1_11comp_targetILNS1_3genE10ELNS1_11target_archE1201ELNS1_3gpuE5ELNS1_3repE0EEENS1_44radix_sort_block_sort_config_static_selectorELNS0_4arch9wavefront6targetE1EEEvSH_.num_named_barrier, 0
	.set _ZN7rocprim17ROCPRIM_400000_NS6detail17trampoline_kernelINS0_13kernel_configILj256ELj4ELj4294967295EEENS1_37radix_sort_block_sort_config_selectorIttEEZNS1_21radix_sort_block_sortIS4_Lb0EN6thrust23THRUST_200600_302600_NS6detail15normal_iteratorINS9_10device_ptrItEEEESE_SE_SE_NS0_19identity_decomposerEEE10hipError_tT1_T2_T3_T4_jRjT5_jjP12ihipStream_tbEUlT_E_NS1_11comp_targetILNS1_3genE10ELNS1_11target_archE1201ELNS1_3gpuE5ELNS1_3repE0EEENS1_44radix_sort_block_sort_config_static_selectorELNS0_4arch9wavefront6targetE1EEEvSH_.private_seg_size, 0
	.set _ZN7rocprim17ROCPRIM_400000_NS6detail17trampoline_kernelINS0_13kernel_configILj256ELj4ELj4294967295EEENS1_37radix_sort_block_sort_config_selectorIttEEZNS1_21radix_sort_block_sortIS4_Lb0EN6thrust23THRUST_200600_302600_NS6detail15normal_iteratorINS9_10device_ptrItEEEESE_SE_SE_NS0_19identity_decomposerEEE10hipError_tT1_T2_T3_T4_jRjT5_jjP12ihipStream_tbEUlT_E_NS1_11comp_targetILNS1_3genE10ELNS1_11target_archE1201ELNS1_3gpuE5ELNS1_3repE0EEENS1_44radix_sort_block_sort_config_static_selectorELNS0_4arch9wavefront6targetE1EEEvSH_.uses_vcc, 0
	.set _ZN7rocprim17ROCPRIM_400000_NS6detail17trampoline_kernelINS0_13kernel_configILj256ELj4ELj4294967295EEENS1_37radix_sort_block_sort_config_selectorIttEEZNS1_21radix_sort_block_sortIS4_Lb0EN6thrust23THRUST_200600_302600_NS6detail15normal_iteratorINS9_10device_ptrItEEEESE_SE_SE_NS0_19identity_decomposerEEE10hipError_tT1_T2_T3_T4_jRjT5_jjP12ihipStream_tbEUlT_E_NS1_11comp_targetILNS1_3genE10ELNS1_11target_archE1201ELNS1_3gpuE5ELNS1_3repE0EEENS1_44radix_sort_block_sort_config_static_selectorELNS0_4arch9wavefront6targetE1EEEvSH_.uses_flat_scratch, 0
	.set _ZN7rocprim17ROCPRIM_400000_NS6detail17trampoline_kernelINS0_13kernel_configILj256ELj4ELj4294967295EEENS1_37radix_sort_block_sort_config_selectorIttEEZNS1_21radix_sort_block_sortIS4_Lb0EN6thrust23THRUST_200600_302600_NS6detail15normal_iteratorINS9_10device_ptrItEEEESE_SE_SE_NS0_19identity_decomposerEEE10hipError_tT1_T2_T3_T4_jRjT5_jjP12ihipStream_tbEUlT_E_NS1_11comp_targetILNS1_3genE10ELNS1_11target_archE1201ELNS1_3gpuE5ELNS1_3repE0EEENS1_44radix_sort_block_sort_config_static_selectorELNS0_4arch9wavefront6targetE1EEEvSH_.has_dyn_sized_stack, 0
	.set _ZN7rocprim17ROCPRIM_400000_NS6detail17trampoline_kernelINS0_13kernel_configILj256ELj4ELj4294967295EEENS1_37radix_sort_block_sort_config_selectorIttEEZNS1_21radix_sort_block_sortIS4_Lb0EN6thrust23THRUST_200600_302600_NS6detail15normal_iteratorINS9_10device_ptrItEEEESE_SE_SE_NS0_19identity_decomposerEEE10hipError_tT1_T2_T3_T4_jRjT5_jjP12ihipStream_tbEUlT_E_NS1_11comp_targetILNS1_3genE10ELNS1_11target_archE1201ELNS1_3gpuE5ELNS1_3repE0EEENS1_44radix_sort_block_sort_config_static_selectorELNS0_4arch9wavefront6targetE1EEEvSH_.has_recursion, 0
	.set _ZN7rocprim17ROCPRIM_400000_NS6detail17trampoline_kernelINS0_13kernel_configILj256ELj4ELj4294967295EEENS1_37radix_sort_block_sort_config_selectorIttEEZNS1_21radix_sort_block_sortIS4_Lb0EN6thrust23THRUST_200600_302600_NS6detail15normal_iteratorINS9_10device_ptrItEEEESE_SE_SE_NS0_19identity_decomposerEEE10hipError_tT1_T2_T3_T4_jRjT5_jjP12ihipStream_tbEUlT_E_NS1_11comp_targetILNS1_3genE10ELNS1_11target_archE1201ELNS1_3gpuE5ELNS1_3repE0EEENS1_44radix_sort_block_sort_config_static_selectorELNS0_4arch9wavefront6targetE1EEEvSH_.has_indirect_call, 0
	.section	.AMDGPU.csdata,"",@progbits
; Kernel info:
; codeLenInByte = 0
; TotalNumSgprs: 6
; NumVgprs: 0
; NumAgprs: 0
; TotalNumVgprs: 0
; ScratchSize: 0
; MemoryBound: 0
; FloatMode: 240
; IeeeMode: 1
; LDSByteSize: 0 bytes/workgroup (compile time only)
; SGPRBlocks: 0
; VGPRBlocks: 0
; NumSGPRsForWavesPerEU: 6
; NumVGPRsForWavesPerEU: 1
; AccumOffset: 4
; Occupancy: 8
; WaveLimiterHint : 0
; COMPUTE_PGM_RSRC2:SCRATCH_EN: 0
; COMPUTE_PGM_RSRC2:USER_SGPR: 2
; COMPUTE_PGM_RSRC2:TRAP_HANDLER: 0
; COMPUTE_PGM_RSRC2:TGID_X_EN: 1
; COMPUTE_PGM_RSRC2:TGID_Y_EN: 0
; COMPUTE_PGM_RSRC2:TGID_Z_EN: 0
; COMPUTE_PGM_RSRC2:TIDIG_COMP_CNT: 0
; COMPUTE_PGM_RSRC3_GFX90A:ACCUM_OFFSET: 0
; COMPUTE_PGM_RSRC3_GFX90A:TG_SPLIT: 0
	.section	.text._ZN7rocprim17ROCPRIM_400000_NS6detail17trampoline_kernelINS0_13kernel_configILj256ELj4ELj4294967295EEENS1_37radix_sort_block_sort_config_selectorIttEEZNS1_21radix_sort_block_sortIS4_Lb0EN6thrust23THRUST_200600_302600_NS6detail15normal_iteratorINS9_10device_ptrItEEEESE_SE_SE_NS0_19identity_decomposerEEE10hipError_tT1_T2_T3_T4_jRjT5_jjP12ihipStream_tbEUlT_E_NS1_11comp_targetILNS1_3genE10ELNS1_11target_archE1200ELNS1_3gpuE4ELNS1_3repE0EEENS1_44radix_sort_block_sort_config_static_selectorELNS0_4arch9wavefront6targetE1EEEvSH_,"axG",@progbits,_ZN7rocprim17ROCPRIM_400000_NS6detail17trampoline_kernelINS0_13kernel_configILj256ELj4ELj4294967295EEENS1_37radix_sort_block_sort_config_selectorIttEEZNS1_21radix_sort_block_sortIS4_Lb0EN6thrust23THRUST_200600_302600_NS6detail15normal_iteratorINS9_10device_ptrItEEEESE_SE_SE_NS0_19identity_decomposerEEE10hipError_tT1_T2_T3_T4_jRjT5_jjP12ihipStream_tbEUlT_E_NS1_11comp_targetILNS1_3genE10ELNS1_11target_archE1200ELNS1_3gpuE4ELNS1_3repE0EEENS1_44radix_sort_block_sort_config_static_selectorELNS0_4arch9wavefront6targetE1EEEvSH_,comdat
	.protected	_ZN7rocprim17ROCPRIM_400000_NS6detail17trampoline_kernelINS0_13kernel_configILj256ELj4ELj4294967295EEENS1_37radix_sort_block_sort_config_selectorIttEEZNS1_21radix_sort_block_sortIS4_Lb0EN6thrust23THRUST_200600_302600_NS6detail15normal_iteratorINS9_10device_ptrItEEEESE_SE_SE_NS0_19identity_decomposerEEE10hipError_tT1_T2_T3_T4_jRjT5_jjP12ihipStream_tbEUlT_E_NS1_11comp_targetILNS1_3genE10ELNS1_11target_archE1200ELNS1_3gpuE4ELNS1_3repE0EEENS1_44radix_sort_block_sort_config_static_selectorELNS0_4arch9wavefront6targetE1EEEvSH_ ; -- Begin function _ZN7rocprim17ROCPRIM_400000_NS6detail17trampoline_kernelINS0_13kernel_configILj256ELj4ELj4294967295EEENS1_37radix_sort_block_sort_config_selectorIttEEZNS1_21radix_sort_block_sortIS4_Lb0EN6thrust23THRUST_200600_302600_NS6detail15normal_iteratorINS9_10device_ptrItEEEESE_SE_SE_NS0_19identity_decomposerEEE10hipError_tT1_T2_T3_T4_jRjT5_jjP12ihipStream_tbEUlT_E_NS1_11comp_targetILNS1_3genE10ELNS1_11target_archE1200ELNS1_3gpuE4ELNS1_3repE0EEENS1_44radix_sort_block_sort_config_static_selectorELNS0_4arch9wavefront6targetE1EEEvSH_
	.globl	_ZN7rocprim17ROCPRIM_400000_NS6detail17trampoline_kernelINS0_13kernel_configILj256ELj4ELj4294967295EEENS1_37radix_sort_block_sort_config_selectorIttEEZNS1_21radix_sort_block_sortIS4_Lb0EN6thrust23THRUST_200600_302600_NS6detail15normal_iteratorINS9_10device_ptrItEEEESE_SE_SE_NS0_19identity_decomposerEEE10hipError_tT1_T2_T3_T4_jRjT5_jjP12ihipStream_tbEUlT_E_NS1_11comp_targetILNS1_3genE10ELNS1_11target_archE1200ELNS1_3gpuE4ELNS1_3repE0EEENS1_44radix_sort_block_sort_config_static_selectorELNS0_4arch9wavefront6targetE1EEEvSH_
	.p2align	8
	.type	_ZN7rocprim17ROCPRIM_400000_NS6detail17trampoline_kernelINS0_13kernel_configILj256ELj4ELj4294967295EEENS1_37radix_sort_block_sort_config_selectorIttEEZNS1_21radix_sort_block_sortIS4_Lb0EN6thrust23THRUST_200600_302600_NS6detail15normal_iteratorINS9_10device_ptrItEEEESE_SE_SE_NS0_19identity_decomposerEEE10hipError_tT1_T2_T3_T4_jRjT5_jjP12ihipStream_tbEUlT_E_NS1_11comp_targetILNS1_3genE10ELNS1_11target_archE1200ELNS1_3gpuE4ELNS1_3repE0EEENS1_44radix_sort_block_sort_config_static_selectorELNS0_4arch9wavefront6targetE1EEEvSH_,@function
_ZN7rocprim17ROCPRIM_400000_NS6detail17trampoline_kernelINS0_13kernel_configILj256ELj4ELj4294967295EEENS1_37radix_sort_block_sort_config_selectorIttEEZNS1_21radix_sort_block_sortIS4_Lb0EN6thrust23THRUST_200600_302600_NS6detail15normal_iteratorINS9_10device_ptrItEEEESE_SE_SE_NS0_19identity_decomposerEEE10hipError_tT1_T2_T3_T4_jRjT5_jjP12ihipStream_tbEUlT_E_NS1_11comp_targetILNS1_3genE10ELNS1_11target_archE1200ELNS1_3gpuE4ELNS1_3repE0EEENS1_44radix_sort_block_sort_config_static_selectorELNS0_4arch9wavefront6targetE1EEEvSH_: ; @_ZN7rocprim17ROCPRIM_400000_NS6detail17trampoline_kernelINS0_13kernel_configILj256ELj4ELj4294967295EEENS1_37radix_sort_block_sort_config_selectorIttEEZNS1_21radix_sort_block_sortIS4_Lb0EN6thrust23THRUST_200600_302600_NS6detail15normal_iteratorINS9_10device_ptrItEEEESE_SE_SE_NS0_19identity_decomposerEEE10hipError_tT1_T2_T3_T4_jRjT5_jjP12ihipStream_tbEUlT_E_NS1_11comp_targetILNS1_3genE10ELNS1_11target_archE1200ELNS1_3gpuE4ELNS1_3repE0EEENS1_44radix_sort_block_sort_config_static_selectorELNS0_4arch9wavefront6targetE1EEEvSH_
; %bb.0:
	.section	.rodata,"a",@progbits
	.p2align	6, 0x0
	.amdhsa_kernel _ZN7rocprim17ROCPRIM_400000_NS6detail17trampoline_kernelINS0_13kernel_configILj256ELj4ELj4294967295EEENS1_37radix_sort_block_sort_config_selectorIttEEZNS1_21radix_sort_block_sortIS4_Lb0EN6thrust23THRUST_200600_302600_NS6detail15normal_iteratorINS9_10device_ptrItEEEESE_SE_SE_NS0_19identity_decomposerEEE10hipError_tT1_T2_T3_T4_jRjT5_jjP12ihipStream_tbEUlT_E_NS1_11comp_targetILNS1_3genE10ELNS1_11target_archE1200ELNS1_3gpuE4ELNS1_3repE0EEENS1_44radix_sort_block_sort_config_static_selectorELNS0_4arch9wavefront6targetE1EEEvSH_
		.amdhsa_group_segment_fixed_size 0
		.amdhsa_private_segment_fixed_size 0
		.amdhsa_kernarg_size 48
		.amdhsa_user_sgpr_count 2
		.amdhsa_user_sgpr_dispatch_ptr 0
		.amdhsa_user_sgpr_queue_ptr 0
		.amdhsa_user_sgpr_kernarg_segment_ptr 1
		.amdhsa_user_sgpr_dispatch_id 0
		.amdhsa_user_sgpr_kernarg_preload_length 0
		.amdhsa_user_sgpr_kernarg_preload_offset 0
		.amdhsa_user_sgpr_private_segment_size 0
		.amdhsa_uses_dynamic_stack 0
		.amdhsa_enable_private_segment 0
		.amdhsa_system_sgpr_workgroup_id_x 1
		.amdhsa_system_sgpr_workgroup_id_y 0
		.amdhsa_system_sgpr_workgroup_id_z 0
		.amdhsa_system_sgpr_workgroup_info 0
		.amdhsa_system_vgpr_workitem_id 0
		.amdhsa_next_free_vgpr 1
		.amdhsa_next_free_sgpr 0
		.amdhsa_accum_offset 4
		.amdhsa_reserve_vcc 0
		.amdhsa_float_round_mode_32 0
		.amdhsa_float_round_mode_16_64 0
		.amdhsa_float_denorm_mode_32 3
		.amdhsa_float_denorm_mode_16_64 3
		.amdhsa_dx10_clamp 1
		.amdhsa_ieee_mode 1
		.amdhsa_fp16_overflow 0
		.amdhsa_tg_split 0
		.amdhsa_exception_fp_ieee_invalid_op 0
		.amdhsa_exception_fp_denorm_src 0
		.amdhsa_exception_fp_ieee_div_zero 0
		.amdhsa_exception_fp_ieee_overflow 0
		.amdhsa_exception_fp_ieee_underflow 0
		.amdhsa_exception_fp_ieee_inexact 0
		.amdhsa_exception_int_div_zero 0
	.end_amdhsa_kernel
	.section	.text._ZN7rocprim17ROCPRIM_400000_NS6detail17trampoline_kernelINS0_13kernel_configILj256ELj4ELj4294967295EEENS1_37radix_sort_block_sort_config_selectorIttEEZNS1_21radix_sort_block_sortIS4_Lb0EN6thrust23THRUST_200600_302600_NS6detail15normal_iteratorINS9_10device_ptrItEEEESE_SE_SE_NS0_19identity_decomposerEEE10hipError_tT1_T2_T3_T4_jRjT5_jjP12ihipStream_tbEUlT_E_NS1_11comp_targetILNS1_3genE10ELNS1_11target_archE1200ELNS1_3gpuE4ELNS1_3repE0EEENS1_44radix_sort_block_sort_config_static_selectorELNS0_4arch9wavefront6targetE1EEEvSH_,"axG",@progbits,_ZN7rocprim17ROCPRIM_400000_NS6detail17trampoline_kernelINS0_13kernel_configILj256ELj4ELj4294967295EEENS1_37radix_sort_block_sort_config_selectorIttEEZNS1_21radix_sort_block_sortIS4_Lb0EN6thrust23THRUST_200600_302600_NS6detail15normal_iteratorINS9_10device_ptrItEEEESE_SE_SE_NS0_19identity_decomposerEEE10hipError_tT1_T2_T3_T4_jRjT5_jjP12ihipStream_tbEUlT_E_NS1_11comp_targetILNS1_3genE10ELNS1_11target_archE1200ELNS1_3gpuE4ELNS1_3repE0EEENS1_44radix_sort_block_sort_config_static_selectorELNS0_4arch9wavefront6targetE1EEEvSH_,comdat
.Lfunc_end830:
	.size	_ZN7rocprim17ROCPRIM_400000_NS6detail17trampoline_kernelINS0_13kernel_configILj256ELj4ELj4294967295EEENS1_37radix_sort_block_sort_config_selectorIttEEZNS1_21radix_sort_block_sortIS4_Lb0EN6thrust23THRUST_200600_302600_NS6detail15normal_iteratorINS9_10device_ptrItEEEESE_SE_SE_NS0_19identity_decomposerEEE10hipError_tT1_T2_T3_T4_jRjT5_jjP12ihipStream_tbEUlT_E_NS1_11comp_targetILNS1_3genE10ELNS1_11target_archE1200ELNS1_3gpuE4ELNS1_3repE0EEENS1_44radix_sort_block_sort_config_static_selectorELNS0_4arch9wavefront6targetE1EEEvSH_, .Lfunc_end830-_ZN7rocprim17ROCPRIM_400000_NS6detail17trampoline_kernelINS0_13kernel_configILj256ELj4ELj4294967295EEENS1_37radix_sort_block_sort_config_selectorIttEEZNS1_21radix_sort_block_sortIS4_Lb0EN6thrust23THRUST_200600_302600_NS6detail15normal_iteratorINS9_10device_ptrItEEEESE_SE_SE_NS0_19identity_decomposerEEE10hipError_tT1_T2_T3_T4_jRjT5_jjP12ihipStream_tbEUlT_E_NS1_11comp_targetILNS1_3genE10ELNS1_11target_archE1200ELNS1_3gpuE4ELNS1_3repE0EEENS1_44radix_sort_block_sort_config_static_selectorELNS0_4arch9wavefront6targetE1EEEvSH_
                                        ; -- End function
	.set _ZN7rocprim17ROCPRIM_400000_NS6detail17trampoline_kernelINS0_13kernel_configILj256ELj4ELj4294967295EEENS1_37radix_sort_block_sort_config_selectorIttEEZNS1_21radix_sort_block_sortIS4_Lb0EN6thrust23THRUST_200600_302600_NS6detail15normal_iteratorINS9_10device_ptrItEEEESE_SE_SE_NS0_19identity_decomposerEEE10hipError_tT1_T2_T3_T4_jRjT5_jjP12ihipStream_tbEUlT_E_NS1_11comp_targetILNS1_3genE10ELNS1_11target_archE1200ELNS1_3gpuE4ELNS1_3repE0EEENS1_44radix_sort_block_sort_config_static_selectorELNS0_4arch9wavefront6targetE1EEEvSH_.num_vgpr, 0
	.set _ZN7rocprim17ROCPRIM_400000_NS6detail17trampoline_kernelINS0_13kernel_configILj256ELj4ELj4294967295EEENS1_37radix_sort_block_sort_config_selectorIttEEZNS1_21radix_sort_block_sortIS4_Lb0EN6thrust23THRUST_200600_302600_NS6detail15normal_iteratorINS9_10device_ptrItEEEESE_SE_SE_NS0_19identity_decomposerEEE10hipError_tT1_T2_T3_T4_jRjT5_jjP12ihipStream_tbEUlT_E_NS1_11comp_targetILNS1_3genE10ELNS1_11target_archE1200ELNS1_3gpuE4ELNS1_3repE0EEENS1_44radix_sort_block_sort_config_static_selectorELNS0_4arch9wavefront6targetE1EEEvSH_.num_agpr, 0
	.set _ZN7rocprim17ROCPRIM_400000_NS6detail17trampoline_kernelINS0_13kernel_configILj256ELj4ELj4294967295EEENS1_37radix_sort_block_sort_config_selectorIttEEZNS1_21radix_sort_block_sortIS4_Lb0EN6thrust23THRUST_200600_302600_NS6detail15normal_iteratorINS9_10device_ptrItEEEESE_SE_SE_NS0_19identity_decomposerEEE10hipError_tT1_T2_T3_T4_jRjT5_jjP12ihipStream_tbEUlT_E_NS1_11comp_targetILNS1_3genE10ELNS1_11target_archE1200ELNS1_3gpuE4ELNS1_3repE0EEENS1_44radix_sort_block_sort_config_static_selectorELNS0_4arch9wavefront6targetE1EEEvSH_.numbered_sgpr, 0
	.set _ZN7rocprim17ROCPRIM_400000_NS6detail17trampoline_kernelINS0_13kernel_configILj256ELj4ELj4294967295EEENS1_37radix_sort_block_sort_config_selectorIttEEZNS1_21radix_sort_block_sortIS4_Lb0EN6thrust23THRUST_200600_302600_NS6detail15normal_iteratorINS9_10device_ptrItEEEESE_SE_SE_NS0_19identity_decomposerEEE10hipError_tT1_T2_T3_T4_jRjT5_jjP12ihipStream_tbEUlT_E_NS1_11comp_targetILNS1_3genE10ELNS1_11target_archE1200ELNS1_3gpuE4ELNS1_3repE0EEENS1_44radix_sort_block_sort_config_static_selectorELNS0_4arch9wavefront6targetE1EEEvSH_.num_named_barrier, 0
	.set _ZN7rocprim17ROCPRIM_400000_NS6detail17trampoline_kernelINS0_13kernel_configILj256ELj4ELj4294967295EEENS1_37radix_sort_block_sort_config_selectorIttEEZNS1_21radix_sort_block_sortIS4_Lb0EN6thrust23THRUST_200600_302600_NS6detail15normal_iteratorINS9_10device_ptrItEEEESE_SE_SE_NS0_19identity_decomposerEEE10hipError_tT1_T2_T3_T4_jRjT5_jjP12ihipStream_tbEUlT_E_NS1_11comp_targetILNS1_3genE10ELNS1_11target_archE1200ELNS1_3gpuE4ELNS1_3repE0EEENS1_44radix_sort_block_sort_config_static_selectorELNS0_4arch9wavefront6targetE1EEEvSH_.private_seg_size, 0
	.set _ZN7rocprim17ROCPRIM_400000_NS6detail17trampoline_kernelINS0_13kernel_configILj256ELj4ELj4294967295EEENS1_37radix_sort_block_sort_config_selectorIttEEZNS1_21radix_sort_block_sortIS4_Lb0EN6thrust23THRUST_200600_302600_NS6detail15normal_iteratorINS9_10device_ptrItEEEESE_SE_SE_NS0_19identity_decomposerEEE10hipError_tT1_T2_T3_T4_jRjT5_jjP12ihipStream_tbEUlT_E_NS1_11comp_targetILNS1_3genE10ELNS1_11target_archE1200ELNS1_3gpuE4ELNS1_3repE0EEENS1_44radix_sort_block_sort_config_static_selectorELNS0_4arch9wavefront6targetE1EEEvSH_.uses_vcc, 0
	.set _ZN7rocprim17ROCPRIM_400000_NS6detail17trampoline_kernelINS0_13kernel_configILj256ELj4ELj4294967295EEENS1_37radix_sort_block_sort_config_selectorIttEEZNS1_21radix_sort_block_sortIS4_Lb0EN6thrust23THRUST_200600_302600_NS6detail15normal_iteratorINS9_10device_ptrItEEEESE_SE_SE_NS0_19identity_decomposerEEE10hipError_tT1_T2_T3_T4_jRjT5_jjP12ihipStream_tbEUlT_E_NS1_11comp_targetILNS1_3genE10ELNS1_11target_archE1200ELNS1_3gpuE4ELNS1_3repE0EEENS1_44radix_sort_block_sort_config_static_selectorELNS0_4arch9wavefront6targetE1EEEvSH_.uses_flat_scratch, 0
	.set _ZN7rocprim17ROCPRIM_400000_NS6detail17trampoline_kernelINS0_13kernel_configILj256ELj4ELj4294967295EEENS1_37radix_sort_block_sort_config_selectorIttEEZNS1_21radix_sort_block_sortIS4_Lb0EN6thrust23THRUST_200600_302600_NS6detail15normal_iteratorINS9_10device_ptrItEEEESE_SE_SE_NS0_19identity_decomposerEEE10hipError_tT1_T2_T3_T4_jRjT5_jjP12ihipStream_tbEUlT_E_NS1_11comp_targetILNS1_3genE10ELNS1_11target_archE1200ELNS1_3gpuE4ELNS1_3repE0EEENS1_44radix_sort_block_sort_config_static_selectorELNS0_4arch9wavefront6targetE1EEEvSH_.has_dyn_sized_stack, 0
	.set _ZN7rocprim17ROCPRIM_400000_NS6detail17trampoline_kernelINS0_13kernel_configILj256ELj4ELj4294967295EEENS1_37radix_sort_block_sort_config_selectorIttEEZNS1_21radix_sort_block_sortIS4_Lb0EN6thrust23THRUST_200600_302600_NS6detail15normal_iteratorINS9_10device_ptrItEEEESE_SE_SE_NS0_19identity_decomposerEEE10hipError_tT1_T2_T3_T4_jRjT5_jjP12ihipStream_tbEUlT_E_NS1_11comp_targetILNS1_3genE10ELNS1_11target_archE1200ELNS1_3gpuE4ELNS1_3repE0EEENS1_44radix_sort_block_sort_config_static_selectorELNS0_4arch9wavefront6targetE1EEEvSH_.has_recursion, 0
	.set _ZN7rocprim17ROCPRIM_400000_NS6detail17trampoline_kernelINS0_13kernel_configILj256ELj4ELj4294967295EEENS1_37radix_sort_block_sort_config_selectorIttEEZNS1_21radix_sort_block_sortIS4_Lb0EN6thrust23THRUST_200600_302600_NS6detail15normal_iteratorINS9_10device_ptrItEEEESE_SE_SE_NS0_19identity_decomposerEEE10hipError_tT1_T2_T3_T4_jRjT5_jjP12ihipStream_tbEUlT_E_NS1_11comp_targetILNS1_3genE10ELNS1_11target_archE1200ELNS1_3gpuE4ELNS1_3repE0EEENS1_44radix_sort_block_sort_config_static_selectorELNS0_4arch9wavefront6targetE1EEEvSH_.has_indirect_call, 0
	.section	.AMDGPU.csdata,"",@progbits
; Kernel info:
; codeLenInByte = 0
; TotalNumSgprs: 6
; NumVgprs: 0
; NumAgprs: 0
; TotalNumVgprs: 0
; ScratchSize: 0
; MemoryBound: 0
; FloatMode: 240
; IeeeMode: 1
; LDSByteSize: 0 bytes/workgroup (compile time only)
; SGPRBlocks: 0
; VGPRBlocks: 0
; NumSGPRsForWavesPerEU: 6
; NumVGPRsForWavesPerEU: 1
; AccumOffset: 4
; Occupancy: 8
; WaveLimiterHint : 0
; COMPUTE_PGM_RSRC2:SCRATCH_EN: 0
; COMPUTE_PGM_RSRC2:USER_SGPR: 2
; COMPUTE_PGM_RSRC2:TRAP_HANDLER: 0
; COMPUTE_PGM_RSRC2:TGID_X_EN: 1
; COMPUTE_PGM_RSRC2:TGID_Y_EN: 0
; COMPUTE_PGM_RSRC2:TGID_Z_EN: 0
; COMPUTE_PGM_RSRC2:TIDIG_COMP_CNT: 0
; COMPUTE_PGM_RSRC3_GFX90A:ACCUM_OFFSET: 0
; COMPUTE_PGM_RSRC3_GFX90A:TG_SPLIT: 0
	.section	.text._ZN7rocprim17ROCPRIM_400000_NS6detail17trampoline_kernelINS0_13kernel_configILj256ELj4ELj4294967295EEENS1_37radix_sort_block_sort_config_selectorIttEEZNS1_21radix_sort_block_sortIS4_Lb0EN6thrust23THRUST_200600_302600_NS6detail15normal_iteratorINS9_10device_ptrItEEEESE_SE_SE_NS0_19identity_decomposerEEE10hipError_tT1_T2_T3_T4_jRjT5_jjP12ihipStream_tbEUlT_E_NS1_11comp_targetILNS1_3genE9ELNS1_11target_archE1100ELNS1_3gpuE3ELNS1_3repE0EEENS1_44radix_sort_block_sort_config_static_selectorELNS0_4arch9wavefront6targetE1EEEvSH_,"axG",@progbits,_ZN7rocprim17ROCPRIM_400000_NS6detail17trampoline_kernelINS0_13kernel_configILj256ELj4ELj4294967295EEENS1_37radix_sort_block_sort_config_selectorIttEEZNS1_21radix_sort_block_sortIS4_Lb0EN6thrust23THRUST_200600_302600_NS6detail15normal_iteratorINS9_10device_ptrItEEEESE_SE_SE_NS0_19identity_decomposerEEE10hipError_tT1_T2_T3_T4_jRjT5_jjP12ihipStream_tbEUlT_E_NS1_11comp_targetILNS1_3genE9ELNS1_11target_archE1100ELNS1_3gpuE3ELNS1_3repE0EEENS1_44radix_sort_block_sort_config_static_selectorELNS0_4arch9wavefront6targetE1EEEvSH_,comdat
	.protected	_ZN7rocprim17ROCPRIM_400000_NS6detail17trampoline_kernelINS0_13kernel_configILj256ELj4ELj4294967295EEENS1_37radix_sort_block_sort_config_selectorIttEEZNS1_21radix_sort_block_sortIS4_Lb0EN6thrust23THRUST_200600_302600_NS6detail15normal_iteratorINS9_10device_ptrItEEEESE_SE_SE_NS0_19identity_decomposerEEE10hipError_tT1_T2_T3_T4_jRjT5_jjP12ihipStream_tbEUlT_E_NS1_11comp_targetILNS1_3genE9ELNS1_11target_archE1100ELNS1_3gpuE3ELNS1_3repE0EEENS1_44radix_sort_block_sort_config_static_selectorELNS0_4arch9wavefront6targetE1EEEvSH_ ; -- Begin function _ZN7rocprim17ROCPRIM_400000_NS6detail17trampoline_kernelINS0_13kernel_configILj256ELj4ELj4294967295EEENS1_37radix_sort_block_sort_config_selectorIttEEZNS1_21radix_sort_block_sortIS4_Lb0EN6thrust23THRUST_200600_302600_NS6detail15normal_iteratorINS9_10device_ptrItEEEESE_SE_SE_NS0_19identity_decomposerEEE10hipError_tT1_T2_T3_T4_jRjT5_jjP12ihipStream_tbEUlT_E_NS1_11comp_targetILNS1_3genE9ELNS1_11target_archE1100ELNS1_3gpuE3ELNS1_3repE0EEENS1_44radix_sort_block_sort_config_static_selectorELNS0_4arch9wavefront6targetE1EEEvSH_
	.globl	_ZN7rocprim17ROCPRIM_400000_NS6detail17trampoline_kernelINS0_13kernel_configILj256ELj4ELj4294967295EEENS1_37radix_sort_block_sort_config_selectorIttEEZNS1_21radix_sort_block_sortIS4_Lb0EN6thrust23THRUST_200600_302600_NS6detail15normal_iteratorINS9_10device_ptrItEEEESE_SE_SE_NS0_19identity_decomposerEEE10hipError_tT1_T2_T3_T4_jRjT5_jjP12ihipStream_tbEUlT_E_NS1_11comp_targetILNS1_3genE9ELNS1_11target_archE1100ELNS1_3gpuE3ELNS1_3repE0EEENS1_44radix_sort_block_sort_config_static_selectorELNS0_4arch9wavefront6targetE1EEEvSH_
	.p2align	8
	.type	_ZN7rocprim17ROCPRIM_400000_NS6detail17trampoline_kernelINS0_13kernel_configILj256ELj4ELj4294967295EEENS1_37radix_sort_block_sort_config_selectorIttEEZNS1_21radix_sort_block_sortIS4_Lb0EN6thrust23THRUST_200600_302600_NS6detail15normal_iteratorINS9_10device_ptrItEEEESE_SE_SE_NS0_19identity_decomposerEEE10hipError_tT1_T2_T3_T4_jRjT5_jjP12ihipStream_tbEUlT_E_NS1_11comp_targetILNS1_3genE9ELNS1_11target_archE1100ELNS1_3gpuE3ELNS1_3repE0EEENS1_44radix_sort_block_sort_config_static_selectorELNS0_4arch9wavefront6targetE1EEEvSH_,@function
_ZN7rocprim17ROCPRIM_400000_NS6detail17trampoline_kernelINS0_13kernel_configILj256ELj4ELj4294967295EEENS1_37radix_sort_block_sort_config_selectorIttEEZNS1_21radix_sort_block_sortIS4_Lb0EN6thrust23THRUST_200600_302600_NS6detail15normal_iteratorINS9_10device_ptrItEEEESE_SE_SE_NS0_19identity_decomposerEEE10hipError_tT1_T2_T3_T4_jRjT5_jjP12ihipStream_tbEUlT_E_NS1_11comp_targetILNS1_3genE9ELNS1_11target_archE1100ELNS1_3gpuE3ELNS1_3repE0EEENS1_44radix_sort_block_sort_config_static_selectorELNS0_4arch9wavefront6targetE1EEEvSH_: ; @_ZN7rocprim17ROCPRIM_400000_NS6detail17trampoline_kernelINS0_13kernel_configILj256ELj4ELj4294967295EEENS1_37radix_sort_block_sort_config_selectorIttEEZNS1_21radix_sort_block_sortIS4_Lb0EN6thrust23THRUST_200600_302600_NS6detail15normal_iteratorINS9_10device_ptrItEEEESE_SE_SE_NS0_19identity_decomposerEEE10hipError_tT1_T2_T3_T4_jRjT5_jjP12ihipStream_tbEUlT_E_NS1_11comp_targetILNS1_3genE9ELNS1_11target_archE1100ELNS1_3gpuE3ELNS1_3repE0EEENS1_44radix_sort_block_sort_config_static_selectorELNS0_4arch9wavefront6targetE1EEEvSH_
; %bb.0:
	.section	.rodata,"a",@progbits
	.p2align	6, 0x0
	.amdhsa_kernel _ZN7rocprim17ROCPRIM_400000_NS6detail17trampoline_kernelINS0_13kernel_configILj256ELj4ELj4294967295EEENS1_37radix_sort_block_sort_config_selectorIttEEZNS1_21radix_sort_block_sortIS4_Lb0EN6thrust23THRUST_200600_302600_NS6detail15normal_iteratorINS9_10device_ptrItEEEESE_SE_SE_NS0_19identity_decomposerEEE10hipError_tT1_T2_T3_T4_jRjT5_jjP12ihipStream_tbEUlT_E_NS1_11comp_targetILNS1_3genE9ELNS1_11target_archE1100ELNS1_3gpuE3ELNS1_3repE0EEENS1_44radix_sort_block_sort_config_static_selectorELNS0_4arch9wavefront6targetE1EEEvSH_
		.amdhsa_group_segment_fixed_size 0
		.amdhsa_private_segment_fixed_size 0
		.amdhsa_kernarg_size 48
		.amdhsa_user_sgpr_count 2
		.amdhsa_user_sgpr_dispatch_ptr 0
		.amdhsa_user_sgpr_queue_ptr 0
		.amdhsa_user_sgpr_kernarg_segment_ptr 1
		.amdhsa_user_sgpr_dispatch_id 0
		.amdhsa_user_sgpr_kernarg_preload_length 0
		.amdhsa_user_sgpr_kernarg_preload_offset 0
		.amdhsa_user_sgpr_private_segment_size 0
		.amdhsa_uses_dynamic_stack 0
		.amdhsa_enable_private_segment 0
		.amdhsa_system_sgpr_workgroup_id_x 1
		.amdhsa_system_sgpr_workgroup_id_y 0
		.amdhsa_system_sgpr_workgroup_id_z 0
		.amdhsa_system_sgpr_workgroup_info 0
		.amdhsa_system_vgpr_workitem_id 0
		.amdhsa_next_free_vgpr 1
		.amdhsa_next_free_sgpr 0
		.amdhsa_accum_offset 4
		.amdhsa_reserve_vcc 0
		.amdhsa_float_round_mode_32 0
		.amdhsa_float_round_mode_16_64 0
		.amdhsa_float_denorm_mode_32 3
		.amdhsa_float_denorm_mode_16_64 3
		.amdhsa_dx10_clamp 1
		.amdhsa_ieee_mode 1
		.amdhsa_fp16_overflow 0
		.amdhsa_tg_split 0
		.amdhsa_exception_fp_ieee_invalid_op 0
		.amdhsa_exception_fp_denorm_src 0
		.amdhsa_exception_fp_ieee_div_zero 0
		.amdhsa_exception_fp_ieee_overflow 0
		.amdhsa_exception_fp_ieee_underflow 0
		.amdhsa_exception_fp_ieee_inexact 0
		.amdhsa_exception_int_div_zero 0
	.end_amdhsa_kernel
	.section	.text._ZN7rocprim17ROCPRIM_400000_NS6detail17trampoline_kernelINS0_13kernel_configILj256ELj4ELj4294967295EEENS1_37radix_sort_block_sort_config_selectorIttEEZNS1_21radix_sort_block_sortIS4_Lb0EN6thrust23THRUST_200600_302600_NS6detail15normal_iteratorINS9_10device_ptrItEEEESE_SE_SE_NS0_19identity_decomposerEEE10hipError_tT1_T2_T3_T4_jRjT5_jjP12ihipStream_tbEUlT_E_NS1_11comp_targetILNS1_3genE9ELNS1_11target_archE1100ELNS1_3gpuE3ELNS1_3repE0EEENS1_44radix_sort_block_sort_config_static_selectorELNS0_4arch9wavefront6targetE1EEEvSH_,"axG",@progbits,_ZN7rocprim17ROCPRIM_400000_NS6detail17trampoline_kernelINS0_13kernel_configILj256ELj4ELj4294967295EEENS1_37radix_sort_block_sort_config_selectorIttEEZNS1_21radix_sort_block_sortIS4_Lb0EN6thrust23THRUST_200600_302600_NS6detail15normal_iteratorINS9_10device_ptrItEEEESE_SE_SE_NS0_19identity_decomposerEEE10hipError_tT1_T2_T3_T4_jRjT5_jjP12ihipStream_tbEUlT_E_NS1_11comp_targetILNS1_3genE9ELNS1_11target_archE1100ELNS1_3gpuE3ELNS1_3repE0EEENS1_44radix_sort_block_sort_config_static_selectorELNS0_4arch9wavefront6targetE1EEEvSH_,comdat
.Lfunc_end831:
	.size	_ZN7rocprim17ROCPRIM_400000_NS6detail17trampoline_kernelINS0_13kernel_configILj256ELj4ELj4294967295EEENS1_37radix_sort_block_sort_config_selectorIttEEZNS1_21radix_sort_block_sortIS4_Lb0EN6thrust23THRUST_200600_302600_NS6detail15normal_iteratorINS9_10device_ptrItEEEESE_SE_SE_NS0_19identity_decomposerEEE10hipError_tT1_T2_T3_T4_jRjT5_jjP12ihipStream_tbEUlT_E_NS1_11comp_targetILNS1_3genE9ELNS1_11target_archE1100ELNS1_3gpuE3ELNS1_3repE0EEENS1_44radix_sort_block_sort_config_static_selectorELNS0_4arch9wavefront6targetE1EEEvSH_, .Lfunc_end831-_ZN7rocprim17ROCPRIM_400000_NS6detail17trampoline_kernelINS0_13kernel_configILj256ELj4ELj4294967295EEENS1_37radix_sort_block_sort_config_selectorIttEEZNS1_21radix_sort_block_sortIS4_Lb0EN6thrust23THRUST_200600_302600_NS6detail15normal_iteratorINS9_10device_ptrItEEEESE_SE_SE_NS0_19identity_decomposerEEE10hipError_tT1_T2_T3_T4_jRjT5_jjP12ihipStream_tbEUlT_E_NS1_11comp_targetILNS1_3genE9ELNS1_11target_archE1100ELNS1_3gpuE3ELNS1_3repE0EEENS1_44radix_sort_block_sort_config_static_selectorELNS0_4arch9wavefront6targetE1EEEvSH_
                                        ; -- End function
	.set _ZN7rocprim17ROCPRIM_400000_NS6detail17trampoline_kernelINS0_13kernel_configILj256ELj4ELj4294967295EEENS1_37radix_sort_block_sort_config_selectorIttEEZNS1_21radix_sort_block_sortIS4_Lb0EN6thrust23THRUST_200600_302600_NS6detail15normal_iteratorINS9_10device_ptrItEEEESE_SE_SE_NS0_19identity_decomposerEEE10hipError_tT1_T2_T3_T4_jRjT5_jjP12ihipStream_tbEUlT_E_NS1_11comp_targetILNS1_3genE9ELNS1_11target_archE1100ELNS1_3gpuE3ELNS1_3repE0EEENS1_44radix_sort_block_sort_config_static_selectorELNS0_4arch9wavefront6targetE1EEEvSH_.num_vgpr, 0
	.set _ZN7rocprim17ROCPRIM_400000_NS6detail17trampoline_kernelINS0_13kernel_configILj256ELj4ELj4294967295EEENS1_37radix_sort_block_sort_config_selectorIttEEZNS1_21radix_sort_block_sortIS4_Lb0EN6thrust23THRUST_200600_302600_NS6detail15normal_iteratorINS9_10device_ptrItEEEESE_SE_SE_NS0_19identity_decomposerEEE10hipError_tT1_T2_T3_T4_jRjT5_jjP12ihipStream_tbEUlT_E_NS1_11comp_targetILNS1_3genE9ELNS1_11target_archE1100ELNS1_3gpuE3ELNS1_3repE0EEENS1_44radix_sort_block_sort_config_static_selectorELNS0_4arch9wavefront6targetE1EEEvSH_.num_agpr, 0
	.set _ZN7rocprim17ROCPRIM_400000_NS6detail17trampoline_kernelINS0_13kernel_configILj256ELj4ELj4294967295EEENS1_37radix_sort_block_sort_config_selectorIttEEZNS1_21radix_sort_block_sortIS4_Lb0EN6thrust23THRUST_200600_302600_NS6detail15normal_iteratorINS9_10device_ptrItEEEESE_SE_SE_NS0_19identity_decomposerEEE10hipError_tT1_T2_T3_T4_jRjT5_jjP12ihipStream_tbEUlT_E_NS1_11comp_targetILNS1_3genE9ELNS1_11target_archE1100ELNS1_3gpuE3ELNS1_3repE0EEENS1_44radix_sort_block_sort_config_static_selectorELNS0_4arch9wavefront6targetE1EEEvSH_.numbered_sgpr, 0
	.set _ZN7rocprim17ROCPRIM_400000_NS6detail17trampoline_kernelINS0_13kernel_configILj256ELj4ELj4294967295EEENS1_37radix_sort_block_sort_config_selectorIttEEZNS1_21radix_sort_block_sortIS4_Lb0EN6thrust23THRUST_200600_302600_NS6detail15normal_iteratorINS9_10device_ptrItEEEESE_SE_SE_NS0_19identity_decomposerEEE10hipError_tT1_T2_T3_T4_jRjT5_jjP12ihipStream_tbEUlT_E_NS1_11comp_targetILNS1_3genE9ELNS1_11target_archE1100ELNS1_3gpuE3ELNS1_3repE0EEENS1_44radix_sort_block_sort_config_static_selectorELNS0_4arch9wavefront6targetE1EEEvSH_.num_named_barrier, 0
	.set _ZN7rocprim17ROCPRIM_400000_NS6detail17trampoline_kernelINS0_13kernel_configILj256ELj4ELj4294967295EEENS1_37radix_sort_block_sort_config_selectorIttEEZNS1_21radix_sort_block_sortIS4_Lb0EN6thrust23THRUST_200600_302600_NS6detail15normal_iteratorINS9_10device_ptrItEEEESE_SE_SE_NS0_19identity_decomposerEEE10hipError_tT1_T2_T3_T4_jRjT5_jjP12ihipStream_tbEUlT_E_NS1_11comp_targetILNS1_3genE9ELNS1_11target_archE1100ELNS1_3gpuE3ELNS1_3repE0EEENS1_44radix_sort_block_sort_config_static_selectorELNS0_4arch9wavefront6targetE1EEEvSH_.private_seg_size, 0
	.set _ZN7rocprim17ROCPRIM_400000_NS6detail17trampoline_kernelINS0_13kernel_configILj256ELj4ELj4294967295EEENS1_37radix_sort_block_sort_config_selectorIttEEZNS1_21radix_sort_block_sortIS4_Lb0EN6thrust23THRUST_200600_302600_NS6detail15normal_iteratorINS9_10device_ptrItEEEESE_SE_SE_NS0_19identity_decomposerEEE10hipError_tT1_T2_T3_T4_jRjT5_jjP12ihipStream_tbEUlT_E_NS1_11comp_targetILNS1_3genE9ELNS1_11target_archE1100ELNS1_3gpuE3ELNS1_3repE0EEENS1_44radix_sort_block_sort_config_static_selectorELNS0_4arch9wavefront6targetE1EEEvSH_.uses_vcc, 0
	.set _ZN7rocprim17ROCPRIM_400000_NS6detail17trampoline_kernelINS0_13kernel_configILj256ELj4ELj4294967295EEENS1_37radix_sort_block_sort_config_selectorIttEEZNS1_21radix_sort_block_sortIS4_Lb0EN6thrust23THRUST_200600_302600_NS6detail15normal_iteratorINS9_10device_ptrItEEEESE_SE_SE_NS0_19identity_decomposerEEE10hipError_tT1_T2_T3_T4_jRjT5_jjP12ihipStream_tbEUlT_E_NS1_11comp_targetILNS1_3genE9ELNS1_11target_archE1100ELNS1_3gpuE3ELNS1_3repE0EEENS1_44radix_sort_block_sort_config_static_selectorELNS0_4arch9wavefront6targetE1EEEvSH_.uses_flat_scratch, 0
	.set _ZN7rocprim17ROCPRIM_400000_NS6detail17trampoline_kernelINS0_13kernel_configILj256ELj4ELj4294967295EEENS1_37radix_sort_block_sort_config_selectorIttEEZNS1_21radix_sort_block_sortIS4_Lb0EN6thrust23THRUST_200600_302600_NS6detail15normal_iteratorINS9_10device_ptrItEEEESE_SE_SE_NS0_19identity_decomposerEEE10hipError_tT1_T2_T3_T4_jRjT5_jjP12ihipStream_tbEUlT_E_NS1_11comp_targetILNS1_3genE9ELNS1_11target_archE1100ELNS1_3gpuE3ELNS1_3repE0EEENS1_44radix_sort_block_sort_config_static_selectorELNS0_4arch9wavefront6targetE1EEEvSH_.has_dyn_sized_stack, 0
	.set _ZN7rocprim17ROCPRIM_400000_NS6detail17trampoline_kernelINS0_13kernel_configILj256ELj4ELj4294967295EEENS1_37radix_sort_block_sort_config_selectorIttEEZNS1_21radix_sort_block_sortIS4_Lb0EN6thrust23THRUST_200600_302600_NS6detail15normal_iteratorINS9_10device_ptrItEEEESE_SE_SE_NS0_19identity_decomposerEEE10hipError_tT1_T2_T3_T4_jRjT5_jjP12ihipStream_tbEUlT_E_NS1_11comp_targetILNS1_3genE9ELNS1_11target_archE1100ELNS1_3gpuE3ELNS1_3repE0EEENS1_44radix_sort_block_sort_config_static_selectorELNS0_4arch9wavefront6targetE1EEEvSH_.has_recursion, 0
	.set _ZN7rocprim17ROCPRIM_400000_NS6detail17trampoline_kernelINS0_13kernel_configILj256ELj4ELj4294967295EEENS1_37radix_sort_block_sort_config_selectorIttEEZNS1_21radix_sort_block_sortIS4_Lb0EN6thrust23THRUST_200600_302600_NS6detail15normal_iteratorINS9_10device_ptrItEEEESE_SE_SE_NS0_19identity_decomposerEEE10hipError_tT1_T2_T3_T4_jRjT5_jjP12ihipStream_tbEUlT_E_NS1_11comp_targetILNS1_3genE9ELNS1_11target_archE1100ELNS1_3gpuE3ELNS1_3repE0EEENS1_44radix_sort_block_sort_config_static_selectorELNS0_4arch9wavefront6targetE1EEEvSH_.has_indirect_call, 0
	.section	.AMDGPU.csdata,"",@progbits
; Kernel info:
; codeLenInByte = 0
; TotalNumSgprs: 6
; NumVgprs: 0
; NumAgprs: 0
; TotalNumVgprs: 0
; ScratchSize: 0
; MemoryBound: 0
; FloatMode: 240
; IeeeMode: 1
; LDSByteSize: 0 bytes/workgroup (compile time only)
; SGPRBlocks: 0
; VGPRBlocks: 0
; NumSGPRsForWavesPerEU: 6
; NumVGPRsForWavesPerEU: 1
; AccumOffset: 4
; Occupancy: 8
; WaveLimiterHint : 0
; COMPUTE_PGM_RSRC2:SCRATCH_EN: 0
; COMPUTE_PGM_RSRC2:USER_SGPR: 2
; COMPUTE_PGM_RSRC2:TRAP_HANDLER: 0
; COMPUTE_PGM_RSRC2:TGID_X_EN: 1
; COMPUTE_PGM_RSRC2:TGID_Y_EN: 0
; COMPUTE_PGM_RSRC2:TGID_Z_EN: 0
; COMPUTE_PGM_RSRC2:TIDIG_COMP_CNT: 0
; COMPUTE_PGM_RSRC3_GFX90A:ACCUM_OFFSET: 0
; COMPUTE_PGM_RSRC3_GFX90A:TG_SPLIT: 0
	.section	.text._ZN7rocprim17ROCPRIM_400000_NS6detail17trampoline_kernelINS0_13kernel_configILj256ELj4ELj4294967295EEENS1_37radix_sort_block_sort_config_selectorIttEEZNS1_21radix_sort_block_sortIS4_Lb0EN6thrust23THRUST_200600_302600_NS6detail15normal_iteratorINS9_10device_ptrItEEEESE_SE_SE_NS0_19identity_decomposerEEE10hipError_tT1_T2_T3_T4_jRjT5_jjP12ihipStream_tbEUlT_E_NS1_11comp_targetILNS1_3genE8ELNS1_11target_archE1030ELNS1_3gpuE2ELNS1_3repE0EEENS1_44radix_sort_block_sort_config_static_selectorELNS0_4arch9wavefront6targetE1EEEvSH_,"axG",@progbits,_ZN7rocprim17ROCPRIM_400000_NS6detail17trampoline_kernelINS0_13kernel_configILj256ELj4ELj4294967295EEENS1_37radix_sort_block_sort_config_selectorIttEEZNS1_21radix_sort_block_sortIS4_Lb0EN6thrust23THRUST_200600_302600_NS6detail15normal_iteratorINS9_10device_ptrItEEEESE_SE_SE_NS0_19identity_decomposerEEE10hipError_tT1_T2_T3_T4_jRjT5_jjP12ihipStream_tbEUlT_E_NS1_11comp_targetILNS1_3genE8ELNS1_11target_archE1030ELNS1_3gpuE2ELNS1_3repE0EEENS1_44radix_sort_block_sort_config_static_selectorELNS0_4arch9wavefront6targetE1EEEvSH_,comdat
	.protected	_ZN7rocprim17ROCPRIM_400000_NS6detail17trampoline_kernelINS0_13kernel_configILj256ELj4ELj4294967295EEENS1_37radix_sort_block_sort_config_selectorIttEEZNS1_21radix_sort_block_sortIS4_Lb0EN6thrust23THRUST_200600_302600_NS6detail15normal_iteratorINS9_10device_ptrItEEEESE_SE_SE_NS0_19identity_decomposerEEE10hipError_tT1_T2_T3_T4_jRjT5_jjP12ihipStream_tbEUlT_E_NS1_11comp_targetILNS1_3genE8ELNS1_11target_archE1030ELNS1_3gpuE2ELNS1_3repE0EEENS1_44radix_sort_block_sort_config_static_selectorELNS0_4arch9wavefront6targetE1EEEvSH_ ; -- Begin function _ZN7rocprim17ROCPRIM_400000_NS6detail17trampoline_kernelINS0_13kernel_configILj256ELj4ELj4294967295EEENS1_37radix_sort_block_sort_config_selectorIttEEZNS1_21radix_sort_block_sortIS4_Lb0EN6thrust23THRUST_200600_302600_NS6detail15normal_iteratorINS9_10device_ptrItEEEESE_SE_SE_NS0_19identity_decomposerEEE10hipError_tT1_T2_T3_T4_jRjT5_jjP12ihipStream_tbEUlT_E_NS1_11comp_targetILNS1_3genE8ELNS1_11target_archE1030ELNS1_3gpuE2ELNS1_3repE0EEENS1_44radix_sort_block_sort_config_static_selectorELNS0_4arch9wavefront6targetE1EEEvSH_
	.globl	_ZN7rocprim17ROCPRIM_400000_NS6detail17trampoline_kernelINS0_13kernel_configILj256ELj4ELj4294967295EEENS1_37radix_sort_block_sort_config_selectorIttEEZNS1_21radix_sort_block_sortIS4_Lb0EN6thrust23THRUST_200600_302600_NS6detail15normal_iteratorINS9_10device_ptrItEEEESE_SE_SE_NS0_19identity_decomposerEEE10hipError_tT1_T2_T3_T4_jRjT5_jjP12ihipStream_tbEUlT_E_NS1_11comp_targetILNS1_3genE8ELNS1_11target_archE1030ELNS1_3gpuE2ELNS1_3repE0EEENS1_44radix_sort_block_sort_config_static_selectorELNS0_4arch9wavefront6targetE1EEEvSH_
	.p2align	8
	.type	_ZN7rocprim17ROCPRIM_400000_NS6detail17trampoline_kernelINS0_13kernel_configILj256ELj4ELj4294967295EEENS1_37radix_sort_block_sort_config_selectorIttEEZNS1_21radix_sort_block_sortIS4_Lb0EN6thrust23THRUST_200600_302600_NS6detail15normal_iteratorINS9_10device_ptrItEEEESE_SE_SE_NS0_19identity_decomposerEEE10hipError_tT1_T2_T3_T4_jRjT5_jjP12ihipStream_tbEUlT_E_NS1_11comp_targetILNS1_3genE8ELNS1_11target_archE1030ELNS1_3gpuE2ELNS1_3repE0EEENS1_44radix_sort_block_sort_config_static_selectorELNS0_4arch9wavefront6targetE1EEEvSH_,@function
_ZN7rocprim17ROCPRIM_400000_NS6detail17trampoline_kernelINS0_13kernel_configILj256ELj4ELj4294967295EEENS1_37radix_sort_block_sort_config_selectorIttEEZNS1_21radix_sort_block_sortIS4_Lb0EN6thrust23THRUST_200600_302600_NS6detail15normal_iteratorINS9_10device_ptrItEEEESE_SE_SE_NS0_19identity_decomposerEEE10hipError_tT1_T2_T3_T4_jRjT5_jjP12ihipStream_tbEUlT_E_NS1_11comp_targetILNS1_3genE8ELNS1_11target_archE1030ELNS1_3gpuE2ELNS1_3repE0EEENS1_44radix_sort_block_sort_config_static_selectorELNS0_4arch9wavefront6targetE1EEEvSH_: ; @_ZN7rocprim17ROCPRIM_400000_NS6detail17trampoline_kernelINS0_13kernel_configILj256ELj4ELj4294967295EEENS1_37radix_sort_block_sort_config_selectorIttEEZNS1_21radix_sort_block_sortIS4_Lb0EN6thrust23THRUST_200600_302600_NS6detail15normal_iteratorINS9_10device_ptrItEEEESE_SE_SE_NS0_19identity_decomposerEEE10hipError_tT1_T2_T3_T4_jRjT5_jjP12ihipStream_tbEUlT_E_NS1_11comp_targetILNS1_3genE8ELNS1_11target_archE1030ELNS1_3gpuE2ELNS1_3repE0EEENS1_44radix_sort_block_sort_config_static_selectorELNS0_4arch9wavefront6targetE1EEEvSH_
; %bb.0:
	.section	.rodata,"a",@progbits
	.p2align	6, 0x0
	.amdhsa_kernel _ZN7rocprim17ROCPRIM_400000_NS6detail17trampoline_kernelINS0_13kernel_configILj256ELj4ELj4294967295EEENS1_37radix_sort_block_sort_config_selectorIttEEZNS1_21radix_sort_block_sortIS4_Lb0EN6thrust23THRUST_200600_302600_NS6detail15normal_iteratorINS9_10device_ptrItEEEESE_SE_SE_NS0_19identity_decomposerEEE10hipError_tT1_T2_T3_T4_jRjT5_jjP12ihipStream_tbEUlT_E_NS1_11comp_targetILNS1_3genE8ELNS1_11target_archE1030ELNS1_3gpuE2ELNS1_3repE0EEENS1_44radix_sort_block_sort_config_static_selectorELNS0_4arch9wavefront6targetE1EEEvSH_
		.amdhsa_group_segment_fixed_size 0
		.amdhsa_private_segment_fixed_size 0
		.amdhsa_kernarg_size 48
		.amdhsa_user_sgpr_count 2
		.amdhsa_user_sgpr_dispatch_ptr 0
		.amdhsa_user_sgpr_queue_ptr 0
		.amdhsa_user_sgpr_kernarg_segment_ptr 1
		.amdhsa_user_sgpr_dispatch_id 0
		.amdhsa_user_sgpr_kernarg_preload_length 0
		.amdhsa_user_sgpr_kernarg_preload_offset 0
		.amdhsa_user_sgpr_private_segment_size 0
		.amdhsa_uses_dynamic_stack 0
		.amdhsa_enable_private_segment 0
		.amdhsa_system_sgpr_workgroup_id_x 1
		.amdhsa_system_sgpr_workgroup_id_y 0
		.amdhsa_system_sgpr_workgroup_id_z 0
		.amdhsa_system_sgpr_workgroup_info 0
		.amdhsa_system_vgpr_workitem_id 0
		.amdhsa_next_free_vgpr 1
		.amdhsa_next_free_sgpr 0
		.amdhsa_accum_offset 4
		.amdhsa_reserve_vcc 0
		.amdhsa_float_round_mode_32 0
		.amdhsa_float_round_mode_16_64 0
		.amdhsa_float_denorm_mode_32 3
		.amdhsa_float_denorm_mode_16_64 3
		.amdhsa_dx10_clamp 1
		.amdhsa_ieee_mode 1
		.amdhsa_fp16_overflow 0
		.amdhsa_tg_split 0
		.amdhsa_exception_fp_ieee_invalid_op 0
		.amdhsa_exception_fp_denorm_src 0
		.amdhsa_exception_fp_ieee_div_zero 0
		.amdhsa_exception_fp_ieee_overflow 0
		.amdhsa_exception_fp_ieee_underflow 0
		.amdhsa_exception_fp_ieee_inexact 0
		.amdhsa_exception_int_div_zero 0
	.end_amdhsa_kernel
	.section	.text._ZN7rocprim17ROCPRIM_400000_NS6detail17trampoline_kernelINS0_13kernel_configILj256ELj4ELj4294967295EEENS1_37radix_sort_block_sort_config_selectorIttEEZNS1_21radix_sort_block_sortIS4_Lb0EN6thrust23THRUST_200600_302600_NS6detail15normal_iteratorINS9_10device_ptrItEEEESE_SE_SE_NS0_19identity_decomposerEEE10hipError_tT1_T2_T3_T4_jRjT5_jjP12ihipStream_tbEUlT_E_NS1_11comp_targetILNS1_3genE8ELNS1_11target_archE1030ELNS1_3gpuE2ELNS1_3repE0EEENS1_44radix_sort_block_sort_config_static_selectorELNS0_4arch9wavefront6targetE1EEEvSH_,"axG",@progbits,_ZN7rocprim17ROCPRIM_400000_NS6detail17trampoline_kernelINS0_13kernel_configILj256ELj4ELj4294967295EEENS1_37radix_sort_block_sort_config_selectorIttEEZNS1_21radix_sort_block_sortIS4_Lb0EN6thrust23THRUST_200600_302600_NS6detail15normal_iteratorINS9_10device_ptrItEEEESE_SE_SE_NS0_19identity_decomposerEEE10hipError_tT1_T2_T3_T4_jRjT5_jjP12ihipStream_tbEUlT_E_NS1_11comp_targetILNS1_3genE8ELNS1_11target_archE1030ELNS1_3gpuE2ELNS1_3repE0EEENS1_44radix_sort_block_sort_config_static_selectorELNS0_4arch9wavefront6targetE1EEEvSH_,comdat
.Lfunc_end832:
	.size	_ZN7rocprim17ROCPRIM_400000_NS6detail17trampoline_kernelINS0_13kernel_configILj256ELj4ELj4294967295EEENS1_37radix_sort_block_sort_config_selectorIttEEZNS1_21radix_sort_block_sortIS4_Lb0EN6thrust23THRUST_200600_302600_NS6detail15normal_iteratorINS9_10device_ptrItEEEESE_SE_SE_NS0_19identity_decomposerEEE10hipError_tT1_T2_T3_T4_jRjT5_jjP12ihipStream_tbEUlT_E_NS1_11comp_targetILNS1_3genE8ELNS1_11target_archE1030ELNS1_3gpuE2ELNS1_3repE0EEENS1_44radix_sort_block_sort_config_static_selectorELNS0_4arch9wavefront6targetE1EEEvSH_, .Lfunc_end832-_ZN7rocprim17ROCPRIM_400000_NS6detail17trampoline_kernelINS0_13kernel_configILj256ELj4ELj4294967295EEENS1_37radix_sort_block_sort_config_selectorIttEEZNS1_21radix_sort_block_sortIS4_Lb0EN6thrust23THRUST_200600_302600_NS6detail15normal_iteratorINS9_10device_ptrItEEEESE_SE_SE_NS0_19identity_decomposerEEE10hipError_tT1_T2_T3_T4_jRjT5_jjP12ihipStream_tbEUlT_E_NS1_11comp_targetILNS1_3genE8ELNS1_11target_archE1030ELNS1_3gpuE2ELNS1_3repE0EEENS1_44radix_sort_block_sort_config_static_selectorELNS0_4arch9wavefront6targetE1EEEvSH_
                                        ; -- End function
	.set _ZN7rocprim17ROCPRIM_400000_NS6detail17trampoline_kernelINS0_13kernel_configILj256ELj4ELj4294967295EEENS1_37radix_sort_block_sort_config_selectorIttEEZNS1_21radix_sort_block_sortIS4_Lb0EN6thrust23THRUST_200600_302600_NS6detail15normal_iteratorINS9_10device_ptrItEEEESE_SE_SE_NS0_19identity_decomposerEEE10hipError_tT1_T2_T3_T4_jRjT5_jjP12ihipStream_tbEUlT_E_NS1_11comp_targetILNS1_3genE8ELNS1_11target_archE1030ELNS1_3gpuE2ELNS1_3repE0EEENS1_44radix_sort_block_sort_config_static_selectorELNS0_4arch9wavefront6targetE1EEEvSH_.num_vgpr, 0
	.set _ZN7rocprim17ROCPRIM_400000_NS6detail17trampoline_kernelINS0_13kernel_configILj256ELj4ELj4294967295EEENS1_37radix_sort_block_sort_config_selectorIttEEZNS1_21radix_sort_block_sortIS4_Lb0EN6thrust23THRUST_200600_302600_NS6detail15normal_iteratorINS9_10device_ptrItEEEESE_SE_SE_NS0_19identity_decomposerEEE10hipError_tT1_T2_T3_T4_jRjT5_jjP12ihipStream_tbEUlT_E_NS1_11comp_targetILNS1_3genE8ELNS1_11target_archE1030ELNS1_3gpuE2ELNS1_3repE0EEENS1_44radix_sort_block_sort_config_static_selectorELNS0_4arch9wavefront6targetE1EEEvSH_.num_agpr, 0
	.set _ZN7rocprim17ROCPRIM_400000_NS6detail17trampoline_kernelINS0_13kernel_configILj256ELj4ELj4294967295EEENS1_37radix_sort_block_sort_config_selectorIttEEZNS1_21radix_sort_block_sortIS4_Lb0EN6thrust23THRUST_200600_302600_NS6detail15normal_iteratorINS9_10device_ptrItEEEESE_SE_SE_NS0_19identity_decomposerEEE10hipError_tT1_T2_T3_T4_jRjT5_jjP12ihipStream_tbEUlT_E_NS1_11comp_targetILNS1_3genE8ELNS1_11target_archE1030ELNS1_3gpuE2ELNS1_3repE0EEENS1_44radix_sort_block_sort_config_static_selectorELNS0_4arch9wavefront6targetE1EEEvSH_.numbered_sgpr, 0
	.set _ZN7rocprim17ROCPRIM_400000_NS6detail17trampoline_kernelINS0_13kernel_configILj256ELj4ELj4294967295EEENS1_37radix_sort_block_sort_config_selectorIttEEZNS1_21radix_sort_block_sortIS4_Lb0EN6thrust23THRUST_200600_302600_NS6detail15normal_iteratorINS9_10device_ptrItEEEESE_SE_SE_NS0_19identity_decomposerEEE10hipError_tT1_T2_T3_T4_jRjT5_jjP12ihipStream_tbEUlT_E_NS1_11comp_targetILNS1_3genE8ELNS1_11target_archE1030ELNS1_3gpuE2ELNS1_3repE0EEENS1_44radix_sort_block_sort_config_static_selectorELNS0_4arch9wavefront6targetE1EEEvSH_.num_named_barrier, 0
	.set _ZN7rocprim17ROCPRIM_400000_NS6detail17trampoline_kernelINS0_13kernel_configILj256ELj4ELj4294967295EEENS1_37radix_sort_block_sort_config_selectorIttEEZNS1_21radix_sort_block_sortIS4_Lb0EN6thrust23THRUST_200600_302600_NS6detail15normal_iteratorINS9_10device_ptrItEEEESE_SE_SE_NS0_19identity_decomposerEEE10hipError_tT1_T2_T3_T4_jRjT5_jjP12ihipStream_tbEUlT_E_NS1_11comp_targetILNS1_3genE8ELNS1_11target_archE1030ELNS1_3gpuE2ELNS1_3repE0EEENS1_44radix_sort_block_sort_config_static_selectorELNS0_4arch9wavefront6targetE1EEEvSH_.private_seg_size, 0
	.set _ZN7rocprim17ROCPRIM_400000_NS6detail17trampoline_kernelINS0_13kernel_configILj256ELj4ELj4294967295EEENS1_37radix_sort_block_sort_config_selectorIttEEZNS1_21radix_sort_block_sortIS4_Lb0EN6thrust23THRUST_200600_302600_NS6detail15normal_iteratorINS9_10device_ptrItEEEESE_SE_SE_NS0_19identity_decomposerEEE10hipError_tT1_T2_T3_T4_jRjT5_jjP12ihipStream_tbEUlT_E_NS1_11comp_targetILNS1_3genE8ELNS1_11target_archE1030ELNS1_3gpuE2ELNS1_3repE0EEENS1_44radix_sort_block_sort_config_static_selectorELNS0_4arch9wavefront6targetE1EEEvSH_.uses_vcc, 0
	.set _ZN7rocprim17ROCPRIM_400000_NS6detail17trampoline_kernelINS0_13kernel_configILj256ELj4ELj4294967295EEENS1_37radix_sort_block_sort_config_selectorIttEEZNS1_21radix_sort_block_sortIS4_Lb0EN6thrust23THRUST_200600_302600_NS6detail15normal_iteratorINS9_10device_ptrItEEEESE_SE_SE_NS0_19identity_decomposerEEE10hipError_tT1_T2_T3_T4_jRjT5_jjP12ihipStream_tbEUlT_E_NS1_11comp_targetILNS1_3genE8ELNS1_11target_archE1030ELNS1_3gpuE2ELNS1_3repE0EEENS1_44radix_sort_block_sort_config_static_selectorELNS0_4arch9wavefront6targetE1EEEvSH_.uses_flat_scratch, 0
	.set _ZN7rocprim17ROCPRIM_400000_NS6detail17trampoline_kernelINS0_13kernel_configILj256ELj4ELj4294967295EEENS1_37radix_sort_block_sort_config_selectorIttEEZNS1_21radix_sort_block_sortIS4_Lb0EN6thrust23THRUST_200600_302600_NS6detail15normal_iteratorINS9_10device_ptrItEEEESE_SE_SE_NS0_19identity_decomposerEEE10hipError_tT1_T2_T3_T4_jRjT5_jjP12ihipStream_tbEUlT_E_NS1_11comp_targetILNS1_3genE8ELNS1_11target_archE1030ELNS1_3gpuE2ELNS1_3repE0EEENS1_44radix_sort_block_sort_config_static_selectorELNS0_4arch9wavefront6targetE1EEEvSH_.has_dyn_sized_stack, 0
	.set _ZN7rocprim17ROCPRIM_400000_NS6detail17trampoline_kernelINS0_13kernel_configILj256ELj4ELj4294967295EEENS1_37radix_sort_block_sort_config_selectorIttEEZNS1_21radix_sort_block_sortIS4_Lb0EN6thrust23THRUST_200600_302600_NS6detail15normal_iteratorINS9_10device_ptrItEEEESE_SE_SE_NS0_19identity_decomposerEEE10hipError_tT1_T2_T3_T4_jRjT5_jjP12ihipStream_tbEUlT_E_NS1_11comp_targetILNS1_3genE8ELNS1_11target_archE1030ELNS1_3gpuE2ELNS1_3repE0EEENS1_44radix_sort_block_sort_config_static_selectorELNS0_4arch9wavefront6targetE1EEEvSH_.has_recursion, 0
	.set _ZN7rocprim17ROCPRIM_400000_NS6detail17trampoline_kernelINS0_13kernel_configILj256ELj4ELj4294967295EEENS1_37radix_sort_block_sort_config_selectorIttEEZNS1_21radix_sort_block_sortIS4_Lb0EN6thrust23THRUST_200600_302600_NS6detail15normal_iteratorINS9_10device_ptrItEEEESE_SE_SE_NS0_19identity_decomposerEEE10hipError_tT1_T2_T3_T4_jRjT5_jjP12ihipStream_tbEUlT_E_NS1_11comp_targetILNS1_3genE8ELNS1_11target_archE1030ELNS1_3gpuE2ELNS1_3repE0EEENS1_44radix_sort_block_sort_config_static_selectorELNS0_4arch9wavefront6targetE1EEEvSH_.has_indirect_call, 0
	.section	.AMDGPU.csdata,"",@progbits
; Kernel info:
; codeLenInByte = 0
; TotalNumSgprs: 6
; NumVgprs: 0
; NumAgprs: 0
; TotalNumVgprs: 0
; ScratchSize: 0
; MemoryBound: 0
; FloatMode: 240
; IeeeMode: 1
; LDSByteSize: 0 bytes/workgroup (compile time only)
; SGPRBlocks: 0
; VGPRBlocks: 0
; NumSGPRsForWavesPerEU: 6
; NumVGPRsForWavesPerEU: 1
; AccumOffset: 4
; Occupancy: 8
; WaveLimiterHint : 0
; COMPUTE_PGM_RSRC2:SCRATCH_EN: 0
; COMPUTE_PGM_RSRC2:USER_SGPR: 2
; COMPUTE_PGM_RSRC2:TRAP_HANDLER: 0
; COMPUTE_PGM_RSRC2:TGID_X_EN: 1
; COMPUTE_PGM_RSRC2:TGID_Y_EN: 0
; COMPUTE_PGM_RSRC2:TGID_Z_EN: 0
; COMPUTE_PGM_RSRC2:TIDIG_COMP_CNT: 0
; COMPUTE_PGM_RSRC3_GFX90A:ACCUM_OFFSET: 0
; COMPUTE_PGM_RSRC3_GFX90A:TG_SPLIT: 0
	.section	.text._ZN7rocprim17ROCPRIM_400000_NS6detail44device_merge_sort_compile_time_verifier_archINS1_11comp_targetILNS1_3genE0ELNS1_11target_archE4294967295ELNS1_3gpuE0ELNS1_3repE0EEES8_NS1_28merge_sort_block_sort_configILj256ELj4ELNS0_20block_sort_algorithmE0EEENS0_14default_configENS1_37merge_sort_block_sort_config_selectorIttEENS1_38merge_sort_block_merge_config_selectorIttEEEEvv,"axG",@progbits,_ZN7rocprim17ROCPRIM_400000_NS6detail44device_merge_sort_compile_time_verifier_archINS1_11comp_targetILNS1_3genE0ELNS1_11target_archE4294967295ELNS1_3gpuE0ELNS1_3repE0EEES8_NS1_28merge_sort_block_sort_configILj256ELj4ELNS0_20block_sort_algorithmE0EEENS0_14default_configENS1_37merge_sort_block_sort_config_selectorIttEENS1_38merge_sort_block_merge_config_selectorIttEEEEvv,comdat
	.protected	_ZN7rocprim17ROCPRIM_400000_NS6detail44device_merge_sort_compile_time_verifier_archINS1_11comp_targetILNS1_3genE0ELNS1_11target_archE4294967295ELNS1_3gpuE0ELNS1_3repE0EEES8_NS1_28merge_sort_block_sort_configILj256ELj4ELNS0_20block_sort_algorithmE0EEENS0_14default_configENS1_37merge_sort_block_sort_config_selectorIttEENS1_38merge_sort_block_merge_config_selectorIttEEEEvv ; -- Begin function _ZN7rocprim17ROCPRIM_400000_NS6detail44device_merge_sort_compile_time_verifier_archINS1_11comp_targetILNS1_3genE0ELNS1_11target_archE4294967295ELNS1_3gpuE0ELNS1_3repE0EEES8_NS1_28merge_sort_block_sort_configILj256ELj4ELNS0_20block_sort_algorithmE0EEENS0_14default_configENS1_37merge_sort_block_sort_config_selectorIttEENS1_38merge_sort_block_merge_config_selectorIttEEEEvv
	.globl	_ZN7rocprim17ROCPRIM_400000_NS6detail44device_merge_sort_compile_time_verifier_archINS1_11comp_targetILNS1_3genE0ELNS1_11target_archE4294967295ELNS1_3gpuE0ELNS1_3repE0EEES8_NS1_28merge_sort_block_sort_configILj256ELj4ELNS0_20block_sort_algorithmE0EEENS0_14default_configENS1_37merge_sort_block_sort_config_selectorIttEENS1_38merge_sort_block_merge_config_selectorIttEEEEvv
	.p2align	8
	.type	_ZN7rocprim17ROCPRIM_400000_NS6detail44device_merge_sort_compile_time_verifier_archINS1_11comp_targetILNS1_3genE0ELNS1_11target_archE4294967295ELNS1_3gpuE0ELNS1_3repE0EEES8_NS1_28merge_sort_block_sort_configILj256ELj4ELNS0_20block_sort_algorithmE0EEENS0_14default_configENS1_37merge_sort_block_sort_config_selectorIttEENS1_38merge_sort_block_merge_config_selectorIttEEEEvv,@function
_ZN7rocprim17ROCPRIM_400000_NS6detail44device_merge_sort_compile_time_verifier_archINS1_11comp_targetILNS1_3genE0ELNS1_11target_archE4294967295ELNS1_3gpuE0ELNS1_3repE0EEES8_NS1_28merge_sort_block_sort_configILj256ELj4ELNS0_20block_sort_algorithmE0EEENS0_14default_configENS1_37merge_sort_block_sort_config_selectorIttEENS1_38merge_sort_block_merge_config_selectorIttEEEEvv: ; @_ZN7rocprim17ROCPRIM_400000_NS6detail44device_merge_sort_compile_time_verifier_archINS1_11comp_targetILNS1_3genE0ELNS1_11target_archE4294967295ELNS1_3gpuE0ELNS1_3repE0EEES8_NS1_28merge_sort_block_sort_configILj256ELj4ELNS0_20block_sort_algorithmE0EEENS0_14default_configENS1_37merge_sort_block_sort_config_selectorIttEENS1_38merge_sort_block_merge_config_selectorIttEEEEvv
; %bb.0:
	s_endpgm
	.section	.rodata,"a",@progbits
	.p2align	6, 0x0
	.amdhsa_kernel _ZN7rocprim17ROCPRIM_400000_NS6detail44device_merge_sort_compile_time_verifier_archINS1_11comp_targetILNS1_3genE0ELNS1_11target_archE4294967295ELNS1_3gpuE0ELNS1_3repE0EEES8_NS1_28merge_sort_block_sort_configILj256ELj4ELNS0_20block_sort_algorithmE0EEENS0_14default_configENS1_37merge_sort_block_sort_config_selectorIttEENS1_38merge_sort_block_merge_config_selectorIttEEEEvv
		.amdhsa_group_segment_fixed_size 0
		.amdhsa_private_segment_fixed_size 0
		.amdhsa_kernarg_size 0
		.amdhsa_user_sgpr_count 0
		.amdhsa_user_sgpr_dispatch_ptr 0
		.amdhsa_user_sgpr_queue_ptr 0
		.amdhsa_user_sgpr_kernarg_segment_ptr 0
		.amdhsa_user_sgpr_dispatch_id 0
		.amdhsa_user_sgpr_kernarg_preload_length 0
		.amdhsa_user_sgpr_kernarg_preload_offset 0
		.amdhsa_user_sgpr_private_segment_size 0
		.amdhsa_uses_dynamic_stack 0
		.amdhsa_enable_private_segment 0
		.amdhsa_system_sgpr_workgroup_id_x 1
		.amdhsa_system_sgpr_workgroup_id_y 0
		.amdhsa_system_sgpr_workgroup_id_z 0
		.amdhsa_system_sgpr_workgroup_info 0
		.amdhsa_system_vgpr_workitem_id 0
		.amdhsa_next_free_vgpr 1
		.amdhsa_next_free_sgpr 0
		.amdhsa_accum_offset 4
		.amdhsa_reserve_vcc 0
		.amdhsa_float_round_mode_32 0
		.amdhsa_float_round_mode_16_64 0
		.amdhsa_float_denorm_mode_32 3
		.amdhsa_float_denorm_mode_16_64 3
		.amdhsa_dx10_clamp 1
		.amdhsa_ieee_mode 1
		.amdhsa_fp16_overflow 0
		.amdhsa_tg_split 0
		.amdhsa_exception_fp_ieee_invalid_op 0
		.amdhsa_exception_fp_denorm_src 0
		.amdhsa_exception_fp_ieee_div_zero 0
		.amdhsa_exception_fp_ieee_overflow 0
		.amdhsa_exception_fp_ieee_underflow 0
		.amdhsa_exception_fp_ieee_inexact 0
		.amdhsa_exception_int_div_zero 0
	.end_amdhsa_kernel
	.section	.text._ZN7rocprim17ROCPRIM_400000_NS6detail44device_merge_sort_compile_time_verifier_archINS1_11comp_targetILNS1_3genE0ELNS1_11target_archE4294967295ELNS1_3gpuE0ELNS1_3repE0EEES8_NS1_28merge_sort_block_sort_configILj256ELj4ELNS0_20block_sort_algorithmE0EEENS0_14default_configENS1_37merge_sort_block_sort_config_selectorIttEENS1_38merge_sort_block_merge_config_selectorIttEEEEvv,"axG",@progbits,_ZN7rocprim17ROCPRIM_400000_NS6detail44device_merge_sort_compile_time_verifier_archINS1_11comp_targetILNS1_3genE0ELNS1_11target_archE4294967295ELNS1_3gpuE0ELNS1_3repE0EEES8_NS1_28merge_sort_block_sort_configILj256ELj4ELNS0_20block_sort_algorithmE0EEENS0_14default_configENS1_37merge_sort_block_sort_config_selectorIttEENS1_38merge_sort_block_merge_config_selectorIttEEEEvv,comdat
.Lfunc_end833:
	.size	_ZN7rocprim17ROCPRIM_400000_NS6detail44device_merge_sort_compile_time_verifier_archINS1_11comp_targetILNS1_3genE0ELNS1_11target_archE4294967295ELNS1_3gpuE0ELNS1_3repE0EEES8_NS1_28merge_sort_block_sort_configILj256ELj4ELNS0_20block_sort_algorithmE0EEENS0_14default_configENS1_37merge_sort_block_sort_config_selectorIttEENS1_38merge_sort_block_merge_config_selectorIttEEEEvv, .Lfunc_end833-_ZN7rocprim17ROCPRIM_400000_NS6detail44device_merge_sort_compile_time_verifier_archINS1_11comp_targetILNS1_3genE0ELNS1_11target_archE4294967295ELNS1_3gpuE0ELNS1_3repE0EEES8_NS1_28merge_sort_block_sort_configILj256ELj4ELNS0_20block_sort_algorithmE0EEENS0_14default_configENS1_37merge_sort_block_sort_config_selectorIttEENS1_38merge_sort_block_merge_config_selectorIttEEEEvv
                                        ; -- End function
	.set _ZN7rocprim17ROCPRIM_400000_NS6detail44device_merge_sort_compile_time_verifier_archINS1_11comp_targetILNS1_3genE0ELNS1_11target_archE4294967295ELNS1_3gpuE0ELNS1_3repE0EEES8_NS1_28merge_sort_block_sort_configILj256ELj4ELNS0_20block_sort_algorithmE0EEENS0_14default_configENS1_37merge_sort_block_sort_config_selectorIttEENS1_38merge_sort_block_merge_config_selectorIttEEEEvv.num_vgpr, 0
	.set _ZN7rocprim17ROCPRIM_400000_NS6detail44device_merge_sort_compile_time_verifier_archINS1_11comp_targetILNS1_3genE0ELNS1_11target_archE4294967295ELNS1_3gpuE0ELNS1_3repE0EEES8_NS1_28merge_sort_block_sort_configILj256ELj4ELNS0_20block_sort_algorithmE0EEENS0_14default_configENS1_37merge_sort_block_sort_config_selectorIttEENS1_38merge_sort_block_merge_config_selectorIttEEEEvv.num_agpr, 0
	.set _ZN7rocprim17ROCPRIM_400000_NS6detail44device_merge_sort_compile_time_verifier_archINS1_11comp_targetILNS1_3genE0ELNS1_11target_archE4294967295ELNS1_3gpuE0ELNS1_3repE0EEES8_NS1_28merge_sort_block_sort_configILj256ELj4ELNS0_20block_sort_algorithmE0EEENS0_14default_configENS1_37merge_sort_block_sort_config_selectorIttEENS1_38merge_sort_block_merge_config_selectorIttEEEEvv.numbered_sgpr, 0
	.set _ZN7rocprim17ROCPRIM_400000_NS6detail44device_merge_sort_compile_time_verifier_archINS1_11comp_targetILNS1_3genE0ELNS1_11target_archE4294967295ELNS1_3gpuE0ELNS1_3repE0EEES8_NS1_28merge_sort_block_sort_configILj256ELj4ELNS0_20block_sort_algorithmE0EEENS0_14default_configENS1_37merge_sort_block_sort_config_selectorIttEENS1_38merge_sort_block_merge_config_selectorIttEEEEvv.num_named_barrier, 0
	.set _ZN7rocprim17ROCPRIM_400000_NS6detail44device_merge_sort_compile_time_verifier_archINS1_11comp_targetILNS1_3genE0ELNS1_11target_archE4294967295ELNS1_3gpuE0ELNS1_3repE0EEES8_NS1_28merge_sort_block_sort_configILj256ELj4ELNS0_20block_sort_algorithmE0EEENS0_14default_configENS1_37merge_sort_block_sort_config_selectorIttEENS1_38merge_sort_block_merge_config_selectorIttEEEEvv.private_seg_size, 0
	.set _ZN7rocprim17ROCPRIM_400000_NS6detail44device_merge_sort_compile_time_verifier_archINS1_11comp_targetILNS1_3genE0ELNS1_11target_archE4294967295ELNS1_3gpuE0ELNS1_3repE0EEES8_NS1_28merge_sort_block_sort_configILj256ELj4ELNS0_20block_sort_algorithmE0EEENS0_14default_configENS1_37merge_sort_block_sort_config_selectorIttEENS1_38merge_sort_block_merge_config_selectorIttEEEEvv.uses_vcc, 0
	.set _ZN7rocprim17ROCPRIM_400000_NS6detail44device_merge_sort_compile_time_verifier_archINS1_11comp_targetILNS1_3genE0ELNS1_11target_archE4294967295ELNS1_3gpuE0ELNS1_3repE0EEES8_NS1_28merge_sort_block_sort_configILj256ELj4ELNS0_20block_sort_algorithmE0EEENS0_14default_configENS1_37merge_sort_block_sort_config_selectorIttEENS1_38merge_sort_block_merge_config_selectorIttEEEEvv.uses_flat_scratch, 0
	.set _ZN7rocprim17ROCPRIM_400000_NS6detail44device_merge_sort_compile_time_verifier_archINS1_11comp_targetILNS1_3genE0ELNS1_11target_archE4294967295ELNS1_3gpuE0ELNS1_3repE0EEES8_NS1_28merge_sort_block_sort_configILj256ELj4ELNS0_20block_sort_algorithmE0EEENS0_14default_configENS1_37merge_sort_block_sort_config_selectorIttEENS1_38merge_sort_block_merge_config_selectorIttEEEEvv.has_dyn_sized_stack, 0
	.set _ZN7rocprim17ROCPRIM_400000_NS6detail44device_merge_sort_compile_time_verifier_archINS1_11comp_targetILNS1_3genE0ELNS1_11target_archE4294967295ELNS1_3gpuE0ELNS1_3repE0EEES8_NS1_28merge_sort_block_sort_configILj256ELj4ELNS0_20block_sort_algorithmE0EEENS0_14default_configENS1_37merge_sort_block_sort_config_selectorIttEENS1_38merge_sort_block_merge_config_selectorIttEEEEvv.has_recursion, 0
	.set _ZN7rocprim17ROCPRIM_400000_NS6detail44device_merge_sort_compile_time_verifier_archINS1_11comp_targetILNS1_3genE0ELNS1_11target_archE4294967295ELNS1_3gpuE0ELNS1_3repE0EEES8_NS1_28merge_sort_block_sort_configILj256ELj4ELNS0_20block_sort_algorithmE0EEENS0_14default_configENS1_37merge_sort_block_sort_config_selectorIttEENS1_38merge_sort_block_merge_config_selectorIttEEEEvv.has_indirect_call, 0
	.section	.AMDGPU.csdata,"",@progbits
; Kernel info:
; codeLenInByte = 4
; TotalNumSgprs: 6
; NumVgprs: 0
; NumAgprs: 0
; TotalNumVgprs: 0
; ScratchSize: 0
; MemoryBound: 0
; FloatMode: 240
; IeeeMode: 1
; LDSByteSize: 0 bytes/workgroup (compile time only)
; SGPRBlocks: 0
; VGPRBlocks: 0
; NumSGPRsForWavesPerEU: 6
; NumVGPRsForWavesPerEU: 1
; AccumOffset: 4
; Occupancy: 8
; WaveLimiterHint : 0
; COMPUTE_PGM_RSRC2:SCRATCH_EN: 0
; COMPUTE_PGM_RSRC2:USER_SGPR: 0
; COMPUTE_PGM_RSRC2:TRAP_HANDLER: 0
; COMPUTE_PGM_RSRC2:TGID_X_EN: 1
; COMPUTE_PGM_RSRC2:TGID_Y_EN: 0
; COMPUTE_PGM_RSRC2:TGID_Z_EN: 0
; COMPUTE_PGM_RSRC2:TIDIG_COMP_CNT: 0
; COMPUTE_PGM_RSRC3_GFX90A:ACCUM_OFFSET: 0
; COMPUTE_PGM_RSRC3_GFX90A:TG_SPLIT: 0
	.section	.text._ZN7rocprim17ROCPRIM_400000_NS6detail44device_merge_sort_compile_time_verifier_archINS1_11comp_targetILNS1_3genE5ELNS1_11target_archE942ELNS1_3gpuE9ELNS1_3repE0EEES8_NS1_28merge_sort_block_sort_configILj256ELj4ELNS0_20block_sort_algorithmE0EEENS0_14default_configENS1_37merge_sort_block_sort_config_selectorIttEENS1_38merge_sort_block_merge_config_selectorIttEEEEvv,"axG",@progbits,_ZN7rocprim17ROCPRIM_400000_NS6detail44device_merge_sort_compile_time_verifier_archINS1_11comp_targetILNS1_3genE5ELNS1_11target_archE942ELNS1_3gpuE9ELNS1_3repE0EEES8_NS1_28merge_sort_block_sort_configILj256ELj4ELNS0_20block_sort_algorithmE0EEENS0_14default_configENS1_37merge_sort_block_sort_config_selectorIttEENS1_38merge_sort_block_merge_config_selectorIttEEEEvv,comdat
	.protected	_ZN7rocprim17ROCPRIM_400000_NS6detail44device_merge_sort_compile_time_verifier_archINS1_11comp_targetILNS1_3genE5ELNS1_11target_archE942ELNS1_3gpuE9ELNS1_3repE0EEES8_NS1_28merge_sort_block_sort_configILj256ELj4ELNS0_20block_sort_algorithmE0EEENS0_14default_configENS1_37merge_sort_block_sort_config_selectorIttEENS1_38merge_sort_block_merge_config_selectorIttEEEEvv ; -- Begin function _ZN7rocprim17ROCPRIM_400000_NS6detail44device_merge_sort_compile_time_verifier_archINS1_11comp_targetILNS1_3genE5ELNS1_11target_archE942ELNS1_3gpuE9ELNS1_3repE0EEES8_NS1_28merge_sort_block_sort_configILj256ELj4ELNS0_20block_sort_algorithmE0EEENS0_14default_configENS1_37merge_sort_block_sort_config_selectorIttEENS1_38merge_sort_block_merge_config_selectorIttEEEEvv
	.globl	_ZN7rocprim17ROCPRIM_400000_NS6detail44device_merge_sort_compile_time_verifier_archINS1_11comp_targetILNS1_3genE5ELNS1_11target_archE942ELNS1_3gpuE9ELNS1_3repE0EEES8_NS1_28merge_sort_block_sort_configILj256ELj4ELNS0_20block_sort_algorithmE0EEENS0_14default_configENS1_37merge_sort_block_sort_config_selectorIttEENS1_38merge_sort_block_merge_config_selectorIttEEEEvv
	.p2align	8
	.type	_ZN7rocprim17ROCPRIM_400000_NS6detail44device_merge_sort_compile_time_verifier_archINS1_11comp_targetILNS1_3genE5ELNS1_11target_archE942ELNS1_3gpuE9ELNS1_3repE0EEES8_NS1_28merge_sort_block_sort_configILj256ELj4ELNS0_20block_sort_algorithmE0EEENS0_14default_configENS1_37merge_sort_block_sort_config_selectorIttEENS1_38merge_sort_block_merge_config_selectorIttEEEEvv,@function
_ZN7rocprim17ROCPRIM_400000_NS6detail44device_merge_sort_compile_time_verifier_archINS1_11comp_targetILNS1_3genE5ELNS1_11target_archE942ELNS1_3gpuE9ELNS1_3repE0EEES8_NS1_28merge_sort_block_sort_configILj256ELj4ELNS0_20block_sort_algorithmE0EEENS0_14default_configENS1_37merge_sort_block_sort_config_selectorIttEENS1_38merge_sort_block_merge_config_selectorIttEEEEvv: ; @_ZN7rocprim17ROCPRIM_400000_NS6detail44device_merge_sort_compile_time_verifier_archINS1_11comp_targetILNS1_3genE5ELNS1_11target_archE942ELNS1_3gpuE9ELNS1_3repE0EEES8_NS1_28merge_sort_block_sort_configILj256ELj4ELNS0_20block_sort_algorithmE0EEENS0_14default_configENS1_37merge_sort_block_sort_config_selectorIttEENS1_38merge_sort_block_merge_config_selectorIttEEEEvv
; %bb.0:
	s_endpgm
	.section	.rodata,"a",@progbits
	.p2align	6, 0x0
	.amdhsa_kernel _ZN7rocprim17ROCPRIM_400000_NS6detail44device_merge_sort_compile_time_verifier_archINS1_11comp_targetILNS1_3genE5ELNS1_11target_archE942ELNS1_3gpuE9ELNS1_3repE0EEES8_NS1_28merge_sort_block_sort_configILj256ELj4ELNS0_20block_sort_algorithmE0EEENS0_14default_configENS1_37merge_sort_block_sort_config_selectorIttEENS1_38merge_sort_block_merge_config_selectorIttEEEEvv
		.amdhsa_group_segment_fixed_size 0
		.amdhsa_private_segment_fixed_size 0
		.amdhsa_kernarg_size 0
		.amdhsa_user_sgpr_count 0
		.amdhsa_user_sgpr_dispatch_ptr 0
		.amdhsa_user_sgpr_queue_ptr 0
		.amdhsa_user_sgpr_kernarg_segment_ptr 0
		.amdhsa_user_sgpr_dispatch_id 0
		.amdhsa_user_sgpr_kernarg_preload_length 0
		.amdhsa_user_sgpr_kernarg_preload_offset 0
		.amdhsa_user_sgpr_private_segment_size 0
		.amdhsa_uses_dynamic_stack 0
		.amdhsa_enable_private_segment 0
		.amdhsa_system_sgpr_workgroup_id_x 1
		.amdhsa_system_sgpr_workgroup_id_y 0
		.amdhsa_system_sgpr_workgroup_id_z 0
		.amdhsa_system_sgpr_workgroup_info 0
		.amdhsa_system_vgpr_workitem_id 0
		.amdhsa_next_free_vgpr 1
		.amdhsa_next_free_sgpr 0
		.amdhsa_accum_offset 4
		.amdhsa_reserve_vcc 0
		.amdhsa_float_round_mode_32 0
		.amdhsa_float_round_mode_16_64 0
		.amdhsa_float_denorm_mode_32 3
		.amdhsa_float_denorm_mode_16_64 3
		.amdhsa_dx10_clamp 1
		.amdhsa_ieee_mode 1
		.amdhsa_fp16_overflow 0
		.amdhsa_tg_split 0
		.amdhsa_exception_fp_ieee_invalid_op 0
		.amdhsa_exception_fp_denorm_src 0
		.amdhsa_exception_fp_ieee_div_zero 0
		.amdhsa_exception_fp_ieee_overflow 0
		.amdhsa_exception_fp_ieee_underflow 0
		.amdhsa_exception_fp_ieee_inexact 0
		.amdhsa_exception_int_div_zero 0
	.end_amdhsa_kernel
	.section	.text._ZN7rocprim17ROCPRIM_400000_NS6detail44device_merge_sort_compile_time_verifier_archINS1_11comp_targetILNS1_3genE5ELNS1_11target_archE942ELNS1_3gpuE9ELNS1_3repE0EEES8_NS1_28merge_sort_block_sort_configILj256ELj4ELNS0_20block_sort_algorithmE0EEENS0_14default_configENS1_37merge_sort_block_sort_config_selectorIttEENS1_38merge_sort_block_merge_config_selectorIttEEEEvv,"axG",@progbits,_ZN7rocprim17ROCPRIM_400000_NS6detail44device_merge_sort_compile_time_verifier_archINS1_11comp_targetILNS1_3genE5ELNS1_11target_archE942ELNS1_3gpuE9ELNS1_3repE0EEES8_NS1_28merge_sort_block_sort_configILj256ELj4ELNS0_20block_sort_algorithmE0EEENS0_14default_configENS1_37merge_sort_block_sort_config_selectorIttEENS1_38merge_sort_block_merge_config_selectorIttEEEEvv,comdat
.Lfunc_end834:
	.size	_ZN7rocprim17ROCPRIM_400000_NS6detail44device_merge_sort_compile_time_verifier_archINS1_11comp_targetILNS1_3genE5ELNS1_11target_archE942ELNS1_3gpuE9ELNS1_3repE0EEES8_NS1_28merge_sort_block_sort_configILj256ELj4ELNS0_20block_sort_algorithmE0EEENS0_14default_configENS1_37merge_sort_block_sort_config_selectorIttEENS1_38merge_sort_block_merge_config_selectorIttEEEEvv, .Lfunc_end834-_ZN7rocprim17ROCPRIM_400000_NS6detail44device_merge_sort_compile_time_verifier_archINS1_11comp_targetILNS1_3genE5ELNS1_11target_archE942ELNS1_3gpuE9ELNS1_3repE0EEES8_NS1_28merge_sort_block_sort_configILj256ELj4ELNS0_20block_sort_algorithmE0EEENS0_14default_configENS1_37merge_sort_block_sort_config_selectorIttEENS1_38merge_sort_block_merge_config_selectorIttEEEEvv
                                        ; -- End function
	.set _ZN7rocprim17ROCPRIM_400000_NS6detail44device_merge_sort_compile_time_verifier_archINS1_11comp_targetILNS1_3genE5ELNS1_11target_archE942ELNS1_3gpuE9ELNS1_3repE0EEES8_NS1_28merge_sort_block_sort_configILj256ELj4ELNS0_20block_sort_algorithmE0EEENS0_14default_configENS1_37merge_sort_block_sort_config_selectorIttEENS1_38merge_sort_block_merge_config_selectorIttEEEEvv.num_vgpr, 0
	.set _ZN7rocprim17ROCPRIM_400000_NS6detail44device_merge_sort_compile_time_verifier_archINS1_11comp_targetILNS1_3genE5ELNS1_11target_archE942ELNS1_3gpuE9ELNS1_3repE0EEES8_NS1_28merge_sort_block_sort_configILj256ELj4ELNS0_20block_sort_algorithmE0EEENS0_14default_configENS1_37merge_sort_block_sort_config_selectorIttEENS1_38merge_sort_block_merge_config_selectorIttEEEEvv.num_agpr, 0
	.set _ZN7rocprim17ROCPRIM_400000_NS6detail44device_merge_sort_compile_time_verifier_archINS1_11comp_targetILNS1_3genE5ELNS1_11target_archE942ELNS1_3gpuE9ELNS1_3repE0EEES8_NS1_28merge_sort_block_sort_configILj256ELj4ELNS0_20block_sort_algorithmE0EEENS0_14default_configENS1_37merge_sort_block_sort_config_selectorIttEENS1_38merge_sort_block_merge_config_selectorIttEEEEvv.numbered_sgpr, 0
	.set _ZN7rocprim17ROCPRIM_400000_NS6detail44device_merge_sort_compile_time_verifier_archINS1_11comp_targetILNS1_3genE5ELNS1_11target_archE942ELNS1_3gpuE9ELNS1_3repE0EEES8_NS1_28merge_sort_block_sort_configILj256ELj4ELNS0_20block_sort_algorithmE0EEENS0_14default_configENS1_37merge_sort_block_sort_config_selectorIttEENS1_38merge_sort_block_merge_config_selectorIttEEEEvv.num_named_barrier, 0
	.set _ZN7rocprim17ROCPRIM_400000_NS6detail44device_merge_sort_compile_time_verifier_archINS1_11comp_targetILNS1_3genE5ELNS1_11target_archE942ELNS1_3gpuE9ELNS1_3repE0EEES8_NS1_28merge_sort_block_sort_configILj256ELj4ELNS0_20block_sort_algorithmE0EEENS0_14default_configENS1_37merge_sort_block_sort_config_selectorIttEENS1_38merge_sort_block_merge_config_selectorIttEEEEvv.private_seg_size, 0
	.set _ZN7rocprim17ROCPRIM_400000_NS6detail44device_merge_sort_compile_time_verifier_archINS1_11comp_targetILNS1_3genE5ELNS1_11target_archE942ELNS1_3gpuE9ELNS1_3repE0EEES8_NS1_28merge_sort_block_sort_configILj256ELj4ELNS0_20block_sort_algorithmE0EEENS0_14default_configENS1_37merge_sort_block_sort_config_selectorIttEENS1_38merge_sort_block_merge_config_selectorIttEEEEvv.uses_vcc, 0
	.set _ZN7rocprim17ROCPRIM_400000_NS6detail44device_merge_sort_compile_time_verifier_archINS1_11comp_targetILNS1_3genE5ELNS1_11target_archE942ELNS1_3gpuE9ELNS1_3repE0EEES8_NS1_28merge_sort_block_sort_configILj256ELj4ELNS0_20block_sort_algorithmE0EEENS0_14default_configENS1_37merge_sort_block_sort_config_selectorIttEENS1_38merge_sort_block_merge_config_selectorIttEEEEvv.uses_flat_scratch, 0
	.set _ZN7rocprim17ROCPRIM_400000_NS6detail44device_merge_sort_compile_time_verifier_archINS1_11comp_targetILNS1_3genE5ELNS1_11target_archE942ELNS1_3gpuE9ELNS1_3repE0EEES8_NS1_28merge_sort_block_sort_configILj256ELj4ELNS0_20block_sort_algorithmE0EEENS0_14default_configENS1_37merge_sort_block_sort_config_selectorIttEENS1_38merge_sort_block_merge_config_selectorIttEEEEvv.has_dyn_sized_stack, 0
	.set _ZN7rocprim17ROCPRIM_400000_NS6detail44device_merge_sort_compile_time_verifier_archINS1_11comp_targetILNS1_3genE5ELNS1_11target_archE942ELNS1_3gpuE9ELNS1_3repE0EEES8_NS1_28merge_sort_block_sort_configILj256ELj4ELNS0_20block_sort_algorithmE0EEENS0_14default_configENS1_37merge_sort_block_sort_config_selectorIttEENS1_38merge_sort_block_merge_config_selectorIttEEEEvv.has_recursion, 0
	.set _ZN7rocprim17ROCPRIM_400000_NS6detail44device_merge_sort_compile_time_verifier_archINS1_11comp_targetILNS1_3genE5ELNS1_11target_archE942ELNS1_3gpuE9ELNS1_3repE0EEES8_NS1_28merge_sort_block_sort_configILj256ELj4ELNS0_20block_sort_algorithmE0EEENS0_14default_configENS1_37merge_sort_block_sort_config_selectorIttEENS1_38merge_sort_block_merge_config_selectorIttEEEEvv.has_indirect_call, 0
	.section	.AMDGPU.csdata,"",@progbits
; Kernel info:
; codeLenInByte = 4
; TotalNumSgprs: 6
; NumVgprs: 0
; NumAgprs: 0
; TotalNumVgprs: 0
; ScratchSize: 0
; MemoryBound: 0
; FloatMode: 240
; IeeeMode: 1
; LDSByteSize: 0 bytes/workgroup (compile time only)
; SGPRBlocks: 0
; VGPRBlocks: 0
; NumSGPRsForWavesPerEU: 6
; NumVGPRsForWavesPerEU: 1
; AccumOffset: 4
; Occupancy: 8
; WaveLimiterHint : 0
; COMPUTE_PGM_RSRC2:SCRATCH_EN: 0
; COMPUTE_PGM_RSRC2:USER_SGPR: 0
; COMPUTE_PGM_RSRC2:TRAP_HANDLER: 0
; COMPUTE_PGM_RSRC2:TGID_X_EN: 1
; COMPUTE_PGM_RSRC2:TGID_Y_EN: 0
; COMPUTE_PGM_RSRC2:TGID_Z_EN: 0
; COMPUTE_PGM_RSRC2:TIDIG_COMP_CNT: 0
; COMPUTE_PGM_RSRC3_GFX90A:ACCUM_OFFSET: 0
; COMPUTE_PGM_RSRC3_GFX90A:TG_SPLIT: 0
	.section	.text._ZN7rocprim17ROCPRIM_400000_NS6detail44device_merge_sort_compile_time_verifier_archINS1_11comp_targetILNS1_3genE4ELNS1_11target_archE910ELNS1_3gpuE8ELNS1_3repE0EEES8_NS1_28merge_sort_block_sort_configILj256ELj4ELNS0_20block_sort_algorithmE0EEENS0_14default_configENS1_37merge_sort_block_sort_config_selectorIttEENS1_38merge_sort_block_merge_config_selectorIttEEEEvv,"axG",@progbits,_ZN7rocprim17ROCPRIM_400000_NS6detail44device_merge_sort_compile_time_verifier_archINS1_11comp_targetILNS1_3genE4ELNS1_11target_archE910ELNS1_3gpuE8ELNS1_3repE0EEES8_NS1_28merge_sort_block_sort_configILj256ELj4ELNS0_20block_sort_algorithmE0EEENS0_14default_configENS1_37merge_sort_block_sort_config_selectorIttEENS1_38merge_sort_block_merge_config_selectorIttEEEEvv,comdat
	.protected	_ZN7rocprim17ROCPRIM_400000_NS6detail44device_merge_sort_compile_time_verifier_archINS1_11comp_targetILNS1_3genE4ELNS1_11target_archE910ELNS1_3gpuE8ELNS1_3repE0EEES8_NS1_28merge_sort_block_sort_configILj256ELj4ELNS0_20block_sort_algorithmE0EEENS0_14default_configENS1_37merge_sort_block_sort_config_selectorIttEENS1_38merge_sort_block_merge_config_selectorIttEEEEvv ; -- Begin function _ZN7rocprim17ROCPRIM_400000_NS6detail44device_merge_sort_compile_time_verifier_archINS1_11comp_targetILNS1_3genE4ELNS1_11target_archE910ELNS1_3gpuE8ELNS1_3repE0EEES8_NS1_28merge_sort_block_sort_configILj256ELj4ELNS0_20block_sort_algorithmE0EEENS0_14default_configENS1_37merge_sort_block_sort_config_selectorIttEENS1_38merge_sort_block_merge_config_selectorIttEEEEvv
	.globl	_ZN7rocprim17ROCPRIM_400000_NS6detail44device_merge_sort_compile_time_verifier_archINS1_11comp_targetILNS1_3genE4ELNS1_11target_archE910ELNS1_3gpuE8ELNS1_3repE0EEES8_NS1_28merge_sort_block_sort_configILj256ELj4ELNS0_20block_sort_algorithmE0EEENS0_14default_configENS1_37merge_sort_block_sort_config_selectorIttEENS1_38merge_sort_block_merge_config_selectorIttEEEEvv
	.p2align	8
	.type	_ZN7rocprim17ROCPRIM_400000_NS6detail44device_merge_sort_compile_time_verifier_archINS1_11comp_targetILNS1_3genE4ELNS1_11target_archE910ELNS1_3gpuE8ELNS1_3repE0EEES8_NS1_28merge_sort_block_sort_configILj256ELj4ELNS0_20block_sort_algorithmE0EEENS0_14default_configENS1_37merge_sort_block_sort_config_selectorIttEENS1_38merge_sort_block_merge_config_selectorIttEEEEvv,@function
_ZN7rocprim17ROCPRIM_400000_NS6detail44device_merge_sort_compile_time_verifier_archINS1_11comp_targetILNS1_3genE4ELNS1_11target_archE910ELNS1_3gpuE8ELNS1_3repE0EEES8_NS1_28merge_sort_block_sort_configILj256ELj4ELNS0_20block_sort_algorithmE0EEENS0_14default_configENS1_37merge_sort_block_sort_config_selectorIttEENS1_38merge_sort_block_merge_config_selectorIttEEEEvv: ; @_ZN7rocprim17ROCPRIM_400000_NS6detail44device_merge_sort_compile_time_verifier_archINS1_11comp_targetILNS1_3genE4ELNS1_11target_archE910ELNS1_3gpuE8ELNS1_3repE0EEES8_NS1_28merge_sort_block_sort_configILj256ELj4ELNS0_20block_sort_algorithmE0EEENS0_14default_configENS1_37merge_sort_block_sort_config_selectorIttEENS1_38merge_sort_block_merge_config_selectorIttEEEEvv
; %bb.0:
	s_endpgm
	.section	.rodata,"a",@progbits
	.p2align	6, 0x0
	.amdhsa_kernel _ZN7rocprim17ROCPRIM_400000_NS6detail44device_merge_sort_compile_time_verifier_archINS1_11comp_targetILNS1_3genE4ELNS1_11target_archE910ELNS1_3gpuE8ELNS1_3repE0EEES8_NS1_28merge_sort_block_sort_configILj256ELj4ELNS0_20block_sort_algorithmE0EEENS0_14default_configENS1_37merge_sort_block_sort_config_selectorIttEENS1_38merge_sort_block_merge_config_selectorIttEEEEvv
		.amdhsa_group_segment_fixed_size 0
		.amdhsa_private_segment_fixed_size 0
		.amdhsa_kernarg_size 0
		.amdhsa_user_sgpr_count 0
		.amdhsa_user_sgpr_dispatch_ptr 0
		.amdhsa_user_sgpr_queue_ptr 0
		.amdhsa_user_sgpr_kernarg_segment_ptr 0
		.amdhsa_user_sgpr_dispatch_id 0
		.amdhsa_user_sgpr_kernarg_preload_length 0
		.amdhsa_user_sgpr_kernarg_preload_offset 0
		.amdhsa_user_sgpr_private_segment_size 0
		.amdhsa_uses_dynamic_stack 0
		.amdhsa_enable_private_segment 0
		.amdhsa_system_sgpr_workgroup_id_x 1
		.amdhsa_system_sgpr_workgroup_id_y 0
		.amdhsa_system_sgpr_workgroup_id_z 0
		.amdhsa_system_sgpr_workgroup_info 0
		.amdhsa_system_vgpr_workitem_id 0
		.amdhsa_next_free_vgpr 1
		.amdhsa_next_free_sgpr 0
		.amdhsa_accum_offset 4
		.amdhsa_reserve_vcc 0
		.amdhsa_float_round_mode_32 0
		.amdhsa_float_round_mode_16_64 0
		.amdhsa_float_denorm_mode_32 3
		.amdhsa_float_denorm_mode_16_64 3
		.amdhsa_dx10_clamp 1
		.amdhsa_ieee_mode 1
		.amdhsa_fp16_overflow 0
		.amdhsa_tg_split 0
		.amdhsa_exception_fp_ieee_invalid_op 0
		.amdhsa_exception_fp_denorm_src 0
		.amdhsa_exception_fp_ieee_div_zero 0
		.amdhsa_exception_fp_ieee_overflow 0
		.amdhsa_exception_fp_ieee_underflow 0
		.amdhsa_exception_fp_ieee_inexact 0
		.amdhsa_exception_int_div_zero 0
	.end_amdhsa_kernel
	.section	.text._ZN7rocprim17ROCPRIM_400000_NS6detail44device_merge_sort_compile_time_verifier_archINS1_11comp_targetILNS1_3genE4ELNS1_11target_archE910ELNS1_3gpuE8ELNS1_3repE0EEES8_NS1_28merge_sort_block_sort_configILj256ELj4ELNS0_20block_sort_algorithmE0EEENS0_14default_configENS1_37merge_sort_block_sort_config_selectorIttEENS1_38merge_sort_block_merge_config_selectorIttEEEEvv,"axG",@progbits,_ZN7rocprim17ROCPRIM_400000_NS6detail44device_merge_sort_compile_time_verifier_archINS1_11comp_targetILNS1_3genE4ELNS1_11target_archE910ELNS1_3gpuE8ELNS1_3repE0EEES8_NS1_28merge_sort_block_sort_configILj256ELj4ELNS0_20block_sort_algorithmE0EEENS0_14default_configENS1_37merge_sort_block_sort_config_selectorIttEENS1_38merge_sort_block_merge_config_selectorIttEEEEvv,comdat
.Lfunc_end835:
	.size	_ZN7rocprim17ROCPRIM_400000_NS6detail44device_merge_sort_compile_time_verifier_archINS1_11comp_targetILNS1_3genE4ELNS1_11target_archE910ELNS1_3gpuE8ELNS1_3repE0EEES8_NS1_28merge_sort_block_sort_configILj256ELj4ELNS0_20block_sort_algorithmE0EEENS0_14default_configENS1_37merge_sort_block_sort_config_selectorIttEENS1_38merge_sort_block_merge_config_selectorIttEEEEvv, .Lfunc_end835-_ZN7rocprim17ROCPRIM_400000_NS6detail44device_merge_sort_compile_time_verifier_archINS1_11comp_targetILNS1_3genE4ELNS1_11target_archE910ELNS1_3gpuE8ELNS1_3repE0EEES8_NS1_28merge_sort_block_sort_configILj256ELj4ELNS0_20block_sort_algorithmE0EEENS0_14default_configENS1_37merge_sort_block_sort_config_selectorIttEENS1_38merge_sort_block_merge_config_selectorIttEEEEvv
                                        ; -- End function
	.set _ZN7rocprim17ROCPRIM_400000_NS6detail44device_merge_sort_compile_time_verifier_archINS1_11comp_targetILNS1_3genE4ELNS1_11target_archE910ELNS1_3gpuE8ELNS1_3repE0EEES8_NS1_28merge_sort_block_sort_configILj256ELj4ELNS0_20block_sort_algorithmE0EEENS0_14default_configENS1_37merge_sort_block_sort_config_selectorIttEENS1_38merge_sort_block_merge_config_selectorIttEEEEvv.num_vgpr, 0
	.set _ZN7rocprim17ROCPRIM_400000_NS6detail44device_merge_sort_compile_time_verifier_archINS1_11comp_targetILNS1_3genE4ELNS1_11target_archE910ELNS1_3gpuE8ELNS1_3repE0EEES8_NS1_28merge_sort_block_sort_configILj256ELj4ELNS0_20block_sort_algorithmE0EEENS0_14default_configENS1_37merge_sort_block_sort_config_selectorIttEENS1_38merge_sort_block_merge_config_selectorIttEEEEvv.num_agpr, 0
	.set _ZN7rocprim17ROCPRIM_400000_NS6detail44device_merge_sort_compile_time_verifier_archINS1_11comp_targetILNS1_3genE4ELNS1_11target_archE910ELNS1_3gpuE8ELNS1_3repE0EEES8_NS1_28merge_sort_block_sort_configILj256ELj4ELNS0_20block_sort_algorithmE0EEENS0_14default_configENS1_37merge_sort_block_sort_config_selectorIttEENS1_38merge_sort_block_merge_config_selectorIttEEEEvv.numbered_sgpr, 0
	.set _ZN7rocprim17ROCPRIM_400000_NS6detail44device_merge_sort_compile_time_verifier_archINS1_11comp_targetILNS1_3genE4ELNS1_11target_archE910ELNS1_3gpuE8ELNS1_3repE0EEES8_NS1_28merge_sort_block_sort_configILj256ELj4ELNS0_20block_sort_algorithmE0EEENS0_14default_configENS1_37merge_sort_block_sort_config_selectorIttEENS1_38merge_sort_block_merge_config_selectorIttEEEEvv.num_named_barrier, 0
	.set _ZN7rocprim17ROCPRIM_400000_NS6detail44device_merge_sort_compile_time_verifier_archINS1_11comp_targetILNS1_3genE4ELNS1_11target_archE910ELNS1_3gpuE8ELNS1_3repE0EEES8_NS1_28merge_sort_block_sort_configILj256ELj4ELNS0_20block_sort_algorithmE0EEENS0_14default_configENS1_37merge_sort_block_sort_config_selectorIttEENS1_38merge_sort_block_merge_config_selectorIttEEEEvv.private_seg_size, 0
	.set _ZN7rocprim17ROCPRIM_400000_NS6detail44device_merge_sort_compile_time_verifier_archINS1_11comp_targetILNS1_3genE4ELNS1_11target_archE910ELNS1_3gpuE8ELNS1_3repE0EEES8_NS1_28merge_sort_block_sort_configILj256ELj4ELNS0_20block_sort_algorithmE0EEENS0_14default_configENS1_37merge_sort_block_sort_config_selectorIttEENS1_38merge_sort_block_merge_config_selectorIttEEEEvv.uses_vcc, 0
	.set _ZN7rocprim17ROCPRIM_400000_NS6detail44device_merge_sort_compile_time_verifier_archINS1_11comp_targetILNS1_3genE4ELNS1_11target_archE910ELNS1_3gpuE8ELNS1_3repE0EEES8_NS1_28merge_sort_block_sort_configILj256ELj4ELNS0_20block_sort_algorithmE0EEENS0_14default_configENS1_37merge_sort_block_sort_config_selectorIttEENS1_38merge_sort_block_merge_config_selectorIttEEEEvv.uses_flat_scratch, 0
	.set _ZN7rocprim17ROCPRIM_400000_NS6detail44device_merge_sort_compile_time_verifier_archINS1_11comp_targetILNS1_3genE4ELNS1_11target_archE910ELNS1_3gpuE8ELNS1_3repE0EEES8_NS1_28merge_sort_block_sort_configILj256ELj4ELNS0_20block_sort_algorithmE0EEENS0_14default_configENS1_37merge_sort_block_sort_config_selectorIttEENS1_38merge_sort_block_merge_config_selectorIttEEEEvv.has_dyn_sized_stack, 0
	.set _ZN7rocprim17ROCPRIM_400000_NS6detail44device_merge_sort_compile_time_verifier_archINS1_11comp_targetILNS1_3genE4ELNS1_11target_archE910ELNS1_3gpuE8ELNS1_3repE0EEES8_NS1_28merge_sort_block_sort_configILj256ELj4ELNS0_20block_sort_algorithmE0EEENS0_14default_configENS1_37merge_sort_block_sort_config_selectorIttEENS1_38merge_sort_block_merge_config_selectorIttEEEEvv.has_recursion, 0
	.set _ZN7rocprim17ROCPRIM_400000_NS6detail44device_merge_sort_compile_time_verifier_archINS1_11comp_targetILNS1_3genE4ELNS1_11target_archE910ELNS1_3gpuE8ELNS1_3repE0EEES8_NS1_28merge_sort_block_sort_configILj256ELj4ELNS0_20block_sort_algorithmE0EEENS0_14default_configENS1_37merge_sort_block_sort_config_selectorIttEENS1_38merge_sort_block_merge_config_selectorIttEEEEvv.has_indirect_call, 0
	.section	.AMDGPU.csdata,"",@progbits
; Kernel info:
; codeLenInByte = 4
; TotalNumSgprs: 6
; NumVgprs: 0
; NumAgprs: 0
; TotalNumVgprs: 0
; ScratchSize: 0
; MemoryBound: 0
; FloatMode: 240
; IeeeMode: 1
; LDSByteSize: 0 bytes/workgroup (compile time only)
; SGPRBlocks: 0
; VGPRBlocks: 0
; NumSGPRsForWavesPerEU: 6
; NumVGPRsForWavesPerEU: 1
; AccumOffset: 4
; Occupancy: 8
; WaveLimiterHint : 0
; COMPUTE_PGM_RSRC2:SCRATCH_EN: 0
; COMPUTE_PGM_RSRC2:USER_SGPR: 0
; COMPUTE_PGM_RSRC2:TRAP_HANDLER: 0
; COMPUTE_PGM_RSRC2:TGID_X_EN: 1
; COMPUTE_PGM_RSRC2:TGID_Y_EN: 0
; COMPUTE_PGM_RSRC2:TGID_Z_EN: 0
; COMPUTE_PGM_RSRC2:TIDIG_COMP_CNT: 0
; COMPUTE_PGM_RSRC3_GFX90A:ACCUM_OFFSET: 0
; COMPUTE_PGM_RSRC3_GFX90A:TG_SPLIT: 0
	.section	.text._ZN7rocprim17ROCPRIM_400000_NS6detail44device_merge_sort_compile_time_verifier_archINS1_11comp_targetILNS1_3genE3ELNS1_11target_archE908ELNS1_3gpuE7ELNS1_3repE0EEES8_NS1_28merge_sort_block_sort_configILj256ELj4ELNS0_20block_sort_algorithmE0EEENS0_14default_configENS1_37merge_sort_block_sort_config_selectorIttEENS1_38merge_sort_block_merge_config_selectorIttEEEEvv,"axG",@progbits,_ZN7rocprim17ROCPRIM_400000_NS6detail44device_merge_sort_compile_time_verifier_archINS1_11comp_targetILNS1_3genE3ELNS1_11target_archE908ELNS1_3gpuE7ELNS1_3repE0EEES8_NS1_28merge_sort_block_sort_configILj256ELj4ELNS0_20block_sort_algorithmE0EEENS0_14default_configENS1_37merge_sort_block_sort_config_selectorIttEENS1_38merge_sort_block_merge_config_selectorIttEEEEvv,comdat
	.protected	_ZN7rocprim17ROCPRIM_400000_NS6detail44device_merge_sort_compile_time_verifier_archINS1_11comp_targetILNS1_3genE3ELNS1_11target_archE908ELNS1_3gpuE7ELNS1_3repE0EEES8_NS1_28merge_sort_block_sort_configILj256ELj4ELNS0_20block_sort_algorithmE0EEENS0_14default_configENS1_37merge_sort_block_sort_config_selectorIttEENS1_38merge_sort_block_merge_config_selectorIttEEEEvv ; -- Begin function _ZN7rocprim17ROCPRIM_400000_NS6detail44device_merge_sort_compile_time_verifier_archINS1_11comp_targetILNS1_3genE3ELNS1_11target_archE908ELNS1_3gpuE7ELNS1_3repE0EEES8_NS1_28merge_sort_block_sort_configILj256ELj4ELNS0_20block_sort_algorithmE0EEENS0_14default_configENS1_37merge_sort_block_sort_config_selectorIttEENS1_38merge_sort_block_merge_config_selectorIttEEEEvv
	.globl	_ZN7rocprim17ROCPRIM_400000_NS6detail44device_merge_sort_compile_time_verifier_archINS1_11comp_targetILNS1_3genE3ELNS1_11target_archE908ELNS1_3gpuE7ELNS1_3repE0EEES8_NS1_28merge_sort_block_sort_configILj256ELj4ELNS0_20block_sort_algorithmE0EEENS0_14default_configENS1_37merge_sort_block_sort_config_selectorIttEENS1_38merge_sort_block_merge_config_selectorIttEEEEvv
	.p2align	8
	.type	_ZN7rocprim17ROCPRIM_400000_NS6detail44device_merge_sort_compile_time_verifier_archINS1_11comp_targetILNS1_3genE3ELNS1_11target_archE908ELNS1_3gpuE7ELNS1_3repE0EEES8_NS1_28merge_sort_block_sort_configILj256ELj4ELNS0_20block_sort_algorithmE0EEENS0_14default_configENS1_37merge_sort_block_sort_config_selectorIttEENS1_38merge_sort_block_merge_config_selectorIttEEEEvv,@function
_ZN7rocprim17ROCPRIM_400000_NS6detail44device_merge_sort_compile_time_verifier_archINS1_11comp_targetILNS1_3genE3ELNS1_11target_archE908ELNS1_3gpuE7ELNS1_3repE0EEES8_NS1_28merge_sort_block_sort_configILj256ELj4ELNS0_20block_sort_algorithmE0EEENS0_14default_configENS1_37merge_sort_block_sort_config_selectorIttEENS1_38merge_sort_block_merge_config_selectorIttEEEEvv: ; @_ZN7rocprim17ROCPRIM_400000_NS6detail44device_merge_sort_compile_time_verifier_archINS1_11comp_targetILNS1_3genE3ELNS1_11target_archE908ELNS1_3gpuE7ELNS1_3repE0EEES8_NS1_28merge_sort_block_sort_configILj256ELj4ELNS0_20block_sort_algorithmE0EEENS0_14default_configENS1_37merge_sort_block_sort_config_selectorIttEENS1_38merge_sort_block_merge_config_selectorIttEEEEvv
; %bb.0:
	s_endpgm
	.section	.rodata,"a",@progbits
	.p2align	6, 0x0
	.amdhsa_kernel _ZN7rocprim17ROCPRIM_400000_NS6detail44device_merge_sort_compile_time_verifier_archINS1_11comp_targetILNS1_3genE3ELNS1_11target_archE908ELNS1_3gpuE7ELNS1_3repE0EEES8_NS1_28merge_sort_block_sort_configILj256ELj4ELNS0_20block_sort_algorithmE0EEENS0_14default_configENS1_37merge_sort_block_sort_config_selectorIttEENS1_38merge_sort_block_merge_config_selectorIttEEEEvv
		.amdhsa_group_segment_fixed_size 0
		.amdhsa_private_segment_fixed_size 0
		.amdhsa_kernarg_size 0
		.amdhsa_user_sgpr_count 0
		.amdhsa_user_sgpr_dispatch_ptr 0
		.amdhsa_user_sgpr_queue_ptr 0
		.amdhsa_user_sgpr_kernarg_segment_ptr 0
		.amdhsa_user_sgpr_dispatch_id 0
		.amdhsa_user_sgpr_kernarg_preload_length 0
		.amdhsa_user_sgpr_kernarg_preload_offset 0
		.amdhsa_user_sgpr_private_segment_size 0
		.amdhsa_uses_dynamic_stack 0
		.amdhsa_enable_private_segment 0
		.amdhsa_system_sgpr_workgroup_id_x 1
		.amdhsa_system_sgpr_workgroup_id_y 0
		.amdhsa_system_sgpr_workgroup_id_z 0
		.amdhsa_system_sgpr_workgroup_info 0
		.amdhsa_system_vgpr_workitem_id 0
		.amdhsa_next_free_vgpr 1
		.amdhsa_next_free_sgpr 0
		.amdhsa_accum_offset 4
		.amdhsa_reserve_vcc 0
		.amdhsa_float_round_mode_32 0
		.amdhsa_float_round_mode_16_64 0
		.amdhsa_float_denorm_mode_32 3
		.amdhsa_float_denorm_mode_16_64 3
		.amdhsa_dx10_clamp 1
		.amdhsa_ieee_mode 1
		.amdhsa_fp16_overflow 0
		.amdhsa_tg_split 0
		.amdhsa_exception_fp_ieee_invalid_op 0
		.amdhsa_exception_fp_denorm_src 0
		.amdhsa_exception_fp_ieee_div_zero 0
		.amdhsa_exception_fp_ieee_overflow 0
		.amdhsa_exception_fp_ieee_underflow 0
		.amdhsa_exception_fp_ieee_inexact 0
		.amdhsa_exception_int_div_zero 0
	.end_amdhsa_kernel
	.section	.text._ZN7rocprim17ROCPRIM_400000_NS6detail44device_merge_sort_compile_time_verifier_archINS1_11comp_targetILNS1_3genE3ELNS1_11target_archE908ELNS1_3gpuE7ELNS1_3repE0EEES8_NS1_28merge_sort_block_sort_configILj256ELj4ELNS0_20block_sort_algorithmE0EEENS0_14default_configENS1_37merge_sort_block_sort_config_selectorIttEENS1_38merge_sort_block_merge_config_selectorIttEEEEvv,"axG",@progbits,_ZN7rocprim17ROCPRIM_400000_NS6detail44device_merge_sort_compile_time_verifier_archINS1_11comp_targetILNS1_3genE3ELNS1_11target_archE908ELNS1_3gpuE7ELNS1_3repE0EEES8_NS1_28merge_sort_block_sort_configILj256ELj4ELNS0_20block_sort_algorithmE0EEENS0_14default_configENS1_37merge_sort_block_sort_config_selectorIttEENS1_38merge_sort_block_merge_config_selectorIttEEEEvv,comdat
.Lfunc_end836:
	.size	_ZN7rocprim17ROCPRIM_400000_NS6detail44device_merge_sort_compile_time_verifier_archINS1_11comp_targetILNS1_3genE3ELNS1_11target_archE908ELNS1_3gpuE7ELNS1_3repE0EEES8_NS1_28merge_sort_block_sort_configILj256ELj4ELNS0_20block_sort_algorithmE0EEENS0_14default_configENS1_37merge_sort_block_sort_config_selectorIttEENS1_38merge_sort_block_merge_config_selectorIttEEEEvv, .Lfunc_end836-_ZN7rocprim17ROCPRIM_400000_NS6detail44device_merge_sort_compile_time_verifier_archINS1_11comp_targetILNS1_3genE3ELNS1_11target_archE908ELNS1_3gpuE7ELNS1_3repE0EEES8_NS1_28merge_sort_block_sort_configILj256ELj4ELNS0_20block_sort_algorithmE0EEENS0_14default_configENS1_37merge_sort_block_sort_config_selectorIttEENS1_38merge_sort_block_merge_config_selectorIttEEEEvv
                                        ; -- End function
	.set _ZN7rocprim17ROCPRIM_400000_NS6detail44device_merge_sort_compile_time_verifier_archINS1_11comp_targetILNS1_3genE3ELNS1_11target_archE908ELNS1_3gpuE7ELNS1_3repE0EEES8_NS1_28merge_sort_block_sort_configILj256ELj4ELNS0_20block_sort_algorithmE0EEENS0_14default_configENS1_37merge_sort_block_sort_config_selectorIttEENS1_38merge_sort_block_merge_config_selectorIttEEEEvv.num_vgpr, 0
	.set _ZN7rocprim17ROCPRIM_400000_NS6detail44device_merge_sort_compile_time_verifier_archINS1_11comp_targetILNS1_3genE3ELNS1_11target_archE908ELNS1_3gpuE7ELNS1_3repE0EEES8_NS1_28merge_sort_block_sort_configILj256ELj4ELNS0_20block_sort_algorithmE0EEENS0_14default_configENS1_37merge_sort_block_sort_config_selectorIttEENS1_38merge_sort_block_merge_config_selectorIttEEEEvv.num_agpr, 0
	.set _ZN7rocprim17ROCPRIM_400000_NS6detail44device_merge_sort_compile_time_verifier_archINS1_11comp_targetILNS1_3genE3ELNS1_11target_archE908ELNS1_3gpuE7ELNS1_3repE0EEES8_NS1_28merge_sort_block_sort_configILj256ELj4ELNS0_20block_sort_algorithmE0EEENS0_14default_configENS1_37merge_sort_block_sort_config_selectorIttEENS1_38merge_sort_block_merge_config_selectorIttEEEEvv.numbered_sgpr, 0
	.set _ZN7rocprim17ROCPRIM_400000_NS6detail44device_merge_sort_compile_time_verifier_archINS1_11comp_targetILNS1_3genE3ELNS1_11target_archE908ELNS1_3gpuE7ELNS1_3repE0EEES8_NS1_28merge_sort_block_sort_configILj256ELj4ELNS0_20block_sort_algorithmE0EEENS0_14default_configENS1_37merge_sort_block_sort_config_selectorIttEENS1_38merge_sort_block_merge_config_selectorIttEEEEvv.num_named_barrier, 0
	.set _ZN7rocprim17ROCPRIM_400000_NS6detail44device_merge_sort_compile_time_verifier_archINS1_11comp_targetILNS1_3genE3ELNS1_11target_archE908ELNS1_3gpuE7ELNS1_3repE0EEES8_NS1_28merge_sort_block_sort_configILj256ELj4ELNS0_20block_sort_algorithmE0EEENS0_14default_configENS1_37merge_sort_block_sort_config_selectorIttEENS1_38merge_sort_block_merge_config_selectorIttEEEEvv.private_seg_size, 0
	.set _ZN7rocprim17ROCPRIM_400000_NS6detail44device_merge_sort_compile_time_verifier_archINS1_11comp_targetILNS1_3genE3ELNS1_11target_archE908ELNS1_3gpuE7ELNS1_3repE0EEES8_NS1_28merge_sort_block_sort_configILj256ELj4ELNS0_20block_sort_algorithmE0EEENS0_14default_configENS1_37merge_sort_block_sort_config_selectorIttEENS1_38merge_sort_block_merge_config_selectorIttEEEEvv.uses_vcc, 0
	.set _ZN7rocprim17ROCPRIM_400000_NS6detail44device_merge_sort_compile_time_verifier_archINS1_11comp_targetILNS1_3genE3ELNS1_11target_archE908ELNS1_3gpuE7ELNS1_3repE0EEES8_NS1_28merge_sort_block_sort_configILj256ELj4ELNS0_20block_sort_algorithmE0EEENS0_14default_configENS1_37merge_sort_block_sort_config_selectorIttEENS1_38merge_sort_block_merge_config_selectorIttEEEEvv.uses_flat_scratch, 0
	.set _ZN7rocprim17ROCPRIM_400000_NS6detail44device_merge_sort_compile_time_verifier_archINS1_11comp_targetILNS1_3genE3ELNS1_11target_archE908ELNS1_3gpuE7ELNS1_3repE0EEES8_NS1_28merge_sort_block_sort_configILj256ELj4ELNS0_20block_sort_algorithmE0EEENS0_14default_configENS1_37merge_sort_block_sort_config_selectorIttEENS1_38merge_sort_block_merge_config_selectorIttEEEEvv.has_dyn_sized_stack, 0
	.set _ZN7rocprim17ROCPRIM_400000_NS6detail44device_merge_sort_compile_time_verifier_archINS1_11comp_targetILNS1_3genE3ELNS1_11target_archE908ELNS1_3gpuE7ELNS1_3repE0EEES8_NS1_28merge_sort_block_sort_configILj256ELj4ELNS0_20block_sort_algorithmE0EEENS0_14default_configENS1_37merge_sort_block_sort_config_selectorIttEENS1_38merge_sort_block_merge_config_selectorIttEEEEvv.has_recursion, 0
	.set _ZN7rocprim17ROCPRIM_400000_NS6detail44device_merge_sort_compile_time_verifier_archINS1_11comp_targetILNS1_3genE3ELNS1_11target_archE908ELNS1_3gpuE7ELNS1_3repE0EEES8_NS1_28merge_sort_block_sort_configILj256ELj4ELNS0_20block_sort_algorithmE0EEENS0_14default_configENS1_37merge_sort_block_sort_config_selectorIttEENS1_38merge_sort_block_merge_config_selectorIttEEEEvv.has_indirect_call, 0
	.section	.AMDGPU.csdata,"",@progbits
; Kernel info:
; codeLenInByte = 4
; TotalNumSgprs: 6
; NumVgprs: 0
; NumAgprs: 0
; TotalNumVgprs: 0
; ScratchSize: 0
; MemoryBound: 0
; FloatMode: 240
; IeeeMode: 1
; LDSByteSize: 0 bytes/workgroup (compile time only)
; SGPRBlocks: 0
; VGPRBlocks: 0
; NumSGPRsForWavesPerEU: 6
; NumVGPRsForWavesPerEU: 1
; AccumOffset: 4
; Occupancy: 8
; WaveLimiterHint : 0
; COMPUTE_PGM_RSRC2:SCRATCH_EN: 0
; COMPUTE_PGM_RSRC2:USER_SGPR: 0
; COMPUTE_PGM_RSRC2:TRAP_HANDLER: 0
; COMPUTE_PGM_RSRC2:TGID_X_EN: 1
; COMPUTE_PGM_RSRC2:TGID_Y_EN: 0
; COMPUTE_PGM_RSRC2:TGID_Z_EN: 0
; COMPUTE_PGM_RSRC2:TIDIG_COMP_CNT: 0
; COMPUTE_PGM_RSRC3_GFX90A:ACCUM_OFFSET: 0
; COMPUTE_PGM_RSRC3_GFX90A:TG_SPLIT: 0
	.section	.text._ZN7rocprim17ROCPRIM_400000_NS6detail44device_merge_sort_compile_time_verifier_archINS1_11comp_targetILNS1_3genE2ELNS1_11target_archE906ELNS1_3gpuE6ELNS1_3repE0EEES8_NS1_28merge_sort_block_sort_configILj256ELj4ELNS0_20block_sort_algorithmE0EEENS0_14default_configENS1_37merge_sort_block_sort_config_selectorIttEENS1_38merge_sort_block_merge_config_selectorIttEEEEvv,"axG",@progbits,_ZN7rocprim17ROCPRIM_400000_NS6detail44device_merge_sort_compile_time_verifier_archINS1_11comp_targetILNS1_3genE2ELNS1_11target_archE906ELNS1_3gpuE6ELNS1_3repE0EEES8_NS1_28merge_sort_block_sort_configILj256ELj4ELNS0_20block_sort_algorithmE0EEENS0_14default_configENS1_37merge_sort_block_sort_config_selectorIttEENS1_38merge_sort_block_merge_config_selectorIttEEEEvv,comdat
	.protected	_ZN7rocprim17ROCPRIM_400000_NS6detail44device_merge_sort_compile_time_verifier_archINS1_11comp_targetILNS1_3genE2ELNS1_11target_archE906ELNS1_3gpuE6ELNS1_3repE0EEES8_NS1_28merge_sort_block_sort_configILj256ELj4ELNS0_20block_sort_algorithmE0EEENS0_14default_configENS1_37merge_sort_block_sort_config_selectorIttEENS1_38merge_sort_block_merge_config_selectorIttEEEEvv ; -- Begin function _ZN7rocprim17ROCPRIM_400000_NS6detail44device_merge_sort_compile_time_verifier_archINS1_11comp_targetILNS1_3genE2ELNS1_11target_archE906ELNS1_3gpuE6ELNS1_3repE0EEES8_NS1_28merge_sort_block_sort_configILj256ELj4ELNS0_20block_sort_algorithmE0EEENS0_14default_configENS1_37merge_sort_block_sort_config_selectorIttEENS1_38merge_sort_block_merge_config_selectorIttEEEEvv
	.globl	_ZN7rocprim17ROCPRIM_400000_NS6detail44device_merge_sort_compile_time_verifier_archINS1_11comp_targetILNS1_3genE2ELNS1_11target_archE906ELNS1_3gpuE6ELNS1_3repE0EEES8_NS1_28merge_sort_block_sort_configILj256ELj4ELNS0_20block_sort_algorithmE0EEENS0_14default_configENS1_37merge_sort_block_sort_config_selectorIttEENS1_38merge_sort_block_merge_config_selectorIttEEEEvv
	.p2align	8
	.type	_ZN7rocprim17ROCPRIM_400000_NS6detail44device_merge_sort_compile_time_verifier_archINS1_11comp_targetILNS1_3genE2ELNS1_11target_archE906ELNS1_3gpuE6ELNS1_3repE0EEES8_NS1_28merge_sort_block_sort_configILj256ELj4ELNS0_20block_sort_algorithmE0EEENS0_14default_configENS1_37merge_sort_block_sort_config_selectorIttEENS1_38merge_sort_block_merge_config_selectorIttEEEEvv,@function
_ZN7rocprim17ROCPRIM_400000_NS6detail44device_merge_sort_compile_time_verifier_archINS1_11comp_targetILNS1_3genE2ELNS1_11target_archE906ELNS1_3gpuE6ELNS1_3repE0EEES8_NS1_28merge_sort_block_sort_configILj256ELj4ELNS0_20block_sort_algorithmE0EEENS0_14default_configENS1_37merge_sort_block_sort_config_selectorIttEENS1_38merge_sort_block_merge_config_selectorIttEEEEvv: ; @_ZN7rocprim17ROCPRIM_400000_NS6detail44device_merge_sort_compile_time_verifier_archINS1_11comp_targetILNS1_3genE2ELNS1_11target_archE906ELNS1_3gpuE6ELNS1_3repE0EEES8_NS1_28merge_sort_block_sort_configILj256ELj4ELNS0_20block_sort_algorithmE0EEENS0_14default_configENS1_37merge_sort_block_sort_config_selectorIttEENS1_38merge_sort_block_merge_config_selectorIttEEEEvv
; %bb.0:
	s_endpgm
	.section	.rodata,"a",@progbits
	.p2align	6, 0x0
	.amdhsa_kernel _ZN7rocprim17ROCPRIM_400000_NS6detail44device_merge_sort_compile_time_verifier_archINS1_11comp_targetILNS1_3genE2ELNS1_11target_archE906ELNS1_3gpuE6ELNS1_3repE0EEES8_NS1_28merge_sort_block_sort_configILj256ELj4ELNS0_20block_sort_algorithmE0EEENS0_14default_configENS1_37merge_sort_block_sort_config_selectorIttEENS1_38merge_sort_block_merge_config_selectorIttEEEEvv
		.amdhsa_group_segment_fixed_size 0
		.amdhsa_private_segment_fixed_size 0
		.amdhsa_kernarg_size 0
		.amdhsa_user_sgpr_count 0
		.amdhsa_user_sgpr_dispatch_ptr 0
		.amdhsa_user_sgpr_queue_ptr 0
		.amdhsa_user_sgpr_kernarg_segment_ptr 0
		.amdhsa_user_sgpr_dispatch_id 0
		.amdhsa_user_sgpr_kernarg_preload_length 0
		.amdhsa_user_sgpr_kernarg_preload_offset 0
		.amdhsa_user_sgpr_private_segment_size 0
		.amdhsa_uses_dynamic_stack 0
		.amdhsa_enable_private_segment 0
		.amdhsa_system_sgpr_workgroup_id_x 1
		.amdhsa_system_sgpr_workgroup_id_y 0
		.amdhsa_system_sgpr_workgroup_id_z 0
		.amdhsa_system_sgpr_workgroup_info 0
		.amdhsa_system_vgpr_workitem_id 0
		.amdhsa_next_free_vgpr 1
		.amdhsa_next_free_sgpr 0
		.amdhsa_accum_offset 4
		.amdhsa_reserve_vcc 0
		.amdhsa_float_round_mode_32 0
		.amdhsa_float_round_mode_16_64 0
		.amdhsa_float_denorm_mode_32 3
		.amdhsa_float_denorm_mode_16_64 3
		.amdhsa_dx10_clamp 1
		.amdhsa_ieee_mode 1
		.amdhsa_fp16_overflow 0
		.amdhsa_tg_split 0
		.amdhsa_exception_fp_ieee_invalid_op 0
		.amdhsa_exception_fp_denorm_src 0
		.amdhsa_exception_fp_ieee_div_zero 0
		.amdhsa_exception_fp_ieee_overflow 0
		.amdhsa_exception_fp_ieee_underflow 0
		.amdhsa_exception_fp_ieee_inexact 0
		.amdhsa_exception_int_div_zero 0
	.end_amdhsa_kernel
	.section	.text._ZN7rocprim17ROCPRIM_400000_NS6detail44device_merge_sort_compile_time_verifier_archINS1_11comp_targetILNS1_3genE2ELNS1_11target_archE906ELNS1_3gpuE6ELNS1_3repE0EEES8_NS1_28merge_sort_block_sort_configILj256ELj4ELNS0_20block_sort_algorithmE0EEENS0_14default_configENS1_37merge_sort_block_sort_config_selectorIttEENS1_38merge_sort_block_merge_config_selectorIttEEEEvv,"axG",@progbits,_ZN7rocprim17ROCPRIM_400000_NS6detail44device_merge_sort_compile_time_verifier_archINS1_11comp_targetILNS1_3genE2ELNS1_11target_archE906ELNS1_3gpuE6ELNS1_3repE0EEES8_NS1_28merge_sort_block_sort_configILj256ELj4ELNS0_20block_sort_algorithmE0EEENS0_14default_configENS1_37merge_sort_block_sort_config_selectorIttEENS1_38merge_sort_block_merge_config_selectorIttEEEEvv,comdat
.Lfunc_end837:
	.size	_ZN7rocprim17ROCPRIM_400000_NS6detail44device_merge_sort_compile_time_verifier_archINS1_11comp_targetILNS1_3genE2ELNS1_11target_archE906ELNS1_3gpuE6ELNS1_3repE0EEES8_NS1_28merge_sort_block_sort_configILj256ELj4ELNS0_20block_sort_algorithmE0EEENS0_14default_configENS1_37merge_sort_block_sort_config_selectorIttEENS1_38merge_sort_block_merge_config_selectorIttEEEEvv, .Lfunc_end837-_ZN7rocprim17ROCPRIM_400000_NS6detail44device_merge_sort_compile_time_verifier_archINS1_11comp_targetILNS1_3genE2ELNS1_11target_archE906ELNS1_3gpuE6ELNS1_3repE0EEES8_NS1_28merge_sort_block_sort_configILj256ELj4ELNS0_20block_sort_algorithmE0EEENS0_14default_configENS1_37merge_sort_block_sort_config_selectorIttEENS1_38merge_sort_block_merge_config_selectorIttEEEEvv
                                        ; -- End function
	.set _ZN7rocprim17ROCPRIM_400000_NS6detail44device_merge_sort_compile_time_verifier_archINS1_11comp_targetILNS1_3genE2ELNS1_11target_archE906ELNS1_3gpuE6ELNS1_3repE0EEES8_NS1_28merge_sort_block_sort_configILj256ELj4ELNS0_20block_sort_algorithmE0EEENS0_14default_configENS1_37merge_sort_block_sort_config_selectorIttEENS1_38merge_sort_block_merge_config_selectorIttEEEEvv.num_vgpr, 0
	.set _ZN7rocprim17ROCPRIM_400000_NS6detail44device_merge_sort_compile_time_verifier_archINS1_11comp_targetILNS1_3genE2ELNS1_11target_archE906ELNS1_3gpuE6ELNS1_3repE0EEES8_NS1_28merge_sort_block_sort_configILj256ELj4ELNS0_20block_sort_algorithmE0EEENS0_14default_configENS1_37merge_sort_block_sort_config_selectorIttEENS1_38merge_sort_block_merge_config_selectorIttEEEEvv.num_agpr, 0
	.set _ZN7rocprim17ROCPRIM_400000_NS6detail44device_merge_sort_compile_time_verifier_archINS1_11comp_targetILNS1_3genE2ELNS1_11target_archE906ELNS1_3gpuE6ELNS1_3repE0EEES8_NS1_28merge_sort_block_sort_configILj256ELj4ELNS0_20block_sort_algorithmE0EEENS0_14default_configENS1_37merge_sort_block_sort_config_selectorIttEENS1_38merge_sort_block_merge_config_selectorIttEEEEvv.numbered_sgpr, 0
	.set _ZN7rocprim17ROCPRIM_400000_NS6detail44device_merge_sort_compile_time_verifier_archINS1_11comp_targetILNS1_3genE2ELNS1_11target_archE906ELNS1_3gpuE6ELNS1_3repE0EEES8_NS1_28merge_sort_block_sort_configILj256ELj4ELNS0_20block_sort_algorithmE0EEENS0_14default_configENS1_37merge_sort_block_sort_config_selectorIttEENS1_38merge_sort_block_merge_config_selectorIttEEEEvv.num_named_barrier, 0
	.set _ZN7rocprim17ROCPRIM_400000_NS6detail44device_merge_sort_compile_time_verifier_archINS1_11comp_targetILNS1_3genE2ELNS1_11target_archE906ELNS1_3gpuE6ELNS1_3repE0EEES8_NS1_28merge_sort_block_sort_configILj256ELj4ELNS0_20block_sort_algorithmE0EEENS0_14default_configENS1_37merge_sort_block_sort_config_selectorIttEENS1_38merge_sort_block_merge_config_selectorIttEEEEvv.private_seg_size, 0
	.set _ZN7rocprim17ROCPRIM_400000_NS6detail44device_merge_sort_compile_time_verifier_archINS1_11comp_targetILNS1_3genE2ELNS1_11target_archE906ELNS1_3gpuE6ELNS1_3repE0EEES8_NS1_28merge_sort_block_sort_configILj256ELj4ELNS0_20block_sort_algorithmE0EEENS0_14default_configENS1_37merge_sort_block_sort_config_selectorIttEENS1_38merge_sort_block_merge_config_selectorIttEEEEvv.uses_vcc, 0
	.set _ZN7rocprim17ROCPRIM_400000_NS6detail44device_merge_sort_compile_time_verifier_archINS1_11comp_targetILNS1_3genE2ELNS1_11target_archE906ELNS1_3gpuE6ELNS1_3repE0EEES8_NS1_28merge_sort_block_sort_configILj256ELj4ELNS0_20block_sort_algorithmE0EEENS0_14default_configENS1_37merge_sort_block_sort_config_selectorIttEENS1_38merge_sort_block_merge_config_selectorIttEEEEvv.uses_flat_scratch, 0
	.set _ZN7rocprim17ROCPRIM_400000_NS6detail44device_merge_sort_compile_time_verifier_archINS1_11comp_targetILNS1_3genE2ELNS1_11target_archE906ELNS1_3gpuE6ELNS1_3repE0EEES8_NS1_28merge_sort_block_sort_configILj256ELj4ELNS0_20block_sort_algorithmE0EEENS0_14default_configENS1_37merge_sort_block_sort_config_selectorIttEENS1_38merge_sort_block_merge_config_selectorIttEEEEvv.has_dyn_sized_stack, 0
	.set _ZN7rocprim17ROCPRIM_400000_NS6detail44device_merge_sort_compile_time_verifier_archINS1_11comp_targetILNS1_3genE2ELNS1_11target_archE906ELNS1_3gpuE6ELNS1_3repE0EEES8_NS1_28merge_sort_block_sort_configILj256ELj4ELNS0_20block_sort_algorithmE0EEENS0_14default_configENS1_37merge_sort_block_sort_config_selectorIttEENS1_38merge_sort_block_merge_config_selectorIttEEEEvv.has_recursion, 0
	.set _ZN7rocprim17ROCPRIM_400000_NS6detail44device_merge_sort_compile_time_verifier_archINS1_11comp_targetILNS1_3genE2ELNS1_11target_archE906ELNS1_3gpuE6ELNS1_3repE0EEES8_NS1_28merge_sort_block_sort_configILj256ELj4ELNS0_20block_sort_algorithmE0EEENS0_14default_configENS1_37merge_sort_block_sort_config_selectorIttEENS1_38merge_sort_block_merge_config_selectorIttEEEEvv.has_indirect_call, 0
	.section	.AMDGPU.csdata,"",@progbits
; Kernel info:
; codeLenInByte = 4
; TotalNumSgprs: 6
; NumVgprs: 0
; NumAgprs: 0
; TotalNumVgprs: 0
; ScratchSize: 0
; MemoryBound: 0
; FloatMode: 240
; IeeeMode: 1
; LDSByteSize: 0 bytes/workgroup (compile time only)
; SGPRBlocks: 0
; VGPRBlocks: 0
; NumSGPRsForWavesPerEU: 6
; NumVGPRsForWavesPerEU: 1
; AccumOffset: 4
; Occupancy: 8
; WaveLimiterHint : 0
; COMPUTE_PGM_RSRC2:SCRATCH_EN: 0
; COMPUTE_PGM_RSRC2:USER_SGPR: 0
; COMPUTE_PGM_RSRC2:TRAP_HANDLER: 0
; COMPUTE_PGM_RSRC2:TGID_X_EN: 1
; COMPUTE_PGM_RSRC2:TGID_Y_EN: 0
; COMPUTE_PGM_RSRC2:TGID_Z_EN: 0
; COMPUTE_PGM_RSRC2:TIDIG_COMP_CNT: 0
; COMPUTE_PGM_RSRC3_GFX90A:ACCUM_OFFSET: 0
; COMPUTE_PGM_RSRC3_GFX90A:TG_SPLIT: 0
	.section	.text._ZN7rocprim17ROCPRIM_400000_NS6detail44device_merge_sort_compile_time_verifier_archINS1_11comp_targetILNS1_3genE10ELNS1_11target_archE1201ELNS1_3gpuE5ELNS1_3repE0EEES8_NS1_28merge_sort_block_sort_configILj256ELj4ELNS0_20block_sort_algorithmE0EEENS0_14default_configENS1_37merge_sort_block_sort_config_selectorIttEENS1_38merge_sort_block_merge_config_selectorIttEEEEvv,"axG",@progbits,_ZN7rocprim17ROCPRIM_400000_NS6detail44device_merge_sort_compile_time_verifier_archINS1_11comp_targetILNS1_3genE10ELNS1_11target_archE1201ELNS1_3gpuE5ELNS1_3repE0EEES8_NS1_28merge_sort_block_sort_configILj256ELj4ELNS0_20block_sort_algorithmE0EEENS0_14default_configENS1_37merge_sort_block_sort_config_selectorIttEENS1_38merge_sort_block_merge_config_selectorIttEEEEvv,comdat
	.protected	_ZN7rocprim17ROCPRIM_400000_NS6detail44device_merge_sort_compile_time_verifier_archINS1_11comp_targetILNS1_3genE10ELNS1_11target_archE1201ELNS1_3gpuE5ELNS1_3repE0EEES8_NS1_28merge_sort_block_sort_configILj256ELj4ELNS0_20block_sort_algorithmE0EEENS0_14default_configENS1_37merge_sort_block_sort_config_selectorIttEENS1_38merge_sort_block_merge_config_selectorIttEEEEvv ; -- Begin function _ZN7rocprim17ROCPRIM_400000_NS6detail44device_merge_sort_compile_time_verifier_archINS1_11comp_targetILNS1_3genE10ELNS1_11target_archE1201ELNS1_3gpuE5ELNS1_3repE0EEES8_NS1_28merge_sort_block_sort_configILj256ELj4ELNS0_20block_sort_algorithmE0EEENS0_14default_configENS1_37merge_sort_block_sort_config_selectorIttEENS1_38merge_sort_block_merge_config_selectorIttEEEEvv
	.globl	_ZN7rocprim17ROCPRIM_400000_NS6detail44device_merge_sort_compile_time_verifier_archINS1_11comp_targetILNS1_3genE10ELNS1_11target_archE1201ELNS1_3gpuE5ELNS1_3repE0EEES8_NS1_28merge_sort_block_sort_configILj256ELj4ELNS0_20block_sort_algorithmE0EEENS0_14default_configENS1_37merge_sort_block_sort_config_selectorIttEENS1_38merge_sort_block_merge_config_selectorIttEEEEvv
	.p2align	8
	.type	_ZN7rocprim17ROCPRIM_400000_NS6detail44device_merge_sort_compile_time_verifier_archINS1_11comp_targetILNS1_3genE10ELNS1_11target_archE1201ELNS1_3gpuE5ELNS1_3repE0EEES8_NS1_28merge_sort_block_sort_configILj256ELj4ELNS0_20block_sort_algorithmE0EEENS0_14default_configENS1_37merge_sort_block_sort_config_selectorIttEENS1_38merge_sort_block_merge_config_selectorIttEEEEvv,@function
_ZN7rocprim17ROCPRIM_400000_NS6detail44device_merge_sort_compile_time_verifier_archINS1_11comp_targetILNS1_3genE10ELNS1_11target_archE1201ELNS1_3gpuE5ELNS1_3repE0EEES8_NS1_28merge_sort_block_sort_configILj256ELj4ELNS0_20block_sort_algorithmE0EEENS0_14default_configENS1_37merge_sort_block_sort_config_selectorIttEENS1_38merge_sort_block_merge_config_selectorIttEEEEvv: ; @_ZN7rocprim17ROCPRIM_400000_NS6detail44device_merge_sort_compile_time_verifier_archINS1_11comp_targetILNS1_3genE10ELNS1_11target_archE1201ELNS1_3gpuE5ELNS1_3repE0EEES8_NS1_28merge_sort_block_sort_configILj256ELj4ELNS0_20block_sort_algorithmE0EEENS0_14default_configENS1_37merge_sort_block_sort_config_selectorIttEENS1_38merge_sort_block_merge_config_selectorIttEEEEvv
; %bb.0:
	s_endpgm
	.section	.rodata,"a",@progbits
	.p2align	6, 0x0
	.amdhsa_kernel _ZN7rocprim17ROCPRIM_400000_NS6detail44device_merge_sort_compile_time_verifier_archINS1_11comp_targetILNS1_3genE10ELNS1_11target_archE1201ELNS1_3gpuE5ELNS1_3repE0EEES8_NS1_28merge_sort_block_sort_configILj256ELj4ELNS0_20block_sort_algorithmE0EEENS0_14default_configENS1_37merge_sort_block_sort_config_selectorIttEENS1_38merge_sort_block_merge_config_selectorIttEEEEvv
		.amdhsa_group_segment_fixed_size 0
		.amdhsa_private_segment_fixed_size 0
		.amdhsa_kernarg_size 0
		.amdhsa_user_sgpr_count 0
		.amdhsa_user_sgpr_dispatch_ptr 0
		.amdhsa_user_sgpr_queue_ptr 0
		.amdhsa_user_sgpr_kernarg_segment_ptr 0
		.amdhsa_user_sgpr_dispatch_id 0
		.amdhsa_user_sgpr_kernarg_preload_length 0
		.amdhsa_user_sgpr_kernarg_preload_offset 0
		.amdhsa_user_sgpr_private_segment_size 0
		.amdhsa_uses_dynamic_stack 0
		.amdhsa_enable_private_segment 0
		.amdhsa_system_sgpr_workgroup_id_x 1
		.amdhsa_system_sgpr_workgroup_id_y 0
		.amdhsa_system_sgpr_workgroup_id_z 0
		.amdhsa_system_sgpr_workgroup_info 0
		.amdhsa_system_vgpr_workitem_id 0
		.amdhsa_next_free_vgpr 1
		.amdhsa_next_free_sgpr 0
		.amdhsa_accum_offset 4
		.amdhsa_reserve_vcc 0
		.amdhsa_float_round_mode_32 0
		.amdhsa_float_round_mode_16_64 0
		.amdhsa_float_denorm_mode_32 3
		.amdhsa_float_denorm_mode_16_64 3
		.amdhsa_dx10_clamp 1
		.amdhsa_ieee_mode 1
		.amdhsa_fp16_overflow 0
		.amdhsa_tg_split 0
		.amdhsa_exception_fp_ieee_invalid_op 0
		.amdhsa_exception_fp_denorm_src 0
		.amdhsa_exception_fp_ieee_div_zero 0
		.amdhsa_exception_fp_ieee_overflow 0
		.amdhsa_exception_fp_ieee_underflow 0
		.amdhsa_exception_fp_ieee_inexact 0
		.amdhsa_exception_int_div_zero 0
	.end_amdhsa_kernel
	.section	.text._ZN7rocprim17ROCPRIM_400000_NS6detail44device_merge_sort_compile_time_verifier_archINS1_11comp_targetILNS1_3genE10ELNS1_11target_archE1201ELNS1_3gpuE5ELNS1_3repE0EEES8_NS1_28merge_sort_block_sort_configILj256ELj4ELNS0_20block_sort_algorithmE0EEENS0_14default_configENS1_37merge_sort_block_sort_config_selectorIttEENS1_38merge_sort_block_merge_config_selectorIttEEEEvv,"axG",@progbits,_ZN7rocprim17ROCPRIM_400000_NS6detail44device_merge_sort_compile_time_verifier_archINS1_11comp_targetILNS1_3genE10ELNS1_11target_archE1201ELNS1_3gpuE5ELNS1_3repE0EEES8_NS1_28merge_sort_block_sort_configILj256ELj4ELNS0_20block_sort_algorithmE0EEENS0_14default_configENS1_37merge_sort_block_sort_config_selectorIttEENS1_38merge_sort_block_merge_config_selectorIttEEEEvv,comdat
.Lfunc_end838:
	.size	_ZN7rocprim17ROCPRIM_400000_NS6detail44device_merge_sort_compile_time_verifier_archINS1_11comp_targetILNS1_3genE10ELNS1_11target_archE1201ELNS1_3gpuE5ELNS1_3repE0EEES8_NS1_28merge_sort_block_sort_configILj256ELj4ELNS0_20block_sort_algorithmE0EEENS0_14default_configENS1_37merge_sort_block_sort_config_selectorIttEENS1_38merge_sort_block_merge_config_selectorIttEEEEvv, .Lfunc_end838-_ZN7rocprim17ROCPRIM_400000_NS6detail44device_merge_sort_compile_time_verifier_archINS1_11comp_targetILNS1_3genE10ELNS1_11target_archE1201ELNS1_3gpuE5ELNS1_3repE0EEES8_NS1_28merge_sort_block_sort_configILj256ELj4ELNS0_20block_sort_algorithmE0EEENS0_14default_configENS1_37merge_sort_block_sort_config_selectorIttEENS1_38merge_sort_block_merge_config_selectorIttEEEEvv
                                        ; -- End function
	.set _ZN7rocprim17ROCPRIM_400000_NS6detail44device_merge_sort_compile_time_verifier_archINS1_11comp_targetILNS1_3genE10ELNS1_11target_archE1201ELNS1_3gpuE5ELNS1_3repE0EEES8_NS1_28merge_sort_block_sort_configILj256ELj4ELNS0_20block_sort_algorithmE0EEENS0_14default_configENS1_37merge_sort_block_sort_config_selectorIttEENS1_38merge_sort_block_merge_config_selectorIttEEEEvv.num_vgpr, 0
	.set _ZN7rocprim17ROCPRIM_400000_NS6detail44device_merge_sort_compile_time_verifier_archINS1_11comp_targetILNS1_3genE10ELNS1_11target_archE1201ELNS1_3gpuE5ELNS1_3repE0EEES8_NS1_28merge_sort_block_sort_configILj256ELj4ELNS0_20block_sort_algorithmE0EEENS0_14default_configENS1_37merge_sort_block_sort_config_selectorIttEENS1_38merge_sort_block_merge_config_selectorIttEEEEvv.num_agpr, 0
	.set _ZN7rocprim17ROCPRIM_400000_NS6detail44device_merge_sort_compile_time_verifier_archINS1_11comp_targetILNS1_3genE10ELNS1_11target_archE1201ELNS1_3gpuE5ELNS1_3repE0EEES8_NS1_28merge_sort_block_sort_configILj256ELj4ELNS0_20block_sort_algorithmE0EEENS0_14default_configENS1_37merge_sort_block_sort_config_selectorIttEENS1_38merge_sort_block_merge_config_selectorIttEEEEvv.numbered_sgpr, 0
	.set _ZN7rocprim17ROCPRIM_400000_NS6detail44device_merge_sort_compile_time_verifier_archINS1_11comp_targetILNS1_3genE10ELNS1_11target_archE1201ELNS1_3gpuE5ELNS1_3repE0EEES8_NS1_28merge_sort_block_sort_configILj256ELj4ELNS0_20block_sort_algorithmE0EEENS0_14default_configENS1_37merge_sort_block_sort_config_selectorIttEENS1_38merge_sort_block_merge_config_selectorIttEEEEvv.num_named_barrier, 0
	.set _ZN7rocprim17ROCPRIM_400000_NS6detail44device_merge_sort_compile_time_verifier_archINS1_11comp_targetILNS1_3genE10ELNS1_11target_archE1201ELNS1_3gpuE5ELNS1_3repE0EEES8_NS1_28merge_sort_block_sort_configILj256ELj4ELNS0_20block_sort_algorithmE0EEENS0_14default_configENS1_37merge_sort_block_sort_config_selectorIttEENS1_38merge_sort_block_merge_config_selectorIttEEEEvv.private_seg_size, 0
	.set _ZN7rocprim17ROCPRIM_400000_NS6detail44device_merge_sort_compile_time_verifier_archINS1_11comp_targetILNS1_3genE10ELNS1_11target_archE1201ELNS1_3gpuE5ELNS1_3repE0EEES8_NS1_28merge_sort_block_sort_configILj256ELj4ELNS0_20block_sort_algorithmE0EEENS0_14default_configENS1_37merge_sort_block_sort_config_selectorIttEENS1_38merge_sort_block_merge_config_selectorIttEEEEvv.uses_vcc, 0
	.set _ZN7rocprim17ROCPRIM_400000_NS6detail44device_merge_sort_compile_time_verifier_archINS1_11comp_targetILNS1_3genE10ELNS1_11target_archE1201ELNS1_3gpuE5ELNS1_3repE0EEES8_NS1_28merge_sort_block_sort_configILj256ELj4ELNS0_20block_sort_algorithmE0EEENS0_14default_configENS1_37merge_sort_block_sort_config_selectorIttEENS1_38merge_sort_block_merge_config_selectorIttEEEEvv.uses_flat_scratch, 0
	.set _ZN7rocprim17ROCPRIM_400000_NS6detail44device_merge_sort_compile_time_verifier_archINS1_11comp_targetILNS1_3genE10ELNS1_11target_archE1201ELNS1_3gpuE5ELNS1_3repE0EEES8_NS1_28merge_sort_block_sort_configILj256ELj4ELNS0_20block_sort_algorithmE0EEENS0_14default_configENS1_37merge_sort_block_sort_config_selectorIttEENS1_38merge_sort_block_merge_config_selectorIttEEEEvv.has_dyn_sized_stack, 0
	.set _ZN7rocprim17ROCPRIM_400000_NS6detail44device_merge_sort_compile_time_verifier_archINS1_11comp_targetILNS1_3genE10ELNS1_11target_archE1201ELNS1_3gpuE5ELNS1_3repE0EEES8_NS1_28merge_sort_block_sort_configILj256ELj4ELNS0_20block_sort_algorithmE0EEENS0_14default_configENS1_37merge_sort_block_sort_config_selectorIttEENS1_38merge_sort_block_merge_config_selectorIttEEEEvv.has_recursion, 0
	.set _ZN7rocprim17ROCPRIM_400000_NS6detail44device_merge_sort_compile_time_verifier_archINS1_11comp_targetILNS1_3genE10ELNS1_11target_archE1201ELNS1_3gpuE5ELNS1_3repE0EEES8_NS1_28merge_sort_block_sort_configILj256ELj4ELNS0_20block_sort_algorithmE0EEENS0_14default_configENS1_37merge_sort_block_sort_config_selectorIttEENS1_38merge_sort_block_merge_config_selectorIttEEEEvv.has_indirect_call, 0
	.section	.AMDGPU.csdata,"",@progbits
; Kernel info:
; codeLenInByte = 4
; TotalNumSgprs: 6
; NumVgprs: 0
; NumAgprs: 0
; TotalNumVgprs: 0
; ScratchSize: 0
; MemoryBound: 0
; FloatMode: 240
; IeeeMode: 1
; LDSByteSize: 0 bytes/workgroup (compile time only)
; SGPRBlocks: 0
; VGPRBlocks: 0
; NumSGPRsForWavesPerEU: 6
; NumVGPRsForWavesPerEU: 1
; AccumOffset: 4
; Occupancy: 8
; WaveLimiterHint : 0
; COMPUTE_PGM_RSRC2:SCRATCH_EN: 0
; COMPUTE_PGM_RSRC2:USER_SGPR: 0
; COMPUTE_PGM_RSRC2:TRAP_HANDLER: 0
; COMPUTE_PGM_RSRC2:TGID_X_EN: 1
; COMPUTE_PGM_RSRC2:TGID_Y_EN: 0
; COMPUTE_PGM_RSRC2:TGID_Z_EN: 0
; COMPUTE_PGM_RSRC2:TIDIG_COMP_CNT: 0
; COMPUTE_PGM_RSRC3_GFX90A:ACCUM_OFFSET: 0
; COMPUTE_PGM_RSRC3_GFX90A:TG_SPLIT: 0
	.section	.text._ZN7rocprim17ROCPRIM_400000_NS6detail44device_merge_sort_compile_time_verifier_archINS1_11comp_targetILNS1_3genE10ELNS1_11target_archE1200ELNS1_3gpuE4ELNS1_3repE0EEENS3_ILS4_10ELS5_1201ELS6_5ELS7_0EEENS1_28merge_sort_block_sort_configILj256ELj4ELNS0_20block_sort_algorithmE0EEENS0_14default_configENS1_37merge_sort_block_sort_config_selectorIttEENS1_38merge_sort_block_merge_config_selectorIttEEEEvv,"axG",@progbits,_ZN7rocprim17ROCPRIM_400000_NS6detail44device_merge_sort_compile_time_verifier_archINS1_11comp_targetILNS1_3genE10ELNS1_11target_archE1200ELNS1_3gpuE4ELNS1_3repE0EEENS3_ILS4_10ELS5_1201ELS6_5ELS7_0EEENS1_28merge_sort_block_sort_configILj256ELj4ELNS0_20block_sort_algorithmE0EEENS0_14default_configENS1_37merge_sort_block_sort_config_selectorIttEENS1_38merge_sort_block_merge_config_selectorIttEEEEvv,comdat
	.protected	_ZN7rocprim17ROCPRIM_400000_NS6detail44device_merge_sort_compile_time_verifier_archINS1_11comp_targetILNS1_3genE10ELNS1_11target_archE1200ELNS1_3gpuE4ELNS1_3repE0EEENS3_ILS4_10ELS5_1201ELS6_5ELS7_0EEENS1_28merge_sort_block_sort_configILj256ELj4ELNS0_20block_sort_algorithmE0EEENS0_14default_configENS1_37merge_sort_block_sort_config_selectorIttEENS1_38merge_sort_block_merge_config_selectorIttEEEEvv ; -- Begin function _ZN7rocprim17ROCPRIM_400000_NS6detail44device_merge_sort_compile_time_verifier_archINS1_11comp_targetILNS1_3genE10ELNS1_11target_archE1200ELNS1_3gpuE4ELNS1_3repE0EEENS3_ILS4_10ELS5_1201ELS6_5ELS7_0EEENS1_28merge_sort_block_sort_configILj256ELj4ELNS0_20block_sort_algorithmE0EEENS0_14default_configENS1_37merge_sort_block_sort_config_selectorIttEENS1_38merge_sort_block_merge_config_selectorIttEEEEvv
	.globl	_ZN7rocprim17ROCPRIM_400000_NS6detail44device_merge_sort_compile_time_verifier_archINS1_11comp_targetILNS1_3genE10ELNS1_11target_archE1200ELNS1_3gpuE4ELNS1_3repE0EEENS3_ILS4_10ELS5_1201ELS6_5ELS7_0EEENS1_28merge_sort_block_sort_configILj256ELj4ELNS0_20block_sort_algorithmE0EEENS0_14default_configENS1_37merge_sort_block_sort_config_selectorIttEENS1_38merge_sort_block_merge_config_selectorIttEEEEvv
	.p2align	8
	.type	_ZN7rocprim17ROCPRIM_400000_NS6detail44device_merge_sort_compile_time_verifier_archINS1_11comp_targetILNS1_3genE10ELNS1_11target_archE1200ELNS1_3gpuE4ELNS1_3repE0EEENS3_ILS4_10ELS5_1201ELS6_5ELS7_0EEENS1_28merge_sort_block_sort_configILj256ELj4ELNS0_20block_sort_algorithmE0EEENS0_14default_configENS1_37merge_sort_block_sort_config_selectorIttEENS1_38merge_sort_block_merge_config_selectorIttEEEEvv,@function
_ZN7rocprim17ROCPRIM_400000_NS6detail44device_merge_sort_compile_time_verifier_archINS1_11comp_targetILNS1_3genE10ELNS1_11target_archE1200ELNS1_3gpuE4ELNS1_3repE0EEENS3_ILS4_10ELS5_1201ELS6_5ELS7_0EEENS1_28merge_sort_block_sort_configILj256ELj4ELNS0_20block_sort_algorithmE0EEENS0_14default_configENS1_37merge_sort_block_sort_config_selectorIttEENS1_38merge_sort_block_merge_config_selectorIttEEEEvv: ; @_ZN7rocprim17ROCPRIM_400000_NS6detail44device_merge_sort_compile_time_verifier_archINS1_11comp_targetILNS1_3genE10ELNS1_11target_archE1200ELNS1_3gpuE4ELNS1_3repE0EEENS3_ILS4_10ELS5_1201ELS6_5ELS7_0EEENS1_28merge_sort_block_sort_configILj256ELj4ELNS0_20block_sort_algorithmE0EEENS0_14default_configENS1_37merge_sort_block_sort_config_selectorIttEENS1_38merge_sort_block_merge_config_selectorIttEEEEvv
; %bb.0:
	s_endpgm
	.section	.rodata,"a",@progbits
	.p2align	6, 0x0
	.amdhsa_kernel _ZN7rocprim17ROCPRIM_400000_NS6detail44device_merge_sort_compile_time_verifier_archINS1_11comp_targetILNS1_3genE10ELNS1_11target_archE1200ELNS1_3gpuE4ELNS1_3repE0EEENS3_ILS4_10ELS5_1201ELS6_5ELS7_0EEENS1_28merge_sort_block_sort_configILj256ELj4ELNS0_20block_sort_algorithmE0EEENS0_14default_configENS1_37merge_sort_block_sort_config_selectorIttEENS1_38merge_sort_block_merge_config_selectorIttEEEEvv
		.amdhsa_group_segment_fixed_size 0
		.amdhsa_private_segment_fixed_size 0
		.amdhsa_kernarg_size 0
		.amdhsa_user_sgpr_count 0
		.amdhsa_user_sgpr_dispatch_ptr 0
		.amdhsa_user_sgpr_queue_ptr 0
		.amdhsa_user_sgpr_kernarg_segment_ptr 0
		.amdhsa_user_sgpr_dispatch_id 0
		.amdhsa_user_sgpr_kernarg_preload_length 0
		.amdhsa_user_sgpr_kernarg_preload_offset 0
		.amdhsa_user_sgpr_private_segment_size 0
		.amdhsa_uses_dynamic_stack 0
		.amdhsa_enable_private_segment 0
		.amdhsa_system_sgpr_workgroup_id_x 1
		.amdhsa_system_sgpr_workgroup_id_y 0
		.amdhsa_system_sgpr_workgroup_id_z 0
		.amdhsa_system_sgpr_workgroup_info 0
		.amdhsa_system_vgpr_workitem_id 0
		.amdhsa_next_free_vgpr 1
		.amdhsa_next_free_sgpr 0
		.amdhsa_accum_offset 4
		.amdhsa_reserve_vcc 0
		.amdhsa_float_round_mode_32 0
		.amdhsa_float_round_mode_16_64 0
		.amdhsa_float_denorm_mode_32 3
		.amdhsa_float_denorm_mode_16_64 3
		.amdhsa_dx10_clamp 1
		.amdhsa_ieee_mode 1
		.amdhsa_fp16_overflow 0
		.amdhsa_tg_split 0
		.amdhsa_exception_fp_ieee_invalid_op 0
		.amdhsa_exception_fp_denorm_src 0
		.amdhsa_exception_fp_ieee_div_zero 0
		.amdhsa_exception_fp_ieee_overflow 0
		.amdhsa_exception_fp_ieee_underflow 0
		.amdhsa_exception_fp_ieee_inexact 0
		.amdhsa_exception_int_div_zero 0
	.end_amdhsa_kernel
	.section	.text._ZN7rocprim17ROCPRIM_400000_NS6detail44device_merge_sort_compile_time_verifier_archINS1_11comp_targetILNS1_3genE10ELNS1_11target_archE1200ELNS1_3gpuE4ELNS1_3repE0EEENS3_ILS4_10ELS5_1201ELS6_5ELS7_0EEENS1_28merge_sort_block_sort_configILj256ELj4ELNS0_20block_sort_algorithmE0EEENS0_14default_configENS1_37merge_sort_block_sort_config_selectorIttEENS1_38merge_sort_block_merge_config_selectorIttEEEEvv,"axG",@progbits,_ZN7rocprim17ROCPRIM_400000_NS6detail44device_merge_sort_compile_time_verifier_archINS1_11comp_targetILNS1_3genE10ELNS1_11target_archE1200ELNS1_3gpuE4ELNS1_3repE0EEENS3_ILS4_10ELS5_1201ELS6_5ELS7_0EEENS1_28merge_sort_block_sort_configILj256ELj4ELNS0_20block_sort_algorithmE0EEENS0_14default_configENS1_37merge_sort_block_sort_config_selectorIttEENS1_38merge_sort_block_merge_config_selectorIttEEEEvv,comdat
.Lfunc_end839:
	.size	_ZN7rocprim17ROCPRIM_400000_NS6detail44device_merge_sort_compile_time_verifier_archINS1_11comp_targetILNS1_3genE10ELNS1_11target_archE1200ELNS1_3gpuE4ELNS1_3repE0EEENS3_ILS4_10ELS5_1201ELS6_5ELS7_0EEENS1_28merge_sort_block_sort_configILj256ELj4ELNS0_20block_sort_algorithmE0EEENS0_14default_configENS1_37merge_sort_block_sort_config_selectorIttEENS1_38merge_sort_block_merge_config_selectorIttEEEEvv, .Lfunc_end839-_ZN7rocprim17ROCPRIM_400000_NS6detail44device_merge_sort_compile_time_verifier_archINS1_11comp_targetILNS1_3genE10ELNS1_11target_archE1200ELNS1_3gpuE4ELNS1_3repE0EEENS3_ILS4_10ELS5_1201ELS6_5ELS7_0EEENS1_28merge_sort_block_sort_configILj256ELj4ELNS0_20block_sort_algorithmE0EEENS0_14default_configENS1_37merge_sort_block_sort_config_selectorIttEENS1_38merge_sort_block_merge_config_selectorIttEEEEvv
                                        ; -- End function
	.set _ZN7rocprim17ROCPRIM_400000_NS6detail44device_merge_sort_compile_time_verifier_archINS1_11comp_targetILNS1_3genE10ELNS1_11target_archE1200ELNS1_3gpuE4ELNS1_3repE0EEENS3_ILS4_10ELS5_1201ELS6_5ELS7_0EEENS1_28merge_sort_block_sort_configILj256ELj4ELNS0_20block_sort_algorithmE0EEENS0_14default_configENS1_37merge_sort_block_sort_config_selectorIttEENS1_38merge_sort_block_merge_config_selectorIttEEEEvv.num_vgpr, 0
	.set _ZN7rocprim17ROCPRIM_400000_NS6detail44device_merge_sort_compile_time_verifier_archINS1_11comp_targetILNS1_3genE10ELNS1_11target_archE1200ELNS1_3gpuE4ELNS1_3repE0EEENS3_ILS4_10ELS5_1201ELS6_5ELS7_0EEENS1_28merge_sort_block_sort_configILj256ELj4ELNS0_20block_sort_algorithmE0EEENS0_14default_configENS1_37merge_sort_block_sort_config_selectorIttEENS1_38merge_sort_block_merge_config_selectorIttEEEEvv.num_agpr, 0
	.set _ZN7rocprim17ROCPRIM_400000_NS6detail44device_merge_sort_compile_time_verifier_archINS1_11comp_targetILNS1_3genE10ELNS1_11target_archE1200ELNS1_3gpuE4ELNS1_3repE0EEENS3_ILS4_10ELS5_1201ELS6_5ELS7_0EEENS1_28merge_sort_block_sort_configILj256ELj4ELNS0_20block_sort_algorithmE0EEENS0_14default_configENS1_37merge_sort_block_sort_config_selectorIttEENS1_38merge_sort_block_merge_config_selectorIttEEEEvv.numbered_sgpr, 0
	.set _ZN7rocprim17ROCPRIM_400000_NS6detail44device_merge_sort_compile_time_verifier_archINS1_11comp_targetILNS1_3genE10ELNS1_11target_archE1200ELNS1_3gpuE4ELNS1_3repE0EEENS3_ILS4_10ELS5_1201ELS6_5ELS7_0EEENS1_28merge_sort_block_sort_configILj256ELj4ELNS0_20block_sort_algorithmE0EEENS0_14default_configENS1_37merge_sort_block_sort_config_selectorIttEENS1_38merge_sort_block_merge_config_selectorIttEEEEvv.num_named_barrier, 0
	.set _ZN7rocprim17ROCPRIM_400000_NS6detail44device_merge_sort_compile_time_verifier_archINS1_11comp_targetILNS1_3genE10ELNS1_11target_archE1200ELNS1_3gpuE4ELNS1_3repE0EEENS3_ILS4_10ELS5_1201ELS6_5ELS7_0EEENS1_28merge_sort_block_sort_configILj256ELj4ELNS0_20block_sort_algorithmE0EEENS0_14default_configENS1_37merge_sort_block_sort_config_selectorIttEENS1_38merge_sort_block_merge_config_selectorIttEEEEvv.private_seg_size, 0
	.set _ZN7rocprim17ROCPRIM_400000_NS6detail44device_merge_sort_compile_time_verifier_archINS1_11comp_targetILNS1_3genE10ELNS1_11target_archE1200ELNS1_3gpuE4ELNS1_3repE0EEENS3_ILS4_10ELS5_1201ELS6_5ELS7_0EEENS1_28merge_sort_block_sort_configILj256ELj4ELNS0_20block_sort_algorithmE0EEENS0_14default_configENS1_37merge_sort_block_sort_config_selectorIttEENS1_38merge_sort_block_merge_config_selectorIttEEEEvv.uses_vcc, 0
	.set _ZN7rocprim17ROCPRIM_400000_NS6detail44device_merge_sort_compile_time_verifier_archINS1_11comp_targetILNS1_3genE10ELNS1_11target_archE1200ELNS1_3gpuE4ELNS1_3repE0EEENS3_ILS4_10ELS5_1201ELS6_5ELS7_0EEENS1_28merge_sort_block_sort_configILj256ELj4ELNS0_20block_sort_algorithmE0EEENS0_14default_configENS1_37merge_sort_block_sort_config_selectorIttEENS1_38merge_sort_block_merge_config_selectorIttEEEEvv.uses_flat_scratch, 0
	.set _ZN7rocprim17ROCPRIM_400000_NS6detail44device_merge_sort_compile_time_verifier_archINS1_11comp_targetILNS1_3genE10ELNS1_11target_archE1200ELNS1_3gpuE4ELNS1_3repE0EEENS3_ILS4_10ELS5_1201ELS6_5ELS7_0EEENS1_28merge_sort_block_sort_configILj256ELj4ELNS0_20block_sort_algorithmE0EEENS0_14default_configENS1_37merge_sort_block_sort_config_selectorIttEENS1_38merge_sort_block_merge_config_selectorIttEEEEvv.has_dyn_sized_stack, 0
	.set _ZN7rocprim17ROCPRIM_400000_NS6detail44device_merge_sort_compile_time_verifier_archINS1_11comp_targetILNS1_3genE10ELNS1_11target_archE1200ELNS1_3gpuE4ELNS1_3repE0EEENS3_ILS4_10ELS5_1201ELS6_5ELS7_0EEENS1_28merge_sort_block_sort_configILj256ELj4ELNS0_20block_sort_algorithmE0EEENS0_14default_configENS1_37merge_sort_block_sort_config_selectorIttEENS1_38merge_sort_block_merge_config_selectorIttEEEEvv.has_recursion, 0
	.set _ZN7rocprim17ROCPRIM_400000_NS6detail44device_merge_sort_compile_time_verifier_archINS1_11comp_targetILNS1_3genE10ELNS1_11target_archE1200ELNS1_3gpuE4ELNS1_3repE0EEENS3_ILS4_10ELS5_1201ELS6_5ELS7_0EEENS1_28merge_sort_block_sort_configILj256ELj4ELNS0_20block_sort_algorithmE0EEENS0_14default_configENS1_37merge_sort_block_sort_config_selectorIttEENS1_38merge_sort_block_merge_config_selectorIttEEEEvv.has_indirect_call, 0
	.section	.AMDGPU.csdata,"",@progbits
; Kernel info:
; codeLenInByte = 4
; TotalNumSgprs: 6
; NumVgprs: 0
; NumAgprs: 0
; TotalNumVgprs: 0
; ScratchSize: 0
; MemoryBound: 0
; FloatMode: 240
; IeeeMode: 1
; LDSByteSize: 0 bytes/workgroup (compile time only)
; SGPRBlocks: 0
; VGPRBlocks: 0
; NumSGPRsForWavesPerEU: 6
; NumVGPRsForWavesPerEU: 1
; AccumOffset: 4
; Occupancy: 8
; WaveLimiterHint : 0
; COMPUTE_PGM_RSRC2:SCRATCH_EN: 0
; COMPUTE_PGM_RSRC2:USER_SGPR: 0
; COMPUTE_PGM_RSRC2:TRAP_HANDLER: 0
; COMPUTE_PGM_RSRC2:TGID_X_EN: 1
; COMPUTE_PGM_RSRC2:TGID_Y_EN: 0
; COMPUTE_PGM_RSRC2:TGID_Z_EN: 0
; COMPUTE_PGM_RSRC2:TIDIG_COMP_CNT: 0
; COMPUTE_PGM_RSRC3_GFX90A:ACCUM_OFFSET: 0
; COMPUTE_PGM_RSRC3_GFX90A:TG_SPLIT: 0
	.section	.text._ZN7rocprim17ROCPRIM_400000_NS6detail44device_merge_sort_compile_time_verifier_archINS1_11comp_targetILNS1_3genE9ELNS1_11target_archE1100ELNS1_3gpuE3ELNS1_3repE0EEES8_NS1_28merge_sort_block_sort_configILj256ELj4ELNS0_20block_sort_algorithmE0EEENS0_14default_configENS1_37merge_sort_block_sort_config_selectorIttEENS1_38merge_sort_block_merge_config_selectorIttEEEEvv,"axG",@progbits,_ZN7rocprim17ROCPRIM_400000_NS6detail44device_merge_sort_compile_time_verifier_archINS1_11comp_targetILNS1_3genE9ELNS1_11target_archE1100ELNS1_3gpuE3ELNS1_3repE0EEES8_NS1_28merge_sort_block_sort_configILj256ELj4ELNS0_20block_sort_algorithmE0EEENS0_14default_configENS1_37merge_sort_block_sort_config_selectorIttEENS1_38merge_sort_block_merge_config_selectorIttEEEEvv,comdat
	.protected	_ZN7rocprim17ROCPRIM_400000_NS6detail44device_merge_sort_compile_time_verifier_archINS1_11comp_targetILNS1_3genE9ELNS1_11target_archE1100ELNS1_3gpuE3ELNS1_3repE0EEES8_NS1_28merge_sort_block_sort_configILj256ELj4ELNS0_20block_sort_algorithmE0EEENS0_14default_configENS1_37merge_sort_block_sort_config_selectorIttEENS1_38merge_sort_block_merge_config_selectorIttEEEEvv ; -- Begin function _ZN7rocprim17ROCPRIM_400000_NS6detail44device_merge_sort_compile_time_verifier_archINS1_11comp_targetILNS1_3genE9ELNS1_11target_archE1100ELNS1_3gpuE3ELNS1_3repE0EEES8_NS1_28merge_sort_block_sort_configILj256ELj4ELNS0_20block_sort_algorithmE0EEENS0_14default_configENS1_37merge_sort_block_sort_config_selectorIttEENS1_38merge_sort_block_merge_config_selectorIttEEEEvv
	.globl	_ZN7rocprim17ROCPRIM_400000_NS6detail44device_merge_sort_compile_time_verifier_archINS1_11comp_targetILNS1_3genE9ELNS1_11target_archE1100ELNS1_3gpuE3ELNS1_3repE0EEES8_NS1_28merge_sort_block_sort_configILj256ELj4ELNS0_20block_sort_algorithmE0EEENS0_14default_configENS1_37merge_sort_block_sort_config_selectorIttEENS1_38merge_sort_block_merge_config_selectorIttEEEEvv
	.p2align	8
	.type	_ZN7rocprim17ROCPRIM_400000_NS6detail44device_merge_sort_compile_time_verifier_archINS1_11comp_targetILNS1_3genE9ELNS1_11target_archE1100ELNS1_3gpuE3ELNS1_3repE0EEES8_NS1_28merge_sort_block_sort_configILj256ELj4ELNS0_20block_sort_algorithmE0EEENS0_14default_configENS1_37merge_sort_block_sort_config_selectorIttEENS1_38merge_sort_block_merge_config_selectorIttEEEEvv,@function
_ZN7rocprim17ROCPRIM_400000_NS6detail44device_merge_sort_compile_time_verifier_archINS1_11comp_targetILNS1_3genE9ELNS1_11target_archE1100ELNS1_3gpuE3ELNS1_3repE0EEES8_NS1_28merge_sort_block_sort_configILj256ELj4ELNS0_20block_sort_algorithmE0EEENS0_14default_configENS1_37merge_sort_block_sort_config_selectorIttEENS1_38merge_sort_block_merge_config_selectorIttEEEEvv: ; @_ZN7rocprim17ROCPRIM_400000_NS6detail44device_merge_sort_compile_time_verifier_archINS1_11comp_targetILNS1_3genE9ELNS1_11target_archE1100ELNS1_3gpuE3ELNS1_3repE0EEES8_NS1_28merge_sort_block_sort_configILj256ELj4ELNS0_20block_sort_algorithmE0EEENS0_14default_configENS1_37merge_sort_block_sort_config_selectorIttEENS1_38merge_sort_block_merge_config_selectorIttEEEEvv
; %bb.0:
	s_endpgm
	.section	.rodata,"a",@progbits
	.p2align	6, 0x0
	.amdhsa_kernel _ZN7rocprim17ROCPRIM_400000_NS6detail44device_merge_sort_compile_time_verifier_archINS1_11comp_targetILNS1_3genE9ELNS1_11target_archE1100ELNS1_3gpuE3ELNS1_3repE0EEES8_NS1_28merge_sort_block_sort_configILj256ELj4ELNS0_20block_sort_algorithmE0EEENS0_14default_configENS1_37merge_sort_block_sort_config_selectorIttEENS1_38merge_sort_block_merge_config_selectorIttEEEEvv
		.amdhsa_group_segment_fixed_size 0
		.amdhsa_private_segment_fixed_size 0
		.amdhsa_kernarg_size 0
		.amdhsa_user_sgpr_count 0
		.amdhsa_user_sgpr_dispatch_ptr 0
		.amdhsa_user_sgpr_queue_ptr 0
		.amdhsa_user_sgpr_kernarg_segment_ptr 0
		.amdhsa_user_sgpr_dispatch_id 0
		.amdhsa_user_sgpr_kernarg_preload_length 0
		.amdhsa_user_sgpr_kernarg_preload_offset 0
		.amdhsa_user_sgpr_private_segment_size 0
		.amdhsa_uses_dynamic_stack 0
		.amdhsa_enable_private_segment 0
		.amdhsa_system_sgpr_workgroup_id_x 1
		.amdhsa_system_sgpr_workgroup_id_y 0
		.amdhsa_system_sgpr_workgroup_id_z 0
		.amdhsa_system_sgpr_workgroup_info 0
		.amdhsa_system_vgpr_workitem_id 0
		.amdhsa_next_free_vgpr 1
		.amdhsa_next_free_sgpr 0
		.amdhsa_accum_offset 4
		.amdhsa_reserve_vcc 0
		.amdhsa_float_round_mode_32 0
		.amdhsa_float_round_mode_16_64 0
		.amdhsa_float_denorm_mode_32 3
		.amdhsa_float_denorm_mode_16_64 3
		.amdhsa_dx10_clamp 1
		.amdhsa_ieee_mode 1
		.amdhsa_fp16_overflow 0
		.amdhsa_tg_split 0
		.amdhsa_exception_fp_ieee_invalid_op 0
		.amdhsa_exception_fp_denorm_src 0
		.amdhsa_exception_fp_ieee_div_zero 0
		.amdhsa_exception_fp_ieee_overflow 0
		.amdhsa_exception_fp_ieee_underflow 0
		.amdhsa_exception_fp_ieee_inexact 0
		.amdhsa_exception_int_div_zero 0
	.end_amdhsa_kernel
	.section	.text._ZN7rocprim17ROCPRIM_400000_NS6detail44device_merge_sort_compile_time_verifier_archINS1_11comp_targetILNS1_3genE9ELNS1_11target_archE1100ELNS1_3gpuE3ELNS1_3repE0EEES8_NS1_28merge_sort_block_sort_configILj256ELj4ELNS0_20block_sort_algorithmE0EEENS0_14default_configENS1_37merge_sort_block_sort_config_selectorIttEENS1_38merge_sort_block_merge_config_selectorIttEEEEvv,"axG",@progbits,_ZN7rocprim17ROCPRIM_400000_NS6detail44device_merge_sort_compile_time_verifier_archINS1_11comp_targetILNS1_3genE9ELNS1_11target_archE1100ELNS1_3gpuE3ELNS1_3repE0EEES8_NS1_28merge_sort_block_sort_configILj256ELj4ELNS0_20block_sort_algorithmE0EEENS0_14default_configENS1_37merge_sort_block_sort_config_selectorIttEENS1_38merge_sort_block_merge_config_selectorIttEEEEvv,comdat
.Lfunc_end840:
	.size	_ZN7rocprim17ROCPRIM_400000_NS6detail44device_merge_sort_compile_time_verifier_archINS1_11comp_targetILNS1_3genE9ELNS1_11target_archE1100ELNS1_3gpuE3ELNS1_3repE0EEES8_NS1_28merge_sort_block_sort_configILj256ELj4ELNS0_20block_sort_algorithmE0EEENS0_14default_configENS1_37merge_sort_block_sort_config_selectorIttEENS1_38merge_sort_block_merge_config_selectorIttEEEEvv, .Lfunc_end840-_ZN7rocprim17ROCPRIM_400000_NS6detail44device_merge_sort_compile_time_verifier_archINS1_11comp_targetILNS1_3genE9ELNS1_11target_archE1100ELNS1_3gpuE3ELNS1_3repE0EEES8_NS1_28merge_sort_block_sort_configILj256ELj4ELNS0_20block_sort_algorithmE0EEENS0_14default_configENS1_37merge_sort_block_sort_config_selectorIttEENS1_38merge_sort_block_merge_config_selectorIttEEEEvv
                                        ; -- End function
	.set _ZN7rocprim17ROCPRIM_400000_NS6detail44device_merge_sort_compile_time_verifier_archINS1_11comp_targetILNS1_3genE9ELNS1_11target_archE1100ELNS1_3gpuE3ELNS1_3repE0EEES8_NS1_28merge_sort_block_sort_configILj256ELj4ELNS0_20block_sort_algorithmE0EEENS0_14default_configENS1_37merge_sort_block_sort_config_selectorIttEENS1_38merge_sort_block_merge_config_selectorIttEEEEvv.num_vgpr, 0
	.set _ZN7rocprim17ROCPRIM_400000_NS6detail44device_merge_sort_compile_time_verifier_archINS1_11comp_targetILNS1_3genE9ELNS1_11target_archE1100ELNS1_3gpuE3ELNS1_3repE0EEES8_NS1_28merge_sort_block_sort_configILj256ELj4ELNS0_20block_sort_algorithmE0EEENS0_14default_configENS1_37merge_sort_block_sort_config_selectorIttEENS1_38merge_sort_block_merge_config_selectorIttEEEEvv.num_agpr, 0
	.set _ZN7rocprim17ROCPRIM_400000_NS6detail44device_merge_sort_compile_time_verifier_archINS1_11comp_targetILNS1_3genE9ELNS1_11target_archE1100ELNS1_3gpuE3ELNS1_3repE0EEES8_NS1_28merge_sort_block_sort_configILj256ELj4ELNS0_20block_sort_algorithmE0EEENS0_14default_configENS1_37merge_sort_block_sort_config_selectorIttEENS1_38merge_sort_block_merge_config_selectorIttEEEEvv.numbered_sgpr, 0
	.set _ZN7rocprim17ROCPRIM_400000_NS6detail44device_merge_sort_compile_time_verifier_archINS1_11comp_targetILNS1_3genE9ELNS1_11target_archE1100ELNS1_3gpuE3ELNS1_3repE0EEES8_NS1_28merge_sort_block_sort_configILj256ELj4ELNS0_20block_sort_algorithmE0EEENS0_14default_configENS1_37merge_sort_block_sort_config_selectorIttEENS1_38merge_sort_block_merge_config_selectorIttEEEEvv.num_named_barrier, 0
	.set _ZN7rocprim17ROCPRIM_400000_NS6detail44device_merge_sort_compile_time_verifier_archINS1_11comp_targetILNS1_3genE9ELNS1_11target_archE1100ELNS1_3gpuE3ELNS1_3repE0EEES8_NS1_28merge_sort_block_sort_configILj256ELj4ELNS0_20block_sort_algorithmE0EEENS0_14default_configENS1_37merge_sort_block_sort_config_selectorIttEENS1_38merge_sort_block_merge_config_selectorIttEEEEvv.private_seg_size, 0
	.set _ZN7rocprim17ROCPRIM_400000_NS6detail44device_merge_sort_compile_time_verifier_archINS1_11comp_targetILNS1_3genE9ELNS1_11target_archE1100ELNS1_3gpuE3ELNS1_3repE0EEES8_NS1_28merge_sort_block_sort_configILj256ELj4ELNS0_20block_sort_algorithmE0EEENS0_14default_configENS1_37merge_sort_block_sort_config_selectorIttEENS1_38merge_sort_block_merge_config_selectorIttEEEEvv.uses_vcc, 0
	.set _ZN7rocprim17ROCPRIM_400000_NS6detail44device_merge_sort_compile_time_verifier_archINS1_11comp_targetILNS1_3genE9ELNS1_11target_archE1100ELNS1_3gpuE3ELNS1_3repE0EEES8_NS1_28merge_sort_block_sort_configILj256ELj4ELNS0_20block_sort_algorithmE0EEENS0_14default_configENS1_37merge_sort_block_sort_config_selectorIttEENS1_38merge_sort_block_merge_config_selectorIttEEEEvv.uses_flat_scratch, 0
	.set _ZN7rocprim17ROCPRIM_400000_NS6detail44device_merge_sort_compile_time_verifier_archINS1_11comp_targetILNS1_3genE9ELNS1_11target_archE1100ELNS1_3gpuE3ELNS1_3repE0EEES8_NS1_28merge_sort_block_sort_configILj256ELj4ELNS0_20block_sort_algorithmE0EEENS0_14default_configENS1_37merge_sort_block_sort_config_selectorIttEENS1_38merge_sort_block_merge_config_selectorIttEEEEvv.has_dyn_sized_stack, 0
	.set _ZN7rocprim17ROCPRIM_400000_NS6detail44device_merge_sort_compile_time_verifier_archINS1_11comp_targetILNS1_3genE9ELNS1_11target_archE1100ELNS1_3gpuE3ELNS1_3repE0EEES8_NS1_28merge_sort_block_sort_configILj256ELj4ELNS0_20block_sort_algorithmE0EEENS0_14default_configENS1_37merge_sort_block_sort_config_selectorIttEENS1_38merge_sort_block_merge_config_selectorIttEEEEvv.has_recursion, 0
	.set _ZN7rocprim17ROCPRIM_400000_NS6detail44device_merge_sort_compile_time_verifier_archINS1_11comp_targetILNS1_3genE9ELNS1_11target_archE1100ELNS1_3gpuE3ELNS1_3repE0EEES8_NS1_28merge_sort_block_sort_configILj256ELj4ELNS0_20block_sort_algorithmE0EEENS0_14default_configENS1_37merge_sort_block_sort_config_selectorIttEENS1_38merge_sort_block_merge_config_selectorIttEEEEvv.has_indirect_call, 0
	.section	.AMDGPU.csdata,"",@progbits
; Kernel info:
; codeLenInByte = 4
; TotalNumSgprs: 6
; NumVgprs: 0
; NumAgprs: 0
; TotalNumVgprs: 0
; ScratchSize: 0
; MemoryBound: 0
; FloatMode: 240
; IeeeMode: 1
; LDSByteSize: 0 bytes/workgroup (compile time only)
; SGPRBlocks: 0
; VGPRBlocks: 0
; NumSGPRsForWavesPerEU: 6
; NumVGPRsForWavesPerEU: 1
; AccumOffset: 4
; Occupancy: 8
; WaveLimiterHint : 0
; COMPUTE_PGM_RSRC2:SCRATCH_EN: 0
; COMPUTE_PGM_RSRC2:USER_SGPR: 0
; COMPUTE_PGM_RSRC2:TRAP_HANDLER: 0
; COMPUTE_PGM_RSRC2:TGID_X_EN: 1
; COMPUTE_PGM_RSRC2:TGID_Y_EN: 0
; COMPUTE_PGM_RSRC2:TGID_Z_EN: 0
; COMPUTE_PGM_RSRC2:TIDIG_COMP_CNT: 0
; COMPUTE_PGM_RSRC3_GFX90A:ACCUM_OFFSET: 0
; COMPUTE_PGM_RSRC3_GFX90A:TG_SPLIT: 0
	.section	.text._ZN7rocprim17ROCPRIM_400000_NS6detail44device_merge_sort_compile_time_verifier_archINS1_11comp_targetILNS1_3genE8ELNS1_11target_archE1030ELNS1_3gpuE2ELNS1_3repE0EEES8_NS1_28merge_sort_block_sort_configILj256ELj4ELNS0_20block_sort_algorithmE0EEENS0_14default_configENS1_37merge_sort_block_sort_config_selectorIttEENS1_38merge_sort_block_merge_config_selectorIttEEEEvv,"axG",@progbits,_ZN7rocprim17ROCPRIM_400000_NS6detail44device_merge_sort_compile_time_verifier_archINS1_11comp_targetILNS1_3genE8ELNS1_11target_archE1030ELNS1_3gpuE2ELNS1_3repE0EEES8_NS1_28merge_sort_block_sort_configILj256ELj4ELNS0_20block_sort_algorithmE0EEENS0_14default_configENS1_37merge_sort_block_sort_config_selectorIttEENS1_38merge_sort_block_merge_config_selectorIttEEEEvv,comdat
	.protected	_ZN7rocprim17ROCPRIM_400000_NS6detail44device_merge_sort_compile_time_verifier_archINS1_11comp_targetILNS1_3genE8ELNS1_11target_archE1030ELNS1_3gpuE2ELNS1_3repE0EEES8_NS1_28merge_sort_block_sort_configILj256ELj4ELNS0_20block_sort_algorithmE0EEENS0_14default_configENS1_37merge_sort_block_sort_config_selectorIttEENS1_38merge_sort_block_merge_config_selectorIttEEEEvv ; -- Begin function _ZN7rocprim17ROCPRIM_400000_NS6detail44device_merge_sort_compile_time_verifier_archINS1_11comp_targetILNS1_3genE8ELNS1_11target_archE1030ELNS1_3gpuE2ELNS1_3repE0EEES8_NS1_28merge_sort_block_sort_configILj256ELj4ELNS0_20block_sort_algorithmE0EEENS0_14default_configENS1_37merge_sort_block_sort_config_selectorIttEENS1_38merge_sort_block_merge_config_selectorIttEEEEvv
	.globl	_ZN7rocprim17ROCPRIM_400000_NS6detail44device_merge_sort_compile_time_verifier_archINS1_11comp_targetILNS1_3genE8ELNS1_11target_archE1030ELNS1_3gpuE2ELNS1_3repE0EEES8_NS1_28merge_sort_block_sort_configILj256ELj4ELNS0_20block_sort_algorithmE0EEENS0_14default_configENS1_37merge_sort_block_sort_config_selectorIttEENS1_38merge_sort_block_merge_config_selectorIttEEEEvv
	.p2align	8
	.type	_ZN7rocprim17ROCPRIM_400000_NS6detail44device_merge_sort_compile_time_verifier_archINS1_11comp_targetILNS1_3genE8ELNS1_11target_archE1030ELNS1_3gpuE2ELNS1_3repE0EEES8_NS1_28merge_sort_block_sort_configILj256ELj4ELNS0_20block_sort_algorithmE0EEENS0_14default_configENS1_37merge_sort_block_sort_config_selectorIttEENS1_38merge_sort_block_merge_config_selectorIttEEEEvv,@function
_ZN7rocprim17ROCPRIM_400000_NS6detail44device_merge_sort_compile_time_verifier_archINS1_11comp_targetILNS1_3genE8ELNS1_11target_archE1030ELNS1_3gpuE2ELNS1_3repE0EEES8_NS1_28merge_sort_block_sort_configILj256ELj4ELNS0_20block_sort_algorithmE0EEENS0_14default_configENS1_37merge_sort_block_sort_config_selectorIttEENS1_38merge_sort_block_merge_config_selectorIttEEEEvv: ; @_ZN7rocprim17ROCPRIM_400000_NS6detail44device_merge_sort_compile_time_verifier_archINS1_11comp_targetILNS1_3genE8ELNS1_11target_archE1030ELNS1_3gpuE2ELNS1_3repE0EEES8_NS1_28merge_sort_block_sort_configILj256ELj4ELNS0_20block_sort_algorithmE0EEENS0_14default_configENS1_37merge_sort_block_sort_config_selectorIttEENS1_38merge_sort_block_merge_config_selectorIttEEEEvv
; %bb.0:
	s_endpgm
	.section	.rodata,"a",@progbits
	.p2align	6, 0x0
	.amdhsa_kernel _ZN7rocprim17ROCPRIM_400000_NS6detail44device_merge_sort_compile_time_verifier_archINS1_11comp_targetILNS1_3genE8ELNS1_11target_archE1030ELNS1_3gpuE2ELNS1_3repE0EEES8_NS1_28merge_sort_block_sort_configILj256ELj4ELNS0_20block_sort_algorithmE0EEENS0_14default_configENS1_37merge_sort_block_sort_config_selectorIttEENS1_38merge_sort_block_merge_config_selectorIttEEEEvv
		.amdhsa_group_segment_fixed_size 0
		.amdhsa_private_segment_fixed_size 0
		.amdhsa_kernarg_size 0
		.amdhsa_user_sgpr_count 0
		.amdhsa_user_sgpr_dispatch_ptr 0
		.amdhsa_user_sgpr_queue_ptr 0
		.amdhsa_user_sgpr_kernarg_segment_ptr 0
		.amdhsa_user_sgpr_dispatch_id 0
		.amdhsa_user_sgpr_kernarg_preload_length 0
		.amdhsa_user_sgpr_kernarg_preload_offset 0
		.amdhsa_user_sgpr_private_segment_size 0
		.amdhsa_uses_dynamic_stack 0
		.amdhsa_enable_private_segment 0
		.amdhsa_system_sgpr_workgroup_id_x 1
		.amdhsa_system_sgpr_workgroup_id_y 0
		.amdhsa_system_sgpr_workgroup_id_z 0
		.amdhsa_system_sgpr_workgroup_info 0
		.amdhsa_system_vgpr_workitem_id 0
		.amdhsa_next_free_vgpr 1
		.amdhsa_next_free_sgpr 0
		.amdhsa_accum_offset 4
		.amdhsa_reserve_vcc 0
		.amdhsa_float_round_mode_32 0
		.amdhsa_float_round_mode_16_64 0
		.amdhsa_float_denorm_mode_32 3
		.amdhsa_float_denorm_mode_16_64 3
		.amdhsa_dx10_clamp 1
		.amdhsa_ieee_mode 1
		.amdhsa_fp16_overflow 0
		.amdhsa_tg_split 0
		.amdhsa_exception_fp_ieee_invalid_op 0
		.amdhsa_exception_fp_denorm_src 0
		.amdhsa_exception_fp_ieee_div_zero 0
		.amdhsa_exception_fp_ieee_overflow 0
		.amdhsa_exception_fp_ieee_underflow 0
		.amdhsa_exception_fp_ieee_inexact 0
		.amdhsa_exception_int_div_zero 0
	.end_amdhsa_kernel
	.section	.text._ZN7rocprim17ROCPRIM_400000_NS6detail44device_merge_sort_compile_time_verifier_archINS1_11comp_targetILNS1_3genE8ELNS1_11target_archE1030ELNS1_3gpuE2ELNS1_3repE0EEES8_NS1_28merge_sort_block_sort_configILj256ELj4ELNS0_20block_sort_algorithmE0EEENS0_14default_configENS1_37merge_sort_block_sort_config_selectorIttEENS1_38merge_sort_block_merge_config_selectorIttEEEEvv,"axG",@progbits,_ZN7rocprim17ROCPRIM_400000_NS6detail44device_merge_sort_compile_time_verifier_archINS1_11comp_targetILNS1_3genE8ELNS1_11target_archE1030ELNS1_3gpuE2ELNS1_3repE0EEES8_NS1_28merge_sort_block_sort_configILj256ELj4ELNS0_20block_sort_algorithmE0EEENS0_14default_configENS1_37merge_sort_block_sort_config_selectorIttEENS1_38merge_sort_block_merge_config_selectorIttEEEEvv,comdat
.Lfunc_end841:
	.size	_ZN7rocprim17ROCPRIM_400000_NS6detail44device_merge_sort_compile_time_verifier_archINS1_11comp_targetILNS1_3genE8ELNS1_11target_archE1030ELNS1_3gpuE2ELNS1_3repE0EEES8_NS1_28merge_sort_block_sort_configILj256ELj4ELNS0_20block_sort_algorithmE0EEENS0_14default_configENS1_37merge_sort_block_sort_config_selectorIttEENS1_38merge_sort_block_merge_config_selectorIttEEEEvv, .Lfunc_end841-_ZN7rocprim17ROCPRIM_400000_NS6detail44device_merge_sort_compile_time_verifier_archINS1_11comp_targetILNS1_3genE8ELNS1_11target_archE1030ELNS1_3gpuE2ELNS1_3repE0EEES8_NS1_28merge_sort_block_sort_configILj256ELj4ELNS0_20block_sort_algorithmE0EEENS0_14default_configENS1_37merge_sort_block_sort_config_selectorIttEENS1_38merge_sort_block_merge_config_selectorIttEEEEvv
                                        ; -- End function
	.set _ZN7rocprim17ROCPRIM_400000_NS6detail44device_merge_sort_compile_time_verifier_archINS1_11comp_targetILNS1_3genE8ELNS1_11target_archE1030ELNS1_3gpuE2ELNS1_3repE0EEES8_NS1_28merge_sort_block_sort_configILj256ELj4ELNS0_20block_sort_algorithmE0EEENS0_14default_configENS1_37merge_sort_block_sort_config_selectorIttEENS1_38merge_sort_block_merge_config_selectorIttEEEEvv.num_vgpr, 0
	.set _ZN7rocprim17ROCPRIM_400000_NS6detail44device_merge_sort_compile_time_verifier_archINS1_11comp_targetILNS1_3genE8ELNS1_11target_archE1030ELNS1_3gpuE2ELNS1_3repE0EEES8_NS1_28merge_sort_block_sort_configILj256ELj4ELNS0_20block_sort_algorithmE0EEENS0_14default_configENS1_37merge_sort_block_sort_config_selectorIttEENS1_38merge_sort_block_merge_config_selectorIttEEEEvv.num_agpr, 0
	.set _ZN7rocprim17ROCPRIM_400000_NS6detail44device_merge_sort_compile_time_verifier_archINS1_11comp_targetILNS1_3genE8ELNS1_11target_archE1030ELNS1_3gpuE2ELNS1_3repE0EEES8_NS1_28merge_sort_block_sort_configILj256ELj4ELNS0_20block_sort_algorithmE0EEENS0_14default_configENS1_37merge_sort_block_sort_config_selectorIttEENS1_38merge_sort_block_merge_config_selectorIttEEEEvv.numbered_sgpr, 0
	.set _ZN7rocprim17ROCPRIM_400000_NS6detail44device_merge_sort_compile_time_verifier_archINS1_11comp_targetILNS1_3genE8ELNS1_11target_archE1030ELNS1_3gpuE2ELNS1_3repE0EEES8_NS1_28merge_sort_block_sort_configILj256ELj4ELNS0_20block_sort_algorithmE0EEENS0_14default_configENS1_37merge_sort_block_sort_config_selectorIttEENS1_38merge_sort_block_merge_config_selectorIttEEEEvv.num_named_barrier, 0
	.set _ZN7rocprim17ROCPRIM_400000_NS6detail44device_merge_sort_compile_time_verifier_archINS1_11comp_targetILNS1_3genE8ELNS1_11target_archE1030ELNS1_3gpuE2ELNS1_3repE0EEES8_NS1_28merge_sort_block_sort_configILj256ELj4ELNS0_20block_sort_algorithmE0EEENS0_14default_configENS1_37merge_sort_block_sort_config_selectorIttEENS1_38merge_sort_block_merge_config_selectorIttEEEEvv.private_seg_size, 0
	.set _ZN7rocprim17ROCPRIM_400000_NS6detail44device_merge_sort_compile_time_verifier_archINS1_11comp_targetILNS1_3genE8ELNS1_11target_archE1030ELNS1_3gpuE2ELNS1_3repE0EEES8_NS1_28merge_sort_block_sort_configILj256ELj4ELNS0_20block_sort_algorithmE0EEENS0_14default_configENS1_37merge_sort_block_sort_config_selectorIttEENS1_38merge_sort_block_merge_config_selectorIttEEEEvv.uses_vcc, 0
	.set _ZN7rocprim17ROCPRIM_400000_NS6detail44device_merge_sort_compile_time_verifier_archINS1_11comp_targetILNS1_3genE8ELNS1_11target_archE1030ELNS1_3gpuE2ELNS1_3repE0EEES8_NS1_28merge_sort_block_sort_configILj256ELj4ELNS0_20block_sort_algorithmE0EEENS0_14default_configENS1_37merge_sort_block_sort_config_selectorIttEENS1_38merge_sort_block_merge_config_selectorIttEEEEvv.uses_flat_scratch, 0
	.set _ZN7rocprim17ROCPRIM_400000_NS6detail44device_merge_sort_compile_time_verifier_archINS1_11comp_targetILNS1_3genE8ELNS1_11target_archE1030ELNS1_3gpuE2ELNS1_3repE0EEES8_NS1_28merge_sort_block_sort_configILj256ELj4ELNS0_20block_sort_algorithmE0EEENS0_14default_configENS1_37merge_sort_block_sort_config_selectorIttEENS1_38merge_sort_block_merge_config_selectorIttEEEEvv.has_dyn_sized_stack, 0
	.set _ZN7rocprim17ROCPRIM_400000_NS6detail44device_merge_sort_compile_time_verifier_archINS1_11comp_targetILNS1_3genE8ELNS1_11target_archE1030ELNS1_3gpuE2ELNS1_3repE0EEES8_NS1_28merge_sort_block_sort_configILj256ELj4ELNS0_20block_sort_algorithmE0EEENS0_14default_configENS1_37merge_sort_block_sort_config_selectorIttEENS1_38merge_sort_block_merge_config_selectorIttEEEEvv.has_recursion, 0
	.set _ZN7rocprim17ROCPRIM_400000_NS6detail44device_merge_sort_compile_time_verifier_archINS1_11comp_targetILNS1_3genE8ELNS1_11target_archE1030ELNS1_3gpuE2ELNS1_3repE0EEES8_NS1_28merge_sort_block_sort_configILj256ELj4ELNS0_20block_sort_algorithmE0EEENS0_14default_configENS1_37merge_sort_block_sort_config_selectorIttEENS1_38merge_sort_block_merge_config_selectorIttEEEEvv.has_indirect_call, 0
	.section	.AMDGPU.csdata,"",@progbits
; Kernel info:
; codeLenInByte = 4
; TotalNumSgprs: 6
; NumVgprs: 0
; NumAgprs: 0
; TotalNumVgprs: 0
; ScratchSize: 0
; MemoryBound: 0
; FloatMode: 240
; IeeeMode: 1
; LDSByteSize: 0 bytes/workgroup (compile time only)
; SGPRBlocks: 0
; VGPRBlocks: 0
; NumSGPRsForWavesPerEU: 6
; NumVGPRsForWavesPerEU: 1
; AccumOffset: 4
; Occupancy: 8
; WaveLimiterHint : 0
; COMPUTE_PGM_RSRC2:SCRATCH_EN: 0
; COMPUTE_PGM_RSRC2:USER_SGPR: 0
; COMPUTE_PGM_RSRC2:TRAP_HANDLER: 0
; COMPUTE_PGM_RSRC2:TGID_X_EN: 1
; COMPUTE_PGM_RSRC2:TGID_Y_EN: 0
; COMPUTE_PGM_RSRC2:TGID_Z_EN: 0
; COMPUTE_PGM_RSRC2:TIDIG_COMP_CNT: 0
; COMPUTE_PGM_RSRC3_GFX90A:ACCUM_OFFSET: 0
; COMPUTE_PGM_RSRC3_GFX90A:TG_SPLIT: 0
	.section	.text._ZN7rocprim17ROCPRIM_400000_NS6detail17trampoline_kernelINS0_14default_configENS1_38merge_sort_block_merge_config_selectorIttEEZZNS1_27merge_sort_block_merge_implIS3_N6thrust23THRUST_200600_302600_NS6detail15normal_iteratorINS8_10device_ptrItEEEESD_jNS1_19radix_merge_compareILb0ELb0EtNS0_19identity_decomposerEEEEE10hipError_tT0_T1_T2_jT3_P12ihipStream_tbPNSt15iterator_traitsISI_E10value_typeEPNSO_ISJ_E10value_typeEPSK_NS1_7vsmem_tEENKUlT_SI_SJ_SK_E_clIPtSD_S10_SD_EESH_SX_SI_SJ_SK_EUlSX_E_NS1_11comp_targetILNS1_3genE0ELNS1_11target_archE4294967295ELNS1_3gpuE0ELNS1_3repE0EEENS1_48merge_mergepath_partition_config_static_selectorELNS0_4arch9wavefront6targetE1EEEvSJ_,"axG",@progbits,_ZN7rocprim17ROCPRIM_400000_NS6detail17trampoline_kernelINS0_14default_configENS1_38merge_sort_block_merge_config_selectorIttEEZZNS1_27merge_sort_block_merge_implIS3_N6thrust23THRUST_200600_302600_NS6detail15normal_iteratorINS8_10device_ptrItEEEESD_jNS1_19radix_merge_compareILb0ELb0EtNS0_19identity_decomposerEEEEE10hipError_tT0_T1_T2_jT3_P12ihipStream_tbPNSt15iterator_traitsISI_E10value_typeEPNSO_ISJ_E10value_typeEPSK_NS1_7vsmem_tEENKUlT_SI_SJ_SK_E_clIPtSD_S10_SD_EESH_SX_SI_SJ_SK_EUlSX_E_NS1_11comp_targetILNS1_3genE0ELNS1_11target_archE4294967295ELNS1_3gpuE0ELNS1_3repE0EEENS1_48merge_mergepath_partition_config_static_selectorELNS0_4arch9wavefront6targetE1EEEvSJ_,comdat
	.protected	_ZN7rocprim17ROCPRIM_400000_NS6detail17trampoline_kernelINS0_14default_configENS1_38merge_sort_block_merge_config_selectorIttEEZZNS1_27merge_sort_block_merge_implIS3_N6thrust23THRUST_200600_302600_NS6detail15normal_iteratorINS8_10device_ptrItEEEESD_jNS1_19radix_merge_compareILb0ELb0EtNS0_19identity_decomposerEEEEE10hipError_tT0_T1_T2_jT3_P12ihipStream_tbPNSt15iterator_traitsISI_E10value_typeEPNSO_ISJ_E10value_typeEPSK_NS1_7vsmem_tEENKUlT_SI_SJ_SK_E_clIPtSD_S10_SD_EESH_SX_SI_SJ_SK_EUlSX_E_NS1_11comp_targetILNS1_3genE0ELNS1_11target_archE4294967295ELNS1_3gpuE0ELNS1_3repE0EEENS1_48merge_mergepath_partition_config_static_selectorELNS0_4arch9wavefront6targetE1EEEvSJ_ ; -- Begin function _ZN7rocprim17ROCPRIM_400000_NS6detail17trampoline_kernelINS0_14default_configENS1_38merge_sort_block_merge_config_selectorIttEEZZNS1_27merge_sort_block_merge_implIS3_N6thrust23THRUST_200600_302600_NS6detail15normal_iteratorINS8_10device_ptrItEEEESD_jNS1_19radix_merge_compareILb0ELb0EtNS0_19identity_decomposerEEEEE10hipError_tT0_T1_T2_jT3_P12ihipStream_tbPNSt15iterator_traitsISI_E10value_typeEPNSO_ISJ_E10value_typeEPSK_NS1_7vsmem_tEENKUlT_SI_SJ_SK_E_clIPtSD_S10_SD_EESH_SX_SI_SJ_SK_EUlSX_E_NS1_11comp_targetILNS1_3genE0ELNS1_11target_archE4294967295ELNS1_3gpuE0ELNS1_3repE0EEENS1_48merge_mergepath_partition_config_static_selectorELNS0_4arch9wavefront6targetE1EEEvSJ_
	.globl	_ZN7rocprim17ROCPRIM_400000_NS6detail17trampoline_kernelINS0_14default_configENS1_38merge_sort_block_merge_config_selectorIttEEZZNS1_27merge_sort_block_merge_implIS3_N6thrust23THRUST_200600_302600_NS6detail15normal_iteratorINS8_10device_ptrItEEEESD_jNS1_19radix_merge_compareILb0ELb0EtNS0_19identity_decomposerEEEEE10hipError_tT0_T1_T2_jT3_P12ihipStream_tbPNSt15iterator_traitsISI_E10value_typeEPNSO_ISJ_E10value_typeEPSK_NS1_7vsmem_tEENKUlT_SI_SJ_SK_E_clIPtSD_S10_SD_EESH_SX_SI_SJ_SK_EUlSX_E_NS1_11comp_targetILNS1_3genE0ELNS1_11target_archE4294967295ELNS1_3gpuE0ELNS1_3repE0EEENS1_48merge_mergepath_partition_config_static_selectorELNS0_4arch9wavefront6targetE1EEEvSJ_
	.p2align	8
	.type	_ZN7rocprim17ROCPRIM_400000_NS6detail17trampoline_kernelINS0_14default_configENS1_38merge_sort_block_merge_config_selectorIttEEZZNS1_27merge_sort_block_merge_implIS3_N6thrust23THRUST_200600_302600_NS6detail15normal_iteratorINS8_10device_ptrItEEEESD_jNS1_19radix_merge_compareILb0ELb0EtNS0_19identity_decomposerEEEEE10hipError_tT0_T1_T2_jT3_P12ihipStream_tbPNSt15iterator_traitsISI_E10value_typeEPNSO_ISJ_E10value_typeEPSK_NS1_7vsmem_tEENKUlT_SI_SJ_SK_E_clIPtSD_S10_SD_EESH_SX_SI_SJ_SK_EUlSX_E_NS1_11comp_targetILNS1_3genE0ELNS1_11target_archE4294967295ELNS1_3gpuE0ELNS1_3repE0EEENS1_48merge_mergepath_partition_config_static_selectorELNS0_4arch9wavefront6targetE1EEEvSJ_,@function
_ZN7rocprim17ROCPRIM_400000_NS6detail17trampoline_kernelINS0_14default_configENS1_38merge_sort_block_merge_config_selectorIttEEZZNS1_27merge_sort_block_merge_implIS3_N6thrust23THRUST_200600_302600_NS6detail15normal_iteratorINS8_10device_ptrItEEEESD_jNS1_19radix_merge_compareILb0ELb0EtNS0_19identity_decomposerEEEEE10hipError_tT0_T1_T2_jT3_P12ihipStream_tbPNSt15iterator_traitsISI_E10value_typeEPNSO_ISJ_E10value_typeEPSK_NS1_7vsmem_tEENKUlT_SI_SJ_SK_E_clIPtSD_S10_SD_EESH_SX_SI_SJ_SK_EUlSX_E_NS1_11comp_targetILNS1_3genE0ELNS1_11target_archE4294967295ELNS1_3gpuE0ELNS1_3repE0EEENS1_48merge_mergepath_partition_config_static_selectorELNS0_4arch9wavefront6targetE1EEEvSJ_: ; @_ZN7rocprim17ROCPRIM_400000_NS6detail17trampoline_kernelINS0_14default_configENS1_38merge_sort_block_merge_config_selectorIttEEZZNS1_27merge_sort_block_merge_implIS3_N6thrust23THRUST_200600_302600_NS6detail15normal_iteratorINS8_10device_ptrItEEEESD_jNS1_19radix_merge_compareILb0ELb0EtNS0_19identity_decomposerEEEEE10hipError_tT0_T1_T2_jT3_P12ihipStream_tbPNSt15iterator_traitsISI_E10value_typeEPNSO_ISJ_E10value_typeEPSK_NS1_7vsmem_tEENKUlT_SI_SJ_SK_E_clIPtSD_S10_SD_EESH_SX_SI_SJ_SK_EUlSX_E_NS1_11comp_targetILNS1_3genE0ELNS1_11target_archE4294967295ELNS1_3gpuE0ELNS1_3repE0EEENS1_48merge_mergepath_partition_config_static_selectorELNS0_4arch9wavefront6targetE1EEEvSJ_
; %bb.0:
	s_load_dword s3, s[0:1], 0x0
	v_lshl_or_b32 v0, s2, 7, v0
	s_waitcnt lgkmcnt(0)
	v_cmp_gt_u32_e32 vcc, s3, v0
	s_and_saveexec_b64 s[2:3], vcc
	s_cbranch_execz .LBB842_6
; %bb.1:
	s_load_dwordx2 s[4:5], s[0:1], 0x4
	s_load_dwordx2 s[2:3], s[0:1], 0x20
	s_waitcnt lgkmcnt(0)
	s_lshr_b32 s6, s4, 9
	s_and_b32 s6, s6, 0x7ffffe
	s_add_i32 s7, s6, -1
	s_sub_i32 s6, 0, s6
	v_and_b32_e32 v1, s6, v0
	v_lshlrev_b32_e32 v1, 10, v1
	v_min_u32_e32 v2, s5, v1
	v_add_u32_e32 v1, s4, v1
	v_min_u32_e32 v4, s5, v1
	v_add_u32_e32 v1, s4, v4
	v_and_b32_e32 v3, s7, v0
	v_min_u32_e32 v1, s5, v1
	v_sub_u32_e32 v5, v1, v2
	v_lshlrev_b32_e32 v3, 10, v3
	v_min_u32_e32 v10, v5, v3
	v_sub_u32_e32 v3, v4, v2
	v_sub_u32_e32 v1, v1, v4
	v_sub_u32_e64 v1, v10, v1 clamp
	v_min_u32_e32 v11, v10, v3
	v_cmp_lt_u32_e32 vcc, v1, v11
	s_and_saveexec_b64 s[4:5], vcc
	s_cbranch_execz .LBB842_5
; %bb.2:
	s_load_dwordx2 s[0:1], s[0:1], 0x10
	v_mov_b32_e32 v5, 0
	v_mov_b32_e32 v3, v5
	s_waitcnt lgkmcnt(0)
	v_lshl_add_u64 v[6:7], v[2:3], 1, s[0:1]
	v_lshl_add_u64 v[8:9], v[4:5], 1, s[0:1]
	s_mov_b64 s[0:1], 0
.LBB842_3:                              ; =>This Inner Loop Header: Depth=1
	v_add_u32_e32 v3, v11, v1
	v_lshrrev_b32_e32 v16, 1, v3
	v_and_b32_e32 v4, -2, v3
	v_mov_b32_e32 v13, v5
	v_xad_u32 v12, v16, -1, v10
	v_lshl_add_u64 v[14:15], v[6:7], 0, v[4:5]
	v_lshl_add_u64 v[12:13], v[12:13], 1, v[8:9]
	global_load_ushort v3, v[14:15], off
	global_load_ushort v4, v[12:13], off
	v_add_u32_e32 v12, 1, v16
	s_waitcnt vmcnt(0)
	v_cmp_gt_u16_e32 vcc, v3, v4
	s_nop 1
	v_cndmask_b32_e32 v11, v11, v16, vcc
	v_cndmask_b32_e32 v1, v12, v1, vcc
	v_cmp_ge_u32_e32 vcc, v1, v11
	s_or_b64 s[0:1], vcc, s[0:1]
	s_andn2_b64 exec, exec, s[0:1]
	s_cbranch_execnz .LBB842_3
; %bb.4:
	s_or_b64 exec, exec, s[0:1]
.LBB842_5:
	s_or_b64 exec, exec, s[4:5]
	v_add_u32_e32 v2, v1, v2
	v_mov_b32_e32 v1, 0
	v_lshl_add_u64 v[0:1], v[0:1], 2, s[2:3]
	global_store_dword v[0:1], v2, off
.LBB842_6:
	s_endpgm
	.section	.rodata,"a",@progbits
	.p2align	6, 0x0
	.amdhsa_kernel _ZN7rocprim17ROCPRIM_400000_NS6detail17trampoline_kernelINS0_14default_configENS1_38merge_sort_block_merge_config_selectorIttEEZZNS1_27merge_sort_block_merge_implIS3_N6thrust23THRUST_200600_302600_NS6detail15normal_iteratorINS8_10device_ptrItEEEESD_jNS1_19radix_merge_compareILb0ELb0EtNS0_19identity_decomposerEEEEE10hipError_tT0_T1_T2_jT3_P12ihipStream_tbPNSt15iterator_traitsISI_E10value_typeEPNSO_ISJ_E10value_typeEPSK_NS1_7vsmem_tEENKUlT_SI_SJ_SK_E_clIPtSD_S10_SD_EESH_SX_SI_SJ_SK_EUlSX_E_NS1_11comp_targetILNS1_3genE0ELNS1_11target_archE4294967295ELNS1_3gpuE0ELNS1_3repE0EEENS1_48merge_mergepath_partition_config_static_selectorELNS0_4arch9wavefront6targetE1EEEvSJ_
		.amdhsa_group_segment_fixed_size 0
		.amdhsa_private_segment_fixed_size 0
		.amdhsa_kernarg_size 40
		.amdhsa_user_sgpr_count 2
		.amdhsa_user_sgpr_dispatch_ptr 0
		.amdhsa_user_sgpr_queue_ptr 0
		.amdhsa_user_sgpr_kernarg_segment_ptr 1
		.amdhsa_user_sgpr_dispatch_id 0
		.amdhsa_user_sgpr_kernarg_preload_length 0
		.amdhsa_user_sgpr_kernarg_preload_offset 0
		.amdhsa_user_sgpr_private_segment_size 0
		.amdhsa_uses_dynamic_stack 0
		.amdhsa_enable_private_segment 0
		.amdhsa_system_sgpr_workgroup_id_x 1
		.amdhsa_system_sgpr_workgroup_id_y 0
		.amdhsa_system_sgpr_workgroup_id_z 0
		.amdhsa_system_sgpr_workgroup_info 0
		.amdhsa_system_vgpr_workitem_id 0
		.amdhsa_next_free_vgpr 17
		.amdhsa_next_free_sgpr 8
		.amdhsa_accum_offset 20
		.amdhsa_reserve_vcc 1
		.amdhsa_float_round_mode_32 0
		.amdhsa_float_round_mode_16_64 0
		.amdhsa_float_denorm_mode_32 3
		.amdhsa_float_denorm_mode_16_64 3
		.amdhsa_dx10_clamp 1
		.amdhsa_ieee_mode 1
		.amdhsa_fp16_overflow 0
		.amdhsa_tg_split 0
		.amdhsa_exception_fp_ieee_invalid_op 0
		.amdhsa_exception_fp_denorm_src 0
		.amdhsa_exception_fp_ieee_div_zero 0
		.amdhsa_exception_fp_ieee_overflow 0
		.amdhsa_exception_fp_ieee_underflow 0
		.amdhsa_exception_fp_ieee_inexact 0
		.amdhsa_exception_int_div_zero 0
	.end_amdhsa_kernel
	.section	.text._ZN7rocprim17ROCPRIM_400000_NS6detail17trampoline_kernelINS0_14default_configENS1_38merge_sort_block_merge_config_selectorIttEEZZNS1_27merge_sort_block_merge_implIS3_N6thrust23THRUST_200600_302600_NS6detail15normal_iteratorINS8_10device_ptrItEEEESD_jNS1_19radix_merge_compareILb0ELb0EtNS0_19identity_decomposerEEEEE10hipError_tT0_T1_T2_jT3_P12ihipStream_tbPNSt15iterator_traitsISI_E10value_typeEPNSO_ISJ_E10value_typeEPSK_NS1_7vsmem_tEENKUlT_SI_SJ_SK_E_clIPtSD_S10_SD_EESH_SX_SI_SJ_SK_EUlSX_E_NS1_11comp_targetILNS1_3genE0ELNS1_11target_archE4294967295ELNS1_3gpuE0ELNS1_3repE0EEENS1_48merge_mergepath_partition_config_static_selectorELNS0_4arch9wavefront6targetE1EEEvSJ_,"axG",@progbits,_ZN7rocprim17ROCPRIM_400000_NS6detail17trampoline_kernelINS0_14default_configENS1_38merge_sort_block_merge_config_selectorIttEEZZNS1_27merge_sort_block_merge_implIS3_N6thrust23THRUST_200600_302600_NS6detail15normal_iteratorINS8_10device_ptrItEEEESD_jNS1_19radix_merge_compareILb0ELb0EtNS0_19identity_decomposerEEEEE10hipError_tT0_T1_T2_jT3_P12ihipStream_tbPNSt15iterator_traitsISI_E10value_typeEPNSO_ISJ_E10value_typeEPSK_NS1_7vsmem_tEENKUlT_SI_SJ_SK_E_clIPtSD_S10_SD_EESH_SX_SI_SJ_SK_EUlSX_E_NS1_11comp_targetILNS1_3genE0ELNS1_11target_archE4294967295ELNS1_3gpuE0ELNS1_3repE0EEENS1_48merge_mergepath_partition_config_static_selectorELNS0_4arch9wavefront6targetE1EEEvSJ_,comdat
.Lfunc_end842:
	.size	_ZN7rocprim17ROCPRIM_400000_NS6detail17trampoline_kernelINS0_14default_configENS1_38merge_sort_block_merge_config_selectorIttEEZZNS1_27merge_sort_block_merge_implIS3_N6thrust23THRUST_200600_302600_NS6detail15normal_iteratorINS8_10device_ptrItEEEESD_jNS1_19radix_merge_compareILb0ELb0EtNS0_19identity_decomposerEEEEE10hipError_tT0_T1_T2_jT3_P12ihipStream_tbPNSt15iterator_traitsISI_E10value_typeEPNSO_ISJ_E10value_typeEPSK_NS1_7vsmem_tEENKUlT_SI_SJ_SK_E_clIPtSD_S10_SD_EESH_SX_SI_SJ_SK_EUlSX_E_NS1_11comp_targetILNS1_3genE0ELNS1_11target_archE4294967295ELNS1_3gpuE0ELNS1_3repE0EEENS1_48merge_mergepath_partition_config_static_selectorELNS0_4arch9wavefront6targetE1EEEvSJ_, .Lfunc_end842-_ZN7rocprim17ROCPRIM_400000_NS6detail17trampoline_kernelINS0_14default_configENS1_38merge_sort_block_merge_config_selectorIttEEZZNS1_27merge_sort_block_merge_implIS3_N6thrust23THRUST_200600_302600_NS6detail15normal_iteratorINS8_10device_ptrItEEEESD_jNS1_19radix_merge_compareILb0ELb0EtNS0_19identity_decomposerEEEEE10hipError_tT0_T1_T2_jT3_P12ihipStream_tbPNSt15iterator_traitsISI_E10value_typeEPNSO_ISJ_E10value_typeEPSK_NS1_7vsmem_tEENKUlT_SI_SJ_SK_E_clIPtSD_S10_SD_EESH_SX_SI_SJ_SK_EUlSX_E_NS1_11comp_targetILNS1_3genE0ELNS1_11target_archE4294967295ELNS1_3gpuE0ELNS1_3repE0EEENS1_48merge_mergepath_partition_config_static_selectorELNS0_4arch9wavefront6targetE1EEEvSJ_
                                        ; -- End function
	.set _ZN7rocprim17ROCPRIM_400000_NS6detail17trampoline_kernelINS0_14default_configENS1_38merge_sort_block_merge_config_selectorIttEEZZNS1_27merge_sort_block_merge_implIS3_N6thrust23THRUST_200600_302600_NS6detail15normal_iteratorINS8_10device_ptrItEEEESD_jNS1_19radix_merge_compareILb0ELb0EtNS0_19identity_decomposerEEEEE10hipError_tT0_T1_T2_jT3_P12ihipStream_tbPNSt15iterator_traitsISI_E10value_typeEPNSO_ISJ_E10value_typeEPSK_NS1_7vsmem_tEENKUlT_SI_SJ_SK_E_clIPtSD_S10_SD_EESH_SX_SI_SJ_SK_EUlSX_E_NS1_11comp_targetILNS1_3genE0ELNS1_11target_archE4294967295ELNS1_3gpuE0ELNS1_3repE0EEENS1_48merge_mergepath_partition_config_static_selectorELNS0_4arch9wavefront6targetE1EEEvSJ_.num_vgpr, 17
	.set _ZN7rocprim17ROCPRIM_400000_NS6detail17trampoline_kernelINS0_14default_configENS1_38merge_sort_block_merge_config_selectorIttEEZZNS1_27merge_sort_block_merge_implIS3_N6thrust23THRUST_200600_302600_NS6detail15normal_iteratorINS8_10device_ptrItEEEESD_jNS1_19radix_merge_compareILb0ELb0EtNS0_19identity_decomposerEEEEE10hipError_tT0_T1_T2_jT3_P12ihipStream_tbPNSt15iterator_traitsISI_E10value_typeEPNSO_ISJ_E10value_typeEPSK_NS1_7vsmem_tEENKUlT_SI_SJ_SK_E_clIPtSD_S10_SD_EESH_SX_SI_SJ_SK_EUlSX_E_NS1_11comp_targetILNS1_3genE0ELNS1_11target_archE4294967295ELNS1_3gpuE0ELNS1_3repE0EEENS1_48merge_mergepath_partition_config_static_selectorELNS0_4arch9wavefront6targetE1EEEvSJ_.num_agpr, 0
	.set _ZN7rocprim17ROCPRIM_400000_NS6detail17trampoline_kernelINS0_14default_configENS1_38merge_sort_block_merge_config_selectorIttEEZZNS1_27merge_sort_block_merge_implIS3_N6thrust23THRUST_200600_302600_NS6detail15normal_iteratorINS8_10device_ptrItEEEESD_jNS1_19radix_merge_compareILb0ELb0EtNS0_19identity_decomposerEEEEE10hipError_tT0_T1_T2_jT3_P12ihipStream_tbPNSt15iterator_traitsISI_E10value_typeEPNSO_ISJ_E10value_typeEPSK_NS1_7vsmem_tEENKUlT_SI_SJ_SK_E_clIPtSD_S10_SD_EESH_SX_SI_SJ_SK_EUlSX_E_NS1_11comp_targetILNS1_3genE0ELNS1_11target_archE4294967295ELNS1_3gpuE0ELNS1_3repE0EEENS1_48merge_mergepath_partition_config_static_selectorELNS0_4arch9wavefront6targetE1EEEvSJ_.numbered_sgpr, 8
	.set _ZN7rocprim17ROCPRIM_400000_NS6detail17trampoline_kernelINS0_14default_configENS1_38merge_sort_block_merge_config_selectorIttEEZZNS1_27merge_sort_block_merge_implIS3_N6thrust23THRUST_200600_302600_NS6detail15normal_iteratorINS8_10device_ptrItEEEESD_jNS1_19radix_merge_compareILb0ELb0EtNS0_19identity_decomposerEEEEE10hipError_tT0_T1_T2_jT3_P12ihipStream_tbPNSt15iterator_traitsISI_E10value_typeEPNSO_ISJ_E10value_typeEPSK_NS1_7vsmem_tEENKUlT_SI_SJ_SK_E_clIPtSD_S10_SD_EESH_SX_SI_SJ_SK_EUlSX_E_NS1_11comp_targetILNS1_3genE0ELNS1_11target_archE4294967295ELNS1_3gpuE0ELNS1_3repE0EEENS1_48merge_mergepath_partition_config_static_selectorELNS0_4arch9wavefront6targetE1EEEvSJ_.num_named_barrier, 0
	.set _ZN7rocprim17ROCPRIM_400000_NS6detail17trampoline_kernelINS0_14default_configENS1_38merge_sort_block_merge_config_selectorIttEEZZNS1_27merge_sort_block_merge_implIS3_N6thrust23THRUST_200600_302600_NS6detail15normal_iteratorINS8_10device_ptrItEEEESD_jNS1_19radix_merge_compareILb0ELb0EtNS0_19identity_decomposerEEEEE10hipError_tT0_T1_T2_jT3_P12ihipStream_tbPNSt15iterator_traitsISI_E10value_typeEPNSO_ISJ_E10value_typeEPSK_NS1_7vsmem_tEENKUlT_SI_SJ_SK_E_clIPtSD_S10_SD_EESH_SX_SI_SJ_SK_EUlSX_E_NS1_11comp_targetILNS1_3genE0ELNS1_11target_archE4294967295ELNS1_3gpuE0ELNS1_3repE0EEENS1_48merge_mergepath_partition_config_static_selectorELNS0_4arch9wavefront6targetE1EEEvSJ_.private_seg_size, 0
	.set _ZN7rocprim17ROCPRIM_400000_NS6detail17trampoline_kernelINS0_14default_configENS1_38merge_sort_block_merge_config_selectorIttEEZZNS1_27merge_sort_block_merge_implIS3_N6thrust23THRUST_200600_302600_NS6detail15normal_iteratorINS8_10device_ptrItEEEESD_jNS1_19radix_merge_compareILb0ELb0EtNS0_19identity_decomposerEEEEE10hipError_tT0_T1_T2_jT3_P12ihipStream_tbPNSt15iterator_traitsISI_E10value_typeEPNSO_ISJ_E10value_typeEPSK_NS1_7vsmem_tEENKUlT_SI_SJ_SK_E_clIPtSD_S10_SD_EESH_SX_SI_SJ_SK_EUlSX_E_NS1_11comp_targetILNS1_3genE0ELNS1_11target_archE4294967295ELNS1_3gpuE0ELNS1_3repE0EEENS1_48merge_mergepath_partition_config_static_selectorELNS0_4arch9wavefront6targetE1EEEvSJ_.uses_vcc, 1
	.set _ZN7rocprim17ROCPRIM_400000_NS6detail17trampoline_kernelINS0_14default_configENS1_38merge_sort_block_merge_config_selectorIttEEZZNS1_27merge_sort_block_merge_implIS3_N6thrust23THRUST_200600_302600_NS6detail15normal_iteratorINS8_10device_ptrItEEEESD_jNS1_19radix_merge_compareILb0ELb0EtNS0_19identity_decomposerEEEEE10hipError_tT0_T1_T2_jT3_P12ihipStream_tbPNSt15iterator_traitsISI_E10value_typeEPNSO_ISJ_E10value_typeEPSK_NS1_7vsmem_tEENKUlT_SI_SJ_SK_E_clIPtSD_S10_SD_EESH_SX_SI_SJ_SK_EUlSX_E_NS1_11comp_targetILNS1_3genE0ELNS1_11target_archE4294967295ELNS1_3gpuE0ELNS1_3repE0EEENS1_48merge_mergepath_partition_config_static_selectorELNS0_4arch9wavefront6targetE1EEEvSJ_.uses_flat_scratch, 0
	.set _ZN7rocprim17ROCPRIM_400000_NS6detail17trampoline_kernelINS0_14default_configENS1_38merge_sort_block_merge_config_selectorIttEEZZNS1_27merge_sort_block_merge_implIS3_N6thrust23THRUST_200600_302600_NS6detail15normal_iteratorINS8_10device_ptrItEEEESD_jNS1_19radix_merge_compareILb0ELb0EtNS0_19identity_decomposerEEEEE10hipError_tT0_T1_T2_jT3_P12ihipStream_tbPNSt15iterator_traitsISI_E10value_typeEPNSO_ISJ_E10value_typeEPSK_NS1_7vsmem_tEENKUlT_SI_SJ_SK_E_clIPtSD_S10_SD_EESH_SX_SI_SJ_SK_EUlSX_E_NS1_11comp_targetILNS1_3genE0ELNS1_11target_archE4294967295ELNS1_3gpuE0ELNS1_3repE0EEENS1_48merge_mergepath_partition_config_static_selectorELNS0_4arch9wavefront6targetE1EEEvSJ_.has_dyn_sized_stack, 0
	.set _ZN7rocprim17ROCPRIM_400000_NS6detail17trampoline_kernelINS0_14default_configENS1_38merge_sort_block_merge_config_selectorIttEEZZNS1_27merge_sort_block_merge_implIS3_N6thrust23THRUST_200600_302600_NS6detail15normal_iteratorINS8_10device_ptrItEEEESD_jNS1_19radix_merge_compareILb0ELb0EtNS0_19identity_decomposerEEEEE10hipError_tT0_T1_T2_jT3_P12ihipStream_tbPNSt15iterator_traitsISI_E10value_typeEPNSO_ISJ_E10value_typeEPSK_NS1_7vsmem_tEENKUlT_SI_SJ_SK_E_clIPtSD_S10_SD_EESH_SX_SI_SJ_SK_EUlSX_E_NS1_11comp_targetILNS1_3genE0ELNS1_11target_archE4294967295ELNS1_3gpuE0ELNS1_3repE0EEENS1_48merge_mergepath_partition_config_static_selectorELNS0_4arch9wavefront6targetE1EEEvSJ_.has_recursion, 0
	.set _ZN7rocprim17ROCPRIM_400000_NS6detail17trampoline_kernelINS0_14default_configENS1_38merge_sort_block_merge_config_selectorIttEEZZNS1_27merge_sort_block_merge_implIS3_N6thrust23THRUST_200600_302600_NS6detail15normal_iteratorINS8_10device_ptrItEEEESD_jNS1_19radix_merge_compareILb0ELb0EtNS0_19identity_decomposerEEEEE10hipError_tT0_T1_T2_jT3_P12ihipStream_tbPNSt15iterator_traitsISI_E10value_typeEPNSO_ISJ_E10value_typeEPSK_NS1_7vsmem_tEENKUlT_SI_SJ_SK_E_clIPtSD_S10_SD_EESH_SX_SI_SJ_SK_EUlSX_E_NS1_11comp_targetILNS1_3genE0ELNS1_11target_archE4294967295ELNS1_3gpuE0ELNS1_3repE0EEENS1_48merge_mergepath_partition_config_static_selectorELNS0_4arch9wavefront6targetE1EEEvSJ_.has_indirect_call, 0
	.section	.AMDGPU.csdata,"",@progbits
; Kernel info:
; codeLenInByte = 320
; TotalNumSgprs: 14
; NumVgprs: 17
; NumAgprs: 0
; TotalNumVgprs: 17
; ScratchSize: 0
; MemoryBound: 0
; FloatMode: 240
; IeeeMode: 1
; LDSByteSize: 0 bytes/workgroup (compile time only)
; SGPRBlocks: 1
; VGPRBlocks: 2
; NumSGPRsForWavesPerEU: 14
; NumVGPRsForWavesPerEU: 17
; AccumOffset: 20
; Occupancy: 8
; WaveLimiterHint : 0
; COMPUTE_PGM_RSRC2:SCRATCH_EN: 0
; COMPUTE_PGM_RSRC2:USER_SGPR: 2
; COMPUTE_PGM_RSRC2:TRAP_HANDLER: 0
; COMPUTE_PGM_RSRC2:TGID_X_EN: 1
; COMPUTE_PGM_RSRC2:TGID_Y_EN: 0
; COMPUTE_PGM_RSRC2:TGID_Z_EN: 0
; COMPUTE_PGM_RSRC2:TIDIG_COMP_CNT: 0
; COMPUTE_PGM_RSRC3_GFX90A:ACCUM_OFFSET: 4
; COMPUTE_PGM_RSRC3_GFX90A:TG_SPLIT: 0
	.section	.text._ZN7rocprim17ROCPRIM_400000_NS6detail17trampoline_kernelINS0_14default_configENS1_38merge_sort_block_merge_config_selectorIttEEZZNS1_27merge_sort_block_merge_implIS3_N6thrust23THRUST_200600_302600_NS6detail15normal_iteratorINS8_10device_ptrItEEEESD_jNS1_19radix_merge_compareILb0ELb0EtNS0_19identity_decomposerEEEEE10hipError_tT0_T1_T2_jT3_P12ihipStream_tbPNSt15iterator_traitsISI_E10value_typeEPNSO_ISJ_E10value_typeEPSK_NS1_7vsmem_tEENKUlT_SI_SJ_SK_E_clIPtSD_S10_SD_EESH_SX_SI_SJ_SK_EUlSX_E_NS1_11comp_targetILNS1_3genE10ELNS1_11target_archE1201ELNS1_3gpuE5ELNS1_3repE0EEENS1_48merge_mergepath_partition_config_static_selectorELNS0_4arch9wavefront6targetE1EEEvSJ_,"axG",@progbits,_ZN7rocprim17ROCPRIM_400000_NS6detail17trampoline_kernelINS0_14default_configENS1_38merge_sort_block_merge_config_selectorIttEEZZNS1_27merge_sort_block_merge_implIS3_N6thrust23THRUST_200600_302600_NS6detail15normal_iteratorINS8_10device_ptrItEEEESD_jNS1_19radix_merge_compareILb0ELb0EtNS0_19identity_decomposerEEEEE10hipError_tT0_T1_T2_jT3_P12ihipStream_tbPNSt15iterator_traitsISI_E10value_typeEPNSO_ISJ_E10value_typeEPSK_NS1_7vsmem_tEENKUlT_SI_SJ_SK_E_clIPtSD_S10_SD_EESH_SX_SI_SJ_SK_EUlSX_E_NS1_11comp_targetILNS1_3genE10ELNS1_11target_archE1201ELNS1_3gpuE5ELNS1_3repE0EEENS1_48merge_mergepath_partition_config_static_selectorELNS0_4arch9wavefront6targetE1EEEvSJ_,comdat
	.protected	_ZN7rocprim17ROCPRIM_400000_NS6detail17trampoline_kernelINS0_14default_configENS1_38merge_sort_block_merge_config_selectorIttEEZZNS1_27merge_sort_block_merge_implIS3_N6thrust23THRUST_200600_302600_NS6detail15normal_iteratorINS8_10device_ptrItEEEESD_jNS1_19radix_merge_compareILb0ELb0EtNS0_19identity_decomposerEEEEE10hipError_tT0_T1_T2_jT3_P12ihipStream_tbPNSt15iterator_traitsISI_E10value_typeEPNSO_ISJ_E10value_typeEPSK_NS1_7vsmem_tEENKUlT_SI_SJ_SK_E_clIPtSD_S10_SD_EESH_SX_SI_SJ_SK_EUlSX_E_NS1_11comp_targetILNS1_3genE10ELNS1_11target_archE1201ELNS1_3gpuE5ELNS1_3repE0EEENS1_48merge_mergepath_partition_config_static_selectorELNS0_4arch9wavefront6targetE1EEEvSJ_ ; -- Begin function _ZN7rocprim17ROCPRIM_400000_NS6detail17trampoline_kernelINS0_14default_configENS1_38merge_sort_block_merge_config_selectorIttEEZZNS1_27merge_sort_block_merge_implIS3_N6thrust23THRUST_200600_302600_NS6detail15normal_iteratorINS8_10device_ptrItEEEESD_jNS1_19radix_merge_compareILb0ELb0EtNS0_19identity_decomposerEEEEE10hipError_tT0_T1_T2_jT3_P12ihipStream_tbPNSt15iterator_traitsISI_E10value_typeEPNSO_ISJ_E10value_typeEPSK_NS1_7vsmem_tEENKUlT_SI_SJ_SK_E_clIPtSD_S10_SD_EESH_SX_SI_SJ_SK_EUlSX_E_NS1_11comp_targetILNS1_3genE10ELNS1_11target_archE1201ELNS1_3gpuE5ELNS1_3repE0EEENS1_48merge_mergepath_partition_config_static_selectorELNS0_4arch9wavefront6targetE1EEEvSJ_
	.globl	_ZN7rocprim17ROCPRIM_400000_NS6detail17trampoline_kernelINS0_14default_configENS1_38merge_sort_block_merge_config_selectorIttEEZZNS1_27merge_sort_block_merge_implIS3_N6thrust23THRUST_200600_302600_NS6detail15normal_iteratorINS8_10device_ptrItEEEESD_jNS1_19radix_merge_compareILb0ELb0EtNS0_19identity_decomposerEEEEE10hipError_tT0_T1_T2_jT3_P12ihipStream_tbPNSt15iterator_traitsISI_E10value_typeEPNSO_ISJ_E10value_typeEPSK_NS1_7vsmem_tEENKUlT_SI_SJ_SK_E_clIPtSD_S10_SD_EESH_SX_SI_SJ_SK_EUlSX_E_NS1_11comp_targetILNS1_3genE10ELNS1_11target_archE1201ELNS1_3gpuE5ELNS1_3repE0EEENS1_48merge_mergepath_partition_config_static_selectorELNS0_4arch9wavefront6targetE1EEEvSJ_
	.p2align	8
	.type	_ZN7rocprim17ROCPRIM_400000_NS6detail17trampoline_kernelINS0_14default_configENS1_38merge_sort_block_merge_config_selectorIttEEZZNS1_27merge_sort_block_merge_implIS3_N6thrust23THRUST_200600_302600_NS6detail15normal_iteratorINS8_10device_ptrItEEEESD_jNS1_19radix_merge_compareILb0ELb0EtNS0_19identity_decomposerEEEEE10hipError_tT0_T1_T2_jT3_P12ihipStream_tbPNSt15iterator_traitsISI_E10value_typeEPNSO_ISJ_E10value_typeEPSK_NS1_7vsmem_tEENKUlT_SI_SJ_SK_E_clIPtSD_S10_SD_EESH_SX_SI_SJ_SK_EUlSX_E_NS1_11comp_targetILNS1_3genE10ELNS1_11target_archE1201ELNS1_3gpuE5ELNS1_3repE0EEENS1_48merge_mergepath_partition_config_static_selectorELNS0_4arch9wavefront6targetE1EEEvSJ_,@function
_ZN7rocprim17ROCPRIM_400000_NS6detail17trampoline_kernelINS0_14default_configENS1_38merge_sort_block_merge_config_selectorIttEEZZNS1_27merge_sort_block_merge_implIS3_N6thrust23THRUST_200600_302600_NS6detail15normal_iteratorINS8_10device_ptrItEEEESD_jNS1_19radix_merge_compareILb0ELb0EtNS0_19identity_decomposerEEEEE10hipError_tT0_T1_T2_jT3_P12ihipStream_tbPNSt15iterator_traitsISI_E10value_typeEPNSO_ISJ_E10value_typeEPSK_NS1_7vsmem_tEENKUlT_SI_SJ_SK_E_clIPtSD_S10_SD_EESH_SX_SI_SJ_SK_EUlSX_E_NS1_11comp_targetILNS1_3genE10ELNS1_11target_archE1201ELNS1_3gpuE5ELNS1_3repE0EEENS1_48merge_mergepath_partition_config_static_selectorELNS0_4arch9wavefront6targetE1EEEvSJ_: ; @_ZN7rocprim17ROCPRIM_400000_NS6detail17trampoline_kernelINS0_14default_configENS1_38merge_sort_block_merge_config_selectorIttEEZZNS1_27merge_sort_block_merge_implIS3_N6thrust23THRUST_200600_302600_NS6detail15normal_iteratorINS8_10device_ptrItEEEESD_jNS1_19radix_merge_compareILb0ELb0EtNS0_19identity_decomposerEEEEE10hipError_tT0_T1_T2_jT3_P12ihipStream_tbPNSt15iterator_traitsISI_E10value_typeEPNSO_ISJ_E10value_typeEPSK_NS1_7vsmem_tEENKUlT_SI_SJ_SK_E_clIPtSD_S10_SD_EESH_SX_SI_SJ_SK_EUlSX_E_NS1_11comp_targetILNS1_3genE10ELNS1_11target_archE1201ELNS1_3gpuE5ELNS1_3repE0EEENS1_48merge_mergepath_partition_config_static_selectorELNS0_4arch9wavefront6targetE1EEEvSJ_
; %bb.0:
	.section	.rodata,"a",@progbits
	.p2align	6, 0x0
	.amdhsa_kernel _ZN7rocprim17ROCPRIM_400000_NS6detail17trampoline_kernelINS0_14default_configENS1_38merge_sort_block_merge_config_selectorIttEEZZNS1_27merge_sort_block_merge_implIS3_N6thrust23THRUST_200600_302600_NS6detail15normal_iteratorINS8_10device_ptrItEEEESD_jNS1_19radix_merge_compareILb0ELb0EtNS0_19identity_decomposerEEEEE10hipError_tT0_T1_T2_jT3_P12ihipStream_tbPNSt15iterator_traitsISI_E10value_typeEPNSO_ISJ_E10value_typeEPSK_NS1_7vsmem_tEENKUlT_SI_SJ_SK_E_clIPtSD_S10_SD_EESH_SX_SI_SJ_SK_EUlSX_E_NS1_11comp_targetILNS1_3genE10ELNS1_11target_archE1201ELNS1_3gpuE5ELNS1_3repE0EEENS1_48merge_mergepath_partition_config_static_selectorELNS0_4arch9wavefront6targetE1EEEvSJ_
		.amdhsa_group_segment_fixed_size 0
		.amdhsa_private_segment_fixed_size 0
		.amdhsa_kernarg_size 40
		.amdhsa_user_sgpr_count 2
		.amdhsa_user_sgpr_dispatch_ptr 0
		.amdhsa_user_sgpr_queue_ptr 0
		.amdhsa_user_sgpr_kernarg_segment_ptr 1
		.amdhsa_user_sgpr_dispatch_id 0
		.amdhsa_user_sgpr_kernarg_preload_length 0
		.amdhsa_user_sgpr_kernarg_preload_offset 0
		.amdhsa_user_sgpr_private_segment_size 0
		.amdhsa_uses_dynamic_stack 0
		.amdhsa_enable_private_segment 0
		.amdhsa_system_sgpr_workgroup_id_x 1
		.amdhsa_system_sgpr_workgroup_id_y 0
		.amdhsa_system_sgpr_workgroup_id_z 0
		.amdhsa_system_sgpr_workgroup_info 0
		.amdhsa_system_vgpr_workitem_id 0
		.amdhsa_next_free_vgpr 1
		.amdhsa_next_free_sgpr 0
		.amdhsa_accum_offset 4
		.amdhsa_reserve_vcc 0
		.amdhsa_float_round_mode_32 0
		.amdhsa_float_round_mode_16_64 0
		.amdhsa_float_denorm_mode_32 3
		.amdhsa_float_denorm_mode_16_64 3
		.amdhsa_dx10_clamp 1
		.amdhsa_ieee_mode 1
		.amdhsa_fp16_overflow 0
		.amdhsa_tg_split 0
		.amdhsa_exception_fp_ieee_invalid_op 0
		.amdhsa_exception_fp_denorm_src 0
		.amdhsa_exception_fp_ieee_div_zero 0
		.amdhsa_exception_fp_ieee_overflow 0
		.amdhsa_exception_fp_ieee_underflow 0
		.amdhsa_exception_fp_ieee_inexact 0
		.amdhsa_exception_int_div_zero 0
	.end_amdhsa_kernel
	.section	.text._ZN7rocprim17ROCPRIM_400000_NS6detail17trampoline_kernelINS0_14default_configENS1_38merge_sort_block_merge_config_selectorIttEEZZNS1_27merge_sort_block_merge_implIS3_N6thrust23THRUST_200600_302600_NS6detail15normal_iteratorINS8_10device_ptrItEEEESD_jNS1_19radix_merge_compareILb0ELb0EtNS0_19identity_decomposerEEEEE10hipError_tT0_T1_T2_jT3_P12ihipStream_tbPNSt15iterator_traitsISI_E10value_typeEPNSO_ISJ_E10value_typeEPSK_NS1_7vsmem_tEENKUlT_SI_SJ_SK_E_clIPtSD_S10_SD_EESH_SX_SI_SJ_SK_EUlSX_E_NS1_11comp_targetILNS1_3genE10ELNS1_11target_archE1201ELNS1_3gpuE5ELNS1_3repE0EEENS1_48merge_mergepath_partition_config_static_selectorELNS0_4arch9wavefront6targetE1EEEvSJ_,"axG",@progbits,_ZN7rocprim17ROCPRIM_400000_NS6detail17trampoline_kernelINS0_14default_configENS1_38merge_sort_block_merge_config_selectorIttEEZZNS1_27merge_sort_block_merge_implIS3_N6thrust23THRUST_200600_302600_NS6detail15normal_iteratorINS8_10device_ptrItEEEESD_jNS1_19radix_merge_compareILb0ELb0EtNS0_19identity_decomposerEEEEE10hipError_tT0_T1_T2_jT3_P12ihipStream_tbPNSt15iterator_traitsISI_E10value_typeEPNSO_ISJ_E10value_typeEPSK_NS1_7vsmem_tEENKUlT_SI_SJ_SK_E_clIPtSD_S10_SD_EESH_SX_SI_SJ_SK_EUlSX_E_NS1_11comp_targetILNS1_3genE10ELNS1_11target_archE1201ELNS1_3gpuE5ELNS1_3repE0EEENS1_48merge_mergepath_partition_config_static_selectorELNS0_4arch9wavefront6targetE1EEEvSJ_,comdat
.Lfunc_end843:
	.size	_ZN7rocprim17ROCPRIM_400000_NS6detail17trampoline_kernelINS0_14default_configENS1_38merge_sort_block_merge_config_selectorIttEEZZNS1_27merge_sort_block_merge_implIS3_N6thrust23THRUST_200600_302600_NS6detail15normal_iteratorINS8_10device_ptrItEEEESD_jNS1_19radix_merge_compareILb0ELb0EtNS0_19identity_decomposerEEEEE10hipError_tT0_T1_T2_jT3_P12ihipStream_tbPNSt15iterator_traitsISI_E10value_typeEPNSO_ISJ_E10value_typeEPSK_NS1_7vsmem_tEENKUlT_SI_SJ_SK_E_clIPtSD_S10_SD_EESH_SX_SI_SJ_SK_EUlSX_E_NS1_11comp_targetILNS1_3genE10ELNS1_11target_archE1201ELNS1_3gpuE5ELNS1_3repE0EEENS1_48merge_mergepath_partition_config_static_selectorELNS0_4arch9wavefront6targetE1EEEvSJ_, .Lfunc_end843-_ZN7rocprim17ROCPRIM_400000_NS6detail17trampoline_kernelINS0_14default_configENS1_38merge_sort_block_merge_config_selectorIttEEZZNS1_27merge_sort_block_merge_implIS3_N6thrust23THRUST_200600_302600_NS6detail15normal_iteratorINS8_10device_ptrItEEEESD_jNS1_19radix_merge_compareILb0ELb0EtNS0_19identity_decomposerEEEEE10hipError_tT0_T1_T2_jT3_P12ihipStream_tbPNSt15iterator_traitsISI_E10value_typeEPNSO_ISJ_E10value_typeEPSK_NS1_7vsmem_tEENKUlT_SI_SJ_SK_E_clIPtSD_S10_SD_EESH_SX_SI_SJ_SK_EUlSX_E_NS1_11comp_targetILNS1_3genE10ELNS1_11target_archE1201ELNS1_3gpuE5ELNS1_3repE0EEENS1_48merge_mergepath_partition_config_static_selectorELNS0_4arch9wavefront6targetE1EEEvSJ_
                                        ; -- End function
	.set _ZN7rocprim17ROCPRIM_400000_NS6detail17trampoline_kernelINS0_14default_configENS1_38merge_sort_block_merge_config_selectorIttEEZZNS1_27merge_sort_block_merge_implIS3_N6thrust23THRUST_200600_302600_NS6detail15normal_iteratorINS8_10device_ptrItEEEESD_jNS1_19radix_merge_compareILb0ELb0EtNS0_19identity_decomposerEEEEE10hipError_tT0_T1_T2_jT3_P12ihipStream_tbPNSt15iterator_traitsISI_E10value_typeEPNSO_ISJ_E10value_typeEPSK_NS1_7vsmem_tEENKUlT_SI_SJ_SK_E_clIPtSD_S10_SD_EESH_SX_SI_SJ_SK_EUlSX_E_NS1_11comp_targetILNS1_3genE10ELNS1_11target_archE1201ELNS1_3gpuE5ELNS1_3repE0EEENS1_48merge_mergepath_partition_config_static_selectorELNS0_4arch9wavefront6targetE1EEEvSJ_.num_vgpr, 0
	.set _ZN7rocprim17ROCPRIM_400000_NS6detail17trampoline_kernelINS0_14default_configENS1_38merge_sort_block_merge_config_selectorIttEEZZNS1_27merge_sort_block_merge_implIS3_N6thrust23THRUST_200600_302600_NS6detail15normal_iteratorINS8_10device_ptrItEEEESD_jNS1_19radix_merge_compareILb0ELb0EtNS0_19identity_decomposerEEEEE10hipError_tT0_T1_T2_jT3_P12ihipStream_tbPNSt15iterator_traitsISI_E10value_typeEPNSO_ISJ_E10value_typeEPSK_NS1_7vsmem_tEENKUlT_SI_SJ_SK_E_clIPtSD_S10_SD_EESH_SX_SI_SJ_SK_EUlSX_E_NS1_11comp_targetILNS1_3genE10ELNS1_11target_archE1201ELNS1_3gpuE5ELNS1_3repE0EEENS1_48merge_mergepath_partition_config_static_selectorELNS0_4arch9wavefront6targetE1EEEvSJ_.num_agpr, 0
	.set _ZN7rocprim17ROCPRIM_400000_NS6detail17trampoline_kernelINS0_14default_configENS1_38merge_sort_block_merge_config_selectorIttEEZZNS1_27merge_sort_block_merge_implIS3_N6thrust23THRUST_200600_302600_NS6detail15normal_iteratorINS8_10device_ptrItEEEESD_jNS1_19radix_merge_compareILb0ELb0EtNS0_19identity_decomposerEEEEE10hipError_tT0_T1_T2_jT3_P12ihipStream_tbPNSt15iterator_traitsISI_E10value_typeEPNSO_ISJ_E10value_typeEPSK_NS1_7vsmem_tEENKUlT_SI_SJ_SK_E_clIPtSD_S10_SD_EESH_SX_SI_SJ_SK_EUlSX_E_NS1_11comp_targetILNS1_3genE10ELNS1_11target_archE1201ELNS1_3gpuE5ELNS1_3repE0EEENS1_48merge_mergepath_partition_config_static_selectorELNS0_4arch9wavefront6targetE1EEEvSJ_.numbered_sgpr, 0
	.set _ZN7rocprim17ROCPRIM_400000_NS6detail17trampoline_kernelINS0_14default_configENS1_38merge_sort_block_merge_config_selectorIttEEZZNS1_27merge_sort_block_merge_implIS3_N6thrust23THRUST_200600_302600_NS6detail15normal_iteratorINS8_10device_ptrItEEEESD_jNS1_19radix_merge_compareILb0ELb0EtNS0_19identity_decomposerEEEEE10hipError_tT0_T1_T2_jT3_P12ihipStream_tbPNSt15iterator_traitsISI_E10value_typeEPNSO_ISJ_E10value_typeEPSK_NS1_7vsmem_tEENKUlT_SI_SJ_SK_E_clIPtSD_S10_SD_EESH_SX_SI_SJ_SK_EUlSX_E_NS1_11comp_targetILNS1_3genE10ELNS1_11target_archE1201ELNS1_3gpuE5ELNS1_3repE0EEENS1_48merge_mergepath_partition_config_static_selectorELNS0_4arch9wavefront6targetE1EEEvSJ_.num_named_barrier, 0
	.set _ZN7rocprim17ROCPRIM_400000_NS6detail17trampoline_kernelINS0_14default_configENS1_38merge_sort_block_merge_config_selectorIttEEZZNS1_27merge_sort_block_merge_implIS3_N6thrust23THRUST_200600_302600_NS6detail15normal_iteratorINS8_10device_ptrItEEEESD_jNS1_19radix_merge_compareILb0ELb0EtNS0_19identity_decomposerEEEEE10hipError_tT0_T1_T2_jT3_P12ihipStream_tbPNSt15iterator_traitsISI_E10value_typeEPNSO_ISJ_E10value_typeEPSK_NS1_7vsmem_tEENKUlT_SI_SJ_SK_E_clIPtSD_S10_SD_EESH_SX_SI_SJ_SK_EUlSX_E_NS1_11comp_targetILNS1_3genE10ELNS1_11target_archE1201ELNS1_3gpuE5ELNS1_3repE0EEENS1_48merge_mergepath_partition_config_static_selectorELNS0_4arch9wavefront6targetE1EEEvSJ_.private_seg_size, 0
	.set _ZN7rocprim17ROCPRIM_400000_NS6detail17trampoline_kernelINS0_14default_configENS1_38merge_sort_block_merge_config_selectorIttEEZZNS1_27merge_sort_block_merge_implIS3_N6thrust23THRUST_200600_302600_NS6detail15normal_iteratorINS8_10device_ptrItEEEESD_jNS1_19radix_merge_compareILb0ELb0EtNS0_19identity_decomposerEEEEE10hipError_tT0_T1_T2_jT3_P12ihipStream_tbPNSt15iterator_traitsISI_E10value_typeEPNSO_ISJ_E10value_typeEPSK_NS1_7vsmem_tEENKUlT_SI_SJ_SK_E_clIPtSD_S10_SD_EESH_SX_SI_SJ_SK_EUlSX_E_NS1_11comp_targetILNS1_3genE10ELNS1_11target_archE1201ELNS1_3gpuE5ELNS1_3repE0EEENS1_48merge_mergepath_partition_config_static_selectorELNS0_4arch9wavefront6targetE1EEEvSJ_.uses_vcc, 0
	.set _ZN7rocprim17ROCPRIM_400000_NS6detail17trampoline_kernelINS0_14default_configENS1_38merge_sort_block_merge_config_selectorIttEEZZNS1_27merge_sort_block_merge_implIS3_N6thrust23THRUST_200600_302600_NS6detail15normal_iteratorINS8_10device_ptrItEEEESD_jNS1_19radix_merge_compareILb0ELb0EtNS0_19identity_decomposerEEEEE10hipError_tT0_T1_T2_jT3_P12ihipStream_tbPNSt15iterator_traitsISI_E10value_typeEPNSO_ISJ_E10value_typeEPSK_NS1_7vsmem_tEENKUlT_SI_SJ_SK_E_clIPtSD_S10_SD_EESH_SX_SI_SJ_SK_EUlSX_E_NS1_11comp_targetILNS1_3genE10ELNS1_11target_archE1201ELNS1_3gpuE5ELNS1_3repE0EEENS1_48merge_mergepath_partition_config_static_selectorELNS0_4arch9wavefront6targetE1EEEvSJ_.uses_flat_scratch, 0
	.set _ZN7rocprim17ROCPRIM_400000_NS6detail17trampoline_kernelINS0_14default_configENS1_38merge_sort_block_merge_config_selectorIttEEZZNS1_27merge_sort_block_merge_implIS3_N6thrust23THRUST_200600_302600_NS6detail15normal_iteratorINS8_10device_ptrItEEEESD_jNS1_19radix_merge_compareILb0ELb0EtNS0_19identity_decomposerEEEEE10hipError_tT0_T1_T2_jT3_P12ihipStream_tbPNSt15iterator_traitsISI_E10value_typeEPNSO_ISJ_E10value_typeEPSK_NS1_7vsmem_tEENKUlT_SI_SJ_SK_E_clIPtSD_S10_SD_EESH_SX_SI_SJ_SK_EUlSX_E_NS1_11comp_targetILNS1_3genE10ELNS1_11target_archE1201ELNS1_3gpuE5ELNS1_3repE0EEENS1_48merge_mergepath_partition_config_static_selectorELNS0_4arch9wavefront6targetE1EEEvSJ_.has_dyn_sized_stack, 0
	.set _ZN7rocprim17ROCPRIM_400000_NS6detail17trampoline_kernelINS0_14default_configENS1_38merge_sort_block_merge_config_selectorIttEEZZNS1_27merge_sort_block_merge_implIS3_N6thrust23THRUST_200600_302600_NS6detail15normal_iteratorINS8_10device_ptrItEEEESD_jNS1_19radix_merge_compareILb0ELb0EtNS0_19identity_decomposerEEEEE10hipError_tT0_T1_T2_jT3_P12ihipStream_tbPNSt15iterator_traitsISI_E10value_typeEPNSO_ISJ_E10value_typeEPSK_NS1_7vsmem_tEENKUlT_SI_SJ_SK_E_clIPtSD_S10_SD_EESH_SX_SI_SJ_SK_EUlSX_E_NS1_11comp_targetILNS1_3genE10ELNS1_11target_archE1201ELNS1_3gpuE5ELNS1_3repE0EEENS1_48merge_mergepath_partition_config_static_selectorELNS0_4arch9wavefront6targetE1EEEvSJ_.has_recursion, 0
	.set _ZN7rocprim17ROCPRIM_400000_NS6detail17trampoline_kernelINS0_14default_configENS1_38merge_sort_block_merge_config_selectorIttEEZZNS1_27merge_sort_block_merge_implIS3_N6thrust23THRUST_200600_302600_NS6detail15normal_iteratorINS8_10device_ptrItEEEESD_jNS1_19radix_merge_compareILb0ELb0EtNS0_19identity_decomposerEEEEE10hipError_tT0_T1_T2_jT3_P12ihipStream_tbPNSt15iterator_traitsISI_E10value_typeEPNSO_ISJ_E10value_typeEPSK_NS1_7vsmem_tEENKUlT_SI_SJ_SK_E_clIPtSD_S10_SD_EESH_SX_SI_SJ_SK_EUlSX_E_NS1_11comp_targetILNS1_3genE10ELNS1_11target_archE1201ELNS1_3gpuE5ELNS1_3repE0EEENS1_48merge_mergepath_partition_config_static_selectorELNS0_4arch9wavefront6targetE1EEEvSJ_.has_indirect_call, 0
	.section	.AMDGPU.csdata,"",@progbits
; Kernel info:
; codeLenInByte = 0
; TotalNumSgprs: 6
; NumVgprs: 0
; NumAgprs: 0
; TotalNumVgprs: 0
; ScratchSize: 0
; MemoryBound: 0
; FloatMode: 240
; IeeeMode: 1
; LDSByteSize: 0 bytes/workgroup (compile time only)
; SGPRBlocks: 0
; VGPRBlocks: 0
; NumSGPRsForWavesPerEU: 6
; NumVGPRsForWavesPerEU: 1
; AccumOffset: 4
; Occupancy: 8
; WaveLimiterHint : 0
; COMPUTE_PGM_RSRC2:SCRATCH_EN: 0
; COMPUTE_PGM_RSRC2:USER_SGPR: 2
; COMPUTE_PGM_RSRC2:TRAP_HANDLER: 0
; COMPUTE_PGM_RSRC2:TGID_X_EN: 1
; COMPUTE_PGM_RSRC2:TGID_Y_EN: 0
; COMPUTE_PGM_RSRC2:TGID_Z_EN: 0
; COMPUTE_PGM_RSRC2:TIDIG_COMP_CNT: 0
; COMPUTE_PGM_RSRC3_GFX90A:ACCUM_OFFSET: 0
; COMPUTE_PGM_RSRC3_GFX90A:TG_SPLIT: 0
	.section	.text._ZN7rocprim17ROCPRIM_400000_NS6detail17trampoline_kernelINS0_14default_configENS1_38merge_sort_block_merge_config_selectorIttEEZZNS1_27merge_sort_block_merge_implIS3_N6thrust23THRUST_200600_302600_NS6detail15normal_iteratorINS8_10device_ptrItEEEESD_jNS1_19radix_merge_compareILb0ELb0EtNS0_19identity_decomposerEEEEE10hipError_tT0_T1_T2_jT3_P12ihipStream_tbPNSt15iterator_traitsISI_E10value_typeEPNSO_ISJ_E10value_typeEPSK_NS1_7vsmem_tEENKUlT_SI_SJ_SK_E_clIPtSD_S10_SD_EESH_SX_SI_SJ_SK_EUlSX_E_NS1_11comp_targetILNS1_3genE5ELNS1_11target_archE942ELNS1_3gpuE9ELNS1_3repE0EEENS1_48merge_mergepath_partition_config_static_selectorELNS0_4arch9wavefront6targetE1EEEvSJ_,"axG",@progbits,_ZN7rocprim17ROCPRIM_400000_NS6detail17trampoline_kernelINS0_14default_configENS1_38merge_sort_block_merge_config_selectorIttEEZZNS1_27merge_sort_block_merge_implIS3_N6thrust23THRUST_200600_302600_NS6detail15normal_iteratorINS8_10device_ptrItEEEESD_jNS1_19radix_merge_compareILb0ELb0EtNS0_19identity_decomposerEEEEE10hipError_tT0_T1_T2_jT3_P12ihipStream_tbPNSt15iterator_traitsISI_E10value_typeEPNSO_ISJ_E10value_typeEPSK_NS1_7vsmem_tEENKUlT_SI_SJ_SK_E_clIPtSD_S10_SD_EESH_SX_SI_SJ_SK_EUlSX_E_NS1_11comp_targetILNS1_3genE5ELNS1_11target_archE942ELNS1_3gpuE9ELNS1_3repE0EEENS1_48merge_mergepath_partition_config_static_selectorELNS0_4arch9wavefront6targetE1EEEvSJ_,comdat
	.protected	_ZN7rocprim17ROCPRIM_400000_NS6detail17trampoline_kernelINS0_14default_configENS1_38merge_sort_block_merge_config_selectorIttEEZZNS1_27merge_sort_block_merge_implIS3_N6thrust23THRUST_200600_302600_NS6detail15normal_iteratorINS8_10device_ptrItEEEESD_jNS1_19radix_merge_compareILb0ELb0EtNS0_19identity_decomposerEEEEE10hipError_tT0_T1_T2_jT3_P12ihipStream_tbPNSt15iterator_traitsISI_E10value_typeEPNSO_ISJ_E10value_typeEPSK_NS1_7vsmem_tEENKUlT_SI_SJ_SK_E_clIPtSD_S10_SD_EESH_SX_SI_SJ_SK_EUlSX_E_NS1_11comp_targetILNS1_3genE5ELNS1_11target_archE942ELNS1_3gpuE9ELNS1_3repE0EEENS1_48merge_mergepath_partition_config_static_selectorELNS0_4arch9wavefront6targetE1EEEvSJ_ ; -- Begin function _ZN7rocprim17ROCPRIM_400000_NS6detail17trampoline_kernelINS0_14default_configENS1_38merge_sort_block_merge_config_selectorIttEEZZNS1_27merge_sort_block_merge_implIS3_N6thrust23THRUST_200600_302600_NS6detail15normal_iteratorINS8_10device_ptrItEEEESD_jNS1_19radix_merge_compareILb0ELb0EtNS0_19identity_decomposerEEEEE10hipError_tT0_T1_T2_jT3_P12ihipStream_tbPNSt15iterator_traitsISI_E10value_typeEPNSO_ISJ_E10value_typeEPSK_NS1_7vsmem_tEENKUlT_SI_SJ_SK_E_clIPtSD_S10_SD_EESH_SX_SI_SJ_SK_EUlSX_E_NS1_11comp_targetILNS1_3genE5ELNS1_11target_archE942ELNS1_3gpuE9ELNS1_3repE0EEENS1_48merge_mergepath_partition_config_static_selectorELNS0_4arch9wavefront6targetE1EEEvSJ_
	.globl	_ZN7rocprim17ROCPRIM_400000_NS6detail17trampoline_kernelINS0_14default_configENS1_38merge_sort_block_merge_config_selectorIttEEZZNS1_27merge_sort_block_merge_implIS3_N6thrust23THRUST_200600_302600_NS6detail15normal_iteratorINS8_10device_ptrItEEEESD_jNS1_19radix_merge_compareILb0ELb0EtNS0_19identity_decomposerEEEEE10hipError_tT0_T1_T2_jT3_P12ihipStream_tbPNSt15iterator_traitsISI_E10value_typeEPNSO_ISJ_E10value_typeEPSK_NS1_7vsmem_tEENKUlT_SI_SJ_SK_E_clIPtSD_S10_SD_EESH_SX_SI_SJ_SK_EUlSX_E_NS1_11comp_targetILNS1_3genE5ELNS1_11target_archE942ELNS1_3gpuE9ELNS1_3repE0EEENS1_48merge_mergepath_partition_config_static_selectorELNS0_4arch9wavefront6targetE1EEEvSJ_
	.p2align	8
	.type	_ZN7rocprim17ROCPRIM_400000_NS6detail17trampoline_kernelINS0_14default_configENS1_38merge_sort_block_merge_config_selectorIttEEZZNS1_27merge_sort_block_merge_implIS3_N6thrust23THRUST_200600_302600_NS6detail15normal_iteratorINS8_10device_ptrItEEEESD_jNS1_19radix_merge_compareILb0ELb0EtNS0_19identity_decomposerEEEEE10hipError_tT0_T1_T2_jT3_P12ihipStream_tbPNSt15iterator_traitsISI_E10value_typeEPNSO_ISJ_E10value_typeEPSK_NS1_7vsmem_tEENKUlT_SI_SJ_SK_E_clIPtSD_S10_SD_EESH_SX_SI_SJ_SK_EUlSX_E_NS1_11comp_targetILNS1_3genE5ELNS1_11target_archE942ELNS1_3gpuE9ELNS1_3repE0EEENS1_48merge_mergepath_partition_config_static_selectorELNS0_4arch9wavefront6targetE1EEEvSJ_,@function
_ZN7rocprim17ROCPRIM_400000_NS6detail17trampoline_kernelINS0_14default_configENS1_38merge_sort_block_merge_config_selectorIttEEZZNS1_27merge_sort_block_merge_implIS3_N6thrust23THRUST_200600_302600_NS6detail15normal_iteratorINS8_10device_ptrItEEEESD_jNS1_19radix_merge_compareILb0ELb0EtNS0_19identity_decomposerEEEEE10hipError_tT0_T1_T2_jT3_P12ihipStream_tbPNSt15iterator_traitsISI_E10value_typeEPNSO_ISJ_E10value_typeEPSK_NS1_7vsmem_tEENKUlT_SI_SJ_SK_E_clIPtSD_S10_SD_EESH_SX_SI_SJ_SK_EUlSX_E_NS1_11comp_targetILNS1_3genE5ELNS1_11target_archE942ELNS1_3gpuE9ELNS1_3repE0EEENS1_48merge_mergepath_partition_config_static_selectorELNS0_4arch9wavefront6targetE1EEEvSJ_: ; @_ZN7rocprim17ROCPRIM_400000_NS6detail17trampoline_kernelINS0_14default_configENS1_38merge_sort_block_merge_config_selectorIttEEZZNS1_27merge_sort_block_merge_implIS3_N6thrust23THRUST_200600_302600_NS6detail15normal_iteratorINS8_10device_ptrItEEEESD_jNS1_19radix_merge_compareILb0ELb0EtNS0_19identity_decomposerEEEEE10hipError_tT0_T1_T2_jT3_P12ihipStream_tbPNSt15iterator_traitsISI_E10value_typeEPNSO_ISJ_E10value_typeEPSK_NS1_7vsmem_tEENKUlT_SI_SJ_SK_E_clIPtSD_S10_SD_EESH_SX_SI_SJ_SK_EUlSX_E_NS1_11comp_targetILNS1_3genE5ELNS1_11target_archE942ELNS1_3gpuE9ELNS1_3repE0EEENS1_48merge_mergepath_partition_config_static_selectorELNS0_4arch9wavefront6targetE1EEEvSJ_
; %bb.0:
	.section	.rodata,"a",@progbits
	.p2align	6, 0x0
	.amdhsa_kernel _ZN7rocprim17ROCPRIM_400000_NS6detail17trampoline_kernelINS0_14default_configENS1_38merge_sort_block_merge_config_selectorIttEEZZNS1_27merge_sort_block_merge_implIS3_N6thrust23THRUST_200600_302600_NS6detail15normal_iteratorINS8_10device_ptrItEEEESD_jNS1_19radix_merge_compareILb0ELb0EtNS0_19identity_decomposerEEEEE10hipError_tT0_T1_T2_jT3_P12ihipStream_tbPNSt15iterator_traitsISI_E10value_typeEPNSO_ISJ_E10value_typeEPSK_NS1_7vsmem_tEENKUlT_SI_SJ_SK_E_clIPtSD_S10_SD_EESH_SX_SI_SJ_SK_EUlSX_E_NS1_11comp_targetILNS1_3genE5ELNS1_11target_archE942ELNS1_3gpuE9ELNS1_3repE0EEENS1_48merge_mergepath_partition_config_static_selectorELNS0_4arch9wavefront6targetE1EEEvSJ_
		.amdhsa_group_segment_fixed_size 0
		.amdhsa_private_segment_fixed_size 0
		.amdhsa_kernarg_size 40
		.amdhsa_user_sgpr_count 2
		.amdhsa_user_sgpr_dispatch_ptr 0
		.amdhsa_user_sgpr_queue_ptr 0
		.amdhsa_user_sgpr_kernarg_segment_ptr 1
		.amdhsa_user_sgpr_dispatch_id 0
		.amdhsa_user_sgpr_kernarg_preload_length 0
		.amdhsa_user_sgpr_kernarg_preload_offset 0
		.amdhsa_user_sgpr_private_segment_size 0
		.amdhsa_uses_dynamic_stack 0
		.amdhsa_enable_private_segment 0
		.amdhsa_system_sgpr_workgroup_id_x 1
		.amdhsa_system_sgpr_workgroup_id_y 0
		.amdhsa_system_sgpr_workgroup_id_z 0
		.amdhsa_system_sgpr_workgroup_info 0
		.amdhsa_system_vgpr_workitem_id 0
		.amdhsa_next_free_vgpr 1
		.amdhsa_next_free_sgpr 0
		.amdhsa_accum_offset 4
		.amdhsa_reserve_vcc 0
		.amdhsa_float_round_mode_32 0
		.amdhsa_float_round_mode_16_64 0
		.amdhsa_float_denorm_mode_32 3
		.amdhsa_float_denorm_mode_16_64 3
		.amdhsa_dx10_clamp 1
		.amdhsa_ieee_mode 1
		.amdhsa_fp16_overflow 0
		.amdhsa_tg_split 0
		.amdhsa_exception_fp_ieee_invalid_op 0
		.amdhsa_exception_fp_denorm_src 0
		.amdhsa_exception_fp_ieee_div_zero 0
		.amdhsa_exception_fp_ieee_overflow 0
		.amdhsa_exception_fp_ieee_underflow 0
		.amdhsa_exception_fp_ieee_inexact 0
		.amdhsa_exception_int_div_zero 0
	.end_amdhsa_kernel
	.section	.text._ZN7rocprim17ROCPRIM_400000_NS6detail17trampoline_kernelINS0_14default_configENS1_38merge_sort_block_merge_config_selectorIttEEZZNS1_27merge_sort_block_merge_implIS3_N6thrust23THRUST_200600_302600_NS6detail15normal_iteratorINS8_10device_ptrItEEEESD_jNS1_19radix_merge_compareILb0ELb0EtNS0_19identity_decomposerEEEEE10hipError_tT0_T1_T2_jT3_P12ihipStream_tbPNSt15iterator_traitsISI_E10value_typeEPNSO_ISJ_E10value_typeEPSK_NS1_7vsmem_tEENKUlT_SI_SJ_SK_E_clIPtSD_S10_SD_EESH_SX_SI_SJ_SK_EUlSX_E_NS1_11comp_targetILNS1_3genE5ELNS1_11target_archE942ELNS1_3gpuE9ELNS1_3repE0EEENS1_48merge_mergepath_partition_config_static_selectorELNS0_4arch9wavefront6targetE1EEEvSJ_,"axG",@progbits,_ZN7rocprim17ROCPRIM_400000_NS6detail17trampoline_kernelINS0_14default_configENS1_38merge_sort_block_merge_config_selectorIttEEZZNS1_27merge_sort_block_merge_implIS3_N6thrust23THRUST_200600_302600_NS6detail15normal_iteratorINS8_10device_ptrItEEEESD_jNS1_19radix_merge_compareILb0ELb0EtNS0_19identity_decomposerEEEEE10hipError_tT0_T1_T2_jT3_P12ihipStream_tbPNSt15iterator_traitsISI_E10value_typeEPNSO_ISJ_E10value_typeEPSK_NS1_7vsmem_tEENKUlT_SI_SJ_SK_E_clIPtSD_S10_SD_EESH_SX_SI_SJ_SK_EUlSX_E_NS1_11comp_targetILNS1_3genE5ELNS1_11target_archE942ELNS1_3gpuE9ELNS1_3repE0EEENS1_48merge_mergepath_partition_config_static_selectorELNS0_4arch9wavefront6targetE1EEEvSJ_,comdat
.Lfunc_end844:
	.size	_ZN7rocprim17ROCPRIM_400000_NS6detail17trampoline_kernelINS0_14default_configENS1_38merge_sort_block_merge_config_selectorIttEEZZNS1_27merge_sort_block_merge_implIS3_N6thrust23THRUST_200600_302600_NS6detail15normal_iteratorINS8_10device_ptrItEEEESD_jNS1_19radix_merge_compareILb0ELb0EtNS0_19identity_decomposerEEEEE10hipError_tT0_T1_T2_jT3_P12ihipStream_tbPNSt15iterator_traitsISI_E10value_typeEPNSO_ISJ_E10value_typeEPSK_NS1_7vsmem_tEENKUlT_SI_SJ_SK_E_clIPtSD_S10_SD_EESH_SX_SI_SJ_SK_EUlSX_E_NS1_11comp_targetILNS1_3genE5ELNS1_11target_archE942ELNS1_3gpuE9ELNS1_3repE0EEENS1_48merge_mergepath_partition_config_static_selectorELNS0_4arch9wavefront6targetE1EEEvSJ_, .Lfunc_end844-_ZN7rocprim17ROCPRIM_400000_NS6detail17trampoline_kernelINS0_14default_configENS1_38merge_sort_block_merge_config_selectorIttEEZZNS1_27merge_sort_block_merge_implIS3_N6thrust23THRUST_200600_302600_NS6detail15normal_iteratorINS8_10device_ptrItEEEESD_jNS1_19radix_merge_compareILb0ELb0EtNS0_19identity_decomposerEEEEE10hipError_tT0_T1_T2_jT3_P12ihipStream_tbPNSt15iterator_traitsISI_E10value_typeEPNSO_ISJ_E10value_typeEPSK_NS1_7vsmem_tEENKUlT_SI_SJ_SK_E_clIPtSD_S10_SD_EESH_SX_SI_SJ_SK_EUlSX_E_NS1_11comp_targetILNS1_3genE5ELNS1_11target_archE942ELNS1_3gpuE9ELNS1_3repE0EEENS1_48merge_mergepath_partition_config_static_selectorELNS0_4arch9wavefront6targetE1EEEvSJ_
                                        ; -- End function
	.set _ZN7rocprim17ROCPRIM_400000_NS6detail17trampoline_kernelINS0_14default_configENS1_38merge_sort_block_merge_config_selectorIttEEZZNS1_27merge_sort_block_merge_implIS3_N6thrust23THRUST_200600_302600_NS6detail15normal_iteratorINS8_10device_ptrItEEEESD_jNS1_19radix_merge_compareILb0ELb0EtNS0_19identity_decomposerEEEEE10hipError_tT0_T1_T2_jT3_P12ihipStream_tbPNSt15iterator_traitsISI_E10value_typeEPNSO_ISJ_E10value_typeEPSK_NS1_7vsmem_tEENKUlT_SI_SJ_SK_E_clIPtSD_S10_SD_EESH_SX_SI_SJ_SK_EUlSX_E_NS1_11comp_targetILNS1_3genE5ELNS1_11target_archE942ELNS1_3gpuE9ELNS1_3repE0EEENS1_48merge_mergepath_partition_config_static_selectorELNS0_4arch9wavefront6targetE1EEEvSJ_.num_vgpr, 0
	.set _ZN7rocprim17ROCPRIM_400000_NS6detail17trampoline_kernelINS0_14default_configENS1_38merge_sort_block_merge_config_selectorIttEEZZNS1_27merge_sort_block_merge_implIS3_N6thrust23THRUST_200600_302600_NS6detail15normal_iteratorINS8_10device_ptrItEEEESD_jNS1_19radix_merge_compareILb0ELb0EtNS0_19identity_decomposerEEEEE10hipError_tT0_T1_T2_jT3_P12ihipStream_tbPNSt15iterator_traitsISI_E10value_typeEPNSO_ISJ_E10value_typeEPSK_NS1_7vsmem_tEENKUlT_SI_SJ_SK_E_clIPtSD_S10_SD_EESH_SX_SI_SJ_SK_EUlSX_E_NS1_11comp_targetILNS1_3genE5ELNS1_11target_archE942ELNS1_3gpuE9ELNS1_3repE0EEENS1_48merge_mergepath_partition_config_static_selectorELNS0_4arch9wavefront6targetE1EEEvSJ_.num_agpr, 0
	.set _ZN7rocprim17ROCPRIM_400000_NS6detail17trampoline_kernelINS0_14default_configENS1_38merge_sort_block_merge_config_selectorIttEEZZNS1_27merge_sort_block_merge_implIS3_N6thrust23THRUST_200600_302600_NS6detail15normal_iteratorINS8_10device_ptrItEEEESD_jNS1_19radix_merge_compareILb0ELb0EtNS0_19identity_decomposerEEEEE10hipError_tT0_T1_T2_jT3_P12ihipStream_tbPNSt15iterator_traitsISI_E10value_typeEPNSO_ISJ_E10value_typeEPSK_NS1_7vsmem_tEENKUlT_SI_SJ_SK_E_clIPtSD_S10_SD_EESH_SX_SI_SJ_SK_EUlSX_E_NS1_11comp_targetILNS1_3genE5ELNS1_11target_archE942ELNS1_3gpuE9ELNS1_3repE0EEENS1_48merge_mergepath_partition_config_static_selectorELNS0_4arch9wavefront6targetE1EEEvSJ_.numbered_sgpr, 0
	.set _ZN7rocprim17ROCPRIM_400000_NS6detail17trampoline_kernelINS0_14default_configENS1_38merge_sort_block_merge_config_selectorIttEEZZNS1_27merge_sort_block_merge_implIS3_N6thrust23THRUST_200600_302600_NS6detail15normal_iteratorINS8_10device_ptrItEEEESD_jNS1_19radix_merge_compareILb0ELb0EtNS0_19identity_decomposerEEEEE10hipError_tT0_T1_T2_jT3_P12ihipStream_tbPNSt15iterator_traitsISI_E10value_typeEPNSO_ISJ_E10value_typeEPSK_NS1_7vsmem_tEENKUlT_SI_SJ_SK_E_clIPtSD_S10_SD_EESH_SX_SI_SJ_SK_EUlSX_E_NS1_11comp_targetILNS1_3genE5ELNS1_11target_archE942ELNS1_3gpuE9ELNS1_3repE0EEENS1_48merge_mergepath_partition_config_static_selectorELNS0_4arch9wavefront6targetE1EEEvSJ_.num_named_barrier, 0
	.set _ZN7rocprim17ROCPRIM_400000_NS6detail17trampoline_kernelINS0_14default_configENS1_38merge_sort_block_merge_config_selectorIttEEZZNS1_27merge_sort_block_merge_implIS3_N6thrust23THRUST_200600_302600_NS6detail15normal_iteratorINS8_10device_ptrItEEEESD_jNS1_19radix_merge_compareILb0ELb0EtNS0_19identity_decomposerEEEEE10hipError_tT0_T1_T2_jT3_P12ihipStream_tbPNSt15iterator_traitsISI_E10value_typeEPNSO_ISJ_E10value_typeEPSK_NS1_7vsmem_tEENKUlT_SI_SJ_SK_E_clIPtSD_S10_SD_EESH_SX_SI_SJ_SK_EUlSX_E_NS1_11comp_targetILNS1_3genE5ELNS1_11target_archE942ELNS1_3gpuE9ELNS1_3repE0EEENS1_48merge_mergepath_partition_config_static_selectorELNS0_4arch9wavefront6targetE1EEEvSJ_.private_seg_size, 0
	.set _ZN7rocprim17ROCPRIM_400000_NS6detail17trampoline_kernelINS0_14default_configENS1_38merge_sort_block_merge_config_selectorIttEEZZNS1_27merge_sort_block_merge_implIS3_N6thrust23THRUST_200600_302600_NS6detail15normal_iteratorINS8_10device_ptrItEEEESD_jNS1_19radix_merge_compareILb0ELb0EtNS0_19identity_decomposerEEEEE10hipError_tT0_T1_T2_jT3_P12ihipStream_tbPNSt15iterator_traitsISI_E10value_typeEPNSO_ISJ_E10value_typeEPSK_NS1_7vsmem_tEENKUlT_SI_SJ_SK_E_clIPtSD_S10_SD_EESH_SX_SI_SJ_SK_EUlSX_E_NS1_11comp_targetILNS1_3genE5ELNS1_11target_archE942ELNS1_3gpuE9ELNS1_3repE0EEENS1_48merge_mergepath_partition_config_static_selectorELNS0_4arch9wavefront6targetE1EEEvSJ_.uses_vcc, 0
	.set _ZN7rocprim17ROCPRIM_400000_NS6detail17trampoline_kernelINS0_14default_configENS1_38merge_sort_block_merge_config_selectorIttEEZZNS1_27merge_sort_block_merge_implIS3_N6thrust23THRUST_200600_302600_NS6detail15normal_iteratorINS8_10device_ptrItEEEESD_jNS1_19radix_merge_compareILb0ELb0EtNS0_19identity_decomposerEEEEE10hipError_tT0_T1_T2_jT3_P12ihipStream_tbPNSt15iterator_traitsISI_E10value_typeEPNSO_ISJ_E10value_typeEPSK_NS1_7vsmem_tEENKUlT_SI_SJ_SK_E_clIPtSD_S10_SD_EESH_SX_SI_SJ_SK_EUlSX_E_NS1_11comp_targetILNS1_3genE5ELNS1_11target_archE942ELNS1_3gpuE9ELNS1_3repE0EEENS1_48merge_mergepath_partition_config_static_selectorELNS0_4arch9wavefront6targetE1EEEvSJ_.uses_flat_scratch, 0
	.set _ZN7rocprim17ROCPRIM_400000_NS6detail17trampoline_kernelINS0_14default_configENS1_38merge_sort_block_merge_config_selectorIttEEZZNS1_27merge_sort_block_merge_implIS3_N6thrust23THRUST_200600_302600_NS6detail15normal_iteratorINS8_10device_ptrItEEEESD_jNS1_19radix_merge_compareILb0ELb0EtNS0_19identity_decomposerEEEEE10hipError_tT0_T1_T2_jT3_P12ihipStream_tbPNSt15iterator_traitsISI_E10value_typeEPNSO_ISJ_E10value_typeEPSK_NS1_7vsmem_tEENKUlT_SI_SJ_SK_E_clIPtSD_S10_SD_EESH_SX_SI_SJ_SK_EUlSX_E_NS1_11comp_targetILNS1_3genE5ELNS1_11target_archE942ELNS1_3gpuE9ELNS1_3repE0EEENS1_48merge_mergepath_partition_config_static_selectorELNS0_4arch9wavefront6targetE1EEEvSJ_.has_dyn_sized_stack, 0
	.set _ZN7rocprim17ROCPRIM_400000_NS6detail17trampoline_kernelINS0_14default_configENS1_38merge_sort_block_merge_config_selectorIttEEZZNS1_27merge_sort_block_merge_implIS3_N6thrust23THRUST_200600_302600_NS6detail15normal_iteratorINS8_10device_ptrItEEEESD_jNS1_19radix_merge_compareILb0ELb0EtNS0_19identity_decomposerEEEEE10hipError_tT0_T1_T2_jT3_P12ihipStream_tbPNSt15iterator_traitsISI_E10value_typeEPNSO_ISJ_E10value_typeEPSK_NS1_7vsmem_tEENKUlT_SI_SJ_SK_E_clIPtSD_S10_SD_EESH_SX_SI_SJ_SK_EUlSX_E_NS1_11comp_targetILNS1_3genE5ELNS1_11target_archE942ELNS1_3gpuE9ELNS1_3repE0EEENS1_48merge_mergepath_partition_config_static_selectorELNS0_4arch9wavefront6targetE1EEEvSJ_.has_recursion, 0
	.set _ZN7rocprim17ROCPRIM_400000_NS6detail17trampoline_kernelINS0_14default_configENS1_38merge_sort_block_merge_config_selectorIttEEZZNS1_27merge_sort_block_merge_implIS3_N6thrust23THRUST_200600_302600_NS6detail15normal_iteratorINS8_10device_ptrItEEEESD_jNS1_19radix_merge_compareILb0ELb0EtNS0_19identity_decomposerEEEEE10hipError_tT0_T1_T2_jT3_P12ihipStream_tbPNSt15iterator_traitsISI_E10value_typeEPNSO_ISJ_E10value_typeEPSK_NS1_7vsmem_tEENKUlT_SI_SJ_SK_E_clIPtSD_S10_SD_EESH_SX_SI_SJ_SK_EUlSX_E_NS1_11comp_targetILNS1_3genE5ELNS1_11target_archE942ELNS1_3gpuE9ELNS1_3repE0EEENS1_48merge_mergepath_partition_config_static_selectorELNS0_4arch9wavefront6targetE1EEEvSJ_.has_indirect_call, 0
	.section	.AMDGPU.csdata,"",@progbits
; Kernel info:
; codeLenInByte = 0
; TotalNumSgprs: 6
; NumVgprs: 0
; NumAgprs: 0
; TotalNumVgprs: 0
; ScratchSize: 0
; MemoryBound: 0
; FloatMode: 240
; IeeeMode: 1
; LDSByteSize: 0 bytes/workgroup (compile time only)
; SGPRBlocks: 0
; VGPRBlocks: 0
; NumSGPRsForWavesPerEU: 6
; NumVGPRsForWavesPerEU: 1
; AccumOffset: 4
; Occupancy: 8
; WaveLimiterHint : 0
; COMPUTE_PGM_RSRC2:SCRATCH_EN: 0
; COMPUTE_PGM_RSRC2:USER_SGPR: 2
; COMPUTE_PGM_RSRC2:TRAP_HANDLER: 0
; COMPUTE_PGM_RSRC2:TGID_X_EN: 1
; COMPUTE_PGM_RSRC2:TGID_Y_EN: 0
; COMPUTE_PGM_RSRC2:TGID_Z_EN: 0
; COMPUTE_PGM_RSRC2:TIDIG_COMP_CNT: 0
; COMPUTE_PGM_RSRC3_GFX90A:ACCUM_OFFSET: 0
; COMPUTE_PGM_RSRC3_GFX90A:TG_SPLIT: 0
	.section	.text._ZN7rocprim17ROCPRIM_400000_NS6detail17trampoline_kernelINS0_14default_configENS1_38merge_sort_block_merge_config_selectorIttEEZZNS1_27merge_sort_block_merge_implIS3_N6thrust23THRUST_200600_302600_NS6detail15normal_iteratorINS8_10device_ptrItEEEESD_jNS1_19radix_merge_compareILb0ELb0EtNS0_19identity_decomposerEEEEE10hipError_tT0_T1_T2_jT3_P12ihipStream_tbPNSt15iterator_traitsISI_E10value_typeEPNSO_ISJ_E10value_typeEPSK_NS1_7vsmem_tEENKUlT_SI_SJ_SK_E_clIPtSD_S10_SD_EESH_SX_SI_SJ_SK_EUlSX_E_NS1_11comp_targetILNS1_3genE4ELNS1_11target_archE910ELNS1_3gpuE8ELNS1_3repE0EEENS1_48merge_mergepath_partition_config_static_selectorELNS0_4arch9wavefront6targetE1EEEvSJ_,"axG",@progbits,_ZN7rocprim17ROCPRIM_400000_NS6detail17trampoline_kernelINS0_14default_configENS1_38merge_sort_block_merge_config_selectorIttEEZZNS1_27merge_sort_block_merge_implIS3_N6thrust23THRUST_200600_302600_NS6detail15normal_iteratorINS8_10device_ptrItEEEESD_jNS1_19radix_merge_compareILb0ELb0EtNS0_19identity_decomposerEEEEE10hipError_tT0_T1_T2_jT3_P12ihipStream_tbPNSt15iterator_traitsISI_E10value_typeEPNSO_ISJ_E10value_typeEPSK_NS1_7vsmem_tEENKUlT_SI_SJ_SK_E_clIPtSD_S10_SD_EESH_SX_SI_SJ_SK_EUlSX_E_NS1_11comp_targetILNS1_3genE4ELNS1_11target_archE910ELNS1_3gpuE8ELNS1_3repE0EEENS1_48merge_mergepath_partition_config_static_selectorELNS0_4arch9wavefront6targetE1EEEvSJ_,comdat
	.protected	_ZN7rocprim17ROCPRIM_400000_NS6detail17trampoline_kernelINS0_14default_configENS1_38merge_sort_block_merge_config_selectorIttEEZZNS1_27merge_sort_block_merge_implIS3_N6thrust23THRUST_200600_302600_NS6detail15normal_iteratorINS8_10device_ptrItEEEESD_jNS1_19radix_merge_compareILb0ELb0EtNS0_19identity_decomposerEEEEE10hipError_tT0_T1_T2_jT3_P12ihipStream_tbPNSt15iterator_traitsISI_E10value_typeEPNSO_ISJ_E10value_typeEPSK_NS1_7vsmem_tEENKUlT_SI_SJ_SK_E_clIPtSD_S10_SD_EESH_SX_SI_SJ_SK_EUlSX_E_NS1_11comp_targetILNS1_3genE4ELNS1_11target_archE910ELNS1_3gpuE8ELNS1_3repE0EEENS1_48merge_mergepath_partition_config_static_selectorELNS0_4arch9wavefront6targetE1EEEvSJ_ ; -- Begin function _ZN7rocprim17ROCPRIM_400000_NS6detail17trampoline_kernelINS0_14default_configENS1_38merge_sort_block_merge_config_selectorIttEEZZNS1_27merge_sort_block_merge_implIS3_N6thrust23THRUST_200600_302600_NS6detail15normal_iteratorINS8_10device_ptrItEEEESD_jNS1_19radix_merge_compareILb0ELb0EtNS0_19identity_decomposerEEEEE10hipError_tT0_T1_T2_jT3_P12ihipStream_tbPNSt15iterator_traitsISI_E10value_typeEPNSO_ISJ_E10value_typeEPSK_NS1_7vsmem_tEENKUlT_SI_SJ_SK_E_clIPtSD_S10_SD_EESH_SX_SI_SJ_SK_EUlSX_E_NS1_11comp_targetILNS1_3genE4ELNS1_11target_archE910ELNS1_3gpuE8ELNS1_3repE0EEENS1_48merge_mergepath_partition_config_static_selectorELNS0_4arch9wavefront6targetE1EEEvSJ_
	.globl	_ZN7rocprim17ROCPRIM_400000_NS6detail17trampoline_kernelINS0_14default_configENS1_38merge_sort_block_merge_config_selectorIttEEZZNS1_27merge_sort_block_merge_implIS3_N6thrust23THRUST_200600_302600_NS6detail15normal_iteratorINS8_10device_ptrItEEEESD_jNS1_19radix_merge_compareILb0ELb0EtNS0_19identity_decomposerEEEEE10hipError_tT0_T1_T2_jT3_P12ihipStream_tbPNSt15iterator_traitsISI_E10value_typeEPNSO_ISJ_E10value_typeEPSK_NS1_7vsmem_tEENKUlT_SI_SJ_SK_E_clIPtSD_S10_SD_EESH_SX_SI_SJ_SK_EUlSX_E_NS1_11comp_targetILNS1_3genE4ELNS1_11target_archE910ELNS1_3gpuE8ELNS1_3repE0EEENS1_48merge_mergepath_partition_config_static_selectorELNS0_4arch9wavefront6targetE1EEEvSJ_
	.p2align	8
	.type	_ZN7rocprim17ROCPRIM_400000_NS6detail17trampoline_kernelINS0_14default_configENS1_38merge_sort_block_merge_config_selectorIttEEZZNS1_27merge_sort_block_merge_implIS3_N6thrust23THRUST_200600_302600_NS6detail15normal_iteratorINS8_10device_ptrItEEEESD_jNS1_19radix_merge_compareILb0ELb0EtNS0_19identity_decomposerEEEEE10hipError_tT0_T1_T2_jT3_P12ihipStream_tbPNSt15iterator_traitsISI_E10value_typeEPNSO_ISJ_E10value_typeEPSK_NS1_7vsmem_tEENKUlT_SI_SJ_SK_E_clIPtSD_S10_SD_EESH_SX_SI_SJ_SK_EUlSX_E_NS1_11comp_targetILNS1_3genE4ELNS1_11target_archE910ELNS1_3gpuE8ELNS1_3repE0EEENS1_48merge_mergepath_partition_config_static_selectorELNS0_4arch9wavefront6targetE1EEEvSJ_,@function
_ZN7rocprim17ROCPRIM_400000_NS6detail17trampoline_kernelINS0_14default_configENS1_38merge_sort_block_merge_config_selectorIttEEZZNS1_27merge_sort_block_merge_implIS3_N6thrust23THRUST_200600_302600_NS6detail15normal_iteratorINS8_10device_ptrItEEEESD_jNS1_19radix_merge_compareILb0ELb0EtNS0_19identity_decomposerEEEEE10hipError_tT0_T1_T2_jT3_P12ihipStream_tbPNSt15iterator_traitsISI_E10value_typeEPNSO_ISJ_E10value_typeEPSK_NS1_7vsmem_tEENKUlT_SI_SJ_SK_E_clIPtSD_S10_SD_EESH_SX_SI_SJ_SK_EUlSX_E_NS1_11comp_targetILNS1_3genE4ELNS1_11target_archE910ELNS1_3gpuE8ELNS1_3repE0EEENS1_48merge_mergepath_partition_config_static_selectorELNS0_4arch9wavefront6targetE1EEEvSJ_: ; @_ZN7rocprim17ROCPRIM_400000_NS6detail17trampoline_kernelINS0_14default_configENS1_38merge_sort_block_merge_config_selectorIttEEZZNS1_27merge_sort_block_merge_implIS3_N6thrust23THRUST_200600_302600_NS6detail15normal_iteratorINS8_10device_ptrItEEEESD_jNS1_19radix_merge_compareILb0ELb0EtNS0_19identity_decomposerEEEEE10hipError_tT0_T1_T2_jT3_P12ihipStream_tbPNSt15iterator_traitsISI_E10value_typeEPNSO_ISJ_E10value_typeEPSK_NS1_7vsmem_tEENKUlT_SI_SJ_SK_E_clIPtSD_S10_SD_EESH_SX_SI_SJ_SK_EUlSX_E_NS1_11comp_targetILNS1_3genE4ELNS1_11target_archE910ELNS1_3gpuE8ELNS1_3repE0EEENS1_48merge_mergepath_partition_config_static_selectorELNS0_4arch9wavefront6targetE1EEEvSJ_
; %bb.0:
	.section	.rodata,"a",@progbits
	.p2align	6, 0x0
	.amdhsa_kernel _ZN7rocprim17ROCPRIM_400000_NS6detail17trampoline_kernelINS0_14default_configENS1_38merge_sort_block_merge_config_selectorIttEEZZNS1_27merge_sort_block_merge_implIS3_N6thrust23THRUST_200600_302600_NS6detail15normal_iteratorINS8_10device_ptrItEEEESD_jNS1_19radix_merge_compareILb0ELb0EtNS0_19identity_decomposerEEEEE10hipError_tT0_T1_T2_jT3_P12ihipStream_tbPNSt15iterator_traitsISI_E10value_typeEPNSO_ISJ_E10value_typeEPSK_NS1_7vsmem_tEENKUlT_SI_SJ_SK_E_clIPtSD_S10_SD_EESH_SX_SI_SJ_SK_EUlSX_E_NS1_11comp_targetILNS1_3genE4ELNS1_11target_archE910ELNS1_3gpuE8ELNS1_3repE0EEENS1_48merge_mergepath_partition_config_static_selectorELNS0_4arch9wavefront6targetE1EEEvSJ_
		.amdhsa_group_segment_fixed_size 0
		.amdhsa_private_segment_fixed_size 0
		.amdhsa_kernarg_size 40
		.amdhsa_user_sgpr_count 2
		.amdhsa_user_sgpr_dispatch_ptr 0
		.amdhsa_user_sgpr_queue_ptr 0
		.amdhsa_user_sgpr_kernarg_segment_ptr 1
		.amdhsa_user_sgpr_dispatch_id 0
		.amdhsa_user_sgpr_kernarg_preload_length 0
		.amdhsa_user_sgpr_kernarg_preload_offset 0
		.amdhsa_user_sgpr_private_segment_size 0
		.amdhsa_uses_dynamic_stack 0
		.amdhsa_enable_private_segment 0
		.amdhsa_system_sgpr_workgroup_id_x 1
		.amdhsa_system_sgpr_workgroup_id_y 0
		.amdhsa_system_sgpr_workgroup_id_z 0
		.amdhsa_system_sgpr_workgroup_info 0
		.amdhsa_system_vgpr_workitem_id 0
		.amdhsa_next_free_vgpr 1
		.amdhsa_next_free_sgpr 0
		.amdhsa_accum_offset 4
		.amdhsa_reserve_vcc 0
		.amdhsa_float_round_mode_32 0
		.amdhsa_float_round_mode_16_64 0
		.amdhsa_float_denorm_mode_32 3
		.amdhsa_float_denorm_mode_16_64 3
		.amdhsa_dx10_clamp 1
		.amdhsa_ieee_mode 1
		.amdhsa_fp16_overflow 0
		.amdhsa_tg_split 0
		.amdhsa_exception_fp_ieee_invalid_op 0
		.amdhsa_exception_fp_denorm_src 0
		.amdhsa_exception_fp_ieee_div_zero 0
		.amdhsa_exception_fp_ieee_overflow 0
		.amdhsa_exception_fp_ieee_underflow 0
		.amdhsa_exception_fp_ieee_inexact 0
		.amdhsa_exception_int_div_zero 0
	.end_amdhsa_kernel
	.section	.text._ZN7rocprim17ROCPRIM_400000_NS6detail17trampoline_kernelINS0_14default_configENS1_38merge_sort_block_merge_config_selectorIttEEZZNS1_27merge_sort_block_merge_implIS3_N6thrust23THRUST_200600_302600_NS6detail15normal_iteratorINS8_10device_ptrItEEEESD_jNS1_19radix_merge_compareILb0ELb0EtNS0_19identity_decomposerEEEEE10hipError_tT0_T1_T2_jT3_P12ihipStream_tbPNSt15iterator_traitsISI_E10value_typeEPNSO_ISJ_E10value_typeEPSK_NS1_7vsmem_tEENKUlT_SI_SJ_SK_E_clIPtSD_S10_SD_EESH_SX_SI_SJ_SK_EUlSX_E_NS1_11comp_targetILNS1_3genE4ELNS1_11target_archE910ELNS1_3gpuE8ELNS1_3repE0EEENS1_48merge_mergepath_partition_config_static_selectorELNS0_4arch9wavefront6targetE1EEEvSJ_,"axG",@progbits,_ZN7rocprim17ROCPRIM_400000_NS6detail17trampoline_kernelINS0_14default_configENS1_38merge_sort_block_merge_config_selectorIttEEZZNS1_27merge_sort_block_merge_implIS3_N6thrust23THRUST_200600_302600_NS6detail15normal_iteratorINS8_10device_ptrItEEEESD_jNS1_19radix_merge_compareILb0ELb0EtNS0_19identity_decomposerEEEEE10hipError_tT0_T1_T2_jT3_P12ihipStream_tbPNSt15iterator_traitsISI_E10value_typeEPNSO_ISJ_E10value_typeEPSK_NS1_7vsmem_tEENKUlT_SI_SJ_SK_E_clIPtSD_S10_SD_EESH_SX_SI_SJ_SK_EUlSX_E_NS1_11comp_targetILNS1_3genE4ELNS1_11target_archE910ELNS1_3gpuE8ELNS1_3repE0EEENS1_48merge_mergepath_partition_config_static_selectorELNS0_4arch9wavefront6targetE1EEEvSJ_,comdat
.Lfunc_end845:
	.size	_ZN7rocprim17ROCPRIM_400000_NS6detail17trampoline_kernelINS0_14default_configENS1_38merge_sort_block_merge_config_selectorIttEEZZNS1_27merge_sort_block_merge_implIS3_N6thrust23THRUST_200600_302600_NS6detail15normal_iteratorINS8_10device_ptrItEEEESD_jNS1_19radix_merge_compareILb0ELb0EtNS0_19identity_decomposerEEEEE10hipError_tT0_T1_T2_jT3_P12ihipStream_tbPNSt15iterator_traitsISI_E10value_typeEPNSO_ISJ_E10value_typeEPSK_NS1_7vsmem_tEENKUlT_SI_SJ_SK_E_clIPtSD_S10_SD_EESH_SX_SI_SJ_SK_EUlSX_E_NS1_11comp_targetILNS1_3genE4ELNS1_11target_archE910ELNS1_3gpuE8ELNS1_3repE0EEENS1_48merge_mergepath_partition_config_static_selectorELNS0_4arch9wavefront6targetE1EEEvSJ_, .Lfunc_end845-_ZN7rocprim17ROCPRIM_400000_NS6detail17trampoline_kernelINS0_14default_configENS1_38merge_sort_block_merge_config_selectorIttEEZZNS1_27merge_sort_block_merge_implIS3_N6thrust23THRUST_200600_302600_NS6detail15normal_iteratorINS8_10device_ptrItEEEESD_jNS1_19radix_merge_compareILb0ELb0EtNS0_19identity_decomposerEEEEE10hipError_tT0_T1_T2_jT3_P12ihipStream_tbPNSt15iterator_traitsISI_E10value_typeEPNSO_ISJ_E10value_typeEPSK_NS1_7vsmem_tEENKUlT_SI_SJ_SK_E_clIPtSD_S10_SD_EESH_SX_SI_SJ_SK_EUlSX_E_NS1_11comp_targetILNS1_3genE4ELNS1_11target_archE910ELNS1_3gpuE8ELNS1_3repE0EEENS1_48merge_mergepath_partition_config_static_selectorELNS0_4arch9wavefront6targetE1EEEvSJ_
                                        ; -- End function
	.set _ZN7rocprim17ROCPRIM_400000_NS6detail17trampoline_kernelINS0_14default_configENS1_38merge_sort_block_merge_config_selectorIttEEZZNS1_27merge_sort_block_merge_implIS3_N6thrust23THRUST_200600_302600_NS6detail15normal_iteratorINS8_10device_ptrItEEEESD_jNS1_19radix_merge_compareILb0ELb0EtNS0_19identity_decomposerEEEEE10hipError_tT0_T1_T2_jT3_P12ihipStream_tbPNSt15iterator_traitsISI_E10value_typeEPNSO_ISJ_E10value_typeEPSK_NS1_7vsmem_tEENKUlT_SI_SJ_SK_E_clIPtSD_S10_SD_EESH_SX_SI_SJ_SK_EUlSX_E_NS1_11comp_targetILNS1_3genE4ELNS1_11target_archE910ELNS1_3gpuE8ELNS1_3repE0EEENS1_48merge_mergepath_partition_config_static_selectorELNS0_4arch9wavefront6targetE1EEEvSJ_.num_vgpr, 0
	.set _ZN7rocprim17ROCPRIM_400000_NS6detail17trampoline_kernelINS0_14default_configENS1_38merge_sort_block_merge_config_selectorIttEEZZNS1_27merge_sort_block_merge_implIS3_N6thrust23THRUST_200600_302600_NS6detail15normal_iteratorINS8_10device_ptrItEEEESD_jNS1_19radix_merge_compareILb0ELb0EtNS0_19identity_decomposerEEEEE10hipError_tT0_T1_T2_jT3_P12ihipStream_tbPNSt15iterator_traitsISI_E10value_typeEPNSO_ISJ_E10value_typeEPSK_NS1_7vsmem_tEENKUlT_SI_SJ_SK_E_clIPtSD_S10_SD_EESH_SX_SI_SJ_SK_EUlSX_E_NS1_11comp_targetILNS1_3genE4ELNS1_11target_archE910ELNS1_3gpuE8ELNS1_3repE0EEENS1_48merge_mergepath_partition_config_static_selectorELNS0_4arch9wavefront6targetE1EEEvSJ_.num_agpr, 0
	.set _ZN7rocprim17ROCPRIM_400000_NS6detail17trampoline_kernelINS0_14default_configENS1_38merge_sort_block_merge_config_selectorIttEEZZNS1_27merge_sort_block_merge_implIS3_N6thrust23THRUST_200600_302600_NS6detail15normal_iteratorINS8_10device_ptrItEEEESD_jNS1_19radix_merge_compareILb0ELb0EtNS0_19identity_decomposerEEEEE10hipError_tT0_T1_T2_jT3_P12ihipStream_tbPNSt15iterator_traitsISI_E10value_typeEPNSO_ISJ_E10value_typeEPSK_NS1_7vsmem_tEENKUlT_SI_SJ_SK_E_clIPtSD_S10_SD_EESH_SX_SI_SJ_SK_EUlSX_E_NS1_11comp_targetILNS1_3genE4ELNS1_11target_archE910ELNS1_3gpuE8ELNS1_3repE0EEENS1_48merge_mergepath_partition_config_static_selectorELNS0_4arch9wavefront6targetE1EEEvSJ_.numbered_sgpr, 0
	.set _ZN7rocprim17ROCPRIM_400000_NS6detail17trampoline_kernelINS0_14default_configENS1_38merge_sort_block_merge_config_selectorIttEEZZNS1_27merge_sort_block_merge_implIS3_N6thrust23THRUST_200600_302600_NS6detail15normal_iteratorINS8_10device_ptrItEEEESD_jNS1_19radix_merge_compareILb0ELb0EtNS0_19identity_decomposerEEEEE10hipError_tT0_T1_T2_jT3_P12ihipStream_tbPNSt15iterator_traitsISI_E10value_typeEPNSO_ISJ_E10value_typeEPSK_NS1_7vsmem_tEENKUlT_SI_SJ_SK_E_clIPtSD_S10_SD_EESH_SX_SI_SJ_SK_EUlSX_E_NS1_11comp_targetILNS1_3genE4ELNS1_11target_archE910ELNS1_3gpuE8ELNS1_3repE0EEENS1_48merge_mergepath_partition_config_static_selectorELNS0_4arch9wavefront6targetE1EEEvSJ_.num_named_barrier, 0
	.set _ZN7rocprim17ROCPRIM_400000_NS6detail17trampoline_kernelINS0_14default_configENS1_38merge_sort_block_merge_config_selectorIttEEZZNS1_27merge_sort_block_merge_implIS3_N6thrust23THRUST_200600_302600_NS6detail15normal_iteratorINS8_10device_ptrItEEEESD_jNS1_19radix_merge_compareILb0ELb0EtNS0_19identity_decomposerEEEEE10hipError_tT0_T1_T2_jT3_P12ihipStream_tbPNSt15iterator_traitsISI_E10value_typeEPNSO_ISJ_E10value_typeEPSK_NS1_7vsmem_tEENKUlT_SI_SJ_SK_E_clIPtSD_S10_SD_EESH_SX_SI_SJ_SK_EUlSX_E_NS1_11comp_targetILNS1_3genE4ELNS1_11target_archE910ELNS1_3gpuE8ELNS1_3repE0EEENS1_48merge_mergepath_partition_config_static_selectorELNS0_4arch9wavefront6targetE1EEEvSJ_.private_seg_size, 0
	.set _ZN7rocprim17ROCPRIM_400000_NS6detail17trampoline_kernelINS0_14default_configENS1_38merge_sort_block_merge_config_selectorIttEEZZNS1_27merge_sort_block_merge_implIS3_N6thrust23THRUST_200600_302600_NS6detail15normal_iteratorINS8_10device_ptrItEEEESD_jNS1_19radix_merge_compareILb0ELb0EtNS0_19identity_decomposerEEEEE10hipError_tT0_T1_T2_jT3_P12ihipStream_tbPNSt15iterator_traitsISI_E10value_typeEPNSO_ISJ_E10value_typeEPSK_NS1_7vsmem_tEENKUlT_SI_SJ_SK_E_clIPtSD_S10_SD_EESH_SX_SI_SJ_SK_EUlSX_E_NS1_11comp_targetILNS1_3genE4ELNS1_11target_archE910ELNS1_3gpuE8ELNS1_3repE0EEENS1_48merge_mergepath_partition_config_static_selectorELNS0_4arch9wavefront6targetE1EEEvSJ_.uses_vcc, 0
	.set _ZN7rocprim17ROCPRIM_400000_NS6detail17trampoline_kernelINS0_14default_configENS1_38merge_sort_block_merge_config_selectorIttEEZZNS1_27merge_sort_block_merge_implIS3_N6thrust23THRUST_200600_302600_NS6detail15normal_iteratorINS8_10device_ptrItEEEESD_jNS1_19radix_merge_compareILb0ELb0EtNS0_19identity_decomposerEEEEE10hipError_tT0_T1_T2_jT3_P12ihipStream_tbPNSt15iterator_traitsISI_E10value_typeEPNSO_ISJ_E10value_typeEPSK_NS1_7vsmem_tEENKUlT_SI_SJ_SK_E_clIPtSD_S10_SD_EESH_SX_SI_SJ_SK_EUlSX_E_NS1_11comp_targetILNS1_3genE4ELNS1_11target_archE910ELNS1_3gpuE8ELNS1_3repE0EEENS1_48merge_mergepath_partition_config_static_selectorELNS0_4arch9wavefront6targetE1EEEvSJ_.uses_flat_scratch, 0
	.set _ZN7rocprim17ROCPRIM_400000_NS6detail17trampoline_kernelINS0_14default_configENS1_38merge_sort_block_merge_config_selectorIttEEZZNS1_27merge_sort_block_merge_implIS3_N6thrust23THRUST_200600_302600_NS6detail15normal_iteratorINS8_10device_ptrItEEEESD_jNS1_19radix_merge_compareILb0ELb0EtNS0_19identity_decomposerEEEEE10hipError_tT0_T1_T2_jT3_P12ihipStream_tbPNSt15iterator_traitsISI_E10value_typeEPNSO_ISJ_E10value_typeEPSK_NS1_7vsmem_tEENKUlT_SI_SJ_SK_E_clIPtSD_S10_SD_EESH_SX_SI_SJ_SK_EUlSX_E_NS1_11comp_targetILNS1_3genE4ELNS1_11target_archE910ELNS1_3gpuE8ELNS1_3repE0EEENS1_48merge_mergepath_partition_config_static_selectorELNS0_4arch9wavefront6targetE1EEEvSJ_.has_dyn_sized_stack, 0
	.set _ZN7rocprim17ROCPRIM_400000_NS6detail17trampoline_kernelINS0_14default_configENS1_38merge_sort_block_merge_config_selectorIttEEZZNS1_27merge_sort_block_merge_implIS3_N6thrust23THRUST_200600_302600_NS6detail15normal_iteratorINS8_10device_ptrItEEEESD_jNS1_19radix_merge_compareILb0ELb0EtNS0_19identity_decomposerEEEEE10hipError_tT0_T1_T2_jT3_P12ihipStream_tbPNSt15iterator_traitsISI_E10value_typeEPNSO_ISJ_E10value_typeEPSK_NS1_7vsmem_tEENKUlT_SI_SJ_SK_E_clIPtSD_S10_SD_EESH_SX_SI_SJ_SK_EUlSX_E_NS1_11comp_targetILNS1_3genE4ELNS1_11target_archE910ELNS1_3gpuE8ELNS1_3repE0EEENS1_48merge_mergepath_partition_config_static_selectorELNS0_4arch9wavefront6targetE1EEEvSJ_.has_recursion, 0
	.set _ZN7rocprim17ROCPRIM_400000_NS6detail17trampoline_kernelINS0_14default_configENS1_38merge_sort_block_merge_config_selectorIttEEZZNS1_27merge_sort_block_merge_implIS3_N6thrust23THRUST_200600_302600_NS6detail15normal_iteratorINS8_10device_ptrItEEEESD_jNS1_19radix_merge_compareILb0ELb0EtNS0_19identity_decomposerEEEEE10hipError_tT0_T1_T2_jT3_P12ihipStream_tbPNSt15iterator_traitsISI_E10value_typeEPNSO_ISJ_E10value_typeEPSK_NS1_7vsmem_tEENKUlT_SI_SJ_SK_E_clIPtSD_S10_SD_EESH_SX_SI_SJ_SK_EUlSX_E_NS1_11comp_targetILNS1_3genE4ELNS1_11target_archE910ELNS1_3gpuE8ELNS1_3repE0EEENS1_48merge_mergepath_partition_config_static_selectorELNS0_4arch9wavefront6targetE1EEEvSJ_.has_indirect_call, 0
	.section	.AMDGPU.csdata,"",@progbits
; Kernel info:
; codeLenInByte = 0
; TotalNumSgprs: 6
; NumVgprs: 0
; NumAgprs: 0
; TotalNumVgprs: 0
; ScratchSize: 0
; MemoryBound: 0
; FloatMode: 240
; IeeeMode: 1
; LDSByteSize: 0 bytes/workgroup (compile time only)
; SGPRBlocks: 0
; VGPRBlocks: 0
; NumSGPRsForWavesPerEU: 6
; NumVGPRsForWavesPerEU: 1
; AccumOffset: 4
; Occupancy: 8
; WaveLimiterHint : 0
; COMPUTE_PGM_RSRC2:SCRATCH_EN: 0
; COMPUTE_PGM_RSRC2:USER_SGPR: 2
; COMPUTE_PGM_RSRC2:TRAP_HANDLER: 0
; COMPUTE_PGM_RSRC2:TGID_X_EN: 1
; COMPUTE_PGM_RSRC2:TGID_Y_EN: 0
; COMPUTE_PGM_RSRC2:TGID_Z_EN: 0
; COMPUTE_PGM_RSRC2:TIDIG_COMP_CNT: 0
; COMPUTE_PGM_RSRC3_GFX90A:ACCUM_OFFSET: 0
; COMPUTE_PGM_RSRC3_GFX90A:TG_SPLIT: 0
	.section	.text._ZN7rocprim17ROCPRIM_400000_NS6detail17trampoline_kernelINS0_14default_configENS1_38merge_sort_block_merge_config_selectorIttEEZZNS1_27merge_sort_block_merge_implIS3_N6thrust23THRUST_200600_302600_NS6detail15normal_iteratorINS8_10device_ptrItEEEESD_jNS1_19radix_merge_compareILb0ELb0EtNS0_19identity_decomposerEEEEE10hipError_tT0_T1_T2_jT3_P12ihipStream_tbPNSt15iterator_traitsISI_E10value_typeEPNSO_ISJ_E10value_typeEPSK_NS1_7vsmem_tEENKUlT_SI_SJ_SK_E_clIPtSD_S10_SD_EESH_SX_SI_SJ_SK_EUlSX_E_NS1_11comp_targetILNS1_3genE3ELNS1_11target_archE908ELNS1_3gpuE7ELNS1_3repE0EEENS1_48merge_mergepath_partition_config_static_selectorELNS0_4arch9wavefront6targetE1EEEvSJ_,"axG",@progbits,_ZN7rocprim17ROCPRIM_400000_NS6detail17trampoline_kernelINS0_14default_configENS1_38merge_sort_block_merge_config_selectorIttEEZZNS1_27merge_sort_block_merge_implIS3_N6thrust23THRUST_200600_302600_NS6detail15normal_iteratorINS8_10device_ptrItEEEESD_jNS1_19radix_merge_compareILb0ELb0EtNS0_19identity_decomposerEEEEE10hipError_tT0_T1_T2_jT3_P12ihipStream_tbPNSt15iterator_traitsISI_E10value_typeEPNSO_ISJ_E10value_typeEPSK_NS1_7vsmem_tEENKUlT_SI_SJ_SK_E_clIPtSD_S10_SD_EESH_SX_SI_SJ_SK_EUlSX_E_NS1_11comp_targetILNS1_3genE3ELNS1_11target_archE908ELNS1_3gpuE7ELNS1_3repE0EEENS1_48merge_mergepath_partition_config_static_selectorELNS0_4arch9wavefront6targetE1EEEvSJ_,comdat
	.protected	_ZN7rocprim17ROCPRIM_400000_NS6detail17trampoline_kernelINS0_14default_configENS1_38merge_sort_block_merge_config_selectorIttEEZZNS1_27merge_sort_block_merge_implIS3_N6thrust23THRUST_200600_302600_NS6detail15normal_iteratorINS8_10device_ptrItEEEESD_jNS1_19radix_merge_compareILb0ELb0EtNS0_19identity_decomposerEEEEE10hipError_tT0_T1_T2_jT3_P12ihipStream_tbPNSt15iterator_traitsISI_E10value_typeEPNSO_ISJ_E10value_typeEPSK_NS1_7vsmem_tEENKUlT_SI_SJ_SK_E_clIPtSD_S10_SD_EESH_SX_SI_SJ_SK_EUlSX_E_NS1_11comp_targetILNS1_3genE3ELNS1_11target_archE908ELNS1_3gpuE7ELNS1_3repE0EEENS1_48merge_mergepath_partition_config_static_selectorELNS0_4arch9wavefront6targetE1EEEvSJ_ ; -- Begin function _ZN7rocprim17ROCPRIM_400000_NS6detail17trampoline_kernelINS0_14default_configENS1_38merge_sort_block_merge_config_selectorIttEEZZNS1_27merge_sort_block_merge_implIS3_N6thrust23THRUST_200600_302600_NS6detail15normal_iteratorINS8_10device_ptrItEEEESD_jNS1_19radix_merge_compareILb0ELb0EtNS0_19identity_decomposerEEEEE10hipError_tT0_T1_T2_jT3_P12ihipStream_tbPNSt15iterator_traitsISI_E10value_typeEPNSO_ISJ_E10value_typeEPSK_NS1_7vsmem_tEENKUlT_SI_SJ_SK_E_clIPtSD_S10_SD_EESH_SX_SI_SJ_SK_EUlSX_E_NS1_11comp_targetILNS1_3genE3ELNS1_11target_archE908ELNS1_3gpuE7ELNS1_3repE0EEENS1_48merge_mergepath_partition_config_static_selectorELNS0_4arch9wavefront6targetE1EEEvSJ_
	.globl	_ZN7rocprim17ROCPRIM_400000_NS6detail17trampoline_kernelINS0_14default_configENS1_38merge_sort_block_merge_config_selectorIttEEZZNS1_27merge_sort_block_merge_implIS3_N6thrust23THRUST_200600_302600_NS6detail15normal_iteratorINS8_10device_ptrItEEEESD_jNS1_19radix_merge_compareILb0ELb0EtNS0_19identity_decomposerEEEEE10hipError_tT0_T1_T2_jT3_P12ihipStream_tbPNSt15iterator_traitsISI_E10value_typeEPNSO_ISJ_E10value_typeEPSK_NS1_7vsmem_tEENKUlT_SI_SJ_SK_E_clIPtSD_S10_SD_EESH_SX_SI_SJ_SK_EUlSX_E_NS1_11comp_targetILNS1_3genE3ELNS1_11target_archE908ELNS1_3gpuE7ELNS1_3repE0EEENS1_48merge_mergepath_partition_config_static_selectorELNS0_4arch9wavefront6targetE1EEEvSJ_
	.p2align	8
	.type	_ZN7rocprim17ROCPRIM_400000_NS6detail17trampoline_kernelINS0_14default_configENS1_38merge_sort_block_merge_config_selectorIttEEZZNS1_27merge_sort_block_merge_implIS3_N6thrust23THRUST_200600_302600_NS6detail15normal_iteratorINS8_10device_ptrItEEEESD_jNS1_19radix_merge_compareILb0ELb0EtNS0_19identity_decomposerEEEEE10hipError_tT0_T1_T2_jT3_P12ihipStream_tbPNSt15iterator_traitsISI_E10value_typeEPNSO_ISJ_E10value_typeEPSK_NS1_7vsmem_tEENKUlT_SI_SJ_SK_E_clIPtSD_S10_SD_EESH_SX_SI_SJ_SK_EUlSX_E_NS1_11comp_targetILNS1_3genE3ELNS1_11target_archE908ELNS1_3gpuE7ELNS1_3repE0EEENS1_48merge_mergepath_partition_config_static_selectorELNS0_4arch9wavefront6targetE1EEEvSJ_,@function
_ZN7rocprim17ROCPRIM_400000_NS6detail17trampoline_kernelINS0_14default_configENS1_38merge_sort_block_merge_config_selectorIttEEZZNS1_27merge_sort_block_merge_implIS3_N6thrust23THRUST_200600_302600_NS6detail15normal_iteratorINS8_10device_ptrItEEEESD_jNS1_19radix_merge_compareILb0ELb0EtNS0_19identity_decomposerEEEEE10hipError_tT0_T1_T2_jT3_P12ihipStream_tbPNSt15iterator_traitsISI_E10value_typeEPNSO_ISJ_E10value_typeEPSK_NS1_7vsmem_tEENKUlT_SI_SJ_SK_E_clIPtSD_S10_SD_EESH_SX_SI_SJ_SK_EUlSX_E_NS1_11comp_targetILNS1_3genE3ELNS1_11target_archE908ELNS1_3gpuE7ELNS1_3repE0EEENS1_48merge_mergepath_partition_config_static_selectorELNS0_4arch9wavefront6targetE1EEEvSJ_: ; @_ZN7rocprim17ROCPRIM_400000_NS6detail17trampoline_kernelINS0_14default_configENS1_38merge_sort_block_merge_config_selectorIttEEZZNS1_27merge_sort_block_merge_implIS3_N6thrust23THRUST_200600_302600_NS6detail15normal_iteratorINS8_10device_ptrItEEEESD_jNS1_19radix_merge_compareILb0ELb0EtNS0_19identity_decomposerEEEEE10hipError_tT0_T1_T2_jT3_P12ihipStream_tbPNSt15iterator_traitsISI_E10value_typeEPNSO_ISJ_E10value_typeEPSK_NS1_7vsmem_tEENKUlT_SI_SJ_SK_E_clIPtSD_S10_SD_EESH_SX_SI_SJ_SK_EUlSX_E_NS1_11comp_targetILNS1_3genE3ELNS1_11target_archE908ELNS1_3gpuE7ELNS1_3repE0EEENS1_48merge_mergepath_partition_config_static_selectorELNS0_4arch9wavefront6targetE1EEEvSJ_
; %bb.0:
	.section	.rodata,"a",@progbits
	.p2align	6, 0x0
	.amdhsa_kernel _ZN7rocprim17ROCPRIM_400000_NS6detail17trampoline_kernelINS0_14default_configENS1_38merge_sort_block_merge_config_selectorIttEEZZNS1_27merge_sort_block_merge_implIS3_N6thrust23THRUST_200600_302600_NS6detail15normal_iteratorINS8_10device_ptrItEEEESD_jNS1_19radix_merge_compareILb0ELb0EtNS0_19identity_decomposerEEEEE10hipError_tT0_T1_T2_jT3_P12ihipStream_tbPNSt15iterator_traitsISI_E10value_typeEPNSO_ISJ_E10value_typeEPSK_NS1_7vsmem_tEENKUlT_SI_SJ_SK_E_clIPtSD_S10_SD_EESH_SX_SI_SJ_SK_EUlSX_E_NS1_11comp_targetILNS1_3genE3ELNS1_11target_archE908ELNS1_3gpuE7ELNS1_3repE0EEENS1_48merge_mergepath_partition_config_static_selectorELNS0_4arch9wavefront6targetE1EEEvSJ_
		.amdhsa_group_segment_fixed_size 0
		.amdhsa_private_segment_fixed_size 0
		.amdhsa_kernarg_size 40
		.amdhsa_user_sgpr_count 2
		.amdhsa_user_sgpr_dispatch_ptr 0
		.amdhsa_user_sgpr_queue_ptr 0
		.amdhsa_user_sgpr_kernarg_segment_ptr 1
		.amdhsa_user_sgpr_dispatch_id 0
		.amdhsa_user_sgpr_kernarg_preload_length 0
		.amdhsa_user_sgpr_kernarg_preload_offset 0
		.amdhsa_user_sgpr_private_segment_size 0
		.amdhsa_uses_dynamic_stack 0
		.amdhsa_enable_private_segment 0
		.amdhsa_system_sgpr_workgroup_id_x 1
		.amdhsa_system_sgpr_workgroup_id_y 0
		.amdhsa_system_sgpr_workgroup_id_z 0
		.amdhsa_system_sgpr_workgroup_info 0
		.amdhsa_system_vgpr_workitem_id 0
		.amdhsa_next_free_vgpr 1
		.amdhsa_next_free_sgpr 0
		.amdhsa_accum_offset 4
		.amdhsa_reserve_vcc 0
		.amdhsa_float_round_mode_32 0
		.amdhsa_float_round_mode_16_64 0
		.amdhsa_float_denorm_mode_32 3
		.amdhsa_float_denorm_mode_16_64 3
		.amdhsa_dx10_clamp 1
		.amdhsa_ieee_mode 1
		.amdhsa_fp16_overflow 0
		.amdhsa_tg_split 0
		.amdhsa_exception_fp_ieee_invalid_op 0
		.amdhsa_exception_fp_denorm_src 0
		.amdhsa_exception_fp_ieee_div_zero 0
		.amdhsa_exception_fp_ieee_overflow 0
		.amdhsa_exception_fp_ieee_underflow 0
		.amdhsa_exception_fp_ieee_inexact 0
		.amdhsa_exception_int_div_zero 0
	.end_amdhsa_kernel
	.section	.text._ZN7rocprim17ROCPRIM_400000_NS6detail17trampoline_kernelINS0_14default_configENS1_38merge_sort_block_merge_config_selectorIttEEZZNS1_27merge_sort_block_merge_implIS3_N6thrust23THRUST_200600_302600_NS6detail15normal_iteratorINS8_10device_ptrItEEEESD_jNS1_19radix_merge_compareILb0ELb0EtNS0_19identity_decomposerEEEEE10hipError_tT0_T1_T2_jT3_P12ihipStream_tbPNSt15iterator_traitsISI_E10value_typeEPNSO_ISJ_E10value_typeEPSK_NS1_7vsmem_tEENKUlT_SI_SJ_SK_E_clIPtSD_S10_SD_EESH_SX_SI_SJ_SK_EUlSX_E_NS1_11comp_targetILNS1_3genE3ELNS1_11target_archE908ELNS1_3gpuE7ELNS1_3repE0EEENS1_48merge_mergepath_partition_config_static_selectorELNS0_4arch9wavefront6targetE1EEEvSJ_,"axG",@progbits,_ZN7rocprim17ROCPRIM_400000_NS6detail17trampoline_kernelINS0_14default_configENS1_38merge_sort_block_merge_config_selectorIttEEZZNS1_27merge_sort_block_merge_implIS3_N6thrust23THRUST_200600_302600_NS6detail15normal_iteratorINS8_10device_ptrItEEEESD_jNS1_19radix_merge_compareILb0ELb0EtNS0_19identity_decomposerEEEEE10hipError_tT0_T1_T2_jT3_P12ihipStream_tbPNSt15iterator_traitsISI_E10value_typeEPNSO_ISJ_E10value_typeEPSK_NS1_7vsmem_tEENKUlT_SI_SJ_SK_E_clIPtSD_S10_SD_EESH_SX_SI_SJ_SK_EUlSX_E_NS1_11comp_targetILNS1_3genE3ELNS1_11target_archE908ELNS1_3gpuE7ELNS1_3repE0EEENS1_48merge_mergepath_partition_config_static_selectorELNS0_4arch9wavefront6targetE1EEEvSJ_,comdat
.Lfunc_end846:
	.size	_ZN7rocprim17ROCPRIM_400000_NS6detail17trampoline_kernelINS0_14default_configENS1_38merge_sort_block_merge_config_selectorIttEEZZNS1_27merge_sort_block_merge_implIS3_N6thrust23THRUST_200600_302600_NS6detail15normal_iteratorINS8_10device_ptrItEEEESD_jNS1_19radix_merge_compareILb0ELb0EtNS0_19identity_decomposerEEEEE10hipError_tT0_T1_T2_jT3_P12ihipStream_tbPNSt15iterator_traitsISI_E10value_typeEPNSO_ISJ_E10value_typeEPSK_NS1_7vsmem_tEENKUlT_SI_SJ_SK_E_clIPtSD_S10_SD_EESH_SX_SI_SJ_SK_EUlSX_E_NS1_11comp_targetILNS1_3genE3ELNS1_11target_archE908ELNS1_3gpuE7ELNS1_3repE0EEENS1_48merge_mergepath_partition_config_static_selectorELNS0_4arch9wavefront6targetE1EEEvSJ_, .Lfunc_end846-_ZN7rocprim17ROCPRIM_400000_NS6detail17trampoline_kernelINS0_14default_configENS1_38merge_sort_block_merge_config_selectorIttEEZZNS1_27merge_sort_block_merge_implIS3_N6thrust23THRUST_200600_302600_NS6detail15normal_iteratorINS8_10device_ptrItEEEESD_jNS1_19radix_merge_compareILb0ELb0EtNS0_19identity_decomposerEEEEE10hipError_tT0_T1_T2_jT3_P12ihipStream_tbPNSt15iterator_traitsISI_E10value_typeEPNSO_ISJ_E10value_typeEPSK_NS1_7vsmem_tEENKUlT_SI_SJ_SK_E_clIPtSD_S10_SD_EESH_SX_SI_SJ_SK_EUlSX_E_NS1_11comp_targetILNS1_3genE3ELNS1_11target_archE908ELNS1_3gpuE7ELNS1_3repE0EEENS1_48merge_mergepath_partition_config_static_selectorELNS0_4arch9wavefront6targetE1EEEvSJ_
                                        ; -- End function
	.set _ZN7rocprim17ROCPRIM_400000_NS6detail17trampoline_kernelINS0_14default_configENS1_38merge_sort_block_merge_config_selectorIttEEZZNS1_27merge_sort_block_merge_implIS3_N6thrust23THRUST_200600_302600_NS6detail15normal_iteratorINS8_10device_ptrItEEEESD_jNS1_19radix_merge_compareILb0ELb0EtNS0_19identity_decomposerEEEEE10hipError_tT0_T1_T2_jT3_P12ihipStream_tbPNSt15iterator_traitsISI_E10value_typeEPNSO_ISJ_E10value_typeEPSK_NS1_7vsmem_tEENKUlT_SI_SJ_SK_E_clIPtSD_S10_SD_EESH_SX_SI_SJ_SK_EUlSX_E_NS1_11comp_targetILNS1_3genE3ELNS1_11target_archE908ELNS1_3gpuE7ELNS1_3repE0EEENS1_48merge_mergepath_partition_config_static_selectorELNS0_4arch9wavefront6targetE1EEEvSJ_.num_vgpr, 0
	.set _ZN7rocprim17ROCPRIM_400000_NS6detail17trampoline_kernelINS0_14default_configENS1_38merge_sort_block_merge_config_selectorIttEEZZNS1_27merge_sort_block_merge_implIS3_N6thrust23THRUST_200600_302600_NS6detail15normal_iteratorINS8_10device_ptrItEEEESD_jNS1_19radix_merge_compareILb0ELb0EtNS0_19identity_decomposerEEEEE10hipError_tT0_T1_T2_jT3_P12ihipStream_tbPNSt15iterator_traitsISI_E10value_typeEPNSO_ISJ_E10value_typeEPSK_NS1_7vsmem_tEENKUlT_SI_SJ_SK_E_clIPtSD_S10_SD_EESH_SX_SI_SJ_SK_EUlSX_E_NS1_11comp_targetILNS1_3genE3ELNS1_11target_archE908ELNS1_3gpuE7ELNS1_3repE0EEENS1_48merge_mergepath_partition_config_static_selectorELNS0_4arch9wavefront6targetE1EEEvSJ_.num_agpr, 0
	.set _ZN7rocprim17ROCPRIM_400000_NS6detail17trampoline_kernelINS0_14default_configENS1_38merge_sort_block_merge_config_selectorIttEEZZNS1_27merge_sort_block_merge_implIS3_N6thrust23THRUST_200600_302600_NS6detail15normal_iteratorINS8_10device_ptrItEEEESD_jNS1_19radix_merge_compareILb0ELb0EtNS0_19identity_decomposerEEEEE10hipError_tT0_T1_T2_jT3_P12ihipStream_tbPNSt15iterator_traitsISI_E10value_typeEPNSO_ISJ_E10value_typeEPSK_NS1_7vsmem_tEENKUlT_SI_SJ_SK_E_clIPtSD_S10_SD_EESH_SX_SI_SJ_SK_EUlSX_E_NS1_11comp_targetILNS1_3genE3ELNS1_11target_archE908ELNS1_3gpuE7ELNS1_3repE0EEENS1_48merge_mergepath_partition_config_static_selectorELNS0_4arch9wavefront6targetE1EEEvSJ_.numbered_sgpr, 0
	.set _ZN7rocprim17ROCPRIM_400000_NS6detail17trampoline_kernelINS0_14default_configENS1_38merge_sort_block_merge_config_selectorIttEEZZNS1_27merge_sort_block_merge_implIS3_N6thrust23THRUST_200600_302600_NS6detail15normal_iteratorINS8_10device_ptrItEEEESD_jNS1_19radix_merge_compareILb0ELb0EtNS0_19identity_decomposerEEEEE10hipError_tT0_T1_T2_jT3_P12ihipStream_tbPNSt15iterator_traitsISI_E10value_typeEPNSO_ISJ_E10value_typeEPSK_NS1_7vsmem_tEENKUlT_SI_SJ_SK_E_clIPtSD_S10_SD_EESH_SX_SI_SJ_SK_EUlSX_E_NS1_11comp_targetILNS1_3genE3ELNS1_11target_archE908ELNS1_3gpuE7ELNS1_3repE0EEENS1_48merge_mergepath_partition_config_static_selectorELNS0_4arch9wavefront6targetE1EEEvSJ_.num_named_barrier, 0
	.set _ZN7rocprim17ROCPRIM_400000_NS6detail17trampoline_kernelINS0_14default_configENS1_38merge_sort_block_merge_config_selectorIttEEZZNS1_27merge_sort_block_merge_implIS3_N6thrust23THRUST_200600_302600_NS6detail15normal_iteratorINS8_10device_ptrItEEEESD_jNS1_19radix_merge_compareILb0ELb0EtNS0_19identity_decomposerEEEEE10hipError_tT0_T1_T2_jT3_P12ihipStream_tbPNSt15iterator_traitsISI_E10value_typeEPNSO_ISJ_E10value_typeEPSK_NS1_7vsmem_tEENKUlT_SI_SJ_SK_E_clIPtSD_S10_SD_EESH_SX_SI_SJ_SK_EUlSX_E_NS1_11comp_targetILNS1_3genE3ELNS1_11target_archE908ELNS1_3gpuE7ELNS1_3repE0EEENS1_48merge_mergepath_partition_config_static_selectorELNS0_4arch9wavefront6targetE1EEEvSJ_.private_seg_size, 0
	.set _ZN7rocprim17ROCPRIM_400000_NS6detail17trampoline_kernelINS0_14default_configENS1_38merge_sort_block_merge_config_selectorIttEEZZNS1_27merge_sort_block_merge_implIS3_N6thrust23THRUST_200600_302600_NS6detail15normal_iteratorINS8_10device_ptrItEEEESD_jNS1_19radix_merge_compareILb0ELb0EtNS0_19identity_decomposerEEEEE10hipError_tT0_T1_T2_jT3_P12ihipStream_tbPNSt15iterator_traitsISI_E10value_typeEPNSO_ISJ_E10value_typeEPSK_NS1_7vsmem_tEENKUlT_SI_SJ_SK_E_clIPtSD_S10_SD_EESH_SX_SI_SJ_SK_EUlSX_E_NS1_11comp_targetILNS1_3genE3ELNS1_11target_archE908ELNS1_3gpuE7ELNS1_3repE0EEENS1_48merge_mergepath_partition_config_static_selectorELNS0_4arch9wavefront6targetE1EEEvSJ_.uses_vcc, 0
	.set _ZN7rocprim17ROCPRIM_400000_NS6detail17trampoline_kernelINS0_14default_configENS1_38merge_sort_block_merge_config_selectorIttEEZZNS1_27merge_sort_block_merge_implIS3_N6thrust23THRUST_200600_302600_NS6detail15normal_iteratorINS8_10device_ptrItEEEESD_jNS1_19radix_merge_compareILb0ELb0EtNS0_19identity_decomposerEEEEE10hipError_tT0_T1_T2_jT3_P12ihipStream_tbPNSt15iterator_traitsISI_E10value_typeEPNSO_ISJ_E10value_typeEPSK_NS1_7vsmem_tEENKUlT_SI_SJ_SK_E_clIPtSD_S10_SD_EESH_SX_SI_SJ_SK_EUlSX_E_NS1_11comp_targetILNS1_3genE3ELNS1_11target_archE908ELNS1_3gpuE7ELNS1_3repE0EEENS1_48merge_mergepath_partition_config_static_selectorELNS0_4arch9wavefront6targetE1EEEvSJ_.uses_flat_scratch, 0
	.set _ZN7rocprim17ROCPRIM_400000_NS6detail17trampoline_kernelINS0_14default_configENS1_38merge_sort_block_merge_config_selectorIttEEZZNS1_27merge_sort_block_merge_implIS3_N6thrust23THRUST_200600_302600_NS6detail15normal_iteratorINS8_10device_ptrItEEEESD_jNS1_19radix_merge_compareILb0ELb0EtNS0_19identity_decomposerEEEEE10hipError_tT0_T1_T2_jT3_P12ihipStream_tbPNSt15iterator_traitsISI_E10value_typeEPNSO_ISJ_E10value_typeEPSK_NS1_7vsmem_tEENKUlT_SI_SJ_SK_E_clIPtSD_S10_SD_EESH_SX_SI_SJ_SK_EUlSX_E_NS1_11comp_targetILNS1_3genE3ELNS1_11target_archE908ELNS1_3gpuE7ELNS1_3repE0EEENS1_48merge_mergepath_partition_config_static_selectorELNS0_4arch9wavefront6targetE1EEEvSJ_.has_dyn_sized_stack, 0
	.set _ZN7rocprim17ROCPRIM_400000_NS6detail17trampoline_kernelINS0_14default_configENS1_38merge_sort_block_merge_config_selectorIttEEZZNS1_27merge_sort_block_merge_implIS3_N6thrust23THRUST_200600_302600_NS6detail15normal_iteratorINS8_10device_ptrItEEEESD_jNS1_19radix_merge_compareILb0ELb0EtNS0_19identity_decomposerEEEEE10hipError_tT0_T1_T2_jT3_P12ihipStream_tbPNSt15iterator_traitsISI_E10value_typeEPNSO_ISJ_E10value_typeEPSK_NS1_7vsmem_tEENKUlT_SI_SJ_SK_E_clIPtSD_S10_SD_EESH_SX_SI_SJ_SK_EUlSX_E_NS1_11comp_targetILNS1_3genE3ELNS1_11target_archE908ELNS1_3gpuE7ELNS1_3repE0EEENS1_48merge_mergepath_partition_config_static_selectorELNS0_4arch9wavefront6targetE1EEEvSJ_.has_recursion, 0
	.set _ZN7rocprim17ROCPRIM_400000_NS6detail17trampoline_kernelINS0_14default_configENS1_38merge_sort_block_merge_config_selectorIttEEZZNS1_27merge_sort_block_merge_implIS3_N6thrust23THRUST_200600_302600_NS6detail15normal_iteratorINS8_10device_ptrItEEEESD_jNS1_19radix_merge_compareILb0ELb0EtNS0_19identity_decomposerEEEEE10hipError_tT0_T1_T2_jT3_P12ihipStream_tbPNSt15iterator_traitsISI_E10value_typeEPNSO_ISJ_E10value_typeEPSK_NS1_7vsmem_tEENKUlT_SI_SJ_SK_E_clIPtSD_S10_SD_EESH_SX_SI_SJ_SK_EUlSX_E_NS1_11comp_targetILNS1_3genE3ELNS1_11target_archE908ELNS1_3gpuE7ELNS1_3repE0EEENS1_48merge_mergepath_partition_config_static_selectorELNS0_4arch9wavefront6targetE1EEEvSJ_.has_indirect_call, 0
	.section	.AMDGPU.csdata,"",@progbits
; Kernel info:
; codeLenInByte = 0
; TotalNumSgprs: 6
; NumVgprs: 0
; NumAgprs: 0
; TotalNumVgprs: 0
; ScratchSize: 0
; MemoryBound: 0
; FloatMode: 240
; IeeeMode: 1
; LDSByteSize: 0 bytes/workgroup (compile time only)
; SGPRBlocks: 0
; VGPRBlocks: 0
; NumSGPRsForWavesPerEU: 6
; NumVGPRsForWavesPerEU: 1
; AccumOffset: 4
; Occupancy: 8
; WaveLimiterHint : 0
; COMPUTE_PGM_RSRC2:SCRATCH_EN: 0
; COMPUTE_PGM_RSRC2:USER_SGPR: 2
; COMPUTE_PGM_RSRC2:TRAP_HANDLER: 0
; COMPUTE_PGM_RSRC2:TGID_X_EN: 1
; COMPUTE_PGM_RSRC2:TGID_Y_EN: 0
; COMPUTE_PGM_RSRC2:TGID_Z_EN: 0
; COMPUTE_PGM_RSRC2:TIDIG_COMP_CNT: 0
; COMPUTE_PGM_RSRC3_GFX90A:ACCUM_OFFSET: 0
; COMPUTE_PGM_RSRC3_GFX90A:TG_SPLIT: 0
	.section	.text._ZN7rocprim17ROCPRIM_400000_NS6detail17trampoline_kernelINS0_14default_configENS1_38merge_sort_block_merge_config_selectorIttEEZZNS1_27merge_sort_block_merge_implIS3_N6thrust23THRUST_200600_302600_NS6detail15normal_iteratorINS8_10device_ptrItEEEESD_jNS1_19radix_merge_compareILb0ELb0EtNS0_19identity_decomposerEEEEE10hipError_tT0_T1_T2_jT3_P12ihipStream_tbPNSt15iterator_traitsISI_E10value_typeEPNSO_ISJ_E10value_typeEPSK_NS1_7vsmem_tEENKUlT_SI_SJ_SK_E_clIPtSD_S10_SD_EESH_SX_SI_SJ_SK_EUlSX_E_NS1_11comp_targetILNS1_3genE2ELNS1_11target_archE906ELNS1_3gpuE6ELNS1_3repE0EEENS1_48merge_mergepath_partition_config_static_selectorELNS0_4arch9wavefront6targetE1EEEvSJ_,"axG",@progbits,_ZN7rocprim17ROCPRIM_400000_NS6detail17trampoline_kernelINS0_14default_configENS1_38merge_sort_block_merge_config_selectorIttEEZZNS1_27merge_sort_block_merge_implIS3_N6thrust23THRUST_200600_302600_NS6detail15normal_iteratorINS8_10device_ptrItEEEESD_jNS1_19radix_merge_compareILb0ELb0EtNS0_19identity_decomposerEEEEE10hipError_tT0_T1_T2_jT3_P12ihipStream_tbPNSt15iterator_traitsISI_E10value_typeEPNSO_ISJ_E10value_typeEPSK_NS1_7vsmem_tEENKUlT_SI_SJ_SK_E_clIPtSD_S10_SD_EESH_SX_SI_SJ_SK_EUlSX_E_NS1_11comp_targetILNS1_3genE2ELNS1_11target_archE906ELNS1_3gpuE6ELNS1_3repE0EEENS1_48merge_mergepath_partition_config_static_selectorELNS0_4arch9wavefront6targetE1EEEvSJ_,comdat
	.protected	_ZN7rocprim17ROCPRIM_400000_NS6detail17trampoline_kernelINS0_14default_configENS1_38merge_sort_block_merge_config_selectorIttEEZZNS1_27merge_sort_block_merge_implIS3_N6thrust23THRUST_200600_302600_NS6detail15normal_iteratorINS8_10device_ptrItEEEESD_jNS1_19radix_merge_compareILb0ELb0EtNS0_19identity_decomposerEEEEE10hipError_tT0_T1_T2_jT3_P12ihipStream_tbPNSt15iterator_traitsISI_E10value_typeEPNSO_ISJ_E10value_typeEPSK_NS1_7vsmem_tEENKUlT_SI_SJ_SK_E_clIPtSD_S10_SD_EESH_SX_SI_SJ_SK_EUlSX_E_NS1_11comp_targetILNS1_3genE2ELNS1_11target_archE906ELNS1_3gpuE6ELNS1_3repE0EEENS1_48merge_mergepath_partition_config_static_selectorELNS0_4arch9wavefront6targetE1EEEvSJ_ ; -- Begin function _ZN7rocprim17ROCPRIM_400000_NS6detail17trampoline_kernelINS0_14default_configENS1_38merge_sort_block_merge_config_selectorIttEEZZNS1_27merge_sort_block_merge_implIS3_N6thrust23THRUST_200600_302600_NS6detail15normal_iteratorINS8_10device_ptrItEEEESD_jNS1_19radix_merge_compareILb0ELb0EtNS0_19identity_decomposerEEEEE10hipError_tT0_T1_T2_jT3_P12ihipStream_tbPNSt15iterator_traitsISI_E10value_typeEPNSO_ISJ_E10value_typeEPSK_NS1_7vsmem_tEENKUlT_SI_SJ_SK_E_clIPtSD_S10_SD_EESH_SX_SI_SJ_SK_EUlSX_E_NS1_11comp_targetILNS1_3genE2ELNS1_11target_archE906ELNS1_3gpuE6ELNS1_3repE0EEENS1_48merge_mergepath_partition_config_static_selectorELNS0_4arch9wavefront6targetE1EEEvSJ_
	.globl	_ZN7rocprim17ROCPRIM_400000_NS6detail17trampoline_kernelINS0_14default_configENS1_38merge_sort_block_merge_config_selectorIttEEZZNS1_27merge_sort_block_merge_implIS3_N6thrust23THRUST_200600_302600_NS6detail15normal_iteratorINS8_10device_ptrItEEEESD_jNS1_19radix_merge_compareILb0ELb0EtNS0_19identity_decomposerEEEEE10hipError_tT0_T1_T2_jT3_P12ihipStream_tbPNSt15iterator_traitsISI_E10value_typeEPNSO_ISJ_E10value_typeEPSK_NS1_7vsmem_tEENKUlT_SI_SJ_SK_E_clIPtSD_S10_SD_EESH_SX_SI_SJ_SK_EUlSX_E_NS1_11comp_targetILNS1_3genE2ELNS1_11target_archE906ELNS1_3gpuE6ELNS1_3repE0EEENS1_48merge_mergepath_partition_config_static_selectorELNS0_4arch9wavefront6targetE1EEEvSJ_
	.p2align	8
	.type	_ZN7rocprim17ROCPRIM_400000_NS6detail17trampoline_kernelINS0_14default_configENS1_38merge_sort_block_merge_config_selectorIttEEZZNS1_27merge_sort_block_merge_implIS3_N6thrust23THRUST_200600_302600_NS6detail15normal_iteratorINS8_10device_ptrItEEEESD_jNS1_19radix_merge_compareILb0ELb0EtNS0_19identity_decomposerEEEEE10hipError_tT0_T1_T2_jT3_P12ihipStream_tbPNSt15iterator_traitsISI_E10value_typeEPNSO_ISJ_E10value_typeEPSK_NS1_7vsmem_tEENKUlT_SI_SJ_SK_E_clIPtSD_S10_SD_EESH_SX_SI_SJ_SK_EUlSX_E_NS1_11comp_targetILNS1_3genE2ELNS1_11target_archE906ELNS1_3gpuE6ELNS1_3repE0EEENS1_48merge_mergepath_partition_config_static_selectorELNS0_4arch9wavefront6targetE1EEEvSJ_,@function
_ZN7rocprim17ROCPRIM_400000_NS6detail17trampoline_kernelINS0_14default_configENS1_38merge_sort_block_merge_config_selectorIttEEZZNS1_27merge_sort_block_merge_implIS3_N6thrust23THRUST_200600_302600_NS6detail15normal_iteratorINS8_10device_ptrItEEEESD_jNS1_19radix_merge_compareILb0ELb0EtNS0_19identity_decomposerEEEEE10hipError_tT0_T1_T2_jT3_P12ihipStream_tbPNSt15iterator_traitsISI_E10value_typeEPNSO_ISJ_E10value_typeEPSK_NS1_7vsmem_tEENKUlT_SI_SJ_SK_E_clIPtSD_S10_SD_EESH_SX_SI_SJ_SK_EUlSX_E_NS1_11comp_targetILNS1_3genE2ELNS1_11target_archE906ELNS1_3gpuE6ELNS1_3repE0EEENS1_48merge_mergepath_partition_config_static_selectorELNS0_4arch9wavefront6targetE1EEEvSJ_: ; @_ZN7rocprim17ROCPRIM_400000_NS6detail17trampoline_kernelINS0_14default_configENS1_38merge_sort_block_merge_config_selectorIttEEZZNS1_27merge_sort_block_merge_implIS3_N6thrust23THRUST_200600_302600_NS6detail15normal_iteratorINS8_10device_ptrItEEEESD_jNS1_19radix_merge_compareILb0ELb0EtNS0_19identity_decomposerEEEEE10hipError_tT0_T1_T2_jT3_P12ihipStream_tbPNSt15iterator_traitsISI_E10value_typeEPNSO_ISJ_E10value_typeEPSK_NS1_7vsmem_tEENKUlT_SI_SJ_SK_E_clIPtSD_S10_SD_EESH_SX_SI_SJ_SK_EUlSX_E_NS1_11comp_targetILNS1_3genE2ELNS1_11target_archE906ELNS1_3gpuE6ELNS1_3repE0EEENS1_48merge_mergepath_partition_config_static_selectorELNS0_4arch9wavefront6targetE1EEEvSJ_
; %bb.0:
	.section	.rodata,"a",@progbits
	.p2align	6, 0x0
	.amdhsa_kernel _ZN7rocprim17ROCPRIM_400000_NS6detail17trampoline_kernelINS0_14default_configENS1_38merge_sort_block_merge_config_selectorIttEEZZNS1_27merge_sort_block_merge_implIS3_N6thrust23THRUST_200600_302600_NS6detail15normal_iteratorINS8_10device_ptrItEEEESD_jNS1_19radix_merge_compareILb0ELb0EtNS0_19identity_decomposerEEEEE10hipError_tT0_T1_T2_jT3_P12ihipStream_tbPNSt15iterator_traitsISI_E10value_typeEPNSO_ISJ_E10value_typeEPSK_NS1_7vsmem_tEENKUlT_SI_SJ_SK_E_clIPtSD_S10_SD_EESH_SX_SI_SJ_SK_EUlSX_E_NS1_11comp_targetILNS1_3genE2ELNS1_11target_archE906ELNS1_3gpuE6ELNS1_3repE0EEENS1_48merge_mergepath_partition_config_static_selectorELNS0_4arch9wavefront6targetE1EEEvSJ_
		.amdhsa_group_segment_fixed_size 0
		.amdhsa_private_segment_fixed_size 0
		.amdhsa_kernarg_size 40
		.amdhsa_user_sgpr_count 2
		.amdhsa_user_sgpr_dispatch_ptr 0
		.amdhsa_user_sgpr_queue_ptr 0
		.amdhsa_user_sgpr_kernarg_segment_ptr 1
		.amdhsa_user_sgpr_dispatch_id 0
		.amdhsa_user_sgpr_kernarg_preload_length 0
		.amdhsa_user_sgpr_kernarg_preload_offset 0
		.amdhsa_user_sgpr_private_segment_size 0
		.amdhsa_uses_dynamic_stack 0
		.amdhsa_enable_private_segment 0
		.amdhsa_system_sgpr_workgroup_id_x 1
		.amdhsa_system_sgpr_workgroup_id_y 0
		.amdhsa_system_sgpr_workgroup_id_z 0
		.amdhsa_system_sgpr_workgroup_info 0
		.amdhsa_system_vgpr_workitem_id 0
		.amdhsa_next_free_vgpr 1
		.amdhsa_next_free_sgpr 0
		.amdhsa_accum_offset 4
		.amdhsa_reserve_vcc 0
		.amdhsa_float_round_mode_32 0
		.amdhsa_float_round_mode_16_64 0
		.amdhsa_float_denorm_mode_32 3
		.amdhsa_float_denorm_mode_16_64 3
		.amdhsa_dx10_clamp 1
		.amdhsa_ieee_mode 1
		.amdhsa_fp16_overflow 0
		.amdhsa_tg_split 0
		.amdhsa_exception_fp_ieee_invalid_op 0
		.amdhsa_exception_fp_denorm_src 0
		.amdhsa_exception_fp_ieee_div_zero 0
		.amdhsa_exception_fp_ieee_overflow 0
		.amdhsa_exception_fp_ieee_underflow 0
		.amdhsa_exception_fp_ieee_inexact 0
		.amdhsa_exception_int_div_zero 0
	.end_amdhsa_kernel
	.section	.text._ZN7rocprim17ROCPRIM_400000_NS6detail17trampoline_kernelINS0_14default_configENS1_38merge_sort_block_merge_config_selectorIttEEZZNS1_27merge_sort_block_merge_implIS3_N6thrust23THRUST_200600_302600_NS6detail15normal_iteratorINS8_10device_ptrItEEEESD_jNS1_19radix_merge_compareILb0ELb0EtNS0_19identity_decomposerEEEEE10hipError_tT0_T1_T2_jT3_P12ihipStream_tbPNSt15iterator_traitsISI_E10value_typeEPNSO_ISJ_E10value_typeEPSK_NS1_7vsmem_tEENKUlT_SI_SJ_SK_E_clIPtSD_S10_SD_EESH_SX_SI_SJ_SK_EUlSX_E_NS1_11comp_targetILNS1_3genE2ELNS1_11target_archE906ELNS1_3gpuE6ELNS1_3repE0EEENS1_48merge_mergepath_partition_config_static_selectorELNS0_4arch9wavefront6targetE1EEEvSJ_,"axG",@progbits,_ZN7rocprim17ROCPRIM_400000_NS6detail17trampoline_kernelINS0_14default_configENS1_38merge_sort_block_merge_config_selectorIttEEZZNS1_27merge_sort_block_merge_implIS3_N6thrust23THRUST_200600_302600_NS6detail15normal_iteratorINS8_10device_ptrItEEEESD_jNS1_19radix_merge_compareILb0ELb0EtNS0_19identity_decomposerEEEEE10hipError_tT0_T1_T2_jT3_P12ihipStream_tbPNSt15iterator_traitsISI_E10value_typeEPNSO_ISJ_E10value_typeEPSK_NS1_7vsmem_tEENKUlT_SI_SJ_SK_E_clIPtSD_S10_SD_EESH_SX_SI_SJ_SK_EUlSX_E_NS1_11comp_targetILNS1_3genE2ELNS1_11target_archE906ELNS1_3gpuE6ELNS1_3repE0EEENS1_48merge_mergepath_partition_config_static_selectorELNS0_4arch9wavefront6targetE1EEEvSJ_,comdat
.Lfunc_end847:
	.size	_ZN7rocprim17ROCPRIM_400000_NS6detail17trampoline_kernelINS0_14default_configENS1_38merge_sort_block_merge_config_selectorIttEEZZNS1_27merge_sort_block_merge_implIS3_N6thrust23THRUST_200600_302600_NS6detail15normal_iteratorINS8_10device_ptrItEEEESD_jNS1_19radix_merge_compareILb0ELb0EtNS0_19identity_decomposerEEEEE10hipError_tT0_T1_T2_jT3_P12ihipStream_tbPNSt15iterator_traitsISI_E10value_typeEPNSO_ISJ_E10value_typeEPSK_NS1_7vsmem_tEENKUlT_SI_SJ_SK_E_clIPtSD_S10_SD_EESH_SX_SI_SJ_SK_EUlSX_E_NS1_11comp_targetILNS1_3genE2ELNS1_11target_archE906ELNS1_3gpuE6ELNS1_3repE0EEENS1_48merge_mergepath_partition_config_static_selectorELNS0_4arch9wavefront6targetE1EEEvSJ_, .Lfunc_end847-_ZN7rocprim17ROCPRIM_400000_NS6detail17trampoline_kernelINS0_14default_configENS1_38merge_sort_block_merge_config_selectorIttEEZZNS1_27merge_sort_block_merge_implIS3_N6thrust23THRUST_200600_302600_NS6detail15normal_iteratorINS8_10device_ptrItEEEESD_jNS1_19radix_merge_compareILb0ELb0EtNS0_19identity_decomposerEEEEE10hipError_tT0_T1_T2_jT3_P12ihipStream_tbPNSt15iterator_traitsISI_E10value_typeEPNSO_ISJ_E10value_typeEPSK_NS1_7vsmem_tEENKUlT_SI_SJ_SK_E_clIPtSD_S10_SD_EESH_SX_SI_SJ_SK_EUlSX_E_NS1_11comp_targetILNS1_3genE2ELNS1_11target_archE906ELNS1_3gpuE6ELNS1_3repE0EEENS1_48merge_mergepath_partition_config_static_selectorELNS0_4arch9wavefront6targetE1EEEvSJ_
                                        ; -- End function
	.set _ZN7rocprim17ROCPRIM_400000_NS6detail17trampoline_kernelINS0_14default_configENS1_38merge_sort_block_merge_config_selectorIttEEZZNS1_27merge_sort_block_merge_implIS3_N6thrust23THRUST_200600_302600_NS6detail15normal_iteratorINS8_10device_ptrItEEEESD_jNS1_19radix_merge_compareILb0ELb0EtNS0_19identity_decomposerEEEEE10hipError_tT0_T1_T2_jT3_P12ihipStream_tbPNSt15iterator_traitsISI_E10value_typeEPNSO_ISJ_E10value_typeEPSK_NS1_7vsmem_tEENKUlT_SI_SJ_SK_E_clIPtSD_S10_SD_EESH_SX_SI_SJ_SK_EUlSX_E_NS1_11comp_targetILNS1_3genE2ELNS1_11target_archE906ELNS1_3gpuE6ELNS1_3repE0EEENS1_48merge_mergepath_partition_config_static_selectorELNS0_4arch9wavefront6targetE1EEEvSJ_.num_vgpr, 0
	.set _ZN7rocprim17ROCPRIM_400000_NS6detail17trampoline_kernelINS0_14default_configENS1_38merge_sort_block_merge_config_selectorIttEEZZNS1_27merge_sort_block_merge_implIS3_N6thrust23THRUST_200600_302600_NS6detail15normal_iteratorINS8_10device_ptrItEEEESD_jNS1_19radix_merge_compareILb0ELb0EtNS0_19identity_decomposerEEEEE10hipError_tT0_T1_T2_jT3_P12ihipStream_tbPNSt15iterator_traitsISI_E10value_typeEPNSO_ISJ_E10value_typeEPSK_NS1_7vsmem_tEENKUlT_SI_SJ_SK_E_clIPtSD_S10_SD_EESH_SX_SI_SJ_SK_EUlSX_E_NS1_11comp_targetILNS1_3genE2ELNS1_11target_archE906ELNS1_3gpuE6ELNS1_3repE0EEENS1_48merge_mergepath_partition_config_static_selectorELNS0_4arch9wavefront6targetE1EEEvSJ_.num_agpr, 0
	.set _ZN7rocprim17ROCPRIM_400000_NS6detail17trampoline_kernelINS0_14default_configENS1_38merge_sort_block_merge_config_selectorIttEEZZNS1_27merge_sort_block_merge_implIS3_N6thrust23THRUST_200600_302600_NS6detail15normal_iteratorINS8_10device_ptrItEEEESD_jNS1_19radix_merge_compareILb0ELb0EtNS0_19identity_decomposerEEEEE10hipError_tT0_T1_T2_jT3_P12ihipStream_tbPNSt15iterator_traitsISI_E10value_typeEPNSO_ISJ_E10value_typeEPSK_NS1_7vsmem_tEENKUlT_SI_SJ_SK_E_clIPtSD_S10_SD_EESH_SX_SI_SJ_SK_EUlSX_E_NS1_11comp_targetILNS1_3genE2ELNS1_11target_archE906ELNS1_3gpuE6ELNS1_3repE0EEENS1_48merge_mergepath_partition_config_static_selectorELNS0_4arch9wavefront6targetE1EEEvSJ_.numbered_sgpr, 0
	.set _ZN7rocprim17ROCPRIM_400000_NS6detail17trampoline_kernelINS0_14default_configENS1_38merge_sort_block_merge_config_selectorIttEEZZNS1_27merge_sort_block_merge_implIS3_N6thrust23THRUST_200600_302600_NS6detail15normal_iteratorINS8_10device_ptrItEEEESD_jNS1_19radix_merge_compareILb0ELb0EtNS0_19identity_decomposerEEEEE10hipError_tT0_T1_T2_jT3_P12ihipStream_tbPNSt15iterator_traitsISI_E10value_typeEPNSO_ISJ_E10value_typeEPSK_NS1_7vsmem_tEENKUlT_SI_SJ_SK_E_clIPtSD_S10_SD_EESH_SX_SI_SJ_SK_EUlSX_E_NS1_11comp_targetILNS1_3genE2ELNS1_11target_archE906ELNS1_3gpuE6ELNS1_3repE0EEENS1_48merge_mergepath_partition_config_static_selectorELNS0_4arch9wavefront6targetE1EEEvSJ_.num_named_barrier, 0
	.set _ZN7rocprim17ROCPRIM_400000_NS6detail17trampoline_kernelINS0_14default_configENS1_38merge_sort_block_merge_config_selectorIttEEZZNS1_27merge_sort_block_merge_implIS3_N6thrust23THRUST_200600_302600_NS6detail15normal_iteratorINS8_10device_ptrItEEEESD_jNS1_19radix_merge_compareILb0ELb0EtNS0_19identity_decomposerEEEEE10hipError_tT0_T1_T2_jT3_P12ihipStream_tbPNSt15iterator_traitsISI_E10value_typeEPNSO_ISJ_E10value_typeEPSK_NS1_7vsmem_tEENKUlT_SI_SJ_SK_E_clIPtSD_S10_SD_EESH_SX_SI_SJ_SK_EUlSX_E_NS1_11comp_targetILNS1_3genE2ELNS1_11target_archE906ELNS1_3gpuE6ELNS1_3repE0EEENS1_48merge_mergepath_partition_config_static_selectorELNS0_4arch9wavefront6targetE1EEEvSJ_.private_seg_size, 0
	.set _ZN7rocprim17ROCPRIM_400000_NS6detail17trampoline_kernelINS0_14default_configENS1_38merge_sort_block_merge_config_selectorIttEEZZNS1_27merge_sort_block_merge_implIS3_N6thrust23THRUST_200600_302600_NS6detail15normal_iteratorINS8_10device_ptrItEEEESD_jNS1_19radix_merge_compareILb0ELb0EtNS0_19identity_decomposerEEEEE10hipError_tT0_T1_T2_jT3_P12ihipStream_tbPNSt15iterator_traitsISI_E10value_typeEPNSO_ISJ_E10value_typeEPSK_NS1_7vsmem_tEENKUlT_SI_SJ_SK_E_clIPtSD_S10_SD_EESH_SX_SI_SJ_SK_EUlSX_E_NS1_11comp_targetILNS1_3genE2ELNS1_11target_archE906ELNS1_3gpuE6ELNS1_3repE0EEENS1_48merge_mergepath_partition_config_static_selectorELNS0_4arch9wavefront6targetE1EEEvSJ_.uses_vcc, 0
	.set _ZN7rocprim17ROCPRIM_400000_NS6detail17trampoline_kernelINS0_14default_configENS1_38merge_sort_block_merge_config_selectorIttEEZZNS1_27merge_sort_block_merge_implIS3_N6thrust23THRUST_200600_302600_NS6detail15normal_iteratorINS8_10device_ptrItEEEESD_jNS1_19radix_merge_compareILb0ELb0EtNS0_19identity_decomposerEEEEE10hipError_tT0_T1_T2_jT3_P12ihipStream_tbPNSt15iterator_traitsISI_E10value_typeEPNSO_ISJ_E10value_typeEPSK_NS1_7vsmem_tEENKUlT_SI_SJ_SK_E_clIPtSD_S10_SD_EESH_SX_SI_SJ_SK_EUlSX_E_NS1_11comp_targetILNS1_3genE2ELNS1_11target_archE906ELNS1_3gpuE6ELNS1_3repE0EEENS1_48merge_mergepath_partition_config_static_selectorELNS0_4arch9wavefront6targetE1EEEvSJ_.uses_flat_scratch, 0
	.set _ZN7rocprim17ROCPRIM_400000_NS6detail17trampoline_kernelINS0_14default_configENS1_38merge_sort_block_merge_config_selectorIttEEZZNS1_27merge_sort_block_merge_implIS3_N6thrust23THRUST_200600_302600_NS6detail15normal_iteratorINS8_10device_ptrItEEEESD_jNS1_19radix_merge_compareILb0ELb0EtNS0_19identity_decomposerEEEEE10hipError_tT0_T1_T2_jT3_P12ihipStream_tbPNSt15iterator_traitsISI_E10value_typeEPNSO_ISJ_E10value_typeEPSK_NS1_7vsmem_tEENKUlT_SI_SJ_SK_E_clIPtSD_S10_SD_EESH_SX_SI_SJ_SK_EUlSX_E_NS1_11comp_targetILNS1_3genE2ELNS1_11target_archE906ELNS1_3gpuE6ELNS1_3repE0EEENS1_48merge_mergepath_partition_config_static_selectorELNS0_4arch9wavefront6targetE1EEEvSJ_.has_dyn_sized_stack, 0
	.set _ZN7rocprim17ROCPRIM_400000_NS6detail17trampoline_kernelINS0_14default_configENS1_38merge_sort_block_merge_config_selectorIttEEZZNS1_27merge_sort_block_merge_implIS3_N6thrust23THRUST_200600_302600_NS6detail15normal_iteratorINS8_10device_ptrItEEEESD_jNS1_19radix_merge_compareILb0ELb0EtNS0_19identity_decomposerEEEEE10hipError_tT0_T1_T2_jT3_P12ihipStream_tbPNSt15iterator_traitsISI_E10value_typeEPNSO_ISJ_E10value_typeEPSK_NS1_7vsmem_tEENKUlT_SI_SJ_SK_E_clIPtSD_S10_SD_EESH_SX_SI_SJ_SK_EUlSX_E_NS1_11comp_targetILNS1_3genE2ELNS1_11target_archE906ELNS1_3gpuE6ELNS1_3repE0EEENS1_48merge_mergepath_partition_config_static_selectorELNS0_4arch9wavefront6targetE1EEEvSJ_.has_recursion, 0
	.set _ZN7rocprim17ROCPRIM_400000_NS6detail17trampoline_kernelINS0_14default_configENS1_38merge_sort_block_merge_config_selectorIttEEZZNS1_27merge_sort_block_merge_implIS3_N6thrust23THRUST_200600_302600_NS6detail15normal_iteratorINS8_10device_ptrItEEEESD_jNS1_19radix_merge_compareILb0ELb0EtNS0_19identity_decomposerEEEEE10hipError_tT0_T1_T2_jT3_P12ihipStream_tbPNSt15iterator_traitsISI_E10value_typeEPNSO_ISJ_E10value_typeEPSK_NS1_7vsmem_tEENKUlT_SI_SJ_SK_E_clIPtSD_S10_SD_EESH_SX_SI_SJ_SK_EUlSX_E_NS1_11comp_targetILNS1_3genE2ELNS1_11target_archE906ELNS1_3gpuE6ELNS1_3repE0EEENS1_48merge_mergepath_partition_config_static_selectorELNS0_4arch9wavefront6targetE1EEEvSJ_.has_indirect_call, 0
	.section	.AMDGPU.csdata,"",@progbits
; Kernel info:
; codeLenInByte = 0
; TotalNumSgprs: 6
; NumVgprs: 0
; NumAgprs: 0
; TotalNumVgprs: 0
; ScratchSize: 0
; MemoryBound: 0
; FloatMode: 240
; IeeeMode: 1
; LDSByteSize: 0 bytes/workgroup (compile time only)
; SGPRBlocks: 0
; VGPRBlocks: 0
; NumSGPRsForWavesPerEU: 6
; NumVGPRsForWavesPerEU: 1
; AccumOffset: 4
; Occupancy: 8
; WaveLimiterHint : 0
; COMPUTE_PGM_RSRC2:SCRATCH_EN: 0
; COMPUTE_PGM_RSRC2:USER_SGPR: 2
; COMPUTE_PGM_RSRC2:TRAP_HANDLER: 0
; COMPUTE_PGM_RSRC2:TGID_X_EN: 1
; COMPUTE_PGM_RSRC2:TGID_Y_EN: 0
; COMPUTE_PGM_RSRC2:TGID_Z_EN: 0
; COMPUTE_PGM_RSRC2:TIDIG_COMP_CNT: 0
; COMPUTE_PGM_RSRC3_GFX90A:ACCUM_OFFSET: 0
; COMPUTE_PGM_RSRC3_GFX90A:TG_SPLIT: 0
	.section	.text._ZN7rocprim17ROCPRIM_400000_NS6detail17trampoline_kernelINS0_14default_configENS1_38merge_sort_block_merge_config_selectorIttEEZZNS1_27merge_sort_block_merge_implIS3_N6thrust23THRUST_200600_302600_NS6detail15normal_iteratorINS8_10device_ptrItEEEESD_jNS1_19radix_merge_compareILb0ELb0EtNS0_19identity_decomposerEEEEE10hipError_tT0_T1_T2_jT3_P12ihipStream_tbPNSt15iterator_traitsISI_E10value_typeEPNSO_ISJ_E10value_typeEPSK_NS1_7vsmem_tEENKUlT_SI_SJ_SK_E_clIPtSD_S10_SD_EESH_SX_SI_SJ_SK_EUlSX_E_NS1_11comp_targetILNS1_3genE9ELNS1_11target_archE1100ELNS1_3gpuE3ELNS1_3repE0EEENS1_48merge_mergepath_partition_config_static_selectorELNS0_4arch9wavefront6targetE1EEEvSJ_,"axG",@progbits,_ZN7rocprim17ROCPRIM_400000_NS6detail17trampoline_kernelINS0_14default_configENS1_38merge_sort_block_merge_config_selectorIttEEZZNS1_27merge_sort_block_merge_implIS3_N6thrust23THRUST_200600_302600_NS6detail15normal_iteratorINS8_10device_ptrItEEEESD_jNS1_19radix_merge_compareILb0ELb0EtNS0_19identity_decomposerEEEEE10hipError_tT0_T1_T2_jT3_P12ihipStream_tbPNSt15iterator_traitsISI_E10value_typeEPNSO_ISJ_E10value_typeEPSK_NS1_7vsmem_tEENKUlT_SI_SJ_SK_E_clIPtSD_S10_SD_EESH_SX_SI_SJ_SK_EUlSX_E_NS1_11comp_targetILNS1_3genE9ELNS1_11target_archE1100ELNS1_3gpuE3ELNS1_3repE0EEENS1_48merge_mergepath_partition_config_static_selectorELNS0_4arch9wavefront6targetE1EEEvSJ_,comdat
	.protected	_ZN7rocprim17ROCPRIM_400000_NS6detail17trampoline_kernelINS0_14default_configENS1_38merge_sort_block_merge_config_selectorIttEEZZNS1_27merge_sort_block_merge_implIS3_N6thrust23THRUST_200600_302600_NS6detail15normal_iteratorINS8_10device_ptrItEEEESD_jNS1_19radix_merge_compareILb0ELb0EtNS0_19identity_decomposerEEEEE10hipError_tT0_T1_T2_jT3_P12ihipStream_tbPNSt15iterator_traitsISI_E10value_typeEPNSO_ISJ_E10value_typeEPSK_NS1_7vsmem_tEENKUlT_SI_SJ_SK_E_clIPtSD_S10_SD_EESH_SX_SI_SJ_SK_EUlSX_E_NS1_11comp_targetILNS1_3genE9ELNS1_11target_archE1100ELNS1_3gpuE3ELNS1_3repE0EEENS1_48merge_mergepath_partition_config_static_selectorELNS0_4arch9wavefront6targetE1EEEvSJ_ ; -- Begin function _ZN7rocprim17ROCPRIM_400000_NS6detail17trampoline_kernelINS0_14default_configENS1_38merge_sort_block_merge_config_selectorIttEEZZNS1_27merge_sort_block_merge_implIS3_N6thrust23THRUST_200600_302600_NS6detail15normal_iteratorINS8_10device_ptrItEEEESD_jNS1_19radix_merge_compareILb0ELb0EtNS0_19identity_decomposerEEEEE10hipError_tT0_T1_T2_jT3_P12ihipStream_tbPNSt15iterator_traitsISI_E10value_typeEPNSO_ISJ_E10value_typeEPSK_NS1_7vsmem_tEENKUlT_SI_SJ_SK_E_clIPtSD_S10_SD_EESH_SX_SI_SJ_SK_EUlSX_E_NS1_11comp_targetILNS1_3genE9ELNS1_11target_archE1100ELNS1_3gpuE3ELNS1_3repE0EEENS1_48merge_mergepath_partition_config_static_selectorELNS0_4arch9wavefront6targetE1EEEvSJ_
	.globl	_ZN7rocprim17ROCPRIM_400000_NS6detail17trampoline_kernelINS0_14default_configENS1_38merge_sort_block_merge_config_selectorIttEEZZNS1_27merge_sort_block_merge_implIS3_N6thrust23THRUST_200600_302600_NS6detail15normal_iteratorINS8_10device_ptrItEEEESD_jNS1_19radix_merge_compareILb0ELb0EtNS0_19identity_decomposerEEEEE10hipError_tT0_T1_T2_jT3_P12ihipStream_tbPNSt15iterator_traitsISI_E10value_typeEPNSO_ISJ_E10value_typeEPSK_NS1_7vsmem_tEENKUlT_SI_SJ_SK_E_clIPtSD_S10_SD_EESH_SX_SI_SJ_SK_EUlSX_E_NS1_11comp_targetILNS1_3genE9ELNS1_11target_archE1100ELNS1_3gpuE3ELNS1_3repE0EEENS1_48merge_mergepath_partition_config_static_selectorELNS0_4arch9wavefront6targetE1EEEvSJ_
	.p2align	8
	.type	_ZN7rocprim17ROCPRIM_400000_NS6detail17trampoline_kernelINS0_14default_configENS1_38merge_sort_block_merge_config_selectorIttEEZZNS1_27merge_sort_block_merge_implIS3_N6thrust23THRUST_200600_302600_NS6detail15normal_iteratorINS8_10device_ptrItEEEESD_jNS1_19radix_merge_compareILb0ELb0EtNS0_19identity_decomposerEEEEE10hipError_tT0_T1_T2_jT3_P12ihipStream_tbPNSt15iterator_traitsISI_E10value_typeEPNSO_ISJ_E10value_typeEPSK_NS1_7vsmem_tEENKUlT_SI_SJ_SK_E_clIPtSD_S10_SD_EESH_SX_SI_SJ_SK_EUlSX_E_NS1_11comp_targetILNS1_3genE9ELNS1_11target_archE1100ELNS1_3gpuE3ELNS1_3repE0EEENS1_48merge_mergepath_partition_config_static_selectorELNS0_4arch9wavefront6targetE1EEEvSJ_,@function
_ZN7rocprim17ROCPRIM_400000_NS6detail17trampoline_kernelINS0_14default_configENS1_38merge_sort_block_merge_config_selectorIttEEZZNS1_27merge_sort_block_merge_implIS3_N6thrust23THRUST_200600_302600_NS6detail15normal_iteratorINS8_10device_ptrItEEEESD_jNS1_19radix_merge_compareILb0ELb0EtNS0_19identity_decomposerEEEEE10hipError_tT0_T1_T2_jT3_P12ihipStream_tbPNSt15iterator_traitsISI_E10value_typeEPNSO_ISJ_E10value_typeEPSK_NS1_7vsmem_tEENKUlT_SI_SJ_SK_E_clIPtSD_S10_SD_EESH_SX_SI_SJ_SK_EUlSX_E_NS1_11comp_targetILNS1_3genE9ELNS1_11target_archE1100ELNS1_3gpuE3ELNS1_3repE0EEENS1_48merge_mergepath_partition_config_static_selectorELNS0_4arch9wavefront6targetE1EEEvSJ_: ; @_ZN7rocprim17ROCPRIM_400000_NS6detail17trampoline_kernelINS0_14default_configENS1_38merge_sort_block_merge_config_selectorIttEEZZNS1_27merge_sort_block_merge_implIS3_N6thrust23THRUST_200600_302600_NS6detail15normal_iteratorINS8_10device_ptrItEEEESD_jNS1_19radix_merge_compareILb0ELb0EtNS0_19identity_decomposerEEEEE10hipError_tT0_T1_T2_jT3_P12ihipStream_tbPNSt15iterator_traitsISI_E10value_typeEPNSO_ISJ_E10value_typeEPSK_NS1_7vsmem_tEENKUlT_SI_SJ_SK_E_clIPtSD_S10_SD_EESH_SX_SI_SJ_SK_EUlSX_E_NS1_11comp_targetILNS1_3genE9ELNS1_11target_archE1100ELNS1_3gpuE3ELNS1_3repE0EEENS1_48merge_mergepath_partition_config_static_selectorELNS0_4arch9wavefront6targetE1EEEvSJ_
; %bb.0:
	.section	.rodata,"a",@progbits
	.p2align	6, 0x0
	.amdhsa_kernel _ZN7rocprim17ROCPRIM_400000_NS6detail17trampoline_kernelINS0_14default_configENS1_38merge_sort_block_merge_config_selectorIttEEZZNS1_27merge_sort_block_merge_implIS3_N6thrust23THRUST_200600_302600_NS6detail15normal_iteratorINS8_10device_ptrItEEEESD_jNS1_19radix_merge_compareILb0ELb0EtNS0_19identity_decomposerEEEEE10hipError_tT0_T1_T2_jT3_P12ihipStream_tbPNSt15iterator_traitsISI_E10value_typeEPNSO_ISJ_E10value_typeEPSK_NS1_7vsmem_tEENKUlT_SI_SJ_SK_E_clIPtSD_S10_SD_EESH_SX_SI_SJ_SK_EUlSX_E_NS1_11comp_targetILNS1_3genE9ELNS1_11target_archE1100ELNS1_3gpuE3ELNS1_3repE0EEENS1_48merge_mergepath_partition_config_static_selectorELNS0_4arch9wavefront6targetE1EEEvSJ_
		.amdhsa_group_segment_fixed_size 0
		.amdhsa_private_segment_fixed_size 0
		.amdhsa_kernarg_size 40
		.amdhsa_user_sgpr_count 2
		.amdhsa_user_sgpr_dispatch_ptr 0
		.amdhsa_user_sgpr_queue_ptr 0
		.amdhsa_user_sgpr_kernarg_segment_ptr 1
		.amdhsa_user_sgpr_dispatch_id 0
		.amdhsa_user_sgpr_kernarg_preload_length 0
		.amdhsa_user_sgpr_kernarg_preload_offset 0
		.amdhsa_user_sgpr_private_segment_size 0
		.amdhsa_uses_dynamic_stack 0
		.amdhsa_enable_private_segment 0
		.amdhsa_system_sgpr_workgroup_id_x 1
		.amdhsa_system_sgpr_workgroup_id_y 0
		.amdhsa_system_sgpr_workgroup_id_z 0
		.amdhsa_system_sgpr_workgroup_info 0
		.amdhsa_system_vgpr_workitem_id 0
		.amdhsa_next_free_vgpr 1
		.amdhsa_next_free_sgpr 0
		.amdhsa_accum_offset 4
		.amdhsa_reserve_vcc 0
		.amdhsa_float_round_mode_32 0
		.amdhsa_float_round_mode_16_64 0
		.amdhsa_float_denorm_mode_32 3
		.amdhsa_float_denorm_mode_16_64 3
		.amdhsa_dx10_clamp 1
		.amdhsa_ieee_mode 1
		.amdhsa_fp16_overflow 0
		.amdhsa_tg_split 0
		.amdhsa_exception_fp_ieee_invalid_op 0
		.amdhsa_exception_fp_denorm_src 0
		.amdhsa_exception_fp_ieee_div_zero 0
		.amdhsa_exception_fp_ieee_overflow 0
		.amdhsa_exception_fp_ieee_underflow 0
		.amdhsa_exception_fp_ieee_inexact 0
		.amdhsa_exception_int_div_zero 0
	.end_amdhsa_kernel
	.section	.text._ZN7rocprim17ROCPRIM_400000_NS6detail17trampoline_kernelINS0_14default_configENS1_38merge_sort_block_merge_config_selectorIttEEZZNS1_27merge_sort_block_merge_implIS3_N6thrust23THRUST_200600_302600_NS6detail15normal_iteratorINS8_10device_ptrItEEEESD_jNS1_19radix_merge_compareILb0ELb0EtNS0_19identity_decomposerEEEEE10hipError_tT0_T1_T2_jT3_P12ihipStream_tbPNSt15iterator_traitsISI_E10value_typeEPNSO_ISJ_E10value_typeEPSK_NS1_7vsmem_tEENKUlT_SI_SJ_SK_E_clIPtSD_S10_SD_EESH_SX_SI_SJ_SK_EUlSX_E_NS1_11comp_targetILNS1_3genE9ELNS1_11target_archE1100ELNS1_3gpuE3ELNS1_3repE0EEENS1_48merge_mergepath_partition_config_static_selectorELNS0_4arch9wavefront6targetE1EEEvSJ_,"axG",@progbits,_ZN7rocprim17ROCPRIM_400000_NS6detail17trampoline_kernelINS0_14default_configENS1_38merge_sort_block_merge_config_selectorIttEEZZNS1_27merge_sort_block_merge_implIS3_N6thrust23THRUST_200600_302600_NS6detail15normal_iteratorINS8_10device_ptrItEEEESD_jNS1_19radix_merge_compareILb0ELb0EtNS0_19identity_decomposerEEEEE10hipError_tT0_T1_T2_jT3_P12ihipStream_tbPNSt15iterator_traitsISI_E10value_typeEPNSO_ISJ_E10value_typeEPSK_NS1_7vsmem_tEENKUlT_SI_SJ_SK_E_clIPtSD_S10_SD_EESH_SX_SI_SJ_SK_EUlSX_E_NS1_11comp_targetILNS1_3genE9ELNS1_11target_archE1100ELNS1_3gpuE3ELNS1_3repE0EEENS1_48merge_mergepath_partition_config_static_selectorELNS0_4arch9wavefront6targetE1EEEvSJ_,comdat
.Lfunc_end848:
	.size	_ZN7rocprim17ROCPRIM_400000_NS6detail17trampoline_kernelINS0_14default_configENS1_38merge_sort_block_merge_config_selectorIttEEZZNS1_27merge_sort_block_merge_implIS3_N6thrust23THRUST_200600_302600_NS6detail15normal_iteratorINS8_10device_ptrItEEEESD_jNS1_19radix_merge_compareILb0ELb0EtNS0_19identity_decomposerEEEEE10hipError_tT0_T1_T2_jT3_P12ihipStream_tbPNSt15iterator_traitsISI_E10value_typeEPNSO_ISJ_E10value_typeEPSK_NS1_7vsmem_tEENKUlT_SI_SJ_SK_E_clIPtSD_S10_SD_EESH_SX_SI_SJ_SK_EUlSX_E_NS1_11comp_targetILNS1_3genE9ELNS1_11target_archE1100ELNS1_3gpuE3ELNS1_3repE0EEENS1_48merge_mergepath_partition_config_static_selectorELNS0_4arch9wavefront6targetE1EEEvSJ_, .Lfunc_end848-_ZN7rocprim17ROCPRIM_400000_NS6detail17trampoline_kernelINS0_14default_configENS1_38merge_sort_block_merge_config_selectorIttEEZZNS1_27merge_sort_block_merge_implIS3_N6thrust23THRUST_200600_302600_NS6detail15normal_iteratorINS8_10device_ptrItEEEESD_jNS1_19radix_merge_compareILb0ELb0EtNS0_19identity_decomposerEEEEE10hipError_tT0_T1_T2_jT3_P12ihipStream_tbPNSt15iterator_traitsISI_E10value_typeEPNSO_ISJ_E10value_typeEPSK_NS1_7vsmem_tEENKUlT_SI_SJ_SK_E_clIPtSD_S10_SD_EESH_SX_SI_SJ_SK_EUlSX_E_NS1_11comp_targetILNS1_3genE9ELNS1_11target_archE1100ELNS1_3gpuE3ELNS1_3repE0EEENS1_48merge_mergepath_partition_config_static_selectorELNS0_4arch9wavefront6targetE1EEEvSJ_
                                        ; -- End function
	.set _ZN7rocprim17ROCPRIM_400000_NS6detail17trampoline_kernelINS0_14default_configENS1_38merge_sort_block_merge_config_selectorIttEEZZNS1_27merge_sort_block_merge_implIS3_N6thrust23THRUST_200600_302600_NS6detail15normal_iteratorINS8_10device_ptrItEEEESD_jNS1_19radix_merge_compareILb0ELb0EtNS0_19identity_decomposerEEEEE10hipError_tT0_T1_T2_jT3_P12ihipStream_tbPNSt15iterator_traitsISI_E10value_typeEPNSO_ISJ_E10value_typeEPSK_NS1_7vsmem_tEENKUlT_SI_SJ_SK_E_clIPtSD_S10_SD_EESH_SX_SI_SJ_SK_EUlSX_E_NS1_11comp_targetILNS1_3genE9ELNS1_11target_archE1100ELNS1_3gpuE3ELNS1_3repE0EEENS1_48merge_mergepath_partition_config_static_selectorELNS0_4arch9wavefront6targetE1EEEvSJ_.num_vgpr, 0
	.set _ZN7rocprim17ROCPRIM_400000_NS6detail17trampoline_kernelINS0_14default_configENS1_38merge_sort_block_merge_config_selectorIttEEZZNS1_27merge_sort_block_merge_implIS3_N6thrust23THRUST_200600_302600_NS6detail15normal_iteratorINS8_10device_ptrItEEEESD_jNS1_19radix_merge_compareILb0ELb0EtNS0_19identity_decomposerEEEEE10hipError_tT0_T1_T2_jT3_P12ihipStream_tbPNSt15iterator_traitsISI_E10value_typeEPNSO_ISJ_E10value_typeEPSK_NS1_7vsmem_tEENKUlT_SI_SJ_SK_E_clIPtSD_S10_SD_EESH_SX_SI_SJ_SK_EUlSX_E_NS1_11comp_targetILNS1_3genE9ELNS1_11target_archE1100ELNS1_3gpuE3ELNS1_3repE0EEENS1_48merge_mergepath_partition_config_static_selectorELNS0_4arch9wavefront6targetE1EEEvSJ_.num_agpr, 0
	.set _ZN7rocprim17ROCPRIM_400000_NS6detail17trampoline_kernelINS0_14default_configENS1_38merge_sort_block_merge_config_selectorIttEEZZNS1_27merge_sort_block_merge_implIS3_N6thrust23THRUST_200600_302600_NS6detail15normal_iteratorINS8_10device_ptrItEEEESD_jNS1_19radix_merge_compareILb0ELb0EtNS0_19identity_decomposerEEEEE10hipError_tT0_T1_T2_jT3_P12ihipStream_tbPNSt15iterator_traitsISI_E10value_typeEPNSO_ISJ_E10value_typeEPSK_NS1_7vsmem_tEENKUlT_SI_SJ_SK_E_clIPtSD_S10_SD_EESH_SX_SI_SJ_SK_EUlSX_E_NS1_11comp_targetILNS1_3genE9ELNS1_11target_archE1100ELNS1_3gpuE3ELNS1_3repE0EEENS1_48merge_mergepath_partition_config_static_selectorELNS0_4arch9wavefront6targetE1EEEvSJ_.numbered_sgpr, 0
	.set _ZN7rocprim17ROCPRIM_400000_NS6detail17trampoline_kernelINS0_14default_configENS1_38merge_sort_block_merge_config_selectorIttEEZZNS1_27merge_sort_block_merge_implIS3_N6thrust23THRUST_200600_302600_NS6detail15normal_iteratorINS8_10device_ptrItEEEESD_jNS1_19radix_merge_compareILb0ELb0EtNS0_19identity_decomposerEEEEE10hipError_tT0_T1_T2_jT3_P12ihipStream_tbPNSt15iterator_traitsISI_E10value_typeEPNSO_ISJ_E10value_typeEPSK_NS1_7vsmem_tEENKUlT_SI_SJ_SK_E_clIPtSD_S10_SD_EESH_SX_SI_SJ_SK_EUlSX_E_NS1_11comp_targetILNS1_3genE9ELNS1_11target_archE1100ELNS1_3gpuE3ELNS1_3repE0EEENS1_48merge_mergepath_partition_config_static_selectorELNS0_4arch9wavefront6targetE1EEEvSJ_.num_named_barrier, 0
	.set _ZN7rocprim17ROCPRIM_400000_NS6detail17trampoline_kernelINS0_14default_configENS1_38merge_sort_block_merge_config_selectorIttEEZZNS1_27merge_sort_block_merge_implIS3_N6thrust23THRUST_200600_302600_NS6detail15normal_iteratorINS8_10device_ptrItEEEESD_jNS1_19radix_merge_compareILb0ELb0EtNS0_19identity_decomposerEEEEE10hipError_tT0_T1_T2_jT3_P12ihipStream_tbPNSt15iterator_traitsISI_E10value_typeEPNSO_ISJ_E10value_typeEPSK_NS1_7vsmem_tEENKUlT_SI_SJ_SK_E_clIPtSD_S10_SD_EESH_SX_SI_SJ_SK_EUlSX_E_NS1_11comp_targetILNS1_3genE9ELNS1_11target_archE1100ELNS1_3gpuE3ELNS1_3repE0EEENS1_48merge_mergepath_partition_config_static_selectorELNS0_4arch9wavefront6targetE1EEEvSJ_.private_seg_size, 0
	.set _ZN7rocprim17ROCPRIM_400000_NS6detail17trampoline_kernelINS0_14default_configENS1_38merge_sort_block_merge_config_selectorIttEEZZNS1_27merge_sort_block_merge_implIS3_N6thrust23THRUST_200600_302600_NS6detail15normal_iteratorINS8_10device_ptrItEEEESD_jNS1_19radix_merge_compareILb0ELb0EtNS0_19identity_decomposerEEEEE10hipError_tT0_T1_T2_jT3_P12ihipStream_tbPNSt15iterator_traitsISI_E10value_typeEPNSO_ISJ_E10value_typeEPSK_NS1_7vsmem_tEENKUlT_SI_SJ_SK_E_clIPtSD_S10_SD_EESH_SX_SI_SJ_SK_EUlSX_E_NS1_11comp_targetILNS1_3genE9ELNS1_11target_archE1100ELNS1_3gpuE3ELNS1_3repE0EEENS1_48merge_mergepath_partition_config_static_selectorELNS0_4arch9wavefront6targetE1EEEvSJ_.uses_vcc, 0
	.set _ZN7rocprim17ROCPRIM_400000_NS6detail17trampoline_kernelINS0_14default_configENS1_38merge_sort_block_merge_config_selectorIttEEZZNS1_27merge_sort_block_merge_implIS3_N6thrust23THRUST_200600_302600_NS6detail15normal_iteratorINS8_10device_ptrItEEEESD_jNS1_19radix_merge_compareILb0ELb0EtNS0_19identity_decomposerEEEEE10hipError_tT0_T1_T2_jT3_P12ihipStream_tbPNSt15iterator_traitsISI_E10value_typeEPNSO_ISJ_E10value_typeEPSK_NS1_7vsmem_tEENKUlT_SI_SJ_SK_E_clIPtSD_S10_SD_EESH_SX_SI_SJ_SK_EUlSX_E_NS1_11comp_targetILNS1_3genE9ELNS1_11target_archE1100ELNS1_3gpuE3ELNS1_3repE0EEENS1_48merge_mergepath_partition_config_static_selectorELNS0_4arch9wavefront6targetE1EEEvSJ_.uses_flat_scratch, 0
	.set _ZN7rocprim17ROCPRIM_400000_NS6detail17trampoline_kernelINS0_14default_configENS1_38merge_sort_block_merge_config_selectorIttEEZZNS1_27merge_sort_block_merge_implIS3_N6thrust23THRUST_200600_302600_NS6detail15normal_iteratorINS8_10device_ptrItEEEESD_jNS1_19radix_merge_compareILb0ELb0EtNS0_19identity_decomposerEEEEE10hipError_tT0_T1_T2_jT3_P12ihipStream_tbPNSt15iterator_traitsISI_E10value_typeEPNSO_ISJ_E10value_typeEPSK_NS1_7vsmem_tEENKUlT_SI_SJ_SK_E_clIPtSD_S10_SD_EESH_SX_SI_SJ_SK_EUlSX_E_NS1_11comp_targetILNS1_3genE9ELNS1_11target_archE1100ELNS1_3gpuE3ELNS1_3repE0EEENS1_48merge_mergepath_partition_config_static_selectorELNS0_4arch9wavefront6targetE1EEEvSJ_.has_dyn_sized_stack, 0
	.set _ZN7rocprim17ROCPRIM_400000_NS6detail17trampoline_kernelINS0_14default_configENS1_38merge_sort_block_merge_config_selectorIttEEZZNS1_27merge_sort_block_merge_implIS3_N6thrust23THRUST_200600_302600_NS6detail15normal_iteratorINS8_10device_ptrItEEEESD_jNS1_19radix_merge_compareILb0ELb0EtNS0_19identity_decomposerEEEEE10hipError_tT0_T1_T2_jT3_P12ihipStream_tbPNSt15iterator_traitsISI_E10value_typeEPNSO_ISJ_E10value_typeEPSK_NS1_7vsmem_tEENKUlT_SI_SJ_SK_E_clIPtSD_S10_SD_EESH_SX_SI_SJ_SK_EUlSX_E_NS1_11comp_targetILNS1_3genE9ELNS1_11target_archE1100ELNS1_3gpuE3ELNS1_3repE0EEENS1_48merge_mergepath_partition_config_static_selectorELNS0_4arch9wavefront6targetE1EEEvSJ_.has_recursion, 0
	.set _ZN7rocprim17ROCPRIM_400000_NS6detail17trampoline_kernelINS0_14default_configENS1_38merge_sort_block_merge_config_selectorIttEEZZNS1_27merge_sort_block_merge_implIS3_N6thrust23THRUST_200600_302600_NS6detail15normal_iteratorINS8_10device_ptrItEEEESD_jNS1_19radix_merge_compareILb0ELb0EtNS0_19identity_decomposerEEEEE10hipError_tT0_T1_T2_jT3_P12ihipStream_tbPNSt15iterator_traitsISI_E10value_typeEPNSO_ISJ_E10value_typeEPSK_NS1_7vsmem_tEENKUlT_SI_SJ_SK_E_clIPtSD_S10_SD_EESH_SX_SI_SJ_SK_EUlSX_E_NS1_11comp_targetILNS1_3genE9ELNS1_11target_archE1100ELNS1_3gpuE3ELNS1_3repE0EEENS1_48merge_mergepath_partition_config_static_selectorELNS0_4arch9wavefront6targetE1EEEvSJ_.has_indirect_call, 0
	.section	.AMDGPU.csdata,"",@progbits
; Kernel info:
; codeLenInByte = 0
; TotalNumSgprs: 6
; NumVgprs: 0
; NumAgprs: 0
; TotalNumVgprs: 0
; ScratchSize: 0
; MemoryBound: 0
; FloatMode: 240
; IeeeMode: 1
; LDSByteSize: 0 bytes/workgroup (compile time only)
; SGPRBlocks: 0
; VGPRBlocks: 0
; NumSGPRsForWavesPerEU: 6
; NumVGPRsForWavesPerEU: 1
; AccumOffset: 4
; Occupancy: 8
; WaveLimiterHint : 0
; COMPUTE_PGM_RSRC2:SCRATCH_EN: 0
; COMPUTE_PGM_RSRC2:USER_SGPR: 2
; COMPUTE_PGM_RSRC2:TRAP_HANDLER: 0
; COMPUTE_PGM_RSRC2:TGID_X_EN: 1
; COMPUTE_PGM_RSRC2:TGID_Y_EN: 0
; COMPUTE_PGM_RSRC2:TGID_Z_EN: 0
; COMPUTE_PGM_RSRC2:TIDIG_COMP_CNT: 0
; COMPUTE_PGM_RSRC3_GFX90A:ACCUM_OFFSET: 0
; COMPUTE_PGM_RSRC3_GFX90A:TG_SPLIT: 0
	.section	.text._ZN7rocprim17ROCPRIM_400000_NS6detail17trampoline_kernelINS0_14default_configENS1_38merge_sort_block_merge_config_selectorIttEEZZNS1_27merge_sort_block_merge_implIS3_N6thrust23THRUST_200600_302600_NS6detail15normal_iteratorINS8_10device_ptrItEEEESD_jNS1_19radix_merge_compareILb0ELb0EtNS0_19identity_decomposerEEEEE10hipError_tT0_T1_T2_jT3_P12ihipStream_tbPNSt15iterator_traitsISI_E10value_typeEPNSO_ISJ_E10value_typeEPSK_NS1_7vsmem_tEENKUlT_SI_SJ_SK_E_clIPtSD_S10_SD_EESH_SX_SI_SJ_SK_EUlSX_E_NS1_11comp_targetILNS1_3genE8ELNS1_11target_archE1030ELNS1_3gpuE2ELNS1_3repE0EEENS1_48merge_mergepath_partition_config_static_selectorELNS0_4arch9wavefront6targetE1EEEvSJ_,"axG",@progbits,_ZN7rocprim17ROCPRIM_400000_NS6detail17trampoline_kernelINS0_14default_configENS1_38merge_sort_block_merge_config_selectorIttEEZZNS1_27merge_sort_block_merge_implIS3_N6thrust23THRUST_200600_302600_NS6detail15normal_iteratorINS8_10device_ptrItEEEESD_jNS1_19radix_merge_compareILb0ELb0EtNS0_19identity_decomposerEEEEE10hipError_tT0_T1_T2_jT3_P12ihipStream_tbPNSt15iterator_traitsISI_E10value_typeEPNSO_ISJ_E10value_typeEPSK_NS1_7vsmem_tEENKUlT_SI_SJ_SK_E_clIPtSD_S10_SD_EESH_SX_SI_SJ_SK_EUlSX_E_NS1_11comp_targetILNS1_3genE8ELNS1_11target_archE1030ELNS1_3gpuE2ELNS1_3repE0EEENS1_48merge_mergepath_partition_config_static_selectorELNS0_4arch9wavefront6targetE1EEEvSJ_,comdat
	.protected	_ZN7rocprim17ROCPRIM_400000_NS6detail17trampoline_kernelINS0_14default_configENS1_38merge_sort_block_merge_config_selectorIttEEZZNS1_27merge_sort_block_merge_implIS3_N6thrust23THRUST_200600_302600_NS6detail15normal_iteratorINS8_10device_ptrItEEEESD_jNS1_19radix_merge_compareILb0ELb0EtNS0_19identity_decomposerEEEEE10hipError_tT0_T1_T2_jT3_P12ihipStream_tbPNSt15iterator_traitsISI_E10value_typeEPNSO_ISJ_E10value_typeEPSK_NS1_7vsmem_tEENKUlT_SI_SJ_SK_E_clIPtSD_S10_SD_EESH_SX_SI_SJ_SK_EUlSX_E_NS1_11comp_targetILNS1_3genE8ELNS1_11target_archE1030ELNS1_3gpuE2ELNS1_3repE0EEENS1_48merge_mergepath_partition_config_static_selectorELNS0_4arch9wavefront6targetE1EEEvSJ_ ; -- Begin function _ZN7rocprim17ROCPRIM_400000_NS6detail17trampoline_kernelINS0_14default_configENS1_38merge_sort_block_merge_config_selectorIttEEZZNS1_27merge_sort_block_merge_implIS3_N6thrust23THRUST_200600_302600_NS6detail15normal_iteratorINS8_10device_ptrItEEEESD_jNS1_19radix_merge_compareILb0ELb0EtNS0_19identity_decomposerEEEEE10hipError_tT0_T1_T2_jT3_P12ihipStream_tbPNSt15iterator_traitsISI_E10value_typeEPNSO_ISJ_E10value_typeEPSK_NS1_7vsmem_tEENKUlT_SI_SJ_SK_E_clIPtSD_S10_SD_EESH_SX_SI_SJ_SK_EUlSX_E_NS1_11comp_targetILNS1_3genE8ELNS1_11target_archE1030ELNS1_3gpuE2ELNS1_3repE0EEENS1_48merge_mergepath_partition_config_static_selectorELNS0_4arch9wavefront6targetE1EEEvSJ_
	.globl	_ZN7rocprim17ROCPRIM_400000_NS6detail17trampoline_kernelINS0_14default_configENS1_38merge_sort_block_merge_config_selectorIttEEZZNS1_27merge_sort_block_merge_implIS3_N6thrust23THRUST_200600_302600_NS6detail15normal_iteratorINS8_10device_ptrItEEEESD_jNS1_19radix_merge_compareILb0ELb0EtNS0_19identity_decomposerEEEEE10hipError_tT0_T1_T2_jT3_P12ihipStream_tbPNSt15iterator_traitsISI_E10value_typeEPNSO_ISJ_E10value_typeEPSK_NS1_7vsmem_tEENKUlT_SI_SJ_SK_E_clIPtSD_S10_SD_EESH_SX_SI_SJ_SK_EUlSX_E_NS1_11comp_targetILNS1_3genE8ELNS1_11target_archE1030ELNS1_3gpuE2ELNS1_3repE0EEENS1_48merge_mergepath_partition_config_static_selectorELNS0_4arch9wavefront6targetE1EEEvSJ_
	.p2align	8
	.type	_ZN7rocprim17ROCPRIM_400000_NS6detail17trampoline_kernelINS0_14default_configENS1_38merge_sort_block_merge_config_selectorIttEEZZNS1_27merge_sort_block_merge_implIS3_N6thrust23THRUST_200600_302600_NS6detail15normal_iteratorINS8_10device_ptrItEEEESD_jNS1_19radix_merge_compareILb0ELb0EtNS0_19identity_decomposerEEEEE10hipError_tT0_T1_T2_jT3_P12ihipStream_tbPNSt15iterator_traitsISI_E10value_typeEPNSO_ISJ_E10value_typeEPSK_NS1_7vsmem_tEENKUlT_SI_SJ_SK_E_clIPtSD_S10_SD_EESH_SX_SI_SJ_SK_EUlSX_E_NS1_11comp_targetILNS1_3genE8ELNS1_11target_archE1030ELNS1_3gpuE2ELNS1_3repE0EEENS1_48merge_mergepath_partition_config_static_selectorELNS0_4arch9wavefront6targetE1EEEvSJ_,@function
_ZN7rocprim17ROCPRIM_400000_NS6detail17trampoline_kernelINS0_14default_configENS1_38merge_sort_block_merge_config_selectorIttEEZZNS1_27merge_sort_block_merge_implIS3_N6thrust23THRUST_200600_302600_NS6detail15normal_iteratorINS8_10device_ptrItEEEESD_jNS1_19radix_merge_compareILb0ELb0EtNS0_19identity_decomposerEEEEE10hipError_tT0_T1_T2_jT3_P12ihipStream_tbPNSt15iterator_traitsISI_E10value_typeEPNSO_ISJ_E10value_typeEPSK_NS1_7vsmem_tEENKUlT_SI_SJ_SK_E_clIPtSD_S10_SD_EESH_SX_SI_SJ_SK_EUlSX_E_NS1_11comp_targetILNS1_3genE8ELNS1_11target_archE1030ELNS1_3gpuE2ELNS1_3repE0EEENS1_48merge_mergepath_partition_config_static_selectorELNS0_4arch9wavefront6targetE1EEEvSJ_: ; @_ZN7rocprim17ROCPRIM_400000_NS6detail17trampoline_kernelINS0_14default_configENS1_38merge_sort_block_merge_config_selectorIttEEZZNS1_27merge_sort_block_merge_implIS3_N6thrust23THRUST_200600_302600_NS6detail15normal_iteratorINS8_10device_ptrItEEEESD_jNS1_19radix_merge_compareILb0ELb0EtNS0_19identity_decomposerEEEEE10hipError_tT0_T1_T2_jT3_P12ihipStream_tbPNSt15iterator_traitsISI_E10value_typeEPNSO_ISJ_E10value_typeEPSK_NS1_7vsmem_tEENKUlT_SI_SJ_SK_E_clIPtSD_S10_SD_EESH_SX_SI_SJ_SK_EUlSX_E_NS1_11comp_targetILNS1_3genE8ELNS1_11target_archE1030ELNS1_3gpuE2ELNS1_3repE0EEENS1_48merge_mergepath_partition_config_static_selectorELNS0_4arch9wavefront6targetE1EEEvSJ_
; %bb.0:
	.section	.rodata,"a",@progbits
	.p2align	6, 0x0
	.amdhsa_kernel _ZN7rocprim17ROCPRIM_400000_NS6detail17trampoline_kernelINS0_14default_configENS1_38merge_sort_block_merge_config_selectorIttEEZZNS1_27merge_sort_block_merge_implIS3_N6thrust23THRUST_200600_302600_NS6detail15normal_iteratorINS8_10device_ptrItEEEESD_jNS1_19radix_merge_compareILb0ELb0EtNS0_19identity_decomposerEEEEE10hipError_tT0_T1_T2_jT3_P12ihipStream_tbPNSt15iterator_traitsISI_E10value_typeEPNSO_ISJ_E10value_typeEPSK_NS1_7vsmem_tEENKUlT_SI_SJ_SK_E_clIPtSD_S10_SD_EESH_SX_SI_SJ_SK_EUlSX_E_NS1_11comp_targetILNS1_3genE8ELNS1_11target_archE1030ELNS1_3gpuE2ELNS1_3repE0EEENS1_48merge_mergepath_partition_config_static_selectorELNS0_4arch9wavefront6targetE1EEEvSJ_
		.amdhsa_group_segment_fixed_size 0
		.amdhsa_private_segment_fixed_size 0
		.amdhsa_kernarg_size 40
		.amdhsa_user_sgpr_count 2
		.amdhsa_user_sgpr_dispatch_ptr 0
		.amdhsa_user_sgpr_queue_ptr 0
		.amdhsa_user_sgpr_kernarg_segment_ptr 1
		.amdhsa_user_sgpr_dispatch_id 0
		.amdhsa_user_sgpr_kernarg_preload_length 0
		.amdhsa_user_sgpr_kernarg_preload_offset 0
		.amdhsa_user_sgpr_private_segment_size 0
		.amdhsa_uses_dynamic_stack 0
		.amdhsa_enable_private_segment 0
		.amdhsa_system_sgpr_workgroup_id_x 1
		.amdhsa_system_sgpr_workgroup_id_y 0
		.amdhsa_system_sgpr_workgroup_id_z 0
		.amdhsa_system_sgpr_workgroup_info 0
		.amdhsa_system_vgpr_workitem_id 0
		.amdhsa_next_free_vgpr 1
		.amdhsa_next_free_sgpr 0
		.amdhsa_accum_offset 4
		.amdhsa_reserve_vcc 0
		.amdhsa_float_round_mode_32 0
		.amdhsa_float_round_mode_16_64 0
		.amdhsa_float_denorm_mode_32 3
		.amdhsa_float_denorm_mode_16_64 3
		.amdhsa_dx10_clamp 1
		.amdhsa_ieee_mode 1
		.amdhsa_fp16_overflow 0
		.amdhsa_tg_split 0
		.amdhsa_exception_fp_ieee_invalid_op 0
		.amdhsa_exception_fp_denorm_src 0
		.amdhsa_exception_fp_ieee_div_zero 0
		.amdhsa_exception_fp_ieee_overflow 0
		.amdhsa_exception_fp_ieee_underflow 0
		.amdhsa_exception_fp_ieee_inexact 0
		.amdhsa_exception_int_div_zero 0
	.end_amdhsa_kernel
	.section	.text._ZN7rocprim17ROCPRIM_400000_NS6detail17trampoline_kernelINS0_14default_configENS1_38merge_sort_block_merge_config_selectorIttEEZZNS1_27merge_sort_block_merge_implIS3_N6thrust23THRUST_200600_302600_NS6detail15normal_iteratorINS8_10device_ptrItEEEESD_jNS1_19radix_merge_compareILb0ELb0EtNS0_19identity_decomposerEEEEE10hipError_tT0_T1_T2_jT3_P12ihipStream_tbPNSt15iterator_traitsISI_E10value_typeEPNSO_ISJ_E10value_typeEPSK_NS1_7vsmem_tEENKUlT_SI_SJ_SK_E_clIPtSD_S10_SD_EESH_SX_SI_SJ_SK_EUlSX_E_NS1_11comp_targetILNS1_3genE8ELNS1_11target_archE1030ELNS1_3gpuE2ELNS1_3repE0EEENS1_48merge_mergepath_partition_config_static_selectorELNS0_4arch9wavefront6targetE1EEEvSJ_,"axG",@progbits,_ZN7rocprim17ROCPRIM_400000_NS6detail17trampoline_kernelINS0_14default_configENS1_38merge_sort_block_merge_config_selectorIttEEZZNS1_27merge_sort_block_merge_implIS3_N6thrust23THRUST_200600_302600_NS6detail15normal_iteratorINS8_10device_ptrItEEEESD_jNS1_19radix_merge_compareILb0ELb0EtNS0_19identity_decomposerEEEEE10hipError_tT0_T1_T2_jT3_P12ihipStream_tbPNSt15iterator_traitsISI_E10value_typeEPNSO_ISJ_E10value_typeEPSK_NS1_7vsmem_tEENKUlT_SI_SJ_SK_E_clIPtSD_S10_SD_EESH_SX_SI_SJ_SK_EUlSX_E_NS1_11comp_targetILNS1_3genE8ELNS1_11target_archE1030ELNS1_3gpuE2ELNS1_3repE0EEENS1_48merge_mergepath_partition_config_static_selectorELNS0_4arch9wavefront6targetE1EEEvSJ_,comdat
.Lfunc_end849:
	.size	_ZN7rocprim17ROCPRIM_400000_NS6detail17trampoline_kernelINS0_14default_configENS1_38merge_sort_block_merge_config_selectorIttEEZZNS1_27merge_sort_block_merge_implIS3_N6thrust23THRUST_200600_302600_NS6detail15normal_iteratorINS8_10device_ptrItEEEESD_jNS1_19radix_merge_compareILb0ELb0EtNS0_19identity_decomposerEEEEE10hipError_tT0_T1_T2_jT3_P12ihipStream_tbPNSt15iterator_traitsISI_E10value_typeEPNSO_ISJ_E10value_typeEPSK_NS1_7vsmem_tEENKUlT_SI_SJ_SK_E_clIPtSD_S10_SD_EESH_SX_SI_SJ_SK_EUlSX_E_NS1_11comp_targetILNS1_3genE8ELNS1_11target_archE1030ELNS1_3gpuE2ELNS1_3repE0EEENS1_48merge_mergepath_partition_config_static_selectorELNS0_4arch9wavefront6targetE1EEEvSJ_, .Lfunc_end849-_ZN7rocprim17ROCPRIM_400000_NS6detail17trampoline_kernelINS0_14default_configENS1_38merge_sort_block_merge_config_selectorIttEEZZNS1_27merge_sort_block_merge_implIS3_N6thrust23THRUST_200600_302600_NS6detail15normal_iteratorINS8_10device_ptrItEEEESD_jNS1_19radix_merge_compareILb0ELb0EtNS0_19identity_decomposerEEEEE10hipError_tT0_T1_T2_jT3_P12ihipStream_tbPNSt15iterator_traitsISI_E10value_typeEPNSO_ISJ_E10value_typeEPSK_NS1_7vsmem_tEENKUlT_SI_SJ_SK_E_clIPtSD_S10_SD_EESH_SX_SI_SJ_SK_EUlSX_E_NS1_11comp_targetILNS1_3genE8ELNS1_11target_archE1030ELNS1_3gpuE2ELNS1_3repE0EEENS1_48merge_mergepath_partition_config_static_selectorELNS0_4arch9wavefront6targetE1EEEvSJ_
                                        ; -- End function
	.set _ZN7rocprim17ROCPRIM_400000_NS6detail17trampoline_kernelINS0_14default_configENS1_38merge_sort_block_merge_config_selectorIttEEZZNS1_27merge_sort_block_merge_implIS3_N6thrust23THRUST_200600_302600_NS6detail15normal_iteratorINS8_10device_ptrItEEEESD_jNS1_19radix_merge_compareILb0ELb0EtNS0_19identity_decomposerEEEEE10hipError_tT0_T1_T2_jT3_P12ihipStream_tbPNSt15iterator_traitsISI_E10value_typeEPNSO_ISJ_E10value_typeEPSK_NS1_7vsmem_tEENKUlT_SI_SJ_SK_E_clIPtSD_S10_SD_EESH_SX_SI_SJ_SK_EUlSX_E_NS1_11comp_targetILNS1_3genE8ELNS1_11target_archE1030ELNS1_3gpuE2ELNS1_3repE0EEENS1_48merge_mergepath_partition_config_static_selectorELNS0_4arch9wavefront6targetE1EEEvSJ_.num_vgpr, 0
	.set _ZN7rocprim17ROCPRIM_400000_NS6detail17trampoline_kernelINS0_14default_configENS1_38merge_sort_block_merge_config_selectorIttEEZZNS1_27merge_sort_block_merge_implIS3_N6thrust23THRUST_200600_302600_NS6detail15normal_iteratorINS8_10device_ptrItEEEESD_jNS1_19radix_merge_compareILb0ELb0EtNS0_19identity_decomposerEEEEE10hipError_tT0_T1_T2_jT3_P12ihipStream_tbPNSt15iterator_traitsISI_E10value_typeEPNSO_ISJ_E10value_typeEPSK_NS1_7vsmem_tEENKUlT_SI_SJ_SK_E_clIPtSD_S10_SD_EESH_SX_SI_SJ_SK_EUlSX_E_NS1_11comp_targetILNS1_3genE8ELNS1_11target_archE1030ELNS1_3gpuE2ELNS1_3repE0EEENS1_48merge_mergepath_partition_config_static_selectorELNS0_4arch9wavefront6targetE1EEEvSJ_.num_agpr, 0
	.set _ZN7rocprim17ROCPRIM_400000_NS6detail17trampoline_kernelINS0_14default_configENS1_38merge_sort_block_merge_config_selectorIttEEZZNS1_27merge_sort_block_merge_implIS3_N6thrust23THRUST_200600_302600_NS6detail15normal_iteratorINS8_10device_ptrItEEEESD_jNS1_19radix_merge_compareILb0ELb0EtNS0_19identity_decomposerEEEEE10hipError_tT0_T1_T2_jT3_P12ihipStream_tbPNSt15iterator_traitsISI_E10value_typeEPNSO_ISJ_E10value_typeEPSK_NS1_7vsmem_tEENKUlT_SI_SJ_SK_E_clIPtSD_S10_SD_EESH_SX_SI_SJ_SK_EUlSX_E_NS1_11comp_targetILNS1_3genE8ELNS1_11target_archE1030ELNS1_3gpuE2ELNS1_3repE0EEENS1_48merge_mergepath_partition_config_static_selectorELNS0_4arch9wavefront6targetE1EEEvSJ_.numbered_sgpr, 0
	.set _ZN7rocprim17ROCPRIM_400000_NS6detail17trampoline_kernelINS0_14default_configENS1_38merge_sort_block_merge_config_selectorIttEEZZNS1_27merge_sort_block_merge_implIS3_N6thrust23THRUST_200600_302600_NS6detail15normal_iteratorINS8_10device_ptrItEEEESD_jNS1_19radix_merge_compareILb0ELb0EtNS0_19identity_decomposerEEEEE10hipError_tT0_T1_T2_jT3_P12ihipStream_tbPNSt15iterator_traitsISI_E10value_typeEPNSO_ISJ_E10value_typeEPSK_NS1_7vsmem_tEENKUlT_SI_SJ_SK_E_clIPtSD_S10_SD_EESH_SX_SI_SJ_SK_EUlSX_E_NS1_11comp_targetILNS1_3genE8ELNS1_11target_archE1030ELNS1_3gpuE2ELNS1_3repE0EEENS1_48merge_mergepath_partition_config_static_selectorELNS0_4arch9wavefront6targetE1EEEvSJ_.num_named_barrier, 0
	.set _ZN7rocprim17ROCPRIM_400000_NS6detail17trampoline_kernelINS0_14default_configENS1_38merge_sort_block_merge_config_selectorIttEEZZNS1_27merge_sort_block_merge_implIS3_N6thrust23THRUST_200600_302600_NS6detail15normal_iteratorINS8_10device_ptrItEEEESD_jNS1_19radix_merge_compareILb0ELb0EtNS0_19identity_decomposerEEEEE10hipError_tT0_T1_T2_jT3_P12ihipStream_tbPNSt15iterator_traitsISI_E10value_typeEPNSO_ISJ_E10value_typeEPSK_NS1_7vsmem_tEENKUlT_SI_SJ_SK_E_clIPtSD_S10_SD_EESH_SX_SI_SJ_SK_EUlSX_E_NS1_11comp_targetILNS1_3genE8ELNS1_11target_archE1030ELNS1_3gpuE2ELNS1_3repE0EEENS1_48merge_mergepath_partition_config_static_selectorELNS0_4arch9wavefront6targetE1EEEvSJ_.private_seg_size, 0
	.set _ZN7rocprim17ROCPRIM_400000_NS6detail17trampoline_kernelINS0_14default_configENS1_38merge_sort_block_merge_config_selectorIttEEZZNS1_27merge_sort_block_merge_implIS3_N6thrust23THRUST_200600_302600_NS6detail15normal_iteratorINS8_10device_ptrItEEEESD_jNS1_19radix_merge_compareILb0ELb0EtNS0_19identity_decomposerEEEEE10hipError_tT0_T1_T2_jT3_P12ihipStream_tbPNSt15iterator_traitsISI_E10value_typeEPNSO_ISJ_E10value_typeEPSK_NS1_7vsmem_tEENKUlT_SI_SJ_SK_E_clIPtSD_S10_SD_EESH_SX_SI_SJ_SK_EUlSX_E_NS1_11comp_targetILNS1_3genE8ELNS1_11target_archE1030ELNS1_3gpuE2ELNS1_3repE0EEENS1_48merge_mergepath_partition_config_static_selectorELNS0_4arch9wavefront6targetE1EEEvSJ_.uses_vcc, 0
	.set _ZN7rocprim17ROCPRIM_400000_NS6detail17trampoline_kernelINS0_14default_configENS1_38merge_sort_block_merge_config_selectorIttEEZZNS1_27merge_sort_block_merge_implIS3_N6thrust23THRUST_200600_302600_NS6detail15normal_iteratorINS8_10device_ptrItEEEESD_jNS1_19radix_merge_compareILb0ELb0EtNS0_19identity_decomposerEEEEE10hipError_tT0_T1_T2_jT3_P12ihipStream_tbPNSt15iterator_traitsISI_E10value_typeEPNSO_ISJ_E10value_typeEPSK_NS1_7vsmem_tEENKUlT_SI_SJ_SK_E_clIPtSD_S10_SD_EESH_SX_SI_SJ_SK_EUlSX_E_NS1_11comp_targetILNS1_3genE8ELNS1_11target_archE1030ELNS1_3gpuE2ELNS1_3repE0EEENS1_48merge_mergepath_partition_config_static_selectorELNS0_4arch9wavefront6targetE1EEEvSJ_.uses_flat_scratch, 0
	.set _ZN7rocprim17ROCPRIM_400000_NS6detail17trampoline_kernelINS0_14default_configENS1_38merge_sort_block_merge_config_selectorIttEEZZNS1_27merge_sort_block_merge_implIS3_N6thrust23THRUST_200600_302600_NS6detail15normal_iteratorINS8_10device_ptrItEEEESD_jNS1_19radix_merge_compareILb0ELb0EtNS0_19identity_decomposerEEEEE10hipError_tT0_T1_T2_jT3_P12ihipStream_tbPNSt15iterator_traitsISI_E10value_typeEPNSO_ISJ_E10value_typeEPSK_NS1_7vsmem_tEENKUlT_SI_SJ_SK_E_clIPtSD_S10_SD_EESH_SX_SI_SJ_SK_EUlSX_E_NS1_11comp_targetILNS1_3genE8ELNS1_11target_archE1030ELNS1_3gpuE2ELNS1_3repE0EEENS1_48merge_mergepath_partition_config_static_selectorELNS0_4arch9wavefront6targetE1EEEvSJ_.has_dyn_sized_stack, 0
	.set _ZN7rocprim17ROCPRIM_400000_NS6detail17trampoline_kernelINS0_14default_configENS1_38merge_sort_block_merge_config_selectorIttEEZZNS1_27merge_sort_block_merge_implIS3_N6thrust23THRUST_200600_302600_NS6detail15normal_iteratorINS8_10device_ptrItEEEESD_jNS1_19radix_merge_compareILb0ELb0EtNS0_19identity_decomposerEEEEE10hipError_tT0_T1_T2_jT3_P12ihipStream_tbPNSt15iterator_traitsISI_E10value_typeEPNSO_ISJ_E10value_typeEPSK_NS1_7vsmem_tEENKUlT_SI_SJ_SK_E_clIPtSD_S10_SD_EESH_SX_SI_SJ_SK_EUlSX_E_NS1_11comp_targetILNS1_3genE8ELNS1_11target_archE1030ELNS1_3gpuE2ELNS1_3repE0EEENS1_48merge_mergepath_partition_config_static_selectorELNS0_4arch9wavefront6targetE1EEEvSJ_.has_recursion, 0
	.set _ZN7rocprim17ROCPRIM_400000_NS6detail17trampoline_kernelINS0_14default_configENS1_38merge_sort_block_merge_config_selectorIttEEZZNS1_27merge_sort_block_merge_implIS3_N6thrust23THRUST_200600_302600_NS6detail15normal_iteratorINS8_10device_ptrItEEEESD_jNS1_19radix_merge_compareILb0ELb0EtNS0_19identity_decomposerEEEEE10hipError_tT0_T1_T2_jT3_P12ihipStream_tbPNSt15iterator_traitsISI_E10value_typeEPNSO_ISJ_E10value_typeEPSK_NS1_7vsmem_tEENKUlT_SI_SJ_SK_E_clIPtSD_S10_SD_EESH_SX_SI_SJ_SK_EUlSX_E_NS1_11comp_targetILNS1_3genE8ELNS1_11target_archE1030ELNS1_3gpuE2ELNS1_3repE0EEENS1_48merge_mergepath_partition_config_static_selectorELNS0_4arch9wavefront6targetE1EEEvSJ_.has_indirect_call, 0
	.section	.AMDGPU.csdata,"",@progbits
; Kernel info:
; codeLenInByte = 0
; TotalNumSgprs: 6
; NumVgprs: 0
; NumAgprs: 0
; TotalNumVgprs: 0
; ScratchSize: 0
; MemoryBound: 0
; FloatMode: 240
; IeeeMode: 1
; LDSByteSize: 0 bytes/workgroup (compile time only)
; SGPRBlocks: 0
; VGPRBlocks: 0
; NumSGPRsForWavesPerEU: 6
; NumVGPRsForWavesPerEU: 1
; AccumOffset: 4
; Occupancy: 8
; WaveLimiterHint : 0
; COMPUTE_PGM_RSRC2:SCRATCH_EN: 0
; COMPUTE_PGM_RSRC2:USER_SGPR: 2
; COMPUTE_PGM_RSRC2:TRAP_HANDLER: 0
; COMPUTE_PGM_RSRC2:TGID_X_EN: 1
; COMPUTE_PGM_RSRC2:TGID_Y_EN: 0
; COMPUTE_PGM_RSRC2:TGID_Z_EN: 0
; COMPUTE_PGM_RSRC2:TIDIG_COMP_CNT: 0
; COMPUTE_PGM_RSRC3_GFX90A:ACCUM_OFFSET: 0
; COMPUTE_PGM_RSRC3_GFX90A:TG_SPLIT: 0
	.section	.text._ZN7rocprim17ROCPRIM_400000_NS6detail17trampoline_kernelINS0_14default_configENS1_38merge_sort_block_merge_config_selectorIttEEZZNS1_27merge_sort_block_merge_implIS3_N6thrust23THRUST_200600_302600_NS6detail15normal_iteratorINS8_10device_ptrItEEEESD_jNS1_19radix_merge_compareILb0ELb0EtNS0_19identity_decomposerEEEEE10hipError_tT0_T1_T2_jT3_P12ihipStream_tbPNSt15iterator_traitsISI_E10value_typeEPNSO_ISJ_E10value_typeEPSK_NS1_7vsmem_tEENKUlT_SI_SJ_SK_E_clIPtSD_S10_SD_EESH_SX_SI_SJ_SK_EUlSX_E0_NS1_11comp_targetILNS1_3genE0ELNS1_11target_archE4294967295ELNS1_3gpuE0ELNS1_3repE0EEENS1_38merge_mergepath_config_static_selectorELNS0_4arch9wavefront6targetE1EEEvSJ_,"axG",@progbits,_ZN7rocprim17ROCPRIM_400000_NS6detail17trampoline_kernelINS0_14default_configENS1_38merge_sort_block_merge_config_selectorIttEEZZNS1_27merge_sort_block_merge_implIS3_N6thrust23THRUST_200600_302600_NS6detail15normal_iteratorINS8_10device_ptrItEEEESD_jNS1_19radix_merge_compareILb0ELb0EtNS0_19identity_decomposerEEEEE10hipError_tT0_T1_T2_jT3_P12ihipStream_tbPNSt15iterator_traitsISI_E10value_typeEPNSO_ISJ_E10value_typeEPSK_NS1_7vsmem_tEENKUlT_SI_SJ_SK_E_clIPtSD_S10_SD_EESH_SX_SI_SJ_SK_EUlSX_E0_NS1_11comp_targetILNS1_3genE0ELNS1_11target_archE4294967295ELNS1_3gpuE0ELNS1_3repE0EEENS1_38merge_mergepath_config_static_selectorELNS0_4arch9wavefront6targetE1EEEvSJ_,comdat
	.protected	_ZN7rocprim17ROCPRIM_400000_NS6detail17trampoline_kernelINS0_14default_configENS1_38merge_sort_block_merge_config_selectorIttEEZZNS1_27merge_sort_block_merge_implIS3_N6thrust23THRUST_200600_302600_NS6detail15normal_iteratorINS8_10device_ptrItEEEESD_jNS1_19radix_merge_compareILb0ELb0EtNS0_19identity_decomposerEEEEE10hipError_tT0_T1_T2_jT3_P12ihipStream_tbPNSt15iterator_traitsISI_E10value_typeEPNSO_ISJ_E10value_typeEPSK_NS1_7vsmem_tEENKUlT_SI_SJ_SK_E_clIPtSD_S10_SD_EESH_SX_SI_SJ_SK_EUlSX_E0_NS1_11comp_targetILNS1_3genE0ELNS1_11target_archE4294967295ELNS1_3gpuE0ELNS1_3repE0EEENS1_38merge_mergepath_config_static_selectorELNS0_4arch9wavefront6targetE1EEEvSJ_ ; -- Begin function _ZN7rocprim17ROCPRIM_400000_NS6detail17trampoline_kernelINS0_14default_configENS1_38merge_sort_block_merge_config_selectorIttEEZZNS1_27merge_sort_block_merge_implIS3_N6thrust23THRUST_200600_302600_NS6detail15normal_iteratorINS8_10device_ptrItEEEESD_jNS1_19radix_merge_compareILb0ELb0EtNS0_19identity_decomposerEEEEE10hipError_tT0_T1_T2_jT3_P12ihipStream_tbPNSt15iterator_traitsISI_E10value_typeEPNSO_ISJ_E10value_typeEPSK_NS1_7vsmem_tEENKUlT_SI_SJ_SK_E_clIPtSD_S10_SD_EESH_SX_SI_SJ_SK_EUlSX_E0_NS1_11comp_targetILNS1_3genE0ELNS1_11target_archE4294967295ELNS1_3gpuE0ELNS1_3repE0EEENS1_38merge_mergepath_config_static_selectorELNS0_4arch9wavefront6targetE1EEEvSJ_
	.globl	_ZN7rocprim17ROCPRIM_400000_NS6detail17trampoline_kernelINS0_14default_configENS1_38merge_sort_block_merge_config_selectorIttEEZZNS1_27merge_sort_block_merge_implIS3_N6thrust23THRUST_200600_302600_NS6detail15normal_iteratorINS8_10device_ptrItEEEESD_jNS1_19radix_merge_compareILb0ELb0EtNS0_19identity_decomposerEEEEE10hipError_tT0_T1_T2_jT3_P12ihipStream_tbPNSt15iterator_traitsISI_E10value_typeEPNSO_ISJ_E10value_typeEPSK_NS1_7vsmem_tEENKUlT_SI_SJ_SK_E_clIPtSD_S10_SD_EESH_SX_SI_SJ_SK_EUlSX_E0_NS1_11comp_targetILNS1_3genE0ELNS1_11target_archE4294967295ELNS1_3gpuE0ELNS1_3repE0EEENS1_38merge_mergepath_config_static_selectorELNS0_4arch9wavefront6targetE1EEEvSJ_
	.p2align	8
	.type	_ZN7rocprim17ROCPRIM_400000_NS6detail17trampoline_kernelINS0_14default_configENS1_38merge_sort_block_merge_config_selectorIttEEZZNS1_27merge_sort_block_merge_implIS3_N6thrust23THRUST_200600_302600_NS6detail15normal_iteratorINS8_10device_ptrItEEEESD_jNS1_19radix_merge_compareILb0ELb0EtNS0_19identity_decomposerEEEEE10hipError_tT0_T1_T2_jT3_P12ihipStream_tbPNSt15iterator_traitsISI_E10value_typeEPNSO_ISJ_E10value_typeEPSK_NS1_7vsmem_tEENKUlT_SI_SJ_SK_E_clIPtSD_S10_SD_EESH_SX_SI_SJ_SK_EUlSX_E0_NS1_11comp_targetILNS1_3genE0ELNS1_11target_archE4294967295ELNS1_3gpuE0ELNS1_3repE0EEENS1_38merge_mergepath_config_static_selectorELNS0_4arch9wavefront6targetE1EEEvSJ_,@function
_ZN7rocprim17ROCPRIM_400000_NS6detail17trampoline_kernelINS0_14default_configENS1_38merge_sort_block_merge_config_selectorIttEEZZNS1_27merge_sort_block_merge_implIS3_N6thrust23THRUST_200600_302600_NS6detail15normal_iteratorINS8_10device_ptrItEEEESD_jNS1_19radix_merge_compareILb0ELb0EtNS0_19identity_decomposerEEEEE10hipError_tT0_T1_T2_jT3_P12ihipStream_tbPNSt15iterator_traitsISI_E10value_typeEPNSO_ISJ_E10value_typeEPSK_NS1_7vsmem_tEENKUlT_SI_SJ_SK_E_clIPtSD_S10_SD_EESH_SX_SI_SJ_SK_EUlSX_E0_NS1_11comp_targetILNS1_3genE0ELNS1_11target_archE4294967295ELNS1_3gpuE0ELNS1_3repE0EEENS1_38merge_mergepath_config_static_selectorELNS0_4arch9wavefront6targetE1EEEvSJ_: ; @_ZN7rocprim17ROCPRIM_400000_NS6detail17trampoline_kernelINS0_14default_configENS1_38merge_sort_block_merge_config_selectorIttEEZZNS1_27merge_sort_block_merge_implIS3_N6thrust23THRUST_200600_302600_NS6detail15normal_iteratorINS8_10device_ptrItEEEESD_jNS1_19radix_merge_compareILb0ELb0EtNS0_19identity_decomposerEEEEE10hipError_tT0_T1_T2_jT3_P12ihipStream_tbPNSt15iterator_traitsISI_E10value_typeEPNSO_ISJ_E10value_typeEPSK_NS1_7vsmem_tEENKUlT_SI_SJ_SK_E_clIPtSD_S10_SD_EESH_SX_SI_SJ_SK_EUlSX_E0_NS1_11comp_targetILNS1_3genE0ELNS1_11target_archE4294967295ELNS1_3gpuE0ELNS1_3repE0EEENS1_38merge_mergepath_config_static_selectorELNS0_4arch9wavefront6targetE1EEEvSJ_
; %bb.0:
	s_load_dwordx2 s[28:29], s[0:1], 0x40
	s_load_dword s5, s[0:1], 0x30
	s_add_u32 s12, s0, 64
	s_addc_u32 s13, s1, 0
	s_waitcnt lgkmcnt(0)
	s_mul_i32 s4, s29, s4
	s_add_i32 s3, s4, s3
	s_mul_i32 s3, s3, s28
	s_add_i32 s26, s3, s2
	s_cmp_ge_u32 s26, s5
	s_cbranch_scc1 .LBB850_70
; %bb.1:
	s_load_dwordx8 s[16:23], s[0:1], 0x10
	s_load_dwordx2 s[8:9], s[0:1], 0x8
	s_load_dwordx2 s[4:5], s[0:1], 0x38
	s_mov_b32 s27, 0
	s_mov_b32 s11, s27
	s_waitcnt lgkmcnt(0)
	s_lshr_b32 s29, s22, 10
	s_cmp_lg_u32 s26, s29
	s_cselect_b64 s[24:25], -1, 0
	s_lshl_b64 s[0:1], s[26:27], 2
	s_add_u32 s0, s4, s0
	s_addc_u32 s1, s5, s1
	s_load_dwordx2 s[4:5], s[0:1], 0x0
	s_lshr_b32 s0, s23, 9
	s_and_b32 s0, s0, 0x7ffffe
	s_sub_i32 s0, 0, s0
	s_and_b32 s1, s26, s0
	s_lshl_b32 s3, s1, 10
	s_lshl_b32 s14, s26, 10
	;; [unrolled: 1-line block ×3, first 2 shown]
	s_sub_i32 s6, s14, s3
	s_add_i32 s1, s1, s23
	s_add_i32 s6, s1, s6
	s_waitcnt lgkmcnt(0)
	s_sub_i32 s7, s6, s4
	s_sub_i32 s6, s6, s5
	;; [unrolled: 1-line block ×3, first 2 shown]
	s_min_u32 s10, s22, s7
	s_addk_i32 s6, 0x400
	s_or_b32 s0, s26, s0
	s_min_u32 s3, s22, s1
	s_add_i32 s1, s1, s23
	s_cmp_eq_u32 s0, -1
	s_cselect_b32 s0, s1, s6
	s_cselect_b32 s1, s3, s5
	s_mov_b32 s5, s27
	s_min_u32 s23, s0, s22
	s_sub_i32 s15, s1, s4
	s_lshl_b64 s[0:1], s[4:5], 1
	s_add_u32 s6, s8, s0
	s_addc_u32 s7, s9, s1
	s_lshl_b64 s[4:5], s[10:11], 1
	s_add_u32 s8, s8, s4
	s_addc_u32 s9, s9, s5
	s_cmp_lt_u32 s2, s28
	v_mov_b32_e32 v11, 0
	s_cselect_b32 s2, 12, 18
	global_load_dword v1, v11, s[12:13] offset:14
	s_add_u32 s2, s12, s2
	s_addc_u32 s3, s13, 0
	global_load_ushort v2, v11, s[2:3]
	s_cmp_eq_u32 s26, s29
	v_lshlrev_b32_e32 v10, 1, v0
	s_waitcnt vmcnt(1)
	v_lshrrev_b32_e32 v3, 16, v1
	v_and_b32_e32 v1, 0xffff, v1
	v_mul_lo_u32 v1, v1, v3
	s_waitcnt vmcnt(0)
	v_mul_lo_u32 v1, v1, v2
	v_add_u32_e32 v14, v1, v0
	v_add_u32_e32 v12, v14, v1
	s_cbranch_scc1 .LBB850_3
; %bb.2:
	v_subrev_co_u32_e32 v4, vcc, s15, v0
	v_mov_b32_e32 v5, v11
	v_lshl_add_u64 v[2:3], s[6:7], 0, v[10:11]
	v_lshl_add_u64 v[4:5], v[4:5], 1, s[8:9]
	v_cndmask_b32_e32 v3, v5, v3, vcc
	v_cndmask_b32_e32 v2, v4, v2, vcc
	v_mov_b32_e32 v15, v11
	v_subrev_co_u32_e32 v4, vcc, s15, v14
	v_mov_b32_e32 v5, v11
	global_load_ushort v8, v[2:3], off
	v_lshl_add_u64 v[2:3], v[14:15], 1, s[6:7]
	v_lshl_add_u64 v[4:5], v[4:5], 1, s[8:9]
	v_cndmask_b32_e32 v3, v5, v3, vcc
	v_cndmask_b32_e32 v2, v4, v2, vcc
	v_mov_b32_e32 v13, v11
	v_subrev_co_u32_e32 v4, vcc, s15, v12
	v_mov_b32_e32 v5, v11
	global_load_ushort v9, v[2:3], off
	v_lshl_add_u64 v[2:3], v[12:13], 1, s[6:7]
	v_lshl_add_u64 v[4:5], v[4:5], 1, s[8:9]
	v_cndmask_b32_e32 v3, v5, v3, vcc
	v_cndmask_b32_e32 v2, v4, v2, vcc
	global_load_ushort v13, v[2:3], off
	v_add_u32_e32 v2, v12, v1
	v_mov_b32_e32 v3, v11
	v_subrev_co_u32_e32 v6, vcc, s15, v2
	v_mov_b32_e32 v7, v11
	v_lshl_add_u64 v[4:5], v[2:3], 1, s[6:7]
	v_lshl_add_u64 v[6:7], v[6:7], 1, s[8:9]
	v_add_u32_e32 v2, v2, v1
	v_cndmask_b32_e32 v5, v7, v5, vcc
	v_cndmask_b32_e32 v4, v6, v4, vcc
	v_subrev_co_u32_e32 v6, vcc, s15, v2
	v_mov_b32_e32 v7, v11
	global_load_ushort v15, v[4:5], off
	v_lshl_add_u64 v[4:5], v[2:3], 1, s[6:7]
	v_lshl_add_u64 v[6:7], v[6:7], 1, s[8:9]
	v_add_u32_e32 v2, v2, v1
	v_cndmask_b32_e32 v5, v7, v5, vcc
	v_cndmask_b32_e32 v4, v6, v4, vcc
	v_subrev_co_u32_e32 v6, vcc, s15, v2
	v_mov_b32_e32 v7, v11
	global_load_ushort v16, v[4:5], off
	;; [unrolled: 8-line block ×3, first 2 shown]
	v_lshl_add_u64 v[4:5], v[2:3], 1, s[6:7]
	v_lshl_add_u64 v[6:7], v[6:7], 1, s[8:9]
	v_cndmask_b32_e32 v5, v7, v5, vcc
	v_cndmask_b32_e32 v4, v6, v4, vcc
	global_load_ushort v5, v[4:5], off
	s_mov_b32 s2, 0x5040100
	v_add_u32_e32 v6, v2, v1
	s_waitcnt vmcnt(5)
	v_perm_b32 v2, v9, v8, s2
	s_waitcnt vmcnt(3)
	v_perm_b32 v3, v15, v13, s2
	;; [unrolled: 2-line block ×3, first 2 shown]
	s_mov_b64 s[2:3], -1
	s_sub_i32 s12, s23, s10
	s_cbranch_execz .LBB850_4
	s_branch .LBB850_17
.LBB850_3:
	s_mov_b64 s[2:3], 0
                                        ; implicit-def: $vgpr6
                                        ; implicit-def: $vgpr2_vgpr3_vgpr4_vgpr5
	s_sub_i32 s12, s23, s10
.LBB850_4:
	s_add_i32 s10, s12, s15
	v_mov_b32_e32 v2, 0
	v_cmp_gt_u32_e32 vcc, s10, v0
	v_mov_b32_e32 v3, v2
	v_mov_b32_e32 v4, v2
	s_waitcnt vmcnt(0)
	v_mov_b32_e32 v5, v2
	s_and_saveexec_b64 s[2:3], vcc
	s_cbranch_execnz .LBB850_71
; %bb.5:
	s_or_b64 exec, exec, s[2:3]
	v_cmp_gt_u32_e32 vcc, s10, v14
	s_and_saveexec_b64 s[2:3], vcc
	s_cbranch_execnz .LBB850_72
.LBB850_6:
	s_or_b64 exec, exec, s[2:3]
	v_cmp_gt_u32_e32 vcc, s10, v12
	s_and_saveexec_b64 s[2:3], vcc
	s_cbranch_execz .LBB850_8
.LBB850_7:
	v_mov_b32_e32 v13, 0
	v_subrev_co_u32_e32 v8, vcc, s15, v12
	v_mov_b32_e32 v9, v13
	v_lshl_add_u64 v[6:7], v[12:13], 1, s[6:7]
	v_lshl_add_u64 v[8:9], v[8:9], 1, s[8:9]
	v_cndmask_b32_e32 v7, v9, v7, vcc
	v_cndmask_b32_e32 v6, v8, v6, vcc
	global_load_ushort v6, v[6:7], off
	s_mov_b32 s11, 0xffff
	s_waitcnt vmcnt(0)
	v_bfi_b32 v3, s11, v6, v3
.LBB850_8:
	s_or_b64 exec, exec, s[2:3]
	v_add_u32_e32 v6, v12, v1
	v_cmp_gt_u32_e32 vcc, s10, v6
	s_and_saveexec_b64 s[2:3], vcc
	s_cbranch_execz .LBB850_10
; %bb.9:
	v_mov_b32_e32 v7, 0
	v_subrev_co_u32_e32 v16, vcc, s15, v6
	v_mov_b32_e32 v17, v7
	v_lshl_add_u64 v[8:9], v[6:7], 1, s[6:7]
	v_lshl_add_u64 v[16:17], v[16:17], 1, s[8:9]
	v_cndmask_b32_e32 v9, v17, v9, vcc
	v_cndmask_b32_e32 v8, v16, v8, vcc
	global_load_ushort v7, v[8:9], off
	s_mov_b32 s11, 0x5040100
	s_waitcnt vmcnt(0)
	v_perm_b32 v3, v7, v3, s11
.LBB850_10:
	s_or_b64 exec, exec, s[2:3]
	v_add_u32_e32 v6, v6, v1
	v_cmp_gt_u32_e32 vcc, s10, v6
	s_and_saveexec_b64 s[2:3], vcc
	s_cbranch_execz .LBB850_12
; %bb.11:
	v_mov_b32_e32 v7, 0
	v_subrev_co_u32_e32 v16, vcc, s15, v6
	v_mov_b32_e32 v17, v7
	v_lshl_add_u64 v[8:9], v[6:7], 1, s[6:7]
	v_lshl_add_u64 v[16:17], v[16:17], 1, s[8:9]
	v_cndmask_b32_e32 v9, v17, v9, vcc
	v_cndmask_b32_e32 v8, v16, v8, vcc
	global_load_ushort v7, v[8:9], off
	s_mov_b32 s11, 0xffff
	s_waitcnt vmcnt(0)
	v_bfi_b32 v4, s11, v7, v4
.LBB850_12:
	s_or_b64 exec, exec, s[2:3]
	v_add_u32_e32 v6, v6, v1
	v_cmp_gt_u32_e32 vcc, s10, v6
	s_and_saveexec_b64 s[2:3], vcc
	s_cbranch_execz .LBB850_14
; %bb.13:
	v_mov_b32_e32 v7, 0
	v_subrev_co_u32_e32 v16, vcc, s15, v6
	v_mov_b32_e32 v17, v7
	v_lshl_add_u64 v[8:9], v[6:7], 1, s[6:7]
	v_lshl_add_u64 v[16:17], v[16:17], 1, s[8:9]
	v_cndmask_b32_e32 v9, v17, v9, vcc
	v_cndmask_b32_e32 v8, v16, v8, vcc
	global_load_ushort v7, v[8:9], off
	s_mov_b32 s11, 0x5040100
	s_waitcnt vmcnt(0)
	v_perm_b32 v4, v7, v4, s11
.LBB850_14:
	s_or_b64 exec, exec, s[2:3]
	v_add_u32_e32 v6, v6, v1
	v_cmp_gt_u32_e32 vcc, s10, v6
	s_and_saveexec_b64 s[2:3], vcc
	s_cbranch_execz .LBB850_16
; %bb.15:
	v_mov_b32_e32 v7, 0
	v_subrev_co_u32_e32 v16, vcc, s15, v6
	v_mov_b32_e32 v17, v7
	v_lshl_add_u64 v[8:9], v[6:7], 1, s[6:7]
	v_lshl_add_u64 v[16:17], v[16:17], 1, s[8:9]
	v_cndmask_b32_e32 v9, v17, v9, vcc
	v_cndmask_b32_e32 v8, v16, v8, vcc
	global_load_ushort v7, v[8:9], off
	s_mov_b32 s11, 0xffff
	s_waitcnt vmcnt(0)
	v_bfi_b32 v5, s11, v7, v5
.LBB850_16:
	s_or_b64 exec, exec, s[2:3]
	v_add_u32_e32 v6, v6, v1
	v_cmp_gt_u32_e64 s[2:3], s10, v6
.LBB850_17:
	s_and_saveexec_b64 s[10:11], s[2:3]
	s_cbranch_execz .LBB850_19
; %bb.18:
	v_mov_b32_e32 v7, 0
	v_lshl_add_u64 v[8:9], v[6:7], 1, s[6:7]
	v_subrev_co_u32_e32 v6, vcc, s15, v6
	v_lshl_add_u64 v[6:7], v[6:7], 1, s[8:9]
	s_nop 0
	v_cndmask_b32_e32 v7, v7, v9, vcc
	v_cndmask_b32_e32 v6, v6, v8, vcc
	global_load_ushort v6, v[6:7], off
	s_mov_b32 s2, 0x5040100
	s_waitcnt vmcnt(0)
	v_perm_b32 v5, v6, v5, s2
.LBB850_19:
	s_or_b64 exec, exec, s[10:11]
	s_add_u32 s0, s18, s0
	s_addc_u32 s1, s19, s1
	s_add_u32 s2, s18, s4
	v_mov_b32_e32 v11, 0
	v_lshrrev_b32_e32 v16, 16, v2
	v_lshrrev_b32_e32 v17, 16, v3
	;; [unrolled: 1-line block ×3, first 2 shown]
	s_waitcnt vmcnt(0)
	v_lshrrev_b32_e32 v19, 16, v5
	s_addc_u32 s3, s19, s5
	s_andn2_b64 vcc, exec, s[24:25]
	ds_write_b16 v10, v2
	ds_write_b16 v10, v16 offset:256
	ds_write_b16 v10, v3 offset:512
	;; [unrolled: 1-line block ×7, first 2 shown]
	s_cbranch_vccnz .LBB850_21
; %bb.20:
	v_subrev_co_u32_e32 v8, vcc, s15, v0
	v_mov_b32_e32 v9, v11
	v_lshl_add_u64 v[6:7], s[0:1], 0, v[10:11]
	v_lshl_add_u64 v[8:9], v[8:9], 1, s[2:3]
	v_cndmask_b32_e32 v7, v9, v7, vcc
	v_cndmask_b32_e32 v6, v8, v6, vcc
	v_mov_b32_e32 v15, v11
	v_subrev_co_u32_e32 v8, vcc, s15, v14
	v_mov_b32_e32 v9, v11
	global_load_ushort v22, v[6:7], off
	v_lshl_add_u64 v[6:7], v[14:15], 1, s[0:1]
	v_lshl_add_u64 v[8:9], v[8:9], 1, s[2:3]
	v_cndmask_b32_e32 v7, v9, v7, vcc
	v_cndmask_b32_e32 v6, v8, v6, vcc
	v_mov_b32_e32 v13, v11
	v_subrev_co_u32_e32 v8, vcc, s15, v12
	v_mov_b32_e32 v9, v11
	global_load_ushort v15, v[6:7], off
	v_lshl_add_u64 v[6:7], v[12:13], 1, s[0:1]
	v_lshl_add_u64 v[8:9], v[8:9], 1, s[2:3]
	v_cndmask_b32_e32 v7, v9, v7, vcc
	v_cndmask_b32_e32 v6, v8, v6, vcc
	global_load_ushort v13, v[6:7], off
	v_add_u32_e32 v6, v12, v1
	v_mov_b32_e32 v7, v11
	v_subrev_co_u32_e32 v20, vcc, s15, v6
	v_mov_b32_e32 v21, v11
	v_lshl_add_u64 v[8:9], v[6:7], 1, s[0:1]
	v_lshl_add_u64 v[20:21], v[20:21], 1, s[2:3]
	v_add_u32_e32 v6, v6, v1
	v_cndmask_b32_e32 v9, v21, v9, vcc
	v_cndmask_b32_e32 v8, v20, v8, vcc
	v_subrev_co_u32_e32 v20, vcc, s15, v6
	v_mov_b32_e32 v21, v11
	global_load_ushort v23, v[8:9], off
	v_lshl_add_u64 v[8:9], v[6:7], 1, s[0:1]
	v_lshl_add_u64 v[20:21], v[20:21], 1, s[2:3]
	v_add_u32_e32 v6, v6, v1
	v_cndmask_b32_e32 v9, v21, v9, vcc
	v_cndmask_b32_e32 v8, v20, v8, vcc
	v_subrev_co_u32_e32 v20, vcc, s15, v6
	v_mov_b32_e32 v21, v11
	global_load_ushort v24, v[8:9], off
	;; [unrolled: 8-line block ×3, first 2 shown]
	v_lshl_add_u64 v[8:9], v[6:7], 1, s[0:1]
	v_lshl_add_u64 v[20:21], v[20:21], 1, s[2:3]
	v_cndmask_b32_e32 v9, v21, v9, vcc
	v_cndmask_b32_e32 v8, v20, v8, vcc
	v_add_u32_e32 v6, v6, v1
	global_load_ushort v20, v[8:9], off
	v_lshl_add_u64 v[8:9], v[6:7], 1, s[0:1]
	v_subrev_co_u32_e32 v6, vcc, s15, v6
	v_lshl_add_u64 v[6:7], v[6:7], 1, s[2:3]
	s_nop 0
	v_cndmask_b32_e32 v7, v7, v9, vcc
	v_cndmask_b32_e32 v6, v6, v8, vcc
	global_load_ushort v9, v[6:7], off
	s_mov_b32 s4, 0x5040100
	s_add_i32 s23, s12, s15
	s_waitcnt vmcnt(6)
	v_perm_b32 v6, v15, v22, s4
	s_waitcnt vmcnt(4)
	v_perm_b32 v7, v23, v13, s4
	;; [unrolled: 2-line block ×4, first 2 shown]
	s_cbranch_execz .LBB850_22
	s_branch .LBB850_37
.LBB850_21:
                                        ; implicit-def: $vgpr6_vgpr7_vgpr8_vgpr9
                                        ; implicit-def: $sgpr23
.LBB850_22:
	s_add_i32 s23, s12, s15
	v_mov_b32_e32 v6, 0
	v_cmp_gt_u32_e32 vcc, s23, v0
	v_mov_b32_e32 v7, v6
	v_mov_b32_e32 v8, v6
	;; [unrolled: 1-line block ×3, first 2 shown]
	s_and_saveexec_b64 s[4:5], vcc
	s_cbranch_execnz .LBB850_73
; %bb.23:
	s_or_b64 exec, exec, s[4:5]
	v_cmp_gt_u32_e32 vcc, s23, v14
	s_and_saveexec_b64 s[4:5], vcc
	s_cbranch_execnz .LBB850_74
.LBB850_24:
	s_or_b64 exec, exec, s[4:5]
	v_cmp_gt_u32_e32 vcc, s23, v12
	s_and_saveexec_b64 s[4:5], vcc
	s_cbranch_execz .LBB850_26
.LBB850_25:
	v_mov_b32_e32 v13, 0
	v_subrev_co_u32_e32 v20, vcc, s15, v12
	v_mov_b32_e32 v21, v13
	v_lshl_add_u64 v[14:15], v[12:13], 1, s[0:1]
	v_lshl_add_u64 v[20:21], v[20:21], 1, s[2:3]
	v_cndmask_b32_e32 v15, v21, v15, vcc
	v_cndmask_b32_e32 v14, v20, v14, vcc
	global_load_ushort v11, v[14:15], off
	s_mov_b32 s6, 0xffff
	s_waitcnt vmcnt(0)
	v_bfi_b32 v7, s6, v11, v7
.LBB850_26:
	s_or_b64 exec, exec, s[4:5]
	v_add_u32_e32 v12, v12, v1
	v_cmp_gt_u32_e32 vcc, s23, v12
	s_and_saveexec_b64 s[4:5], vcc
	s_cbranch_execz .LBB850_28
; %bb.27:
	v_mov_b32_e32 v13, 0
	v_subrev_co_u32_e32 v20, vcc, s15, v12
	v_mov_b32_e32 v21, v13
	v_lshl_add_u64 v[14:15], v[12:13], 1, s[0:1]
	v_lshl_add_u64 v[20:21], v[20:21], 1, s[2:3]
	v_cndmask_b32_e32 v15, v21, v15, vcc
	v_cndmask_b32_e32 v14, v20, v14, vcc
	global_load_ushort v11, v[14:15], off
	s_mov_b32 s6, 0x5040100
	s_waitcnt vmcnt(0)
	v_perm_b32 v7, v11, v7, s6
.LBB850_28:
	s_or_b64 exec, exec, s[4:5]
	v_add_u32_e32 v12, v12, v1
	v_cmp_gt_u32_e32 vcc, s23, v12
	s_and_saveexec_b64 s[4:5], vcc
	s_cbranch_execz .LBB850_30
; %bb.29:
	v_mov_b32_e32 v13, 0
	v_subrev_co_u32_e32 v20, vcc, s15, v12
	v_mov_b32_e32 v21, v13
	v_lshl_add_u64 v[14:15], v[12:13], 1, s[0:1]
	v_lshl_add_u64 v[20:21], v[20:21], 1, s[2:3]
	v_cndmask_b32_e32 v15, v21, v15, vcc
	v_cndmask_b32_e32 v14, v20, v14, vcc
	global_load_ushort v11, v[14:15], off
	s_mov_b32 s6, 0xffff
	s_waitcnt vmcnt(0)
	v_bfi_b32 v8, s6, v11, v8
.LBB850_30:
	s_or_b64 exec, exec, s[4:5]
	v_add_u32_e32 v12, v12, v1
	v_cmp_gt_u32_e32 vcc, s23, v12
	s_and_saveexec_b64 s[4:5], vcc
	s_cbranch_execz .LBB850_32
; %bb.31:
	v_mov_b32_e32 v13, 0
	v_subrev_co_u32_e32 v20, vcc, s15, v12
	v_mov_b32_e32 v21, v13
	v_lshl_add_u64 v[14:15], v[12:13], 1, s[0:1]
	v_lshl_add_u64 v[20:21], v[20:21], 1, s[2:3]
	v_cndmask_b32_e32 v15, v21, v15, vcc
	v_cndmask_b32_e32 v14, v20, v14, vcc
	global_load_ushort v11, v[14:15], off
	s_mov_b32 s6, 0x5040100
	s_waitcnt vmcnt(0)
	v_perm_b32 v8, v11, v8, s6
.LBB850_32:
	s_or_b64 exec, exec, s[4:5]
	v_add_u32_e32 v12, v12, v1
	v_cmp_gt_u32_e32 vcc, s23, v12
	s_and_saveexec_b64 s[4:5], vcc
	s_cbranch_execz .LBB850_34
; %bb.33:
	v_mov_b32_e32 v13, 0
	v_subrev_co_u32_e32 v20, vcc, s15, v12
	v_mov_b32_e32 v21, v13
	v_lshl_add_u64 v[14:15], v[12:13], 1, s[0:1]
	v_lshl_add_u64 v[20:21], v[20:21], 1, s[2:3]
	v_cndmask_b32_e32 v15, v21, v15, vcc
	v_cndmask_b32_e32 v14, v20, v14, vcc
	global_load_ushort v11, v[14:15], off
	s_mov_b32 s6, 0xffff
	s_waitcnt vmcnt(0)
	v_bfi_b32 v9, s6, v11, v9
.LBB850_34:
	s_or_b64 exec, exec, s[4:5]
	v_add_u32_e32 v12, v12, v1
	v_cmp_gt_u32_e32 vcc, s23, v12
	s_and_saveexec_b64 s[4:5], vcc
	s_cbranch_execz .LBB850_36
; %bb.35:
	v_mov_b32_e32 v13, 0
	v_lshl_add_u64 v[14:15], v[12:13], 1, s[0:1]
	v_subrev_co_u32_e32 v12, vcc, s15, v12
	v_lshl_add_u64 v[12:13], v[12:13], 1, s[2:3]
	s_nop 0
	v_cndmask_b32_e32 v13, v13, v15, vcc
	v_cndmask_b32_e32 v12, v12, v14, vcc
	global_load_ushort v1, v[12:13], off
	s_mov_b32 s0, 0x5040100
	s_waitcnt vmcnt(0)
	v_perm_b32 v9, v1, v9, s0
.LBB850_36:
	s_or_b64 exec, exec, s[4:5]
.LBB850_37:
	v_lshlrev_b32_e32 v1, 3, v0
	v_min_u32_e32 v11, s23, v1
	v_sub_u32_e64 v20, v11, s12 clamp
	v_min_u32_e32 v12, s15, v11
	v_cmp_lt_u32_e32 vcc, v20, v12
	s_waitcnt lgkmcnt(0)
	s_barrier
	s_and_saveexec_b64 s[0:1], vcc
	s_cbranch_execz .LBB850_41
; %bb.38:
	v_lshlrev_b32_e32 v13, 1, v11
	v_lshl_add_u32 v13, s15, 1, v13
	s_mov_b64 s[2:3], 0
.LBB850_39:                             ; =>This Inner Loop Header: Depth=1
	v_add_u32_e32 v14, v12, v20
	v_lshrrev_b32_e32 v15, 1, v14
	v_not_b32_e32 v21, v15
	v_and_b32_e32 v14, -2, v14
	v_lshl_add_u32 v21, v21, 1, v13
	ds_read_u16 v14, v14
	ds_read_u16 v21, v21
	v_add_u32_e32 v22, 1, v15
	s_waitcnt lgkmcnt(0)
	v_cmp_gt_u16_e32 vcc, v14, v21
	s_nop 1
	v_cndmask_b32_e32 v12, v12, v15, vcc
	v_cndmask_b32_e32 v20, v22, v20, vcc
	v_cmp_ge_u32_e32 vcc, v20, v12
	s_or_b64 s[2:3], vcc, s[2:3]
	s_andn2_b64 exec, exec, s[2:3]
	s_cbranch_execnz .LBB850_39
; %bb.40:
	s_or_b64 exec, exec, s[2:3]
.LBB850_41:
	s_or_b64 exec, exec, s[0:1]
	v_sub_u32_e32 v11, v11, v20
	v_add_u32_e32 v24, s15, v11
	v_cmp_ge_u32_e32 vcc, s15, v20
	v_cmp_ge_u32_e64 s[0:1], s23, v24
	s_or_b64 s[0:1], vcc, s[0:1]
	v_mov_b32_e32 v23, 0
	v_mov_b32_e32 v22, 0
	;; [unrolled: 1-line block ×8, first 2 shown]
	s_and_saveexec_b64 s[18:19], s[0:1]
	s_cbranch_execz .LBB850_47
; %bb.42:
	v_cmp_gt_u32_e32 vcc, s15, v20
                                        ; implicit-def: $vgpr2
	s_and_saveexec_b64 s[0:1], vcc
; %bb.43:
	v_lshlrev_b32_e32 v2, 1, v20
	ds_read_u16 v2, v2
; %bb.44:
	s_or_b64 exec, exec, s[0:1]
	v_cmp_le_u32_e64 s[0:1], s23, v24
	v_cmp_gt_u32_e64 s[2:3], s23, v24
                                        ; implicit-def: $vgpr3
	s_and_saveexec_b64 s[4:5], s[2:3]
; %bb.45:
	v_lshlrev_b32_e32 v3, 1, v24
	ds_read_u16 v3, v3
; %bb.46:
	s_or_b64 exec, exec, s[4:5]
	s_waitcnt lgkmcnt(0)
	v_cmp_le_u16_e64 s[2:3], v2, v3
	s_and_b64 s[2:3], vcc, s[2:3]
	s_or_b64 vcc, s[0:1], s[2:3]
	v_mov_b32_e32 v4, s23
	v_mov_b32_e32 v5, s15
	v_cndmask_b32_e32 v11, v24, v20, vcc
	v_cndmask_b32_e32 v12, v4, v5, vcc
	v_add_u32_e32 v13, 1, v11
	v_add_u32_e32 v12, -1, v12
	v_min_u32_e32 v12, v13, v12
	v_lshlrev_b32_e32 v12, 1, v12
	ds_read_u16 v12, v12
	v_cndmask_b32_e32 v14, v13, v24, vcc
	v_cndmask_b32_e32 v13, v20, v13, vcc
	v_cmp_gt_u32_e64 s[2:3], s15, v13
	v_cmp_le_u32_e64 s[0:1], s23, v14
	s_waitcnt lgkmcnt(0)
	v_cndmask_b32_e32 v16, v12, v3, vcc
	v_cndmask_b32_e32 v17, v2, v12, vcc
	v_cmp_le_u16_e64 s[4:5], v17, v16
	s_and_b64 s[2:3], s[2:3], s[4:5]
	s_or_b64 s[0:1], s[0:1], s[2:3]
	v_cndmask_b32_e64 v12, v14, v13, s[0:1]
	v_cndmask_b32_e64 v15, v4, v5, s[0:1]
	v_add_u32_e32 v18, 1, v12
	v_add_u32_e32 v15, -1, v15
	v_min_u32_e32 v15, v18, v15
	v_lshlrev_b32_e32 v15, 1, v15
	ds_read_u16 v15, v15
	v_cndmask_b32_e64 v14, v18, v14, s[0:1]
	v_cmp_le_u32_e64 s[2:3], s23, v14
	v_cndmask_b32_e32 v2, v3, v2, vcc
	s_waitcnt lgkmcnt(0)
	v_cndmask_b32_e64 v19, v15, v16, s[0:1]
	v_cndmask_b32_e64 v20, v17, v15, s[0:1]
	;; [unrolled: 1-line block ×3, first 2 shown]
	v_cmp_gt_u32_e64 s[4:5], s15, v15
	v_cmp_le_u16_e64 s[6:7], v20, v19
	s_and_b64 s[4:5], s[4:5], s[6:7]
	s_or_b64 s[2:3], s[2:3], s[4:5]
	v_cndmask_b32_e64 v13, v14, v15, s[2:3]
	v_cndmask_b32_e64 v18, v4, v5, s[2:3]
	v_add_u32_e32 v21, 1, v13
	v_add_u32_e32 v18, -1, v18
	v_min_u32_e32 v18, v21, v18
	v_lshlrev_b32_e32 v18, 1, v18
	ds_read_u16 v18, v18
	v_cndmask_b32_e64 v15, v15, v21, s[2:3]
	v_cndmask_b32_e64 v22, v21, v14, s[2:3]
	v_cmp_gt_u32_e64 s[6:7], s15, v15
	v_cmp_le_u32_e64 s[4:5], s23, v22
	s_waitcnt lgkmcnt(0)
	v_cndmask_b32_e64 v23, v18, v19, s[2:3]
	v_cndmask_b32_e64 v18, v20, v18, s[2:3]
	v_cmp_le_u16_e64 s[8:9], v18, v23
	s_and_b64 s[6:7], s[6:7], s[8:9]
	s_or_b64 s[4:5], s[4:5], s[6:7]
	v_cndmask_b32_e64 v14, v22, v15, s[4:5]
	v_cndmask_b32_e64 v21, v4, v5, s[4:5]
	v_add_u32_e32 v24, 1, v14
	v_add_u32_e32 v21, -1, v21
	v_min_u32_e32 v21, v24, v21
	v_lshlrev_b32_e32 v21, 1, v21
	ds_read_u16 v21, v21
	v_cndmask_b32_e64 v3, v19, v20, s[2:3]
	v_cndmask_b32_e64 v16, v16, v17, s[0:1]
	;; [unrolled: 1-line block ×3, first 2 shown]
	s_waitcnt lgkmcnt(0)
	v_cndmask_b32_e64 v25, v21, v23, s[4:5]
	v_cndmask_b32_e64 v26, v18, v21, s[4:5]
	;; [unrolled: 1-line block ×4, first 2 shown]
	v_cmp_gt_u32_e64 s[8:9], s15, v22
	v_cmp_le_u16_e64 s[10:11], v26, v25
	v_cmp_le_u32_e64 s[6:7], s23, v21
	s_and_b64 s[8:9], s[8:9], s[10:11]
	s_or_b64 s[6:7], s[6:7], s[8:9]
	v_cndmask_b32_e64 v15, v21, v22, s[6:7]
	v_cndmask_b32_e64 v24, v4, v5, s[6:7]
	v_add_u32_e32 v27, 1, v15
	v_add_u32_e32 v24, -1, v24
	v_min_u32_e32 v24, v27, v24
	v_lshlrev_b32_e32 v24, 1, v24
	ds_read_u16 v24, v24
	v_cndmask_b32_e64 v22, v22, v27, s[6:7]
	v_cndmask_b32_e64 v29, v27, v21, s[6:7]
	v_cmp_gt_u32_e64 s[10:11], s15, v22
	v_cmp_le_u32_e64 s[8:9], s23, v29
	s_waitcnt lgkmcnt(0)
	v_cndmask_b32_e64 v28, v24, v25, s[6:7]
	v_cndmask_b32_e64 v24, v26, v24, s[6:7]
	v_cmp_le_u16_e64 s[12:13], v24, v28
	s_and_b64 s[10:11], s[10:11], s[12:13]
	s_or_b64 s[8:9], s[8:9], s[10:11]
	v_cndmask_b32_e64 v21, v29, v22, s[8:9]
	v_cndmask_b32_e64 v27, v4, v5, s[8:9]
	v_add_u32_e32 v30, 1, v21
	v_add_u32_e32 v27, -1, v27
	v_min_u32_e32 v27, v30, v27
	v_lshlrev_b32_e32 v27, 1, v27
	ds_read_u16 v27, v27
	v_cndmask_b32_e64 v18, v28, v24, s[8:9]
	s_waitcnt lgkmcnt(0)
	v_cndmask_b32_e64 v19, v27, v28, s[8:9]
	v_cndmask_b32_e64 v20, v24, v27, s[8:9]
	;; [unrolled: 1-line block ×4, first 2 shown]
	v_cmp_gt_u32_e64 s[0:1], s15, v29
	v_cmp_le_u16_e64 s[2:3], v20, v19
	v_cmp_le_u32_e32 vcc, s23, v27
	s_and_b64 s[0:1], s[0:1], s[2:3]
	s_or_b64 vcc, vcc, s[0:1]
	v_cndmask_b32_e32 v22, v27, v29, vcc
	v_cndmask_b32_e32 v4, v4, v5, vcc
	v_add_u32_e32 v30, 1, v22
	v_add_u32_e32 v4, -1, v4
	v_min_u32_e32 v4, v30, v4
	v_lshlrev_b32_e32 v4, 1, v4
	ds_read_u16 v31, v4
	v_cndmask_b32_e32 v5, v19, v20, vcc
	v_cndmask_b32_e32 v24, v29, v30, vcc
	;; [unrolled: 1-line block ×3, first 2 shown]
	v_cmp_gt_u32_e64 s[0:1], s15, v24
	s_waitcnt lgkmcnt(0)
	v_cndmask_b32_e32 v19, v31, v19, vcc
	v_cndmask_b32_e32 v20, v20, v31, vcc
	v_cmp_le_u16_e64 s[2:3], v20, v19
	v_cmp_le_u32_e32 vcc, s23, v23
	s_and_b64 s[0:1], s[0:1], s[2:3]
	s_or_b64 vcc, vcc, s[0:1]
	v_cndmask_b32_e64 v4, v25, v26, s[6:7]
	v_cndmask_b32_e32 v23, v23, v24, vcc
	v_cndmask_b32_e32 v19, v19, v20, vcc
.LBB850_47:
	s_or_b64 exec, exec, s[18:19]
	s_barrier
	ds_write_b16 v10, v6
	ds_write_b16_d16_hi v10, v6 offset:256
	ds_write_b16 v10, v7 offset:512
	ds_write_b16_d16_hi v10, v7 offset:768
	ds_write_b16 v10, v8 offset:1024
	;; [unrolled: 2-line block ×3, first 2 shown]
	ds_write_b16_d16_hi v10, v9 offset:1792
	v_lshlrev_b32_e32 v6, 1, v11
	v_lshlrev_b32_e32 v7, 1, v12
	;; [unrolled: 1-line block ×7, first 2 shown]
	s_waitcnt lgkmcnt(0)
	s_barrier
	v_lshlrev_b32_e32 v20, 1, v23
	ds_read_u16 v6, v6
	ds_read_u16 v7, v7
	;; [unrolled: 1-line block ×8, first 2 shown]
	v_lshrrev_b32_e32 v11, 1, v0
	v_and_b32_e32 v11, 60, v11
	s_mov_b32 s0, 0x5040100
	v_lshl_add_u32 v1, v1, 1, v11
	v_perm_b32 v3, v17, v3, s0
	v_perm_b32 v2, v16, v2, s0
	s_waitcnt lgkmcnt(0)
	s_barrier
	s_barrier
	ds_write2_b32 v1, v2, v3 offset1:1
	v_perm_b32 v2, v19, v5, s0
	v_perm_b32 v3, v18, v4, s0
	ds_write2_b32 v1, v3, v2 offset0:2 offset1:3
	v_lshrrev_b32_e32 v2, 4, v0
	v_and_b32_e32 v2, 4, v2
	v_or_b32_e32 v28, 0x80, v0
	v_add_u32_e32 v4, v2, v10
	v_lshrrev_b32_e32 v2, 4, v28
	v_and_b32_e32 v2, 12, v2
	v_or_b32_e32 v27, 0x100, v0
	v_add_u32_e32 v5, v2, v10
	;; [unrolled: 4-line block ×5, first 2 shown]
	v_lshrrev_b32_e32 v2, 4, v24
	v_and_b32_e32 v2, 44, v2
	v_or_b32_e32 v23, 0x300, v0
	s_mov_b32 s15, 0
	v_add_u32_e32 v19, v2, v10
	v_lshrrev_b32_e32 v2, 4, v23
	s_lshl_b64 s[12:13], s[14:15], 1
	v_and_b32_e32 v2, 52, v2
	v_or_b32_e32 v22, 0x380, v0
	s_add_u32 s2, s16, s12
	v_add_u32_e32 v20, v2, v10
	v_lshrrev_b32_e32 v2, 4, v22
	s_addc_u32 s3, s17, s13
	v_and_b32_e32 v2, 60, v2
	v_mov_b32_e32 v11, 0
	v_add_u32_e32 v21, v2, v10
	v_lshl_add_u64 v[2:3], s[2:3], 0, v[10:11]
	s_and_b64 vcc, exec, s[24:25]
	s_waitcnt lgkmcnt(0)
	s_cbranch_vccz .LBB850_49
; %bb.48:
	s_barrier
	ds_read_u16 v11, v4
	ds_read_u16 v29, v5 offset:256
	ds_read_u16 v30, v16 offset:512
	;; [unrolled: 1-line block ×7, first 2 shown]
	s_add_u32 s2, s20, s12
	s_addc_u32 s3, s21, s13
	s_waitcnt lgkmcnt(7)
	global_store_short v[2:3], v11, off
	s_waitcnt lgkmcnt(6)
	global_store_short v[2:3], v29, off offset:256
	s_waitcnt lgkmcnt(5)
	global_store_short v[2:3], v30, off offset:512
	;; [unrolled: 2-line block ×7, first 2 shown]
	v_perm_b32 v11, v13, v12, s0
	v_perm_b32 v29, v7, v6, s0
	s_barrier
	ds_write2_b32 v1, v29, v11 offset1:1
	v_perm_b32 v11, v15, v14, s0
	v_perm_b32 v29, v9, v8, s0
	ds_write2_b32 v1, v29, v11 offset0:2 offset1:3
	s_waitcnt lgkmcnt(0)
	s_barrier
	ds_read_u16 v11, v4
	ds_read_u16 v30, v5 offset:256
	ds_read_u16 v31, v16 offset:512
	;; [unrolled: 1-line block ×7, first 2 shown]
	s_waitcnt lgkmcnt(7)
	global_store_short v10, v11, s[2:3]
	s_waitcnt lgkmcnt(6)
	global_store_short v10, v30, s[2:3] offset:256
	s_waitcnt lgkmcnt(5)
	global_store_short v10, v31, s[2:3] offset:512
	;; [unrolled: 2-line block ×6, first 2 shown]
	s_mov_b64 s[16:17], -1
	s_cbranch_execz .LBB850_50
	s_branch .LBB850_68
.LBB850_49:
	s_mov_b64 s[16:17], 0
                                        ; implicit-def: $vgpr29
.LBB850_50:
	s_barrier
	s_waitcnt lgkmcnt(0)
	ds_read_u16 v34, v5 offset:256
	ds_read_u16 v33, v16 offset:512
	;; [unrolled: 1-line block ×7, first 2 shown]
	s_sub_i32 s16, s22, s14
	v_cmp_gt_u32_e32 vcc, s16, v0
	s_and_saveexec_b64 s[0:1], vcc
	s_cbranch_execnz .LBB850_75
; %bb.51:
	s_or_b64 exec, exec, s[0:1]
	v_cmp_gt_u32_e64 s[0:1], s16, v28
	s_and_saveexec_b64 s[2:3], s[0:1]
	s_cbranch_execnz .LBB850_76
.LBB850_52:
	s_or_b64 exec, exec, s[2:3]
	v_cmp_gt_u32_e64 s[2:3], s16, v27
	s_and_saveexec_b64 s[4:5], s[2:3]
	s_cbranch_execnz .LBB850_77
.LBB850_53:
	s_or_b64 exec, exec, s[4:5]
	v_cmp_gt_u32_e64 s[4:5], s16, v26
	s_and_saveexec_b64 s[6:7], s[4:5]
	s_cbranch_execnz .LBB850_78
.LBB850_54:
	s_or_b64 exec, exec, s[6:7]
	v_cmp_gt_u32_e64 s[6:7], s16, v25
	s_and_saveexec_b64 s[8:9], s[6:7]
	s_cbranch_execnz .LBB850_79
.LBB850_55:
	s_or_b64 exec, exec, s[8:9]
	v_cmp_gt_u32_e64 s[8:9], s16, v24
	s_and_saveexec_b64 s[10:11], s[8:9]
	s_cbranch_execnz .LBB850_80
.LBB850_56:
	s_or_b64 exec, exec, s[10:11]
	v_cmp_gt_u32_e64 s[10:11], s16, v23
	s_and_saveexec_b64 s[14:15], s[10:11]
	s_cbranch_execnz .LBB850_81
.LBB850_57:
	s_or_b64 exec, exec, s[14:15]
	v_cmp_gt_u32_e64 s[16:17], s16, v22
	s_and_saveexec_b64 s[14:15], s[16:17]
	s_cbranch_execz .LBB850_59
.LBB850_58:
	s_waitcnt lgkmcnt(0)
	global_store_short v[2:3], v11, off offset:1792
.LBB850_59:
	s_or_b64 exec, exec, s[14:15]
	s_mov_b32 s14, 0x5040100
	v_perm_b32 v0, v13, v12, s14
	v_perm_b32 v2, v7, v6, s14
	s_waitcnt lgkmcnt(0)
	s_barrier
	ds_write2_b32 v1, v2, v0 offset1:1
	v_perm_b32 v0, v15, v14, s14
	v_perm_b32 v2, v9, v8, s14
	ds_write2_b32 v1, v2, v0 offset0:2 offset1:3
	s_waitcnt lgkmcnt(0)
	s_barrier
	ds_read_u16 v8, v5 offset:256
	ds_read_u16 v7, v16 offset:512
	;; [unrolled: 1-line block ×7, first 2 shown]
	s_add_u32 s14, s20, s12
	s_addc_u32 s15, s21, s13
	v_mov_b32_e32 v11, 0
	v_lshl_add_u64 v[0:1], s[14:15], 0, v[10:11]
	s_and_saveexec_b64 s[14:15], vcc
	s_cbranch_execnz .LBB850_82
; %bb.60:
	s_or_b64 exec, exec, s[14:15]
	s_and_saveexec_b64 s[14:15], s[0:1]
	s_cbranch_execnz .LBB850_83
.LBB850_61:
	s_or_b64 exec, exec, s[14:15]
	s_and_saveexec_b64 s[0:1], s[2:3]
	s_cbranch_execnz .LBB850_84
.LBB850_62:
	s_or_b64 exec, exec, s[0:1]
	s_and_saveexec_b64 s[0:1], s[4:5]
	s_cbranch_execnz .LBB850_85
.LBB850_63:
	s_or_b64 exec, exec, s[0:1]
	s_and_saveexec_b64 s[0:1], s[6:7]
	s_cbranch_execnz .LBB850_86
.LBB850_64:
	s_or_b64 exec, exec, s[0:1]
	s_and_saveexec_b64 s[0:1], s[8:9]
	s_cbranch_execnz .LBB850_87
.LBB850_65:
	s_or_b64 exec, exec, s[0:1]
	s_and_saveexec_b64 s[0:1], s[10:11]
	s_cbranch_execz .LBB850_67
.LBB850_66:
	s_waitcnt lgkmcnt(1)
	global_store_short v[0:1], v2, off offset:1536
.LBB850_67:
	s_or_b64 exec, exec, s[0:1]
.LBB850_68:
	s_and_saveexec_b64 s[0:1], s[16:17]
	s_cbranch_execz .LBB850_70
; %bb.69:
	s_add_u32 s0, s20, s12
	s_addc_u32 s1, s21, s13
	s_waitcnt lgkmcnt(0)
	global_store_short v10, v29, s[0:1] offset:1792
.LBB850_70:
	s_endpgm
.LBB850_71:
	v_mov_b32_e32 v11, v2
	v_subrev_co_u32_e32 v6, vcc, s15, v0
	v_mov_b32_e32 v7, v2
	v_lshl_add_u64 v[4:5], s[6:7], 0, v[10:11]
	v_lshl_add_u64 v[6:7], v[6:7], 1, s[8:9]
	v_cndmask_b32_e32 v5, v7, v5, vcc
	v_cndmask_b32_e32 v4, v6, v4, vcc
	global_load_ushort v3, v[4:5], off
	v_mov_b32_e32 v5, v2
	v_mov_b32_e32 v6, v2
	;; [unrolled: 1-line block ×3, first 2 shown]
	s_waitcnt vmcnt(0)
	v_and_b32_e32 v4, 0xffff, v3
	v_mov_b64_e32 v[2:3], v[4:5]
	v_mov_b64_e32 v[4:5], v[6:7]
	s_or_b64 exec, exec, s[2:3]
	v_cmp_gt_u32_e32 vcc, s10, v14
	s_and_saveexec_b64 s[2:3], vcc
	s_cbranch_execz .LBB850_6
.LBB850_72:
	v_mov_b32_e32 v15, 0
	v_subrev_co_u32_e32 v8, vcc, s15, v14
	v_mov_b32_e32 v9, v15
	v_lshl_add_u64 v[6:7], v[14:15], 1, s[6:7]
	v_lshl_add_u64 v[8:9], v[8:9], 1, s[8:9]
	v_cndmask_b32_e32 v7, v9, v7, vcc
	v_cndmask_b32_e32 v6, v8, v6, vcc
	global_load_ushort v6, v[6:7], off
	s_mov_b32 s11, 0x5040100
	s_waitcnt vmcnt(0)
	v_perm_b32 v2, v6, v2, s11
	s_or_b64 exec, exec, s[2:3]
	v_cmp_gt_u32_e32 vcc, s10, v12
	s_and_saveexec_b64 s[2:3], vcc
	s_cbranch_execnz .LBB850_7
	s_branch .LBB850_8
.LBB850_73:
	v_mov_b32_e32 v11, v6
	v_subrev_co_u32_e32 v20, vcc, s15, v0
	v_mov_b32_e32 v21, v6
	v_lshl_add_u64 v[8:9], s[0:1], 0, v[10:11]
	v_lshl_add_u64 v[20:21], v[20:21], 1, s[2:3]
	v_cndmask_b32_e32 v9, v21, v9, vcc
	v_cndmask_b32_e32 v8, v20, v8, vcc
	global_load_ushort v7, v[8:9], off
	v_mov_b32_e32 v21, v6
	v_mov_b32_e32 v22, v6
	;; [unrolled: 1-line block ×3, first 2 shown]
	s_waitcnt vmcnt(0)
	v_and_b32_e32 v20, 0xffff, v7
	v_mov_b64_e32 v[6:7], v[20:21]
	v_mov_b64_e32 v[8:9], v[22:23]
	s_or_b64 exec, exec, s[4:5]
	v_cmp_gt_u32_e32 vcc, s23, v14
	s_and_saveexec_b64 s[4:5], vcc
	s_cbranch_execz .LBB850_24
.LBB850_74:
	v_mov_b32_e32 v15, 0
	v_lshl_add_u64 v[20:21], v[14:15], 1, s[0:1]
	v_subrev_co_u32_e32 v14, vcc, s15, v14
	v_lshl_add_u64 v[14:15], v[14:15], 1, s[2:3]
	s_nop 0
	v_cndmask_b32_e32 v15, v15, v21, vcc
	v_cndmask_b32_e32 v14, v14, v20, vcc
	global_load_ushort v11, v[14:15], off
	s_mov_b32 s6, 0x5040100
	s_waitcnt vmcnt(0)
	v_perm_b32 v6, v11, v6, s6
	s_or_b64 exec, exec, s[4:5]
	v_cmp_gt_u32_e32 vcc, s23, v12
	s_and_saveexec_b64 s[4:5], vcc
	s_cbranch_execnz .LBB850_25
	s_branch .LBB850_26
.LBB850_75:
	ds_read_u16 v0, v4
	s_waitcnt lgkmcnt(0)
	global_store_short v[2:3], v0, off
	s_or_b64 exec, exec, s[0:1]
	v_cmp_gt_u32_e64 s[0:1], s16, v28
	s_and_saveexec_b64 s[2:3], s[0:1]
	s_cbranch_execz .LBB850_52
.LBB850_76:
	s_waitcnt lgkmcnt(6)
	global_store_short v[2:3], v34, off offset:256
	s_or_b64 exec, exec, s[2:3]
	v_cmp_gt_u32_e64 s[2:3], s16, v27
	s_and_saveexec_b64 s[4:5], s[2:3]
	s_cbranch_execz .LBB850_53
.LBB850_77:
	s_waitcnt lgkmcnt(5)
	global_store_short v[2:3], v33, off offset:512
	s_or_b64 exec, exec, s[4:5]
	v_cmp_gt_u32_e64 s[4:5], s16, v26
	s_and_saveexec_b64 s[6:7], s[4:5]
	s_cbranch_execz .LBB850_54
.LBB850_78:
	s_waitcnt lgkmcnt(4)
	global_store_short v[2:3], v32, off offset:768
	s_or_b64 exec, exec, s[6:7]
	v_cmp_gt_u32_e64 s[6:7], s16, v25
	s_and_saveexec_b64 s[8:9], s[6:7]
	s_cbranch_execz .LBB850_55
.LBB850_79:
	s_waitcnt lgkmcnt(3)
	global_store_short v[2:3], v31, off offset:1024
	s_or_b64 exec, exec, s[8:9]
	v_cmp_gt_u32_e64 s[8:9], s16, v24
	s_and_saveexec_b64 s[10:11], s[8:9]
	s_cbranch_execz .LBB850_56
.LBB850_80:
	s_waitcnt lgkmcnt(2)
	global_store_short v[2:3], v30, off offset:1280
	s_or_b64 exec, exec, s[10:11]
	v_cmp_gt_u32_e64 s[10:11], s16, v23
	s_and_saveexec_b64 s[14:15], s[10:11]
	s_cbranch_execz .LBB850_57
.LBB850_81:
	s_waitcnt lgkmcnt(1)
	global_store_short v[2:3], v29, off offset:1536
	s_or_b64 exec, exec, s[14:15]
	v_cmp_gt_u32_e64 s[16:17], s16, v22
	s_and_saveexec_b64 s[14:15], s[16:17]
	s_cbranch_execnz .LBB850_58
	s_branch .LBB850_59
.LBB850_82:
	ds_read_u16 v4, v4
	s_waitcnt lgkmcnt(0)
	global_store_short v[0:1], v4, off
	s_or_b64 exec, exec, s[14:15]
	s_and_saveexec_b64 s[14:15], s[0:1]
	s_cbranch_execz .LBB850_61
.LBB850_83:
	s_waitcnt lgkmcnt(6)
	global_store_short v[0:1], v8, off offset:256
	s_or_b64 exec, exec, s[14:15]
	s_and_saveexec_b64 s[0:1], s[2:3]
	s_cbranch_execz .LBB850_62
.LBB850_84:
	s_waitcnt lgkmcnt(5)
	global_store_short v[0:1], v7, off offset:512
	s_or_b64 exec, exec, s[0:1]
	s_and_saveexec_b64 s[0:1], s[4:5]
	s_cbranch_execz .LBB850_63
.LBB850_85:
	s_waitcnt lgkmcnt(4)
	global_store_short v[0:1], v6, off offset:768
	s_or_b64 exec, exec, s[0:1]
	s_and_saveexec_b64 s[0:1], s[6:7]
	s_cbranch_execz .LBB850_64
.LBB850_86:
	s_waitcnt lgkmcnt(3)
	global_store_short v[0:1], v5, off offset:1024
	s_or_b64 exec, exec, s[0:1]
	s_and_saveexec_b64 s[0:1], s[8:9]
	s_cbranch_execz .LBB850_65
.LBB850_87:
	s_waitcnt lgkmcnt(2)
	global_store_short v[0:1], v3, off offset:1280
	s_or_b64 exec, exec, s[0:1]
	s_and_saveexec_b64 s[0:1], s[10:11]
	s_cbranch_execnz .LBB850_66
	s_branch .LBB850_67
	.section	.rodata,"a",@progbits
	.p2align	6, 0x0
	.amdhsa_kernel _ZN7rocprim17ROCPRIM_400000_NS6detail17trampoline_kernelINS0_14default_configENS1_38merge_sort_block_merge_config_selectorIttEEZZNS1_27merge_sort_block_merge_implIS3_N6thrust23THRUST_200600_302600_NS6detail15normal_iteratorINS8_10device_ptrItEEEESD_jNS1_19radix_merge_compareILb0ELb0EtNS0_19identity_decomposerEEEEE10hipError_tT0_T1_T2_jT3_P12ihipStream_tbPNSt15iterator_traitsISI_E10value_typeEPNSO_ISJ_E10value_typeEPSK_NS1_7vsmem_tEENKUlT_SI_SJ_SK_E_clIPtSD_S10_SD_EESH_SX_SI_SJ_SK_EUlSX_E0_NS1_11comp_targetILNS1_3genE0ELNS1_11target_archE4294967295ELNS1_3gpuE0ELNS1_3repE0EEENS1_38merge_mergepath_config_static_selectorELNS0_4arch9wavefront6targetE1EEEvSJ_
		.amdhsa_group_segment_fixed_size 2112
		.amdhsa_private_segment_fixed_size 0
		.amdhsa_kernarg_size 320
		.amdhsa_user_sgpr_count 2
		.amdhsa_user_sgpr_dispatch_ptr 0
		.amdhsa_user_sgpr_queue_ptr 0
		.amdhsa_user_sgpr_kernarg_segment_ptr 1
		.amdhsa_user_sgpr_dispatch_id 0
		.amdhsa_user_sgpr_kernarg_preload_length 0
		.amdhsa_user_sgpr_kernarg_preload_offset 0
		.amdhsa_user_sgpr_private_segment_size 0
		.amdhsa_uses_dynamic_stack 0
		.amdhsa_enable_private_segment 0
		.amdhsa_system_sgpr_workgroup_id_x 1
		.amdhsa_system_sgpr_workgroup_id_y 1
		.amdhsa_system_sgpr_workgroup_id_z 1
		.amdhsa_system_sgpr_workgroup_info 0
		.amdhsa_system_vgpr_workitem_id 0
		.amdhsa_next_free_vgpr 36
		.amdhsa_next_free_sgpr 30
		.amdhsa_accum_offset 36
		.amdhsa_reserve_vcc 1
		.amdhsa_float_round_mode_32 0
		.amdhsa_float_round_mode_16_64 0
		.amdhsa_float_denorm_mode_32 3
		.amdhsa_float_denorm_mode_16_64 3
		.amdhsa_dx10_clamp 1
		.amdhsa_ieee_mode 1
		.amdhsa_fp16_overflow 0
		.amdhsa_tg_split 0
		.amdhsa_exception_fp_ieee_invalid_op 0
		.amdhsa_exception_fp_denorm_src 0
		.amdhsa_exception_fp_ieee_div_zero 0
		.amdhsa_exception_fp_ieee_overflow 0
		.amdhsa_exception_fp_ieee_underflow 0
		.amdhsa_exception_fp_ieee_inexact 0
		.amdhsa_exception_int_div_zero 0
	.end_amdhsa_kernel
	.section	.text._ZN7rocprim17ROCPRIM_400000_NS6detail17trampoline_kernelINS0_14default_configENS1_38merge_sort_block_merge_config_selectorIttEEZZNS1_27merge_sort_block_merge_implIS3_N6thrust23THRUST_200600_302600_NS6detail15normal_iteratorINS8_10device_ptrItEEEESD_jNS1_19radix_merge_compareILb0ELb0EtNS0_19identity_decomposerEEEEE10hipError_tT0_T1_T2_jT3_P12ihipStream_tbPNSt15iterator_traitsISI_E10value_typeEPNSO_ISJ_E10value_typeEPSK_NS1_7vsmem_tEENKUlT_SI_SJ_SK_E_clIPtSD_S10_SD_EESH_SX_SI_SJ_SK_EUlSX_E0_NS1_11comp_targetILNS1_3genE0ELNS1_11target_archE4294967295ELNS1_3gpuE0ELNS1_3repE0EEENS1_38merge_mergepath_config_static_selectorELNS0_4arch9wavefront6targetE1EEEvSJ_,"axG",@progbits,_ZN7rocprim17ROCPRIM_400000_NS6detail17trampoline_kernelINS0_14default_configENS1_38merge_sort_block_merge_config_selectorIttEEZZNS1_27merge_sort_block_merge_implIS3_N6thrust23THRUST_200600_302600_NS6detail15normal_iteratorINS8_10device_ptrItEEEESD_jNS1_19radix_merge_compareILb0ELb0EtNS0_19identity_decomposerEEEEE10hipError_tT0_T1_T2_jT3_P12ihipStream_tbPNSt15iterator_traitsISI_E10value_typeEPNSO_ISJ_E10value_typeEPSK_NS1_7vsmem_tEENKUlT_SI_SJ_SK_E_clIPtSD_S10_SD_EESH_SX_SI_SJ_SK_EUlSX_E0_NS1_11comp_targetILNS1_3genE0ELNS1_11target_archE4294967295ELNS1_3gpuE0ELNS1_3repE0EEENS1_38merge_mergepath_config_static_selectorELNS0_4arch9wavefront6targetE1EEEvSJ_,comdat
.Lfunc_end850:
	.size	_ZN7rocprim17ROCPRIM_400000_NS6detail17trampoline_kernelINS0_14default_configENS1_38merge_sort_block_merge_config_selectorIttEEZZNS1_27merge_sort_block_merge_implIS3_N6thrust23THRUST_200600_302600_NS6detail15normal_iteratorINS8_10device_ptrItEEEESD_jNS1_19radix_merge_compareILb0ELb0EtNS0_19identity_decomposerEEEEE10hipError_tT0_T1_T2_jT3_P12ihipStream_tbPNSt15iterator_traitsISI_E10value_typeEPNSO_ISJ_E10value_typeEPSK_NS1_7vsmem_tEENKUlT_SI_SJ_SK_E_clIPtSD_S10_SD_EESH_SX_SI_SJ_SK_EUlSX_E0_NS1_11comp_targetILNS1_3genE0ELNS1_11target_archE4294967295ELNS1_3gpuE0ELNS1_3repE0EEENS1_38merge_mergepath_config_static_selectorELNS0_4arch9wavefront6targetE1EEEvSJ_, .Lfunc_end850-_ZN7rocprim17ROCPRIM_400000_NS6detail17trampoline_kernelINS0_14default_configENS1_38merge_sort_block_merge_config_selectorIttEEZZNS1_27merge_sort_block_merge_implIS3_N6thrust23THRUST_200600_302600_NS6detail15normal_iteratorINS8_10device_ptrItEEEESD_jNS1_19radix_merge_compareILb0ELb0EtNS0_19identity_decomposerEEEEE10hipError_tT0_T1_T2_jT3_P12ihipStream_tbPNSt15iterator_traitsISI_E10value_typeEPNSO_ISJ_E10value_typeEPSK_NS1_7vsmem_tEENKUlT_SI_SJ_SK_E_clIPtSD_S10_SD_EESH_SX_SI_SJ_SK_EUlSX_E0_NS1_11comp_targetILNS1_3genE0ELNS1_11target_archE4294967295ELNS1_3gpuE0ELNS1_3repE0EEENS1_38merge_mergepath_config_static_selectorELNS0_4arch9wavefront6targetE1EEEvSJ_
                                        ; -- End function
	.set _ZN7rocprim17ROCPRIM_400000_NS6detail17trampoline_kernelINS0_14default_configENS1_38merge_sort_block_merge_config_selectorIttEEZZNS1_27merge_sort_block_merge_implIS3_N6thrust23THRUST_200600_302600_NS6detail15normal_iteratorINS8_10device_ptrItEEEESD_jNS1_19radix_merge_compareILb0ELb0EtNS0_19identity_decomposerEEEEE10hipError_tT0_T1_T2_jT3_P12ihipStream_tbPNSt15iterator_traitsISI_E10value_typeEPNSO_ISJ_E10value_typeEPSK_NS1_7vsmem_tEENKUlT_SI_SJ_SK_E_clIPtSD_S10_SD_EESH_SX_SI_SJ_SK_EUlSX_E0_NS1_11comp_targetILNS1_3genE0ELNS1_11target_archE4294967295ELNS1_3gpuE0ELNS1_3repE0EEENS1_38merge_mergepath_config_static_selectorELNS0_4arch9wavefront6targetE1EEEvSJ_.num_vgpr, 36
	.set _ZN7rocprim17ROCPRIM_400000_NS6detail17trampoline_kernelINS0_14default_configENS1_38merge_sort_block_merge_config_selectorIttEEZZNS1_27merge_sort_block_merge_implIS3_N6thrust23THRUST_200600_302600_NS6detail15normal_iteratorINS8_10device_ptrItEEEESD_jNS1_19radix_merge_compareILb0ELb0EtNS0_19identity_decomposerEEEEE10hipError_tT0_T1_T2_jT3_P12ihipStream_tbPNSt15iterator_traitsISI_E10value_typeEPNSO_ISJ_E10value_typeEPSK_NS1_7vsmem_tEENKUlT_SI_SJ_SK_E_clIPtSD_S10_SD_EESH_SX_SI_SJ_SK_EUlSX_E0_NS1_11comp_targetILNS1_3genE0ELNS1_11target_archE4294967295ELNS1_3gpuE0ELNS1_3repE0EEENS1_38merge_mergepath_config_static_selectorELNS0_4arch9wavefront6targetE1EEEvSJ_.num_agpr, 0
	.set _ZN7rocprim17ROCPRIM_400000_NS6detail17trampoline_kernelINS0_14default_configENS1_38merge_sort_block_merge_config_selectorIttEEZZNS1_27merge_sort_block_merge_implIS3_N6thrust23THRUST_200600_302600_NS6detail15normal_iteratorINS8_10device_ptrItEEEESD_jNS1_19radix_merge_compareILb0ELb0EtNS0_19identity_decomposerEEEEE10hipError_tT0_T1_T2_jT3_P12ihipStream_tbPNSt15iterator_traitsISI_E10value_typeEPNSO_ISJ_E10value_typeEPSK_NS1_7vsmem_tEENKUlT_SI_SJ_SK_E_clIPtSD_S10_SD_EESH_SX_SI_SJ_SK_EUlSX_E0_NS1_11comp_targetILNS1_3genE0ELNS1_11target_archE4294967295ELNS1_3gpuE0ELNS1_3repE0EEENS1_38merge_mergepath_config_static_selectorELNS0_4arch9wavefront6targetE1EEEvSJ_.numbered_sgpr, 30
	.set _ZN7rocprim17ROCPRIM_400000_NS6detail17trampoline_kernelINS0_14default_configENS1_38merge_sort_block_merge_config_selectorIttEEZZNS1_27merge_sort_block_merge_implIS3_N6thrust23THRUST_200600_302600_NS6detail15normal_iteratorINS8_10device_ptrItEEEESD_jNS1_19radix_merge_compareILb0ELb0EtNS0_19identity_decomposerEEEEE10hipError_tT0_T1_T2_jT3_P12ihipStream_tbPNSt15iterator_traitsISI_E10value_typeEPNSO_ISJ_E10value_typeEPSK_NS1_7vsmem_tEENKUlT_SI_SJ_SK_E_clIPtSD_S10_SD_EESH_SX_SI_SJ_SK_EUlSX_E0_NS1_11comp_targetILNS1_3genE0ELNS1_11target_archE4294967295ELNS1_3gpuE0ELNS1_3repE0EEENS1_38merge_mergepath_config_static_selectorELNS0_4arch9wavefront6targetE1EEEvSJ_.num_named_barrier, 0
	.set _ZN7rocprim17ROCPRIM_400000_NS6detail17trampoline_kernelINS0_14default_configENS1_38merge_sort_block_merge_config_selectorIttEEZZNS1_27merge_sort_block_merge_implIS3_N6thrust23THRUST_200600_302600_NS6detail15normal_iteratorINS8_10device_ptrItEEEESD_jNS1_19radix_merge_compareILb0ELb0EtNS0_19identity_decomposerEEEEE10hipError_tT0_T1_T2_jT3_P12ihipStream_tbPNSt15iterator_traitsISI_E10value_typeEPNSO_ISJ_E10value_typeEPSK_NS1_7vsmem_tEENKUlT_SI_SJ_SK_E_clIPtSD_S10_SD_EESH_SX_SI_SJ_SK_EUlSX_E0_NS1_11comp_targetILNS1_3genE0ELNS1_11target_archE4294967295ELNS1_3gpuE0ELNS1_3repE0EEENS1_38merge_mergepath_config_static_selectorELNS0_4arch9wavefront6targetE1EEEvSJ_.private_seg_size, 0
	.set _ZN7rocprim17ROCPRIM_400000_NS6detail17trampoline_kernelINS0_14default_configENS1_38merge_sort_block_merge_config_selectorIttEEZZNS1_27merge_sort_block_merge_implIS3_N6thrust23THRUST_200600_302600_NS6detail15normal_iteratorINS8_10device_ptrItEEEESD_jNS1_19radix_merge_compareILb0ELb0EtNS0_19identity_decomposerEEEEE10hipError_tT0_T1_T2_jT3_P12ihipStream_tbPNSt15iterator_traitsISI_E10value_typeEPNSO_ISJ_E10value_typeEPSK_NS1_7vsmem_tEENKUlT_SI_SJ_SK_E_clIPtSD_S10_SD_EESH_SX_SI_SJ_SK_EUlSX_E0_NS1_11comp_targetILNS1_3genE0ELNS1_11target_archE4294967295ELNS1_3gpuE0ELNS1_3repE0EEENS1_38merge_mergepath_config_static_selectorELNS0_4arch9wavefront6targetE1EEEvSJ_.uses_vcc, 1
	.set _ZN7rocprim17ROCPRIM_400000_NS6detail17trampoline_kernelINS0_14default_configENS1_38merge_sort_block_merge_config_selectorIttEEZZNS1_27merge_sort_block_merge_implIS3_N6thrust23THRUST_200600_302600_NS6detail15normal_iteratorINS8_10device_ptrItEEEESD_jNS1_19radix_merge_compareILb0ELb0EtNS0_19identity_decomposerEEEEE10hipError_tT0_T1_T2_jT3_P12ihipStream_tbPNSt15iterator_traitsISI_E10value_typeEPNSO_ISJ_E10value_typeEPSK_NS1_7vsmem_tEENKUlT_SI_SJ_SK_E_clIPtSD_S10_SD_EESH_SX_SI_SJ_SK_EUlSX_E0_NS1_11comp_targetILNS1_3genE0ELNS1_11target_archE4294967295ELNS1_3gpuE0ELNS1_3repE0EEENS1_38merge_mergepath_config_static_selectorELNS0_4arch9wavefront6targetE1EEEvSJ_.uses_flat_scratch, 0
	.set _ZN7rocprim17ROCPRIM_400000_NS6detail17trampoline_kernelINS0_14default_configENS1_38merge_sort_block_merge_config_selectorIttEEZZNS1_27merge_sort_block_merge_implIS3_N6thrust23THRUST_200600_302600_NS6detail15normal_iteratorINS8_10device_ptrItEEEESD_jNS1_19radix_merge_compareILb0ELb0EtNS0_19identity_decomposerEEEEE10hipError_tT0_T1_T2_jT3_P12ihipStream_tbPNSt15iterator_traitsISI_E10value_typeEPNSO_ISJ_E10value_typeEPSK_NS1_7vsmem_tEENKUlT_SI_SJ_SK_E_clIPtSD_S10_SD_EESH_SX_SI_SJ_SK_EUlSX_E0_NS1_11comp_targetILNS1_3genE0ELNS1_11target_archE4294967295ELNS1_3gpuE0ELNS1_3repE0EEENS1_38merge_mergepath_config_static_selectorELNS0_4arch9wavefront6targetE1EEEvSJ_.has_dyn_sized_stack, 0
	.set _ZN7rocprim17ROCPRIM_400000_NS6detail17trampoline_kernelINS0_14default_configENS1_38merge_sort_block_merge_config_selectorIttEEZZNS1_27merge_sort_block_merge_implIS3_N6thrust23THRUST_200600_302600_NS6detail15normal_iteratorINS8_10device_ptrItEEEESD_jNS1_19radix_merge_compareILb0ELb0EtNS0_19identity_decomposerEEEEE10hipError_tT0_T1_T2_jT3_P12ihipStream_tbPNSt15iterator_traitsISI_E10value_typeEPNSO_ISJ_E10value_typeEPSK_NS1_7vsmem_tEENKUlT_SI_SJ_SK_E_clIPtSD_S10_SD_EESH_SX_SI_SJ_SK_EUlSX_E0_NS1_11comp_targetILNS1_3genE0ELNS1_11target_archE4294967295ELNS1_3gpuE0ELNS1_3repE0EEENS1_38merge_mergepath_config_static_selectorELNS0_4arch9wavefront6targetE1EEEvSJ_.has_recursion, 0
	.set _ZN7rocprim17ROCPRIM_400000_NS6detail17trampoline_kernelINS0_14default_configENS1_38merge_sort_block_merge_config_selectorIttEEZZNS1_27merge_sort_block_merge_implIS3_N6thrust23THRUST_200600_302600_NS6detail15normal_iteratorINS8_10device_ptrItEEEESD_jNS1_19radix_merge_compareILb0ELb0EtNS0_19identity_decomposerEEEEE10hipError_tT0_T1_T2_jT3_P12ihipStream_tbPNSt15iterator_traitsISI_E10value_typeEPNSO_ISJ_E10value_typeEPSK_NS1_7vsmem_tEENKUlT_SI_SJ_SK_E_clIPtSD_S10_SD_EESH_SX_SI_SJ_SK_EUlSX_E0_NS1_11comp_targetILNS1_3genE0ELNS1_11target_archE4294967295ELNS1_3gpuE0ELNS1_3repE0EEENS1_38merge_mergepath_config_static_selectorELNS0_4arch9wavefront6targetE1EEEvSJ_.has_indirect_call, 0
	.section	.AMDGPU.csdata,"",@progbits
; Kernel info:
; codeLenInByte = 5520
; TotalNumSgprs: 36
; NumVgprs: 36
; NumAgprs: 0
; TotalNumVgprs: 36
; ScratchSize: 0
; MemoryBound: 0
; FloatMode: 240
; IeeeMode: 1
; LDSByteSize: 2112 bytes/workgroup (compile time only)
; SGPRBlocks: 4
; VGPRBlocks: 4
; NumSGPRsForWavesPerEU: 36
; NumVGPRsForWavesPerEU: 36
; AccumOffset: 36
; Occupancy: 8
; WaveLimiterHint : 1
; COMPUTE_PGM_RSRC2:SCRATCH_EN: 0
; COMPUTE_PGM_RSRC2:USER_SGPR: 2
; COMPUTE_PGM_RSRC2:TRAP_HANDLER: 0
; COMPUTE_PGM_RSRC2:TGID_X_EN: 1
; COMPUTE_PGM_RSRC2:TGID_Y_EN: 1
; COMPUTE_PGM_RSRC2:TGID_Z_EN: 1
; COMPUTE_PGM_RSRC2:TIDIG_COMP_CNT: 0
; COMPUTE_PGM_RSRC3_GFX90A:ACCUM_OFFSET: 8
; COMPUTE_PGM_RSRC3_GFX90A:TG_SPLIT: 0
	.section	.text._ZN7rocprim17ROCPRIM_400000_NS6detail17trampoline_kernelINS0_14default_configENS1_38merge_sort_block_merge_config_selectorIttEEZZNS1_27merge_sort_block_merge_implIS3_N6thrust23THRUST_200600_302600_NS6detail15normal_iteratorINS8_10device_ptrItEEEESD_jNS1_19radix_merge_compareILb0ELb0EtNS0_19identity_decomposerEEEEE10hipError_tT0_T1_T2_jT3_P12ihipStream_tbPNSt15iterator_traitsISI_E10value_typeEPNSO_ISJ_E10value_typeEPSK_NS1_7vsmem_tEENKUlT_SI_SJ_SK_E_clIPtSD_S10_SD_EESH_SX_SI_SJ_SK_EUlSX_E0_NS1_11comp_targetILNS1_3genE10ELNS1_11target_archE1201ELNS1_3gpuE5ELNS1_3repE0EEENS1_38merge_mergepath_config_static_selectorELNS0_4arch9wavefront6targetE1EEEvSJ_,"axG",@progbits,_ZN7rocprim17ROCPRIM_400000_NS6detail17trampoline_kernelINS0_14default_configENS1_38merge_sort_block_merge_config_selectorIttEEZZNS1_27merge_sort_block_merge_implIS3_N6thrust23THRUST_200600_302600_NS6detail15normal_iteratorINS8_10device_ptrItEEEESD_jNS1_19radix_merge_compareILb0ELb0EtNS0_19identity_decomposerEEEEE10hipError_tT0_T1_T2_jT3_P12ihipStream_tbPNSt15iterator_traitsISI_E10value_typeEPNSO_ISJ_E10value_typeEPSK_NS1_7vsmem_tEENKUlT_SI_SJ_SK_E_clIPtSD_S10_SD_EESH_SX_SI_SJ_SK_EUlSX_E0_NS1_11comp_targetILNS1_3genE10ELNS1_11target_archE1201ELNS1_3gpuE5ELNS1_3repE0EEENS1_38merge_mergepath_config_static_selectorELNS0_4arch9wavefront6targetE1EEEvSJ_,comdat
	.protected	_ZN7rocprim17ROCPRIM_400000_NS6detail17trampoline_kernelINS0_14default_configENS1_38merge_sort_block_merge_config_selectorIttEEZZNS1_27merge_sort_block_merge_implIS3_N6thrust23THRUST_200600_302600_NS6detail15normal_iteratorINS8_10device_ptrItEEEESD_jNS1_19radix_merge_compareILb0ELb0EtNS0_19identity_decomposerEEEEE10hipError_tT0_T1_T2_jT3_P12ihipStream_tbPNSt15iterator_traitsISI_E10value_typeEPNSO_ISJ_E10value_typeEPSK_NS1_7vsmem_tEENKUlT_SI_SJ_SK_E_clIPtSD_S10_SD_EESH_SX_SI_SJ_SK_EUlSX_E0_NS1_11comp_targetILNS1_3genE10ELNS1_11target_archE1201ELNS1_3gpuE5ELNS1_3repE0EEENS1_38merge_mergepath_config_static_selectorELNS0_4arch9wavefront6targetE1EEEvSJ_ ; -- Begin function _ZN7rocprim17ROCPRIM_400000_NS6detail17trampoline_kernelINS0_14default_configENS1_38merge_sort_block_merge_config_selectorIttEEZZNS1_27merge_sort_block_merge_implIS3_N6thrust23THRUST_200600_302600_NS6detail15normal_iteratorINS8_10device_ptrItEEEESD_jNS1_19radix_merge_compareILb0ELb0EtNS0_19identity_decomposerEEEEE10hipError_tT0_T1_T2_jT3_P12ihipStream_tbPNSt15iterator_traitsISI_E10value_typeEPNSO_ISJ_E10value_typeEPSK_NS1_7vsmem_tEENKUlT_SI_SJ_SK_E_clIPtSD_S10_SD_EESH_SX_SI_SJ_SK_EUlSX_E0_NS1_11comp_targetILNS1_3genE10ELNS1_11target_archE1201ELNS1_3gpuE5ELNS1_3repE0EEENS1_38merge_mergepath_config_static_selectorELNS0_4arch9wavefront6targetE1EEEvSJ_
	.globl	_ZN7rocprim17ROCPRIM_400000_NS6detail17trampoline_kernelINS0_14default_configENS1_38merge_sort_block_merge_config_selectorIttEEZZNS1_27merge_sort_block_merge_implIS3_N6thrust23THRUST_200600_302600_NS6detail15normal_iteratorINS8_10device_ptrItEEEESD_jNS1_19radix_merge_compareILb0ELb0EtNS0_19identity_decomposerEEEEE10hipError_tT0_T1_T2_jT3_P12ihipStream_tbPNSt15iterator_traitsISI_E10value_typeEPNSO_ISJ_E10value_typeEPSK_NS1_7vsmem_tEENKUlT_SI_SJ_SK_E_clIPtSD_S10_SD_EESH_SX_SI_SJ_SK_EUlSX_E0_NS1_11comp_targetILNS1_3genE10ELNS1_11target_archE1201ELNS1_3gpuE5ELNS1_3repE0EEENS1_38merge_mergepath_config_static_selectorELNS0_4arch9wavefront6targetE1EEEvSJ_
	.p2align	8
	.type	_ZN7rocprim17ROCPRIM_400000_NS6detail17trampoline_kernelINS0_14default_configENS1_38merge_sort_block_merge_config_selectorIttEEZZNS1_27merge_sort_block_merge_implIS3_N6thrust23THRUST_200600_302600_NS6detail15normal_iteratorINS8_10device_ptrItEEEESD_jNS1_19radix_merge_compareILb0ELb0EtNS0_19identity_decomposerEEEEE10hipError_tT0_T1_T2_jT3_P12ihipStream_tbPNSt15iterator_traitsISI_E10value_typeEPNSO_ISJ_E10value_typeEPSK_NS1_7vsmem_tEENKUlT_SI_SJ_SK_E_clIPtSD_S10_SD_EESH_SX_SI_SJ_SK_EUlSX_E0_NS1_11comp_targetILNS1_3genE10ELNS1_11target_archE1201ELNS1_3gpuE5ELNS1_3repE0EEENS1_38merge_mergepath_config_static_selectorELNS0_4arch9wavefront6targetE1EEEvSJ_,@function
_ZN7rocprim17ROCPRIM_400000_NS6detail17trampoline_kernelINS0_14default_configENS1_38merge_sort_block_merge_config_selectorIttEEZZNS1_27merge_sort_block_merge_implIS3_N6thrust23THRUST_200600_302600_NS6detail15normal_iteratorINS8_10device_ptrItEEEESD_jNS1_19radix_merge_compareILb0ELb0EtNS0_19identity_decomposerEEEEE10hipError_tT0_T1_T2_jT3_P12ihipStream_tbPNSt15iterator_traitsISI_E10value_typeEPNSO_ISJ_E10value_typeEPSK_NS1_7vsmem_tEENKUlT_SI_SJ_SK_E_clIPtSD_S10_SD_EESH_SX_SI_SJ_SK_EUlSX_E0_NS1_11comp_targetILNS1_3genE10ELNS1_11target_archE1201ELNS1_3gpuE5ELNS1_3repE0EEENS1_38merge_mergepath_config_static_selectorELNS0_4arch9wavefront6targetE1EEEvSJ_: ; @_ZN7rocprim17ROCPRIM_400000_NS6detail17trampoline_kernelINS0_14default_configENS1_38merge_sort_block_merge_config_selectorIttEEZZNS1_27merge_sort_block_merge_implIS3_N6thrust23THRUST_200600_302600_NS6detail15normal_iteratorINS8_10device_ptrItEEEESD_jNS1_19radix_merge_compareILb0ELb0EtNS0_19identity_decomposerEEEEE10hipError_tT0_T1_T2_jT3_P12ihipStream_tbPNSt15iterator_traitsISI_E10value_typeEPNSO_ISJ_E10value_typeEPSK_NS1_7vsmem_tEENKUlT_SI_SJ_SK_E_clIPtSD_S10_SD_EESH_SX_SI_SJ_SK_EUlSX_E0_NS1_11comp_targetILNS1_3genE10ELNS1_11target_archE1201ELNS1_3gpuE5ELNS1_3repE0EEENS1_38merge_mergepath_config_static_selectorELNS0_4arch9wavefront6targetE1EEEvSJ_
; %bb.0:
	.section	.rodata,"a",@progbits
	.p2align	6, 0x0
	.amdhsa_kernel _ZN7rocprim17ROCPRIM_400000_NS6detail17trampoline_kernelINS0_14default_configENS1_38merge_sort_block_merge_config_selectorIttEEZZNS1_27merge_sort_block_merge_implIS3_N6thrust23THRUST_200600_302600_NS6detail15normal_iteratorINS8_10device_ptrItEEEESD_jNS1_19radix_merge_compareILb0ELb0EtNS0_19identity_decomposerEEEEE10hipError_tT0_T1_T2_jT3_P12ihipStream_tbPNSt15iterator_traitsISI_E10value_typeEPNSO_ISJ_E10value_typeEPSK_NS1_7vsmem_tEENKUlT_SI_SJ_SK_E_clIPtSD_S10_SD_EESH_SX_SI_SJ_SK_EUlSX_E0_NS1_11comp_targetILNS1_3genE10ELNS1_11target_archE1201ELNS1_3gpuE5ELNS1_3repE0EEENS1_38merge_mergepath_config_static_selectorELNS0_4arch9wavefront6targetE1EEEvSJ_
		.amdhsa_group_segment_fixed_size 0
		.amdhsa_private_segment_fixed_size 0
		.amdhsa_kernarg_size 64
		.amdhsa_user_sgpr_count 2
		.amdhsa_user_sgpr_dispatch_ptr 0
		.amdhsa_user_sgpr_queue_ptr 0
		.amdhsa_user_sgpr_kernarg_segment_ptr 1
		.amdhsa_user_sgpr_dispatch_id 0
		.amdhsa_user_sgpr_kernarg_preload_length 0
		.amdhsa_user_sgpr_kernarg_preload_offset 0
		.amdhsa_user_sgpr_private_segment_size 0
		.amdhsa_uses_dynamic_stack 0
		.amdhsa_enable_private_segment 0
		.amdhsa_system_sgpr_workgroup_id_x 1
		.amdhsa_system_sgpr_workgroup_id_y 0
		.amdhsa_system_sgpr_workgroup_id_z 0
		.amdhsa_system_sgpr_workgroup_info 0
		.amdhsa_system_vgpr_workitem_id 0
		.amdhsa_next_free_vgpr 1
		.amdhsa_next_free_sgpr 0
		.amdhsa_accum_offset 4
		.amdhsa_reserve_vcc 0
		.amdhsa_float_round_mode_32 0
		.amdhsa_float_round_mode_16_64 0
		.amdhsa_float_denorm_mode_32 3
		.amdhsa_float_denorm_mode_16_64 3
		.amdhsa_dx10_clamp 1
		.amdhsa_ieee_mode 1
		.amdhsa_fp16_overflow 0
		.amdhsa_tg_split 0
		.amdhsa_exception_fp_ieee_invalid_op 0
		.amdhsa_exception_fp_denorm_src 0
		.amdhsa_exception_fp_ieee_div_zero 0
		.amdhsa_exception_fp_ieee_overflow 0
		.amdhsa_exception_fp_ieee_underflow 0
		.amdhsa_exception_fp_ieee_inexact 0
		.amdhsa_exception_int_div_zero 0
	.end_amdhsa_kernel
	.section	.text._ZN7rocprim17ROCPRIM_400000_NS6detail17trampoline_kernelINS0_14default_configENS1_38merge_sort_block_merge_config_selectorIttEEZZNS1_27merge_sort_block_merge_implIS3_N6thrust23THRUST_200600_302600_NS6detail15normal_iteratorINS8_10device_ptrItEEEESD_jNS1_19radix_merge_compareILb0ELb0EtNS0_19identity_decomposerEEEEE10hipError_tT0_T1_T2_jT3_P12ihipStream_tbPNSt15iterator_traitsISI_E10value_typeEPNSO_ISJ_E10value_typeEPSK_NS1_7vsmem_tEENKUlT_SI_SJ_SK_E_clIPtSD_S10_SD_EESH_SX_SI_SJ_SK_EUlSX_E0_NS1_11comp_targetILNS1_3genE10ELNS1_11target_archE1201ELNS1_3gpuE5ELNS1_3repE0EEENS1_38merge_mergepath_config_static_selectorELNS0_4arch9wavefront6targetE1EEEvSJ_,"axG",@progbits,_ZN7rocprim17ROCPRIM_400000_NS6detail17trampoline_kernelINS0_14default_configENS1_38merge_sort_block_merge_config_selectorIttEEZZNS1_27merge_sort_block_merge_implIS3_N6thrust23THRUST_200600_302600_NS6detail15normal_iteratorINS8_10device_ptrItEEEESD_jNS1_19radix_merge_compareILb0ELb0EtNS0_19identity_decomposerEEEEE10hipError_tT0_T1_T2_jT3_P12ihipStream_tbPNSt15iterator_traitsISI_E10value_typeEPNSO_ISJ_E10value_typeEPSK_NS1_7vsmem_tEENKUlT_SI_SJ_SK_E_clIPtSD_S10_SD_EESH_SX_SI_SJ_SK_EUlSX_E0_NS1_11comp_targetILNS1_3genE10ELNS1_11target_archE1201ELNS1_3gpuE5ELNS1_3repE0EEENS1_38merge_mergepath_config_static_selectorELNS0_4arch9wavefront6targetE1EEEvSJ_,comdat
.Lfunc_end851:
	.size	_ZN7rocprim17ROCPRIM_400000_NS6detail17trampoline_kernelINS0_14default_configENS1_38merge_sort_block_merge_config_selectorIttEEZZNS1_27merge_sort_block_merge_implIS3_N6thrust23THRUST_200600_302600_NS6detail15normal_iteratorINS8_10device_ptrItEEEESD_jNS1_19radix_merge_compareILb0ELb0EtNS0_19identity_decomposerEEEEE10hipError_tT0_T1_T2_jT3_P12ihipStream_tbPNSt15iterator_traitsISI_E10value_typeEPNSO_ISJ_E10value_typeEPSK_NS1_7vsmem_tEENKUlT_SI_SJ_SK_E_clIPtSD_S10_SD_EESH_SX_SI_SJ_SK_EUlSX_E0_NS1_11comp_targetILNS1_3genE10ELNS1_11target_archE1201ELNS1_3gpuE5ELNS1_3repE0EEENS1_38merge_mergepath_config_static_selectorELNS0_4arch9wavefront6targetE1EEEvSJ_, .Lfunc_end851-_ZN7rocprim17ROCPRIM_400000_NS6detail17trampoline_kernelINS0_14default_configENS1_38merge_sort_block_merge_config_selectorIttEEZZNS1_27merge_sort_block_merge_implIS3_N6thrust23THRUST_200600_302600_NS6detail15normal_iteratorINS8_10device_ptrItEEEESD_jNS1_19radix_merge_compareILb0ELb0EtNS0_19identity_decomposerEEEEE10hipError_tT0_T1_T2_jT3_P12ihipStream_tbPNSt15iterator_traitsISI_E10value_typeEPNSO_ISJ_E10value_typeEPSK_NS1_7vsmem_tEENKUlT_SI_SJ_SK_E_clIPtSD_S10_SD_EESH_SX_SI_SJ_SK_EUlSX_E0_NS1_11comp_targetILNS1_3genE10ELNS1_11target_archE1201ELNS1_3gpuE5ELNS1_3repE0EEENS1_38merge_mergepath_config_static_selectorELNS0_4arch9wavefront6targetE1EEEvSJ_
                                        ; -- End function
	.set _ZN7rocprim17ROCPRIM_400000_NS6detail17trampoline_kernelINS0_14default_configENS1_38merge_sort_block_merge_config_selectorIttEEZZNS1_27merge_sort_block_merge_implIS3_N6thrust23THRUST_200600_302600_NS6detail15normal_iteratorINS8_10device_ptrItEEEESD_jNS1_19radix_merge_compareILb0ELb0EtNS0_19identity_decomposerEEEEE10hipError_tT0_T1_T2_jT3_P12ihipStream_tbPNSt15iterator_traitsISI_E10value_typeEPNSO_ISJ_E10value_typeEPSK_NS1_7vsmem_tEENKUlT_SI_SJ_SK_E_clIPtSD_S10_SD_EESH_SX_SI_SJ_SK_EUlSX_E0_NS1_11comp_targetILNS1_3genE10ELNS1_11target_archE1201ELNS1_3gpuE5ELNS1_3repE0EEENS1_38merge_mergepath_config_static_selectorELNS0_4arch9wavefront6targetE1EEEvSJ_.num_vgpr, 0
	.set _ZN7rocprim17ROCPRIM_400000_NS6detail17trampoline_kernelINS0_14default_configENS1_38merge_sort_block_merge_config_selectorIttEEZZNS1_27merge_sort_block_merge_implIS3_N6thrust23THRUST_200600_302600_NS6detail15normal_iteratorINS8_10device_ptrItEEEESD_jNS1_19radix_merge_compareILb0ELb0EtNS0_19identity_decomposerEEEEE10hipError_tT0_T1_T2_jT3_P12ihipStream_tbPNSt15iterator_traitsISI_E10value_typeEPNSO_ISJ_E10value_typeEPSK_NS1_7vsmem_tEENKUlT_SI_SJ_SK_E_clIPtSD_S10_SD_EESH_SX_SI_SJ_SK_EUlSX_E0_NS1_11comp_targetILNS1_3genE10ELNS1_11target_archE1201ELNS1_3gpuE5ELNS1_3repE0EEENS1_38merge_mergepath_config_static_selectorELNS0_4arch9wavefront6targetE1EEEvSJ_.num_agpr, 0
	.set _ZN7rocprim17ROCPRIM_400000_NS6detail17trampoline_kernelINS0_14default_configENS1_38merge_sort_block_merge_config_selectorIttEEZZNS1_27merge_sort_block_merge_implIS3_N6thrust23THRUST_200600_302600_NS6detail15normal_iteratorINS8_10device_ptrItEEEESD_jNS1_19radix_merge_compareILb0ELb0EtNS0_19identity_decomposerEEEEE10hipError_tT0_T1_T2_jT3_P12ihipStream_tbPNSt15iterator_traitsISI_E10value_typeEPNSO_ISJ_E10value_typeEPSK_NS1_7vsmem_tEENKUlT_SI_SJ_SK_E_clIPtSD_S10_SD_EESH_SX_SI_SJ_SK_EUlSX_E0_NS1_11comp_targetILNS1_3genE10ELNS1_11target_archE1201ELNS1_3gpuE5ELNS1_3repE0EEENS1_38merge_mergepath_config_static_selectorELNS0_4arch9wavefront6targetE1EEEvSJ_.numbered_sgpr, 0
	.set _ZN7rocprim17ROCPRIM_400000_NS6detail17trampoline_kernelINS0_14default_configENS1_38merge_sort_block_merge_config_selectorIttEEZZNS1_27merge_sort_block_merge_implIS3_N6thrust23THRUST_200600_302600_NS6detail15normal_iteratorINS8_10device_ptrItEEEESD_jNS1_19radix_merge_compareILb0ELb0EtNS0_19identity_decomposerEEEEE10hipError_tT0_T1_T2_jT3_P12ihipStream_tbPNSt15iterator_traitsISI_E10value_typeEPNSO_ISJ_E10value_typeEPSK_NS1_7vsmem_tEENKUlT_SI_SJ_SK_E_clIPtSD_S10_SD_EESH_SX_SI_SJ_SK_EUlSX_E0_NS1_11comp_targetILNS1_3genE10ELNS1_11target_archE1201ELNS1_3gpuE5ELNS1_3repE0EEENS1_38merge_mergepath_config_static_selectorELNS0_4arch9wavefront6targetE1EEEvSJ_.num_named_barrier, 0
	.set _ZN7rocprim17ROCPRIM_400000_NS6detail17trampoline_kernelINS0_14default_configENS1_38merge_sort_block_merge_config_selectorIttEEZZNS1_27merge_sort_block_merge_implIS3_N6thrust23THRUST_200600_302600_NS6detail15normal_iteratorINS8_10device_ptrItEEEESD_jNS1_19radix_merge_compareILb0ELb0EtNS0_19identity_decomposerEEEEE10hipError_tT0_T1_T2_jT3_P12ihipStream_tbPNSt15iterator_traitsISI_E10value_typeEPNSO_ISJ_E10value_typeEPSK_NS1_7vsmem_tEENKUlT_SI_SJ_SK_E_clIPtSD_S10_SD_EESH_SX_SI_SJ_SK_EUlSX_E0_NS1_11comp_targetILNS1_3genE10ELNS1_11target_archE1201ELNS1_3gpuE5ELNS1_3repE0EEENS1_38merge_mergepath_config_static_selectorELNS0_4arch9wavefront6targetE1EEEvSJ_.private_seg_size, 0
	.set _ZN7rocprim17ROCPRIM_400000_NS6detail17trampoline_kernelINS0_14default_configENS1_38merge_sort_block_merge_config_selectorIttEEZZNS1_27merge_sort_block_merge_implIS3_N6thrust23THRUST_200600_302600_NS6detail15normal_iteratorINS8_10device_ptrItEEEESD_jNS1_19radix_merge_compareILb0ELb0EtNS0_19identity_decomposerEEEEE10hipError_tT0_T1_T2_jT3_P12ihipStream_tbPNSt15iterator_traitsISI_E10value_typeEPNSO_ISJ_E10value_typeEPSK_NS1_7vsmem_tEENKUlT_SI_SJ_SK_E_clIPtSD_S10_SD_EESH_SX_SI_SJ_SK_EUlSX_E0_NS1_11comp_targetILNS1_3genE10ELNS1_11target_archE1201ELNS1_3gpuE5ELNS1_3repE0EEENS1_38merge_mergepath_config_static_selectorELNS0_4arch9wavefront6targetE1EEEvSJ_.uses_vcc, 0
	.set _ZN7rocprim17ROCPRIM_400000_NS6detail17trampoline_kernelINS0_14default_configENS1_38merge_sort_block_merge_config_selectorIttEEZZNS1_27merge_sort_block_merge_implIS3_N6thrust23THRUST_200600_302600_NS6detail15normal_iteratorINS8_10device_ptrItEEEESD_jNS1_19radix_merge_compareILb0ELb0EtNS0_19identity_decomposerEEEEE10hipError_tT0_T1_T2_jT3_P12ihipStream_tbPNSt15iterator_traitsISI_E10value_typeEPNSO_ISJ_E10value_typeEPSK_NS1_7vsmem_tEENKUlT_SI_SJ_SK_E_clIPtSD_S10_SD_EESH_SX_SI_SJ_SK_EUlSX_E0_NS1_11comp_targetILNS1_3genE10ELNS1_11target_archE1201ELNS1_3gpuE5ELNS1_3repE0EEENS1_38merge_mergepath_config_static_selectorELNS0_4arch9wavefront6targetE1EEEvSJ_.uses_flat_scratch, 0
	.set _ZN7rocprim17ROCPRIM_400000_NS6detail17trampoline_kernelINS0_14default_configENS1_38merge_sort_block_merge_config_selectorIttEEZZNS1_27merge_sort_block_merge_implIS3_N6thrust23THRUST_200600_302600_NS6detail15normal_iteratorINS8_10device_ptrItEEEESD_jNS1_19radix_merge_compareILb0ELb0EtNS0_19identity_decomposerEEEEE10hipError_tT0_T1_T2_jT3_P12ihipStream_tbPNSt15iterator_traitsISI_E10value_typeEPNSO_ISJ_E10value_typeEPSK_NS1_7vsmem_tEENKUlT_SI_SJ_SK_E_clIPtSD_S10_SD_EESH_SX_SI_SJ_SK_EUlSX_E0_NS1_11comp_targetILNS1_3genE10ELNS1_11target_archE1201ELNS1_3gpuE5ELNS1_3repE0EEENS1_38merge_mergepath_config_static_selectorELNS0_4arch9wavefront6targetE1EEEvSJ_.has_dyn_sized_stack, 0
	.set _ZN7rocprim17ROCPRIM_400000_NS6detail17trampoline_kernelINS0_14default_configENS1_38merge_sort_block_merge_config_selectorIttEEZZNS1_27merge_sort_block_merge_implIS3_N6thrust23THRUST_200600_302600_NS6detail15normal_iteratorINS8_10device_ptrItEEEESD_jNS1_19radix_merge_compareILb0ELb0EtNS0_19identity_decomposerEEEEE10hipError_tT0_T1_T2_jT3_P12ihipStream_tbPNSt15iterator_traitsISI_E10value_typeEPNSO_ISJ_E10value_typeEPSK_NS1_7vsmem_tEENKUlT_SI_SJ_SK_E_clIPtSD_S10_SD_EESH_SX_SI_SJ_SK_EUlSX_E0_NS1_11comp_targetILNS1_3genE10ELNS1_11target_archE1201ELNS1_3gpuE5ELNS1_3repE0EEENS1_38merge_mergepath_config_static_selectorELNS0_4arch9wavefront6targetE1EEEvSJ_.has_recursion, 0
	.set _ZN7rocprim17ROCPRIM_400000_NS6detail17trampoline_kernelINS0_14default_configENS1_38merge_sort_block_merge_config_selectorIttEEZZNS1_27merge_sort_block_merge_implIS3_N6thrust23THRUST_200600_302600_NS6detail15normal_iteratorINS8_10device_ptrItEEEESD_jNS1_19radix_merge_compareILb0ELb0EtNS0_19identity_decomposerEEEEE10hipError_tT0_T1_T2_jT3_P12ihipStream_tbPNSt15iterator_traitsISI_E10value_typeEPNSO_ISJ_E10value_typeEPSK_NS1_7vsmem_tEENKUlT_SI_SJ_SK_E_clIPtSD_S10_SD_EESH_SX_SI_SJ_SK_EUlSX_E0_NS1_11comp_targetILNS1_3genE10ELNS1_11target_archE1201ELNS1_3gpuE5ELNS1_3repE0EEENS1_38merge_mergepath_config_static_selectorELNS0_4arch9wavefront6targetE1EEEvSJ_.has_indirect_call, 0
	.section	.AMDGPU.csdata,"",@progbits
; Kernel info:
; codeLenInByte = 0
; TotalNumSgprs: 6
; NumVgprs: 0
; NumAgprs: 0
; TotalNumVgprs: 0
; ScratchSize: 0
; MemoryBound: 0
; FloatMode: 240
; IeeeMode: 1
; LDSByteSize: 0 bytes/workgroup (compile time only)
; SGPRBlocks: 0
; VGPRBlocks: 0
; NumSGPRsForWavesPerEU: 6
; NumVGPRsForWavesPerEU: 1
; AccumOffset: 4
; Occupancy: 8
; WaveLimiterHint : 0
; COMPUTE_PGM_RSRC2:SCRATCH_EN: 0
; COMPUTE_PGM_RSRC2:USER_SGPR: 2
; COMPUTE_PGM_RSRC2:TRAP_HANDLER: 0
; COMPUTE_PGM_RSRC2:TGID_X_EN: 1
; COMPUTE_PGM_RSRC2:TGID_Y_EN: 0
; COMPUTE_PGM_RSRC2:TGID_Z_EN: 0
; COMPUTE_PGM_RSRC2:TIDIG_COMP_CNT: 0
; COMPUTE_PGM_RSRC3_GFX90A:ACCUM_OFFSET: 0
; COMPUTE_PGM_RSRC3_GFX90A:TG_SPLIT: 0
	.section	.text._ZN7rocprim17ROCPRIM_400000_NS6detail17trampoline_kernelINS0_14default_configENS1_38merge_sort_block_merge_config_selectorIttEEZZNS1_27merge_sort_block_merge_implIS3_N6thrust23THRUST_200600_302600_NS6detail15normal_iteratorINS8_10device_ptrItEEEESD_jNS1_19radix_merge_compareILb0ELb0EtNS0_19identity_decomposerEEEEE10hipError_tT0_T1_T2_jT3_P12ihipStream_tbPNSt15iterator_traitsISI_E10value_typeEPNSO_ISJ_E10value_typeEPSK_NS1_7vsmem_tEENKUlT_SI_SJ_SK_E_clIPtSD_S10_SD_EESH_SX_SI_SJ_SK_EUlSX_E0_NS1_11comp_targetILNS1_3genE5ELNS1_11target_archE942ELNS1_3gpuE9ELNS1_3repE0EEENS1_38merge_mergepath_config_static_selectorELNS0_4arch9wavefront6targetE1EEEvSJ_,"axG",@progbits,_ZN7rocprim17ROCPRIM_400000_NS6detail17trampoline_kernelINS0_14default_configENS1_38merge_sort_block_merge_config_selectorIttEEZZNS1_27merge_sort_block_merge_implIS3_N6thrust23THRUST_200600_302600_NS6detail15normal_iteratorINS8_10device_ptrItEEEESD_jNS1_19radix_merge_compareILb0ELb0EtNS0_19identity_decomposerEEEEE10hipError_tT0_T1_T2_jT3_P12ihipStream_tbPNSt15iterator_traitsISI_E10value_typeEPNSO_ISJ_E10value_typeEPSK_NS1_7vsmem_tEENKUlT_SI_SJ_SK_E_clIPtSD_S10_SD_EESH_SX_SI_SJ_SK_EUlSX_E0_NS1_11comp_targetILNS1_3genE5ELNS1_11target_archE942ELNS1_3gpuE9ELNS1_3repE0EEENS1_38merge_mergepath_config_static_selectorELNS0_4arch9wavefront6targetE1EEEvSJ_,comdat
	.protected	_ZN7rocprim17ROCPRIM_400000_NS6detail17trampoline_kernelINS0_14default_configENS1_38merge_sort_block_merge_config_selectorIttEEZZNS1_27merge_sort_block_merge_implIS3_N6thrust23THRUST_200600_302600_NS6detail15normal_iteratorINS8_10device_ptrItEEEESD_jNS1_19radix_merge_compareILb0ELb0EtNS0_19identity_decomposerEEEEE10hipError_tT0_T1_T2_jT3_P12ihipStream_tbPNSt15iterator_traitsISI_E10value_typeEPNSO_ISJ_E10value_typeEPSK_NS1_7vsmem_tEENKUlT_SI_SJ_SK_E_clIPtSD_S10_SD_EESH_SX_SI_SJ_SK_EUlSX_E0_NS1_11comp_targetILNS1_3genE5ELNS1_11target_archE942ELNS1_3gpuE9ELNS1_3repE0EEENS1_38merge_mergepath_config_static_selectorELNS0_4arch9wavefront6targetE1EEEvSJ_ ; -- Begin function _ZN7rocprim17ROCPRIM_400000_NS6detail17trampoline_kernelINS0_14default_configENS1_38merge_sort_block_merge_config_selectorIttEEZZNS1_27merge_sort_block_merge_implIS3_N6thrust23THRUST_200600_302600_NS6detail15normal_iteratorINS8_10device_ptrItEEEESD_jNS1_19radix_merge_compareILb0ELb0EtNS0_19identity_decomposerEEEEE10hipError_tT0_T1_T2_jT3_P12ihipStream_tbPNSt15iterator_traitsISI_E10value_typeEPNSO_ISJ_E10value_typeEPSK_NS1_7vsmem_tEENKUlT_SI_SJ_SK_E_clIPtSD_S10_SD_EESH_SX_SI_SJ_SK_EUlSX_E0_NS1_11comp_targetILNS1_3genE5ELNS1_11target_archE942ELNS1_3gpuE9ELNS1_3repE0EEENS1_38merge_mergepath_config_static_selectorELNS0_4arch9wavefront6targetE1EEEvSJ_
	.globl	_ZN7rocprim17ROCPRIM_400000_NS6detail17trampoline_kernelINS0_14default_configENS1_38merge_sort_block_merge_config_selectorIttEEZZNS1_27merge_sort_block_merge_implIS3_N6thrust23THRUST_200600_302600_NS6detail15normal_iteratorINS8_10device_ptrItEEEESD_jNS1_19radix_merge_compareILb0ELb0EtNS0_19identity_decomposerEEEEE10hipError_tT0_T1_T2_jT3_P12ihipStream_tbPNSt15iterator_traitsISI_E10value_typeEPNSO_ISJ_E10value_typeEPSK_NS1_7vsmem_tEENKUlT_SI_SJ_SK_E_clIPtSD_S10_SD_EESH_SX_SI_SJ_SK_EUlSX_E0_NS1_11comp_targetILNS1_3genE5ELNS1_11target_archE942ELNS1_3gpuE9ELNS1_3repE0EEENS1_38merge_mergepath_config_static_selectorELNS0_4arch9wavefront6targetE1EEEvSJ_
	.p2align	8
	.type	_ZN7rocprim17ROCPRIM_400000_NS6detail17trampoline_kernelINS0_14default_configENS1_38merge_sort_block_merge_config_selectorIttEEZZNS1_27merge_sort_block_merge_implIS3_N6thrust23THRUST_200600_302600_NS6detail15normal_iteratorINS8_10device_ptrItEEEESD_jNS1_19radix_merge_compareILb0ELb0EtNS0_19identity_decomposerEEEEE10hipError_tT0_T1_T2_jT3_P12ihipStream_tbPNSt15iterator_traitsISI_E10value_typeEPNSO_ISJ_E10value_typeEPSK_NS1_7vsmem_tEENKUlT_SI_SJ_SK_E_clIPtSD_S10_SD_EESH_SX_SI_SJ_SK_EUlSX_E0_NS1_11comp_targetILNS1_3genE5ELNS1_11target_archE942ELNS1_3gpuE9ELNS1_3repE0EEENS1_38merge_mergepath_config_static_selectorELNS0_4arch9wavefront6targetE1EEEvSJ_,@function
_ZN7rocprim17ROCPRIM_400000_NS6detail17trampoline_kernelINS0_14default_configENS1_38merge_sort_block_merge_config_selectorIttEEZZNS1_27merge_sort_block_merge_implIS3_N6thrust23THRUST_200600_302600_NS6detail15normal_iteratorINS8_10device_ptrItEEEESD_jNS1_19radix_merge_compareILb0ELb0EtNS0_19identity_decomposerEEEEE10hipError_tT0_T1_T2_jT3_P12ihipStream_tbPNSt15iterator_traitsISI_E10value_typeEPNSO_ISJ_E10value_typeEPSK_NS1_7vsmem_tEENKUlT_SI_SJ_SK_E_clIPtSD_S10_SD_EESH_SX_SI_SJ_SK_EUlSX_E0_NS1_11comp_targetILNS1_3genE5ELNS1_11target_archE942ELNS1_3gpuE9ELNS1_3repE0EEENS1_38merge_mergepath_config_static_selectorELNS0_4arch9wavefront6targetE1EEEvSJ_: ; @_ZN7rocprim17ROCPRIM_400000_NS6detail17trampoline_kernelINS0_14default_configENS1_38merge_sort_block_merge_config_selectorIttEEZZNS1_27merge_sort_block_merge_implIS3_N6thrust23THRUST_200600_302600_NS6detail15normal_iteratorINS8_10device_ptrItEEEESD_jNS1_19radix_merge_compareILb0ELb0EtNS0_19identity_decomposerEEEEE10hipError_tT0_T1_T2_jT3_P12ihipStream_tbPNSt15iterator_traitsISI_E10value_typeEPNSO_ISJ_E10value_typeEPSK_NS1_7vsmem_tEENKUlT_SI_SJ_SK_E_clIPtSD_S10_SD_EESH_SX_SI_SJ_SK_EUlSX_E0_NS1_11comp_targetILNS1_3genE5ELNS1_11target_archE942ELNS1_3gpuE9ELNS1_3repE0EEENS1_38merge_mergepath_config_static_selectorELNS0_4arch9wavefront6targetE1EEEvSJ_
; %bb.0:
	.section	.rodata,"a",@progbits
	.p2align	6, 0x0
	.amdhsa_kernel _ZN7rocprim17ROCPRIM_400000_NS6detail17trampoline_kernelINS0_14default_configENS1_38merge_sort_block_merge_config_selectorIttEEZZNS1_27merge_sort_block_merge_implIS3_N6thrust23THRUST_200600_302600_NS6detail15normal_iteratorINS8_10device_ptrItEEEESD_jNS1_19radix_merge_compareILb0ELb0EtNS0_19identity_decomposerEEEEE10hipError_tT0_T1_T2_jT3_P12ihipStream_tbPNSt15iterator_traitsISI_E10value_typeEPNSO_ISJ_E10value_typeEPSK_NS1_7vsmem_tEENKUlT_SI_SJ_SK_E_clIPtSD_S10_SD_EESH_SX_SI_SJ_SK_EUlSX_E0_NS1_11comp_targetILNS1_3genE5ELNS1_11target_archE942ELNS1_3gpuE9ELNS1_3repE0EEENS1_38merge_mergepath_config_static_selectorELNS0_4arch9wavefront6targetE1EEEvSJ_
		.amdhsa_group_segment_fixed_size 0
		.amdhsa_private_segment_fixed_size 0
		.amdhsa_kernarg_size 64
		.amdhsa_user_sgpr_count 2
		.amdhsa_user_sgpr_dispatch_ptr 0
		.amdhsa_user_sgpr_queue_ptr 0
		.amdhsa_user_sgpr_kernarg_segment_ptr 1
		.amdhsa_user_sgpr_dispatch_id 0
		.amdhsa_user_sgpr_kernarg_preload_length 0
		.amdhsa_user_sgpr_kernarg_preload_offset 0
		.amdhsa_user_sgpr_private_segment_size 0
		.amdhsa_uses_dynamic_stack 0
		.amdhsa_enable_private_segment 0
		.amdhsa_system_sgpr_workgroup_id_x 1
		.amdhsa_system_sgpr_workgroup_id_y 0
		.amdhsa_system_sgpr_workgroup_id_z 0
		.amdhsa_system_sgpr_workgroup_info 0
		.amdhsa_system_vgpr_workitem_id 0
		.amdhsa_next_free_vgpr 1
		.amdhsa_next_free_sgpr 0
		.amdhsa_accum_offset 4
		.amdhsa_reserve_vcc 0
		.amdhsa_float_round_mode_32 0
		.amdhsa_float_round_mode_16_64 0
		.amdhsa_float_denorm_mode_32 3
		.amdhsa_float_denorm_mode_16_64 3
		.amdhsa_dx10_clamp 1
		.amdhsa_ieee_mode 1
		.amdhsa_fp16_overflow 0
		.amdhsa_tg_split 0
		.amdhsa_exception_fp_ieee_invalid_op 0
		.amdhsa_exception_fp_denorm_src 0
		.amdhsa_exception_fp_ieee_div_zero 0
		.amdhsa_exception_fp_ieee_overflow 0
		.amdhsa_exception_fp_ieee_underflow 0
		.amdhsa_exception_fp_ieee_inexact 0
		.amdhsa_exception_int_div_zero 0
	.end_amdhsa_kernel
	.section	.text._ZN7rocprim17ROCPRIM_400000_NS6detail17trampoline_kernelINS0_14default_configENS1_38merge_sort_block_merge_config_selectorIttEEZZNS1_27merge_sort_block_merge_implIS3_N6thrust23THRUST_200600_302600_NS6detail15normal_iteratorINS8_10device_ptrItEEEESD_jNS1_19radix_merge_compareILb0ELb0EtNS0_19identity_decomposerEEEEE10hipError_tT0_T1_T2_jT3_P12ihipStream_tbPNSt15iterator_traitsISI_E10value_typeEPNSO_ISJ_E10value_typeEPSK_NS1_7vsmem_tEENKUlT_SI_SJ_SK_E_clIPtSD_S10_SD_EESH_SX_SI_SJ_SK_EUlSX_E0_NS1_11comp_targetILNS1_3genE5ELNS1_11target_archE942ELNS1_3gpuE9ELNS1_3repE0EEENS1_38merge_mergepath_config_static_selectorELNS0_4arch9wavefront6targetE1EEEvSJ_,"axG",@progbits,_ZN7rocprim17ROCPRIM_400000_NS6detail17trampoline_kernelINS0_14default_configENS1_38merge_sort_block_merge_config_selectorIttEEZZNS1_27merge_sort_block_merge_implIS3_N6thrust23THRUST_200600_302600_NS6detail15normal_iteratorINS8_10device_ptrItEEEESD_jNS1_19radix_merge_compareILb0ELb0EtNS0_19identity_decomposerEEEEE10hipError_tT0_T1_T2_jT3_P12ihipStream_tbPNSt15iterator_traitsISI_E10value_typeEPNSO_ISJ_E10value_typeEPSK_NS1_7vsmem_tEENKUlT_SI_SJ_SK_E_clIPtSD_S10_SD_EESH_SX_SI_SJ_SK_EUlSX_E0_NS1_11comp_targetILNS1_3genE5ELNS1_11target_archE942ELNS1_3gpuE9ELNS1_3repE0EEENS1_38merge_mergepath_config_static_selectorELNS0_4arch9wavefront6targetE1EEEvSJ_,comdat
.Lfunc_end852:
	.size	_ZN7rocprim17ROCPRIM_400000_NS6detail17trampoline_kernelINS0_14default_configENS1_38merge_sort_block_merge_config_selectorIttEEZZNS1_27merge_sort_block_merge_implIS3_N6thrust23THRUST_200600_302600_NS6detail15normal_iteratorINS8_10device_ptrItEEEESD_jNS1_19radix_merge_compareILb0ELb0EtNS0_19identity_decomposerEEEEE10hipError_tT0_T1_T2_jT3_P12ihipStream_tbPNSt15iterator_traitsISI_E10value_typeEPNSO_ISJ_E10value_typeEPSK_NS1_7vsmem_tEENKUlT_SI_SJ_SK_E_clIPtSD_S10_SD_EESH_SX_SI_SJ_SK_EUlSX_E0_NS1_11comp_targetILNS1_3genE5ELNS1_11target_archE942ELNS1_3gpuE9ELNS1_3repE0EEENS1_38merge_mergepath_config_static_selectorELNS0_4arch9wavefront6targetE1EEEvSJ_, .Lfunc_end852-_ZN7rocprim17ROCPRIM_400000_NS6detail17trampoline_kernelINS0_14default_configENS1_38merge_sort_block_merge_config_selectorIttEEZZNS1_27merge_sort_block_merge_implIS3_N6thrust23THRUST_200600_302600_NS6detail15normal_iteratorINS8_10device_ptrItEEEESD_jNS1_19radix_merge_compareILb0ELb0EtNS0_19identity_decomposerEEEEE10hipError_tT0_T1_T2_jT3_P12ihipStream_tbPNSt15iterator_traitsISI_E10value_typeEPNSO_ISJ_E10value_typeEPSK_NS1_7vsmem_tEENKUlT_SI_SJ_SK_E_clIPtSD_S10_SD_EESH_SX_SI_SJ_SK_EUlSX_E0_NS1_11comp_targetILNS1_3genE5ELNS1_11target_archE942ELNS1_3gpuE9ELNS1_3repE0EEENS1_38merge_mergepath_config_static_selectorELNS0_4arch9wavefront6targetE1EEEvSJ_
                                        ; -- End function
	.set _ZN7rocprim17ROCPRIM_400000_NS6detail17trampoline_kernelINS0_14default_configENS1_38merge_sort_block_merge_config_selectorIttEEZZNS1_27merge_sort_block_merge_implIS3_N6thrust23THRUST_200600_302600_NS6detail15normal_iteratorINS8_10device_ptrItEEEESD_jNS1_19radix_merge_compareILb0ELb0EtNS0_19identity_decomposerEEEEE10hipError_tT0_T1_T2_jT3_P12ihipStream_tbPNSt15iterator_traitsISI_E10value_typeEPNSO_ISJ_E10value_typeEPSK_NS1_7vsmem_tEENKUlT_SI_SJ_SK_E_clIPtSD_S10_SD_EESH_SX_SI_SJ_SK_EUlSX_E0_NS1_11comp_targetILNS1_3genE5ELNS1_11target_archE942ELNS1_3gpuE9ELNS1_3repE0EEENS1_38merge_mergepath_config_static_selectorELNS0_4arch9wavefront6targetE1EEEvSJ_.num_vgpr, 0
	.set _ZN7rocprim17ROCPRIM_400000_NS6detail17trampoline_kernelINS0_14default_configENS1_38merge_sort_block_merge_config_selectorIttEEZZNS1_27merge_sort_block_merge_implIS3_N6thrust23THRUST_200600_302600_NS6detail15normal_iteratorINS8_10device_ptrItEEEESD_jNS1_19radix_merge_compareILb0ELb0EtNS0_19identity_decomposerEEEEE10hipError_tT0_T1_T2_jT3_P12ihipStream_tbPNSt15iterator_traitsISI_E10value_typeEPNSO_ISJ_E10value_typeEPSK_NS1_7vsmem_tEENKUlT_SI_SJ_SK_E_clIPtSD_S10_SD_EESH_SX_SI_SJ_SK_EUlSX_E0_NS1_11comp_targetILNS1_3genE5ELNS1_11target_archE942ELNS1_3gpuE9ELNS1_3repE0EEENS1_38merge_mergepath_config_static_selectorELNS0_4arch9wavefront6targetE1EEEvSJ_.num_agpr, 0
	.set _ZN7rocprim17ROCPRIM_400000_NS6detail17trampoline_kernelINS0_14default_configENS1_38merge_sort_block_merge_config_selectorIttEEZZNS1_27merge_sort_block_merge_implIS3_N6thrust23THRUST_200600_302600_NS6detail15normal_iteratorINS8_10device_ptrItEEEESD_jNS1_19radix_merge_compareILb0ELb0EtNS0_19identity_decomposerEEEEE10hipError_tT0_T1_T2_jT3_P12ihipStream_tbPNSt15iterator_traitsISI_E10value_typeEPNSO_ISJ_E10value_typeEPSK_NS1_7vsmem_tEENKUlT_SI_SJ_SK_E_clIPtSD_S10_SD_EESH_SX_SI_SJ_SK_EUlSX_E0_NS1_11comp_targetILNS1_3genE5ELNS1_11target_archE942ELNS1_3gpuE9ELNS1_3repE0EEENS1_38merge_mergepath_config_static_selectorELNS0_4arch9wavefront6targetE1EEEvSJ_.numbered_sgpr, 0
	.set _ZN7rocprim17ROCPRIM_400000_NS6detail17trampoline_kernelINS0_14default_configENS1_38merge_sort_block_merge_config_selectorIttEEZZNS1_27merge_sort_block_merge_implIS3_N6thrust23THRUST_200600_302600_NS6detail15normal_iteratorINS8_10device_ptrItEEEESD_jNS1_19radix_merge_compareILb0ELb0EtNS0_19identity_decomposerEEEEE10hipError_tT0_T1_T2_jT3_P12ihipStream_tbPNSt15iterator_traitsISI_E10value_typeEPNSO_ISJ_E10value_typeEPSK_NS1_7vsmem_tEENKUlT_SI_SJ_SK_E_clIPtSD_S10_SD_EESH_SX_SI_SJ_SK_EUlSX_E0_NS1_11comp_targetILNS1_3genE5ELNS1_11target_archE942ELNS1_3gpuE9ELNS1_3repE0EEENS1_38merge_mergepath_config_static_selectorELNS0_4arch9wavefront6targetE1EEEvSJ_.num_named_barrier, 0
	.set _ZN7rocprim17ROCPRIM_400000_NS6detail17trampoline_kernelINS0_14default_configENS1_38merge_sort_block_merge_config_selectorIttEEZZNS1_27merge_sort_block_merge_implIS3_N6thrust23THRUST_200600_302600_NS6detail15normal_iteratorINS8_10device_ptrItEEEESD_jNS1_19radix_merge_compareILb0ELb0EtNS0_19identity_decomposerEEEEE10hipError_tT0_T1_T2_jT3_P12ihipStream_tbPNSt15iterator_traitsISI_E10value_typeEPNSO_ISJ_E10value_typeEPSK_NS1_7vsmem_tEENKUlT_SI_SJ_SK_E_clIPtSD_S10_SD_EESH_SX_SI_SJ_SK_EUlSX_E0_NS1_11comp_targetILNS1_3genE5ELNS1_11target_archE942ELNS1_3gpuE9ELNS1_3repE0EEENS1_38merge_mergepath_config_static_selectorELNS0_4arch9wavefront6targetE1EEEvSJ_.private_seg_size, 0
	.set _ZN7rocprim17ROCPRIM_400000_NS6detail17trampoline_kernelINS0_14default_configENS1_38merge_sort_block_merge_config_selectorIttEEZZNS1_27merge_sort_block_merge_implIS3_N6thrust23THRUST_200600_302600_NS6detail15normal_iteratorINS8_10device_ptrItEEEESD_jNS1_19radix_merge_compareILb0ELb0EtNS0_19identity_decomposerEEEEE10hipError_tT0_T1_T2_jT3_P12ihipStream_tbPNSt15iterator_traitsISI_E10value_typeEPNSO_ISJ_E10value_typeEPSK_NS1_7vsmem_tEENKUlT_SI_SJ_SK_E_clIPtSD_S10_SD_EESH_SX_SI_SJ_SK_EUlSX_E0_NS1_11comp_targetILNS1_3genE5ELNS1_11target_archE942ELNS1_3gpuE9ELNS1_3repE0EEENS1_38merge_mergepath_config_static_selectorELNS0_4arch9wavefront6targetE1EEEvSJ_.uses_vcc, 0
	.set _ZN7rocprim17ROCPRIM_400000_NS6detail17trampoline_kernelINS0_14default_configENS1_38merge_sort_block_merge_config_selectorIttEEZZNS1_27merge_sort_block_merge_implIS3_N6thrust23THRUST_200600_302600_NS6detail15normal_iteratorINS8_10device_ptrItEEEESD_jNS1_19radix_merge_compareILb0ELb0EtNS0_19identity_decomposerEEEEE10hipError_tT0_T1_T2_jT3_P12ihipStream_tbPNSt15iterator_traitsISI_E10value_typeEPNSO_ISJ_E10value_typeEPSK_NS1_7vsmem_tEENKUlT_SI_SJ_SK_E_clIPtSD_S10_SD_EESH_SX_SI_SJ_SK_EUlSX_E0_NS1_11comp_targetILNS1_3genE5ELNS1_11target_archE942ELNS1_3gpuE9ELNS1_3repE0EEENS1_38merge_mergepath_config_static_selectorELNS0_4arch9wavefront6targetE1EEEvSJ_.uses_flat_scratch, 0
	.set _ZN7rocprim17ROCPRIM_400000_NS6detail17trampoline_kernelINS0_14default_configENS1_38merge_sort_block_merge_config_selectorIttEEZZNS1_27merge_sort_block_merge_implIS3_N6thrust23THRUST_200600_302600_NS6detail15normal_iteratorINS8_10device_ptrItEEEESD_jNS1_19radix_merge_compareILb0ELb0EtNS0_19identity_decomposerEEEEE10hipError_tT0_T1_T2_jT3_P12ihipStream_tbPNSt15iterator_traitsISI_E10value_typeEPNSO_ISJ_E10value_typeEPSK_NS1_7vsmem_tEENKUlT_SI_SJ_SK_E_clIPtSD_S10_SD_EESH_SX_SI_SJ_SK_EUlSX_E0_NS1_11comp_targetILNS1_3genE5ELNS1_11target_archE942ELNS1_3gpuE9ELNS1_3repE0EEENS1_38merge_mergepath_config_static_selectorELNS0_4arch9wavefront6targetE1EEEvSJ_.has_dyn_sized_stack, 0
	.set _ZN7rocprim17ROCPRIM_400000_NS6detail17trampoline_kernelINS0_14default_configENS1_38merge_sort_block_merge_config_selectorIttEEZZNS1_27merge_sort_block_merge_implIS3_N6thrust23THRUST_200600_302600_NS6detail15normal_iteratorINS8_10device_ptrItEEEESD_jNS1_19radix_merge_compareILb0ELb0EtNS0_19identity_decomposerEEEEE10hipError_tT0_T1_T2_jT3_P12ihipStream_tbPNSt15iterator_traitsISI_E10value_typeEPNSO_ISJ_E10value_typeEPSK_NS1_7vsmem_tEENKUlT_SI_SJ_SK_E_clIPtSD_S10_SD_EESH_SX_SI_SJ_SK_EUlSX_E0_NS1_11comp_targetILNS1_3genE5ELNS1_11target_archE942ELNS1_3gpuE9ELNS1_3repE0EEENS1_38merge_mergepath_config_static_selectorELNS0_4arch9wavefront6targetE1EEEvSJ_.has_recursion, 0
	.set _ZN7rocprim17ROCPRIM_400000_NS6detail17trampoline_kernelINS0_14default_configENS1_38merge_sort_block_merge_config_selectorIttEEZZNS1_27merge_sort_block_merge_implIS3_N6thrust23THRUST_200600_302600_NS6detail15normal_iteratorINS8_10device_ptrItEEEESD_jNS1_19radix_merge_compareILb0ELb0EtNS0_19identity_decomposerEEEEE10hipError_tT0_T1_T2_jT3_P12ihipStream_tbPNSt15iterator_traitsISI_E10value_typeEPNSO_ISJ_E10value_typeEPSK_NS1_7vsmem_tEENKUlT_SI_SJ_SK_E_clIPtSD_S10_SD_EESH_SX_SI_SJ_SK_EUlSX_E0_NS1_11comp_targetILNS1_3genE5ELNS1_11target_archE942ELNS1_3gpuE9ELNS1_3repE0EEENS1_38merge_mergepath_config_static_selectorELNS0_4arch9wavefront6targetE1EEEvSJ_.has_indirect_call, 0
	.section	.AMDGPU.csdata,"",@progbits
; Kernel info:
; codeLenInByte = 0
; TotalNumSgprs: 6
; NumVgprs: 0
; NumAgprs: 0
; TotalNumVgprs: 0
; ScratchSize: 0
; MemoryBound: 0
; FloatMode: 240
; IeeeMode: 1
; LDSByteSize: 0 bytes/workgroup (compile time only)
; SGPRBlocks: 0
; VGPRBlocks: 0
; NumSGPRsForWavesPerEU: 6
; NumVGPRsForWavesPerEU: 1
; AccumOffset: 4
; Occupancy: 8
; WaveLimiterHint : 0
; COMPUTE_PGM_RSRC2:SCRATCH_EN: 0
; COMPUTE_PGM_RSRC2:USER_SGPR: 2
; COMPUTE_PGM_RSRC2:TRAP_HANDLER: 0
; COMPUTE_PGM_RSRC2:TGID_X_EN: 1
; COMPUTE_PGM_RSRC2:TGID_Y_EN: 0
; COMPUTE_PGM_RSRC2:TGID_Z_EN: 0
; COMPUTE_PGM_RSRC2:TIDIG_COMP_CNT: 0
; COMPUTE_PGM_RSRC3_GFX90A:ACCUM_OFFSET: 0
; COMPUTE_PGM_RSRC3_GFX90A:TG_SPLIT: 0
	.section	.text._ZN7rocprim17ROCPRIM_400000_NS6detail17trampoline_kernelINS0_14default_configENS1_38merge_sort_block_merge_config_selectorIttEEZZNS1_27merge_sort_block_merge_implIS3_N6thrust23THRUST_200600_302600_NS6detail15normal_iteratorINS8_10device_ptrItEEEESD_jNS1_19radix_merge_compareILb0ELb0EtNS0_19identity_decomposerEEEEE10hipError_tT0_T1_T2_jT3_P12ihipStream_tbPNSt15iterator_traitsISI_E10value_typeEPNSO_ISJ_E10value_typeEPSK_NS1_7vsmem_tEENKUlT_SI_SJ_SK_E_clIPtSD_S10_SD_EESH_SX_SI_SJ_SK_EUlSX_E0_NS1_11comp_targetILNS1_3genE4ELNS1_11target_archE910ELNS1_3gpuE8ELNS1_3repE0EEENS1_38merge_mergepath_config_static_selectorELNS0_4arch9wavefront6targetE1EEEvSJ_,"axG",@progbits,_ZN7rocprim17ROCPRIM_400000_NS6detail17trampoline_kernelINS0_14default_configENS1_38merge_sort_block_merge_config_selectorIttEEZZNS1_27merge_sort_block_merge_implIS3_N6thrust23THRUST_200600_302600_NS6detail15normal_iteratorINS8_10device_ptrItEEEESD_jNS1_19radix_merge_compareILb0ELb0EtNS0_19identity_decomposerEEEEE10hipError_tT0_T1_T2_jT3_P12ihipStream_tbPNSt15iterator_traitsISI_E10value_typeEPNSO_ISJ_E10value_typeEPSK_NS1_7vsmem_tEENKUlT_SI_SJ_SK_E_clIPtSD_S10_SD_EESH_SX_SI_SJ_SK_EUlSX_E0_NS1_11comp_targetILNS1_3genE4ELNS1_11target_archE910ELNS1_3gpuE8ELNS1_3repE0EEENS1_38merge_mergepath_config_static_selectorELNS0_4arch9wavefront6targetE1EEEvSJ_,comdat
	.protected	_ZN7rocprim17ROCPRIM_400000_NS6detail17trampoline_kernelINS0_14default_configENS1_38merge_sort_block_merge_config_selectorIttEEZZNS1_27merge_sort_block_merge_implIS3_N6thrust23THRUST_200600_302600_NS6detail15normal_iteratorINS8_10device_ptrItEEEESD_jNS1_19radix_merge_compareILb0ELb0EtNS0_19identity_decomposerEEEEE10hipError_tT0_T1_T2_jT3_P12ihipStream_tbPNSt15iterator_traitsISI_E10value_typeEPNSO_ISJ_E10value_typeEPSK_NS1_7vsmem_tEENKUlT_SI_SJ_SK_E_clIPtSD_S10_SD_EESH_SX_SI_SJ_SK_EUlSX_E0_NS1_11comp_targetILNS1_3genE4ELNS1_11target_archE910ELNS1_3gpuE8ELNS1_3repE0EEENS1_38merge_mergepath_config_static_selectorELNS0_4arch9wavefront6targetE1EEEvSJ_ ; -- Begin function _ZN7rocprim17ROCPRIM_400000_NS6detail17trampoline_kernelINS0_14default_configENS1_38merge_sort_block_merge_config_selectorIttEEZZNS1_27merge_sort_block_merge_implIS3_N6thrust23THRUST_200600_302600_NS6detail15normal_iteratorINS8_10device_ptrItEEEESD_jNS1_19radix_merge_compareILb0ELb0EtNS0_19identity_decomposerEEEEE10hipError_tT0_T1_T2_jT3_P12ihipStream_tbPNSt15iterator_traitsISI_E10value_typeEPNSO_ISJ_E10value_typeEPSK_NS1_7vsmem_tEENKUlT_SI_SJ_SK_E_clIPtSD_S10_SD_EESH_SX_SI_SJ_SK_EUlSX_E0_NS1_11comp_targetILNS1_3genE4ELNS1_11target_archE910ELNS1_3gpuE8ELNS1_3repE0EEENS1_38merge_mergepath_config_static_selectorELNS0_4arch9wavefront6targetE1EEEvSJ_
	.globl	_ZN7rocprim17ROCPRIM_400000_NS6detail17trampoline_kernelINS0_14default_configENS1_38merge_sort_block_merge_config_selectorIttEEZZNS1_27merge_sort_block_merge_implIS3_N6thrust23THRUST_200600_302600_NS6detail15normal_iteratorINS8_10device_ptrItEEEESD_jNS1_19radix_merge_compareILb0ELb0EtNS0_19identity_decomposerEEEEE10hipError_tT0_T1_T2_jT3_P12ihipStream_tbPNSt15iterator_traitsISI_E10value_typeEPNSO_ISJ_E10value_typeEPSK_NS1_7vsmem_tEENKUlT_SI_SJ_SK_E_clIPtSD_S10_SD_EESH_SX_SI_SJ_SK_EUlSX_E0_NS1_11comp_targetILNS1_3genE4ELNS1_11target_archE910ELNS1_3gpuE8ELNS1_3repE0EEENS1_38merge_mergepath_config_static_selectorELNS0_4arch9wavefront6targetE1EEEvSJ_
	.p2align	8
	.type	_ZN7rocprim17ROCPRIM_400000_NS6detail17trampoline_kernelINS0_14default_configENS1_38merge_sort_block_merge_config_selectorIttEEZZNS1_27merge_sort_block_merge_implIS3_N6thrust23THRUST_200600_302600_NS6detail15normal_iteratorINS8_10device_ptrItEEEESD_jNS1_19radix_merge_compareILb0ELb0EtNS0_19identity_decomposerEEEEE10hipError_tT0_T1_T2_jT3_P12ihipStream_tbPNSt15iterator_traitsISI_E10value_typeEPNSO_ISJ_E10value_typeEPSK_NS1_7vsmem_tEENKUlT_SI_SJ_SK_E_clIPtSD_S10_SD_EESH_SX_SI_SJ_SK_EUlSX_E0_NS1_11comp_targetILNS1_3genE4ELNS1_11target_archE910ELNS1_3gpuE8ELNS1_3repE0EEENS1_38merge_mergepath_config_static_selectorELNS0_4arch9wavefront6targetE1EEEvSJ_,@function
_ZN7rocprim17ROCPRIM_400000_NS6detail17trampoline_kernelINS0_14default_configENS1_38merge_sort_block_merge_config_selectorIttEEZZNS1_27merge_sort_block_merge_implIS3_N6thrust23THRUST_200600_302600_NS6detail15normal_iteratorINS8_10device_ptrItEEEESD_jNS1_19radix_merge_compareILb0ELb0EtNS0_19identity_decomposerEEEEE10hipError_tT0_T1_T2_jT3_P12ihipStream_tbPNSt15iterator_traitsISI_E10value_typeEPNSO_ISJ_E10value_typeEPSK_NS1_7vsmem_tEENKUlT_SI_SJ_SK_E_clIPtSD_S10_SD_EESH_SX_SI_SJ_SK_EUlSX_E0_NS1_11comp_targetILNS1_3genE4ELNS1_11target_archE910ELNS1_3gpuE8ELNS1_3repE0EEENS1_38merge_mergepath_config_static_selectorELNS0_4arch9wavefront6targetE1EEEvSJ_: ; @_ZN7rocprim17ROCPRIM_400000_NS6detail17trampoline_kernelINS0_14default_configENS1_38merge_sort_block_merge_config_selectorIttEEZZNS1_27merge_sort_block_merge_implIS3_N6thrust23THRUST_200600_302600_NS6detail15normal_iteratorINS8_10device_ptrItEEEESD_jNS1_19radix_merge_compareILb0ELb0EtNS0_19identity_decomposerEEEEE10hipError_tT0_T1_T2_jT3_P12ihipStream_tbPNSt15iterator_traitsISI_E10value_typeEPNSO_ISJ_E10value_typeEPSK_NS1_7vsmem_tEENKUlT_SI_SJ_SK_E_clIPtSD_S10_SD_EESH_SX_SI_SJ_SK_EUlSX_E0_NS1_11comp_targetILNS1_3genE4ELNS1_11target_archE910ELNS1_3gpuE8ELNS1_3repE0EEENS1_38merge_mergepath_config_static_selectorELNS0_4arch9wavefront6targetE1EEEvSJ_
; %bb.0:
	.section	.rodata,"a",@progbits
	.p2align	6, 0x0
	.amdhsa_kernel _ZN7rocprim17ROCPRIM_400000_NS6detail17trampoline_kernelINS0_14default_configENS1_38merge_sort_block_merge_config_selectorIttEEZZNS1_27merge_sort_block_merge_implIS3_N6thrust23THRUST_200600_302600_NS6detail15normal_iteratorINS8_10device_ptrItEEEESD_jNS1_19radix_merge_compareILb0ELb0EtNS0_19identity_decomposerEEEEE10hipError_tT0_T1_T2_jT3_P12ihipStream_tbPNSt15iterator_traitsISI_E10value_typeEPNSO_ISJ_E10value_typeEPSK_NS1_7vsmem_tEENKUlT_SI_SJ_SK_E_clIPtSD_S10_SD_EESH_SX_SI_SJ_SK_EUlSX_E0_NS1_11comp_targetILNS1_3genE4ELNS1_11target_archE910ELNS1_3gpuE8ELNS1_3repE0EEENS1_38merge_mergepath_config_static_selectorELNS0_4arch9wavefront6targetE1EEEvSJ_
		.amdhsa_group_segment_fixed_size 0
		.amdhsa_private_segment_fixed_size 0
		.amdhsa_kernarg_size 64
		.amdhsa_user_sgpr_count 2
		.amdhsa_user_sgpr_dispatch_ptr 0
		.amdhsa_user_sgpr_queue_ptr 0
		.amdhsa_user_sgpr_kernarg_segment_ptr 1
		.amdhsa_user_sgpr_dispatch_id 0
		.amdhsa_user_sgpr_kernarg_preload_length 0
		.amdhsa_user_sgpr_kernarg_preload_offset 0
		.amdhsa_user_sgpr_private_segment_size 0
		.amdhsa_uses_dynamic_stack 0
		.amdhsa_enable_private_segment 0
		.amdhsa_system_sgpr_workgroup_id_x 1
		.amdhsa_system_sgpr_workgroup_id_y 0
		.amdhsa_system_sgpr_workgroup_id_z 0
		.amdhsa_system_sgpr_workgroup_info 0
		.amdhsa_system_vgpr_workitem_id 0
		.amdhsa_next_free_vgpr 1
		.amdhsa_next_free_sgpr 0
		.amdhsa_accum_offset 4
		.amdhsa_reserve_vcc 0
		.amdhsa_float_round_mode_32 0
		.amdhsa_float_round_mode_16_64 0
		.amdhsa_float_denorm_mode_32 3
		.amdhsa_float_denorm_mode_16_64 3
		.amdhsa_dx10_clamp 1
		.amdhsa_ieee_mode 1
		.amdhsa_fp16_overflow 0
		.amdhsa_tg_split 0
		.amdhsa_exception_fp_ieee_invalid_op 0
		.amdhsa_exception_fp_denorm_src 0
		.amdhsa_exception_fp_ieee_div_zero 0
		.amdhsa_exception_fp_ieee_overflow 0
		.amdhsa_exception_fp_ieee_underflow 0
		.amdhsa_exception_fp_ieee_inexact 0
		.amdhsa_exception_int_div_zero 0
	.end_amdhsa_kernel
	.section	.text._ZN7rocprim17ROCPRIM_400000_NS6detail17trampoline_kernelINS0_14default_configENS1_38merge_sort_block_merge_config_selectorIttEEZZNS1_27merge_sort_block_merge_implIS3_N6thrust23THRUST_200600_302600_NS6detail15normal_iteratorINS8_10device_ptrItEEEESD_jNS1_19radix_merge_compareILb0ELb0EtNS0_19identity_decomposerEEEEE10hipError_tT0_T1_T2_jT3_P12ihipStream_tbPNSt15iterator_traitsISI_E10value_typeEPNSO_ISJ_E10value_typeEPSK_NS1_7vsmem_tEENKUlT_SI_SJ_SK_E_clIPtSD_S10_SD_EESH_SX_SI_SJ_SK_EUlSX_E0_NS1_11comp_targetILNS1_3genE4ELNS1_11target_archE910ELNS1_3gpuE8ELNS1_3repE0EEENS1_38merge_mergepath_config_static_selectorELNS0_4arch9wavefront6targetE1EEEvSJ_,"axG",@progbits,_ZN7rocprim17ROCPRIM_400000_NS6detail17trampoline_kernelINS0_14default_configENS1_38merge_sort_block_merge_config_selectorIttEEZZNS1_27merge_sort_block_merge_implIS3_N6thrust23THRUST_200600_302600_NS6detail15normal_iteratorINS8_10device_ptrItEEEESD_jNS1_19radix_merge_compareILb0ELb0EtNS0_19identity_decomposerEEEEE10hipError_tT0_T1_T2_jT3_P12ihipStream_tbPNSt15iterator_traitsISI_E10value_typeEPNSO_ISJ_E10value_typeEPSK_NS1_7vsmem_tEENKUlT_SI_SJ_SK_E_clIPtSD_S10_SD_EESH_SX_SI_SJ_SK_EUlSX_E0_NS1_11comp_targetILNS1_3genE4ELNS1_11target_archE910ELNS1_3gpuE8ELNS1_3repE0EEENS1_38merge_mergepath_config_static_selectorELNS0_4arch9wavefront6targetE1EEEvSJ_,comdat
.Lfunc_end853:
	.size	_ZN7rocprim17ROCPRIM_400000_NS6detail17trampoline_kernelINS0_14default_configENS1_38merge_sort_block_merge_config_selectorIttEEZZNS1_27merge_sort_block_merge_implIS3_N6thrust23THRUST_200600_302600_NS6detail15normal_iteratorINS8_10device_ptrItEEEESD_jNS1_19radix_merge_compareILb0ELb0EtNS0_19identity_decomposerEEEEE10hipError_tT0_T1_T2_jT3_P12ihipStream_tbPNSt15iterator_traitsISI_E10value_typeEPNSO_ISJ_E10value_typeEPSK_NS1_7vsmem_tEENKUlT_SI_SJ_SK_E_clIPtSD_S10_SD_EESH_SX_SI_SJ_SK_EUlSX_E0_NS1_11comp_targetILNS1_3genE4ELNS1_11target_archE910ELNS1_3gpuE8ELNS1_3repE0EEENS1_38merge_mergepath_config_static_selectorELNS0_4arch9wavefront6targetE1EEEvSJ_, .Lfunc_end853-_ZN7rocprim17ROCPRIM_400000_NS6detail17trampoline_kernelINS0_14default_configENS1_38merge_sort_block_merge_config_selectorIttEEZZNS1_27merge_sort_block_merge_implIS3_N6thrust23THRUST_200600_302600_NS6detail15normal_iteratorINS8_10device_ptrItEEEESD_jNS1_19radix_merge_compareILb0ELb0EtNS0_19identity_decomposerEEEEE10hipError_tT0_T1_T2_jT3_P12ihipStream_tbPNSt15iterator_traitsISI_E10value_typeEPNSO_ISJ_E10value_typeEPSK_NS1_7vsmem_tEENKUlT_SI_SJ_SK_E_clIPtSD_S10_SD_EESH_SX_SI_SJ_SK_EUlSX_E0_NS1_11comp_targetILNS1_3genE4ELNS1_11target_archE910ELNS1_3gpuE8ELNS1_3repE0EEENS1_38merge_mergepath_config_static_selectorELNS0_4arch9wavefront6targetE1EEEvSJ_
                                        ; -- End function
	.set _ZN7rocprim17ROCPRIM_400000_NS6detail17trampoline_kernelINS0_14default_configENS1_38merge_sort_block_merge_config_selectorIttEEZZNS1_27merge_sort_block_merge_implIS3_N6thrust23THRUST_200600_302600_NS6detail15normal_iteratorINS8_10device_ptrItEEEESD_jNS1_19radix_merge_compareILb0ELb0EtNS0_19identity_decomposerEEEEE10hipError_tT0_T1_T2_jT3_P12ihipStream_tbPNSt15iterator_traitsISI_E10value_typeEPNSO_ISJ_E10value_typeEPSK_NS1_7vsmem_tEENKUlT_SI_SJ_SK_E_clIPtSD_S10_SD_EESH_SX_SI_SJ_SK_EUlSX_E0_NS1_11comp_targetILNS1_3genE4ELNS1_11target_archE910ELNS1_3gpuE8ELNS1_3repE0EEENS1_38merge_mergepath_config_static_selectorELNS0_4arch9wavefront6targetE1EEEvSJ_.num_vgpr, 0
	.set _ZN7rocprim17ROCPRIM_400000_NS6detail17trampoline_kernelINS0_14default_configENS1_38merge_sort_block_merge_config_selectorIttEEZZNS1_27merge_sort_block_merge_implIS3_N6thrust23THRUST_200600_302600_NS6detail15normal_iteratorINS8_10device_ptrItEEEESD_jNS1_19radix_merge_compareILb0ELb0EtNS0_19identity_decomposerEEEEE10hipError_tT0_T1_T2_jT3_P12ihipStream_tbPNSt15iterator_traitsISI_E10value_typeEPNSO_ISJ_E10value_typeEPSK_NS1_7vsmem_tEENKUlT_SI_SJ_SK_E_clIPtSD_S10_SD_EESH_SX_SI_SJ_SK_EUlSX_E0_NS1_11comp_targetILNS1_3genE4ELNS1_11target_archE910ELNS1_3gpuE8ELNS1_3repE0EEENS1_38merge_mergepath_config_static_selectorELNS0_4arch9wavefront6targetE1EEEvSJ_.num_agpr, 0
	.set _ZN7rocprim17ROCPRIM_400000_NS6detail17trampoline_kernelINS0_14default_configENS1_38merge_sort_block_merge_config_selectorIttEEZZNS1_27merge_sort_block_merge_implIS3_N6thrust23THRUST_200600_302600_NS6detail15normal_iteratorINS8_10device_ptrItEEEESD_jNS1_19radix_merge_compareILb0ELb0EtNS0_19identity_decomposerEEEEE10hipError_tT0_T1_T2_jT3_P12ihipStream_tbPNSt15iterator_traitsISI_E10value_typeEPNSO_ISJ_E10value_typeEPSK_NS1_7vsmem_tEENKUlT_SI_SJ_SK_E_clIPtSD_S10_SD_EESH_SX_SI_SJ_SK_EUlSX_E0_NS1_11comp_targetILNS1_3genE4ELNS1_11target_archE910ELNS1_3gpuE8ELNS1_3repE0EEENS1_38merge_mergepath_config_static_selectorELNS0_4arch9wavefront6targetE1EEEvSJ_.numbered_sgpr, 0
	.set _ZN7rocprim17ROCPRIM_400000_NS6detail17trampoline_kernelINS0_14default_configENS1_38merge_sort_block_merge_config_selectorIttEEZZNS1_27merge_sort_block_merge_implIS3_N6thrust23THRUST_200600_302600_NS6detail15normal_iteratorINS8_10device_ptrItEEEESD_jNS1_19radix_merge_compareILb0ELb0EtNS0_19identity_decomposerEEEEE10hipError_tT0_T1_T2_jT3_P12ihipStream_tbPNSt15iterator_traitsISI_E10value_typeEPNSO_ISJ_E10value_typeEPSK_NS1_7vsmem_tEENKUlT_SI_SJ_SK_E_clIPtSD_S10_SD_EESH_SX_SI_SJ_SK_EUlSX_E0_NS1_11comp_targetILNS1_3genE4ELNS1_11target_archE910ELNS1_3gpuE8ELNS1_3repE0EEENS1_38merge_mergepath_config_static_selectorELNS0_4arch9wavefront6targetE1EEEvSJ_.num_named_barrier, 0
	.set _ZN7rocprim17ROCPRIM_400000_NS6detail17trampoline_kernelINS0_14default_configENS1_38merge_sort_block_merge_config_selectorIttEEZZNS1_27merge_sort_block_merge_implIS3_N6thrust23THRUST_200600_302600_NS6detail15normal_iteratorINS8_10device_ptrItEEEESD_jNS1_19radix_merge_compareILb0ELb0EtNS0_19identity_decomposerEEEEE10hipError_tT0_T1_T2_jT3_P12ihipStream_tbPNSt15iterator_traitsISI_E10value_typeEPNSO_ISJ_E10value_typeEPSK_NS1_7vsmem_tEENKUlT_SI_SJ_SK_E_clIPtSD_S10_SD_EESH_SX_SI_SJ_SK_EUlSX_E0_NS1_11comp_targetILNS1_3genE4ELNS1_11target_archE910ELNS1_3gpuE8ELNS1_3repE0EEENS1_38merge_mergepath_config_static_selectorELNS0_4arch9wavefront6targetE1EEEvSJ_.private_seg_size, 0
	.set _ZN7rocprim17ROCPRIM_400000_NS6detail17trampoline_kernelINS0_14default_configENS1_38merge_sort_block_merge_config_selectorIttEEZZNS1_27merge_sort_block_merge_implIS3_N6thrust23THRUST_200600_302600_NS6detail15normal_iteratorINS8_10device_ptrItEEEESD_jNS1_19radix_merge_compareILb0ELb0EtNS0_19identity_decomposerEEEEE10hipError_tT0_T1_T2_jT3_P12ihipStream_tbPNSt15iterator_traitsISI_E10value_typeEPNSO_ISJ_E10value_typeEPSK_NS1_7vsmem_tEENKUlT_SI_SJ_SK_E_clIPtSD_S10_SD_EESH_SX_SI_SJ_SK_EUlSX_E0_NS1_11comp_targetILNS1_3genE4ELNS1_11target_archE910ELNS1_3gpuE8ELNS1_3repE0EEENS1_38merge_mergepath_config_static_selectorELNS0_4arch9wavefront6targetE1EEEvSJ_.uses_vcc, 0
	.set _ZN7rocprim17ROCPRIM_400000_NS6detail17trampoline_kernelINS0_14default_configENS1_38merge_sort_block_merge_config_selectorIttEEZZNS1_27merge_sort_block_merge_implIS3_N6thrust23THRUST_200600_302600_NS6detail15normal_iteratorINS8_10device_ptrItEEEESD_jNS1_19radix_merge_compareILb0ELb0EtNS0_19identity_decomposerEEEEE10hipError_tT0_T1_T2_jT3_P12ihipStream_tbPNSt15iterator_traitsISI_E10value_typeEPNSO_ISJ_E10value_typeEPSK_NS1_7vsmem_tEENKUlT_SI_SJ_SK_E_clIPtSD_S10_SD_EESH_SX_SI_SJ_SK_EUlSX_E0_NS1_11comp_targetILNS1_3genE4ELNS1_11target_archE910ELNS1_3gpuE8ELNS1_3repE0EEENS1_38merge_mergepath_config_static_selectorELNS0_4arch9wavefront6targetE1EEEvSJ_.uses_flat_scratch, 0
	.set _ZN7rocprim17ROCPRIM_400000_NS6detail17trampoline_kernelINS0_14default_configENS1_38merge_sort_block_merge_config_selectorIttEEZZNS1_27merge_sort_block_merge_implIS3_N6thrust23THRUST_200600_302600_NS6detail15normal_iteratorINS8_10device_ptrItEEEESD_jNS1_19radix_merge_compareILb0ELb0EtNS0_19identity_decomposerEEEEE10hipError_tT0_T1_T2_jT3_P12ihipStream_tbPNSt15iterator_traitsISI_E10value_typeEPNSO_ISJ_E10value_typeEPSK_NS1_7vsmem_tEENKUlT_SI_SJ_SK_E_clIPtSD_S10_SD_EESH_SX_SI_SJ_SK_EUlSX_E0_NS1_11comp_targetILNS1_3genE4ELNS1_11target_archE910ELNS1_3gpuE8ELNS1_3repE0EEENS1_38merge_mergepath_config_static_selectorELNS0_4arch9wavefront6targetE1EEEvSJ_.has_dyn_sized_stack, 0
	.set _ZN7rocprim17ROCPRIM_400000_NS6detail17trampoline_kernelINS0_14default_configENS1_38merge_sort_block_merge_config_selectorIttEEZZNS1_27merge_sort_block_merge_implIS3_N6thrust23THRUST_200600_302600_NS6detail15normal_iteratorINS8_10device_ptrItEEEESD_jNS1_19radix_merge_compareILb0ELb0EtNS0_19identity_decomposerEEEEE10hipError_tT0_T1_T2_jT3_P12ihipStream_tbPNSt15iterator_traitsISI_E10value_typeEPNSO_ISJ_E10value_typeEPSK_NS1_7vsmem_tEENKUlT_SI_SJ_SK_E_clIPtSD_S10_SD_EESH_SX_SI_SJ_SK_EUlSX_E0_NS1_11comp_targetILNS1_3genE4ELNS1_11target_archE910ELNS1_3gpuE8ELNS1_3repE0EEENS1_38merge_mergepath_config_static_selectorELNS0_4arch9wavefront6targetE1EEEvSJ_.has_recursion, 0
	.set _ZN7rocprim17ROCPRIM_400000_NS6detail17trampoline_kernelINS0_14default_configENS1_38merge_sort_block_merge_config_selectorIttEEZZNS1_27merge_sort_block_merge_implIS3_N6thrust23THRUST_200600_302600_NS6detail15normal_iteratorINS8_10device_ptrItEEEESD_jNS1_19radix_merge_compareILb0ELb0EtNS0_19identity_decomposerEEEEE10hipError_tT0_T1_T2_jT3_P12ihipStream_tbPNSt15iterator_traitsISI_E10value_typeEPNSO_ISJ_E10value_typeEPSK_NS1_7vsmem_tEENKUlT_SI_SJ_SK_E_clIPtSD_S10_SD_EESH_SX_SI_SJ_SK_EUlSX_E0_NS1_11comp_targetILNS1_3genE4ELNS1_11target_archE910ELNS1_3gpuE8ELNS1_3repE0EEENS1_38merge_mergepath_config_static_selectorELNS0_4arch9wavefront6targetE1EEEvSJ_.has_indirect_call, 0
	.section	.AMDGPU.csdata,"",@progbits
; Kernel info:
; codeLenInByte = 0
; TotalNumSgprs: 6
; NumVgprs: 0
; NumAgprs: 0
; TotalNumVgprs: 0
; ScratchSize: 0
; MemoryBound: 0
; FloatMode: 240
; IeeeMode: 1
; LDSByteSize: 0 bytes/workgroup (compile time only)
; SGPRBlocks: 0
; VGPRBlocks: 0
; NumSGPRsForWavesPerEU: 6
; NumVGPRsForWavesPerEU: 1
; AccumOffset: 4
; Occupancy: 8
; WaveLimiterHint : 0
; COMPUTE_PGM_RSRC2:SCRATCH_EN: 0
; COMPUTE_PGM_RSRC2:USER_SGPR: 2
; COMPUTE_PGM_RSRC2:TRAP_HANDLER: 0
; COMPUTE_PGM_RSRC2:TGID_X_EN: 1
; COMPUTE_PGM_RSRC2:TGID_Y_EN: 0
; COMPUTE_PGM_RSRC2:TGID_Z_EN: 0
; COMPUTE_PGM_RSRC2:TIDIG_COMP_CNT: 0
; COMPUTE_PGM_RSRC3_GFX90A:ACCUM_OFFSET: 0
; COMPUTE_PGM_RSRC3_GFX90A:TG_SPLIT: 0
	.section	.text._ZN7rocprim17ROCPRIM_400000_NS6detail17trampoline_kernelINS0_14default_configENS1_38merge_sort_block_merge_config_selectorIttEEZZNS1_27merge_sort_block_merge_implIS3_N6thrust23THRUST_200600_302600_NS6detail15normal_iteratorINS8_10device_ptrItEEEESD_jNS1_19radix_merge_compareILb0ELb0EtNS0_19identity_decomposerEEEEE10hipError_tT0_T1_T2_jT3_P12ihipStream_tbPNSt15iterator_traitsISI_E10value_typeEPNSO_ISJ_E10value_typeEPSK_NS1_7vsmem_tEENKUlT_SI_SJ_SK_E_clIPtSD_S10_SD_EESH_SX_SI_SJ_SK_EUlSX_E0_NS1_11comp_targetILNS1_3genE3ELNS1_11target_archE908ELNS1_3gpuE7ELNS1_3repE0EEENS1_38merge_mergepath_config_static_selectorELNS0_4arch9wavefront6targetE1EEEvSJ_,"axG",@progbits,_ZN7rocprim17ROCPRIM_400000_NS6detail17trampoline_kernelINS0_14default_configENS1_38merge_sort_block_merge_config_selectorIttEEZZNS1_27merge_sort_block_merge_implIS3_N6thrust23THRUST_200600_302600_NS6detail15normal_iteratorINS8_10device_ptrItEEEESD_jNS1_19radix_merge_compareILb0ELb0EtNS0_19identity_decomposerEEEEE10hipError_tT0_T1_T2_jT3_P12ihipStream_tbPNSt15iterator_traitsISI_E10value_typeEPNSO_ISJ_E10value_typeEPSK_NS1_7vsmem_tEENKUlT_SI_SJ_SK_E_clIPtSD_S10_SD_EESH_SX_SI_SJ_SK_EUlSX_E0_NS1_11comp_targetILNS1_3genE3ELNS1_11target_archE908ELNS1_3gpuE7ELNS1_3repE0EEENS1_38merge_mergepath_config_static_selectorELNS0_4arch9wavefront6targetE1EEEvSJ_,comdat
	.protected	_ZN7rocprim17ROCPRIM_400000_NS6detail17trampoline_kernelINS0_14default_configENS1_38merge_sort_block_merge_config_selectorIttEEZZNS1_27merge_sort_block_merge_implIS3_N6thrust23THRUST_200600_302600_NS6detail15normal_iteratorINS8_10device_ptrItEEEESD_jNS1_19radix_merge_compareILb0ELb0EtNS0_19identity_decomposerEEEEE10hipError_tT0_T1_T2_jT3_P12ihipStream_tbPNSt15iterator_traitsISI_E10value_typeEPNSO_ISJ_E10value_typeEPSK_NS1_7vsmem_tEENKUlT_SI_SJ_SK_E_clIPtSD_S10_SD_EESH_SX_SI_SJ_SK_EUlSX_E0_NS1_11comp_targetILNS1_3genE3ELNS1_11target_archE908ELNS1_3gpuE7ELNS1_3repE0EEENS1_38merge_mergepath_config_static_selectorELNS0_4arch9wavefront6targetE1EEEvSJ_ ; -- Begin function _ZN7rocprim17ROCPRIM_400000_NS6detail17trampoline_kernelINS0_14default_configENS1_38merge_sort_block_merge_config_selectorIttEEZZNS1_27merge_sort_block_merge_implIS3_N6thrust23THRUST_200600_302600_NS6detail15normal_iteratorINS8_10device_ptrItEEEESD_jNS1_19radix_merge_compareILb0ELb0EtNS0_19identity_decomposerEEEEE10hipError_tT0_T1_T2_jT3_P12ihipStream_tbPNSt15iterator_traitsISI_E10value_typeEPNSO_ISJ_E10value_typeEPSK_NS1_7vsmem_tEENKUlT_SI_SJ_SK_E_clIPtSD_S10_SD_EESH_SX_SI_SJ_SK_EUlSX_E0_NS1_11comp_targetILNS1_3genE3ELNS1_11target_archE908ELNS1_3gpuE7ELNS1_3repE0EEENS1_38merge_mergepath_config_static_selectorELNS0_4arch9wavefront6targetE1EEEvSJ_
	.globl	_ZN7rocprim17ROCPRIM_400000_NS6detail17trampoline_kernelINS0_14default_configENS1_38merge_sort_block_merge_config_selectorIttEEZZNS1_27merge_sort_block_merge_implIS3_N6thrust23THRUST_200600_302600_NS6detail15normal_iteratorINS8_10device_ptrItEEEESD_jNS1_19radix_merge_compareILb0ELb0EtNS0_19identity_decomposerEEEEE10hipError_tT0_T1_T2_jT3_P12ihipStream_tbPNSt15iterator_traitsISI_E10value_typeEPNSO_ISJ_E10value_typeEPSK_NS1_7vsmem_tEENKUlT_SI_SJ_SK_E_clIPtSD_S10_SD_EESH_SX_SI_SJ_SK_EUlSX_E0_NS1_11comp_targetILNS1_3genE3ELNS1_11target_archE908ELNS1_3gpuE7ELNS1_3repE0EEENS1_38merge_mergepath_config_static_selectorELNS0_4arch9wavefront6targetE1EEEvSJ_
	.p2align	8
	.type	_ZN7rocprim17ROCPRIM_400000_NS6detail17trampoline_kernelINS0_14default_configENS1_38merge_sort_block_merge_config_selectorIttEEZZNS1_27merge_sort_block_merge_implIS3_N6thrust23THRUST_200600_302600_NS6detail15normal_iteratorINS8_10device_ptrItEEEESD_jNS1_19radix_merge_compareILb0ELb0EtNS0_19identity_decomposerEEEEE10hipError_tT0_T1_T2_jT3_P12ihipStream_tbPNSt15iterator_traitsISI_E10value_typeEPNSO_ISJ_E10value_typeEPSK_NS1_7vsmem_tEENKUlT_SI_SJ_SK_E_clIPtSD_S10_SD_EESH_SX_SI_SJ_SK_EUlSX_E0_NS1_11comp_targetILNS1_3genE3ELNS1_11target_archE908ELNS1_3gpuE7ELNS1_3repE0EEENS1_38merge_mergepath_config_static_selectorELNS0_4arch9wavefront6targetE1EEEvSJ_,@function
_ZN7rocprim17ROCPRIM_400000_NS6detail17trampoline_kernelINS0_14default_configENS1_38merge_sort_block_merge_config_selectorIttEEZZNS1_27merge_sort_block_merge_implIS3_N6thrust23THRUST_200600_302600_NS6detail15normal_iteratorINS8_10device_ptrItEEEESD_jNS1_19radix_merge_compareILb0ELb0EtNS0_19identity_decomposerEEEEE10hipError_tT0_T1_T2_jT3_P12ihipStream_tbPNSt15iterator_traitsISI_E10value_typeEPNSO_ISJ_E10value_typeEPSK_NS1_7vsmem_tEENKUlT_SI_SJ_SK_E_clIPtSD_S10_SD_EESH_SX_SI_SJ_SK_EUlSX_E0_NS1_11comp_targetILNS1_3genE3ELNS1_11target_archE908ELNS1_3gpuE7ELNS1_3repE0EEENS1_38merge_mergepath_config_static_selectorELNS0_4arch9wavefront6targetE1EEEvSJ_: ; @_ZN7rocprim17ROCPRIM_400000_NS6detail17trampoline_kernelINS0_14default_configENS1_38merge_sort_block_merge_config_selectorIttEEZZNS1_27merge_sort_block_merge_implIS3_N6thrust23THRUST_200600_302600_NS6detail15normal_iteratorINS8_10device_ptrItEEEESD_jNS1_19radix_merge_compareILb0ELb0EtNS0_19identity_decomposerEEEEE10hipError_tT0_T1_T2_jT3_P12ihipStream_tbPNSt15iterator_traitsISI_E10value_typeEPNSO_ISJ_E10value_typeEPSK_NS1_7vsmem_tEENKUlT_SI_SJ_SK_E_clIPtSD_S10_SD_EESH_SX_SI_SJ_SK_EUlSX_E0_NS1_11comp_targetILNS1_3genE3ELNS1_11target_archE908ELNS1_3gpuE7ELNS1_3repE0EEENS1_38merge_mergepath_config_static_selectorELNS0_4arch9wavefront6targetE1EEEvSJ_
; %bb.0:
	.section	.rodata,"a",@progbits
	.p2align	6, 0x0
	.amdhsa_kernel _ZN7rocprim17ROCPRIM_400000_NS6detail17trampoline_kernelINS0_14default_configENS1_38merge_sort_block_merge_config_selectorIttEEZZNS1_27merge_sort_block_merge_implIS3_N6thrust23THRUST_200600_302600_NS6detail15normal_iteratorINS8_10device_ptrItEEEESD_jNS1_19radix_merge_compareILb0ELb0EtNS0_19identity_decomposerEEEEE10hipError_tT0_T1_T2_jT3_P12ihipStream_tbPNSt15iterator_traitsISI_E10value_typeEPNSO_ISJ_E10value_typeEPSK_NS1_7vsmem_tEENKUlT_SI_SJ_SK_E_clIPtSD_S10_SD_EESH_SX_SI_SJ_SK_EUlSX_E0_NS1_11comp_targetILNS1_3genE3ELNS1_11target_archE908ELNS1_3gpuE7ELNS1_3repE0EEENS1_38merge_mergepath_config_static_selectorELNS0_4arch9wavefront6targetE1EEEvSJ_
		.amdhsa_group_segment_fixed_size 0
		.amdhsa_private_segment_fixed_size 0
		.amdhsa_kernarg_size 64
		.amdhsa_user_sgpr_count 2
		.amdhsa_user_sgpr_dispatch_ptr 0
		.amdhsa_user_sgpr_queue_ptr 0
		.amdhsa_user_sgpr_kernarg_segment_ptr 1
		.amdhsa_user_sgpr_dispatch_id 0
		.amdhsa_user_sgpr_kernarg_preload_length 0
		.amdhsa_user_sgpr_kernarg_preload_offset 0
		.amdhsa_user_sgpr_private_segment_size 0
		.amdhsa_uses_dynamic_stack 0
		.amdhsa_enable_private_segment 0
		.amdhsa_system_sgpr_workgroup_id_x 1
		.amdhsa_system_sgpr_workgroup_id_y 0
		.amdhsa_system_sgpr_workgroup_id_z 0
		.amdhsa_system_sgpr_workgroup_info 0
		.amdhsa_system_vgpr_workitem_id 0
		.amdhsa_next_free_vgpr 1
		.amdhsa_next_free_sgpr 0
		.amdhsa_accum_offset 4
		.amdhsa_reserve_vcc 0
		.amdhsa_float_round_mode_32 0
		.amdhsa_float_round_mode_16_64 0
		.amdhsa_float_denorm_mode_32 3
		.amdhsa_float_denorm_mode_16_64 3
		.amdhsa_dx10_clamp 1
		.amdhsa_ieee_mode 1
		.amdhsa_fp16_overflow 0
		.amdhsa_tg_split 0
		.amdhsa_exception_fp_ieee_invalid_op 0
		.amdhsa_exception_fp_denorm_src 0
		.amdhsa_exception_fp_ieee_div_zero 0
		.amdhsa_exception_fp_ieee_overflow 0
		.amdhsa_exception_fp_ieee_underflow 0
		.amdhsa_exception_fp_ieee_inexact 0
		.amdhsa_exception_int_div_zero 0
	.end_amdhsa_kernel
	.section	.text._ZN7rocprim17ROCPRIM_400000_NS6detail17trampoline_kernelINS0_14default_configENS1_38merge_sort_block_merge_config_selectorIttEEZZNS1_27merge_sort_block_merge_implIS3_N6thrust23THRUST_200600_302600_NS6detail15normal_iteratorINS8_10device_ptrItEEEESD_jNS1_19radix_merge_compareILb0ELb0EtNS0_19identity_decomposerEEEEE10hipError_tT0_T1_T2_jT3_P12ihipStream_tbPNSt15iterator_traitsISI_E10value_typeEPNSO_ISJ_E10value_typeEPSK_NS1_7vsmem_tEENKUlT_SI_SJ_SK_E_clIPtSD_S10_SD_EESH_SX_SI_SJ_SK_EUlSX_E0_NS1_11comp_targetILNS1_3genE3ELNS1_11target_archE908ELNS1_3gpuE7ELNS1_3repE0EEENS1_38merge_mergepath_config_static_selectorELNS0_4arch9wavefront6targetE1EEEvSJ_,"axG",@progbits,_ZN7rocprim17ROCPRIM_400000_NS6detail17trampoline_kernelINS0_14default_configENS1_38merge_sort_block_merge_config_selectorIttEEZZNS1_27merge_sort_block_merge_implIS3_N6thrust23THRUST_200600_302600_NS6detail15normal_iteratorINS8_10device_ptrItEEEESD_jNS1_19radix_merge_compareILb0ELb0EtNS0_19identity_decomposerEEEEE10hipError_tT0_T1_T2_jT3_P12ihipStream_tbPNSt15iterator_traitsISI_E10value_typeEPNSO_ISJ_E10value_typeEPSK_NS1_7vsmem_tEENKUlT_SI_SJ_SK_E_clIPtSD_S10_SD_EESH_SX_SI_SJ_SK_EUlSX_E0_NS1_11comp_targetILNS1_3genE3ELNS1_11target_archE908ELNS1_3gpuE7ELNS1_3repE0EEENS1_38merge_mergepath_config_static_selectorELNS0_4arch9wavefront6targetE1EEEvSJ_,comdat
.Lfunc_end854:
	.size	_ZN7rocprim17ROCPRIM_400000_NS6detail17trampoline_kernelINS0_14default_configENS1_38merge_sort_block_merge_config_selectorIttEEZZNS1_27merge_sort_block_merge_implIS3_N6thrust23THRUST_200600_302600_NS6detail15normal_iteratorINS8_10device_ptrItEEEESD_jNS1_19radix_merge_compareILb0ELb0EtNS0_19identity_decomposerEEEEE10hipError_tT0_T1_T2_jT3_P12ihipStream_tbPNSt15iterator_traitsISI_E10value_typeEPNSO_ISJ_E10value_typeEPSK_NS1_7vsmem_tEENKUlT_SI_SJ_SK_E_clIPtSD_S10_SD_EESH_SX_SI_SJ_SK_EUlSX_E0_NS1_11comp_targetILNS1_3genE3ELNS1_11target_archE908ELNS1_3gpuE7ELNS1_3repE0EEENS1_38merge_mergepath_config_static_selectorELNS0_4arch9wavefront6targetE1EEEvSJ_, .Lfunc_end854-_ZN7rocprim17ROCPRIM_400000_NS6detail17trampoline_kernelINS0_14default_configENS1_38merge_sort_block_merge_config_selectorIttEEZZNS1_27merge_sort_block_merge_implIS3_N6thrust23THRUST_200600_302600_NS6detail15normal_iteratorINS8_10device_ptrItEEEESD_jNS1_19radix_merge_compareILb0ELb0EtNS0_19identity_decomposerEEEEE10hipError_tT0_T1_T2_jT3_P12ihipStream_tbPNSt15iterator_traitsISI_E10value_typeEPNSO_ISJ_E10value_typeEPSK_NS1_7vsmem_tEENKUlT_SI_SJ_SK_E_clIPtSD_S10_SD_EESH_SX_SI_SJ_SK_EUlSX_E0_NS1_11comp_targetILNS1_3genE3ELNS1_11target_archE908ELNS1_3gpuE7ELNS1_3repE0EEENS1_38merge_mergepath_config_static_selectorELNS0_4arch9wavefront6targetE1EEEvSJ_
                                        ; -- End function
	.set _ZN7rocprim17ROCPRIM_400000_NS6detail17trampoline_kernelINS0_14default_configENS1_38merge_sort_block_merge_config_selectorIttEEZZNS1_27merge_sort_block_merge_implIS3_N6thrust23THRUST_200600_302600_NS6detail15normal_iteratorINS8_10device_ptrItEEEESD_jNS1_19radix_merge_compareILb0ELb0EtNS0_19identity_decomposerEEEEE10hipError_tT0_T1_T2_jT3_P12ihipStream_tbPNSt15iterator_traitsISI_E10value_typeEPNSO_ISJ_E10value_typeEPSK_NS1_7vsmem_tEENKUlT_SI_SJ_SK_E_clIPtSD_S10_SD_EESH_SX_SI_SJ_SK_EUlSX_E0_NS1_11comp_targetILNS1_3genE3ELNS1_11target_archE908ELNS1_3gpuE7ELNS1_3repE0EEENS1_38merge_mergepath_config_static_selectorELNS0_4arch9wavefront6targetE1EEEvSJ_.num_vgpr, 0
	.set _ZN7rocprim17ROCPRIM_400000_NS6detail17trampoline_kernelINS0_14default_configENS1_38merge_sort_block_merge_config_selectorIttEEZZNS1_27merge_sort_block_merge_implIS3_N6thrust23THRUST_200600_302600_NS6detail15normal_iteratorINS8_10device_ptrItEEEESD_jNS1_19radix_merge_compareILb0ELb0EtNS0_19identity_decomposerEEEEE10hipError_tT0_T1_T2_jT3_P12ihipStream_tbPNSt15iterator_traitsISI_E10value_typeEPNSO_ISJ_E10value_typeEPSK_NS1_7vsmem_tEENKUlT_SI_SJ_SK_E_clIPtSD_S10_SD_EESH_SX_SI_SJ_SK_EUlSX_E0_NS1_11comp_targetILNS1_3genE3ELNS1_11target_archE908ELNS1_3gpuE7ELNS1_3repE0EEENS1_38merge_mergepath_config_static_selectorELNS0_4arch9wavefront6targetE1EEEvSJ_.num_agpr, 0
	.set _ZN7rocprim17ROCPRIM_400000_NS6detail17trampoline_kernelINS0_14default_configENS1_38merge_sort_block_merge_config_selectorIttEEZZNS1_27merge_sort_block_merge_implIS3_N6thrust23THRUST_200600_302600_NS6detail15normal_iteratorINS8_10device_ptrItEEEESD_jNS1_19radix_merge_compareILb0ELb0EtNS0_19identity_decomposerEEEEE10hipError_tT0_T1_T2_jT3_P12ihipStream_tbPNSt15iterator_traitsISI_E10value_typeEPNSO_ISJ_E10value_typeEPSK_NS1_7vsmem_tEENKUlT_SI_SJ_SK_E_clIPtSD_S10_SD_EESH_SX_SI_SJ_SK_EUlSX_E0_NS1_11comp_targetILNS1_3genE3ELNS1_11target_archE908ELNS1_3gpuE7ELNS1_3repE0EEENS1_38merge_mergepath_config_static_selectorELNS0_4arch9wavefront6targetE1EEEvSJ_.numbered_sgpr, 0
	.set _ZN7rocprim17ROCPRIM_400000_NS6detail17trampoline_kernelINS0_14default_configENS1_38merge_sort_block_merge_config_selectorIttEEZZNS1_27merge_sort_block_merge_implIS3_N6thrust23THRUST_200600_302600_NS6detail15normal_iteratorINS8_10device_ptrItEEEESD_jNS1_19radix_merge_compareILb0ELb0EtNS0_19identity_decomposerEEEEE10hipError_tT0_T1_T2_jT3_P12ihipStream_tbPNSt15iterator_traitsISI_E10value_typeEPNSO_ISJ_E10value_typeEPSK_NS1_7vsmem_tEENKUlT_SI_SJ_SK_E_clIPtSD_S10_SD_EESH_SX_SI_SJ_SK_EUlSX_E0_NS1_11comp_targetILNS1_3genE3ELNS1_11target_archE908ELNS1_3gpuE7ELNS1_3repE0EEENS1_38merge_mergepath_config_static_selectorELNS0_4arch9wavefront6targetE1EEEvSJ_.num_named_barrier, 0
	.set _ZN7rocprim17ROCPRIM_400000_NS6detail17trampoline_kernelINS0_14default_configENS1_38merge_sort_block_merge_config_selectorIttEEZZNS1_27merge_sort_block_merge_implIS3_N6thrust23THRUST_200600_302600_NS6detail15normal_iteratorINS8_10device_ptrItEEEESD_jNS1_19radix_merge_compareILb0ELb0EtNS0_19identity_decomposerEEEEE10hipError_tT0_T1_T2_jT3_P12ihipStream_tbPNSt15iterator_traitsISI_E10value_typeEPNSO_ISJ_E10value_typeEPSK_NS1_7vsmem_tEENKUlT_SI_SJ_SK_E_clIPtSD_S10_SD_EESH_SX_SI_SJ_SK_EUlSX_E0_NS1_11comp_targetILNS1_3genE3ELNS1_11target_archE908ELNS1_3gpuE7ELNS1_3repE0EEENS1_38merge_mergepath_config_static_selectorELNS0_4arch9wavefront6targetE1EEEvSJ_.private_seg_size, 0
	.set _ZN7rocprim17ROCPRIM_400000_NS6detail17trampoline_kernelINS0_14default_configENS1_38merge_sort_block_merge_config_selectorIttEEZZNS1_27merge_sort_block_merge_implIS3_N6thrust23THRUST_200600_302600_NS6detail15normal_iteratorINS8_10device_ptrItEEEESD_jNS1_19radix_merge_compareILb0ELb0EtNS0_19identity_decomposerEEEEE10hipError_tT0_T1_T2_jT3_P12ihipStream_tbPNSt15iterator_traitsISI_E10value_typeEPNSO_ISJ_E10value_typeEPSK_NS1_7vsmem_tEENKUlT_SI_SJ_SK_E_clIPtSD_S10_SD_EESH_SX_SI_SJ_SK_EUlSX_E0_NS1_11comp_targetILNS1_3genE3ELNS1_11target_archE908ELNS1_3gpuE7ELNS1_3repE0EEENS1_38merge_mergepath_config_static_selectorELNS0_4arch9wavefront6targetE1EEEvSJ_.uses_vcc, 0
	.set _ZN7rocprim17ROCPRIM_400000_NS6detail17trampoline_kernelINS0_14default_configENS1_38merge_sort_block_merge_config_selectorIttEEZZNS1_27merge_sort_block_merge_implIS3_N6thrust23THRUST_200600_302600_NS6detail15normal_iteratorINS8_10device_ptrItEEEESD_jNS1_19radix_merge_compareILb0ELb0EtNS0_19identity_decomposerEEEEE10hipError_tT0_T1_T2_jT3_P12ihipStream_tbPNSt15iterator_traitsISI_E10value_typeEPNSO_ISJ_E10value_typeEPSK_NS1_7vsmem_tEENKUlT_SI_SJ_SK_E_clIPtSD_S10_SD_EESH_SX_SI_SJ_SK_EUlSX_E0_NS1_11comp_targetILNS1_3genE3ELNS1_11target_archE908ELNS1_3gpuE7ELNS1_3repE0EEENS1_38merge_mergepath_config_static_selectorELNS0_4arch9wavefront6targetE1EEEvSJ_.uses_flat_scratch, 0
	.set _ZN7rocprim17ROCPRIM_400000_NS6detail17trampoline_kernelINS0_14default_configENS1_38merge_sort_block_merge_config_selectorIttEEZZNS1_27merge_sort_block_merge_implIS3_N6thrust23THRUST_200600_302600_NS6detail15normal_iteratorINS8_10device_ptrItEEEESD_jNS1_19radix_merge_compareILb0ELb0EtNS0_19identity_decomposerEEEEE10hipError_tT0_T1_T2_jT3_P12ihipStream_tbPNSt15iterator_traitsISI_E10value_typeEPNSO_ISJ_E10value_typeEPSK_NS1_7vsmem_tEENKUlT_SI_SJ_SK_E_clIPtSD_S10_SD_EESH_SX_SI_SJ_SK_EUlSX_E0_NS1_11comp_targetILNS1_3genE3ELNS1_11target_archE908ELNS1_3gpuE7ELNS1_3repE0EEENS1_38merge_mergepath_config_static_selectorELNS0_4arch9wavefront6targetE1EEEvSJ_.has_dyn_sized_stack, 0
	.set _ZN7rocprim17ROCPRIM_400000_NS6detail17trampoline_kernelINS0_14default_configENS1_38merge_sort_block_merge_config_selectorIttEEZZNS1_27merge_sort_block_merge_implIS3_N6thrust23THRUST_200600_302600_NS6detail15normal_iteratorINS8_10device_ptrItEEEESD_jNS1_19radix_merge_compareILb0ELb0EtNS0_19identity_decomposerEEEEE10hipError_tT0_T1_T2_jT3_P12ihipStream_tbPNSt15iterator_traitsISI_E10value_typeEPNSO_ISJ_E10value_typeEPSK_NS1_7vsmem_tEENKUlT_SI_SJ_SK_E_clIPtSD_S10_SD_EESH_SX_SI_SJ_SK_EUlSX_E0_NS1_11comp_targetILNS1_3genE3ELNS1_11target_archE908ELNS1_3gpuE7ELNS1_3repE0EEENS1_38merge_mergepath_config_static_selectorELNS0_4arch9wavefront6targetE1EEEvSJ_.has_recursion, 0
	.set _ZN7rocprim17ROCPRIM_400000_NS6detail17trampoline_kernelINS0_14default_configENS1_38merge_sort_block_merge_config_selectorIttEEZZNS1_27merge_sort_block_merge_implIS3_N6thrust23THRUST_200600_302600_NS6detail15normal_iteratorINS8_10device_ptrItEEEESD_jNS1_19radix_merge_compareILb0ELb0EtNS0_19identity_decomposerEEEEE10hipError_tT0_T1_T2_jT3_P12ihipStream_tbPNSt15iterator_traitsISI_E10value_typeEPNSO_ISJ_E10value_typeEPSK_NS1_7vsmem_tEENKUlT_SI_SJ_SK_E_clIPtSD_S10_SD_EESH_SX_SI_SJ_SK_EUlSX_E0_NS1_11comp_targetILNS1_3genE3ELNS1_11target_archE908ELNS1_3gpuE7ELNS1_3repE0EEENS1_38merge_mergepath_config_static_selectorELNS0_4arch9wavefront6targetE1EEEvSJ_.has_indirect_call, 0
	.section	.AMDGPU.csdata,"",@progbits
; Kernel info:
; codeLenInByte = 0
; TotalNumSgprs: 6
; NumVgprs: 0
; NumAgprs: 0
; TotalNumVgprs: 0
; ScratchSize: 0
; MemoryBound: 0
; FloatMode: 240
; IeeeMode: 1
; LDSByteSize: 0 bytes/workgroup (compile time only)
; SGPRBlocks: 0
; VGPRBlocks: 0
; NumSGPRsForWavesPerEU: 6
; NumVGPRsForWavesPerEU: 1
; AccumOffset: 4
; Occupancy: 8
; WaveLimiterHint : 0
; COMPUTE_PGM_RSRC2:SCRATCH_EN: 0
; COMPUTE_PGM_RSRC2:USER_SGPR: 2
; COMPUTE_PGM_RSRC2:TRAP_HANDLER: 0
; COMPUTE_PGM_RSRC2:TGID_X_EN: 1
; COMPUTE_PGM_RSRC2:TGID_Y_EN: 0
; COMPUTE_PGM_RSRC2:TGID_Z_EN: 0
; COMPUTE_PGM_RSRC2:TIDIG_COMP_CNT: 0
; COMPUTE_PGM_RSRC3_GFX90A:ACCUM_OFFSET: 0
; COMPUTE_PGM_RSRC3_GFX90A:TG_SPLIT: 0
	.section	.text._ZN7rocprim17ROCPRIM_400000_NS6detail17trampoline_kernelINS0_14default_configENS1_38merge_sort_block_merge_config_selectorIttEEZZNS1_27merge_sort_block_merge_implIS3_N6thrust23THRUST_200600_302600_NS6detail15normal_iteratorINS8_10device_ptrItEEEESD_jNS1_19radix_merge_compareILb0ELb0EtNS0_19identity_decomposerEEEEE10hipError_tT0_T1_T2_jT3_P12ihipStream_tbPNSt15iterator_traitsISI_E10value_typeEPNSO_ISJ_E10value_typeEPSK_NS1_7vsmem_tEENKUlT_SI_SJ_SK_E_clIPtSD_S10_SD_EESH_SX_SI_SJ_SK_EUlSX_E0_NS1_11comp_targetILNS1_3genE2ELNS1_11target_archE906ELNS1_3gpuE6ELNS1_3repE0EEENS1_38merge_mergepath_config_static_selectorELNS0_4arch9wavefront6targetE1EEEvSJ_,"axG",@progbits,_ZN7rocprim17ROCPRIM_400000_NS6detail17trampoline_kernelINS0_14default_configENS1_38merge_sort_block_merge_config_selectorIttEEZZNS1_27merge_sort_block_merge_implIS3_N6thrust23THRUST_200600_302600_NS6detail15normal_iteratorINS8_10device_ptrItEEEESD_jNS1_19radix_merge_compareILb0ELb0EtNS0_19identity_decomposerEEEEE10hipError_tT0_T1_T2_jT3_P12ihipStream_tbPNSt15iterator_traitsISI_E10value_typeEPNSO_ISJ_E10value_typeEPSK_NS1_7vsmem_tEENKUlT_SI_SJ_SK_E_clIPtSD_S10_SD_EESH_SX_SI_SJ_SK_EUlSX_E0_NS1_11comp_targetILNS1_3genE2ELNS1_11target_archE906ELNS1_3gpuE6ELNS1_3repE0EEENS1_38merge_mergepath_config_static_selectorELNS0_4arch9wavefront6targetE1EEEvSJ_,comdat
	.protected	_ZN7rocprim17ROCPRIM_400000_NS6detail17trampoline_kernelINS0_14default_configENS1_38merge_sort_block_merge_config_selectorIttEEZZNS1_27merge_sort_block_merge_implIS3_N6thrust23THRUST_200600_302600_NS6detail15normal_iteratorINS8_10device_ptrItEEEESD_jNS1_19radix_merge_compareILb0ELb0EtNS0_19identity_decomposerEEEEE10hipError_tT0_T1_T2_jT3_P12ihipStream_tbPNSt15iterator_traitsISI_E10value_typeEPNSO_ISJ_E10value_typeEPSK_NS1_7vsmem_tEENKUlT_SI_SJ_SK_E_clIPtSD_S10_SD_EESH_SX_SI_SJ_SK_EUlSX_E0_NS1_11comp_targetILNS1_3genE2ELNS1_11target_archE906ELNS1_3gpuE6ELNS1_3repE0EEENS1_38merge_mergepath_config_static_selectorELNS0_4arch9wavefront6targetE1EEEvSJ_ ; -- Begin function _ZN7rocprim17ROCPRIM_400000_NS6detail17trampoline_kernelINS0_14default_configENS1_38merge_sort_block_merge_config_selectorIttEEZZNS1_27merge_sort_block_merge_implIS3_N6thrust23THRUST_200600_302600_NS6detail15normal_iteratorINS8_10device_ptrItEEEESD_jNS1_19radix_merge_compareILb0ELb0EtNS0_19identity_decomposerEEEEE10hipError_tT0_T1_T2_jT3_P12ihipStream_tbPNSt15iterator_traitsISI_E10value_typeEPNSO_ISJ_E10value_typeEPSK_NS1_7vsmem_tEENKUlT_SI_SJ_SK_E_clIPtSD_S10_SD_EESH_SX_SI_SJ_SK_EUlSX_E0_NS1_11comp_targetILNS1_3genE2ELNS1_11target_archE906ELNS1_3gpuE6ELNS1_3repE0EEENS1_38merge_mergepath_config_static_selectorELNS0_4arch9wavefront6targetE1EEEvSJ_
	.globl	_ZN7rocprim17ROCPRIM_400000_NS6detail17trampoline_kernelINS0_14default_configENS1_38merge_sort_block_merge_config_selectorIttEEZZNS1_27merge_sort_block_merge_implIS3_N6thrust23THRUST_200600_302600_NS6detail15normal_iteratorINS8_10device_ptrItEEEESD_jNS1_19radix_merge_compareILb0ELb0EtNS0_19identity_decomposerEEEEE10hipError_tT0_T1_T2_jT3_P12ihipStream_tbPNSt15iterator_traitsISI_E10value_typeEPNSO_ISJ_E10value_typeEPSK_NS1_7vsmem_tEENKUlT_SI_SJ_SK_E_clIPtSD_S10_SD_EESH_SX_SI_SJ_SK_EUlSX_E0_NS1_11comp_targetILNS1_3genE2ELNS1_11target_archE906ELNS1_3gpuE6ELNS1_3repE0EEENS1_38merge_mergepath_config_static_selectorELNS0_4arch9wavefront6targetE1EEEvSJ_
	.p2align	8
	.type	_ZN7rocprim17ROCPRIM_400000_NS6detail17trampoline_kernelINS0_14default_configENS1_38merge_sort_block_merge_config_selectorIttEEZZNS1_27merge_sort_block_merge_implIS3_N6thrust23THRUST_200600_302600_NS6detail15normal_iteratorINS8_10device_ptrItEEEESD_jNS1_19radix_merge_compareILb0ELb0EtNS0_19identity_decomposerEEEEE10hipError_tT0_T1_T2_jT3_P12ihipStream_tbPNSt15iterator_traitsISI_E10value_typeEPNSO_ISJ_E10value_typeEPSK_NS1_7vsmem_tEENKUlT_SI_SJ_SK_E_clIPtSD_S10_SD_EESH_SX_SI_SJ_SK_EUlSX_E0_NS1_11comp_targetILNS1_3genE2ELNS1_11target_archE906ELNS1_3gpuE6ELNS1_3repE0EEENS1_38merge_mergepath_config_static_selectorELNS0_4arch9wavefront6targetE1EEEvSJ_,@function
_ZN7rocprim17ROCPRIM_400000_NS6detail17trampoline_kernelINS0_14default_configENS1_38merge_sort_block_merge_config_selectorIttEEZZNS1_27merge_sort_block_merge_implIS3_N6thrust23THRUST_200600_302600_NS6detail15normal_iteratorINS8_10device_ptrItEEEESD_jNS1_19radix_merge_compareILb0ELb0EtNS0_19identity_decomposerEEEEE10hipError_tT0_T1_T2_jT3_P12ihipStream_tbPNSt15iterator_traitsISI_E10value_typeEPNSO_ISJ_E10value_typeEPSK_NS1_7vsmem_tEENKUlT_SI_SJ_SK_E_clIPtSD_S10_SD_EESH_SX_SI_SJ_SK_EUlSX_E0_NS1_11comp_targetILNS1_3genE2ELNS1_11target_archE906ELNS1_3gpuE6ELNS1_3repE0EEENS1_38merge_mergepath_config_static_selectorELNS0_4arch9wavefront6targetE1EEEvSJ_: ; @_ZN7rocprim17ROCPRIM_400000_NS6detail17trampoline_kernelINS0_14default_configENS1_38merge_sort_block_merge_config_selectorIttEEZZNS1_27merge_sort_block_merge_implIS3_N6thrust23THRUST_200600_302600_NS6detail15normal_iteratorINS8_10device_ptrItEEEESD_jNS1_19radix_merge_compareILb0ELb0EtNS0_19identity_decomposerEEEEE10hipError_tT0_T1_T2_jT3_P12ihipStream_tbPNSt15iterator_traitsISI_E10value_typeEPNSO_ISJ_E10value_typeEPSK_NS1_7vsmem_tEENKUlT_SI_SJ_SK_E_clIPtSD_S10_SD_EESH_SX_SI_SJ_SK_EUlSX_E0_NS1_11comp_targetILNS1_3genE2ELNS1_11target_archE906ELNS1_3gpuE6ELNS1_3repE0EEENS1_38merge_mergepath_config_static_selectorELNS0_4arch9wavefront6targetE1EEEvSJ_
; %bb.0:
	.section	.rodata,"a",@progbits
	.p2align	6, 0x0
	.amdhsa_kernel _ZN7rocprim17ROCPRIM_400000_NS6detail17trampoline_kernelINS0_14default_configENS1_38merge_sort_block_merge_config_selectorIttEEZZNS1_27merge_sort_block_merge_implIS3_N6thrust23THRUST_200600_302600_NS6detail15normal_iteratorINS8_10device_ptrItEEEESD_jNS1_19radix_merge_compareILb0ELb0EtNS0_19identity_decomposerEEEEE10hipError_tT0_T1_T2_jT3_P12ihipStream_tbPNSt15iterator_traitsISI_E10value_typeEPNSO_ISJ_E10value_typeEPSK_NS1_7vsmem_tEENKUlT_SI_SJ_SK_E_clIPtSD_S10_SD_EESH_SX_SI_SJ_SK_EUlSX_E0_NS1_11comp_targetILNS1_3genE2ELNS1_11target_archE906ELNS1_3gpuE6ELNS1_3repE0EEENS1_38merge_mergepath_config_static_selectorELNS0_4arch9wavefront6targetE1EEEvSJ_
		.amdhsa_group_segment_fixed_size 0
		.amdhsa_private_segment_fixed_size 0
		.amdhsa_kernarg_size 64
		.amdhsa_user_sgpr_count 2
		.amdhsa_user_sgpr_dispatch_ptr 0
		.amdhsa_user_sgpr_queue_ptr 0
		.amdhsa_user_sgpr_kernarg_segment_ptr 1
		.amdhsa_user_sgpr_dispatch_id 0
		.amdhsa_user_sgpr_kernarg_preload_length 0
		.amdhsa_user_sgpr_kernarg_preload_offset 0
		.amdhsa_user_sgpr_private_segment_size 0
		.amdhsa_uses_dynamic_stack 0
		.amdhsa_enable_private_segment 0
		.amdhsa_system_sgpr_workgroup_id_x 1
		.amdhsa_system_sgpr_workgroup_id_y 0
		.amdhsa_system_sgpr_workgroup_id_z 0
		.amdhsa_system_sgpr_workgroup_info 0
		.amdhsa_system_vgpr_workitem_id 0
		.amdhsa_next_free_vgpr 1
		.amdhsa_next_free_sgpr 0
		.amdhsa_accum_offset 4
		.amdhsa_reserve_vcc 0
		.amdhsa_float_round_mode_32 0
		.amdhsa_float_round_mode_16_64 0
		.amdhsa_float_denorm_mode_32 3
		.amdhsa_float_denorm_mode_16_64 3
		.amdhsa_dx10_clamp 1
		.amdhsa_ieee_mode 1
		.amdhsa_fp16_overflow 0
		.amdhsa_tg_split 0
		.amdhsa_exception_fp_ieee_invalid_op 0
		.amdhsa_exception_fp_denorm_src 0
		.amdhsa_exception_fp_ieee_div_zero 0
		.amdhsa_exception_fp_ieee_overflow 0
		.amdhsa_exception_fp_ieee_underflow 0
		.amdhsa_exception_fp_ieee_inexact 0
		.amdhsa_exception_int_div_zero 0
	.end_amdhsa_kernel
	.section	.text._ZN7rocprim17ROCPRIM_400000_NS6detail17trampoline_kernelINS0_14default_configENS1_38merge_sort_block_merge_config_selectorIttEEZZNS1_27merge_sort_block_merge_implIS3_N6thrust23THRUST_200600_302600_NS6detail15normal_iteratorINS8_10device_ptrItEEEESD_jNS1_19radix_merge_compareILb0ELb0EtNS0_19identity_decomposerEEEEE10hipError_tT0_T1_T2_jT3_P12ihipStream_tbPNSt15iterator_traitsISI_E10value_typeEPNSO_ISJ_E10value_typeEPSK_NS1_7vsmem_tEENKUlT_SI_SJ_SK_E_clIPtSD_S10_SD_EESH_SX_SI_SJ_SK_EUlSX_E0_NS1_11comp_targetILNS1_3genE2ELNS1_11target_archE906ELNS1_3gpuE6ELNS1_3repE0EEENS1_38merge_mergepath_config_static_selectorELNS0_4arch9wavefront6targetE1EEEvSJ_,"axG",@progbits,_ZN7rocprim17ROCPRIM_400000_NS6detail17trampoline_kernelINS0_14default_configENS1_38merge_sort_block_merge_config_selectorIttEEZZNS1_27merge_sort_block_merge_implIS3_N6thrust23THRUST_200600_302600_NS6detail15normal_iteratorINS8_10device_ptrItEEEESD_jNS1_19radix_merge_compareILb0ELb0EtNS0_19identity_decomposerEEEEE10hipError_tT0_T1_T2_jT3_P12ihipStream_tbPNSt15iterator_traitsISI_E10value_typeEPNSO_ISJ_E10value_typeEPSK_NS1_7vsmem_tEENKUlT_SI_SJ_SK_E_clIPtSD_S10_SD_EESH_SX_SI_SJ_SK_EUlSX_E0_NS1_11comp_targetILNS1_3genE2ELNS1_11target_archE906ELNS1_3gpuE6ELNS1_3repE0EEENS1_38merge_mergepath_config_static_selectorELNS0_4arch9wavefront6targetE1EEEvSJ_,comdat
.Lfunc_end855:
	.size	_ZN7rocprim17ROCPRIM_400000_NS6detail17trampoline_kernelINS0_14default_configENS1_38merge_sort_block_merge_config_selectorIttEEZZNS1_27merge_sort_block_merge_implIS3_N6thrust23THRUST_200600_302600_NS6detail15normal_iteratorINS8_10device_ptrItEEEESD_jNS1_19radix_merge_compareILb0ELb0EtNS0_19identity_decomposerEEEEE10hipError_tT0_T1_T2_jT3_P12ihipStream_tbPNSt15iterator_traitsISI_E10value_typeEPNSO_ISJ_E10value_typeEPSK_NS1_7vsmem_tEENKUlT_SI_SJ_SK_E_clIPtSD_S10_SD_EESH_SX_SI_SJ_SK_EUlSX_E0_NS1_11comp_targetILNS1_3genE2ELNS1_11target_archE906ELNS1_3gpuE6ELNS1_3repE0EEENS1_38merge_mergepath_config_static_selectorELNS0_4arch9wavefront6targetE1EEEvSJ_, .Lfunc_end855-_ZN7rocprim17ROCPRIM_400000_NS6detail17trampoline_kernelINS0_14default_configENS1_38merge_sort_block_merge_config_selectorIttEEZZNS1_27merge_sort_block_merge_implIS3_N6thrust23THRUST_200600_302600_NS6detail15normal_iteratorINS8_10device_ptrItEEEESD_jNS1_19radix_merge_compareILb0ELb0EtNS0_19identity_decomposerEEEEE10hipError_tT0_T1_T2_jT3_P12ihipStream_tbPNSt15iterator_traitsISI_E10value_typeEPNSO_ISJ_E10value_typeEPSK_NS1_7vsmem_tEENKUlT_SI_SJ_SK_E_clIPtSD_S10_SD_EESH_SX_SI_SJ_SK_EUlSX_E0_NS1_11comp_targetILNS1_3genE2ELNS1_11target_archE906ELNS1_3gpuE6ELNS1_3repE0EEENS1_38merge_mergepath_config_static_selectorELNS0_4arch9wavefront6targetE1EEEvSJ_
                                        ; -- End function
	.set _ZN7rocprim17ROCPRIM_400000_NS6detail17trampoline_kernelINS0_14default_configENS1_38merge_sort_block_merge_config_selectorIttEEZZNS1_27merge_sort_block_merge_implIS3_N6thrust23THRUST_200600_302600_NS6detail15normal_iteratorINS8_10device_ptrItEEEESD_jNS1_19radix_merge_compareILb0ELb0EtNS0_19identity_decomposerEEEEE10hipError_tT0_T1_T2_jT3_P12ihipStream_tbPNSt15iterator_traitsISI_E10value_typeEPNSO_ISJ_E10value_typeEPSK_NS1_7vsmem_tEENKUlT_SI_SJ_SK_E_clIPtSD_S10_SD_EESH_SX_SI_SJ_SK_EUlSX_E0_NS1_11comp_targetILNS1_3genE2ELNS1_11target_archE906ELNS1_3gpuE6ELNS1_3repE0EEENS1_38merge_mergepath_config_static_selectorELNS0_4arch9wavefront6targetE1EEEvSJ_.num_vgpr, 0
	.set _ZN7rocprim17ROCPRIM_400000_NS6detail17trampoline_kernelINS0_14default_configENS1_38merge_sort_block_merge_config_selectorIttEEZZNS1_27merge_sort_block_merge_implIS3_N6thrust23THRUST_200600_302600_NS6detail15normal_iteratorINS8_10device_ptrItEEEESD_jNS1_19radix_merge_compareILb0ELb0EtNS0_19identity_decomposerEEEEE10hipError_tT0_T1_T2_jT3_P12ihipStream_tbPNSt15iterator_traitsISI_E10value_typeEPNSO_ISJ_E10value_typeEPSK_NS1_7vsmem_tEENKUlT_SI_SJ_SK_E_clIPtSD_S10_SD_EESH_SX_SI_SJ_SK_EUlSX_E0_NS1_11comp_targetILNS1_3genE2ELNS1_11target_archE906ELNS1_3gpuE6ELNS1_3repE0EEENS1_38merge_mergepath_config_static_selectorELNS0_4arch9wavefront6targetE1EEEvSJ_.num_agpr, 0
	.set _ZN7rocprim17ROCPRIM_400000_NS6detail17trampoline_kernelINS0_14default_configENS1_38merge_sort_block_merge_config_selectorIttEEZZNS1_27merge_sort_block_merge_implIS3_N6thrust23THRUST_200600_302600_NS6detail15normal_iteratorINS8_10device_ptrItEEEESD_jNS1_19radix_merge_compareILb0ELb0EtNS0_19identity_decomposerEEEEE10hipError_tT0_T1_T2_jT3_P12ihipStream_tbPNSt15iterator_traitsISI_E10value_typeEPNSO_ISJ_E10value_typeEPSK_NS1_7vsmem_tEENKUlT_SI_SJ_SK_E_clIPtSD_S10_SD_EESH_SX_SI_SJ_SK_EUlSX_E0_NS1_11comp_targetILNS1_3genE2ELNS1_11target_archE906ELNS1_3gpuE6ELNS1_3repE0EEENS1_38merge_mergepath_config_static_selectorELNS0_4arch9wavefront6targetE1EEEvSJ_.numbered_sgpr, 0
	.set _ZN7rocprim17ROCPRIM_400000_NS6detail17trampoline_kernelINS0_14default_configENS1_38merge_sort_block_merge_config_selectorIttEEZZNS1_27merge_sort_block_merge_implIS3_N6thrust23THRUST_200600_302600_NS6detail15normal_iteratorINS8_10device_ptrItEEEESD_jNS1_19radix_merge_compareILb0ELb0EtNS0_19identity_decomposerEEEEE10hipError_tT0_T1_T2_jT3_P12ihipStream_tbPNSt15iterator_traitsISI_E10value_typeEPNSO_ISJ_E10value_typeEPSK_NS1_7vsmem_tEENKUlT_SI_SJ_SK_E_clIPtSD_S10_SD_EESH_SX_SI_SJ_SK_EUlSX_E0_NS1_11comp_targetILNS1_3genE2ELNS1_11target_archE906ELNS1_3gpuE6ELNS1_3repE0EEENS1_38merge_mergepath_config_static_selectorELNS0_4arch9wavefront6targetE1EEEvSJ_.num_named_barrier, 0
	.set _ZN7rocprim17ROCPRIM_400000_NS6detail17trampoline_kernelINS0_14default_configENS1_38merge_sort_block_merge_config_selectorIttEEZZNS1_27merge_sort_block_merge_implIS3_N6thrust23THRUST_200600_302600_NS6detail15normal_iteratorINS8_10device_ptrItEEEESD_jNS1_19radix_merge_compareILb0ELb0EtNS0_19identity_decomposerEEEEE10hipError_tT0_T1_T2_jT3_P12ihipStream_tbPNSt15iterator_traitsISI_E10value_typeEPNSO_ISJ_E10value_typeEPSK_NS1_7vsmem_tEENKUlT_SI_SJ_SK_E_clIPtSD_S10_SD_EESH_SX_SI_SJ_SK_EUlSX_E0_NS1_11comp_targetILNS1_3genE2ELNS1_11target_archE906ELNS1_3gpuE6ELNS1_3repE0EEENS1_38merge_mergepath_config_static_selectorELNS0_4arch9wavefront6targetE1EEEvSJ_.private_seg_size, 0
	.set _ZN7rocprim17ROCPRIM_400000_NS6detail17trampoline_kernelINS0_14default_configENS1_38merge_sort_block_merge_config_selectorIttEEZZNS1_27merge_sort_block_merge_implIS3_N6thrust23THRUST_200600_302600_NS6detail15normal_iteratorINS8_10device_ptrItEEEESD_jNS1_19radix_merge_compareILb0ELb0EtNS0_19identity_decomposerEEEEE10hipError_tT0_T1_T2_jT3_P12ihipStream_tbPNSt15iterator_traitsISI_E10value_typeEPNSO_ISJ_E10value_typeEPSK_NS1_7vsmem_tEENKUlT_SI_SJ_SK_E_clIPtSD_S10_SD_EESH_SX_SI_SJ_SK_EUlSX_E0_NS1_11comp_targetILNS1_3genE2ELNS1_11target_archE906ELNS1_3gpuE6ELNS1_3repE0EEENS1_38merge_mergepath_config_static_selectorELNS0_4arch9wavefront6targetE1EEEvSJ_.uses_vcc, 0
	.set _ZN7rocprim17ROCPRIM_400000_NS6detail17trampoline_kernelINS0_14default_configENS1_38merge_sort_block_merge_config_selectorIttEEZZNS1_27merge_sort_block_merge_implIS3_N6thrust23THRUST_200600_302600_NS6detail15normal_iteratorINS8_10device_ptrItEEEESD_jNS1_19radix_merge_compareILb0ELb0EtNS0_19identity_decomposerEEEEE10hipError_tT0_T1_T2_jT3_P12ihipStream_tbPNSt15iterator_traitsISI_E10value_typeEPNSO_ISJ_E10value_typeEPSK_NS1_7vsmem_tEENKUlT_SI_SJ_SK_E_clIPtSD_S10_SD_EESH_SX_SI_SJ_SK_EUlSX_E0_NS1_11comp_targetILNS1_3genE2ELNS1_11target_archE906ELNS1_3gpuE6ELNS1_3repE0EEENS1_38merge_mergepath_config_static_selectorELNS0_4arch9wavefront6targetE1EEEvSJ_.uses_flat_scratch, 0
	.set _ZN7rocprim17ROCPRIM_400000_NS6detail17trampoline_kernelINS0_14default_configENS1_38merge_sort_block_merge_config_selectorIttEEZZNS1_27merge_sort_block_merge_implIS3_N6thrust23THRUST_200600_302600_NS6detail15normal_iteratorINS8_10device_ptrItEEEESD_jNS1_19radix_merge_compareILb0ELb0EtNS0_19identity_decomposerEEEEE10hipError_tT0_T1_T2_jT3_P12ihipStream_tbPNSt15iterator_traitsISI_E10value_typeEPNSO_ISJ_E10value_typeEPSK_NS1_7vsmem_tEENKUlT_SI_SJ_SK_E_clIPtSD_S10_SD_EESH_SX_SI_SJ_SK_EUlSX_E0_NS1_11comp_targetILNS1_3genE2ELNS1_11target_archE906ELNS1_3gpuE6ELNS1_3repE0EEENS1_38merge_mergepath_config_static_selectorELNS0_4arch9wavefront6targetE1EEEvSJ_.has_dyn_sized_stack, 0
	.set _ZN7rocprim17ROCPRIM_400000_NS6detail17trampoline_kernelINS0_14default_configENS1_38merge_sort_block_merge_config_selectorIttEEZZNS1_27merge_sort_block_merge_implIS3_N6thrust23THRUST_200600_302600_NS6detail15normal_iteratorINS8_10device_ptrItEEEESD_jNS1_19radix_merge_compareILb0ELb0EtNS0_19identity_decomposerEEEEE10hipError_tT0_T1_T2_jT3_P12ihipStream_tbPNSt15iterator_traitsISI_E10value_typeEPNSO_ISJ_E10value_typeEPSK_NS1_7vsmem_tEENKUlT_SI_SJ_SK_E_clIPtSD_S10_SD_EESH_SX_SI_SJ_SK_EUlSX_E0_NS1_11comp_targetILNS1_3genE2ELNS1_11target_archE906ELNS1_3gpuE6ELNS1_3repE0EEENS1_38merge_mergepath_config_static_selectorELNS0_4arch9wavefront6targetE1EEEvSJ_.has_recursion, 0
	.set _ZN7rocprim17ROCPRIM_400000_NS6detail17trampoline_kernelINS0_14default_configENS1_38merge_sort_block_merge_config_selectorIttEEZZNS1_27merge_sort_block_merge_implIS3_N6thrust23THRUST_200600_302600_NS6detail15normal_iteratorINS8_10device_ptrItEEEESD_jNS1_19radix_merge_compareILb0ELb0EtNS0_19identity_decomposerEEEEE10hipError_tT0_T1_T2_jT3_P12ihipStream_tbPNSt15iterator_traitsISI_E10value_typeEPNSO_ISJ_E10value_typeEPSK_NS1_7vsmem_tEENKUlT_SI_SJ_SK_E_clIPtSD_S10_SD_EESH_SX_SI_SJ_SK_EUlSX_E0_NS1_11comp_targetILNS1_3genE2ELNS1_11target_archE906ELNS1_3gpuE6ELNS1_3repE0EEENS1_38merge_mergepath_config_static_selectorELNS0_4arch9wavefront6targetE1EEEvSJ_.has_indirect_call, 0
	.section	.AMDGPU.csdata,"",@progbits
; Kernel info:
; codeLenInByte = 0
; TotalNumSgprs: 6
; NumVgprs: 0
; NumAgprs: 0
; TotalNumVgprs: 0
; ScratchSize: 0
; MemoryBound: 0
; FloatMode: 240
; IeeeMode: 1
; LDSByteSize: 0 bytes/workgroup (compile time only)
; SGPRBlocks: 0
; VGPRBlocks: 0
; NumSGPRsForWavesPerEU: 6
; NumVGPRsForWavesPerEU: 1
; AccumOffset: 4
; Occupancy: 8
; WaveLimiterHint : 0
; COMPUTE_PGM_RSRC2:SCRATCH_EN: 0
; COMPUTE_PGM_RSRC2:USER_SGPR: 2
; COMPUTE_PGM_RSRC2:TRAP_HANDLER: 0
; COMPUTE_PGM_RSRC2:TGID_X_EN: 1
; COMPUTE_PGM_RSRC2:TGID_Y_EN: 0
; COMPUTE_PGM_RSRC2:TGID_Z_EN: 0
; COMPUTE_PGM_RSRC2:TIDIG_COMP_CNT: 0
; COMPUTE_PGM_RSRC3_GFX90A:ACCUM_OFFSET: 0
; COMPUTE_PGM_RSRC3_GFX90A:TG_SPLIT: 0
	.section	.text._ZN7rocprim17ROCPRIM_400000_NS6detail17trampoline_kernelINS0_14default_configENS1_38merge_sort_block_merge_config_selectorIttEEZZNS1_27merge_sort_block_merge_implIS3_N6thrust23THRUST_200600_302600_NS6detail15normal_iteratorINS8_10device_ptrItEEEESD_jNS1_19radix_merge_compareILb0ELb0EtNS0_19identity_decomposerEEEEE10hipError_tT0_T1_T2_jT3_P12ihipStream_tbPNSt15iterator_traitsISI_E10value_typeEPNSO_ISJ_E10value_typeEPSK_NS1_7vsmem_tEENKUlT_SI_SJ_SK_E_clIPtSD_S10_SD_EESH_SX_SI_SJ_SK_EUlSX_E0_NS1_11comp_targetILNS1_3genE9ELNS1_11target_archE1100ELNS1_3gpuE3ELNS1_3repE0EEENS1_38merge_mergepath_config_static_selectorELNS0_4arch9wavefront6targetE1EEEvSJ_,"axG",@progbits,_ZN7rocprim17ROCPRIM_400000_NS6detail17trampoline_kernelINS0_14default_configENS1_38merge_sort_block_merge_config_selectorIttEEZZNS1_27merge_sort_block_merge_implIS3_N6thrust23THRUST_200600_302600_NS6detail15normal_iteratorINS8_10device_ptrItEEEESD_jNS1_19radix_merge_compareILb0ELb0EtNS0_19identity_decomposerEEEEE10hipError_tT0_T1_T2_jT3_P12ihipStream_tbPNSt15iterator_traitsISI_E10value_typeEPNSO_ISJ_E10value_typeEPSK_NS1_7vsmem_tEENKUlT_SI_SJ_SK_E_clIPtSD_S10_SD_EESH_SX_SI_SJ_SK_EUlSX_E0_NS1_11comp_targetILNS1_3genE9ELNS1_11target_archE1100ELNS1_3gpuE3ELNS1_3repE0EEENS1_38merge_mergepath_config_static_selectorELNS0_4arch9wavefront6targetE1EEEvSJ_,comdat
	.protected	_ZN7rocprim17ROCPRIM_400000_NS6detail17trampoline_kernelINS0_14default_configENS1_38merge_sort_block_merge_config_selectorIttEEZZNS1_27merge_sort_block_merge_implIS3_N6thrust23THRUST_200600_302600_NS6detail15normal_iteratorINS8_10device_ptrItEEEESD_jNS1_19radix_merge_compareILb0ELb0EtNS0_19identity_decomposerEEEEE10hipError_tT0_T1_T2_jT3_P12ihipStream_tbPNSt15iterator_traitsISI_E10value_typeEPNSO_ISJ_E10value_typeEPSK_NS1_7vsmem_tEENKUlT_SI_SJ_SK_E_clIPtSD_S10_SD_EESH_SX_SI_SJ_SK_EUlSX_E0_NS1_11comp_targetILNS1_3genE9ELNS1_11target_archE1100ELNS1_3gpuE3ELNS1_3repE0EEENS1_38merge_mergepath_config_static_selectorELNS0_4arch9wavefront6targetE1EEEvSJ_ ; -- Begin function _ZN7rocprim17ROCPRIM_400000_NS6detail17trampoline_kernelINS0_14default_configENS1_38merge_sort_block_merge_config_selectorIttEEZZNS1_27merge_sort_block_merge_implIS3_N6thrust23THRUST_200600_302600_NS6detail15normal_iteratorINS8_10device_ptrItEEEESD_jNS1_19radix_merge_compareILb0ELb0EtNS0_19identity_decomposerEEEEE10hipError_tT0_T1_T2_jT3_P12ihipStream_tbPNSt15iterator_traitsISI_E10value_typeEPNSO_ISJ_E10value_typeEPSK_NS1_7vsmem_tEENKUlT_SI_SJ_SK_E_clIPtSD_S10_SD_EESH_SX_SI_SJ_SK_EUlSX_E0_NS1_11comp_targetILNS1_3genE9ELNS1_11target_archE1100ELNS1_3gpuE3ELNS1_3repE0EEENS1_38merge_mergepath_config_static_selectorELNS0_4arch9wavefront6targetE1EEEvSJ_
	.globl	_ZN7rocprim17ROCPRIM_400000_NS6detail17trampoline_kernelINS0_14default_configENS1_38merge_sort_block_merge_config_selectorIttEEZZNS1_27merge_sort_block_merge_implIS3_N6thrust23THRUST_200600_302600_NS6detail15normal_iteratorINS8_10device_ptrItEEEESD_jNS1_19radix_merge_compareILb0ELb0EtNS0_19identity_decomposerEEEEE10hipError_tT0_T1_T2_jT3_P12ihipStream_tbPNSt15iterator_traitsISI_E10value_typeEPNSO_ISJ_E10value_typeEPSK_NS1_7vsmem_tEENKUlT_SI_SJ_SK_E_clIPtSD_S10_SD_EESH_SX_SI_SJ_SK_EUlSX_E0_NS1_11comp_targetILNS1_3genE9ELNS1_11target_archE1100ELNS1_3gpuE3ELNS1_3repE0EEENS1_38merge_mergepath_config_static_selectorELNS0_4arch9wavefront6targetE1EEEvSJ_
	.p2align	8
	.type	_ZN7rocprim17ROCPRIM_400000_NS6detail17trampoline_kernelINS0_14default_configENS1_38merge_sort_block_merge_config_selectorIttEEZZNS1_27merge_sort_block_merge_implIS3_N6thrust23THRUST_200600_302600_NS6detail15normal_iteratorINS8_10device_ptrItEEEESD_jNS1_19radix_merge_compareILb0ELb0EtNS0_19identity_decomposerEEEEE10hipError_tT0_T1_T2_jT3_P12ihipStream_tbPNSt15iterator_traitsISI_E10value_typeEPNSO_ISJ_E10value_typeEPSK_NS1_7vsmem_tEENKUlT_SI_SJ_SK_E_clIPtSD_S10_SD_EESH_SX_SI_SJ_SK_EUlSX_E0_NS1_11comp_targetILNS1_3genE9ELNS1_11target_archE1100ELNS1_3gpuE3ELNS1_3repE0EEENS1_38merge_mergepath_config_static_selectorELNS0_4arch9wavefront6targetE1EEEvSJ_,@function
_ZN7rocprim17ROCPRIM_400000_NS6detail17trampoline_kernelINS0_14default_configENS1_38merge_sort_block_merge_config_selectorIttEEZZNS1_27merge_sort_block_merge_implIS3_N6thrust23THRUST_200600_302600_NS6detail15normal_iteratorINS8_10device_ptrItEEEESD_jNS1_19radix_merge_compareILb0ELb0EtNS0_19identity_decomposerEEEEE10hipError_tT0_T1_T2_jT3_P12ihipStream_tbPNSt15iterator_traitsISI_E10value_typeEPNSO_ISJ_E10value_typeEPSK_NS1_7vsmem_tEENKUlT_SI_SJ_SK_E_clIPtSD_S10_SD_EESH_SX_SI_SJ_SK_EUlSX_E0_NS1_11comp_targetILNS1_3genE9ELNS1_11target_archE1100ELNS1_3gpuE3ELNS1_3repE0EEENS1_38merge_mergepath_config_static_selectorELNS0_4arch9wavefront6targetE1EEEvSJ_: ; @_ZN7rocprim17ROCPRIM_400000_NS6detail17trampoline_kernelINS0_14default_configENS1_38merge_sort_block_merge_config_selectorIttEEZZNS1_27merge_sort_block_merge_implIS3_N6thrust23THRUST_200600_302600_NS6detail15normal_iteratorINS8_10device_ptrItEEEESD_jNS1_19radix_merge_compareILb0ELb0EtNS0_19identity_decomposerEEEEE10hipError_tT0_T1_T2_jT3_P12ihipStream_tbPNSt15iterator_traitsISI_E10value_typeEPNSO_ISJ_E10value_typeEPSK_NS1_7vsmem_tEENKUlT_SI_SJ_SK_E_clIPtSD_S10_SD_EESH_SX_SI_SJ_SK_EUlSX_E0_NS1_11comp_targetILNS1_3genE9ELNS1_11target_archE1100ELNS1_3gpuE3ELNS1_3repE0EEENS1_38merge_mergepath_config_static_selectorELNS0_4arch9wavefront6targetE1EEEvSJ_
; %bb.0:
	.section	.rodata,"a",@progbits
	.p2align	6, 0x0
	.amdhsa_kernel _ZN7rocprim17ROCPRIM_400000_NS6detail17trampoline_kernelINS0_14default_configENS1_38merge_sort_block_merge_config_selectorIttEEZZNS1_27merge_sort_block_merge_implIS3_N6thrust23THRUST_200600_302600_NS6detail15normal_iteratorINS8_10device_ptrItEEEESD_jNS1_19radix_merge_compareILb0ELb0EtNS0_19identity_decomposerEEEEE10hipError_tT0_T1_T2_jT3_P12ihipStream_tbPNSt15iterator_traitsISI_E10value_typeEPNSO_ISJ_E10value_typeEPSK_NS1_7vsmem_tEENKUlT_SI_SJ_SK_E_clIPtSD_S10_SD_EESH_SX_SI_SJ_SK_EUlSX_E0_NS1_11comp_targetILNS1_3genE9ELNS1_11target_archE1100ELNS1_3gpuE3ELNS1_3repE0EEENS1_38merge_mergepath_config_static_selectorELNS0_4arch9wavefront6targetE1EEEvSJ_
		.amdhsa_group_segment_fixed_size 0
		.amdhsa_private_segment_fixed_size 0
		.amdhsa_kernarg_size 64
		.amdhsa_user_sgpr_count 2
		.amdhsa_user_sgpr_dispatch_ptr 0
		.amdhsa_user_sgpr_queue_ptr 0
		.amdhsa_user_sgpr_kernarg_segment_ptr 1
		.amdhsa_user_sgpr_dispatch_id 0
		.amdhsa_user_sgpr_kernarg_preload_length 0
		.amdhsa_user_sgpr_kernarg_preload_offset 0
		.amdhsa_user_sgpr_private_segment_size 0
		.amdhsa_uses_dynamic_stack 0
		.amdhsa_enable_private_segment 0
		.amdhsa_system_sgpr_workgroup_id_x 1
		.amdhsa_system_sgpr_workgroup_id_y 0
		.amdhsa_system_sgpr_workgroup_id_z 0
		.amdhsa_system_sgpr_workgroup_info 0
		.amdhsa_system_vgpr_workitem_id 0
		.amdhsa_next_free_vgpr 1
		.amdhsa_next_free_sgpr 0
		.amdhsa_accum_offset 4
		.amdhsa_reserve_vcc 0
		.amdhsa_float_round_mode_32 0
		.amdhsa_float_round_mode_16_64 0
		.amdhsa_float_denorm_mode_32 3
		.amdhsa_float_denorm_mode_16_64 3
		.amdhsa_dx10_clamp 1
		.amdhsa_ieee_mode 1
		.amdhsa_fp16_overflow 0
		.amdhsa_tg_split 0
		.amdhsa_exception_fp_ieee_invalid_op 0
		.amdhsa_exception_fp_denorm_src 0
		.amdhsa_exception_fp_ieee_div_zero 0
		.amdhsa_exception_fp_ieee_overflow 0
		.amdhsa_exception_fp_ieee_underflow 0
		.amdhsa_exception_fp_ieee_inexact 0
		.amdhsa_exception_int_div_zero 0
	.end_amdhsa_kernel
	.section	.text._ZN7rocprim17ROCPRIM_400000_NS6detail17trampoline_kernelINS0_14default_configENS1_38merge_sort_block_merge_config_selectorIttEEZZNS1_27merge_sort_block_merge_implIS3_N6thrust23THRUST_200600_302600_NS6detail15normal_iteratorINS8_10device_ptrItEEEESD_jNS1_19radix_merge_compareILb0ELb0EtNS0_19identity_decomposerEEEEE10hipError_tT0_T1_T2_jT3_P12ihipStream_tbPNSt15iterator_traitsISI_E10value_typeEPNSO_ISJ_E10value_typeEPSK_NS1_7vsmem_tEENKUlT_SI_SJ_SK_E_clIPtSD_S10_SD_EESH_SX_SI_SJ_SK_EUlSX_E0_NS1_11comp_targetILNS1_3genE9ELNS1_11target_archE1100ELNS1_3gpuE3ELNS1_3repE0EEENS1_38merge_mergepath_config_static_selectorELNS0_4arch9wavefront6targetE1EEEvSJ_,"axG",@progbits,_ZN7rocprim17ROCPRIM_400000_NS6detail17trampoline_kernelINS0_14default_configENS1_38merge_sort_block_merge_config_selectorIttEEZZNS1_27merge_sort_block_merge_implIS3_N6thrust23THRUST_200600_302600_NS6detail15normal_iteratorINS8_10device_ptrItEEEESD_jNS1_19radix_merge_compareILb0ELb0EtNS0_19identity_decomposerEEEEE10hipError_tT0_T1_T2_jT3_P12ihipStream_tbPNSt15iterator_traitsISI_E10value_typeEPNSO_ISJ_E10value_typeEPSK_NS1_7vsmem_tEENKUlT_SI_SJ_SK_E_clIPtSD_S10_SD_EESH_SX_SI_SJ_SK_EUlSX_E0_NS1_11comp_targetILNS1_3genE9ELNS1_11target_archE1100ELNS1_3gpuE3ELNS1_3repE0EEENS1_38merge_mergepath_config_static_selectorELNS0_4arch9wavefront6targetE1EEEvSJ_,comdat
.Lfunc_end856:
	.size	_ZN7rocprim17ROCPRIM_400000_NS6detail17trampoline_kernelINS0_14default_configENS1_38merge_sort_block_merge_config_selectorIttEEZZNS1_27merge_sort_block_merge_implIS3_N6thrust23THRUST_200600_302600_NS6detail15normal_iteratorINS8_10device_ptrItEEEESD_jNS1_19radix_merge_compareILb0ELb0EtNS0_19identity_decomposerEEEEE10hipError_tT0_T1_T2_jT3_P12ihipStream_tbPNSt15iterator_traitsISI_E10value_typeEPNSO_ISJ_E10value_typeEPSK_NS1_7vsmem_tEENKUlT_SI_SJ_SK_E_clIPtSD_S10_SD_EESH_SX_SI_SJ_SK_EUlSX_E0_NS1_11comp_targetILNS1_3genE9ELNS1_11target_archE1100ELNS1_3gpuE3ELNS1_3repE0EEENS1_38merge_mergepath_config_static_selectorELNS0_4arch9wavefront6targetE1EEEvSJ_, .Lfunc_end856-_ZN7rocprim17ROCPRIM_400000_NS6detail17trampoline_kernelINS0_14default_configENS1_38merge_sort_block_merge_config_selectorIttEEZZNS1_27merge_sort_block_merge_implIS3_N6thrust23THRUST_200600_302600_NS6detail15normal_iteratorINS8_10device_ptrItEEEESD_jNS1_19radix_merge_compareILb0ELb0EtNS0_19identity_decomposerEEEEE10hipError_tT0_T1_T2_jT3_P12ihipStream_tbPNSt15iterator_traitsISI_E10value_typeEPNSO_ISJ_E10value_typeEPSK_NS1_7vsmem_tEENKUlT_SI_SJ_SK_E_clIPtSD_S10_SD_EESH_SX_SI_SJ_SK_EUlSX_E0_NS1_11comp_targetILNS1_3genE9ELNS1_11target_archE1100ELNS1_3gpuE3ELNS1_3repE0EEENS1_38merge_mergepath_config_static_selectorELNS0_4arch9wavefront6targetE1EEEvSJ_
                                        ; -- End function
	.set _ZN7rocprim17ROCPRIM_400000_NS6detail17trampoline_kernelINS0_14default_configENS1_38merge_sort_block_merge_config_selectorIttEEZZNS1_27merge_sort_block_merge_implIS3_N6thrust23THRUST_200600_302600_NS6detail15normal_iteratorINS8_10device_ptrItEEEESD_jNS1_19radix_merge_compareILb0ELb0EtNS0_19identity_decomposerEEEEE10hipError_tT0_T1_T2_jT3_P12ihipStream_tbPNSt15iterator_traitsISI_E10value_typeEPNSO_ISJ_E10value_typeEPSK_NS1_7vsmem_tEENKUlT_SI_SJ_SK_E_clIPtSD_S10_SD_EESH_SX_SI_SJ_SK_EUlSX_E0_NS1_11comp_targetILNS1_3genE9ELNS1_11target_archE1100ELNS1_3gpuE3ELNS1_3repE0EEENS1_38merge_mergepath_config_static_selectorELNS0_4arch9wavefront6targetE1EEEvSJ_.num_vgpr, 0
	.set _ZN7rocprim17ROCPRIM_400000_NS6detail17trampoline_kernelINS0_14default_configENS1_38merge_sort_block_merge_config_selectorIttEEZZNS1_27merge_sort_block_merge_implIS3_N6thrust23THRUST_200600_302600_NS6detail15normal_iteratorINS8_10device_ptrItEEEESD_jNS1_19radix_merge_compareILb0ELb0EtNS0_19identity_decomposerEEEEE10hipError_tT0_T1_T2_jT3_P12ihipStream_tbPNSt15iterator_traitsISI_E10value_typeEPNSO_ISJ_E10value_typeEPSK_NS1_7vsmem_tEENKUlT_SI_SJ_SK_E_clIPtSD_S10_SD_EESH_SX_SI_SJ_SK_EUlSX_E0_NS1_11comp_targetILNS1_3genE9ELNS1_11target_archE1100ELNS1_3gpuE3ELNS1_3repE0EEENS1_38merge_mergepath_config_static_selectorELNS0_4arch9wavefront6targetE1EEEvSJ_.num_agpr, 0
	.set _ZN7rocprim17ROCPRIM_400000_NS6detail17trampoline_kernelINS0_14default_configENS1_38merge_sort_block_merge_config_selectorIttEEZZNS1_27merge_sort_block_merge_implIS3_N6thrust23THRUST_200600_302600_NS6detail15normal_iteratorINS8_10device_ptrItEEEESD_jNS1_19radix_merge_compareILb0ELb0EtNS0_19identity_decomposerEEEEE10hipError_tT0_T1_T2_jT3_P12ihipStream_tbPNSt15iterator_traitsISI_E10value_typeEPNSO_ISJ_E10value_typeEPSK_NS1_7vsmem_tEENKUlT_SI_SJ_SK_E_clIPtSD_S10_SD_EESH_SX_SI_SJ_SK_EUlSX_E0_NS1_11comp_targetILNS1_3genE9ELNS1_11target_archE1100ELNS1_3gpuE3ELNS1_3repE0EEENS1_38merge_mergepath_config_static_selectorELNS0_4arch9wavefront6targetE1EEEvSJ_.numbered_sgpr, 0
	.set _ZN7rocprim17ROCPRIM_400000_NS6detail17trampoline_kernelINS0_14default_configENS1_38merge_sort_block_merge_config_selectorIttEEZZNS1_27merge_sort_block_merge_implIS3_N6thrust23THRUST_200600_302600_NS6detail15normal_iteratorINS8_10device_ptrItEEEESD_jNS1_19radix_merge_compareILb0ELb0EtNS0_19identity_decomposerEEEEE10hipError_tT0_T1_T2_jT3_P12ihipStream_tbPNSt15iterator_traitsISI_E10value_typeEPNSO_ISJ_E10value_typeEPSK_NS1_7vsmem_tEENKUlT_SI_SJ_SK_E_clIPtSD_S10_SD_EESH_SX_SI_SJ_SK_EUlSX_E0_NS1_11comp_targetILNS1_3genE9ELNS1_11target_archE1100ELNS1_3gpuE3ELNS1_3repE0EEENS1_38merge_mergepath_config_static_selectorELNS0_4arch9wavefront6targetE1EEEvSJ_.num_named_barrier, 0
	.set _ZN7rocprim17ROCPRIM_400000_NS6detail17trampoline_kernelINS0_14default_configENS1_38merge_sort_block_merge_config_selectorIttEEZZNS1_27merge_sort_block_merge_implIS3_N6thrust23THRUST_200600_302600_NS6detail15normal_iteratorINS8_10device_ptrItEEEESD_jNS1_19radix_merge_compareILb0ELb0EtNS0_19identity_decomposerEEEEE10hipError_tT0_T1_T2_jT3_P12ihipStream_tbPNSt15iterator_traitsISI_E10value_typeEPNSO_ISJ_E10value_typeEPSK_NS1_7vsmem_tEENKUlT_SI_SJ_SK_E_clIPtSD_S10_SD_EESH_SX_SI_SJ_SK_EUlSX_E0_NS1_11comp_targetILNS1_3genE9ELNS1_11target_archE1100ELNS1_3gpuE3ELNS1_3repE0EEENS1_38merge_mergepath_config_static_selectorELNS0_4arch9wavefront6targetE1EEEvSJ_.private_seg_size, 0
	.set _ZN7rocprim17ROCPRIM_400000_NS6detail17trampoline_kernelINS0_14default_configENS1_38merge_sort_block_merge_config_selectorIttEEZZNS1_27merge_sort_block_merge_implIS3_N6thrust23THRUST_200600_302600_NS6detail15normal_iteratorINS8_10device_ptrItEEEESD_jNS1_19radix_merge_compareILb0ELb0EtNS0_19identity_decomposerEEEEE10hipError_tT0_T1_T2_jT3_P12ihipStream_tbPNSt15iterator_traitsISI_E10value_typeEPNSO_ISJ_E10value_typeEPSK_NS1_7vsmem_tEENKUlT_SI_SJ_SK_E_clIPtSD_S10_SD_EESH_SX_SI_SJ_SK_EUlSX_E0_NS1_11comp_targetILNS1_3genE9ELNS1_11target_archE1100ELNS1_3gpuE3ELNS1_3repE0EEENS1_38merge_mergepath_config_static_selectorELNS0_4arch9wavefront6targetE1EEEvSJ_.uses_vcc, 0
	.set _ZN7rocprim17ROCPRIM_400000_NS6detail17trampoline_kernelINS0_14default_configENS1_38merge_sort_block_merge_config_selectorIttEEZZNS1_27merge_sort_block_merge_implIS3_N6thrust23THRUST_200600_302600_NS6detail15normal_iteratorINS8_10device_ptrItEEEESD_jNS1_19radix_merge_compareILb0ELb0EtNS0_19identity_decomposerEEEEE10hipError_tT0_T1_T2_jT3_P12ihipStream_tbPNSt15iterator_traitsISI_E10value_typeEPNSO_ISJ_E10value_typeEPSK_NS1_7vsmem_tEENKUlT_SI_SJ_SK_E_clIPtSD_S10_SD_EESH_SX_SI_SJ_SK_EUlSX_E0_NS1_11comp_targetILNS1_3genE9ELNS1_11target_archE1100ELNS1_3gpuE3ELNS1_3repE0EEENS1_38merge_mergepath_config_static_selectorELNS0_4arch9wavefront6targetE1EEEvSJ_.uses_flat_scratch, 0
	.set _ZN7rocprim17ROCPRIM_400000_NS6detail17trampoline_kernelINS0_14default_configENS1_38merge_sort_block_merge_config_selectorIttEEZZNS1_27merge_sort_block_merge_implIS3_N6thrust23THRUST_200600_302600_NS6detail15normal_iteratorINS8_10device_ptrItEEEESD_jNS1_19radix_merge_compareILb0ELb0EtNS0_19identity_decomposerEEEEE10hipError_tT0_T1_T2_jT3_P12ihipStream_tbPNSt15iterator_traitsISI_E10value_typeEPNSO_ISJ_E10value_typeEPSK_NS1_7vsmem_tEENKUlT_SI_SJ_SK_E_clIPtSD_S10_SD_EESH_SX_SI_SJ_SK_EUlSX_E0_NS1_11comp_targetILNS1_3genE9ELNS1_11target_archE1100ELNS1_3gpuE3ELNS1_3repE0EEENS1_38merge_mergepath_config_static_selectorELNS0_4arch9wavefront6targetE1EEEvSJ_.has_dyn_sized_stack, 0
	.set _ZN7rocprim17ROCPRIM_400000_NS6detail17trampoline_kernelINS0_14default_configENS1_38merge_sort_block_merge_config_selectorIttEEZZNS1_27merge_sort_block_merge_implIS3_N6thrust23THRUST_200600_302600_NS6detail15normal_iteratorINS8_10device_ptrItEEEESD_jNS1_19radix_merge_compareILb0ELb0EtNS0_19identity_decomposerEEEEE10hipError_tT0_T1_T2_jT3_P12ihipStream_tbPNSt15iterator_traitsISI_E10value_typeEPNSO_ISJ_E10value_typeEPSK_NS1_7vsmem_tEENKUlT_SI_SJ_SK_E_clIPtSD_S10_SD_EESH_SX_SI_SJ_SK_EUlSX_E0_NS1_11comp_targetILNS1_3genE9ELNS1_11target_archE1100ELNS1_3gpuE3ELNS1_3repE0EEENS1_38merge_mergepath_config_static_selectorELNS0_4arch9wavefront6targetE1EEEvSJ_.has_recursion, 0
	.set _ZN7rocprim17ROCPRIM_400000_NS6detail17trampoline_kernelINS0_14default_configENS1_38merge_sort_block_merge_config_selectorIttEEZZNS1_27merge_sort_block_merge_implIS3_N6thrust23THRUST_200600_302600_NS6detail15normal_iteratorINS8_10device_ptrItEEEESD_jNS1_19radix_merge_compareILb0ELb0EtNS0_19identity_decomposerEEEEE10hipError_tT0_T1_T2_jT3_P12ihipStream_tbPNSt15iterator_traitsISI_E10value_typeEPNSO_ISJ_E10value_typeEPSK_NS1_7vsmem_tEENKUlT_SI_SJ_SK_E_clIPtSD_S10_SD_EESH_SX_SI_SJ_SK_EUlSX_E0_NS1_11comp_targetILNS1_3genE9ELNS1_11target_archE1100ELNS1_3gpuE3ELNS1_3repE0EEENS1_38merge_mergepath_config_static_selectorELNS0_4arch9wavefront6targetE1EEEvSJ_.has_indirect_call, 0
	.section	.AMDGPU.csdata,"",@progbits
; Kernel info:
; codeLenInByte = 0
; TotalNumSgprs: 6
; NumVgprs: 0
; NumAgprs: 0
; TotalNumVgprs: 0
; ScratchSize: 0
; MemoryBound: 0
; FloatMode: 240
; IeeeMode: 1
; LDSByteSize: 0 bytes/workgroup (compile time only)
; SGPRBlocks: 0
; VGPRBlocks: 0
; NumSGPRsForWavesPerEU: 6
; NumVGPRsForWavesPerEU: 1
; AccumOffset: 4
; Occupancy: 8
; WaveLimiterHint : 0
; COMPUTE_PGM_RSRC2:SCRATCH_EN: 0
; COMPUTE_PGM_RSRC2:USER_SGPR: 2
; COMPUTE_PGM_RSRC2:TRAP_HANDLER: 0
; COMPUTE_PGM_RSRC2:TGID_X_EN: 1
; COMPUTE_PGM_RSRC2:TGID_Y_EN: 0
; COMPUTE_PGM_RSRC2:TGID_Z_EN: 0
; COMPUTE_PGM_RSRC2:TIDIG_COMP_CNT: 0
; COMPUTE_PGM_RSRC3_GFX90A:ACCUM_OFFSET: 0
; COMPUTE_PGM_RSRC3_GFX90A:TG_SPLIT: 0
	.section	.text._ZN7rocprim17ROCPRIM_400000_NS6detail17trampoline_kernelINS0_14default_configENS1_38merge_sort_block_merge_config_selectorIttEEZZNS1_27merge_sort_block_merge_implIS3_N6thrust23THRUST_200600_302600_NS6detail15normal_iteratorINS8_10device_ptrItEEEESD_jNS1_19radix_merge_compareILb0ELb0EtNS0_19identity_decomposerEEEEE10hipError_tT0_T1_T2_jT3_P12ihipStream_tbPNSt15iterator_traitsISI_E10value_typeEPNSO_ISJ_E10value_typeEPSK_NS1_7vsmem_tEENKUlT_SI_SJ_SK_E_clIPtSD_S10_SD_EESH_SX_SI_SJ_SK_EUlSX_E0_NS1_11comp_targetILNS1_3genE8ELNS1_11target_archE1030ELNS1_3gpuE2ELNS1_3repE0EEENS1_38merge_mergepath_config_static_selectorELNS0_4arch9wavefront6targetE1EEEvSJ_,"axG",@progbits,_ZN7rocprim17ROCPRIM_400000_NS6detail17trampoline_kernelINS0_14default_configENS1_38merge_sort_block_merge_config_selectorIttEEZZNS1_27merge_sort_block_merge_implIS3_N6thrust23THRUST_200600_302600_NS6detail15normal_iteratorINS8_10device_ptrItEEEESD_jNS1_19radix_merge_compareILb0ELb0EtNS0_19identity_decomposerEEEEE10hipError_tT0_T1_T2_jT3_P12ihipStream_tbPNSt15iterator_traitsISI_E10value_typeEPNSO_ISJ_E10value_typeEPSK_NS1_7vsmem_tEENKUlT_SI_SJ_SK_E_clIPtSD_S10_SD_EESH_SX_SI_SJ_SK_EUlSX_E0_NS1_11comp_targetILNS1_3genE8ELNS1_11target_archE1030ELNS1_3gpuE2ELNS1_3repE0EEENS1_38merge_mergepath_config_static_selectorELNS0_4arch9wavefront6targetE1EEEvSJ_,comdat
	.protected	_ZN7rocprim17ROCPRIM_400000_NS6detail17trampoline_kernelINS0_14default_configENS1_38merge_sort_block_merge_config_selectorIttEEZZNS1_27merge_sort_block_merge_implIS3_N6thrust23THRUST_200600_302600_NS6detail15normal_iteratorINS8_10device_ptrItEEEESD_jNS1_19radix_merge_compareILb0ELb0EtNS0_19identity_decomposerEEEEE10hipError_tT0_T1_T2_jT3_P12ihipStream_tbPNSt15iterator_traitsISI_E10value_typeEPNSO_ISJ_E10value_typeEPSK_NS1_7vsmem_tEENKUlT_SI_SJ_SK_E_clIPtSD_S10_SD_EESH_SX_SI_SJ_SK_EUlSX_E0_NS1_11comp_targetILNS1_3genE8ELNS1_11target_archE1030ELNS1_3gpuE2ELNS1_3repE0EEENS1_38merge_mergepath_config_static_selectorELNS0_4arch9wavefront6targetE1EEEvSJ_ ; -- Begin function _ZN7rocprim17ROCPRIM_400000_NS6detail17trampoline_kernelINS0_14default_configENS1_38merge_sort_block_merge_config_selectorIttEEZZNS1_27merge_sort_block_merge_implIS3_N6thrust23THRUST_200600_302600_NS6detail15normal_iteratorINS8_10device_ptrItEEEESD_jNS1_19radix_merge_compareILb0ELb0EtNS0_19identity_decomposerEEEEE10hipError_tT0_T1_T2_jT3_P12ihipStream_tbPNSt15iterator_traitsISI_E10value_typeEPNSO_ISJ_E10value_typeEPSK_NS1_7vsmem_tEENKUlT_SI_SJ_SK_E_clIPtSD_S10_SD_EESH_SX_SI_SJ_SK_EUlSX_E0_NS1_11comp_targetILNS1_3genE8ELNS1_11target_archE1030ELNS1_3gpuE2ELNS1_3repE0EEENS1_38merge_mergepath_config_static_selectorELNS0_4arch9wavefront6targetE1EEEvSJ_
	.globl	_ZN7rocprim17ROCPRIM_400000_NS6detail17trampoline_kernelINS0_14default_configENS1_38merge_sort_block_merge_config_selectorIttEEZZNS1_27merge_sort_block_merge_implIS3_N6thrust23THRUST_200600_302600_NS6detail15normal_iteratorINS8_10device_ptrItEEEESD_jNS1_19radix_merge_compareILb0ELb0EtNS0_19identity_decomposerEEEEE10hipError_tT0_T1_T2_jT3_P12ihipStream_tbPNSt15iterator_traitsISI_E10value_typeEPNSO_ISJ_E10value_typeEPSK_NS1_7vsmem_tEENKUlT_SI_SJ_SK_E_clIPtSD_S10_SD_EESH_SX_SI_SJ_SK_EUlSX_E0_NS1_11comp_targetILNS1_3genE8ELNS1_11target_archE1030ELNS1_3gpuE2ELNS1_3repE0EEENS1_38merge_mergepath_config_static_selectorELNS0_4arch9wavefront6targetE1EEEvSJ_
	.p2align	8
	.type	_ZN7rocprim17ROCPRIM_400000_NS6detail17trampoline_kernelINS0_14default_configENS1_38merge_sort_block_merge_config_selectorIttEEZZNS1_27merge_sort_block_merge_implIS3_N6thrust23THRUST_200600_302600_NS6detail15normal_iteratorINS8_10device_ptrItEEEESD_jNS1_19radix_merge_compareILb0ELb0EtNS0_19identity_decomposerEEEEE10hipError_tT0_T1_T2_jT3_P12ihipStream_tbPNSt15iterator_traitsISI_E10value_typeEPNSO_ISJ_E10value_typeEPSK_NS1_7vsmem_tEENKUlT_SI_SJ_SK_E_clIPtSD_S10_SD_EESH_SX_SI_SJ_SK_EUlSX_E0_NS1_11comp_targetILNS1_3genE8ELNS1_11target_archE1030ELNS1_3gpuE2ELNS1_3repE0EEENS1_38merge_mergepath_config_static_selectorELNS0_4arch9wavefront6targetE1EEEvSJ_,@function
_ZN7rocprim17ROCPRIM_400000_NS6detail17trampoline_kernelINS0_14default_configENS1_38merge_sort_block_merge_config_selectorIttEEZZNS1_27merge_sort_block_merge_implIS3_N6thrust23THRUST_200600_302600_NS6detail15normal_iteratorINS8_10device_ptrItEEEESD_jNS1_19radix_merge_compareILb0ELb0EtNS0_19identity_decomposerEEEEE10hipError_tT0_T1_T2_jT3_P12ihipStream_tbPNSt15iterator_traitsISI_E10value_typeEPNSO_ISJ_E10value_typeEPSK_NS1_7vsmem_tEENKUlT_SI_SJ_SK_E_clIPtSD_S10_SD_EESH_SX_SI_SJ_SK_EUlSX_E0_NS1_11comp_targetILNS1_3genE8ELNS1_11target_archE1030ELNS1_3gpuE2ELNS1_3repE0EEENS1_38merge_mergepath_config_static_selectorELNS0_4arch9wavefront6targetE1EEEvSJ_: ; @_ZN7rocprim17ROCPRIM_400000_NS6detail17trampoline_kernelINS0_14default_configENS1_38merge_sort_block_merge_config_selectorIttEEZZNS1_27merge_sort_block_merge_implIS3_N6thrust23THRUST_200600_302600_NS6detail15normal_iteratorINS8_10device_ptrItEEEESD_jNS1_19radix_merge_compareILb0ELb0EtNS0_19identity_decomposerEEEEE10hipError_tT0_T1_T2_jT3_P12ihipStream_tbPNSt15iterator_traitsISI_E10value_typeEPNSO_ISJ_E10value_typeEPSK_NS1_7vsmem_tEENKUlT_SI_SJ_SK_E_clIPtSD_S10_SD_EESH_SX_SI_SJ_SK_EUlSX_E0_NS1_11comp_targetILNS1_3genE8ELNS1_11target_archE1030ELNS1_3gpuE2ELNS1_3repE0EEENS1_38merge_mergepath_config_static_selectorELNS0_4arch9wavefront6targetE1EEEvSJ_
; %bb.0:
	.section	.rodata,"a",@progbits
	.p2align	6, 0x0
	.amdhsa_kernel _ZN7rocprim17ROCPRIM_400000_NS6detail17trampoline_kernelINS0_14default_configENS1_38merge_sort_block_merge_config_selectorIttEEZZNS1_27merge_sort_block_merge_implIS3_N6thrust23THRUST_200600_302600_NS6detail15normal_iteratorINS8_10device_ptrItEEEESD_jNS1_19radix_merge_compareILb0ELb0EtNS0_19identity_decomposerEEEEE10hipError_tT0_T1_T2_jT3_P12ihipStream_tbPNSt15iterator_traitsISI_E10value_typeEPNSO_ISJ_E10value_typeEPSK_NS1_7vsmem_tEENKUlT_SI_SJ_SK_E_clIPtSD_S10_SD_EESH_SX_SI_SJ_SK_EUlSX_E0_NS1_11comp_targetILNS1_3genE8ELNS1_11target_archE1030ELNS1_3gpuE2ELNS1_3repE0EEENS1_38merge_mergepath_config_static_selectorELNS0_4arch9wavefront6targetE1EEEvSJ_
		.amdhsa_group_segment_fixed_size 0
		.amdhsa_private_segment_fixed_size 0
		.amdhsa_kernarg_size 64
		.amdhsa_user_sgpr_count 2
		.amdhsa_user_sgpr_dispatch_ptr 0
		.amdhsa_user_sgpr_queue_ptr 0
		.amdhsa_user_sgpr_kernarg_segment_ptr 1
		.amdhsa_user_sgpr_dispatch_id 0
		.amdhsa_user_sgpr_kernarg_preload_length 0
		.amdhsa_user_sgpr_kernarg_preload_offset 0
		.amdhsa_user_sgpr_private_segment_size 0
		.amdhsa_uses_dynamic_stack 0
		.amdhsa_enable_private_segment 0
		.amdhsa_system_sgpr_workgroup_id_x 1
		.amdhsa_system_sgpr_workgroup_id_y 0
		.amdhsa_system_sgpr_workgroup_id_z 0
		.amdhsa_system_sgpr_workgroup_info 0
		.amdhsa_system_vgpr_workitem_id 0
		.amdhsa_next_free_vgpr 1
		.amdhsa_next_free_sgpr 0
		.amdhsa_accum_offset 4
		.amdhsa_reserve_vcc 0
		.amdhsa_float_round_mode_32 0
		.amdhsa_float_round_mode_16_64 0
		.amdhsa_float_denorm_mode_32 3
		.amdhsa_float_denorm_mode_16_64 3
		.amdhsa_dx10_clamp 1
		.amdhsa_ieee_mode 1
		.amdhsa_fp16_overflow 0
		.amdhsa_tg_split 0
		.amdhsa_exception_fp_ieee_invalid_op 0
		.amdhsa_exception_fp_denorm_src 0
		.amdhsa_exception_fp_ieee_div_zero 0
		.amdhsa_exception_fp_ieee_overflow 0
		.amdhsa_exception_fp_ieee_underflow 0
		.amdhsa_exception_fp_ieee_inexact 0
		.amdhsa_exception_int_div_zero 0
	.end_amdhsa_kernel
	.section	.text._ZN7rocprim17ROCPRIM_400000_NS6detail17trampoline_kernelINS0_14default_configENS1_38merge_sort_block_merge_config_selectorIttEEZZNS1_27merge_sort_block_merge_implIS3_N6thrust23THRUST_200600_302600_NS6detail15normal_iteratorINS8_10device_ptrItEEEESD_jNS1_19radix_merge_compareILb0ELb0EtNS0_19identity_decomposerEEEEE10hipError_tT0_T1_T2_jT3_P12ihipStream_tbPNSt15iterator_traitsISI_E10value_typeEPNSO_ISJ_E10value_typeEPSK_NS1_7vsmem_tEENKUlT_SI_SJ_SK_E_clIPtSD_S10_SD_EESH_SX_SI_SJ_SK_EUlSX_E0_NS1_11comp_targetILNS1_3genE8ELNS1_11target_archE1030ELNS1_3gpuE2ELNS1_3repE0EEENS1_38merge_mergepath_config_static_selectorELNS0_4arch9wavefront6targetE1EEEvSJ_,"axG",@progbits,_ZN7rocprim17ROCPRIM_400000_NS6detail17trampoline_kernelINS0_14default_configENS1_38merge_sort_block_merge_config_selectorIttEEZZNS1_27merge_sort_block_merge_implIS3_N6thrust23THRUST_200600_302600_NS6detail15normal_iteratorINS8_10device_ptrItEEEESD_jNS1_19radix_merge_compareILb0ELb0EtNS0_19identity_decomposerEEEEE10hipError_tT0_T1_T2_jT3_P12ihipStream_tbPNSt15iterator_traitsISI_E10value_typeEPNSO_ISJ_E10value_typeEPSK_NS1_7vsmem_tEENKUlT_SI_SJ_SK_E_clIPtSD_S10_SD_EESH_SX_SI_SJ_SK_EUlSX_E0_NS1_11comp_targetILNS1_3genE8ELNS1_11target_archE1030ELNS1_3gpuE2ELNS1_3repE0EEENS1_38merge_mergepath_config_static_selectorELNS0_4arch9wavefront6targetE1EEEvSJ_,comdat
.Lfunc_end857:
	.size	_ZN7rocprim17ROCPRIM_400000_NS6detail17trampoline_kernelINS0_14default_configENS1_38merge_sort_block_merge_config_selectorIttEEZZNS1_27merge_sort_block_merge_implIS3_N6thrust23THRUST_200600_302600_NS6detail15normal_iteratorINS8_10device_ptrItEEEESD_jNS1_19radix_merge_compareILb0ELb0EtNS0_19identity_decomposerEEEEE10hipError_tT0_T1_T2_jT3_P12ihipStream_tbPNSt15iterator_traitsISI_E10value_typeEPNSO_ISJ_E10value_typeEPSK_NS1_7vsmem_tEENKUlT_SI_SJ_SK_E_clIPtSD_S10_SD_EESH_SX_SI_SJ_SK_EUlSX_E0_NS1_11comp_targetILNS1_3genE8ELNS1_11target_archE1030ELNS1_3gpuE2ELNS1_3repE0EEENS1_38merge_mergepath_config_static_selectorELNS0_4arch9wavefront6targetE1EEEvSJ_, .Lfunc_end857-_ZN7rocprim17ROCPRIM_400000_NS6detail17trampoline_kernelINS0_14default_configENS1_38merge_sort_block_merge_config_selectorIttEEZZNS1_27merge_sort_block_merge_implIS3_N6thrust23THRUST_200600_302600_NS6detail15normal_iteratorINS8_10device_ptrItEEEESD_jNS1_19radix_merge_compareILb0ELb0EtNS0_19identity_decomposerEEEEE10hipError_tT0_T1_T2_jT3_P12ihipStream_tbPNSt15iterator_traitsISI_E10value_typeEPNSO_ISJ_E10value_typeEPSK_NS1_7vsmem_tEENKUlT_SI_SJ_SK_E_clIPtSD_S10_SD_EESH_SX_SI_SJ_SK_EUlSX_E0_NS1_11comp_targetILNS1_3genE8ELNS1_11target_archE1030ELNS1_3gpuE2ELNS1_3repE0EEENS1_38merge_mergepath_config_static_selectorELNS0_4arch9wavefront6targetE1EEEvSJ_
                                        ; -- End function
	.set _ZN7rocprim17ROCPRIM_400000_NS6detail17trampoline_kernelINS0_14default_configENS1_38merge_sort_block_merge_config_selectorIttEEZZNS1_27merge_sort_block_merge_implIS3_N6thrust23THRUST_200600_302600_NS6detail15normal_iteratorINS8_10device_ptrItEEEESD_jNS1_19radix_merge_compareILb0ELb0EtNS0_19identity_decomposerEEEEE10hipError_tT0_T1_T2_jT3_P12ihipStream_tbPNSt15iterator_traitsISI_E10value_typeEPNSO_ISJ_E10value_typeEPSK_NS1_7vsmem_tEENKUlT_SI_SJ_SK_E_clIPtSD_S10_SD_EESH_SX_SI_SJ_SK_EUlSX_E0_NS1_11comp_targetILNS1_3genE8ELNS1_11target_archE1030ELNS1_3gpuE2ELNS1_3repE0EEENS1_38merge_mergepath_config_static_selectorELNS0_4arch9wavefront6targetE1EEEvSJ_.num_vgpr, 0
	.set _ZN7rocprim17ROCPRIM_400000_NS6detail17trampoline_kernelINS0_14default_configENS1_38merge_sort_block_merge_config_selectorIttEEZZNS1_27merge_sort_block_merge_implIS3_N6thrust23THRUST_200600_302600_NS6detail15normal_iteratorINS8_10device_ptrItEEEESD_jNS1_19radix_merge_compareILb0ELb0EtNS0_19identity_decomposerEEEEE10hipError_tT0_T1_T2_jT3_P12ihipStream_tbPNSt15iterator_traitsISI_E10value_typeEPNSO_ISJ_E10value_typeEPSK_NS1_7vsmem_tEENKUlT_SI_SJ_SK_E_clIPtSD_S10_SD_EESH_SX_SI_SJ_SK_EUlSX_E0_NS1_11comp_targetILNS1_3genE8ELNS1_11target_archE1030ELNS1_3gpuE2ELNS1_3repE0EEENS1_38merge_mergepath_config_static_selectorELNS0_4arch9wavefront6targetE1EEEvSJ_.num_agpr, 0
	.set _ZN7rocprim17ROCPRIM_400000_NS6detail17trampoline_kernelINS0_14default_configENS1_38merge_sort_block_merge_config_selectorIttEEZZNS1_27merge_sort_block_merge_implIS3_N6thrust23THRUST_200600_302600_NS6detail15normal_iteratorINS8_10device_ptrItEEEESD_jNS1_19radix_merge_compareILb0ELb0EtNS0_19identity_decomposerEEEEE10hipError_tT0_T1_T2_jT3_P12ihipStream_tbPNSt15iterator_traitsISI_E10value_typeEPNSO_ISJ_E10value_typeEPSK_NS1_7vsmem_tEENKUlT_SI_SJ_SK_E_clIPtSD_S10_SD_EESH_SX_SI_SJ_SK_EUlSX_E0_NS1_11comp_targetILNS1_3genE8ELNS1_11target_archE1030ELNS1_3gpuE2ELNS1_3repE0EEENS1_38merge_mergepath_config_static_selectorELNS0_4arch9wavefront6targetE1EEEvSJ_.numbered_sgpr, 0
	.set _ZN7rocprim17ROCPRIM_400000_NS6detail17trampoline_kernelINS0_14default_configENS1_38merge_sort_block_merge_config_selectorIttEEZZNS1_27merge_sort_block_merge_implIS3_N6thrust23THRUST_200600_302600_NS6detail15normal_iteratorINS8_10device_ptrItEEEESD_jNS1_19radix_merge_compareILb0ELb0EtNS0_19identity_decomposerEEEEE10hipError_tT0_T1_T2_jT3_P12ihipStream_tbPNSt15iterator_traitsISI_E10value_typeEPNSO_ISJ_E10value_typeEPSK_NS1_7vsmem_tEENKUlT_SI_SJ_SK_E_clIPtSD_S10_SD_EESH_SX_SI_SJ_SK_EUlSX_E0_NS1_11comp_targetILNS1_3genE8ELNS1_11target_archE1030ELNS1_3gpuE2ELNS1_3repE0EEENS1_38merge_mergepath_config_static_selectorELNS0_4arch9wavefront6targetE1EEEvSJ_.num_named_barrier, 0
	.set _ZN7rocprim17ROCPRIM_400000_NS6detail17trampoline_kernelINS0_14default_configENS1_38merge_sort_block_merge_config_selectorIttEEZZNS1_27merge_sort_block_merge_implIS3_N6thrust23THRUST_200600_302600_NS6detail15normal_iteratorINS8_10device_ptrItEEEESD_jNS1_19radix_merge_compareILb0ELb0EtNS0_19identity_decomposerEEEEE10hipError_tT0_T1_T2_jT3_P12ihipStream_tbPNSt15iterator_traitsISI_E10value_typeEPNSO_ISJ_E10value_typeEPSK_NS1_7vsmem_tEENKUlT_SI_SJ_SK_E_clIPtSD_S10_SD_EESH_SX_SI_SJ_SK_EUlSX_E0_NS1_11comp_targetILNS1_3genE8ELNS1_11target_archE1030ELNS1_3gpuE2ELNS1_3repE0EEENS1_38merge_mergepath_config_static_selectorELNS0_4arch9wavefront6targetE1EEEvSJ_.private_seg_size, 0
	.set _ZN7rocprim17ROCPRIM_400000_NS6detail17trampoline_kernelINS0_14default_configENS1_38merge_sort_block_merge_config_selectorIttEEZZNS1_27merge_sort_block_merge_implIS3_N6thrust23THRUST_200600_302600_NS6detail15normal_iteratorINS8_10device_ptrItEEEESD_jNS1_19radix_merge_compareILb0ELb0EtNS0_19identity_decomposerEEEEE10hipError_tT0_T1_T2_jT3_P12ihipStream_tbPNSt15iterator_traitsISI_E10value_typeEPNSO_ISJ_E10value_typeEPSK_NS1_7vsmem_tEENKUlT_SI_SJ_SK_E_clIPtSD_S10_SD_EESH_SX_SI_SJ_SK_EUlSX_E0_NS1_11comp_targetILNS1_3genE8ELNS1_11target_archE1030ELNS1_3gpuE2ELNS1_3repE0EEENS1_38merge_mergepath_config_static_selectorELNS0_4arch9wavefront6targetE1EEEvSJ_.uses_vcc, 0
	.set _ZN7rocprim17ROCPRIM_400000_NS6detail17trampoline_kernelINS0_14default_configENS1_38merge_sort_block_merge_config_selectorIttEEZZNS1_27merge_sort_block_merge_implIS3_N6thrust23THRUST_200600_302600_NS6detail15normal_iteratorINS8_10device_ptrItEEEESD_jNS1_19radix_merge_compareILb0ELb0EtNS0_19identity_decomposerEEEEE10hipError_tT0_T1_T2_jT3_P12ihipStream_tbPNSt15iterator_traitsISI_E10value_typeEPNSO_ISJ_E10value_typeEPSK_NS1_7vsmem_tEENKUlT_SI_SJ_SK_E_clIPtSD_S10_SD_EESH_SX_SI_SJ_SK_EUlSX_E0_NS1_11comp_targetILNS1_3genE8ELNS1_11target_archE1030ELNS1_3gpuE2ELNS1_3repE0EEENS1_38merge_mergepath_config_static_selectorELNS0_4arch9wavefront6targetE1EEEvSJ_.uses_flat_scratch, 0
	.set _ZN7rocprim17ROCPRIM_400000_NS6detail17trampoline_kernelINS0_14default_configENS1_38merge_sort_block_merge_config_selectorIttEEZZNS1_27merge_sort_block_merge_implIS3_N6thrust23THRUST_200600_302600_NS6detail15normal_iteratorINS8_10device_ptrItEEEESD_jNS1_19radix_merge_compareILb0ELb0EtNS0_19identity_decomposerEEEEE10hipError_tT0_T1_T2_jT3_P12ihipStream_tbPNSt15iterator_traitsISI_E10value_typeEPNSO_ISJ_E10value_typeEPSK_NS1_7vsmem_tEENKUlT_SI_SJ_SK_E_clIPtSD_S10_SD_EESH_SX_SI_SJ_SK_EUlSX_E0_NS1_11comp_targetILNS1_3genE8ELNS1_11target_archE1030ELNS1_3gpuE2ELNS1_3repE0EEENS1_38merge_mergepath_config_static_selectorELNS0_4arch9wavefront6targetE1EEEvSJ_.has_dyn_sized_stack, 0
	.set _ZN7rocprim17ROCPRIM_400000_NS6detail17trampoline_kernelINS0_14default_configENS1_38merge_sort_block_merge_config_selectorIttEEZZNS1_27merge_sort_block_merge_implIS3_N6thrust23THRUST_200600_302600_NS6detail15normal_iteratorINS8_10device_ptrItEEEESD_jNS1_19radix_merge_compareILb0ELb0EtNS0_19identity_decomposerEEEEE10hipError_tT0_T1_T2_jT3_P12ihipStream_tbPNSt15iterator_traitsISI_E10value_typeEPNSO_ISJ_E10value_typeEPSK_NS1_7vsmem_tEENKUlT_SI_SJ_SK_E_clIPtSD_S10_SD_EESH_SX_SI_SJ_SK_EUlSX_E0_NS1_11comp_targetILNS1_3genE8ELNS1_11target_archE1030ELNS1_3gpuE2ELNS1_3repE0EEENS1_38merge_mergepath_config_static_selectorELNS0_4arch9wavefront6targetE1EEEvSJ_.has_recursion, 0
	.set _ZN7rocprim17ROCPRIM_400000_NS6detail17trampoline_kernelINS0_14default_configENS1_38merge_sort_block_merge_config_selectorIttEEZZNS1_27merge_sort_block_merge_implIS3_N6thrust23THRUST_200600_302600_NS6detail15normal_iteratorINS8_10device_ptrItEEEESD_jNS1_19radix_merge_compareILb0ELb0EtNS0_19identity_decomposerEEEEE10hipError_tT0_T1_T2_jT3_P12ihipStream_tbPNSt15iterator_traitsISI_E10value_typeEPNSO_ISJ_E10value_typeEPSK_NS1_7vsmem_tEENKUlT_SI_SJ_SK_E_clIPtSD_S10_SD_EESH_SX_SI_SJ_SK_EUlSX_E0_NS1_11comp_targetILNS1_3genE8ELNS1_11target_archE1030ELNS1_3gpuE2ELNS1_3repE0EEENS1_38merge_mergepath_config_static_selectorELNS0_4arch9wavefront6targetE1EEEvSJ_.has_indirect_call, 0
	.section	.AMDGPU.csdata,"",@progbits
; Kernel info:
; codeLenInByte = 0
; TotalNumSgprs: 6
; NumVgprs: 0
; NumAgprs: 0
; TotalNumVgprs: 0
; ScratchSize: 0
; MemoryBound: 0
; FloatMode: 240
; IeeeMode: 1
; LDSByteSize: 0 bytes/workgroup (compile time only)
; SGPRBlocks: 0
; VGPRBlocks: 0
; NumSGPRsForWavesPerEU: 6
; NumVGPRsForWavesPerEU: 1
; AccumOffset: 4
; Occupancy: 8
; WaveLimiterHint : 0
; COMPUTE_PGM_RSRC2:SCRATCH_EN: 0
; COMPUTE_PGM_RSRC2:USER_SGPR: 2
; COMPUTE_PGM_RSRC2:TRAP_HANDLER: 0
; COMPUTE_PGM_RSRC2:TGID_X_EN: 1
; COMPUTE_PGM_RSRC2:TGID_Y_EN: 0
; COMPUTE_PGM_RSRC2:TGID_Z_EN: 0
; COMPUTE_PGM_RSRC2:TIDIG_COMP_CNT: 0
; COMPUTE_PGM_RSRC3_GFX90A:ACCUM_OFFSET: 0
; COMPUTE_PGM_RSRC3_GFX90A:TG_SPLIT: 0
	.section	.text._ZN7rocprim17ROCPRIM_400000_NS6detail17trampoline_kernelINS0_14default_configENS1_38merge_sort_block_merge_config_selectorIttEEZZNS1_27merge_sort_block_merge_implIS3_N6thrust23THRUST_200600_302600_NS6detail15normal_iteratorINS8_10device_ptrItEEEESD_jNS1_19radix_merge_compareILb0ELb0EtNS0_19identity_decomposerEEEEE10hipError_tT0_T1_T2_jT3_P12ihipStream_tbPNSt15iterator_traitsISI_E10value_typeEPNSO_ISJ_E10value_typeEPSK_NS1_7vsmem_tEENKUlT_SI_SJ_SK_E_clIPtSD_S10_SD_EESH_SX_SI_SJ_SK_EUlSX_E1_NS1_11comp_targetILNS1_3genE0ELNS1_11target_archE4294967295ELNS1_3gpuE0ELNS1_3repE0EEENS1_36merge_oddeven_config_static_selectorELNS0_4arch9wavefront6targetE1EEEvSJ_,"axG",@progbits,_ZN7rocprim17ROCPRIM_400000_NS6detail17trampoline_kernelINS0_14default_configENS1_38merge_sort_block_merge_config_selectorIttEEZZNS1_27merge_sort_block_merge_implIS3_N6thrust23THRUST_200600_302600_NS6detail15normal_iteratorINS8_10device_ptrItEEEESD_jNS1_19radix_merge_compareILb0ELb0EtNS0_19identity_decomposerEEEEE10hipError_tT0_T1_T2_jT3_P12ihipStream_tbPNSt15iterator_traitsISI_E10value_typeEPNSO_ISJ_E10value_typeEPSK_NS1_7vsmem_tEENKUlT_SI_SJ_SK_E_clIPtSD_S10_SD_EESH_SX_SI_SJ_SK_EUlSX_E1_NS1_11comp_targetILNS1_3genE0ELNS1_11target_archE4294967295ELNS1_3gpuE0ELNS1_3repE0EEENS1_36merge_oddeven_config_static_selectorELNS0_4arch9wavefront6targetE1EEEvSJ_,comdat
	.protected	_ZN7rocprim17ROCPRIM_400000_NS6detail17trampoline_kernelINS0_14default_configENS1_38merge_sort_block_merge_config_selectorIttEEZZNS1_27merge_sort_block_merge_implIS3_N6thrust23THRUST_200600_302600_NS6detail15normal_iteratorINS8_10device_ptrItEEEESD_jNS1_19radix_merge_compareILb0ELb0EtNS0_19identity_decomposerEEEEE10hipError_tT0_T1_T2_jT3_P12ihipStream_tbPNSt15iterator_traitsISI_E10value_typeEPNSO_ISJ_E10value_typeEPSK_NS1_7vsmem_tEENKUlT_SI_SJ_SK_E_clIPtSD_S10_SD_EESH_SX_SI_SJ_SK_EUlSX_E1_NS1_11comp_targetILNS1_3genE0ELNS1_11target_archE4294967295ELNS1_3gpuE0ELNS1_3repE0EEENS1_36merge_oddeven_config_static_selectorELNS0_4arch9wavefront6targetE1EEEvSJ_ ; -- Begin function _ZN7rocprim17ROCPRIM_400000_NS6detail17trampoline_kernelINS0_14default_configENS1_38merge_sort_block_merge_config_selectorIttEEZZNS1_27merge_sort_block_merge_implIS3_N6thrust23THRUST_200600_302600_NS6detail15normal_iteratorINS8_10device_ptrItEEEESD_jNS1_19radix_merge_compareILb0ELb0EtNS0_19identity_decomposerEEEEE10hipError_tT0_T1_T2_jT3_P12ihipStream_tbPNSt15iterator_traitsISI_E10value_typeEPNSO_ISJ_E10value_typeEPSK_NS1_7vsmem_tEENKUlT_SI_SJ_SK_E_clIPtSD_S10_SD_EESH_SX_SI_SJ_SK_EUlSX_E1_NS1_11comp_targetILNS1_3genE0ELNS1_11target_archE4294967295ELNS1_3gpuE0ELNS1_3repE0EEENS1_36merge_oddeven_config_static_selectorELNS0_4arch9wavefront6targetE1EEEvSJ_
	.globl	_ZN7rocprim17ROCPRIM_400000_NS6detail17trampoline_kernelINS0_14default_configENS1_38merge_sort_block_merge_config_selectorIttEEZZNS1_27merge_sort_block_merge_implIS3_N6thrust23THRUST_200600_302600_NS6detail15normal_iteratorINS8_10device_ptrItEEEESD_jNS1_19radix_merge_compareILb0ELb0EtNS0_19identity_decomposerEEEEE10hipError_tT0_T1_T2_jT3_P12ihipStream_tbPNSt15iterator_traitsISI_E10value_typeEPNSO_ISJ_E10value_typeEPSK_NS1_7vsmem_tEENKUlT_SI_SJ_SK_E_clIPtSD_S10_SD_EESH_SX_SI_SJ_SK_EUlSX_E1_NS1_11comp_targetILNS1_3genE0ELNS1_11target_archE4294967295ELNS1_3gpuE0ELNS1_3repE0EEENS1_36merge_oddeven_config_static_selectorELNS0_4arch9wavefront6targetE1EEEvSJ_
	.p2align	8
	.type	_ZN7rocprim17ROCPRIM_400000_NS6detail17trampoline_kernelINS0_14default_configENS1_38merge_sort_block_merge_config_selectorIttEEZZNS1_27merge_sort_block_merge_implIS3_N6thrust23THRUST_200600_302600_NS6detail15normal_iteratorINS8_10device_ptrItEEEESD_jNS1_19radix_merge_compareILb0ELb0EtNS0_19identity_decomposerEEEEE10hipError_tT0_T1_T2_jT3_P12ihipStream_tbPNSt15iterator_traitsISI_E10value_typeEPNSO_ISJ_E10value_typeEPSK_NS1_7vsmem_tEENKUlT_SI_SJ_SK_E_clIPtSD_S10_SD_EESH_SX_SI_SJ_SK_EUlSX_E1_NS1_11comp_targetILNS1_3genE0ELNS1_11target_archE4294967295ELNS1_3gpuE0ELNS1_3repE0EEENS1_36merge_oddeven_config_static_selectorELNS0_4arch9wavefront6targetE1EEEvSJ_,@function
_ZN7rocprim17ROCPRIM_400000_NS6detail17trampoline_kernelINS0_14default_configENS1_38merge_sort_block_merge_config_selectorIttEEZZNS1_27merge_sort_block_merge_implIS3_N6thrust23THRUST_200600_302600_NS6detail15normal_iteratorINS8_10device_ptrItEEEESD_jNS1_19radix_merge_compareILb0ELb0EtNS0_19identity_decomposerEEEEE10hipError_tT0_T1_T2_jT3_P12ihipStream_tbPNSt15iterator_traitsISI_E10value_typeEPNSO_ISJ_E10value_typeEPSK_NS1_7vsmem_tEENKUlT_SI_SJ_SK_E_clIPtSD_S10_SD_EESH_SX_SI_SJ_SK_EUlSX_E1_NS1_11comp_targetILNS1_3genE0ELNS1_11target_archE4294967295ELNS1_3gpuE0ELNS1_3repE0EEENS1_36merge_oddeven_config_static_selectorELNS0_4arch9wavefront6targetE1EEEvSJ_: ; @_ZN7rocprim17ROCPRIM_400000_NS6detail17trampoline_kernelINS0_14default_configENS1_38merge_sort_block_merge_config_selectorIttEEZZNS1_27merge_sort_block_merge_implIS3_N6thrust23THRUST_200600_302600_NS6detail15normal_iteratorINS8_10device_ptrItEEEESD_jNS1_19radix_merge_compareILb0ELb0EtNS0_19identity_decomposerEEEEE10hipError_tT0_T1_T2_jT3_P12ihipStream_tbPNSt15iterator_traitsISI_E10value_typeEPNSO_ISJ_E10value_typeEPSK_NS1_7vsmem_tEENKUlT_SI_SJ_SK_E_clIPtSD_S10_SD_EESH_SX_SI_SJ_SK_EUlSX_E1_NS1_11comp_targetILNS1_3genE0ELNS1_11target_archE4294967295ELNS1_3gpuE0ELNS1_3repE0EEENS1_36merge_oddeven_config_static_selectorELNS0_4arch9wavefront6targetE1EEEvSJ_
; %bb.0:
	s_load_dword s18, s[0:1], 0x20
	s_waitcnt lgkmcnt(0)
	s_lshr_b32 s3, s18, 8
	s_cmp_eq_u32 s2, s3
	s_cselect_b64 s[6:7], -1, 0
	s_cmp_lg_u32 s2, s3
	s_cselect_b64 s[8:9], -1, 0
	s_lshl_b32 s16, s2, 8
	s_sub_i32 s3, s18, s16
	v_cmp_gt_u32_e64 s[4:5], s3, v0
	s_or_b64 s[8:9], s[8:9], s[4:5]
	s_and_saveexec_b64 s[10:11], s[8:9]
	s_cbranch_execz .LBB858_24
; %bb.1:
	s_load_dwordx8 s[8:15], s[0:1], 0x0
	s_mov_b32 s17, 0
	s_lshl_b64 s[20:21], s[16:17], 1
	v_lshlrev_b32_e32 v1, 1, v0
	s_load_dword s17, s[0:1], 0x24
	s_waitcnt lgkmcnt(0)
	s_add_u32 s22, s8, s20
	s_addc_u32 s23, s9, s21
	s_add_u32 s12, s12, s20
	s_addc_u32 s13, s13, s21
	global_load_ushort v2, v1, s[12:13]
	global_load_ushort v3, v1, s[22:23]
	s_lshr_b32 s0, s17, 8
	s_sub_i32 s1, 0, s0
	s_and_b32 s1, s2, s1
	s_and_b32 s0, s1, s0
	s_lshl_b32 s19, s1, 8
	s_sub_i32 s12, 0, s17
	s_cmp_eq_u32 s0, 0
	s_cselect_b64 s[0:1], -1, 0
	s_and_b64 s[2:3], s[0:1], exec
	s_cselect_b32 s12, s17, s12
	s_add_i32 s12, s12, s19
	s_mov_b64 s[2:3], -1
	s_cmp_gt_u32 s18, s12
	v_add_u32_e32 v0, s16, v0
	s_cbranch_scc1 .LBB858_9
; %bb.2:
	s_and_b64 vcc, exec, s[6:7]
	s_cbranch_vccz .LBB858_6
; %bb.3:
	v_cmp_gt_u32_e32 vcc, s18, v0
	s_and_saveexec_b64 s[2:3], vcc
	s_cbranch_execz .LBB858_5
; %bb.4:
	v_mov_b32_e32 v1, 0
	v_lshlrev_b64 v[4:5], 1, v[0:1]
	v_lshl_add_u64 v[6:7], s[10:11], 0, v[4:5]
	v_lshl_add_u64 v[4:5], s[14:15], 0, v[4:5]
	s_waitcnt vmcnt(0)
	global_store_short v[6:7], v3, off
	global_store_short v[4:5], v2, off
.LBB858_5:
	s_or_b64 exec, exec, s[2:3]
	s_mov_b64 s[2:3], 0
.LBB858_6:
	s_andn2_b64 vcc, exec, s[2:3]
	s_cbranch_vccnz .LBB858_8
; %bb.7:
	v_mov_b32_e32 v1, 0
	v_lshlrev_b64 v[4:5], 1, v[0:1]
	v_lshl_add_u64 v[6:7], s[10:11], 0, v[4:5]
	v_lshl_add_u64 v[4:5], s[14:15], 0, v[4:5]
	s_waitcnt vmcnt(0)
	global_store_short v[6:7], v3, off
	global_store_short v[4:5], v2, off
.LBB858_8:
	s_mov_b64 s[2:3], 0
.LBB858_9:
	s_andn2_b64 vcc, exec, s[2:3]
	s_cbranch_vccnz .LBB858_24
; %bb.10:
	s_min_u32 s13, s12, s18
	s_add_i32 s2, s13, s17
	s_min_u32 s16, s2, s18
	s_min_u32 s2, s19, s13
	s_add_i32 s19, s19, s13
	v_subrev_u32_e32 v0, s19, v0
	v_add_u32_e32 v0, s2, v0
	s_andn2_b64 vcc, exec, s[6:7]
	s_mov_b64 s[2:3], -1
	s_cbranch_vccnz .LBB858_18
; %bb.11:
	s_and_saveexec_b64 s[2:3], s[4:5]
	s_cbranch_execz .LBB858_17
; %bb.12:
	s_cmp_ge_u32 s12, s16
	v_mov_b32_e32 v1, s13
	s_cbranch_scc1 .LBB858_16
; %bb.13:
	s_mov_b64 s[4:5], 0
	v_mov_b32_e32 v4, s16
	v_mov_b32_e32 v1, s13
.LBB858_14:                             ; =>This Inner Loop Header: Depth=1
	v_add_u32_e32 v5, v1, v4
	v_and_b32_e32 v6, -2, v5
	global_load_ushort v6, v6, s[8:9]
	v_lshrrev_b32_e32 v5, 1, v5
	v_add_u32_e32 v7, 1, v5
	s_waitcnt vmcnt(0)
	v_cmp_gt_u16_e32 vcc, v3, v6
	s_nop 1
	v_cndmask_b32_e64 v8, 0, 1, vcc
	v_cmp_le_u16_e32 vcc, v6, v3
	s_nop 1
	v_cndmask_b32_e64 v6, 0, 1, vcc
	v_cndmask_b32_e64 v6, v6, v8, s[0:1]
	v_and_b32_e32 v6, 1, v6
	v_cmp_eq_u32_e32 vcc, 1, v6
	s_nop 1
	v_cndmask_b32_e32 v4, v5, v4, vcc
	v_cndmask_b32_e32 v1, v1, v7, vcc
	v_cmp_ge_u32_e32 vcc, v1, v4
	s_or_b64 s[4:5], vcc, s[4:5]
	s_andn2_b64 exec, exec, s[4:5]
	s_cbranch_execnz .LBB858_14
; %bb.15:
	s_or_b64 exec, exec, s[4:5]
.LBB858_16:
	v_add_u32_e32 v4, v1, v0
	v_mov_b32_e32 v5, 0
	v_lshlrev_b64 v[4:5], 1, v[4:5]
	v_lshl_add_u64 v[6:7], s[10:11], 0, v[4:5]
	v_lshl_add_u64 v[4:5], s[14:15], 0, v[4:5]
	s_waitcnt vmcnt(0)
	global_store_short v[6:7], v3, off
	global_store_short v[4:5], v2, off
.LBB858_17:
	s_or_b64 exec, exec, s[2:3]
	s_mov_b64 s[2:3], 0
.LBB858_18:
	s_andn2_b64 vcc, exec, s[2:3]
	s_cbranch_vccnz .LBB858_24
; %bb.19:
	s_cmp_ge_u32 s12, s16
	v_mov_b32_e32 v1, s13
	s_cbranch_scc1 .LBB858_23
; %bb.20:
	s_mov_b64 s[2:3], 0
	v_mov_b32_e32 v4, s16
	v_mov_b32_e32 v1, s13
.LBB858_21:                             ; =>This Inner Loop Header: Depth=1
	v_add_u32_e32 v5, v1, v4
	v_and_b32_e32 v6, -2, v5
	global_load_ushort v6, v6, s[8:9]
	v_lshrrev_b32_e32 v5, 1, v5
	v_add_u32_e32 v7, 1, v5
	s_waitcnt vmcnt(0)
	v_cmp_gt_u16_e32 vcc, v3, v6
	s_nop 1
	v_cndmask_b32_e64 v8, 0, 1, vcc
	v_cmp_le_u16_e32 vcc, v6, v3
	s_nop 1
	v_cndmask_b32_e64 v6, 0, 1, vcc
	v_cndmask_b32_e64 v6, v6, v8, s[0:1]
	v_and_b32_e32 v6, 1, v6
	v_cmp_eq_u32_e32 vcc, 1, v6
	s_nop 1
	v_cndmask_b32_e32 v4, v5, v4, vcc
	v_cndmask_b32_e32 v1, v1, v7, vcc
	v_cmp_ge_u32_e32 vcc, v1, v4
	s_or_b64 s[2:3], vcc, s[2:3]
	s_andn2_b64 exec, exec, s[2:3]
	s_cbranch_execnz .LBB858_21
; %bb.22:
	s_or_b64 exec, exec, s[2:3]
.LBB858_23:
	v_add_u32_e32 v0, v1, v0
	v_mov_b32_e32 v1, 0
	v_lshlrev_b64 v[0:1], 1, v[0:1]
	v_lshl_add_u64 v[4:5], s[10:11], 0, v[0:1]
	v_lshl_add_u64 v[0:1], s[14:15], 0, v[0:1]
	s_waitcnt vmcnt(0)
	global_store_short v[4:5], v3, off
	global_store_short v[0:1], v2, off
.LBB858_24:
	s_endpgm
	.section	.rodata,"a",@progbits
	.p2align	6, 0x0
	.amdhsa_kernel _ZN7rocprim17ROCPRIM_400000_NS6detail17trampoline_kernelINS0_14default_configENS1_38merge_sort_block_merge_config_selectorIttEEZZNS1_27merge_sort_block_merge_implIS3_N6thrust23THRUST_200600_302600_NS6detail15normal_iteratorINS8_10device_ptrItEEEESD_jNS1_19radix_merge_compareILb0ELb0EtNS0_19identity_decomposerEEEEE10hipError_tT0_T1_T2_jT3_P12ihipStream_tbPNSt15iterator_traitsISI_E10value_typeEPNSO_ISJ_E10value_typeEPSK_NS1_7vsmem_tEENKUlT_SI_SJ_SK_E_clIPtSD_S10_SD_EESH_SX_SI_SJ_SK_EUlSX_E1_NS1_11comp_targetILNS1_3genE0ELNS1_11target_archE4294967295ELNS1_3gpuE0ELNS1_3repE0EEENS1_36merge_oddeven_config_static_selectorELNS0_4arch9wavefront6targetE1EEEvSJ_
		.amdhsa_group_segment_fixed_size 0
		.amdhsa_private_segment_fixed_size 0
		.amdhsa_kernarg_size 48
		.amdhsa_user_sgpr_count 2
		.amdhsa_user_sgpr_dispatch_ptr 0
		.amdhsa_user_sgpr_queue_ptr 0
		.amdhsa_user_sgpr_kernarg_segment_ptr 1
		.amdhsa_user_sgpr_dispatch_id 0
		.amdhsa_user_sgpr_kernarg_preload_length 0
		.amdhsa_user_sgpr_kernarg_preload_offset 0
		.amdhsa_user_sgpr_private_segment_size 0
		.amdhsa_uses_dynamic_stack 0
		.amdhsa_enable_private_segment 0
		.amdhsa_system_sgpr_workgroup_id_x 1
		.amdhsa_system_sgpr_workgroup_id_y 0
		.amdhsa_system_sgpr_workgroup_id_z 0
		.amdhsa_system_sgpr_workgroup_info 0
		.amdhsa_system_vgpr_workitem_id 0
		.amdhsa_next_free_vgpr 9
		.amdhsa_next_free_sgpr 24
		.amdhsa_accum_offset 12
		.amdhsa_reserve_vcc 1
		.amdhsa_float_round_mode_32 0
		.amdhsa_float_round_mode_16_64 0
		.amdhsa_float_denorm_mode_32 3
		.amdhsa_float_denorm_mode_16_64 3
		.amdhsa_dx10_clamp 1
		.amdhsa_ieee_mode 1
		.amdhsa_fp16_overflow 0
		.amdhsa_tg_split 0
		.amdhsa_exception_fp_ieee_invalid_op 0
		.amdhsa_exception_fp_denorm_src 0
		.amdhsa_exception_fp_ieee_div_zero 0
		.amdhsa_exception_fp_ieee_overflow 0
		.amdhsa_exception_fp_ieee_underflow 0
		.amdhsa_exception_fp_ieee_inexact 0
		.amdhsa_exception_int_div_zero 0
	.end_amdhsa_kernel
	.section	.text._ZN7rocprim17ROCPRIM_400000_NS6detail17trampoline_kernelINS0_14default_configENS1_38merge_sort_block_merge_config_selectorIttEEZZNS1_27merge_sort_block_merge_implIS3_N6thrust23THRUST_200600_302600_NS6detail15normal_iteratorINS8_10device_ptrItEEEESD_jNS1_19radix_merge_compareILb0ELb0EtNS0_19identity_decomposerEEEEE10hipError_tT0_T1_T2_jT3_P12ihipStream_tbPNSt15iterator_traitsISI_E10value_typeEPNSO_ISJ_E10value_typeEPSK_NS1_7vsmem_tEENKUlT_SI_SJ_SK_E_clIPtSD_S10_SD_EESH_SX_SI_SJ_SK_EUlSX_E1_NS1_11comp_targetILNS1_3genE0ELNS1_11target_archE4294967295ELNS1_3gpuE0ELNS1_3repE0EEENS1_36merge_oddeven_config_static_selectorELNS0_4arch9wavefront6targetE1EEEvSJ_,"axG",@progbits,_ZN7rocprim17ROCPRIM_400000_NS6detail17trampoline_kernelINS0_14default_configENS1_38merge_sort_block_merge_config_selectorIttEEZZNS1_27merge_sort_block_merge_implIS3_N6thrust23THRUST_200600_302600_NS6detail15normal_iteratorINS8_10device_ptrItEEEESD_jNS1_19radix_merge_compareILb0ELb0EtNS0_19identity_decomposerEEEEE10hipError_tT0_T1_T2_jT3_P12ihipStream_tbPNSt15iterator_traitsISI_E10value_typeEPNSO_ISJ_E10value_typeEPSK_NS1_7vsmem_tEENKUlT_SI_SJ_SK_E_clIPtSD_S10_SD_EESH_SX_SI_SJ_SK_EUlSX_E1_NS1_11comp_targetILNS1_3genE0ELNS1_11target_archE4294967295ELNS1_3gpuE0ELNS1_3repE0EEENS1_36merge_oddeven_config_static_selectorELNS0_4arch9wavefront6targetE1EEEvSJ_,comdat
.Lfunc_end858:
	.size	_ZN7rocprim17ROCPRIM_400000_NS6detail17trampoline_kernelINS0_14default_configENS1_38merge_sort_block_merge_config_selectorIttEEZZNS1_27merge_sort_block_merge_implIS3_N6thrust23THRUST_200600_302600_NS6detail15normal_iteratorINS8_10device_ptrItEEEESD_jNS1_19radix_merge_compareILb0ELb0EtNS0_19identity_decomposerEEEEE10hipError_tT0_T1_T2_jT3_P12ihipStream_tbPNSt15iterator_traitsISI_E10value_typeEPNSO_ISJ_E10value_typeEPSK_NS1_7vsmem_tEENKUlT_SI_SJ_SK_E_clIPtSD_S10_SD_EESH_SX_SI_SJ_SK_EUlSX_E1_NS1_11comp_targetILNS1_3genE0ELNS1_11target_archE4294967295ELNS1_3gpuE0ELNS1_3repE0EEENS1_36merge_oddeven_config_static_selectorELNS0_4arch9wavefront6targetE1EEEvSJ_, .Lfunc_end858-_ZN7rocprim17ROCPRIM_400000_NS6detail17trampoline_kernelINS0_14default_configENS1_38merge_sort_block_merge_config_selectorIttEEZZNS1_27merge_sort_block_merge_implIS3_N6thrust23THRUST_200600_302600_NS6detail15normal_iteratorINS8_10device_ptrItEEEESD_jNS1_19radix_merge_compareILb0ELb0EtNS0_19identity_decomposerEEEEE10hipError_tT0_T1_T2_jT3_P12ihipStream_tbPNSt15iterator_traitsISI_E10value_typeEPNSO_ISJ_E10value_typeEPSK_NS1_7vsmem_tEENKUlT_SI_SJ_SK_E_clIPtSD_S10_SD_EESH_SX_SI_SJ_SK_EUlSX_E1_NS1_11comp_targetILNS1_3genE0ELNS1_11target_archE4294967295ELNS1_3gpuE0ELNS1_3repE0EEENS1_36merge_oddeven_config_static_selectorELNS0_4arch9wavefront6targetE1EEEvSJ_
                                        ; -- End function
	.set _ZN7rocprim17ROCPRIM_400000_NS6detail17trampoline_kernelINS0_14default_configENS1_38merge_sort_block_merge_config_selectorIttEEZZNS1_27merge_sort_block_merge_implIS3_N6thrust23THRUST_200600_302600_NS6detail15normal_iteratorINS8_10device_ptrItEEEESD_jNS1_19radix_merge_compareILb0ELb0EtNS0_19identity_decomposerEEEEE10hipError_tT0_T1_T2_jT3_P12ihipStream_tbPNSt15iterator_traitsISI_E10value_typeEPNSO_ISJ_E10value_typeEPSK_NS1_7vsmem_tEENKUlT_SI_SJ_SK_E_clIPtSD_S10_SD_EESH_SX_SI_SJ_SK_EUlSX_E1_NS1_11comp_targetILNS1_3genE0ELNS1_11target_archE4294967295ELNS1_3gpuE0ELNS1_3repE0EEENS1_36merge_oddeven_config_static_selectorELNS0_4arch9wavefront6targetE1EEEvSJ_.num_vgpr, 9
	.set _ZN7rocprim17ROCPRIM_400000_NS6detail17trampoline_kernelINS0_14default_configENS1_38merge_sort_block_merge_config_selectorIttEEZZNS1_27merge_sort_block_merge_implIS3_N6thrust23THRUST_200600_302600_NS6detail15normal_iteratorINS8_10device_ptrItEEEESD_jNS1_19radix_merge_compareILb0ELb0EtNS0_19identity_decomposerEEEEE10hipError_tT0_T1_T2_jT3_P12ihipStream_tbPNSt15iterator_traitsISI_E10value_typeEPNSO_ISJ_E10value_typeEPSK_NS1_7vsmem_tEENKUlT_SI_SJ_SK_E_clIPtSD_S10_SD_EESH_SX_SI_SJ_SK_EUlSX_E1_NS1_11comp_targetILNS1_3genE0ELNS1_11target_archE4294967295ELNS1_3gpuE0ELNS1_3repE0EEENS1_36merge_oddeven_config_static_selectorELNS0_4arch9wavefront6targetE1EEEvSJ_.num_agpr, 0
	.set _ZN7rocprim17ROCPRIM_400000_NS6detail17trampoline_kernelINS0_14default_configENS1_38merge_sort_block_merge_config_selectorIttEEZZNS1_27merge_sort_block_merge_implIS3_N6thrust23THRUST_200600_302600_NS6detail15normal_iteratorINS8_10device_ptrItEEEESD_jNS1_19radix_merge_compareILb0ELb0EtNS0_19identity_decomposerEEEEE10hipError_tT0_T1_T2_jT3_P12ihipStream_tbPNSt15iterator_traitsISI_E10value_typeEPNSO_ISJ_E10value_typeEPSK_NS1_7vsmem_tEENKUlT_SI_SJ_SK_E_clIPtSD_S10_SD_EESH_SX_SI_SJ_SK_EUlSX_E1_NS1_11comp_targetILNS1_3genE0ELNS1_11target_archE4294967295ELNS1_3gpuE0ELNS1_3repE0EEENS1_36merge_oddeven_config_static_selectorELNS0_4arch9wavefront6targetE1EEEvSJ_.numbered_sgpr, 24
	.set _ZN7rocprim17ROCPRIM_400000_NS6detail17trampoline_kernelINS0_14default_configENS1_38merge_sort_block_merge_config_selectorIttEEZZNS1_27merge_sort_block_merge_implIS3_N6thrust23THRUST_200600_302600_NS6detail15normal_iteratorINS8_10device_ptrItEEEESD_jNS1_19radix_merge_compareILb0ELb0EtNS0_19identity_decomposerEEEEE10hipError_tT0_T1_T2_jT3_P12ihipStream_tbPNSt15iterator_traitsISI_E10value_typeEPNSO_ISJ_E10value_typeEPSK_NS1_7vsmem_tEENKUlT_SI_SJ_SK_E_clIPtSD_S10_SD_EESH_SX_SI_SJ_SK_EUlSX_E1_NS1_11comp_targetILNS1_3genE0ELNS1_11target_archE4294967295ELNS1_3gpuE0ELNS1_3repE0EEENS1_36merge_oddeven_config_static_selectorELNS0_4arch9wavefront6targetE1EEEvSJ_.num_named_barrier, 0
	.set _ZN7rocprim17ROCPRIM_400000_NS6detail17trampoline_kernelINS0_14default_configENS1_38merge_sort_block_merge_config_selectorIttEEZZNS1_27merge_sort_block_merge_implIS3_N6thrust23THRUST_200600_302600_NS6detail15normal_iteratorINS8_10device_ptrItEEEESD_jNS1_19radix_merge_compareILb0ELb0EtNS0_19identity_decomposerEEEEE10hipError_tT0_T1_T2_jT3_P12ihipStream_tbPNSt15iterator_traitsISI_E10value_typeEPNSO_ISJ_E10value_typeEPSK_NS1_7vsmem_tEENKUlT_SI_SJ_SK_E_clIPtSD_S10_SD_EESH_SX_SI_SJ_SK_EUlSX_E1_NS1_11comp_targetILNS1_3genE0ELNS1_11target_archE4294967295ELNS1_3gpuE0ELNS1_3repE0EEENS1_36merge_oddeven_config_static_selectorELNS0_4arch9wavefront6targetE1EEEvSJ_.private_seg_size, 0
	.set _ZN7rocprim17ROCPRIM_400000_NS6detail17trampoline_kernelINS0_14default_configENS1_38merge_sort_block_merge_config_selectorIttEEZZNS1_27merge_sort_block_merge_implIS3_N6thrust23THRUST_200600_302600_NS6detail15normal_iteratorINS8_10device_ptrItEEEESD_jNS1_19radix_merge_compareILb0ELb0EtNS0_19identity_decomposerEEEEE10hipError_tT0_T1_T2_jT3_P12ihipStream_tbPNSt15iterator_traitsISI_E10value_typeEPNSO_ISJ_E10value_typeEPSK_NS1_7vsmem_tEENKUlT_SI_SJ_SK_E_clIPtSD_S10_SD_EESH_SX_SI_SJ_SK_EUlSX_E1_NS1_11comp_targetILNS1_3genE0ELNS1_11target_archE4294967295ELNS1_3gpuE0ELNS1_3repE0EEENS1_36merge_oddeven_config_static_selectorELNS0_4arch9wavefront6targetE1EEEvSJ_.uses_vcc, 1
	.set _ZN7rocprim17ROCPRIM_400000_NS6detail17trampoline_kernelINS0_14default_configENS1_38merge_sort_block_merge_config_selectorIttEEZZNS1_27merge_sort_block_merge_implIS3_N6thrust23THRUST_200600_302600_NS6detail15normal_iteratorINS8_10device_ptrItEEEESD_jNS1_19radix_merge_compareILb0ELb0EtNS0_19identity_decomposerEEEEE10hipError_tT0_T1_T2_jT3_P12ihipStream_tbPNSt15iterator_traitsISI_E10value_typeEPNSO_ISJ_E10value_typeEPSK_NS1_7vsmem_tEENKUlT_SI_SJ_SK_E_clIPtSD_S10_SD_EESH_SX_SI_SJ_SK_EUlSX_E1_NS1_11comp_targetILNS1_3genE0ELNS1_11target_archE4294967295ELNS1_3gpuE0ELNS1_3repE0EEENS1_36merge_oddeven_config_static_selectorELNS0_4arch9wavefront6targetE1EEEvSJ_.uses_flat_scratch, 0
	.set _ZN7rocprim17ROCPRIM_400000_NS6detail17trampoline_kernelINS0_14default_configENS1_38merge_sort_block_merge_config_selectorIttEEZZNS1_27merge_sort_block_merge_implIS3_N6thrust23THRUST_200600_302600_NS6detail15normal_iteratorINS8_10device_ptrItEEEESD_jNS1_19radix_merge_compareILb0ELb0EtNS0_19identity_decomposerEEEEE10hipError_tT0_T1_T2_jT3_P12ihipStream_tbPNSt15iterator_traitsISI_E10value_typeEPNSO_ISJ_E10value_typeEPSK_NS1_7vsmem_tEENKUlT_SI_SJ_SK_E_clIPtSD_S10_SD_EESH_SX_SI_SJ_SK_EUlSX_E1_NS1_11comp_targetILNS1_3genE0ELNS1_11target_archE4294967295ELNS1_3gpuE0ELNS1_3repE0EEENS1_36merge_oddeven_config_static_selectorELNS0_4arch9wavefront6targetE1EEEvSJ_.has_dyn_sized_stack, 0
	.set _ZN7rocprim17ROCPRIM_400000_NS6detail17trampoline_kernelINS0_14default_configENS1_38merge_sort_block_merge_config_selectorIttEEZZNS1_27merge_sort_block_merge_implIS3_N6thrust23THRUST_200600_302600_NS6detail15normal_iteratorINS8_10device_ptrItEEEESD_jNS1_19radix_merge_compareILb0ELb0EtNS0_19identity_decomposerEEEEE10hipError_tT0_T1_T2_jT3_P12ihipStream_tbPNSt15iterator_traitsISI_E10value_typeEPNSO_ISJ_E10value_typeEPSK_NS1_7vsmem_tEENKUlT_SI_SJ_SK_E_clIPtSD_S10_SD_EESH_SX_SI_SJ_SK_EUlSX_E1_NS1_11comp_targetILNS1_3genE0ELNS1_11target_archE4294967295ELNS1_3gpuE0ELNS1_3repE0EEENS1_36merge_oddeven_config_static_selectorELNS0_4arch9wavefront6targetE1EEEvSJ_.has_recursion, 0
	.set _ZN7rocprim17ROCPRIM_400000_NS6detail17trampoline_kernelINS0_14default_configENS1_38merge_sort_block_merge_config_selectorIttEEZZNS1_27merge_sort_block_merge_implIS3_N6thrust23THRUST_200600_302600_NS6detail15normal_iteratorINS8_10device_ptrItEEEESD_jNS1_19radix_merge_compareILb0ELb0EtNS0_19identity_decomposerEEEEE10hipError_tT0_T1_T2_jT3_P12ihipStream_tbPNSt15iterator_traitsISI_E10value_typeEPNSO_ISJ_E10value_typeEPSK_NS1_7vsmem_tEENKUlT_SI_SJ_SK_E_clIPtSD_S10_SD_EESH_SX_SI_SJ_SK_EUlSX_E1_NS1_11comp_targetILNS1_3genE0ELNS1_11target_archE4294967295ELNS1_3gpuE0ELNS1_3repE0EEENS1_36merge_oddeven_config_static_selectorELNS0_4arch9wavefront6targetE1EEEvSJ_.has_indirect_call, 0
	.section	.AMDGPU.csdata,"",@progbits
; Kernel info:
; codeLenInByte = 764
; TotalNumSgprs: 30
; NumVgprs: 9
; NumAgprs: 0
; TotalNumVgprs: 9
; ScratchSize: 0
; MemoryBound: 0
; FloatMode: 240
; IeeeMode: 1
; LDSByteSize: 0 bytes/workgroup (compile time only)
; SGPRBlocks: 3
; VGPRBlocks: 1
; NumSGPRsForWavesPerEU: 30
; NumVGPRsForWavesPerEU: 9
; AccumOffset: 12
; Occupancy: 8
; WaveLimiterHint : 0
; COMPUTE_PGM_RSRC2:SCRATCH_EN: 0
; COMPUTE_PGM_RSRC2:USER_SGPR: 2
; COMPUTE_PGM_RSRC2:TRAP_HANDLER: 0
; COMPUTE_PGM_RSRC2:TGID_X_EN: 1
; COMPUTE_PGM_RSRC2:TGID_Y_EN: 0
; COMPUTE_PGM_RSRC2:TGID_Z_EN: 0
; COMPUTE_PGM_RSRC2:TIDIG_COMP_CNT: 0
; COMPUTE_PGM_RSRC3_GFX90A:ACCUM_OFFSET: 2
; COMPUTE_PGM_RSRC3_GFX90A:TG_SPLIT: 0
	.section	.text._ZN7rocprim17ROCPRIM_400000_NS6detail17trampoline_kernelINS0_14default_configENS1_38merge_sort_block_merge_config_selectorIttEEZZNS1_27merge_sort_block_merge_implIS3_N6thrust23THRUST_200600_302600_NS6detail15normal_iteratorINS8_10device_ptrItEEEESD_jNS1_19radix_merge_compareILb0ELb0EtNS0_19identity_decomposerEEEEE10hipError_tT0_T1_T2_jT3_P12ihipStream_tbPNSt15iterator_traitsISI_E10value_typeEPNSO_ISJ_E10value_typeEPSK_NS1_7vsmem_tEENKUlT_SI_SJ_SK_E_clIPtSD_S10_SD_EESH_SX_SI_SJ_SK_EUlSX_E1_NS1_11comp_targetILNS1_3genE10ELNS1_11target_archE1201ELNS1_3gpuE5ELNS1_3repE0EEENS1_36merge_oddeven_config_static_selectorELNS0_4arch9wavefront6targetE1EEEvSJ_,"axG",@progbits,_ZN7rocprim17ROCPRIM_400000_NS6detail17trampoline_kernelINS0_14default_configENS1_38merge_sort_block_merge_config_selectorIttEEZZNS1_27merge_sort_block_merge_implIS3_N6thrust23THRUST_200600_302600_NS6detail15normal_iteratorINS8_10device_ptrItEEEESD_jNS1_19radix_merge_compareILb0ELb0EtNS0_19identity_decomposerEEEEE10hipError_tT0_T1_T2_jT3_P12ihipStream_tbPNSt15iterator_traitsISI_E10value_typeEPNSO_ISJ_E10value_typeEPSK_NS1_7vsmem_tEENKUlT_SI_SJ_SK_E_clIPtSD_S10_SD_EESH_SX_SI_SJ_SK_EUlSX_E1_NS1_11comp_targetILNS1_3genE10ELNS1_11target_archE1201ELNS1_3gpuE5ELNS1_3repE0EEENS1_36merge_oddeven_config_static_selectorELNS0_4arch9wavefront6targetE1EEEvSJ_,comdat
	.protected	_ZN7rocprim17ROCPRIM_400000_NS6detail17trampoline_kernelINS0_14default_configENS1_38merge_sort_block_merge_config_selectorIttEEZZNS1_27merge_sort_block_merge_implIS3_N6thrust23THRUST_200600_302600_NS6detail15normal_iteratorINS8_10device_ptrItEEEESD_jNS1_19radix_merge_compareILb0ELb0EtNS0_19identity_decomposerEEEEE10hipError_tT0_T1_T2_jT3_P12ihipStream_tbPNSt15iterator_traitsISI_E10value_typeEPNSO_ISJ_E10value_typeEPSK_NS1_7vsmem_tEENKUlT_SI_SJ_SK_E_clIPtSD_S10_SD_EESH_SX_SI_SJ_SK_EUlSX_E1_NS1_11comp_targetILNS1_3genE10ELNS1_11target_archE1201ELNS1_3gpuE5ELNS1_3repE0EEENS1_36merge_oddeven_config_static_selectorELNS0_4arch9wavefront6targetE1EEEvSJ_ ; -- Begin function _ZN7rocprim17ROCPRIM_400000_NS6detail17trampoline_kernelINS0_14default_configENS1_38merge_sort_block_merge_config_selectorIttEEZZNS1_27merge_sort_block_merge_implIS3_N6thrust23THRUST_200600_302600_NS6detail15normal_iteratorINS8_10device_ptrItEEEESD_jNS1_19radix_merge_compareILb0ELb0EtNS0_19identity_decomposerEEEEE10hipError_tT0_T1_T2_jT3_P12ihipStream_tbPNSt15iterator_traitsISI_E10value_typeEPNSO_ISJ_E10value_typeEPSK_NS1_7vsmem_tEENKUlT_SI_SJ_SK_E_clIPtSD_S10_SD_EESH_SX_SI_SJ_SK_EUlSX_E1_NS1_11comp_targetILNS1_3genE10ELNS1_11target_archE1201ELNS1_3gpuE5ELNS1_3repE0EEENS1_36merge_oddeven_config_static_selectorELNS0_4arch9wavefront6targetE1EEEvSJ_
	.globl	_ZN7rocprim17ROCPRIM_400000_NS6detail17trampoline_kernelINS0_14default_configENS1_38merge_sort_block_merge_config_selectorIttEEZZNS1_27merge_sort_block_merge_implIS3_N6thrust23THRUST_200600_302600_NS6detail15normal_iteratorINS8_10device_ptrItEEEESD_jNS1_19radix_merge_compareILb0ELb0EtNS0_19identity_decomposerEEEEE10hipError_tT0_T1_T2_jT3_P12ihipStream_tbPNSt15iterator_traitsISI_E10value_typeEPNSO_ISJ_E10value_typeEPSK_NS1_7vsmem_tEENKUlT_SI_SJ_SK_E_clIPtSD_S10_SD_EESH_SX_SI_SJ_SK_EUlSX_E1_NS1_11comp_targetILNS1_3genE10ELNS1_11target_archE1201ELNS1_3gpuE5ELNS1_3repE0EEENS1_36merge_oddeven_config_static_selectorELNS0_4arch9wavefront6targetE1EEEvSJ_
	.p2align	8
	.type	_ZN7rocprim17ROCPRIM_400000_NS6detail17trampoline_kernelINS0_14default_configENS1_38merge_sort_block_merge_config_selectorIttEEZZNS1_27merge_sort_block_merge_implIS3_N6thrust23THRUST_200600_302600_NS6detail15normal_iteratorINS8_10device_ptrItEEEESD_jNS1_19radix_merge_compareILb0ELb0EtNS0_19identity_decomposerEEEEE10hipError_tT0_T1_T2_jT3_P12ihipStream_tbPNSt15iterator_traitsISI_E10value_typeEPNSO_ISJ_E10value_typeEPSK_NS1_7vsmem_tEENKUlT_SI_SJ_SK_E_clIPtSD_S10_SD_EESH_SX_SI_SJ_SK_EUlSX_E1_NS1_11comp_targetILNS1_3genE10ELNS1_11target_archE1201ELNS1_3gpuE5ELNS1_3repE0EEENS1_36merge_oddeven_config_static_selectorELNS0_4arch9wavefront6targetE1EEEvSJ_,@function
_ZN7rocprim17ROCPRIM_400000_NS6detail17trampoline_kernelINS0_14default_configENS1_38merge_sort_block_merge_config_selectorIttEEZZNS1_27merge_sort_block_merge_implIS3_N6thrust23THRUST_200600_302600_NS6detail15normal_iteratorINS8_10device_ptrItEEEESD_jNS1_19radix_merge_compareILb0ELb0EtNS0_19identity_decomposerEEEEE10hipError_tT0_T1_T2_jT3_P12ihipStream_tbPNSt15iterator_traitsISI_E10value_typeEPNSO_ISJ_E10value_typeEPSK_NS1_7vsmem_tEENKUlT_SI_SJ_SK_E_clIPtSD_S10_SD_EESH_SX_SI_SJ_SK_EUlSX_E1_NS1_11comp_targetILNS1_3genE10ELNS1_11target_archE1201ELNS1_3gpuE5ELNS1_3repE0EEENS1_36merge_oddeven_config_static_selectorELNS0_4arch9wavefront6targetE1EEEvSJ_: ; @_ZN7rocprim17ROCPRIM_400000_NS6detail17trampoline_kernelINS0_14default_configENS1_38merge_sort_block_merge_config_selectorIttEEZZNS1_27merge_sort_block_merge_implIS3_N6thrust23THRUST_200600_302600_NS6detail15normal_iteratorINS8_10device_ptrItEEEESD_jNS1_19radix_merge_compareILb0ELb0EtNS0_19identity_decomposerEEEEE10hipError_tT0_T1_T2_jT3_P12ihipStream_tbPNSt15iterator_traitsISI_E10value_typeEPNSO_ISJ_E10value_typeEPSK_NS1_7vsmem_tEENKUlT_SI_SJ_SK_E_clIPtSD_S10_SD_EESH_SX_SI_SJ_SK_EUlSX_E1_NS1_11comp_targetILNS1_3genE10ELNS1_11target_archE1201ELNS1_3gpuE5ELNS1_3repE0EEENS1_36merge_oddeven_config_static_selectorELNS0_4arch9wavefront6targetE1EEEvSJ_
; %bb.0:
	.section	.rodata,"a",@progbits
	.p2align	6, 0x0
	.amdhsa_kernel _ZN7rocprim17ROCPRIM_400000_NS6detail17trampoline_kernelINS0_14default_configENS1_38merge_sort_block_merge_config_selectorIttEEZZNS1_27merge_sort_block_merge_implIS3_N6thrust23THRUST_200600_302600_NS6detail15normal_iteratorINS8_10device_ptrItEEEESD_jNS1_19radix_merge_compareILb0ELb0EtNS0_19identity_decomposerEEEEE10hipError_tT0_T1_T2_jT3_P12ihipStream_tbPNSt15iterator_traitsISI_E10value_typeEPNSO_ISJ_E10value_typeEPSK_NS1_7vsmem_tEENKUlT_SI_SJ_SK_E_clIPtSD_S10_SD_EESH_SX_SI_SJ_SK_EUlSX_E1_NS1_11comp_targetILNS1_3genE10ELNS1_11target_archE1201ELNS1_3gpuE5ELNS1_3repE0EEENS1_36merge_oddeven_config_static_selectorELNS0_4arch9wavefront6targetE1EEEvSJ_
		.amdhsa_group_segment_fixed_size 0
		.amdhsa_private_segment_fixed_size 0
		.amdhsa_kernarg_size 48
		.amdhsa_user_sgpr_count 2
		.amdhsa_user_sgpr_dispatch_ptr 0
		.amdhsa_user_sgpr_queue_ptr 0
		.amdhsa_user_sgpr_kernarg_segment_ptr 1
		.amdhsa_user_sgpr_dispatch_id 0
		.amdhsa_user_sgpr_kernarg_preload_length 0
		.amdhsa_user_sgpr_kernarg_preload_offset 0
		.amdhsa_user_sgpr_private_segment_size 0
		.amdhsa_uses_dynamic_stack 0
		.amdhsa_enable_private_segment 0
		.amdhsa_system_sgpr_workgroup_id_x 1
		.amdhsa_system_sgpr_workgroup_id_y 0
		.amdhsa_system_sgpr_workgroup_id_z 0
		.amdhsa_system_sgpr_workgroup_info 0
		.amdhsa_system_vgpr_workitem_id 0
		.amdhsa_next_free_vgpr 1
		.amdhsa_next_free_sgpr 0
		.amdhsa_accum_offset 4
		.amdhsa_reserve_vcc 0
		.amdhsa_float_round_mode_32 0
		.amdhsa_float_round_mode_16_64 0
		.amdhsa_float_denorm_mode_32 3
		.amdhsa_float_denorm_mode_16_64 3
		.amdhsa_dx10_clamp 1
		.amdhsa_ieee_mode 1
		.amdhsa_fp16_overflow 0
		.amdhsa_tg_split 0
		.amdhsa_exception_fp_ieee_invalid_op 0
		.amdhsa_exception_fp_denorm_src 0
		.amdhsa_exception_fp_ieee_div_zero 0
		.amdhsa_exception_fp_ieee_overflow 0
		.amdhsa_exception_fp_ieee_underflow 0
		.amdhsa_exception_fp_ieee_inexact 0
		.amdhsa_exception_int_div_zero 0
	.end_amdhsa_kernel
	.section	.text._ZN7rocprim17ROCPRIM_400000_NS6detail17trampoline_kernelINS0_14default_configENS1_38merge_sort_block_merge_config_selectorIttEEZZNS1_27merge_sort_block_merge_implIS3_N6thrust23THRUST_200600_302600_NS6detail15normal_iteratorINS8_10device_ptrItEEEESD_jNS1_19radix_merge_compareILb0ELb0EtNS0_19identity_decomposerEEEEE10hipError_tT0_T1_T2_jT3_P12ihipStream_tbPNSt15iterator_traitsISI_E10value_typeEPNSO_ISJ_E10value_typeEPSK_NS1_7vsmem_tEENKUlT_SI_SJ_SK_E_clIPtSD_S10_SD_EESH_SX_SI_SJ_SK_EUlSX_E1_NS1_11comp_targetILNS1_3genE10ELNS1_11target_archE1201ELNS1_3gpuE5ELNS1_3repE0EEENS1_36merge_oddeven_config_static_selectorELNS0_4arch9wavefront6targetE1EEEvSJ_,"axG",@progbits,_ZN7rocprim17ROCPRIM_400000_NS6detail17trampoline_kernelINS0_14default_configENS1_38merge_sort_block_merge_config_selectorIttEEZZNS1_27merge_sort_block_merge_implIS3_N6thrust23THRUST_200600_302600_NS6detail15normal_iteratorINS8_10device_ptrItEEEESD_jNS1_19radix_merge_compareILb0ELb0EtNS0_19identity_decomposerEEEEE10hipError_tT0_T1_T2_jT3_P12ihipStream_tbPNSt15iterator_traitsISI_E10value_typeEPNSO_ISJ_E10value_typeEPSK_NS1_7vsmem_tEENKUlT_SI_SJ_SK_E_clIPtSD_S10_SD_EESH_SX_SI_SJ_SK_EUlSX_E1_NS1_11comp_targetILNS1_3genE10ELNS1_11target_archE1201ELNS1_3gpuE5ELNS1_3repE0EEENS1_36merge_oddeven_config_static_selectorELNS0_4arch9wavefront6targetE1EEEvSJ_,comdat
.Lfunc_end859:
	.size	_ZN7rocprim17ROCPRIM_400000_NS6detail17trampoline_kernelINS0_14default_configENS1_38merge_sort_block_merge_config_selectorIttEEZZNS1_27merge_sort_block_merge_implIS3_N6thrust23THRUST_200600_302600_NS6detail15normal_iteratorINS8_10device_ptrItEEEESD_jNS1_19radix_merge_compareILb0ELb0EtNS0_19identity_decomposerEEEEE10hipError_tT0_T1_T2_jT3_P12ihipStream_tbPNSt15iterator_traitsISI_E10value_typeEPNSO_ISJ_E10value_typeEPSK_NS1_7vsmem_tEENKUlT_SI_SJ_SK_E_clIPtSD_S10_SD_EESH_SX_SI_SJ_SK_EUlSX_E1_NS1_11comp_targetILNS1_3genE10ELNS1_11target_archE1201ELNS1_3gpuE5ELNS1_3repE0EEENS1_36merge_oddeven_config_static_selectorELNS0_4arch9wavefront6targetE1EEEvSJ_, .Lfunc_end859-_ZN7rocprim17ROCPRIM_400000_NS6detail17trampoline_kernelINS0_14default_configENS1_38merge_sort_block_merge_config_selectorIttEEZZNS1_27merge_sort_block_merge_implIS3_N6thrust23THRUST_200600_302600_NS6detail15normal_iteratorINS8_10device_ptrItEEEESD_jNS1_19radix_merge_compareILb0ELb0EtNS0_19identity_decomposerEEEEE10hipError_tT0_T1_T2_jT3_P12ihipStream_tbPNSt15iterator_traitsISI_E10value_typeEPNSO_ISJ_E10value_typeEPSK_NS1_7vsmem_tEENKUlT_SI_SJ_SK_E_clIPtSD_S10_SD_EESH_SX_SI_SJ_SK_EUlSX_E1_NS1_11comp_targetILNS1_3genE10ELNS1_11target_archE1201ELNS1_3gpuE5ELNS1_3repE0EEENS1_36merge_oddeven_config_static_selectorELNS0_4arch9wavefront6targetE1EEEvSJ_
                                        ; -- End function
	.set _ZN7rocprim17ROCPRIM_400000_NS6detail17trampoline_kernelINS0_14default_configENS1_38merge_sort_block_merge_config_selectorIttEEZZNS1_27merge_sort_block_merge_implIS3_N6thrust23THRUST_200600_302600_NS6detail15normal_iteratorINS8_10device_ptrItEEEESD_jNS1_19radix_merge_compareILb0ELb0EtNS0_19identity_decomposerEEEEE10hipError_tT0_T1_T2_jT3_P12ihipStream_tbPNSt15iterator_traitsISI_E10value_typeEPNSO_ISJ_E10value_typeEPSK_NS1_7vsmem_tEENKUlT_SI_SJ_SK_E_clIPtSD_S10_SD_EESH_SX_SI_SJ_SK_EUlSX_E1_NS1_11comp_targetILNS1_3genE10ELNS1_11target_archE1201ELNS1_3gpuE5ELNS1_3repE0EEENS1_36merge_oddeven_config_static_selectorELNS0_4arch9wavefront6targetE1EEEvSJ_.num_vgpr, 0
	.set _ZN7rocprim17ROCPRIM_400000_NS6detail17trampoline_kernelINS0_14default_configENS1_38merge_sort_block_merge_config_selectorIttEEZZNS1_27merge_sort_block_merge_implIS3_N6thrust23THRUST_200600_302600_NS6detail15normal_iteratorINS8_10device_ptrItEEEESD_jNS1_19radix_merge_compareILb0ELb0EtNS0_19identity_decomposerEEEEE10hipError_tT0_T1_T2_jT3_P12ihipStream_tbPNSt15iterator_traitsISI_E10value_typeEPNSO_ISJ_E10value_typeEPSK_NS1_7vsmem_tEENKUlT_SI_SJ_SK_E_clIPtSD_S10_SD_EESH_SX_SI_SJ_SK_EUlSX_E1_NS1_11comp_targetILNS1_3genE10ELNS1_11target_archE1201ELNS1_3gpuE5ELNS1_3repE0EEENS1_36merge_oddeven_config_static_selectorELNS0_4arch9wavefront6targetE1EEEvSJ_.num_agpr, 0
	.set _ZN7rocprim17ROCPRIM_400000_NS6detail17trampoline_kernelINS0_14default_configENS1_38merge_sort_block_merge_config_selectorIttEEZZNS1_27merge_sort_block_merge_implIS3_N6thrust23THRUST_200600_302600_NS6detail15normal_iteratorINS8_10device_ptrItEEEESD_jNS1_19radix_merge_compareILb0ELb0EtNS0_19identity_decomposerEEEEE10hipError_tT0_T1_T2_jT3_P12ihipStream_tbPNSt15iterator_traitsISI_E10value_typeEPNSO_ISJ_E10value_typeEPSK_NS1_7vsmem_tEENKUlT_SI_SJ_SK_E_clIPtSD_S10_SD_EESH_SX_SI_SJ_SK_EUlSX_E1_NS1_11comp_targetILNS1_3genE10ELNS1_11target_archE1201ELNS1_3gpuE5ELNS1_3repE0EEENS1_36merge_oddeven_config_static_selectorELNS0_4arch9wavefront6targetE1EEEvSJ_.numbered_sgpr, 0
	.set _ZN7rocprim17ROCPRIM_400000_NS6detail17trampoline_kernelINS0_14default_configENS1_38merge_sort_block_merge_config_selectorIttEEZZNS1_27merge_sort_block_merge_implIS3_N6thrust23THRUST_200600_302600_NS6detail15normal_iteratorINS8_10device_ptrItEEEESD_jNS1_19radix_merge_compareILb0ELb0EtNS0_19identity_decomposerEEEEE10hipError_tT0_T1_T2_jT3_P12ihipStream_tbPNSt15iterator_traitsISI_E10value_typeEPNSO_ISJ_E10value_typeEPSK_NS1_7vsmem_tEENKUlT_SI_SJ_SK_E_clIPtSD_S10_SD_EESH_SX_SI_SJ_SK_EUlSX_E1_NS1_11comp_targetILNS1_3genE10ELNS1_11target_archE1201ELNS1_3gpuE5ELNS1_3repE0EEENS1_36merge_oddeven_config_static_selectorELNS0_4arch9wavefront6targetE1EEEvSJ_.num_named_barrier, 0
	.set _ZN7rocprim17ROCPRIM_400000_NS6detail17trampoline_kernelINS0_14default_configENS1_38merge_sort_block_merge_config_selectorIttEEZZNS1_27merge_sort_block_merge_implIS3_N6thrust23THRUST_200600_302600_NS6detail15normal_iteratorINS8_10device_ptrItEEEESD_jNS1_19radix_merge_compareILb0ELb0EtNS0_19identity_decomposerEEEEE10hipError_tT0_T1_T2_jT3_P12ihipStream_tbPNSt15iterator_traitsISI_E10value_typeEPNSO_ISJ_E10value_typeEPSK_NS1_7vsmem_tEENKUlT_SI_SJ_SK_E_clIPtSD_S10_SD_EESH_SX_SI_SJ_SK_EUlSX_E1_NS1_11comp_targetILNS1_3genE10ELNS1_11target_archE1201ELNS1_3gpuE5ELNS1_3repE0EEENS1_36merge_oddeven_config_static_selectorELNS0_4arch9wavefront6targetE1EEEvSJ_.private_seg_size, 0
	.set _ZN7rocprim17ROCPRIM_400000_NS6detail17trampoline_kernelINS0_14default_configENS1_38merge_sort_block_merge_config_selectorIttEEZZNS1_27merge_sort_block_merge_implIS3_N6thrust23THRUST_200600_302600_NS6detail15normal_iteratorINS8_10device_ptrItEEEESD_jNS1_19radix_merge_compareILb0ELb0EtNS0_19identity_decomposerEEEEE10hipError_tT0_T1_T2_jT3_P12ihipStream_tbPNSt15iterator_traitsISI_E10value_typeEPNSO_ISJ_E10value_typeEPSK_NS1_7vsmem_tEENKUlT_SI_SJ_SK_E_clIPtSD_S10_SD_EESH_SX_SI_SJ_SK_EUlSX_E1_NS1_11comp_targetILNS1_3genE10ELNS1_11target_archE1201ELNS1_3gpuE5ELNS1_3repE0EEENS1_36merge_oddeven_config_static_selectorELNS0_4arch9wavefront6targetE1EEEvSJ_.uses_vcc, 0
	.set _ZN7rocprim17ROCPRIM_400000_NS6detail17trampoline_kernelINS0_14default_configENS1_38merge_sort_block_merge_config_selectorIttEEZZNS1_27merge_sort_block_merge_implIS3_N6thrust23THRUST_200600_302600_NS6detail15normal_iteratorINS8_10device_ptrItEEEESD_jNS1_19radix_merge_compareILb0ELb0EtNS0_19identity_decomposerEEEEE10hipError_tT0_T1_T2_jT3_P12ihipStream_tbPNSt15iterator_traitsISI_E10value_typeEPNSO_ISJ_E10value_typeEPSK_NS1_7vsmem_tEENKUlT_SI_SJ_SK_E_clIPtSD_S10_SD_EESH_SX_SI_SJ_SK_EUlSX_E1_NS1_11comp_targetILNS1_3genE10ELNS1_11target_archE1201ELNS1_3gpuE5ELNS1_3repE0EEENS1_36merge_oddeven_config_static_selectorELNS0_4arch9wavefront6targetE1EEEvSJ_.uses_flat_scratch, 0
	.set _ZN7rocprim17ROCPRIM_400000_NS6detail17trampoline_kernelINS0_14default_configENS1_38merge_sort_block_merge_config_selectorIttEEZZNS1_27merge_sort_block_merge_implIS3_N6thrust23THRUST_200600_302600_NS6detail15normal_iteratorINS8_10device_ptrItEEEESD_jNS1_19radix_merge_compareILb0ELb0EtNS0_19identity_decomposerEEEEE10hipError_tT0_T1_T2_jT3_P12ihipStream_tbPNSt15iterator_traitsISI_E10value_typeEPNSO_ISJ_E10value_typeEPSK_NS1_7vsmem_tEENKUlT_SI_SJ_SK_E_clIPtSD_S10_SD_EESH_SX_SI_SJ_SK_EUlSX_E1_NS1_11comp_targetILNS1_3genE10ELNS1_11target_archE1201ELNS1_3gpuE5ELNS1_3repE0EEENS1_36merge_oddeven_config_static_selectorELNS0_4arch9wavefront6targetE1EEEvSJ_.has_dyn_sized_stack, 0
	.set _ZN7rocprim17ROCPRIM_400000_NS6detail17trampoline_kernelINS0_14default_configENS1_38merge_sort_block_merge_config_selectorIttEEZZNS1_27merge_sort_block_merge_implIS3_N6thrust23THRUST_200600_302600_NS6detail15normal_iteratorINS8_10device_ptrItEEEESD_jNS1_19radix_merge_compareILb0ELb0EtNS0_19identity_decomposerEEEEE10hipError_tT0_T1_T2_jT3_P12ihipStream_tbPNSt15iterator_traitsISI_E10value_typeEPNSO_ISJ_E10value_typeEPSK_NS1_7vsmem_tEENKUlT_SI_SJ_SK_E_clIPtSD_S10_SD_EESH_SX_SI_SJ_SK_EUlSX_E1_NS1_11comp_targetILNS1_3genE10ELNS1_11target_archE1201ELNS1_3gpuE5ELNS1_3repE0EEENS1_36merge_oddeven_config_static_selectorELNS0_4arch9wavefront6targetE1EEEvSJ_.has_recursion, 0
	.set _ZN7rocprim17ROCPRIM_400000_NS6detail17trampoline_kernelINS0_14default_configENS1_38merge_sort_block_merge_config_selectorIttEEZZNS1_27merge_sort_block_merge_implIS3_N6thrust23THRUST_200600_302600_NS6detail15normal_iteratorINS8_10device_ptrItEEEESD_jNS1_19radix_merge_compareILb0ELb0EtNS0_19identity_decomposerEEEEE10hipError_tT0_T1_T2_jT3_P12ihipStream_tbPNSt15iterator_traitsISI_E10value_typeEPNSO_ISJ_E10value_typeEPSK_NS1_7vsmem_tEENKUlT_SI_SJ_SK_E_clIPtSD_S10_SD_EESH_SX_SI_SJ_SK_EUlSX_E1_NS1_11comp_targetILNS1_3genE10ELNS1_11target_archE1201ELNS1_3gpuE5ELNS1_3repE0EEENS1_36merge_oddeven_config_static_selectorELNS0_4arch9wavefront6targetE1EEEvSJ_.has_indirect_call, 0
	.section	.AMDGPU.csdata,"",@progbits
; Kernel info:
; codeLenInByte = 0
; TotalNumSgprs: 6
; NumVgprs: 0
; NumAgprs: 0
; TotalNumVgprs: 0
; ScratchSize: 0
; MemoryBound: 0
; FloatMode: 240
; IeeeMode: 1
; LDSByteSize: 0 bytes/workgroup (compile time only)
; SGPRBlocks: 0
; VGPRBlocks: 0
; NumSGPRsForWavesPerEU: 6
; NumVGPRsForWavesPerEU: 1
; AccumOffset: 4
; Occupancy: 8
; WaveLimiterHint : 0
; COMPUTE_PGM_RSRC2:SCRATCH_EN: 0
; COMPUTE_PGM_RSRC2:USER_SGPR: 2
; COMPUTE_PGM_RSRC2:TRAP_HANDLER: 0
; COMPUTE_PGM_RSRC2:TGID_X_EN: 1
; COMPUTE_PGM_RSRC2:TGID_Y_EN: 0
; COMPUTE_PGM_RSRC2:TGID_Z_EN: 0
; COMPUTE_PGM_RSRC2:TIDIG_COMP_CNT: 0
; COMPUTE_PGM_RSRC3_GFX90A:ACCUM_OFFSET: 0
; COMPUTE_PGM_RSRC3_GFX90A:TG_SPLIT: 0
	.section	.text._ZN7rocprim17ROCPRIM_400000_NS6detail17trampoline_kernelINS0_14default_configENS1_38merge_sort_block_merge_config_selectorIttEEZZNS1_27merge_sort_block_merge_implIS3_N6thrust23THRUST_200600_302600_NS6detail15normal_iteratorINS8_10device_ptrItEEEESD_jNS1_19radix_merge_compareILb0ELb0EtNS0_19identity_decomposerEEEEE10hipError_tT0_T1_T2_jT3_P12ihipStream_tbPNSt15iterator_traitsISI_E10value_typeEPNSO_ISJ_E10value_typeEPSK_NS1_7vsmem_tEENKUlT_SI_SJ_SK_E_clIPtSD_S10_SD_EESH_SX_SI_SJ_SK_EUlSX_E1_NS1_11comp_targetILNS1_3genE5ELNS1_11target_archE942ELNS1_3gpuE9ELNS1_3repE0EEENS1_36merge_oddeven_config_static_selectorELNS0_4arch9wavefront6targetE1EEEvSJ_,"axG",@progbits,_ZN7rocprim17ROCPRIM_400000_NS6detail17trampoline_kernelINS0_14default_configENS1_38merge_sort_block_merge_config_selectorIttEEZZNS1_27merge_sort_block_merge_implIS3_N6thrust23THRUST_200600_302600_NS6detail15normal_iteratorINS8_10device_ptrItEEEESD_jNS1_19radix_merge_compareILb0ELb0EtNS0_19identity_decomposerEEEEE10hipError_tT0_T1_T2_jT3_P12ihipStream_tbPNSt15iterator_traitsISI_E10value_typeEPNSO_ISJ_E10value_typeEPSK_NS1_7vsmem_tEENKUlT_SI_SJ_SK_E_clIPtSD_S10_SD_EESH_SX_SI_SJ_SK_EUlSX_E1_NS1_11comp_targetILNS1_3genE5ELNS1_11target_archE942ELNS1_3gpuE9ELNS1_3repE0EEENS1_36merge_oddeven_config_static_selectorELNS0_4arch9wavefront6targetE1EEEvSJ_,comdat
	.protected	_ZN7rocprim17ROCPRIM_400000_NS6detail17trampoline_kernelINS0_14default_configENS1_38merge_sort_block_merge_config_selectorIttEEZZNS1_27merge_sort_block_merge_implIS3_N6thrust23THRUST_200600_302600_NS6detail15normal_iteratorINS8_10device_ptrItEEEESD_jNS1_19radix_merge_compareILb0ELb0EtNS0_19identity_decomposerEEEEE10hipError_tT0_T1_T2_jT3_P12ihipStream_tbPNSt15iterator_traitsISI_E10value_typeEPNSO_ISJ_E10value_typeEPSK_NS1_7vsmem_tEENKUlT_SI_SJ_SK_E_clIPtSD_S10_SD_EESH_SX_SI_SJ_SK_EUlSX_E1_NS1_11comp_targetILNS1_3genE5ELNS1_11target_archE942ELNS1_3gpuE9ELNS1_3repE0EEENS1_36merge_oddeven_config_static_selectorELNS0_4arch9wavefront6targetE1EEEvSJ_ ; -- Begin function _ZN7rocprim17ROCPRIM_400000_NS6detail17trampoline_kernelINS0_14default_configENS1_38merge_sort_block_merge_config_selectorIttEEZZNS1_27merge_sort_block_merge_implIS3_N6thrust23THRUST_200600_302600_NS6detail15normal_iteratorINS8_10device_ptrItEEEESD_jNS1_19radix_merge_compareILb0ELb0EtNS0_19identity_decomposerEEEEE10hipError_tT0_T1_T2_jT3_P12ihipStream_tbPNSt15iterator_traitsISI_E10value_typeEPNSO_ISJ_E10value_typeEPSK_NS1_7vsmem_tEENKUlT_SI_SJ_SK_E_clIPtSD_S10_SD_EESH_SX_SI_SJ_SK_EUlSX_E1_NS1_11comp_targetILNS1_3genE5ELNS1_11target_archE942ELNS1_3gpuE9ELNS1_3repE0EEENS1_36merge_oddeven_config_static_selectorELNS0_4arch9wavefront6targetE1EEEvSJ_
	.globl	_ZN7rocprim17ROCPRIM_400000_NS6detail17trampoline_kernelINS0_14default_configENS1_38merge_sort_block_merge_config_selectorIttEEZZNS1_27merge_sort_block_merge_implIS3_N6thrust23THRUST_200600_302600_NS6detail15normal_iteratorINS8_10device_ptrItEEEESD_jNS1_19radix_merge_compareILb0ELb0EtNS0_19identity_decomposerEEEEE10hipError_tT0_T1_T2_jT3_P12ihipStream_tbPNSt15iterator_traitsISI_E10value_typeEPNSO_ISJ_E10value_typeEPSK_NS1_7vsmem_tEENKUlT_SI_SJ_SK_E_clIPtSD_S10_SD_EESH_SX_SI_SJ_SK_EUlSX_E1_NS1_11comp_targetILNS1_3genE5ELNS1_11target_archE942ELNS1_3gpuE9ELNS1_3repE0EEENS1_36merge_oddeven_config_static_selectorELNS0_4arch9wavefront6targetE1EEEvSJ_
	.p2align	8
	.type	_ZN7rocprim17ROCPRIM_400000_NS6detail17trampoline_kernelINS0_14default_configENS1_38merge_sort_block_merge_config_selectorIttEEZZNS1_27merge_sort_block_merge_implIS3_N6thrust23THRUST_200600_302600_NS6detail15normal_iteratorINS8_10device_ptrItEEEESD_jNS1_19radix_merge_compareILb0ELb0EtNS0_19identity_decomposerEEEEE10hipError_tT0_T1_T2_jT3_P12ihipStream_tbPNSt15iterator_traitsISI_E10value_typeEPNSO_ISJ_E10value_typeEPSK_NS1_7vsmem_tEENKUlT_SI_SJ_SK_E_clIPtSD_S10_SD_EESH_SX_SI_SJ_SK_EUlSX_E1_NS1_11comp_targetILNS1_3genE5ELNS1_11target_archE942ELNS1_3gpuE9ELNS1_3repE0EEENS1_36merge_oddeven_config_static_selectorELNS0_4arch9wavefront6targetE1EEEvSJ_,@function
_ZN7rocprim17ROCPRIM_400000_NS6detail17trampoline_kernelINS0_14default_configENS1_38merge_sort_block_merge_config_selectorIttEEZZNS1_27merge_sort_block_merge_implIS3_N6thrust23THRUST_200600_302600_NS6detail15normal_iteratorINS8_10device_ptrItEEEESD_jNS1_19radix_merge_compareILb0ELb0EtNS0_19identity_decomposerEEEEE10hipError_tT0_T1_T2_jT3_P12ihipStream_tbPNSt15iterator_traitsISI_E10value_typeEPNSO_ISJ_E10value_typeEPSK_NS1_7vsmem_tEENKUlT_SI_SJ_SK_E_clIPtSD_S10_SD_EESH_SX_SI_SJ_SK_EUlSX_E1_NS1_11comp_targetILNS1_3genE5ELNS1_11target_archE942ELNS1_3gpuE9ELNS1_3repE0EEENS1_36merge_oddeven_config_static_selectorELNS0_4arch9wavefront6targetE1EEEvSJ_: ; @_ZN7rocprim17ROCPRIM_400000_NS6detail17trampoline_kernelINS0_14default_configENS1_38merge_sort_block_merge_config_selectorIttEEZZNS1_27merge_sort_block_merge_implIS3_N6thrust23THRUST_200600_302600_NS6detail15normal_iteratorINS8_10device_ptrItEEEESD_jNS1_19radix_merge_compareILb0ELb0EtNS0_19identity_decomposerEEEEE10hipError_tT0_T1_T2_jT3_P12ihipStream_tbPNSt15iterator_traitsISI_E10value_typeEPNSO_ISJ_E10value_typeEPSK_NS1_7vsmem_tEENKUlT_SI_SJ_SK_E_clIPtSD_S10_SD_EESH_SX_SI_SJ_SK_EUlSX_E1_NS1_11comp_targetILNS1_3genE5ELNS1_11target_archE942ELNS1_3gpuE9ELNS1_3repE0EEENS1_36merge_oddeven_config_static_selectorELNS0_4arch9wavefront6targetE1EEEvSJ_
; %bb.0:
	.section	.rodata,"a",@progbits
	.p2align	6, 0x0
	.amdhsa_kernel _ZN7rocprim17ROCPRIM_400000_NS6detail17trampoline_kernelINS0_14default_configENS1_38merge_sort_block_merge_config_selectorIttEEZZNS1_27merge_sort_block_merge_implIS3_N6thrust23THRUST_200600_302600_NS6detail15normal_iteratorINS8_10device_ptrItEEEESD_jNS1_19radix_merge_compareILb0ELb0EtNS0_19identity_decomposerEEEEE10hipError_tT0_T1_T2_jT3_P12ihipStream_tbPNSt15iterator_traitsISI_E10value_typeEPNSO_ISJ_E10value_typeEPSK_NS1_7vsmem_tEENKUlT_SI_SJ_SK_E_clIPtSD_S10_SD_EESH_SX_SI_SJ_SK_EUlSX_E1_NS1_11comp_targetILNS1_3genE5ELNS1_11target_archE942ELNS1_3gpuE9ELNS1_3repE0EEENS1_36merge_oddeven_config_static_selectorELNS0_4arch9wavefront6targetE1EEEvSJ_
		.amdhsa_group_segment_fixed_size 0
		.amdhsa_private_segment_fixed_size 0
		.amdhsa_kernarg_size 48
		.amdhsa_user_sgpr_count 2
		.amdhsa_user_sgpr_dispatch_ptr 0
		.amdhsa_user_sgpr_queue_ptr 0
		.amdhsa_user_sgpr_kernarg_segment_ptr 1
		.amdhsa_user_sgpr_dispatch_id 0
		.amdhsa_user_sgpr_kernarg_preload_length 0
		.amdhsa_user_sgpr_kernarg_preload_offset 0
		.amdhsa_user_sgpr_private_segment_size 0
		.amdhsa_uses_dynamic_stack 0
		.amdhsa_enable_private_segment 0
		.amdhsa_system_sgpr_workgroup_id_x 1
		.amdhsa_system_sgpr_workgroup_id_y 0
		.amdhsa_system_sgpr_workgroup_id_z 0
		.amdhsa_system_sgpr_workgroup_info 0
		.amdhsa_system_vgpr_workitem_id 0
		.amdhsa_next_free_vgpr 1
		.amdhsa_next_free_sgpr 0
		.amdhsa_accum_offset 4
		.amdhsa_reserve_vcc 0
		.amdhsa_float_round_mode_32 0
		.amdhsa_float_round_mode_16_64 0
		.amdhsa_float_denorm_mode_32 3
		.amdhsa_float_denorm_mode_16_64 3
		.amdhsa_dx10_clamp 1
		.amdhsa_ieee_mode 1
		.amdhsa_fp16_overflow 0
		.amdhsa_tg_split 0
		.amdhsa_exception_fp_ieee_invalid_op 0
		.amdhsa_exception_fp_denorm_src 0
		.amdhsa_exception_fp_ieee_div_zero 0
		.amdhsa_exception_fp_ieee_overflow 0
		.amdhsa_exception_fp_ieee_underflow 0
		.amdhsa_exception_fp_ieee_inexact 0
		.amdhsa_exception_int_div_zero 0
	.end_amdhsa_kernel
	.section	.text._ZN7rocprim17ROCPRIM_400000_NS6detail17trampoline_kernelINS0_14default_configENS1_38merge_sort_block_merge_config_selectorIttEEZZNS1_27merge_sort_block_merge_implIS3_N6thrust23THRUST_200600_302600_NS6detail15normal_iteratorINS8_10device_ptrItEEEESD_jNS1_19radix_merge_compareILb0ELb0EtNS0_19identity_decomposerEEEEE10hipError_tT0_T1_T2_jT3_P12ihipStream_tbPNSt15iterator_traitsISI_E10value_typeEPNSO_ISJ_E10value_typeEPSK_NS1_7vsmem_tEENKUlT_SI_SJ_SK_E_clIPtSD_S10_SD_EESH_SX_SI_SJ_SK_EUlSX_E1_NS1_11comp_targetILNS1_3genE5ELNS1_11target_archE942ELNS1_3gpuE9ELNS1_3repE0EEENS1_36merge_oddeven_config_static_selectorELNS0_4arch9wavefront6targetE1EEEvSJ_,"axG",@progbits,_ZN7rocprim17ROCPRIM_400000_NS6detail17trampoline_kernelINS0_14default_configENS1_38merge_sort_block_merge_config_selectorIttEEZZNS1_27merge_sort_block_merge_implIS3_N6thrust23THRUST_200600_302600_NS6detail15normal_iteratorINS8_10device_ptrItEEEESD_jNS1_19radix_merge_compareILb0ELb0EtNS0_19identity_decomposerEEEEE10hipError_tT0_T1_T2_jT3_P12ihipStream_tbPNSt15iterator_traitsISI_E10value_typeEPNSO_ISJ_E10value_typeEPSK_NS1_7vsmem_tEENKUlT_SI_SJ_SK_E_clIPtSD_S10_SD_EESH_SX_SI_SJ_SK_EUlSX_E1_NS1_11comp_targetILNS1_3genE5ELNS1_11target_archE942ELNS1_3gpuE9ELNS1_3repE0EEENS1_36merge_oddeven_config_static_selectorELNS0_4arch9wavefront6targetE1EEEvSJ_,comdat
.Lfunc_end860:
	.size	_ZN7rocprim17ROCPRIM_400000_NS6detail17trampoline_kernelINS0_14default_configENS1_38merge_sort_block_merge_config_selectorIttEEZZNS1_27merge_sort_block_merge_implIS3_N6thrust23THRUST_200600_302600_NS6detail15normal_iteratorINS8_10device_ptrItEEEESD_jNS1_19radix_merge_compareILb0ELb0EtNS0_19identity_decomposerEEEEE10hipError_tT0_T1_T2_jT3_P12ihipStream_tbPNSt15iterator_traitsISI_E10value_typeEPNSO_ISJ_E10value_typeEPSK_NS1_7vsmem_tEENKUlT_SI_SJ_SK_E_clIPtSD_S10_SD_EESH_SX_SI_SJ_SK_EUlSX_E1_NS1_11comp_targetILNS1_3genE5ELNS1_11target_archE942ELNS1_3gpuE9ELNS1_3repE0EEENS1_36merge_oddeven_config_static_selectorELNS0_4arch9wavefront6targetE1EEEvSJ_, .Lfunc_end860-_ZN7rocprim17ROCPRIM_400000_NS6detail17trampoline_kernelINS0_14default_configENS1_38merge_sort_block_merge_config_selectorIttEEZZNS1_27merge_sort_block_merge_implIS3_N6thrust23THRUST_200600_302600_NS6detail15normal_iteratorINS8_10device_ptrItEEEESD_jNS1_19radix_merge_compareILb0ELb0EtNS0_19identity_decomposerEEEEE10hipError_tT0_T1_T2_jT3_P12ihipStream_tbPNSt15iterator_traitsISI_E10value_typeEPNSO_ISJ_E10value_typeEPSK_NS1_7vsmem_tEENKUlT_SI_SJ_SK_E_clIPtSD_S10_SD_EESH_SX_SI_SJ_SK_EUlSX_E1_NS1_11comp_targetILNS1_3genE5ELNS1_11target_archE942ELNS1_3gpuE9ELNS1_3repE0EEENS1_36merge_oddeven_config_static_selectorELNS0_4arch9wavefront6targetE1EEEvSJ_
                                        ; -- End function
	.set _ZN7rocprim17ROCPRIM_400000_NS6detail17trampoline_kernelINS0_14default_configENS1_38merge_sort_block_merge_config_selectorIttEEZZNS1_27merge_sort_block_merge_implIS3_N6thrust23THRUST_200600_302600_NS6detail15normal_iteratorINS8_10device_ptrItEEEESD_jNS1_19radix_merge_compareILb0ELb0EtNS0_19identity_decomposerEEEEE10hipError_tT0_T1_T2_jT3_P12ihipStream_tbPNSt15iterator_traitsISI_E10value_typeEPNSO_ISJ_E10value_typeEPSK_NS1_7vsmem_tEENKUlT_SI_SJ_SK_E_clIPtSD_S10_SD_EESH_SX_SI_SJ_SK_EUlSX_E1_NS1_11comp_targetILNS1_3genE5ELNS1_11target_archE942ELNS1_3gpuE9ELNS1_3repE0EEENS1_36merge_oddeven_config_static_selectorELNS0_4arch9wavefront6targetE1EEEvSJ_.num_vgpr, 0
	.set _ZN7rocprim17ROCPRIM_400000_NS6detail17trampoline_kernelINS0_14default_configENS1_38merge_sort_block_merge_config_selectorIttEEZZNS1_27merge_sort_block_merge_implIS3_N6thrust23THRUST_200600_302600_NS6detail15normal_iteratorINS8_10device_ptrItEEEESD_jNS1_19radix_merge_compareILb0ELb0EtNS0_19identity_decomposerEEEEE10hipError_tT0_T1_T2_jT3_P12ihipStream_tbPNSt15iterator_traitsISI_E10value_typeEPNSO_ISJ_E10value_typeEPSK_NS1_7vsmem_tEENKUlT_SI_SJ_SK_E_clIPtSD_S10_SD_EESH_SX_SI_SJ_SK_EUlSX_E1_NS1_11comp_targetILNS1_3genE5ELNS1_11target_archE942ELNS1_3gpuE9ELNS1_3repE0EEENS1_36merge_oddeven_config_static_selectorELNS0_4arch9wavefront6targetE1EEEvSJ_.num_agpr, 0
	.set _ZN7rocprim17ROCPRIM_400000_NS6detail17trampoline_kernelINS0_14default_configENS1_38merge_sort_block_merge_config_selectorIttEEZZNS1_27merge_sort_block_merge_implIS3_N6thrust23THRUST_200600_302600_NS6detail15normal_iteratorINS8_10device_ptrItEEEESD_jNS1_19radix_merge_compareILb0ELb0EtNS0_19identity_decomposerEEEEE10hipError_tT0_T1_T2_jT3_P12ihipStream_tbPNSt15iterator_traitsISI_E10value_typeEPNSO_ISJ_E10value_typeEPSK_NS1_7vsmem_tEENKUlT_SI_SJ_SK_E_clIPtSD_S10_SD_EESH_SX_SI_SJ_SK_EUlSX_E1_NS1_11comp_targetILNS1_3genE5ELNS1_11target_archE942ELNS1_3gpuE9ELNS1_3repE0EEENS1_36merge_oddeven_config_static_selectorELNS0_4arch9wavefront6targetE1EEEvSJ_.numbered_sgpr, 0
	.set _ZN7rocprim17ROCPRIM_400000_NS6detail17trampoline_kernelINS0_14default_configENS1_38merge_sort_block_merge_config_selectorIttEEZZNS1_27merge_sort_block_merge_implIS3_N6thrust23THRUST_200600_302600_NS6detail15normal_iteratorINS8_10device_ptrItEEEESD_jNS1_19radix_merge_compareILb0ELb0EtNS0_19identity_decomposerEEEEE10hipError_tT0_T1_T2_jT3_P12ihipStream_tbPNSt15iterator_traitsISI_E10value_typeEPNSO_ISJ_E10value_typeEPSK_NS1_7vsmem_tEENKUlT_SI_SJ_SK_E_clIPtSD_S10_SD_EESH_SX_SI_SJ_SK_EUlSX_E1_NS1_11comp_targetILNS1_3genE5ELNS1_11target_archE942ELNS1_3gpuE9ELNS1_3repE0EEENS1_36merge_oddeven_config_static_selectorELNS0_4arch9wavefront6targetE1EEEvSJ_.num_named_barrier, 0
	.set _ZN7rocprim17ROCPRIM_400000_NS6detail17trampoline_kernelINS0_14default_configENS1_38merge_sort_block_merge_config_selectorIttEEZZNS1_27merge_sort_block_merge_implIS3_N6thrust23THRUST_200600_302600_NS6detail15normal_iteratorINS8_10device_ptrItEEEESD_jNS1_19radix_merge_compareILb0ELb0EtNS0_19identity_decomposerEEEEE10hipError_tT0_T1_T2_jT3_P12ihipStream_tbPNSt15iterator_traitsISI_E10value_typeEPNSO_ISJ_E10value_typeEPSK_NS1_7vsmem_tEENKUlT_SI_SJ_SK_E_clIPtSD_S10_SD_EESH_SX_SI_SJ_SK_EUlSX_E1_NS1_11comp_targetILNS1_3genE5ELNS1_11target_archE942ELNS1_3gpuE9ELNS1_3repE0EEENS1_36merge_oddeven_config_static_selectorELNS0_4arch9wavefront6targetE1EEEvSJ_.private_seg_size, 0
	.set _ZN7rocprim17ROCPRIM_400000_NS6detail17trampoline_kernelINS0_14default_configENS1_38merge_sort_block_merge_config_selectorIttEEZZNS1_27merge_sort_block_merge_implIS3_N6thrust23THRUST_200600_302600_NS6detail15normal_iteratorINS8_10device_ptrItEEEESD_jNS1_19radix_merge_compareILb0ELb0EtNS0_19identity_decomposerEEEEE10hipError_tT0_T1_T2_jT3_P12ihipStream_tbPNSt15iterator_traitsISI_E10value_typeEPNSO_ISJ_E10value_typeEPSK_NS1_7vsmem_tEENKUlT_SI_SJ_SK_E_clIPtSD_S10_SD_EESH_SX_SI_SJ_SK_EUlSX_E1_NS1_11comp_targetILNS1_3genE5ELNS1_11target_archE942ELNS1_3gpuE9ELNS1_3repE0EEENS1_36merge_oddeven_config_static_selectorELNS0_4arch9wavefront6targetE1EEEvSJ_.uses_vcc, 0
	.set _ZN7rocprim17ROCPRIM_400000_NS6detail17trampoline_kernelINS0_14default_configENS1_38merge_sort_block_merge_config_selectorIttEEZZNS1_27merge_sort_block_merge_implIS3_N6thrust23THRUST_200600_302600_NS6detail15normal_iteratorINS8_10device_ptrItEEEESD_jNS1_19radix_merge_compareILb0ELb0EtNS0_19identity_decomposerEEEEE10hipError_tT0_T1_T2_jT3_P12ihipStream_tbPNSt15iterator_traitsISI_E10value_typeEPNSO_ISJ_E10value_typeEPSK_NS1_7vsmem_tEENKUlT_SI_SJ_SK_E_clIPtSD_S10_SD_EESH_SX_SI_SJ_SK_EUlSX_E1_NS1_11comp_targetILNS1_3genE5ELNS1_11target_archE942ELNS1_3gpuE9ELNS1_3repE0EEENS1_36merge_oddeven_config_static_selectorELNS0_4arch9wavefront6targetE1EEEvSJ_.uses_flat_scratch, 0
	.set _ZN7rocprim17ROCPRIM_400000_NS6detail17trampoline_kernelINS0_14default_configENS1_38merge_sort_block_merge_config_selectorIttEEZZNS1_27merge_sort_block_merge_implIS3_N6thrust23THRUST_200600_302600_NS6detail15normal_iteratorINS8_10device_ptrItEEEESD_jNS1_19radix_merge_compareILb0ELb0EtNS0_19identity_decomposerEEEEE10hipError_tT0_T1_T2_jT3_P12ihipStream_tbPNSt15iterator_traitsISI_E10value_typeEPNSO_ISJ_E10value_typeEPSK_NS1_7vsmem_tEENKUlT_SI_SJ_SK_E_clIPtSD_S10_SD_EESH_SX_SI_SJ_SK_EUlSX_E1_NS1_11comp_targetILNS1_3genE5ELNS1_11target_archE942ELNS1_3gpuE9ELNS1_3repE0EEENS1_36merge_oddeven_config_static_selectorELNS0_4arch9wavefront6targetE1EEEvSJ_.has_dyn_sized_stack, 0
	.set _ZN7rocprim17ROCPRIM_400000_NS6detail17trampoline_kernelINS0_14default_configENS1_38merge_sort_block_merge_config_selectorIttEEZZNS1_27merge_sort_block_merge_implIS3_N6thrust23THRUST_200600_302600_NS6detail15normal_iteratorINS8_10device_ptrItEEEESD_jNS1_19radix_merge_compareILb0ELb0EtNS0_19identity_decomposerEEEEE10hipError_tT0_T1_T2_jT3_P12ihipStream_tbPNSt15iterator_traitsISI_E10value_typeEPNSO_ISJ_E10value_typeEPSK_NS1_7vsmem_tEENKUlT_SI_SJ_SK_E_clIPtSD_S10_SD_EESH_SX_SI_SJ_SK_EUlSX_E1_NS1_11comp_targetILNS1_3genE5ELNS1_11target_archE942ELNS1_3gpuE9ELNS1_3repE0EEENS1_36merge_oddeven_config_static_selectorELNS0_4arch9wavefront6targetE1EEEvSJ_.has_recursion, 0
	.set _ZN7rocprim17ROCPRIM_400000_NS6detail17trampoline_kernelINS0_14default_configENS1_38merge_sort_block_merge_config_selectorIttEEZZNS1_27merge_sort_block_merge_implIS3_N6thrust23THRUST_200600_302600_NS6detail15normal_iteratorINS8_10device_ptrItEEEESD_jNS1_19radix_merge_compareILb0ELb0EtNS0_19identity_decomposerEEEEE10hipError_tT0_T1_T2_jT3_P12ihipStream_tbPNSt15iterator_traitsISI_E10value_typeEPNSO_ISJ_E10value_typeEPSK_NS1_7vsmem_tEENKUlT_SI_SJ_SK_E_clIPtSD_S10_SD_EESH_SX_SI_SJ_SK_EUlSX_E1_NS1_11comp_targetILNS1_3genE5ELNS1_11target_archE942ELNS1_3gpuE9ELNS1_3repE0EEENS1_36merge_oddeven_config_static_selectorELNS0_4arch9wavefront6targetE1EEEvSJ_.has_indirect_call, 0
	.section	.AMDGPU.csdata,"",@progbits
; Kernel info:
; codeLenInByte = 0
; TotalNumSgprs: 6
; NumVgprs: 0
; NumAgprs: 0
; TotalNumVgprs: 0
; ScratchSize: 0
; MemoryBound: 0
; FloatMode: 240
; IeeeMode: 1
; LDSByteSize: 0 bytes/workgroup (compile time only)
; SGPRBlocks: 0
; VGPRBlocks: 0
; NumSGPRsForWavesPerEU: 6
; NumVGPRsForWavesPerEU: 1
; AccumOffset: 4
; Occupancy: 8
; WaveLimiterHint : 0
; COMPUTE_PGM_RSRC2:SCRATCH_EN: 0
; COMPUTE_PGM_RSRC2:USER_SGPR: 2
; COMPUTE_PGM_RSRC2:TRAP_HANDLER: 0
; COMPUTE_PGM_RSRC2:TGID_X_EN: 1
; COMPUTE_PGM_RSRC2:TGID_Y_EN: 0
; COMPUTE_PGM_RSRC2:TGID_Z_EN: 0
; COMPUTE_PGM_RSRC2:TIDIG_COMP_CNT: 0
; COMPUTE_PGM_RSRC3_GFX90A:ACCUM_OFFSET: 0
; COMPUTE_PGM_RSRC3_GFX90A:TG_SPLIT: 0
	.section	.text._ZN7rocprim17ROCPRIM_400000_NS6detail17trampoline_kernelINS0_14default_configENS1_38merge_sort_block_merge_config_selectorIttEEZZNS1_27merge_sort_block_merge_implIS3_N6thrust23THRUST_200600_302600_NS6detail15normal_iteratorINS8_10device_ptrItEEEESD_jNS1_19radix_merge_compareILb0ELb0EtNS0_19identity_decomposerEEEEE10hipError_tT0_T1_T2_jT3_P12ihipStream_tbPNSt15iterator_traitsISI_E10value_typeEPNSO_ISJ_E10value_typeEPSK_NS1_7vsmem_tEENKUlT_SI_SJ_SK_E_clIPtSD_S10_SD_EESH_SX_SI_SJ_SK_EUlSX_E1_NS1_11comp_targetILNS1_3genE4ELNS1_11target_archE910ELNS1_3gpuE8ELNS1_3repE0EEENS1_36merge_oddeven_config_static_selectorELNS0_4arch9wavefront6targetE1EEEvSJ_,"axG",@progbits,_ZN7rocprim17ROCPRIM_400000_NS6detail17trampoline_kernelINS0_14default_configENS1_38merge_sort_block_merge_config_selectorIttEEZZNS1_27merge_sort_block_merge_implIS3_N6thrust23THRUST_200600_302600_NS6detail15normal_iteratorINS8_10device_ptrItEEEESD_jNS1_19radix_merge_compareILb0ELb0EtNS0_19identity_decomposerEEEEE10hipError_tT0_T1_T2_jT3_P12ihipStream_tbPNSt15iterator_traitsISI_E10value_typeEPNSO_ISJ_E10value_typeEPSK_NS1_7vsmem_tEENKUlT_SI_SJ_SK_E_clIPtSD_S10_SD_EESH_SX_SI_SJ_SK_EUlSX_E1_NS1_11comp_targetILNS1_3genE4ELNS1_11target_archE910ELNS1_3gpuE8ELNS1_3repE0EEENS1_36merge_oddeven_config_static_selectorELNS0_4arch9wavefront6targetE1EEEvSJ_,comdat
	.protected	_ZN7rocprim17ROCPRIM_400000_NS6detail17trampoline_kernelINS0_14default_configENS1_38merge_sort_block_merge_config_selectorIttEEZZNS1_27merge_sort_block_merge_implIS3_N6thrust23THRUST_200600_302600_NS6detail15normal_iteratorINS8_10device_ptrItEEEESD_jNS1_19radix_merge_compareILb0ELb0EtNS0_19identity_decomposerEEEEE10hipError_tT0_T1_T2_jT3_P12ihipStream_tbPNSt15iterator_traitsISI_E10value_typeEPNSO_ISJ_E10value_typeEPSK_NS1_7vsmem_tEENKUlT_SI_SJ_SK_E_clIPtSD_S10_SD_EESH_SX_SI_SJ_SK_EUlSX_E1_NS1_11comp_targetILNS1_3genE4ELNS1_11target_archE910ELNS1_3gpuE8ELNS1_3repE0EEENS1_36merge_oddeven_config_static_selectorELNS0_4arch9wavefront6targetE1EEEvSJ_ ; -- Begin function _ZN7rocprim17ROCPRIM_400000_NS6detail17trampoline_kernelINS0_14default_configENS1_38merge_sort_block_merge_config_selectorIttEEZZNS1_27merge_sort_block_merge_implIS3_N6thrust23THRUST_200600_302600_NS6detail15normal_iteratorINS8_10device_ptrItEEEESD_jNS1_19radix_merge_compareILb0ELb0EtNS0_19identity_decomposerEEEEE10hipError_tT0_T1_T2_jT3_P12ihipStream_tbPNSt15iterator_traitsISI_E10value_typeEPNSO_ISJ_E10value_typeEPSK_NS1_7vsmem_tEENKUlT_SI_SJ_SK_E_clIPtSD_S10_SD_EESH_SX_SI_SJ_SK_EUlSX_E1_NS1_11comp_targetILNS1_3genE4ELNS1_11target_archE910ELNS1_3gpuE8ELNS1_3repE0EEENS1_36merge_oddeven_config_static_selectorELNS0_4arch9wavefront6targetE1EEEvSJ_
	.globl	_ZN7rocprim17ROCPRIM_400000_NS6detail17trampoline_kernelINS0_14default_configENS1_38merge_sort_block_merge_config_selectorIttEEZZNS1_27merge_sort_block_merge_implIS3_N6thrust23THRUST_200600_302600_NS6detail15normal_iteratorINS8_10device_ptrItEEEESD_jNS1_19radix_merge_compareILb0ELb0EtNS0_19identity_decomposerEEEEE10hipError_tT0_T1_T2_jT3_P12ihipStream_tbPNSt15iterator_traitsISI_E10value_typeEPNSO_ISJ_E10value_typeEPSK_NS1_7vsmem_tEENKUlT_SI_SJ_SK_E_clIPtSD_S10_SD_EESH_SX_SI_SJ_SK_EUlSX_E1_NS1_11comp_targetILNS1_3genE4ELNS1_11target_archE910ELNS1_3gpuE8ELNS1_3repE0EEENS1_36merge_oddeven_config_static_selectorELNS0_4arch9wavefront6targetE1EEEvSJ_
	.p2align	8
	.type	_ZN7rocprim17ROCPRIM_400000_NS6detail17trampoline_kernelINS0_14default_configENS1_38merge_sort_block_merge_config_selectorIttEEZZNS1_27merge_sort_block_merge_implIS3_N6thrust23THRUST_200600_302600_NS6detail15normal_iteratorINS8_10device_ptrItEEEESD_jNS1_19radix_merge_compareILb0ELb0EtNS0_19identity_decomposerEEEEE10hipError_tT0_T1_T2_jT3_P12ihipStream_tbPNSt15iterator_traitsISI_E10value_typeEPNSO_ISJ_E10value_typeEPSK_NS1_7vsmem_tEENKUlT_SI_SJ_SK_E_clIPtSD_S10_SD_EESH_SX_SI_SJ_SK_EUlSX_E1_NS1_11comp_targetILNS1_3genE4ELNS1_11target_archE910ELNS1_3gpuE8ELNS1_3repE0EEENS1_36merge_oddeven_config_static_selectorELNS0_4arch9wavefront6targetE1EEEvSJ_,@function
_ZN7rocprim17ROCPRIM_400000_NS6detail17trampoline_kernelINS0_14default_configENS1_38merge_sort_block_merge_config_selectorIttEEZZNS1_27merge_sort_block_merge_implIS3_N6thrust23THRUST_200600_302600_NS6detail15normal_iteratorINS8_10device_ptrItEEEESD_jNS1_19radix_merge_compareILb0ELb0EtNS0_19identity_decomposerEEEEE10hipError_tT0_T1_T2_jT3_P12ihipStream_tbPNSt15iterator_traitsISI_E10value_typeEPNSO_ISJ_E10value_typeEPSK_NS1_7vsmem_tEENKUlT_SI_SJ_SK_E_clIPtSD_S10_SD_EESH_SX_SI_SJ_SK_EUlSX_E1_NS1_11comp_targetILNS1_3genE4ELNS1_11target_archE910ELNS1_3gpuE8ELNS1_3repE0EEENS1_36merge_oddeven_config_static_selectorELNS0_4arch9wavefront6targetE1EEEvSJ_: ; @_ZN7rocprim17ROCPRIM_400000_NS6detail17trampoline_kernelINS0_14default_configENS1_38merge_sort_block_merge_config_selectorIttEEZZNS1_27merge_sort_block_merge_implIS3_N6thrust23THRUST_200600_302600_NS6detail15normal_iteratorINS8_10device_ptrItEEEESD_jNS1_19radix_merge_compareILb0ELb0EtNS0_19identity_decomposerEEEEE10hipError_tT0_T1_T2_jT3_P12ihipStream_tbPNSt15iterator_traitsISI_E10value_typeEPNSO_ISJ_E10value_typeEPSK_NS1_7vsmem_tEENKUlT_SI_SJ_SK_E_clIPtSD_S10_SD_EESH_SX_SI_SJ_SK_EUlSX_E1_NS1_11comp_targetILNS1_3genE4ELNS1_11target_archE910ELNS1_3gpuE8ELNS1_3repE0EEENS1_36merge_oddeven_config_static_selectorELNS0_4arch9wavefront6targetE1EEEvSJ_
; %bb.0:
	.section	.rodata,"a",@progbits
	.p2align	6, 0x0
	.amdhsa_kernel _ZN7rocprim17ROCPRIM_400000_NS6detail17trampoline_kernelINS0_14default_configENS1_38merge_sort_block_merge_config_selectorIttEEZZNS1_27merge_sort_block_merge_implIS3_N6thrust23THRUST_200600_302600_NS6detail15normal_iteratorINS8_10device_ptrItEEEESD_jNS1_19radix_merge_compareILb0ELb0EtNS0_19identity_decomposerEEEEE10hipError_tT0_T1_T2_jT3_P12ihipStream_tbPNSt15iterator_traitsISI_E10value_typeEPNSO_ISJ_E10value_typeEPSK_NS1_7vsmem_tEENKUlT_SI_SJ_SK_E_clIPtSD_S10_SD_EESH_SX_SI_SJ_SK_EUlSX_E1_NS1_11comp_targetILNS1_3genE4ELNS1_11target_archE910ELNS1_3gpuE8ELNS1_3repE0EEENS1_36merge_oddeven_config_static_selectorELNS0_4arch9wavefront6targetE1EEEvSJ_
		.amdhsa_group_segment_fixed_size 0
		.amdhsa_private_segment_fixed_size 0
		.amdhsa_kernarg_size 48
		.amdhsa_user_sgpr_count 2
		.amdhsa_user_sgpr_dispatch_ptr 0
		.amdhsa_user_sgpr_queue_ptr 0
		.amdhsa_user_sgpr_kernarg_segment_ptr 1
		.amdhsa_user_sgpr_dispatch_id 0
		.amdhsa_user_sgpr_kernarg_preload_length 0
		.amdhsa_user_sgpr_kernarg_preload_offset 0
		.amdhsa_user_sgpr_private_segment_size 0
		.amdhsa_uses_dynamic_stack 0
		.amdhsa_enable_private_segment 0
		.amdhsa_system_sgpr_workgroup_id_x 1
		.amdhsa_system_sgpr_workgroup_id_y 0
		.amdhsa_system_sgpr_workgroup_id_z 0
		.amdhsa_system_sgpr_workgroup_info 0
		.amdhsa_system_vgpr_workitem_id 0
		.amdhsa_next_free_vgpr 1
		.amdhsa_next_free_sgpr 0
		.amdhsa_accum_offset 4
		.amdhsa_reserve_vcc 0
		.amdhsa_float_round_mode_32 0
		.amdhsa_float_round_mode_16_64 0
		.amdhsa_float_denorm_mode_32 3
		.amdhsa_float_denorm_mode_16_64 3
		.amdhsa_dx10_clamp 1
		.amdhsa_ieee_mode 1
		.amdhsa_fp16_overflow 0
		.amdhsa_tg_split 0
		.amdhsa_exception_fp_ieee_invalid_op 0
		.amdhsa_exception_fp_denorm_src 0
		.amdhsa_exception_fp_ieee_div_zero 0
		.amdhsa_exception_fp_ieee_overflow 0
		.amdhsa_exception_fp_ieee_underflow 0
		.amdhsa_exception_fp_ieee_inexact 0
		.amdhsa_exception_int_div_zero 0
	.end_amdhsa_kernel
	.section	.text._ZN7rocprim17ROCPRIM_400000_NS6detail17trampoline_kernelINS0_14default_configENS1_38merge_sort_block_merge_config_selectorIttEEZZNS1_27merge_sort_block_merge_implIS3_N6thrust23THRUST_200600_302600_NS6detail15normal_iteratorINS8_10device_ptrItEEEESD_jNS1_19radix_merge_compareILb0ELb0EtNS0_19identity_decomposerEEEEE10hipError_tT0_T1_T2_jT3_P12ihipStream_tbPNSt15iterator_traitsISI_E10value_typeEPNSO_ISJ_E10value_typeEPSK_NS1_7vsmem_tEENKUlT_SI_SJ_SK_E_clIPtSD_S10_SD_EESH_SX_SI_SJ_SK_EUlSX_E1_NS1_11comp_targetILNS1_3genE4ELNS1_11target_archE910ELNS1_3gpuE8ELNS1_3repE0EEENS1_36merge_oddeven_config_static_selectorELNS0_4arch9wavefront6targetE1EEEvSJ_,"axG",@progbits,_ZN7rocprim17ROCPRIM_400000_NS6detail17trampoline_kernelINS0_14default_configENS1_38merge_sort_block_merge_config_selectorIttEEZZNS1_27merge_sort_block_merge_implIS3_N6thrust23THRUST_200600_302600_NS6detail15normal_iteratorINS8_10device_ptrItEEEESD_jNS1_19radix_merge_compareILb0ELb0EtNS0_19identity_decomposerEEEEE10hipError_tT0_T1_T2_jT3_P12ihipStream_tbPNSt15iterator_traitsISI_E10value_typeEPNSO_ISJ_E10value_typeEPSK_NS1_7vsmem_tEENKUlT_SI_SJ_SK_E_clIPtSD_S10_SD_EESH_SX_SI_SJ_SK_EUlSX_E1_NS1_11comp_targetILNS1_3genE4ELNS1_11target_archE910ELNS1_3gpuE8ELNS1_3repE0EEENS1_36merge_oddeven_config_static_selectorELNS0_4arch9wavefront6targetE1EEEvSJ_,comdat
.Lfunc_end861:
	.size	_ZN7rocprim17ROCPRIM_400000_NS6detail17trampoline_kernelINS0_14default_configENS1_38merge_sort_block_merge_config_selectorIttEEZZNS1_27merge_sort_block_merge_implIS3_N6thrust23THRUST_200600_302600_NS6detail15normal_iteratorINS8_10device_ptrItEEEESD_jNS1_19radix_merge_compareILb0ELb0EtNS0_19identity_decomposerEEEEE10hipError_tT0_T1_T2_jT3_P12ihipStream_tbPNSt15iterator_traitsISI_E10value_typeEPNSO_ISJ_E10value_typeEPSK_NS1_7vsmem_tEENKUlT_SI_SJ_SK_E_clIPtSD_S10_SD_EESH_SX_SI_SJ_SK_EUlSX_E1_NS1_11comp_targetILNS1_3genE4ELNS1_11target_archE910ELNS1_3gpuE8ELNS1_3repE0EEENS1_36merge_oddeven_config_static_selectorELNS0_4arch9wavefront6targetE1EEEvSJ_, .Lfunc_end861-_ZN7rocprim17ROCPRIM_400000_NS6detail17trampoline_kernelINS0_14default_configENS1_38merge_sort_block_merge_config_selectorIttEEZZNS1_27merge_sort_block_merge_implIS3_N6thrust23THRUST_200600_302600_NS6detail15normal_iteratorINS8_10device_ptrItEEEESD_jNS1_19radix_merge_compareILb0ELb0EtNS0_19identity_decomposerEEEEE10hipError_tT0_T1_T2_jT3_P12ihipStream_tbPNSt15iterator_traitsISI_E10value_typeEPNSO_ISJ_E10value_typeEPSK_NS1_7vsmem_tEENKUlT_SI_SJ_SK_E_clIPtSD_S10_SD_EESH_SX_SI_SJ_SK_EUlSX_E1_NS1_11comp_targetILNS1_3genE4ELNS1_11target_archE910ELNS1_3gpuE8ELNS1_3repE0EEENS1_36merge_oddeven_config_static_selectorELNS0_4arch9wavefront6targetE1EEEvSJ_
                                        ; -- End function
	.set _ZN7rocprim17ROCPRIM_400000_NS6detail17trampoline_kernelINS0_14default_configENS1_38merge_sort_block_merge_config_selectorIttEEZZNS1_27merge_sort_block_merge_implIS3_N6thrust23THRUST_200600_302600_NS6detail15normal_iteratorINS8_10device_ptrItEEEESD_jNS1_19radix_merge_compareILb0ELb0EtNS0_19identity_decomposerEEEEE10hipError_tT0_T1_T2_jT3_P12ihipStream_tbPNSt15iterator_traitsISI_E10value_typeEPNSO_ISJ_E10value_typeEPSK_NS1_7vsmem_tEENKUlT_SI_SJ_SK_E_clIPtSD_S10_SD_EESH_SX_SI_SJ_SK_EUlSX_E1_NS1_11comp_targetILNS1_3genE4ELNS1_11target_archE910ELNS1_3gpuE8ELNS1_3repE0EEENS1_36merge_oddeven_config_static_selectorELNS0_4arch9wavefront6targetE1EEEvSJ_.num_vgpr, 0
	.set _ZN7rocprim17ROCPRIM_400000_NS6detail17trampoline_kernelINS0_14default_configENS1_38merge_sort_block_merge_config_selectorIttEEZZNS1_27merge_sort_block_merge_implIS3_N6thrust23THRUST_200600_302600_NS6detail15normal_iteratorINS8_10device_ptrItEEEESD_jNS1_19radix_merge_compareILb0ELb0EtNS0_19identity_decomposerEEEEE10hipError_tT0_T1_T2_jT3_P12ihipStream_tbPNSt15iterator_traitsISI_E10value_typeEPNSO_ISJ_E10value_typeEPSK_NS1_7vsmem_tEENKUlT_SI_SJ_SK_E_clIPtSD_S10_SD_EESH_SX_SI_SJ_SK_EUlSX_E1_NS1_11comp_targetILNS1_3genE4ELNS1_11target_archE910ELNS1_3gpuE8ELNS1_3repE0EEENS1_36merge_oddeven_config_static_selectorELNS0_4arch9wavefront6targetE1EEEvSJ_.num_agpr, 0
	.set _ZN7rocprim17ROCPRIM_400000_NS6detail17trampoline_kernelINS0_14default_configENS1_38merge_sort_block_merge_config_selectorIttEEZZNS1_27merge_sort_block_merge_implIS3_N6thrust23THRUST_200600_302600_NS6detail15normal_iteratorINS8_10device_ptrItEEEESD_jNS1_19radix_merge_compareILb0ELb0EtNS0_19identity_decomposerEEEEE10hipError_tT0_T1_T2_jT3_P12ihipStream_tbPNSt15iterator_traitsISI_E10value_typeEPNSO_ISJ_E10value_typeEPSK_NS1_7vsmem_tEENKUlT_SI_SJ_SK_E_clIPtSD_S10_SD_EESH_SX_SI_SJ_SK_EUlSX_E1_NS1_11comp_targetILNS1_3genE4ELNS1_11target_archE910ELNS1_3gpuE8ELNS1_3repE0EEENS1_36merge_oddeven_config_static_selectorELNS0_4arch9wavefront6targetE1EEEvSJ_.numbered_sgpr, 0
	.set _ZN7rocprim17ROCPRIM_400000_NS6detail17trampoline_kernelINS0_14default_configENS1_38merge_sort_block_merge_config_selectorIttEEZZNS1_27merge_sort_block_merge_implIS3_N6thrust23THRUST_200600_302600_NS6detail15normal_iteratorINS8_10device_ptrItEEEESD_jNS1_19radix_merge_compareILb0ELb0EtNS0_19identity_decomposerEEEEE10hipError_tT0_T1_T2_jT3_P12ihipStream_tbPNSt15iterator_traitsISI_E10value_typeEPNSO_ISJ_E10value_typeEPSK_NS1_7vsmem_tEENKUlT_SI_SJ_SK_E_clIPtSD_S10_SD_EESH_SX_SI_SJ_SK_EUlSX_E1_NS1_11comp_targetILNS1_3genE4ELNS1_11target_archE910ELNS1_3gpuE8ELNS1_3repE0EEENS1_36merge_oddeven_config_static_selectorELNS0_4arch9wavefront6targetE1EEEvSJ_.num_named_barrier, 0
	.set _ZN7rocprim17ROCPRIM_400000_NS6detail17trampoline_kernelINS0_14default_configENS1_38merge_sort_block_merge_config_selectorIttEEZZNS1_27merge_sort_block_merge_implIS3_N6thrust23THRUST_200600_302600_NS6detail15normal_iteratorINS8_10device_ptrItEEEESD_jNS1_19radix_merge_compareILb0ELb0EtNS0_19identity_decomposerEEEEE10hipError_tT0_T1_T2_jT3_P12ihipStream_tbPNSt15iterator_traitsISI_E10value_typeEPNSO_ISJ_E10value_typeEPSK_NS1_7vsmem_tEENKUlT_SI_SJ_SK_E_clIPtSD_S10_SD_EESH_SX_SI_SJ_SK_EUlSX_E1_NS1_11comp_targetILNS1_3genE4ELNS1_11target_archE910ELNS1_3gpuE8ELNS1_3repE0EEENS1_36merge_oddeven_config_static_selectorELNS0_4arch9wavefront6targetE1EEEvSJ_.private_seg_size, 0
	.set _ZN7rocprim17ROCPRIM_400000_NS6detail17trampoline_kernelINS0_14default_configENS1_38merge_sort_block_merge_config_selectorIttEEZZNS1_27merge_sort_block_merge_implIS3_N6thrust23THRUST_200600_302600_NS6detail15normal_iteratorINS8_10device_ptrItEEEESD_jNS1_19radix_merge_compareILb0ELb0EtNS0_19identity_decomposerEEEEE10hipError_tT0_T1_T2_jT3_P12ihipStream_tbPNSt15iterator_traitsISI_E10value_typeEPNSO_ISJ_E10value_typeEPSK_NS1_7vsmem_tEENKUlT_SI_SJ_SK_E_clIPtSD_S10_SD_EESH_SX_SI_SJ_SK_EUlSX_E1_NS1_11comp_targetILNS1_3genE4ELNS1_11target_archE910ELNS1_3gpuE8ELNS1_3repE0EEENS1_36merge_oddeven_config_static_selectorELNS0_4arch9wavefront6targetE1EEEvSJ_.uses_vcc, 0
	.set _ZN7rocprim17ROCPRIM_400000_NS6detail17trampoline_kernelINS0_14default_configENS1_38merge_sort_block_merge_config_selectorIttEEZZNS1_27merge_sort_block_merge_implIS3_N6thrust23THRUST_200600_302600_NS6detail15normal_iteratorINS8_10device_ptrItEEEESD_jNS1_19radix_merge_compareILb0ELb0EtNS0_19identity_decomposerEEEEE10hipError_tT0_T1_T2_jT3_P12ihipStream_tbPNSt15iterator_traitsISI_E10value_typeEPNSO_ISJ_E10value_typeEPSK_NS1_7vsmem_tEENKUlT_SI_SJ_SK_E_clIPtSD_S10_SD_EESH_SX_SI_SJ_SK_EUlSX_E1_NS1_11comp_targetILNS1_3genE4ELNS1_11target_archE910ELNS1_3gpuE8ELNS1_3repE0EEENS1_36merge_oddeven_config_static_selectorELNS0_4arch9wavefront6targetE1EEEvSJ_.uses_flat_scratch, 0
	.set _ZN7rocprim17ROCPRIM_400000_NS6detail17trampoline_kernelINS0_14default_configENS1_38merge_sort_block_merge_config_selectorIttEEZZNS1_27merge_sort_block_merge_implIS3_N6thrust23THRUST_200600_302600_NS6detail15normal_iteratorINS8_10device_ptrItEEEESD_jNS1_19radix_merge_compareILb0ELb0EtNS0_19identity_decomposerEEEEE10hipError_tT0_T1_T2_jT3_P12ihipStream_tbPNSt15iterator_traitsISI_E10value_typeEPNSO_ISJ_E10value_typeEPSK_NS1_7vsmem_tEENKUlT_SI_SJ_SK_E_clIPtSD_S10_SD_EESH_SX_SI_SJ_SK_EUlSX_E1_NS1_11comp_targetILNS1_3genE4ELNS1_11target_archE910ELNS1_3gpuE8ELNS1_3repE0EEENS1_36merge_oddeven_config_static_selectorELNS0_4arch9wavefront6targetE1EEEvSJ_.has_dyn_sized_stack, 0
	.set _ZN7rocprim17ROCPRIM_400000_NS6detail17trampoline_kernelINS0_14default_configENS1_38merge_sort_block_merge_config_selectorIttEEZZNS1_27merge_sort_block_merge_implIS3_N6thrust23THRUST_200600_302600_NS6detail15normal_iteratorINS8_10device_ptrItEEEESD_jNS1_19radix_merge_compareILb0ELb0EtNS0_19identity_decomposerEEEEE10hipError_tT0_T1_T2_jT3_P12ihipStream_tbPNSt15iterator_traitsISI_E10value_typeEPNSO_ISJ_E10value_typeEPSK_NS1_7vsmem_tEENKUlT_SI_SJ_SK_E_clIPtSD_S10_SD_EESH_SX_SI_SJ_SK_EUlSX_E1_NS1_11comp_targetILNS1_3genE4ELNS1_11target_archE910ELNS1_3gpuE8ELNS1_3repE0EEENS1_36merge_oddeven_config_static_selectorELNS0_4arch9wavefront6targetE1EEEvSJ_.has_recursion, 0
	.set _ZN7rocprim17ROCPRIM_400000_NS6detail17trampoline_kernelINS0_14default_configENS1_38merge_sort_block_merge_config_selectorIttEEZZNS1_27merge_sort_block_merge_implIS3_N6thrust23THRUST_200600_302600_NS6detail15normal_iteratorINS8_10device_ptrItEEEESD_jNS1_19radix_merge_compareILb0ELb0EtNS0_19identity_decomposerEEEEE10hipError_tT0_T1_T2_jT3_P12ihipStream_tbPNSt15iterator_traitsISI_E10value_typeEPNSO_ISJ_E10value_typeEPSK_NS1_7vsmem_tEENKUlT_SI_SJ_SK_E_clIPtSD_S10_SD_EESH_SX_SI_SJ_SK_EUlSX_E1_NS1_11comp_targetILNS1_3genE4ELNS1_11target_archE910ELNS1_3gpuE8ELNS1_3repE0EEENS1_36merge_oddeven_config_static_selectorELNS0_4arch9wavefront6targetE1EEEvSJ_.has_indirect_call, 0
	.section	.AMDGPU.csdata,"",@progbits
; Kernel info:
; codeLenInByte = 0
; TotalNumSgprs: 6
; NumVgprs: 0
; NumAgprs: 0
; TotalNumVgprs: 0
; ScratchSize: 0
; MemoryBound: 0
; FloatMode: 240
; IeeeMode: 1
; LDSByteSize: 0 bytes/workgroup (compile time only)
; SGPRBlocks: 0
; VGPRBlocks: 0
; NumSGPRsForWavesPerEU: 6
; NumVGPRsForWavesPerEU: 1
; AccumOffset: 4
; Occupancy: 8
; WaveLimiterHint : 0
; COMPUTE_PGM_RSRC2:SCRATCH_EN: 0
; COMPUTE_PGM_RSRC2:USER_SGPR: 2
; COMPUTE_PGM_RSRC2:TRAP_HANDLER: 0
; COMPUTE_PGM_RSRC2:TGID_X_EN: 1
; COMPUTE_PGM_RSRC2:TGID_Y_EN: 0
; COMPUTE_PGM_RSRC2:TGID_Z_EN: 0
; COMPUTE_PGM_RSRC2:TIDIG_COMP_CNT: 0
; COMPUTE_PGM_RSRC3_GFX90A:ACCUM_OFFSET: 0
; COMPUTE_PGM_RSRC3_GFX90A:TG_SPLIT: 0
	.section	.text._ZN7rocprim17ROCPRIM_400000_NS6detail17trampoline_kernelINS0_14default_configENS1_38merge_sort_block_merge_config_selectorIttEEZZNS1_27merge_sort_block_merge_implIS3_N6thrust23THRUST_200600_302600_NS6detail15normal_iteratorINS8_10device_ptrItEEEESD_jNS1_19radix_merge_compareILb0ELb0EtNS0_19identity_decomposerEEEEE10hipError_tT0_T1_T2_jT3_P12ihipStream_tbPNSt15iterator_traitsISI_E10value_typeEPNSO_ISJ_E10value_typeEPSK_NS1_7vsmem_tEENKUlT_SI_SJ_SK_E_clIPtSD_S10_SD_EESH_SX_SI_SJ_SK_EUlSX_E1_NS1_11comp_targetILNS1_3genE3ELNS1_11target_archE908ELNS1_3gpuE7ELNS1_3repE0EEENS1_36merge_oddeven_config_static_selectorELNS0_4arch9wavefront6targetE1EEEvSJ_,"axG",@progbits,_ZN7rocprim17ROCPRIM_400000_NS6detail17trampoline_kernelINS0_14default_configENS1_38merge_sort_block_merge_config_selectorIttEEZZNS1_27merge_sort_block_merge_implIS3_N6thrust23THRUST_200600_302600_NS6detail15normal_iteratorINS8_10device_ptrItEEEESD_jNS1_19radix_merge_compareILb0ELb0EtNS0_19identity_decomposerEEEEE10hipError_tT0_T1_T2_jT3_P12ihipStream_tbPNSt15iterator_traitsISI_E10value_typeEPNSO_ISJ_E10value_typeEPSK_NS1_7vsmem_tEENKUlT_SI_SJ_SK_E_clIPtSD_S10_SD_EESH_SX_SI_SJ_SK_EUlSX_E1_NS1_11comp_targetILNS1_3genE3ELNS1_11target_archE908ELNS1_3gpuE7ELNS1_3repE0EEENS1_36merge_oddeven_config_static_selectorELNS0_4arch9wavefront6targetE1EEEvSJ_,comdat
	.protected	_ZN7rocprim17ROCPRIM_400000_NS6detail17trampoline_kernelINS0_14default_configENS1_38merge_sort_block_merge_config_selectorIttEEZZNS1_27merge_sort_block_merge_implIS3_N6thrust23THRUST_200600_302600_NS6detail15normal_iteratorINS8_10device_ptrItEEEESD_jNS1_19radix_merge_compareILb0ELb0EtNS0_19identity_decomposerEEEEE10hipError_tT0_T1_T2_jT3_P12ihipStream_tbPNSt15iterator_traitsISI_E10value_typeEPNSO_ISJ_E10value_typeEPSK_NS1_7vsmem_tEENKUlT_SI_SJ_SK_E_clIPtSD_S10_SD_EESH_SX_SI_SJ_SK_EUlSX_E1_NS1_11comp_targetILNS1_3genE3ELNS1_11target_archE908ELNS1_3gpuE7ELNS1_3repE0EEENS1_36merge_oddeven_config_static_selectorELNS0_4arch9wavefront6targetE1EEEvSJ_ ; -- Begin function _ZN7rocprim17ROCPRIM_400000_NS6detail17trampoline_kernelINS0_14default_configENS1_38merge_sort_block_merge_config_selectorIttEEZZNS1_27merge_sort_block_merge_implIS3_N6thrust23THRUST_200600_302600_NS6detail15normal_iteratorINS8_10device_ptrItEEEESD_jNS1_19radix_merge_compareILb0ELb0EtNS0_19identity_decomposerEEEEE10hipError_tT0_T1_T2_jT3_P12ihipStream_tbPNSt15iterator_traitsISI_E10value_typeEPNSO_ISJ_E10value_typeEPSK_NS1_7vsmem_tEENKUlT_SI_SJ_SK_E_clIPtSD_S10_SD_EESH_SX_SI_SJ_SK_EUlSX_E1_NS1_11comp_targetILNS1_3genE3ELNS1_11target_archE908ELNS1_3gpuE7ELNS1_3repE0EEENS1_36merge_oddeven_config_static_selectorELNS0_4arch9wavefront6targetE1EEEvSJ_
	.globl	_ZN7rocprim17ROCPRIM_400000_NS6detail17trampoline_kernelINS0_14default_configENS1_38merge_sort_block_merge_config_selectorIttEEZZNS1_27merge_sort_block_merge_implIS3_N6thrust23THRUST_200600_302600_NS6detail15normal_iteratorINS8_10device_ptrItEEEESD_jNS1_19radix_merge_compareILb0ELb0EtNS0_19identity_decomposerEEEEE10hipError_tT0_T1_T2_jT3_P12ihipStream_tbPNSt15iterator_traitsISI_E10value_typeEPNSO_ISJ_E10value_typeEPSK_NS1_7vsmem_tEENKUlT_SI_SJ_SK_E_clIPtSD_S10_SD_EESH_SX_SI_SJ_SK_EUlSX_E1_NS1_11comp_targetILNS1_3genE3ELNS1_11target_archE908ELNS1_3gpuE7ELNS1_3repE0EEENS1_36merge_oddeven_config_static_selectorELNS0_4arch9wavefront6targetE1EEEvSJ_
	.p2align	8
	.type	_ZN7rocprim17ROCPRIM_400000_NS6detail17trampoline_kernelINS0_14default_configENS1_38merge_sort_block_merge_config_selectorIttEEZZNS1_27merge_sort_block_merge_implIS3_N6thrust23THRUST_200600_302600_NS6detail15normal_iteratorINS8_10device_ptrItEEEESD_jNS1_19radix_merge_compareILb0ELb0EtNS0_19identity_decomposerEEEEE10hipError_tT0_T1_T2_jT3_P12ihipStream_tbPNSt15iterator_traitsISI_E10value_typeEPNSO_ISJ_E10value_typeEPSK_NS1_7vsmem_tEENKUlT_SI_SJ_SK_E_clIPtSD_S10_SD_EESH_SX_SI_SJ_SK_EUlSX_E1_NS1_11comp_targetILNS1_3genE3ELNS1_11target_archE908ELNS1_3gpuE7ELNS1_3repE0EEENS1_36merge_oddeven_config_static_selectorELNS0_4arch9wavefront6targetE1EEEvSJ_,@function
_ZN7rocprim17ROCPRIM_400000_NS6detail17trampoline_kernelINS0_14default_configENS1_38merge_sort_block_merge_config_selectorIttEEZZNS1_27merge_sort_block_merge_implIS3_N6thrust23THRUST_200600_302600_NS6detail15normal_iteratorINS8_10device_ptrItEEEESD_jNS1_19radix_merge_compareILb0ELb0EtNS0_19identity_decomposerEEEEE10hipError_tT0_T1_T2_jT3_P12ihipStream_tbPNSt15iterator_traitsISI_E10value_typeEPNSO_ISJ_E10value_typeEPSK_NS1_7vsmem_tEENKUlT_SI_SJ_SK_E_clIPtSD_S10_SD_EESH_SX_SI_SJ_SK_EUlSX_E1_NS1_11comp_targetILNS1_3genE3ELNS1_11target_archE908ELNS1_3gpuE7ELNS1_3repE0EEENS1_36merge_oddeven_config_static_selectorELNS0_4arch9wavefront6targetE1EEEvSJ_: ; @_ZN7rocprim17ROCPRIM_400000_NS6detail17trampoline_kernelINS0_14default_configENS1_38merge_sort_block_merge_config_selectorIttEEZZNS1_27merge_sort_block_merge_implIS3_N6thrust23THRUST_200600_302600_NS6detail15normal_iteratorINS8_10device_ptrItEEEESD_jNS1_19radix_merge_compareILb0ELb0EtNS0_19identity_decomposerEEEEE10hipError_tT0_T1_T2_jT3_P12ihipStream_tbPNSt15iterator_traitsISI_E10value_typeEPNSO_ISJ_E10value_typeEPSK_NS1_7vsmem_tEENKUlT_SI_SJ_SK_E_clIPtSD_S10_SD_EESH_SX_SI_SJ_SK_EUlSX_E1_NS1_11comp_targetILNS1_3genE3ELNS1_11target_archE908ELNS1_3gpuE7ELNS1_3repE0EEENS1_36merge_oddeven_config_static_selectorELNS0_4arch9wavefront6targetE1EEEvSJ_
; %bb.0:
	.section	.rodata,"a",@progbits
	.p2align	6, 0x0
	.amdhsa_kernel _ZN7rocprim17ROCPRIM_400000_NS6detail17trampoline_kernelINS0_14default_configENS1_38merge_sort_block_merge_config_selectorIttEEZZNS1_27merge_sort_block_merge_implIS3_N6thrust23THRUST_200600_302600_NS6detail15normal_iteratorINS8_10device_ptrItEEEESD_jNS1_19radix_merge_compareILb0ELb0EtNS0_19identity_decomposerEEEEE10hipError_tT0_T1_T2_jT3_P12ihipStream_tbPNSt15iterator_traitsISI_E10value_typeEPNSO_ISJ_E10value_typeEPSK_NS1_7vsmem_tEENKUlT_SI_SJ_SK_E_clIPtSD_S10_SD_EESH_SX_SI_SJ_SK_EUlSX_E1_NS1_11comp_targetILNS1_3genE3ELNS1_11target_archE908ELNS1_3gpuE7ELNS1_3repE0EEENS1_36merge_oddeven_config_static_selectorELNS0_4arch9wavefront6targetE1EEEvSJ_
		.amdhsa_group_segment_fixed_size 0
		.amdhsa_private_segment_fixed_size 0
		.amdhsa_kernarg_size 48
		.amdhsa_user_sgpr_count 2
		.amdhsa_user_sgpr_dispatch_ptr 0
		.amdhsa_user_sgpr_queue_ptr 0
		.amdhsa_user_sgpr_kernarg_segment_ptr 1
		.amdhsa_user_sgpr_dispatch_id 0
		.amdhsa_user_sgpr_kernarg_preload_length 0
		.amdhsa_user_sgpr_kernarg_preload_offset 0
		.amdhsa_user_sgpr_private_segment_size 0
		.amdhsa_uses_dynamic_stack 0
		.amdhsa_enable_private_segment 0
		.amdhsa_system_sgpr_workgroup_id_x 1
		.amdhsa_system_sgpr_workgroup_id_y 0
		.amdhsa_system_sgpr_workgroup_id_z 0
		.amdhsa_system_sgpr_workgroup_info 0
		.amdhsa_system_vgpr_workitem_id 0
		.amdhsa_next_free_vgpr 1
		.amdhsa_next_free_sgpr 0
		.amdhsa_accum_offset 4
		.amdhsa_reserve_vcc 0
		.amdhsa_float_round_mode_32 0
		.amdhsa_float_round_mode_16_64 0
		.amdhsa_float_denorm_mode_32 3
		.amdhsa_float_denorm_mode_16_64 3
		.amdhsa_dx10_clamp 1
		.amdhsa_ieee_mode 1
		.amdhsa_fp16_overflow 0
		.amdhsa_tg_split 0
		.amdhsa_exception_fp_ieee_invalid_op 0
		.amdhsa_exception_fp_denorm_src 0
		.amdhsa_exception_fp_ieee_div_zero 0
		.amdhsa_exception_fp_ieee_overflow 0
		.amdhsa_exception_fp_ieee_underflow 0
		.amdhsa_exception_fp_ieee_inexact 0
		.amdhsa_exception_int_div_zero 0
	.end_amdhsa_kernel
	.section	.text._ZN7rocprim17ROCPRIM_400000_NS6detail17trampoline_kernelINS0_14default_configENS1_38merge_sort_block_merge_config_selectorIttEEZZNS1_27merge_sort_block_merge_implIS3_N6thrust23THRUST_200600_302600_NS6detail15normal_iteratorINS8_10device_ptrItEEEESD_jNS1_19radix_merge_compareILb0ELb0EtNS0_19identity_decomposerEEEEE10hipError_tT0_T1_T2_jT3_P12ihipStream_tbPNSt15iterator_traitsISI_E10value_typeEPNSO_ISJ_E10value_typeEPSK_NS1_7vsmem_tEENKUlT_SI_SJ_SK_E_clIPtSD_S10_SD_EESH_SX_SI_SJ_SK_EUlSX_E1_NS1_11comp_targetILNS1_3genE3ELNS1_11target_archE908ELNS1_3gpuE7ELNS1_3repE0EEENS1_36merge_oddeven_config_static_selectorELNS0_4arch9wavefront6targetE1EEEvSJ_,"axG",@progbits,_ZN7rocprim17ROCPRIM_400000_NS6detail17trampoline_kernelINS0_14default_configENS1_38merge_sort_block_merge_config_selectorIttEEZZNS1_27merge_sort_block_merge_implIS3_N6thrust23THRUST_200600_302600_NS6detail15normal_iteratorINS8_10device_ptrItEEEESD_jNS1_19radix_merge_compareILb0ELb0EtNS0_19identity_decomposerEEEEE10hipError_tT0_T1_T2_jT3_P12ihipStream_tbPNSt15iterator_traitsISI_E10value_typeEPNSO_ISJ_E10value_typeEPSK_NS1_7vsmem_tEENKUlT_SI_SJ_SK_E_clIPtSD_S10_SD_EESH_SX_SI_SJ_SK_EUlSX_E1_NS1_11comp_targetILNS1_3genE3ELNS1_11target_archE908ELNS1_3gpuE7ELNS1_3repE0EEENS1_36merge_oddeven_config_static_selectorELNS0_4arch9wavefront6targetE1EEEvSJ_,comdat
.Lfunc_end862:
	.size	_ZN7rocprim17ROCPRIM_400000_NS6detail17trampoline_kernelINS0_14default_configENS1_38merge_sort_block_merge_config_selectorIttEEZZNS1_27merge_sort_block_merge_implIS3_N6thrust23THRUST_200600_302600_NS6detail15normal_iteratorINS8_10device_ptrItEEEESD_jNS1_19radix_merge_compareILb0ELb0EtNS0_19identity_decomposerEEEEE10hipError_tT0_T1_T2_jT3_P12ihipStream_tbPNSt15iterator_traitsISI_E10value_typeEPNSO_ISJ_E10value_typeEPSK_NS1_7vsmem_tEENKUlT_SI_SJ_SK_E_clIPtSD_S10_SD_EESH_SX_SI_SJ_SK_EUlSX_E1_NS1_11comp_targetILNS1_3genE3ELNS1_11target_archE908ELNS1_3gpuE7ELNS1_3repE0EEENS1_36merge_oddeven_config_static_selectorELNS0_4arch9wavefront6targetE1EEEvSJ_, .Lfunc_end862-_ZN7rocprim17ROCPRIM_400000_NS6detail17trampoline_kernelINS0_14default_configENS1_38merge_sort_block_merge_config_selectorIttEEZZNS1_27merge_sort_block_merge_implIS3_N6thrust23THRUST_200600_302600_NS6detail15normal_iteratorINS8_10device_ptrItEEEESD_jNS1_19radix_merge_compareILb0ELb0EtNS0_19identity_decomposerEEEEE10hipError_tT0_T1_T2_jT3_P12ihipStream_tbPNSt15iterator_traitsISI_E10value_typeEPNSO_ISJ_E10value_typeEPSK_NS1_7vsmem_tEENKUlT_SI_SJ_SK_E_clIPtSD_S10_SD_EESH_SX_SI_SJ_SK_EUlSX_E1_NS1_11comp_targetILNS1_3genE3ELNS1_11target_archE908ELNS1_3gpuE7ELNS1_3repE0EEENS1_36merge_oddeven_config_static_selectorELNS0_4arch9wavefront6targetE1EEEvSJ_
                                        ; -- End function
	.set _ZN7rocprim17ROCPRIM_400000_NS6detail17trampoline_kernelINS0_14default_configENS1_38merge_sort_block_merge_config_selectorIttEEZZNS1_27merge_sort_block_merge_implIS3_N6thrust23THRUST_200600_302600_NS6detail15normal_iteratorINS8_10device_ptrItEEEESD_jNS1_19radix_merge_compareILb0ELb0EtNS0_19identity_decomposerEEEEE10hipError_tT0_T1_T2_jT3_P12ihipStream_tbPNSt15iterator_traitsISI_E10value_typeEPNSO_ISJ_E10value_typeEPSK_NS1_7vsmem_tEENKUlT_SI_SJ_SK_E_clIPtSD_S10_SD_EESH_SX_SI_SJ_SK_EUlSX_E1_NS1_11comp_targetILNS1_3genE3ELNS1_11target_archE908ELNS1_3gpuE7ELNS1_3repE0EEENS1_36merge_oddeven_config_static_selectorELNS0_4arch9wavefront6targetE1EEEvSJ_.num_vgpr, 0
	.set _ZN7rocprim17ROCPRIM_400000_NS6detail17trampoline_kernelINS0_14default_configENS1_38merge_sort_block_merge_config_selectorIttEEZZNS1_27merge_sort_block_merge_implIS3_N6thrust23THRUST_200600_302600_NS6detail15normal_iteratorINS8_10device_ptrItEEEESD_jNS1_19radix_merge_compareILb0ELb0EtNS0_19identity_decomposerEEEEE10hipError_tT0_T1_T2_jT3_P12ihipStream_tbPNSt15iterator_traitsISI_E10value_typeEPNSO_ISJ_E10value_typeEPSK_NS1_7vsmem_tEENKUlT_SI_SJ_SK_E_clIPtSD_S10_SD_EESH_SX_SI_SJ_SK_EUlSX_E1_NS1_11comp_targetILNS1_3genE3ELNS1_11target_archE908ELNS1_3gpuE7ELNS1_3repE0EEENS1_36merge_oddeven_config_static_selectorELNS0_4arch9wavefront6targetE1EEEvSJ_.num_agpr, 0
	.set _ZN7rocprim17ROCPRIM_400000_NS6detail17trampoline_kernelINS0_14default_configENS1_38merge_sort_block_merge_config_selectorIttEEZZNS1_27merge_sort_block_merge_implIS3_N6thrust23THRUST_200600_302600_NS6detail15normal_iteratorINS8_10device_ptrItEEEESD_jNS1_19radix_merge_compareILb0ELb0EtNS0_19identity_decomposerEEEEE10hipError_tT0_T1_T2_jT3_P12ihipStream_tbPNSt15iterator_traitsISI_E10value_typeEPNSO_ISJ_E10value_typeEPSK_NS1_7vsmem_tEENKUlT_SI_SJ_SK_E_clIPtSD_S10_SD_EESH_SX_SI_SJ_SK_EUlSX_E1_NS1_11comp_targetILNS1_3genE3ELNS1_11target_archE908ELNS1_3gpuE7ELNS1_3repE0EEENS1_36merge_oddeven_config_static_selectorELNS0_4arch9wavefront6targetE1EEEvSJ_.numbered_sgpr, 0
	.set _ZN7rocprim17ROCPRIM_400000_NS6detail17trampoline_kernelINS0_14default_configENS1_38merge_sort_block_merge_config_selectorIttEEZZNS1_27merge_sort_block_merge_implIS3_N6thrust23THRUST_200600_302600_NS6detail15normal_iteratorINS8_10device_ptrItEEEESD_jNS1_19radix_merge_compareILb0ELb0EtNS0_19identity_decomposerEEEEE10hipError_tT0_T1_T2_jT3_P12ihipStream_tbPNSt15iterator_traitsISI_E10value_typeEPNSO_ISJ_E10value_typeEPSK_NS1_7vsmem_tEENKUlT_SI_SJ_SK_E_clIPtSD_S10_SD_EESH_SX_SI_SJ_SK_EUlSX_E1_NS1_11comp_targetILNS1_3genE3ELNS1_11target_archE908ELNS1_3gpuE7ELNS1_3repE0EEENS1_36merge_oddeven_config_static_selectorELNS0_4arch9wavefront6targetE1EEEvSJ_.num_named_barrier, 0
	.set _ZN7rocprim17ROCPRIM_400000_NS6detail17trampoline_kernelINS0_14default_configENS1_38merge_sort_block_merge_config_selectorIttEEZZNS1_27merge_sort_block_merge_implIS3_N6thrust23THRUST_200600_302600_NS6detail15normal_iteratorINS8_10device_ptrItEEEESD_jNS1_19radix_merge_compareILb0ELb0EtNS0_19identity_decomposerEEEEE10hipError_tT0_T1_T2_jT3_P12ihipStream_tbPNSt15iterator_traitsISI_E10value_typeEPNSO_ISJ_E10value_typeEPSK_NS1_7vsmem_tEENKUlT_SI_SJ_SK_E_clIPtSD_S10_SD_EESH_SX_SI_SJ_SK_EUlSX_E1_NS1_11comp_targetILNS1_3genE3ELNS1_11target_archE908ELNS1_3gpuE7ELNS1_3repE0EEENS1_36merge_oddeven_config_static_selectorELNS0_4arch9wavefront6targetE1EEEvSJ_.private_seg_size, 0
	.set _ZN7rocprim17ROCPRIM_400000_NS6detail17trampoline_kernelINS0_14default_configENS1_38merge_sort_block_merge_config_selectorIttEEZZNS1_27merge_sort_block_merge_implIS3_N6thrust23THRUST_200600_302600_NS6detail15normal_iteratorINS8_10device_ptrItEEEESD_jNS1_19radix_merge_compareILb0ELb0EtNS0_19identity_decomposerEEEEE10hipError_tT0_T1_T2_jT3_P12ihipStream_tbPNSt15iterator_traitsISI_E10value_typeEPNSO_ISJ_E10value_typeEPSK_NS1_7vsmem_tEENKUlT_SI_SJ_SK_E_clIPtSD_S10_SD_EESH_SX_SI_SJ_SK_EUlSX_E1_NS1_11comp_targetILNS1_3genE3ELNS1_11target_archE908ELNS1_3gpuE7ELNS1_3repE0EEENS1_36merge_oddeven_config_static_selectorELNS0_4arch9wavefront6targetE1EEEvSJ_.uses_vcc, 0
	.set _ZN7rocprim17ROCPRIM_400000_NS6detail17trampoline_kernelINS0_14default_configENS1_38merge_sort_block_merge_config_selectorIttEEZZNS1_27merge_sort_block_merge_implIS3_N6thrust23THRUST_200600_302600_NS6detail15normal_iteratorINS8_10device_ptrItEEEESD_jNS1_19radix_merge_compareILb0ELb0EtNS0_19identity_decomposerEEEEE10hipError_tT0_T1_T2_jT3_P12ihipStream_tbPNSt15iterator_traitsISI_E10value_typeEPNSO_ISJ_E10value_typeEPSK_NS1_7vsmem_tEENKUlT_SI_SJ_SK_E_clIPtSD_S10_SD_EESH_SX_SI_SJ_SK_EUlSX_E1_NS1_11comp_targetILNS1_3genE3ELNS1_11target_archE908ELNS1_3gpuE7ELNS1_3repE0EEENS1_36merge_oddeven_config_static_selectorELNS0_4arch9wavefront6targetE1EEEvSJ_.uses_flat_scratch, 0
	.set _ZN7rocprim17ROCPRIM_400000_NS6detail17trampoline_kernelINS0_14default_configENS1_38merge_sort_block_merge_config_selectorIttEEZZNS1_27merge_sort_block_merge_implIS3_N6thrust23THRUST_200600_302600_NS6detail15normal_iteratorINS8_10device_ptrItEEEESD_jNS1_19radix_merge_compareILb0ELb0EtNS0_19identity_decomposerEEEEE10hipError_tT0_T1_T2_jT3_P12ihipStream_tbPNSt15iterator_traitsISI_E10value_typeEPNSO_ISJ_E10value_typeEPSK_NS1_7vsmem_tEENKUlT_SI_SJ_SK_E_clIPtSD_S10_SD_EESH_SX_SI_SJ_SK_EUlSX_E1_NS1_11comp_targetILNS1_3genE3ELNS1_11target_archE908ELNS1_3gpuE7ELNS1_3repE0EEENS1_36merge_oddeven_config_static_selectorELNS0_4arch9wavefront6targetE1EEEvSJ_.has_dyn_sized_stack, 0
	.set _ZN7rocprim17ROCPRIM_400000_NS6detail17trampoline_kernelINS0_14default_configENS1_38merge_sort_block_merge_config_selectorIttEEZZNS1_27merge_sort_block_merge_implIS3_N6thrust23THRUST_200600_302600_NS6detail15normal_iteratorINS8_10device_ptrItEEEESD_jNS1_19radix_merge_compareILb0ELb0EtNS0_19identity_decomposerEEEEE10hipError_tT0_T1_T2_jT3_P12ihipStream_tbPNSt15iterator_traitsISI_E10value_typeEPNSO_ISJ_E10value_typeEPSK_NS1_7vsmem_tEENKUlT_SI_SJ_SK_E_clIPtSD_S10_SD_EESH_SX_SI_SJ_SK_EUlSX_E1_NS1_11comp_targetILNS1_3genE3ELNS1_11target_archE908ELNS1_3gpuE7ELNS1_3repE0EEENS1_36merge_oddeven_config_static_selectorELNS0_4arch9wavefront6targetE1EEEvSJ_.has_recursion, 0
	.set _ZN7rocprim17ROCPRIM_400000_NS6detail17trampoline_kernelINS0_14default_configENS1_38merge_sort_block_merge_config_selectorIttEEZZNS1_27merge_sort_block_merge_implIS3_N6thrust23THRUST_200600_302600_NS6detail15normal_iteratorINS8_10device_ptrItEEEESD_jNS1_19radix_merge_compareILb0ELb0EtNS0_19identity_decomposerEEEEE10hipError_tT0_T1_T2_jT3_P12ihipStream_tbPNSt15iterator_traitsISI_E10value_typeEPNSO_ISJ_E10value_typeEPSK_NS1_7vsmem_tEENKUlT_SI_SJ_SK_E_clIPtSD_S10_SD_EESH_SX_SI_SJ_SK_EUlSX_E1_NS1_11comp_targetILNS1_3genE3ELNS1_11target_archE908ELNS1_3gpuE7ELNS1_3repE0EEENS1_36merge_oddeven_config_static_selectorELNS0_4arch9wavefront6targetE1EEEvSJ_.has_indirect_call, 0
	.section	.AMDGPU.csdata,"",@progbits
; Kernel info:
; codeLenInByte = 0
; TotalNumSgprs: 6
; NumVgprs: 0
; NumAgprs: 0
; TotalNumVgprs: 0
; ScratchSize: 0
; MemoryBound: 0
; FloatMode: 240
; IeeeMode: 1
; LDSByteSize: 0 bytes/workgroup (compile time only)
; SGPRBlocks: 0
; VGPRBlocks: 0
; NumSGPRsForWavesPerEU: 6
; NumVGPRsForWavesPerEU: 1
; AccumOffset: 4
; Occupancy: 8
; WaveLimiterHint : 0
; COMPUTE_PGM_RSRC2:SCRATCH_EN: 0
; COMPUTE_PGM_RSRC2:USER_SGPR: 2
; COMPUTE_PGM_RSRC2:TRAP_HANDLER: 0
; COMPUTE_PGM_RSRC2:TGID_X_EN: 1
; COMPUTE_PGM_RSRC2:TGID_Y_EN: 0
; COMPUTE_PGM_RSRC2:TGID_Z_EN: 0
; COMPUTE_PGM_RSRC2:TIDIG_COMP_CNT: 0
; COMPUTE_PGM_RSRC3_GFX90A:ACCUM_OFFSET: 0
; COMPUTE_PGM_RSRC3_GFX90A:TG_SPLIT: 0
	.section	.text._ZN7rocprim17ROCPRIM_400000_NS6detail17trampoline_kernelINS0_14default_configENS1_38merge_sort_block_merge_config_selectorIttEEZZNS1_27merge_sort_block_merge_implIS3_N6thrust23THRUST_200600_302600_NS6detail15normal_iteratorINS8_10device_ptrItEEEESD_jNS1_19radix_merge_compareILb0ELb0EtNS0_19identity_decomposerEEEEE10hipError_tT0_T1_T2_jT3_P12ihipStream_tbPNSt15iterator_traitsISI_E10value_typeEPNSO_ISJ_E10value_typeEPSK_NS1_7vsmem_tEENKUlT_SI_SJ_SK_E_clIPtSD_S10_SD_EESH_SX_SI_SJ_SK_EUlSX_E1_NS1_11comp_targetILNS1_3genE2ELNS1_11target_archE906ELNS1_3gpuE6ELNS1_3repE0EEENS1_36merge_oddeven_config_static_selectorELNS0_4arch9wavefront6targetE1EEEvSJ_,"axG",@progbits,_ZN7rocprim17ROCPRIM_400000_NS6detail17trampoline_kernelINS0_14default_configENS1_38merge_sort_block_merge_config_selectorIttEEZZNS1_27merge_sort_block_merge_implIS3_N6thrust23THRUST_200600_302600_NS6detail15normal_iteratorINS8_10device_ptrItEEEESD_jNS1_19radix_merge_compareILb0ELb0EtNS0_19identity_decomposerEEEEE10hipError_tT0_T1_T2_jT3_P12ihipStream_tbPNSt15iterator_traitsISI_E10value_typeEPNSO_ISJ_E10value_typeEPSK_NS1_7vsmem_tEENKUlT_SI_SJ_SK_E_clIPtSD_S10_SD_EESH_SX_SI_SJ_SK_EUlSX_E1_NS1_11comp_targetILNS1_3genE2ELNS1_11target_archE906ELNS1_3gpuE6ELNS1_3repE0EEENS1_36merge_oddeven_config_static_selectorELNS0_4arch9wavefront6targetE1EEEvSJ_,comdat
	.protected	_ZN7rocprim17ROCPRIM_400000_NS6detail17trampoline_kernelINS0_14default_configENS1_38merge_sort_block_merge_config_selectorIttEEZZNS1_27merge_sort_block_merge_implIS3_N6thrust23THRUST_200600_302600_NS6detail15normal_iteratorINS8_10device_ptrItEEEESD_jNS1_19radix_merge_compareILb0ELb0EtNS0_19identity_decomposerEEEEE10hipError_tT0_T1_T2_jT3_P12ihipStream_tbPNSt15iterator_traitsISI_E10value_typeEPNSO_ISJ_E10value_typeEPSK_NS1_7vsmem_tEENKUlT_SI_SJ_SK_E_clIPtSD_S10_SD_EESH_SX_SI_SJ_SK_EUlSX_E1_NS1_11comp_targetILNS1_3genE2ELNS1_11target_archE906ELNS1_3gpuE6ELNS1_3repE0EEENS1_36merge_oddeven_config_static_selectorELNS0_4arch9wavefront6targetE1EEEvSJ_ ; -- Begin function _ZN7rocprim17ROCPRIM_400000_NS6detail17trampoline_kernelINS0_14default_configENS1_38merge_sort_block_merge_config_selectorIttEEZZNS1_27merge_sort_block_merge_implIS3_N6thrust23THRUST_200600_302600_NS6detail15normal_iteratorINS8_10device_ptrItEEEESD_jNS1_19radix_merge_compareILb0ELb0EtNS0_19identity_decomposerEEEEE10hipError_tT0_T1_T2_jT3_P12ihipStream_tbPNSt15iterator_traitsISI_E10value_typeEPNSO_ISJ_E10value_typeEPSK_NS1_7vsmem_tEENKUlT_SI_SJ_SK_E_clIPtSD_S10_SD_EESH_SX_SI_SJ_SK_EUlSX_E1_NS1_11comp_targetILNS1_3genE2ELNS1_11target_archE906ELNS1_3gpuE6ELNS1_3repE0EEENS1_36merge_oddeven_config_static_selectorELNS0_4arch9wavefront6targetE1EEEvSJ_
	.globl	_ZN7rocprim17ROCPRIM_400000_NS6detail17trampoline_kernelINS0_14default_configENS1_38merge_sort_block_merge_config_selectorIttEEZZNS1_27merge_sort_block_merge_implIS3_N6thrust23THRUST_200600_302600_NS6detail15normal_iteratorINS8_10device_ptrItEEEESD_jNS1_19radix_merge_compareILb0ELb0EtNS0_19identity_decomposerEEEEE10hipError_tT0_T1_T2_jT3_P12ihipStream_tbPNSt15iterator_traitsISI_E10value_typeEPNSO_ISJ_E10value_typeEPSK_NS1_7vsmem_tEENKUlT_SI_SJ_SK_E_clIPtSD_S10_SD_EESH_SX_SI_SJ_SK_EUlSX_E1_NS1_11comp_targetILNS1_3genE2ELNS1_11target_archE906ELNS1_3gpuE6ELNS1_3repE0EEENS1_36merge_oddeven_config_static_selectorELNS0_4arch9wavefront6targetE1EEEvSJ_
	.p2align	8
	.type	_ZN7rocprim17ROCPRIM_400000_NS6detail17trampoline_kernelINS0_14default_configENS1_38merge_sort_block_merge_config_selectorIttEEZZNS1_27merge_sort_block_merge_implIS3_N6thrust23THRUST_200600_302600_NS6detail15normal_iteratorINS8_10device_ptrItEEEESD_jNS1_19radix_merge_compareILb0ELb0EtNS0_19identity_decomposerEEEEE10hipError_tT0_T1_T2_jT3_P12ihipStream_tbPNSt15iterator_traitsISI_E10value_typeEPNSO_ISJ_E10value_typeEPSK_NS1_7vsmem_tEENKUlT_SI_SJ_SK_E_clIPtSD_S10_SD_EESH_SX_SI_SJ_SK_EUlSX_E1_NS1_11comp_targetILNS1_3genE2ELNS1_11target_archE906ELNS1_3gpuE6ELNS1_3repE0EEENS1_36merge_oddeven_config_static_selectorELNS0_4arch9wavefront6targetE1EEEvSJ_,@function
_ZN7rocprim17ROCPRIM_400000_NS6detail17trampoline_kernelINS0_14default_configENS1_38merge_sort_block_merge_config_selectorIttEEZZNS1_27merge_sort_block_merge_implIS3_N6thrust23THRUST_200600_302600_NS6detail15normal_iteratorINS8_10device_ptrItEEEESD_jNS1_19radix_merge_compareILb0ELb0EtNS0_19identity_decomposerEEEEE10hipError_tT0_T1_T2_jT3_P12ihipStream_tbPNSt15iterator_traitsISI_E10value_typeEPNSO_ISJ_E10value_typeEPSK_NS1_7vsmem_tEENKUlT_SI_SJ_SK_E_clIPtSD_S10_SD_EESH_SX_SI_SJ_SK_EUlSX_E1_NS1_11comp_targetILNS1_3genE2ELNS1_11target_archE906ELNS1_3gpuE6ELNS1_3repE0EEENS1_36merge_oddeven_config_static_selectorELNS0_4arch9wavefront6targetE1EEEvSJ_: ; @_ZN7rocprim17ROCPRIM_400000_NS6detail17trampoline_kernelINS0_14default_configENS1_38merge_sort_block_merge_config_selectorIttEEZZNS1_27merge_sort_block_merge_implIS3_N6thrust23THRUST_200600_302600_NS6detail15normal_iteratorINS8_10device_ptrItEEEESD_jNS1_19radix_merge_compareILb0ELb0EtNS0_19identity_decomposerEEEEE10hipError_tT0_T1_T2_jT3_P12ihipStream_tbPNSt15iterator_traitsISI_E10value_typeEPNSO_ISJ_E10value_typeEPSK_NS1_7vsmem_tEENKUlT_SI_SJ_SK_E_clIPtSD_S10_SD_EESH_SX_SI_SJ_SK_EUlSX_E1_NS1_11comp_targetILNS1_3genE2ELNS1_11target_archE906ELNS1_3gpuE6ELNS1_3repE0EEENS1_36merge_oddeven_config_static_selectorELNS0_4arch9wavefront6targetE1EEEvSJ_
; %bb.0:
	.section	.rodata,"a",@progbits
	.p2align	6, 0x0
	.amdhsa_kernel _ZN7rocprim17ROCPRIM_400000_NS6detail17trampoline_kernelINS0_14default_configENS1_38merge_sort_block_merge_config_selectorIttEEZZNS1_27merge_sort_block_merge_implIS3_N6thrust23THRUST_200600_302600_NS6detail15normal_iteratorINS8_10device_ptrItEEEESD_jNS1_19radix_merge_compareILb0ELb0EtNS0_19identity_decomposerEEEEE10hipError_tT0_T1_T2_jT3_P12ihipStream_tbPNSt15iterator_traitsISI_E10value_typeEPNSO_ISJ_E10value_typeEPSK_NS1_7vsmem_tEENKUlT_SI_SJ_SK_E_clIPtSD_S10_SD_EESH_SX_SI_SJ_SK_EUlSX_E1_NS1_11comp_targetILNS1_3genE2ELNS1_11target_archE906ELNS1_3gpuE6ELNS1_3repE0EEENS1_36merge_oddeven_config_static_selectorELNS0_4arch9wavefront6targetE1EEEvSJ_
		.amdhsa_group_segment_fixed_size 0
		.amdhsa_private_segment_fixed_size 0
		.amdhsa_kernarg_size 48
		.amdhsa_user_sgpr_count 2
		.amdhsa_user_sgpr_dispatch_ptr 0
		.amdhsa_user_sgpr_queue_ptr 0
		.amdhsa_user_sgpr_kernarg_segment_ptr 1
		.amdhsa_user_sgpr_dispatch_id 0
		.amdhsa_user_sgpr_kernarg_preload_length 0
		.amdhsa_user_sgpr_kernarg_preload_offset 0
		.amdhsa_user_sgpr_private_segment_size 0
		.amdhsa_uses_dynamic_stack 0
		.amdhsa_enable_private_segment 0
		.amdhsa_system_sgpr_workgroup_id_x 1
		.amdhsa_system_sgpr_workgroup_id_y 0
		.amdhsa_system_sgpr_workgroup_id_z 0
		.amdhsa_system_sgpr_workgroup_info 0
		.amdhsa_system_vgpr_workitem_id 0
		.amdhsa_next_free_vgpr 1
		.amdhsa_next_free_sgpr 0
		.amdhsa_accum_offset 4
		.amdhsa_reserve_vcc 0
		.amdhsa_float_round_mode_32 0
		.amdhsa_float_round_mode_16_64 0
		.amdhsa_float_denorm_mode_32 3
		.amdhsa_float_denorm_mode_16_64 3
		.amdhsa_dx10_clamp 1
		.amdhsa_ieee_mode 1
		.amdhsa_fp16_overflow 0
		.amdhsa_tg_split 0
		.amdhsa_exception_fp_ieee_invalid_op 0
		.amdhsa_exception_fp_denorm_src 0
		.amdhsa_exception_fp_ieee_div_zero 0
		.amdhsa_exception_fp_ieee_overflow 0
		.amdhsa_exception_fp_ieee_underflow 0
		.amdhsa_exception_fp_ieee_inexact 0
		.amdhsa_exception_int_div_zero 0
	.end_amdhsa_kernel
	.section	.text._ZN7rocprim17ROCPRIM_400000_NS6detail17trampoline_kernelINS0_14default_configENS1_38merge_sort_block_merge_config_selectorIttEEZZNS1_27merge_sort_block_merge_implIS3_N6thrust23THRUST_200600_302600_NS6detail15normal_iteratorINS8_10device_ptrItEEEESD_jNS1_19radix_merge_compareILb0ELb0EtNS0_19identity_decomposerEEEEE10hipError_tT0_T1_T2_jT3_P12ihipStream_tbPNSt15iterator_traitsISI_E10value_typeEPNSO_ISJ_E10value_typeEPSK_NS1_7vsmem_tEENKUlT_SI_SJ_SK_E_clIPtSD_S10_SD_EESH_SX_SI_SJ_SK_EUlSX_E1_NS1_11comp_targetILNS1_3genE2ELNS1_11target_archE906ELNS1_3gpuE6ELNS1_3repE0EEENS1_36merge_oddeven_config_static_selectorELNS0_4arch9wavefront6targetE1EEEvSJ_,"axG",@progbits,_ZN7rocprim17ROCPRIM_400000_NS6detail17trampoline_kernelINS0_14default_configENS1_38merge_sort_block_merge_config_selectorIttEEZZNS1_27merge_sort_block_merge_implIS3_N6thrust23THRUST_200600_302600_NS6detail15normal_iteratorINS8_10device_ptrItEEEESD_jNS1_19radix_merge_compareILb0ELb0EtNS0_19identity_decomposerEEEEE10hipError_tT0_T1_T2_jT3_P12ihipStream_tbPNSt15iterator_traitsISI_E10value_typeEPNSO_ISJ_E10value_typeEPSK_NS1_7vsmem_tEENKUlT_SI_SJ_SK_E_clIPtSD_S10_SD_EESH_SX_SI_SJ_SK_EUlSX_E1_NS1_11comp_targetILNS1_3genE2ELNS1_11target_archE906ELNS1_3gpuE6ELNS1_3repE0EEENS1_36merge_oddeven_config_static_selectorELNS0_4arch9wavefront6targetE1EEEvSJ_,comdat
.Lfunc_end863:
	.size	_ZN7rocprim17ROCPRIM_400000_NS6detail17trampoline_kernelINS0_14default_configENS1_38merge_sort_block_merge_config_selectorIttEEZZNS1_27merge_sort_block_merge_implIS3_N6thrust23THRUST_200600_302600_NS6detail15normal_iteratorINS8_10device_ptrItEEEESD_jNS1_19radix_merge_compareILb0ELb0EtNS0_19identity_decomposerEEEEE10hipError_tT0_T1_T2_jT3_P12ihipStream_tbPNSt15iterator_traitsISI_E10value_typeEPNSO_ISJ_E10value_typeEPSK_NS1_7vsmem_tEENKUlT_SI_SJ_SK_E_clIPtSD_S10_SD_EESH_SX_SI_SJ_SK_EUlSX_E1_NS1_11comp_targetILNS1_3genE2ELNS1_11target_archE906ELNS1_3gpuE6ELNS1_3repE0EEENS1_36merge_oddeven_config_static_selectorELNS0_4arch9wavefront6targetE1EEEvSJ_, .Lfunc_end863-_ZN7rocprim17ROCPRIM_400000_NS6detail17trampoline_kernelINS0_14default_configENS1_38merge_sort_block_merge_config_selectorIttEEZZNS1_27merge_sort_block_merge_implIS3_N6thrust23THRUST_200600_302600_NS6detail15normal_iteratorINS8_10device_ptrItEEEESD_jNS1_19radix_merge_compareILb0ELb0EtNS0_19identity_decomposerEEEEE10hipError_tT0_T1_T2_jT3_P12ihipStream_tbPNSt15iterator_traitsISI_E10value_typeEPNSO_ISJ_E10value_typeEPSK_NS1_7vsmem_tEENKUlT_SI_SJ_SK_E_clIPtSD_S10_SD_EESH_SX_SI_SJ_SK_EUlSX_E1_NS1_11comp_targetILNS1_3genE2ELNS1_11target_archE906ELNS1_3gpuE6ELNS1_3repE0EEENS1_36merge_oddeven_config_static_selectorELNS0_4arch9wavefront6targetE1EEEvSJ_
                                        ; -- End function
	.set _ZN7rocprim17ROCPRIM_400000_NS6detail17trampoline_kernelINS0_14default_configENS1_38merge_sort_block_merge_config_selectorIttEEZZNS1_27merge_sort_block_merge_implIS3_N6thrust23THRUST_200600_302600_NS6detail15normal_iteratorINS8_10device_ptrItEEEESD_jNS1_19radix_merge_compareILb0ELb0EtNS0_19identity_decomposerEEEEE10hipError_tT0_T1_T2_jT3_P12ihipStream_tbPNSt15iterator_traitsISI_E10value_typeEPNSO_ISJ_E10value_typeEPSK_NS1_7vsmem_tEENKUlT_SI_SJ_SK_E_clIPtSD_S10_SD_EESH_SX_SI_SJ_SK_EUlSX_E1_NS1_11comp_targetILNS1_3genE2ELNS1_11target_archE906ELNS1_3gpuE6ELNS1_3repE0EEENS1_36merge_oddeven_config_static_selectorELNS0_4arch9wavefront6targetE1EEEvSJ_.num_vgpr, 0
	.set _ZN7rocprim17ROCPRIM_400000_NS6detail17trampoline_kernelINS0_14default_configENS1_38merge_sort_block_merge_config_selectorIttEEZZNS1_27merge_sort_block_merge_implIS3_N6thrust23THRUST_200600_302600_NS6detail15normal_iteratorINS8_10device_ptrItEEEESD_jNS1_19radix_merge_compareILb0ELb0EtNS0_19identity_decomposerEEEEE10hipError_tT0_T1_T2_jT3_P12ihipStream_tbPNSt15iterator_traitsISI_E10value_typeEPNSO_ISJ_E10value_typeEPSK_NS1_7vsmem_tEENKUlT_SI_SJ_SK_E_clIPtSD_S10_SD_EESH_SX_SI_SJ_SK_EUlSX_E1_NS1_11comp_targetILNS1_3genE2ELNS1_11target_archE906ELNS1_3gpuE6ELNS1_3repE0EEENS1_36merge_oddeven_config_static_selectorELNS0_4arch9wavefront6targetE1EEEvSJ_.num_agpr, 0
	.set _ZN7rocprim17ROCPRIM_400000_NS6detail17trampoline_kernelINS0_14default_configENS1_38merge_sort_block_merge_config_selectorIttEEZZNS1_27merge_sort_block_merge_implIS3_N6thrust23THRUST_200600_302600_NS6detail15normal_iteratorINS8_10device_ptrItEEEESD_jNS1_19radix_merge_compareILb0ELb0EtNS0_19identity_decomposerEEEEE10hipError_tT0_T1_T2_jT3_P12ihipStream_tbPNSt15iterator_traitsISI_E10value_typeEPNSO_ISJ_E10value_typeEPSK_NS1_7vsmem_tEENKUlT_SI_SJ_SK_E_clIPtSD_S10_SD_EESH_SX_SI_SJ_SK_EUlSX_E1_NS1_11comp_targetILNS1_3genE2ELNS1_11target_archE906ELNS1_3gpuE6ELNS1_3repE0EEENS1_36merge_oddeven_config_static_selectorELNS0_4arch9wavefront6targetE1EEEvSJ_.numbered_sgpr, 0
	.set _ZN7rocprim17ROCPRIM_400000_NS6detail17trampoline_kernelINS0_14default_configENS1_38merge_sort_block_merge_config_selectorIttEEZZNS1_27merge_sort_block_merge_implIS3_N6thrust23THRUST_200600_302600_NS6detail15normal_iteratorINS8_10device_ptrItEEEESD_jNS1_19radix_merge_compareILb0ELb0EtNS0_19identity_decomposerEEEEE10hipError_tT0_T1_T2_jT3_P12ihipStream_tbPNSt15iterator_traitsISI_E10value_typeEPNSO_ISJ_E10value_typeEPSK_NS1_7vsmem_tEENKUlT_SI_SJ_SK_E_clIPtSD_S10_SD_EESH_SX_SI_SJ_SK_EUlSX_E1_NS1_11comp_targetILNS1_3genE2ELNS1_11target_archE906ELNS1_3gpuE6ELNS1_3repE0EEENS1_36merge_oddeven_config_static_selectorELNS0_4arch9wavefront6targetE1EEEvSJ_.num_named_barrier, 0
	.set _ZN7rocprim17ROCPRIM_400000_NS6detail17trampoline_kernelINS0_14default_configENS1_38merge_sort_block_merge_config_selectorIttEEZZNS1_27merge_sort_block_merge_implIS3_N6thrust23THRUST_200600_302600_NS6detail15normal_iteratorINS8_10device_ptrItEEEESD_jNS1_19radix_merge_compareILb0ELb0EtNS0_19identity_decomposerEEEEE10hipError_tT0_T1_T2_jT3_P12ihipStream_tbPNSt15iterator_traitsISI_E10value_typeEPNSO_ISJ_E10value_typeEPSK_NS1_7vsmem_tEENKUlT_SI_SJ_SK_E_clIPtSD_S10_SD_EESH_SX_SI_SJ_SK_EUlSX_E1_NS1_11comp_targetILNS1_3genE2ELNS1_11target_archE906ELNS1_3gpuE6ELNS1_3repE0EEENS1_36merge_oddeven_config_static_selectorELNS0_4arch9wavefront6targetE1EEEvSJ_.private_seg_size, 0
	.set _ZN7rocprim17ROCPRIM_400000_NS6detail17trampoline_kernelINS0_14default_configENS1_38merge_sort_block_merge_config_selectorIttEEZZNS1_27merge_sort_block_merge_implIS3_N6thrust23THRUST_200600_302600_NS6detail15normal_iteratorINS8_10device_ptrItEEEESD_jNS1_19radix_merge_compareILb0ELb0EtNS0_19identity_decomposerEEEEE10hipError_tT0_T1_T2_jT3_P12ihipStream_tbPNSt15iterator_traitsISI_E10value_typeEPNSO_ISJ_E10value_typeEPSK_NS1_7vsmem_tEENKUlT_SI_SJ_SK_E_clIPtSD_S10_SD_EESH_SX_SI_SJ_SK_EUlSX_E1_NS1_11comp_targetILNS1_3genE2ELNS1_11target_archE906ELNS1_3gpuE6ELNS1_3repE0EEENS1_36merge_oddeven_config_static_selectorELNS0_4arch9wavefront6targetE1EEEvSJ_.uses_vcc, 0
	.set _ZN7rocprim17ROCPRIM_400000_NS6detail17trampoline_kernelINS0_14default_configENS1_38merge_sort_block_merge_config_selectorIttEEZZNS1_27merge_sort_block_merge_implIS3_N6thrust23THRUST_200600_302600_NS6detail15normal_iteratorINS8_10device_ptrItEEEESD_jNS1_19radix_merge_compareILb0ELb0EtNS0_19identity_decomposerEEEEE10hipError_tT0_T1_T2_jT3_P12ihipStream_tbPNSt15iterator_traitsISI_E10value_typeEPNSO_ISJ_E10value_typeEPSK_NS1_7vsmem_tEENKUlT_SI_SJ_SK_E_clIPtSD_S10_SD_EESH_SX_SI_SJ_SK_EUlSX_E1_NS1_11comp_targetILNS1_3genE2ELNS1_11target_archE906ELNS1_3gpuE6ELNS1_3repE0EEENS1_36merge_oddeven_config_static_selectorELNS0_4arch9wavefront6targetE1EEEvSJ_.uses_flat_scratch, 0
	.set _ZN7rocprim17ROCPRIM_400000_NS6detail17trampoline_kernelINS0_14default_configENS1_38merge_sort_block_merge_config_selectorIttEEZZNS1_27merge_sort_block_merge_implIS3_N6thrust23THRUST_200600_302600_NS6detail15normal_iteratorINS8_10device_ptrItEEEESD_jNS1_19radix_merge_compareILb0ELb0EtNS0_19identity_decomposerEEEEE10hipError_tT0_T1_T2_jT3_P12ihipStream_tbPNSt15iterator_traitsISI_E10value_typeEPNSO_ISJ_E10value_typeEPSK_NS1_7vsmem_tEENKUlT_SI_SJ_SK_E_clIPtSD_S10_SD_EESH_SX_SI_SJ_SK_EUlSX_E1_NS1_11comp_targetILNS1_3genE2ELNS1_11target_archE906ELNS1_3gpuE6ELNS1_3repE0EEENS1_36merge_oddeven_config_static_selectorELNS0_4arch9wavefront6targetE1EEEvSJ_.has_dyn_sized_stack, 0
	.set _ZN7rocprim17ROCPRIM_400000_NS6detail17trampoline_kernelINS0_14default_configENS1_38merge_sort_block_merge_config_selectorIttEEZZNS1_27merge_sort_block_merge_implIS3_N6thrust23THRUST_200600_302600_NS6detail15normal_iteratorINS8_10device_ptrItEEEESD_jNS1_19radix_merge_compareILb0ELb0EtNS0_19identity_decomposerEEEEE10hipError_tT0_T1_T2_jT3_P12ihipStream_tbPNSt15iterator_traitsISI_E10value_typeEPNSO_ISJ_E10value_typeEPSK_NS1_7vsmem_tEENKUlT_SI_SJ_SK_E_clIPtSD_S10_SD_EESH_SX_SI_SJ_SK_EUlSX_E1_NS1_11comp_targetILNS1_3genE2ELNS1_11target_archE906ELNS1_3gpuE6ELNS1_3repE0EEENS1_36merge_oddeven_config_static_selectorELNS0_4arch9wavefront6targetE1EEEvSJ_.has_recursion, 0
	.set _ZN7rocprim17ROCPRIM_400000_NS6detail17trampoline_kernelINS0_14default_configENS1_38merge_sort_block_merge_config_selectorIttEEZZNS1_27merge_sort_block_merge_implIS3_N6thrust23THRUST_200600_302600_NS6detail15normal_iteratorINS8_10device_ptrItEEEESD_jNS1_19radix_merge_compareILb0ELb0EtNS0_19identity_decomposerEEEEE10hipError_tT0_T1_T2_jT3_P12ihipStream_tbPNSt15iterator_traitsISI_E10value_typeEPNSO_ISJ_E10value_typeEPSK_NS1_7vsmem_tEENKUlT_SI_SJ_SK_E_clIPtSD_S10_SD_EESH_SX_SI_SJ_SK_EUlSX_E1_NS1_11comp_targetILNS1_3genE2ELNS1_11target_archE906ELNS1_3gpuE6ELNS1_3repE0EEENS1_36merge_oddeven_config_static_selectorELNS0_4arch9wavefront6targetE1EEEvSJ_.has_indirect_call, 0
	.section	.AMDGPU.csdata,"",@progbits
; Kernel info:
; codeLenInByte = 0
; TotalNumSgprs: 6
; NumVgprs: 0
; NumAgprs: 0
; TotalNumVgprs: 0
; ScratchSize: 0
; MemoryBound: 0
; FloatMode: 240
; IeeeMode: 1
; LDSByteSize: 0 bytes/workgroup (compile time only)
; SGPRBlocks: 0
; VGPRBlocks: 0
; NumSGPRsForWavesPerEU: 6
; NumVGPRsForWavesPerEU: 1
; AccumOffset: 4
; Occupancy: 8
; WaveLimiterHint : 0
; COMPUTE_PGM_RSRC2:SCRATCH_EN: 0
; COMPUTE_PGM_RSRC2:USER_SGPR: 2
; COMPUTE_PGM_RSRC2:TRAP_HANDLER: 0
; COMPUTE_PGM_RSRC2:TGID_X_EN: 1
; COMPUTE_PGM_RSRC2:TGID_Y_EN: 0
; COMPUTE_PGM_RSRC2:TGID_Z_EN: 0
; COMPUTE_PGM_RSRC2:TIDIG_COMP_CNT: 0
; COMPUTE_PGM_RSRC3_GFX90A:ACCUM_OFFSET: 0
; COMPUTE_PGM_RSRC3_GFX90A:TG_SPLIT: 0
	.section	.text._ZN7rocprim17ROCPRIM_400000_NS6detail17trampoline_kernelINS0_14default_configENS1_38merge_sort_block_merge_config_selectorIttEEZZNS1_27merge_sort_block_merge_implIS3_N6thrust23THRUST_200600_302600_NS6detail15normal_iteratorINS8_10device_ptrItEEEESD_jNS1_19radix_merge_compareILb0ELb0EtNS0_19identity_decomposerEEEEE10hipError_tT0_T1_T2_jT3_P12ihipStream_tbPNSt15iterator_traitsISI_E10value_typeEPNSO_ISJ_E10value_typeEPSK_NS1_7vsmem_tEENKUlT_SI_SJ_SK_E_clIPtSD_S10_SD_EESH_SX_SI_SJ_SK_EUlSX_E1_NS1_11comp_targetILNS1_3genE9ELNS1_11target_archE1100ELNS1_3gpuE3ELNS1_3repE0EEENS1_36merge_oddeven_config_static_selectorELNS0_4arch9wavefront6targetE1EEEvSJ_,"axG",@progbits,_ZN7rocprim17ROCPRIM_400000_NS6detail17trampoline_kernelINS0_14default_configENS1_38merge_sort_block_merge_config_selectorIttEEZZNS1_27merge_sort_block_merge_implIS3_N6thrust23THRUST_200600_302600_NS6detail15normal_iteratorINS8_10device_ptrItEEEESD_jNS1_19radix_merge_compareILb0ELb0EtNS0_19identity_decomposerEEEEE10hipError_tT0_T1_T2_jT3_P12ihipStream_tbPNSt15iterator_traitsISI_E10value_typeEPNSO_ISJ_E10value_typeEPSK_NS1_7vsmem_tEENKUlT_SI_SJ_SK_E_clIPtSD_S10_SD_EESH_SX_SI_SJ_SK_EUlSX_E1_NS1_11comp_targetILNS1_3genE9ELNS1_11target_archE1100ELNS1_3gpuE3ELNS1_3repE0EEENS1_36merge_oddeven_config_static_selectorELNS0_4arch9wavefront6targetE1EEEvSJ_,comdat
	.protected	_ZN7rocprim17ROCPRIM_400000_NS6detail17trampoline_kernelINS0_14default_configENS1_38merge_sort_block_merge_config_selectorIttEEZZNS1_27merge_sort_block_merge_implIS3_N6thrust23THRUST_200600_302600_NS6detail15normal_iteratorINS8_10device_ptrItEEEESD_jNS1_19radix_merge_compareILb0ELb0EtNS0_19identity_decomposerEEEEE10hipError_tT0_T1_T2_jT3_P12ihipStream_tbPNSt15iterator_traitsISI_E10value_typeEPNSO_ISJ_E10value_typeEPSK_NS1_7vsmem_tEENKUlT_SI_SJ_SK_E_clIPtSD_S10_SD_EESH_SX_SI_SJ_SK_EUlSX_E1_NS1_11comp_targetILNS1_3genE9ELNS1_11target_archE1100ELNS1_3gpuE3ELNS1_3repE0EEENS1_36merge_oddeven_config_static_selectorELNS0_4arch9wavefront6targetE1EEEvSJ_ ; -- Begin function _ZN7rocprim17ROCPRIM_400000_NS6detail17trampoline_kernelINS0_14default_configENS1_38merge_sort_block_merge_config_selectorIttEEZZNS1_27merge_sort_block_merge_implIS3_N6thrust23THRUST_200600_302600_NS6detail15normal_iteratorINS8_10device_ptrItEEEESD_jNS1_19radix_merge_compareILb0ELb0EtNS0_19identity_decomposerEEEEE10hipError_tT0_T1_T2_jT3_P12ihipStream_tbPNSt15iterator_traitsISI_E10value_typeEPNSO_ISJ_E10value_typeEPSK_NS1_7vsmem_tEENKUlT_SI_SJ_SK_E_clIPtSD_S10_SD_EESH_SX_SI_SJ_SK_EUlSX_E1_NS1_11comp_targetILNS1_3genE9ELNS1_11target_archE1100ELNS1_3gpuE3ELNS1_3repE0EEENS1_36merge_oddeven_config_static_selectorELNS0_4arch9wavefront6targetE1EEEvSJ_
	.globl	_ZN7rocprim17ROCPRIM_400000_NS6detail17trampoline_kernelINS0_14default_configENS1_38merge_sort_block_merge_config_selectorIttEEZZNS1_27merge_sort_block_merge_implIS3_N6thrust23THRUST_200600_302600_NS6detail15normal_iteratorINS8_10device_ptrItEEEESD_jNS1_19radix_merge_compareILb0ELb0EtNS0_19identity_decomposerEEEEE10hipError_tT0_T1_T2_jT3_P12ihipStream_tbPNSt15iterator_traitsISI_E10value_typeEPNSO_ISJ_E10value_typeEPSK_NS1_7vsmem_tEENKUlT_SI_SJ_SK_E_clIPtSD_S10_SD_EESH_SX_SI_SJ_SK_EUlSX_E1_NS1_11comp_targetILNS1_3genE9ELNS1_11target_archE1100ELNS1_3gpuE3ELNS1_3repE0EEENS1_36merge_oddeven_config_static_selectorELNS0_4arch9wavefront6targetE1EEEvSJ_
	.p2align	8
	.type	_ZN7rocprim17ROCPRIM_400000_NS6detail17trampoline_kernelINS0_14default_configENS1_38merge_sort_block_merge_config_selectorIttEEZZNS1_27merge_sort_block_merge_implIS3_N6thrust23THRUST_200600_302600_NS6detail15normal_iteratorINS8_10device_ptrItEEEESD_jNS1_19radix_merge_compareILb0ELb0EtNS0_19identity_decomposerEEEEE10hipError_tT0_T1_T2_jT3_P12ihipStream_tbPNSt15iterator_traitsISI_E10value_typeEPNSO_ISJ_E10value_typeEPSK_NS1_7vsmem_tEENKUlT_SI_SJ_SK_E_clIPtSD_S10_SD_EESH_SX_SI_SJ_SK_EUlSX_E1_NS1_11comp_targetILNS1_3genE9ELNS1_11target_archE1100ELNS1_3gpuE3ELNS1_3repE0EEENS1_36merge_oddeven_config_static_selectorELNS0_4arch9wavefront6targetE1EEEvSJ_,@function
_ZN7rocprim17ROCPRIM_400000_NS6detail17trampoline_kernelINS0_14default_configENS1_38merge_sort_block_merge_config_selectorIttEEZZNS1_27merge_sort_block_merge_implIS3_N6thrust23THRUST_200600_302600_NS6detail15normal_iteratorINS8_10device_ptrItEEEESD_jNS1_19radix_merge_compareILb0ELb0EtNS0_19identity_decomposerEEEEE10hipError_tT0_T1_T2_jT3_P12ihipStream_tbPNSt15iterator_traitsISI_E10value_typeEPNSO_ISJ_E10value_typeEPSK_NS1_7vsmem_tEENKUlT_SI_SJ_SK_E_clIPtSD_S10_SD_EESH_SX_SI_SJ_SK_EUlSX_E1_NS1_11comp_targetILNS1_3genE9ELNS1_11target_archE1100ELNS1_3gpuE3ELNS1_3repE0EEENS1_36merge_oddeven_config_static_selectorELNS0_4arch9wavefront6targetE1EEEvSJ_: ; @_ZN7rocprim17ROCPRIM_400000_NS6detail17trampoline_kernelINS0_14default_configENS1_38merge_sort_block_merge_config_selectorIttEEZZNS1_27merge_sort_block_merge_implIS3_N6thrust23THRUST_200600_302600_NS6detail15normal_iteratorINS8_10device_ptrItEEEESD_jNS1_19radix_merge_compareILb0ELb0EtNS0_19identity_decomposerEEEEE10hipError_tT0_T1_T2_jT3_P12ihipStream_tbPNSt15iterator_traitsISI_E10value_typeEPNSO_ISJ_E10value_typeEPSK_NS1_7vsmem_tEENKUlT_SI_SJ_SK_E_clIPtSD_S10_SD_EESH_SX_SI_SJ_SK_EUlSX_E1_NS1_11comp_targetILNS1_3genE9ELNS1_11target_archE1100ELNS1_3gpuE3ELNS1_3repE0EEENS1_36merge_oddeven_config_static_selectorELNS0_4arch9wavefront6targetE1EEEvSJ_
; %bb.0:
	.section	.rodata,"a",@progbits
	.p2align	6, 0x0
	.amdhsa_kernel _ZN7rocprim17ROCPRIM_400000_NS6detail17trampoline_kernelINS0_14default_configENS1_38merge_sort_block_merge_config_selectorIttEEZZNS1_27merge_sort_block_merge_implIS3_N6thrust23THRUST_200600_302600_NS6detail15normal_iteratorINS8_10device_ptrItEEEESD_jNS1_19radix_merge_compareILb0ELb0EtNS0_19identity_decomposerEEEEE10hipError_tT0_T1_T2_jT3_P12ihipStream_tbPNSt15iterator_traitsISI_E10value_typeEPNSO_ISJ_E10value_typeEPSK_NS1_7vsmem_tEENKUlT_SI_SJ_SK_E_clIPtSD_S10_SD_EESH_SX_SI_SJ_SK_EUlSX_E1_NS1_11comp_targetILNS1_3genE9ELNS1_11target_archE1100ELNS1_3gpuE3ELNS1_3repE0EEENS1_36merge_oddeven_config_static_selectorELNS0_4arch9wavefront6targetE1EEEvSJ_
		.amdhsa_group_segment_fixed_size 0
		.amdhsa_private_segment_fixed_size 0
		.amdhsa_kernarg_size 48
		.amdhsa_user_sgpr_count 2
		.amdhsa_user_sgpr_dispatch_ptr 0
		.amdhsa_user_sgpr_queue_ptr 0
		.amdhsa_user_sgpr_kernarg_segment_ptr 1
		.amdhsa_user_sgpr_dispatch_id 0
		.amdhsa_user_sgpr_kernarg_preload_length 0
		.amdhsa_user_sgpr_kernarg_preload_offset 0
		.amdhsa_user_sgpr_private_segment_size 0
		.amdhsa_uses_dynamic_stack 0
		.amdhsa_enable_private_segment 0
		.amdhsa_system_sgpr_workgroup_id_x 1
		.amdhsa_system_sgpr_workgroup_id_y 0
		.amdhsa_system_sgpr_workgroup_id_z 0
		.amdhsa_system_sgpr_workgroup_info 0
		.amdhsa_system_vgpr_workitem_id 0
		.amdhsa_next_free_vgpr 1
		.amdhsa_next_free_sgpr 0
		.amdhsa_accum_offset 4
		.amdhsa_reserve_vcc 0
		.amdhsa_float_round_mode_32 0
		.amdhsa_float_round_mode_16_64 0
		.amdhsa_float_denorm_mode_32 3
		.amdhsa_float_denorm_mode_16_64 3
		.amdhsa_dx10_clamp 1
		.amdhsa_ieee_mode 1
		.amdhsa_fp16_overflow 0
		.amdhsa_tg_split 0
		.amdhsa_exception_fp_ieee_invalid_op 0
		.amdhsa_exception_fp_denorm_src 0
		.amdhsa_exception_fp_ieee_div_zero 0
		.amdhsa_exception_fp_ieee_overflow 0
		.amdhsa_exception_fp_ieee_underflow 0
		.amdhsa_exception_fp_ieee_inexact 0
		.amdhsa_exception_int_div_zero 0
	.end_amdhsa_kernel
	.section	.text._ZN7rocprim17ROCPRIM_400000_NS6detail17trampoline_kernelINS0_14default_configENS1_38merge_sort_block_merge_config_selectorIttEEZZNS1_27merge_sort_block_merge_implIS3_N6thrust23THRUST_200600_302600_NS6detail15normal_iteratorINS8_10device_ptrItEEEESD_jNS1_19radix_merge_compareILb0ELb0EtNS0_19identity_decomposerEEEEE10hipError_tT0_T1_T2_jT3_P12ihipStream_tbPNSt15iterator_traitsISI_E10value_typeEPNSO_ISJ_E10value_typeEPSK_NS1_7vsmem_tEENKUlT_SI_SJ_SK_E_clIPtSD_S10_SD_EESH_SX_SI_SJ_SK_EUlSX_E1_NS1_11comp_targetILNS1_3genE9ELNS1_11target_archE1100ELNS1_3gpuE3ELNS1_3repE0EEENS1_36merge_oddeven_config_static_selectorELNS0_4arch9wavefront6targetE1EEEvSJ_,"axG",@progbits,_ZN7rocprim17ROCPRIM_400000_NS6detail17trampoline_kernelINS0_14default_configENS1_38merge_sort_block_merge_config_selectorIttEEZZNS1_27merge_sort_block_merge_implIS3_N6thrust23THRUST_200600_302600_NS6detail15normal_iteratorINS8_10device_ptrItEEEESD_jNS1_19radix_merge_compareILb0ELb0EtNS0_19identity_decomposerEEEEE10hipError_tT0_T1_T2_jT3_P12ihipStream_tbPNSt15iterator_traitsISI_E10value_typeEPNSO_ISJ_E10value_typeEPSK_NS1_7vsmem_tEENKUlT_SI_SJ_SK_E_clIPtSD_S10_SD_EESH_SX_SI_SJ_SK_EUlSX_E1_NS1_11comp_targetILNS1_3genE9ELNS1_11target_archE1100ELNS1_3gpuE3ELNS1_3repE0EEENS1_36merge_oddeven_config_static_selectorELNS0_4arch9wavefront6targetE1EEEvSJ_,comdat
.Lfunc_end864:
	.size	_ZN7rocprim17ROCPRIM_400000_NS6detail17trampoline_kernelINS0_14default_configENS1_38merge_sort_block_merge_config_selectorIttEEZZNS1_27merge_sort_block_merge_implIS3_N6thrust23THRUST_200600_302600_NS6detail15normal_iteratorINS8_10device_ptrItEEEESD_jNS1_19radix_merge_compareILb0ELb0EtNS0_19identity_decomposerEEEEE10hipError_tT0_T1_T2_jT3_P12ihipStream_tbPNSt15iterator_traitsISI_E10value_typeEPNSO_ISJ_E10value_typeEPSK_NS1_7vsmem_tEENKUlT_SI_SJ_SK_E_clIPtSD_S10_SD_EESH_SX_SI_SJ_SK_EUlSX_E1_NS1_11comp_targetILNS1_3genE9ELNS1_11target_archE1100ELNS1_3gpuE3ELNS1_3repE0EEENS1_36merge_oddeven_config_static_selectorELNS0_4arch9wavefront6targetE1EEEvSJ_, .Lfunc_end864-_ZN7rocprim17ROCPRIM_400000_NS6detail17trampoline_kernelINS0_14default_configENS1_38merge_sort_block_merge_config_selectorIttEEZZNS1_27merge_sort_block_merge_implIS3_N6thrust23THRUST_200600_302600_NS6detail15normal_iteratorINS8_10device_ptrItEEEESD_jNS1_19radix_merge_compareILb0ELb0EtNS0_19identity_decomposerEEEEE10hipError_tT0_T1_T2_jT3_P12ihipStream_tbPNSt15iterator_traitsISI_E10value_typeEPNSO_ISJ_E10value_typeEPSK_NS1_7vsmem_tEENKUlT_SI_SJ_SK_E_clIPtSD_S10_SD_EESH_SX_SI_SJ_SK_EUlSX_E1_NS1_11comp_targetILNS1_3genE9ELNS1_11target_archE1100ELNS1_3gpuE3ELNS1_3repE0EEENS1_36merge_oddeven_config_static_selectorELNS0_4arch9wavefront6targetE1EEEvSJ_
                                        ; -- End function
	.set _ZN7rocprim17ROCPRIM_400000_NS6detail17trampoline_kernelINS0_14default_configENS1_38merge_sort_block_merge_config_selectorIttEEZZNS1_27merge_sort_block_merge_implIS3_N6thrust23THRUST_200600_302600_NS6detail15normal_iteratorINS8_10device_ptrItEEEESD_jNS1_19radix_merge_compareILb0ELb0EtNS0_19identity_decomposerEEEEE10hipError_tT0_T1_T2_jT3_P12ihipStream_tbPNSt15iterator_traitsISI_E10value_typeEPNSO_ISJ_E10value_typeEPSK_NS1_7vsmem_tEENKUlT_SI_SJ_SK_E_clIPtSD_S10_SD_EESH_SX_SI_SJ_SK_EUlSX_E1_NS1_11comp_targetILNS1_3genE9ELNS1_11target_archE1100ELNS1_3gpuE3ELNS1_3repE0EEENS1_36merge_oddeven_config_static_selectorELNS0_4arch9wavefront6targetE1EEEvSJ_.num_vgpr, 0
	.set _ZN7rocprim17ROCPRIM_400000_NS6detail17trampoline_kernelINS0_14default_configENS1_38merge_sort_block_merge_config_selectorIttEEZZNS1_27merge_sort_block_merge_implIS3_N6thrust23THRUST_200600_302600_NS6detail15normal_iteratorINS8_10device_ptrItEEEESD_jNS1_19radix_merge_compareILb0ELb0EtNS0_19identity_decomposerEEEEE10hipError_tT0_T1_T2_jT3_P12ihipStream_tbPNSt15iterator_traitsISI_E10value_typeEPNSO_ISJ_E10value_typeEPSK_NS1_7vsmem_tEENKUlT_SI_SJ_SK_E_clIPtSD_S10_SD_EESH_SX_SI_SJ_SK_EUlSX_E1_NS1_11comp_targetILNS1_3genE9ELNS1_11target_archE1100ELNS1_3gpuE3ELNS1_3repE0EEENS1_36merge_oddeven_config_static_selectorELNS0_4arch9wavefront6targetE1EEEvSJ_.num_agpr, 0
	.set _ZN7rocprim17ROCPRIM_400000_NS6detail17trampoline_kernelINS0_14default_configENS1_38merge_sort_block_merge_config_selectorIttEEZZNS1_27merge_sort_block_merge_implIS3_N6thrust23THRUST_200600_302600_NS6detail15normal_iteratorINS8_10device_ptrItEEEESD_jNS1_19radix_merge_compareILb0ELb0EtNS0_19identity_decomposerEEEEE10hipError_tT0_T1_T2_jT3_P12ihipStream_tbPNSt15iterator_traitsISI_E10value_typeEPNSO_ISJ_E10value_typeEPSK_NS1_7vsmem_tEENKUlT_SI_SJ_SK_E_clIPtSD_S10_SD_EESH_SX_SI_SJ_SK_EUlSX_E1_NS1_11comp_targetILNS1_3genE9ELNS1_11target_archE1100ELNS1_3gpuE3ELNS1_3repE0EEENS1_36merge_oddeven_config_static_selectorELNS0_4arch9wavefront6targetE1EEEvSJ_.numbered_sgpr, 0
	.set _ZN7rocprim17ROCPRIM_400000_NS6detail17trampoline_kernelINS0_14default_configENS1_38merge_sort_block_merge_config_selectorIttEEZZNS1_27merge_sort_block_merge_implIS3_N6thrust23THRUST_200600_302600_NS6detail15normal_iteratorINS8_10device_ptrItEEEESD_jNS1_19radix_merge_compareILb0ELb0EtNS0_19identity_decomposerEEEEE10hipError_tT0_T1_T2_jT3_P12ihipStream_tbPNSt15iterator_traitsISI_E10value_typeEPNSO_ISJ_E10value_typeEPSK_NS1_7vsmem_tEENKUlT_SI_SJ_SK_E_clIPtSD_S10_SD_EESH_SX_SI_SJ_SK_EUlSX_E1_NS1_11comp_targetILNS1_3genE9ELNS1_11target_archE1100ELNS1_3gpuE3ELNS1_3repE0EEENS1_36merge_oddeven_config_static_selectorELNS0_4arch9wavefront6targetE1EEEvSJ_.num_named_barrier, 0
	.set _ZN7rocprim17ROCPRIM_400000_NS6detail17trampoline_kernelINS0_14default_configENS1_38merge_sort_block_merge_config_selectorIttEEZZNS1_27merge_sort_block_merge_implIS3_N6thrust23THRUST_200600_302600_NS6detail15normal_iteratorINS8_10device_ptrItEEEESD_jNS1_19radix_merge_compareILb0ELb0EtNS0_19identity_decomposerEEEEE10hipError_tT0_T1_T2_jT3_P12ihipStream_tbPNSt15iterator_traitsISI_E10value_typeEPNSO_ISJ_E10value_typeEPSK_NS1_7vsmem_tEENKUlT_SI_SJ_SK_E_clIPtSD_S10_SD_EESH_SX_SI_SJ_SK_EUlSX_E1_NS1_11comp_targetILNS1_3genE9ELNS1_11target_archE1100ELNS1_3gpuE3ELNS1_3repE0EEENS1_36merge_oddeven_config_static_selectorELNS0_4arch9wavefront6targetE1EEEvSJ_.private_seg_size, 0
	.set _ZN7rocprim17ROCPRIM_400000_NS6detail17trampoline_kernelINS0_14default_configENS1_38merge_sort_block_merge_config_selectorIttEEZZNS1_27merge_sort_block_merge_implIS3_N6thrust23THRUST_200600_302600_NS6detail15normal_iteratorINS8_10device_ptrItEEEESD_jNS1_19radix_merge_compareILb0ELb0EtNS0_19identity_decomposerEEEEE10hipError_tT0_T1_T2_jT3_P12ihipStream_tbPNSt15iterator_traitsISI_E10value_typeEPNSO_ISJ_E10value_typeEPSK_NS1_7vsmem_tEENKUlT_SI_SJ_SK_E_clIPtSD_S10_SD_EESH_SX_SI_SJ_SK_EUlSX_E1_NS1_11comp_targetILNS1_3genE9ELNS1_11target_archE1100ELNS1_3gpuE3ELNS1_3repE0EEENS1_36merge_oddeven_config_static_selectorELNS0_4arch9wavefront6targetE1EEEvSJ_.uses_vcc, 0
	.set _ZN7rocprim17ROCPRIM_400000_NS6detail17trampoline_kernelINS0_14default_configENS1_38merge_sort_block_merge_config_selectorIttEEZZNS1_27merge_sort_block_merge_implIS3_N6thrust23THRUST_200600_302600_NS6detail15normal_iteratorINS8_10device_ptrItEEEESD_jNS1_19radix_merge_compareILb0ELb0EtNS0_19identity_decomposerEEEEE10hipError_tT0_T1_T2_jT3_P12ihipStream_tbPNSt15iterator_traitsISI_E10value_typeEPNSO_ISJ_E10value_typeEPSK_NS1_7vsmem_tEENKUlT_SI_SJ_SK_E_clIPtSD_S10_SD_EESH_SX_SI_SJ_SK_EUlSX_E1_NS1_11comp_targetILNS1_3genE9ELNS1_11target_archE1100ELNS1_3gpuE3ELNS1_3repE0EEENS1_36merge_oddeven_config_static_selectorELNS0_4arch9wavefront6targetE1EEEvSJ_.uses_flat_scratch, 0
	.set _ZN7rocprim17ROCPRIM_400000_NS6detail17trampoline_kernelINS0_14default_configENS1_38merge_sort_block_merge_config_selectorIttEEZZNS1_27merge_sort_block_merge_implIS3_N6thrust23THRUST_200600_302600_NS6detail15normal_iteratorINS8_10device_ptrItEEEESD_jNS1_19radix_merge_compareILb0ELb0EtNS0_19identity_decomposerEEEEE10hipError_tT0_T1_T2_jT3_P12ihipStream_tbPNSt15iterator_traitsISI_E10value_typeEPNSO_ISJ_E10value_typeEPSK_NS1_7vsmem_tEENKUlT_SI_SJ_SK_E_clIPtSD_S10_SD_EESH_SX_SI_SJ_SK_EUlSX_E1_NS1_11comp_targetILNS1_3genE9ELNS1_11target_archE1100ELNS1_3gpuE3ELNS1_3repE0EEENS1_36merge_oddeven_config_static_selectorELNS0_4arch9wavefront6targetE1EEEvSJ_.has_dyn_sized_stack, 0
	.set _ZN7rocprim17ROCPRIM_400000_NS6detail17trampoline_kernelINS0_14default_configENS1_38merge_sort_block_merge_config_selectorIttEEZZNS1_27merge_sort_block_merge_implIS3_N6thrust23THRUST_200600_302600_NS6detail15normal_iteratorINS8_10device_ptrItEEEESD_jNS1_19radix_merge_compareILb0ELb0EtNS0_19identity_decomposerEEEEE10hipError_tT0_T1_T2_jT3_P12ihipStream_tbPNSt15iterator_traitsISI_E10value_typeEPNSO_ISJ_E10value_typeEPSK_NS1_7vsmem_tEENKUlT_SI_SJ_SK_E_clIPtSD_S10_SD_EESH_SX_SI_SJ_SK_EUlSX_E1_NS1_11comp_targetILNS1_3genE9ELNS1_11target_archE1100ELNS1_3gpuE3ELNS1_3repE0EEENS1_36merge_oddeven_config_static_selectorELNS0_4arch9wavefront6targetE1EEEvSJ_.has_recursion, 0
	.set _ZN7rocprim17ROCPRIM_400000_NS6detail17trampoline_kernelINS0_14default_configENS1_38merge_sort_block_merge_config_selectorIttEEZZNS1_27merge_sort_block_merge_implIS3_N6thrust23THRUST_200600_302600_NS6detail15normal_iteratorINS8_10device_ptrItEEEESD_jNS1_19radix_merge_compareILb0ELb0EtNS0_19identity_decomposerEEEEE10hipError_tT0_T1_T2_jT3_P12ihipStream_tbPNSt15iterator_traitsISI_E10value_typeEPNSO_ISJ_E10value_typeEPSK_NS1_7vsmem_tEENKUlT_SI_SJ_SK_E_clIPtSD_S10_SD_EESH_SX_SI_SJ_SK_EUlSX_E1_NS1_11comp_targetILNS1_3genE9ELNS1_11target_archE1100ELNS1_3gpuE3ELNS1_3repE0EEENS1_36merge_oddeven_config_static_selectorELNS0_4arch9wavefront6targetE1EEEvSJ_.has_indirect_call, 0
	.section	.AMDGPU.csdata,"",@progbits
; Kernel info:
; codeLenInByte = 0
; TotalNumSgprs: 6
; NumVgprs: 0
; NumAgprs: 0
; TotalNumVgprs: 0
; ScratchSize: 0
; MemoryBound: 0
; FloatMode: 240
; IeeeMode: 1
; LDSByteSize: 0 bytes/workgroup (compile time only)
; SGPRBlocks: 0
; VGPRBlocks: 0
; NumSGPRsForWavesPerEU: 6
; NumVGPRsForWavesPerEU: 1
; AccumOffset: 4
; Occupancy: 8
; WaveLimiterHint : 0
; COMPUTE_PGM_RSRC2:SCRATCH_EN: 0
; COMPUTE_PGM_RSRC2:USER_SGPR: 2
; COMPUTE_PGM_RSRC2:TRAP_HANDLER: 0
; COMPUTE_PGM_RSRC2:TGID_X_EN: 1
; COMPUTE_PGM_RSRC2:TGID_Y_EN: 0
; COMPUTE_PGM_RSRC2:TGID_Z_EN: 0
; COMPUTE_PGM_RSRC2:TIDIG_COMP_CNT: 0
; COMPUTE_PGM_RSRC3_GFX90A:ACCUM_OFFSET: 0
; COMPUTE_PGM_RSRC3_GFX90A:TG_SPLIT: 0
	.section	.text._ZN7rocprim17ROCPRIM_400000_NS6detail17trampoline_kernelINS0_14default_configENS1_38merge_sort_block_merge_config_selectorIttEEZZNS1_27merge_sort_block_merge_implIS3_N6thrust23THRUST_200600_302600_NS6detail15normal_iteratorINS8_10device_ptrItEEEESD_jNS1_19radix_merge_compareILb0ELb0EtNS0_19identity_decomposerEEEEE10hipError_tT0_T1_T2_jT3_P12ihipStream_tbPNSt15iterator_traitsISI_E10value_typeEPNSO_ISJ_E10value_typeEPSK_NS1_7vsmem_tEENKUlT_SI_SJ_SK_E_clIPtSD_S10_SD_EESH_SX_SI_SJ_SK_EUlSX_E1_NS1_11comp_targetILNS1_3genE8ELNS1_11target_archE1030ELNS1_3gpuE2ELNS1_3repE0EEENS1_36merge_oddeven_config_static_selectorELNS0_4arch9wavefront6targetE1EEEvSJ_,"axG",@progbits,_ZN7rocprim17ROCPRIM_400000_NS6detail17trampoline_kernelINS0_14default_configENS1_38merge_sort_block_merge_config_selectorIttEEZZNS1_27merge_sort_block_merge_implIS3_N6thrust23THRUST_200600_302600_NS6detail15normal_iteratorINS8_10device_ptrItEEEESD_jNS1_19radix_merge_compareILb0ELb0EtNS0_19identity_decomposerEEEEE10hipError_tT0_T1_T2_jT3_P12ihipStream_tbPNSt15iterator_traitsISI_E10value_typeEPNSO_ISJ_E10value_typeEPSK_NS1_7vsmem_tEENKUlT_SI_SJ_SK_E_clIPtSD_S10_SD_EESH_SX_SI_SJ_SK_EUlSX_E1_NS1_11comp_targetILNS1_3genE8ELNS1_11target_archE1030ELNS1_3gpuE2ELNS1_3repE0EEENS1_36merge_oddeven_config_static_selectorELNS0_4arch9wavefront6targetE1EEEvSJ_,comdat
	.protected	_ZN7rocprim17ROCPRIM_400000_NS6detail17trampoline_kernelINS0_14default_configENS1_38merge_sort_block_merge_config_selectorIttEEZZNS1_27merge_sort_block_merge_implIS3_N6thrust23THRUST_200600_302600_NS6detail15normal_iteratorINS8_10device_ptrItEEEESD_jNS1_19radix_merge_compareILb0ELb0EtNS0_19identity_decomposerEEEEE10hipError_tT0_T1_T2_jT3_P12ihipStream_tbPNSt15iterator_traitsISI_E10value_typeEPNSO_ISJ_E10value_typeEPSK_NS1_7vsmem_tEENKUlT_SI_SJ_SK_E_clIPtSD_S10_SD_EESH_SX_SI_SJ_SK_EUlSX_E1_NS1_11comp_targetILNS1_3genE8ELNS1_11target_archE1030ELNS1_3gpuE2ELNS1_3repE0EEENS1_36merge_oddeven_config_static_selectorELNS0_4arch9wavefront6targetE1EEEvSJ_ ; -- Begin function _ZN7rocprim17ROCPRIM_400000_NS6detail17trampoline_kernelINS0_14default_configENS1_38merge_sort_block_merge_config_selectorIttEEZZNS1_27merge_sort_block_merge_implIS3_N6thrust23THRUST_200600_302600_NS6detail15normal_iteratorINS8_10device_ptrItEEEESD_jNS1_19radix_merge_compareILb0ELb0EtNS0_19identity_decomposerEEEEE10hipError_tT0_T1_T2_jT3_P12ihipStream_tbPNSt15iterator_traitsISI_E10value_typeEPNSO_ISJ_E10value_typeEPSK_NS1_7vsmem_tEENKUlT_SI_SJ_SK_E_clIPtSD_S10_SD_EESH_SX_SI_SJ_SK_EUlSX_E1_NS1_11comp_targetILNS1_3genE8ELNS1_11target_archE1030ELNS1_3gpuE2ELNS1_3repE0EEENS1_36merge_oddeven_config_static_selectorELNS0_4arch9wavefront6targetE1EEEvSJ_
	.globl	_ZN7rocprim17ROCPRIM_400000_NS6detail17trampoline_kernelINS0_14default_configENS1_38merge_sort_block_merge_config_selectorIttEEZZNS1_27merge_sort_block_merge_implIS3_N6thrust23THRUST_200600_302600_NS6detail15normal_iteratorINS8_10device_ptrItEEEESD_jNS1_19radix_merge_compareILb0ELb0EtNS0_19identity_decomposerEEEEE10hipError_tT0_T1_T2_jT3_P12ihipStream_tbPNSt15iterator_traitsISI_E10value_typeEPNSO_ISJ_E10value_typeEPSK_NS1_7vsmem_tEENKUlT_SI_SJ_SK_E_clIPtSD_S10_SD_EESH_SX_SI_SJ_SK_EUlSX_E1_NS1_11comp_targetILNS1_3genE8ELNS1_11target_archE1030ELNS1_3gpuE2ELNS1_3repE0EEENS1_36merge_oddeven_config_static_selectorELNS0_4arch9wavefront6targetE1EEEvSJ_
	.p2align	8
	.type	_ZN7rocprim17ROCPRIM_400000_NS6detail17trampoline_kernelINS0_14default_configENS1_38merge_sort_block_merge_config_selectorIttEEZZNS1_27merge_sort_block_merge_implIS3_N6thrust23THRUST_200600_302600_NS6detail15normal_iteratorINS8_10device_ptrItEEEESD_jNS1_19radix_merge_compareILb0ELb0EtNS0_19identity_decomposerEEEEE10hipError_tT0_T1_T2_jT3_P12ihipStream_tbPNSt15iterator_traitsISI_E10value_typeEPNSO_ISJ_E10value_typeEPSK_NS1_7vsmem_tEENKUlT_SI_SJ_SK_E_clIPtSD_S10_SD_EESH_SX_SI_SJ_SK_EUlSX_E1_NS1_11comp_targetILNS1_3genE8ELNS1_11target_archE1030ELNS1_3gpuE2ELNS1_3repE0EEENS1_36merge_oddeven_config_static_selectorELNS0_4arch9wavefront6targetE1EEEvSJ_,@function
_ZN7rocprim17ROCPRIM_400000_NS6detail17trampoline_kernelINS0_14default_configENS1_38merge_sort_block_merge_config_selectorIttEEZZNS1_27merge_sort_block_merge_implIS3_N6thrust23THRUST_200600_302600_NS6detail15normal_iteratorINS8_10device_ptrItEEEESD_jNS1_19radix_merge_compareILb0ELb0EtNS0_19identity_decomposerEEEEE10hipError_tT0_T1_T2_jT3_P12ihipStream_tbPNSt15iterator_traitsISI_E10value_typeEPNSO_ISJ_E10value_typeEPSK_NS1_7vsmem_tEENKUlT_SI_SJ_SK_E_clIPtSD_S10_SD_EESH_SX_SI_SJ_SK_EUlSX_E1_NS1_11comp_targetILNS1_3genE8ELNS1_11target_archE1030ELNS1_3gpuE2ELNS1_3repE0EEENS1_36merge_oddeven_config_static_selectorELNS0_4arch9wavefront6targetE1EEEvSJ_: ; @_ZN7rocprim17ROCPRIM_400000_NS6detail17trampoline_kernelINS0_14default_configENS1_38merge_sort_block_merge_config_selectorIttEEZZNS1_27merge_sort_block_merge_implIS3_N6thrust23THRUST_200600_302600_NS6detail15normal_iteratorINS8_10device_ptrItEEEESD_jNS1_19radix_merge_compareILb0ELb0EtNS0_19identity_decomposerEEEEE10hipError_tT0_T1_T2_jT3_P12ihipStream_tbPNSt15iterator_traitsISI_E10value_typeEPNSO_ISJ_E10value_typeEPSK_NS1_7vsmem_tEENKUlT_SI_SJ_SK_E_clIPtSD_S10_SD_EESH_SX_SI_SJ_SK_EUlSX_E1_NS1_11comp_targetILNS1_3genE8ELNS1_11target_archE1030ELNS1_3gpuE2ELNS1_3repE0EEENS1_36merge_oddeven_config_static_selectorELNS0_4arch9wavefront6targetE1EEEvSJ_
; %bb.0:
	.section	.rodata,"a",@progbits
	.p2align	6, 0x0
	.amdhsa_kernel _ZN7rocprim17ROCPRIM_400000_NS6detail17trampoline_kernelINS0_14default_configENS1_38merge_sort_block_merge_config_selectorIttEEZZNS1_27merge_sort_block_merge_implIS3_N6thrust23THRUST_200600_302600_NS6detail15normal_iteratorINS8_10device_ptrItEEEESD_jNS1_19radix_merge_compareILb0ELb0EtNS0_19identity_decomposerEEEEE10hipError_tT0_T1_T2_jT3_P12ihipStream_tbPNSt15iterator_traitsISI_E10value_typeEPNSO_ISJ_E10value_typeEPSK_NS1_7vsmem_tEENKUlT_SI_SJ_SK_E_clIPtSD_S10_SD_EESH_SX_SI_SJ_SK_EUlSX_E1_NS1_11comp_targetILNS1_3genE8ELNS1_11target_archE1030ELNS1_3gpuE2ELNS1_3repE0EEENS1_36merge_oddeven_config_static_selectorELNS0_4arch9wavefront6targetE1EEEvSJ_
		.amdhsa_group_segment_fixed_size 0
		.amdhsa_private_segment_fixed_size 0
		.amdhsa_kernarg_size 48
		.amdhsa_user_sgpr_count 2
		.amdhsa_user_sgpr_dispatch_ptr 0
		.amdhsa_user_sgpr_queue_ptr 0
		.amdhsa_user_sgpr_kernarg_segment_ptr 1
		.amdhsa_user_sgpr_dispatch_id 0
		.amdhsa_user_sgpr_kernarg_preload_length 0
		.amdhsa_user_sgpr_kernarg_preload_offset 0
		.amdhsa_user_sgpr_private_segment_size 0
		.amdhsa_uses_dynamic_stack 0
		.amdhsa_enable_private_segment 0
		.amdhsa_system_sgpr_workgroup_id_x 1
		.amdhsa_system_sgpr_workgroup_id_y 0
		.amdhsa_system_sgpr_workgroup_id_z 0
		.amdhsa_system_sgpr_workgroup_info 0
		.amdhsa_system_vgpr_workitem_id 0
		.amdhsa_next_free_vgpr 1
		.amdhsa_next_free_sgpr 0
		.amdhsa_accum_offset 4
		.amdhsa_reserve_vcc 0
		.amdhsa_float_round_mode_32 0
		.amdhsa_float_round_mode_16_64 0
		.amdhsa_float_denorm_mode_32 3
		.amdhsa_float_denorm_mode_16_64 3
		.amdhsa_dx10_clamp 1
		.amdhsa_ieee_mode 1
		.amdhsa_fp16_overflow 0
		.amdhsa_tg_split 0
		.amdhsa_exception_fp_ieee_invalid_op 0
		.amdhsa_exception_fp_denorm_src 0
		.amdhsa_exception_fp_ieee_div_zero 0
		.amdhsa_exception_fp_ieee_overflow 0
		.amdhsa_exception_fp_ieee_underflow 0
		.amdhsa_exception_fp_ieee_inexact 0
		.amdhsa_exception_int_div_zero 0
	.end_amdhsa_kernel
	.section	.text._ZN7rocprim17ROCPRIM_400000_NS6detail17trampoline_kernelINS0_14default_configENS1_38merge_sort_block_merge_config_selectorIttEEZZNS1_27merge_sort_block_merge_implIS3_N6thrust23THRUST_200600_302600_NS6detail15normal_iteratorINS8_10device_ptrItEEEESD_jNS1_19radix_merge_compareILb0ELb0EtNS0_19identity_decomposerEEEEE10hipError_tT0_T1_T2_jT3_P12ihipStream_tbPNSt15iterator_traitsISI_E10value_typeEPNSO_ISJ_E10value_typeEPSK_NS1_7vsmem_tEENKUlT_SI_SJ_SK_E_clIPtSD_S10_SD_EESH_SX_SI_SJ_SK_EUlSX_E1_NS1_11comp_targetILNS1_3genE8ELNS1_11target_archE1030ELNS1_3gpuE2ELNS1_3repE0EEENS1_36merge_oddeven_config_static_selectorELNS0_4arch9wavefront6targetE1EEEvSJ_,"axG",@progbits,_ZN7rocprim17ROCPRIM_400000_NS6detail17trampoline_kernelINS0_14default_configENS1_38merge_sort_block_merge_config_selectorIttEEZZNS1_27merge_sort_block_merge_implIS3_N6thrust23THRUST_200600_302600_NS6detail15normal_iteratorINS8_10device_ptrItEEEESD_jNS1_19radix_merge_compareILb0ELb0EtNS0_19identity_decomposerEEEEE10hipError_tT0_T1_T2_jT3_P12ihipStream_tbPNSt15iterator_traitsISI_E10value_typeEPNSO_ISJ_E10value_typeEPSK_NS1_7vsmem_tEENKUlT_SI_SJ_SK_E_clIPtSD_S10_SD_EESH_SX_SI_SJ_SK_EUlSX_E1_NS1_11comp_targetILNS1_3genE8ELNS1_11target_archE1030ELNS1_3gpuE2ELNS1_3repE0EEENS1_36merge_oddeven_config_static_selectorELNS0_4arch9wavefront6targetE1EEEvSJ_,comdat
.Lfunc_end865:
	.size	_ZN7rocprim17ROCPRIM_400000_NS6detail17trampoline_kernelINS0_14default_configENS1_38merge_sort_block_merge_config_selectorIttEEZZNS1_27merge_sort_block_merge_implIS3_N6thrust23THRUST_200600_302600_NS6detail15normal_iteratorINS8_10device_ptrItEEEESD_jNS1_19radix_merge_compareILb0ELb0EtNS0_19identity_decomposerEEEEE10hipError_tT0_T1_T2_jT3_P12ihipStream_tbPNSt15iterator_traitsISI_E10value_typeEPNSO_ISJ_E10value_typeEPSK_NS1_7vsmem_tEENKUlT_SI_SJ_SK_E_clIPtSD_S10_SD_EESH_SX_SI_SJ_SK_EUlSX_E1_NS1_11comp_targetILNS1_3genE8ELNS1_11target_archE1030ELNS1_3gpuE2ELNS1_3repE0EEENS1_36merge_oddeven_config_static_selectorELNS0_4arch9wavefront6targetE1EEEvSJ_, .Lfunc_end865-_ZN7rocprim17ROCPRIM_400000_NS6detail17trampoline_kernelINS0_14default_configENS1_38merge_sort_block_merge_config_selectorIttEEZZNS1_27merge_sort_block_merge_implIS3_N6thrust23THRUST_200600_302600_NS6detail15normal_iteratorINS8_10device_ptrItEEEESD_jNS1_19radix_merge_compareILb0ELb0EtNS0_19identity_decomposerEEEEE10hipError_tT0_T1_T2_jT3_P12ihipStream_tbPNSt15iterator_traitsISI_E10value_typeEPNSO_ISJ_E10value_typeEPSK_NS1_7vsmem_tEENKUlT_SI_SJ_SK_E_clIPtSD_S10_SD_EESH_SX_SI_SJ_SK_EUlSX_E1_NS1_11comp_targetILNS1_3genE8ELNS1_11target_archE1030ELNS1_3gpuE2ELNS1_3repE0EEENS1_36merge_oddeven_config_static_selectorELNS0_4arch9wavefront6targetE1EEEvSJ_
                                        ; -- End function
	.set _ZN7rocprim17ROCPRIM_400000_NS6detail17trampoline_kernelINS0_14default_configENS1_38merge_sort_block_merge_config_selectorIttEEZZNS1_27merge_sort_block_merge_implIS3_N6thrust23THRUST_200600_302600_NS6detail15normal_iteratorINS8_10device_ptrItEEEESD_jNS1_19radix_merge_compareILb0ELb0EtNS0_19identity_decomposerEEEEE10hipError_tT0_T1_T2_jT3_P12ihipStream_tbPNSt15iterator_traitsISI_E10value_typeEPNSO_ISJ_E10value_typeEPSK_NS1_7vsmem_tEENKUlT_SI_SJ_SK_E_clIPtSD_S10_SD_EESH_SX_SI_SJ_SK_EUlSX_E1_NS1_11comp_targetILNS1_3genE8ELNS1_11target_archE1030ELNS1_3gpuE2ELNS1_3repE0EEENS1_36merge_oddeven_config_static_selectorELNS0_4arch9wavefront6targetE1EEEvSJ_.num_vgpr, 0
	.set _ZN7rocprim17ROCPRIM_400000_NS6detail17trampoline_kernelINS0_14default_configENS1_38merge_sort_block_merge_config_selectorIttEEZZNS1_27merge_sort_block_merge_implIS3_N6thrust23THRUST_200600_302600_NS6detail15normal_iteratorINS8_10device_ptrItEEEESD_jNS1_19radix_merge_compareILb0ELb0EtNS0_19identity_decomposerEEEEE10hipError_tT0_T1_T2_jT3_P12ihipStream_tbPNSt15iterator_traitsISI_E10value_typeEPNSO_ISJ_E10value_typeEPSK_NS1_7vsmem_tEENKUlT_SI_SJ_SK_E_clIPtSD_S10_SD_EESH_SX_SI_SJ_SK_EUlSX_E1_NS1_11comp_targetILNS1_3genE8ELNS1_11target_archE1030ELNS1_3gpuE2ELNS1_3repE0EEENS1_36merge_oddeven_config_static_selectorELNS0_4arch9wavefront6targetE1EEEvSJ_.num_agpr, 0
	.set _ZN7rocprim17ROCPRIM_400000_NS6detail17trampoline_kernelINS0_14default_configENS1_38merge_sort_block_merge_config_selectorIttEEZZNS1_27merge_sort_block_merge_implIS3_N6thrust23THRUST_200600_302600_NS6detail15normal_iteratorINS8_10device_ptrItEEEESD_jNS1_19radix_merge_compareILb0ELb0EtNS0_19identity_decomposerEEEEE10hipError_tT0_T1_T2_jT3_P12ihipStream_tbPNSt15iterator_traitsISI_E10value_typeEPNSO_ISJ_E10value_typeEPSK_NS1_7vsmem_tEENKUlT_SI_SJ_SK_E_clIPtSD_S10_SD_EESH_SX_SI_SJ_SK_EUlSX_E1_NS1_11comp_targetILNS1_3genE8ELNS1_11target_archE1030ELNS1_3gpuE2ELNS1_3repE0EEENS1_36merge_oddeven_config_static_selectorELNS0_4arch9wavefront6targetE1EEEvSJ_.numbered_sgpr, 0
	.set _ZN7rocprim17ROCPRIM_400000_NS6detail17trampoline_kernelINS0_14default_configENS1_38merge_sort_block_merge_config_selectorIttEEZZNS1_27merge_sort_block_merge_implIS3_N6thrust23THRUST_200600_302600_NS6detail15normal_iteratorINS8_10device_ptrItEEEESD_jNS1_19radix_merge_compareILb0ELb0EtNS0_19identity_decomposerEEEEE10hipError_tT0_T1_T2_jT3_P12ihipStream_tbPNSt15iterator_traitsISI_E10value_typeEPNSO_ISJ_E10value_typeEPSK_NS1_7vsmem_tEENKUlT_SI_SJ_SK_E_clIPtSD_S10_SD_EESH_SX_SI_SJ_SK_EUlSX_E1_NS1_11comp_targetILNS1_3genE8ELNS1_11target_archE1030ELNS1_3gpuE2ELNS1_3repE0EEENS1_36merge_oddeven_config_static_selectorELNS0_4arch9wavefront6targetE1EEEvSJ_.num_named_barrier, 0
	.set _ZN7rocprim17ROCPRIM_400000_NS6detail17trampoline_kernelINS0_14default_configENS1_38merge_sort_block_merge_config_selectorIttEEZZNS1_27merge_sort_block_merge_implIS3_N6thrust23THRUST_200600_302600_NS6detail15normal_iteratorINS8_10device_ptrItEEEESD_jNS1_19radix_merge_compareILb0ELb0EtNS0_19identity_decomposerEEEEE10hipError_tT0_T1_T2_jT3_P12ihipStream_tbPNSt15iterator_traitsISI_E10value_typeEPNSO_ISJ_E10value_typeEPSK_NS1_7vsmem_tEENKUlT_SI_SJ_SK_E_clIPtSD_S10_SD_EESH_SX_SI_SJ_SK_EUlSX_E1_NS1_11comp_targetILNS1_3genE8ELNS1_11target_archE1030ELNS1_3gpuE2ELNS1_3repE0EEENS1_36merge_oddeven_config_static_selectorELNS0_4arch9wavefront6targetE1EEEvSJ_.private_seg_size, 0
	.set _ZN7rocprim17ROCPRIM_400000_NS6detail17trampoline_kernelINS0_14default_configENS1_38merge_sort_block_merge_config_selectorIttEEZZNS1_27merge_sort_block_merge_implIS3_N6thrust23THRUST_200600_302600_NS6detail15normal_iteratorINS8_10device_ptrItEEEESD_jNS1_19radix_merge_compareILb0ELb0EtNS0_19identity_decomposerEEEEE10hipError_tT0_T1_T2_jT3_P12ihipStream_tbPNSt15iterator_traitsISI_E10value_typeEPNSO_ISJ_E10value_typeEPSK_NS1_7vsmem_tEENKUlT_SI_SJ_SK_E_clIPtSD_S10_SD_EESH_SX_SI_SJ_SK_EUlSX_E1_NS1_11comp_targetILNS1_3genE8ELNS1_11target_archE1030ELNS1_3gpuE2ELNS1_3repE0EEENS1_36merge_oddeven_config_static_selectorELNS0_4arch9wavefront6targetE1EEEvSJ_.uses_vcc, 0
	.set _ZN7rocprim17ROCPRIM_400000_NS6detail17trampoline_kernelINS0_14default_configENS1_38merge_sort_block_merge_config_selectorIttEEZZNS1_27merge_sort_block_merge_implIS3_N6thrust23THRUST_200600_302600_NS6detail15normal_iteratorINS8_10device_ptrItEEEESD_jNS1_19radix_merge_compareILb0ELb0EtNS0_19identity_decomposerEEEEE10hipError_tT0_T1_T2_jT3_P12ihipStream_tbPNSt15iterator_traitsISI_E10value_typeEPNSO_ISJ_E10value_typeEPSK_NS1_7vsmem_tEENKUlT_SI_SJ_SK_E_clIPtSD_S10_SD_EESH_SX_SI_SJ_SK_EUlSX_E1_NS1_11comp_targetILNS1_3genE8ELNS1_11target_archE1030ELNS1_3gpuE2ELNS1_3repE0EEENS1_36merge_oddeven_config_static_selectorELNS0_4arch9wavefront6targetE1EEEvSJ_.uses_flat_scratch, 0
	.set _ZN7rocprim17ROCPRIM_400000_NS6detail17trampoline_kernelINS0_14default_configENS1_38merge_sort_block_merge_config_selectorIttEEZZNS1_27merge_sort_block_merge_implIS3_N6thrust23THRUST_200600_302600_NS6detail15normal_iteratorINS8_10device_ptrItEEEESD_jNS1_19radix_merge_compareILb0ELb0EtNS0_19identity_decomposerEEEEE10hipError_tT0_T1_T2_jT3_P12ihipStream_tbPNSt15iterator_traitsISI_E10value_typeEPNSO_ISJ_E10value_typeEPSK_NS1_7vsmem_tEENKUlT_SI_SJ_SK_E_clIPtSD_S10_SD_EESH_SX_SI_SJ_SK_EUlSX_E1_NS1_11comp_targetILNS1_3genE8ELNS1_11target_archE1030ELNS1_3gpuE2ELNS1_3repE0EEENS1_36merge_oddeven_config_static_selectorELNS0_4arch9wavefront6targetE1EEEvSJ_.has_dyn_sized_stack, 0
	.set _ZN7rocprim17ROCPRIM_400000_NS6detail17trampoline_kernelINS0_14default_configENS1_38merge_sort_block_merge_config_selectorIttEEZZNS1_27merge_sort_block_merge_implIS3_N6thrust23THRUST_200600_302600_NS6detail15normal_iteratorINS8_10device_ptrItEEEESD_jNS1_19radix_merge_compareILb0ELb0EtNS0_19identity_decomposerEEEEE10hipError_tT0_T1_T2_jT3_P12ihipStream_tbPNSt15iterator_traitsISI_E10value_typeEPNSO_ISJ_E10value_typeEPSK_NS1_7vsmem_tEENKUlT_SI_SJ_SK_E_clIPtSD_S10_SD_EESH_SX_SI_SJ_SK_EUlSX_E1_NS1_11comp_targetILNS1_3genE8ELNS1_11target_archE1030ELNS1_3gpuE2ELNS1_3repE0EEENS1_36merge_oddeven_config_static_selectorELNS0_4arch9wavefront6targetE1EEEvSJ_.has_recursion, 0
	.set _ZN7rocprim17ROCPRIM_400000_NS6detail17trampoline_kernelINS0_14default_configENS1_38merge_sort_block_merge_config_selectorIttEEZZNS1_27merge_sort_block_merge_implIS3_N6thrust23THRUST_200600_302600_NS6detail15normal_iteratorINS8_10device_ptrItEEEESD_jNS1_19radix_merge_compareILb0ELb0EtNS0_19identity_decomposerEEEEE10hipError_tT0_T1_T2_jT3_P12ihipStream_tbPNSt15iterator_traitsISI_E10value_typeEPNSO_ISJ_E10value_typeEPSK_NS1_7vsmem_tEENKUlT_SI_SJ_SK_E_clIPtSD_S10_SD_EESH_SX_SI_SJ_SK_EUlSX_E1_NS1_11comp_targetILNS1_3genE8ELNS1_11target_archE1030ELNS1_3gpuE2ELNS1_3repE0EEENS1_36merge_oddeven_config_static_selectorELNS0_4arch9wavefront6targetE1EEEvSJ_.has_indirect_call, 0
	.section	.AMDGPU.csdata,"",@progbits
; Kernel info:
; codeLenInByte = 0
; TotalNumSgprs: 6
; NumVgprs: 0
; NumAgprs: 0
; TotalNumVgprs: 0
; ScratchSize: 0
; MemoryBound: 0
; FloatMode: 240
; IeeeMode: 1
; LDSByteSize: 0 bytes/workgroup (compile time only)
; SGPRBlocks: 0
; VGPRBlocks: 0
; NumSGPRsForWavesPerEU: 6
; NumVGPRsForWavesPerEU: 1
; AccumOffset: 4
; Occupancy: 8
; WaveLimiterHint : 0
; COMPUTE_PGM_RSRC2:SCRATCH_EN: 0
; COMPUTE_PGM_RSRC2:USER_SGPR: 2
; COMPUTE_PGM_RSRC2:TRAP_HANDLER: 0
; COMPUTE_PGM_RSRC2:TGID_X_EN: 1
; COMPUTE_PGM_RSRC2:TGID_Y_EN: 0
; COMPUTE_PGM_RSRC2:TGID_Z_EN: 0
; COMPUTE_PGM_RSRC2:TIDIG_COMP_CNT: 0
; COMPUTE_PGM_RSRC3_GFX90A:ACCUM_OFFSET: 0
; COMPUTE_PGM_RSRC3_GFX90A:TG_SPLIT: 0
	.section	.text._ZN7rocprim17ROCPRIM_400000_NS6detail17trampoline_kernelINS0_14default_configENS1_38merge_sort_block_merge_config_selectorIttEEZZNS1_27merge_sort_block_merge_implIS3_N6thrust23THRUST_200600_302600_NS6detail15normal_iteratorINS8_10device_ptrItEEEESD_jNS1_19radix_merge_compareILb0ELb0EtNS0_19identity_decomposerEEEEE10hipError_tT0_T1_T2_jT3_P12ihipStream_tbPNSt15iterator_traitsISI_E10value_typeEPNSO_ISJ_E10value_typeEPSK_NS1_7vsmem_tEENKUlT_SI_SJ_SK_E_clISD_PtSD_S10_EESH_SX_SI_SJ_SK_EUlSX_E_NS1_11comp_targetILNS1_3genE0ELNS1_11target_archE4294967295ELNS1_3gpuE0ELNS1_3repE0EEENS1_48merge_mergepath_partition_config_static_selectorELNS0_4arch9wavefront6targetE1EEEvSJ_,"axG",@progbits,_ZN7rocprim17ROCPRIM_400000_NS6detail17trampoline_kernelINS0_14default_configENS1_38merge_sort_block_merge_config_selectorIttEEZZNS1_27merge_sort_block_merge_implIS3_N6thrust23THRUST_200600_302600_NS6detail15normal_iteratorINS8_10device_ptrItEEEESD_jNS1_19radix_merge_compareILb0ELb0EtNS0_19identity_decomposerEEEEE10hipError_tT0_T1_T2_jT3_P12ihipStream_tbPNSt15iterator_traitsISI_E10value_typeEPNSO_ISJ_E10value_typeEPSK_NS1_7vsmem_tEENKUlT_SI_SJ_SK_E_clISD_PtSD_S10_EESH_SX_SI_SJ_SK_EUlSX_E_NS1_11comp_targetILNS1_3genE0ELNS1_11target_archE4294967295ELNS1_3gpuE0ELNS1_3repE0EEENS1_48merge_mergepath_partition_config_static_selectorELNS0_4arch9wavefront6targetE1EEEvSJ_,comdat
	.protected	_ZN7rocprim17ROCPRIM_400000_NS6detail17trampoline_kernelINS0_14default_configENS1_38merge_sort_block_merge_config_selectorIttEEZZNS1_27merge_sort_block_merge_implIS3_N6thrust23THRUST_200600_302600_NS6detail15normal_iteratorINS8_10device_ptrItEEEESD_jNS1_19radix_merge_compareILb0ELb0EtNS0_19identity_decomposerEEEEE10hipError_tT0_T1_T2_jT3_P12ihipStream_tbPNSt15iterator_traitsISI_E10value_typeEPNSO_ISJ_E10value_typeEPSK_NS1_7vsmem_tEENKUlT_SI_SJ_SK_E_clISD_PtSD_S10_EESH_SX_SI_SJ_SK_EUlSX_E_NS1_11comp_targetILNS1_3genE0ELNS1_11target_archE4294967295ELNS1_3gpuE0ELNS1_3repE0EEENS1_48merge_mergepath_partition_config_static_selectorELNS0_4arch9wavefront6targetE1EEEvSJ_ ; -- Begin function _ZN7rocprim17ROCPRIM_400000_NS6detail17trampoline_kernelINS0_14default_configENS1_38merge_sort_block_merge_config_selectorIttEEZZNS1_27merge_sort_block_merge_implIS3_N6thrust23THRUST_200600_302600_NS6detail15normal_iteratorINS8_10device_ptrItEEEESD_jNS1_19radix_merge_compareILb0ELb0EtNS0_19identity_decomposerEEEEE10hipError_tT0_T1_T2_jT3_P12ihipStream_tbPNSt15iterator_traitsISI_E10value_typeEPNSO_ISJ_E10value_typeEPSK_NS1_7vsmem_tEENKUlT_SI_SJ_SK_E_clISD_PtSD_S10_EESH_SX_SI_SJ_SK_EUlSX_E_NS1_11comp_targetILNS1_3genE0ELNS1_11target_archE4294967295ELNS1_3gpuE0ELNS1_3repE0EEENS1_48merge_mergepath_partition_config_static_selectorELNS0_4arch9wavefront6targetE1EEEvSJ_
	.globl	_ZN7rocprim17ROCPRIM_400000_NS6detail17trampoline_kernelINS0_14default_configENS1_38merge_sort_block_merge_config_selectorIttEEZZNS1_27merge_sort_block_merge_implIS3_N6thrust23THRUST_200600_302600_NS6detail15normal_iteratorINS8_10device_ptrItEEEESD_jNS1_19radix_merge_compareILb0ELb0EtNS0_19identity_decomposerEEEEE10hipError_tT0_T1_T2_jT3_P12ihipStream_tbPNSt15iterator_traitsISI_E10value_typeEPNSO_ISJ_E10value_typeEPSK_NS1_7vsmem_tEENKUlT_SI_SJ_SK_E_clISD_PtSD_S10_EESH_SX_SI_SJ_SK_EUlSX_E_NS1_11comp_targetILNS1_3genE0ELNS1_11target_archE4294967295ELNS1_3gpuE0ELNS1_3repE0EEENS1_48merge_mergepath_partition_config_static_selectorELNS0_4arch9wavefront6targetE1EEEvSJ_
	.p2align	8
	.type	_ZN7rocprim17ROCPRIM_400000_NS6detail17trampoline_kernelINS0_14default_configENS1_38merge_sort_block_merge_config_selectorIttEEZZNS1_27merge_sort_block_merge_implIS3_N6thrust23THRUST_200600_302600_NS6detail15normal_iteratorINS8_10device_ptrItEEEESD_jNS1_19radix_merge_compareILb0ELb0EtNS0_19identity_decomposerEEEEE10hipError_tT0_T1_T2_jT3_P12ihipStream_tbPNSt15iterator_traitsISI_E10value_typeEPNSO_ISJ_E10value_typeEPSK_NS1_7vsmem_tEENKUlT_SI_SJ_SK_E_clISD_PtSD_S10_EESH_SX_SI_SJ_SK_EUlSX_E_NS1_11comp_targetILNS1_3genE0ELNS1_11target_archE4294967295ELNS1_3gpuE0ELNS1_3repE0EEENS1_48merge_mergepath_partition_config_static_selectorELNS0_4arch9wavefront6targetE1EEEvSJ_,@function
_ZN7rocprim17ROCPRIM_400000_NS6detail17trampoline_kernelINS0_14default_configENS1_38merge_sort_block_merge_config_selectorIttEEZZNS1_27merge_sort_block_merge_implIS3_N6thrust23THRUST_200600_302600_NS6detail15normal_iteratorINS8_10device_ptrItEEEESD_jNS1_19radix_merge_compareILb0ELb0EtNS0_19identity_decomposerEEEEE10hipError_tT0_T1_T2_jT3_P12ihipStream_tbPNSt15iterator_traitsISI_E10value_typeEPNSO_ISJ_E10value_typeEPSK_NS1_7vsmem_tEENKUlT_SI_SJ_SK_E_clISD_PtSD_S10_EESH_SX_SI_SJ_SK_EUlSX_E_NS1_11comp_targetILNS1_3genE0ELNS1_11target_archE4294967295ELNS1_3gpuE0ELNS1_3repE0EEENS1_48merge_mergepath_partition_config_static_selectorELNS0_4arch9wavefront6targetE1EEEvSJ_: ; @_ZN7rocprim17ROCPRIM_400000_NS6detail17trampoline_kernelINS0_14default_configENS1_38merge_sort_block_merge_config_selectorIttEEZZNS1_27merge_sort_block_merge_implIS3_N6thrust23THRUST_200600_302600_NS6detail15normal_iteratorINS8_10device_ptrItEEEESD_jNS1_19radix_merge_compareILb0ELb0EtNS0_19identity_decomposerEEEEE10hipError_tT0_T1_T2_jT3_P12ihipStream_tbPNSt15iterator_traitsISI_E10value_typeEPNSO_ISJ_E10value_typeEPSK_NS1_7vsmem_tEENKUlT_SI_SJ_SK_E_clISD_PtSD_S10_EESH_SX_SI_SJ_SK_EUlSX_E_NS1_11comp_targetILNS1_3genE0ELNS1_11target_archE4294967295ELNS1_3gpuE0ELNS1_3repE0EEENS1_48merge_mergepath_partition_config_static_selectorELNS0_4arch9wavefront6targetE1EEEvSJ_
; %bb.0:
	s_load_dword s3, s[0:1], 0x0
	v_lshl_or_b32 v0, s2, 7, v0
	s_waitcnt lgkmcnt(0)
	v_cmp_gt_u32_e32 vcc, s3, v0
	s_and_saveexec_b64 s[2:3], vcc
	s_cbranch_execz .LBB866_6
; %bb.1:
	s_load_dwordx2 s[4:5], s[0:1], 0x4
	s_load_dwordx2 s[2:3], s[0:1], 0x20
	s_waitcnt lgkmcnt(0)
	s_lshr_b32 s6, s4, 9
	s_and_b32 s6, s6, 0x7ffffe
	s_add_i32 s7, s6, -1
	s_sub_i32 s6, 0, s6
	v_and_b32_e32 v1, s6, v0
	v_lshlrev_b32_e32 v1, 10, v1
	v_min_u32_e32 v2, s5, v1
	v_add_u32_e32 v1, s4, v1
	v_min_u32_e32 v4, s5, v1
	v_add_u32_e32 v1, s4, v4
	v_and_b32_e32 v3, s7, v0
	v_min_u32_e32 v1, s5, v1
	v_sub_u32_e32 v5, v1, v2
	v_lshlrev_b32_e32 v3, 10, v3
	v_min_u32_e32 v10, v5, v3
	v_sub_u32_e32 v3, v4, v2
	v_sub_u32_e32 v1, v1, v4
	v_sub_u32_e64 v1, v10, v1 clamp
	v_min_u32_e32 v11, v10, v3
	v_cmp_lt_u32_e32 vcc, v1, v11
	s_and_saveexec_b64 s[4:5], vcc
	s_cbranch_execz .LBB866_5
; %bb.2:
	s_load_dwordx2 s[0:1], s[0:1], 0x10
	v_mov_b32_e32 v5, 0
	v_mov_b32_e32 v3, v5
	s_waitcnt lgkmcnt(0)
	v_lshl_add_u64 v[6:7], v[2:3], 1, s[0:1]
	v_lshl_add_u64 v[8:9], v[4:5], 1, s[0:1]
	s_mov_b64 s[0:1], 0
.LBB866_3:                              ; =>This Inner Loop Header: Depth=1
	v_add_u32_e32 v3, v11, v1
	v_lshrrev_b32_e32 v16, 1, v3
	v_and_b32_e32 v4, -2, v3
	v_mov_b32_e32 v13, v5
	v_xad_u32 v12, v16, -1, v10
	v_lshl_add_u64 v[14:15], v[6:7], 0, v[4:5]
	v_lshl_add_u64 v[12:13], v[12:13], 1, v[8:9]
	flat_load_ushort v3, v[14:15]
	flat_load_ushort v4, v[12:13]
	v_add_u32_e32 v12, 1, v16
	s_waitcnt vmcnt(0) lgkmcnt(0)
	v_cmp_gt_u16_e32 vcc, v3, v4
	s_nop 1
	v_cndmask_b32_e32 v11, v11, v16, vcc
	v_cndmask_b32_e32 v1, v12, v1, vcc
	v_cmp_ge_u32_e32 vcc, v1, v11
	s_or_b64 s[0:1], vcc, s[0:1]
	s_andn2_b64 exec, exec, s[0:1]
	s_cbranch_execnz .LBB866_3
; %bb.4:
	s_or_b64 exec, exec, s[0:1]
.LBB866_5:
	s_or_b64 exec, exec, s[4:5]
	v_add_u32_e32 v2, v1, v2
	v_mov_b32_e32 v1, 0
	v_lshl_add_u64 v[0:1], v[0:1], 2, s[2:3]
	global_store_dword v[0:1], v2, off
.LBB866_6:
	s_endpgm
	.section	.rodata,"a",@progbits
	.p2align	6, 0x0
	.amdhsa_kernel _ZN7rocprim17ROCPRIM_400000_NS6detail17trampoline_kernelINS0_14default_configENS1_38merge_sort_block_merge_config_selectorIttEEZZNS1_27merge_sort_block_merge_implIS3_N6thrust23THRUST_200600_302600_NS6detail15normal_iteratorINS8_10device_ptrItEEEESD_jNS1_19radix_merge_compareILb0ELb0EtNS0_19identity_decomposerEEEEE10hipError_tT0_T1_T2_jT3_P12ihipStream_tbPNSt15iterator_traitsISI_E10value_typeEPNSO_ISJ_E10value_typeEPSK_NS1_7vsmem_tEENKUlT_SI_SJ_SK_E_clISD_PtSD_S10_EESH_SX_SI_SJ_SK_EUlSX_E_NS1_11comp_targetILNS1_3genE0ELNS1_11target_archE4294967295ELNS1_3gpuE0ELNS1_3repE0EEENS1_48merge_mergepath_partition_config_static_selectorELNS0_4arch9wavefront6targetE1EEEvSJ_
		.amdhsa_group_segment_fixed_size 0
		.amdhsa_private_segment_fixed_size 0
		.amdhsa_kernarg_size 40
		.amdhsa_user_sgpr_count 2
		.amdhsa_user_sgpr_dispatch_ptr 0
		.amdhsa_user_sgpr_queue_ptr 0
		.amdhsa_user_sgpr_kernarg_segment_ptr 1
		.amdhsa_user_sgpr_dispatch_id 0
		.amdhsa_user_sgpr_kernarg_preload_length 0
		.amdhsa_user_sgpr_kernarg_preload_offset 0
		.amdhsa_user_sgpr_private_segment_size 0
		.amdhsa_uses_dynamic_stack 0
		.amdhsa_enable_private_segment 0
		.amdhsa_system_sgpr_workgroup_id_x 1
		.amdhsa_system_sgpr_workgroup_id_y 0
		.amdhsa_system_sgpr_workgroup_id_z 0
		.amdhsa_system_sgpr_workgroup_info 0
		.amdhsa_system_vgpr_workitem_id 0
		.amdhsa_next_free_vgpr 17
		.amdhsa_next_free_sgpr 8
		.amdhsa_accum_offset 20
		.amdhsa_reserve_vcc 1
		.amdhsa_float_round_mode_32 0
		.amdhsa_float_round_mode_16_64 0
		.amdhsa_float_denorm_mode_32 3
		.amdhsa_float_denorm_mode_16_64 3
		.amdhsa_dx10_clamp 1
		.amdhsa_ieee_mode 1
		.amdhsa_fp16_overflow 0
		.amdhsa_tg_split 0
		.amdhsa_exception_fp_ieee_invalid_op 0
		.amdhsa_exception_fp_denorm_src 0
		.amdhsa_exception_fp_ieee_div_zero 0
		.amdhsa_exception_fp_ieee_overflow 0
		.amdhsa_exception_fp_ieee_underflow 0
		.amdhsa_exception_fp_ieee_inexact 0
		.amdhsa_exception_int_div_zero 0
	.end_amdhsa_kernel
	.section	.text._ZN7rocprim17ROCPRIM_400000_NS6detail17trampoline_kernelINS0_14default_configENS1_38merge_sort_block_merge_config_selectorIttEEZZNS1_27merge_sort_block_merge_implIS3_N6thrust23THRUST_200600_302600_NS6detail15normal_iteratorINS8_10device_ptrItEEEESD_jNS1_19radix_merge_compareILb0ELb0EtNS0_19identity_decomposerEEEEE10hipError_tT0_T1_T2_jT3_P12ihipStream_tbPNSt15iterator_traitsISI_E10value_typeEPNSO_ISJ_E10value_typeEPSK_NS1_7vsmem_tEENKUlT_SI_SJ_SK_E_clISD_PtSD_S10_EESH_SX_SI_SJ_SK_EUlSX_E_NS1_11comp_targetILNS1_3genE0ELNS1_11target_archE4294967295ELNS1_3gpuE0ELNS1_3repE0EEENS1_48merge_mergepath_partition_config_static_selectorELNS0_4arch9wavefront6targetE1EEEvSJ_,"axG",@progbits,_ZN7rocprim17ROCPRIM_400000_NS6detail17trampoline_kernelINS0_14default_configENS1_38merge_sort_block_merge_config_selectorIttEEZZNS1_27merge_sort_block_merge_implIS3_N6thrust23THRUST_200600_302600_NS6detail15normal_iteratorINS8_10device_ptrItEEEESD_jNS1_19radix_merge_compareILb0ELb0EtNS0_19identity_decomposerEEEEE10hipError_tT0_T1_T2_jT3_P12ihipStream_tbPNSt15iterator_traitsISI_E10value_typeEPNSO_ISJ_E10value_typeEPSK_NS1_7vsmem_tEENKUlT_SI_SJ_SK_E_clISD_PtSD_S10_EESH_SX_SI_SJ_SK_EUlSX_E_NS1_11comp_targetILNS1_3genE0ELNS1_11target_archE4294967295ELNS1_3gpuE0ELNS1_3repE0EEENS1_48merge_mergepath_partition_config_static_selectorELNS0_4arch9wavefront6targetE1EEEvSJ_,comdat
.Lfunc_end866:
	.size	_ZN7rocprim17ROCPRIM_400000_NS6detail17trampoline_kernelINS0_14default_configENS1_38merge_sort_block_merge_config_selectorIttEEZZNS1_27merge_sort_block_merge_implIS3_N6thrust23THRUST_200600_302600_NS6detail15normal_iteratorINS8_10device_ptrItEEEESD_jNS1_19radix_merge_compareILb0ELb0EtNS0_19identity_decomposerEEEEE10hipError_tT0_T1_T2_jT3_P12ihipStream_tbPNSt15iterator_traitsISI_E10value_typeEPNSO_ISJ_E10value_typeEPSK_NS1_7vsmem_tEENKUlT_SI_SJ_SK_E_clISD_PtSD_S10_EESH_SX_SI_SJ_SK_EUlSX_E_NS1_11comp_targetILNS1_3genE0ELNS1_11target_archE4294967295ELNS1_3gpuE0ELNS1_3repE0EEENS1_48merge_mergepath_partition_config_static_selectorELNS0_4arch9wavefront6targetE1EEEvSJ_, .Lfunc_end866-_ZN7rocprim17ROCPRIM_400000_NS6detail17trampoline_kernelINS0_14default_configENS1_38merge_sort_block_merge_config_selectorIttEEZZNS1_27merge_sort_block_merge_implIS3_N6thrust23THRUST_200600_302600_NS6detail15normal_iteratorINS8_10device_ptrItEEEESD_jNS1_19radix_merge_compareILb0ELb0EtNS0_19identity_decomposerEEEEE10hipError_tT0_T1_T2_jT3_P12ihipStream_tbPNSt15iterator_traitsISI_E10value_typeEPNSO_ISJ_E10value_typeEPSK_NS1_7vsmem_tEENKUlT_SI_SJ_SK_E_clISD_PtSD_S10_EESH_SX_SI_SJ_SK_EUlSX_E_NS1_11comp_targetILNS1_3genE0ELNS1_11target_archE4294967295ELNS1_3gpuE0ELNS1_3repE0EEENS1_48merge_mergepath_partition_config_static_selectorELNS0_4arch9wavefront6targetE1EEEvSJ_
                                        ; -- End function
	.set _ZN7rocprim17ROCPRIM_400000_NS6detail17trampoline_kernelINS0_14default_configENS1_38merge_sort_block_merge_config_selectorIttEEZZNS1_27merge_sort_block_merge_implIS3_N6thrust23THRUST_200600_302600_NS6detail15normal_iteratorINS8_10device_ptrItEEEESD_jNS1_19radix_merge_compareILb0ELb0EtNS0_19identity_decomposerEEEEE10hipError_tT0_T1_T2_jT3_P12ihipStream_tbPNSt15iterator_traitsISI_E10value_typeEPNSO_ISJ_E10value_typeEPSK_NS1_7vsmem_tEENKUlT_SI_SJ_SK_E_clISD_PtSD_S10_EESH_SX_SI_SJ_SK_EUlSX_E_NS1_11comp_targetILNS1_3genE0ELNS1_11target_archE4294967295ELNS1_3gpuE0ELNS1_3repE0EEENS1_48merge_mergepath_partition_config_static_selectorELNS0_4arch9wavefront6targetE1EEEvSJ_.num_vgpr, 17
	.set _ZN7rocprim17ROCPRIM_400000_NS6detail17trampoline_kernelINS0_14default_configENS1_38merge_sort_block_merge_config_selectorIttEEZZNS1_27merge_sort_block_merge_implIS3_N6thrust23THRUST_200600_302600_NS6detail15normal_iteratorINS8_10device_ptrItEEEESD_jNS1_19radix_merge_compareILb0ELb0EtNS0_19identity_decomposerEEEEE10hipError_tT0_T1_T2_jT3_P12ihipStream_tbPNSt15iterator_traitsISI_E10value_typeEPNSO_ISJ_E10value_typeEPSK_NS1_7vsmem_tEENKUlT_SI_SJ_SK_E_clISD_PtSD_S10_EESH_SX_SI_SJ_SK_EUlSX_E_NS1_11comp_targetILNS1_3genE0ELNS1_11target_archE4294967295ELNS1_3gpuE0ELNS1_3repE0EEENS1_48merge_mergepath_partition_config_static_selectorELNS0_4arch9wavefront6targetE1EEEvSJ_.num_agpr, 0
	.set _ZN7rocprim17ROCPRIM_400000_NS6detail17trampoline_kernelINS0_14default_configENS1_38merge_sort_block_merge_config_selectorIttEEZZNS1_27merge_sort_block_merge_implIS3_N6thrust23THRUST_200600_302600_NS6detail15normal_iteratorINS8_10device_ptrItEEEESD_jNS1_19radix_merge_compareILb0ELb0EtNS0_19identity_decomposerEEEEE10hipError_tT0_T1_T2_jT3_P12ihipStream_tbPNSt15iterator_traitsISI_E10value_typeEPNSO_ISJ_E10value_typeEPSK_NS1_7vsmem_tEENKUlT_SI_SJ_SK_E_clISD_PtSD_S10_EESH_SX_SI_SJ_SK_EUlSX_E_NS1_11comp_targetILNS1_3genE0ELNS1_11target_archE4294967295ELNS1_3gpuE0ELNS1_3repE0EEENS1_48merge_mergepath_partition_config_static_selectorELNS0_4arch9wavefront6targetE1EEEvSJ_.numbered_sgpr, 8
	.set _ZN7rocprim17ROCPRIM_400000_NS6detail17trampoline_kernelINS0_14default_configENS1_38merge_sort_block_merge_config_selectorIttEEZZNS1_27merge_sort_block_merge_implIS3_N6thrust23THRUST_200600_302600_NS6detail15normal_iteratorINS8_10device_ptrItEEEESD_jNS1_19radix_merge_compareILb0ELb0EtNS0_19identity_decomposerEEEEE10hipError_tT0_T1_T2_jT3_P12ihipStream_tbPNSt15iterator_traitsISI_E10value_typeEPNSO_ISJ_E10value_typeEPSK_NS1_7vsmem_tEENKUlT_SI_SJ_SK_E_clISD_PtSD_S10_EESH_SX_SI_SJ_SK_EUlSX_E_NS1_11comp_targetILNS1_3genE0ELNS1_11target_archE4294967295ELNS1_3gpuE0ELNS1_3repE0EEENS1_48merge_mergepath_partition_config_static_selectorELNS0_4arch9wavefront6targetE1EEEvSJ_.num_named_barrier, 0
	.set _ZN7rocprim17ROCPRIM_400000_NS6detail17trampoline_kernelINS0_14default_configENS1_38merge_sort_block_merge_config_selectorIttEEZZNS1_27merge_sort_block_merge_implIS3_N6thrust23THRUST_200600_302600_NS6detail15normal_iteratorINS8_10device_ptrItEEEESD_jNS1_19radix_merge_compareILb0ELb0EtNS0_19identity_decomposerEEEEE10hipError_tT0_T1_T2_jT3_P12ihipStream_tbPNSt15iterator_traitsISI_E10value_typeEPNSO_ISJ_E10value_typeEPSK_NS1_7vsmem_tEENKUlT_SI_SJ_SK_E_clISD_PtSD_S10_EESH_SX_SI_SJ_SK_EUlSX_E_NS1_11comp_targetILNS1_3genE0ELNS1_11target_archE4294967295ELNS1_3gpuE0ELNS1_3repE0EEENS1_48merge_mergepath_partition_config_static_selectorELNS0_4arch9wavefront6targetE1EEEvSJ_.private_seg_size, 0
	.set _ZN7rocprim17ROCPRIM_400000_NS6detail17trampoline_kernelINS0_14default_configENS1_38merge_sort_block_merge_config_selectorIttEEZZNS1_27merge_sort_block_merge_implIS3_N6thrust23THRUST_200600_302600_NS6detail15normal_iteratorINS8_10device_ptrItEEEESD_jNS1_19radix_merge_compareILb0ELb0EtNS0_19identity_decomposerEEEEE10hipError_tT0_T1_T2_jT3_P12ihipStream_tbPNSt15iterator_traitsISI_E10value_typeEPNSO_ISJ_E10value_typeEPSK_NS1_7vsmem_tEENKUlT_SI_SJ_SK_E_clISD_PtSD_S10_EESH_SX_SI_SJ_SK_EUlSX_E_NS1_11comp_targetILNS1_3genE0ELNS1_11target_archE4294967295ELNS1_3gpuE0ELNS1_3repE0EEENS1_48merge_mergepath_partition_config_static_selectorELNS0_4arch9wavefront6targetE1EEEvSJ_.uses_vcc, 1
	.set _ZN7rocprim17ROCPRIM_400000_NS6detail17trampoline_kernelINS0_14default_configENS1_38merge_sort_block_merge_config_selectorIttEEZZNS1_27merge_sort_block_merge_implIS3_N6thrust23THRUST_200600_302600_NS6detail15normal_iteratorINS8_10device_ptrItEEEESD_jNS1_19radix_merge_compareILb0ELb0EtNS0_19identity_decomposerEEEEE10hipError_tT0_T1_T2_jT3_P12ihipStream_tbPNSt15iterator_traitsISI_E10value_typeEPNSO_ISJ_E10value_typeEPSK_NS1_7vsmem_tEENKUlT_SI_SJ_SK_E_clISD_PtSD_S10_EESH_SX_SI_SJ_SK_EUlSX_E_NS1_11comp_targetILNS1_3genE0ELNS1_11target_archE4294967295ELNS1_3gpuE0ELNS1_3repE0EEENS1_48merge_mergepath_partition_config_static_selectorELNS0_4arch9wavefront6targetE1EEEvSJ_.uses_flat_scratch, 0
	.set _ZN7rocprim17ROCPRIM_400000_NS6detail17trampoline_kernelINS0_14default_configENS1_38merge_sort_block_merge_config_selectorIttEEZZNS1_27merge_sort_block_merge_implIS3_N6thrust23THRUST_200600_302600_NS6detail15normal_iteratorINS8_10device_ptrItEEEESD_jNS1_19radix_merge_compareILb0ELb0EtNS0_19identity_decomposerEEEEE10hipError_tT0_T1_T2_jT3_P12ihipStream_tbPNSt15iterator_traitsISI_E10value_typeEPNSO_ISJ_E10value_typeEPSK_NS1_7vsmem_tEENKUlT_SI_SJ_SK_E_clISD_PtSD_S10_EESH_SX_SI_SJ_SK_EUlSX_E_NS1_11comp_targetILNS1_3genE0ELNS1_11target_archE4294967295ELNS1_3gpuE0ELNS1_3repE0EEENS1_48merge_mergepath_partition_config_static_selectorELNS0_4arch9wavefront6targetE1EEEvSJ_.has_dyn_sized_stack, 0
	.set _ZN7rocprim17ROCPRIM_400000_NS6detail17trampoline_kernelINS0_14default_configENS1_38merge_sort_block_merge_config_selectorIttEEZZNS1_27merge_sort_block_merge_implIS3_N6thrust23THRUST_200600_302600_NS6detail15normal_iteratorINS8_10device_ptrItEEEESD_jNS1_19radix_merge_compareILb0ELb0EtNS0_19identity_decomposerEEEEE10hipError_tT0_T1_T2_jT3_P12ihipStream_tbPNSt15iterator_traitsISI_E10value_typeEPNSO_ISJ_E10value_typeEPSK_NS1_7vsmem_tEENKUlT_SI_SJ_SK_E_clISD_PtSD_S10_EESH_SX_SI_SJ_SK_EUlSX_E_NS1_11comp_targetILNS1_3genE0ELNS1_11target_archE4294967295ELNS1_3gpuE0ELNS1_3repE0EEENS1_48merge_mergepath_partition_config_static_selectorELNS0_4arch9wavefront6targetE1EEEvSJ_.has_recursion, 0
	.set _ZN7rocprim17ROCPRIM_400000_NS6detail17trampoline_kernelINS0_14default_configENS1_38merge_sort_block_merge_config_selectorIttEEZZNS1_27merge_sort_block_merge_implIS3_N6thrust23THRUST_200600_302600_NS6detail15normal_iteratorINS8_10device_ptrItEEEESD_jNS1_19radix_merge_compareILb0ELb0EtNS0_19identity_decomposerEEEEE10hipError_tT0_T1_T2_jT3_P12ihipStream_tbPNSt15iterator_traitsISI_E10value_typeEPNSO_ISJ_E10value_typeEPSK_NS1_7vsmem_tEENKUlT_SI_SJ_SK_E_clISD_PtSD_S10_EESH_SX_SI_SJ_SK_EUlSX_E_NS1_11comp_targetILNS1_3genE0ELNS1_11target_archE4294967295ELNS1_3gpuE0ELNS1_3repE0EEENS1_48merge_mergepath_partition_config_static_selectorELNS0_4arch9wavefront6targetE1EEEvSJ_.has_indirect_call, 0
	.section	.AMDGPU.csdata,"",@progbits
; Kernel info:
; codeLenInByte = 320
; TotalNumSgprs: 14
; NumVgprs: 17
; NumAgprs: 0
; TotalNumVgprs: 17
; ScratchSize: 0
; MemoryBound: 0
; FloatMode: 240
; IeeeMode: 1
; LDSByteSize: 0 bytes/workgroup (compile time only)
; SGPRBlocks: 1
; VGPRBlocks: 2
; NumSGPRsForWavesPerEU: 14
; NumVGPRsForWavesPerEU: 17
; AccumOffset: 20
; Occupancy: 8
; WaveLimiterHint : 0
; COMPUTE_PGM_RSRC2:SCRATCH_EN: 0
; COMPUTE_PGM_RSRC2:USER_SGPR: 2
; COMPUTE_PGM_RSRC2:TRAP_HANDLER: 0
; COMPUTE_PGM_RSRC2:TGID_X_EN: 1
; COMPUTE_PGM_RSRC2:TGID_Y_EN: 0
; COMPUTE_PGM_RSRC2:TGID_Z_EN: 0
; COMPUTE_PGM_RSRC2:TIDIG_COMP_CNT: 0
; COMPUTE_PGM_RSRC3_GFX90A:ACCUM_OFFSET: 4
; COMPUTE_PGM_RSRC3_GFX90A:TG_SPLIT: 0
	.section	.text._ZN7rocprim17ROCPRIM_400000_NS6detail17trampoline_kernelINS0_14default_configENS1_38merge_sort_block_merge_config_selectorIttEEZZNS1_27merge_sort_block_merge_implIS3_N6thrust23THRUST_200600_302600_NS6detail15normal_iteratorINS8_10device_ptrItEEEESD_jNS1_19radix_merge_compareILb0ELb0EtNS0_19identity_decomposerEEEEE10hipError_tT0_T1_T2_jT3_P12ihipStream_tbPNSt15iterator_traitsISI_E10value_typeEPNSO_ISJ_E10value_typeEPSK_NS1_7vsmem_tEENKUlT_SI_SJ_SK_E_clISD_PtSD_S10_EESH_SX_SI_SJ_SK_EUlSX_E_NS1_11comp_targetILNS1_3genE10ELNS1_11target_archE1201ELNS1_3gpuE5ELNS1_3repE0EEENS1_48merge_mergepath_partition_config_static_selectorELNS0_4arch9wavefront6targetE1EEEvSJ_,"axG",@progbits,_ZN7rocprim17ROCPRIM_400000_NS6detail17trampoline_kernelINS0_14default_configENS1_38merge_sort_block_merge_config_selectorIttEEZZNS1_27merge_sort_block_merge_implIS3_N6thrust23THRUST_200600_302600_NS6detail15normal_iteratorINS8_10device_ptrItEEEESD_jNS1_19radix_merge_compareILb0ELb0EtNS0_19identity_decomposerEEEEE10hipError_tT0_T1_T2_jT3_P12ihipStream_tbPNSt15iterator_traitsISI_E10value_typeEPNSO_ISJ_E10value_typeEPSK_NS1_7vsmem_tEENKUlT_SI_SJ_SK_E_clISD_PtSD_S10_EESH_SX_SI_SJ_SK_EUlSX_E_NS1_11comp_targetILNS1_3genE10ELNS1_11target_archE1201ELNS1_3gpuE5ELNS1_3repE0EEENS1_48merge_mergepath_partition_config_static_selectorELNS0_4arch9wavefront6targetE1EEEvSJ_,comdat
	.protected	_ZN7rocprim17ROCPRIM_400000_NS6detail17trampoline_kernelINS0_14default_configENS1_38merge_sort_block_merge_config_selectorIttEEZZNS1_27merge_sort_block_merge_implIS3_N6thrust23THRUST_200600_302600_NS6detail15normal_iteratorINS8_10device_ptrItEEEESD_jNS1_19radix_merge_compareILb0ELb0EtNS0_19identity_decomposerEEEEE10hipError_tT0_T1_T2_jT3_P12ihipStream_tbPNSt15iterator_traitsISI_E10value_typeEPNSO_ISJ_E10value_typeEPSK_NS1_7vsmem_tEENKUlT_SI_SJ_SK_E_clISD_PtSD_S10_EESH_SX_SI_SJ_SK_EUlSX_E_NS1_11comp_targetILNS1_3genE10ELNS1_11target_archE1201ELNS1_3gpuE5ELNS1_3repE0EEENS1_48merge_mergepath_partition_config_static_selectorELNS0_4arch9wavefront6targetE1EEEvSJ_ ; -- Begin function _ZN7rocprim17ROCPRIM_400000_NS6detail17trampoline_kernelINS0_14default_configENS1_38merge_sort_block_merge_config_selectorIttEEZZNS1_27merge_sort_block_merge_implIS3_N6thrust23THRUST_200600_302600_NS6detail15normal_iteratorINS8_10device_ptrItEEEESD_jNS1_19radix_merge_compareILb0ELb0EtNS0_19identity_decomposerEEEEE10hipError_tT0_T1_T2_jT3_P12ihipStream_tbPNSt15iterator_traitsISI_E10value_typeEPNSO_ISJ_E10value_typeEPSK_NS1_7vsmem_tEENKUlT_SI_SJ_SK_E_clISD_PtSD_S10_EESH_SX_SI_SJ_SK_EUlSX_E_NS1_11comp_targetILNS1_3genE10ELNS1_11target_archE1201ELNS1_3gpuE5ELNS1_3repE0EEENS1_48merge_mergepath_partition_config_static_selectorELNS0_4arch9wavefront6targetE1EEEvSJ_
	.globl	_ZN7rocprim17ROCPRIM_400000_NS6detail17trampoline_kernelINS0_14default_configENS1_38merge_sort_block_merge_config_selectorIttEEZZNS1_27merge_sort_block_merge_implIS3_N6thrust23THRUST_200600_302600_NS6detail15normal_iteratorINS8_10device_ptrItEEEESD_jNS1_19radix_merge_compareILb0ELb0EtNS0_19identity_decomposerEEEEE10hipError_tT0_T1_T2_jT3_P12ihipStream_tbPNSt15iterator_traitsISI_E10value_typeEPNSO_ISJ_E10value_typeEPSK_NS1_7vsmem_tEENKUlT_SI_SJ_SK_E_clISD_PtSD_S10_EESH_SX_SI_SJ_SK_EUlSX_E_NS1_11comp_targetILNS1_3genE10ELNS1_11target_archE1201ELNS1_3gpuE5ELNS1_3repE0EEENS1_48merge_mergepath_partition_config_static_selectorELNS0_4arch9wavefront6targetE1EEEvSJ_
	.p2align	8
	.type	_ZN7rocprim17ROCPRIM_400000_NS6detail17trampoline_kernelINS0_14default_configENS1_38merge_sort_block_merge_config_selectorIttEEZZNS1_27merge_sort_block_merge_implIS3_N6thrust23THRUST_200600_302600_NS6detail15normal_iteratorINS8_10device_ptrItEEEESD_jNS1_19radix_merge_compareILb0ELb0EtNS0_19identity_decomposerEEEEE10hipError_tT0_T1_T2_jT3_P12ihipStream_tbPNSt15iterator_traitsISI_E10value_typeEPNSO_ISJ_E10value_typeEPSK_NS1_7vsmem_tEENKUlT_SI_SJ_SK_E_clISD_PtSD_S10_EESH_SX_SI_SJ_SK_EUlSX_E_NS1_11comp_targetILNS1_3genE10ELNS1_11target_archE1201ELNS1_3gpuE5ELNS1_3repE0EEENS1_48merge_mergepath_partition_config_static_selectorELNS0_4arch9wavefront6targetE1EEEvSJ_,@function
_ZN7rocprim17ROCPRIM_400000_NS6detail17trampoline_kernelINS0_14default_configENS1_38merge_sort_block_merge_config_selectorIttEEZZNS1_27merge_sort_block_merge_implIS3_N6thrust23THRUST_200600_302600_NS6detail15normal_iteratorINS8_10device_ptrItEEEESD_jNS1_19radix_merge_compareILb0ELb0EtNS0_19identity_decomposerEEEEE10hipError_tT0_T1_T2_jT3_P12ihipStream_tbPNSt15iterator_traitsISI_E10value_typeEPNSO_ISJ_E10value_typeEPSK_NS1_7vsmem_tEENKUlT_SI_SJ_SK_E_clISD_PtSD_S10_EESH_SX_SI_SJ_SK_EUlSX_E_NS1_11comp_targetILNS1_3genE10ELNS1_11target_archE1201ELNS1_3gpuE5ELNS1_3repE0EEENS1_48merge_mergepath_partition_config_static_selectorELNS0_4arch9wavefront6targetE1EEEvSJ_: ; @_ZN7rocprim17ROCPRIM_400000_NS6detail17trampoline_kernelINS0_14default_configENS1_38merge_sort_block_merge_config_selectorIttEEZZNS1_27merge_sort_block_merge_implIS3_N6thrust23THRUST_200600_302600_NS6detail15normal_iteratorINS8_10device_ptrItEEEESD_jNS1_19radix_merge_compareILb0ELb0EtNS0_19identity_decomposerEEEEE10hipError_tT0_T1_T2_jT3_P12ihipStream_tbPNSt15iterator_traitsISI_E10value_typeEPNSO_ISJ_E10value_typeEPSK_NS1_7vsmem_tEENKUlT_SI_SJ_SK_E_clISD_PtSD_S10_EESH_SX_SI_SJ_SK_EUlSX_E_NS1_11comp_targetILNS1_3genE10ELNS1_11target_archE1201ELNS1_3gpuE5ELNS1_3repE0EEENS1_48merge_mergepath_partition_config_static_selectorELNS0_4arch9wavefront6targetE1EEEvSJ_
; %bb.0:
	.section	.rodata,"a",@progbits
	.p2align	6, 0x0
	.amdhsa_kernel _ZN7rocprim17ROCPRIM_400000_NS6detail17trampoline_kernelINS0_14default_configENS1_38merge_sort_block_merge_config_selectorIttEEZZNS1_27merge_sort_block_merge_implIS3_N6thrust23THRUST_200600_302600_NS6detail15normal_iteratorINS8_10device_ptrItEEEESD_jNS1_19radix_merge_compareILb0ELb0EtNS0_19identity_decomposerEEEEE10hipError_tT0_T1_T2_jT3_P12ihipStream_tbPNSt15iterator_traitsISI_E10value_typeEPNSO_ISJ_E10value_typeEPSK_NS1_7vsmem_tEENKUlT_SI_SJ_SK_E_clISD_PtSD_S10_EESH_SX_SI_SJ_SK_EUlSX_E_NS1_11comp_targetILNS1_3genE10ELNS1_11target_archE1201ELNS1_3gpuE5ELNS1_3repE0EEENS1_48merge_mergepath_partition_config_static_selectorELNS0_4arch9wavefront6targetE1EEEvSJ_
		.amdhsa_group_segment_fixed_size 0
		.amdhsa_private_segment_fixed_size 0
		.amdhsa_kernarg_size 40
		.amdhsa_user_sgpr_count 2
		.amdhsa_user_sgpr_dispatch_ptr 0
		.amdhsa_user_sgpr_queue_ptr 0
		.amdhsa_user_sgpr_kernarg_segment_ptr 1
		.amdhsa_user_sgpr_dispatch_id 0
		.amdhsa_user_sgpr_kernarg_preload_length 0
		.amdhsa_user_sgpr_kernarg_preload_offset 0
		.amdhsa_user_sgpr_private_segment_size 0
		.amdhsa_uses_dynamic_stack 0
		.amdhsa_enable_private_segment 0
		.amdhsa_system_sgpr_workgroup_id_x 1
		.amdhsa_system_sgpr_workgroup_id_y 0
		.amdhsa_system_sgpr_workgroup_id_z 0
		.amdhsa_system_sgpr_workgroup_info 0
		.amdhsa_system_vgpr_workitem_id 0
		.amdhsa_next_free_vgpr 1
		.amdhsa_next_free_sgpr 0
		.amdhsa_accum_offset 4
		.amdhsa_reserve_vcc 0
		.amdhsa_float_round_mode_32 0
		.amdhsa_float_round_mode_16_64 0
		.amdhsa_float_denorm_mode_32 3
		.amdhsa_float_denorm_mode_16_64 3
		.amdhsa_dx10_clamp 1
		.amdhsa_ieee_mode 1
		.amdhsa_fp16_overflow 0
		.amdhsa_tg_split 0
		.amdhsa_exception_fp_ieee_invalid_op 0
		.amdhsa_exception_fp_denorm_src 0
		.amdhsa_exception_fp_ieee_div_zero 0
		.amdhsa_exception_fp_ieee_overflow 0
		.amdhsa_exception_fp_ieee_underflow 0
		.amdhsa_exception_fp_ieee_inexact 0
		.amdhsa_exception_int_div_zero 0
	.end_amdhsa_kernel
	.section	.text._ZN7rocprim17ROCPRIM_400000_NS6detail17trampoline_kernelINS0_14default_configENS1_38merge_sort_block_merge_config_selectorIttEEZZNS1_27merge_sort_block_merge_implIS3_N6thrust23THRUST_200600_302600_NS6detail15normal_iteratorINS8_10device_ptrItEEEESD_jNS1_19radix_merge_compareILb0ELb0EtNS0_19identity_decomposerEEEEE10hipError_tT0_T1_T2_jT3_P12ihipStream_tbPNSt15iterator_traitsISI_E10value_typeEPNSO_ISJ_E10value_typeEPSK_NS1_7vsmem_tEENKUlT_SI_SJ_SK_E_clISD_PtSD_S10_EESH_SX_SI_SJ_SK_EUlSX_E_NS1_11comp_targetILNS1_3genE10ELNS1_11target_archE1201ELNS1_3gpuE5ELNS1_3repE0EEENS1_48merge_mergepath_partition_config_static_selectorELNS0_4arch9wavefront6targetE1EEEvSJ_,"axG",@progbits,_ZN7rocprim17ROCPRIM_400000_NS6detail17trampoline_kernelINS0_14default_configENS1_38merge_sort_block_merge_config_selectorIttEEZZNS1_27merge_sort_block_merge_implIS3_N6thrust23THRUST_200600_302600_NS6detail15normal_iteratorINS8_10device_ptrItEEEESD_jNS1_19radix_merge_compareILb0ELb0EtNS0_19identity_decomposerEEEEE10hipError_tT0_T1_T2_jT3_P12ihipStream_tbPNSt15iterator_traitsISI_E10value_typeEPNSO_ISJ_E10value_typeEPSK_NS1_7vsmem_tEENKUlT_SI_SJ_SK_E_clISD_PtSD_S10_EESH_SX_SI_SJ_SK_EUlSX_E_NS1_11comp_targetILNS1_3genE10ELNS1_11target_archE1201ELNS1_3gpuE5ELNS1_3repE0EEENS1_48merge_mergepath_partition_config_static_selectorELNS0_4arch9wavefront6targetE1EEEvSJ_,comdat
.Lfunc_end867:
	.size	_ZN7rocprim17ROCPRIM_400000_NS6detail17trampoline_kernelINS0_14default_configENS1_38merge_sort_block_merge_config_selectorIttEEZZNS1_27merge_sort_block_merge_implIS3_N6thrust23THRUST_200600_302600_NS6detail15normal_iteratorINS8_10device_ptrItEEEESD_jNS1_19radix_merge_compareILb0ELb0EtNS0_19identity_decomposerEEEEE10hipError_tT0_T1_T2_jT3_P12ihipStream_tbPNSt15iterator_traitsISI_E10value_typeEPNSO_ISJ_E10value_typeEPSK_NS1_7vsmem_tEENKUlT_SI_SJ_SK_E_clISD_PtSD_S10_EESH_SX_SI_SJ_SK_EUlSX_E_NS1_11comp_targetILNS1_3genE10ELNS1_11target_archE1201ELNS1_3gpuE5ELNS1_3repE0EEENS1_48merge_mergepath_partition_config_static_selectorELNS0_4arch9wavefront6targetE1EEEvSJ_, .Lfunc_end867-_ZN7rocprim17ROCPRIM_400000_NS6detail17trampoline_kernelINS0_14default_configENS1_38merge_sort_block_merge_config_selectorIttEEZZNS1_27merge_sort_block_merge_implIS3_N6thrust23THRUST_200600_302600_NS6detail15normal_iteratorINS8_10device_ptrItEEEESD_jNS1_19radix_merge_compareILb0ELb0EtNS0_19identity_decomposerEEEEE10hipError_tT0_T1_T2_jT3_P12ihipStream_tbPNSt15iterator_traitsISI_E10value_typeEPNSO_ISJ_E10value_typeEPSK_NS1_7vsmem_tEENKUlT_SI_SJ_SK_E_clISD_PtSD_S10_EESH_SX_SI_SJ_SK_EUlSX_E_NS1_11comp_targetILNS1_3genE10ELNS1_11target_archE1201ELNS1_3gpuE5ELNS1_3repE0EEENS1_48merge_mergepath_partition_config_static_selectorELNS0_4arch9wavefront6targetE1EEEvSJ_
                                        ; -- End function
	.set _ZN7rocprim17ROCPRIM_400000_NS6detail17trampoline_kernelINS0_14default_configENS1_38merge_sort_block_merge_config_selectorIttEEZZNS1_27merge_sort_block_merge_implIS3_N6thrust23THRUST_200600_302600_NS6detail15normal_iteratorINS8_10device_ptrItEEEESD_jNS1_19radix_merge_compareILb0ELb0EtNS0_19identity_decomposerEEEEE10hipError_tT0_T1_T2_jT3_P12ihipStream_tbPNSt15iterator_traitsISI_E10value_typeEPNSO_ISJ_E10value_typeEPSK_NS1_7vsmem_tEENKUlT_SI_SJ_SK_E_clISD_PtSD_S10_EESH_SX_SI_SJ_SK_EUlSX_E_NS1_11comp_targetILNS1_3genE10ELNS1_11target_archE1201ELNS1_3gpuE5ELNS1_3repE0EEENS1_48merge_mergepath_partition_config_static_selectorELNS0_4arch9wavefront6targetE1EEEvSJ_.num_vgpr, 0
	.set _ZN7rocprim17ROCPRIM_400000_NS6detail17trampoline_kernelINS0_14default_configENS1_38merge_sort_block_merge_config_selectorIttEEZZNS1_27merge_sort_block_merge_implIS3_N6thrust23THRUST_200600_302600_NS6detail15normal_iteratorINS8_10device_ptrItEEEESD_jNS1_19radix_merge_compareILb0ELb0EtNS0_19identity_decomposerEEEEE10hipError_tT0_T1_T2_jT3_P12ihipStream_tbPNSt15iterator_traitsISI_E10value_typeEPNSO_ISJ_E10value_typeEPSK_NS1_7vsmem_tEENKUlT_SI_SJ_SK_E_clISD_PtSD_S10_EESH_SX_SI_SJ_SK_EUlSX_E_NS1_11comp_targetILNS1_3genE10ELNS1_11target_archE1201ELNS1_3gpuE5ELNS1_3repE0EEENS1_48merge_mergepath_partition_config_static_selectorELNS0_4arch9wavefront6targetE1EEEvSJ_.num_agpr, 0
	.set _ZN7rocprim17ROCPRIM_400000_NS6detail17trampoline_kernelINS0_14default_configENS1_38merge_sort_block_merge_config_selectorIttEEZZNS1_27merge_sort_block_merge_implIS3_N6thrust23THRUST_200600_302600_NS6detail15normal_iteratorINS8_10device_ptrItEEEESD_jNS1_19radix_merge_compareILb0ELb0EtNS0_19identity_decomposerEEEEE10hipError_tT0_T1_T2_jT3_P12ihipStream_tbPNSt15iterator_traitsISI_E10value_typeEPNSO_ISJ_E10value_typeEPSK_NS1_7vsmem_tEENKUlT_SI_SJ_SK_E_clISD_PtSD_S10_EESH_SX_SI_SJ_SK_EUlSX_E_NS1_11comp_targetILNS1_3genE10ELNS1_11target_archE1201ELNS1_3gpuE5ELNS1_3repE0EEENS1_48merge_mergepath_partition_config_static_selectorELNS0_4arch9wavefront6targetE1EEEvSJ_.numbered_sgpr, 0
	.set _ZN7rocprim17ROCPRIM_400000_NS6detail17trampoline_kernelINS0_14default_configENS1_38merge_sort_block_merge_config_selectorIttEEZZNS1_27merge_sort_block_merge_implIS3_N6thrust23THRUST_200600_302600_NS6detail15normal_iteratorINS8_10device_ptrItEEEESD_jNS1_19radix_merge_compareILb0ELb0EtNS0_19identity_decomposerEEEEE10hipError_tT0_T1_T2_jT3_P12ihipStream_tbPNSt15iterator_traitsISI_E10value_typeEPNSO_ISJ_E10value_typeEPSK_NS1_7vsmem_tEENKUlT_SI_SJ_SK_E_clISD_PtSD_S10_EESH_SX_SI_SJ_SK_EUlSX_E_NS1_11comp_targetILNS1_3genE10ELNS1_11target_archE1201ELNS1_3gpuE5ELNS1_3repE0EEENS1_48merge_mergepath_partition_config_static_selectorELNS0_4arch9wavefront6targetE1EEEvSJ_.num_named_barrier, 0
	.set _ZN7rocprim17ROCPRIM_400000_NS6detail17trampoline_kernelINS0_14default_configENS1_38merge_sort_block_merge_config_selectorIttEEZZNS1_27merge_sort_block_merge_implIS3_N6thrust23THRUST_200600_302600_NS6detail15normal_iteratorINS8_10device_ptrItEEEESD_jNS1_19radix_merge_compareILb0ELb0EtNS0_19identity_decomposerEEEEE10hipError_tT0_T1_T2_jT3_P12ihipStream_tbPNSt15iterator_traitsISI_E10value_typeEPNSO_ISJ_E10value_typeEPSK_NS1_7vsmem_tEENKUlT_SI_SJ_SK_E_clISD_PtSD_S10_EESH_SX_SI_SJ_SK_EUlSX_E_NS1_11comp_targetILNS1_3genE10ELNS1_11target_archE1201ELNS1_3gpuE5ELNS1_3repE0EEENS1_48merge_mergepath_partition_config_static_selectorELNS0_4arch9wavefront6targetE1EEEvSJ_.private_seg_size, 0
	.set _ZN7rocprim17ROCPRIM_400000_NS6detail17trampoline_kernelINS0_14default_configENS1_38merge_sort_block_merge_config_selectorIttEEZZNS1_27merge_sort_block_merge_implIS3_N6thrust23THRUST_200600_302600_NS6detail15normal_iteratorINS8_10device_ptrItEEEESD_jNS1_19radix_merge_compareILb0ELb0EtNS0_19identity_decomposerEEEEE10hipError_tT0_T1_T2_jT3_P12ihipStream_tbPNSt15iterator_traitsISI_E10value_typeEPNSO_ISJ_E10value_typeEPSK_NS1_7vsmem_tEENKUlT_SI_SJ_SK_E_clISD_PtSD_S10_EESH_SX_SI_SJ_SK_EUlSX_E_NS1_11comp_targetILNS1_3genE10ELNS1_11target_archE1201ELNS1_3gpuE5ELNS1_3repE0EEENS1_48merge_mergepath_partition_config_static_selectorELNS0_4arch9wavefront6targetE1EEEvSJ_.uses_vcc, 0
	.set _ZN7rocprim17ROCPRIM_400000_NS6detail17trampoline_kernelINS0_14default_configENS1_38merge_sort_block_merge_config_selectorIttEEZZNS1_27merge_sort_block_merge_implIS3_N6thrust23THRUST_200600_302600_NS6detail15normal_iteratorINS8_10device_ptrItEEEESD_jNS1_19radix_merge_compareILb0ELb0EtNS0_19identity_decomposerEEEEE10hipError_tT0_T1_T2_jT3_P12ihipStream_tbPNSt15iterator_traitsISI_E10value_typeEPNSO_ISJ_E10value_typeEPSK_NS1_7vsmem_tEENKUlT_SI_SJ_SK_E_clISD_PtSD_S10_EESH_SX_SI_SJ_SK_EUlSX_E_NS1_11comp_targetILNS1_3genE10ELNS1_11target_archE1201ELNS1_3gpuE5ELNS1_3repE0EEENS1_48merge_mergepath_partition_config_static_selectorELNS0_4arch9wavefront6targetE1EEEvSJ_.uses_flat_scratch, 0
	.set _ZN7rocprim17ROCPRIM_400000_NS6detail17trampoline_kernelINS0_14default_configENS1_38merge_sort_block_merge_config_selectorIttEEZZNS1_27merge_sort_block_merge_implIS3_N6thrust23THRUST_200600_302600_NS6detail15normal_iteratorINS8_10device_ptrItEEEESD_jNS1_19radix_merge_compareILb0ELb0EtNS0_19identity_decomposerEEEEE10hipError_tT0_T1_T2_jT3_P12ihipStream_tbPNSt15iterator_traitsISI_E10value_typeEPNSO_ISJ_E10value_typeEPSK_NS1_7vsmem_tEENKUlT_SI_SJ_SK_E_clISD_PtSD_S10_EESH_SX_SI_SJ_SK_EUlSX_E_NS1_11comp_targetILNS1_3genE10ELNS1_11target_archE1201ELNS1_3gpuE5ELNS1_3repE0EEENS1_48merge_mergepath_partition_config_static_selectorELNS0_4arch9wavefront6targetE1EEEvSJ_.has_dyn_sized_stack, 0
	.set _ZN7rocprim17ROCPRIM_400000_NS6detail17trampoline_kernelINS0_14default_configENS1_38merge_sort_block_merge_config_selectorIttEEZZNS1_27merge_sort_block_merge_implIS3_N6thrust23THRUST_200600_302600_NS6detail15normal_iteratorINS8_10device_ptrItEEEESD_jNS1_19radix_merge_compareILb0ELb0EtNS0_19identity_decomposerEEEEE10hipError_tT0_T1_T2_jT3_P12ihipStream_tbPNSt15iterator_traitsISI_E10value_typeEPNSO_ISJ_E10value_typeEPSK_NS1_7vsmem_tEENKUlT_SI_SJ_SK_E_clISD_PtSD_S10_EESH_SX_SI_SJ_SK_EUlSX_E_NS1_11comp_targetILNS1_3genE10ELNS1_11target_archE1201ELNS1_3gpuE5ELNS1_3repE0EEENS1_48merge_mergepath_partition_config_static_selectorELNS0_4arch9wavefront6targetE1EEEvSJ_.has_recursion, 0
	.set _ZN7rocprim17ROCPRIM_400000_NS6detail17trampoline_kernelINS0_14default_configENS1_38merge_sort_block_merge_config_selectorIttEEZZNS1_27merge_sort_block_merge_implIS3_N6thrust23THRUST_200600_302600_NS6detail15normal_iteratorINS8_10device_ptrItEEEESD_jNS1_19radix_merge_compareILb0ELb0EtNS0_19identity_decomposerEEEEE10hipError_tT0_T1_T2_jT3_P12ihipStream_tbPNSt15iterator_traitsISI_E10value_typeEPNSO_ISJ_E10value_typeEPSK_NS1_7vsmem_tEENKUlT_SI_SJ_SK_E_clISD_PtSD_S10_EESH_SX_SI_SJ_SK_EUlSX_E_NS1_11comp_targetILNS1_3genE10ELNS1_11target_archE1201ELNS1_3gpuE5ELNS1_3repE0EEENS1_48merge_mergepath_partition_config_static_selectorELNS0_4arch9wavefront6targetE1EEEvSJ_.has_indirect_call, 0
	.section	.AMDGPU.csdata,"",@progbits
; Kernel info:
; codeLenInByte = 0
; TotalNumSgprs: 6
; NumVgprs: 0
; NumAgprs: 0
; TotalNumVgprs: 0
; ScratchSize: 0
; MemoryBound: 0
; FloatMode: 240
; IeeeMode: 1
; LDSByteSize: 0 bytes/workgroup (compile time only)
; SGPRBlocks: 0
; VGPRBlocks: 0
; NumSGPRsForWavesPerEU: 6
; NumVGPRsForWavesPerEU: 1
; AccumOffset: 4
; Occupancy: 8
; WaveLimiterHint : 0
; COMPUTE_PGM_RSRC2:SCRATCH_EN: 0
; COMPUTE_PGM_RSRC2:USER_SGPR: 2
; COMPUTE_PGM_RSRC2:TRAP_HANDLER: 0
; COMPUTE_PGM_RSRC2:TGID_X_EN: 1
; COMPUTE_PGM_RSRC2:TGID_Y_EN: 0
; COMPUTE_PGM_RSRC2:TGID_Z_EN: 0
; COMPUTE_PGM_RSRC2:TIDIG_COMP_CNT: 0
; COMPUTE_PGM_RSRC3_GFX90A:ACCUM_OFFSET: 0
; COMPUTE_PGM_RSRC3_GFX90A:TG_SPLIT: 0
	.section	.text._ZN7rocprim17ROCPRIM_400000_NS6detail17trampoline_kernelINS0_14default_configENS1_38merge_sort_block_merge_config_selectorIttEEZZNS1_27merge_sort_block_merge_implIS3_N6thrust23THRUST_200600_302600_NS6detail15normal_iteratorINS8_10device_ptrItEEEESD_jNS1_19radix_merge_compareILb0ELb0EtNS0_19identity_decomposerEEEEE10hipError_tT0_T1_T2_jT3_P12ihipStream_tbPNSt15iterator_traitsISI_E10value_typeEPNSO_ISJ_E10value_typeEPSK_NS1_7vsmem_tEENKUlT_SI_SJ_SK_E_clISD_PtSD_S10_EESH_SX_SI_SJ_SK_EUlSX_E_NS1_11comp_targetILNS1_3genE5ELNS1_11target_archE942ELNS1_3gpuE9ELNS1_3repE0EEENS1_48merge_mergepath_partition_config_static_selectorELNS0_4arch9wavefront6targetE1EEEvSJ_,"axG",@progbits,_ZN7rocprim17ROCPRIM_400000_NS6detail17trampoline_kernelINS0_14default_configENS1_38merge_sort_block_merge_config_selectorIttEEZZNS1_27merge_sort_block_merge_implIS3_N6thrust23THRUST_200600_302600_NS6detail15normal_iteratorINS8_10device_ptrItEEEESD_jNS1_19radix_merge_compareILb0ELb0EtNS0_19identity_decomposerEEEEE10hipError_tT0_T1_T2_jT3_P12ihipStream_tbPNSt15iterator_traitsISI_E10value_typeEPNSO_ISJ_E10value_typeEPSK_NS1_7vsmem_tEENKUlT_SI_SJ_SK_E_clISD_PtSD_S10_EESH_SX_SI_SJ_SK_EUlSX_E_NS1_11comp_targetILNS1_3genE5ELNS1_11target_archE942ELNS1_3gpuE9ELNS1_3repE0EEENS1_48merge_mergepath_partition_config_static_selectorELNS0_4arch9wavefront6targetE1EEEvSJ_,comdat
	.protected	_ZN7rocprim17ROCPRIM_400000_NS6detail17trampoline_kernelINS0_14default_configENS1_38merge_sort_block_merge_config_selectorIttEEZZNS1_27merge_sort_block_merge_implIS3_N6thrust23THRUST_200600_302600_NS6detail15normal_iteratorINS8_10device_ptrItEEEESD_jNS1_19radix_merge_compareILb0ELb0EtNS0_19identity_decomposerEEEEE10hipError_tT0_T1_T2_jT3_P12ihipStream_tbPNSt15iterator_traitsISI_E10value_typeEPNSO_ISJ_E10value_typeEPSK_NS1_7vsmem_tEENKUlT_SI_SJ_SK_E_clISD_PtSD_S10_EESH_SX_SI_SJ_SK_EUlSX_E_NS1_11comp_targetILNS1_3genE5ELNS1_11target_archE942ELNS1_3gpuE9ELNS1_3repE0EEENS1_48merge_mergepath_partition_config_static_selectorELNS0_4arch9wavefront6targetE1EEEvSJ_ ; -- Begin function _ZN7rocprim17ROCPRIM_400000_NS6detail17trampoline_kernelINS0_14default_configENS1_38merge_sort_block_merge_config_selectorIttEEZZNS1_27merge_sort_block_merge_implIS3_N6thrust23THRUST_200600_302600_NS6detail15normal_iteratorINS8_10device_ptrItEEEESD_jNS1_19radix_merge_compareILb0ELb0EtNS0_19identity_decomposerEEEEE10hipError_tT0_T1_T2_jT3_P12ihipStream_tbPNSt15iterator_traitsISI_E10value_typeEPNSO_ISJ_E10value_typeEPSK_NS1_7vsmem_tEENKUlT_SI_SJ_SK_E_clISD_PtSD_S10_EESH_SX_SI_SJ_SK_EUlSX_E_NS1_11comp_targetILNS1_3genE5ELNS1_11target_archE942ELNS1_3gpuE9ELNS1_3repE0EEENS1_48merge_mergepath_partition_config_static_selectorELNS0_4arch9wavefront6targetE1EEEvSJ_
	.globl	_ZN7rocprim17ROCPRIM_400000_NS6detail17trampoline_kernelINS0_14default_configENS1_38merge_sort_block_merge_config_selectorIttEEZZNS1_27merge_sort_block_merge_implIS3_N6thrust23THRUST_200600_302600_NS6detail15normal_iteratorINS8_10device_ptrItEEEESD_jNS1_19radix_merge_compareILb0ELb0EtNS0_19identity_decomposerEEEEE10hipError_tT0_T1_T2_jT3_P12ihipStream_tbPNSt15iterator_traitsISI_E10value_typeEPNSO_ISJ_E10value_typeEPSK_NS1_7vsmem_tEENKUlT_SI_SJ_SK_E_clISD_PtSD_S10_EESH_SX_SI_SJ_SK_EUlSX_E_NS1_11comp_targetILNS1_3genE5ELNS1_11target_archE942ELNS1_3gpuE9ELNS1_3repE0EEENS1_48merge_mergepath_partition_config_static_selectorELNS0_4arch9wavefront6targetE1EEEvSJ_
	.p2align	8
	.type	_ZN7rocprim17ROCPRIM_400000_NS6detail17trampoline_kernelINS0_14default_configENS1_38merge_sort_block_merge_config_selectorIttEEZZNS1_27merge_sort_block_merge_implIS3_N6thrust23THRUST_200600_302600_NS6detail15normal_iteratorINS8_10device_ptrItEEEESD_jNS1_19radix_merge_compareILb0ELb0EtNS0_19identity_decomposerEEEEE10hipError_tT0_T1_T2_jT3_P12ihipStream_tbPNSt15iterator_traitsISI_E10value_typeEPNSO_ISJ_E10value_typeEPSK_NS1_7vsmem_tEENKUlT_SI_SJ_SK_E_clISD_PtSD_S10_EESH_SX_SI_SJ_SK_EUlSX_E_NS1_11comp_targetILNS1_3genE5ELNS1_11target_archE942ELNS1_3gpuE9ELNS1_3repE0EEENS1_48merge_mergepath_partition_config_static_selectorELNS0_4arch9wavefront6targetE1EEEvSJ_,@function
_ZN7rocprim17ROCPRIM_400000_NS6detail17trampoline_kernelINS0_14default_configENS1_38merge_sort_block_merge_config_selectorIttEEZZNS1_27merge_sort_block_merge_implIS3_N6thrust23THRUST_200600_302600_NS6detail15normal_iteratorINS8_10device_ptrItEEEESD_jNS1_19radix_merge_compareILb0ELb0EtNS0_19identity_decomposerEEEEE10hipError_tT0_T1_T2_jT3_P12ihipStream_tbPNSt15iterator_traitsISI_E10value_typeEPNSO_ISJ_E10value_typeEPSK_NS1_7vsmem_tEENKUlT_SI_SJ_SK_E_clISD_PtSD_S10_EESH_SX_SI_SJ_SK_EUlSX_E_NS1_11comp_targetILNS1_3genE5ELNS1_11target_archE942ELNS1_3gpuE9ELNS1_3repE0EEENS1_48merge_mergepath_partition_config_static_selectorELNS0_4arch9wavefront6targetE1EEEvSJ_: ; @_ZN7rocprim17ROCPRIM_400000_NS6detail17trampoline_kernelINS0_14default_configENS1_38merge_sort_block_merge_config_selectorIttEEZZNS1_27merge_sort_block_merge_implIS3_N6thrust23THRUST_200600_302600_NS6detail15normal_iteratorINS8_10device_ptrItEEEESD_jNS1_19radix_merge_compareILb0ELb0EtNS0_19identity_decomposerEEEEE10hipError_tT0_T1_T2_jT3_P12ihipStream_tbPNSt15iterator_traitsISI_E10value_typeEPNSO_ISJ_E10value_typeEPSK_NS1_7vsmem_tEENKUlT_SI_SJ_SK_E_clISD_PtSD_S10_EESH_SX_SI_SJ_SK_EUlSX_E_NS1_11comp_targetILNS1_3genE5ELNS1_11target_archE942ELNS1_3gpuE9ELNS1_3repE0EEENS1_48merge_mergepath_partition_config_static_selectorELNS0_4arch9wavefront6targetE1EEEvSJ_
; %bb.0:
	.section	.rodata,"a",@progbits
	.p2align	6, 0x0
	.amdhsa_kernel _ZN7rocprim17ROCPRIM_400000_NS6detail17trampoline_kernelINS0_14default_configENS1_38merge_sort_block_merge_config_selectorIttEEZZNS1_27merge_sort_block_merge_implIS3_N6thrust23THRUST_200600_302600_NS6detail15normal_iteratorINS8_10device_ptrItEEEESD_jNS1_19radix_merge_compareILb0ELb0EtNS0_19identity_decomposerEEEEE10hipError_tT0_T1_T2_jT3_P12ihipStream_tbPNSt15iterator_traitsISI_E10value_typeEPNSO_ISJ_E10value_typeEPSK_NS1_7vsmem_tEENKUlT_SI_SJ_SK_E_clISD_PtSD_S10_EESH_SX_SI_SJ_SK_EUlSX_E_NS1_11comp_targetILNS1_3genE5ELNS1_11target_archE942ELNS1_3gpuE9ELNS1_3repE0EEENS1_48merge_mergepath_partition_config_static_selectorELNS0_4arch9wavefront6targetE1EEEvSJ_
		.amdhsa_group_segment_fixed_size 0
		.amdhsa_private_segment_fixed_size 0
		.amdhsa_kernarg_size 40
		.amdhsa_user_sgpr_count 2
		.amdhsa_user_sgpr_dispatch_ptr 0
		.amdhsa_user_sgpr_queue_ptr 0
		.amdhsa_user_sgpr_kernarg_segment_ptr 1
		.amdhsa_user_sgpr_dispatch_id 0
		.amdhsa_user_sgpr_kernarg_preload_length 0
		.amdhsa_user_sgpr_kernarg_preload_offset 0
		.amdhsa_user_sgpr_private_segment_size 0
		.amdhsa_uses_dynamic_stack 0
		.amdhsa_enable_private_segment 0
		.amdhsa_system_sgpr_workgroup_id_x 1
		.amdhsa_system_sgpr_workgroup_id_y 0
		.amdhsa_system_sgpr_workgroup_id_z 0
		.amdhsa_system_sgpr_workgroup_info 0
		.amdhsa_system_vgpr_workitem_id 0
		.amdhsa_next_free_vgpr 1
		.amdhsa_next_free_sgpr 0
		.amdhsa_accum_offset 4
		.amdhsa_reserve_vcc 0
		.amdhsa_float_round_mode_32 0
		.amdhsa_float_round_mode_16_64 0
		.amdhsa_float_denorm_mode_32 3
		.amdhsa_float_denorm_mode_16_64 3
		.amdhsa_dx10_clamp 1
		.amdhsa_ieee_mode 1
		.amdhsa_fp16_overflow 0
		.amdhsa_tg_split 0
		.amdhsa_exception_fp_ieee_invalid_op 0
		.amdhsa_exception_fp_denorm_src 0
		.amdhsa_exception_fp_ieee_div_zero 0
		.amdhsa_exception_fp_ieee_overflow 0
		.amdhsa_exception_fp_ieee_underflow 0
		.amdhsa_exception_fp_ieee_inexact 0
		.amdhsa_exception_int_div_zero 0
	.end_amdhsa_kernel
	.section	.text._ZN7rocprim17ROCPRIM_400000_NS6detail17trampoline_kernelINS0_14default_configENS1_38merge_sort_block_merge_config_selectorIttEEZZNS1_27merge_sort_block_merge_implIS3_N6thrust23THRUST_200600_302600_NS6detail15normal_iteratorINS8_10device_ptrItEEEESD_jNS1_19radix_merge_compareILb0ELb0EtNS0_19identity_decomposerEEEEE10hipError_tT0_T1_T2_jT3_P12ihipStream_tbPNSt15iterator_traitsISI_E10value_typeEPNSO_ISJ_E10value_typeEPSK_NS1_7vsmem_tEENKUlT_SI_SJ_SK_E_clISD_PtSD_S10_EESH_SX_SI_SJ_SK_EUlSX_E_NS1_11comp_targetILNS1_3genE5ELNS1_11target_archE942ELNS1_3gpuE9ELNS1_3repE0EEENS1_48merge_mergepath_partition_config_static_selectorELNS0_4arch9wavefront6targetE1EEEvSJ_,"axG",@progbits,_ZN7rocprim17ROCPRIM_400000_NS6detail17trampoline_kernelINS0_14default_configENS1_38merge_sort_block_merge_config_selectorIttEEZZNS1_27merge_sort_block_merge_implIS3_N6thrust23THRUST_200600_302600_NS6detail15normal_iteratorINS8_10device_ptrItEEEESD_jNS1_19radix_merge_compareILb0ELb0EtNS0_19identity_decomposerEEEEE10hipError_tT0_T1_T2_jT3_P12ihipStream_tbPNSt15iterator_traitsISI_E10value_typeEPNSO_ISJ_E10value_typeEPSK_NS1_7vsmem_tEENKUlT_SI_SJ_SK_E_clISD_PtSD_S10_EESH_SX_SI_SJ_SK_EUlSX_E_NS1_11comp_targetILNS1_3genE5ELNS1_11target_archE942ELNS1_3gpuE9ELNS1_3repE0EEENS1_48merge_mergepath_partition_config_static_selectorELNS0_4arch9wavefront6targetE1EEEvSJ_,comdat
.Lfunc_end868:
	.size	_ZN7rocprim17ROCPRIM_400000_NS6detail17trampoline_kernelINS0_14default_configENS1_38merge_sort_block_merge_config_selectorIttEEZZNS1_27merge_sort_block_merge_implIS3_N6thrust23THRUST_200600_302600_NS6detail15normal_iteratorINS8_10device_ptrItEEEESD_jNS1_19radix_merge_compareILb0ELb0EtNS0_19identity_decomposerEEEEE10hipError_tT0_T1_T2_jT3_P12ihipStream_tbPNSt15iterator_traitsISI_E10value_typeEPNSO_ISJ_E10value_typeEPSK_NS1_7vsmem_tEENKUlT_SI_SJ_SK_E_clISD_PtSD_S10_EESH_SX_SI_SJ_SK_EUlSX_E_NS1_11comp_targetILNS1_3genE5ELNS1_11target_archE942ELNS1_3gpuE9ELNS1_3repE0EEENS1_48merge_mergepath_partition_config_static_selectorELNS0_4arch9wavefront6targetE1EEEvSJ_, .Lfunc_end868-_ZN7rocprim17ROCPRIM_400000_NS6detail17trampoline_kernelINS0_14default_configENS1_38merge_sort_block_merge_config_selectorIttEEZZNS1_27merge_sort_block_merge_implIS3_N6thrust23THRUST_200600_302600_NS6detail15normal_iteratorINS8_10device_ptrItEEEESD_jNS1_19radix_merge_compareILb0ELb0EtNS0_19identity_decomposerEEEEE10hipError_tT0_T1_T2_jT3_P12ihipStream_tbPNSt15iterator_traitsISI_E10value_typeEPNSO_ISJ_E10value_typeEPSK_NS1_7vsmem_tEENKUlT_SI_SJ_SK_E_clISD_PtSD_S10_EESH_SX_SI_SJ_SK_EUlSX_E_NS1_11comp_targetILNS1_3genE5ELNS1_11target_archE942ELNS1_3gpuE9ELNS1_3repE0EEENS1_48merge_mergepath_partition_config_static_selectorELNS0_4arch9wavefront6targetE1EEEvSJ_
                                        ; -- End function
	.set _ZN7rocprim17ROCPRIM_400000_NS6detail17trampoline_kernelINS0_14default_configENS1_38merge_sort_block_merge_config_selectorIttEEZZNS1_27merge_sort_block_merge_implIS3_N6thrust23THRUST_200600_302600_NS6detail15normal_iteratorINS8_10device_ptrItEEEESD_jNS1_19radix_merge_compareILb0ELb0EtNS0_19identity_decomposerEEEEE10hipError_tT0_T1_T2_jT3_P12ihipStream_tbPNSt15iterator_traitsISI_E10value_typeEPNSO_ISJ_E10value_typeEPSK_NS1_7vsmem_tEENKUlT_SI_SJ_SK_E_clISD_PtSD_S10_EESH_SX_SI_SJ_SK_EUlSX_E_NS1_11comp_targetILNS1_3genE5ELNS1_11target_archE942ELNS1_3gpuE9ELNS1_3repE0EEENS1_48merge_mergepath_partition_config_static_selectorELNS0_4arch9wavefront6targetE1EEEvSJ_.num_vgpr, 0
	.set _ZN7rocprim17ROCPRIM_400000_NS6detail17trampoline_kernelINS0_14default_configENS1_38merge_sort_block_merge_config_selectorIttEEZZNS1_27merge_sort_block_merge_implIS3_N6thrust23THRUST_200600_302600_NS6detail15normal_iteratorINS8_10device_ptrItEEEESD_jNS1_19radix_merge_compareILb0ELb0EtNS0_19identity_decomposerEEEEE10hipError_tT0_T1_T2_jT3_P12ihipStream_tbPNSt15iterator_traitsISI_E10value_typeEPNSO_ISJ_E10value_typeEPSK_NS1_7vsmem_tEENKUlT_SI_SJ_SK_E_clISD_PtSD_S10_EESH_SX_SI_SJ_SK_EUlSX_E_NS1_11comp_targetILNS1_3genE5ELNS1_11target_archE942ELNS1_3gpuE9ELNS1_3repE0EEENS1_48merge_mergepath_partition_config_static_selectorELNS0_4arch9wavefront6targetE1EEEvSJ_.num_agpr, 0
	.set _ZN7rocprim17ROCPRIM_400000_NS6detail17trampoline_kernelINS0_14default_configENS1_38merge_sort_block_merge_config_selectorIttEEZZNS1_27merge_sort_block_merge_implIS3_N6thrust23THRUST_200600_302600_NS6detail15normal_iteratorINS8_10device_ptrItEEEESD_jNS1_19radix_merge_compareILb0ELb0EtNS0_19identity_decomposerEEEEE10hipError_tT0_T1_T2_jT3_P12ihipStream_tbPNSt15iterator_traitsISI_E10value_typeEPNSO_ISJ_E10value_typeEPSK_NS1_7vsmem_tEENKUlT_SI_SJ_SK_E_clISD_PtSD_S10_EESH_SX_SI_SJ_SK_EUlSX_E_NS1_11comp_targetILNS1_3genE5ELNS1_11target_archE942ELNS1_3gpuE9ELNS1_3repE0EEENS1_48merge_mergepath_partition_config_static_selectorELNS0_4arch9wavefront6targetE1EEEvSJ_.numbered_sgpr, 0
	.set _ZN7rocprim17ROCPRIM_400000_NS6detail17trampoline_kernelINS0_14default_configENS1_38merge_sort_block_merge_config_selectorIttEEZZNS1_27merge_sort_block_merge_implIS3_N6thrust23THRUST_200600_302600_NS6detail15normal_iteratorINS8_10device_ptrItEEEESD_jNS1_19radix_merge_compareILb0ELb0EtNS0_19identity_decomposerEEEEE10hipError_tT0_T1_T2_jT3_P12ihipStream_tbPNSt15iterator_traitsISI_E10value_typeEPNSO_ISJ_E10value_typeEPSK_NS1_7vsmem_tEENKUlT_SI_SJ_SK_E_clISD_PtSD_S10_EESH_SX_SI_SJ_SK_EUlSX_E_NS1_11comp_targetILNS1_3genE5ELNS1_11target_archE942ELNS1_3gpuE9ELNS1_3repE0EEENS1_48merge_mergepath_partition_config_static_selectorELNS0_4arch9wavefront6targetE1EEEvSJ_.num_named_barrier, 0
	.set _ZN7rocprim17ROCPRIM_400000_NS6detail17trampoline_kernelINS0_14default_configENS1_38merge_sort_block_merge_config_selectorIttEEZZNS1_27merge_sort_block_merge_implIS3_N6thrust23THRUST_200600_302600_NS6detail15normal_iteratorINS8_10device_ptrItEEEESD_jNS1_19radix_merge_compareILb0ELb0EtNS0_19identity_decomposerEEEEE10hipError_tT0_T1_T2_jT3_P12ihipStream_tbPNSt15iterator_traitsISI_E10value_typeEPNSO_ISJ_E10value_typeEPSK_NS1_7vsmem_tEENKUlT_SI_SJ_SK_E_clISD_PtSD_S10_EESH_SX_SI_SJ_SK_EUlSX_E_NS1_11comp_targetILNS1_3genE5ELNS1_11target_archE942ELNS1_3gpuE9ELNS1_3repE0EEENS1_48merge_mergepath_partition_config_static_selectorELNS0_4arch9wavefront6targetE1EEEvSJ_.private_seg_size, 0
	.set _ZN7rocprim17ROCPRIM_400000_NS6detail17trampoline_kernelINS0_14default_configENS1_38merge_sort_block_merge_config_selectorIttEEZZNS1_27merge_sort_block_merge_implIS3_N6thrust23THRUST_200600_302600_NS6detail15normal_iteratorINS8_10device_ptrItEEEESD_jNS1_19radix_merge_compareILb0ELb0EtNS0_19identity_decomposerEEEEE10hipError_tT0_T1_T2_jT3_P12ihipStream_tbPNSt15iterator_traitsISI_E10value_typeEPNSO_ISJ_E10value_typeEPSK_NS1_7vsmem_tEENKUlT_SI_SJ_SK_E_clISD_PtSD_S10_EESH_SX_SI_SJ_SK_EUlSX_E_NS1_11comp_targetILNS1_3genE5ELNS1_11target_archE942ELNS1_3gpuE9ELNS1_3repE0EEENS1_48merge_mergepath_partition_config_static_selectorELNS0_4arch9wavefront6targetE1EEEvSJ_.uses_vcc, 0
	.set _ZN7rocprim17ROCPRIM_400000_NS6detail17trampoline_kernelINS0_14default_configENS1_38merge_sort_block_merge_config_selectorIttEEZZNS1_27merge_sort_block_merge_implIS3_N6thrust23THRUST_200600_302600_NS6detail15normal_iteratorINS8_10device_ptrItEEEESD_jNS1_19radix_merge_compareILb0ELb0EtNS0_19identity_decomposerEEEEE10hipError_tT0_T1_T2_jT3_P12ihipStream_tbPNSt15iterator_traitsISI_E10value_typeEPNSO_ISJ_E10value_typeEPSK_NS1_7vsmem_tEENKUlT_SI_SJ_SK_E_clISD_PtSD_S10_EESH_SX_SI_SJ_SK_EUlSX_E_NS1_11comp_targetILNS1_3genE5ELNS1_11target_archE942ELNS1_3gpuE9ELNS1_3repE0EEENS1_48merge_mergepath_partition_config_static_selectorELNS0_4arch9wavefront6targetE1EEEvSJ_.uses_flat_scratch, 0
	.set _ZN7rocprim17ROCPRIM_400000_NS6detail17trampoline_kernelINS0_14default_configENS1_38merge_sort_block_merge_config_selectorIttEEZZNS1_27merge_sort_block_merge_implIS3_N6thrust23THRUST_200600_302600_NS6detail15normal_iteratorINS8_10device_ptrItEEEESD_jNS1_19radix_merge_compareILb0ELb0EtNS0_19identity_decomposerEEEEE10hipError_tT0_T1_T2_jT3_P12ihipStream_tbPNSt15iterator_traitsISI_E10value_typeEPNSO_ISJ_E10value_typeEPSK_NS1_7vsmem_tEENKUlT_SI_SJ_SK_E_clISD_PtSD_S10_EESH_SX_SI_SJ_SK_EUlSX_E_NS1_11comp_targetILNS1_3genE5ELNS1_11target_archE942ELNS1_3gpuE9ELNS1_3repE0EEENS1_48merge_mergepath_partition_config_static_selectorELNS0_4arch9wavefront6targetE1EEEvSJ_.has_dyn_sized_stack, 0
	.set _ZN7rocprim17ROCPRIM_400000_NS6detail17trampoline_kernelINS0_14default_configENS1_38merge_sort_block_merge_config_selectorIttEEZZNS1_27merge_sort_block_merge_implIS3_N6thrust23THRUST_200600_302600_NS6detail15normal_iteratorINS8_10device_ptrItEEEESD_jNS1_19radix_merge_compareILb0ELb0EtNS0_19identity_decomposerEEEEE10hipError_tT0_T1_T2_jT3_P12ihipStream_tbPNSt15iterator_traitsISI_E10value_typeEPNSO_ISJ_E10value_typeEPSK_NS1_7vsmem_tEENKUlT_SI_SJ_SK_E_clISD_PtSD_S10_EESH_SX_SI_SJ_SK_EUlSX_E_NS1_11comp_targetILNS1_3genE5ELNS1_11target_archE942ELNS1_3gpuE9ELNS1_3repE0EEENS1_48merge_mergepath_partition_config_static_selectorELNS0_4arch9wavefront6targetE1EEEvSJ_.has_recursion, 0
	.set _ZN7rocprim17ROCPRIM_400000_NS6detail17trampoline_kernelINS0_14default_configENS1_38merge_sort_block_merge_config_selectorIttEEZZNS1_27merge_sort_block_merge_implIS3_N6thrust23THRUST_200600_302600_NS6detail15normal_iteratorINS8_10device_ptrItEEEESD_jNS1_19radix_merge_compareILb0ELb0EtNS0_19identity_decomposerEEEEE10hipError_tT0_T1_T2_jT3_P12ihipStream_tbPNSt15iterator_traitsISI_E10value_typeEPNSO_ISJ_E10value_typeEPSK_NS1_7vsmem_tEENKUlT_SI_SJ_SK_E_clISD_PtSD_S10_EESH_SX_SI_SJ_SK_EUlSX_E_NS1_11comp_targetILNS1_3genE5ELNS1_11target_archE942ELNS1_3gpuE9ELNS1_3repE0EEENS1_48merge_mergepath_partition_config_static_selectorELNS0_4arch9wavefront6targetE1EEEvSJ_.has_indirect_call, 0
	.section	.AMDGPU.csdata,"",@progbits
; Kernel info:
; codeLenInByte = 0
; TotalNumSgprs: 6
; NumVgprs: 0
; NumAgprs: 0
; TotalNumVgprs: 0
; ScratchSize: 0
; MemoryBound: 0
; FloatMode: 240
; IeeeMode: 1
; LDSByteSize: 0 bytes/workgroup (compile time only)
; SGPRBlocks: 0
; VGPRBlocks: 0
; NumSGPRsForWavesPerEU: 6
; NumVGPRsForWavesPerEU: 1
; AccumOffset: 4
; Occupancy: 8
; WaveLimiterHint : 0
; COMPUTE_PGM_RSRC2:SCRATCH_EN: 0
; COMPUTE_PGM_RSRC2:USER_SGPR: 2
; COMPUTE_PGM_RSRC2:TRAP_HANDLER: 0
; COMPUTE_PGM_RSRC2:TGID_X_EN: 1
; COMPUTE_PGM_RSRC2:TGID_Y_EN: 0
; COMPUTE_PGM_RSRC2:TGID_Z_EN: 0
; COMPUTE_PGM_RSRC2:TIDIG_COMP_CNT: 0
; COMPUTE_PGM_RSRC3_GFX90A:ACCUM_OFFSET: 0
; COMPUTE_PGM_RSRC3_GFX90A:TG_SPLIT: 0
	.section	.text._ZN7rocprim17ROCPRIM_400000_NS6detail17trampoline_kernelINS0_14default_configENS1_38merge_sort_block_merge_config_selectorIttEEZZNS1_27merge_sort_block_merge_implIS3_N6thrust23THRUST_200600_302600_NS6detail15normal_iteratorINS8_10device_ptrItEEEESD_jNS1_19radix_merge_compareILb0ELb0EtNS0_19identity_decomposerEEEEE10hipError_tT0_T1_T2_jT3_P12ihipStream_tbPNSt15iterator_traitsISI_E10value_typeEPNSO_ISJ_E10value_typeEPSK_NS1_7vsmem_tEENKUlT_SI_SJ_SK_E_clISD_PtSD_S10_EESH_SX_SI_SJ_SK_EUlSX_E_NS1_11comp_targetILNS1_3genE4ELNS1_11target_archE910ELNS1_3gpuE8ELNS1_3repE0EEENS1_48merge_mergepath_partition_config_static_selectorELNS0_4arch9wavefront6targetE1EEEvSJ_,"axG",@progbits,_ZN7rocprim17ROCPRIM_400000_NS6detail17trampoline_kernelINS0_14default_configENS1_38merge_sort_block_merge_config_selectorIttEEZZNS1_27merge_sort_block_merge_implIS3_N6thrust23THRUST_200600_302600_NS6detail15normal_iteratorINS8_10device_ptrItEEEESD_jNS1_19radix_merge_compareILb0ELb0EtNS0_19identity_decomposerEEEEE10hipError_tT0_T1_T2_jT3_P12ihipStream_tbPNSt15iterator_traitsISI_E10value_typeEPNSO_ISJ_E10value_typeEPSK_NS1_7vsmem_tEENKUlT_SI_SJ_SK_E_clISD_PtSD_S10_EESH_SX_SI_SJ_SK_EUlSX_E_NS1_11comp_targetILNS1_3genE4ELNS1_11target_archE910ELNS1_3gpuE8ELNS1_3repE0EEENS1_48merge_mergepath_partition_config_static_selectorELNS0_4arch9wavefront6targetE1EEEvSJ_,comdat
	.protected	_ZN7rocprim17ROCPRIM_400000_NS6detail17trampoline_kernelINS0_14default_configENS1_38merge_sort_block_merge_config_selectorIttEEZZNS1_27merge_sort_block_merge_implIS3_N6thrust23THRUST_200600_302600_NS6detail15normal_iteratorINS8_10device_ptrItEEEESD_jNS1_19radix_merge_compareILb0ELb0EtNS0_19identity_decomposerEEEEE10hipError_tT0_T1_T2_jT3_P12ihipStream_tbPNSt15iterator_traitsISI_E10value_typeEPNSO_ISJ_E10value_typeEPSK_NS1_7vsmem_tEENKUlT_SI_SJ_SK_E_clISD_PtSD_S10_EESH_SX_SI_SJ_SK_EUlSX_E_NS1_11comp_targetILNS1_3genE4ELNS1_11target_archE910ELNS1_3gpuE8ELNS1_3repE0EEENS1_48merge_mergepath_partition_config_static_selectorELNS0_4arch9wavefront6targetE1EEEvSJ_ ; -- Begin function _ZN7rocprim17ROCPRIM_400000_NS6detail17trampoline_kernelINS0_14default_configENS1_38merge_sort_block_merge_config_selectorIttEEZZNS1_27merge_sort_block_merge_implIS3_N6thrust23THRUST_200600_302600_NS6detail15normal_iteratorINS8_10device_ptrItEEEESD_jNS1_19radix_merge_compareILb0ELb0EtNS0_19identity_decomposerEEEEE10hipError_tT0_T1_T2_jT3_P12ihipStream_tbPNSt15iterator_traitsISI_E10value_typeEPNSO_ISJ_E10value_typeEPSK_NS1_7vsmem_tEENKUlT_SI_SJ_SK_E_clISD_PtSD_S10_EESH_SX_SI_SJ_SK_EUlSX_E_NS1_11comp_targetILNS1_3genE4ELNS1_11target_archE910ELNS1_3gpuE8ELNS1_3repE0EEENS1_48merge_mergepath_partition_config_static_selectorELNS0_4arch9wavefront6targetE1EEEvSJ_
	.globl	_ZN7rocprim17ROCPRIM_400000_NS6detail17trampoline_kernelINS0_14default_configENS1_38merge_sort_block_merge_config_selectorIttEEZZNS1_27merge_sort_block_merge_implIS3_N6thrust23THRUST_200600_302600_NS6detail15normal_iteratorINS8_10device_ptrItEEEESD_jNS1_19radix_merge_compareILb0ELb0EtNS0_19identity_decomposerEEEEE10hipError_tT0_T1_T2_jT3_P12ihipStream_tbPNSt15iterator_traitsISI_E10value_typeEPNSO_ISJ_E10value_typeEPSK_NS1_7vsmem_tEENKUlT_SI_SJ_SK_E_clISD_PtSD_S10_EESH_SX_SI_SJ_SK_EUlSX_E_NS1_11comp_targetILNS1_3genE4ELNS1_11target_archE910ELNS1_3gpuE8ELNS1_3repE0EEENS1_48merge_mergepath_partition_config_static_selectorELNS0_4arch9wavefront6targetE1EEEvSJ_
	.p2align	8
	.type	_ZN7rocprim17ROCPRIM_400000_NS6detail17trampoline_kernelINS0_14default_configENS1_38merge_sort_block_merge_config_selectorIttEEZZNS1_27merge_sort_block_merge_implIS3_N6thrust23THRUST_200600_302600_NS6detail15normal_iteratorINS8_10device_ptrItEEEESD_jNS1_19radix_merge_compareILb0ELb0EtNS0_19identity_decomposerEEEEE10hipError_tT0_T1_T2_jT3_P12ihipStream_tbPNSt15iterator_traitsISI_E10value_typeEPNSO_ISJ_E10value_typeEPSK_NS1_7vsmem_tEENKUlT_SI_SJ_SK_E_clISD_PtSD_S10_EESH_SX_SI_SJ_SK_EUlSX_E_NS1_11comp_targetILNS1_3genE4ELNS1_11target_archE910ELNS1_3gpuE8ELNS1_3repE0EEENS1_48merge_mergepath_partition_config_static_selectorELNS0_4arch9wavefront6targetE1EEEvSJ_,@function
_ZN7rocprim17ROCPRIM_400000_NS6detail17trampoline_kernelINS0_14default_configENS1_38merge_sort_block_merge_config_selectorIttEEZZNS1_27merge_sort_block_merge_implIS3_N6thrust23THRUST_200600_302600_NS6detail15normal_iteratorINS8_10device_ptrItEEEESD_jNS1_19radix_merge_compareILb0ELb0EtNS0_19identity_decomposerEEEEE10hipError_tT0_T1_T2_jT3_P12ihipStream_tbPNSt15iterator_traitsISI_E10value_typeEPNSO_ISJ_E10value_typeEPSK_NS1_7vsmem_tEENKUlT_SI_SJ_SK_E_clISD_PtSD_S10_EESH_SX_SI_SJ_SK_EUlSX_E_NS1_11comp_targetILNS1_3genE4ELNS1_11target_archE910ELNS1_3gpuE8ELNS1_3repE0EEENS1_48merge_mergepath_partition_config_static_selectorELNS0_4arch9wavefront6targetE1EEEvSJ_: ; @_ZN7rocprim17ROCPRIM_400000_NS6detail17trampoline_kernelINS0_14default_configENS1_38merge_sort_block_merge_config_selectorIttEEZZNS1_27merge_sort_block_merge_implIS3_N6thrust23THRUST_200600_302600_NS6detail15normal_iteratorINS8_10device_ptrItEEEESD_jNS1_19radix_merge_compareILb0ELb0EtNS0_19identity_decomposerEEEEE10hipError_tT0_T1_T2_jT3_P12ihipStream_tbPNSt15iterator_traitsISI_E10value_typeEPNSO_ISJ_E10value_typeEPSK_NS1_7vsmem_tEENKUlT_SI_SJ_SK_E_clISD_PtSD_S10_EESH_SX_SI_SJ_SK_EUlSX_E_NS1_11comp_targetILNS1_3genE4ELNS1_11target_archE910ELNS1_3gpuE8ELNS1_3repE0EEENS1_48merge_mergepath_partition_config_static_selectorELNS0_4arch9wavefront6targetE1EEEvSJ_
; %bb.0:
	.section	.rodata,"a",@progbits
	.p2align	6, 0x0
	.amdhsa_kernel _ZN7rocprim17ROCPRIM_400000_NS6detail17trampoline_kernelINS0_14default_configENS1_38merge_sort_block_merge_config_selectorIttEEZZNS1_27merge_sort_block_merge_implIS3_N6thrust23THRUST_200600_302600_NS6detail15normal_iteratorINS8_10device_ptrItEEEESD_jNS1_19radix_merge_compareILb0ELb0EtNS0_19identity_decomposerEEEEE10hipError_tT0_T1_T2_jT3_P12ihipStream_tbPNSt15iterator_traitsISI_E10value_typeEPNSO_ISJ_E10value_typeEPSK_NS1_7vsmem_tEENKUlT_SI_SJ_SK_E_clISD_PtSD_S10_EESH_SX_SI_SJ_SK_EUlSX_E_NS1_11comp_targetILNS1_3genE4ELNS1_11target_archE910ELNS1_3gpuE8ELNS1_3repE0EEENS1_48merge_mergepath_partition_config_static_selectorELNS0_4arch9wavefront6targetE1EEEvSJ_
		.amdhsa_group_segment_fixed_size 0
		.amdhsa_private_segment_fixed_size 0
		.amdhsa_kernarg_size 40
		.amdhsa_user_sgpr_count 2
		.amdhsa_user_sgpr_dispatch_ptr 0
		.amdhsa_user_sgpr_queue_ptr 0
		.amdhsa_user_sgpr_kernarg_segment_ptr 1
		.amdhsa_user_sgpr_dispatch_id 0
		.amdhsa_user_sgpr_kernarg_preload_length 0
		.amdhsa_user_sgpr_kernarg_preload_offset 0
		.amdhsa_user_sgpr_private_segment_size 0
		.amdhsa_uses_dynamic_stack 0
		.amdhsa_enable_private_segment 0
		.amdhsa_system_sgpr_workgroup_id_x 1
		.amdhsa_system_sgpr_workgroup_id_y 0
		.amdhsa_system_sgpr_workgroup_id_z 0
		.amdhsa_system_sgpr_workgroup_info 0
		.amdhsa_system_vgpr_workitem_id 0
		.amdhsa_next_free_vgpr 1
		.amdhsa_next_free_sgpr 0
		.amdhsa_accum_offset 4
		.amdhsa_reserve_vcc 0
		.amdhsa_float_round_mode_32 0
		.amdhsa_float_round_mode_16_64 0
		.amdhsa_float_denorm_mode_32 3
		.amdhsa_float_denorm_mode_16_64 3
		.amdhsa_dx10_clamp 1
		.amdhsa_ieee_mode 1
		.amdhsa_fp16_overflow 0
		.amdhsa_tg_split 0
		.amdhsa_exception_fp_ieee_invalid_op 0
		.amdhsa_exception_fp_denorm_src 0
		.amdhsa_exception_fp_ieee_div_zero 0
		.amdhsa_exception_fp_ieee_overflow 0
		.amdhsa_exception_fp_ieee_underflow 0
		.amdhsa_exception_fp_ieee_inexact 0
		.amdhsa_exception_int_div_zero 0
	.end_amdhsa_kernel
	.section	.text._ZN7rocprim17ROCPRIM_400000_NS6detail17trampoline_kernelINS0_14default_configENS1_38merge_sort_block_merge_config_selectorIttEEZZNS1_27merge_sort_block_merge_implIS3_N6thrust23THRUST_200600_302600_NS6detail15normal_iteratorINS8_10device_ptrItEEEESD_jNS1_19radix_merge_compareILb0ELb0EtNS0_19identity_decomposerEEEEE10hipError_tT0_T1_T2_jT3_P12ihipStream_tbPNSt15iterator_traitsISI_E10value_typeEPNSO_ISJ_E10value_typeEPSK_NS1_7vsmem_tEENKUlT_SI_SJ_SK_E_clISD_PtSD_S10_EESH_SX_SI_SJ_SK_EUlSX_E_NS1_11comp_targetILNS1_3genE4ELNS1_11target_archE910ELNS1_3gpuE8ELNS1_3repE0EEENS1_48merge_mergepath_partition_config_static_selectorELNS0_4arch9wavefront6targetE1EEEvSJ_,"axG",@progbits,_ZN7rocprim17ROCPRIM_400000_NS6detail17trampoline_kernelINS0_14default_configENS1_38merge_sort_block_merge_config_selectorIttEEZZNS1_27merge_sort_block_merge_implIS3_N6thrust23THRUST_200600_302600_NS6detail15normal_iteratorINS8_10device_ptrItEEEESD_jNS1_19radix_merge_compareILb0ELb0EtNS0_19identity_decomposerEEEEE10hipError_tT0_T1_T2_jT3_P12ihipStream_tbPNSt15iterator_traitsISI_E10value_typeEPNSO_ISJ_E10value_typeEPSK_NS1_7vsmem_tEENKUlT_SI_SJ_SK_E_clISD_PtSD_S10_EESH_SX_SI_SJ_SK_EUlSX_E_NS1_11comp_targetILNS1_3genE4ELNS1_11target_archE910ELNS1_3gpuE8ELNS1_3repE0EEENS1_48merge_mergepath_partition_config_static_selectorELNS0_4arch9wavefront6targetE1EEEvSJ_,comdat
.Lfunc_end869:
	.size	_ZN7rocprim17ROCPRIM_400000_NS6detail17trampoline_kernelINS0_14default_configENS1_38merge_sort_block_merge_config_selectorIttEEZZNS1_27merge_sort_block_merge_implIS3_N6thrust23THRUST_200600_302600_NS6detail15normal_iteratorINS8_10device_ptrItEEEESD_jNS1_19radix_merge_compareILb0ELb0EtNS0_19identity_decomposerEEEEE10hipError_tT0_T1_T2_jT3_P12ihipStream_tbPNSt15iterator_traitsISI_E10value_typeEPNSO_ISJ_E10value_typeEPSK_NS1_7vsmem_tEENKUlT_SI_SJ_SK_E_clISD_PtSD_S10_EESH_SX_SI_SJ_SK_EUlSX_E_NS1_11comp_targetILNS1_3genE4ELNS1_11target_archE910ELNS1_3gpuE8ELNS1_3repE0EEENS1_48merge_mergepath_partition_config_static_selectorELNS0_4arch9wavefront6targetE1EEEvSJ_, .Lfunc_end869-_ZN7rocprim17ROCPRIM_400000_NS6detail17trampoline_kernelINS0_14default_configENS1_38merge_sort_block_merge_config_selectorIttEEZZNS1_27merge_sort_block_merge_implIS3_N6thrust23THRUST_200600_302600_NS6detail15normal_iteratorINS8_10device_ptrItEEEESD_jNS1_19radix_merge_compareILb0ELb0EtNS0_19identity_decomposerEEEEE10hipError_tT0_T1_T2_jT3_P12ihipStream_tbPNSt15iterator_traitsISI_E10value_typeEPNSO_ISJ_E10value_typeEPSK_NS1_7vsmem_tEENKUlT_SI_SJ_SK_E_clISD_PtSD_S10_EESH_SX_SI_SJ_SK_EUlSX_E_NS1_11comp_targetILNS1_3genE4ELNS1_11target_archE910ELNS1_3gpuE8ELNS1_3repE0EEENS1_48merge_mergepath_partition_config_static_selectorELNS0_4arch9wavefront6targetE1EEEvSJ_
                                        ; -- End function
	.set _ZN7rocprim17ROCPRIM_400000_NS6detail17trampoline_kernelINS0_14default_configENS1_38merge_sort_block_merge_config_selectorIttEEZZNS1_27merge_sort_block_merge_implIS3_N6thrust23THRUST_200600_302600_NS6detail15normal_iteratorINS8_10device_ptrItEEEESD_jNS1_19radix_merge_compareILb0ELb0EtNS0_19identity_decomposerEEEEE10hipError_tT0_T1_T2_jT3_P12ihipStream_tbPNSt15iterator_traitsISI_E10value_typeEPNSO_ISJ_E10value_typeEPSK_NS1_7vsmem_tEENKUlT_SI_SJ_SK_E_clISD_PtSD_S10_EESH_SX_SI_SJ_SK_EUlSX_E_NS1_11comp_targetILNS1_3genE4ELNS1_11target_archE910ELNS1_3gpuE8ELNS1_3repE0EEENS1_48merge_mergepath_partition_config_static_selectorELNS0_4arch9wavefront6targetE1EEEvSJ_.num_vgpr, 0
	.set _ZN7rocprim17ROCPRIM_400000_NS6detail17trampoline_kernelINS0_14default_configENS1_38merge_sort_block_merge_config_selectorIttEEZZNS1_27merge_sort_block_merge_implIS3_N6thrust23THRUST_200600_302600_NS6detail15normal_iteratorINS8_10device_ptrItEEEESD_jNS1_19radix_merge_compareILb0ELb0EtNS0_19identity_decomposerEEEEE10hipError_tT0_T1_T2_jT3_P12ihipStream_tbPNSt15iterator_traitsISI_E10value_typeEPNSO_ISJ_E10value_typeEPSK_NS1_7vsmem_tEENKUlT_SI_SJ_SK_E_clISD_PtSD_S10_EESH_SX_SI_SJ_SK_EUlSX_E_NS1_11comp_targetILNS1_3genE4ELNS1_11target_archE910ELNS1_3gpuE8ELNS1_3repE0EEENS1_48merge_mergepath_partition_config_static_selectorELNS0_4arch9wavefront6targetE1EEEvSJ_.num_agpr, 0
	.set _ZN7rocprim17ROCPRIM_400000_NS6detail17trampoline_kernelINS0_14default_configENS1_38merge_sort_block_merge_config_selectorIttEEZZNS1_27merge_sort_block_merge_implIS3_N6thrust23THRUST_200600_302600_NS6detail15normal_iteratorINS8_10device_ptrItEEEESD_jNS1_19radix_merge_compareILb0ELb0EtNS0_19identity_decomposerEEEEE10hipError_tT0_T1_T2_jT3_P12ihipStream_tbPNSt15iterator_traitsISI_E10value_typeEPNSO_ISJ_E10value_typeEPSK_NS1_7vsmem_tEENKUlT_SI_SJ_SK_E_clISD_PtSD_S10_EESH_SX_SI_SJ_SK_EUlSX_E_NS1_11comp_targetILNS1_3genE4ELNS1_11target_archE910ELNS1_3gpuE8ELNS1_3repE0EEENS1_48merge_mergepath_partition_config_static_selectorELNS0_4arch9wavefront6targetE1EEEvSJ_.numbered_sgpr, 0
	.set _ZN7rocprim17ROCPRIM_400000_NS6detail17trampoline_kernelINS0_14default_configENS1_38merge_sort_block_merge_config_selectorIttEEZZNS1_27merge_sort_block_merge_implIS3_N6thrust23THRUST_200600_302600_NS6detail15normal_iteratorINS8_10device_ptrItEEEESD_jNS1_19radix_merge_compareILb0ELb0EtNS0_19identity_decomposerEEEEE10hipError_tT0_T1_T2_jT3_P12ihipStream_tbPNSt15iterator_traitsISI_E10value_typeEPNSO_ISJ_E10value_typeEPSK_NS1_7vsmem_tEENKUlT_SI_SJ_SK_E_clISD_PtSD_S10_EESH_SX_SI_SJ_SK_EUlSX_E_NS1_11comp_targetILNS1_3genE4ELNS1_11target_archE910ELNS1_3gpuE8ELNS1_3repE0EEENS1_48merge_mergepath_partition_config_static_selectorELNS0_4arch9wavefront6targetE1EEEvSJ_.num_named_barrier, 0
	.set _ZN7rocprim17ROCPRIM_400000_NS6detail17trampoline_kernelINS0_14default_configENS1_38merge_sort_block_merge_config_selectorIttEEZZNS1_27merge_sort_block_merge_implIS3_N6thrust23THRUST_200600_302600_NS6detail15normal_iteratorINS8_10device_ptrItEEEESD_jNS1_19radix_merge_compareILb0ELb0EtNS0_19identity_decomposerEEEEE10hipError_tT0_T1_T2_jT3_P12ihipStream_tbPNSt15iterator_traitsISI_E10value_typeEPNSO_ISJ_E10value_typeEPSK_NS1_7vsmem_tEENKUlT_SI_SJ_SK_E_clISD_PtSD_S10_EESH_SX_SI_SJ_SK_EUlSX_E_NS1_11comp_targetILNS1_3genE4ELNS1_11target_archE910ELNS1_3gpuE8ELNS1_3repE0EEENS1_48merge_mergepath_partition_config_static_selectorELNS0_4arch9wavefront6targetE1EEEvSJ_.private_seg_size, 0
	.set _ZN7rocprim17ROCPRIM_400000_NS6detail17trampoline_kernelINS0_14default_configENS1_38merge_sort_block_merge_config_selectorIttEEZZNS1_27merge_sort_block_merge_implIS3_N6thrust23THRUST_200600_302600_NS6detail15normal_iteratorINS8_10device_ptrItEEEESD_jNS1_19radix_merge_compareILb0ELb0EtNS0_19identity_decomposerEEEEE10hipError_tT0_T1_T2_jT3_P12ihipStream_tbPNSt15iterator_traitsISI_E10value_typeEPNSO_ISJ_E10value_typeEPSK_NS1_7vsmem_tEENKUlT_SI_SJ_SK_E_clISD_PtSD_S10_EESH_SX_SI_SJ_SK_EUlSX_E_NS1_11comp_targetILNS1_3genE4ELNS1_11target_archE910ELNS1_3gpuE8ELNS1_3repE0EEENS1_48merge_mergepath_partition_config_static_selectorELNS0_4arch9wavefront6targetE1EEEvSJ_.uses_vcc, 0
	.set _ZN7rocprim17ROCPRIM_400000_NS6detail17trampoline_kernelINS0_14default_configENS1_38merge_sort_block_merge_config_selectorIttEEZZNS1_27merge_sort_block_merge_implIS3_N6thrust23THRUST_200600_302600_NS6detail15normal_iteratorINS8_10device_ptrItEEEESD_jNS1_19radix_merge_compareILb0ELb0EtNS0_19identity_decomposerEEEEE10hipError_tT0_T1_T2_jT3_P12ihipStream_tbPNSt15iterator_traitsISI_E10value_typeEPNSO_ISJ_E10value_typeEPSK_NS1_7vsmem_tEENKUlT_SI_SJ_SK_E_clISD_PtSD_S10_EESH_SX_SI_SJ_SK_EUlSX_E_NS1_11comp_targetILNS1_3genE4ELNS1_11target_archE910ELNS1_3gpuE8ELNS1_3repE0EEENS1_48merge_mergepath_partition_config_static_selectorELNS0_4arch9wavefront6targetE1EEEvSJ_.uses_flat_scratch, 0
	.set _ZN7rocprim17ROCPRIM_400000_NS6detail17trampoline_kernelINS0_14default_configENS1_38merge_sort_block_merge_config_selectorIttEEZZNS1_27merge_sort_block_merge_implIS3_N6thrust23THRUST_200600_302600_NS6detail15normal_iteratorINS8_10device_ptrItEEEESD_jNS1_19radix_merge_compareILb0ELb0EtNS0_19identity_decomposerEEEEE10hipError_tT0_T1_T2_jT3_P12ihipStream_tbPNSt15iterator_traitsISI_E10value_typeEPNSO_ISJ_E10value_typeEPSK_NS1_7vsmem_tEENKUlT_SI_SJ_SK_E_clISD_PtSD_S10_EESH_SX_SI_SJ_SK_EUlSX_E_NS1_11comp_targetILNS1_3genE4ELNS1_11target_archE910ELNS1_3gpuE8ELNS1_3repE0EEENS1_48merge_mergepath_partition_config_static_selectorELNS0_4arch9wavefront6targetE1EEEvSJ_.has_dyn_sized_stack, 0
	.set _ZN7rocprim17ROCPRIM_400000_NS6detail17trampoline_kernelINS0_14default_configENS1_38merge_sort_block_merge_config_selectorIttEEZZNS1_27merge_sort_block_merge_implIS3_N6thrust23THRUST_200600_302600_NS6detail15normal_iteratorINS8_10device_ptrItEEEESD_jNS1_19radix_merge_compareILb0ELb0EtNS0_19identity_decomposerEEEEE10hipError_tT0_T1_T2_jT3_P12ihipStream_tbPNSt15iterator_traitsISI_E10value_typeEPNSO_ISJ_E10value_typeEPSK_NS1_7vsmem_tEENKUlT_SI_SJ_SK_E_clISD_PtSD_S10_EESH_SX_SI_SJ_SK_EUlSX_E_NS1_11comp_targetILNS1_3genE4ELNS1_11target_archE910ELNS1_3gpuE8ELNS1_3repE0EEENS1_48merge_mergepath_partition_config_static_selectorELNS0_4arch9wavefront6targetE1EEEvSJ_.has_recursion, 0
	.set _ZN7rocprim17ROCPRIM_400000_NS6detail17trampoline_kernelINS0_14default_configENS1_38merge_sort_block_merge_config_selectorIttEEZZNS1_27merge_sort_block_merge_implIS3_N6thrust23THRUST_200600_302600_NS6detail15normal_iteratorINS8_10device_ptrItEEEESD_jNS1_19radix_merge_compareILb0ELb0EtNS0_19identity_decomposerEEEEE10hipError_tT0_T1_T2_jT3_P12ihipStream_tbPNSt15iterator_traitsISI_E10value_typeEPNSO_ISJ_E10value_typeEPSK_NS1_7vsmem_tEENKUlT_SI_SJ_SK_E_clISD_PtSD_S10_EESH_SX_SI_SJ_SK_EUlSX_E_NS1_11comp_targetILNS1_3genE4ELNS1_11target_archE910ELNS1_3gpuE8ELNS1_3repE0EEENS1_48merge_mergepath_partition_config_static_selectorELNS0_4arch9wavefront6targetE1EEEvSJ_.has_indirect_call, 0
	.section	.AMDGPU.csdata,"",@progbits
; Kernel info:
; codeLenInByte = 0
; TotalNumSgprs: 6
; NumVgprs: 0
; NumAgprs: 0
; TotalNumVgprs: 0
; ScratchSize: 0
; MemoryBound: 0
; FloatMode: 240
; IeeeMode: 1
; LDSByteSize: 0 bytes/workgroup (compile time only)
; SGPRBlocks: 0
; VGPRBlocks: 0
; NumSGPRsForWavesPerEU: 6
; NumVGPRsForWavesPerEU: 1
; AccumOffset: 4
; Occupancy: 8
; WaveLimiterHint : 0
; COMPUTE_PGM_RSRC2:SCRATCH_EN: 0
; COMPUTE_PGM_RSRC2:USER_SGPR: 2
; COMPUTE_PGM_RSRC2:TRAP_HANDLER: 0
; COMPUTE_PGM_RSRC2:TGID_X_EN: 1
; COMPUTE_PGM_RSRC2:TGID_Y_EN: 0
; COMPUTE_PGM_RSRC2:TGID_Z_EN: 0
; COMPUTE_PGM_RSRC2:TIDIG_COMP_CNT: 0
; COMPUTE_PGM_RSRC3_GFX90A:ACCUM_OFFSET: 0
; COMPUTE_PGM_RSRC3_GFX90A:TG_SPLIT: 0
	.section	.text._ZN7rocprim17ROCPRIM_400000_NS6detail17trampoline_kernelINS0_14default_configENS1_38merge_sort_block_merge_config_selectorIttEEZZNS1_27merge_sort_block_merge_implIS3_N6thrust23THRUST_200600_302600_NS6detail15normal_iteratorINS8_10device_ptrItEEEESD_jNS1_19radix_merge_compareILb0ELb0EtNS0_19identity_decomposerEEEEE10hipError_tT0_T1_T2_jT3_P12ihipStream_tbPNSt15iterator_traitsISI_E10value_typeEPNSO_ISJ_E10value_typeEPSK_NS1_7vsmem_tEENKUlT_SI_SJ_SK_E_clISD_PtSD_S10_EESH_SX_SI_SJ_SK_EUlSX_E_NS1_11comp_targetILNS1_3genE3ELNS1_11target_archE908ELNS1_3gpuE7ELNS1_3repE0EEENS1_48merge_mergepath_partition_config_static_selectorELNS0_4arch9wavefront6targetE1EEEvSJ_,"axG",@progbits,_ZN7rocprim17ROCPRIM_400000_NS6detail17trampoline_kernelINS0_14default_configENS1_38merge_sort_block_merge_config_selectorIttEEZZNS1_27merge_sort_block_merge_implIS3_N6thrust23THRUST_200600_302600_NS6detail15normal_iteratorINS8_10device_ptrItEEEESD_jNS1_19radix_merge_compareILb0ELb0EtNS0_19identity_decomposerEEEEE10hipError_tT0_T1_T2_jT3_P12ihipStream_tbPNSt15iterator_traitsISI_E10value_typeEPNSO_ISJ_E10value_typeEPSK_NS1_7vsmem_tEENKUlT_SI_SJ_SK_E_clISD_PtSD_S10_EESH_SX_SI_SJ_SK_EUlSX_E_NS1_11comp_targetILNS1_3genE3ELNS1_11target_archE908ELNS1_3gpuE7ELNS1_3repE0EEENS1_48merge_mergepath_partition_config_static_selectorELNS0_4arch9wavefront6targetE1EEEvSJ_,comdat
	.protected	_ZN7rocprim17ROCPRIM_400000_NS6detail17trampoline_kernelINS0_14default_configENS1_38merge_sort_block_merge_config_selectorIttEEZZNS1_27merge_sort_block_merge_implIS3_N6thrust23THRUST_200600_302600_NS6detail15normal_iteratorINS8_10device_ptrItEEEESD_jNS1_19radix_merge_compareILb0ELb0EtNS0_19identity_decomposerEEEEE10hipError_tT0_T1_T2_jT3_P12ihipStream_tbPNSt15iterator_traitsISI_E10value_typeEPNSO_ISJ_E10value_typeEPSK_NS1_7vsmem_tEENKUlT_SI_SJ_SK_E_clISD_PtSD_S10_EESH_SX_SI_SJ_SK_EUlSX_E_NS1_11comp_targetILNS1_3genE3ELNS1_11target_archE908ELNS1_3gpuE7ELNS1_3repE0EEENS1_48merge_mergepath_partition_config_static_selectorELNS0_4arch9wavefront6targetE1EEEvSJ_ ; -- Begin function _ZN7rocprim17ROCPRIM_400000_NS6detail17trampoline_kernelINS0_14default_configENS1_38merge_sort_block_merge_config_selectorIttEEZZNS1_27merge_sort_block_merge_implIS3_N6thrust23THRUST_200600_302600_NS6detail15normal_iteratorINS8_10device_ptrItEEEESD_jNS1_19radix_merge_compareILb0ELb0EtNS0_19identity_decomposerEEEEE10hipError_tT0_T1_T2_jT3_P12ihipStream_tbPNSt15iterator_traitsISI_E10value_typeEPNSO_ISJ_E10value_typeEPSK_NS1_7vsmem_tEENKUlT_SI_SJ_SK_E_clISD_PtSD_S10_EESH_SX_SI_SJ_SK_EUlSX_E_NS1_11comp_targetILNS1_3genE3ELNS1_11target_archE908ELNS1_3gpuE7ELNS1_3repE0EEENS1_48merge_mergepath_partition_config_static_selectorELNS0_4arch9wavefront6targetE1EEEvSJ_
	.globl	_ZN7rocprim17ROCPRIM_400000_NS6detail17trampoline_kernelINS0_14default_configENS1_38merge_sort_block_merge_config_selectorIttEEZZNS1_27merge_sort_block_merge_implIS3_N6thrust23THRUST_200600_302600_NS6detail15normal_iteratorINS8_10device_ptrItEEEESD_jNS1_19radix_merge_compareILb0ELb0EtNS0_19identity_decomposerEEEEE10hipError_tT0_T1_T2_jT3_P12ihipStream_tbPNSt15iterator_traitsISI_E10value_typeEPNSO_ISJ_E10value_typeEPSK_NS1_7vsmem_tEENKUlT_SI_SJ_SK_E_clISD_PtSD_S10_EESH_SX_SI_SJ_SK_EUlSX_E_NS1_11comp_targetILNS1_3genE3ELNS1_11target_archE908ELNS1_3gpuE7ELNS1_3repE0EEENS1_48merge_mergepath_partition_config_static_selectorELNS0_4arch9wavefront6targetE1EEEvSJ_
	.p2align	8
	.type	_ZN7rocprim17ROCPRIM_400000_NS6detail17trampoline_kernelINS0_14default_configENS1_38merge_sort_block_merge_config_selectorIttEEZZNS1_27merge_sort_block_merge_implIS3_N6thrust23THRUST_200600_302600_NS6detail15normal_iteratorINS8_10device_ptrItEEEESD_jNS1_19radix_merge_compareILb0ELb0EtNS0_19identity_decomposerEEEEE10hipError_tT0_T1_T2_jT3_P12ihipStream_tbPNSt15iterator_traitsISI_E10value_typeEPNSO_ISJ_E10value_typeEPSK_NS1_7vsmem_tEENKUlT_SI_SJ_SK_E_clISD_PtSD_S10_EESH_SX_SI_SJ_SK_EUlSX_E_NS1_11comp_targetILNS1_3genE3ELNS1_11target_archE908ELNS1_3gpuE7ELNS1_3repE0EEENS1_48merge_mergepath_partition_config_static_selectorELNS0_4arch9wavefront6targetE1EEEvSJ_,@function
_ZN7rocprim17ROCPRIM_400000_NS6detail17trampoline_kernelINS0_14default_configENS1_38merge_sort_block_merge_config_selectorIttEEZZNS1_27merge_sort_block_merge_implIS3_N6thrust23THRUST_200600_302600_NS6detail15normal_iteratorINS8_10device_ptrItEEEESD_jNS1_19radix_merge_compareILb0ELb0EtNS0_19identity_decomposerEEEEE10hipError_tT0_T1_T2_jT3_P12ihipStream_tbPNSt15iterator_traitsISI_E10value_typeEPNSO_ISJ_E10value_typeEPSK_NS1_7vsmem_tEENKUlT_SI_SJ_SK_E_clISD_PtSD_S10_EESH_SX_SI_SJ_SK_EUlSX_E_NS1_11comp_targetILNS1_3genE3ELNS1_11target_archE908ELNS1_3gpuE7ELNS1_3repE0EEENS1_48merge_mergepath_partition_config_static_selectorELNS0_4arch9wavefront6targetE1EEEvSJ_: ; @_ZN7rocprim17ROCPRIM_400000_NS6detail17trampoline_kernelINS0_14default_configENS1_38merge_sort_block_merge_config_selectorIttEEZZNS1_27merge_sort_block_merge_implIS3_N6thrust23THRUST_200600_302600_NS6detail15normal_iteratorINS8_10device_ptrItEEEESD_jNS1_19radix_merge_compareILb0ELb0EtNS0_19identity_decomposerEEEEE10hipError_tT0_T1_T2_jT3_P12ihipStream_tbPNSt15iterator_traitsISI_E10value_typeEPNSO_ISJ_E10value_typeEPSK_NS1_7vsmem_tEENKUlT_SI_SJ_SK_E_clISD_PtSD_S10_EESH_SX_SI_SJ_SK_EUlSX_E_NS1_11comp_targetILNS1_3genE3ELNS1_11target_archE908ELNS1_3gpuE7ELNS1_3repE0EEENS1_48merge_mergepath_partition_config_static_selectorELNS0_4arch9wavefront6targetE1EEEvSJ_
; %bb.0:
	.section	.rodata,"a",@progbits
	.p2align	6, 0x0
	.amdhsa_kernel _ZN7rocprim17ROCPRIM_400000_NS6detail17trampoline_kernelINS0_14default_configENS1_38merge_sort_block_merge_config_selectorIttEEZZNS1_27merge_sort_block_merge_implIS3_N6thrust23THRUST_200600_302600_NS6detail15normal_iteratorINS8_10device_ptrItEEEESD_jNS1_19radix_merge_compareILb0ELb0EtNS0_19identity_decomposerEEEEE10hipError_tT0_T1_T2_jT3_P12ihipStream_tbPNSt15iterator_traitsISI_E10value_typeEPNSO_ISJ_E10value_typeEPSK_NS1_7vsmem_tEENKUlT_SI_SJ_SK_E_clISD_PtSD_S10_EESH_SX_SI_SJ_SK_EUlSX_E_NS1_11comp_targetILNS1_3genE3ELNS1_11target_archE908ELNS1_3gpuE7ELNS1_3repE0EEENS1_48merge_mergepath_partition_config_static_selectorELNS0_4arch9wavefront6targetE1EEEvSJ_
		.amdhsa_group_segment_fixed_size 0
		.amdhsa_private_segment_fixed_size 0
		.amdhsa_kernarg_size 40
		.amdhsa_user_sgpr_count 2
		.amdhsa_user_sgpr_dispatch_ptr 0
		.amdhsa_user_sgpr_queue_ptr 0
		.amdhsa_user_sgpr_kernarg_segment_ptr 1
		.amdhsa_user_sgpr_dispatch_id 0
		.amdhsa_user_sgpr_kernarg_preload_length 0
		.amdhsa_user_sgpr_kernarg_preload_offset 0
		.amdhsa_user_sgpr_private_segment_size 0
		.amdhsa_uses_dynamic_stack 0
		.amdhsa_enable_private_segment 0
		.amdhsa_system_sgpr_workgroup_id_x 1
		.amdhsa_system_sgpr_workgroup_id_y 0
		.amdhsa_system_sgpr_workgroup_id_z 0
		.amdhsa_system_sgpr_workgroup_info 0
		.amdhsa_system_vgpr_workitem_id 0
		.amdhsa_next_free_vgpr 1
		.amdhsa_next_free_sgpr 0
		.amdhsa_accum_offset 4
		.amdhsa_reserve_vcc 0
		.amdhsa_float_round_mode_32 0
		.amdhsa_float_round_mode_16_64 0
		.amdhsa_float_denorm_mode_32 3
		.amdhsa_float_denorm_mode_16_64 3
		.amdhsa_dx10_clamp 1
		.amdhsa_ieee_mode 1
		.amdhsa_fp16_overflow 0
		.amdhsa_tg_split 0
		.amdhsa_exception_fp_ieee_invalid_op 0
		.amdhsa_exception_fp_denorm_src 0
		.amdhsa_exception_fp_ieee_div_zero 0
		.amdhsa_exception_fp_ieee_overflow 0
		.amdhsa_exception_fp_ieee_underflow 0
		.amdhsa_exception_fp_ieee_inexact 0
		.amdhsa_exception_int_div_zero 0
	.end_amdhsa_kernel
	.section	.text._ZN7rocprim17ROCPRIM_400000_NS6detail17trampoline_kernelINS0_14default_configENS1_38merge_sort_block_merge_config_selectorIttEEZZNS1_27merge_sort_block_merge_implIS3_N6thrust23THRUST_200600_302600_NS6detail15normal_iteratorINS8_10device_ptrItEEEESD_jNS1_19radix_merge_compareILb0ELb0EtNS0_19identity_decomposerEEEEE10hipError_tT0_T1_T2_jT3_P12ihipStream_tbPNSt15iterator_traitsISI_E10value_typeEPNSO_ISJ_E10value_typeEPSK_NS1_7vsmem_tEENKUlT_SI_SJ_SK_E_clISD_PtSD_S10_EESH_SX_SI_SJ_SK_EUlSX_E_NS1_11comp_targetILNS1_3genE3ELNS1_11target_archE908ELNS1_3gpuE7ELNS1_3repE0EEENS1_48merge_mergepath_partition_config_static_selectorELNS0_4arch9wavefront6targetE1EEEvSJ_,"axG",@progbits,_ZN7rocprim17ROCPRIM_400000_NS6detail17trampoline_kernelINS0_14default_configENS1_38merge_sort_block_merge_config_selectorIttEEZZNS1_27merge_sort_block_merge_implIS3_N6thrust23THRUST_200600_302600_NS6detail15normal_iteratorINS8_10device_ptrItEEEESD_jNS1_19radix_merge_compareILb0ELb0EtNS0_19identity_decomposerEEEEE10hipError_tT0_T1_T2_jT3_P12ihipStream_tbPNSt15iterator_traitsISI_E10value_typeEPNSO_ISJ_E10value_typeEPSK_NS1_7vsmem_tEENKUlT_SI_SJ_SK_E_clISD_PtSD_S10_EESH_SX_SI_SJ_SK_EUlSX_E_NS1_11comp_targetILNS1_3genE3ELNS1_11target_archE908ELNS1_3gpuE7ELNS1_3repE0EEENS1_48merge_mergepath_partition_config_static_selectorELNS0_4arch9wavefront6targetE1EEEvSJ_,comdat
.Lfunc_end870:
	.size	_ZN7rocprim17ROCPRIM_400000_NS6detail17trampoline_kernelINS0_14default_configENS1_38merge_sort_block_merge_config_selectorIttEEZZNS1_27merge_sort_block_merge_implIS3_N6thrust23THRUST_200600_302600_NS6detail15normal_iteratorINS8_10device_ptrItEEEESD_jNS1_19radix_merge_compareILb0ELb0EtNS0_19identity_decomposerEEEEE10hipError_tT0_T1_T2_jT3_P12ihipStream_tbPNSt15iterator_traitsISI_E10value_typeEPNSO_ISJ_E10value_typeEPSK_NS1_7vsmem_tEENKUlT_SI_SJ_SK_E_clISD_PtSD_S10_EESH_SX_SI_SJ_SK_EUlSX_E_NS1_11comp_targetILNS1_3genE3ELNS1_11target_archE908ELNS1_3gpuE7ELNS1_3repE0EEENS1_48merge_mergepath_partition_config_static_selectorELNS0_4arch9wavefront6targetE1EEEvSJ_, .Lfunc_end870-_ZN7rocprim17ROCPRIM_400000_NS6detail17trampoline_kernelINS0_14default_configENS1_38merge_sort_block_merge_config_selectorIttEEZZNS1_27merge_sort_block_merge_implIS3_N6thrust23THRUST_200600_302600_NS6detail15normal_iteratorINS8_10device_ptrItEEEESD_jNS1_19radix_merge_compareILb0ELb0EtNS0_19identity_decomposerEEEEE10hipError_tT0_T1_T2_jT3_P12ihipStream_tbPNSt15iterator_traitsISI_E10value_typeEPNSO_ISJ_E10value_typeEPSK_NS1_7vsmem_tEENKUlT_SI_SJ_SK_E_clISD_PtSD_S10_EESH_SX_SI_SJ_SK_EUlSX_E_NS1_11comp_targetILNS1_3genE3ELNS1_11target_archE908ELNS1_3gpuE7ELNS1_3repE0EEENS1_48merge_mergepath_partition_config_static_selectorELNS0_4arch9wavefront6targetE1EEEvSJ_
                                        ; -- End function
	.set _ZN7rocprim17ROCPRIM_400000_NS6detail17trampoline_kernelINS0_14default_configENS1_38merge_sort_block_merge_config_selectorIttEEZZNS1_27merge_sort_block_merge_implIS3_N6thrust23THRUST_200600_302600_NS6detail15normal_iteratorINS8_10device_ptrItEEEESD_jNS1_19radix_merge_compareILb0ELb0EtNS0_19identity_decomposerEEEEE10hipError_tT0_T1_T2_jT3_P12ihipStream_tbPNSt15iterator_traitsISI_E10value_typeEPNSO_ISJ_E10value_typeEPSK_NS1_7vsmem_tEENKUlT_SI_SJ_SK_E_clISD_PtSD_S10_EESH_SX_SI_SJ_SK_EUlSX_E_NS1_11comp_targetILNS1_3genE3ELNS1_11target_archE908ELNS1_3gpuE7ELNS1_3repE0EEENS1_48merge_mergepath_partition_config_static_selectorELNS0_4arch9wavefront6targetE1EEEvSJ_.num_vgpr, 0
	.set _ZN7rocprim17ROCPRIM_400000_NS6detail17trampoline_kernelINS0_14default_configENS1_38merge_sort_block_merge_config_selectorIttEEZZNS1_27merge_sort_block_merge_implIS3_N6thrust23THRUST_200600_302600_NS6detail15normal_iteratorINS8_10device_ptrItEEEESD_jNS1_19radix_merge_compareILb0ELb0EtNS0_19identity_decomposerEEEEE10hipError_tT0_T1_T2_jT3_P12ihipStream_tbPNSt15iterator_traitsISI_E10value_typeEPNSO_ISJ_E10value_typeEPSK_NS1_7vsmem_tEENKUlT_SI_SJ_SK_E_clISD_PtSD_S10_EESH_SX_SI_SJ_SK_EUlSX_E_NS1_11comp_targetILNS1_3genE3ELNS1_11target_archE908ELNS1_3gpuE7ELNS1_3repE0EEENS1_48merge_mergepath_partition_config_static_selectorELNS0_4arch9wavefront6targetE1EEEvSJ_.num_agpr, 0
	.set _ZN7rocprim17ROCPRIM_400000_NS6detail17trampoline_kernelINS0_14default_configENS1_38merge_sort_block_merge_config_selectorIttEEZZNS1_27merge_sort_block_merge_implIS3_N6thrust23THRUST_200600_302600_NS6detail15normal_iteratorINS8_10device_ptrItEEEESD_jNS1_19radix_merge_compareILb0ELb0EtNS0_19identity_decomposerEEEEE10hipError_tT0_T1_T2_jT3_P12ihipStream_tbPNSt15iterator_traitsISI_E10value_typeEPNSO_ISJ_E10value_typeEPSK_NS1_7vsmem_tEENKUlT_SI_SJ_SK_E_clISD_PtSD_S10_EESH_SX_SI_SJ_SK_EUlSX_E_NS1_11comp_targetILNS1_3genE3ELNS1_11target_archE908ELNS1_3gpuE7ELNS1_3repE0EEENS1_48merge_mergepath_partition_config_static_selectorELNS0_4arch9wavefront6targetE1EEEvSJ_.numbered_sgpr, 0
	.set _ZN7rocprim17ROCPRIM_400000_NS6detail17trampoline_kernelINS0_14default_configENS1_38merge_sort_block_merge_config_selectorIttEEZZNS1_27merge_sort_block_merge_implIS3_N6thrust23THRUST_200600_302600_NS6detail15normal_iteratorINS8_10device_ptrItEEEESD_jNS1_19radix_merge_compareILb0ELb0EtNS0_19identity_decomposerEEEEE10hipError_tT0_T1_T2_jT3_P12ihipStream_tbPNSt15iterator_traitsISI_E10value_typeEPNSO_ISJ_E10value_typeEPSK_NS1_7vsmem_tEENKUlT_SI_SJ_SK_E_clISD_PtSD_S10_EESH_SX_SI_SJ_SK_EUlSX_E_NS1_11comp_targetILNS1_3genE3ELNS1_11target_archE908ELNS1_3gpuE7ELNS1_3repE0EEENS1_48merge_mergepath_partition_config_static_selectorELNS0_4arch9wavefront6targetE1EEEvSJ_.num_named_barrier, 0
	.set _ZN7rocprim17ROCPRIM_400000_NS6detail17trampoline_kernelINS0_14default_configENS1_38merge_sort_block_merge_config_selectorIttEEZZNS1_27merge_sort_block_merge_implIS3_N6thrust23THRUST_200600_302600_NS6detail15normal_iteratorINS8_10device_ptrItEEEESD_jNS1_19radix_merge_compareILb0ELb0EtNS0_19identity_decomposerEEEEE10hipError_tT0_T1_T2_jT3_P12ihipStream_tbPNSt15iterator_traitsISI_E10value_typeEPNSO_ISJ_E10value_typeEPSK_NS1_7vsmem_tEENKUlT_SI_SJ_SK_E_clISD_PtSD_S10_EESH_SX_SI_SJ_SK_EUlSX_E_NS1_11comp_targetILNS1_3genE3ELNS1_11target_archE908ELNS1_3gpuE7ELNS1_3repE0EEENS1_48merge_mergepath_partition_config_static_selectorELNS0_4arch9wavefront6targetE1EEEvSJ_.private_seg_size, 0
	.set _ZN7rocprim17ROCPRIM_400000_NS6detail17trampoline_kernelINS0_14default_configENS1_38merge_sort_block_merge_config_selectorIttEEZZNS1_27merge_sort_block_merge_implIS3_N6thrust23THRUST_200600_302600_NS6detail15normal_iteratorINS8_10device_ptrItEEEESD_jNS1_19radix_merge_compareILb0ELb0EtNS0_19identity_decomposerEEEEE10hipError_tT0_T1_T2_jT3_P12ihipStream_tbPNSt15iterator_traitsISI_E10value_typeEPNSO_ISJ_E10value_typeEPSK_NS1_7vsmem_tEENKUlT_SI_SJ_SK_E_clISD_PtSD_S10_EESH_SX_SI_SJ_SK_EUlSX_E_NS1_11comp_targetILNS1_3genE3ELNS1_11target_archE908ELNS1_3gpuE7ELNS1_3repE0EEENS1_48merge_mergepath_partition_config_static_selectorELNS0_4arch9wavefront6targetE1EEEvSJ_.uses_vcc, 0
	.set _ZN7rocprim17ROCPRIM_400000_NS6detail17trampoline_kernelINS0_14default_configENS1_38merge_sort_block_merge_config_selectorIttEEZZNS1_27merge_sort_block_merge_implIS3_N6thrust23THRUST_200600_302600_NS6detail15normal_iteratorINS8_10device_ptrItEEEESD_jNS1_19radix_merge_compareILb0ELb0EtNS0_19identity_decomposerEEEEE10hipError_tT0_T1_T2_jT3_P12ihipStream_tbPNSt15iterator_traitsISI_E10value_typeEPNSO_ISJ_E10value_typeEPSK_NS1_7vsmem_tEENKUlT_SI_SJ_SK_E_clISD_PtSD_S10_EESH_SX_SI_SJ_SK_EUlSX_E_NS1_11comp_targetILNS1_3genE3ELNS1_11target_archE908ELNS1_3gpuE7ELNS1_3repE0EEENS1_48merge_mergepath_partition_config_static_selectorELNS0_4arch9wavefront6targetE1EEEvSJ_.uses_flat_scratch, 0
	.set _ZN7rocprim17ROCPRIM_400000_NS6detail17trampoline_kernelINS0_14default_configENS1_38merge_sort_block_merge_config_selectorIttEEZZNS1_27merge_sort_block_merge_implIS3_N6thrust23THRUST_200600_302600_NS6detail15normal_iteratorINS8_10device_ptrItEEEESD_jNS1_19radix_merge_compareILb0ELb0EtNS0_19identity_decomposerEEEEE10hipError_tT0_T1_T2_jT3_P12ihipStream_tbPNSt15iterator_traitsISI_E10value_typeEPNSO_ISJ_E10value_typeEPSK_NS1_7vsmem_tEENKUlT_SI_SJ_SK_E_clISD_PtSD_S10_EESH_SX_SI_SJ_SK_EUlSX_E_NS1_11comp_targetILNS1_3genE3ELNS1_11target_archE908ELNS1_3gpuE7ELNS1_3repE0EEENS1_48merge_mergepath_partition_config_static_selectorELNS0_4arch9wavefront6targetE1EEEvSJ_.has_dyn_sized_stack, 0
	.set _ZN7rocprim17ROCPRIM_400000_NS6detail17trampoline_kernelINS0_14default_configENS1_38merge_sort_block_merge_config_selectorIttEEZZNS1_27merge_sort_block_merge_implIS3_N6thrust23THRUST_200600_302600_NS6detail15normal_iteratorINS8_10device_ptrItEEEESD_jNS1_19radix_merge_compareILb0ELb0EtNS0_19identity_decomposerEEEEE10hipError_tT0_T1_T2_jT3_P12ihipStream_tbPNSt15iterator_traitsISI_E10value_typeEPNSO_ISJ_E10value_typeEPSK_NS1_7vsmem_tEENKUlT_SI_SJ_SK_E_clISD_PtSD_S10_EESH_SX_SI_SJ_SK_EUlSX_E_NS1_11comp_targetILNS1_3genE3ELNS1_11target_archE908ELNS1_3gpuE7ELNS1_3repE0EEENS1_48merge_mergepath_partition_config_static_selectorELNS0_4arch9wavefront6targetE1EEEvSJ_.has_recursion, 0
	.set _ZN7rocprim17ROCPRIM_400000_NS6detail17trampoline_kernelINS0_14default_configENS1_38merge_sort_block_merge_config_selectorIttEEZZNS1_27merge_sort_block_merge_implIS3_N6thrust23THRUST_200600_302600_NS6detail15normal_iteratorINS8_10device_ptrItEEEESD_jNS1_19radix_merge_compareILb0ELb0EtNS0_19identity_decomposerEEEEE10hipError_tT0_T1_T2_jT3_P12ihipStream_tbPNSt15iterator_traitsISI_E10value_typeEPNSO_ISJ_E10value_typeEPSK_NS1_7vsmem_tEENKUlT_SI_SJ_SK_E_clISD_PtSD_S10_EESH_SX_SI_SJ_SK_EUlSX_E_NS1_11comp_targetILNS1_3genE3ELNS1_11target_archE908ELNS1_3gpuE7ELNS1_3repE0EEENS1_48merge_mergepath_partition_config_static_selectorELNS0_4arch9wavefront6targetE1EEEvSJ_.has_indirect_call, 0
	.section	.AMDGPU.csdata,"",@progbits
; Kernel info:
; codeLenInByte = 0
; TotalNumSgprs: 6
; NumVgprs: 0
; NumAgprs: 0
; TotalNumVgprs: 0
; ScratchSize: 0
; MemoryBound: 0
; FloatMode: 240
; IeeeMode: 1
; LDSByteSize: 0 bytes/workgroup (compile time only)
; SGPRBlocks: 0
; VGPRBlocks: 0
; NumSGPRsForWavesPerEU: 6
; NumVGPRsForWavesPerEU: 1
; AccumOffset: 4
; Occupancy: 8
; WaveLimiterHint : 0
; COMPUTE_PGM_RSRC2:SCRATCH_EN: 0
; COMPUTE_PGM_RSRC2:USER_SGPR: 2
; COMPUTE_PGM_RSRC2:TRAP_HANDLER: 0
; COMPUTE_PGM_RSRC2:TGID_X_EN: 1
; COMPUTE_PGM_RSRC2:TGID_Y_EN: 0
; COMPUTE_PGM_RSRC2:TGID_Z_EN: 0
; COMPUTE_PGM_RSRC2:TIDIG_COMP_CNT: 0
; COMPUTE_PGM_RSRC3_GFX90A:ACCUM_OFFSET: 0
; COMPUTE_PGM_RSRC3_GFX90A:TG_SPLIT: 0
	.section	.text._ZN7rocprim17ROCPRIM_400000_NS6detail17trampoline_kernelINS0_14default_configENS1_38merge_sort_block_merge_config_selectorIttEEZZNS1_27merge_sort_block_merge_implIS3_N6thrust23THRUST_200600_302600_NS6detail15normal_iteratorINS8_10device_ptrItEEEESD_jNS1_19radix_merge_compareILb0ELb0EtNS0_19identity_decomposerEEEEE10hipError_tT0_T1_T2_jT3_P12ihipStream_tbPNSt15iterator_traitsISI_E10value_typeEPNSO_ISJ_E10value_typeEPSK_NS1_7vsmem_tEENKUlT_SI_SJ_SK_E_clISD_PtSD_S10_EESH_SX_SI_SJ_SK_EUlSX_E_NS1_11comp_targetILNS1_3genE2ELNS1_11target_archE906ELNS1_3gpuE6ELNS1_3repE0EEENS1_48merge_mergepath_partition_config_static_selectorELNS0_4arch9wavefront6targetE1EEEvSJ_,"axG",@progbits,_ZN7rocprim17ROCPRIM_400000_NS6detail17trampoline_kernelINS0_14default_configENS1_38merge_sort_block_merge_config_selectorIttEEZZNS1_27merge_sort_block_merge_implIS3_N6thrust23THRUST_200600_302600_NS6detail15normal_iteratorINS8_10device_ptrItEEEESD_jNS1_19radix_merge_compareILb0ELb0EtNS0_19identity_decomposerEEEEE10hipError_tT0_T1_T2_jT3_P12ihipStream_tbPNSt15iterator_traitsISI_E10value_typeEPNSO_ISJ_E10value_typeEPSK_NS1_7vsmem_tEENKUlT_SI_SJ_SK_E_clISD_PtSD_S10_EESH_SX_SI_SJ_SK_EUlSX_E_NS1_11comp_targetILNS1_3genE2ELNS1_11target_archE906ELNS1_3gpuE6ELNS1_3repE0EEENS1_48merge_mergepath_partition_config_static_selectorELNS0_4arch9wavefront6targetE1EEEvSJ_,comdat
	.protected	_ZN7rocprim17ROCPRIM_400000_NS6detail17trampoline_kernelINS0_14default_configENS1_38merge_sort_block_merge_config_selectorIttEEZZNS1_27merge_sort_block_merge_implIS3_N6thrust23THRUST_200600_302600_NS6detail15normal_iteratorINS8_10device_ptrItEEEESD_jNS1_19radix_merge_compareILb0ELb0EtNS0_19identity_decomposerEEEEE10hipError_tT0_T1_T2_jT3_P12ihipStream_tbPNSt15iterator_traitsISI_E10value_typeEPNSO_ISJ_E10value_typeEPSK_NS1_7vsmem_tEENKUlT_SI_SJ_SK_E_clISD_PtSD_S10_EESH_SX_SI_SJ_SK_EUlSX_E_NS1_11comp_targetILNS1_3genE2ELNS1_11target_archE906ELNS1_3gpuE6ELNS1_3repE0EEENS1_48merge_mergepath_partition_config_static_selectorELNS0_4arch9wavefront6targetE1EEEvSJ_ ; -- Begin function _ZN7rocprim17ROCPRIM_400000_NS6detail17trampoline_kernelINS0_14default_configENS1_38merge_sort_block_merge_config_selectorIttEEZZNS1_27merge_sort_block_merge_implIS3_N6thrust23THRUST_200600_302600_NS6detail15normal_iteratorINS8_10device_ptrItEEEESD_jNS1_19radix_merge_compareILb0ELb0EtNS0_19identity_decomposerEEEEE10hipError_tT0_T1_T2_jT3_P12ihipStream_tbPNSt15iterator_traitsISI_E10value_typeEPNSO_ISJ_E10value_typeEPSK_NS1_7vsmem_tEENKUlT_SI_SJ_SK_E_clISD_PtSD_S10_EESH_SX_SI_SJ_SK_EUlSX_E_NS1_11comp_targetILNS1_3genE2ELNS1_11target_archE906ELNS1_3gpuE6ELNS1_3repE0EEENS1_48merge_mergepath_partition_config_static_selectorELNS0_4arch9wavefront6targetE1EEEvSJ_
	.globl	_ZN7rocprim17ROCPRIM_400000_NS6detail17trampoline_kernelINS0_14default_configENS1_38merge_sort_block_merge_config_selectorIttEEZZNS1_27merge_sort_block_merge_implIS3_N6thrust23THRUST_200600_302600_NS6detail15normal_iteratorINS8_10device_ptrItEEEESD_jNS1_19radix_merge_compareILb0ELb0EtNS0_19identity_decomposerEEEEE10hipError_tT0_T1_T2_jT3_P12ihipStream_tbPNSt15iterator_traitsISI_E10value_typeEPNSO_ISJ_E10value_typeEPSK_NS1_7vsmem_tEENKUlT_SI_SJ_SK_E_clISD_PtSD_S10_EESH_SX_SI_SJ_SK_EUlSX_E_NS1_11comp_targetILNS1_3genE2ELNS1_11target_archE906ELNS1_3gpuE6ELNS1_3repE0EEENS1_48merge_mergepath_partition_config_static_selectorELNS0_4arch9wavefront6targetE1EEEvSJ_
	.p2align	8
	.type	_ZN7rocprim17ROCPRIM_400000_NS6detail17trampoline_kernelINS0_14default_configENS1_38merge_sort_block_merge_config_selectorIttEEZZNS1_27merge_sort_block_merge_implIS3_N6thrust23THRUST_200600_302600_NS6detail15normal_iteratorINS8_10device_ptrItEEEESD_jNS1_19radix_merge_compareILb0ELb0EtNS0_19identity_decomposerEEEEE10hipError_tT0_T1_T2_jT3_P12ihipStream_tbPNSt15iterator_traitsISI_E10value_typeEPNSO_ISJ_E10value_typeEPSK_NS1_7vsmem_tEENKUlT_SI_SJ_SK_E_clISD_PtSD_S10_EESH_SX_SI_SJ_SK_EUlSX_E_NS1_11comp_targetILNS1_3genE2ELNS1_11target_archE906ELNS1_3gpuE6ELNS1_3repE0EEENS1_48merge_mergepath_partition_config_static_selectorELNS0_4arch9wavefront6targetE1EEEvSJ_,@function
_ZN7rocprim17ROCPRIM_400000_NS6detail17trampoline_kernelINS0_14default_configENS1_38merge_sort_block_merge_config_selectorIttEEZZNS1_27merge_sort_block_merge_implIS3_N6thrust23THRUST_200600_302600_NS6detail15normal_iteratorINS8_10device_ptrItEEEESD_jNS1_19radix_merge_compareILb0ELb0EtNS0_19identity_decomposerEEEEE10hipError_tT0_T1_T2_jT3_P12ihipStream_tbPNSt15iterator_traitsISI_E10value_typeEPNSO_ISJ_E10value_typeEPSK_NS1_7vsmem_tEENKUlT_SI_SJ_SK_E_clISD_PtSD_S10_EESH_SX_SI_SJ_SK_EUlSX_E_NS1_11comp_targetILNS1_3genE2ELNS1_11target_archE906ELNS1_3gpuE6ELNS1_3repE0EEENS1_48merge_mergepath_partition_config_static_selectorELNS0_4arch9wavefront6targetE1EEEvSJ_: ; @_ZN7rocprim17ROCPRIM_400000_NS6detail17trampoline_kernelINS0_14default_configENS1_38merge_sort_block_merge_config_selectorIttEEZZNS1_27merge_sort_block_merge_implIS3_N6thrust23THRUST_200600_302600_NS6detail15normal_iteratorINS8_10device_ptrItEEEESD_jNS1_19radix_merge_compareILb0ELb0EtNS0_19identity_decomposerEEEEE10hipError_tT0_T1_T2_jT3_P12ihipStream_tbPNSt15iterator_traitsISI_E10value_typeEPNSO_ISJ_E10value_typeEPSK_NS1_7vsmem_tEENKUlT_SI_SJ_SK_E_clISD_PtSD_S10_EESH_SX_SI_SJ_SK_EUlSX_E_NS1_11comp_targetILNS1_3genE2ELNS1_11target_archE906ELNS1_3gpuE6ELNS1_3repE0EEENS1_48merge_mergepath_partition_config_static_selectorELNS0_4arch9wavefront6targetE1EEEvSJ_
; %bb.0:
	.section	.rodata,"a",@progbits
	.p2align	6, 0x0
	.amdhsa_kernel _ZN7rocprim17ROCPRIM_400000_NS6detail17trampoline_kernelINS0_14default_configENS1_38merge_sort_block_merge_config_selectorIttEEZZNS1_27merge_sort_block_merge_implIS3_N6thrust23THRUST_200600_302600_NS6detail15normal_iteratorINS8_10device_ptrItEEEESD_jNS1_19radix_merge_compareILb0ELb0EtNS0_19identity_decomposerEEEEE10hipError_tT0_T1_T2_jT3_P12ihipStream_tbPNSt15iterator_traitsISI_E10value_typeEPNSO_ISJ_E10value_typeEPSK_NS1_7vsmem_tEENKUlT_SI_SJ_SK_E_clISD_PtSD_S10_EESH_SX_SI_SJ_SK_EUlSX_E_NS1_11comp_targetILNS1_3genE2ELNS1_11target_archE906ELNS1_3gpuE6ELNS1_3repE0EEENS1_48merge_mergepath_partition_config_static_selectorELNS0_4arch9wavefront6targetE1EEEvSJ_
		.amdhsa_group_segment_fixed_size 0
		.amdhsa_private_segment_fixed_size 0
		.amdhsa_kernarg_size 40
		.amdhsa_user_sgpr_count 2
		.amdhsa_user_sgpr_dispatch_ptr 0
		.amdhsa_user_sgpr_queue_ptr 0
		.amdhsa_user_sgpr_kernarg_segment_ptr 1
		.amdhsa_user_sgpr_dispatch_id 0
		.amdhsa_user_sgpr_kernarg_preload_length 0
		.amdhsa_user_sgpr_kernarg_preload_offset 0
		.amdhsa_user_sgpr_private_segment_size 0
		.amdhsa_uses_dynamic_stack 0
		.amdhsa_enable_private_segment 0
		.amdhsa_system_sgpr_workgroup_id_x 1
		.amdhsa_system_sgpr_workgroup_id_y 0
		.amdhsa_system_sgpr_workgroup_id_z 0
		.amdhsa_system_sgpr_workgroup_info 0
		.amdhsa_system_vgpr_workitem_id 0
		.amdhsa_next_free_vgpr 1
		.amdhsa_next_free_sgpr 0
		.amdhsa_accum_offset 4
		.amdhsa_reserve_vcc 0
		.amdhsa_float_round_mode_32 0
		.amdhsa_float_round_mode_16_64 0
		.amdhsa_float_denorm_mode_32 3
		.amdhsa_float_denorm_mode_16_64 3
		.amdhsa_dx10_clamp 1
		.amdhsa_ieee_mode 1
		.amdhsa_fp16_overflow 0
		.amdhsa_tg_split 0
		.amdhsa_exception_fp_ieee_invalid_op 0
		.amdhsa_exception_fp_denorm_src 0
		.amdhsa_exception_fp_ieee_div_zero 0
		.amdhsa_exception_fp_ieee_overflow 0
		.amdhsa_exception_fp_ieee_underflow 0
		.amdhsa_exception_fp_ieee_inexact 0
		.amdhsa_exception_int_div_zero 0
	.end_amdhsa_kernel
	.section	.text._ZN7rocprim17ROCPRIM_400000_NS6detail17trampoline_kernelINS0_14default_configENS1_38merge_sort_block_merge_config_selectorIttEEZZNS1_27merge_sort_block_merge_implIS3_N6thrust23THRUST_200600_302600_NS6detail15normal_iteratorINS8_10device_ptrItEEEESD_jNS1_19radix_merge_compareILb0ELb0EtNS0_19identity_decomposerEEEEE10hipError_tT0_T1_T2_jT3_P12ihipStream_tbPNSt15iterator_traitsISI_E10value_typeEPNSO_ISJ_E10value_typeEPSK_NS1_7vsmem_tEENKUlT_SI_SJ_SK_E_clISD_PtSD_S10_EESH_SX_SI_SJ_SK_EUlSX_E_NS1_11comp_targetILNS1_3genE2ELNS1_11target_archE906ELNS1_3gpuE6ELNS1_3repE0EEENS1_48merge_mergepath_partition_config_static_selectorELNS0_4arch9wavefront6targetE1EEEvSJ_,"axG",@progbits,_ZN7rocprim17ROCPRIM_400000_NS6detail17trampoline_kernelINS0_14default_configENS1_38merge_sort_block_merge_config_selectorIttEEZZNS1_27merge_sort_block_merge_implIS3_N6thrust23THRUST_200600_302600_NS6detail15normal_iteratorINS8_10device_ptrItEEEESD_jNS1_19radix_merge_compareILb0ELb0EtNS0_19identity_decomposerEEEEE10hipError_tT0_T1_T2_jT3_P12ihipStream_tbPNSt15iterator_traitsISI_E10value_typeEPNSO_ISJ_E10value_typeEPSK_NS1_7vsmem_tEENKUlT_SI_SJ_SK_E_clISD_PtSD_S10_EESH_SX_SI_SJ_SK_EUlSX_E_NS1_11comp_targetILNS1_3genE2ELNS1_11target_archE906ELNS1_3gpuE6ELNS1_3repE0EEENS1_48merge_mergepath_partition_config_static_selectorELNS0_4arch9wavefront6targetE1EEEvSJ_,comdat
.Lfunc_end871:
	.size	_ZN7rocprim17ROCPRIM_400000_NS6detail17trampoline_kernelINS0_14default_configENS1_38merge_sort_block_merge_config_selectorIttEEZZNS1_27merge_sort_block_merge_implIS3_N6thrust23THRUST_200600_302600_NS6detail15normal_iteratorINS8_10device_ptrItEEEESD_jNS1_19radix_merge_compareILb0ELb0EtNS0_19identity_decomposerEEEEE10hipError_tT0_T1_T2_jT3_P12ihipStream_tbPNSt15iterator_traitsISI_E10value_typeEPNSO_ISJ_E10value_typeEPSK_NS1_7vsmem_tEENKUlT_SI_SJ_SK_E_clISD_PtSD_S10_EESH_SX_SI_SJ_SK_EUlSX_E_NS1_11comp_targetILNS1_3genE2ELNS1_11target_archE906ELNS1_3gpuE6ELNS1_3repE0EEENS1_48merge_mergepath_partition_config_static_selectorELNS0_4arch9wavefront6targetE1EEEvSJ_, .Lfunc_end871-_ZN7rocprim17ROCPRIM_400000_NS6detail17trampoline_kernelINS0_14default_configENS1_38merge_sort_block_merge_config_selectorIttEEZZNS1_27merge_sort_block_merge_implIS3_N6thrust23THRUST_200600_302600_NS6detail15normal_iteratorINS8_10device_ptrItEEEESD_jNS1_19radix_merge_compareILb0ELb0EtNS0_19identity_decomposerEEEEE10hipError_tT0_T1_T2_jT3_P12ihipStream_tbPNSt15iterator_traitsISI_E10value_typeEPNSO_ISJ_E10value_typeEPSK_NS1_7vsmem_tEENKUlT_SI_SJ_SK_E_clISD_PtSD_S10_EESH_SX_SI_SJ_SK_EUlSX_E_NS1_11comp_targetILNS1_3genE2ELNS1_11target_archE906ELNS1_3gpuE6ELNS1_3repE0EEENS1_48merge_mergepath_partition_config_static_selectorELNS0_4arch9wavefront6targetE1EEEvSJ_
                                        ; -- End function
	.set _ZN7rocprim17ROCPRIM_400000_NS6detail17trampoline_kernelINS0_14default_configENS1_38merge_sort_block_merge_config_selectorIttEEZZNS1_27merge_sort_block_merge_implIS3_N6thrust23THRUST_200600_302600_NS6detail15normal_iteratorINS8_10device_ptrItEEEESD_jNS1_19radix_merge_compareILb0ELb0EtNS0_19identity_decomposerEEEEE10hipError_tT0_T1_T2_jT3_P12ihipStream_tbPNSt15iterator_traitsISI_E10value_typeEPNSO_ISJ_E10value_typeEPSK_NS1_7vsmem_tEENKUlT_SI_SJ_SK_E_clISD_PtSD_S10_EESH_SX_SI_SJ_SK_EUlSX_E_NS1_11comp_targetILNS1_3genE2ELNS1_11target_archE906ELNS1_3gpuE6ELNS1_3repE0EEENS1_48merge_mergepath_partition_config_static_selectorELNS0_4arch9wavefront6targetE1EEEvSJ_.num_vgpr, 0
	.set _ZN7rocprim17ROCPRIM_400000_NS6detail17trampoline_kernelINS0_14default_configENS1_38merge_sort_block_merge_config_selectorIttEEZZNS1_27merge_sort_block_merge_implIS3_N6thrust23THRUST_200600_302600_NS6detail15normal_iteratorINS8_10device_ptrItEEEESD_jNS1_19radix_merge_compareILb0ELb0EtNS0_19identity_decomposerEEEEE10hipError_tT0_T1_T2_jT3_P12ihipStream_tbPNSt15iterator_traitsISI_E10value_typeEPNSO_ISJ_E10value_typeEPSK_NS1_7vsmem_tEENKUlT_SI_SJ_SK_E_clISD_PtSD_S10_EESH_SX_SI_SJ_SK_EUlSX_E_NS1_11comp_targetILNS1_3genE2ELNS1_11target_archE906ELNS1_3gpuE6ELNS1_3repE0EEENS1_48merge_mergepath_partition_config_static_selectorELNS0_4arch9wavefront6targetE1EEEvSJ_.num_agpr, 0
	.set _ZN7rocprim17ROCPRIM_400000_NS6detail17trampoline_kernelINS0_14default_configENS1_38merge_sort_block_merge_config_selectorIttEEZZNS1_27merge_sort_block_merge_implIS3_N6thrust23THRUST_200600_302600_NS6detail15normal_iteratorINS8_10device_ptrItEEEESD_jNS1_19radix_merge_compareILb0ELb0EtNS0_19identity_decomposerEEEEE10hipError_tT0_T1_T2_jT3_P12ihipStream_tbPNSt15iterator_traitsISI_E10value_typeEPNSO_ISJ_E10value_typeEPSK_NS1_7vsmem_tEENKUlT_SI_SJ_SK_E_clISD_PtSD_S10_EESH_SX_SI_SJ_SK_EUlSX_E_NS1_11comp_targetILNS1_3genE2ELNS1_11target_archE906ELNS1_3gpuE6ELNS1_3repE0EEENS1_48merge_mergepath_partition_config_static_selectorELNS0_4arch9wavefront6targetE1EEEvSJ_.numbered_sgpr, 0
	.set _ZN7rocprim17ROCPRIM_400000_NS6detail17trampoline_kernelINS0_14default_configENS1_38merge_sort_block_merge_config_selectorIttEEZZNS1_27merge_sort_block_merge_implIS3_N6thrust23THRUST_200600_302600_NS6detail15normal_iteratorINS8_10device_ptrItEEEESD_jNS1_19radix_merge_compareILb0ELb0EtNS0_19identity_decomposerEEEEE10hipError_tT0_T1_T2_jT3_P12ihipStream_tbPNSt15iterator_traitsISI_E10value_typeEPNSO_ISJ_E10value_typeEPSK_NS1_7vsmem_tEENKUlT_SI_SJ_SK_E_clISD_PtSD_S10_EESH_SX_SI_SJ_SK_EUlSX_E_NS1_11comp_targetILNS1_3genE2ELNS1_11target_archE906ELNS1_3gpuE6ELNS1_3repE0EEENS1_48merge_mergepath_partition_config_static_selectorELNS0_4arch9wavefront6targetE1EEEvSJ_.num_named_barrier, 0
	.set _ZN7rocprim17ROCPRIM_400000_NS6detail17trampoline_kernelINS0_14default_configENS1_38merge_sort_block_merge_config_selectorIttEEZZNS1_27merge_sort_block_merge_implIS3_N6thrust23THRUST_200600_302600_NS6detail15normal_iteratorINS8_10device_ptrItEEEESD_jNS1_19radix_merge_compareILb0ELb0EtNS0_19identity_decomposerEEEEE10hipError_tT0_T1_T2_jT3_P12ihipStream_tbPNSt15iterator_traitsISI_E10value_typeEPNSO_ISJ_E10value_typeEPSK_NS1_7vsmem_tEENKUlT_SI_SJ_SK_E_clISD_PtSD_S10_EESH_SX_SI_SJ_SK_EUlSX_E_NS1_11comp_targetILNS1_3genE2ELNS1_11target_archE906ELNS1_3gpuE6ELNS1_3repE0EEENS1_48merge_mergepath_partition_config_static_selectorELNS0_4arch9wavefront6targetE1EEEvSJ_.private_seg_size, 0
	.set _ZN7rocprim17ROCPRIM_400000_NS6detail17trampoline_kernelINS0_14default_configENS1_38merge_sort_block_merge_config_selectorIttEEZZNS1_27merge_sort_block_merge_implIS3_N6thrust23THRUST_200600_302600_NS6detail15normal_iteratorINS8_10device_ptrItEEEESD_jNS1_19radix_merge_compareILb0ELb0EtNS0_19identity_decomposerEEEEE10hipError_tT0_T1_T2_jT3_P12ihipStream_tbPNSt15iterator_traitsISI_E10value_typeEPNSO_ISJ_E10value_typeEPSK_NS1_7vsmem_tEENKUlT_SI_SJ_SK_E_clISD_PtSD_S10_EESH_SX_SI_SJ_SK_EUlSX_E_NS1_11comp_targetILNS1_3genE2ELNS1_11target_archE906ELNS1_3gpuE6ELNS1_3repE0EEENS1_48merge_mergepath_partition_config_static_selectorELNS0_4arch9wavefront6targetE1EEEvSJ_.uses_vcc, 0
	.set _ZN7rocprim17ROCPRIM_400000_NS6detail17trampoline_kernelINS0_14default_configENS1_38merge_sort_block_merge_config_selectorIttEEZZNS1_27merge_sort_block_merge_implIS3_N6thrust23THRUST_200600_302600_NS6detail15normal_iteratorINS8_10device_ptrItEEEESD_jNS1_19radix_merge_compareILb0ELb0EtNS0_19identity_decomposerEEEEE10hipError_tT0_T1_T2_jT3_P12ihipStream_tbPNSt15iterator_traitsISI_E10value_typeEPNSO_ISJ_E10value_typeEPSK_NS1_7vsmem_tEENKUlT_SI_SJ_SK_E_clISD_PtSD_S10_EESH_SX_SI_SJ_SK_EUlSX_E_NS1_11comp_targetILNS1_3genE2ELNS1_11target_archE906ELNS1_3gpuE6ELNS1_3repE0EEENS1_48merge_mergepath_partition_config_static_selectorELNS0_4arch9wavefront6targetE1EEEvSJ_.uses_flat_scratch, 0
	.set _ZN7rocprim17ROCPRIM_400000_NS6detail17trampoline_kernelINS0_14default_configENS1_38merge_sort_block_merge_config_selectorIttEEZZNS1_27merge_sort_block_merge_implIS3_N6thrust23THRUST_200600_302600_NS6detail15normal_iteratorINS8_10device_ptrItEEEESD_jNS1_19radix_merge_compareILb0ELb0EtNS0_19identity_decomposerEEEEE10hipError_tT0_T1_T2_jT3_P12ihipStream_tbPNSt15iterator_traitsISI_E10value_typeEPNSO_ISJ_E10value_typeEPSK_NS1_7vsmem_tEENKUlT_SI_SJ_SK_E_clISD_PtSD_S10_EESH_SX_SI_SJ_SK_EUlSX_E_NS1_11comp_targetILNS1_3genE2ELNS1_11target_archE906ELNS1_3gpuE6ELNS1_3repE0EEENS1_48merge_mergepath_partition_config_static_selectorELNS0_4arch9wavefront6targetE1EEEvSJ_.has_dyn_sized_stack, 0
	.set _ZN7rocprim17ROCPRIM_400000_NS6detail17trampoline_kernelINS0_14default_configENS1_38merge_sort_block_merge_config_selectorIttEEZZNS1_27merge_sort_block_merge_implIS3_N6thrust23THRUST_200600_302600_NS6detail15normal_iteratorINS8_10device_ptrItEEEESD_jNS1_19radix_merge_compareILb0ELb0EtNS0_19identity_decomposerEEEEE10hipError_tT0_T1_T2_jT3_P12ihipStream_tbPNSt15iterator_traitsISI_E10value_typeEPNSO_ISJ_E10value_typeEPSK_NS1_7vsmem_tEENKUlT_SI_SJ_SK_E_clISD_PtSD_S10_EESH_SX_SI_SJ_SK_EUlSX_E_NS1_11comp_targetILNS1_3genE2ELNS1_11target_archE906ELNS1_3gpuE6ELNS1_3repE0EEENS1_48merge_mergepath_partition_config_static_selectorELNS0_4arch9wavefront6targetE1EEEvSJ_.has_recursion, 0
	.set _ZN7rocprim17ROCPRIM_400000_NS6detail17trampoline_kernelINS0_14default_configENS1_38merge_sort_block_merge_config_selectorIttEEZZNS1_27merge_sort_block_merge_implIS3_N6thrust23THRUST_200600_302600_NS6detail15normal_iteratorINS8_10device_ptrItEEEESD_jNS1_19radix_merge_compareILb0ELb0EtNS0_19identity_decomposerEEEEE10hipError_tT0_T1_T2_jT3_P12ihipStream_tbPNSt15iterator_traitsISI_E10value_typeEPNSO_ISJ_E10value_typeEPSK_NS1_7vsmem_tEENKUlT_SI_SJ_SK_E_clISD_PtSD_S10_EESH_SX_SI_SJ_SK_EUlSX_E_NS1_11comp_targetILNS1_3genE2ELNS1_11target_archE906ELNS1_3gpuE6ELNS1_3repE0EEENS1_48merge_mergepath_partition_config_static_selectorELNS0_4arch9wavefront6targetE1EEEvSJ_.has_indirect_call, 0
	.section	.AMDGPU.csdata,"",@progbits
; Kernel info:
; codeLenInByte = 0
; TotalNumSgprs: 6
; NumVgprs: 0
; NumAgprs: 0
; TotalNumVgprs: 0
; ScratchSize: 0
; MemoryBound: 0
; FloatMode: 240
; IeeeMode: 1
; LDSByteSize: 0 bytes/workgroup (compile time only)
; SGPRBlocks: 0
; VGPRBlocks: 0
; NumSGPRsForWavesPerEU: 6
; NumVGPRsForWavesPerEU: 1
; AccumOffset: 4
; Occupancy: 8
; WaveLimiterHint : 0
; COMPUTE_PGM_RSRC2:SCRATCH_EN: 0
; COMPUTE_PGM_RSRC2:USER_SGPR: 2
; COMPUTE_PGM_RSRC2:TRAP_HANDLER: 0
; COMPUTE_PGM_RSRC2:TGID_X_EN: 1
; COMPUTE_PGM_RSRC2:TGID_Y_EN: 0
; COMPUTE_PGM_RSRC2:TGID_Z_EN: 0
; COMPUTE_PGM_RSRC2:TIDIG_COMP_CNT: 0
; COMPUTE_PGM_RSRC3_GFX90A:ACCUM_OFFSET: 0
; COMPUTE_PGM_RSRC3_GFX90A:TG_SPLIT: 0
	.section	.text._ZN7rocprim17ROCPRIM_400000_NS6detail17trampoline_kernelINS0_14default_configENS1_38merge_sort_block_merge_config_selectorIttEEZZNS1_27merge_sort_block_merge_implIS3_N6thrust23THRUST_200600_302600_NS6detail15normal_iteratorINS8_10device_ptrItEEEESD_jNS1_19radix_merge_compareILb0ELb0EtNS0_19identity_decomposerEEEEE10hipError_tT0_T1_T2_jT3_P12ihipStream_tbPNSt15iterator_traitsISI_E10value_typeEPNSO_ISJ_E10value_typeEPSK_NS1_7vsmem_tEENKUlT_SI_SJ_SK_E_clISD_PtSD_S10_EESH_SX_SI_SJ_SK_EUlSX_E_NS1_11comp_targetILNS1_3genE9ELNS1_11target_archE1100ELNS1_3gpuE3ELNS1_3repE0EEENS1_48merge_mergepath_partition_config_static_selectorELNS0_4arch9wavefront6targetE1EEEvSJ_,"axG",@progbits,_ZN7rocprim17ROCPRIM_400000_NS6detail17trampoline_kernelINS0_14default_configENS1_38merge_sort_block_merge_config_selectorIttEEZZNS1_27merge_sort_block_merge_implIS3_N6thrust23THRUST_200600_302600_NS6detail15normal_iteratorINS8_10device_ptrItEEEESD_jNS1_19radix_merge_compareILb0ELb0EtNS0_19identity_decomposerEEEEE10hipError_tT0_T1_T2_jT3_P12ihipStream_tbPNSt15iterator_traitsISI_E10value_typeEPNSO_ISJ_E10value_typeEPSK_NS1_7vsmem_tEENKUlT_SI_SJ_SK_E_clISD_PtSD_S10_EESH_SX_SI_SJ_SK_EUlSX_E_NS1_11comp_targetILNS1_3genE9ELNS1_11target_archE1100ELNS1_3gpuE3ELNS1_3repE0EEENS1_48merge_mergepath_partition_config_static_selectorELNS0_4arch9wavefront6targetE1EEEvSJ_,comdat
	.protected	_ZN7rocprim17ROCPRIM_400000_NS6detail17trampoline_kernelINS0_14default_configENS1_38merge_sort_block_merge_config_selectorIttEEZZNS1_27merge_sort_block_merge_implIS3_N6thrust23THRUST_200600_302600_NS6detail15normal_iteratorINS8_10device_ptrItEEEESD_jNS1_19radix_merge_compareILb0ELb0EtNS0_19identity_decomposerEEEEE10hipError_tT0_T1_T2_jT3_P12ihipStream_tbPNSt15iterator_traitsISI_E10value_typeEPNSO_ISJ_E10value_typeEPSK_NS1_7vsmem_tEENKUlT_SI_SJ_SK_E_clISD_PtSD_S10_EESH_SX_SI_SJ_SK_EUlSX_E_NS1_11comp_targetILNS1_3genE9ELNS1_11target_archE1100ELNS1_3gpuE3ELNS1_3repE0EEENS1_48merge_mergepath_partition_config_static_selectorELNS0_4arch9wavefront6targetE1EEEvSJ_ ; -- Begin function _ZN7rocprim17ROCPRIM_400000_NS6detail17trampoline_kernelINS0_14default_configENS1_38merge_sort_block_merge_config_selectorIttEEZZNS1_27merge_sort_block_merge_implIS3_N6thrust23THRUST_200600_302600_NS6detail15normal_iteratorINS8_10device_ptrItEEEESD_jNS1_19radix_merge_compareILb0ELb0EtNS0_19identity_decomposerEEEEE10hipError_tT0_T1_T2_jT3_P12ihipStream_tbPNSt15iterator_traitsISI_E10value_typeEPNSO_ISJ_E10value_typeEPSK_NS1_7vsmem_tEENKUlT_SI_SJ_SK_E_clISD_PtSD_S10_EESH_SX_SI_SJ_SK_EUlSX_E_NS1_11comp_targetILNS1_3genE9ELNS1_11target_archE1100ELNS1_3gpuE3ELNS1_3repE0EEENS1_48merge_mergepath_partition_config_static_selectorELNS0_4arch9wavefront6targetE1EEEvSJ_
	.globl	_ZN7rocprim17ROCPRIM_400000_NS6detail17trampoline_kernelINS0_14default_configENS1_38merge_sort_block_merge_config_selectorIttEEZZNS1_27merge_sort_block_merge_implIS3_N6thrust23THRUST_200600_302600_NS6detail15normal_iteratorINS8_10device_ptrItEEEESD_jNS1_19radix_merge_compareILb0ELb0EtNS0_19identity_decomposerEEEEE10hipError_tT0_T1_T2_jT3_P12ihipStream_tbPNSt15iterator_traitsISI_E10value_typeEPNSO_ISJ_E10value_typeEPSK_NS1_7vsmem_tEENKUlT_SI_SJ_SK_E_clISD_PtSD_S10_EESH_SX_SI_SJ_SK_EUlSX_E_NS1_11comp_targetILNS1_3genE9ELNS1_11target_archE1100ELNS1_3gpuE3ELNS1_3repE0EEENS1_48merge_mergepath_partition_config_static_selectorELNS0_4arch9wavefront6targetE1EEEvSJ_
	.p2align	8
	.type	_ZN7rocprim17ROCPRIM_400000_NS6detail17trampoline_kernelINS0_14default_configENS1_38merge_sort_block_merge_config_selectorIttEEZZNS1_27merge_sort_block_merge_implIS3_N6thrust23THRUST_200600_302600_NS6detail15normal_iteratorINS8_10device_ptrItEEEESD_jNS1_19radix_merge_compareILb0ELb0EtNS0_19identity_decomposerEEEEE10hipError_tT0_T1_T2_jT3_P12ihipStream_tbPNSt15iterator_traitsISI_E10value_typeEPNSO_ISJ_E10value_typeEPSK_NS1_7vsmem_tEENKUlT_SI_SJ_SK_E_clISD_PtSD_S10_EESH_SX_SI_SJ_SK_EUlSX_E_NS1_11comp_targetILNS1_3genE9ELNS1_11target_archE1100ELNS1_3gpuE3ELNS1_3repE0EEENS1_48merge_mergepath_partition_config_static_selectorELNS0_4arch9wavefront6targetE1EEEvSJ_,@function
_ZN7rocprim17ROCPRIM_400000_NS6detail17trampoline_kernelINS0_14default_configENS1_38merge_sort_block_merge_config_selectorIttEEZZNS1_27merge_sort_block_merge_implIS3_N6thrust23THRUST_200600_302600_NS6detail15normal_iteratorINS8_10device_ptrItEEEESD_jNS1_19radix_merge_compareILb0ELb0EtNS0_19identity_decomposerEEEEE10hipError_tT0_T1_T2_jT3_P12ihipStream_tbPNSt15iterator_traitsISI_E10value_typeEPNSO_ISJ_E10value_typeEPSK_NS1_7vsmem_tEENKUlT_SI_SJ_SK_E_clISD_PtSD_S10_EESH_SX_SI_SJ_SK_EUlSX_E_NS1_11comp_targetILNS1_3genE9ELNS1_11target_archE1100ELNS1_3gpuE3ELNS1_3repE0EEENS1_48merge_mergepath_partition_config_static_selectorELNS0_4arch9wavefront6targetE1EEEvSJ_: ; @_ZN7rocprim17ROCPRIM_400000_NS6detail17trampoline_kernelINS0_14default_configENS1_38merge_sort_block_merge_config_selectorIttEEZZNS1_27merge_sort_block_merge_implIS3_N6thrust23THRUST_200600_302600_NS6detail15normal_iteratorINS8_10device_ptrItEEEESD_jNS1_19radix_merge_compareILb0ELb0EtNS0_19identity_decomposerEEEEE10hipError_tT0_T1_T2_jT3_P12ihipStream_tbPNSt15iterator_traitsISI_E10value_typeEPNSO_ISJ_E10value_typeEPSK_NS1_7vsmem_tEENKUlT_SI_SJ_SK_E_clISD_PtSD_S10_EESH_SX_SI_SJ_SK_EUlSX_E_NS1_11comp_targetILNS1_3genE9ELNS1_11target_archE1100ELNS1_3gpuE3ELNS1_3repE0EEENS1_48merge_mergepath_partition_config_static_selectorELNS0_4arch9wavefront6targetE1EEEvSJ_
; %bb.0:
	.section	.rodata,"a",@progbits
	.p2align	6, 0x0
	.amdhsa_kernel _ZN7rocprim17ROCPRIM_400000_NS6detail17trampoline_kernelINS0_14default_configENS1_38merge_sort_block_merge_config_selectorIttEEZZNS1_27merge_sort_block_merge_implIS3_N6thrust23THRUST_200600_302600_NS6detail15normal_iteratorINS8_10device_ptrItEEEESD_jNS1_19radix_merge_compareILb0ELb0EtNS0_19identity_decomposerEEEEE10hipError_tT0_T1_T2_jT3_P12ihipStream_tbPNSt15iterator_traitsISI_E10value_typeEPNSO_ISJ_E10value_typeEPSK_NS1_7vsmem_tEENKUlT_SI_SJ_SK_E_clISD_PtSD_S10_EESH_SX_SI_SJ_SK_EUlSX_E_NS1_11comp_targetILNS1_3genE9ELNS1_11target_archE1100ELNS1_3gpuE3ELNS1_3repE0EEENS1_48merge_mergepath_partition_config_static_selectorELNS0_4arch9wavefront6targetE1EEEvSJ_
		.amdhsa_group_segment_fixed_size 0
		.amdhsa_private_segment_fixed_size 0
		.amdhsa_kernarg_size 40
		.amdhsa_user_sgpr_count 2
		.amdhsa_user_sgpr_dispatch_ptr 0
		.amdhsa_user_sgpr_queue_ptr 0
		.amdhsa_user_sgpr_kernarg_segment_ptr 1
		.amdhsa_user_sgpr_dispatch_id 0
		.amdhsa_user_sgpr_kernarg_preload_length 0
		.amdhsa_user_sgpr_kernarg_preload_offset 0
		.amdhsa_user_sgpr_private_segment_size 0
		.amdhsa_uses_dynamic_stack 0
		.amdhsa_enable_private_segment 0
		.amdhsa_system_sgpr_workgroup_id_x 1
		.amdhsa_system_sgpr_workgroup_id_y 0
		.amdhsa_system_sgpr_workgroup_id_z 0
		.amdhsa_system_sgpr_workgroup_info 0
		.amdhsa_system_vgpr_workitem_id 0
		.amdhsa_next_free_vgpr 1
		.amdhsa_next_free_sgpr 0
		.amdhsa_accum_offset 4
		.amdhsa_reserve_vcc 0
		.amdhsa_float_round_mode_32 0
		.amdhsa_float_round_mode_16_64 0
		.amdhsa_float_denorm_mode_32 3
		.amdhsa_float_denorm_mode_16_64 3
		.amdhsa_dx10_clamp 1
		.amdhsa_ieee_mode 1
		.amdhsa_fp16_overflow 0
		.amdhsa_tg_split 0
		.amdhsa_exception_fp_ieee_invalid_op 0
		.amdhsa_exception_fp_denorm_src 0
		.amdhsa_exception_fp_ieee_div_zero 0
		.amdhsa_exception_fp_ieee_overflow 0
		.amdhsa_exception_fp_ieee_underflow 0
		.amdhsa_exception_fp_ieee_inexact 0
		.amdhsa_exception_int_div_zero 0
	.end_amdhsa_kernel
	.section	.text._ZN7rocprim17ROCPRIM_400000_NS6detail17trampoline_kernelINS0_14default_configENS1_38merge_sort_block_merge_config_selectorIttEEZZNS1_27merge_sort_block_merge_implIS3_N6thrust23THRUST_200600_302600_NS6detail15normal_iteratorINS8_10device_ptrItEEEESD_jNS1_19radix_merge_compareILb0ELb0EtNS0_19identity_decomposerEEEEE10hipError_tT0_T1_T2_jT3_P12ihipStream_tbPNSt15iterator_traitsISI_E10value_typeEPNSO_ISJ_E10value_typeEPSK_NS1_7vsmem_tEENKUlT_SI_SJ_SK_E_clISD_PtSD_S10_EESH_SX_SI_SJ_SK_EUlSX_E_NS1_11comp_targetILNS1_3genE9ELNS1_11target_archE1100ELNS1_3gpuE3ELNS1_3repE0EEENS1_48merge_mergepath_partition_config_static_selectorELNS0_4arch9wavefront6targetE1EEEvSJ_,"axG",@progbits,_ZN7rocprim17ROCPRIM_400000_NS6detail17trampoline_kernelINS0_14default_configENS1_38merge_sort_block_merge_config_selectorIttEEZZNS1_27merge_sort_block_merge_implIS3_N6thrust23THRUST_200600_302600_NS6detail15normal_iteratorINS8_10device_ptrItEEEESD_jNS1_19radix_merge_compareILb0ELb0EtNS0_19identity_decomposerEEEEE10hipError_tT0_T1_T2_jT3_P12ihipStream_tbPNSt15iterator_traitsISI_E10value_typeEPNSO_ISJ_E10value_typeEPSK_NS1_7vsmem_tEENKUlT_SI_SJ_SK_E_clISD_PtSD_S10_EESH_SX_SI_SJ_SK_EUlSX_E_NS1_11comp_targetILNS1_3genE9ELNS1_11target_archE1100ELNS1_3gpuE3ELNS1_3repE0EEENS1_48merge_mergepath_partition_config_static_selectorELNS0_4arch9wavefront6targetE1EEEvSJ_,comdat
.Lfunc_end872:
	.size	_ZN7rocprim17ROCPRIM_400000_NS6detail17trampoline_kernelINS0_14default_configENS1_38merge_sort_block_merge_config_selectorIttEEZZNS1_27merge_sort_block_merge_implIS3_N6thrust23THRUST_200600_302600_NS6detail15normal_iteratorINS8_10device_ptrItEEEESD_jNS1_19radix_merge_compareILb0ELb0EtNS0_19identity_decomposerEEEEE10hipError_tT0_T1_T2_jT3_P12ihipStream_tbPNSt15iterator_traitsISI_E10value_typeEPNSO_ISJ_E10value_typeEPSK_NS1_7vsmem_tEENKUlT_SI_SJ_SK_E_clISD_PtSD_S10_EESH_SX_SI_SJ_SK_EUlSX_E_NS1_11comp_targetILNS1_3genE9ELNS1_11target_archE1100ELNS1_3gpuE3ELNS1_3repE0EEENS1_48merge_mergepath_partition_config_static_selectorELNS0_4arch9wavefront6targetE1EEEvSJ_, .Lfunc_end872-_ZN7rocprim17ROCPRIM_400000_NS6detail17trampoline_kernelINS0_14default_configENS1_38merge_sort_block_merge_config_selectorIttEEZZNS1_27merge_sort_block_merge_implIS3_N6thrust23THRUST_200600_302600_NS6detail15normal_iteratorINS8_10device_ptrItEEEESD_jNS1_19radix_merge_compareILb0ELb0EtNS0_19identity_decomposerEEEEE10hipError_tT0_T1_T2_jT3_P12ihipStream_tbPNSt15iterator_traitsISI_E10value_typeEPNSO_ISJ_E10value_typeEPSK_NS1_7vsmem_tEENKUlT_SI_SJ_SK_E_clISD_PtSD_S10_EESH_SX_SI_SJ_SK_EUlSX_E_NS1_11comp_targetILNS1_3genE9ELNS1_11target_archE1100ELNS1_3gpuE3ELNS1_3repE0EEENS1_48merge_mergepath_partition_config_static_selectorELNS0_4arch9wavefront6targetE1EEEvSJ_
                                        ; -- End function
	.set _ZN7rocprim17ROCPRIM_400000_NS6detail17trampoline_kernelINS0_14default_configENS1_38merge_sort_block_merge_config_selectorIttEEZZNS1_27merge_sort_block_merge_implIS3_N6thrust23THRUST_200600_302600_NS6detail15normal_iteratorINS8_10device_ptrItEEEESD_jNS1_19radix_merge_compareILb0ELb0EtNS0_19identity_decomposerEEEEE10hipError_tT0_T1_T2_jT3_P12ihipStream_tbPNSt15iterator_traitsISI_E10value_typeEPNSO_ISJ_E10value_typeEPSK_NS1_7vsmem_tEENKUlT_SI_SJ_SK_E_clISD_PtSD_S10_EESH_SX_SI_SJ_SK_EUlSX_E_NS1_11comp_targetILNS1_3genE9ELNS1_11target_archE1100ELNS1_3gpuE3ELNS1_3repE0EEENS1_48merge_mergepath_partition_config_static_selectorELNS0_4arch9wavefront6targetE1EEEvSJ_.num_vgpr, 0
	.set _ZN7rocprim17ROCPRIM_400000_NS6detail17trampoline_kernelINS0_14default_configENS1_38merge_sort_block_merge_config_selectorIttEEZZNS1_27merge_sort_block_merge_implIS3_N6thrust23THRUST_200600_302600_NS6detail15normal_iteratorINS8_10device_ptrItEEEESD_jNS1_19radix_merge_compareILb0ELb0EtNS0_19identity_decomposerEEEEE10hipError_tT0_T1_T2_jT3_P12ihipStream_tbPNSt15iterator_traitsISI_E10value_typeEPNSO_ISJ_E10value_typeEPSK_NS1_7vsmem_tEENKUlT_SI_SJ_SK_E_clISD_PtSD_S10_EESH_SX_SI_SJ_SK_EUlSX_E_NS1_11comp_targetILNS1_3genE9ELNS1_11target_archE1100ELNS1_3gpuE3ELNS1_3repE0EEENS1_48merge_mergepath_partition_config_static_selectorELNS0_4arch9wavefront6targetE1EEEvSJ_.num_agpr, 0
	.set _ZN7rocprim17ROCPRIM_400000_NS6detail17trampoline_kernelINS0_14default_configENS1_38merge_sort_block_merge_config_selectorIttEEZZNS1_27merge_sort_block_merge_implIS3_N6thrust23THRUST_200600_302600_NS6detail15normal_iteratorINS8_10device_ptrItEEEESD_jNS1_19radix_merge_compareILb0ELb0EtNS0_19identity_decomposerEEEEE10hipError_tT0_T1_T2_jT3_P12ihipStream_tbPNSt15iterator_traitsISI_E10value_typeEPNSO_ISJ_E10value_typeEPSK_NS1_7vsmem_tEENKUlT_SI_SJ_SK_E_clISD_PtSD_S10_EESH_SX_SI_SJ_SK_EUlSX_E_NS1_11comp_targetILNS1_3genE9ELNS1_11target_archE1100ELNS1_3gpuE3ELNS1_3repE0EEENS1_48merge_mergepath_partition_config_static_selectorELNS0_4arch9wavefront6targetE1EEEvSJ_.numbered_sgpr, 0
	.set _ZN7rocprim17ROCPRIM_400000_NS6detail17trampoline_kernelINS0_14default_configENS1_38merge_sort_block_merge_config_selectorIttEEZZNS1_27merge_sort_block_merge_implIS3_N6thrust23THRUST_200600_302600_NS6detail15normal_iteratorINS8_10device_ptrItEEEESD_jNS1_19radix_merge_compareILb0ELb0EtNS0_19identity_decomposerEEEEE10hipError_tT0_T1_T2_jT3_P12ihipStream_tbPNSt15iterator_traitsISI_E10value_typeEPNSO_ISJ_E10value_typeEPSK_NS1_7vsmem_tEENKUlT_SI_SJ_SK_E_clISD_PtSD_S10_EESH_SX_SI_SJ_SK_EUlSX_E_NS1_11comp_targetILNS1_3genE9ELNS1_11target_archE1100ELNS1_3gpuE3ELNS1_3repE0EEENS1_48merge_mergepath_partition_config_static_selectorELNS0_4arch9wavefront6targetE1EEEvSJ_.num_named_barrier, 0
	.set _ZN7rocprim17ROCPRIM_400000_NS6detail17trampoline_kernelINS0_14default_configENS1_38merge_sort_block_merge_config_selectorIttEEZZNS1_27merge_sort_block_merge_implIS3_N6thrust23THRUST_200600_302600_NS6detail15normal_iteratorINS8_10device_ptrItEEEESD_jNS1_19radix_merge_compareILb0ELb0EtNS0_19identity_decomposerEEEEE10hipError_tT0_T1_T2_jT3_P12ihipStream_tbPNSt15iterator_traitsISI_E10value_typeEPNSO_ISJ_E10value_typeEPSK_NS1_7vsmem_tEENKUlT_SI_SJ_SK_E_clISD_PtSD_S10_EESH_SX_SI_SJ_SK_EUlSX_E_NS1_11comp_targetILNS1_3genE9ELNS1_11target_archE1100ELNS1_3gpuE3ELNS1_3repE0EEENS1_48merge_mergepath_partition_config_static_selectorELNS0_4arch9wavefront6targetE1EEEvSJ_.private_seg_size, 0
	.set _ZN7rocprim17ROCPRIM_400000_NS6detail17trampoline_kernelINS0_14default_configENS1_38merge_sort_block_merge_config_selectorIttEEZZNS1_27merge_sort_block_merge_implIS3_N6thrust23THRUST_200600_302600_NS6detail15normal_iteratorINS8_10device_ptrItEEEESD_jNS1_19radix_merge_compareILb0ELb0EtNS0_19identity_decomposerEEEEE10hipError_tT0_T1_T2_jT3_P12ihipStream_tbPNSt15iterator_traitsISI_E10value_typeEPNSO_ISJ_E10value_typeEPSK_NS1_7vsmem_tEENKUlT_SI_SJ_SK_E_clISD_PtSD_S10_EESH_SX_SI_SJ_SK_EUlSX_E_NS1_11comp_targetILNS1_3genE9ELNS1_11target_archE1100ELNS1_3gpuE3ELNS1_3repE0EEENS1_48merge_mergepath_partition_config_static_selectorELNS0_4arch9wavefront6targetE1EEEvSJ_.uses_vcc, 0
	.set _ZN7rocprim17ROCPRIM_400000_NS6detail17trampoline_kernelINS0_14default_configENS1_38merge_sort_block_merge_config_selectorIttEEZZNS1_27merge_sort_block_merge_implIS3_N6thrust23THRUST_200600_302600_NS6detail15normal_iteratorINS8_10device_ptrItEEEESD_jNS1_19radix_merge_compareILb0ELb0EtNS0_19identity_decomposerEEEEE10hipError_tT0_T1_T2_jT3_P12ihipStream_tbPNSt15iterator_traitsISI_E10value_typeEPNSO_ISJ_E10value_typeEPSK_NS1_7vsmem_tEENKUlT_SI_SJ_SK_E_clISD_PtSD_S10_EESH_SX_SI_SJ_SK_EUlSX_E_NS1_11comp_targetILNS1_3genE9ELNS1_11target_archE1100ELNS1_3gpuE3ELNS1_3repE0EEENS1_48merge_mergepath_partition_config_static_selectorELNS0_4arch9wavefront6targetE1EEEvSJ_.uses_flat_scratch, 0
	.set _ZN7rocprim17ROCPRIM_400000_NS6detail17trampoline_kernelINS0_14default_configENS1_38merge_sort_block_merge_config_selectorIttEEZZNS1_27merge_sort_block_merge_implIS3_N6thrust23THRUST_200600_302600_NS6detail15normal_iteratorINS8_10device_ptrItEEEESD_jNS1_19radix_merge_compareILb0ELb0EtNS0_19identity_decomposerEEEEE10hipError_tT0_T1_T2_jT3_P12ihipStream_tbPNSt15iterator_traitsISI_E10value_typeEPNSO_ISJ_E10value_typeEPSK_NS1_7vsmem_tEENKUlT_SI_SJ_SK_E_clISD_PtSD_S10_EESH_SX_SI_SJ_SK_EUlSX_E_NS1_11comp_targetILNS1_3genE9ELNS1_11target_archE1100ELNS1_3gpuE3ELNS1_3repE0EEENS1_48merge_mergepath_partition_config_static_selectorELNS0_4arch9wavefront6targetE1EEEvSJ_.has_dyn_sized_stack, 0
	.set _ZN7rocprim17ROCPRIM_400000_NS6detail17trampoline_kernelINS0_14default_configENS1_38merge_sort_block_merge_config_selectorIttEEZZNS1_27merge_sort_block_merge_implIS3_N6thrust23THRUST_200600_302600_NS6detail15normal_iteratorINS8_10device_ptrItEEEESD_jNS1_19radix_merge_compareILb0ELb0EtNS0_19identity_decomposerEEEEE10hipError_tT0_T1_T2_jT3_P12ihipStream_tbPNSt15iterator_traitsISI_E10value_typeEPNSO_ISJ_E10value_typeEPSK_NS1_7vsmem_tEENKUlT_SI_SJ_SK_E_clISD_PtSD_S10_EESH_SX_SI_SJ_SK_EUlSX_E_NS1_11comp_targetILNS1_3genE9ELNS1_11target_archE1100ELNS1_3gpuE3ELNS1_3repE0EEENS1_48merge_mergepath_partition_config_static_selectorELNS0_4arch9wavefront6targetE1EEEvSJ_.has_recursion, 0
	.set _ZN7rocprim17ROCPRIM_400000_NS6detail17trampoline_kernelINS0_14default_configENS1_38merge_sort_block_merge_config_selectorIttEEZZNS1_27merge_sort_block_merge_implIS3_N6thrust23THRUST_200600_302600_NS6detail15normal_iteratorINS8_10device_ptrItEEEESD_jNS1_19radix_merge_compareILb0ELb0EtNS0_19identity_decomposerEEEEE10hipError_tT0_T1_T2_jT3_P12ihipStream_tbPNSt15iterator_traitsISI_E10value_typeEPNSO_ISJ_E10value_typeEPSK_NS1_7vsmem_tEENKUlT_SI_SJ_SK_E_clISD_PtSD_S10_EESH_SX_SI_SJ_SK_EUlSX_E_NS1_11comp_targetILNS1_3genE9ELNS1_11target_archE1100ELNS1_3gpuE3ELNS1_3repE0EEENS1_48merge_mergepath_partition_config_static_selectorELNS0_4arch9wavefront6targetE1EEEvSJ_.has_indirect_call, 0
	.section	.AMDGPU.csdata,"",@progbits
; Kernel info:
; codeLenInByte = 0
; TotalNumSgprs: 6
; NumVgprs: 0
; NumAgprs: 0
; TotalNumVgprs: 0
; ScratchSize: 0
; MemoryBound: 0
; FloatMode: 240
; IeeeMode: 1
; LDSByteSize: 0 bytes/workgroup (compile time only)
; SGPRBlocks: 0
; VGPRBlocks: 0
; NumSGPRsForWavesPerEU: 6
; NumVGPRsForWavesPerEU: 1
; AccumOffset: 4
; Occupancy: 8
; WaveLimiterHint : 0
; COMPUTE_PGM_RSRC2:SCRATCH_EN: 0
; COMPUTE_PGM_RSRC2:USER_SGPR: 2
; COMPUTE_PGM_RSRC2:TRAP_HANDLER: 0
; COMPUTE_PGM_RSRC2:TGID_X_EN: 1
; COMPUTE_PGM_RSRC2:TGID_Y_EN: 0
; COMPUTE_PGM_RSRC2:TGID_Z_EN: 0
; COMPUTE_PGM_RSRC2:TIDIG_COMP_CNT: 0
; COMPUTE_PGM_RSRC3_GFX90A:ACCUM_OFFSET: 0
; COMPUTE_PGM_RSRC3_GFX90A:TG_SPLIT: 0
	.section	.text._ZN7rocprim17ROCPRIM_400000_NS6detail17trampoline_kernelINS0_14default_configENS1_38merge_sort_block_merge_config_selectorIttEEZZNS1_27merge_sort_block_merge_implIS3_N6thrust23THRUST_200600_302600_NS6detail15normal_iteratorINS8_10device_ptrItEEEESD_jNS1_19radix_merge_compareILb0ELb0EtNS0_19identity_decomposerEEEEE10hipError_tT0_T1_T2_jT3_P12ihipStream_tbPNSt15iterator_traitsISI_E10value_typeEPNSO_ISJ_E10value_typeEPSK_NS1_7vsmem_tEENKUlT_SI_SJ_SK_E_clISD_PtSD_S10_EESH_SX_SI_SJ_SK_EUlSX_E_NS1_11comp_targetILNS1_3genE8ELNS1_11target_archE1030ELNS1_3gpuE2ELNS1_3repE0EEENS1_48merge_mergepath_partition_config_static_selectorELNS0_4arch9wavefront6targetE1EEEvSJ_,"axG",@progbits,_ZN7rocprim17ROCPRIM_400000_NS6detail17trampoline_kernelINS0_14default_configENS1_38merge_sort_block_merge_config_selectorIttEEZZNS1_27merge_sort_block_merge_implIS3_N6thrust23THRUST_200600_302600_NS6detail15normal_iteratorINS8_10device_ptrItEEEESD_jNS1_19radix_merge_compareILb0ELb0EtNS0_19identity_decomposerEEEEE10hipError_tT0_T1_T2_jT3_P12ihipStream_tbPNSt15iterator_traitsISI_E10value_typeEPNSO_ISJ_E10value_typeEPSK_NS1_7vsmem_tEENKUlT_SI_SJ_SK_E_clISD_PtSD_S10_EESH_SX_SI_SJ_SK_EUlSX_E_NS1_11comp_targetILNS1_3genE8ELNS1_11target_archE1030ELNS1_3gpuE2ELNS1_3repE0EEENS1_48merge_mergepath_partition_config_static_selectorELNS0_4arch9wavefront6targetE1EEEvSJ_,comdat
	.protected	_ZN7rocprim17ROCPRIM_400000_NS6detail17trampoline_kernelINS0_14default_configENS1_38merge_sort_block_merge_config_selectorIttEEZZNS1_27merge_sort_block_merge_implIS3_N6thrust23THRUST_200600_302600_NS6detail15normal_iteratorINS8_10device_ptrItEEEESD_jNS1_19radix_merge_compareILb0ELb0EtNS0_19identity_decomposerEEEEE10hipError_tT0_T1_T2_jT3_P12ihipStream_tbPNSt15iterator_traitsISI_E10value_typeEPNSO_ISJ_E10value_typeEPSK_NS1_7vsmem_tEENKUlT_SI_SJ_SK_E_clISD_PtSD_S10_EESH_SX_SI_SJ_SK_EUlSX_E_NS1_11comp_targetILNS1_3genE8ELNS1_11target_archE1030ELNS1_3gpuE2ELNS1_3repE0EEENS1_48merge_mergepath_partition_config_static_selectorELNS0_4arch9wavefront6targetE1EEEvSJ_ ; -- Begin function _ZN7rocprim17ROCPRIM_400000_NS6detail17trampoline_kernelINS0_14default_configENS1_38merge_sort_block_merge_config_selectorIttEEZZNS1_27merge_sort_block_merge_implIS3_N6thrust23THRUST_200600_302600_NS6detail15normal_iteratorINS8_10device_ptrItEEEESD_jNS1_19radix_merge_compareILb0ELb0EtNS0_19identity_decomposerEEEEE10hipError_tT0_T1_T2_jT3_P12ihipStream_tbPNSt15iterator_traitsISI_E10value_typeEPNSO_ISJ_E10value_typeEPSK_NS1_7vsmem_tEENKUlT_SI_SJ_SK_E_clISD_PtSD_S10_EESH_SX_SI_SJ_SK_EUlSX_E_NS1_11comp_targetILNS1_3genE8ELNS1_11target_archE1030ELNS1_3gpuE2ELNS1_3repE0EEENS1_48merge_mergepath_partition_config_static_selectorELNS0_4arch9wavefront6targetE1EEEvSJ_
	.globl	_ZN7rocprim17ROCPRIM_400000_NS6detail17trampoline_kernelINS0_14default_configENS1_38merge_sort_block_merge_config_selectorIttEEZZNS1_27merge_sort_block_merge_implIS3_N6thrust23THRUST_200600_302600_NS6detail15normal_iteratorINS8_10device_ptrItEEEESD_jNS1_19radix_merge_compareILb0ELb0EtNS0_19identity_decomposerEEEEE10hipError_tT0_T1_T2_jT3_P12ihipStream_tbPNSt15iterator_traitsISI_E10value_typeEPNSO_ISJ_E10value_typeEPSK_NS1_7vsmem_tEENKUlT_SI_SJ_SK_E_clISD_PtSD_S10_EESH_SX_SI_SJ_SK_EUlSX_E_NS1_11comp_targetILNS1_3genE8ELNS1_11target_archE1030ELNS1_3gpuE2ELNS1_3repE0EEENS1_48merge_mergepath_partition_config_static_selectorELNS0_4arch9wavefront6targetE1EEEvSJ_
	.p2align	8
	.type	_ZN7rocprim17ROCPRIM_400000_NS6detail17trampoline_kernelINS0_14default_configENS1_38merge_sort_block_merge_config_selectorIttEEZZNS1_27merge_sort_block_merge_implIS3_N6thrust23THRUST_200600_302600_NS6detail15normal_iteratorINS8_10device_ptrItEEEESD_jNS1_19radix_merge_compareILb0ELb0EtNS0_19identity_decomposerEEEEE10hipError_tT0_T1_T2_jT3_P12ihipStream_tbPNSt15iterator_traitsISI_E10value_typeEPNSO_ISJ_E10value_typeEPSK_NS1_7vsmem_tEENKUlT_SI_SJ_SK_E_clISD_PtSD_S10_EESH_SX_SI_SJ_SK_EUlSX_E_NS1_11comp_targetILNS1_3genE8ELNS1_11target_archE1030ELNS1_3gpuE2ELNS1_3repE0EEENS1_48merge_mergepath_partition_config_static_selectorELNS0_4arch9wavefront6targetE1EEEvSJ_,@function
_ZN7rocprim17ROCPRIM_400000_NS6detail17trampoline_kernelINS0_14default_configENS1_38merge_sort_block_merge_config_selectorIttEEZZNS1_27merge_sort_block_merge_implIS3_N6thrust23THRUST_200600_302600_NS6detail15normal_iteratorINS8_10device_ptrItEEEESD_jNS1_19radix_merge_compareILb0ELb0EtNS0_19identity_decomposerEEEEE10hipError_tT0_T1_T2_jT3_P12ihipStream_tbPNSt15iterator_traitsISI_E10value_typeEPNSO_ISJ_E10value_typeEPSK_NS1_7vsmem_tEENKUlT_SI_SJ_SK_E_clISD_PtSD_S10_EESH_SX_SI_SJ_SK_EUlSX_E_NS1_11comp_targetILNS1_3genE8ELNS1_11target_archE1030ELNS1_3gpuE2ELNS1_3repE0EEENS1_48merge_mergepath_partition_config_static_selectorELNS0_4arch9wavefront6targetE1EEEvSJ_: ; @_ZN7rocprim17ROCPRIM_400000_NS6detail17trampoline_kernelINS0_14default_configENS1_38merge_sort_block_merge_config_selectorIttEEZZNS1_27merge_sort_block_merge_implIS3_N6thrust23THRUST_200600_302600_NS6detail15normal_iteratorINS8_10device_ptrItEEEESD_jNS1_19radix_merge_compareILb0ELb0EtNS0_19identity_decomposerEEEEE10hipError_tT0_T1_T2_jT3_P12ihipStream_tbPNSt15iterator_traitsISI_E10value_typeEPNSO_ISJ_E10value_typeEPSK_NS1_7vsmem_tEENKUlT_SI_SJ_SK_E_clISD_PtSD_S10_EESH_SX_SI_SJ_SK_EUlSX_E_NS1_11comp_targetILNS1_3genE8ELNS1_11target_archE1030ELNS1_3gpuE2ELNS1_3repE0EEENS1_48merge_mergepath_partition_config_static_selectorELNS0_4arch9wavefront6targetE1EEEvSJ_
; %bb.0:
	.section	.rodata,"a",@progbits
	.p2align	6, 0x0
	.amdhsa_kernel _ZN7rocprim17ROCPRIM_400000_NS6detail17trampoline_kernelINS0_14default_configENS1_38merge_sort_block_merge_config_selectorIttEEZZNS1_27merge_sort_block_merge_implIS3_N6thrust23THRUST_200600_302600_NS6detail15normal_iteratorINS8_10device_ptrItEEEESD_jNS1_19radix_merge_compareILb0ELb0EtNS0_19identity_decomposerEEEEE10hipError_tT0_T1_T2_jT3_P12ihipStream_tbPNSt15iterator_traitsISI_E10value_typeEPNSO_ISJ_E10value_typeEPSK_NS1_7vsmem_tEENKUlT_SI_SJ_SK_E_clISD_PtSD_S10_EESH_SX_SI_SJ_SK_EUlSX_E_NS1_11comp_targetILNS1_3genE8ELNS1_11target_archE1030ELNS1_3gpuE2ELNS1_3repE0EEENS1_48merge_mergepath_partition_config_static_selectorELNS0_4arch9wavefront6targetE1EEEvSJ_
		.amdhsa_group_segment_fixed_size 0
		.amdhsa_private_segment_fixed_size 0
		.amdhsa_kernarg_size 40
		.amdhsa_user_sgpr_count 2
		.amdhsa_user_sgpr_dispatch_ptr 0
		.amdhsa_user_sgpr_queue_ptr 0
		.amdhsa_user_sgpr_kernarg_segment_ptr 1
		.amdhsa_user_sgpr_dispatch_id 0
		.amdhsa_user_sgpr_kernarg_preload_length 0
		.amdhsa_user_sgpr_kernarg_preload_offset 0
		.amdhsa_user_sgpr_private_segment_size 0
		.amdhsa_uses_dynamic_stack 0
		.amdhsa_enable_private_segment 0
		.amdhsa_system_sgpr_workgroup_id_x 1
		.amdhsa_system_sgpr_workgroup_id_y 0
		.amdhsa_system_sgpr_workgroup_id_z 0
		.amdhsa_system_sgpr_workgroup_info 0
		.amdhsa_system_vgpr_workitem_id 0
		.amdhsa_next_free_vgpr 1
		.amdhsa_next_free_sgpr 0
		.amdhsa_accum_offset 4
		.amdhsa_reserve_vcc 0
		.amdhsa_float_round_mode_32 0
		.amdhsa_float_round_mode_16_64 0
		.amdhsa_float_denorm_mode_32 3
		.amdhsa_float_denorm_mode_16_64 3
		.amdhsa_dx10_clamp 1
		.amdhsa_ieee_mode 1
		.amdhsa_fp16_overflow 0
		.amdhsa_tg_split 0
		.amdhsa_exception_fp_ieee_invalid_op 0
		.amdhsa_exception_fp_denorm_src 0
		.amdhsa_exception_fp_ieee_div_zero 0
		.amdhsa_exception_fp_ieee_overflow 0
		.amdhsa_exception_fp_ieee_underflow 0
		.amdhsa_exception_fp_ieee_inexact 0
		.amdhsa_exception_int_div_zero 0
	.end_amdhsa_kernel
	.section	.text._ZN7rocprim17ROCPRIM_400000_NS6detail17trampoline_kernelINS0_14default_configENS1_38merge_sort_block_merge_config_selectorIttEEZZNS1_27merge_sort_block_merge_implIS3_N6thrust23THRUST_200600_302600_NS6detail15normal_iteratorINS8_10device_ptrItEEEESD_jNS1_19radix_merge_compareILb0ELb0EtNS0_19identity_decomposerEEEEE10hipError_tT0_T1_T2_jT3_P12ihipStream_tbPNSt15iterator_traitsISI_E10value_typeEPNSO_ISJ_E10value_typeEPSK_NS1_7vsmem_tEENKUlT_SI_SJ_SK_E_clISD_PtSD_S10_EESH_SX_SI_SJ_SK_EUlSX_E_NS1_11comp_targetILNS1_3genE8ELNS1_11target_archE1030ELNS1_3gpuE2ELNS1_3repE0EEENS1_48merge_mergepath_partition_config_static_selectorELNS0_4arch9wavefront6targetE1EEEvSJ_,"axG",@progbits,_ZN7rocprim17ROCPRIM_400000_NS6detail17trampoline_kernelINS0_14default_configENS1_38merge_sort_block_merge_config_selectorIttEEZZNS1_27merge_sort_block_merge_implIS3_N6thrust23THRUST_200600_302600_NS6detail15normal_iteratorINS8_10device_ptrItEEEESD_jNS1_19radix_merge_compareILb0ELb0EtNS0_19identity_decomposerEEEEE10hipError_tT0_T1_T2_jT3_P12ihipStream_tbPNSt15iterator_traitsISI_E10value_typeEPNSO_ISJ_E10value_typeEPSK_NS1_7vsmem_tEENKUlT_SI_SJ_SK_E_clISD_PtSD_S10_EESH_SX_SI_SJ_SK_EUlSX_E_NS1_11comp_targetILNS1_3genE8ELNS1_11target_archE1030ELNS1_3gpuE2ELNS1_3repE0EEENS1_48merge_mergepath_partition_config_static_selectorELNS0_4arch9wavefront6targetE1EEEvSJ_,comdat
.Lfunc_end873:
	.size	_ZN7rocprim17ROCPRIM_400000_NS6detail17trampoline_kernelINS0_14default_configENS1_38merge_sort_block_merge_config_selectorIttEEZZNS1_27merge_sort_block_merge_implIS3_N6thrust23THRUST_200600_302600_NS6detail15normal_iteratorINS8_10device_ptrItEEEESD_jNS1_19radix_merge_compareILb0ELb0EtNS0_19identity_decomposerEEEEE10hipError_tT0_T1_T2_jT3_P12ihipStream_tbPNSt15iterator_traitsISI_E10value_typeEPNSO_ISJ_E10value_typeEPSK_NS1_7vsmem_tEENKUlT_SI_SJ_SK_E_clISD_PtSD_S10_EESH_SX_SI_SJ_SK_EUlSX_E_NS1_11comp_targetILNS1_3genE8ELNS1_11target_archE1030ELNS1_3gpuE2ELNS1_3repE0EEENS1_48merge_mergepath_partition_config_static_selectorELNS0_4arch9wavefront6targetE1EEEvSJ_, .Lfunc_end873-_ZN7rocprim17ROCPRIM_400000_NS6detail17trampoline_kernelINS0_14default_configENS1_38merge_sort_block_merge_config_selectorIttEEZZNS1_27merge_sort_block_merge_implIS3_N6thrust23THRUST_200600_302600_NS6detail15normal_iteratorINS8_10device_ptrItEEEESD_jNS1_19radix_merge_compareILb0ELb0EtNS0_19identity_decomposerEEEEE10hipError_tT0_T1_T2_jT3_P12ihipStream_tbPNSt15iterator_traitsISI_E10value_typeEPNSO_ISJ_E10value_typeEPSK_NS1_7vsmem_tEENKUlT_SI_SJ_SK_E_clISD_PtSD_S10_EESH_SX_SI_SJ_SK_EUlSX_E_NS1_11comp_targetILNS1_3genE8ELNS1_11target_archE1030ELNS1_3gpuE2ELNS1_3repE0EEENS1_48merge_mergepath_partition_config_static_selectorELNS0_4arch9wavefront6targetE1EEEvSJ_
                                        ; -- End function
	.set _ZN7rocprim17ROCPRIM_400000_NS6detail17trampoline_kernelINS0_14default_configENS1_38merge_sort_block_merge_config_selectorIttEEZZNS1_27merge_sort_block_merge_implIS3_N6thrust23THRUST_200600_302600_NS6detail15normal_iteratorINS8_10device_ptrItEEEESD_jNS1_19radix_merge_compareILb0ELb0EtNS0_19identity_decomposerEEEEE10hipError_tT0_T1_T2_jT3_P12ihipStream_tbPNSt15iterator_traitsISI_E10value_typeEPNSO_ISJ_E10value_typeEPSK_NS1_7vsmem_tEENKUlT_SI_SJ_SK_E_clISD_PtSD_S10_EESH_SX_SI_SJ_SK_EUlSX_E_NS1_11comp_targetILNS1_3genE8ELNS1_11target_archE1030ELNS1_3gpuE2ELNS1_3repE0EEENS1_48merge_mergepath_partition_config_static_selectorELNS0_4arch9wavefront6targetE1EEEvSJ_.num_vgpr, 0
	.set _ZN7rocprim17ROCPRIM_400000_NS6detail17trampoline_kernelINS0_14default_configENS1_38merge_sort_block_merge_config_selectorIttEEZZNS1_27merge_sort_block_merge_implIS3_N6thrust23THRUST_200600_302600_NS6detail15normal_iteratorINS8_10device_ptrItEEEESD_jNS1_19radix_merge_compareILb0ELb0EtNS0_19identity_decomposerEEEEE10hipError_tT0_T1_T2_jT3_P12ihipStream_tbPNSt15iterator_traitsISI_E10value_typeEPNSO_ISJ_E10value_typeEPSK_NS1_7vsmem_tEENKUlT_SI_SJ_SK_E_clISD_PtSD_S10_EESH_SX_SI_SJ_SK_EUlSX_E_NS1_11comp_targetILNS1_3genE8ELNS1_11target_archE1030ELNS1_3gpuE2ELNS1_3repE0EEENS1_48merge_mergepath_partition_config_static_selectorELNS0_4arch9wavefront6targetE1EEEvSJ_.num_agpr, 0
	.set _ZN7rocprim17ROCPRIM_400000_NS6detail17trampoline_kernelINS0_14default_configENS1_38merge_sort_block_merge_config_selectorIttEEZZNS1_27merge_sort_block_merge_implIS3_N6thrust23THRUST_200600_302600_NS6detail15normal_iteratorINS8_10device_ptrItEEEESD_jNS1_19radix_merge_compareILb0ELb0EtNS0_19identity_decomposerEEEEE10hipError_tT0_T1_T2_jT3_P12ihipStream_tbPNSt15iterator_traitsISI_E10value_typeEPNSO_ISJ_E10value_typeEPSK_NS1_7vsmem_tEENKUlT_SI_SJ_SK_E_clISD_PtSD_S10_EESH_SX_SI_SJ_SK_EUlSX_E_NS1_11comp_targetILNS1_3genE8ELNS1_11target_archE1030ELNS1_3gpuE2ELNS1_3repE0EEENS1_48merge_mergepath_partition_config_static_selectorELNS0_4arch9wavefront6targetE1EEEvSJ_.numbered_sgpr, 0
	.set _ZN7rocprim17ROCPRIM_400000_NS6detail17trampoline_kernelINS0_14default_configENS1_38merge_sort_block_merge_config_selectorIttEEZZNS1_27merge_sort_block_merge_implIS3_N6thrust23THRUST_200600_302600_NS6detail15normal_iteratorINS8_10device_ptrItEEEESD_jNS1_19radix_merge_compareILb0ELb0EtNS0_19identity_decomposerEEEEE10hipError_tT0_T1_T2_jT3_P12ihipStream_tbPNSt15iterator_traitsISI_E10value_typeEPNSO_ISJ_E10value_typeEPSK_NS1_7vsmem_tEENKUlT_SI_SJ_SK_E_clISD_PtSD_S10_EESH_SX_SI_SJ_SK_EUlSX_E_NS1_11comp_targetILNS1_3genE8ELNS1_11target_archE1030ELNS1_3gpuE2ELNS1_3repE0EEENS1_48merge_mergepath_partition_config_static_selectorELNS0_4arch9wavefront6targetE1EEEvSJ_.num_named_barrier, 0
	.set _ZN7rocprim17ROCPRIM_400000_NS6detail17trampoline_kernelINS0_14default_configENS1_38merge_sort_block_merge_config_selectorIttEEZZNS1_27merge_sort_block_merge_implIS3_N6thrust23THRUST_200600_302600_NS6detail15normal_iteratorINS8_10device_ptrItEEEESD_jNS1_19radix_merge_compareILb0ELb0EtNS0_19identity_decomposerEEEEE10hipError_tT0_T1_T2_jT3_P12ihipStream_tbPNSt15iterator_traitsISI_E10value_typeEPNSO_ISJ_E10value_typeEPSK_NS1_7vsmem_tEENKUlT_SI_SJ_SK_E_clISD_PtSD_S10_EESH_SX_SI_SJ_SK_EUlSX_E_NS1_11comp_targetILNS1_3genE8ELNS1_11target_archE1030ELNS1_3gpuE2ELNS1_3repE0EEENS1_48merge_mergepath_partition_config_static_selectorELNS0_4arch9wavefront6targetE1EEEvSJ_.private_seg_size, 0
	.set _ZN7rocprim17ROCPRIM_400000_NS6detail17trampoline_kernelINS0_14default_configENS1_38merge_sort_block_merge_config_selectorIttEEZZNS1_27merge_sort_block_merge_implIS3_N6thrust23THRUST_200600_302600_NS6detail15normal_iteratorINS8_10device_ptrItEEEESD_jNS1_19radix_merge_compareILb0ELb0EtNS0_19identity_decomposerEEEEE10hipError_tT0_T1_T2_jT3_P12ihipStream_tbPNSt15iterator_traitsISI_E10value_typeEPNSO_ISJ_E10value_typeEPSK_NS1_7vsmem_tEENKUlT_SI_SJ_SK_E_clISD_PtSD_S10_EESH_SX_SI_SJ_SK_EUlSX_E_NS1_11comp_targetILNS1_3genE8ELNS1_11target_archE1030ELNS1_3gpuE2ELNS1_3repE0EEENS1_48merge_mergepath_partition_config_static_selectorELNS0_4arch9wavefront6targetE1EEEvSJ_.uses_vcc, 0
	.set _ZN7rocprim17ROCPRIM_400000_NS6detail17trampoline_kernelINS0_14default_configENS1_38merge_sort_block_merge_config_selectorIttEEZZNS1_27merge_sort_block_merge_implIS3_N6thrust23THRUST_200600_302600_NS6detail15normal_iteratorINS8_10device_ptrItEEEESD_jNS1_19radix_merge_compareILb0ELb0EtNS0_19identity_decomposerEEEEE10hipError_tT0_T1_T2_jT3_P12ihipStream_tbPNSt15iterator_traitsISI_E10value_typeEPNSO_ISJ_E10value_typeEPSK_NS1_7vsmem_tEENKUlT_SI_SJ_SK_E_clISD_PtSD_S10_EESH_SX_SI_SJ_SK_EUlSX_E_NS1_11comp_targetILNS1_3genE8ELNS1_11target_archE1030ELNS1_3gpuE2ELNS1_3repE0EEENS1_48merge_mergepath_partition_config_static_selectorELNS0_4arch9wavefront6targetE1EEEvSJ_.uses_flat_scratch, 0
	.set _ZN7rocprim17ROCPRIM_400000_NS6detail17trampoline_kernelINS0_14default_configENS1_38merge_sort_block_merge_config_selectorIttEEZZNS1_27merge_sort_block_merge_implIS3_N6thrust23THRUST_200600_302600_NS6detail15normal_iteratorINS8_10device_ptrItEEEESD_jNS1_19radix_merge_compareILb0ELb0EtNS0_19identity_decomposerEEEEE10hipError_tT0_T1_T2_jT3_P12ihipStream_tbPNSt15iterator_traitsISI_E10value_typeEPNSO_ISJ_E10value_typeEPSK_NS1_7vsmem_tEENKUlT_SI_SJ_SK_E_clISD_PtSD_S10_EESH_SX_SI_SJ_SK_EUlSX_E_NS1_11comp_targetILNS1_3genE8ELNS1_11target_archE1030ELNS1_3gpuE2ELNS1_3repE0EEENS1_48merge_mergepath_partition_config_static_selectorELNS0_4arch9wavefront6targetE1EEEvSJ_.has_dyn_sized_stack, 0
	.set _ZN7rocprim17ROCPRIM_400000_NS6detail17trampoline_kernelINS0_14default_configENS1_38merge_sort_block_merge_config_selectorIttEEZZNS1_27merge_sort_block_merge_implIS3_N6thrust23THRUST_200600_302600_NS6detail15normal_iteratorINS8_10device_ptrItEEEESD_jNS1_19radix_merge_compareILb0ELb0EtNS0_19identity_decomposerEEEEE10hipError_tT0_T1_T2_jT3_P12ihipStream_tbPNSt15iterator_traitsISI_E10value_typeEPNSO_ISJ_E10value_typeEPSK_NS1_7vsmem_tEENKUlT_SI_SJ_SK_E_clISD_PtSD_S10_EESH_SX_SI_SJ_SK_EUlSX_E_NS1_11comp_targetILNS1_3genE8ELNS1_11target_archE1030ELNS1_3gpuE2ELNS1_3repE0EEENS1_48merge_mergepath_partition_config_static_selectorELNS0_4arch9wavefront6targetE1EEEvSJ_.has_recursion, 0
	.set _ZN7rocprim17ROCPRIM_400000_NS6detail17trampoline_kernelINS0_14default_configENS1_38merge_sort_block_merge_config_selectorIttEEZZNS1_27merge_sort_block_merge_implIS3_N6thrust23THRUST_200600_302600_NS6detail15normal_iteratorINS8_10device_ptrItEEEESD_jNS1_19radix_merge_compareILb0ELb0EtNS0_19identity_decomposerEEEEE10hipError_tT0_T1_T2_jT3_P12ihipStream_tbPNSt15iterator_traitsISI_E10value_typeEPNSO_ISJ_E10value_typeEPSK_NS1_7vsmem_tEENKUlT_SI_SJ_SK_E_clISD_PtSD_S10_EESH_SX_SI_SJ_SK_EUlSX_E_NS1_11comp_targetILNS1_3genE8ELNS1_11target_archE1030ELNS1_3gpuE2ELNS1_3repE0EEENS1_48merge_mergepath_partition_config_static_selectorELNS0_4arch9wavefront6targetE1EEEvSJ_.has_indirect_call, 0
	.section	.AMDGPU.csdata,"",@progbits
; Kernel info:
; codeLenInByte = 0
; TotalNumSgprs: 6
; NumVgprs: 0
; NumAgprs: 0
; TotalNumVgprs: 0
; ScratchSize: 0
; MemoryBound: 0
; FloatMode: 240
; IeeeMode: 1
; LDSByteSize: 0 bytes/workgroup (compile time only)
; SGPRBlocks: 0
; VGPRBlocks: 0
; NumSGPRsForWavesPerEU: 6
; NumVGPRsForWavesPerEU: 1
; AccumOffset: 4
; Occupancy: 8
; WaveLimiterHint : 0
; COMPUTE_PGM_RSRC2:SCRATCH_EN: 0
; COMPUTE_PGM_RSRC2:USER_SGPR: 2
; COMPUTE_PGM_RSRC2:TRAP_HANDLER: 0
; COMPUTE_PGM_RSRC2:TGID_X_EN: 1
; COMPUTE_PGM_RSRC2:TGID_Y_EN: 0
; COMPUTE_PGM_RSRC2:TGID_Z_EN: 0
; COMPUTE_PGM_RSRC2:TIDIG_COMP_CNT: 0
; COMPUTE_PGM_RSRC3_GFX90A:ACCUM_OFFSET: 0
; COMPUTE_PGM_RSRC3_GFX90A:TG_SPLIT: 0
	.section	.text._ZN7rocprim17ROCPRIM_400000_NS6detail17trampoline_kernelINS0_14default_configENS1_38merge_sort_block_merge_config_selectorIttEEZZNS1_27merge_sort_block_merge_implIS3_N6thrust23THRUST_200600_302600_NS6detail15normal_iteratorINS8_10device_ptrItEEEESD_jNS1_19radix_merge_compareILb0ELb0EtNS0_19identity_decomposerEEEEE10hipError_tT0_T1_T2_jT3_P12ihipStream_tbPNSt15iterator_traitsISI_E10value_typeEPNSO_ISJ_E10value_typeEPSK_NS1_7vsmem_tEENKUlT_SI_SJ_SK_E_clISD_PtSD_S10_EESH_SX_SI_SJ_SK_EUlSX_E0_NS1_11comp_targetILNS1_3genE0ELNS1_11target_archE4294967295ELNS1_3gpuE0ELNS1_3repE0EEENS1_38merge_mergepath_config_static_selectorELNS0_4arch9wavefront6targetE1EEEvSJ_,"axG",@progbits,_ZN7rocprim17ROCPRIM_400000_NS6detail17trampoline_kernelINS0_14default_configENS1_38merge_sort_block_merge_config_selectorIttEEZZNS1_27merge_sort_block_merge_implIS3_N6thrust23THRUST_200600_302600_NS6detail15normal_iteratorINS8_10device_ptrItEEEESD_jNS1_19radix_merge_compareILb0ELb0EtNS0_19identity_decomposerEEEEE10hipError_tT0_T1_T2_jT3_P12ihipStream_tbPNSt15iterator_traitsISI_E10value_typeEPNSO_ISJ_E10value_typeEPSK_NS1_7vsmem_tEENKUlT_SI_SJ_SK_E_clISD_PtSD_S10_EESH_SX_SI_SJ_SK_EUlSX_E0_NS1_11comp_targetILNS1_3genE0ELNS1_11target_archE4294967295ELNS1_3gpuE0ELNS1_3repE0EEENS1_38merge_mergepath_config_static_selectorELNS0_4arch9wavefront6targetE1EEEvSJ_,comdat
	.protected	_ZN7rocprim17ROCPRIM_400000_NS6detail17trampoline_kernelINS0_14default_configENS1_38merge_sort_block_merge_config_selectorIttEEZZNS1_27merge_sort_block_merge_implIS3_N6thrust23THRUST_200600_302600_NS6detail15normal_iteratorINS8_10device_ptrItEEEESD_jNS1_19radix_merge_compareILb0ELb0EtNS0_19identity_decomposerEEEEE10hipError_tT0_T1_T2_jT3_P12ihipStream_tbPNSt15iterator_traitsISI_E10value_typeEPNSO_ISJ_E10value_typeEPSK_NS1_7vsmem_tEENKUlT_SI_SJ_SK_E_clISD_PtSD_S10_EESH_SX_SI_SJ_SK_EUlSX_E0_NS1_11comp_targetILNS1_3genE0ELNS1_11target_archE4294967295ELNS1_3gpuE0ELNS1_3repE0EEENS1_38merge_mergepath_config_static_selectorELNS0_4arch9wavefront6targetE1EEEvSJ_ ; -- Begin function _ZN7rocprim17ROCPRIM_400000_NS6detail17trampoline_kernelINS0_14default_configENS1_38merge_sort_block_merge_config_selectorIttEEZZNS1_27merge_sort_block_merge_implIS3_N6thrust23THRUST_200600_302600_NS6detail15normal_iteratorINS8_10device_ptrItEEEESD_jNS1_19radix_merge_compareILb0ELb0EtNS0_19identity_decomposerEEEEE10hipError_tT0_T1_T2_jT3_P12ihipStream_tbPNSt15iterator_traitsISI_E10value_typeEPNSO_ISJ_E10value_typeEPSK_NS1_7vsmem_tEENKUlT_SI_SJ_SK_E_clISD_PtSD_S10_EESH_SX_SI_SJ_SK_EUlSX_E0_NS1_11comp_targetILNS1_3genE0ELNS1_11target_archE4294967295ELNS1_3gpuE0ELNS1_3repE0EEENS1_38merge_mergepath_config_static_selectorELNS0_4arch9wavefront6targetE1EEEvSJ_
	.globl	_ZN7rocprim17ROCPRIM_400000_NS6detail17trampoline_kernelINS0_14default_configENS1_38merge_sort_block_merge_config_selectorIttEEZZNS1_27merge_sort_block_merge_implIS3_N6thrust23THRUST_200600_302600_NS6detail15normal_iteratorINS8_10device_ptrItEEEESD_jNS1_19radix_merge_compareILb0ELb0EtNS0_19identity_decomposerEEEEE10hipError_tT0_T1_T2_jT3_P12ihipStream_tbPNSt15iterator_traitsISI_E10value_typeEPNSO_ISJ_E10value_typeEPSK_NS1_7vsmem_tEENKUlT_SI_SJ_SK_E_clISD_PtSD_S10_EESH_SX_SI_SJ_SK_EUlSX_E0_NS1_11comp_targetILNS1_3genE0ELNS1_11target_archE4294967295ELNS1_3gpuE0ELNS1_3repE0EEENS1_38merge_mergepath_config_static_selectorELNS0_4arch9wavefront6targetE1EEEvSJ_
	.p2align	8
	.type	_ZN7rocprim17ROCPRIM_400000_NS6detail17trampoline_kernelINS0_14default_configENS1_38merge_sort_block_merge_config_selectorIttEEZZNS1_27merge_sort_block_merge_implIS3_N6thrust23THRUST_200600_302600_NS6detail15normal_iteratorINS8_10device_ptrItEEEESD_jNS1_19radix_merge_compareILb0ELb0EtNS0_19identity_decomposerEEEEE10hipError_tT0_T1_T2_jT3_P12ihipStream_tbPNSt15iterator_traitsISI_E10value_typeEPNSO_ISJ_E10value_typeEPSK_NS1_7vsmem_tEENKUlT_SI_SJ_SK_E_clISD_PtSD_S10_EESH_SX_SI_SJ_SK_EUlSX_E0_NS1_11comp_targetILNS1_3genE0ELNS1_11target_archE4294967295ELNS1_3gpuE0ELNS1_3repE0EEENS1_38merge_mergepath_config_static_selectorELNS0_4arch9wavefront6targetE1EEEvSJ_,@function
_ZN7rocprim17ROCPRIM_400000_NS6detail17trampoline_kernelINS0_14default_configENS1_38merge_sort_block_merge_config_selectorIttEEZZNS1_27merge_sort_block_merge_implIS3_N6thrust23THRUST_200600_302600_NS6detail15normal_iteratorINS8_10device_ptrItEEEESD_jNS1_19radix_merge_compareILb0ELb0EtNS0_19identity_decomposerEEEEE10hipError_tT0_T1_T2_jT3_P12ihipStream_tbPNSt15iterator_traitsISI_E10value_typeEPNSO_ISJ_E10value_typeEPSK_NS1_7vsmem_tEENKUlT_SI_SJ_SK_E_clISD_PtSD_S10_EESH_SX_SI_SJ_SK_EUlSX_E0_NS1_11comp_targetILNS1_3genE0ELNS1_11target_archE4294967295ELNS1_3gpuE0ELNS1_3repE0EEENS1_38merge_mergepath_config_static_selectorELNS0_4arch9wavefront6targetE1EEEvSJ_: ; @_ZN7rocprim17ROCPRIM_400000_NS6detail17trampoline_kernelINS0_14default_configENS1_38merge_sort_block_merge_config_selectorIttEEZZNS1_27merge_sort_block_merge_implIS3_N6thrust23THRUST_200600_302600_NS6detail15normal_iteratorINS8_10device_ptrItEEEESD_jNS1_19radix_merge_compareILb0ELb0EtNS0_19identity_decomposerEEEEE10hipError_tT0_T1_T2_jT3_P12ihipStream_tbPNSt15iterator_traitsISI_E10value_typeEPNSO_ISJ_E10value_typeEPSK_NS1_7vsmem_tEENKUlT_SI_SJ_SK_E_clISD_PtSD_S10_EESH_SX_SI_SJ_SK_EUlSX_E0_NS1_11comp_targetILNS1_3genE0ELNS1_11target_archE4294967295ELNS1_3gpuE0ELNS1_3repE0EEENS1_38merge_mergepath_config_static_selectorELNS0_4arch9wavefront6targetE1EEEvSJ_
; %bb.0:
	s_load_dwordx2 s[28:29], s[0:1], 0x40
	s_load_dword s5, s[0:1], 0x30
	s_add_u32 s12, s0, 64
	s_addc_u32 s13, s1, 0
	s_waitcnt lgkmcnt(0)
	s_mul_i32 s4, s29, s4
	s_add_i32 s3, s4, s3
	s_mul_i32 s3, s3, s28
	s_add_i32 s26, s3, s2
	s_cmp_ge_u32 s26, s5
	s_cbranch_scc1 .LBB874_70
; %bb.1:
	s_load_dwordx8 s[16:23], s[0:1], 0x10
	s_load_dwordx2 s[8:9], s[0:1], 0x8
	s_load_dwordx2 s[4:5], s[0:1], 0x38
	s_mov_b32 s27, 0
	s_mov_b32 s11, s27
	s_waitcnt lgkmcnt(0)
	s_lshr_b32 s29, s22, 10
	s_cmp_lg_u32 s26, s29
	s_cselect_b64 s[24:25], -1, 0
	s_lshl_b64 s[0:1], s[26:27], 2
	s_add_u32 s0, s4, s0
	s_addc_u32 s1, s5, s1
	s_load_dwordx2 s[4:5], s[0:1], 0x0
	s_lshr_b32 s0, s23, 9
	s_and_b32 s0, s0, 0x7ffffe
	s_sub_i32 s0, 0, s0
	s_and_b32 s1, s26, s0
	s_lshl_b32 s3, s1, 10
	s_lshl_b32 s14, s26, 10
	;; [unrolled: 1-line block ×3, first 2 shown]
	s_sub_i32 s6, s14, s3
	s_add_i32 s1, s1, s23
	s_add_i32 s6, s1, s6
	s_waitcnt lgkmcnt(0)
	s_sub_i32 s7, s6, s4
	s_sub_i32 s6, s6, s5
	;; [unrolled: 1-line block ×3, first 2 shown]
	s_min_u32 s10, s22, s7
	s_addk_i32 s6, 0x400
	s_or_b32 s0, s26, s0
	s_min_u32 s3, s22, s1
	s_add_i32 s1, s1, s23
	s_cmp_eq_u32 s0, -1
	s_cselect_b32 s0, s1, s6
	s_cselect_b32 s1, s3, s5
	s_mov_b32 s5, s27
	s_min_u32 s23, s0, s22
	s_sub_i32 s15, s1, s4
	s_lshl_b64 s[0:1], s[4:5], 1
	s_add_u32 s6, s8, s0
	s_addc_u32 s7, s9, s1
	s_lshl_b64 s[4:5], s[10:11], 1
	s_add_u32 s8, s8, s4
	s_addc_u32 s9, s9, s5
	s_cmp_lt_u32 s2, s28
	v_mov_b32_e32 v3, 0
	s_cselect_b32 s2, 12, 18
	global_load_dword v1, v3, s[12:13] offset:14
	s_add_u32 s2, s12, s2
	s_addc_u32 s3, s13, 0
	global_load_ushort v2, v3, s[2:3]
	s_cmp_eq_u32 s26, s29
	v_lshlrev_b32_e32 v10, 1, v0
	s_waitcnt vmcnt(1)
	v_lshrrev_b32_e32 v4, 16, v1
	v_and_b32_e32 v1, 0xffff, v1
	v_mul_lo_u32 v1, v1, v4
	s_waitcnt vmcnt(0)
	v_mul_lo_u32 v1, v1, v2
	v_add_u32_e32 v14, v1, v0
	v_add_u32_e32 v12, v14, v1
	s_cbranch_scc1 .LBB874_3
; %bb.2:
	v_mov_b32_e32 v11, v3
	v_subrev_co_u32_e32 v2, vcc, s15, v0
	v_lshl_add_u64 v[4:5], s[6:7], 0, v[10:11]
	v_lshl_add_u64 v[6:7], v[2:3], 1, s[8:9]
	v_cndmask_b32_e32 v5, v7, v5, vcc
	v_cndmask_b32_e32 v4, v6, v4, vcc
	v_mov_b32_e32 v15, v3
	v_subrev_co_u32_e32 v2, vcc, s15, v14
	global_load_ushort v11, v[4:5], off
	v_lshl_add_u64 v[4:5], v[14:15], 1, s[6:7]
	v_lshl_add_u64 v[6:7], v[2:3], 1, s[8:9]
	v_cndmask_b32_e32 v5, v7, v5, vcc
	v_cndmask_b32_e32 v4, v6, v4, vcc
	v_mov_b32_e32 v13, v3
	v_subrev_co_u32_e32 v2, vcc, s15, v12
	global_load_ushort v15, v[4:5], off
	v_lshl_add_u64 v[4:5], v[12:13], 1, s[6:7]
	v_lshl_add_u64 v[6:7], v[2:3], 1, s[8:9]
	v_cndmask_b32_e32 v5, v7, v5, vcc
	v_cndmask_b32_e32 v4, v6, v4, vcc
	global_load_ushort v13, v[4:5], off
	v_add_u32_e32 v4, v12, v1
	v_mov_b32_e32 v5, v3
	v_subrev_co_u32_e32 v2, vcc, s15, v4
	v_lshl_add_u64 v[6:7], v[4:5], 1, s[6:7]
	v_lshl_add_u64 v[8:9], v[2:3], 1, s[8:9]
	v_add_u32_e32 v4, v4, v1
	v_cndmask_b32_e32 v7, v9, v7, vcc
	v_cndmask_b32_e32 v6, v8, v6, vcc
	v_subrev_co_u32_e32 v2, vcc, s15, v4
	global_load_ushort v16, v[6:7], off
	v_lshl_add_u64 v[6:7], v[4:5], 1, s[6:7]
	v_lshl_add_u64 v[8:9], v[2:3], 1, s[8:9]
	v_add_u32_e32 v4, v4, v1
	v_cndmask_b32_e32 v7, v9, v7, vcc
	v_cndmask_b32_e32 v6, v8, v6, vcc
	v_subrev_co_u32_e32 v2, vcc, s15, v4
	global_load_ushort v17, v[6:7], off
	;; [unrolled: 7-line block ×3, first 2 shown]
	v_lshl_add_u64 v[6:7], v[4:5], 1, s[6:7]
	v_lshl_add_u64 v[2:3], v[2:3], 1, s[8:9]
	v_cndmask_b32_e32 v3, v3, v7, vcc
	v_cndmask_b32_e32 v2, v2, v6, vcc
	global_load_ushort v5, v[2:3], off
	s_mov_b32 s2, 0x5040100
	v_add_u32_e32 v6, v4, v1
	s_waitcnt vmcnt(5)
	v_perm_b32 v2, v15, v11, s2
	s_waitcnt vmcnt(3)
	v_perm_b32 v3, v16, v13, s2
	;; [unrolled: 2-line block ×3, first 2 shown]
	s_mov_b64 s[2:3], -1
	s_waitcnt vmcnt(0)
	v_and_b32_e32 v5, 0xffff, v5
	s_sub_i32 s12, s23, s10
	s_cbranch_execz .LBB874_4
	s_branch .LBB874_17
.LBB874_3:
	s_mov_b64 s[2:3], 0
                                        ; implicit-def: $vgpr6
                                        ; implicit-def: $vgpr2_vgpr3_vgpr4_vgpr5
	s_sub_i32 s12, s23, s10
.LBB874_4:
	s_add_i32 s10, s12, s15
	v_mov_b32_e32 v2, 0
	v_cmp_gt_u32_e32 vcc, s10, v0
	v_mov_b32_e32 v3, v2
	v_mov_b32_e32 v4, v2
	;; [unrolled: 1-line block ×3, first 2 shown]
	s_and_saveexec_b64 s[2:3], vcc
	s_cbranch_execnz .LBB874_71
; %bb.5:
	s_or_b64 exec, exec, s[2:3]
	v_cmp_gt_u32_e32 vcc, s10, v14
	s_and_saveexec_b64 s[2:3], vcc
	s_cbranch_execnz .LBB874_72
.LBB874_6:
	s_or_b64 exec, exec, s[2:3]
	v_cmp_gt_u32_e32 vcc, s10, v12
	s_and_saveexec_b64 s[2:3], vcc
	s_cbranch_execz .LBB874_8
.LBB874_7:
	v_mov_b32_e32 v13, 0
	v_subrev_co_u32_e32 v8, vcc, s15, v12
	v_mov_b32_e32 v9, v13
	v_lshl_add_u64 v[6:7], v[12:13], 1, s[6:7]
	v_lshl_add_u64 v[8:9], v[8:9], 1, s[8:9]
	v_cndmask_b32_e32 v7, v9, v7, vcc
	v_cndmask_b32_e32 v6, v8, v6, vcc
	global_load_ushort v6, v[6:7], off
	s_mov_b32 s11, 0xffff
	s_waitcnt vmcnt(0)
	v_bfi_b32 v3, s11, v6, v3
.LBB874_8:
	s_or_b64 exec, exec, s[2:3]
	v_add_u32_e32 v6, v12, v1
	v_cmp_gt_u32_e32 vcc, s10, v6
	s_and_saveexec_b64 s[2:3], vcc
	s_cbranch_execz .LBB874_10
; %bb.9:
	v_mov_b32_e32 v7, 0
	v_subrev_co_u32_e32 v16, vcc, s15, v6
	v_mov_b32_e32 v17, v7
	v_lshl_add_u64 v[8:9], v[6:7], 1, s[6:7]
	v_lshl_add_u64 v[16:17], v[16:17], 1, s[8:9]
	v_cndmask_b32_e32 v9, v17, v9, vcc
	v_cndmask_b32_e32 v8, v16, v8, vcc
	global_load_ushort v7, v[8:9], off
	s_mov_b32 s11, 0x5040100
	s_waitcnt vmcnt(0)
	v_perm_b32 v3, v7, v3, s11
.LBB874_10:
	s_or_b64 exec, exec, s[2:3]
	v_add_u32_e32 v6, v6, v1
	v_cmp_gt_u32_e32 vcc, s10, v6
	s_and_saveexec_b64 s[2:3], vcc
	s_cbranch_execz .LBB874_12
; %bb.11:
	v_mov_b32_e32 v7, 0
	v_subrev_co_u32_e32 v16, vcc, s15, v6
	v_mov_b32_e32 v17, v7
	v_lshl_add_u64 v[8:9], v[6:7], 1, s[6:7]
	v_lshl_add_u64 v[16:17], v[16:17], 1, s[8:9]
	v_cndmask_b32_e32 v9, v17, v9, vcc
	v_cndmask_b32_e32 v8, v16, v8, vcc
	global_load_ushort v7, v[8:9], off
	s_mov_b32 s11, 0xffff
	s_waitcnt vmcnt(0)
	v_bfi_b32 v4, s11, v7, v4
.LBB874_12:
	s_or_b64 exec, exec, s[2:3]
	v_add_u32_e32 v6, v6, v1
	v_cmp_gt_u32_e32 vcc, s10, v6
	s_and_saveexec_b64 s[2:3], vcc
	s_cbranch_execz .LBB874_14
; %bb.13:
	v_mov_b32_e32 v7, 0
	v_subrev_co_u32_e32 v16, vcc, s15, v6
	v_mov_b32_e32 v17, v7
	v_lshl_add_u64 v[8:9], v[6:7], 1, s[6:7]
	v_lshl_add_u64 v[16:17], v[16:17], 1, s[8:9]
	v_cndmask_b32_e32 v9, v17, v9, vcc
	v_cndmask_b32_e32 v8, v16, v8, vcc
	global_load_ushort v7, v[8:9], off
	s_mov_b32 s11, 0x5040100
	s_waitcnt vmcnt(0)
	v_perm_b32 v4, v7, v4, s11
.LBB874_14:
	s_or_b64 exec, exec, s[2:3]
	v_add_u32_e32 v6, v6, v1
	v_cmp_gt_u32_e32 vcc, s10, v6
	s_and_saveexec_b64 s[2:3], vcc
	s_cbranch_execz .LBB874_16
; %bb.15:
	v_mov_b32_e32 v7, 0
	v_subrev_co_u32_e32 v16, vcc, s15, v6
	v_mov_b32_e32 v17, v7
	v_lshl_add_u64 v[8:9], v[6:7], 1, s[6:7]
	v_lshl_add_u64 v[16:17], v[16:17], 1, s[8:9]
	v_cndmask_b32_e32 v9, v17, v9, vcc
	v_cndmask_b32_e32 v8, v16, v8, vcc
	global_load_ushort v7, v[8:9], off
	s_mov_b32 s11, 0xffff
	s_waitcnt vmcnt(0)
	v_bfi_b32 v5, s11, v7, v5
.LBB874_16:
	s_or_b64 exec, exec, s[2:3]
	v_add_u32_e32 v6, v6, v1
	v_cmp_gt_u32_e64 s[2:3], s10, v6
.LBB874_17:
	s_and_saveexec_b64 s[10:11], s[2:3]
	s_cbranch_execz .LBB874_19
; %bb.18:
	v_mov_b32_e32 v9, 0
	v_mov_b32_e32 v7, v9
	v_subrev_co_u32_e32 v8, vcc, s15, v6
	v_lshl_add_u64 v[16:17], v[6:7], 1, s[6:7]
	v_lshl_add_u64 v[6:7], v[8:9], 1, s[8:9]
	v_cndmask_b32_e32 v7, v7, v17, vcc
	v_cndmask_b32_e32 v6, v6, v16, vcc
	global_load_ushort v6, v[6:7], off
	s_mov_b32 s2, 0x5040100
	s_waitcnt vmcnt(0)
	v_perm_b32 v5, v6, v5, s2
.LBB874_19:
	s_or_b64 exec, exec, s[10:11]
	s_add_u32 s0, s18, s0
	s_addc_u32 s1, s19, s1
	s_add_u32 s2, s18, s4
	v_mov_b32_e32 v7, 0
	v_lshrrev_b32_e32 v18, 16, v2
	v_lshrrev_b32_e32 v19, 16, v3
	;; [unrolled: 1-line block ×4, first 2 shown]
	s_addc_u32 s3, s19, s5
	s_andn2_b64 vcc, exec, s[24:25]
	ds_write_b16 v10, v2
	ds_write_b16 v10, v18 offset:256
	ds_write_b16 v10, v3 offset:512
	;; [unrolled: 1-line block ×7, first 2 shown]
	s_cbranch_vccnz .LBB874_21
; %bb.20:
	v_mov_b32_e32 v11, v7
	v_subrev_co_u32_e32 v6, vcc, s15, v0
	v_lshl_add_u64 v[8:9], s[0:1], 0, v[10:11]
	v_lshl_add_u64 v[16:17], v[6:7], 1, s[2:3]
	v_cndmask_b32_e32 v9, v17, v9, vcc
	v_cndmask_b32_e32 v8, v16, v8, vcc
	v_mov_b32_e32 v15, v7
	v_subrev_co_u32_e32 v6, vcc, s15, v14
	global_load_ushort v11, v[8:9], off
	v_lshl_add_u64 v[8:9], v[14:15], 1, s[0:1]
	v_lshl_add_u64 v[16:17], v[6:7], 1, s[2:3]
	v_cndmask_b32_e32 v9, v17, v9, vcc
	v_cndmask_b32_e32 v8, v16, v8, vcc
	v_mov_b32_e32 v13, v7
	v_subrev_co_u32_e32 v6, vcc, s15, v12
	global_load_ushort v15, v[8:9], off
	v_lshl_add_u64 v[8:9], v[12:13], 1, s[0:1]
	v_lshl_add_u64 v[16:17], v[6:7], 1, s[2:3]
	v_cndmask_b32_e32 v9, v17, v9, vcc
	v_cndmask_b32_e32 v8, v16, v8, vcc
	global_load_ushort v13, v[8:9], off
	v_add_u32_e32 v8, v12, v1
	v_mov_b32_e32 v9, v7
	v_subrev_co_u32_e32 v6, vcc, s15, v8
	v_lshl_add_u64 v[16:17], v[8:9], 1, s[0:1]
	v_lshl_add_u64 v[22:23], v[6:7], 1, s[2:3]
	v_add_u32_e32 v8, v8, v1
	v_cndmask_b32_e32 v17, v23, v17, vcc
	v_cndmask_b32_e32 v16, v22, v16, vcc
	v_subrev_co_u32_e32 v6, vcc, s15, v8
	global_load_ushort v24, v[16:17], off
	v_lshl_add_u64 v[16:17], v[8:9], 1, s[0:1]
	v_lshl_add_u64 v[22:23], v[6:7], 1, s[2:3]
	v_add_u32_e32 v8, v8, v1
	v_cndmask_b32_e32 v17, v23, v17, vcc
	v_cndmask_b32_e32 v16, v22, v16, vcc
	v_subrev_co_u32_e32 v6, vcc, s15, v8
	global_load_ushort v25, v[16:17], off
	;; [unrolled: 7-line block ×3, first 2 shown]
	v_lshl_add_u64 v[16:17], v[8:9], 1, s[0:1]
	v_lshl_add_u64 v[6:7], v[6:7], 1, s[2:3]
	v_cndmask_b32_e32 v7, v7, v17, vcc
	v_cndmask_b32_e32 v6, v6, v16, vcc
	global_load_ushort v9, v[6:7], off
	s_mov_b32 s8, 0x5040100
	s_add_i32 s9, s12, s15
	s_mov_b64 s[4:5], -1
	v_add_u32_e32 v16, v8, v1
	s_waitcnt vmcnt(5)
	v_perm_b32 v6, v15, v11, s8
	v_mov_b32_e32 v11, s9
	s_waitcnt vmcnt(3)
	v_perm_b32 v7, v24, v13, s8
	s_waitcnt vmcnt(1)
	v_perm_b32 v8, v22, v25, s8
	s_waitcnt vmcnt(0)
	v_and_b32_e32 v9, 0xffff, v9
	s_cbranch_execz .LBB874_22
	s_branch .LBB874_35
.LBB874_21:
	s_mov_b64 s[4:5], 0
                                        ; implicit-def: $vgpr16
                                        ; implicit-def: $vgpr6_vgpr7_vgpr8_vgpr9
                                        ; implicit-def: $vgpr11
.LBB874_22:
	s_add_i32 s6, s12, s15
	v_mov_b32_e32 v6, 0
	v_cmp_gt_u32_e32 vcc, s6, v0
	v_mov_b32_e32 v7, v6
	v_mov_b32_e32 v8, v6
	;; [unrolled: 1-line block ×3, first 2 shown]
	s_and_saveexec_b64 s[4:5], vcc
	s_cbranch_execnz .LBB874_73
; %bb.23:
	s_or_b64 exec, exec, s[4:5]
	v_cmp_gt_u32_e32 vcc, s6, v14
	s_and_saveexec_b64 s[4:5], vcc
	s_cbranch_execnz .LBB874_74
.LBB874_24:
	s_or_b64 exec, exec, s[4:5]
	v_cmp_gt_u32_e32 vcc, s6, v12
	s_and_saveexec_b64 s[4:5], vcc
	s_cbranch_execz .LBB874_26
.LBB874_25:
	v_mov_b32_e32 v13, 0
	v_subrev_co_u32_e32 v16, vcc, s15, v12
	v_mov_b32_e32 v17, v13
	v_lshl_add_u64 v[14:15], v[12:13], 1, s[0:1]
	v_lshl_add_u64 v[16:17], v[16:17], 1, s[2:3]
	v_cndmask_b32_e32 v15, v17, v15, vcc
	v_cndmask_b32_e32 v14, v16, v14, vcc
	global_load_ushort v11, v[14:15], off
	s_mov_b32 s7, 0xffff
	s_waitcnt vmcnt(0)
	v_bfi_b32 v7, s7, v11, v7
.LBB874_26:
	s_or_b64 exec, exec, s[4:5]
	v_add_u32_e32 v12, v12, v1
	v_cmp_gt_u32_e32 vcc, s6, v12
	s_and_saveexec_b64 s[4:5], vcc
	s_cbranch_execz .LBB874_28
; %bb.27:
	v_mov_b32_e32 v13, 0
	v_subrev_co_u32_e32 v16, vcc, s15, v12
	v_mov_b32_e32 v17, v13
	v_lshl_add_u64 v[14:15], v[12:13], 1, s[0:1]
	v_lshl_add_u64 v[16:17], v[16:17], 1, s[2:3]
	v_cndmask_b32_e32 v15, v17, v15, vcc
	v_cndmask_b32_e32 v14, v16, v14, vcc
	global_load_ushort v11, v[14:15], off
	s_mov_b32 s7, 0x5040100
	s_waitcnt vmcnt(0)
	v_perm_b32 v7, v11, v7, s7
.LBB874_28:
	s_or_b64 exec, exec, s[4:5]
	v_add_u32_e32 v12, v12, v1
	v_cmp_gt_u32_e32 vcc, s6, v12
	s_and_saveexec_b64 s[4:5], vcc
	s_cbranch_execz .LBB874_30
; %bb.29:
	v_mov_b32_e32 v13, 0
	v_subrev_co_u32_e32 v16, vcc, s15, v12
	v_mov_b32_e32 v17, v13
	v_lshl_add_u64 v[14:15], v[12:13], 1, s[0:1]
	v_lshl_add_u64 v[16:17], v[16:17], 1, s[2:3]
	v_cndmask_b32_e32 v15, v17, v15, vcc
	v_cndmask_b32_e32 v14, v16, v14, vcc
	global_load_ushort v11, v[14:15], off
	s_mov_b32 s7, 0xffff
	s_waitcnt vmcnt(0)
	v_bfi_b32 v8, s7, v11, v8
.LBB874_30:
	s_or_b64 exec, exec, s[4:5]
	v_add_u32_e32 v12, v12, v1
	v_cmp_gt_u32_e32 vcc, s6, v12
	s_and_saveexec_b64 s[4:5], vcc
	s_cbranch_execz .LBB874_32
; %bb.31:
	v_mov_b32_e32 v13, 0
	v_subrev_co_u32_e32 v16, vcc, s15, v12
	v_mov_b32_e32 v17, v13
	v_lshl_add_u64 v[14:15], v[12:13], 1, s[0:1]
	v_lshl_add_u64 v[16:17], v[16:17], 1, s[2:3]
	v_cndmask_b32_e32 v15, v17, v15, vcc
	v_cndmask_b32_e32 v14, v16, v14, vcc
	global_load_ushort v11, v[14:15], off
	s_mov_b32 s7, 0x5040100
	s_waitcnt vmcnt(0)
	v_perm_b32 v8, v11, v8, s7
.LBB874_32:
	s_or_b64 exec, exec, s[4:5]
	v_add_u32_e32 v12, v12, v1
	v_cmp_gt_u32_e32 vcc, s6, v12
	s_and_saveexec_b64 s[4:5], vcc
	s_cbranch_execz .LBB874_34
; %bb.33:
	v_mov_b32_e32 v13, 0
	v_subrev_co_u32_e32 v16, vcc, s15, v12
	v_mov_b32_e32 v17, v13
	v_lshl_add_u64 v[14:15], v[12:13], 1, s[0:1]
	v_lshl_add_u64 v[16:17], v[16:17], 1, s[2:3]
	v_cndmask_b32_e32 v15, v17, v15, vcc
	v_cndmask_b32_e32 v14, v16, v14, vcc
	global_load_ushort v11, v[14:15], off
	s_mov_b32 s7, 0xffff
	s_waitcnt vmcnt(0)
	v_bfi_b32 v9, s7, v11, v9
.LBB874_34:
	s_or_b64 exec, exec, s[4:5]
	v_add_u32_e32 v16, v12, v1
	v_cmp_gt_u32_e64 s[4:5], s6, v16
	v_mov_b32_e32 v11, s6
.LBB874_35:
	s_and_saveexec_b64 s[6:7], s[4:5]
	s_cbranch_execz .LBB874_37
; %bb.36:
	v_mov_b32_e32 v13, 0
	v_mov_b32_e32 v17, v13
	v_subrev_co_u32_e32 v12, vcc, s15, v16
	v_lshl_add_u64 v[14:15], v[16:17], 1, s[0:1]
	v_lshl_add_u64 v[12:13], v[12:13], 1, s[2:3]
	v_cndmask_b32_e32 v13, v13, v15, vcc
	v_cndmask_b32_e32 v12, v12, v14, vcc
	global_load_ushort v1, v[12:13], off
	s_mov_b32 s0, 0x5040100
	s_waitcnt vmcnt(0)
	v_perm_b32 v9, v1, v9, s0
.LBB874_37:
	s_or_b64 exec, exec, s[6:7]
	v_lshlrev_b32_e32 v1, 3, v0
	v_min_u32_e32 v12, v11, v1
	v_sub_u32_e64 v17, v12, s12 clamp
	v_min_u32_e32 v13, s15, v12
	v_cmp_lt_u32_e32 vcc, v17, v13
	s_waitcnt lgkmcnt(0)
	s_barrier
	s_and_saveexec_b64 s[0:1], vcc
	s_cbranch_execz .LBB874_41
; %bb.38:
	v_lshlrev_b32_e32 v14, 1, v12
	v_lshl_add_u32 v14, s15, 1, v14
	s_mov_b64 s[2:3], 0
.LBB874_39:                             ; =>This Inner Loop Header: Depth=1
	v_add_u32_e32 v15, v13, v17
	v_lshrrev_b32_e32 v16, 1, v15
	v_not_b32_e32 v22, v16
	v_and_b32_e32 v15, -2, v15
	v_lshl_add_u32 v22, v22, 1, v14
	ds_read_u16 v15, v15
	ds_read_u16 v22, v22
	v_add_u32_e32 v23, 1, v16
	s_waitcnt lgkmcnt(0)
	v_cmp_gt_u16_e32 vcc, v15, v22
	s_nop 1
	v_cndmask_b32_e32 v13, v13, v16, vcc
	v_cndmask_b32_e32 v17, v23, v17, vcc
	v_cmp_ge_u32_e32 vcc, v17, v13
	s_or_b64 s[2:3], vcc, s[2:3]
	s_andn2_b64 exec, exec, s[2:3]
	s_cbranch_execnz .LBB874_39
; %bb.40:
	s_or_b64 exec, exec, s[2:3]
.LBB874_41:
	s_or_b64 exec, exec, s[0:1]
	v_sub_u32_e32 v12, v12, v17
	v_add_u32_e32 v25, s15, v12
	v_cmp_ge_u32_e32 vcc, s15, v17
	v_cmp_le_u32_e64 s[0:1], v25, v11
	s_or_b64 s[0:1], vcc, s[0:1]
	v_mov_b32_e32 v24, 0
	v_mov_b32_e32 v23, 0
	;; [unrolled: 1-line block ×8, first 2 shown]
	s_and_saveexec_b64 s[18:19], s[0:1]
	s_cbranch_execz .LBB874_47
; %bb.42:
	v_cmp_gt_u32_e32 vcc, s15, v17
                                        ; implicit-def: $vgpr2
	s_and_saveexec_b64 s[0:1], vcc
; %bb.43:
	v_lshlrev_b32_e32 v2, 1, v17
	ds_read_u16 v2, v2
; %bb.44:
	s_or_b64 exec, exec, s[0:1]
	v_cmp_ge_u32_e64 s[0:1], v25, v11
	v_cmp_lt_u32_e64 s[2:3], v25, v11
                                        ; implicit-def: $vgpr3
	s_and_saveexec_b64 s[4:5], s[2:3]
; %bb.45:
	v_lshlrev_b32_e32 v3, 1, v25
	ds_read_u16 v3, v3
; %bb.46:
	s_or_b64 exec, exec, s[4:5]
	s_waitcnt lgkmcnt(0)
	v_cmp_le_u16_e64 s[2:3], v2, v3
	s_and_b64 s[2:3], vcc, s[2:3]
	s_or_b64 vcc, s[0:1], s[2:3]
	v_mov_b32_e32 v4, s15
	v_cndmask_b32_e32 v12, v25, v17, vcc
	v_cndmask_b32_e32 v5, v11, v4, vcc
	v_add_u32_e32 v13, 1, v12
	v_add_u32_e32 v5, -1, v5
	v_min_u32_e32 v5, v13, v5
	v_lshlrev_b32_e32 v5, 1, v5
	ds_read_u16 v5, v5
	v_cndmask_b32_e32 v15, v17, v13, vcc
	v_cndmask_b32_e32 v14, v13, v25, vcc
	v_cmp_gt_u32_e64 s[2:3], s15, v15
	v_cmp_ge_u32_e64 s[0:1], v14, v11
	s_waitcnt lgkmcnt(0)
	v_cndmask_b32_e32 v18, v5, v3, vcc
	v_cndmask_b32_e32 v5, v2, v5, vcc
	v_cmp_le_u16_e64 s[4:5], v5, v18
	s_and_b64 s[2:3], s[2:3], s[4:5]
	s_or_b64 s[0:1], s[0:1], s[2:3]
	v_cndmask_b32_e64 v13, v14, v15, s[0:1]
	v_cndmask_b32_e64 v16, v11, v4, s[0:1]
	v_add_u32_e32 v17, 1, v13
	v_add_u32_e32 v16, -1, v16
	v_min_u32_e32 v16, v17, v16
	v_lshlrev_b32_e32 v16, 1, v16
	ds_read_u16 v16, v16
	v_cndmask_b32_e64 v15, v15, v17, s[0:1]
	v_cmp_gt_u32_e64 s[4:5], s15, v15
	v_cndmask_b32_e32 v2, v3, v2, vcc
	s_waitcnt lgkmcnt(0)
	v_cndmask_b32_e64 v19, v16, v18, s[0:1]
	v_cndmask_b32_e64 v20, v5, v16, s[0:1]
	;; [unrolled: 1-line block ×3, first 2 shown]
	v_cmp_le_u16_e64 s[6:7], v20, v19
	v_cmp_ge_u32_e64 s[2:3], v16, v11
	s_and_b64 s[4:5], s[4:5], s[6:7]
	s_or_b64 s[2:3], s[2:3], s[4:5]
	v_cndmask_b32_e64 v14, v16, v15, s[2:3]
	v_cndmask_b32_e64 v17, v11, v4, s[2:3]
	v_add_u32_e32 v21, 1, v14
	v_add_u32_e32 v17, -1, v17
	v_min_u32_e32 v17, v21, v17
	v_lshlrev_b32_e32 v17, 1, v17
	ds_read_u16 v17, v17
	v_cndmask_b32_e64 v16, v21, v16, s[2:3]
	v_cndmask_b32_e64 v21, v15, v21, s[2:3]
	v_cmp_gt_u32_e64 s[6:7], s15, v21
	v_cmp_ge_u32_e64 s[4:5], v16, v11
	s_waitcnt lgkmcnt(0)
	v_cndmask_b32_e64 v24, v17, v19, s[2:3]
	v_cndmask_b32_e64 v17, v20, v17, s[2:3]
	v_cmp_le_u16_e64 s[8:9], v17, v24
	s_and_b64 s[6:7], s[6:7], s[8:9]
	s_or_b64 s[4:5], s[4:5], s[6:7]
	v_cndmask_b32_e64 v15, v16, v21, s[4:5]
	v_cndmask_b32_e64 v22, v11, v4, s[4:5]
	v_add_u32_e32 v23, 1, v15
	v_add_u32_e32 v22, -1, v22
	v_min_u32_e32 v22, v23, v22
	v_lshlrev_b32_e32 v22, 1, v22
	ds_read_u16 v22, v22
	v_cndmask_b32_e64 v21, v21, v23, s[4:5]
	v_cmp_gt_u32_e64 s[8:9], s15, v21
	v_cndmask_b32_e64 v18, v18, v5, s[0:1]
	v_cndmask_b32_e64 v3, v19, v20, s[2:3]
	s_waitcnt lgkmcnt(0)
	v_cndmask_b32_e64 v25, v22, v24, s[4:5]
	v_cndmask_b32_e64 v26, v17, v22, s[4:5]
	;; [unrolled: 1-line block ×3, first 2 shown]
	v_cmp_le_u16_e64 s[10:11], v26, v25
	v_cmp_ge_u32_e64 s[6:7], v22, v11
	s_and_b64 s[8:9], s[8:9], s[10:11]
	s_or_b64 s[6:7], s[6:7], s[8:9]
	v_cndmask_b32_e64 v16, v22, v21, s[6:7]
	v_cndmask_b32_e64 v23, v11, v4, s[6:7]
	v_add_u32_e32 v27, 1, v16
	v_add_u32_e32 v23, -1, v23
	v_min_u32_e32 v23, v27, v23
	v_lshlrev_b32_e32 v23, 1, v23
	ds_read_u16 v23, v23
	v_cndmask_b32_e64 v21, v21, v27, s[6:7]
	v_cmp_gt_u32_e64 s[10:11], s15, v21
	v_cndmask_b32_e64 v19, v24, v17, s[4:5]
	s_waitcnt lgkmcnt(0)
	v_cndmask_b32_e64 v28, v23, v25, s[6:7]
	v_cndmask_b32_e64 v29, v26, v23, s[6:7]
	;; [unrolled: 1-line block ×3, first 2 shown]
	v_cmp_le_u16_e64 s[12:13], v29, v28
	v_cmp_ge_u32_e64 s[8:9], v23, v11
	s_and_b64 s[10:11], s[10:11], s[12:13]
	s_or_b64 s[8:9], s[8:9], s[10:11]
	v_cndmask_b32_e64 v22, v23, v21, s[8:9]
	v_cndmask_b32_e64 v27, v11, v4, s[8:9]
	v_add_u32_e32 v30, 1, v22
	v_add_u32_e32 v27, -1, v27
	v_min_u32_e32 v27, v30, v27
	v_lshlrev_b32_e32 v27, 1, v27
	ds_read_u16 v27, v27
	v_cndmask_b32_e64 v21, v21, v30, s[8:9]
	v_cndmask_b32_e64 v32, v30, v23, s[8:9]
	v_cmp_gt_u32_e64 s[0:1], s15, v21
	v_cmp_ge_u32_e32 vcc, v32, v11
	s_waitcnt lgkmcnt(0)
	v_cndmask_b32_e64 v31, v27, v28, s[8:9]
	v_cndmask_b32_e64 v27, v29, v27, s[8:9]
	v_cmp_le_u16_e64 s[2:3], v27, v31
	s_and_b64 s[0:1], s[0:1], s[2:3]
	s_or_b64 vcc, vcc, s[0:1]
	v_cndmask_b32_e32 v23, v32, v21, vcc
	v_cndmask_b32_e32 v4, v11, v4, vcc
	v_add_u32_e32 v30, 1, v23
	v_add_u32_e32 v4, -1, v4
	v_min_u32_e32 v4, v30, v4
	v_lshlrev_b32_e32 v4, 1, v4
	ds_read_u16 v33, v4
	v_cndmask_b32_e64 v4, v25, v26, s[6:7]
	v_cndmask_b32_e32 v21, v21, v30, vcc
	v_cndmask_b32_e32 v24, v30, v32, vcc
	v_cmp_gt_u32_e64 s[0:1], s15, v21
	s_waitcnt lgkmcnt(0)
	v_cndmask_b32_e32 v17, v33, v31, vcc
	v_cndmask_b32_e32 v25, v27, v33, vcc
	v_cmp_le_u16_e64 s[2:3], v25, v17
	v_cndmask_b32_e32 v5, v31, v27, vcc
	v_cmp_ge_u32_e32 vcc, v24, v11
	s_and_b64 s[0:1], s[0:1], s[2:3]
	s_or_b64 vcc, vcc, s[0:1]
	v_cndmask_b32_e64 v20, v28, v29, s[8:9]
	v_cndmask_b32_e32 v24, v24, v21, vcc
	v_cndmask_b32_e32 v21, v17, v25, vcc
.LBB874_47:
	s_or_b64 exec, exec, s[18:19]
	s_barrier
	ds_write_b16 v10, v6
	ds_write_b16_d16_hi v10, v6 offset:256
	ds_write_b16 v10, v7 offset:512
	ds_write_b16_d16_hi v10, v7 offset:768
	ds_write_b16 v10, v8 offset:1024
	;; [unrolled: 2-line block ×3, first 2 shown]
	ds_write_b16_d16_hi v10, v9 offset:1792
	v_lshlrev_b32_e32 v6, 1, v12
	v_lshlrev_b32_e32 v7, 1, v13
	;; [unrolled: 1-line block ×7, first 2 shown]
	s_waitcnt lgkmcnt(0)
	s_barrier
	v_lshlrev_b32_e32 v16, 1, v24
	ds_read_u16 v6, v6
	ds_read_u16 v7, v7
	;; [unrolled: 1-line block ×8, first 2 shown]
	v_lshrrev_b32_e32 v11, 1, v0
	v_and_b32_e32 v11, 60, v11
	s_mov_b32 s0, 0x5040100
	v_lshl_add_u32 v1, v1, 1, v11
	v_perm_b32 v3, v19, v3, s0
	v_perm_b32 v2, v18, v2, s0
	s_waitcnt lgkmcnt(0)
	s_barrier
	s_barrier
	ds_write2_b32 v1, v2, v3 offset1:1
	v_perm_b32 v2, v21, v5, s0
	v_perm_b32 v3, v20, v4, s0
	ds_write2_b32 v1, v3, v2 offset0:2 offset1:3
	v_lshrrev_b32_e32 v2, 4, v0
	v_and_b32_e32 v2, 4, v2
	v_or_b32_e32 v28, 0x80, v0
	v_add_u32_e32 v4, v2, v10
	v_lshrrev_b32_e32 v2, 4, v28
	v_and_b32_e32 v2, 12, v2
	v_or_b32_e32 v27, 0x100, v0
	v_add_u32_e32 v5, v2, v10
	;; [unrolled: 4-line block ×5, first 2 shown]
	v_lshrrev_b32_e32 v2, 4, v24
	v_and_b32_e32 v2, 44, v2
	v_or_b32_e32 v23, 0x300, v0
	s_mov_b32 s15, 0
	v_add_u32_e32 v19, v2, v10
	v_lshrrev_b32_e32 v2, 4, v23
	s_lshl_b64 s[12:13], s[14:15], 1
	v_and_b32_e32 v2, 52, v2
	v_or_b32_e32 v22, 0x380, v0
	s_add_u32 s2, s16, s12
	v_add_u32_e32 v20, v2, v10
	v_lshrrev_b32_e32 v2, 4, v22
	s_addc_u32 s3, s17, s13
	v_and_b32_e32 v2, 60, v2
	v_mov_b32_e32 v11, 0
	v_add_u32_e32 v21, v2, v10
	v_lshl_add_u64 v[2:3], s[2:3], 0, v[10:11]
	s_and_b64 vcc, exec, s[24:25]
	s_waitcnt lgkmcnt(0)
	s_cbranch_vccz .LBB874_49
; %bb.48:
	s_barrier
	ds_read_u16 v11, v4
	ds_read_u16 v29, v5 offset:256
	ds_read_u16 v30, v16 offset:512
	ds_read_u16 v31, v17 offset:768
	ds_read_u16 v32, v18 offset:1024
	ds_read_u16 v33, v19 offset:1280
	ds_read_u16 v34, v20 offset:1536
	ds_read_u16 v35, v21 offset:1792
	s_add_u32 s2, s20, s12
	s_addc_u32 s3, s21, s13
	s_waitcnt lgkmcnt(7)
	global_store_short v[2:3], v11, off
	s_waitcnt lgkmcnt(6)
	global_store_short v[2:3], v29, off offset:256
	s_waitcnt lgkmcnt(5)
	global_store_short v[2:3], v30, off offset:512
	;; [unrolled: 2-line block ×7, first 2 shown]
	v_perm_b32 v11, v13, v12, s0
	v_perm_b32 v29, v7, v6, s0
	s_barrier
	ds_write2_b32 v1, v29, v11 offset1:1
	v_perm_b32 v11, v15, v14, s0
	v_perm_b32 v29, v9, v8, s0
	ds_write2_b32 v1, v29, v11 offset0:2 offset1:3
	s_waitcnt lgkmcnt(0)
	s_barrier
	ds_read_u16 v11, v4
	ds_read_u16 v30, v5 offset:256
	ds_read_u16 v31, v16 offset:512
	;; [unrolled: 1-line block ×7, first 2 shown]
	s_waitcnt lgkmcnt(7)
	global_store_short v10, v11, s[2:3]
	s_waitcnt lgkmcnt(6)
	global_store_short v10, v30, s[2:3] offset:256
	s_waitcnt lgkmcnt(5)
	global_store_short v10, v31, s[2:3] offset:512
	;; [unrolled: 2-line block ×6, first 2 shown]
	s_mov_b64 s[16:17], -1
	s_cbranch_execz .LBB874_50
	s_branch .LBB874_68
.LBB874_49:
	s_mov_b64 s[16:17], 0
                                        ; implicit-def: $vgpr29
.LBB874_50:
	s_barrier
	s_waitcnt lgkmcnt(0)
	ds_read_u16 v34, v5 offset:256
	ds_read_u16 v33, v16 offset:512
	;; [unrolled: 1-line block ×7, first 2 shown]
	s_sub_i32 s16, s22, s14
	v_cmp_gt_u32_e32 vcc, s16, v0
	s_and_saveexec_b64 s[0:1], vcc
	s_cbranch_execnz .LBB874_75
; %bb.51:
	s_or_b64 exec, exec, s[0:1]
	v_cmp_gt_u32_e64 s[0:1], s16, v28
	s_and_saveexec_b64 s[2:3], s[0:1]
	s_cbranch_execnz .LBB874_76
.LBB874_52:
	s_or_b64 exec, exec, s[2:3]
	v_cmp_gt_u32_e64 s[2:3], s16, v27
	s_and_saveexec_b64 s[4:5], s[2:3]
	s_cbranch_execnz .LBB874_77
.LBB874_53:
	s_or_b64 exec, exec, s[4:5]
	v_cmp_gt_u32_e64 s[4:5], s16, v26
	s_and_saveexec_b64 s[6:7], s[4:5]
	s_cbranch_execnz .LBB874_78
.LBB874_54:
	s_or_b64 exec, exec, s[6:7]
	v_cmp_gt_u32_e64 s[6:7], s16, v25
	s_and_saveexec_b64 s[8:9], s[6:7]
	s_cbranch_execnz .LBB874_79
.LBB874_55:
	s_or_b64 exec, exec, s[8:9]
	v_cmp_gt_u32_e64 s[8:9], s16, v24
	s_and_saveexec_b64 s[10:11], s[8:9]
	s_cbranch_execnz .LBB874_80
.LBB874_56:
	s_or_b64 exec, exec, s[10:11]
	v_cmp_gt_u32_e64 s[10:11], s16, v23
	s_and_saveexec_b64 s[14:15], s[10:11]
	s_cbranch_execnz .LBB874_81
.LBB874_57:
	s_or_b64 exec, exec, s[14:15]
	v_cmp_gt_u32_e64 s[16:17], s16, v22
	s_and_saveexec_b64 s[14:15], s[16:17]
	s_cbranch_execz .LBB874_59
.LBB874_58:
	s_waitcnt lgkmcnt(0)
	global_store_short v[2:3], v11, off offset:1792
.LBB874_59:
	s_or_b64 exec, exec, s[14:15]
	s_mov_b32 s14, 0x5040100
	v_perm_b32 v0, v13, v12, s14
	v_perm_b32 v2, v7, v6, s14
	s_waitcnt lgkmcnt(0)
	s_barrier
	ds_write2_b32 v1, v2, v0 offset1:1
	v_perm_b32 v0, v15, v14, s14
	v_perm_b32 v2, v9, v8, s14
	ds_write2_b32 v1, v2, v0 offset0:2 offset1:3
	s_waitcnt lgkmcnt(0)
	s_barrier
	ds_read_u16 v8, v5 offset:256
	ds_read_u16 v7, v16 offset:512
	;; [unrolled: 1-line block ×7, first 2 shown]
	s_add_u32 s14, s20, s12
	s_addc_u32 s15, s21, s13
	v_mov_b32_e32 v11, 0
	v_lshl_add_u64 v[0:1], s[14:15], 0, v[10:11]
	s_and_saveexec_b64 s[14:15], vcc
	s_cbranch_execnz .LBB874_82
; %bb.60:
	s_or_b64 exec, exec, s[14:15]
	s_and_saveexec_b64 s[14:15], s[0:1]
	s_cbranch_execnz .LBB874_83
.LBB874_61:
	s_or_b64 exec, exec, s[14:15]
	s_and_saveexec_b64 s[0:1], s[2:3]
	s_cbranch_execnz .LBB874_84
.LBB874_62:
	s_or_b64 exec, exec, s[0:1]
	s_and_saveexec_b64 s[0:1], s[4:5]
	s_cbranch_execnz .LBB874_85
.LBB874_63:
	s_or_b64 exec, exec, s[0:1]
	s_and_saveexec_b64 s[0:1], s[6:7]
	s_cbranch_execnz .LBB874_86
.LBB874_64:
	s_or_b64 exec, exec, s[0:1]
	s_and_saveexec_b64 s[0:1], s[8:9]
	s_cbranch_execnz .LBB874_87
.LBB874_65:
	s_or_b64 exec, exec, s[0:1]
	s_and_saveexec_b64 s[0:1], s[10:11]
	s_cbranch_execz .LBB874_67
.LBB874_66:
	s_waitcnt lgkmcnt(1)
	global_store_short v[0:1], v2, off offset:1536
.LBB874_67:
	s_or_b64 exec, exec, s[0:1]
.LBB874_68:
	s_and_saveexec_b64 s[0:1], s[16:17]
	s_cbranch_execz .LBB874_70
; %bb.69:
	s_add_u32 s0, s20, s12
	s_addc_u32 s1, s21, s13
	s_waitcnt lgkmcnt(0)
	global_store_short v10, v29, s[0:1] offset:1792
.LBB874_70:
	s_endpgm
.LBB874_71:
	v_mov_b32_e32 v11, v2
	v_subrev_co_u32_e32 v6, vcc, s15, v0
	v_mov_b32_e32 v7, v2
	v_lshl_add_u64 v[4:5], s[6:7], 0, v[10:11]
	v_lshl_add_u64 v[6:7], v[6:7], 1, s[8:9]
	v_cndmask_b32_e32 v5, v7, v5, vcc
	v_cndmask_b32_e32 v4, v6, v4, vcc
	global_load_ushort v3, v[4:5], off
	v_mov_b32_e32 v5, v2
	v_mov_b32_e32 v6, v2
	;; [unrolled: 1-line block ×3, first 2 shown]
	s_waitcnt vmcnt(0)
	v_and_b32_e32 v4, 0xffff, v3
	v_mov_b64_e32 v[2:3], v[4:5]
	v_mov_b64_e32 v[4:5], v[6:7]
	s_or_b64 exec, exec, s[2:3]
	v_cmp_gt_u32_e32 vcc, s10, v14
	s_and_saveexec_b64 s[2:3], vcc
	s_cbranch_execz .LBB874_6
.LBB874_72:
	v_mov_b32_e32 v15, 0
	v_subrev_co_u32_e32 v8, vcc, s15, v14
	v_mov_b32_e32 v9, v15
	v_lshl_add_u64 v[6:7], v[14:15], 1, s[6:7]
	v_lshl_add_u64 v[8:9], v[8:9], 1, s[8:9]
	v_cndmask_b32_e32 v7, v9, v7, vcc
	v_cndmask_b32_e32 v6, v8, v6, vcc
	global_load_ushort v6, v[6:7], off
	s_mov_b32 s11, 0x5040100
	s_waitcnt vmcnt(0)
	v_perm_b32 v2, v6, v2, s11
	s_or_b64 exec, exec, s[2:3]
	v_cmp_gt_u32_e32 vcc, s10, v12
	s_and_saveexec_b64 s[2:3], vcc
	s_cbranch_execnz .LBB874_7
	s_branch .LBB874_8
.LBB874_73:
	v_mov_b32_e32 v11, v6
	v_subrev_co_u32_e32 v16, vcc, s15, v0
	v_mov_b32_e32 v17, v6
	v_lshl_add_u64 v[8:9], s[0:1], 0, v[10:11]
	v_lshl_add_u64 v[16:17], v[16:17], 1, s[2:3]
	v_cndmask_b32_e32 v9, v17, v9, vcc
	v_cndmask_b32_e32 v8, v16, v8, vcc
	global_load_ushort v7, v[8:9], off
	v_mov_b32_e32 v23, v6
	v_mov_b32_e32 v24, v6
	;; [unrolled: 1-line block ×3, first 2 shown]
	s_waitcnt vmcnt(0)
	v_and_b32_e32 v22, 0xffff, v7
	v_mov_b64_e32 v[6:7], v[22:23]
	v_mov_b64_e32 v[8:9], v[24:25]
	s_or_b64 exec, exec, s[4:5]
	v_cmp_gt_u32_e32 vcc, s6, v14
	s_and_saveexec_b64 s[4:5], vcc
	s_cbranch_execz .LBB874_24
.LBB874_74:
	v_mov_b32_e32 v15, 0
	v_lshl_add_u64 v[16:17], v[14:15], 1, s[0:1]
	v_subrev_co_u32_e32 v14, vcc, s15, v14
	v_lshl_add_u64 v[14:15], v[14:15], 1, s[2:3]
	s_nop 0
	v_cndmask_b32_e32 v15, v15, v17, vcc
	v_cndmask_b32_e32 v14, v14, v16, vcc
	global_load_ushort v11, v[14:15], off
	s_mov_b32 s7, 0x5040100
	s_waitcnt vmcnt(0)
	v_perm_b32 v6, v11, v6, s7
	s_or_b64 exec, exec, s[4:5]
	v_cmp_gt_u32_e32 vcc, s6, v12
	s_and_saveexec_b64 s[4:5], vcc
	s_cbranch_execnz .LBB874_25
	s_branch .LBB874_26
.LBB874_75:
	ds_read_u16 v0, v4
	s_waitcnt lgkmcnt(0)
	global_store_short v[2:3], v0, off
	s_or_b64 exec, exec, s[0:1]
	v_cmp_gt_u32_e64 s[0:1], s16, v28
	s_and_saveexec_b64 s[2:3], s[0:1]
	s_cbranch_execz .LBB874_52
.LBB874_76:
	s_waitcnt lgkmcnt(6)
	global_store_short v[2:3], v34, off offset:256
	s_or_b64 exec, exec, s[2:3]
	v_cmp_gt_u32_e64 s[2:3], s16, v27
	s_and_saveexec_b64 s[4:5], s[2:3]
	s_cbranch_execz .LBB874_53
.LBB874_77:
	s_waitcnt lgkmcnt(5)
	global_store_short v[2:3], v33, off offset:512
	s_or_b64 exec, exec, s[4:5]
	v_cmp_gt_u32_e64 s[4:5], s16, v26
	s_and_saveexec_b64 s[6:7], s[4:5]
	s_cbranch_execz .LBB874_54
.LBB874_78:
	s_waitcnt lgkmcnt(4)
	global_store_short v[2:3], v32, off offset:768
	s_or_b64 exec, exec, s[6:7]
	v_cmp_gt_u32_e64 s[6:7], s16, v25
	s_and_saveexec_b64 s[8:9], s[6:7]
	s_cbranch_execz .LBB874_55
.LBB874_79:
	s_waitcnt lgkmcnt(3)
	global_store_short v[2:3], v31, off offset:1024
	s_or_b64 exec, exec, s[8:9]
	v_cmp_gt_u32_e64 s[8:9], s16, v24
	s_and_saveexec_b64 s[10:11], s[8:9]
	s_cbranch_execz .LBB874_56
.LBB874_80:
	s_waitcnt lgkmcnt(2)
	global_store_short v[2:3], v30, off offset:1280
	s_or_b64 exec, exec, s[10:11]
	v_cmp_gt_u32_e64 s[10:11], s16, v23
	s_and_saveexec_b64 s[14:15], s[10:11]
	s_cbranch_execz .LBB874_57
.LBB874_81:
	s_waitcnt lgkmcnt(1)
	global_store_short v[2:3], v29, off offset:1536
	s_or_b64 exec, exec, s[14:15]
	v_cmp_gt_u32_e64 s[16:17], s16, v22
	s_and_saveexec_b64 s[14:15], s[16:17]
	s_cbranch_execnz .LBB874_58
	s_branch .LBB874_59
.LBB874_82:
	ds_read_u16 v4, v4
	s_waitcnt lgkmcnt(0)
	global_store_short v[0:1], v4, off
	s_or_b64 exec, exec, s[14:15]
	s_and_saveexec_b64 s[14:15], s[0:1]
	s_cbranch_execz .LBB874_61
.LBB874_83:
	s_waitcnt lgkmcnt(6)
	global_store_short v[0:1], v8, off offset:256
	s_or_b64 exec, exec, s[14:15]
	s_and_saveexec_b64 s[0:1], s[2:3]
	s_cbranch_execz .LBB874_62
.LBB874_84:
	s_waitcnt lgkmcnt(5)
	global_store_short v[0:1], v7, off offset:512
	s_or_b64 exec, exec, s[0:1]
	s_and_saveexec_b64 s[0:1], s[4:5]
	s_cbranch_execz .LBB874_63
.LBB874_85:
	s_waitcnt lgkmcnt(4)
	global_store_short v[0:1], v6, off offset:768
	s_or_b64 exec, exec, s[0:1]
	s_and_saveexec_b64 s[0:1], s[6:7]
	s_cbranch_execz .LBB874_64
.LBB874_86:
	s_waitcnt lgkmcnt(3)
	global_store_short v[0:1], v5, off offset:1024
	s_or_b64 exec, exec, s[0:1]
	s_and_saveexec_b64 s[0:1], s[8:9]
	s_cbranch_execz .LBB874_65
.LBB874_87:
	s_waitcnt lgkmcnt(2)
	global_store_short v[0:1], v3, off offset:1280
	s_or_b64 exec, exec, s[0:1]
	s_and_saveexec_b64 s[0:1], s[10:11]
	s_cbranch_execnz .LBB874_66
	s_branch .LBB874_67
	.section	.rodata,"a",@progbits
	.p2align	6, 0x0
	.amdhsa_kernel _ZN7rocprim17ROCPRIM_400000_NS6detail17trampoline_kernelINS0_14default_configENS1_38merge_sort_block_merge_config_selectorIttEEZZNS1_27merge_sort_block_merge_implIS3_N6thrust23THRUST_200600_302600_NS6detail15normal_iteratorINS8_10device_ptrItEEEESD_jNS1_19radix_merge_compareILb0ELb0EtNS0_19identity_decomposerEEEEE10hipError_tT0_T1_T2_jT3_P12ihipStream_tbPNSt15iterator_traitsISI_E10value_typeEPNSO_ISJ_E10value_typeEPSK_NS1_7vsmem_tEENKUlT_SI_SJ_SK_E_clISD_PtSD_S10_EESH_SX_SI_SJ_SK_EUlSX_E0_NS1_11comp_targetILNS1_3genE0ELNS1_11target_archE4294967295ELNS1_3gpuE0ELNS1_3repE0EEENS1_38merge_mergepath_config_static_selectorELNS0_4arch9wavefront6targetE1EEEvSJ_
		.amdhsa_group_segment_fixed_size 2112
		.amdhsa_private_segment_fixed_size 0
		.amdhsa_kernarg_size 320
		.amdhsa_user_sgpr_count 2
		.amdhsa_user_sgpr_dispatch_ptr 0
		.amdhsa_user_sgpr_queue_ptr 0
		.amdhsa_user_sgpr_kernarg_segment_ptr 1
		.amdhsa_user_sgpr_dispatch_id 0
		.amdhsa_user_sgpr_kernarg_preload_length 0
		.amdhsa_user_sgpr_kernarg_preload_offset 0
		.amdhsa_user_sgpr_private_segment_size 0
		.amdhsa_uses_dynamic_stack 0
		.amdhsa_enable_private_segment 0
		.amdhsa_system_sgpr_workgroup_id_x 1
		.amdhsa_system_sgpr_workgroup_id_y 1
		.amdhsa_system_sgpr_workgroup_id_z 1
		.amdhsa_system_sgpr_workgroup_info 0
		.amdhsa_system_vgpr_workitem_id 0
		.amdhsa_next_free_vgpr 36
		.amdhsa_next_free_sgpr 30
		.amdhsa_accum_offset 36
		.amdhsa_reserve_vcc 1
		.amdhsa_float_round_mode_32 0
		.amdhsa_float_round_mode_16_64 0
		.amdhsa_float_denorm_mode_32 3
		.amdhsa_float_denorm_mode_16_64 3
		.amdhsa_dx10_clamp 1
		.amdhsa_ieee_mode 1
		.amdhsa_fp16_overflow 0
		.amdhsa_tg_split 0
		.amdhsa_exception_fp_ieee_invalid_op 0
		.amdhsa_exception_fp_denorm_src 0
		.amdhsa_exception_fp_ieee_div_zero 0
		.amdhsa_exception_fp_ieee_overflow 0
		.amdhsa_exception_fp_ieee_underflow 0
		.amdhsa_exception_fp_ieee_inexact 0
		.amdhsa_exception_int_div_zero 0
	.end_amdhsa_kernel
	.section	.text._ZN7rocprim17ROCPRIM_400000_NS6detail17trampoline_kernelINS0_14default_configENS1_38merge_sort_block_merge_config_selectorIttEEZZNS1_27merge_sort_block_merge_implIS3_N6thrust23THRUST_200600_302600_NS6detail15normal_iteratorINS8_10device_ptrItEEEESD_jNS1_19radix_merge_compareILb0ELb0EtNS0_19identity_decomposerEEEEE10hipError_tT0_T1_T2_jT3_P12ihipStream_tbPNSt15iterator_traitsISI_E10value_typeEPNSO_ISJ_E10value_typeEPSK_NS1_7vsmem_tEENKUlT_SI_SJ_SK_E_clISD_PtSD_S10_EESH_SX_SI_SJ_SK_EUlSX_E0_NS1_11comp_targetILNS1_3genE0ELNS1_11target_archE4294967295ELNS1_3gpuE0ELNS1_3repE0EEENS1_38merge_mergepath_config_static_selectorELNS0_4arch9wavefront6targetE1EEEvSJ_,"axG",@progbits,_ZN7rocprim17ROCPRIM_400000_NS6detail17trampoline_kernelINS0_14default_configENS1_38merge_sort_block_merge_config_selectorIttEEZZNS1_27merge_sort_block_merge_implIS3_N6thrust23THRUST_200600_302600_NS6detail15normal_iteratorINS8_10device_ptrItEEEESD_jNS1_19radix_merge_compareILb0ELb0EtNS0_19identity_decomposerEEEEE10hipError_tT0_T1_T2_jT3_P12ihipStream_tbPNSt15iterator_traitsISI_E10value_typeEPNSO_ISJ_E10value_typeEPSK_NS1_7vsmem_tEENKUlT_SI_SJ_SK_E_clISD_PtSD_S10_EESH_SX_SI_SJ_SK_EUlSX_E0_NS1_11comp_targetILNS1_3genE0ELNS1_11target_archE4294967295ELNS1_3gpuE0ELNS1_3repE0EEENS1_38merge_mergepath_config_static_selectorELNS0_4arch9wavefront6targetE1EEEvSJ_,comdat
.Lfunc_end874:
	.size	_ZN7rocprim17ROCPRIM_400000_NS6detail17trampoline_kernelINS0_14default_configENS1_38merge_sort_block_merge_config_selectorIttEEZZNS1_27merge_sort_block_merge_implIS3_N6thrust23THRUST_200600_302600_NS6detail15normal_iteratorINS8_10device_ptrItEEEESD_jNS1_19radix_merge_compareILb0ELb0EtNS0_19identity_decomposerEEEEE10hipError_tT0_T1_T2_jT3_P12ihipStream_tbPNSt15iterator_traitsISI_E10value_typeEPNSO_ISJ_E10value_typeEPSK_NS1_7vsmem_tEENKUlT_SI_SJ_SK_E_clISD_PtSD_S10_EESH_SX_SI_SJ_SK_EUlSX_E0_NS1_11comp_targetILNS1_3genE0ELNS1_11target_archE4294967295ELNS1_3gpuE0ELNS1_3repE0EEENS1_38merge_mergepath_config_static_selectorELNS0_4arch9wavefront6targetE1EEEvSJ_, .Lfunc_end874-_ZN7rocprim17ROCPRIM_400000_NS6detail17trampoline_kernelINS0_14default_configENS1_38merge_sort_block_merge_config_selectorIttEEZZNS1_27merge_sort_block_merge_implIS3_N6thrust23THRUST_200600_302600_NS6detail15normal_iteratorINS8_10device_ptrItEEEESD_jNS1_19radix_merge_compareILb0ELb0EtNS0_19identity_decomposerEEEEE10hipError_tT0_T1_T2_jT3_P12ihipStream_tbPNSt15iterator_traitsISI_E10value_typeEPNSO_ISJ_E10value_typeEPSK_NS1_7vsmem_tEENKUlT_SI_SJ_SK_E_clISD_PtSD_S10_EESH_SX_SI_SJ_SK_EUlSX_E0_NS1_11comp_targetILNS1_3genE0ELNS1_11target_archE4294967295ELNS1_3gpuE0ELNS1_3repE0EEENS1_38merge_mergepath_config_static_selectorELNS0_4arch9wavefront6targetE1EEEvSJ_
                                        ; -- End function
	.set _ZN7rocprim17ROCPRIM_400000_NS6detail17trampoline_kernelINS0_14default_configENS1_38merge_sort_block_merge_config_selectorIttEEZZNS1_27merge_sort_block_merge_implIS3_N6thrust23THRUST_200600_302600_NS6detail15normal_iteratorINS8_10device_ptrItEEEESD_jNS1_19radix_merge_compareILb0ELb0EtNS0_19identity_decomposerEEEEE10hipError_tT0_T1_T2_jT3_P12ihipStream_tbPNSt15iterator_traitsISI_E10value_typeEPNSO_ISJ_E10value_typeEPSK_NS1_7vsmem_tEENKUlT_SI_SJ_SK_E_clISD_PtSD_S10_EESH_SX_SI_SJ_SK_EUlSX_E0_NS1_11comp_targetILNS1_3genE0ELNS1_11target_archE4294967295ELNS1_3gpuE0ELNS1_3repE0EEENS1_38merge_mergepath_config_static_selectorELNS0_4arch9wavefront6targetE1EEEvSJ_.num_vgpr, 36
	.set _ZN7rocprim17ROCPRIM_400000_NS6detail17trampoline_kernelINS0_14default_configENS1_38merge_sort_block_merge_config_selectorIttEEZZNS1_27merge_sort_block_merge_implIS3_N6thrust23THRUST_200600_302600_NS6detail15normal_iteratorINS8_10device_ptrItEEEESD_jNS1_19radix_merge_compareILb0ELb0EtNS0_19identity_decomposerEEEEE10hipError_tT0_T1_T2_jT3_P12ihipStream_tbPNSt15iterator_traitsISI_E10value_typeEPNSO_ISJ_E10value_typeEPSK_NS1_7vsmem_tEENKUlT_SI_SJ_SK_E_clISD_PtSD_S10_EESH_SX_SI_SJ_SK_EUlSX_E0_NS1_11comp_targetILNS1_3genE0ELNS1_11target_archE4294967295ELNS1_3gpuE0ELNS1_3repE0EEENS1_38merge_mergepath_config_static_selectorELNS0_4arch9wavefront6targetE1EEEvSJ_.num_agpr, 0
	.set _ZN7rocprim17ROCPRIM_400000_NS6detail17trampoline_kernelINS0_14default_configENS1_38merge_sort_block_merge_config_selectorIttEEZZNS1_27merge_sort_block_merge_implIS3_N6thrust23THRUST_200600_302600_NS6detail15normal_iteratorINS8_10device_ptrItEEEESD_jNS1_19radix_merge_compareILb0ELb0EtNS0_19identity_decomposerEEEEE10hipError_tT0_T1_T2_jT3_P12ihipStream_tbPNSt15iterator_traitsISI_E10value_typeEPNSO_ISJ_E10value_typeEPSK_NS1_7vsmem_tEENKUlT_SI_SJ_SK_E_clISD_PtSD_S10_EESH_SX_SI_SJ_SK_EUlSX_E0_NS1_11comp_targetILNS1_3genE0ELNS1_11target_archE4294967295ELNS1_3gpuE0ELNS1_3repE0EEENS1_38merge_mergepath_config_static_selectorELNS0_4arch9wavefront6targetE1EEEvSJ_.numbered_sgpr, 30
	.set _ZN7rocprim17ROCPRIM_400000_NS6detail17trampoline_kernelINS0_14default_configENS1_38merge_sort_block_merge_config_selectorIttEEZZNS1_27merge_sort_block_merge_implIS3_N6thrust23THRUST_200600_302600_NS6detail15normal_iteratorINS8_10device_ptrItEEEESD_jNS1_19radix_merge_compareILb0ELb0EtNS0_19identity_decomposerEEEEE10hipError_tT0_T1_T2_jT3_P12ihipStream_tbPNSt15iterator_traitsISI_E10value_typeEPNSO_ISJ_E10value_typeEPSK_NS1_7vsmem_tEENKUlT_SI_SJ_SK_E_clISD_PtSD_S10_EESH_SX_SI_SJ_SK_EUlSX_E0_NS1_11comp_targetILNS1_3genE0ELNS1_11target_archE4294967295ELNS1_3gpuE0ELNS1_3repE0EEENS1_38merge_mergepath_config_static_selectorELNS0_4arch9wavefront6targetE1EEEvSJ_.num_named_barrier, 0
	.set _ZN7rocprim17ROCPRIM_400000_NS6detail17trampoline_kernelINS0_14default_configENS1_38merge_sort_block_merge_config_selectorIttEEZZNS1_27merge_sort_block_merge_implIS3_N6thrust23THRUST_200600_302600_NS6detail15normal_iteratorINS8_10device_ptrItEEEESD_jNS1_19radix_merge_compareILb0ELb0EtNS0_19identity_decomposerEEEEE10hipError_tT0_T1_T2_jT3_P12ihipStream_tbPNSt15iterator_traitsISI_E10value_typeEPNSO_ISJ_E10value_typeEPSK_NS1_7vsmem_tEENKUlT_SI_SJ_SK_E_clISD_PtSD_S10_EESH_SX_SI_SJ_SK_EUlSX_E0_NS1_11comp_targetILNS1_3genE0ELNS1_11target_archE4294967295ELNS1_3gpuE0ELNS1_3repE0EEENS1_38merge_mergepath_config_static_selectorELNS0_4arch9wavefront6targetE1EEEvSJ_.private_seg_size, 0
	.set _ZN7rocprim17ROCPRIM_400000_NS6detail17trampoline_kernelINS0_14default_configENS1_38merge_sort_block_merge_config_selectorIttEEZZNS1_27merge_sort_block_merge_implIS3_N6thrust23THRUST_200600_302600_NS6detail15normal_iteratorINS8_10device_ptrItEEEESD_jNS1_19radix_merge_compareILb0ELb0EtNS0_19identity_decomposerEEEEE10hipError_tT0_T1_T2_jT3_P12ihipStream_tbPNSt15iterator_traitsISI_E10value_typeEPNSO_ISJ_E10value_typeEPSK_NS1_7vsmem_tEENKUlT_SI_SJ_SK_E_clISD_PtSD_S10_EESH_SX_SI_SJ_SK_EUlSX_E0_NS1_11comp_targetILNS1_3genE0ELNS1_11target_archE4294967295ELNS1_3gpuE0ELNS1_3repE0EEENS1_38merge_mergepath_config_static_selectorELNS0_4arch9wavefront6targetE1EEEvSJ_.uses_vcc, 1
	.set _ZN7rocprim17ROCPRIM_400000_NS6detail17trampoline_kernelINS0_14default_configENS1_38merge_sort_block_merge_config_selectorIttEEZZNS1_27merge_sort_block_merge_implIS3_N6thrust23THRUST_200600_302600_NS6detail15normal_iteratorINS8_10device_ptrItEEEESD_jNS1_19radix_merge_compareILb0ELb0EtNS0_19identity_decomposerEEEEE10hipError_tT0_T1_T2_jT3_P12ihipStream_tbPNSt15iterator_traitsISI_E10value_typeEPNSO_ISJ_E10value_typeEPSK_NS1_7vsmem_tEENKUlT_SI_SJ_SK_E_clISD_PtSD_S10_EESH_SX_SI_SJ_SK_EUlSX_E0_NS1_11comp_targetILNS1_3genE0ELNS1_11target_archE4294967295ELNS1_3gpuE0ELNS1_3repE0EEENS1_38merge_mergepath_config_static_selectorELNS0_4arch9wavefront6targetE1EEEvSJ_.uses_flat_scratch, 0
	.set _ZN7rocprim17ROCPRIM_400000_NS6detail17trampoline_kernelINS0_14default_configENS1_38merge_sort_block_merge_config_selectorIttEEZZNS1_27merge_sort_block_merge_implIS3_N6thrust23THRUST_200600_302600_NS6detail15normal_iteratorINS8_10device_ptrItEEEESD_jNS1_19radix_merge_compareILb0ELb0EtNS0_19identity_decomposerEEEEE10hipError_tT0_T1_T2_jT3_P12ihipStream_tbPNSt15iterator_traitsISI_E10value_typeEPNSO_ISJ_E10value_typeEPSK_NS1_7vsmem_tEENKUlT_SI_SJ_SK_E_clISD_PtSD_S10_EESH_SX_SI_SJ_SK_EUlSX_E0_NS1_11comp_targetILNS1_3genE0ELNS1_11target_archE4294967295ELNS1_3gpuE0ELNS1_3repE0EEENS1_38merge_mergepath_config_static_selectorELNS0_4arch9wavefront6targetE1EEEvSJ_.has_dyn_sized_stack, 0
	.set _ZN7rocprim17ROCPRIM_400000_NS6detail17trampoline_kernelINS0_14default_configENS1_38merge_sort_block_merge_config_selectorIttEEZZNS1_27merge_sort_block_merge_implIS3_N6thrust23THRUST_200600_302600_NS6detail15normal_iteratorINS8_10device_ptrItEEEESD_jNS1_19radix_merge_compareILb0ELb0EtNS0_19identity_decomposerEEEEE10hipError_tT0_T1_T2_jT3_P12ihipStream_tbPNSt15iterator_traitsISI_E10value_typeEPNSO_ISJ_E10value_typeEPSK_NS1_7vsmem_tEENKUlT_SI_SJ_SK_E_clISD_PtSD_S10_EESH_SX_SI_SJ_SK_EUlSX_E0_NS1_11comp_targetILNS1_3genE0ELNS1_11target_archE4294967295ELNS1_3gpuE0ELNS1_3repE0EEENS1_38merge_mergepath_config_static_selectorELNS0_4arch9wavefront6targetE1EEEvSJ_.has_recursion, 0
	.set _ZN7rocprim17ROCPRIM_400000_NS6detail17trampoline_kernelINS0_14default_configENS1_38merge_sort_block_merge_config_selectorIttEEZZNS1_27merge_sort_block_merge_implIS3_N6thrust23THRUST_200600_302600_NS6detail15normal_iteratorINS8_10device_ptrItEEEESD_jNS1_19radix_merge_compareILb0ELb0EtNS0_19identity_decomposerEEEEE10hipError_tT0_T1_T2_jT3_P12ihipStream_tbPNSt15iterator_traitsISI_E10value_typeEPNSO_ISJ_E10value_typeEPSK_NS1_7vsmem_tEENKUlT_SI_SJ_SK_E_clISD_PtSD_S10_EESH_SX_SI_SJ_SK_EUlSX_E0_NS1_11comp_targetILNS1_3genE0ELNS1_11target_archE4294967295ELNS1_3gpuE0ELNS1_3repE0EEENS1_38merge_mergepath_config_static_selectorELNS0_4arch9wavefront6targetE1EEEvSJ_.has_indirect_call, 0
	.section	.AMDGPU.csdata,"",@progbits
; Kernel info:
; codeLenInByte = 5452
; TotalNumSgprs: 36
; NumVgprs: 36
; NumAgprs: 0
; TotalNumVgprs: 36
; ScratchSize: 0
; MemoryBound: 0
; FloatMode: 240
; IeeeMode: 1
; LDSByteSize: 2112 bytes/workgroup (compile time only)
; SGPRBlocks: 4
; VGPRBlocks: 4
; NumSGPRsForWavesPerEU: 36
; NumVGPRsForWavesPerEU: 36
; AccumOffset: 36
; Occupancy: 8
; WaveLimiterHint : 1
; COMPUTE_PGM_RSRC2:SCRATCH_EN: 0
; COMPUTE_PGM_RSRC2:USER_SGPR: 2
; COMPUTE_PGM_RSRC2:TRAP_HANDLER: 0
; COMPUTE_PGM_RSRC2:TGID_X_EN: 1
; COMPUTE_PGM_RSRC2:TGID_Y_EN: 1
; COMPUTE_PGM_RSRC2:TGID_Z_EN: 1
; COMPUTE_PGM_RSRC2:TIDIG_COMP_CNT: 0
; COMPUTE_PGM_RSRC3_GFX90A:ACCUM_OFFSET: 8
; COMPUTE_PGM_RSRC3_GFX90A:TG_SPLIT: 0
	.section	.text._ZN7rocprim17ROCPRIM_400000_NS6detail17trampoline_kernelINS0_14default_configENS1_38merge_sort_block_merge_config_selectorIttEEZZNS1_27merge_sort_block_merge_implIS3_N6thrust23THRUST_200600_302600_NS6detail15normal_iteratorINS8_10device_ptrItEEEESD_jNS1_19radix_merge_compareILb0ELb0EtNS0_19identity_decomposerEEEEE10hipError_tT0_T1_T2_jT3_P12ihipStream_tbPNSt15iterator_traitsISI_E10value_typeEPNSO_ISJ_E10value_typeEPSK_NS1_7vsmem_tEENKUlT_SI_SJ_SK_E_clISD_PtSD_S10_EESH_SX_SI_SJ_SK_EUlSX_E0_NS1_11comp_targetILNS1_3genE10ELNS1_11target_archE1201ELNS1_3gpuE5ELNS1_3repE0EEENS1_38merge_mergepath_config_static_selectorELNS0_4arch9wavefront6targetE1EEEvSJ_,"axG",@progbits,_ZN7rocprim17ROCPRIM_400000_NS6detail17trampoline_kernelINS0_14default_configENS1_38merge_sort_block_merge_config_selectorIttEEZZNS1_27merge_sort_block_merge_implIS3_N6thrust23THRUST_200600_302600_NS6detail15normal_iteratorINS8_10device_ptrItEEEESD_jNS1_19radix_merge_compareILb0ELb0EtNS0_19identity_decomposerEEEEE10hipError_tT0_T1_T2_jT3_P12ihipStream_tbPNSt15iterator_traitsISI_E10value_typeEPNSO_ISJ_E10value_typeEPSK_NS1_7vsmem_tEENKUlT_SI_SJ_SK_E_clISD_PtSD_S10_EESH_SX_SI_SJ_SK_EUlSX_E0_NS1_11comp_targetILNS1_3genE10ELNS1_11target_archE1201ELNS1_3gpuE5ELNS1_3repE0EEENS1_38merge_mergepath_config_static_selectorELNS0_4arch9wavefront6targetE1EEEvSJ_,comdat
	.protected	_ZN7rocprim17ROCPRIM_400000_NS6detail17trampoline_kernelINS0_14default_configENS1_38merge_sort_block_merge_config_selectorIttEEZZNS1_27merge_sort_block_merge_implIS3_N6thrust23THRUST_200600_302600_NS6detail15normal_iteratorINS8_10device_ptrItEEEESD_jNS1_19radix_merge_compareILb0ELb0EtNS0_19identity_decomposerEEEEE10hipError_tT0_T1_T2_jT3_P12ihipStream_tbPNSt15iterator_traitsISI_E10value_typeEPNSO_ISJ_E10value_typeEPSK_NS1_7vsmem_tEENKUlT_SI_SJ_SK_E_clISD_PtSD_S10_EESH_SX_SI_SJ_SK_EUlSX_E0_NS1_11comp_targetILNS1_3genE10ELNS1_11target_archE1201ELNS1_3gpuE5ELNS1_3repE0EEENS1_38merge_mergepath_config_static_selectorELNS0_4arch9wavefront6targetE1EEEvSJ_ ; -- Begin function _ZN7rocprim17ROCPRIM_400000_NS6detail17trampoline_kernelINS0_14default_configENS1_38merge_sort_block_merge_config_selectorIttEEZZNS1_27merge_sort_block_merge_implIS3_N6thrust23THRUST_200600_302600_NS6detail15normal_iteratorINS8_10device_ptrItEEEESD_jNS1_19radix_merge_compareILb0ELb0EtNS0_19identity_decomposerEEEEE10hipError_tT0_T1_T2_jT3_P12ihipStream_tbPNSt15iterator_traitsISI_E10value_typeEPNSO_ISJ_E10value_typeEPSK_NS1_7vsmem_tEENKUlT_SI_SJ_SK_E_clISD_PtSD_S10_EESH_SX_SI_SJ_SK_EUlSX_E0_NS1_11comp_targetILNS1_3genE10ELNS1_11target_archE1201ELNS1_3gpuE5ELNS1_3repE0EEENS1_38merge_mergepath_config_static_selectorELNS0_4arch9wavefront6targetE1EEEvSJ_
	.globl	_ZN7rocprim17ROCPRIM_400000_NS6detail17trampoline_kernelINS0_14default_configENS1_38merge_sort_block_merge_config_selectorIttEEZZNS1_27merge_sort_block_merge_implIS3_N6thrust23THRUST_200600_302600_NS6detail15normal_iteratorINS8_10device_ptrItEEEESD_jNS1_19radix_merge_compareILb0ELb0EtNS0_19identity_decomposerEEEEE10hipError_tT0_T1_T2_jT3_P12ihipStream_tbPNSt15iterator_traitsISI_E10value_typeEPNSO_ISJ_E10value_typeEPSK_NS1_7vsmem_tEENKUlT_SI_SJ_SK_E_clISD_PtSD_S10_EESH_SX_SI_SJ_SK_EUlSX_E0_NS1_11comp_targetILNS1_3genE10ELNS1_11target_archE1201ELNS1_3gpuE5ELNS1_3repE0EEENS1_38merge_mergepath_config_static_selectorELNS0_4arch9wavefront6targetE1EEEvSJ_
	.p2align	8
	.type	_ZN7rocprim17ROCPRIM_400000_NS6detail17trampoline_kernelINS0_14default_configENS1_38merge_sort_block_merge_config_selectorIttEEZZNS1_27merge_sort_block_merge_implIS3_N6thrust23THRUST_200600_302600_NS6detail15normal_iteratorINS8_10device_ptrItEEEESD_jNS1_19radix_merge_compareILb0ELb0EtNS0_19identity_decomposerEEEEE10hipError_tT0_T1_T2_jT3_P12ihipStream_tbPNSt15iterator_traitsISI_E10value_typeEPNSO_ISJ_E10value_typeEPSK_NS1_7vsmem_tEENKUlT_SI_SJ_SK_E_clISD_PtSD_S10_EESH_SX_SI_SJ_SK_EUlSX_E0_NS1_11comp_targetILNS1_3genE10ELNS1_11target_archE1201ELNS1_3gpuE5ELNS1_3repE0EEENS1_38merge_mergepath_config_static_selectorELNS0_4arch9wavefront6targetE1EEEvSJ_,@function
_ZN7rocprim17ROCPRIM_400000_NS6detail17trampoline_kernelINS0_14default_configENS1_38merge_sort_block_merge_config_selectorIttEEZZNS1_27merge_sort_block_merge_implIS3_N6thrust23THRUST_200600_302600_NS6detail15normal_iteratorINS8_10device_ptrItEEEESD_jNS1_19radix_merge_compareILb0ELb0EtNS0_19identity_decomposerEEEEE10hipError_tT0_T1_T2_jT3_P12ihipStream_tbPNSt15iterator_traitsISI_E10value_typeEPNSO_ISJ_E10value_typeEPSK_NS1_7vsmem_tEENKUlT_SI_SJ_SK_E_clISD_PtSD_S10_EESH_SX_SI_SJ_SK_EUlSX_E0_NS1_11comp_targetILNS1_3genE10ELNS1_11target_archE1201ELNS1_3gpuE5ELNS1_3repE0EEENS1_38merge_mergepath_config_static_selectorELNS0_4arch9wavefront6targetE1EEEvSJ_: ; @_ZN7rocprim17ROCPRIM_400000_NS6detail17trampoline_kernelINS0_14default_configENS1_38merge_sort_block_merge_config_selectorIttEEZZNS1_27merge_sort_block_merge_implIS3_N6thrust23THRUST_200600_302600_NS6detail15normal_iteratorINS8_10device_ptrItEEEESD_jNS1_19radix_merge_compareILb0ELb0EtNS0_19identity_decomposerEEEEE10hipError_tT0_T1_T2_jT3_P12ihipStream_tbPNSt15iterator_traitsISI_E10value_typeEPNSO_ISJ_E10value_typeEPSK_NS1_7vsmem_tEENKUlT_SI_SJ_SK_E_clISD_PtSD_S10_EESH_SX_SI_SJ_SK_EUlSX_E0_NS1_11comp_targetILNS1_3genE10ELNS1_11target_archE1201ELNS1_3gpuE5ELNS1_3repE0EEENS1_38merge_mergepath_config_static_selectorELNS0_4arch9wavefront6targetE1EEEvSJ_
; %bb.0:
	.section	.rodata,"a",@progbits
	.p2align	6, 0x0
	.amdhsa_kernel _ZN7rocprim17ROCPRIM_400000_NS6detail17trampoline_kernelINS0_14default_configENS1_38merge_sort_block_merge_config_selectorIttEEZZNS1_27merge_sort_block_merge_implIS3_N6thrust23THRUST_200600_302600_NS6detail15normal_iteratorINS8_10device_ptrItEEEESD_jNS1_19radix_merge_compareILb0ELb0EtNS0_19identity_decomposerEEEEE10hipError_tT0_T1_T2_jT3_P12ihipStream_tbPNSt15iterator_traitsISI_E10value_typeEPNSO_ISJ_E10value_typeEPSK_NS1_7vsmem_tEENKUlT_SI_SJ_SK_E_clISD_PtSD_S10_EESH_SX_SI_SJ_SK_EUlSX_E0_NS1_11comp_targetILNS1_3genE10ELNS1_11target_archE1201ELNS1_3gpuE5ELNS1_3repE0EEENS1_38merge_mergepath_config_static_selectorELNS0_4arch9wavefront6targetE1EEEvSJ_
		.amdhsa_group_segment_fixed_size 0
		.amdhsa_private_segment_fixed_size 0
		.amdhsa_kernarg_size 64
		.amdhsa_user_sgpr_count 2
		.amdhsa_user_sgpr_dispatch_ptr 0
		.amdhsa_user_sgpr_queue_ptr 0
		.amdhsa_user_sgpr_kernarg_segment_ptr 1
		.amdhsa_user_sgpr_dispatch_id 0
		.amdhsa_user_sgpr_kernarg_preload_length 0
		.amdhsa_user_sgpr_kernarg_preload_offset 0
		.amdhsa_user_sgpr_private_segment_size 0
		.amdhsa_uses_dynamic_stack 0
		.amdhsa_enable_private_segment 0
		.amdhsa_system_sgpr_workgroup_id_x 1
		.amdhsa_system_sgpr_workgroup_id_y 0
		.amdhsa_system_sgpr_workgroup_id_z 0
		.amdhsa_system_sgpr_workgroup_info 0
		.amdhsa_system_vgpr_workitem_id 0
		.amdhsa_next_free_vgpr 1
		.amdhsa_next_free_sgpr 0
		.amdhsa_accum_offset 4
		.amdhsa_reserve_vcc 0
		.amdhsa_float_round_mode_32 0
		.amdhsa_float_round_mode_16_64 0
		.amdhsa_float_denorm_mode_32 3
		.amdhsa_float_denorm_mode_16_64 3
		.amdhsa_dx10_clamp 1
		.amdhsa_ieee_mode 1
		.amdhsa_fp16_overflow 0
		.amdhsa_tg_split 0
		.amdhsa_exception_fp_ieee_invalid_op 0
		.amdhsa_exception_fp_denorm_src 0
		.amdhsa_exception_fp_ieee_div_zero 0
		.amdhsa_exception_fp_ieee_overflow 0
		.amdhsa_exception_fp_ieee_underflow 0
		.amdhsa_exception_fp_ieee_inexact 0
		.amdhsa_exception_int_div_zero 0
	.end_amdhsa_kernel
	.section	.text._ZN7rocprim17ROCPRIM_400000_NS6detail17trampoline_kernelINS0_14default_configENS1_38merge_sort_block_merge_config_selectorIttEEZZNS1_27merge_sort_block_merge_implIS3_N6thrust23THRUST_200600_302600_NS6detail15normal_iteratorINS8_10device_ptrItEEEESD_jNS1_19radix_merge_compareILb0ELb0EtNS0_19identity_decomposerEEEEE10hipError_tT0_T1_T2_jT3_P12ihipStream_tbPNSt15iterator_traitsISI_E10value_typeEPNSO_ISJ_E10value_typeEPSK_NS1_7vsmem_tEENKUlT_SI_SJ_SK_E_clISD_PtSD_S10_EESH_SX_SI_SJ_SK_EUlSX_E0_NS1_11comp_targetILNS1_3genE10ELNS1_11target_archE1201ELNS1_3gpuE5ELNS1_3repE0EEENS1_38merge_mergepath_config_static_selectorELNS0_4arch9wavefront6targetE1EEEvSJ_,"axG",@progbits,_ZN7rocprim17ROCPRIM_400000_NS6detail17trampoline_kernelINS0_14default_configENS1_38merge_sort_block_merge_config_selectorIttEEZZNS1_27merge_sort_block_merge_implIS3_N6thrust23THRUST_200600_302600_NS6detail15normal_iteratorINS8_10device_ptrItEEEESD_jNS1_19radix_merge_compareILb0ELb0EtNS0_19identity_decomposerEEEEE10hipError_tT0_T1_T2_jT3_P12ihipStream_tbPNSt15iterator_traitsISI_E10value_typeEPNSO_ISJ_E10value_typeEPSK_NS1_7vsmem_tEENKUlT_SI_SJ_SK_E_clISD_PtSD_S10_EESH_SX_SI_SJ_SK_EUlSX_E0_NS1_11comp_targetILNS1_3genE10ELNS1_11target_archE1201ELNS1_3gpuE5ELNS1_3repE0EEENS1_38merge_mergepath_config_static_selectorELNS0_4arch9wavefront6targetE1EEEvSJ_,comdat
.Lfunc_end875:
	.size	_ZN7rocprim17ROCPRIM_400000_NS6detail17trampoline_kernelINS0_14default_configENS1_38merge_sort_block_merge_config_selectorIttEEZZNS1_27merge_sort_block_merge_implIS3_N6thrust23THRUST_200600_302600_NS6detail15normal_iteratorINS8_10device_ptrItEEEESD_jNS1_19radix_merge_compareILb0ELb0EtNS0_19identity_decomposerEEEEE10hipError_tT0_T1_T2_jT3_P12ihipStream_tbPNSt15iterator_traitsISI_E10value_typeEPNSO_ISJ_E10value_typeEPSK_NS1_7vsmem_tEENKUlT_SI_SJ_SK_E_clISD_PtSD_S10_EESH_SX_SI_SJ_SK_EUlSX_E0_NS1_11comp_targetILNS1_3genE10ELNS1_11target_archE1201ELNS1_3gpuE5ELNS1_3repE0EEENS1_38merge_mergepath_config_static_selectorELNS0_4arch9wavefront6targetE1EEEvSJ_, .Lfunc_end875-_ZN7rocprim17ROCPRIM_400000_NS6detail17trampoline_kernelINS0_14default_configENS1_38merge_sort_block_merge_config_selectorIttEEZZNS1_27merge_sort_block_merge_implIS3_N6thrust23THRUST_200600_302600_NS6detail15normal_iteratorINS8_10device_ptrItEEEESD_jNS1_19radix_merge_compareILb0ELb0EtNS0_19identity_decomposerEEEEE10hipError_tT0_T1_T2_jT3_P12ihipStream_tbPNSt15iterator_traitsISI_E10value_typeEPNSO_ISJ_E10value_typeEPSK_NS1_7vsmem_tEENKUlT_SI_SJ_SK_E_clISD_PtSD_S10_EESH_SX_SI_SJ_SK_EUlSX_E0_NS1_11comp_targetILNS1_3genE10ELNS1_11target_archE1201ELNS1_3gpuE5ELNS1_3repE0EEENS1_38merge_mergepath_config_static_selectorELNS0_4arch9wavefront6targetE1EEEvSJ_
                                        ; -- End function
	.set _ZN7rocprim17ROCPRIM_400000_NS6detail17trampoline_kernelINS0_14default_configENS1_38merge_sort_block_merge_config_selectorIttEEZZNS1_27merge_sort_block_merge_implIS3_N6thrust23THRUST_200600_302600_NS6detail15normal_iteratorINS8_10device_ptrItEEEESD_jNS1_19radix_merge_compareILb0ELb0EtNS0_19identity_decomposerEEEEE10hipError_tT0_T1_T2_jT3_P12ihipStream_tbPNSt15iterator_traitsISI_E10value_typeEPNSO_ISJ_E10value_typeEPSK_NS1_7vsmem_tEENKUlT_SI_SJ_SK_E_clISD_PtSD_S10_EESH_SX_SI_SJ_SK_EUlSX_E0_NS1_11comp_targetILNS1_3genE10ELNS1_11target_archE1201ELNS1_3gpuE5ELNS1_3repE0EEENS1_38merge_mergepath_config_static_selectorELNS0_4arch9wavefront6targetE1EEEvSJ_.num_vgpr, 0
	.set _ZN7rocprim17ROCPRIM_400000_NS6detail17trampoline_kernelINS0_14default_configENS1_38merge_sort_block_merge_config_selectorIttEEZZNS1_27merge_sort_block_merge_implIS3_N6thrust23THRUST_200600_302600_NS6detail15normal_iteratorINS8_10device_ptrItEEEESD_jNS1_19radix_merge_compareILb0ELb0EtNS0_19identity_decomposerEEEEE10hipError_tT0_T1_T2_jT3_P12ihipStream_tbPNSt15iterator_traitsISI_E10value_typeEPNSO_ISJ_E10value_typeEPSK_NS1_7vsmem_tEENKUlT_SI_SJ_SK_E_clISD_PtSD_S10_EESH_SX_SI_SJ_SK_EUlSX_E0_NS1_11comp_targetILNS1_3genE10ELNS1_11target_archE1201ELNS1_3gpuE5ELNS1_3repE0EEENS1_38merge_mergepath_config_static_selectorELNS0_4arch9wavefront6targetE1EEEvSJ_.num_agpr, 0
	.set _ZN7rocprim17ROCPRIM_400000_NS6detail17trampoline_kernelINS0_14default_configENS1_38merge_sort_block_merge_config_selectorIttEEZZNS1_27merge_sort_block_merge_implIS3_N6thrust23THRUST_200600_302600_NS6detail15normal_iteratorINS8_10device_ptrItEEEESD_jNS1_19radix_merge_compareILb0ELb0EtNS0_19identity_decomposerEEEEE10hipError_tT0_T1_T2_jT3_P12ihipStream_tbPNSt15iterator_traitsISI_E10value_typeEPNSO_ISJ_E10value_typeEPSK_NS1_7vsmem_tEENKUlT_SI_SJ_SK_E_clISD_PtSD_S10_EESH_SX_SI_SJ_SK_EUlSX_E0_NS1_11comp_targetILNS1_3genE10ELNS1_11target_archE1201ELNS1_3gpuE5ELNS1_3repE0EEENS1_38merge_mergepath_config_static_selectorELNS0_4arch9wavefront6targetE1EEEvSJ_.numbered_sgpr, 0
	.set _ZN7rocprim17ROCPRIM_400000_NS6detail17trampoline_kernelINS0_14default_configENS1_38merge_sort_block_merge_config_selectorIttEEZZNS1_27merge_sort_block_merge_implIS3_N6thrust23THRUST_200600_302600_NS6detail15normal_iteratorINS8_10device_ptrItEEEESD_jNS1_19radix_merge_compareILb0ELb0EtNS0_19identity_decomposerEEEEE10hipError_tT0_T1_T2_jT3_P12ihipStream_tbPNSt15iterator_traitsISI_E10value_typeEPNSO_ISJ_E10value_typeEPSK_NS1_7vsmem_tEENKUlT_SI_SJ_SK_E_clISD_PtSD_S10_EESH_SX_SI_SJ_SK_EUlSX_E0_NS1_11comp_targetILNS1_3genE10ELNS1_11target_archE1201ELNS1_3gpuE5ELNS1_3repE0EEENS1_38merge_mergepath_config_static_selectorELNS0_4arch9wavefront6targetE1EEEvSJ_.num_named_barrier, 0
	.set _ZN7rocprim17ROCPRIM_400000_NS6detail17trampoline_kernelINS0_14default_configENS1_38merge_sort_block_merge_config_selectorIttEEZZNS1_27merge_sort_block_merge_implIS3_N6thrust23THRUST_200600_302600_NS6detail15normal_iteratorINS8_10device_ptrItEEEESD_jNS1_19radix_merge_compareILb0ELb0EtNS0_19identity_decomposerEEEEE10hipError_tT0_T1_T2_jT3_P12ihipStream_tbPNSt15iterator_traitsISI_E10value_typeEPNSO_ISJ_E10value_typeEPSK_NS1_7vsmem_tEENKUlT_SI_SJ_SK_E_clISD_PtSD_S10_EESH_SX_SI_SJ_SK_EUlSX_E0_NS1_11comp_targetILNS1_3genE10ELNS1_11target_archE1201ELNS1_3gpuE5ELNS1_3repE0EEENS1_38merge_mergepath_config_static_selectorELNS0_4arch9wavefront6targetE1EEEvSJ_.private_seg_size, 0
	.set _ZN7rocprim17ROCPRIM_400000_NS6detail17trampoline_kernelINS0_14default_configENS1_38merge_sort_block_merge_config_selectorIttEEZZNS1_27merge_sort_block_merge_implIS3_N6thrust23THRUST_200600_302600_NS6detail15normal_iteratorINS8_10device_ptrItEEEESD_jNS1_19radix_merge_compareILb0ELb0EtNS0_19identity_decomposerEEEEE10hipError_tT0_T1_T2_jT3_P12ihipStream_tbPNSt15iterator_traitsISI_E10value_typeEPNSO_ISJ_E10value_typeEPSK_NS1_7vsmem_tEENKUlT_SI_SJ_SK_E_clISD_PtSD_S10_EESH_SX_SI_SJ_SK_EUlSX_E0_NS1_11comp_targetILNS1_3genE10ELNS1_11target_archE1201ELNS1_3gpuE5ELNS1_3repE0EEENS1_38merge_mergepath_config_static_selectorELNS0_4arch9wavefront6targetE1EEEvSJ_.uses_vcc, 0
	.set _ZN7rocprim17ROCPRIM_400000_NS6detail17trampoline_kernelINS0_14default_configENS1_38merge_sort_block_merge_config_selectorIttEEZZNS1_27merge_sort_block_merge_implIS3_N6thrust23THRUST_200600_302600_NS6detail15normal_iteratorINS8_10device_ptrItEEEESD_jNS1_19radix_merge_compareILb0ELb0EtNS0_19identity_decomposerEEEEE10hipError_tT0_T1_T2_jT3_P12ihipStream_tbPNSt15iterator_traitsISI_E10value_typeEPNSO_ISJ_E10value_typeEPSK_NS1_7vsmem_tEENKUlT_SI_SJ_SK_E_clISD_PtSD_S10_EESH_SX_SI_SJ_SK_EUlSX_E0_NS1_11comp_targetILNS1_3genE10ELNS1_11target_archE1201ELNS1_3gpuE5ELNS1_3repE0EEENS1_38merge_mergepath_config_static_selectorELNS0_4arch9wavefront6targetE1EEEvSJ_.uses_flat_scratch, 0
	.set _ZN7rocprim17ROCPRIM_400000_NS6detail17trampoline_kernelINS0_14default_configENS1_38merge_sort_block_merge_config_selectorIttEEZZNS1_27merge_sort_block_merge_implIS3_N6thrust23THRUST_200600_302600_NS6detail15normal_iteratorINS8_10device_ptrItEEEESD_jNS1_19radix_merge_compareILb0ELb0EtNS0_19identity_decomposerEEEEE10hipError_tT0_T1_T2_jT3_P12ihipStream_tbPNSt15iterator_traitsISI_E10value_typeEPNSO_ISJ_E10value_typeEPSK_NS1_7vsmem_tEENKUlT_SI_SJ_SK_E_clISD_PtSD_S10_EESH_SX_SI_SJ_SK_EUlSX_E0_NS1_11comp_targetILNS1_3genE10ELNS1_11target_archE1201ELNS1_3gpuE5ELNS1_3repE0EEENS1_38merge_mergepath_config_static_selectorELNS0_4arch9wavefront6targetE1EEEvSJ_.has_dyn_sized_stack, 0
	.set _ZN7rocprim17ROCPRIM_400000_NS6detail17trampoline_kernelINS0_14default_configENS1_38merge_sort_block_merge_config_selectorIttEEZZNS1_27merge_sort_block_merge_implIS3_N6thrust23THRUST_200600_302600_NS6detail15normal_iteratorINS8_10device_ptrItEEEESD_jNS1_19radix_merge_compareILb0ELb0EtNS0_19identity_decomposerEEEEE10hipError_tT0_T1_T2_jT3_P12ihipStream_tbPNSt15iterator_traitsISI_E10value_typeEPNSO_ISJ_E10value_typeEPSK_NS1_7vsmem_tEENKUlT_SI_SJ_SK_E_clISD_PtSD_S10_EESH_SX_SI_SJ_SK_EUlSX_E0_NS1_11comp_targetILNS1_3genE10ELNS1_11target_archE1201ELNS1_3gpuE5ELNS1_3repE0EEENS1_38merge_mergepath_config_static_selectorELNS0_4arch9wavefront6targetE1EEEvSJ_.has_recursion, 0
	.set _ZN7rocprim17ROCPRIM_400000_NS6detail17trampoline_kernelINS0_14default_configENS1_38merge_sort_block_merge_config_selectorIttEEZZNS1_27merge_sort_block_merge_implIS3_N6thrust23THRUST_200600_302600_NS6detail15normal_iteratorINS8_10device_ptrItEEEESD_jNS1_19radix_merge_compareILb0ELb0EtNS0_19identity_decomposerEEEEE10hipError_tT0_T1_T2_jT3_P12ihipStream_tbPNSt15iterator_traitsISI_E10value_typeEPNSO_ISJ_E10value_typeEPSK_NS1_7vsmem_tEENKUlT_SI_SJ_SK_E_clISD_PtSD_S10_EESH_SX_SI_SJ_SK_EUlSX_E0_NS1_11comp_targetILNS1_3genE10ELNS1_11target_archE1201ELNS1_3gpuE5ELNS1_3repE0EEENS1_38merge_mergepath_config_static_selectorELNS0_4arch9wavefront6targetE1EEEvSJ_.has_indirect_call, 0
	.section	.AMDGPU.csdata,"",@progbits
; Kernel info:
; codeLenInByte = 0
; TotalNumSgprs: 6
; NumVgprs: 0
; NumAgprs: 0
; TotalNumVgprs: 0
; ScratchSize: 0
; MemoryBound: 0
; FloatMode: 240
; IeeeMode: 1
; LDSByteSize: 0 bytes/workgroup (compile time only)
; SGPRBlocks: 0
; VGPRBlocks: 0
; NumSGPRsForWavesPerEU: 6
; NumVGPRsForWavesPerEU: 1
; AccumOffset: 4
; Occupancy: 8
; WaveLimiterHint : 0
; COMPUTE_PGM_RSRC2:SCRATCH_EN: 0
; COMPUTE_PGM_RSRC2:USER_SGPR: 2
; COMPUTE_PGM_RSRC2:TRAP_HANDLER: 0
; COMPUTE_PGM_RSRC2:TGID_X_EN: 1
; COMPUTE_PGM_RSRC2:TGID_Y_EN: 0
; COMPUTE_PGM_RSRC2:TGID_Z_EN: 0
; COMPUTE_PGM_RSRC2:TIDIG_COMP_CNT: 0
; COMPUTE_PGM_RSRC3_GFX90A:ACCUM_OFFSET: 0
; COMPUTE_PGM_RSRC3_GFX90A:TG_SPLIT: 0
	.section	.text._ZN7rocprim17ROCPRIM_400000_NS6detail17trampoline_kernelINS0_14default_configENS1_38merge_sort_block_merge_config_selectorIttEEZZNS1_27merge_sort_block_merge_implIS3_N6thrust23THRUST_200600_302600_NS6detail15normal_iteratorINS8_10device_ptrItEEEESD_jNS1_19radix_merge_compareILb0ELb0EtNS0_19identity_decomposerEEEEE10hipError_tT0_T1_T2_jT3_P12ihipStream_tbPNSt15iterator_traitsISI_E10value_typeEPNSO_ISJ_E10value_typeEPSK_NS1_7vsmem_tEENKUlT_SI_SJ_SK_E_clISD_PtSD_S10_EESH_SX_SI_SJ_SK_EUlSX_E0_NS1_11comp_targetILNS1_3genE5ELNS1_11target_archE942ELNS1_3gpuE9ELNS1_3repE0EEENS1_38merge_mergepath_config_static_selectorELNS0_4arch9wavefront6targetE1EEEvSJ_,"axG",@progbits,_ZN7rocprim17ROCPRIM_400000_NS6detail17trampoline_kernelINS0_14default_configENS1_38merge_sort_block_merge_config_selectorIttEEZZNS1_27merge_sort_block_merge_implIS3_N6thrust23THRUST_200600_302600_NS6detail15normal_iteratorINS8_10device_ptrItEEEESD_jNS1_19radix_merge_compareILb0ELb0EtNS0_19identity_decomposerEEEEE10hipError_tT0_T1_T2_jT3_P12ihipStream_tbPNSt15iterator_traitsISI_E10value_typeEPNSO_ISJ_E10value_typeEPSK_NS1_7vsmem_tEENKUlT_SI_SJ_SK_E_clISD_PtSD_S10_EESH_SX_SI_SJ_SK_EUlSX_E0_NS1_11comp_targetILNS1_3genE5ELNS1_11target_archE942ELNS1_3gpuE9ELNS1_3repE0EEENS1_38merge_mergepath_config_static_selectorELNS0_4arch9wavefront6targetE1EEEvSJ_,comdat
	.protected	_ZN7rocprim17ROCPRIM_400000_NS6detail17trampoline_kernelINS0_14default_configENS1_38merge_sort_block_merge_config_selectorIttEEZZNS1_27merge_sort_block_merge_implIS3_N6thrust23THRUST_200600_302600_NS6detail15normal_iteratorINS8_10device_ptrItEEEESD_jNS1_19radix_merge_compareILb0ELb0EtNS0_19identity_decomposerEEEEE10hipError_tT0_T1_T2_jT3_P12ihipStream_tbPNSt15iterator_traitsISI_E10value_typeEPNSO_ISJ_E10value_typeEPSK_NS1_7vsmem_tEENKUlT_SI_SJ_SK_E_clISD_PtSD_S10_EESH_SX_SI_SJ_SK_EUlSX_E0_NS1_11comp_targetILNS1_3genE5ELNS1_11target_archE942ELNS1_3gpuE9ELNS1_3repE0EEENS1_38merge_mergepath_config_static_selectorELNS0_4arch9wavefront6targetE1EEEvSJ_ ; -- Begin function _ZN7rocprim17ROCPRIM_400000_NS6detail17trampoline_kernelINS0_14default_configENS1_38merge_sort_block_merge_config_selectorIttEEZZNS1_27merge_sort_block_merge_implIS3_N6thrust23THRUST_200600_302600_NS6detail15normal_iteratorINS8_10device_ptrItEEEESD_jNS1_19radix_merge_compareILb0ELb0EtNS0_19identity_decomposerEEEEE10hipError_tT0_T1_T2_jT3_P12ihipStream_tbPNSt15iterator_traitsISI_E10value_typeEPNSO_ISJ_E10value_typeEPSK_NS1_7vsmem_tEENKUlT_SI_SJ_SK_E_clISD_PtSD_S10_EESH_SX_SI_SJ_SK_EUlSX_E0_NS1_11comp_targetILNS1_3genE5ELNS1_11target_archE942ELNS1_3gpuE9ELNS1_3repE0EEENS1_38merge_mergepath_config_static_selectorELNS0_4arch9wavefront6targetE1EEEvSJ_
	.globl	_ZN7rocprim17ROCPRIM_400000_NS6detail17trampoline_kernelINS0_14default_configENS1_38merge_sort_block_merge_config_selectorIttEEZZNS1_27merge_sort_block_merge_implIS3_N6thrust23THRUST_200600_302600_NS6detail15normal_iteratorINS8_10device_ptrItEEEESD_jNS1_19radix_merge_compareILb0ELb0EtNS0_19identity_decomposerEEEEE10hipError_tT0_T1_T2_jT3_P12ihipStream_tbPNSt15iterator_traitsISI_E10value_typeEPNSO_ISJ_E10value_typeEPSK_NS1_7vsmem_tEENKUlT_SI_SJ_SK_E_clISD_PtSD_S10_EESH_SX_SI_SJ_SK_EUlSX_E0_NS1_11comp_targetILNS1_3genE5ELNS1_11target_archE942ELNS1_3gpuE9ELNS1_3repE0EEENS1_38merge_mergepath_config_static_selectorELNS0_4arch9wavefront6targetE1EEEvSJ_
	.p2align	8
	.type	_ZN7rocprim17ROCPRIM_400000_NS6detail17trampoline_kernelINS0_14default_configENS1_38merge_sort_block_merge_config_selectorIttEEZZNS1_27merge_sort_block_merge_implIS3_N6thrust23THRUST_200600_302600_NS6detail15normal_iteratorINS8_10device_ptrItEEEESD_jNS1_19radix_merge_compareILb0ELb0EtNS0_19identity_decomposerEEEEE10hipError_tT0_T1_T2_jT3_P12ihipStream_tbPNSt15iterator_traitsISI_E10value_typeEPNSO_ISJ_E10value_typeEPSK_NS1_7vsmem_tEENKUlT_SI_SJ_SK_E_clISD_PtSD_S10_EESH_SX_SI_SJ_SK_EUlSX_E0_NS1_11comp_targetILNS1_3genE5ELNS1_11target_archE942ELNS1_3gpuE9ELNS1_3repE0EEENS1_38merge_mergepath_config_static_selectorELNS0_4arch9wavefront6targetE1EEEvSJ_,@function
_ZN7rocprim17ROCPRIM_400000_NS6detail17trampoline_kernelINS0_14default_configENS1_38merge_sort_block_merge_config_selectorIttEEZZNS1_27merge_sort_block_merge_implIS3_N6thrust23THRUST_200600_302600_NS6detail15normal_iteratorINS8_10device_ptrItEEEESD_jNS1_19radix_merge_compareILb0ELb0EtNS0_19identity_decomposerEEEEE10hipError_tT0_T1_T2_jT3_P12ihipStream_tbPNSt15iterator_traitsISI_E10value_typeEPNSO_ISJ_E10value_typeEPSK_NS1_7vsmem_tEENKUlT_SI_SJ_SK_E_clISD_PtSD_S10_EESH_SX_SI_SJ_SK_EUlSX_E0_NS1_11comp_targetILNS1_3genE5ELNS1_11target_archE942ELNS1_3gpuE9ELNS1_3repE0EEENS1_38merge_mergepath_config_static_selectorELNS0_4arch9wavefront6targetE1EEEvSJ_: ; @_ZN7rocprim17ROCPRIM_400000_NS6detail17trampoline_kernelINS0_14default_configENS1_38merge_sort_block_merge_config_selectorIttEEZZNS1_27merge_sort_block_merge_implIS3_N6thrust23THRUST_200600_302600_NS6detail15normal_iteratorINS8_10device_ptrItEEEESD_jNS1_19radix_merge_compareILb0ELb0EtNS0_19identity_decomposerEEEEE10hipError_tT0_T1_T2_jT3_P12ihipStream_tbPNSt15iterator_traitsISI_E10value_typeEPNSO_ISJ_E10value_typeEPSK_NS1_7vsmem_tEENKUlT_SI_SJ_SK_E_clISD_PtSD_S10_EESH_SX_SI_SJ_SK_EUlSX_E0_NS1_11comp_targetILNS1_3genE5ELNS1_11target_archE942ELNS1_3gpuE9ELNS1_3repE0EEENS1_38merge_mergepath_config_static_selectorELNS0_4arch9wavefront6targetE1EEEvSJ_
; %bb.0:
	.section	.rodata,"a",@progbits
	.p2align	6, 0x0
	.amdhsa_kernel _ZN7rocprim17ROCPRIM_400000_NS6detail17trampoline_kernelINS0_14default_configENS1_38merge_sort_block_merge_config_selectorIttEEZZNS1_27merge_sort_block_merge_implIS3_N6thrust23THRUST_200600_302600_NS6detail15normal_iteratorINS8_10device_ptrItEEEESD_jNS1_19radix_merge_compareILb0ELb0EtNS0_19identity_decomposerEEEEE10hipError_tT0_T1_T2_jT3_P12ihipStream_tbPNSt15iterator_traitsISI_E10value_typeEPNSO_ISJ_E10value_typeEPSK_NS1_7vsmem_tEENKUlT_SI_SJ_SK_E_clISD_PtSD_S10_EESH_SX_SI_SJ_SK_EUlSX_E0_NS1_11comp_targetILNS1_3genE5ELNS1_11target_archE942ELNS1_3gpuE9ELNS1_3repE0EEENS1_38merge_mergepath_config_static_selectorELNS0_4arch9wavefront6targetE1EEEvSJ_
		.amdhsa_group_segment_fixed_size 0
		.amdhsa_private_segment_fixed_size 0
		.amdhsa_kernarg_size 64
		.amdhsa_user_sgpr_count 2
		.amdhsa_user_sgpr_dispatch_ptr 0
		.amdhsa_user_sgpr_queue_ptr 0
		.amdhsa_user_sgpr_kernarg_segment_ptr 1
		.amdhsa_user_sgpr_dispatch_id 0
		.amdhsa_user_sgpr_kernarg_preload_length 0
		.amdhsa_user_sgpr_kernarg_preload_offset 0
		.amdhsa_user_sgpr_private_segment_size 0
		.amdhsa_uses_dynamic_stack 0
		.amdhsa_enable_private_segment 0
		.amdhsa_system_sgpr_workgroup_id_x 1
		.amdhsa_system_sgpr_workgroup_id_y 0
		.amdhsa_system_sgpr_workgroup_id_z 0
		.amdhsa_system_sgpr_workgroup_info 0
		.amdhsa_system_vgpr_workitem_id 0
		.amdhsa_next_free_vgpr 1
		.amdhsa_next_free_sgpr 0
		.amdhsa_accum_offset 4
		.amdhsa_reserve_vcc 0
		.amdhsa_float_round_mode_32 0
		.amdhsa_float_round_mode_16_64 0
		.amdhsa_float_denorm_mode_32 3
		.amdhsa_float_denorm_mode_16_64 3
		.amdhsa_dx10_clamp 1
		.amdhsa_ieee_mode 1
		.amdhsa_fp16_overflow 0
		.amdhsa_tg_split 0
		.amdhsa_exception_fp_ieee_invalid_op 0
		.amdhsa_exception_fp_denorm_src 0
		.amdhsa_exception_fp_ieee_div_zero 0
		.amdhsa_exception_fp_ieee_overflow 0
		.amdhsa_exception_fp_ieee_underflow 0
		.amdhsa_exception_fp_ieee_inexact 0
		.amdhsa_exception_int_div_zero 0
	.end_amdhsa_kernel
	.section	.text._ZN7rocprim17ROCPRIM_400000_NS6detail17trampoline_kernelINS0_14default_configENS1_38merge_sort_block_merge_config_selectorIttEEZZNS1_27merge_sort_block_merge_implIS3_N6thrust23THRUST_200600_302600_NS6detail15normal_iteratorINS8_10device_ptrItEEEESD_jNS1_19radix_merge_compareILb0ELb0EtNS0_19identity_decomposerEEEEE10hipError_tT0_T1_T2_jT3_P12ihipStream_tbPNSt15iterator_traitsISI_E10value_typeEPNSO_ISJ_E10value_typeEPSK_NS1_7vsmem_tEENKUlT_SI_SJ_SK_E_clISD_PtSD_S10_EESH_SX_SI_SJ_SK_EUlSX_E0_NS1_11comp_targetILNS1_3genE5ELNS1_11target_archE942ELNS1_3gpuE9ELNS1_3repE0EEENS1_38merge_mergepath_config_static_selectorELNS0_4arch9wavefront6targetE1EEEvSJ_,"axG",@progbits,_ZN7rocprim17ROCPRIM_400000_NS6detail17trampoline_kernelINS0_14default_configENS1_38merge_sort_block_merge_config_selectorIttEEZZNS1_27merge_sort_block_merge_implIS3_N6thrust23THRUST_200600_302600_NS6detail15normal_iteratorINS8_10device_ptrItEEEESD_jNS1_19radix_merge_compareILb0ELb0EtNS0_19identity_decomposerEEEEE10hipError_tT0_T1_T2_jT3_P12ihipStream_tbPNSt15iterator_traitsISI_E10value_typeEPNSO_ISJ_E10value_typeEPSK_NS1_7vsmem_tEENKUlT_SI_SJ_SK_E_clISD_PtSD_S10_EESH_SX_SI_SJ_SK_EUlSX_E0_NS1_11comp_targetILNS1_3genE5ELNS1_11target_archE942ELNS1_3gpuE9ELNS1_3repE0EEENS1_38merge_mergepath_config_static_selectorELNS0_4arch9wavefront6targetE1EEEvSJ_,comdat
.Lfunc_end876:
	.size	_ZN7rocprim17ROCPRIM_400000_NS6detail17trampoline_kernelINS0_14default_configENS1_38merge_sort_block_merge_config_selectorIttEEZZNS1_27merge_sort_block_merge_implIS3_N6thrust23THRUST_200600_302600_NS6detail15normal_iteratorINS8_10device_ptrItEEEESD_jNS1_19radix_merge_compareILb0ELb0EtNS0_19identity_decomposerEEEEE10hipError_tT0_T1_T2_jT3_P12ihipStream_tbPNSt15iterator_traitsISI_E10value_typeEPNSO_ISJ_E10value_typeEPSK_NS1_7vsmem_tEENKUlT_SI_SJ_SK_E_clISD_PtSD_S10_EESH_SX_SI_SJ_SK_EUlSX_E0_NS1_11comp_targetILNS1_3genE5ELNS1_11target_archE942ELNS1_3gpuE9ELNS1_3repE0EEENS1_38merge_mergepath_config_static_selectorELNS0_4arch9wavefront6targetE1EEEvSJ_, .Lfunc_end876-_ZN7rocprim17ROCPRIM_400000_NS6detail17trampoline_kernelINS0_14default_configENS1_38merge_sort_block_merge_config_selectorIttEEZZNS1_27merge_sort_block_merge_implIS3_N6thrust23THRUST_200600_302600_NS6detail15normal_iteratorINS8_10device_ptrItEEEESD_jNS1_19radix_merge_compareILb0ELb0EtNS0_19identity_decomposerEEEEE10hipError_tT0_T1_T2_jT3_P12ihipStream_tbPNSt15iterator_traitsISI_E10value_typeEPNSO_ISJ_E10value_typeEPSK_NS1_7vsmem_tEENKUlT_SI_SJ_SK_E_clISD_PtSD_S10_EESH_SX_SI_SJ_SK_EUlSX_E0_NS1_11comp_targetILNS1_3genE5ELNS1_11target_archE942ELNS1_3gpuE9ELNS1_3repE0EEENS1_38merge_mergepath_config_static_selectorELNS0_4arch9wavefront6targetE1EEEvSJ_
                                        ; -- End function
	.set _ZN7rocprim17ROCPRIM_400000_NS6detail17trampoline_kernelINS0_14default_configENS1_38merge_sort_block_merge_config_selectorIttEEZZNS1_27merge_sort_block_merge_implIS3_N6thrust23THRUST_200600_302600_NS6detail15normal_iteratorINS8_10device_ptrItEEEESD_jNS1_19radix_merge_compareILb0ELb0EtNS0_19identity_decomposerEEEEE10hipError_tT0_T1_T2_jT3_P12ihipStream_tbPNSt15iterator_traitsISI_E10value_typeEPNSO_ISJ_E10value_typeEPSK_NS1_7vsmem_tEENKUlT_SI_SJ_SK_E_clISD_PtSD_S10_EESH_SX_SI_SJ_SK_EUlSX_E0_NS1_11comp_targetILNS1_3genE5ELNS1_11target_archE942ELNS1_3gpuE9ELNS1_3repE0EEENS1_38merge_mergepath_config_static_selectorELNS0_4arch9wavefront6targetE1EEEvSJ_.num_vgpr, 0
	.set _ZN7rocprim17ROCPRIM_400000_NS6detail17trampoline_kernelINS0_14default_configENS1_38merge_sort_block_merge_config_selectorIttEEZZNS1_27merge_sort_block_merge_implIS3_N6thrust23THRUST_200600_302600_NS6detail15normal_iteratorINS8_10device_ptrItEEEESD_jNS1_19radix_merge_compareILb0ELb0EtNS0_19identity_decomposerEEEEE10hipError_tT0_T1_T2_jT3_P12ihipStream_tbPNSt15iterator_traitsISI_E10value_typeEPNSO_ISJ_E10value_typeEPSK_NS1_7vsmem_tEENKUlT_SI_SJ_SK_E_clISD_PtSD_S10_EESH_SX_SI_SJ_SK_EUlSX_E0_NS1_11comp_targetILNS1_3genE5ELNS1_11target_archE942ELNS1_3gpuE9ELNS1_3repE0EEENS1_38merge_mergepath_config_static_selectorELNS0_4arch9wavefront6targetE1EEEvSJ_.num_agpr, 0
	.set _ZN7rocprim17ROCPRIM_400000_NS6detail17trampoline_kernelINS0_14default_configENS1_38merge_sort_block_merge_config_selectorIttEEZZNS1_27merge_sort_block_merge_implIS3_N6thrust23THRUST_200600_302600_NS6detail15normal_iteratorINS8_10device_ptrItEEEESD_jNS1_19radix_merge_compareILb0ELb0EtNS0_19identity_decomposerEEEEE10hipError_tT0_T1_T2_jT3_P12ihipStream_tbPNSt15iterator_traitsISI_E10value_typeEPNSO_ISJ_E10value_typeEPSK_NS1_7vsmem_tEENKUlT_SI_SJ_SK_E_clISD_PtSD_S10_EESH_SX_SI_SJ_SK_EUlSX_E0_NS1_11comp_targetILNS1_3genE5ELNS1_11target_archE942ELNS1_3gpuE9ELNS1_3repE0EEENS1_38merge_mergepath_config_static_selectorELNS0_4arch9wavefront6targetE1EEEvSJ_.numbered_sgpr, 0
	.set _ZN7rocprim17ROCPRIM_400000_NS6detail17trampoline_kernelINS0_14default_configENS1_38merge_sort_block_merge_config_selectorIttEEZZNS1_27merge_sort_block_merge_implIS3_N6thrust23THRUST_200600_302600_NS6detail15normal_iteratorINS8_10device_ptrItEEEESD_jNS1_19radix_merge_compareILb0ELb0EtNS0_19identity_decomposerEEEEE10hipError_tT0_T1_T2_jT3_P12ihipStream_tbPNSt15iterator_traitsISI_E10value_typeEPNSO_ISJ_E10value_typeEPSK_NS1_7vsmem_tEENKUlT_SI_SJ_SK_E_clISD_PtSD_S10_EESH_SX_SI_SJ_SK_EUlSX_E0_NS1_11comp_targetILNS1_3genE5ELNS1_11target_archE942ELNS1_3gpuE9ELNS1_3repE0EEENS1_38merge_mergepath_config_static_selectorELNS0_4arch9wavefront6targetE1EEEvSJ_.num_named_barrier, 0
	.set _ZN7rocprim17ROCPRIM_400000_NS6detail17trampoline_kernelINS0_14default_configENS1_38merge_sort_block_merge_config_selectorIttEEZZNS1_27merge_sort_block_merge_implIS3_N6thrust23THRUST_200600_302600_NS6detail15normal_iteratorINS8_10device_ptrItEEEESD_jNS1_19radix_merge_compareILb0ELb0EtNS0_19identity_decomposerEEEEE10hipError_tT0_T1_T2_jT3_P12ihipStream_tbPNSt15iterator_traitsISI_E10value_typeEPNSO_ISJ_E10value_typeEPSK_NS1_7vsmem_tEENKUlT_SI_SJ_SK_E_clISD_PtSD_S10_EESH_SX_SI_SJ_SK_EUlSX_E0_NS1_11comp_targetILNS1_3genE5ELNS1_11target_archE942ELNS1_3gpuE9ELNS1_3repE0EEENS1_38merge_mergepath_config_static_selectorELNS0_4arch9wavefront6targetE1EEEvSJ_.private_seg_size, 0
	.set _ZN7rocprim17ROCPRIM_400000_NS6detail17trampoline_kernelINS0_14default_configENS1_38merge_sort_block_merge_config_selectorIttEEZZNS1_27merge_sort_block_merge_implIS3_N6thrust23THRUST_200600_302600_NS6detail15normal_iteratorINS8_10device_ptrItEEEESD_jNS1_19radix_merge_compareILb0ELb0EtNS0_19identity_decomposerEEEEE10hipError_tT0_T1_T2_jT3_P12ihipStream_tbPNSt15iterator_traitsISI_E10value_typeEPNSO_ISJ_E10value_typeEPSK_NS1_7vsmem_tEENKUlT_SI_SJ_SK_E_clISD_PtSD_S10_EESH_SX_SI_SJ_SK_EUlSX_E0_NS1_11comp_targetILNS1_3genE5ELNS1_11target_archE942ELNS1_3gpuE9ELNS1_3repE0EEENS1_38merge_mergepath_config_static_selectorELNS0_4arch9wavefront6targetE1EEEvSJ_.uses_vcc, 0
	.set _ZN7rocprim17ROCPRIM_400000_NS6detail17trampoline_kernelINS0_14default_configENS1_38merge_sort_block_merge_config_selectorIttEEZZNS1_27merge_sort_block_merge_implIS3_N6thrust23THRUST_200600_302600_NS6detail15normal_iteratorINS8_10device_ptrItEEEESD_jNS1_19radix_merge_compareILb0ELb0EtNS0_19identity_decomposerEEEEE10hipError_tT0_T1_T2_jT3_P12ihipStream_tbPNSt15iterator_traitsISI_E10value_typeEPNSO_ISJ_E10value_typeEPSK_NS1_7vsmem_tEENKUlT_SI_SJ_SK_E_clISD_PtSD_S10_EESH_SX_SI_SJ_SK_EUlSX_E0_NS1_11comp_targetILNS1_3genE5ELNS1_11target_archE942ELNS1_3gpuE9ELNS1_3repE0EEENS1_38merge_mergepath_config_static_selectorELNS0_4arch9wavefront6targetE1EEEvSJ_.uses_flat_scratch, 0
	.set _ZN7rocprim17ROCPRIM_400000_NS6detail17trampoline_kernelINS0_14default_configENS1_38merge_sort_block_merge_config_selectorIttEEZZNS1_27merge_sort_block_merge_implIS3_N6thrust23THRUST_200600_302600_NS6detail15normal_iteratorINS8_10device_ptrItEEEESD_jNS1_19radix_merge_compareILb0ELb0EtNS0_19identity_decomposerEEEEE10hipError_tT0_T1_T2_jT3_P12ihipStream_tbPNSt15iterator_traitsISI_E10value_typeEPNSO_ISJ_E10value_typeEPSK_NS1_7vsmem_tEENKUlT_SI_SJ_SK_E_clISD_PtSD_S10_EESH_SX_SI_SJ_SK_EUlSX_E0_NS1_11comp_targetILNS1_3genE5ELNS1_11target_archE942ELNS1_3gpuE9ELNS1_3repE0EEENS1_38merge_mergepath_config_static_selectorELNS0_4arch9wavefront6targetE1EEEvSJ_.has_dyn_sized_stack, 0
	.set _ZN7rocprim17ROCPRIM_400000_NS6detail17trampoline_kernelINS0_14default_configENS1_38merge_sort_block_merge_config_selectorIttEEZZNS1_27merge_sort_block_merge_implIS3_N6thrust23THRUST_200600_302600_NS6detail15normal_iteratorINS8_10device_ptrItEEEESD_jNS1_19radix_merge_compareILb0ELb0EtNS0_19identity_decomposerEEEEE10hipError_tT0_T1_T2_jT3_P12ihipStream_tbPNSt15iterator_traitsISI_E10value_typeEPNSO_ISJ_E10value_typeEPSK_NS1_7vsmem_tEENKUlT_SI_SJ_SK_E_clISD_PtSD_S10_EESH_SX_SI_SJ_SK_EUlSX_E0_NS1_11comp_targetILNS1_3genE5ELNS1_11target_archE942ELNS1_3gpuE9ELNS1_3repE0EEENS1_38merge_mergepath_config_static_selectorELNS0_4arch9wavefront6targetE1EEEvSJ_.has_recursion, 0
	.set _ZN7rocprim17ROCPRIM_400000_NS6detail17trampoline_kernelINS0_14default_configENS1_38merge_sort_block_merge_config_selectorIttEEZZNS1_27merge_sort_block_merge_implIS3_N6thrust23THRUST_200600_302600_NS6detail15normal_iteratorINS8_10device_ptrItEEEESD_jNS1_19radix_merge_compareILb0ELb0EtNS0_19identity_decomposerEEEEE10hipError_tT0_T1_T2_jT3_P12ihipStream_tbPNSt15iterator_traitsISI_E10value_typeEPNSO_ISJ_E10value_typeEPSK_NS1_7vsmem_tEENKUlT_SI_SJ_SK_E_clISD_PtSD_S10_EESH_SX_SI_SJ_SK_EUlSX_E0_NS1_11comp_targetILNS1_3genE5ELNS1_11target_archE942ELNS1_3gpuE9ELNS1_3repE0EEENS1_38merge_mergepath_config_static_selectorELNS0_4arch9wavefront6targetE1EEEvSJ_.has_indirect_call, 0
	.section	.AMDGPU.csdata,"",@progbits
; Kernel info:
; codeLenInByte = 0
; TotalNumSgprs: 6
; NumVgprs: 0
; NumAgprs: 0
; TotalNumVgprs: 0
; ScratchSize: 0
; MemoryBound: 0
; FloatMode: 240
; IeeeMode: 1
; LDSByteSize: 0 bytes/workgroup (compile time only)
; SGPRBlocks: 0
; VGPRBlocks: 0
; NumSGPRsForWavesPerEU: 6
; NumVGPRsForWavesPerEU: 1
; AccumOffset: 4
; Occupancy: 8
; WaveLimiterHint : 0
; COMPUTE_PGM_RSRC2:SCRATCH_EN: 0
; COMPUTE_PGM_RSRC2:USER_SGPR: 2
; COMPUTE_PGM_RSRC2:TRAP_HANDLER: 0
; COMPUTE_PGM_RSRC2:TGID_X_EN: 1
; COMPUTE_PGM_RSRC2:TGID_Y_EN: 0
; COMPUTE_PGM_RSRC2:TGID_Z_EN: 0
; COMPUTE_PGM_RSRC2:TIDIG_COMP_CNT: 0
; COMPUTE_PGM_RSRC3_GFX90A:ACCUM_OFFSET: 0
; COMPUTE_PGM_RSRC3_GFX90A:TG_SPLIT: 0
	.section	.text._ZN7rocprim17ROCPRIM_400000_NS6detail17trampoline_kernelINS0_14default_configENS1_38merge_sort_block_merge_config_selectorIttEEZZNS1_27merge_sort_block_merge_implIS3_N6thrust23THRUST_200600_302600_NS6detail15normal_iteratorINS8_10device_ptrItEEEESD_jNS1_19radix_merge_compareILb0ELb0EtNS0_19identity_decomposerEEEEE10hipError_tT0_T1_T2_jT3_P12ihipStream_tbPNSt15iterator_traitsISI_E10value_typeEPNSO_ISJ_E10value_typeEPSK_NS1_7vsmem_tEENKUlT_SI_SJ_SK_E_clISD_PtSD_S10_EESH_SX_SI_SJ_SK_EUlSX_E0_NS1_11comp_targetILNS1_3genE4ELNS1_11target_archE910ELNS1_3gpuE8ELNS1_3repE0EEENS1_38merge_mergepath_config_static_selectorELNS0_4arch9wavefront6targetE1EEEvSJ_,"axG",@progbits,_ZN7rocprim17ROCPRIM_400000_NS6detail17trampoline_kernelINS0_14default_configENS1_38merge_sort_block_merge_config_selectorIttEEZZNS1_27merge_sort_block_merge_implIS3_N6thrust23THRUST_200600_302600_NS6detail15normal_iteratorINS8_10device_ptrItEEEESD_jNS1_19radix_merge_compareILb0ELb0EtNS0_19identity_decomposerEEEEE10hipError_tT0_T1_T2_jT3_P12ihipStream_tbPNSt15iterator_traitsISI_E10value_typeEPNSO_ISJ_E10value_typeEPSK_NS1_7vsmem_tEENKUlT_SI_SJ_SK_E_clISD_PtSD_S10_EESH_SX_SI_SJ_SK_EUlSX_E0_NS1_11comp_targetILNS1_3genE4ELNS1_11target_archE910ELNS1_3gpuE8ELNS1_3repE0EEENS1_38merge_mergepath_config_static_selectorELNS0_4arch9wavefront6targetE1EEEvSJ_,comdat
	.protected	_ZN7rocprim17ROCPRIM_400000_NS6detail17trampoline_kernelINS0_14default_configENS1_38merge_sort_block_merge_config_selectorIttEEZZNS1_27merge_sort_block_merge_implIS3_N6thrust23THRUST_200600_302600_NS6detail15normal_iteratorINS8_10device_ptrItEEEESD_jNS1_19radix_merge_compareILb0ELb0EtNS0_19identity_decomposerEEEEE10hipError_tT0_T1_T2_jT3_P12ihipStream_tbPNSt15iterator_traitsISI_E10value_typeEPNSO_ISJ_E10value_typeEPSK_NS1_7vsmem_tEENKUlT_SI_SJ_SK_E_clISD_PtSD_S10_EESH_SX_SI_SJ_SK_EUlSX_E0_NS1_11comp_targetILNS1_3genE4ELNS1_11target_archE910ELNS1_3gpuE8ELNS1_3repE0EEENS1_38merge_mergepath_config_static_selectorELNS0_4arch9wavefront6targetE1EEEvSJ_ ; -- Begin function _ZN7rocprim17ROCPRIM_400000_NS6detail17trampoline_kernelINS0_14default_configENS1_38merge_sort_block_merge_config_selectorIttEEZZNS1_27merge_sort_block_merge_implIS3_N6thrust23THRUST_200600_302600_NS6detail15normal_iteratorINS8_10device_ptrItEEEESD_jNS1_19radix_merge_compareILb0ELb0EtNS0_19identity_decomposerEEEEE10hipError_tT0_T1_T2_jT3_P12ihipStream_tbPNSt15iterator_traitsISI_E10value_typeEPNSO_ISJ_E10value_typeEPSK_NS1_7vsmem_tEENKUlT_SI_SJ_SK_E_clISD_PtSD_S10_EESH_SX_SI_SJ_SK_EUlSX_E0_NS1_11comp_targetILNS1_3genE4ELNS1_11target_archE910ELNS1_3gpuE8ELNS1_3repE0EEENS1_38merge_mergepath_config_static_selectorELNS0_4arch9wavefront6targetE1EEEvSJ_
	.globl	_ZN7rocprim17ROCPRIM_400000_NS6detail17trampoline_kernelINS0_14default_configENS1_38merge_sort_block_merge_config_selectorIttEEZZNS1_27merge_sort_block_merge_implIS3_N6thrust23THRUST_200600_302600_NS6detail15normal_iteratorINS8_10device_ptrItEEEESD_jNS1_19radix_merge_compareILb0ELb0EtNS0_19identity_decomposerEEEEE10hipError_tT0_T1_T2_jT3_P12ihipStream_tbPNSt15iterator_traitsISI_E10value_typeEPNSO_ISJ_E10value_typeEPSK_NS1_7vsmem_tEENKUlT_SI_SJ_SK_E_clISD_PtSD_S10_EESH_SX_SI_SJ_SK_EUlSX_E0_NS1_11comp_targetILNS1_3genE4ELNS1_11target_archE910ELNS1_3gpuE8ELNS1_3repE0EEENS1_38merge_mergepath_config_static_selectorELNS0_4arch9wavefront6targetE1EEEvSJ_
	.p2align	8
	.type	_ZN7rocprim17ROCPRIM_400000_NS6detail17trampoline_kernelINS0_14default_configENS1_38merge_sort_block_merge_config_selectorIttEEZZNS1_27merge_sort_block_merge_implIS3_N6thrust23THRUST_200600_302600_NS6detail15normal_iteratorINS8_10device_ptrItEEEESD_jNS1_19radix_merge_compareILb0ELb0EtNS0_19identity_decomposerEEEEE10hipError_tT0_T1_T2_jT3_P12ihipStream_tbPNSt15iterator_traitsISI_E10value_typeEPNSO_ISJ_E10value_typeEPSK_NS1_7vsmem_tEENKUlT_SI_SJ_SK_E_clISD_PtSD_S10_EESH_SX_SI_SJ_SK_EUlSX_E0_NS1_11comp_targetILNS1_3genE4ELNS1_11target_archE910ELNS1_3gpuE8ELNS1_3repE0EEENS1_38merge_mergepath_config_static_selectorELNS0_4arch9wavefront6targetE1EEEvSJ_,@function
_ZN7rocprim17ROCPRIM_400000_NS6detail17trampoline_kernelINS0_14default_configENS1_38merge_sort_block_merge_config_selectorIttEEZZNS1_27merge_sort_block_merge_implIS3_N6thrust23THRUST_200600_302600_NS6detail15normal_iteratorINS8_10device_ptrItEEEESD_jNS1_19radix_merge_compareILb0ELb0EtNS0_19identity_decomposerEEEEE10hipError_tT0_T1_T2_jT3_P12ihipStream_tbPNSt15iterator_traitsISI_E10value_typeEPNSO_ISJ_E10value_typeEPSK_NS1_7vsmem_tEENKUlT_SI_SJ_SK_E_clISD_PtSD_S10_EESH_SX_SI_SJ_SK_EUlSX_E0_NS1_11comp_targetILNS1_3genE4ELNS1_11target_archE910ELNS1_3gpuE8ELNS1_3repE0EEENS1_38merge_mergepath_config_static_selectorELNS0_4arch9wavefront6targetE1EEEvSJ_: ; @_ZN7rocprim17ROCPRIM_400000_NS6detail17trampoline_kernelINS0_14default_configENS1_38merge_sort_block_merge_config_selectorIttEEZZNS1_27merge_sort_block_merge_implIS3_N6thrust23THRUST_200600_302600_NS6detail15normal_iteratorINS8_10device_ptrItEEEESD_jNS1_19radix_merge_compareILb0ELb0EtNS0_19identity_decomposerEEEEE10hipError_tT0_T1_T2_jT3_P12ihipStream_tbPNSt15iterator_traitsISI_E10value_typeEPNSO_ISJ_E10value_typeEPSK_NS1_7vsmem_tEENKUlT_SI_SJ_SK_E_clISD_PtSD_S10_EESH_SX_SI_SJ_SK_EUlSX_E0_NS1_11comp_targetILNS1_3genE4ELNS1_11target_archE910ELNS1_3gpuE8ELNS1_3repE0EEENS1_38merge_mergepath_config_static_selectorELNS0_4arch9wavefront6targetE1EEEvSJ_
; %bb.0:
	.section	.rodata,"a",@progbits
	.p2align	6, 0x0
	.amdhsa_kernel _ZN7rocprim17ROCPRIM_400000_NS6detail17trampoline_kernelINS0_14default_configENS1_38merge_sort_block_merge_config_selectorIttEEZZNS1_27merge_sort_block_merge_implIS3_N6thrust23THRUST_200600_302600_NS6detail15normal_iteratorINS8_10device_ptrItEEEESD_jNS1_19radix_merge_compareILb0ELb0EtNS0_19identity_decomposerEEEEE10hipError_tT0_T1_T2_jT3_P12ihipStream_tbPNSt15iterator_traitsISI_E10value_typeEPNSO_ISJ_E10value_typeEPSK_NS1_7vsmem_tEENKUlT_SI_SJ_SK_E_clISD_PtSD_S10_EESH_SX_SI_SJ_SK_EUlSX_E0_NS1_11comp_targetILNS1_3genE4ELNS1_11target_archE910ELNS1_3gpuE8ELNS1_3repE0EEENS1_38merge_mergepath_config_static_selectorELNS0_4arch9wavefront6targetE1EEEvSJ_
		.amdhsa_group_segment_fixed_size 0
		.amdhsa_private_segment_fixed_size 0
		.amdhsa_kernarg_size 64
		.amdhsa_user_sgpr_count 2
		.amdhsa_user_sgpr_dispatch_ptr 0
		.amdhsa_user_sgpr_queue_ptr 0
		.amdhsa_user_sgpr_kernarg_segment_ptr 1
		.amdhsa_user_sgpr_dispatch_id 0
		.amdhsa_user_sgpr_kernarg_preload_length 0
		.amdhsa_user_sgpr_kernarg_preload_offset 0
		.amdhsa_user_sgpr_private_segment_size 0
		.amdhsa_uses_dynamic_stack 0
		.amdhsa_enable_private_segment 0
		.amdhsa_system_sgpr_workgroup_id_x 1
		.amdhsa_system_sgpr_workgroup_id_y 0
		.amdhsa_system_sgpr_workgroup_id_z 0
		.amdhsa_system_sgpr_workgroup_info 0
		.amdhsa_system_vgpr_workitem_id 0
		.amdhsa_next_free_vgpr 1
		.amdhsa_next_free_sgpr 0
		.amdhsa_accum_offset 4
		.amdhsa_reserve_vcc 0
		.amdhsa_float_round_mode_32 0
		.amdhsa_float_round_mode_16_64 0
		.amdhsa_float_denorm_mode_32 3
		.amdhsa_float_denorm_mode_16_64 3
		.amdhsa_dx10_clamp 1
		.amdhsa_ieee_mode 1
		.amdhsa_fp16_overflow 0
		.amdhsa_tg_split 0
		.amdhsa_exception_fp_ieee_invalid_op 0
		.amdhsa_exception_fp_denorm_src 0
		.amdhsa_exception_fp_ieee_div_zero 0
		.amdhsa_exception_fp_ieee_overflow 0
		.amdhsa_exception_fp_ieee_underflow 0
		.amdhsa_exception_fp_ieee_inexact 0
		.amdhsa_exception_int_div_zero 0
	.end_amdhsa_kernel
	.section	.text._ZN7rocprim17ROCPRIM_400000_NS6detail17trampoline_kernelINS0_14default_configENS1_38merge_sort_block_merge_config_selectorIttEEZZNS1_27merge_sort_block_merge_implIS3_N6thrust23THRUST_200600_302600_NS6detail15normal_iteratorINS8_10device_ptrItEEEESD_jNS1_19radix_merge_compareILb0ELb0EtNS0_19identity_decomposerEEEEE10hipError_tT0_T1_T2_jT3_P12ihipStream_tbPNSt15iterator_traitsISI_E10value_typeEPNSO_ISJ_E10value_typeEPSK_NS1_7vsmem_tEENKUlT_SI_SJ_SK_E_clISD_PtSD_S10_EESH_SX_SI_SJ_SK_EUlSX_E0_NS1_11comp_targetILNS1_3genE4ELNS1_11target_archE910ELNS1_3gpuE8ELNS1_3repE0EEENS1_38merge_mergepath_config_static_selectorELNS0_4arch9wavefront6targetE1EEEvSJ_,"axG",@progbits,_ZN7rocprim17ROCPRIM_400000_NS6detail17trampoline_kernelINS0_14default_configENS1_38merge_sort_block_merge_config_selectorIttEEZZNS1_27merge_sort_block_merge_implIS3_N6thrust23THRUST_200600_302600_NS6detail15normal_iteratorINS8_10device_ptrItEEEESD_jNS1_19radix_merge_compareILb0ELb0EtNS0_19identity_decomposerEEEEE10hipError_tT0_T1_T2_jT3_P12ihipStream_tbPNSt15iterator_traitsISI_E10value_typeEPNSO_ISJ_E10value_typeEPSK_NS1_7vsmem_tEENKUlT_SI_SJ_SK_E_clISD_PtSD_S10_EESH_SX_SI_SJ_SK_EUlSX_E0_NS1_11comp_targetILNS1_3genE4ELNS1_11target_archE910ELNS1_3gpuE8ELNS1_3repE0EEENS1_38merge_mergepath_config_static_selectorELNS0_4arch9wavefront6targetE1EEEvSJ_,comdat
.Lfunc_end877:
	.size	_ZN7rocprim17ROCPRIM_400000_NS6detail17trampoline_kernelINS0_14default_configENS1_38merge_sort_block_merge_config_selectorIttEEZZNS1_27merge_sort_block_merge_implIS3_N6thrust23THRUST_200600_302600_NS6detail15normal_iteratorINS8_10device_ptrItEEEESD_jNS1_19radix_merge_compareILb0ELb0EtNS0_19identity_decomposerEEEEE10hipError_tT0_T1_T2_jT3_P12ihipStream_tbPNSt15iterator_traitsISI_E10value_typeEPNSO_ISJ_E10value_typeEPSK_NS1_7vsmem_tEENKUlT_SI_SJ_SK_E_clISD_PtSD_S10_EESH_SX_SI_SJ_SK_EUlSX_E0_NS1_11comp_targetILNS1_3genE4ELNS1_11target_archE910ELNS1_3gpuE8ELNS1_3repE0EEENS1_38merge_mergepath_config_static_selectorELNS0_4arch9wavefront6targetE1EEEvSJ_, .Lfunc_end877-_ZN7rocprim17ROCPRIM_400000_NS6detail17trampoline_kernelINS0_14default_configENS1_38merge_sort_block_merge_config_selectorIttEEZZNS1_27merge_sort_block_merge_implIS3_N6thrust23THRUST_200600_302600_NS6detail15normal_iteratorINS8_10device_ptrItEEEESD_jNS1_19radix_merge_compareILb0ELb0EtNS0_19identity_decomposerEEEEE10hipError_tT0_T1_T2_jT3_P12ihipStream_tbPNSt15iterator_traitsISI_E10value_typeEPNSO_ISJ_E10value_typeEPSK_NS1_7vsmem_tEENKUlT_SI_SJ_SK_E_clISD_PtSD_S10_EESH_SX_SI_SJ_SK_EUlSX_E0_NS1_11comp_targetILNS1_3genE4ELNS1_11target_archE910ELNS1_3gpuE8ELNS1_3repE0EEENS1_38merge_mergepath_config_static_selectorELNS0_4arch9wavefront6targetE1EEEvSJ_
                                        ; -- End function
	.set _ZN7rocprim17ROCPRIM_400000_NS6detail17trampoline_kernelINS0_14default_configENS1_38merge_sort_block_merge_config_selectorIttEEZZNS1_27merge_sort_block_merge_implIS3_N6thrust23THRUST_200600_302600_NS6detail15normal_iteratorINS8_10device_ptrItEEEESD_jNS1_19radix_merge_compareILb0ELb0EtNS0_19identity_decomposerEEEEE10hipError_tT0_T1_T2_jT3_P12ihipStream_tbPNSt15iterator_traitsISI_E10value_typeEPNSO_ISJ_E10value_typeEPSK_NS1_7vsmem_tEENKUlT_SI_SJ_SK_E_clISD_PtSD_S10_EESH_SX_SI_SJ_SK_EUlSX_E0_NS1_11comp_targetILNS1_3genE4ELNS1_11target_archE910ELNS1_3gpuE8ELNS1_3repE0EEENS1_38merge_mergepath_config_static_selectorELNS0_4arch9wavefront6targetE1EEEvSJ_.num_vgpr, 0
	.set _ZN7rocprim17ROCPRIM_400000_NS6detail17trampoline_kernelINS0_14default_configENS1_38merge_sort_block_merge_config_selectorIttEEZZNS1_27merge_sort_block_merge_implIS3_N6thrust23THRUST_200600_302600_NS6detail15normal_iteratorINS8_10device_ptrItEEEESD_jNS1_19radix_merge_compareILb0ELb0EtNS0_19identity_decomposerEEEEE10hipError_tT0_T1_T2_jT3_P12ihipStream_tbPNSt15iterator_traitsISI_E10value_typeEPNSO_ISJ_E10value_typeEPSK_NS1_7vsmem_tEENKUlT_SI_SJ_SK_E_clISD_PtSD_S10_EESH_SX_SI_SJ_SK_EUlSX_E0_NS1_11comp_targetILNS1_3genE4ELNS1_11target_archE910ELNS1_3gpuE8ELNS1_3repE0EEENS1_38merge_mergepath_config_static_selectorELNS0_4arch9wavefront6targetE1EEEvSJ_.num_agpr, 0
	.set _ZN7rocprim17ROCPRIM_400000_NS6detail17trampoline_kernelINS0_14default_configENS1_38merge_sort_block_merge_config_selectorIttEEZZNS1_27merge_sort_block_merge_implIS3_N6thrust23THRUST_200600_302600_NS6detail15normal_iteratorINS8_10device_ptrItEEEESD_jNS1_19radix_merge_compareILb0ELb0EtNS0_19identity_decomposerEEEEE10hipError_tT0_T1_T2_jT3_P12ihipStream_tbPNSt15iterator_traitsISI_E10value_typeEPNSO_ISJ_E10value_typeEPSK_NS1_7vsmem_tEENKUlT_SI_SJ_SK_E_clISD_PtSD_S10_EESH_SX_SI_SJ_SK_EUlSX_E0_NS1_11comp_targetILNS1_3genE4ELNS1_11target_archE910ELNS1_3gpuE8ELNS1_3repE0EEENS1_38merge_mergepath_config_static_selectorELNS0_4arch9wavefront6targetE1EEEvSJ_.numbered_sgpr, 0
	.set _ZN7rocprim17ROCPRIM_400000_NS6detail17trampoline_kernelINS0_14default_configENS1_38merge_sort_block_merge_config_selectorIttEEZZNS1_27merge_sort_block_merge_implIS3_N6thrust23THRUST_200600_302600_NS6detail15normal_iteratorINS8_10device_ptrItEEEESD_jNS1_19radix_merge_compareILb0ELb0EtNS0_19identity_decomposerEEEEE10hipError_tT0_T1_T2_jT3_P12ihipStream_tbPNSt15iterator_traitsISI_E10value_typeEPNSO_ISJ_E10value_typeEPSK_NS1_7vsmem_tEENKUlT_SI_SJ_SK_E_clISD_PtSD_S10_EESH_SX_SI_SJ_SK_EUlSX_E0_NS1_11comp_targetILNS1_3genE4ELNS1_11target_archE910ELNS1_3gpuE8ELNS1_3repE0EEENS1_38merge_mergepath_config_static_selectorELNS0_4arch9wavefront6targetE1EEEvSJ_.num_named_barrier, 0
	.set _ZN7rocprim17ROCPRIM_400000_NS6detail17trampoline_kernelINS0_14default_configENS1_38merge_sort_block_merge_config_selectorIttEEZZNS1_27merge_sort_block_merge_implIS3_N6thrust23THRUST_200600_302600_NS6detail15normal_iteratorINS8_10device_ptrItEEEESD_jNS1_19radix_merge_compareILb0ELb0EtNS0_19identity_decomposerEEEEE10hipError_tT0_T1_T2_jT3_P12ihipStream_tbPNSt15iterator_traitsISI_E10value_typeEPNSO_ISJ_E10value_typeEPSK_NS1_7vsmem_tEENKUlT_SI_SJ_SK_E_clISD_PtSD_S10_EESH_SX_SI_SJ_SK_EUlSX_E0_NS1_11comp_targetILNS1_3genE4ELNS1_11target_archE910ELNS1_3gpuE8ELNS1_3repE0EEENS1_38merge_mergepath_config_static_selectorELNS0_4arch9wavefront6targetE1EEEvSJ_.private_seg_size, 0
	.set _ZN7rocprim17ROCPRIM_400000_NS6detail17trampoline_kernelINS0_14default_configENS1_38merge_sort_block_merge_config_selectorIttEEZZNS1_27merge_sort_block_merge_implIS3_N6thrust23THRUST_200600_302600_NS6detail15normal_iteratorINS8_10device_ptrItEEEESD_jNS1_19radix_merge_compareILb0ELb0EtNS0_19identity_decomposerEEEEE10hipError_tT0_T1_T2_jT3_P12ihipStream_tbPNSt15iterator_traitsISI_E10value_typeEPNSO_ISJ_E10value_typeEPSK_NS1_7vsmem_tEENKUlT_SI_SJ_SK_E_clISD_PtSD_S10_EESH_SX_SI_SJ_SK_EUlSX_E0_NS1_11comp_targetILNS1_3genE4ELNS1_11target_archE910ELNS1_3gpuE8ELNS1_3repE0EEENS1_38merge_mergepath_config_static_selectorELNS0_4arch9wavefront6targetE1EEEvSJ_.uses_vcc, 0
	.set _ZN7rocprim17ROCPRIM_400000_NS6detail17trampoline_kernelINS0_14default_configENS1_38merge_sort_block_merge_config_selectorIttEEZZNS1_27merge_sort_block_merge_implIS3_N6thrust23THRUST_200600_302600_NS6detail15normal_iteratorINS8_10device_ptrItEEEESD_jNS1_19radix_merge_compareILb0ELb0EtNS0_19identity_decomposerEEEEE10hipError_tT0_T1_T2_jT3_P12ihipStream_tbPNSt15iterator_traitsISI_E10value_typeEPNSO_ISJ_E10value_typeEPSK_NS1_7vsmem_tEENKUlT_SI_SJ_SK_E_clISD_PtSD_S10_EESH_SX_SI_SJ_SK_EUlSX_E0_NS1_11comp_targetILNS1_3genE4ELNS1_11target_archE910ELNS1_3gpuE8ELNS1_3repE0EEENS1_38merge_mergepath_config_static_selectorELNS0_4arch9wavefront6targetE1EEEvSJ_.uses_flat_scratch, 0
	.set _ZN7rocprim17ROCPRIM_400000_NS6detail17trampoline_kernelINS0_14default_configENS1_38merge_sort_block_merge_config_selectorIttEEZZNS1_27merge_sort_block_merge_implIS3_N6thrust23THRUST_200600_302600_NS6detail15normal_iteratorINS8_10device_ptrItEEEESD_jNS1_19radix_merge_compareILb0ELb0EtNS0_19identity_decomposerEEEEE10hipError_tT0_T1_T2_jT3_P12ihipStream_tbPNSt15iterator_traitsISI_E10value_typeEPNSO_ISJ_E10value_typeEPSK_NS1_7vsmem_tEENKUlT_SI_SJ_SK_E_clISD_PtSD_S10_EESH_SX_SI_SJ_SK_EUlSX_E0_NS1_11comp_targetILNS1_3genE4ELNS1_11target_archE910ELNS1_3gpuE8ELNS1_3repE0EEENS1_38merge_mergepath_config_static_selectorELNS0_4arch9wavefront6targetE1EEEvSJ_.has_dyn_sized_stack, 0
	.set _ZN7rocprim17ROCPRIM_400000_NS6detail17trampoline_kernelINS0_14default_configENS1_38merge_sort_block_merge_config_selectorIttEEZZNS1_27merge_sort_block_merge_implIS3_N6thrust23THRUST_200600_302600_NS6detail15normal_iteratorINS8_10device_ptrItEEEESD_jNS1_19radix_merge_compareILb0ELb0EtNS0_19identity_decomposerEEEEE10hipError_tT0_T1_T2_jT3_P12ihipStream_tbPNSt15iterator_traitsISI_E10value_typeEPNSO_ISJ_E10value_typeEPSK_NS1_7vsmem_tEENKUlT_SI_SJ_SK_E_clISD_PtSD_S10_EESH_SX_SI_SJ_SK_EUlSX_E0_NS1_11comp_targetILNS1_3genE4ELNS1_11target_archE910ELNS1_3gpuE8ELNS1_3repE0EEENS1_38merge_mergepath_config_static_selectorELNS0_4arch9wavefront6targetE1EEEvSJ_.has_recursion, 0
	.set _ZN7rocprim17ROCPRIM_400000_NS6detail17trampoline_kernelINS0_14default_configENS1_38merge_sort_block_merge_config_selectorIttEEZZNS1_27merge_sort_block_merge_implIS3_N6thrust23THRUST_200600_302600_NS6detail15normal_iteratorINS8_10device_ptrItEEEESD_jNS1_19radix_merge_compareILb0ELb0EtNS0_19identity_decomposerEEEEE10hipError_tT0_T1_T2_jT3_P12ihipStream_tbPNSt15iterator_traitsISI_E10value_typeEPNSO_ISJ_E10value_typeEPSK_NS1_7vsmem_tEENKUlT_SI_SJ_SK_E_clISD_PtSD_S10_EESH_SX_SI_SJ_SK_EUlSX_E0_NS1_11comp_targetILNS1_3genE4ELNS1_11target_archE910ELNS1_3gpuE8ELNS1_3repE0EEENS1_38merge_mergepath_config_static_selectorELNS0_4arch9wavefront6targetE1EEEvSJ_.has_indirect_call, 0
	.section	.AMDGPU.csdata,"",@progbits
; Kernel info:
; codeLenInByte = 0
; TotalNumSgprs: 6
; NumVgprs: 0
; NumAgprs: 0
; TotalNumVgprs: 0
; ScratchSize: 0
; MemoryBound: 0
; FloatMode: 240
; IeeeMode: 1
; LDSByteSize: 0 bytes/workgroup (compile time only)
; SGPRBlocks: 0
; VGPRBlocks: 0
; NumSGPRsForWavesPerEU: 6
; NumVGPRsForWavesPerEU: 1
; AccumOffset: 4
; Occupancy: 8
; WaveLimiterHint : 0
; COMPUTE_PGM_RSRC2:SCRATCH_EN: 0
; COMPUTE_PGM_RSRC2:USER_SGPR: 2
; COMPUTE_PGM_RSRC2:TRAP_HANDLER: 0
; COMPUTE_PGM_RSRC2:TGID_X_EN: 1
; COMPUTE_PGM_RSRC2:TGID_Y_EN: 0
; COMPUTE_PGM_RSRC2:TGID_Z_EN: 0
; COMPUTE_PGM_RSRC2:TIDIG_COMP_CNT: 0
; COMPUTE_PGM_RSRC3_GFX90A:ACCUM_OFFSET: 0
; COMPUTE_PGM_RSRC3_GFX90A:TG_SPLIT: 0
	.section	.text._ZN7rocprim17ROCPRIM_400000_NS6detail17trampoline_kernelINS0_14default_configENS1_38merge_sort_block_merge_config_selectorIttEEZZNS1_27merge_sort_block_merge_implIS3_N6thrust23THRUST_200600_302600_NS6detail15normal_iteratorINS8_10device_ptrItEEEESD_jNS1_19radix_merge_compareILb0ELb0EtNS0_19identity_decomposerEEEEE10hipError_tT0_T1_T2_jT3_P12ihipStream_tbPNSt15iterator_traitsISI_E10value_typeEPNSO_ISJ_E10value_typeEPSK_NS1_7vsmem_tEENKUlT_SI_SJ_SK_E_clISD_PtSD_S10_EESH_SX_SI_SJ_SK_EUlSX_E0_NS1_11comp_targetILNS1_3genE3ELNS1_11target_archE908ELNS1_3gpuE7ELNS1_3repE0EEENS1_38merge_mergepath_config_static_selectorELNS0_4arch9wavefront6targetE1EEEvSJ_,"axG",@progbits,_ZN7rocprim17ROCPRIM_400000_NS6detail17trampoline_kernelINS0_14default_configENS1_38merge_sort_block_merge_config_selectorIttEEZZNS1_27merge_sort_block_merge_implIS3_N6thrust23THRUST_200600_302600_NS6detail15normal_iteratorINS8_10device_ptrItEEEESD_jNS1_19radix_merge_compareILb0ELb0EtNS0_19identity_decomposerEEEEE10hipError_tT0_T1_T2_jT3_P12ihipStream_tbPNSt15iterator_traitsISI_E10value_typeEPNSO_ISJ_E10value_typeEPSK_NS1_7vsmem_tEENKUlT_SI_SJ_SK_E_clISD_PtSD_S10_EESH_SX_SI_SJ_SK_EUlSX_E0_NS1_11comp_targetILNS1_3genE3ELNS1_11target_archE908ELNS1_3gpuE7ELNS1_3repE0EEENS1_38merge_mergepath_config_static_selectorELNS0_4arch9wavefront6targetE1EEEvSJ_,comdat
	.protected	_ZN7rocprim17ROCPRIM_400000_NS6detail17trampoline_kernelINS0_14default_configENS1_38merge_sort_block_merge_config_selectorIttEEZZNS1_27merge_sort_block_merge_implIS3_N6thrust23THRUST_200600_302600_NS6detail15normal_iteratorINS8_10device_ptrItEEEESD_jNS1_19radix_merge_compareILb0ELb0EtNS0_19identity_decomposerEEEEE10hipError_tT0_T1_T2_jT3_P12ihipStream_tbPNSt15iterator_traitsISI_E10value_typeEPNSO_ISJ_E10value_typeEPSK_NS1_7vsmem_tEENKUlT_SI_SJ_SK_E_clISD_PtSD_S10_EESH_SX_SI_SJ_SK_EUlSX_E0_NS1_11comp_targetILNS1_3genE3ELNS1_11target_archE908ELNS1_3gpuE7ELNS1_3repE0EEENS1_38merge_mergepath_config_static_selectorELNS0_4arch9wavefront6targetE1EEEvSJ_ ; -- Begin function _ZN7rocprim17ROCPRIM_400000_NS6detail17trampoline_kernelINS0_14default_configENS1_38merge_sort_block_merge_config_selectorIttEEZZNS1_27merge_sort_block_merge_implIS3_N6thrust23THRUST_200600_302600_NS6detail15normal_iteratorINS8_10device_ptrItEEEESD_jNS1_19radix_merge_compareILb0ELb0EtNS0_19identity_decomposerEEEEE10hipError_tT0_T1_T2_jT3_P12ihipStream_tbPNSt15iterator_traitsISI_E10value_typeEPNSO_ISJ_E10value_typeEPSK_NS1_7vsmem_tEENKUlT_SI_SJ_SK_E_clISD_PtSD_S10_EESH_SX_SI_SJ_SK_EUlSX_E0_NS1_11comp_targetILNS1_3genE3ELNS1_11target_archE908ELNS1_3gpuE7ELNS1_3repE0EEENS1_38merge_mergepath_config_static_selectorELNS0_4arch9wavefront6targetE1EEEvSJ_
	.globl	_ZN7rocprim17ROCPRIM_400000_NS6detail17trampoline_kernelINS0_14default_configENS1_38merge_sort_block_merge_config_selectorIttEEZZNS1_27merge_sort_block_merge_implIS3_N6thrust23THRUST_200600_302600_NS6detail15normal_iteratorINS8_10device_ptrItEEEESD_jNS1_19radix_merge_compareILb0ELb0EtNS0_19identity_decomposerEEEEE10hipError_tT0_T1_T2_jT3_P12ihipStream_tbPNSt15iterator_traitsISI_E10value_typeEPNSO_ISJ_E10value_typeEPSK_NS1_7vsmem_tEENKUlT_SI_SJ_SK_E_clISD_PtSD_S10_EESH_SX_SI_SJ_SK_EUlSX_E0_NS1_11comp_targetILNS1_3genE3ELNS1_11target_archE908ELNS1_3gpuE7ELNS1_3repE0EEENS1_38merge_mergepath_config_static_selectorELNS0_4arch9wavefront6targetE1EEEvSJ_
	.p2align	8
	.type	_ZN7rocprim17ROCPRIM_400000_NS6detail17trampoline_kernelINS0_14default_configENS1_38merge_sort_block_merge_config_selectorIttEEZZNS1_27merge_sort_block_merge_implIS3_N6thrust23THRUST_200600_302600_NS6detail15normal_iteratorINS8_10device_ptrItEEEESD_jNS1_19radix_merge_compareILb0ELb0EtNS0_19identity_decomposerEEEEE10hipError_tT0_T1_T2_jT3_P12ihipStream_tbPNSt15iterator_traitsISI_E10value_typeEPNSO_ISJ_E10value_typeEPSK_NS1_7vsmem_tEENKUlT_SI_SJ_SK_E_clISD_PtSD_S10_EESH_SX_SI_SJ_SK_EUlSX_E0_NS1_11comp_targetILNS1_3genE3ELNS1_11target_archE908ELNS1_3gpuE7ELNS1_3repE0EEENS1_38merge_mergepath_config_static_selectorELNS0_4arch9wavefront6targetE1EEEvSJ_,@function
_ZN7rocprim17ROCPRIM_400000_NS6detail17trampoline_kernelINS0_14default_configENS1_38merge_sort_block_merge_config_selectorIttEEZZNS1_27merge_sort_block_merge_implIS3_N6thrust23THRUST_200600_302600_NS6detail15normal_iteratorINS8_10device_ptrItEEEESD_jNS1_19radix_merge_compareILb0ELb0EtNS0_19identity_decomposerEEEEE10hipError_tT0_T1_T2_jT3_P12ihipStream_tbPNSt15iterator_traitsISI_E10value_typeEPNSO_ISJ_E10value_typeEPSK_NS1_7vsmem_tEENKUlT_SI_SJ_SK_E_clISD_PtSD_S10_EESH_SX_SI_SJ_SK_EUlSX_E0_NS1_11comp_targetILNS1_3genE3ELNS1_11target_archE908ELNS1_3gpuE7ELNS1_3repE0EEENS1_38merge_mergepath_config_static_selectorELNS0_4arch9wavefront6targetE1EEEvSJ_: ; @_ZN7rocprim17ROCPRIM_400000_NS6detail17trampoline_kernelINS0_14default_configENS1_38merge_sort_block_merge_config_selectorIttEEZZNS1_27merge_sort_block_merge_implIS3_N6thrust23THRUST_200600_302600_NS6detail15normal_iteratorINS8_10device_ptrItEEEESD_jNS1_19radix_merge_compareILb0ELb0EtNS0_19identity_decomposerEEEEE10hipError_tT0_T1_T2_jT3_P12ihipStream_tbPNSt15iterator_traitsISI_E10value_typeEPNSO_ISJ_E10value_typeEPSK_NS1_7vsmem_tEENKUlT_SI_SJ_SK_E_clISD_PtSD_S10_EESH_SX_SI_SJ_SK_EUlSX_E0_NS1_11comp_targetILNS1_3genE3ELNS1_11target_archE908ELNS1_3gpuE7ELNS1_3repE0EEENS1_38merge_mergepath_config_static_selectorELNS0_4arch9wavefront6targetE1EEEvSJ_
; %bb.0:
	.section	.rodata,"a",@progbits
	.p2align	6, 0x0
	.amdhsa_kernel _ZN7rocprim17ROCPRIM_400000_NS6detail17trampoline_kernelINS0_14default_configENS1_38merge_sort_block_merge_config_selectorIttEEZZNS1_27merge_sort_block_merge_implIS3_N6thrust23THRUST_200600_302600_NS6detail15normal_iteratorINS8_10device_ptrItEEEESD_jNS1_19radix_merge_compareILb0ELb0EtNS0_19identity_decomposerEEEEE10hipError_tT0_T1_T2_jT3_P12ihipStream_tbPNSt15iterator_traitsISI_E10value_typeEPNSO_ISJ_E10value_typeEPSK_NS1_7vsmem_tEENKUlT_SI_SJ_SK_E_clISD_PtSD_S10_EESH_SX_SI_SJ_SK_EUlSX_E0_NS1_11comp_targetILNS1_3genE3ELNS1_11target_archE908ELNS1_3gpuE7ELNS1_3repE0EEENS1_38merge_mergepath_config_static_selectorELNS0_4arch9wavefront6targetE1EEEvSJ_
		.amdhsa_group_segment_fixed_size 0
		.amdhsa_private_segment_fixed_size 0
		.amdhsa_kernarg_size 64
		.amdhsa_user_sgpr_count 2
		.amdhsa_user_sgpr_dispatch_ptr 0
		.amdhsa_user_sgpr_queue_ptr 0
		.amdhsa_user_sgpr_kernarg_segment_ptr 1
		.amdhsa_user_sgpr_dispatch_id 0
		.amdhsa_user_sgpr_kernarg_preload_length 0
		.amdhsa_user_sgpr_kernarg_preload_offset 0
		.amdhsa_user_sgpr_private_segment_size 0
		.amdhsa_uses_dynamic_stack 0
		.amdhsa_enable_private_segment 0
		.amdhsa_system_sgpr_workgroup_id_x 1
		.amdhsa_system_sgpr_workgroup_id_y 0
		.amdhsa_system_sgpr_workgroup_id_z 0
		.amdhsa_system_sgpr_workgroup_info 0
		.amdhsa_system_vgpr_workitem_id 0
		.amdhsa_next_free_vgpr 1
		.amdhsa_next_free_sgpr 0
		.amdhsa_accum_offset 4
		.amdhsa_reserve_vcc 0
		.amdhsa_float_round_mode_32 0
		.amdhsa_float_round_mode_16_64 0
		.amdhsa_float_denorm_mode_32 3
		.amdhsa_float_denorm_mode_16_64 3
		.amdhsa_dx10_clamp 1
		.amdhsa_ieee_mode 1
		.amdhsa_fp16_overflow 0
		.amdhsa_tg_split 0
		.amdhsa_exception_fp_ieee_invalid_op 0
		.amdhsa_exception_fp_denorm_src 0
		.amdhsa_exception_fp_ieee_div_zero 0
		.amdhsa_exception_fp_ieee_overflow 0
		.amdhsa_exception_fp_ieee_underflow 0
		.amdhsa_exception_fp_ieee_inexact 0
		.amdhsa_exception_int_div_zero 0
	.end_amdhsa_kernel
	.section	.text._ZN7rocprim17ROCPRIM_400000_NS6detail17trampoline_kernelINS0_14default_configENS1_38merge_sort_block_merge_config_selectorIttEEZZNS1_27merge_sort_block_merge_implIS3_N6thrust23THRUST_200600_302600_NS6detail15normal_iteratorINS8_10device_ptrItEEEESD_jNS1_19radix_merge_compareILb0ELb0EtNS0_19identity_decomposerEEEEE10hipError_tT0_T1_T2_jT3_P12ihipStream_tbPNSt15iterator_traitsISI_E10value_typeEPNSO_ISJ_E10value_typeEPSK_NS1_7vsmem_tEENKUlT_SI_SJ_SK_E_clISD_PtSD_S10_EESH_SX_SI_SJ_SK_EUlSX_E0_NS1_11comp_targetILNS1_3genE3ELNS1_11target_archE908ELNS1_3gpuE7ELNS1_3repE0EEENS1_38merge_mergepath_config_static_selectorELNS0_4arch9wavefront6targetE1EEEvSJ_,"axG",@progbits,_ZN7rocprim17ROCPRIM_400000_NS6detail17trampoline_kernelINS0_14default_configENS1_38merge_sort_block_merge_config_selectorIttEEZZNS1_27merge_sort_block_merge_implIS3_N6thrust23THRUST_200600_302600_NS6detail15normal_iteratorINS8_10device_ptrItEEEESD_jNS1_19radix_merge_compareILb0ELb0EtNS0_19identity_decomposerEEEEE10hipError_tT0_T1_T2_jT3_P12ihipStream_tbPNSt15iterator_traitsISI_E10value_typeEPNSO_ISJ_E10value_typeEPSK_NS1_7vsmem_tEENKUlT_SI_SJ_SK_E_clISD_PtSD_S10_EESH_SX_SI_SJ_SK_EUlSX_E0_NS1_11comp_targetILNS1_3genE3ELNS1_11target_archE908ELNS1_3gpuE7ELNS1_3repE0EEENS1_38merge_mergepath_config_static_selectorELNS0_4arch9wavefront6targetE1EEEvSJ_,comdat
.Lfunc_end878:
	.size	_ZN7rocprim17ROCPRIM_400000_NS6detail17trampoline_kernelINS0_14default_configENS1_38merge_sort_block_merge_config_selectorIttEEZZNS1_27merge_sort_block_merge_implIS3_N6thrust23THRUST_200600_302600_NS6detail15normal_iteratorINS8_10device_ptrItEEEESD_jNS1_19radix_merge_compareILb0ELb0EtNS0_19identity_decomposerEEEEE10hipError_tT0_T1_T2_jT3_P12ihipStream_tbPNSt15iterator_traitsISI_E10value_typeEPNSO_ISJ_E10value_typeEPSK_NS1_7vsmem_tEENKUlT_SI_SJ_SK_E_clISD_PtSD_S10_EESH_SX_SI_SJ_SK_EUlSX_E0_NS1_11comp_targetILNS1_3genE3ELNS1_11target_archE908ELNS1_3gpuE7ELNS1_3repE0EEENS1_38merge_mergepath_config_static_selectorELNS0_4arch9wavefront6targetE1EEEvSJ_, .Lfunc_end878-_ZN7rocprim17ROCPRIM_400000_NS6detail17trampoline_kernelINS0_14default_configENS1_38merge_sort_block_merge_config_selectorIttEEZZNS1_27merge_sort_block_merge_implIS3_N6thrust23THRUST_200600_302600_NS6detail15normal_iteratorINS8_10device_ptrItEEEESD_jNS1_19radix_merge_compareILb0ELb0EtNS0_19identity_decomposerEEEEE10hipError_tT0_T1_T2_jT3_P12ihipStream_tbPNSt15iterator_traitsISI_E10value_typeEPNSO_ISJ_E10value_typeEPSK_NS1_7vsmem_tEENKUlT_SI_SJ_SK_E_clISD_PtSD_S10_EESH_SX_SI_SJ_SK_EUlSX_E0_NS1_11comp_targetILNS1_3genE3ELNS1_11target_archE908ELNS1_3gpuE7ELNS1_3repE0EEENS1_38merge_mergepath_config_static_selectorELNS0_4arch9wavefront6targetE1EEEvSJ_
                                        ; -- End function
	.set _ZN7rocprim17ROCPRIM_400000_NS6detail17trampoline_kernelINS0_14default_configENS1_38merge_sort_block_merge_config_selectorIttEEZZNS1_27merge_sort_block_merge_implIS3_N6thrust23THRUST_200600_302600_NS6detail15normal_iteratorINS8_10device_ptrItEEEESD_jNS1_19radix_merge_compareILb0ELb0EtNS0_19identity_decomposerEEEEE10hipError_tT0_T1_T2_jT3_P12ihipStream_tbPNSt15iterator_traitsISI_E10value_typeEPNSO_ISJ_E10value_typeEPSK_NS1_7vsmem_tEENKUlT_SI_SJ_SK_E_clISD_PtSD_S10_EESH_SX_SI_SJ_SK_EUlSX_E0_NS1_11comp_targetILNS1_3genE3ELNS1_11target_archE908ELNS1_3gpuE7ELNS1_3repE0EEENS1_38merge_mergepath_config_static_selectorELNS0_4arch9wavefront6targetE1EEEvSJ_.num_vgpr, 0
	.set _ZN7rocprim17ROCPRIM_400000_NS6detail17trampoline_kernelINS0_14default_configENS1_38merge_sort_block_merge_config_selectorIttEEZZNS1_27merge_sort_block_merge_implIS3_N6thrust23THRUST_200600_302600_NS6detail15normal_iteratorINS8_10device_ptrItEEEESD_jNS1_19radix_merge_compareILb0ELb0EtNS0_19identity_decomposerEEEEE10hipError_tT0_T1_T2_jT3_P12ihipStream_tbPNSt15iterator_traitsISI_E10value_typeEPNSO_ISJ_E10value_typeEPSK_NS1_7vsmem_tEENKUlT_SI_SJ_SK_E_clISD_PtSD_S10_EESH_SX_SI_SJ_SK_EUlSX_E0_NS1_11comp_targetILNS1_3genE3ELNS1_11target_archE908ELNS1_3gpuE7ELNS1_3repE0EEENS1_38merge_mergepath_config_static_selectorELNS0_4arch9wavefront6targetE1EEEvSJ_.num_agpr, 0
	.set _ZN7rocprim17ROCPRIM_400000_NS6detail17trampoline_kernelINS0_14default_configENS1_38merge_sort_block_merge_config_selectorIttEEZZNS1_27merge_sort_block_merge_implIS3_N6thrust23THRUST_200600_302600_NS6detail15normal_iteratorINS8_10device_ptrItEEEESD_jNS1_19radix_merge_compareILb0ELb0EtNS0_19identity_decomposerEEEEE10hipError_tT0_T1_T2_jT3_P12ihipStream_tbPNSt15iterator_traitsISI_E10value_typeEPNSO_ISJ_E10value_typeEPSK_NS1_7vsmem_tEENKUlT_SI_SJ_SK_E_clISD_PtSD_S10_EESH_SX_SI_SJ_SK_EUlSX_E0_NS1_11comp_targetILNS1_3genE3ELNS1_11target_archE908ELNS1_3gpuE7ELNS1_3repE0EEENS1_38merge_mergepath_config_static_selectorELNS0_4arch9wavefront6targetE1EEEvSJ_.numbered_sgpr, 0
	.set _ZN7rocprim17ROCPRIM_400000_NS6detail17trampoline_kernelINS0_14default_configENS1_38merge_sort_block_merge_config_selectorIttEEZZNS1_27merge_sort_block_merge_implIS3_N6thrust23THRUST_200600_302600_NS6detail15normal_iteratorINS8_10device_ptrItEEEESD_jNS1_19radix_merge_compareILb0ELb0EtNS0_19identity_decomposerEEEEE10hipError_tT0_T1_T2_jT3_P12ihipStream_tbPNSt15iterator_traitsISI_E10value_typeEPNSO_ISJ_E10value_typeEPSK_NS1_7vsmem_tEENKUlT_SI_SJ_SK_E_clISD_PtSD_S10_EESH_SX_SI_SJ_SK_EUlSX_E0_NS1_11comp_targetILNS1_3genE3ELNS1_11target_archE908ELNS1_3gpuE7ELNS1_3repE0EEENS1_38merge_mergepath_config_static_selectorELNS0_4arch9wavefront6targetE1EEEvSJ_.num_named_barrier, 0
	.set _ZN7rocprim17ROCPRIM_400000_NS6detail17trampoline_kernelINS0_14default_configENS1_38merge_sort_block_merge_config_selectorIttEEZZNS1_27merge_sort_block_merge_implIS3_N6thrust23THRUST_200600_302600_NS6detail15normal_iteratorINS8_10device_ptrItEEEESD_jNS1_19radix_merge_compareILb0ELb0EtNS0_19identity_decomposerEEEEE10hipError_tT0_T1_T2_jT3_P12ihipStream_tbPNSt15iterator_traitsISI_E10value_typeEPNSO_ISJ_E10value_typeEPSK_NS1_7vsmem_tEENKUlT_SI_SJ_SK_E_clISD_PtSD_S10_EESH_SX_SI_SJ_SK_EUlSX_E0_NS1_11comp_targetILNS1_3genE3ELNS1_11target_archE908ELNS1_3gpuE7ELNS1_3repE0EEENS1_38merge_mergepath_config_static_selectorELNS0_4arch9wavefront6targetE1EEEvSJ_.private_seg_size, 0
	.set _ZN7rocprim17ROCPRIM_400000_NS6detail17trampoline_kernelINS0_14default_configENS1_38merge_sort_block_merge_config_selectorIttEEZZNS1_27merge_sort_block_merge_implIS3_N6thrust23THRUST_200600_302600_NS6detail15normal_iteratorINS8_10device_ptrItEEEESD_jNS1_19radix_merge_compareILb0ELb0EtNS0_19identity_decomposerEEEEE10hipError_tT0_T1_T2_jT3_P12ihipStream_tbPNSt15iterator_traitsISI_E10value_typeEPNSO_ISJ_E10value_typeEPSK_NS1_7vsmem_tEENKUlT_SI_SJ_SK_E_clISD_PtSD_S10_EESH_SX_SI_SJ_SK_EUlSX_E0_NS1_11comp_targetILNS1_3genE3ELNS1_11target_archE908ELNS1_3gpuE7ELNS1_3repE0EEENS1_38merge_mergepath_config_static_selectorELNS0_4arch9wavefront6targetE1EEEvSJ_.uses_vcc, 0
	.set _ZN7rocprim17ROCPRIM_400000_NS6detail17trampoline_kernelINS0_14default_configENS1_38merge_sort_block_merge_config_selectorIttEEZZNS1_27merge_sort_block_merge_implIS3_N6thrust23THRUST_200600_302600_NS6detail15normal_iteratorINS8_10device_ptrItEEEESD_jNS1_19radix_merge_compareILb0ELb0EtNS0_19identity_decomposerEEEEE10hipError_tT0_T1_T2_jT3_P12ihipStream_tbPNSt15iterator_traitsISI_E10value_typeEPNSO_ISJ_E10value_typeEPSK_NS1_7vsmem_tEENKUlT_SI_SJ_SK_E_clISD_PtSD_S10_EESH_SX_SI_SJ_SK_EUlSX_E0_NS1_11comp_targetILNS1_3genE3ELNS1_11target_archE908ELNS1_3gpuE7ELNS1_3repE0EEENS1_38merge_mergepath_config_static_selectorELNS0_4arch9wavefront6targetE1EEEvSJ_.uses_flat_scratch, 0
	.set _ZN7rocprim17ROCPRIM_400000_NS6detail17trampoline_kernelINS0_14default_configENS1_38merge_sort_block_merge_config_selectorIttEEZZNS1_27merge_sort_block_merge_implIS3_N6thrust23THRUST_200600_302600_NS6detail15normal_iteratorINS8_10device_ptrItEEEESD_jNS1_19radix_merge_compareILb0ELb0EtNS0_19identity_decomposerEEEEE10hipError_tT0_T1_T2_jT3_P12ihipStream_tbPNSt15iterator_traitsISI_E10value_typeEPNSO_ISJ_E10value_typeEPSK_NS1_7vsmem_tEENKUlT_SI_SJ_SK_E_clISD_PtSD_S10_EESH_SX_SI_SJ_SK_EUlSX_E0_NS1_11comp_targetILNS1_3genE3ELNS1_11target_archE908ELNS1_3gpuE7ELNS1_3repE0EEENS1_38merge_mergepath_config_static_selectorELNS0_4arch9wavefront6targetE1EEEvSJ_.has_dyn_sized_stack, 0
	.set _ZN7rocprim17ROCPRIM_400000_NS6detail17trampoline_kernelINS0_14default_configENS1_38merge_sort_block_merge_config_selectorIttEEZZNS1_27merge_sort_block_merge_implIS3_N6thrust23THRUST_200600_302600_NS6detail15normal_iteratorINS8_10device_ptrItEEEESD_jNS1_19radix_merge_compareILb0ELb0EtNS0_19identity_decomposerEEEEE10hipError_tT0_T1_T2_jT3_P12ihipStream_tbPNSt15iterator_traitsISI_E10value_typeEPNSO_ISJ_E10value_typeEPSK_NS1_7vsmem_tEENKUlT_SI_SJ_SK_E_clISD_PtSD_S10_EESH_SX_SI_SJ_SK_EUlSX_E0_NS1_11comp_targetILNS1_3genE3ELNS1_11target_archE908ELNS1_3gpuE7ELNS1_3repE0EEENS1_38merge_mergepath_config_static_selectorELNS0_4arch9wavefront6targetE1EEEvSJ_.has_recursion, 0
	.set _ZN7rocprim17ROCPRIM_400000_NS6detail17trampoline_kernelINS0_14default_configENS1_38merge_sort_block_merge_config_selectorIttEEZZNS1_27merge_sort_block_merge_implIS3_N6thrust23THRUST_200600_302600_NS6detail15normal_iteratorINS8_10device_ptrItEEEESD_jNS1_19radix_merge_compareILb0ELb0EtNS0_19identity_decomposerEEEEE10hipError_tT0_T1_T2_jT3_P12ihipStream_tbPNSt15iterator_traitsISI_E10value_typeEPNSO_ISJ_E10value_typeEPSK_NS1_7vsmem_tEENKUlT_SI_SJ_SK_E_clISD_PtSD_S10_EESH_SX_SI_SJ_SK_EUlSX_E0_NS1_11comp_targetILNS1_3genE3ELNS1_11target_archE908ELNS1_3gpuE7ELNS1_3repE0EEENS1_38merge_mergepath_config_static_selectorELNS0_4arch9wavefront6targetE1EEEvSJ_.has_indirect_call, 0
	.section	.AMDGPU.csdata,"",@progbits
; Kernel info:
; codeLenInByte = 0
; TotalNumSgprs: 6
; NumVgprs: 0
; NumAgprs: 0
; TotalNumVgprs: 0
; ScratchSize: 0
; MemoryBound: 0
; FloatMode: 240
; IeeeMode: 1
; LDSByteSize: 0 bytes/workgroup (compile time only)
; SGPRBlocks: 0
; VGPRBlocks: 0
; NumSGPRsForWavesPerEU: 6
; NumVGPRsForWavesPerEU: 1
; AccumOffset: 4
; Occupancy: 8
; WaveLimiterHint : 0
; COMPUTE_PGM_RSRC2:SCRATCH_EN: 0
; COMPUTE_PGM_RSRC2:USER_SGPR: 2
; COMPUTE_PGM_RSRC2:TRAP_HANDLER: 0
; COMPUTE_PGM_RSRC2:TGID_X_EN: 1
; COMPUTE_PGM_RSRC2:TGID_Y_EN: 0
; COMPUTE_PGM_RSRC2:TGID_Z_EN: 0
; COMPUTE_PGM_RSRC2:TIDIG_COMP_CNT: 0
; COMPUTE_PGM_RSRC3_GFX90A:ACCUM_OFFSET: 0
; COMPUTE_PGM_RSRC3_GFX90A:TG_SPLIT: 0
	.section	.text._ZN7rocprim17ROCPRIM_400000_NS6detail17trampoline_kernelINS0_14default_configENS1_38merge_sort_block_merge_config_selectorIttEEZZNS1_27merge_sort_block_merge_implIS3_N6thrust23THRUST_200600_302600_NS6detail15normal_iteratorINS8_10device_ptrItEEEESD_jNS1_19radix_merge_compareILb0ELb0EtNS0_19identity_decomposerEEEEE10hipError_tT0_T1_T2_jT3_P12ihipStream_tbPNSt15iterator_traitsISI_E10value_typeEPNSO_ISJ_E10value_typeEPSK_NS1_7vsmem_tEENKUlT_SI_SJ_SK_E_clISD_PtSD_S10_EESH_SX_SI_SJ_SK_EUlSX_E0_NS1_11comp_targetILNS1_3genE2ELNS1_11target_archE906ELNS1_3gpuE6ELNS1_3repE0EEENS1_38merge_mergepath_config_static_selectorELNS0_4arch9wavefront6targetE1EEEvSJ_,"axG",@progbits,_ZN7rocprim17ROCPRIM_400000_NS6detail17trampoline_kernelINS0_14default_configENS1_38merge_sort_block_merge_config_selectorIttEEZZNS1_27merge_sort_block_merge_implIS3_N6thrust23THRUST_200600_302600_NS6detail15normal_iteratorINS8_10device_ptrItEEEESD_jNS1_19radix_merge_compareILb0ELb0EtNS0_19identity_decomposerEEEEE10hipError_tT0_T1_T2_jT3_P12ihipStream_tbPNSt15iterator_traitsISI_E10value_typeEPNSO_ISJ_E10value_typeEPSK_NS1_7vsmem_tEENKUlT_SI_SJ_SK_E_clISD_PtSD_S10_EESH_SX_SI_SJ_SK_EUlSX_E0_NS1_11comp_targetILNS1_3genE2ELNS1_11target_archE906ELNS1_3gpuE6ELNS1_3repE0EEENS1_38merge_mergepath_config_static_selectorELNS0_4arch9wavefront6targetE1EEEvSJ_,comdat
	.protected	_ZN7rocprim17ROCPRIM_400000_NS6detail17trampoline_kernelINS0_14default_configENS1_38merge_sort_block_merge_config_selectorIttEEZZNS1_27merge_sort_block_merge_implIS3_N6thrust23THRUST_200600_302600_NS6detail15normal_iteratorINS8_10device_ptrItEEEESD_jNS1_19radix_merge_compareILb0ELb0EtNS0_19identity_decomposerEEEEE10hipError_tT0_T1_T2_jT3_P12ihipStream_tbPNSt15iterator_traitsISI_E10value_typeEPNSO_ISJ_E10value_typeEPSK_NS1_7vsmem_tEENKUlT_SI_SJ_SK_E_clISD_PtSD_S10_EESH_SX_SI_SJ_SK_EUlSX_E0_NS1_11comp_targetILNS1_3genE2ELNS1_11target_archE906ELNS1_3gpuE6ELNS1_3repE0EEENS1_38merge_mergepath_config_static_selectorELNS0_4arch9wavefront6targetE1EEEvSJ_ ; -- Begin function _ZN7rocprim17ROCPRIM_400000_NS6detail17trampoline_kernelINS0_14default_configENS1_38merge_sort_block_merge_config_selectorIttEEZZNS1_27merge_sort_block_merge_implIS3_N6thrust23THRUST_200600_302600_NS6detail15normal_iteratorINS8_10device_ptrItEEEESD_jNS1_19radix_merge_compareILb0ELb0EtNS0_19identity_decomposerEEEEE10hipError_tT0_T1_T2_jT3_P12ihipStream_tbPNSt15iterator_traitsISI_E10value_typeEPNSO_ISJ_E10value_typeEPSK_NS1_7vsmem_tEENKUlT_SI_SJ_SK_E_clISD_PtSD_S10_EESH_SX_SI_SJ_SK_EUlSX_E0_NS1_11comp_targetILNS1_3genE2ELNS1_11target_archE906ELNS1_3gpuE6ELNS1_3repE0EEENS1_38merge_mergepath_config_static_selectorELNS0_4arch9wavefront6targetE1EEEvSJ_
	.globl	_ZN7rocprim17ROCPRIM_400000_NS6detail17trampoline_kernelINS0_14default_configENS1_38merge_sort_block_merge_config_selectorIttEEZZNS1_27merge_sort_block_merge_implIS3_N6thrust23THRUST_200600_302600_NS6detail15normal_iteratorINS8_10device_ptrItEEEESD_jNS1_19radix_merge_compareILb0ELb0EtNS0_19identity_decomposerEEEEE10hipError_tT0_T1_T2_jT3_P12ihipStream_tbPNSt15iterator_traitsISI_E10value_typeEPNSO_ISJ_E10value_typeEPSK_NS1_7vsmem_tEENKUlT_SI_SJ_SK_E_clISD_PtSD_S10_EESH_SX_SI_SJ_SK_EUlSX_E0_NS1_11comp_targetILNS1_3genE2ELNS1_11target_archE906ELNS1_3gpuE6ELNS1_3repE0EEENS1_38merge_mergepath_config_static_selectorELNS0_4arch9wavefront6targetE1EEEvSJ_
	.p2align	8
	.type	_ZN7rocprim17ROCPRIM_400000_NS6detail17trampoline_kernelINS0_14default_configENS1_38merge_sort_block_merge_config_selectorIttEEZZNS1_27merge_sort_block_merge_implIS3_N6thrust23THRUST_200600_302600_NS6detail15normal_iteratorINS8_10device_ptrItEEEESD_jNS1_19radix_merge_compareILb0ELb0EtNS0_19identity_decomposerEEEEE10hipError_tT0_T1_T2_jT3_P12ihipStream_tbPNSt15iterator_traitsISI_E10value_typeEPNSO_ISJ_E10value_typeEPSK_NS1_7vsmem_tEENKUlT_SI_SJ_SK_E_clISD_PtSD_S10_EESH_SX_SI_SJ_SK_EUlSX_E0_NS1_11comp_targetILNS1_3genE2ELNS1_11target_archE906ELNS1_3gpuE6ELNS1_3repE0EEENS1_38merge_mergepath_config_static_selectorELNS0_4arch9wavefront6targetE1EEEvSJ_,@function
_ZN7rocprim17ROCPRIM_400000_NS6detail17trampoline_kernelINS0_14default_configENS1_38merge_sort_block_merge_config_selectorIttEEZZNS1_27merge_sort_block_merge_implIS3_N6thrust23THRUST_200600_302600_NS6detail15normal_iteratorINS8_10device_ptrItEEEESD_jNS1_19radix_merge_compareILb0ELb0EtNS0_19identity_decomposerEEEEE10hipError_tT0_T1_T2_jT3_P12ihipStream_tbPNSt15iterator_traitsISI_E10value_typeEPNSO_ISJ_E10value_typeEPSK_NS1_7vsmem_tEENKUlT_SI_SJ_SK_E_clISD_PtSD_S10_EESH_SX_SI_SJ_SK_EUlSX_E0_NS1_11comp_targetILNS1_3genE2ELNS1_11target_archE906ELNS1_3gpuE6ELNS1_3repE0EEENS1_38merge_mergepath_config_static_selectorELNS0_4arch9wavefront6targetE1EEEvSJ_: ; @_ZN7rocprim17ROCPRIM_400000_NS6detail17trampoline_kernelINS0_14default_configENS1_38merge_sort_block_merge_config_selectorIttEEZZNS1_27merge_sort_block_merge_implIS3_N6thrust23THRUST_200600_302600_NS6detail15normal_iteratorINS8_10device_ptrItEEEESD_jNS1_19radix_merge_compareILb0ELb0EtNS0_19identity_decomposerEEEEE10hipError_tT0_T1_T2_jT3_P12ihipStream_tbPNSt15iterator_traitsISI_E10value_typeEPNSO_ISJ_E10value_typeEPSK_NS1_7vsmem_tEENKUlT_SI_SJ_SK_E_clISD_PtSD_S10_EESH_SX_SI_SJ_SK_EUlSX_E0_NS1_11comp_targetILNS1_3genE2ELNS1_11target_archE906ELNS1_3gpuE6ELNS1_3repE0EEENS1_38merge_mergepath_config_static_selectorELNS0_4arch9wavefront6targetE1EEEvSJ_
; %bb.0:
	.section	.rodata,"a",@progbits
	.p2align	6, 0x0
	.amdhsa_kernel _ZN7rocprim17ROCPRIM_400000_NS6detail17trampoline_kernelINS0_14default_configENS1_38merge_sort_block_merge_config_selectorIttEEZZNS1_27merge_sort_block_merge_implIS3_N6thrust23THRUST_200600_302600_NS6detail15normal_iteratorINS8_10device_ptrItEEEESD_jNS1_19radix_merge_compareILb0ELb0EtNS0_19identity_decomposerEEEEE10hipError_tT0_T1_T2_jT3_P12ihipStream_tbPNSt15iterator_traitsISI_E10value_typeEPNSO_ISJ_E10value_typeEPSK_NS1_7vsmem_tEENKUlT_SI_SJ_SK_E_clISD_PtSD_S10_EESH_SX_SI_SJ_SK_EUlSX_E0_NS1_11comp_targetILNS1_3genE2ELNS1_11target_archE906ELNS1_3gpuE6ELNS1_3repE0EEENS1_38merge_mergepath_config_static_selectorELNS0_4arch9wavefront6targetE1EEEvSJ_
		.amdhsa_group_segment_fixed_size 0
		.amdhsa_private_segment_fixed_size 0
		.amdhsa_kernarg_size 64
		.amdhsa_user_sgpr_count 2
		.amdhsa_user_sgpr_dispatch_ptr 0
		.amdhsa_user_sgpr_queue_ptr 0
		.amdhsa_user_sgpr_kernarg_segment_ptr 1
		.amdhsa_user_sgpr_dispatch_id 0
		.amdhsa_user_sgpr_kernarg_preload_length 0
		.amdhsa_user_sgpr_kernarg_preload_offset 0
		.amdhsa_user_sgpr_private_segment_size 0
		.amdhsa_uses_dynamic_stack 0
		.amdhsa_enable_private_segment 0
		.amdhsa_system_sgpr_workgroup_id_x 1
		.amdhsa_system_sgpr_workgroup_id_y 0
		.amdhsa_system_sgpr_workgroup_id_z 0
		.amdhsa_system_sgpr_workgroup_info 0
		.amdhsa_system_vgpr_workitem_id 0
		.amdhsa_next_free_vgpr 1
		.amdhsa_next_free_sgpr 0
		.amdhsa_accum_offset 4
		.amdhsa_reserve_vcc 0
		.amdhsa_float_round_mode_32 0
		.amdhsa_float_round_mode_16_64 0
		.amdhsa_float_denorm_mode_32 3
		.amdhsa_float_denorm_mode_16_64 3
		.amdhsa_dx10_clamp 1
		.amdhsa_ieee_mode 1
		.amdhsa_fp16_overflow 0
		.amdhsa_tg_split 0
		.amdhsa_exception_fp_ieee_invalid_op 0
		.amdhsa_exception_fp_denorm_src 0
		.amdhsa_exception_fp_ieee_div_zero 0
		.amdhsa_exception_fp_ieee_overflow 0
		.amdhsa_exception_fp_ieee_underflow 0
		.amdhsa_exception_fp_ieee_inexact 0
		.amdhsa_exception_int_div_zero 0
	.end_amdhsa_kernel
	.section	.text._ZN7rocprim17ROCPRIM_400000_NS6detail17trampoline_kernelINS0_14default_configENS1_38merge_sort_block_merge_config_selectorIttEEZZNS1_27merge_sort_block_merge_implIS3_N6thrust23THRUST_200600_302600_NS6detail15normal_iteratorINS8_10device_ptrItEEEESD_jNS1_19radix_merge_compareILb0ELb0EtNS0_19identity_decomposerEEEEE10hipError_tT0_T1_T2_jT3_P12ihipStream_tbPNSt15iterator_traitsISI_E10value_typeEPNSO_ISJ_E10value_typeEPSK_NS1_7vsmem_tEENKUlT_SI_SJ_SK_E_clISD_PtSD_S10_EESH_SX_SI_SJ_SK_EUlSX_E0_NS1_11comp_targetILNS1_3genE2ELNS1_11target_archE906ELNS1_3gpuE6ELNS1_3repE0EEENS1_38merge_mergepath_config_static_selectorELNS0_4arch9wavefront6targetE1EEEvSJ_,"axG",@progbits,_ZN7rocprim17ROCPRIM_400000_NS6detail17trampoline_kernelINS0_14default_configENS1_38merge_sort_block_merge_config_selectorIttEEZZNS1_27merge_sort_block_merge_implIS3_N6thrust23THRUST_200600_302600_NS6detail15normal_iteratorINS8_10device_ptrItEEEESD_jNS1_19radix_merge_compareILb0ELb0EtNS0_19identity_decomposerEEEEE10hipError_tT0_T1_T2_jT3_P12ihipStream_tbPNSt15iterator_traitsISI_E10value_typeEPNSO_ISJ_E10value_typeEPSK_NS1_7vsmem_tEENKUlT_SI_SJ_SK_E_clISD_PtSD_S10_EESH_SX_SI_SJ_SK_EUlSX_E0_NS1_11comp_targetILNS1_3genE2ELNS1_11target_archE906ELNS1_3gpuE6ELNS1_3repE0EEENS1_38merge_mergepath_config_static_selectorELNS0_4arch9wavefront6targetE1EEEvSJ_,comdat
.Lfunc_end879:
	.size	_ZN7rocprim17ROCPRIM_400000_NS6detail17trampoline_kernelINS0_14default_configENS1_38merge_sort_block_merge_config_selectorIttEEZZNS1_27merge_sort_block_merge_implIS3_N6thrust23THRUST_200600_302600_NS6detail15normal_iteratorINS8_10device_ptrItEEEESD_jNS1_19radix_merge_compareILb0ELb0EtNS0_19identity_decomposerEEEEE10hipError_tT0_T1_T2_jT3_P12ihipStream_tbPNSt15iterator_traitsISI_E10value_typeEPNSO_ISJ_E10value_typeEPSK_NS1_7vsmem_tEENKUlT_SI_SJ_SK_E_clISD_PtSD_S10_EESH_SX_SI_SJ_SK_EUlSX_E0_NS1_11comp_targetILNS1_3genE2ELNS1_11target_archE906ELNS1_3gpuE6ELNS1_3repE0EEENS1_38merge_mergepath_config_static_selectorELNS0_4arch9wavefront6targetE1EEEvSJ_, .Lfunc_end879-_ZN7rocprim17ROCPRIM_400000_NS6detail17trampoline_kernelINS0_14default_configENS1_38merge_sort_block_merge_config_selectorIttEEZZNS1_27merge_sort_block_merge_implIS3_N6thrust23THRUST_200600_302600_NS6detail15normal_iteratorINS8_10device_ptrItEEEESD_jNS1_19radix_merge_compareILb0ELb0EtNS0_19identity_decomposerEEEEE10hipError_tT0_T1_T2_jT3_P12ihipStream_tbPNSt15iterator_traitsISI_E10value_typeEPNSO_ISJ_E10value_typeEPSK_NS1_7vsmem_tEENKUlT_SI_SJ_SK_E_clISD_PtSD_S10_EESH_SX_SI_SJ_SK_EUlSX_E0_NS1_11comp_targetILNS1_3genE2ELNS1_11target_archE906ELNS1_3gpuE6ELNS1_3repE0EEENS1_38merge_mergepath_config_static_selectorELNS0_4arch9wavefront6targetE1EEEvSJ_
                                        ; -- End function
	.set _ZN7rocprim17ROCPRIM_400000_NS6detail17trampoline_kernelINS0_14default_configENS1_38merge_sort_block_merge_config_selectorIttEEZZNS1_27merge_sort_block_merge_implIS3_N6thrust23THRUST_200600_302600_NS6detail15normal_iteratorINS8_10device_ptrItEEEESD_jNS1_19radix_merge_compareILb0ELb0EtNS0_19identity_decomposerEEEEE10hipError_tT0_T1_T2_jT3_P12ihipStream_tbPNSt15iterator_traitsISI_E10value_typeEPNSO_ISJ_E10value_typeEPSK_NS1_7vsmem_tEENKUlT_SI_SJ_SK_E_clISD_PtSD_S10_EESH_SX_SI_SJ_SK_EUlSX_E0_NS1_11comp_targetILNS1_3genE2ELNS1_11target_archE906ELNS1_3gpuE6ELNS1_3repE0EEENS1_38merge_mergepath_config_static_selectorELNS0_4arch9wavefront6targetE1EEEvSJ_.num_vgpr, 0
	.set _ZN7rocprim17ROCPRIM_400000_NS6detail17trampoline_kernelINS0_14default_configENS1_38merge_sort_block_merge_config_selectorIttEEZZNS1_27merge_sort_block_merge_implIS3_N6thrust23THRUST_200600_302600_NS6detail15normal_iteratorINS8_10device_ptrItEEEESD_jNS1_19radix_merge_compareILb0ELb0EtNS0_19identity_decomposerEEEEE10hipError_tT0_T1_T2_jT3_P12ihipStream_tbPNSt15iterator_traitsISI_E10value_typeEPNSO_ISJ_E10value_typeEPSK_NS1_7vsmem_tEENKUlT_SI_SJ_SK_E_clISD_PtSD_S10_EESH_SX_SI_SJ_SK_EUlSX_E0_NS1_11comp_targetILNS1_3genE2ELNS1_11target_archE906ELNS1_3gpuE6ELNS1_3repE0EEENS1_38merge_mergepath_config_static_selectorELNS0_4arch9wavefront6targetE1EEEvSJ_.num_agpr, 0
	.set _ZN7rocprim17ROCPRIM_400000_NS6detail17trampoline_kernelINS0_14default_configENS1_38merge_sort_block_merge_config_selectorIttEEZZNS1_27merge_sort_block_merge_implIS3_N6thrust23THRUST_200600_302600_NS6detail15normal_iteratorINS8_10device_ptrItEEEESD_jNS1_19radix_merge_compareILb0ELb0EtNS0_19identity_decomposerEEEEE10hipError_tT0_T1_T2_jT3_P12ihipStream_tbPNSt15iterator_traitsISI_E10value_typeEPNSO_ISJ_E10value_typeEPSK_NS1_7vsmem_tEENKUlT_SI_SJ_SK_E_clISD_PtSD_S10_EESH_SX_SI_SJ_SK_EUlSX_E0_NS1_11comp_targetILNS1_3genE2ELNS1_11target_archE906ELNS1_3gpuE6ELNS1_3repE0EEENS1_38merge_mergepath_config_static_selectorELNS0_4arch9wavefront6targetE1EEEvSJ_.numbered_sgpr, 0
	.set _ZN7rocprim17ROCPRIM_400000_NS6detail17trampoline_kernelINS0_14default_configENS1_38merge_sort_block_merge_config_selectorIttEEZZNS1_27merge_sort_block_merge_implIS3_N6thrust23THRUST_200600_302600_NS6detail15normal_iteratorINS8_10device_ptrItEEEESD_jNS1_19radix_merge_compareILb0ELb0EtNS0_19identity_decomposerEEEEE10hipError_tT0_T1_T2_jT3_P12ihipStream_tbPNSt15iterator_traitsISI_E10value_typeEPNSO_ISJ_E10value_typeEPSK_NS1_7vsmem_tEENKUlT_SI_SJ_SK_E_clISD_PtSD_S10_EESH_SX_SI_SJ_SK_EUlSX_E0_NS1_11comp_targetILNS1_3genE2ELNS1_11target_archE906ELNS1_3gpuE6ELNS1_3repE0EEENS1_38merge_mergepath_config_static_selectorELNS0_4arch9wavefront6targetE1EEEvSJ_.num_named_barrier, 0
	.set _ZN7rocprim17ROCPRIM_400000_NS6detail17trampoline_kernelINS0_14default_configENS1_38merge_sort_block_merge_config_selectorIttEEZZNS1_27merge_sort_block_merge_implIS3_N6thrust23THRUST_200600_302600_NS6detail15normal_iteratorINS8_10device_ptrItEEEESD_jNS1_19radix_merge_compareILb0ELb0EtNS0_19identity_decomposerEEEEE10hipError_tT0_T1_T2_jT3_P12ihipStream_tbPNSt15iterator_traitsISI_E10value_typeEPNSO_ISJ_E10value_typeEPSK_NS1_7vsmem_tEENKUlT_SI_SJ_SK_E_clISD_PtSD_S10_EESH_SX_SI_SJ_SK_EUlSX_E0_NS1_11comp_targetILNS1_3genE2ELNS1_11target_archE906ELNS1_3gpuE6ELNS1_3repE0EEENS1_38merge_mergepath_config_static_selectorELNS0_4arch9wavefront6targetE1EEEvSJ_.private_seg_size, 0
	.set _ZN7rocprim17ROCPRIM_400000_NS6detail17trampoline_kernelINS0_14default_configENS1_38merge_sort_block_merge_config_selectorIttEEZZNS1_27merge_sort_block_merge_implIS3_N6thrust23THRUST_200600_302600_NS6detail15normal_iteratorINS8_10device_ptrItEEEESD_jNS1_19radix_merge_compareILb0ELb0EtNS0_19identity_decomposerEEEEE10hipError_tT0_T1_T2_jT3_P12ihipStream_tbPNSt15iterator_traitsISI_E10value_typeEPNSO_ISJ_E10value_typeEPSK_NS1_7vsmem_tEENKUlT_SI_SJ_SK_E_clISD_PtSD_S10_EESH_SX_SI_SJ_SK_EUlSX_E0_NS1_11comp_targetILNS1_3genE2ELNS1_11target_archE906ELNS1_3gpuE6ELNS1_3repE0EEENS1_38merge_mergepath_config_static_selectorELNS0_4arch9wavefront6targetE1EEEvSJ_.uses_vcc, 0
	.set _ZN7rocprim17ROCPRIM_400000_NS6detail17trampoline_kernelINS0_14default_configENS1_38merge_sort_block_merge_config_selectorIttEEZZNS1_27merge_sort_block_merge_implIS3_N6thrust23THRUST_200600_302600_NS6detail15normal_iteratorINS8_10device_ptrItEEEESD_jNS1_19radix_merge_compareILb0ELb0EtNS0_19identity_decomposerEEEEE10hipError_tT0_T1_T2_jT3_P12ihipStream_tbPNSt15iterator_traitsISI_E10value_typeEPNSO_ISJ_E10value_typeEPSK_NS1_7vsmem_tEENKUlT_SI_SJ_SK_E_clISD_PtSD_S10_EESH_SX_SI_SJ_SK_EUlSX_E0_NS1_11comp_targetILNS1_3genE2ELNS1_11target_archE906ELNS1_3gpuE6ELNS1_3repE0EEENS1_38merge_mergepath_config_static_selectorELNS0_4arch9wavefront6targetE1EEEvSJ_.uses_flat_scratch, 0
	.set _ZN7rocprim17ROCPRIM_400000_NS6detail17trampoline_kernelINS0_14default_configENS1_38merge_sort_block_merge_config_selectorIttEEZZNS1_27merge_sort_block_merge_implIS3_N6thrust23THRUST_200600_302600_NS6detail15normal_iteratorINS8_10device_ptrItEEEESD_jNS1_19radix_merge_compareILb0ELb0EtNS0_19identity_decomposerEEEEE10hipError_tT0_T1_T2_jT3_P12ihipStream_tbPNSt15iterator_traitsISI_E10value_typeEPNSO_ISJ_E10value_typeEPSK_NS1_7vsmem_tEENKUlT_SI_SJ_SK_E_clISD_PtSD_S10_EESH_SX_SI_SJ_SK_EUlSX_E0_NS1_11comp_targetILNS1_3genE2ELNS1_11target_archE906ELNS1_3gpuE6ELNS1_3repE0EEENS1_38merge_mergepath_config_static_selectorELNS0_4arch9wavefront6targetE1EEEvSJ_.has_dyn_sized_stack, 0
	.set _ZN7rocprim17ROCPRIM_400000_NS6detail17trampoline_kernelINS0_14default_configENS1_38merge_sort_block_merge_config_selectorIttEEZZNS1_27merge_sort_block_merge_implIS3_N6thrust23THRUST_200600_302600_NS6detail15normal_iteratorINS8_10device_ptrItEEEESD_jNS1_19radix_merge_compareILb0ELb0EtNS0_19identity_decomposerEEEEE10hipError_tT0_T1_T2_jT3_P12ihipStream_tbPNSt15iterator_traitsISI_E10value_typeEPNSO_ISJ_E10value_typeEPSK_NS1_7vsmem_tEENKUlT_SI_SJ_SK_E_clISD_PtSD_S10_EESH_SX_SI_SJ_SK_EUlSX_E0_NS1_11comp_targetILNS1_3genE2ELNS1_11target_archE906ELNS1_3gpuE6ELNS1_3repE0EEENS1_38merge_mergepath_config_static_selectorELNS0_4arch9wavefront6targetE1EEEvSJ_.has_recursion, 0
	.set _ZN7rocprim17ROCPRIM_400000_NS6detail17trampoline_kernelINS0_14default_configENS1_38merge_sort_block_merge_config_selectorIttEEZZNS1_27merge_sort_block_merge_implIS3_N6thrust23THRUST_200600_302600_NS6detail15normal_iteratorINS8_10device_ptrItEEEESD_jNS1_19radix_merge_compareILb0ELb0EtNS0_19identity_decomposerEEEEE10hipError_tT0_T1_T2_jT3_P12ihipStream_tbPNSt15iterator_traitsISI_E10value_typeEPNSO_ISJ_E10value_typeEPSK_NS1_7vsmem_tEENKUlT_SI_SJ_SK_E_clISD_PtSD_S10_EESH_SX_SI_SJ_SK_EUlSX_E0_NS1_11comp_targetILNS1_3genE2ELNS1_11target_archE906ELNS1_3gpuE6ELNS1_3repE0EEENS1_38merge_mergepath_config_static_selectorELNS0_4arch9wavefront6targetE1EEEvSJ_.has_indirect_call, 0
	.section	.AMDGPU.csdata,"",@progbits
; Kernel info:
; codeLenInByte = 0
; TotalNumSgprs: 6
; NumVgprs: 0
; NumAgprs: 0
; TotalNumVgprs: 0
; ScratchSize: 0
; MemoryBound: 0
; FloatMode: 240
; IeeeMode: 1
; LDSByteSize: 0 bytes/workgroup (compile time only)
; SGPRBlocks: 0
; VGPRBlocks: 0
; NumSGPRsForWavesPerEU: 6
; NumVGPRsForWavesPerEU: 1
; AccumOffset: 4
; Occupancy: 8
; WaveLimiterHint : 0
; COMPUTE_PGM_RSRC2:SCRATCH_EN: 0
; COMPUTE_PGM_RSRC2:USER_SGPR: 2
; COMPUTE_PGM_RSRC2:TRAP_HANDLER: 0
; COMPUTE_PGM_RSRC2:TGID_X_EN: 1
; COMPUTE_PGM_RSRC2:TGID_Y_EN: 0
; COMPUTE_PGM_RSRC2:TGID_Z_EN: 0
; COMPUTE_PGM_RSRC2:TIDIG_COMP_CNT: 0
; COMPUTE_PGM_RSRC3_GFX90A:ACCUM_OFFSET: 0
; COMPUTE_PGM_RSRC3_GFX90A:TG_SPLIT: 0
	.section	.text._ZN7rocprim17ROCPRIM_400000_NS6detail17trampoline_kernelINS0_14default_configENS1_38merge_sort_block_merge_config_selectorIttEEZZNS1_27merge_sort_block_merge_implIS3_N6thrust23THRUST_200600_302600_NS6detail15normal_iteratorINS8_10device_ptrItEEEESD_jNS1_19radix_merge_compareILb0ELb0EtNS0_19identity_decomposerEEEEE10hipError_tT0_T1_T2_jT3_P12ihipStream_tbPNSt15iterator_traitsISI_E10value_typeEPNSO_ISJ_E10value_typeEPSK_NS1_7vsmem_tEENKUlT_SI_SJ_SK_E_clISD_PtSD_S10_EESH_SX_SI_SJ_SK_EUlSX_E0_NS1_11comp_targetILNS1_3genE9ELNS1_11target_archE1100ELNS1_3gpuE3ELNS1_3repE0EEENS1_38merge_mergepath_config_static_selectorELNS0_4arch9wavefront6targetE1EEEvSJ_,"axG",@progbits,_ZN7rocprim17ROCPRIM_400000_NS6detail17trampoline_kernelINS0_14default_configENS1_38merge_sort_block_merge_config_selectorIttEEZZNS1_27merge_sort_block_merge_implIS3_N6thrust23THRUST_200600_302600_NS6detail15normal_iteratorINS8_10device_ptrItEEEESD_jNS1_19radix_merge_compareILb0ELb0EtNS0_19identity_decomposerEEEEE10hipError_tT0_T1_T2_jT3_P12ihipStream_tbPNSt15iterator_traitsISI_E10value_typeEPNSO_ISJ_E10value_typeEPSK_NS1_7vsmem_tEENKUlT_SI_SJ_SK_E_clISD_PtSD_S10_EESH_SX_SI_SJ_SK_EUlSX_E0_NS1_11comp_targetILNS1_3genE9ELNS1_11target_archE1100ELNS1_3gpuE3ELNS1_3repE0EEENS1_38merge_mergepath_config_static_selectorELNS0_4arch9wavefront6targetE1EEEvSJ_,comdat
	.protected	_ZN7rocprim17ROCPRIM_400000_NS6detail17trampoline_kernelINS0_14default_configENS1_38merge_sort_block_merge_config_selectorIttEEZZNS1_27merge_sort_block_merge_implIS3_N6thrust23THRUST_200600_302600_NS6detail15normal_iteratorINS8_10device_ptrItEEEESD_jNS1_19radix_merge_compareILb0ELb0EtNS0_19identity_decomposerEEEEE10hipError_tT0_T1_T2_jT3_P12ihipStream_tbPNSt15iterator_traitsISI_E10value_typeEPNSO_ISJ_E10value_typeEPSK_NS1_7vsmem_tEENKUlT_SI_SJ_SK_E_clISD_PtSD_S10_EESH_SX_SI_SJ_SK_EUlSX_E0_NS1_11comp_targetILNS1_3genE9ELNS1_11target_archE1100ELNS1_3gpuE3ELNS1_3repE0EEENS1_38merge_mergepath_config_static_selectorELNS0_4arch9wavefront6targetE1EEEvSJ_ ; -- Begin function _ZN7rocprim17ROCPRIM_400000_NS6detail17trampoline_kernelINS0_14default_configENS1_38merge_sort_block_merge_config_selectorIttEEZZNS1_27merge_sort_block_merge_implIS3_N6thrust23THRUST_200600_302600_NS6detail15normal_iteratorINS8_10device_ptrItEEEESD_jNS1_19radix_merge_compareILb0ELb0EtNS0_19identity_decomposerEEEEE10hipError_tT0_T1_T2_jT3_P12ihipStream_tbPNSt15iterator_traitsISI_E10value_typeEPNSO_ISJ_E10value_typeEPSK_NS1_7vsmem_tEENKUlT_SI_SJ_SK_E_clISD_PtSD_S10_EESH_SX_SI_SJ_SK_EUlSX_E0_NS1_11comp_targetILNS1_3genE9ELNS1_11target_archE1100ELNS1_3gpuE3ELNS1_3repE0EEENS1_38merge_mergepath_config_static_selectorELNS0_4arch9wavefront6targetE1EEEvSJ_
	.globl	_ZN7rocprim17ROCPRIM_400000_NS6detail17trampoline_kernelINS0_14default_configENS1_38merge_sort_block_merge_config_selectorIttEEZZNS1_27merge_sort_block_merge_implIS3_N6thrust23THRUST_200600_302600_NS6detail15normal_iteratorINS8_10device_ptrItEEEESD_jNS1_19radix_merge_compareILb0ELb0EtNS0_19identity_decomposerEEEEE10hipError_tT0_T1_T2_jT3_P12ihipStream_tbPNSt15iterator_traitsISI_E10value_typeEPNSO_ISJ_E10value_typeEPSK_NS1_7vsmem_tEENKUlT_SI_SJ_SK_E_clISD_PtSD_S10_EESH_SX_SI_SJ_SK_EUlSX_E0_NS1_11comp_targetILNS1_3genE9ELNS1_11target_archE1100ELNS1_3gpuE3ELNS1_3repE0EEENS1_38merge_mergepath_config_static_selectorELNS0_4arch9wavefront6targetE1EEEvSJ_
	.p2align	8
	.type	_ZN7rocprim17ROCPRIM_400000_NS6detail17trampoline_kernelINS0_14default_configENS1_38merge_sort_block_merge_config_selectorIttEEZZNS1_27merge_sort_block_merge_implIS3_N6thrust23THRUST_200600_302600_NS6detail15normal_iteratorINS8_10device_ptrItEEEESD_jNS1_19radix_merge_compareILb0ELb0EtNS0_19identity_decomposerEEEEE10hipError_tT0_T1_T2_jT3_P12ihipStream_tbPNSt15iterator_traitsISI_E10value_typeEPNSO_ISJ_E10value_typeEPSK_NS1_7vsmem_tEENKUlT_SI_SJ_SK_E_clISD_PtSD_S10_EESH_SX_SI_SJ_SK_EUlSX_E0_NS1_11comp_targetILNS1_3genE9ELNS1_11target_archE1100ELNS1_3gpuE3ELNS1_3repE0EEENS1_38merge_mergepath_config_static_selectorELNS0_4arch9wavefront6targetE1EEEvSJ_,@function
_ZN7rocprim17ROCPRIM_400000_NS6detail17trampoline_kernelINS0_14default_configENS1_38merge_sort_block_merge_config_selectorIttEEZZNS1_27merge_sort_block_merge_implIS3_N6thrust23THRUST_200600_302600_NS6detail15normal_iteratorINS8_10device_ptrItEEEESD_jNS1_19radix_merge_compareILb0ELb0EtNS0_19identity_decomposerEEEEE10hipError_tT0_T1_T2_jT3_P12ihipStream_tbPNSt15iterator_traitsISI_E10value_typeEPNSO_ISJ_E10value_typeEPSK_NS1_7vsmem_tEENKUlT_SI_SJ_SK_E_clISD_PtSD_S10_EESH_SX_SI_SJ_SK_EUlSX_E0_NS1_11comp_targetILNS1_3genE9ELNS1_11target_archE1100ELNS1_3gpuE3ELNS1_3repE0EEENS1_38merge_mergepath_config_static_selectorELNS0_4arch9wavefront6targetE1EEEvSJ_: ; @_ZN7rocprim17ROCPRIM_400000_NS6detail17trampoline_kernelINS0_14default_configENS1_38merge_sort_block_merge_config_selectorIttEEZZNS1_27merge_sort_block_merge_implIS3_N6thrust23THRUST_200600_302600_NS6detail15normal_iteratorINS8_10device_ptrItEEEESD_jNS1_19radix_merge_compareILb0ELb0EtNS0_19identity_decomposerEEEEE10hipError_tT0_T1_T2_jT3_P12ihipStream_tbPNSt15iterator_traitsISI_E10value_typeEPNSO_ISJ_E10value_typeEPSK_NS1_7vsmem_tEENKUlT_SI_SJ_SK_E_clISD_PtSD_S10_EESH_SX_SI_SJ_SK_EUlSX_E0_NS1_11comp_targetILNS1_3genE9ELNS1_11target_archE1100ELNS1_3gpuE3ELNS1_3repE0EEENS1_38merge_mergepath_config_static_selectorELNS0_4arch9wavefront6targetE1EEEvSJ_
; %bb.0:
	.section	.rodata,"a",@progbits
	.p2align	6, 0x0
	.amdhsa_kernel _ZN7rocprim17ROCPRIM_400000_NS6detail17trampoline_kernelINS0_14default_configENS1_38merge_sort_block_merge_config_selectorIttEEZZNS1_27merge_sort_block_merge_implIS3_N6thrust23THRUST_200600_302600_NS6detail15normal_iteratorINS8_10device_ptrItEEEESD_jNS1_19radix_merge_compareILb0ELb0EtNS0_19identity_decomposerEEEEE10hipError_tT0_T1_T2_jT3_P12ihipStream_tbPNSt15iterator_traitsISI_E10value_typeEPNSO_ISJ_E10value_typeEPSK_NS1_7vsmem_tEENKUlT_SI_SJ_SK_E_clISD_PtSD_S10_EESH_SX_SI_SJ_SK_EUlSX_E0_NS1_11comp_targetILNS1_3genE9ELNS1_11target_archE1100ELNS1_3gpuE3ELNS1_3repE0EEENS1_38merge_mergepath_config_static_selectorELNS0_4arch9wavefront6targetE1EEEvSJ_
		.amdhsa_group_segment_fixed_size 0
		.amdhsa_private_segment_fixed_size 0
		.amdhsa_kernarg_size 64
		.amdhsa_user_sgpr_count 2
		.amdhsa_user_sgpr_dispatch_ptr 0
		.amdhsa_user_sgpr_queue_ptr 0
		.amdhsa_user_sgpr_kernarg_segment_ptr 1
		.amdhsa_user_sgpr_dispatch_id 0
		.amdhsa_user_sgpr_kernarg_preload_length 0
		.amdhsa_user_sgpr_kernarg_preload_offset 0
		.amdhsa_user_sgpr_private_segment_size 0
		.amdhsa_uses_dynamic_stack 0
		.amdhsa_enable_private_segment 0
		.amdhsa_system_sgpr_workgroup_id_x 1
		.amdhsa_system_sgpr_workgroup_id_y 0
		.amdhsa_system_sgpr_workgroup_id_z 0
		.amdhsa_system_sgpr_workgroup_info 0
		.amdhsa_system_vgpr_workitem_id 0
		.amdhsa_next_free_vgpr 1
		.amdhsa_next_free_sgpr 0
		.amdhsa_accum_offset 4
		.amdhsa_reserve_vcc 0
		.amdhsa_float_round_mode_32 0
		.amdhsa_float_round_mode_16_64 0
		.amdhsa_float_denorm_mode_32 3
		.amdhsa_float_denorm_mode_16_64 3
		.amdhsa_dx10_clamp 1
		.amdhsa_ieee_mode 1
		.amdhsa_fp16_overflow 0
		.amdhsa_tg_split 0
		.amdhsa_exception_fp_ieee_invalid_op 0
		.amdhsa_exception_fp_denorm_src 0
		.amdhsa_exception_fp_ieee_div_zero 0
		.amdhsa_exception_fp_ieee_overflow 0
		.amdhsa_exception_fp_ieee_underflow 0
		.amdhsa_exception_fp_ieee_inexact 0
		.amdhsa_exception_int_div_zero 0
	.end_amdhsa_kernel
	.section	.text._ZN7rocprim17ROCPRIM_400000_NS6detail17trampoline_kernelINS0_14default_configENS1_38merge_sort_block_merge_config_selectorIttEEZZNS1_27merge_sort_block_merge_implIS3_N6thrust23THRUST_200600_302600_NS6detail15normal_iteratorINS8_10device_ptrItEEEESD_jNS1_19radix_merge_compareILb0ELb0EtNS0_19identity_decomposerEEEEE10hipError_tT0_T1_T2_jT3_P12ihipStream_tbPNSt15iterator_traitsISI_E10value_typeEPNSO_ISJ_E10value_typeEPSK_NS1_7vsmem_tEENKUlT_SI_SJ_SK_E_clISD_PtSD_S10_EESH_SX_SI_SJ_SK_EUlSX_E0_NS1_11comp_targetILNS1_3genE9ELNS1_11target_archE1100ELNS1_3gpuE3ELNS1_3repE0EEENS1_38merge_mergepath_config_static_selectorELNS0_4arch9wavefront6targetE1EEEvSJ_,"axG",@progbits,_ZN7rocprim17ROCPRIM_400000_NS6detail17trampoline_kernelINS0_14default_configENS1_38merge_sort_block_merge_config_selectorIttEEZZNS1_27merge_sort_block_merge_implIS3_N6thrust23THRUST_200600_302600_NS6detail15normal_iteratorINS8_10device_ptrItEEEESD_jNS1_19radix_merge_compareILb0ELb0EtNS0_19identity_decomposerEEEEE10hipError_tT0_T1_T2_jT3_P12ihipStream_tbPNSt15iterator_traitsISI_E10value_typeEPNSO_ISJ_E10value_typeEPSK_NS1_7vsmem_tEENKUlT_SI_SJ_SK_E_clISD_PtSD_S10_EESH_SX_SI_SJ_SK_EUlSX_E0_NS1_11comp_targetILNS1_3genE9ELNS1_11target_archE1100ELNS1_3gpuE3ELNS1_3repE0EEENS1_38merge_mergepath_config_static_selectorELNS0_4arch9wavefront6targetE1EEEvSJ_,comdat
.Lfunc_end880:
	.size	_ZN7rocprim17ROCPRIM_400000_NS6detail17trampoline_kernelINS0_14default_configENS1_38merge_sort_block_merge_config_selectorIttEEZZNS1_27merge_sort_block_merge_implIS3_N6thrust23THRUST_200600_302600_NS6detail15normal_iteratorINS8_10device_ptrItEEEESD_jNS1_19radix_merge_compareILb0ELb0EtNS0_19identity_decomposerEEEEE10hipError_tT0_T1_T2_jT3_P12ihipStream_tbPNSt15iterator_traitsISI_E10value_typeEPNSO_ISJ_E10value_typeEPSK_NS1_7vsmem_tEENKUlT_SI_SJ_SK_E_clISD_PtSD_S10_EESH_SX_SI_SJ_SK_EUlSX_E0_NS1_11comp_targetILNS1_3genE9ELNS1_11target_archE1100ELNS1_3gpuE3ELNS1_3repE0EEENS1_38merge_mergepath_config_static_selectorELNS0_4arch9wavefront6targetE1EEEvSJ_, .Lfunc_end880-_ZN7rocprim17ROCPRIM_400000_NS6detail17trampoline_kernelINS0_14default_configENS1_38merge_sort_block_merge_config_selectorIttEEZZNS1_27merge_sort_block_merge_implIS3_N6thrust23THRUST_200600_302600_NS6detail15normal_iteratorINS8_10device_ptrItEEEESD_jNS1_19radix_merge_compareILb0ELb0EtNS0_19identity_decomposerEEEEE10hipError_tT0_T1_T2_jT3_P12ihipStream_tbPNSt15iterator_traitsISI_E10value_typeEPNSO_ISJ_E10value_typeEPSK_NS1_7vsmem_tEENKUlT_SI_SJ_SK_E_clISD_PtSD_S10_EESH_SX_SI_SJ_SK_EUlSX_E0_NS1_11comp_targetILNS1_3genE9ELNS1_11target_archE1100ELNS1_3gpuE3ELNS1_3repE0EEENS1_38merge_mergepath_config_static_selectorELNS0_4arch9wavefront6targetE1EEEvSJ_
                                        ; -- End function
	.set _ZN7rocprim17ROCPRIM_400000_NS6detail17trampoline_kernelINS0_14default_configENS1_38merge_sort_block_merge_config_selectorIttEEZZNS1_27merge_sort_block_merge_implIS3_N6thrust23THRUST_200600_302600_NS6detail15normal_iteratorINS8_10device_ptrItEEEESD_jNS1_19radix_merge_compareILb0ELb0EtNS0_19identity_decomposerEEEEE10hipError_tT0_T1_T2_jT3_P12ihipStream_tbPNSt15iterator_traitsISI_E10value_typeEPNSO_ISJ_E10value_typeEPSK_NS1_7vsmem_tEENKUlT_SI_SJ_SK_E_clISD_PtSD_S10_EESH_SX_SI_SJ_SK_EUlSX_E0_NS1_11comp_targetILNS1_3genE9ELNS1_11target_archE1100ELNS1_3gpuE3ELNS1_3repE0EEENS1_38merge_mergepath_config_static_selectorELNS0_4arch9wavefront6targetE1EEEvSJ_.num_vgpr, 0
	.set _ZN7rocprim17ROCPRIM_400000_NS6detail17trampoline_kernelINS0_14default_configENS1_38merge_sort_block_merge_config_selectorIttEEZZNS1_27merge_sort_block_merge_implIS3_N6thrust23THRUST_200600_302600_NS6detail15normal_iteratorINS8_10device_ptrItEEEESD_jNS1_19radix_merge_compareILb0ELb0EtNS0_19identity_decomposerEEEEE10hipError_tT0_T1_T2_jT3_P12ihipStream_tbPNSt15iterator_traitsISI_E10value_typeEPNSO_ISJ_E10value_typeEPSK_NS1_7vsmem_tEENKUlT_SI_SJ_SK_E_clISD_PtSD_S10_EESH_SX_SI_SJ_SK_EUlSX_E0_NS1_11comp_targetILNS1_3genE9ELNS1_11target_archE1100ELNS1_3gpuE3ELNS1_3repE0EEENS1_38merge_mergepath_config_static_selectorELNS0_4arch9wavefront6targetE1EEEvSJ_.num_agpr, 0
	.set _ZN7rocprim17ROCPRIM_400000_NS6detail17trampoline_kernelINS0_14default_configENS1_38merge_sort_block_merge_config_selectorIttEEZZNS1_27merge_sort_block_merge_implIS3_N6thrust23THRUST_200600_302600_NS6detail15normal_iteratorINS8_10device_ptrItEEEESD_jNS1_19radix_merge_compareILb0ELb0EtNS0_19identity_decomposerEEEEE10hipError_tT0_T1_T2_jT3_P12ihipStream_tbPNSt15iterator_traitsISI_E10value_typeEPNSO_ISJ_E10value_typeEPSK_NS1_7vsmem_tEENKUlT_SI_SJ_SK_E_clISD_PtSD_S10_EESH_SX_SI_SJ_SK_EUlSX_E0_NS1_11comp_targetILNS1_3genE9ELNS1_11target_archE1100ELNS1_3gpuE3ELNS1_3repE0EEENS1_38merge_mergepath_config_static_selectorELNS0_4arch9wavefront6targetE1EEEvSJ_.numbered_sgpr, 0
	.set _ZN7rocprim17ROCPRIM_400000_NS6detail17trampoline_kernelINS0_14default_configENS1_38merge_sort_block_merge_config_selectorIttEEZZNS1_27merge_sort_block_merge_implIS3_N6thrust23THRUST_200600_302600_NS6detail15normal_iteratorINS8_10device_ptrItEEEESD_jNS1_19radix_merge_compareILb0ELb0EtNS0_19identity_decomposerEEEEE10hipError_tT0_T1_T2_jT3_P12ihipStream_tbPNSt15iterator_traitsISI_E10value_typeEPNSO_ISJ_E10value_typeEPSK_NS1_7vsmem_tEENKUlT_SI_SJ_SK_E_clISD_PtSD_S10_EESH_SX_SI_SJ_SK_EUlSX_E0_NS1_11comp_targetILNS1_3genE9ELNS1_11target_archE1100ELNS1_3gpuE3ELNS1_3repE0EEENS1_38merge_mergepath_config_static_selectorELNS0_4arch9wavefront6targetE1EEEvSJ_.num_named_barrier, 0
	.set _ZN7rocprim17ROCPRIM_400000_NS6detail17trampoline_kernelINS0_14default_configENS1_38merge_sort_block_merge_config_selectorIttEEZZNS1_27merge_sort_block_merge_implIS3_N6thrust23THRUST_200600_302600_NS6detail15normal_iteratorINS8_10device_ptrItEEEESD_jNS1_19radix_merge_compareILb0ELb0EtNS0_19identity_decomposerEEEEE10hipError_tT0_T1_T2_jT3_P12ihipStream_tbPNSt15iterator_traitsISI_E10value_typeEPNSO_ISJ_E10value_typeEPSK_NS1_7vsmem_tEENKUlT_SI_SJ_SK_E_clISD_PtSD_S10_EESH_SX_SI_SJ_SK_EUlSX_E0_NS1_11comp_targetILNS1_3genE9ELNS1_11target_archE1100ELNS1_3gpuE3ELNS1_3repE0EEENS1_38merge_mergepath_config_static_selectorELNS0_4arch9wavefront6targetE1EEEvSJ_.private_seg_size, 0
	.set _ZN7rocprim17ROCPRIM_400000_NS6detail17trampoline_kernelINS0_14default_configENS1_38merge_sort_block_merge_config_selectorIttEEZZNS1_27merge_sort_block_merge_implIS3_N6thrust23THRUST_200600_302600_NS6detail15normal_iteratorINS8_10device_ptrItEEEESD_jNS1_19radix_merge_compareILb0ELb0EtNS0_19identity_decomposerEEEEE10hipError_tT0_T1_T2_jT3_P12ihipStream_tbPNSt15iterator_traitsISI_E10value_typeEPNSO_ISJ_E10value_typeEPSK_NS1_7vsmem_tEENKUlT_SI_SJ_SK_E_clISD_PtSD_S10_EESH_SX_SI_SJ_SK_EUlSX_E0_NS1_11comp_targetILNS1_3genE9ELNS1_11target_archE1100ELNS1_3gpuE3ELNS1_3repE0EEENS1_38merge_mergepath_config_static_selectorELNS0_4arch9wavefront6targetE1EEEvSJ_.uses_vcc, 0
	.set _ZN7rocprim17ROCPRIM_400000_NS6detail17trampoline_kernelINS0_14default_configENS1_38merge_sort_block_merge_config_selectorIttEEZZNS1_27merge_sort_block_merge_implIS3_N6thrust23THRUST_200600_302600_NS6detail15normal_iteratorINS8_10device_ptrItEEEESD_jNS1_19radix_merge_compareILb0ELb0EtNS0_19identity_decomposerEEEEE10hipError_tT0_T1_T2_jT3_P12ihipStream_tbPNSt15iterator_traitsISI_E10value_typeEPNSO_ISJ_E10value_typeEPSK_NS1_7vsmem_tEENKUlT_SI_SJ_SK_E_clISD_PtSD_S10_EESH_SX_SI_SJ_SK_EUlSX_E0_NS1_11comp_targetILNS1_3genE9ELNS1_11target_archE1100ELNS1_3gpuE3ELNS1_3repE0EEENS1_38merge_mergepath_config_static_selectorELNS0_4arch9wavefront6targetE1EEEvSJ_.uses_flat_scratch, 0
	.set _ZN7rocprim17ROCPRIM_400000_NS6detail17trampoline_kernelINS0_14default_configENS1_38merge_sort_block_merge_config_selectorIttEEZZNS1_27merge_sort_block_merge_implIS3_N6thrust23THRUST_200600_302600_NS6detail15normal_iteratorINS8_10device_ptrItEEEESD_jNS1_19radix_merge_compareILb0ELb0EtNS0_19identity_decomposerEEEEE10hipError_tT0_T1_T2_jT3_P12ihipStream_tbPNSt15iterator_traitsISI_E10value_typeEPNSO_ISJ_E10value_typeEPSK_NS1_7vsmem_tEENKUlT_SI_SJ_SK_E_clISD_PtSD_S10_EESH_SX_SI_SJ_SK_EUlSX_E0_NS1_11comp_targetILNS1_3genE9ELNS1_11target_archE1100ELNS1_3gpuE3ELNS1_3repE0EEENS1_38merge_mergepath_config_static_selectorELNS0_4arch9wavefront6targetE1EEEvSJ_.has_dyn_sized_stack, 0
	.set _ZN7rocprim17ROCPRIM_400000_NS6detail17trampoline_kernelINS0_14default_configENS1_38merge_sort_block_merge_config_selectorIttEEZZNS1_27merge_sort_block_merge_implIS3_N6thrust23THRUST_200600_302600_NS6detail15normal_iteratorINS8_10device_ptrItEEEESD_jNS1_19radix_merge_compareILb0ELb0EtNS0_19identity_decomposerEEEEE10hipError_tT0_T1_T2_jT3_P12ihipStream_tbPNSt15iterator_traitsISI_E10value_typeEPNSO_ISJ_E10value_typeEPSK_NS1_7vsmem_tEENKUlT_SI_SJ_SK_E_clISD_PtSD_S10_EESH_SX_SI_SJ_SK_EUlSX_E0_NS1_11comp_targetILNS1_3genE9ELNS1_11target_archE1100ELNS1_3gpuE3ELNS1_3repE0EEENS1_38merge_mergepath_config_static_selectorELNS0_4arch9wavefront6targetE1EEEvSJ_.has_recursion, 0
	.set _ZN7rocprim17ROCPRIM_400000_NS6detail17trampoline_kernelINS0_14default_configENS1_38merge_sort_block_merge_config_selectorIttEEZZNS1_27merge_sort_block_merge_implIS3_N6thrust23THRUST_200600_302600_NS6detail15normal_iteratorINS8_10device_ptrItEEEESD_jNS1_19radix_merge_compareILb0ELb0EtNS0_19identity_decomposerEEEEE10hipError_tT0_T1_T2_jT3_P12ihipStream_tbPNSt15iterator_traitsISI_E10value_typeEPNSO_ISJ_E10value_typeEPSK_NS1_7vsmem_tEENKUlT_SI_SJ_SK_E_clISD_PtSD_S10_EESH_SX_SI_SJ_SK_EUlSX_E0_NS1_11comp_targetILNS1_3genE9ELNS1_11target_archE1100ELNS1_3gpuE3ELNS1_3repE0EEENS1_38merge_mergepath_config_static_selectorELNS0_4arch9wavefront6targetE1EEEvSJ_.has_indirect_call, 0
	.section	.AMDGPU.csdata,"",@progbits
; Kernel info:
; codeLenInByte = 0
; TotalNumSgprs: 6
; NumVgprs: 0
; NumAgprs: 0
; TotalNumVgprs: 0
; ScratchSize: 0
; MemoryBound: 0
; FloatMode: 240
; IeeeMode: 1
; LDSByteSize: 0 bytes/workgroup (compile time only)
; SGPRBlocks: 0
; VGPRBlocks: 0
; NumSGPRsForWavesPerEU: 6
; NumVGPRsForWavesPerEU: 1
; AccumOffset: 4
; Occupancy: 8
; WaveLimiterHint : 0
; COMPUTE_PGM_RSRC2:SCRATCH_EN: 0
; COMPUTE_PGM_RSRC2:USER_SGPR: 2
; COMPUTE_PGM_RSRC2:TRAP_HANDLER: 0
; COMPUTE_PGM_RSRC2:TGID_X_EN: 1
; COMPUTE_PGM_RSRC2:TGID_Y_EN: 0
; COMPUTE_PGM_RSRC2:TGID_Z_EN: 0
; COMPUTE_PGM_RSRC2:TIDIG_COMP_CNT: 0
; COMPUTE_PGM_RSRC3_GFX90A:ACCUM_OFFSET: 0
; COMPUTE_PGM_RSRC3_GFX90A:TG_SPLIT: 0
	.section	.text._ZN7rocprim17ROCPRIM_400000_NS6detail17trampoline_kernelINS0_14default_configENS1_38merge_sort_block_merge_config_selectorIttEEZZNS1_27merge_sort_block_merge_implIS3_N6thrust23THRUST_200600_302600_NS6detail15normal_iteratorINS8_10device_ptrItEEEESD_jNS1_19radix_merge_compareILb0ELb0EtNS0_19identity_decomposerEEEEE10hipError_tT0_T1_T2_jT3_P12ihipStream_tbPNSt15iterator_traitsISI_E10value_typeEPNSO_ISJ_E10value_typeEPSK_NS1_7vsmem_tEENKUlT_SI_SJ_SK_E_clISD_PtSD_S10_EESH_SX_SI_SJ_SK_EUlSX_E0_NS1_11comp_targetILNS1_3genE8ELNS1_11target_archE1030ELNS1_3gpuE2ELNS1_3repE0EEENS1_38merge_mergepath_config_static_selectorELNS0_4arch9wavefront6targetE1EEEvSJ_,"axG",@progbits,_ZN7rocprim17ROCPRIM_400000_NS6detail17trampoline_kernelINS0_14default_configENS1_38merge_sort_block_merge_config_selectorIttEEZZNS1_27merge_sort_block_merge_implIS3_N6thrust23THRUST_200600_302600_NS6detail15normal_iteratorINS8_10device_ptrItEEEESD_jNS1_19radix_merge_compareILb0ELb0EtNS0_19identity_decomposerEEEEE10hipError_tT0_T1_T2_jT3_P12ihipStream_tbPNSt15iterator_traitsISI_E10value_typeEPNSO_ISJ_E10value_typeEPSK_NS1_7vsmem_tEENKUlT_SI_SJ_SK_E_clISD_PtSD_S10_EESH_SX_SI_SJ_SK_EUlSX_E0_NS1_11comp_targetILNS1_3genE8ELNS1_11target_archE1030ELNS1_3gpuE2ELNS1_3repE0EEENS1_38merge_mergepath_config_static_selectorELNS0_4arch9wavefront6targetE1EEEvSJ_,comdat
	.protected	_ZN7rocprim17ROCPRIM_400000_NS6detail17trampoline_kernelINS0_14default_configENS1_38merge_sort_block_merge_config_selectorIttEEZZNS1_27merge_sort_block_merge_implIS3_N6thrust23THRUST_200600_302600_NS6detail15normal_iteratorINS8_10device_ptrItEEEESD_jNS1_19radix_merge_compareILb0ELb0EtNS0_19identity_decomposerEEEEE10hipError_tT0_T1_T2_jT3_P12ihipStream_tbPNSt15iterator_traitsISI_E10value_typeEPNSO_ISJ_E10value_typeEPSK_NS1_7vsmem_tEENKUlT_SI_SJ_SK_E_clISD_PtSD_S10_EESH_SX_SI_SJ_SK_EUlSX_E0_NS1_11comp_targetILNS1_3genE8ELNS1_11target_archE1030ELNS1_3gpuE2ELNS1_3repE0EEENS1_38merge_mergepath_config_static_selectorELNS0_4arch9wavefront6targetE1EEEvSJ_ ; -- Begin function _ZN7rocprim17ROCPRIM_400000_NS6detail17trampoline_kernelINS0_14default_configENS1_38merge_sort_block_merge_config_selectorIttEEZZNS1_27merge_sort_block_merge_implIS3_N6thrust23THRUST_200600_302600_NS6detail15normal_iteratorINS8_10device_ptrItEEEESD_jNS1_19radix_merge_compareILb0ELb0EtNS0_19identity_decomposerEEEEE10hipError_tT0_T1_T2_jT3_P12ihipStream_tbPNSt15iterator_traitsISI_E10value_typeEPNSO_ISJ_E10value_typeEPSK_NS1_7vsmem_tEENKUlT_SI_SJ_SK_E_clISD_PtSD_S10_EESH_SX_SI_SJ_SK_EUlSX_E0_NS1_11comp_targetILNS1_3genE8ELNS1_11target_archE1030ELNS1_3gpuE2ELNS1_3repE0EEENS1_38merge_mergepath_config_static_selectorELNS0_4arch9wavefront6targetE1EEEvSJ_
	.globl	_ZN7rocprim17ROCPRIM_400000_NS6detail17trampoline_kernelINS0_14default_configENS1_38merge_sort_block_merge_config_selectorIttEEZZNS1_27merge_sort_block_merge_implIS3_N6thrust23THRUST_200600_302600_NS6detail15normal_iteratorINS8_10device_ptrItEEEESD_jNS1_19radix_merge_compareILb0ELb0EtNS0_19identity_decomposerEEEEE10hipError_tT0_T1_T2_jT3_P12ihipStream_tbPNSt15iterator_traitsISI_E10value_typeEPNSO_ISJ_E10value_typeEPSK_NS1_7vsmem_tEENKUlT_SI_SJ_SK_E_clISD_PtSD_S10_EESH_SX_SI_SJ_SK_EUlSX_E0_NS1_11comp_targetILNS1_3genE8ELNS1_11target_archE1030ELNS1_3gpuE2ELNS1_3repE0EEENS1_38merge_mergepath_config_static_selectorELNS0_4arch9wavefront6targetE1EEEvSJ_
	.p2align	8
	.type	_ZN7rocprim17ROCPRIM_400000_NS6detail17trampoline_kernelINS0_14default_configENS1_38merge_sort_block_merge_config_selectorIttEEZZNS1_27merge_sort_block_merge_implIS3_N6thrust23THRUST_200600_302600_NS6detail15normal_iteratorINS8_10device_ptrItEEEESD_jNS1_19radix_merge_compareILb0ELb0EtNS0_19identity_decomposerEEEEE10hipError_tT0_T1_T2_jT3_P12ihipStream_tbPNSt15iterator_traitsISI_E10value_typeEPNSO_ISJ_E10value_typeEPSK_NS1_7vsmem_tEENKUlT_SI_SJ_SK_E_clISD_PtSD_S10_EESH_SX_SI_SJ_SK_EUlSX_E0_NS1_11comp_targetILNS1_3genE8ELNS1_11target_archE1030ELNS1_3gpuE2ELNS1_3repE0EEENS1_38merge_mergepath_config_static_selectorELNS0_4arch9wavefront6targetE1EEEvSJ_,@function
_ZN7rocprim17ROCPRIM_400000_NS6detail17trampoline_kernelINS0_14default_configENS1_38merge_sort_block_merge_config_selectorIttEEZZNS1_27merge_sort_block_merge_implIS3_N6thrust23THRUST_200600_302600_NS6detail15normal_iteratorINS8_10device_ptrItEEEESD_jNS1_19radix_merge_compareILb0ELb0EtNS0_19identity_decomposerEEEEE10hipError_tT0_T1_T2_jT3_P12ihipStream_tbPNSt15iterator_traitsISI_E10value_typeEPNSO_ISJ_E10value_typeEPSK_NS1_7vsmem_tEENKUlT_SI_SJ_SK_E_clISD_PtSD_S10_EESH_SX_SI_SJ_SK_EUlSX_E0_NS1_11comp_targetILNS1_3genE8ELNS1_11target_archE1030ELNS1_3gpuE2ELNS1_3repE0EEENS1_38merge_mergepath_config_static_selectorELNS0_4arch9wavefront6targetE1EEEvSJ_: ; @_ZN7rocprim17ROCPRIM_400000_NS6detail17trampoline_kernelINS0_14default_configENS1_38merge_sort_block_merge_config_selectorIttEEZZNS1_27merge_sort_block_merge_implIS3_N6thrust23THRUST_200600_302600_NS6detail15normal_iteratorINS8_10device_ptrItEEEESD_jNS1_19radix_merge_compareILb0ELb0EtNS0_19identity_decomposerEEEEE10hipError_tT0_T1_T2_jT3_P12ihipStream_tbPNSt15iterator_traitsISI_E10value_typeEPNSO_ISJ_E10value_typeEPSK_NS1_7vsmem_tEENKUlT_SI_SJ_SK_E_clISD_PtSD_S10_EESH_SX_SI_SJ_SK_EUlSX_E0_NS1_11comp_targetILNS1_3genE8ELNS1_11target_archE1030ELNS1_3gpuE2ELNS1_3repE0EEENS1_38merge_mergepath_config_static_selectorELNS0_4arch9wavefront6targetE1EEEvSJ_
; %bb.0:
	.section	.rodata,"a",@progbits
	.p2align	6, 0x0
	.amdhsa_kernel _ZN7rocprim17ROCPRIM_400000_NS6detail17trampoline_kernelINS0_14default_configENS1_38merge_sort_block_merge_config_selectorIttEEZZNS1_27merge_sort_block_merge_implIS3_N6thrust23THRUST_200600_302600_NS6detail15normal_iteratorINS8_10device_ptrItEEEESD_jNS1_19radix_merge_compareILb0ELb0EtNS0_19identity_decomposerEEEEE10hipError_tT0_T1_T2_jT3_P12ihipStream_tbPNSt15iterator_traitsISI_E10value_typeEPNSO_ISJ_E10value_typeEPSK_NS1_7vsmem_tEENKUlT_SI_SJ_SK_E_clISD_PtSD_S10_EESH_SX_SI_SJ_SK_EUlSX_E0_NS1_11comp_targetILNS1_3genE8ELNS1_11target_archE1030ELNS1_3gpuE2ELNS1_3repE0EEENS1_38merge_mergepath_config_static_selectorELNS0_4arch9wavefront6targetE1EEEvSJ_
		.amdhsa_group_segment_fixed_size 0
		.amdhsa_private_segment_fixed_size 0
		.amdhsa_kernarg_size 64
		.amdhsa_user_sgpr_count 2
		.amdhsa_user_sgpr_dispatch_ptr 0
		.amdhsa_user_sgpr_queue_ptr 0
		.amdhsa_user_sgpr_kernarg_segment_ptr 1
		.amdhsa_user_sgpr_dispatch_id 0
		.amdhsa_user_sgpr_kernarg_preload_length 0
		.amdhsa_user_sgpr_kernarg_preload_offset 0
		.amdhsa_user_sgpr_private_segment_size 0
		.amdhsa_uses_dynamic_stack 0
		.amdhsa_enable_private_segment 0
		.amdhsa_system_sgpr_workgroup_id_x 1
		.amdhsa_system_sgpr_workgroup_id_y 0
		.amdhsa_system_sgpr_workgroup_id_z 0
		.amdhsa_system_sgpr_workgroup_info 0
		.amdhsa_system_vgpr_workitem_id 0
		.amdhsa_next_free_vgpr 1
		.amdhsa_next_free_sgpr 0
		.amdhsa_accum_offset 4
		.amdhsa_reserve_vcc 0
		.amdhsa_float_round_mode_32 0
		.amdhsa_float_round_mode_16_64 0
		.amdhsa_float_denorm_mode_32 3
		.amdhsa_float_denorm_mode_16_64 3
		.amdhsa_dx10_clamp 1
		.amdhsa_ieee_mode 1
		.amdhsa_fp16_overflow 0
		.amdhsa_tg_split 0
		.amdhsa_exception_fp_ieee_invalid_op 0
		.amdhsa_exception_fp_denorm_src 0
		.amdhsa_exception_fp_ieee_div_zero 0
		.amdhsa_exception_fp_ieee_overflow 0
		.amdhsa_exception_fp_ieee_underflow 0
		.amdhsa_exception_fp_ieee_inexact 0
		.amdhsa_exception_int_div_zero 0
	.end_amdhsa_kernel
	.section	.text._ZN7rocprim17ROCPRIM_400000_NS6detail17trampoline_kernelINS0_14default_configENS1_38merge_sort_block_merge_config_selectorIttEEZZNS1_27merge_sort_block_merge_implIS3_N6thrust23THRUST_200600_302600_NS6detail15normal_iteratorINS8_10device_ptrItEEEESD_jNS1_19radix_merge_compareILb0ELb0EtNS0_19identity_decomposerEEEEE10hipError_tT0_T1_T2_jT3_P12ihipStream_tbPNSt15iterator_traitsISI_E10value_typeEPNSO_ISJ_E10value_typeEPSK_NS1_7vsmem_tEENKUlT_SI_SJ_SK_E_clISD_PtSD_S10_EESH_SX_SI_SJ_SK_EUlSX_E0_NS1_11comp_targetILNS1_3genE8ELNS1_11target_archE1030ELNS1_3gpuE2ELNS1_3repE0EEENS1_38merge_mergepath_config_static_selectorELNS0_4arch9wavefront6targetE1EEEvSJ_,"axG",@progbits,_ZN7rocprim17ROCPRIM_400000_NS6detail17trampoline_kernelINS0_14default_configENS1_38merge_sort_block_merge_config_selectorIttEEZZNS1_27merge_sort_block_merge_implIS3_N6thrust23THRUST_200600_302600_NS6detail15normal_iteratorINS8_10device_ptrItEEEESD_jNS1_19radix_merge_compareILb0ELb0EtNS0_19identity_decomposerEEEEE10hipError_tT0_T1_T2_jT3_P12ihipStream_tbPNSt15iterator_traitsISI_E10value_typeEPNSO_ISJ_E10value_typeEPSK_NS1_7vsmem_tEENKUlT_SI_SJ_SK_E_clISD_PtSD_S10_EESH_SX_SI_SJ_SK_EUlSX_E0_NS1_11comp_targetILNS1_3genE8ELNS1_11target_archE1030ELNS1_3gpuE2ELNS1_3repE0EEENS1_38merge_mergepath_config_static_selectorELNS0_4arch9wavefront6targetE1EEEvSJ_,comdat
.Lfunc_end881:
	.size	_ZN7rocprim17ROCPRIM_400000_NS6detail17trampoline_kernelINS0_14default_configENS1_38merge_sort_block_merge_config_selectorIttEEZZNS1_27merge_sort_block_merge_implIS3_N6thrust23THRUST_200600_302600_NS6detail15normal_iteratorINS8_10device_ptrItEEEESD_jNS1_19radix_merge_compareILb0ELb0EtNS0_19identity_decomposerEEEEE10hipError_tT0_T1_T2_jT3_P12ihipStream_tbPNSt15iterator_traitsISI_E10value_typeEPNSO_ISJ_E10value_typeEPSK_NS1_7vsmem_tEENKUlT_SI_SJ_SK_E_clISD_PtSD_S10_EESH_SX_SI_SJ_SK_EUlSX_E0_NS1_11comp_targetILNS1_3genE8ELNS1_11target_archE1030ELNS1_3gpuE2ELNS1_3repE0EEENS1_38merge_mergepath_config_static_selectorELNS0_4arch9wavefront6targetE1EEEvSJ_, .Lfunc_end881-_ZN7rocprim17ROCPRIM_400000_NS6detail17trampoline_kernelINS0_14default_configENS1_38merge_sort_block_merge_config_selectorIttEEZZNS1_27merge_sort_block_merge_implIS3_N6thrust23THRUST_200600_302600_NS6detail15normal_iteratorINS8_10device_ptrItEEEESD_jNS1_19radix_merge_compareILb0ELb0EtNS0_19identity_decomposerEEEEE10hipError_tT0_T1_T2_jT3_P12ihipStream_tbPNSt15iterator_traitsISI_E10value_typeEPNSO_ISJ_E10value_typeEPSK_NS1_7vsmem_tEENKUlT_SI_SJ_SK_E_clISD_PtSD_S10_EESH_SX_SI_SJ_SK_EUlSX_E0_NS1_11comp_targetILNS1_3genE8ELNS1_11target_archE1030ELNS1_3gpuE2ELNS1_3repE0EEENS1_38merge_mergepath_config_static_selectorELNS0_4arch9wavefront6targetE1EEEvSJ_
                                        ; -- End function
	.set _ZN7rocprim17ROCPRIM_400000_NS6detail17trampoline_kernelINS0_14default_configENS1_38merge_sort_block_merge_config_selectorIttEEZZNS1_27merge_sort_block_merge_implIS3_N6thrust23THRUST_200600_302600_NS6detail15normal_iteratorINS8_10device_ptrItEEEESD_jNS1_19radix_merge_compareILb0ELb0EtNS0_19identity_decomposerEEEEE10hipError_tT0_T1_T2_jT3_P12ihipStream_tbPNSt15iterator_traitsISI_E10value_typeEPNSO_ISJ_E10value_typeEPSK_NS1_7vsmem_tEENKUlT_SI_SJ_SK_E_clISD_PtSD_S10_EESH_SX_SI_SJ_SK_EUlSX_E0_NS1_11comp_targetILNS1_3genE8ELNS1_11target_archE1030ELNS1_3gpuE2ELNS1_3repE0EEENS1_38merge_mergepath_config_static_selectorELNS0_4arch9wavefront6targetE1EEEvSJ_.num_vgpr, 0
	.set _ZN7rocprim17ROCPRIM_400000_NS6detail17trampoline_kernelINS0_14default_configENS1_38merge_sort_block_merge_config_selectorIttEEZZNS1_27merge_sort_block_merge_implIS3_N6thrust23THRUST_200600_302600_NS6detail15normal_iteratorINS8_10device_ptrItEEEESD_jNS1_19radix_merge_compareILb0ELb0EtNS0_19identity_decomposerEEEEE10hipError_tT0_T1_T2_jT3_P12ihipStream_tbPNSt15iterator_traitsISI_E10value_typeEPNSO_ISJ_E10value_typeEPSK_NS1_7vsmem_tEENKUlT_SI_SJ_SK_E_clISD_PtSD_S10_EESH_SX_SI_SJ_SK_EUlSX_E0_NS1_11comp_targetILNS1_3genE8ELNS1_11target_archE1030ELNS1_3gpuE2ELNS1_3repE0EEENS1_38merge_mergepath_config_static_selectorELNS0_4arch9wavefront6targetE1EEEvSJ_.num_agpr, 0
	.set _ZN7rocprim17ROCPRIM_400000_NS6detail17trampoline_kernelINS0_14default_configENS1_38merge_sort_block_merge_config_selectorIttEEZZNS1_27merge_sort_block_merge_implIS3_N6thrust23THRUST_200600_302600_NS6detail15normal_iteratorINS8_10device_ptrItEEEESD_jNS1_19radix_merge_compareILb0ELb0EtNS0_19identity_decomposerEEEEE10hipError_tT0_T1_T2_jT3_P12ihipStream_tbPNSt15iterator_traitsISI_E10value_typeEPNSO_ISJ_E10value_typeEPSK_NS1_7vsmem_tEENKUlT_SI_SJ_SK_E_clISD_PtSD_S10_EESH_SX_SI_SJ_SK_EUlSX_E0_NS1_11comp_targetILNS1_3genE8ELNS1_11target_archE1030ELNS1_3gpuE2ELNS1_3repE0EEENS1_38merge_mergepath_config_static_selectorELNS0_4arch9wavefront6targetE1EEEvSJ_.numbered_sgpr, 0
	.set _ZN7rocprim17ROCPRIM_400000_NS6detail17trampoline_kernelINS0_14default_configENS1_38merge_sort_block_merge_config_selectorIttEEZZNS1_27merge_sort_block_merge_implIS3_N6thrust23THRUST_200600_302600_NS6detail15normal_iteratorINS8_10device_ptrItEEEESD_jNS1_19radix_merge_compareILb0ELb0EtNS0_19identity_decomposerEEEEE10hipError_tT0_T1_T2_jT3_P12ihipStream_tbPNSt15iterator_traitsISI_E10value_typeEPNSO_ISJ_E10value_typeEPSK_NS1_7vsmem_tEENKUlT_SI_SJ_SK_E_clISD_PtSD_S10_EESH_SX_SI_SJ_SK_EUlSX_E0_NS1_11comp_targetILNS1_3genE8ELNS1_11target_archE1030ELNS1_3gpuE2ELNS1_3repE0EEENS1_38merge_mergepath_config_static_selectorELNS0_4arch9wavefront6targetE1EEEvSJ_.num_named_barrier, 0
	.set _ZN7rocprim17ROCPRIM_400000_NS6detail17trampoline_kernelINS0_14default_configENS1_38merge_sort_block_merge_config_selectorIttEEZZNS1_27merge_sort_block_merge_implIS3_N6thrust23THRUST_200600_302600_NS6detail15normal_iteratorINS8_10device_ptrItEEEESD_jNS1_19radix_merge_compareILb0ELb0EtNS0_19identity_decomposerEEEEE10hipError_tT0_T1_T2_jT3_P12ihipStream_tbPNSt15iterator_traitsISI_E10value_typeEPNSO_ISJ_E10value_typeEPSK_NS1_7vsmem_tEENKUlT_SI_SJ_SK_E_clISD_PtSD_S10_EESH_SX_SI_SJ_SK_EUlSX_E0_NS1_11comp_targetILNS1_3genE8ELNS1_11target_archE1030ELNS1_3gpuE2ELNS1_3repE0EEENS1_38merge_mergepath_config_static_selectorELNS0_4arch9wavefront6targetE1EEEvSJ_.private_seg_size, 0
	.set _ZN7rocprim17ROCPRIM_400000_NS6detail17trampoline_kernelINS0_14default_configENS1_38merge_sort_block_merge_config_selectorIttEEZZNS1_27merge_sort_block_merge_implIS3_N6thrust23THRUST_200600_302600_NS6detail15normal_iteratorINS8_10device_ptrItEEEESD_jNS1_19radix_merge_compareILb0ELb0EtNS0_19identity_decomposerEEEEE10hipError_tT0_T1_T2_jT3_P12ihipStream_tbPNSt15iterator_traitsISI_E10value_typeEPNSO_ISJ_E10value_typeEPSK_NS1_7vsmem_tEENKUlT_SI_SJ_SK_E_clISD_PtSD_S10_EESH_SX_SI_SJ_SK_EUlSX_E0_NS1_11comp_targetILNS1_3genE8ELNS1_11target_archE1030ELNS1_3gpuE2ELNS1_3repE0EEENS1_38merge_mergepath_config_static_selectorELNS0_4arch9wavefront6targetE1EEEvSJ_.uses_vcc, 0
	.set _ZN7rocprim17ROCPRIM_400000_NS6detail17trampoline_kernelINS0_14default_configENS1_38merge_sort_block_merge_config_selectorIttEEZZNS1_27merge_sort_block_merge_implIS3_N6thrust23THRUST_200600_302600_NS6detail15normal_iteratorINS8_10device_ptrItEEEESD_jNS1_19radix_merge_compareILb0ELb0EtNS0_19identity_decomposerEEEEE10hipError_tT0_T1_T2_jT3_P12ihipStream_tbPNSt15iterator_traitsISI_E10value_typeEPNSO_ISJ_E10value_typeEPSK_NS1_7vsmem_tEENKUlT_SI_SJ_SK_E_clISD_PtSD_S10_EESH_SX_SI_SJ_SK_EUlSX_E0_NS1_11comp_targetILNS1_3genE8ELNS1_11target_archE1030ELNS1_3gpuE2ELNS1_3repE0EEENS1_38merge_mergepath_config_static_selectorELNS0_4arch9wavefront6targetE1EEEvSJ_.uses_flat_scratch, 0
	.set _ZN7rocprim17ROCPRIM_400000_NS6detail17trampoline_kernelINS0_14default_configENS1_38merge_sort_block_merge_config_selectorIttEEZZNS1_27merge_sort_block_merge_implIS3_N6thrust23THRUST_200600_302600_NS6detail15normal_iteratorINS8_10device_ptrItEEEESD_jNS1_19radix_merge_compareILb0ELb0EtNS0_19identity_decomposerEEEEE10hipError_tT0_T1_T2_jT3_P12ihipStream_tbPNSt15iterator_traitsISI_E10value_typeEPNSO_ISJ_E10value_typeEPSK_NS1_7vsmem_tEENKUlT_SI_SJ_SK_E_clISD_PtSD_S10_EESH_SX_SI_SJ_SK_EUlSX_E0_NS1_11comp_targetILNS1_3genE8ELNS1_11target_archE1030ELNS1_3gpuE2ELNS1_3repE0EEENS1_38merge_mergepath_config_static_selectorELNS0_4arch9wavefront6targetE1EEEvSJ_.has_dyn_sized_stack, 0
	.set _ZN7rocprim17ROCPRIM_400000_NS6detail17trampoline_kernelINS0_14default_configENS1_38merge_sort_block_merge_config_selectorIttEEZZNS1_27merge_sort_block_merge_implIS3_N6thrust23THRUST_200600_302600_NS6detail15normal_iteratorINS8_10device_ptrItEEEESD_jNS1_19radix_merge_compareILb0ELb0EtNS0_19identity_decomposerEEEEE10hipError_tT0_T1_T2_jT3_P12ihipStream_tbPNSt15iterator_traitsISI_E10value_typeEPNSO_ISJ_E10value_typeEPSK_NS1_7vsmem_tEENKUlT_SI_SJ_SK_E_clISD_PtSD_S10_EESH_SX_SI_SJ_SK_EUlSX_E0_NS1_11comp_targetILNS1_3genE8ELNS1_11target_archE1030ELNS1_3gpuE2ELNS1_3repE0EEENS1_38merge_mergepath_config_static_selectorELNS0_4arch9wavefront6targetE1EEEvSJ_.has_recursion, 0
	.set _ZN7rocprim17ROCPRIM_400000_NS6detail17trampoline_kernelINS0_14default_configENS1_38merge_sort_block_merge_config_selectorIttEEZZNS1_27merge_sort_block_merge_implIS3_N6thrust23THRUST_200600_302600_NS6detail15normal_iteratorINS8_10device_ptrItEEEESD_jNS1_19radix_merge_compareILb0ELb0EtNS0_19identity_decomposerEEEEE10hipError_tT0_T1_T2_jT3_P12ihipStream_tbPNSt15iterator_traitsISI_E10value_typeEPNSO_ISJ_E10value_typeEPSK_NS1_7vsmem_tEENKUlT_SI_SJ_SK_E_clISD_PtSD_S10_EESH_SX_SI_SJ_SK_EUlSX_E0_NS1_11comp_targetILNS1_3genE8ELNS1_11target_archE1030ELNS1_3gpuE2ELNS1_3repE0EEENS1_38merge_mergepath_config_static_selectorELNS0_4arch9wavefront6targetE1EEEvSJ_.has_indirect_call, 0
	.section	.AMDGPU.csdata,"",@progbits
; Kernel info:
; codeLenInByte = 0
; TotalNumSgprs: 6
; NumVgprs: 0
; NumAgprs: 0
; TotalNumVgprs: 0
; ScratchSize: 0
; MemoryBound: 0
; FloatMode: 240
; IeeeMode: 1
; LDSByteSize: 0 bytes/workgroup (compile time only)
; SGPRBlocks: 0
; VGPRBlocks: 0
; NumSGPRsForWavesPerEU: 6
; NumVGPRsForWavesPerEU: 1
; AccumOffset: 4
; Occupancy: 8
; WaveLimiterHint : 0
; COMPUTE_PGM_RSRC2:SCRATCH_EN: 0
; COMPUTE_PGM_RSRC2:USER_SGPR: 2
; COMPUTE_PGM_RSRC2:TRAP_HANDLER: 0
; COMPUTE_PGM_RSRC2:TGID_X_EN: 1
; COMPUTE_PGM_RSRC2:TGID_Y_EN: 0
; COMPUTE_PGM_RSRC2:TGID_Z_EN: 0
; COMPUTE_PGM_RSRC2:TIDIG_COMP_CNT: 0
; COMPUTE_PGM_RSRC3_GFX90A:ACCUM_OFFSET: 0
; COMPUTE_PGM_RSRC3_GFX90A:TG_SPLIT: 0
	.section	.text._ZN7rocprim17ROCPRIM_400000_NS6detail17trampoline_kernelINS0_14default_configENS1_38merge_sort_block_merge_config_selectorIttEEZZNS1_27merge_sort_block_merge_implIS3_N6thrust23THRUST_200600_302600_NS6detail15normal_iteratorINS8_10device_ptrItEEEESD_jNS1_19radix_merge_compareILb0ELb0EtNS0_19identity_decomposerEEEEE10hipError_tT0_T1_T2_jT3_P12ihipStream_tbPNSt15iterator_traitsISI_E10value_typeEPNSO_ISJ_E10value_typeEPSK_NS1_7vsmem_tEENKUlT_SI_SJ_SK_E_clISD_PtSD_S10_EESH_SX_SI_SJ_SK_EUlSX_E1_NS1_11comp_targetILNS1_3genE0ELNS1_11target_archE4294967295ELNS1_3gpuE0ELNS1_3repE0EEENS1_36merge_oddeven_config_static_selectorELNS0_4arch9wavefront6targetE1EEEvSJ_,"axG",@progbits,_ZN7rocprim17ROCPRIM_400000_NS6detail17trampoline_kernelINS0_14default_configENS1_38merge_sort_block_merge_config_selectorIttEEZZNS1_27merge_sort_block_merge_implIS3_N6thrust23THRUST_200600_302600_NS6detail15normal_iteratorINS8_10device_ptrItEEEESD_jNS1_19radix_merge_compareILb0ELb0EtNS0_19identity_decomposerEEEEE10hipError_tT0_T1_T2_jT3_P12ihipStream_tbPNSt15iterator_traitsISI_E10value_typeEPNSO_ISJ_E10value_typeEPSK_NS1_7vsmem_tEENKUlT_SI_SJ_SK_E_clISD_PtSD_S10_EESH_SX_SI_SJ_SK_EUlSX_E1_NS1_11comp_targetILNS1_3genE0ELNS1_11target_archE4294967295ELNS1_3gpuE0ELNS1_3repE0EEENS1_36merge_oddeven_config_static_selectorELNS0_4arch9wavefront6targetE1EEEvSJ_,comdat
	.protected	_ZN7rocprim17ROCPRIM_400000_NS6detail17trampoline_kernelINS0_14default_configENS1_38merge_sort_block_merge_config_selectorIttEEZZNS1_27merge_sort_block_merge_implIS3_N6thrust23THRUST_200600_302600_NS6detail15normal_iteratorINS8_10device_ptrItEEEESD_jNS1_19radix_merge_compareILb0ELb0EtNS0_19identity_decomposerEEEEE10hipError_tT0_T1_T2_jT3_P12ihipStream_tbPNSt15iterator_traitsISI_E10value_typeEPNSO_ISJ_E10value_typeEPSK_NS1_7vsmem_tEENKUlT_SI_SJ_SK_E_clISD_PtSD_S10_EESH_SX_SI_SJ_SK_EUlSX_E1_NS1_11comp_targetILNS1_3genE0ELNS1_11target_archE4294967295ELNS1_3gpuE0ELNS1_3repE0EEENS1_36merge_oddeven_config_static_selectorELNS0_4arch9wavefront6targetE1EEEvSJ_ ; -- Begin function _ZN7rocprim17ROCPRIM_400000_NS6detail17trampoline_kernelINS0_14default_configENS1_38merge_sort_block_merge_config_selectorIttEEZZNS1_27merge_sort_block_merge_implIS3_N6thrust23THRUST_200600_302600_NS6detail15normal_iteratorINS8_10device_ptrItEEEESD_jNS1_19radix_merge_compareILb0ELb0EtNS0_19identity_decomposerEEEEE10hipError_tT0_T1_T2_jT3_P12ihipStream_tbPNSt15iterator_traitsISI_E10value_typeEPNSO_ISJ_E10value_typeEPSK_NS1_7vsmem_tEENKUlT_SI_SJ_SK_E_clISD_PtSD_S10_EESH_SX_SI_SJ_SK_EUlSX_E1_NS1_11comp_targetILNS1_3genE0ELNS1_11target_archE4294967295ELNS1_3gpuE0ELNS1_3repE0EEENS1_36merge_oddeven_config_static_selectorELNS0_4arch9wavefront6targetE1EEEvSJ_
	.globl	_ZN7rocprim17ROCPRIM_400000_NS6detail17trampoline_kernelINS0_14default_configENS1_38merge_sort_block_merge_config_selectorIttEEZZNS1_27merge_sort_block_merge_implIS3_N6thrust23THRUST_200600_302600_NS6detail15normal_iteratorINS8_10device_ptrItEEEESD_jNS1_19radix_merge_compareILb0ELb0EtNS0_19identity_decomposerEEEEE10hipError_tT0_T1_T2_jT3_P12ihipStream_tbPNSt15iterator_traitsISI_E10value_typeEPNSO_ISJ_E10value_typeEPSK_NS1_7vsmem_tEENKUlT_SI_SJ_SK_E_clISD_PtSD_S10_EESH_SX_SI_SJ_SK_EUlSX_E1_NS1_11comp_targetILNS1_3genE0ELNS1_11target_archE4294967295ELNS1_3gpuE0ELNS1_3repE0EEENS1_36merge_oddeven_config_static_selectorELNS0_4arch9wavefront6targetE1EEEvSJ_
	.p2align	8
	.type	_ZN7rocprim17ROCPRIM_400000_NS6detail17trampoline_kernelINS0_14default_configENS1_38merge_sort_block_merge_config_selectorIttEEZZNS1_27merge_sort_block_merge_implIS3_N6thrust23THRUST_200600_302600_NS6detail15normal_iteratorINS8_10device_ptrItEEEESD_jNS1_19radix_merge_compareILb0ELb0EtNS0_19identity_decomposerEEEEE10hipError_tT0_T1_T2_jT3_P12ihipStream_tbPNSt15iterator_traitsISI_E10value_typeEPNSO_ISJ_E10value_typeEPSK_NS1_7vsmem_tEENKUlT_SI_SJ_SK_E_clISD_PtSD_S10_EESH_SX_SI_SJ_SK_EUlSX_E1_NS1_11comp_targetILNS1_3genE0ELNS1_11target_archE4294967295ELNS1_3gpuE0ELNS1_3repE0EEENS1_36merge_oddeven_config_static_selectorELNS0_4arch9wavefront6targetE1EEEvSJ_,@function
_ZN7rocprim17ROCPRIM_400000_NS6detail17trampoline_kernelINS0_14default_configENS1_38merge_sort_block_merge_config_selectorIttEEZZNS1_27merge_sort_block_merge_implIS3_N6thrust23THRUST_200600_302600_NS6detail15normal_iteratorINS8_10device_ptrItEEEESD_jNS1_19radix_merge_compareILb0ELb0EtNS0_19identity_decomposerEEEEE10hipError_tT0_T1_T2_jT3_P12ihipStream_tbPNSt15iterator_traitsISI_E10value_typeEPNSO_ISJ_E10value_typeEPSK_NS1_7vsmem_tEENKUlT_SI_SJ_SK_E_clISD_PtSD_S10_EESH_SX_SI_SJ_SK_EUlSX_E1_NS1_11comp_targetILNS1_3genE0ELNS1_11target_archE4294967295ELNS1_3gpuE0ELNS1_3repE0EEENS1_36merge_oddeven_config_static_selectorELNS0_4arch9wavefront6targetE1EEEvSJ_: ; @_ZN7rocprim17ROCPRIM_400000_NS6detail17trampoline_kernelINS0_14default_configENS1_38merge_sort_block_merge_config_selectorIttEEZZNS1_27merge_sort_block_merge_implIS3_N6thrust23THRUST_200600_302600_NS6detail15normal_iteratorINS8_10device_ptrItEEEESD_jNS1_19radix_merge_compareILb0ELb0EtNS0_19identity_decomposerEEEEE10hipError_tT0_T1_T2_jT3_P12ihipStream_tbPNSt15iterator_traitsISI_E10value_typeEPNSO_ISJ_E10value_typeEPSK_NS1_7vsmem_tEENKUlT_SI_SJ_SK_E_clISD_PtSD_S10_EESH_SX_SI_SJ_SK_EUlSX_E1_NS1_11comp_targetILNS1_3genE0ELNS1_11target_archE4294967295ELNS1_3gpuE0ELNS1_3repE0EEENS1_36merge_oddeven_config_static_selectorELNS0_4arch9wavefront6targetE1EEEvSJ_
; %bb.0:
	s_load_dword s18, s[0:1], 0x20
	s_waitcnt lgkmcnt(0)
	s_lshr_b32 s3, s18, 8
	s_cmp_eq_u32 s2, s3
	s_cselect_b64 s[6:7], -1, 0
	s_cmp_lg_u32 s2, s3
	s_cselect_b64 s[8:9], -1, 0
	s_lshl_b32 s16, s2, 8
	s_sub_i32 s3, s18, s16
	v_cmp_gt_u32_e64 s[4:5], s3, v0
	s_or_b64 s[8:9], s[8:9], s[4:5]
	s_and_saveexec_b64 s[10:11], s[8:9]
	s_cbranch_execz .LBB882_24
; %bb.1:
	s_load_dwordx8 s[8:15], s[0:1], 0x0
	s_mov_b32 s17, 0
	s_lshl_b64 s[20:21], s[16:17], 1
	v_lshlrev_b32_e32 v1, 1, v0
	s_load_dword s17, s[0:1], 0x24
	s_waitcnt lgkmcnt(0)
	s_add_u32 s22, s8, s20
	s_addc_u32 s23, s9, s21
	s_add_u32 s12, s12, s20
	s_addc_u32 s13, s13, s21
	global_load_ushort v2, v1, s[12:13]
	global_load_ushort v3, v1, s[22:23]
	s_lshr_b32 s0, s17, 8
	s_sub_i32 s1, 0, s0
	s_and_b32 s1, s2, s1
	s_and_b32 s0, s1, s0
	s_lshl_b32 s19, s1, 8
	s_sub_i32 s12, 0, s17
	s_cmp_eq_u32 s0, 0
	s_cselect_b64 s[0:1], -1, 0
	s_and_b64 s[2:3], s[0:1], exec
	s_cselect_b32 s12, s17, s12
	s_add_i32 s12, s12, s19
	s_mov_b64 s[2:3], -1
	s_cmp_gt_u32 s18, s12
	v_add_u32_e32 v0, s16, v0
	s_cbranch_scc1 .LBB882_9
; %bb.2:
	s_and_b64 vcc, exec, s[6:7]
	s_cbranch_vccz .LBB882_6
; %bb.3:
	v_cmp_gt_u32_e32 vcc, s18, v0
	s_and_saveexec_b64 s[2:3], vcc
	s_cbranch_execz .LBB882_5
; %bb.4:
	v_mov_b32_e32 v1, 0
	v_lshlrev_b64 v[4:5], 1, v[0:1]
	v_lshl_add_u64 v[6:7], s[10:11], 0, v[4:5]
	v_lshl_add_u64 v[4:5], s[14:15], 0, v[4:5]
	s_waitcnt vmcnt(0)
	global_store_short v[6:7], v3, off
	global_store_short v[4:5], v2, off
.LBB882_5:
	s_or_b64 exec, exec, s[2:3]
	s_mov_b64 s[2:3], 0
.LBB882_6:
	s_andn2_b64 vcc, exec, s[2:3]
	s_cbranch_vccnz .LBB882_8
; %bb.7:
	v_mov_b32_e32 v1, 0
	v_lshlrev_b64 v[4:5], 1, v[0:1]
	v_lshl_add_u64 v[6:7], s[10:11], 0, v[4:5]
	v_lshl_add_u64 v[4:5], s[14:15], 0, v[4:5]
	s_waitcnt vmcnt(0)
	global_store_short v[6:7], v3, off
	global_store_short v[4:5], v2, off
.LBB882_8:
	s_mov_b64 s[2:3], 0
.LBB882_9:
	s_andn2_b64 vcc, exec, s[2:3]
	s_cbranch_vccnz .LBB882_24
; %bb.10:
	s_min_u32 s13, s12, s18
	s_add_i32 s2, s13, s17
	s_min_u32 s16, s2, s18
	s_min_u32 s2, s19, s13
	s_add_i32 s19, s19, s13
	v_subrev_u32_e32 v0, s19, v0
	v_add_u32_e32 v0, s2, v0
	s_andn2_b64 vcc, exec, s[6:7]
	s_mov_b64 s[2:3], -1
	s_cbranch_vccnz .LBB882_18
; %bb.11:
	s_and_saveexec_b64 s[2:3], s[4:5]
	s_cbranch_execz .LBB882_17
; %bb.12:
	s_cmp_ge_u32 s12, s16
	v_mov_b32_e32 v1, s13
	s_cbranch_scc1 .LBB882_16
; %bb.13:
	s_mov_b64 s[4:5], 0
	v_mov_b32_e32 v4, s16
	v_mov_b32_e32 v1, s13
.LBB882_14:                             ; =>This Inner Loop Header: Depth=1
	v_add_u32_e32 v5, v1, v4
	v_and_b32_e32 v6, -2, v5
	global_load_ushort v6, v6, s[8:9]
	v_lshrrev_b32_e32 v5, 1, v5
	v_add_u32_e32 v7, 1, v5
	s_waitcnt vmcnt(0)
	v_cmp_gt_u16_e32 vcc, v3, v6
	s_nop 1
	v_cndmask_b32_e64 v8, 0, 1, vcc
	v_cmp_le_u16_e32 vcc, v6, v3
	s_nop 1
	v_cndmask_b32_e64 v6, 0, 1, vcc
	v_cndmask_b32_e64 v6, v6, v8, s[0:1]
	v_and_b32_e32 v6, 1, v6
	v_cmp_eq_u32_e32 vcc, 1, v6
	s_nop 1
	v_cndmask_b32_e32 v4, v5, v4, vcc
	v_cndmask_b32_e32 v1, v1, v7, vcc
	v_cmp_ge_u32_e32 vcc, v1, v4
	s_or_b64 s[4:5], vcc, s[4:5]
	s_andn2_b64 exec, exec, s[4:5]
	s_cbranch_execnz .LBB882_14
; %bb.15:
	s_or_b64 exec, exec, s[4:5]
.LBB882_16:
	v_add_u32_e32 v4, v1, v0
	v_mov_b32_e32 v5, 0
	v_lshlrev_b64 v[4:5], 1, v[4:5]
	v_lshl_add_u64 v[6:7], s[10:11], 0, v[4:5]
	v_lshl_add_u64 v[4:5], s[14:15], 0, v[4:5]
	s_waitcnt vmcnt(0)
	global_store_short v[6:7], v3, off
	global_store_short v[4:5], v2, off
.LBB882_17:
	s_or_b64 exec, exec, s[2:3]
	s_mov_b64 s[2:3], 0
.LBB882_18:
	s_andn2_b64 vcc, exec, s[2:3]
	s_cbranch_vccnz .LBB882_24
; %bb.19:
	s_cmp_ge_u32 s12, s16
	v_mov_b32_e32 v1, s13
	s_cbranch_scc1 .LBB882_23
; %bb.20:
	s_mov_b64 s[2:3], 0
	v_mov_b32_e32 v4, s16
	v_mov_b32_e32 v1, s13
.LBB882_21:                             ; =>This Inner Loop Header: Depth=1
	v_add_u32_e32 v5, v1, v4
	v_and_b32_e32 v6, -2, v5
	global_load_ushort v6, v6, s[8:9]
	v_lshrrev_b32_e32 v5, 1, v5
	v_add_u32_e32 v7, 1, v5
	s_waitcnt vmcnt(0)
	v_cmp_gt_u16_e32 vcc, v3, v6
	s_nop 1
	v_cndmask_b32_e64 v8, 0, 1, vcc
	v_cmp_le_u16_e32 vcc, v6, v3
	s_nop 1
	v_cndmask_b32_e64 v6, 0, 1, vcc
	v_cndmask_b32_e64 v6, v6, v8, s[0:1]
	v_and_b32_e32 v6, 1, v6
	v_cmp_eq_u32_e32 vcc, 1, v6
	s_nop 1
	v_cndmask_b32_e32 v4, v5, v4, vcc
	v_cndmask_b32_e32 v1, v1, v7, vcc
	v_cmp_ge_u32_e32 vcc, v1, v4
	s_or_b64 s[2:3], vcc, s[2:3]
	s_andn2_b64 exec, exec, s[2:3]
	s_cbranch_execnz .LBB882_21
; %bb.22:
	s_or_b64 exec, exec, s[2:3]
.LBB882_23:
	v_add_u32_e32 v0, v1, v0
	v_mov_b32_e32 v1, 0
	v_lshlrev_b64 v[0:1], 1, v[0:1]
	v_lshl_add_u64 v[4:5], s[10:11], 0, v[0:1]
	v_lshl_add_u64 v[0:1], s[14:15], 0, v[0:1]
	s_waitcnt vmcnt(0)
	global_store_short v[4:5], v3, off
	global_store_short v[0:1], v2, off
.LBB882_24:
	s_endpgm
	.section	.rodata,"a",@progbits
	.p2align	6, 0x0
	.amdhsa_kernel _ZN7rocprim17ROCPRIM_400000_NS6detail17trampoline_kernelINS0_14default_configENS1_38merge_sort_block_merge_config_selectorIttEEZZNS1_27merge_sort_block_merge_implIS3_N6thrust23THRUST_200600_302600_NS6detail15normal_iteratorINS8_10device_ptrItEEEESD_jNS1_19radix_merge_compareILb0ELb0EtNS0_19identity_decomposerEEEEE10hipError_tT0_T1_T2_jT3_P12ihipStream_tbPNSt15iterator_traitsISI_E10value_typeEPNSO_ISJ_E10value_typeEPSK_NS1_7vsmem_tEENKUlT_SI_SJ_SK_E_clISD_PtSD_S10_EESH_SX_SI_SJ_SK_EUlSX_E1_NS1_11comp_targetILNS1_3genE0ELNS1_11target_archE4294967295ELNS1_3gpuE0ELNS1_3repE0EEENS1_36merge_oddeven_config_static_selectorELNS0_4arch9wavefront6targetE1EEEvSJ_
		.amdhsa_group_segment_fixed_size 0
		.amdhsa_private_segment_fixed_size 0
		.amdhsa_kernarg_size 48
		.amdhsa_user_sgpr_count 2
		.amdhsa_user_sgpr_dispatch_ptr 0
		.amdhsa_user_sgpr_queue_ptr 0
		.amdhsa_user_sgpr_kernarg_segment_ptr 1
		.amdhsa_user_sgpr_dispatch_id 0
		.amdhsa_user_sgpr_kernarg_preload_length 0
		.amdhsa_user_sgpr_kernarg_preload_offset 0
		.amdhsa_user_sgpr_private_segment_size 0
		.amdhsa_uses_dynamic_stack 0
		.amdhsa_enable_private_segment 0
		.amdhsa_system_sgpr_workgroup_id_x 1
		.amdhsa_system_sgpr_workgroup_id_y 0
		.amdhsa_system_sgpr_workgroup_id_z 0
		.amdhsa_system_sgpr_workgroup_info 0
		.amdhsa_system_vgpr_workitem_id 0
		.amdhsa_next_free_vgpr 9
		.amdhsa_next_free_sgpr 24
		.amdhsa_accum_offset 12
		.amdhsa_reserve_vcc 1
		.amdhsa_float_round_mode_32 0
		.amdhsa_float_round_mode_16_64 0
		.amdhsa_float_denorm_mode_32 3
		.amdhsa_float_denorm_mode_16_64 3
		.amdhsa_dx10_clamp 1
		.amdhsa_ieee_mode 1
		.amdhsa_fp16_overflow 0
		.amdhsa_tg_split 0
		.amdhsa_exception_fp_ieee_invalid_op 0
		.amdhsa_exception_fp_denorm_src 0
		.amdhsa_exception_fp_ieee_div_zero 0
		.amdhsa_exception_fp_ieee_overflow 0
		.amdhsa_exception_fp_ieee_underflow 0
		.amdhsa_exception_fp_ieee_inexact 0
		.amdhsa_exception_int_div_zero 0
	.end_amdhsa_kernel
	.section	.text._ZN7rocprim17ROCPRIM_400000_NS6detail17trampoline_kernelINS0_14default_configENS1_38merge_sort_block_merge_config_selectorIttEEZZNS1_27merge_sort_block_merge_implIS3_N6thrust23THRUST_200600_302600_NS6detail15normal_iteratorINS8_10device_ptrItEEEESD_jNS1_19radix_merge_compareILb0ELb0EtNS0_19identity_decomposerEEEEE10hipError_tT0_T1_T2_jT3_P12ihipStream_tbPNSt15iterator_traitsISI_E10value_typeEPNSO_ISJ_E10value_typeEPSK_NS1_7vsmem_tEENKUlT_SI_SJ_SK_E_clISD_PtSD_S10_EESH_SX_SI_SJ_SK_EUlSX_E1_NS1_11comp_targetILNS1_3genE0ELNS1_11target_archE4294967295ELNS1_3gpuE0ELNS1_3repE0EEENS1_36merge_oddeven_config_static_selectorELNS0_4arch9wavefront6targetE1EEEvSJ_,"axG",@progbits,_ZN7rocprim17ROCPRIM_400000_NS6detail17trampoline_kernelINS0_14default_configENS1_38merge_sort_block_merge_config_selectorIttEEZZNS1_27merge_sort_block_merge_implIS3_N6thrust23THRUST_200600_302600_NS6detail15normal_iteratorINS8_10device_ptrItEEEESD_jNS1_19radix_merge_compareILb0ELb0EtNS0_19identity_decomposerEEEEE10hipError_tT0_T1_T2_jT3_P12ihipStream_tbPNSt15iterator_traitsISI_E10value_typeEPNSO_ISJ_E10value_typeEPSK_NS1_7vsmem_tEENKUlT_SI_SJ_SK_E_clISD_PtSD_S10_EESH_SX_SI_SJ_SK_EUlSX_E1_NS1_11comp_targetILNS1_3genE0ELNS1_11target_archE4294967295ELNS1_3gpuE0ELNS1_3repE0EEENS1_36merge_oddeven_config_static_selectorELNS0_4arch9wavefront6targetE1EEEvSJ_,comdat
.Lfunc_end882:
	.size	_ZN7rocprim17ROCPRIM_400000_NS6detail17trampoline_kernelINS0_14default_configENS1_38merge_sort_block_merge_config_selectorIttEEZZNS1_27merge_sort_block_merge_implIS3_N6thrust23THRUST_200600_302600_NS6detail15normal_iteratorINS8_10device_ptrItEEEESD_jNS1_19radix_merge_compareILb0ELb0EtNS0_19identity_decomposerEEEEE10hipError_tT0_T1_T2_jT3_P12ihipStream_tbPNSt15iterator_traitsISI_E10value_typeEPNSO_ISJ_E10value_typeEPSK_NS1_7vsmem_tEENKUlT_SI_SJ_SK_E_clISD_PtSD_S10_EESH_SX_SI_SJ_SK_EUlSX_E1_NS1_11comp_targetILNS1_3genE0ELNS1_11target_archE4294967295ELNS1_3gpuE0ELNS1_3repE0EEENS1_36merge_oddeven_config_static_selectorELNS0_4arch9wavefront6targetE1EEEvSJ_, .Lfunc_end882-_ZN7rocprim17ROCPRIM_400000_NS6detail17trampoline_kernelINS0_14default_configENS1_38merge_sort_block_merge_config_selectorIttEEZZNS1_27merge_sort_block_merge_implIS3_N6thrust23THRUST_200600_302600_NS6detail15normal_iteratorINS8_10device_ptrItEEEESD_jNS1_19radix_merge_compareILb0ELb0EtNS0_19identity_decomposerEEEEE10hipError_tT0_T1_T2_jT3_P12ihipStream_tbPNSt15iterator_traitsISI_E10value_typeEPNSO_ISJ_E10value_typeEPSK_NS1_7vsmem_tEENKUlT_SI_SJ_SK_E_clISD_PtSD_S10_EESH_SX_SI_SJ_SK_EUlSX_E1_NS1_11comp_targetILNS1_3genE0ELNS1_11target_archE4294967295ELNS1_3gpuE0ELNS1_3repE0EEENS1_36merge_oddeven_config_static_selectorELNS0_4arch9wavefront6targetE1EEEvSJ_
                                        ; -- End function
	.set _ZN7rocprim17ROCPRIM_400000_NS6detail17trampoline_kernelINS0_14default_configENS1_38merge_sort_block_merge_config_selectorIttEEZZNS1_27merge_sort_block_merge_implIS3_N6thrust23THRUST_200600_302600_NS6detail15normal_iteratorINS8_10device_ptrItEEEESD_jNS1_19radix_merge_compareILb0ELb0EtNS0_19identity_decomposerEEEEE10hipError_tT0_T1_T2_jT3_P12ihipStream_tbPNSt15iterator_traitsISI_E10value_typeEPNSO_ISJ_E10value_typeEPSK_NS1_7vsmem_tEENKUlT_SI_SJ_SK_E_clISD_PtSD_S10_EESH_SX_SI_SJ_SK_EUlSX_E1_NS1_11comp_targetILNS1_3genE0ELNS1_11target_archE4294967295ELNS1_3gpuE0ELNS1_3repE0EEENS1_36merge_oddeven_config_static_selectorELNS0_4arch9wavefront6targetE1EEEvSJ_.num_vgpr, 9
	.set _ZN7rocprim17ROCPRIM_400000_NS6detail17trampoline_kernelINS0_14default_configENS1_38merge_sort_block_merge_config_selectorIttEEZZNS1_27merge_sort_block_merge_implIS3_N6thrust23THRUST_200600_302600_NS6detail15normal_iteratorINS8_10device_ptrItEEEESD_jNS1_19radix_merge_compareILb0ELb0EtNS0_19identity_decomposerEEEEE10hipError_tT0_T1_T2_jT3_P12ihipStream_tbPNSt15iterator_traitsISI_E10value_typeEPNSO_ISJ_E10value_typeEPSK_NS1_7vsmem_tEENKUlT_SI_SJ_SK_E_clISD_PtSD_S10_EESH_SX_SI_SJ_SK_EUlSX_E1_NS1_11comp_targetILNS1_3genE0ELNS1_11target_archE4294967295ELNS1_3gpuE0ELNS1_3repE0EEENS1_36merge_oddeven_config_static_selectorELNS0_4arch9wavefront6targetE1EEEvSJ_.num_agpr, 0
	.set _ZN7rocprim17ROCPRIM_400000_NS6detail17trampoline_kernelINS0_14default_configENS1_38merge_sort_block_merge_config_selectorIttEEZZNS1_27merge_sort_block_merge_implIS3_N6thrust23THRUST_200600_302600_NS6detail15normal_iteratorINS8_10device_ptrItEEEESD_jNS1_19radix_merge_compareILb0ELb0EtNS0_19identity_decomposerEEEEE10hipError_tT0_T1_T2_jT3_P12ihipStream_tbPNSt15iterator_traitsISI_E10value_typeEPNSO_ISJ_E10value_typeEPSK_NS1_7vsmem_tEENKUlT_SI_SJ_SK_E_clISD_PtSD_S10_EESH_SX_SI_SJ_SK_EUlSX_E1_NS1_11comp_targetILNS1_3genE0ELNS1_11target_archE4294967295ELNS1_3gpuE0ELNS1_3repE0EEENS1_36merge_oddeven_config_static_selectorELNS0_4arch9wavefront6targetE1EEEvSJ_.numbered_sgpr, 24
	.set _ZN7rocprim17ROCPRIM_400000_NS6detail17trampoline_kernelINS0_14default_configENS1_38merge_sort_block_merge_config_selectorIttEEZZNS1_27merge_sort_block_merge_implIS3_N6thrust23THRUST_200600_302600_NS6detail15normal_iteratorINS8_10device_ptrItEEEESD_jNS1_19radix_merge_compareILb0ELb0EtNS0_19identity_decomposerEEEEE10hipError_tT0_T1_T2_jT3_P12ihipStream_tbPNSt15iterator_traitsISI_E10value_typeEPNSO_ISJ_E10value_typeEPSK_NS1_7vsmem_tEENKUlT_SI_SJ_SK_E_clISD_PtSD_S10_EESH_SX_SI_SJ_SK_EUlSX_E1_NS1_11comp_targetILNS1_3genE0ELNS1_11target_archE4294967295ELNS1_3gpuE0ELNS1_3repE0EEENS1_36merge_oddeven_config_static_selectorELNS0_4arch9wavefront6targetE1EEEvSJ_.num_named_barrier, 0
	.set _ZN7rocprim17ROCPRIM_400000_NS6detail17trampoline_kernelINS0_14default_configENS1_38merge_sort_block_merge_config_selectorIttEEZZNS1_27merge_sort_block_merge_implIS3_N6thrust23THRUST_200600_302600_NS6detail15normal_iteratorINS8_10device_ptrItEEEESD_jNS1_19radix_merge_compareILb0ELb0EtNS0_19identity_decomposerEEEEE10hipError_tT0_T1_T2_jT3_P12ihipStream_tbPNSt15iterator_traitsISI_E10value_typeEPNSO_ISJ_E10value_typeEPSK_NS1_7vsmem_tEENKUlT_SI_SJ_SK_E_clISD_PtSD_S10_EESH_SX_SI_SJ_SK_EUlSX_E1_NS1_11comp_targetILNS1_3genE0ELNS1_11target_archE4294967295ELNS1_3gpuE0ELNS1_3repE0EEENS1_36merge_oddeven_config_static_selectorELNS0_4arch9wavefront6targetE1EEEvSJ_.private_seg_size, 0
	.set _ZN7rocprim17ROCPRIM_400000_NS6detail17trampoline_kernelINS0_14default_configENS1_38merge_sort_block_merge_config_selectorIttEEZZNS1_27merge_sort_block_merge_implIS3_N6thrust23THRUST_200600_302600_NS6detail15normal_iteratorINS8_10device_ptrItEEEESD_jNS1_19radix_merge_compareILb0ELb0EtNS0_19identity_decomposerEEEEE10hipError_tT0_T1_T2_jT3_P12ihipStream_tbPNSt15iterator_traitsISI_E10value_typeEPNSO_ISJ_E10value_typeEPSK_NS1_7vsmem_tEENKUlT_SI_SJ_SK_E_clISD_PtSD_S10_EESH_SX_SI_SJ_SK_EUlSX_E1_NS1_11comp_targetILNS1_3genE0ELNS1_11target_archE4294967295ELNS1_3gpuE0ELNS1_3repE0EEENS1_36merge_oddeven_config_static_selectorELNS0_4arch9wavefront6targetE1EEEvSJ_.uses_vcc, 1
	.set _ZN7rocprim17ROCPRIM_400000_NS6detail17trampoline_kernelINS0_14default_configENS1_38merge_sort_block_merge_config_selectorIttEEZZNS1_27merge_sort_block_merge_implIS3_N6thrust23THRUST_200600_302600_NS6detail15normal_iteratorINS8_10device_ptrItEEEESD_jNS1_19radix_merge_compareILb0ELb0EtNS0_19identity_decomposerEEEEE10hipError_tT0_T1_T2_jT3_P12ihipStream_tbPNSt15iterator_traitsISI_E10value_typeEPNSO_ISJ_E10value_typeEPSK_NS1_7vsmem_tEENKUlT_SI_SJ_SK_E_clISD_PtSD_S10_EESH_SX_SI_SJ_SK_EUlSX_E1_NS1_11comp_targetILNS1_3genE0ELNS1_11target_archE4294967295ELNS1_3gpuE0ELNS1_3repE0EEENS1_36merge_oddeven_config_static_selectorELNS0_4arch9wavefront6targetE1EEEvSJ_.uses_flat_scratch, 0
	.set _ZN7rocprim17ROCPRIM_400000_NS6detail17trampoline_kernelINS0_14default_configENS1_38merge_sort_block_merge_config_selectorIttEEZZNS1_27merge_sort_block_merge_implIS3_N6thrust23THRUST_200600_302600_NS6detail15normal_iteratorINS8_10device_ptrItEEEESD_jNS1_19radix_merge_compareILb0ELb0EtNS0_19identity_decomposerEEEEE10hipError_tT0_T1_T2_jT3_P12ihipStream_tbPNSt15iterator_traitsISI_E10value_typeEPNSO_ISJ_E10value_typeEPSK_NS1_7vsmem_tEENKUlT_SI_SJ_SK_E_clISD_PtSD_S10_EESH_SX_SI_SJ_SK_EUlSX_E1_NS1_11comp_targetILNS1_3genE0ELNS1_11target_archE4294967295ELNS1_3gpuE0ELNS1_3repE0EEENS1_36merge_oddeven_config_static_selectorELNS0_4arch9wavefront6targetE1EEEvSJ_.has_dyn_sized_stack, 0
	.set _ZN7rocprim17ROCPRIM_400000_NS6detail17trampoline_kernelINS0_14default_configENS1_38merge_sort_block_merge_config_selectorIttEEZZNS1_27merge_sort_block_merge_implIS3_N6thrust23THRUST_200600_302600_NS6detail15normal_iteratorINS8_10device_ptrItEEEESD_jNS1_19radix_merge_compareILb0ELb0EtNS0_19identity_decomposerEEEEE10hipError_tT0_T1_T2_jT3_P12ihipStream_tbPNSt15iterator_traitsISI_E10value_typeEPNSO_ISJ_E10value_typeEPSK_NS1_7vsmem_tEENKUlT_SI_SJ_SK_E_clISD_PtSD_S10_EESH_SX_SI_SJ_SK_EUlSX_E1_NS1_11comp_targetILNS1_3genE0ELNS1_11target_archE4294967295ELNS1_3gpuE0ELNS1_3repE0EEENS1_36merge_oddeven_config_static_selectorELNS0_4arch9wavefront6targetE1EEEvSJ_.has_recursion, 0
	.set _ZN7rocprim17ROCPRIM_400000_NS6detail17trampoline_kernelINS0_14default_configENS1_38merge_sort_block_merge_config_selectorIttEEZZNS1_27merge_sort_block_merge_implIS3_N6thrust23THRUST_200600_302600_NS6detail15normal_iteratorINS8_10device_ptrItEEEESD_jNS1_19radix_merge_compareILb0ELb0EtNS0_19identity_decomposerEEEEE10hipError_tT0_T1_T2_jT3_P12ihipStream_tbPNSt15iterator_traitsISI_E10value_typeEPNSO_ISJ_E10value_typeEPSK_NS1_7vsmem_tEENKUlT_SI_SJ_SK_E_clISD_PtSD_S10_EESH_SX_SI_SJ_SK_EUlSX_E1_NS1_11comp_targetILNS1_3genE0ELNS1_11target_archE4294967295ELNS1_3gpuE0ELNS1_3repE0EEENS1_36merge_oddeven_config_static_selectorELNS0_4arch9wavefront6targetE1EEEvSJ_.has_indirect_call, 0
	.section	.AMDGPU.csdata,"",@progbits
; Kernel info:
; codeLenInByte = 764
; TotalNumSgprs: 30
; NumVgprs: 9
; NumAgprs: 0
; TotalNumVgprs: 9
; ScratchSize: 0
; MemoryBound: 0
; FloatMode: 240
; IeeeMode: 1
; LDSByteSize: 0 bytes/workgroup (compile time only)
; SGPRBlocks: 3
; VGPRBlocks: 1
; NumSGPRsForWavesPerEU: 30
; NumVGPRsForWavesPerEU: 9
; AccumOffset: 12
; Occupancy: 8
; WaveLimiterHint : 0
; COMPUTE_PGM_RSRC2:SCRATCH_EN: 0
; COMPUTE_PGM_RSRC2:USER_SGPR: 2
; COMPUTE_PGM_RSRC2:TRAP_HANDLER: 0
; COMPUTE_PGM_RSRC2:TGID_X_EN: 1
; COMPUTE_PGM_RSRC2:TGID_Y_EN: 0
; COMPUTE_PGM_RSRC2:TGID_Z_EN: 0
; COMPUTE_PGM_RSRC2:TIDIG_COMP_CNT: 0
; COMPUTE_PGM_RSRC3_GFX90A:ACCUM_OFFSET: 2
; COMPUTE_PGM_RSRC3_GFX90A:TG_SPLIT: 0
	.section	.text._ZN7rocprim17ROCPRIM_400000_NS6detail17trampoline_kernelINS0_14default_configENS1_38merge_sort_block_merge_config_selectorIttEEZZNS1_27merge_sort_block_merge_implIS3_N6thrust23THRUST_200600_302600_NS6detail15normal_iteratorINS8_10device_ptrItEEEESD_jNS1_19radix_merge_compareILb0ELb0EtNS0_19identity_decomposerEEEEE10hipError_tT0_T1_T2_jT3_P12ihipStream_tbPNSt15iterator_traitsISI_E10value_typeEPNSO_ISJ_E10value_typeEPSK_NS1_7vsmem_tEENKUlT_SI_SJ_SK_E_clISD_PtSD_S10_EESH_SX_SI_SJ_SK_EUlSX_E1_NS1_11comp_targetILNS1_3genE10ELNS1_11target_archE1201ELNS1_3gpuE5ELNS1_3repE0EEENS1_36merge_oddeven_config_static_selectorELNS0_4arch9wavefront6targetE1EEEvSJ_,"axG",@progbits,_ZN7rocprim17ROCPRIM_400000_NS6detail17trampoline_kernelINS0_14default_configENS1_38merge_sort_block_merge_config_selectorIttEEZZNS1_27merge_sort_block_merge_implIS3_N6thrust23THRUST_200600_302600_NS6detail15normal_iteratorINS8_10device_ptrItEEEESD_jNS1_19radix_merge_compareILb0ELb0EtNS0_19identity_decomposerEEEEE10hipError_tT0_T1_T2_jT3_P12ihipStream_tbPNSt15iterator_traitsISI_E10value_typeEPNSO_ISJ_E10value_typeEPSK_NS1_7vsmem_tEENKUlT_SI_SJ_SK_E_clISD_PtSD_S10_EESH_SX_SI_SJ_SK_EUlSX_E1_NS1_11comp_targetILNS1_3genE10ELNS1_11target_archE1201ELNS1_3gpuE5ELNS1_3repE0EEENS1_36merge_oddeven_config_static_selectorELNS0_4arch9wavefront6targetE1EEEvSJ_,comdat
	.protected	_ZN7rocprim17ROCPRIM_400000_NS6detail17trampoline_kernelINS0_14default_configENS1_38merge_sort_block_merge_config_selectorIttEEZZNS1_27merge_sort_block_merge_implIS3_N6thrust23THRUST_200600_302600_NS6detail15normal_iteratorINS8_10device_ptrItEEEESD_jNS1_19radix_merge_compareILb0ELb0EtNS0_19identity_decomposerEEEEE10hipError_tT0_T1_T2_jT3_P12ihipStream_tbPNSt15iterator_traitsISI_E10value_typeEPNSO_ISJ_E10value_typeEPSK_NS1_7vsmem_tEENKUlT_SI_SJ_SK_E_clISD_PtSD_S10_EESH_SX_SI_SJ_SK_EUlSX_E1_NS1_11comp_targetILNS1_3genE10ELNS1_11target_archE1201ELNS1_3gpuE5ELNS1_3repE0EEENS1_36merge_oddeven_config_static_selectorELNS0_4arch9wavefront6targetE1EEEvSJ_ ; -- Begin function _ZN7rocprim17ROCPRIM_400000_NS6detail17trampoline_kernelINS0_14default_configENS1_38merge_sort_block_merge_config_selectorIttEEZZNS1_27merge_sort_block_merge_implIS3_N6thrust23THRUST_200600_302600_NS6detail15normal_iteratorINS8_10device_ptrItEEEESD_jNS1_19radix_merge_compareILb0ELb0EtNS0_19identity_decomposerEEEEE10hipError_tT0_T1_T2_jT3_P12ihipStream_tbPNSt15iterator_traitsISI_E10value_typeEPNSO_ISJ_E10value_typeEPSK_NS1_7vsmem_tEENKUlT_SI_SJ_SK_E_clISD_PtSD_S10_EESH_SX_SI_SJ_SK_EUlSX_E1_NS1_11comp_targetILNS1_3genE10ELNS1_11target_archE1201ELNS1_3gpuE5ELNS1_3repE0EEENS1_36merge_oddeven_config_static_selectorELNS0_4arch9wavefront6targetE1EEEvSJ_
	.globl	_ZN7rocprim17ROCPRIM_400000_NS6detail17trampoline_kernelINS0_14default_configENS1_38merge_sort_block_merge_config_selectorIttEEZZNS1_27merge_sort_block_merge_implIS3_N6thrust23THRUST_200600_302600_NS6detail15normal_iteratorINS8_10device_ptrItEEEESD_jNS1_19radix_merge_compareILb0ELb0EtNS0_19identity_decomposerEEEEE10hipError_tT0_T1_T2_jT3_P12ihipStream_tbPNSt15iterator_traitsISI_E10value_typeEPNSO_ISJ_E10value_typeEPSK_NS1_7vsmem_tEENKUlT_SI_SJ_SK_E_clISD_PtSD_S10_EESH_SX_SI_SJ_SK_EUlSX_E1_NS1_11comp_targetILNS1_3genE10ELNS1_11target_archE1201ELNS1_3gpuE5ELNS1_3repE0EEENS1_36merge_oddeven_config_static_selectorELNS0_4arch9wavefront6targetE1EEEvSJ_
	.p2align	8
	.type	_ZN7rocprim17ROCPRIM_400000_NS6detail17trampoline_kernelINS0_14default_configENS1_38merge_sort_block_merge_config_selectorIttEEZZNS1_27merge_sort_block_merge_implIS3_N6thrust23THRUST_200600_302600_NS6detail15normal_iteratorINS8_10device_ptrItEEEESD_jNS1_19radix_merge_compareILb0ELb0EtNS0_19identity_decomposerEEEEE10hipError_tT0_T1_T2_jT3_P12ihipStream_tbPNSt15iterator_traitsISI_E10value_typeEPNSO_ISJ_E10value_typeEPSK_NS1_7vsmem_tEENKUlT_SI_SJ_SK_E_clISD_PtSD_S10_EESH_SX_SI_SJ_SK_EUlSX_E1_NS1_11comp_targetILNS1_3genE10ELNS1_11target_archE1201ELNS1_3gpuE5ELNS1_3repE0EEENS1_36merge_oddeven_config_static_selectorELNS0_4arch9wavefront6targetE1EEEvSJ_,@function
_ZN7rocprim17ROCPRIM_400000_NS6detail17trampoline_kernelINS0_14default_configENS1_38merge_sort_block_merge_config_selectorIttEEZZNS1_27merge_sort_block_merge_implIS3_N6thrust23THRUST_200600_302600_NS6detail15normal_iteratorINS8_10device_ptrItEEEESD_jNS1_19radix_merge_compareILb0ELb0EtNS0_19identity_decomposerEEEEE10hipError_tT0_T1_T2_jT3_P12ihipStream_tbPNSt15iterator_traitsISI_E10value_typeEPNSO_ISJ_E10value_typeEPSK_NS1_7vsmem_tEENKUlT_SI_SJ_SK_E_clISD_PtSD_S10_EESH_SX_SI_SJ_SK_EUlSX_E1_NS1_11comp_targetILNS1_3genE10ELNS1_11target_archE1201ELNS1_3gpuE5ELNS1_3repE0EEENS1_36merge_oddeven_config_static_selectorELNS0_4arch9wavefront6targetE1EEEvSJ_: ; @_ZN7rocprim17ROCPRIM_400000_NS6detail17trampoline_kernelINS0_14default_configENS1_38merge_sort_block_merge_config_selectorIttEEZZNS1_27merge_sort_block_merge_implIS3_N6thrust23THRUST_200600_302600_NS6detail15normal_iteratorINS8_10device_ptrItEEEESD_jNS1_19radix_merge_compareILb0ELb0EtNS0_19identity_decomposerEEEEE10hipError_tT0_T1_T2_jT3_P12ihipStream_tbPNSt15iterator_traitsISI_E10value_typeEPNSO_ISJ_E10value_typeEPSK_NS1_7vsmem_tEENKUlT_SI_SJ_SK_E_clISD_PtSD_S10_EESH_SX_SI_SJ_SK_EUlSX_E1_NS1_11comp_targetILNS1_3genE10ELNS1_11target_archE1201ELNS1_3gpuE5ELNS1_3repE0EEENS1_36merge_oddeven_config_static_selectorELNS0_4arch9wavefront6targetE1EEEvSJ_
; %bb.0:
	.section	.rodata,"a",@progbits
	.p2align	6, 0x0
	.amdhsa_kernel _ZN7rocprim17ROCPRIM_400000_NS6detail17trampoline_kernelINS0_14default_configENS1_38merge_sort_block_merge_config_selectorIttEEZZNS1_27merge_sort_block_merge_implIS3_N6thrust23THRUST_200600_302600_NS6detail15normal_iteratorINS8_10device_ptrItEEEESD_jNS1_19radix_merge_compareILb0ELb0EtNS0_19identity_decomposerEEEEE10hipError_tT0_T1_T2_jT3_P12ihipStream_tbPNSt15iterator_traitsISI_E10value_typeEPNSO_ISJ_E10value_typeEPSK_NS1_7vsmem_tEENKUlT_SI_SJ_SK_E_clISD_PtSD_S10_EESH_SX_SI_SJ_SK_EUlSX_E1_NS1_11comp_targetILNS1_3genE10ELNS1_11target_archE1201ELNS1_3gpuE5ELNS1_3repE0EEENS1_36merge_oddeven_config_static_selectorELNS0_4arch9wavefront6targetE1EEEvSJ_
		.amdhsa_group_segment_fixed_size 0
		.amdhsa_private_segment_fixed_size 0
		.amdhsa_kernarg_size 48
		.amdhsa_user_sgpr_count 2
		.amdhsa_user_sgpr_dispatch_ptr 0
		.amdhsa_user_sgpr_queue_ptr 0
		.amdhsa_user_sgpr_kernarg_segment_ptr 1
		.amdhsa_user_sgpr_dispatch_id 0
		.amdhsa_user_sgpr_kernarg_preload_length 0
		.amdhsa_user_sgpr_kernarg_preload_offset 0
		.amdhsa_user_sgpr_private_segment_size 0
		.amdhsa_uses_dynamic_stack 0
		.amdhsa_enable_private_segment 0
		.amdhsa_system_sgpr_workgroup_id_x 1
		.amdhsa_system_sgpr_workgroup_id_y 0
		.amdhsa_system_sgpr_workgroup_id_z 0
		.amdhsa_system_sgpr_workgroup_info 0
		.amdhsa_system_vgpr_workitem_id 0
		.amdhsa_next_free_vgpr 1
		.amdhsa_next_free_sgpr 0
		.amdhsa_accum_offset 4
		.amdhsa_reserve_vcc 0
		.amdhsa_float_round_mode_32 0
		.amdhsa_float_round_mode_16_64 0
		.amdhsa_float_denorm_mode_32 3
		.amdhsa_float_denorm_mode_16_64 3
		.amdhsa_dx10_clamp 1
		.amdhsa_ieee_mode 1
		.amdhsa_fp16_overflow 0
		.amdhsa_tg_split 0
		.amdhsa_exception_fp_ieee_invalid_op 0
		.amdhsa_exception_fp_denorm_src 0
		.amdhsa_exception_fp_ieee_div_zero 0
		.amdhsa_exception_fp_ieee_overflow 0
		.amdhsa_exception_fp_ieee_underflow 0
		.amdhsa_exception_fp_ieee_inexact 0
		.amdhsa_exception_int_div_zero 0
	.end_amdhsa_kernel
	.section	.text._ZN7rocprim17ROCPRIM_400000_NS6detail17trampoline_kernelINS0_14default_configENS1_38merge_sort_block_merge_config_selectorIttEEZZNS1_27merge_sort_block_merge_implIS3_N6thrust23THRUST_200600_302600_NS6detail15normal_iteratorINS8_10device_ptrItEEEESD_jNS1_19radix_merge_compareILb0ELb0EtNS0_19identity_decomposerEEEEE10hipError_tT0_T1_T2_jT3_P12ihipStream_tbPNSt15iterator_traitsISI_E10value_typeEPNSO_ISJ_E10value_typeEPSK_NS1_7vsmem_tEENKUlT_SI_SJ_SK_E_clISD_PtSD_S10_EESH_SX_SI_SJ_SK_EUlSX_E1_NS1_11comp_targetILNS1_3genE10ELNS1_11target_archE1201ELNS1_3gpuE5ELNS1_3repE0EEENS1_36merge_oddeven_config_static_selectorELNS0_4arch9wavefront6targetE1EEEvSJ_,"axG",@progbits,_ZN7rocprim17ROCPRIM_400000_NS6detail17trampoline_kernelINS0_14default_configENS1_38merge_sort_block_merge_config_selectorIttEEZZNS1_27merge_sort_block_merge_implIS3_N6thrust23THRUST_200600_302600_NS6detail15normal_iteratorINS8_10device_ptrItEEEESD_jNS1_19radix_merge_compareILb0ELb0EtNS0_19identity_decomposerEEEEE10hipError_tT0_T1_T2_jT3_P12ihipStream_tbPNSt15iterator_traitsISI_E10value_typeEPNSO_ISJ_E10value_typeEPSK_NS1_7vsmem_tEENKUlT_SI_SJ_SK_E_clISD_PtSD_S10_EESH_SX_SI_SJ_SK_EUlSX_E1_NS1_11comp_targetILNS1_3genE10ELNS1_11target_archE1201ELNS1_3gpuE5ELNS1_3repE0EEENS1_36merge_oddeven_config_static_selectorELNS0_4arch9wavefront6targetE1EEEvSJ_,comdat
.Lfunc_end883:
	.size	_ZN7rocprim17ROCPRIM_400000_NS6detail17trampoline_kernelINS0_14default_configENS1_38merge_sort_block_merge_config_selectorIttEEZZNS1_27merge_sort_block_merge_implIS3_N6thrust23THRUST_200600_302600_NS6detail15normal_iteratorINS8_10device_ptrItEEEESD_jNS1_19radix_merge_compareILb0ELb0EtNS0_19identity_decomposerEEEEE10hipError_tT0_T1_T2_jT3_P12ihipStream_tbPNSt15iterator_traitsISI_E10value_typeEPNSO_ISJ_E10value_typeEPSK_NS1_7vsmem_tEENKUlT_SI_SJ_SK_E_clISD_PtSD_S10_EESH_SX_SI_SJ_SK_EUlSX_E1_NS1_11comp_targetILNS1_3genE10ELNS1_11target_archE1201ELNS1_3gpuE5ELNS1_3repE0EEENS1_36merge_oddeven_config_static_selectorELNS0_4arch9wavefront6targetE1EEEvSJ_, .Lfunc_end883-_ZN7rocprim17ROCPRIM_400000_NS6detail17trampoline_kernelINS0_14default_configENS1_38merge_sort_block_merge_config_selectorIttEEZZNS1_27merge_sort_block_merge_implIS3_N6thrust23THRUST_200600_302600_NS6detail15normal_iteratorINS8_10device_ptrItEEEESD_jNS1_19radix_merge_compareILb0ELb0EtNS0_19identity_decomposerEEEEE10hipError_tT0_T1_T2_jT3_P12ihipStream_tbPNSt15iterator_traitsISI_E10value_typeEPNSO_ISJ_E10value_typeEPSK_NS1_7vsmem_tEENKUlT_SI_SJ_SK_E_clISD_PtSD_S10_EESH_SX_SI_SJ_SK_EUlSX_E1_NS1_11comp_targetILNS1_3genE10ELNS1_11target_archE1201ELNS1_3gpuE5ELNS1_3repE0EEENS1_36merge_oddeven_config_static_selectorELNS0_4arch9wavefront6targetE1EEEvSJ_
                                        ; -- End function
	.set _ZN7rocprim17ROCPRIM_400000_NS6detail17trampoline_kernelINS0_14default_configENS1_38merge_sort_block_merge_config_selectorIttEEZZNS1_27merge_sort_block_merge_implIS3_N6thrust23THRUST_200600_302600_NS6detail15normal_iteratorINS8_10device_ptrItEEEESD_jNS1_19radix_merge_compareILb0ELb0EtNS0_19identity_decomposerEEEEE10hipError_tT0_T1_T2_jT3_P12ihipStream_tbPNSt15iterator_traitsISI_E10value_typeEPNSO_ISJ_E10value_typeEPSK_NS1_7vsmem_tEENKUlT_SI_SJ_SK_E_clISD_PtSD_S10_EESH_SX_SI_SJ_SK_EUlSX_E1_NS1_11comp_targetILNS1_3genE10ELNS1_11target_archE1201ELNS1_3gpuE5ELNS1_3repE0EEENS1_36merge_oddeven_config_static_selectorELNS0_4arch9wavefront6targetE1EEEvSJ_.num_vgpr, 0
	.set _ZN7rocprim17ROCPRIM_400000_NS6detail17trampoline_kernelINS0_14default_configENS1_38merge_sort_block_merge_config_selectorIttEEZZNS1_27merge_sort_block_merge_implIS3_N6thrust23THRUST_200600_302600_NS6detail15normal_iteratorINS8_10device_ptrItEEEESD_jNS1_19radix_merge_compareILb0ELb0EtNS0_19identity_decomposerEEEEE10hipError_tT0_T1_T2_jT3_P12ihipStream_tbPNSt15iterator_traitsISI_E10value_typeEPNSO_ISJ_E10value_typeEPSK_NS1_7vsmem_tEENKUlT_SI_SJ_SK_E_clISD_PtSD_S10_EESH_SX_SI_SJ_SK_EUlSX_E1_NS1_11comp_targetILNS1_3genE10ELNS1_11target_archE1201ELNS1_3gpuE5ELNS1_3repE0EEENS1_36merge_oddeven_config_static_selectorELNS0_4arch9wavefront6targetE1EEEvSJ_.num_agpr, 0
	.set _ZN7rocprim17ROCPRIM_400000_NS6detail17trampoline_kernelINS0_14default_configENS1_38merge_sort_block_merge_config_selectorIttEEZZNS1_27merge_sort_block_merge_implIS3_N6thrust23THRUST_200600_302600_NS6detail15normal_iteratorINS8_10device_ptrItEEEESD_jNS1_19radix_merge_compareILb0ELb0EtNS0_19identity_decomposerEEEEE10hipError_tT0_T1_T2_jT3_P12ihipStream_tbPNSt15iterator_traitsISI_E10value_typeEPNSO_ISJ_E10value_typeEPSK_NS1_7vsmem_tEENKUlT_SI_SJ_SK_E_clISD_PtSD_S10_EESH_SX_SI_SJ_SK_EUlSX_E1_NS1_11comp_targetILNS1_3genE10ELNS1_11target_archE1201ELNS1_3gpuE5ELNS1_3repE0EEENS1_36merge_oddeven_config_static_selectorELNS0_4arch9wavefront6targetE1EEEvSJ_.numbered_sgpr, 0
	.set _ZN7rocprim17ROCPRIM_400000_NS6detail17trampoline_kernelINS0_14default_configENS1_38merge_sort_block_merge_config_selectorIttEEZZNS1_27merge_sort_block_merge_implIS3_N6thrust23THRUST_200600_302600_NS6detail15normal_iteratorINS8_10device_ptrItEEEESD_jNS1_19radix_merge_compareILb0ELb0EtNS0_19identity_decomposerEEEEE10hipError_tT0_T1_T2_jT3_P12ihipStream_tbPNSt15iterator_traitsISI_E10value_typeEPNSO_ISJ_E10value_typeEPSK_NS1_7vsmem_tEENKUlT_SI_SJ_SK_E_clISD_PtSD_S10_EESH_SX_SI_SJ_SK_EUlSX_E1_NS1_11comp_targetILNS1_3genE10ELNS1_11target_archE1201ELNS1_3gpuE5ELNS1_3repE0EEENS1_36merge_oddeven_config_static_selectorELNS0_4arch9wavefront6targetE1EEEvSJ_.num_named_barrier, 0
	.set _ZN7rocprim17ROCPRIM_400000_NS6detail17trampoline_kernelINS0_14default_configENS1_38merge_sort_block_merge_config_selectorIttEEZZNS1_27merge_sort_block_merge_implIS3_N6thrust23THRUST_200600_302600_NS6detail15normal_iteratorINS8_10device_ptrItEEEESD_jNS1_19radix_merge_compareILb0ELb0EtNS0_19identity_decomposerEEEEE10hipError_tT0_T1_T2_jT3_P12ihipStream_tbPNSt15iterator_traitsISI_E10value_typeEPNSO_ISJ_E10value_typeEPSK_NS1_7vsmem_tEENKUlT_SI_SJ_SK_E_clISD_PtSD_S10_EESH_SX_SI_SJ_SK_EUlSX_E1_NS1_11comp_targetILNS1_3genE10ELNS1_11target_archE1201ELNS1_3gpuE5ELNS1_3repE0EEENS1_36merge_oddeven_config_static_selectorELNS0_4arch9wavefront6targetE1EEEvSJ_.private_seg_size, 0
	.set _ZN7rocprim17ROCPRIM_400000_NS6detail17trampoline_kernelINS0_14default_configENS1_38merge_sort_block_merge_config_selectorIttEEZZNS1_27merge_sort_block_merge_implIS3_N6thrust23THRUST_200600_302600_NS6detail15normal_iteratorINS8_10device_ptrItEEEESD_jNS1_19radix_merge_compareILb0ELb0EtNS0_19identity_decomposerEEEEE10hipError_tT0_T1_T2_jT3_P12ihipStream_tbPNSt15iterator_traitsISI_E10value_typeEPNSO_ISJ_E10value_typeEPSK_NS1_7vsmem_tEENKUlT_SI_SJ_SK_E_clISD_PtSD_S10_EESH_SX_SI_SJ_SK_EUlSX_E1_NS1_11comp_targetILNS1_3genE10ELNS1_11target_archE1201ELNS1_3gpuE5ELNS1_3repE0EEENS1_36merge_oddeven_config_static_selectorELNS0_4arch9wavefront6targetE1EEEvSJ_.uses_vcc, 0
	.set _ZN7rocprim17ROCPRIM_400000_NS6detail17trampoline_kernelINS0_14default_configENS1_38merge_sort_block_merge_config_selectorIttEEZZNS1_27merge_sort_block_merge_implIS3_N6thrust23THRUST_200600_302600_NS6detail15normal_iteratorINS8_10device_ptrItEEEESD_jNS1_19radix_merge_compareILb0ELb0EtNS0_19identity_decomposerEEEEE10hipError_tT0_T1_T2_jT3_P12ihipStream_tbPNSt15iterator_traitsISI_E10value_typeEPNSO_ISJ_E10value_typeEPSK_NS1_7vsmem_tEENKUlT_SI_SJ_SK_E_clISD_PtSD_S10_EESH_SX_SI_SJ_SK_EUlSX_E1_NS1_11comp_targetILNS1_3genE10ELNS1_11target_archE1201ELNS1_3gpuE5ELNS1_3repE0EEENS1_36merge_oddeven_config_static_selectorELNS0_4arch9wavefront6targetE1EEEvSJ_.uses_flat_scratch, 0
	.set _ZN7rocprim17ROCPRIM_400000_NS6detail17trampoline_kernelINS0_14default_configENS1_38merge_sort_block_merge_config_selectorIttEEZZNS1_27merge_sort_block_merge_implIS3_N6thrust23THRUST_200600_302600_NS6detail15normal_iteratorINS8_10device_ptrItEEEESD_jNS1_19radix_merge_compareILb0ELb0EtNS0_19identity_decomposerEEEEE10hipError_tT0_T1_T2_jT3_P12ihipStream_tbPNSt15iterator_traitsISI_E10value_typeEPNSO_ISJ_E10value_typeEPSK_NS1_7vsmem_tEENKUlT_SI_SJ_SK_E_clISD_PtSD_S10_EESH_SX_SI_SJ_SK_EUlSX_E1_NS1_11comp_targetILNS1_3genE10ELNS1_11target_archE1201ELNS1_3gpuE5ELNS1_3repE0EEENS1_36merge_oddeven_config_static_selectorELNS0_4arch9wavefront6targetE1EEEvSJ_.has_dyn_sized_stack, 0
	.set _ZN7rocprim17ROCPRIM_400000_NS6detail17trampoline_kernelINS0_14default_configENS1_38merge_sort_block_merge_config_selectorIttEEZZNS1_27merge_sort_block_merge_implIS3_N6thrust23THRUST_200600_302600_NS6detail15normal_iteratorINS8_10device_ptrItEEEESD_jNS1_19radix_merge_compareILb0ELb0EtNS0_19identity_decomposerEEEEE10hipError_tT0_T1_T2_jT3_P12ihipStream_tbPNSt15iterator_traitsISI_E10value_typeEPNSO_ISJ_E10value_typeEPSK_NS1_7vsmem_tEENKUlT_SI_SJ_SK_E_clISD_PtSD_S10_EESH_SX_SI_SJ_SK_EUlSX_E1_NS1_11comp_targetILNS1_3genE10ELNS1_11target_archE1201ELNS1_3gpuE5ELNS1_3repE0EEENS1_36merge_oddeven_config_static_selectorELNS0_4arch9wavefront6targetE1EEEvSJ_.has_recursion, 0
	.set _ZN7rocprim17ROCPRIM_400000_NS6detail17trampoline_kernelINS0_14default_configENS1_38merge_sort_block_merge_config_selectorIttEEZZNS1_27merge_sort_block_merge_implIS3_N6thrust23THRUST_200600_302600_NS6detail15normal_iteratorINS8_10device_ptrItEEEESD_jNS1_19radix_merge_compareILb0ELb0EtNS0_19identity_decomposerEEEEE10hipError_tT0_T1_T2_jT3_P12ihipStream_tbPNSt15iterator_traitsISI_E10value_typeEPNSO_ISJ_E10value_typeEPSK_NS1_7vsmem_tEENKUlT_SI_SJ_SK_E_clISD_PtSD_S10_EESH_SX_SI_SJ_SK_EUlSX_E1_NS1_11comp_targetILNS1_3genE10ELNS1_11target_archE1201ELNS1_3gpuE5ELNS1_3repE0EEENS1_36merge_oddeven_config_static_selectorELNS0_4arch9wavefront6targetE1EEEvSJ_.has_indirect_call, 0
	.section	.AMDGPU.csdata,"",@progbits
; Kernel info:
; codeLenInByte = 0
; TotalNumSgprs: 6
; NumVgprs: 0
; NumAgprs: 0
; TotalNumVgprs: 0
; ScratchSize: 0
; MemoryBound: 0
; FloatMode: 240
; IeeeMode: 1
; LDSByteSize: 0 bytes/workgroup (compile time only)
; SGPRBlocks: 0
; VGPRBlocks: 0
; NumSGPRsForWavesPerEU: 6
; NumVGPRsForWavesPerEU: 1
; AccumOffset: 4
; Occupancy: 8
; WaveLimiterHint : 0
; COMPUTE_PGM_RSRC2:SCRATCH_EN: 0
; COMPUTE_PGM_RSRC2:USER_SGPR: 2
; COMPUTE_PGM_RSRC2:TRAP_HANDLER: 0
; COMPUTE_PGM_RSRC2:TGID_X_EN: 1
; COMPUTE_PGM_RSRC2:TGID_Y_EN: 0
; COMPUTE_PGM_RSRC2:TGID_Z_EN: 0
; COMPUTE_PGM_RSRC2:TIDIG_COMP_CNT: 0
; COMPUTE_PGM_RSRC3_GFX90A:ACCUM_OFFSET: 0
; COMPUTE_PGM_RSRC3_GFX90A:TG_SPLIT: 0
	.section	.text._ZN7rocprim17ROCPRIM_400000_NS6detail17trampoline_kernelINS0_14default_configENS1_38merge_sort_block_merge_config_selectorIttEEZZNS1_27merge_sort_block_merge_implIS3_N6thrust23THRUST_200600_302600_NS6detail15normal_iteratorINS8_10device_ptrItEEEESD_jNS1_19radix_merge_compareILb0ELb0EtNS0_19identity_decomposerEEEEE10hipError_tT0_T1_T2_jT3_P12ihipStream_tbPNSt15iterator_traitsISI_E10value_typeEPNSO_ISJ_E10value_typeEPSK_NS1_7vsmem_tEENKUlT_SI_SJ_SK_E_clISD_PtSD_S10_EESH_SX_SI_SJ_SK_EUlSX_E1_NS1_11comp_targetILNS1_3genE5ELNS1_11target_archE942ELNS1_3gpuE9ELNS1_3repE0EEENS1_36merge_oddeven_config_static_selectorELNS0_4arch9wavefront6targetE1EEEvSJ_,"axG",@progbits,_ZN7rocprim17ROCPRIM_400000_NS6detail17trampoline_kernelINS0_14default_configENS1_38merge_sort_block_merge_config_selectorIttEEZZNS1_27merge_sort_block_merge_implIS3_N6thrust23THRUST_200600_302600_NS6detail15normal_iteratorINS8_10device_ptrItEEEESD_jNS1_19radix_merge_compareILb0ELb0EtNS0_19identity_decomposerEEEEE10hipError_tT0_T1_T2_jT3_P12ihipStream_tbPNSt15iterator_traitsISI_E10value_typeEPNSO_ISJ_E10value_typeEPSK_NS1_7vsmem_tEENKUlT_SI_SJ_SK_E_clISD_PtSD_S10_EESH_SX_SI_SJ_SK_EUlSX_E1_NS1_11comp_targetILNS1_3genE5ELNS1_11target_archE942ELNS1_3gpuE9ELNS1_3repE0EEENS1_36merge_oddeven_config_static_selectorELNS0_4arch9wavefront6targetE1EEEvSJ_,comdat
	.protected	_ZN7rocprim17ROCPRIM_400000_NS6detail17trampoline_kernelINS0_14default_configENS1_38merge_sort_block_merge_config_selectorIttEEZZNS1_27merge_sort_block_merge_implIS3_N6thrust23THRUST_200600_302600_NS6detail15normal_iteratorINS8_10device_ptrItEEEESD_jNS1_19radix_merge_compareILb0ELb0EtNS0_19identity_decomposerEEEEE10hipError_tT0_T1_T2_jT3_P12ihipStream_tbPNSt15iterator_traitsISI_E10value_typeEPNSO_ISJ_E10value_typeEPSK_NS1_7vsmem_tEENKUlT_SI_SJ_SK_E_clISD_PtSD_S10_EESH_SX_SI_SJ_SK_EUlSX_E1_NS1_11comp_targetILNS1_3genE5ELNS1_11target_archE942ELNS1_3gpuE9ELNS1_3repE0EEENS1_36merge_oddeven_config_static_selectorELNS0_4arch9wavefront6targetE1EEEvSJ_ ; -- Begin function _ZN7rocprim17ROCPRIM_400000_NS6detail17trampoline_kernelINS0_14default_configENS1_38merge_sort_block_merge_config_selectorIttEEZZNS1_27merge_sort_block_merge_implIS3_N6thrust23THRUST_200600_302600_NS6detail15normal_iteratorINS8_10device_ptrItEEEESD_jNS1_19radix_merge_compareILb0ELb0EtNS0_19identity_decomposerEEEEE10hipError_tT0_T1_T2_jT3_P12ihipStream_tbPNSt15iterator_traitsISI_E10value_typeEPNSO_ISJ_E10value_typeEPSK_NS1_7vsmem_tEENKUlT_SI_SJ_SK_E_clISD_PtSD_S10_EESH_SX_SI_SJ_SK_EUlSX_E1_NS1_11comp_targetILNS1_3genE5ELNS1_11target_archE942ELNS1_3gpuE9ELNS1_3repE0EEENS1_36merge_oddeven_config_static_selectorELNS0_4arch9wavefront6targetE1EEEvSJ_
	.globl	_ZN7rocprim17ROCPRIM_400000_NS6detail17trampoline_kernelINS0_14default_configENS1_38merge_sort_block_merge_config_selectorIttEEZZNS1_27merge_sort_block_merge_implIS3_N6thrust23THRUST_200600_302600_NS6detail15normal_iteratorINS8_10device_ptrItEEEESD_jNS1_19radix_merge_compareILb0ELb0EtNS0_19identity_decomposerEEEEE10hipError_tT0_T1_T2_jT3_P12ihipStream_tbPNSt15iterator_traitsISI_E10value_typeEPNSO_ISJ_E10value_typeEPSK_NS1_7vsmem_tEENKUlT_SI_SJ_SK_E_clISD_PtSD_S10_EESH_SX_SI_SJ_SK_EUlSX_E1_NS1_11comp_targetILNS1_3genE5ELNS1_11target_archE942ELNS1_3gpuE9ELNS1_3repE0EEENS1_36merge_oddeven_config_static_selectorELNS0_4arch9wavefront6targetE1EEEvSJ_
	.p2align	8
	.type	_ZN7rocprim17ROCPRIM_400000_NS6detail17trampoline_kernelINS0_14default_configENS1_38merge_sort_block_merge_config_selectorIttEEZZNS1_27merge_sort_block_merge_implIS3_N6thrust23THRUST_200600_302600_NS6detail15normal_iteratorINS8_10device_ptrItEEEESD_jNS1_19radix_merge_compareILb0ELb0EtNS0_19identity_decomposerEEEEE10hipError_tT0_T1_T2_jT3_P12ihipStream_tbPNSt15iterator_traitsISI_E10value_typeEPNSO_ISJ_E10value_typeEPSK_NS1_7vsmem_tEENKUlT_SI_SJ_SK_E_clISD_PtSD_S10_EESH_SX_SI_SJ_SK_EUlSX_E1_NS1_11comp_targetILNS1_3genE5ELNS1_11target_archE942ELNS1_3gpuE9ELNS1_3repE0EEENS1_36merge_oddeven_config_static_selectorELNS0_4arch9wavefront6targetE1EEEvSJ_,@function
_ZN7rocprim17ROCPRIM_400000_NS6detail17trampoline_kernelINS0_14default_configENS1_38merge_sort_block_merge_config_selectorIttEEZZNS1_27merge_sort_block_merge_implIS3_N6thrust23THRUST_200600_302600_NS6detail15normal_iteratorINS8_10device_ptrItEEEESD_jNS1_19radix_merge_compareILb0ELb0EtNS0_19identity_decomposerEEEEE10hipError_tT0_T1_T2_jT3_P12ihipStream_tbPNSt15iterator_traitsISI_E10value_typeEPNSO_ISJ_E10value_typeEPSK_NS1_7vsmem_tEENKUlT_SI_SJ_SK_E_clISD_PtSD_S10_EESH_SX_SI_SJ_SK_EUlSX_E1_NS1_11comp_targetILNS1_3genE5ELNS1_11target_archE942ELNS1_3gpuE9ELNS1_3repE0EEENS1_36merge_oddeven_config_static_selectorELNS0_4arch9wavefront6targetE1EEEvSJ_: ; @_ZN7rocprim17ROCPRIM_400000_NS6detail17trampoline_kernelINS0_14default_configENS1_38merge_sort_block_merge_config_selectorIttEEZZNS1_27merge_sort_block_merge_implIS3_N6thrust23THRUST_200600_302600_NS6detail15normal_iteratorINS8_10device_ptrItEEEESD_jNS1_19radix_merge_compareILb0ELb0EtNS0_19identity_decomposerEEEEE10hipError_tT0_T1_T2_jT3_P12ihipStream_tbPNSt15iterator_traitsISI_E10value_typeEPNSO_ISJ_E10value_typeEPSK_NS1_7vsmem_tEENKUlT_SI_SJ_SK_E_clISD_PtSD_S10_EESH_SX_SI_SJ_SK_EUlSX_E1_NS1_11comp_targetILNS1_3genE5ELNS1_11target_archE942ELNS1_3gpuE9ELNS1_3repE0EEENS1_36merge_oddeven_config_static_selectorELNS0_4arch9wavefront6targetE1EEEvSJ_
; %bb.0:
	.section	.rodata,"a",@progbits
	.p2align	6, 0x0
	.amdhsa_kernel _ZN7rocprim17ROCPRIM_400000_NS6detail17trampoline_kernelINS0_14default_configENS1_38merge_sort_block_merge_config_selectorIttEEZZNS1_27merge_sort_block_merge_implIS3_N6thrust23THRUST_200600_302600_NS6detail15normal_iteratorINS8_10device_ptrItEEEESD_jNS1_19radix_merge_compareILb0ELb0EtNS0_19identity_decomposerEEEEE10hipError_tT0_T1_T2_jT3_P12ihipStream_tbPNSt15iterator_traitsISI_E10value_typeEPNSO_ISJ_E10value_typeEPSK_NS1_7vsmem_tEENKUlT_SI_SJ_SK_E_clISD_PtSD_S10_EESH_SX_SI_SJ_SK_EUlSX_E1_NS1_11comp_targetILNS1_3genE5ELNS1_11target_archE942ELNS1_3gpuE9ELNS1_3repE0EEENS1_36merge_oddeven_config_static_selectorELNS0_4arch9wavefront6targetE1EEEvSJ_
		.amdhsa_group_segment_fixed_size 0
		.amdhsa_private_segment_fixed_size 0
		.amdhsa_kernarg_size 48
		.amdhsa_user_sgpr_count 2
		.amdhsa_user_sgpr_dispatch_ptr 0
		.amdhsa_user_sgpr_queue_ptr 0
		.amdhsa_user_sgpr_kernarg_segment_ptr 1
		.amdhsa_user_sgpr_dispatch_id 0
		.amdhsa_user_sgpr_kernarg_preload_length 0
		.amdhsa_user_sgpr_kernarg_preload_offset 0
		.amdhsa_user_sgpr_private_segment_size 0
		.amdhsa_uses_dynamic_stack 0
		.amdhsa_enable_private_segment 0
		.amdhsa_system_sgpr_workgroup_id_x 1
		.amdhsa_system_sgpr_workgroup_id_y 0
		.amdhsa_system_sgpr_workgroup_id_z 0
		.amdhsa_system_sgpr_workgroup_info 0
		.amdhsa_system_vgpr_workitem_id 0
		.amdhsa_next_free_vgpr 1
		.amdhsa_next_free_sgpr 0
		.amdhsa_accum_offset 4
		.amdhsa_reserve_vcc 0
		.amdhsa_float_round_mode_32 0
		.amdhsa_float_round_mode_16_64 0
		.amdhsa_float_denorm_mode_32 3
		.amdhsa_float_denorm_mode_16_64 3
		.amdhsa_dx10_clamp 1
		.amdhsa_ieee_mode 1
		.amdhsa_fp16_overflow 0
		.amdhsa_tg_split 0
		.amdhsa_exception_fp_ieee_invalid_op 0
		.amdhsa_exception_fp_denorm_src 0
		.amdhsa_exception_fp_ieee_div_zero 0
		.amdhsa_exception_fp_ieee_overflow 0
		.amdhsa_exception_fp_ieee_underflow 0
		.amdhsa_exception_fp_ieee_inexact 0
		.amdhsa_exception_int_div_zero 0
	.end_amdhsa_kernel
	.section	.text._ZN7rocprim17ROCPRIM_400000_NS6detail17trampoline_kernelINS0_14default_configENS1_38merge_sort_block_merge_config_selectorIttEEZZNS1_27merge_sort_block_merge_implIS3_N6thrust23THRUST_200600_302600_NS6detail15normal_iteratorINS8_10device_ptrItEEEESD_jNS1_19radix_merge_compareILb0ELb0EtNS0_19identity_decomposerEEEEE10hipError_tT0_T1_T2_jT3_P12ihipStream_tbPNSt15iterator_traitsISI_E10value_typeEPNSO_ISJ_E10value_typeEPSK_NS1_7vsmem_tEENKUlT_SI_SJ_SK_E_clISD_PtSD_S10_EESH_SX_SI_SJ_SK_EUlSX_E1_NS1_11comp_targetILNS1_3genE5ELNS1_11target_archE942ELNS1_3gpuE9ELNS1_3repE0EEENS1_36merge_oddeven_config_static_selectorELNS0_4arch9wavefront6targetE1EEEvSJ_,"axG",@progbits,_ZN7rocprim17ROCPRIM_400000_NS6detail17trampoline_kernelINS0_14default_configENS1_38merge_sort_block_merge_config_selectorIttEEZZNS1_27merge_sort_block_merge_implIS3_N6thrust23THRUST_200600_302600_NS6detail15normal_iteratorINS8_10device_ptrItEEEESD_jNS1_19radix_merge_compareILb0ELb0EtNS0_19identity_decomposerEEEEE10hipError_tT0_T1_T2_jT3_P12ihipStream_tbPNSt15iterator_traitsISI_E10value_typeEPNSO_ISJ_E10value_typeEPSK_NS1_7vsmem_tEENKUlT_SI_SJ_SK_E_clISD_PtSD_S10_EESH_SX_SI_SJ_SK_EUlSX_E1_NS1_11comp_targetILNS1_3genE5ELNS1_11target_archE942ELNS1_3gpuE9ELNS1_3repE0EEENS1_36merge_oddeven_config_static_selectorELNS0_4arch9wavefront6targetE1EEEvSJ_,comdat
.Lfunc_end884:
	.size	_ZN7rocprim17ROCPRIM_400000_NS6detail17trampoline_kernelINS0_14default_configENS1_38merge_sort_block_merge_config_selectorIttEEZZNS1_27merge_sort_block_merge_implIS3_N6thrust23THRUST_200600_302600_NS6detail15normal_iteratorINS8_10device_ptrItEEEESD_jNS1_19radix_merge_compareILb0ELb0EtNS0_19identity_decomposerEEEEE10hipError_tT0_T1_T2_jT3_P12ihipStream_tbPNSt15iterator_traitsISI_E10value_typeEPNSO_ISJ_E10value_typeEPSK_NS1_7vsmem_tEENKUlT_SI_SJ_SK_E_clISD_PtSD_S10_EESH_SX_SI_SJ_SK_EUlSX_E1_NS1_11comp_targetILNS1_3genE5ELNS1_11target_archE942ELNS1_3gpuE9ELNS1_3repE0EEENS1_36merge_oddeven_config_static_selectorELNS0_4arch9wavefront6targetE1EEEvSJ_, .Lfunc_end884-_ZN7rocprim17ROCPRIM_400000_NS6detail17trampoline_kernelINS0_14default_configENS1_38merge_sort_block_merge_config_selectorIttEEZZNS1_27merge_sort_block_merge_implIS3_N6thrust23THRUST_200600_302600_NS6detail15normal_iteratorINS8_10device_ptrItEEEESD_jNS1_19radix_merge_compareILb0ELb0EtNS0_19identity_decomposerEEEEE10hipError_tT0_T1_T2_jT3_P12ihipStream_tbPNSt15iterator_traitsISI_E10value_typeEPNSO_ISJ_E10value_typeEPSK_NS1_7vsmem_tEENKUlT_SI_SJ_SK_E_clISD_PtSD_S10_EESH_SX_SI_SJ_SK_EUlSX_E1_NS1_11comp_targetILNS1_3genE5ELNS1_11target_archE942ELNS1_3gpuE9ELNS1_3repE0EEENS1_36merge_oddeven_config_static_selectorELNS0_4arch9wavefront6targetE1EEEvSJ_
                                        ; -- End function
	.set _ZN7rocprim17ROCPRIM_400000_NS6detail17trampoline_kernelINS0_14default_configENS1_38merge_sort_block_merge_config_selectorIttEEZZNS1_27merge_sort_block_merge_implIS3_N6thrust23THRUST_200600_302600_NS6detail15normal_iteratorINS8_10device_ptrItEEEESD_jNS1_19radix_merge_compareILb0ELb0EtNS0_19identity_decomposerEEEEE10hipError_tT0_T1_T2_jT3_P12ihipStream_tbPNSt15iterator_traitsISI_E10value_typeEPNSO_ISJ_E10value_typeEPSK_NS1_7vsmem_tEENKUlT_SI_SJ_SK_E_clISD_PtSD_S10_EESH_SX_SI_SJ_SK_EUlSX_E1_NS1_11comp_targetILNS1_3genE5ELNS1_11target_archE942ELNS1_3gpuE9ELNS1_3repE0EEENS1_36merge_oddeven_config_static_selectorELNS0_4arch9wavefront6targetE1EEEvSJ_.num_vgpr, 0
	.set _ZN7rocprim17ROCPRIM_400000_NS6detail17trampoline_kernelINS0_14default_configENS1_38merge_sort_block_merge_config_selectorIttEEZZNS1_27merge_sort_block_merge_implIS3_N6thrust23THRUST_200600_302600_NS6detail15normal_iteratorINS8_10device_ptrItEEEESD_jNS1_19radix_merge_compareILb0ELb0EtNS0_19identity_decomposerEEEEE10hipError_tT0_T1_T2_jT3_P12ihipStream_tbPNSt15iterator_traitsISI_E10value_typeEPNSO_ISJ_E10value_typeEPSK_NS1_7vsmem_tEENKUlT_SI_SJ_SK_E_clISD_PtSD_S10_EESH_SX_SI_SJ_SK_EUlSX_E1_NS1_11comp_targetILNS1_3genE5ELNS1_11target_archE942ELNS1_3gpuE9ELNS1_3repE0EEENS1_36merge_oddeven_config_static_selectorELNS0_4arch9wavefront6targetE1EEEvSJ_.num_agpr, 0
	.set _ZN7rocprim17ROCPRIM_400000_NS6detail17trampoline_kernelINS0_14default_configENS1_38merge_sort_block_merge_config_selectorIttEEZZNS1_27merge_sort_block_merge_implIS3_N6thrust23THRUST_200600_302600_NS6detail15normal_iteratorINS8_10device_ptrItEEEESD_jNS1_19radix_merge_compareILb0ELb0EtNS0_19identity_decomposerEEEEE10hipError_tT0_T1_T2_jT3_P12ihipStream_tbPNSt15iterator_traitsISI_E10value_typeEPNSO_ISJ_E10value_typeEPSK_NS1_7vsmem_tEENKUlT_SI_SJ_SK_E_clISD_PtSD_S10_EESH_SX_SI_SJ_SK_EUlSX_E1_NS1_11comp_targetILNS1_3genE5ELNS1_11target_archE942ELNS1_3gpuE9ELNS1_3repE0EEENS1_36merge_oddeven_config_static_selectorELNS0_4arch9wavefront6targetE1EEEvSJ_.numbered_sgpr, 0
	.set _ZN7rocprim17ROCPRIM_400000_NS6detail17trampoline_kernelINS0_14default_configENS1_38merge_sort_block_merge_config_selectorIttEEZZNS1_27merge_sort_block_merge_implIS3_N6thrust23THRUST_200600_302600_NS6detail15normal_iteratorINS8_10device_ptrItEEEESD_jNS1_19radix_merge_compareILb0ELb0EtNS0_19identity_decomposerEEEEE10hipError_tT0_T1_T2_jT3_P12ihipStream_tbPNSt15iterator_traitsISI_E10value_typeEPNSO_ISJ_E10value_typeEPSK_NS1_7vsmem_tEENKUlT_SI_SJ_SK_E_clISD_PtSD_S10_EESH_SX_SI_SJ_SK_EUlSX_E1_NS1_11comp_targetILNS1_3genE5ELNS1_11target_archE942ELNS1_3gpuE9ELNS1_3repE0EEENS1_36merge_oddeven_config_static_selectorELNS0_4arch9wavefront6targetE1EEEvSJ_.num_named_barrier, 0
	.set _ZN7rocprim17ROCPRIM_400000_NS6detail17trampoline_kernelINS0_14default_configENS1_38merge_sort_block_merge_config_selectorIttEEZZNS1_27merge_sort_block_merge_implIS3_N6thrust23THRUST_200600_302600_NS6detail15normal_iteratorINS8_10device_ptrItEEEESD_jNS1_19radix_merge_compareILb0ELb0EtNS0_19identity_decomposerEEEEE10hipError_tT0_T1_T2_jT3_P12ihipStream_tbPNSt15iterator_traitsISI_E10value_typeEPNSO_ISJ_E10value_typeEPSK_NS1_7vsmem_tEENKUlT_SI_SJ_SK_E_clISD_PtSD_S10_EESH_SX_SI_SJ_SK_EUlSX_E1_NS1_11comp_targetILNS1_3genE5ELNS1_11target_archE942ELNS1_3gpuE9ELNS1_3repE0EEENS1_36merge_oddeven_config_static_selectorELNS0_4arch9wavefront6targetE1EEEvSJ_.private_seg_size, 0
	.set _ZN7rocprim17ROCPRIM_400000_NS6detail17trampoline_kernelINS0_14default_configENS1_38merge_sort_block_merge_config_selectorIttEEZZNS1_27merge_sort_block_merge_implIS3_N6thrust23THRUST_200600_302600_NS6detail15normal_iteratorINS8_10device_ptrItEEEESD_jNS1_19radix_merge_compareILb0ELb0EtNS0_19identity_decomposerEEEEE10hipError_tT0_T1_T2_jT3_P12ihipStream_tbPNSt15iterator_traitsISI_E10value_typeEPNSO_ISJ_E10value_typeEPSK_NS1_7vsmem_tEENKUlT_SI_SJ_SK_E_clISD_PtSD_S10_EESH_SX_SI_SJ_SK_EUlSX_E1_NS1_11comp_targetILNS1_3genE5ELNS1_11target_archE942ELNS1_3gpuE9ELNS1_3repE0EEENS1_36merge_oddeven_config_static_selectorELNS0_4arch9wavefront6targetE1EEEvSJ_.uses_vcc, 0
	.set _ZN7rocprim17ROCPRIM_400000_NS6detail17trampoline_kernelINS0_14default_configENS1_38merge_sort_block_merge_config_selectorIttEEZZNS1_27merge_sort_block_merge_implIS3_N6thrust23THRUST_200600_302600_NS6detail15normal_iteratorINS8_10device_ptrItEEEESD_jNS1_19radix_merge_compareILb0ELb0EtNS0_19identity_decomposerEEEEE10hipError_tT0_T1_T2_jT3_P12ihipStream_tbPNSt15iterator_traitsISI_E10value_typeEPNSO_ISJ_E10value_typeEPSK_NS1_7vsmem_tEENKUlT_SI_SJ_SK_E_clISD_PtSD_S10_EESH_SX_SI_SJ_SK_EUlSX_E1_NS1_11comp_targetILNS1_3genE5ELNS1_11target_archE942ELNS1_3gpuE9ELNS1_3repE0EEENS1_36merge_oddeven_config_static_selectorELNS0_4arch9wavefront6targetE1EEEvSJ_.uses_flat_scratch, 0
	.set _ZN7rocprim17ROCPRIM_400000_NS6detail17trampoline_kernelINS0_14default_configENS1_38merge_sort_block_merge_config_selectorIttEEZZNS1_27merge_sort_block_merge_implIS3_N6thrust23THRUST_200600_302600_NS6detail15normal_iteratorINS8_10device_ptrItEEEESD_jNS1_19radix_merge_compareILb0ELb0EtNS0_19identity_decomposerEEEEE10hipError_tT0_T1_T2_jT3_P12ihipStream_tbPNSt15iterator_traitsISI_E10value_typeEPNSO_ISJ_E10value_typeEPSK_NS1_7vsmem_tEENKUlT_SI_SJ_SK_E_clISD_PtSD_S10_EESH_SX_SI_SJ_SK_EUlSX_E1_NS1_11comp_targetILNS1_3genE5ELNS1_11target_archE942ELNS1_3gpuE9ELNS1_3repE0EEENS1_36merge_oddeven_config_static_selectorELNS0_4arch9wavefront6targetE1EEEvSJ_.has_dyn_sized_stack, 0
	.set _ZN7rocprim17ROCPRIM_400000_NS6detail17trampoline_kernelINS0_14default_configENS1_38merge_sort_block_merge_config_selectorIttEEZZNS1_27merge_sort_block_merge_implIS3_N6thrust23THRUST_200600_302600_NS6detail15normal_iteratorINS8_10device_ptrItEEEESD_jNS1_19radix_merge_compareILb0ELb0EtNS0_19identity_decomposerEEEEE10hipError_tT0_T1_T2_jT3_P12ihipStream_tbPNSt15iterator_traitsISI_E10value_typeEPNSO_ISJ_E10value_typeEPSK_NS1_7vsmem_tEENKUlT_SI_SJ_SK_E_clISD_PtSD_S10_EESH_SX_SI_SJ_SK_EUlSX_E1_NS1_11comp_targetILNS1_3genE5ELNS1_11target_archE942ELNS1_3gpuE9ELNS1_3repE0EEENS1_36merge_oddeven_config_static_selectorELNS0_4arch9wavefront6targetE1EEEvSJ_.has_recursion, 0
	.set _ZN7rocprim17ROCPRIM_400000_NS6detail17trampoline_kernelINS0_14default_configENS1_38merge_sort_block_merge_config_selectorIttEEZZNS1_27merge_sort_block_merge_implIS3_N6thrust23THRUST_200600_302600_NS6detail15normal_iteratorINS8_10device_ptrItEEEESD_jNS1_19radix_merge_compareILb0ELb0EtNS0_19identity_decomposerEEEEE10hipError_tT0_T1_T2_jT3_P12ihipStream_tbPNSt15iterator_traitsISI_E10value_typeEPNSO_ISJ_E10value_typeEPSK_NS1_7vsmem_tEENKUlT_SI_SJ_SK_E_clISD_PtSD_S10_EESH_SX_SI_SJ_SK_EUlSX_E1_NS1_11comp_targetILNS1_3genE5ELNS1_11target_archE942ELNS1_3gpuE9ELNS1_3repE0EEENS1_36merge_oddeven_config_static_selectorELNS0_4arch9wavefront6targetE1EEEvSJ_.has_indirect_call, 0
	.section	.AMDGPU.csdata,"",@progbits
; Kernel info:
; codeLenInByte = 0
; TotalNumSgprs: 6
; NumVgprs: 0
; NumAgprs: 0
; TotalNumVgprs: 0
; ScratchSize: 0
; MemoryBound: 0
; FloatMode: 240
; IeeeMode: 1
; LDSByteSize: 0 bytes/workgroup (compile time only)
; SGPRBlocks: 0
; VGPRBlocks: 0
; NumSGPRsForWavesPerEU: 6
; NumVGPRsForWavesPerEU: 1
; AccumOffset: 4
; Occupancy: 8
; WaveLimiterHint : 0
; COMPUTE_PGM_RSRC2:SCRATCH_EN: 0
; COMPUTE_PGM_RSRC2:USER_SGPR: 2
; COMPUTE_PGM_RSRC2:TRAP_HANDLER: 0
; COMPUTE_PGM_RSRC2:TGID_X_EN: 1
; COMPUTE_PGM_RSRC2:TGID_Y_EN: 0
; COMPUTE_PGM_RSRC2:TGID_Z_EN: 0
; COMPUTE_PGM_RSRC2:TIDIG_COMP_CNT: 0
; COMPUTE_PGM_RSRC3_GFX90A:ACCUM_OFFSET: 0
; COMPUTE_PGM_RSRC3_GFX90A:TG_SPLIT: 0
	.section	.text._ZN7rocprim17ROCPRIM_400000_NS6detail17trampoline_kernelINS0_14default_configENS1_38merge_sort_block_merge_config_selectorIttEEZZNS1_27merge_sort_block_merge_implIS3_N6thrust23THRUST_200600_302600_NS6detail15normal_iteratorINS8_10device_ptrItEEEESD_jNS1_19radix_merge_compareILb0ELb0EtNS0_19identity_decomposerEEEEE10hipError_tT0_T1_T2_jT3_P12ihipStream_tbPNSt15iterator_traitsISI_E10value_typeEPNSO_ISJ_E10value_typeEPSK_NS1_7vsmem_tEENKUlT_SI_SJ_SK_E_clISD_PtSD_S10_EESH_SX_SI_SJ_SK_EUlSX_E1_NS1_11comp_targetILNS1_3genE4ELNS1_11target_archE910ELNS1_3gpuE8ELNS1_3repE0EEENS1_36merge_oddeven_config_static_selectorELNS0_4arch9wavefront6targetE1EEEvSJ_,"axG",@progbits,_ZN7rocprim17ROCPRIM_400000_NS6detail17trampoline_kernelINS0_14default_configENS1_38merge_sort_block_merge_config_selectorIttEEZZNS1_27merge_sort_block_merge_implIS3_N6thrust23THRUST_200600_302600_NS6detail15normal_iteratorINS8_10device_ptrItEEEESD_jNS1_19radix_merge_compareILb0ELb0EtNS0_19identity_decomposerEEEEE10hipError_tT0_T1_T2_jT3_P12ihipStream_tbPNSt15iterator_traitsISI_E10value_typeEPNSO_ISJ_E10value_typeEPSK_NS1_7vsmem_tEENKUlT_SI_SJ_SK_E_clISD_PtSD_S10_EESH_SX_SI_SJ_SK_EUlSX_E1_NS1_11comp_targetILNS1_3genE4ELNS1_11target_archE910ELNS1_3gpuE8ELNS1_3repE0EEENS1_36merge_oddeven_config_static_selectorELNS0_4arch9wavefront6targetE1EEEvSJ_,comdat
	.protected	_ZN7rocprim17ROCPRIM_400000_NS6detail17trampoline_kernelINS0_14default_configENS1_38merge_sort_block_merge_config_selectorIttEEZZNS1_27merge_sort_block_merge_implIS3_N6thrust23THRUST_200600_302600_NS6detail15normal_iteratorINS8_10device_ptrItEEEESD_jNS1_19radix_merge_compareILb0ELb0EtNS0_19identity_decomposerEEEEE10hipError_tT0_T1_T2_jT3_P12ihipStream_tbPNSt15iterator_traitsISI_E10value_typeEPNSO_ISJ_E10value_typeEPSK_NS1_7vsmem_tEENKUlT_SI_SJ_SK_E_clISD_PtSD_S10_EESH_SX_SI_SJ_SK_EUlSX_E1_NS1_11comp_targetILNS1_3genE4ELNS1_11target_archE910ELNS1_3gpuE8ELNS1_3repE0EEENS1_36merge_oddeven_config_static_selectorELNS0_4arch9wavefront6targetE1EEEvSJ_ ; -- Begin function _ZN7rocprim17ROCPRIM_400000_NS6detail17trampoline_kernelINS0_14default_configENS1_38merge_sort_block_merge_config_selectorIttEEZZNS1_27merge_sort_block_merge_implIS3_N6thrust23THRUST_200600_302600_NS6detail15normal_iteratorINS8_10device_ptrItEEEESD_jNS1_19radix_merge_compareILb0ELb0EtNS0_19identity_decomposerEEEEE10hipError_tT0_T1_T2_jT3_P12ihipStream_tbPNSt15iterator_traitsISI_E10value_typeEPNSO_ISJ_E10value_typeEPSK_NS1_7vsmem_tEENKUlT_SI_SJ_SK_E_clISD_PtSD_S10_EESH_SX_SI_SJ_SK_EUlSX_E1_NS1_11comp_targetILNS1_3genE4ELNS1_11target_archE910ELNS1_3gpuE8ELNS1_3repE0EEENS1_36merge_oddeven_config_static_selectorELNS0_4arch9wavefront6targetE1EEEvSJ_
	.globl	_ZN7rocprim17ROCPRIM_400000_NS6detail17trampoline_kernelINS0_14default_configENS1_38merge_sort_block_merge_config_selectorIttEEZZNS1_27merge_sort_block_merge_implIS3_N6thrust23THRUST_200600_302600_NS6detail15normal_iteratorINS8_10device_ptrItEEEESD_jNS1_19radix_merge_compareILb0ELb0EtNS0_19identity_decomposerEEEEE10hipError_tT0_T1_T2_jT3_P12ihipStream_tbPNSt15iterator_traitsISI_E10value_typeEPNSO_ISJ_E10value_typeEPSK_NS1_7vsmem_tEENKUlT_SI_SJ_SK_E_clISD_PtSD_S10_EESH_SX_SI_SJ_SK_EUlSX_E1_NS1_11comp_targetILNS1_3genE4ELNS1_11target_archE910ELNS1_3gpuE8ELNS1_3repE0EEENS1_36merge_oddeven_config_static_selectorELNS0_4arch9wavefront6targetE1EEEvSJ_
	.p2align	8
	.type	_ZN7rocprim17ROCPRIM_400000_NS6detail17trampoline_kernelINS0_14default_configENS1_38merge_sort_block_merge_config_selectorIttEEZZNS1_27merge_sort_block_merge_implIS3_N6thrust23THRUST_200600_302600_NS6detail15normal_iteratorINS8_10device_ptrItEEEESD_jNS1_19radix_merge_compareILb0ELb0EtNS0_19identity_decomposerEEEEE10hipError_tT0_T1_T2_jT3_P12ihipStream_tbPNSt15iterator_traitsISI_E10value_typeEPNSO_ISJ_E10value_typeEPSK_NS1_7vsmem_tEENKUlT_SI_SJ_SK_E_clISD_PtSD_S10_EESH_SX_SI_SJ_SK_EUlSX_E1_NS1_11comp_targetILNS1_3genE4ELNS1_11target_archE910ELNS1_3gpuE8ELNS1_3repE0EEENS1_36merge_oddeven_config_static_selectorELNS0_4arch9wavefront6targetE1EEEvSJ_,@function
_ZN7rocprim17ROCPRIM_400000_NS6detail17trampoline_kernelINS0_14default_configENS1_38merge_sort_block_merge_config_selectorIttEEZZNS1_27merge_sort_block_merge_implIS3_N6thrust23THRUST_200600_302600_NS6detail15normal_iteratorINS8_10device_ptrItEEEESD_jNS1_19radix_merge_compareILb0ELb0EtNS0_19identity_decomposerEEEEE10hipError_tT0_T1_T2_jT3_P12ihipStream_tbPNSt15iterator_traitsISI_E10value_typeEPNSO_ISJ_E10value_typeEPSK_NS1_7vsmem_tEENKUlT_SI_SJ_SK_E_clISD_PtSD_S10_EESH_SX_SI_SJ_SK_EUlSX_E1_NS1_11comp_targetILNS1_3genE4ELNS1_11target_archE910ELNS1_3gpuE8ELNS1_3repE0EEENS1_36merge_oddeven_config_static_selectorELNS0_4arch9wavefront6targetE1EEEvSJ_: ; @_ZN7rocprim17ROCPRIM_400000_NS6detail17trampoline_kernelINS0_14default_configENS1_38merge_sort_block_merge_config_selectorIttEEZZNS1_27merge_sort_block_merge_implIS3_N6thrust23THRUST_200600_302600_NS6detail15normal_iteratorINS8_10device_ptrItEEEESD_jNS1_19radix_merge_compareILb0ELb0EtNS0_19identity_decomposerEEEEE10hipError_tT0_T1_T2_jT3_P12ihipStream_tbPNSt15iterator_traitsISI_E10value_typeEPNSO_ISJ_E10value_typeEPSK_NS1_7vsmem_tEENKUlT_SI_SJ_SK_E_clISD_PtSD_S10_EESH_SX_SI_SJ_SK_EUlSX_E1_NS1_11comp_targetILNS1_3genE4ELNS1_11target_archE910ELNS1_3gpuE8ELNS1_3repE0EEENS1_36merge_oddeven_config_static_selectorELNS0_4arch9wavefront6targetE1EEEvSJ_
; %bb.0:
	.section	.rodata,"a",@progbits
	.p2align	6, 0x0
	.amdhsa_kernel _ZN7rocprim17ROCPRIM_400000_NS6detail17trampoline_kernelINS0_14default_configENS1_38merge_sort_block_merge_config_selectorIttEEZZNS1_27merge_sort_block_merge_implIS3_N6thrust23THRUST_200600_302600_NS6detail15normal_iteratorINS8_10device_ptrItEEEESD_jNS1_19radix_merge_compareILb0ELb0EtNS0_19identity_decomposerEEEEE10hipError_tT0_T1_T2_jT3_P12ihipStream_tbPNSt15iterator_traitsISI_E10value_typeEPNSO_ISJ_E10value_typeEPSK_NS1_7vsmem_tEENKUlT_SI_SJ_SK_E_clISD_PtSD_S10_EESH_SX_SI_SJ_SK_EUlSX_E1_NS1_11comp_targetILNS1_3genE4ELNS1_11target_archE910ELNS1_3gpuE8ELNS1_3repE0EEENS1_36merge_oddeven_config_static_selectorELNS0_4arch9wavefront6targetE1EEEvSJ_
		.amdhsa_group_segment_fixed_size 0
		.amdhsa_private_segment_fixed_size 0
		.amdhsa_kernarg_size 48
		.amdhsa_user_sgpr_count 2
		.amdhsa_user_sgpr_dispatch_ptr 0
		.amdhsa_user_sgpr_queue_ptr 0
		.amdhsa_user_sgpr_kernarg_segment_ptr 1
		.amdhsa_user_sgpr_dispatch_id 0
		.amdhsa_user_sgpr_kernarg_preload_length 0
		.amdhsa_user_sgpr_kernarg_preload_offset 0
		.amdhsa_user_sgpr_private_segment_size 0
		.amdhsa_uses_dynamic_stack 0
		.amdhsa_enable_private_segment 0
		.amdhsa_system_sgpr_workgroup_id_x 1
		.amdhsa_system_sgpr_workgroup_id_y 0
		.amdhsa_system_sgpr_workgroup_id_z 0
		.amdhsa_system_sgpr_workgroup_info 0
		.amdhsa_system_vgpr_workitem_id 0
		.amdhsa_next_free_vgpr 1
		.amdhsa_next_free_sgpr 0
		.amdhsa_accum_offset 4
		.amdhsa_reserve_vcc 0
		.amdhsa_float_round_mode_32 0
		.amdhsa_float_round_mode_16_64 0
		.amdhsa_float_denorm_mode_32 3
		.amdhsa_float_denorm_mode_16_64 3
		.amdhsa_dx10_clamp 1
		.amdhsa_ieee_mode 1
		.amdhsa_fp16_overflow 0
		.amdhsa_tg_split 0
		.amdhsa_exception_fp_ieee_invalid_op 0
		.amdhsa_exception_fp_denorm_src 0
		.amdhsa_exception_fp_ieee_div_zero 0
		.amdhsa_exception_fp_ieee_overflow 0
		.amdhsa_exception_fp_ieee_underflow 0
		.amdhsa_exception_fp_ieee_inexact 0
		.amdhsa_exception_int_div_zero 0
	.end_amdhsa_kernel
	.section	.text._ZN7rocprim17ROCPRIM_400000_NS6detail17trampoline_kernelINS0_14default_configENS1_38merge_sort_block_merge_config_selectorIttEEZZNS1_27merge_sort_block_merge_implIS3_N6thrust23THRUST_200600_302600_NS6detail15normal_iteratorINS8_10device_ptrItEEEESD_jNS1_19radix_merge_compareILb0ELb0EtNS0_19identity_decomposerEEEEE10hipError_tT0_T1_T2_jT3_P12ihipStream_tbPNSt15iterator_traitsISI_E10value_typeEPNSO_ISJ_E10value_typeEPSK_NS1_7vsmem_tEENKUlT_SI_SJ_SK_E_clISD_PtSD_S10_EESH_SX_SI_SJ_SK_EUlSX_E1_NS1_11comp_targetILNS1_3genE4ELNS1_11target_archE910ELNS1_3gpuE8ELNS1_3repE0EEENS1_36merge_oddeven_config_static_selectorELNS0_4arch9wavefront6targetE1EEEvSJ_,"axG",@progbits,_ZN7rocprim17ROCPRIM_400000_NS6detail17trampoline_kernelINS0_14default_configENS1_38merge_sort_block_merge_config_selectorIttEEZZNS1_27merge_sort_block_merge_implIS3_N6thrust23THRUST_200600_302600_NS6detail15normal_iteratorINS8_10device_ptrItEEEESD_jNS1_19radix_merge_compareILb0ELb0EtNS0_19identity_decomposerEEEEE10hipError_tT0_T1_T2_jT3_P12ihipStream_tbPNSt15iterator_traitsISI_E10value_typeEPNSO_ISJ_E10value_typeEPSK_NS1_7vsmem_tEENKUlT_SI_SJ_SK_E_clISD_PtSD_S10_EESH_SX_SI_SJ_SK_EUlSX_E1_NS1_11comp_targetILNS1_3genE4ELNS1_11target_archE910ELNS1_3gpuE8ELNS1_3repE0EEENS1_36merge_oddeven_config_static_selectorELNS0_4arch9wavefront6targetE1EEEvSJ_,comdat
.Lfunc_end885:
	.size	_ZN7rocprim17ROCPRIM_400000_NS6detail17trampoline_kernelINS0_14default_configENS1_38merge_sort_block_merge_config_selectorIttEEZZNS1_27merge_sort_block_merge_implIS3_N6thrust23THRUST_200600_302600_NS6detail15normal_iteratorINS8_10device_ptrItEEEESD_jNS1_19radix_merge_compareILb0ELb0EtNS0_19identity_decomposerEEEEE10hipError_tT0_T1_T2_jT3_P12ihipStream_tbPNSt15iterator_traitsISI_E10value_typeEPNSO_ISJ_E10value_typeEPSK_NS1_7vsmem_tEENKUlT_SI_SJ_SK_E_clISD_PtSD_S10_EESH_SX_SI_SJ_SK_EUlSX_E1_NS1_11comp_targetILNS1_3genE4ELNS1_11target_archE910ELNS1_3gpuE8ELNS1_3repE0EEENS1_36merge_oddeven_config_static_selectorELNS0_4arch9wavefront6targetE1EEEvSJ_, .Lfunc_end885-_ZN7rocprim17ROCPRIM_400000_NS6detail17trampoline_kernelINS0_14default_configENS1_38merge_sort_block_merge_config_selectorIttEEZZNS1_27merge_sort_block_merge_implIS3_N6thrust23THRUST_200600_302600_NS6detail15normal_iteratorINS8_10device_ptrItEEEESD_jNS1_19radix_merge_compareILb0ELb0EtNS0_19identity_decomposerEEEEE10hipError_tT0_T1_T2_jT3_P12ihipStream_tbPNSt15iterator_traitsISI_E10value_typeEPNSO_ISJ_E10value_typeEPSK_NS1_7vsmem_tEENKUlT_SI_SJ_SK_E_clISD_PtSD_S10_EESH_SX_SI_SJ_SK_EUlSX_E1_NS1_11comp_targetILNS1_3genE4ELNS1_11target_archE910ELNS1_3gpuE8ELNS1_3repE0EEENS1_36merge_oddeven_config_static_selectorELNS0_4arch9wavefront6targetE1EEEvSJ_
                                        ; -- End function
	.set _ZN7rocprim17ROCPRIM_400000_NS6detail17trampoline_kernelINS0_14default_configENS1_38merge_sort_block_merge_config_selectorIttEEZZNS1_27merge_sort_block_merge_implIS3_N6thrust23THRUST_200600_302600_NS6detail15normal_iteratorINS8_10device_ptrItEEEESD_jNS1_19radix_merge_compareILb0ELb0EtNS0_19identity_decomposerEEEEE10hipError_tT0_T1_T2_jT3_P12ihipStream_tbPNSt15iterator_traitsISI_E10value_typeEPNSO_ISJ_E10value_typeEPSK_NS1_7vsmem_tEENKUlT_SI_SJ_SK_E_clISD_PtSD_S10_EESH_SX_SI_SJ_SK_EUlSX_E1_NS1_11comp_targetILNS1_3genE4ELNS1_11target_archE910ELNS1_3gpuE8ELNS1_3repE0EEENS1_36merge_oddeven_config_static_selectorELNS0_4arch9wavefront6targetE1EEEvSJ_.num_vgpr, 0
	.set _ZN7rocprim17ROCPRIM_400000_NS6detail17trampoline_kernelINS0_14default_configENS1_38merge_sort_block_merge_config_selectorIttEEZZNS1_27merge_sort_block_merge_implIS3_N6thrust23THRUST_200600_302600_NS6detail15normal_iteratorINS8_10device_ptrItEEEESD_jNS1_19radix_merge_compareILb0ELb0EtNS0_19identity_decomposerEEEEE10hipError_tT0_T1_T2_jT3_P12ihipStream_tbPNSt15iterator_traitsISI_E10value_typeEPNSO_ISJ_E10value_typeEPSK_NS1_7vsmem_tEENKUlT_SI_SJ_SK_E_clISD_PtSD_S10_EESH_SX_SI_SJ_SK_EUlSX_E1_NS1_11comp_targetILNS1_3genE4ELNS1_11target_archE910ELNS1_3gpuE8ELNS1_3repE0EEENS1_36merge_oddeven_config_static_selectorELNS0_4arch9wavefront6targetE1EEEvSJ_.num_agpr, 0
	.set _ZN7rocprim17ROCPRIM_400000_NS6detail17trampoline_kernelINS0_14default_configENS1_38merge_sort_block_merge_config_selectorIttEEZZNS1_27merge_sort_block_merge_implIS3_N6thrust23THRUST_200600_302600_NS6detail15normal_iteratorINS8_10device_ptrItEEEESD_jNS1_19radix_merge_compareILb0ELb0EtNS0_19identity_decomposerEEEEE10hipError_tT0_T1_T2_jT3_P12ihipStream_tbPNSt15iterator_traitsISI_E10value_typeEPNSO_ISJ_E10value_typeEPSK_NS1_7vsmem_tEENKUlT_SI_SJ_SK_E_clISD_PtSD_S10_EESH_SX_SI_SJ_SK_EUlSX_E1_NS1_11comp_targetILNS1_3genE4ELNS1_11target_archE910ELNS1_3gpuE8ELNS1_3repE0EEENS1_36merge_oddeven_config_static_selectorELNS0_4arch9wavefront6targetE1EEEvSJ_.numbered_sgpr, 0
	.set _ZN7rocprim17ROCPRIM_400000_NS6detail17trampoline_kernelINS0_14default_configENS1_38merge_sort_block_merge_config_selectorIttEEZZNS1_27merge_sort_block_merge_implIS3_N6thrust23THRUST_200600_302600_NS6detail15normal_iteratorINS8_10device_ptrItEEEESD_jNS1_19radix_merge_compareILb0ELb0EtNS0_19identity_decomposerEEEEE10hipError_tT0_T1_T2_jT3_P12ihipStream_tbPNSt15iterator_traitsISI_E10value_typeEPNSO_ISJ_E10value_typeEPSK_NS1_7vsmem_tEENKUlT_SI_SJ_SK_E_clISD_PtSD_S10_EESH_SX_SI_SJ_SK_EUlSX_E1_NS1_11comp_targetILNS1_3genE4ELNS1_11target_archE910ELNS1_3gpuE8ELNS1_3repE0EEENS1_36merge_oddeven_config_static_selectorELNS0_4arch9wavefront6targetE1EEEvSJ_.num_named_barrier, 0
	.set _ZN7rocprim17ROCPRIM_400000_NS6detail17trampoline_kernelINS0_14default_configENS1_38merge_sort_block_merge_config_selectorIttEEZZNS1_27merge_sort_block_merge_implIS3_N6thrust23THRUST_200600_302600_NS6detail15normal_iteratorINS8_10device_ptrItEEEESD_jNS1_19radix_merge_compareILb0ELb0EtNS0_19identity_decomposerEEEEE10hipError_tT0_T1_T2_jT3_P12ihipStream_tbPNSt15iterator_traitsISI_E10value_typeEPNSO_ISJ_E10value_typeEPSK_NS1_7vsmem_tEENKUlT_SI_SJ_SK_E_clISD_PtSD_S10_EESH_SX_SI_SJ_SK_EUlSX_E1_NS1_11comp_targetILNS1_3genE4ELNS1_11target_archE910ELNS1_3gpuE8ELNS1_3repE0EEENS1_36merge_oddeven_config_static_selectorELNS0_4arch9wavefront6targetE1EEEvSJ_.private_seg_size, 0
	.set _ZN7rocprim17ROCPRIM_400000_NS6detail17trampoline_kernelINS0_14default_configENS1_38merge_sort_block_merge_config_selectorIttEEZZNS1_27merge_sort_block_merge_implIS3_N6thrust23THRUST_200600_302600_NS6detail15normal_iteratorINS8_10device_ptrItEEEESD_jNS1_19radix_merge_compareILb0ELb0EtNS0_19identity_decomposerEEEEE10hipError_tT0_T1_T2_jT3_P12ihipStream_tbPNSt15iterator_traitsISI_E10value_typeEPNSO_ISJ_E10value_typeEPSK_NS1_7vsmem_tEENKUlT_SI_SJ_SK_E_clISD_PtSD_S10_EESH_SX_SI_SJ_SK_EUlSX_E1_NS1_11comp_targetILNS1_3genE4ELNS1_11target_archE910ELNS1_3gpuE8ELNS1_3repE0EEENS1_36merge_oddeven_config_static_selectorELNS0_4arch9wavefront6targetE1EEEvSJ_.uses_vcc, 0
	.set _ZN7rocprim17ROCPRIM_400000_NS6detail17trampoline_kernelINS0_14default_configENS1_38merge_sort_block_merge_config_selectorIttEEZZNS1_27merge_sort_block_merge_implIS3_N6thrust23THRUST_200600_302600_NS6detail15normal_iteratorINS8_10device_ptrItEEEESD_jNS1_19radix_merge_compareILb0ELb0EtNS0_19identity_decomposerEEEEE10hipError_tT0_T1_T2_jT3_P12ihipStream_tbPNSt15iterator_traitsISI_E10value_typeEPNSO_ISJ_E10value_typeEPSK_NS1_7vsmem_tEENKUlT_SI_SJ_SK_E_clISD_PtSD_S10_EESH_SX_SI_SJ_SK_EUlSX_E1_NS1_11comp_targetILNS1_3genE4ELNS1_11target_archE910ELNS1_3gpuE8ELNS1_3repE0EEENS1_36merge_oddeven_config_static_selectorELNS0_4arch9wavefront6targetE1EEEvSJ_.uses_flat_scratch, 0
	.set _ZN7rocprim17ROCPRIM_400000_NS6detail17trampoline_kernelINS0_14default_configENS1_38merge_sort_block_merge_config_selectorIttEEZZNS1_27merge_sort_block_merge_implIS3_N6thrust23THRUST_200600_302600_NS6detail15normal_iteratorINS8_10device_ptrItEEEESD_jNS1_19radix_merge_compareILb0ELb0EtNS0_19identity_decomposerEEEEE10hipError_tT0_T1_T2_jT3_P12ihipStream_tbPNSt15iterator_traitsISI_E10value_typeEPNSO_ISJ_E10value_typeEPSK_NS1_7vsmem_tEENKUlT_SI_SJ_SK_E_clISD_PtSD_S10_EESH_SX_SI_SJ_SK_EUlSX_E1_NS1_11comp_targetILNS1_3genE4ELNS1_11target_archE910ELNS1_3gpuE8ELNS1_3repE0EEENS1_36merge_oddeven_config_static_selectorELNS0_4arch9wavefront6targetE1EEEvSJ_.has_dyn_sized_stack, 0
	.set _ZN7rocprim17ROCPRIM_400000_NS6detail17trampoline_kernelINS0_14default_configENS1_38merge_sort_block_merge_config_selectorIttEEZZNS1_27merge_sort_block_merge_implIS3_N6thrust23THRUST_200600_302600_NS6detail15normal_iteratorINS8_10device_ptrItEEEESD_jNS1_19radix_merge_compareILb0ELb0EtNS0_19identity_decomposerEEEEE10hipError_tT0_T1_T2_jT3_P12ihipStream_tbPNSt15iterator_traitsISI_E10value_typeEPNSO_ISJ_E10value_typeEPSK_NS1_7vsmem_tEENKUlT_SI_SJ_SK_E_clISD_PtSD_S10_EESH_SX_SI_SJ_SK_EUlSX_E1_NS1_11comp_targetILNS1_3genE4ELNS1_11target_archE910ELNS1_3gpuE8ELNS1_3repE0EEENS1_36merge_oddeven_config_static_selectorELNS0_4arch9wavefront6targetE1EEEvSJ_.has_recursion, 0
	.set _ZN7rocprim17ROCPRIM_400000_NS6detail17trampoline_kernelINS0_14default_configENS1_38merge_sort_block_merge_config_selectorIttEEZZNS1_27merge_sort_block_merge_implIS3_N6thrust23THRUST_200600_302600_NS6detail15normal_iteratorINS8_10device_ptrItEEEESD_jNS1_19radix_merge_compareILb0ELb0EtNS0_19identity_decomposerEEEEE10hipError_tT0_T1_T2_jT3_P12ihipStream_tbPNSt15iterator_traitsISI_E10value_typeEPNSO_ISJ_E10value_typeEPSK_NS1_7vsmem_tEENKUlT_SI_SJ_SK_E_clISD_PtSD_S10_EESH_SX_SI_SJ_SK_EUlSX_E1_NS1_11comp_targetILNS1_3genE4ELNS1_11target_archE910ELNS1_3gpuE8ELNS1_3repE0EEENS1_36merge_oddeven_config_static_selectorELNS0_4arch9wavefront6targetE1EEEvSJ_.has_indirect_call, 0
	.section	.AMDGPU.csdata,"",@progbits
; Kernel info:
; codeLenInByte = 0
; TotalNumSgprs: 6
; NumVgprs: 0
; NumAgprs: 0
; TotalNumVgprs: 0
; ScratchSize: 0
; MemoryBound: 0
; FloatMode: 240
; IeeeMode: 1
; LDSByteSize: 0 bytes/workgroup (compile time only)
; SGPRBlocks: 0
; VGPRBlocks: 0
; NumSGPRsForWavesPerEU: 6
; NumVGPRsForWavesPerEU: 1
; AccumOffset: 4
; Occupancy: 8
; WaveLimiterHint : 0
; COMPUTE_PGM_RSRC2:SCRATCH_EN: 0
; COMPUTE_PGM_RSRC2:USER_SGPR: 2
; COMPUTE_PGM_RSRC2:TRAP_HANDLER: 0
; COMPUTE_PGM_RSRC2:TGID_X_EN: 1
; COMPUTE_PGM_RSRC2:TGID_Y_EN: 0
; COMPUTE_PGM_RSRC2:TGID_Z_EN: 0
; COMPUTE_PGM_RSRC2:TIDIG_COMP_CNT: 0
; COMPUTE_PGM_RSRC3_GFX90A:ACCUM_OFFSET: 0
; COMPUTE_PGM_RSRC3_GFX90A:TG_SPLIT: 0
	.section	.text._ZN7rocprim17ROCPRIM_400000_NS6detail17trampoline_kernelINS0_14default_configENS1_38merge_sort_block_merge_config_selectorIttEEZZNS1_27merge_sort_block_merge_implIS3_N6thrust23THRUST_200600_302600_NS6detail15normal_iteratorINS8_10device_ptrItEEEESD_jNS1_19radix_merge_compareILb0ELb0EtNS0_19identity_decomposerEEEEE10hipError_tT0_T1_T2_jT3_P12ihipStream_tbPNSt15iterator_traitsISI_E10value_typeEPNSO_ISJ_E10value_typeEPSK_NS1_7vsmem_tEENKUlT_SI_SJ_SK_E_clISD_PtSD_S10_EESH_SX_SI_SJ_SK_EUlSX_E1_NS1_11comp_targetILNS1_3genE3ELNS1_11target_archE908ELNS1_3gpuE7ELNS1_3repE0EEENS1_36merge_oddeven_config_static_selectorELNS0_4arch9wavefront6targetE1EEEvSJ_,"axG",@progbits,_ZN7rocprim17ROCPRIM_400000_NS6detail17trampoline_kernelINS0_14default_configENS1_38merge_sort_block_merge_config_selectorIttEEZZNS1_27merge_sort_block_merge_implIS3_N6thrust23THRUST_200600_302600_NS6detail15normal_iteratorINS8_10device_ptrItEEEESD_jNS1_19radix_merge_compareILb0ELb0EtNS0_19identity_decomposerEEEEE10hipError_tT0_T1_T2_jT3_P12ihipStream_tbPNSt15iterator_traitsISI_E10value_typeEPNSO_ISJ_E10value_typeEPSK_NS1_7vsmem_tEENKUlT_SI_SJ_SK_E_clISD_PtSD_S10_EESH_SX_SI_SJ_SK_EUlSX_E1_NS1_11comp_targetILNS1_3genE3ELNS1_11target_archE908ELNS1_3gpuE7ELNS1_3repE0EEENS1_36merge_oddeven_config_static_selectorELNS0_4arch9wavefront6targetE1EEEvSJ_,comdat
	.protected	_ZN7rocprim17ROCPRIM_400000_NS6detail17trampoline_kernelINS0_14default_configENS1_38merge_sort_block_merge_config_selectorIttEEZZNS1_27merge_sort_block_merge_implIS3_N6thrust23THRUST_200600_302600_NS6detail15normal_iteratorINS8_10device_ptrItEEEESD_jNS1_19radix_merge_compareILb0ELb0EtNS0_19identity_decomposerEEEEE10hipError_tT0_T1_T2_jT3_P12ihipStream_tbPNSt15iterator_traitsISI_E10value_typeEPNSO_ISJ_E10value_typeEPSK_NS1_7vsmem_tEENKUlT_SI_SJ_SK_E_clISD_PtSD_S10_EESH_SX_SI_SJ_SK_EUlSX_E1_NS1_11comp_targetILNS1_3genE3ELNS1_11target_archE908ELNS1_3gpuE7ELNS1_3repE0EEENS1_36merge_oddeven_config_static_selectorELNS0_4arch9wavefront6targetE1EEEvSJ_ ; -- Begin function _ZN7rocprim17ROCPRIM_400000_NS6detail17trampoline_kernelINS0_14default_configENS1_38merge_sort_block_merge_config_selectorIttEEZZNS1_27merge_sort_block_merge_implIS3_N6thrust23THRUST_200600_302600_NS6detail15normal_iteratorINS8_10device_ptrItEEEESD_jNS1_19radix_merge_compareILb0ELb0EtNS0_19identity_decomposerEEEEE10hipError_tT0_T1_T2_jT3_P12ihipStream_tbPNSt15iterator_traitsISI_E10value_typeEPNSO_ISJ_E10value_typeEPSK_NS1_7vsmem_tEENKUlT_SI_SJ_SK_E_clISD_PtSD_S10_EESH_SX_SI_SJ_SK_EUlSX_E1_NS1_11comp_targetILNS1_3genE3ELNS1_11target_archE908ELNS1_3gpuE7ELNS1_3repE0EEENS1_36merge_oddeven_config_static_selectorELNS0_4arch9wavefront6targetE1EEEvSJ_
	.globl	_ZN7rocprim17ROCPRIM_400000_NS6detail17trampoline_kernelINS0_14default_configENS1_38merge_sort_block_merge_config_selectorIttEEZZNS1_27merge_sort_block_merge_implIS3_N6thrust23THRUST_200600_302600_NS6detail15normal_iteratorINS8_10device_ptrItEEEESD_jNS1_19radix_merge_compareILb0ELb0EtNS0_19identity_decomposerEEEEE10hipError_tT0_T1_T2_jT3_P12ihipStream_tbPNSt15iterator_traitsISI_E10value_typeEPNSO_ISJ_E10value_typeEPSK_NS1_7vsmem_tEENKUlT_SI_SJ_SK_E_clISD_PtSD_S10_EESH_SX_SI_SJ_SK_EUlSX_E1_NS1_11comp_targetILNS1_3genE3ELNS1_11target_archE908ELNS1_3gpuE7ELNS1_3repE0EEENS1_36merge_oddeven_config_static_selectorELNS0_4arch9wavefront6targetE1EEEvSJ_
	.p2align	8
	.type	_ZN7rocprim17ROCPRIM_400000_NS6detail17trampoline_kernelINS0_14default_configENS1_38merge_sort_block_merge_config_selectorIttEEZZNS1_27merge_sort_block_merge_implIS3_N6thrust23THRUST_200600_302600_NS6detail15normal_iteratorINS8_10device_ptrItEEEESD_jNS1_19radix_merge_compareILb0ELb0EtNS0_19identity_decomposerEEEEE10hipError_tT0_T1_T2_jT3_P12ihipStream_tbPNSt15iterator_traitsISI_E10value_typeEPNSO_ISJ_E10value_typeEPSK_NS1_7vsmem_tEENKUlT_SI_SJ_SK_E_clISD_PtSD_S10_EESH_SX_SI_SJ_SK_EUlSX_E1_NS1_11comp_targetILNS1_3genE3ELNS1_11target_archE908ELNS1_3gpuE7ELNS1_3repE0EEENS1_36merge_oddeven_config_static_selectorELNS0_4arch9wavefront6targetE1EEEvSJ_,@function
_ZN7rocprim17ROCPRIM_400000_NS6detail17trampoline_kernelINS0_14default_configENS1_38merge_sort_block_merge_config_selectorIttEEZZNS1_27merge_sort_block_merge_implIS3_N6thrust23THRUST_200600_302600_NS6detail15normal_iteratorINS8_10device_ptrItEEEESD_jNS1_19radix_merge_compareILb0ELb0EtNS0_19identity_decomposerEEEEE10hipError_tT0_T1_T2_jT3_P12ihipStream_tbPNSt15iterator_traitsISI_E10value_typeEPNSO_ISJ_E10value_typeEPSK_NS1_7vsmem_tEENKUlT_SI_SJ_SK_E_clISD_PtSD_S10_EESH_SX_SI_SJ_SK_EUlSX_E1_NS1_11comp_targetILNS1_3genE3ELNS1_11target_archE908ELNS1_3gpuE7ELNS1_3repE0EEENS1_36merge_oddeven_config_static_selectorELNS0_4arch9wavefront6targetE1EEEvSJ_: ; @_ZN7rocprim17ROCPRIM_400000_NS6detail17trampoline_kernelINS0_14default_configENS1_38merge_sort_block_merge_config_selectorIttEEZZNS1_27merge_sort_block_merge_implIS3_N6thrust23THRUST_200600_302600_NS6detail15normal_iteratorINS8_10device_ptrItEEEESD_jNS1_19radix_merge_compareILb0ELb0EtNS0_19identity_decomposerEEEEE10hipError_tT0_T1_T2_jT3_P12ihipStream_tbPNSt15iterator_traitsISI_E10value_typeEPNSO_ISJ_E10value_typeEPSK_NS1_7vsmem_tEENKUlT_SI_SJ_SK_E_clISD_PtSD_S10_EESH_SX_SI_SJ_SK_EUlSX_E1_NS1_11comp_targetILNS1_3genE3ELNS1_11target_archE908ELNS1_3gpuE7ELNS1_3repE0EEENS1_36merge_oddeven_config_static_selectorELNS0_4arch9wavefront6targetE1EEEvSJ_
; %bb.0:
	.section	.rodata,"a",@progbits
	.p2align	6, 0x0
	.amdhsa_kernel _ZN7rocprim17ROCPRIM_400000_NS6detail17trampoline_kernelINS0_14default_configENS1_38merge_sort_block_merge_config_selectorIttEEZZNS1_27merge_sort_block_merge_implIS3_N6thrust23THRUST_200600_302600_NS6detail15normal_iteratorINS8_10device_ptrItEEEESD_jNS1_19radix_merge_compareILb0ELb0EtNS0_19identity_decomposerEEEEE10hipError_tT0_T1_T2_jT3_P12ihipStream_tbPNSt15iterator_traitsISI_E10value_typeEPNSO_ISJ_E10value_typeEPSK_NS1_7vsmem_tEENKUlT_SI_SJ_SK_E_clISD_PtSD_S10_EESH_SX_SI_SJ_SK_EUlSX_E1_NS1_11comp_targetILNS1_3genE3ELNS1_11target_archE908ELNS1_3gpuE7ELNS1_3repE0EEENS1_36merge_oddeven_config_static_selectorELNS0_4arch9wavefront6targetE1EEEvSJ_
		.amdhsa_group_segment_fixed_size 0
		.amdhsa_private_segment_fixed_size 0
		.amdhsa_kernarg_size 48
		.amdhsa_user_sgpr_count 2
		.amdhsa_user_sgpr_dispatch_ptr 0
		.amdhsa_user_sgpr_queue_ptr 0
		.amdhsa_user_sgpr_kernarg_segment_ptr 1
		.amdhsa_user_sgpr_dispatch_id 0
		.amdhsa_user_sgpr_kernarg_preload_length 0
		.amdhsa_user_sgpr_kernarg_preload_offset 0
		.amdhsa_user_sgpr_private_segment_size 0
		.amdhsa_uses_dynamic_stack 0
		.amdhsa_enable_private_segment 0
		.amdhsa_system_sgpr_workgroup_id_x 1
		.amdhsa_system_sgpr_workgroup_id_y 0
		.amdhsa_system_sgpr_workgroup_id_z 0
		.amdhsa_system_sgpr_workgroup_info 0
		.amdhsa_system_vgpr_workitem_id 0
		.amdhsa_next_free_vgpr 1
		.amdhsa_next_free_sgpr 0
		.amdhsa_accum_offset 4
		.amdhsa_reserve_vcc 0
		.amdhsa_float_round_mode_32 0
		.amdhsa_float_round_mode_16_64 0
		.amdhsa_float_denorm_mode_32 3
		.amdhsa_float_denorm_mode_16_64 3
		.amdhsa_dx10_clamp 1
		.amdhsa_ieee_mode 1
		.amdhsa_fp16_overflow 0
		.amdhsa_tg_split 0
		.amdhsa_exception_fp_ieee_invalid_op 0
		.amdhsa_exception_fp_denorm_src 0
		.amdhsa_exception_fp_ieee_div_zero 0
		.amdhsa_exception_fp_ieee_overflow 0
		.amdhsa_exception_fp_ieee_underflow 0
		.amdhsa_exception_fp_ieee_inexact 0
		.amdhsa_exception_int_div_zero 0
	.end_amdhsa_kernel
	.section	.text._ZN7rocprim17ROCPRIM_400000_NS6detail17trampoline_kernelINS0_14default_configENS1_38merge_sort_block_merge_config_selectorIttEEZZNS1_27merge_sort_block_merge_implIS3_N6thrust23THRUST_200600_302600_NS6detail15normal_iteratorINS8_10device_ptrItEEEESD_jNS1_19radix_merge_compareILb0ELb0EtNS0_19identity_decomposerEEEEE10hipError_tT0_T1_T2_jT3_P12ihipStream_tbPNSt15iterator_traitsISI_E10value_typeEPNSO_ISJ_E10value_typeEPSK_NS1_7vsmem_tEENKUlT_SI_SJ_SK_E_clISD_PtSD_S10_EESH_SX_SI_SJ_SK_EUlSX_E1_NS1_11comp_targetILNS1_3genE3ELNS1_11target_archE908ELNS1_3gpuE7ELNS1_3repE0EEENS1_36merge_oddeven_config_static_selectorELNS0_4arch9wavefront6targetE1EEEvSJ_,"axG",@progbits,_ZN7rocprim17ROCPRIM_400000_NS6detail17trampoline_kernelINS0_14default_configENS1_38merge_sort_block_merge_config_selectorIttEEZZNS1_27merge_sort_block_merge_implIS3_N6thrust23THRUST_200600_302600_NS6detail15normal_iteratorINS8_10device_ptrItEEEESD_jNS1_19radix_merge_compareILb0ELb0EtNS0_19identity_decomposerEEEEE10hipError_tT0_T1_T2_jT3_P12ihipStream_tbPNSt15iterator_traitsISI_E10value_typeEPNSO_ISJ_E10value_typeEPSK_NS1_7vsmem_tEENKUlT_SI_SJ_SK_E_clISD_PtSD_S10_EESH_SX_SI_SJ_SK_EUlSX_E1_NS1_11comp_targetILNS1_3genE3ELNS1_11target_archE908ELNS1_3gpuE7ELNS1_3repE0EEENS1_36merge_oddeven_config_static_selectorELNS0_4arch9wavefront6targetE1EEEvSJ_,comdat
.Lfunc_end886:
	.size	_ZN7rocprim17ROCPRIM_400000_NS6detail17trampoline_kernelINS0_14default_configENS1_38merge_sort_block_merge_config_selectorIttEEZZNS1_27merge_sort_block_merge_implIS3_N6thrust23THRUST_200600_302600_NS6detail15normal_iteratorINS8_10device_ptrItEEEESD_jNS1_19radix_merge_compareILb0ELb0EtNS0_19identity_decomposerEEEEE10hipError_tT0_T1_T2_jT3_P12ihipStream_tbPNSt15iterator_traitsISI_E10value_typeEPNSO_ISJ_E10value_typeEPSK_NS1_7vsmem_tEENKUlT_SI_SJ_SK_E_clISD_PtSD_S10_EESH_SX_SI_SJ_SK_EUlSX_E1_NS1_11comp_targetILNS1_3genE3ELNS1_11target_archE908ELNS1_3gpuE7ELNS1_3repE0EEENS1_36merge_oddeven_config_static_selectorELNS0_4arch9wavefront6targetE1EEEvSJ_, .Lfunc_end886-_ZN7rocprim17ROCPRIM_400000_NS6detail17trampoline_kernelINS0_14default_configENS1_38merge_sort_block_merge_config_selectorIttEEZZNS1_27merge_sort_block_merge_implIS3_N6thrust23THRUST_200600_302600_NS6detail15normal_iteratorINS8_10device_ptrItEEEESD_jNS1_19radix_merge_compareILb0ELb0EtNS0_19identity_decomposerEEEEE10hipError_tT0_T1_T2_jT3_P12ihipStream_tbPNSt15iterator_traitsISI_E10value_typeEPNSO_ISJ_E10value_typeEPSK_NS1_7vsmem_tEENKUlT_SI_SJ_SK_E_clISD_PtSD_S10_EESH_SX_SI_SJ_SK_EUlSX_E1_NS1_11comp_targetILNS1_3genE3ELNS1_11target_archE908ELNS1_3gpuE7ELNS1_3repE0EEENS1_36merge_oddeven_config_static_selectorELNS0_4arch9wavefront6targetE1EEEvSJ_
                                        ; -- End function
	.set _ZN7rocprim17ROCPRIM_400000_NS6detail17trampoline_kernelINS0_14default_configENS1_38merge_sort_block_merge_config_selectorIttEEZZNS1_27merge_sort_block_merge_implIS3_N6thrust23THRUST_200600_302600_NS6detail15normal_iteratorINS8_10device_ptrItEEEESD_jNS1_19radix_merge_compareILb0ELb0EtNS0_19identity_decomposerEEEEE10hipError_tT0_T1_T2_jT3_P12ihipStream_tbPNSt15iterator_traitsISI_E10value_typeEPNSO_ISJ_E10value_typeEPSK_NS1_7vsmem_tEENKUlT_SI_SJ_SK_E_clISD_PtSD_S10_EESH_SX_SI_SJ_SK_EUlSX_E1_NS1_11comp_targetILNS1_3genE3ELNS1_11target_archE908ELNS1_3gpuE7ELNS1_3repE0EEENS1_36merge_oddeven_config_static_selectorELNS0_4arch9wavefront6targetE1EEEvSJ_.num_vgpr, 0
	.set _ZN7rocprim17ROCPRIM_400000_NS6detail17trampoline_kernelINS0_14default_configENS1_38merge_sort_block_merge_config_selectorIttEEZZNS1_27merge_sort_block_merge_implIS3_N6thrust23THRUST_200600_302600_NS6detail15normal_iteratorINS8_10device_ptrItEEEESD_jNS1_19radix_merge_compareILb0ELb0EtNS0_19identity_decomposerEEEEE10hipError_tT0_T1_T2_jT3_P12ihipStream_tbPNSt15iterator_traitsISI_E10value_typeEPNSO_ISJ_E10value_typeEPSK_NS1_7vsmem_tEENKUlT_SI_SJ_SK_E_clISD_PtSD_S10_EESH_SX_SI_SJ_SK_EUlSX_E1_NS1_11comp_targetILNS1_3genE3ELNS1_11target_archE908ELNS1_3gpuE7ELNS1_3repE0EEENS1_36merge_oddeven_config_static_selectorELNS0_4arch9wavefront6targetE1EEEvSJ_.num_agpr, 0
	.set _ZN7rocprim17ROCPRIM_400000_NS6detail17trampoline_kernelINS0_14default_configENS1_38merge_sort_block_merge_config_selectorIttEEZZNS1_27merge_sort_block_merge_implIS3_N6thrust23THRUST_200600_302600_NS6detail15normal_iteratorINS8_10device_ptrItEEEESD_jNS1_19radix_merge_compareILb0ELb0EtNS0_19identity_decomposerEEEEE10hipError_tT0_T1_T2_jT3_P12ihipStream_tbPNSt15iterator_traitsISI_E10value_typeEPNSO_ISJ_E10value_typeEPSK_NS1_7vsmem_tEENKUlT_SI_SJ_SK_E_clISD_PtSD_S10_EESH_SX_SI_SJ_SK_EUlSX_E1_NS1_11comp_targetILNS1_3genE3ELNS1_11target_archE908ELNS1_3gpuE7ELNS1_3repE0EEENS1_36merge_oddeven_config_static_selectorELNS0_4arch9wavefront6targetE1EEEvSJ_.numbered_sgpr, 0
	.set _ZN7rocprim17ROCPRIM_400000_NS6detail17trampoline_kernelINS0_14default_configENS1_38merge_sort_block_merge_config_selectorIttEEZZNS1_27merge_sort_block_merge_implIS3_N6thrust23THRUST_200600_302600_NS6detail15normal_iteratorINS8_10device_ptrItEEEESD_jNS1_19radix_merge_compareILb0ELb0EtNS0_19identity_decomposerEEEEE10hipError_tT0_T1_T2_jT3_P12ihipStream_tbPNSt15iterator_traitsISI_E10value_typeEPNSO_ISJ_E10value_typeEPSK_NS1_7vsmem_tEENKUlT_SI_SJ_SK_E_clISD_PtSD_S10_EESH_SX_SI_SJ_SK_EUlSX_E1_NS1_11comp_targetILNS1_3genE3ELNS1_11target_archE908ELNS1_3gpuE7ELNS1_3repE0EEENS1_36merge_oddeven_config_static_selectorELNS0_4arch9wavefront6targetE1EEEvSJ_.num_named_barrier, 0
	.set _ZN7rocprim17ROCPRIM_400000_NS6detail17trampoline_kernelINS0_14default_configENS1_38merge_sort_block_merge_config_selectorIttEEZZNS1_27merge_sort_block_merge_implIS3_N6thrust23THRUST_200600_302600_NS6detail15normal_iteratorINS8_10device_ptrItEEEESD_jNS1_19radix_merge_compareILb0ELb0EtNS0_19identity_decomposerEEEEE10hipError_tT0_T1_T2_jT3_P12ihipStream_tbPNSt15iterator_traitsISI_E10value_typeEPNSO_ISJ_E10value_typeEPSK_NS1_7vsmem_tEENKUlT_SI_SJ_SK_E_clISD_PtSD_S10_EESH_SX_SI_SJ_SK_EUlSX_E1_NS1_11comp_targetILNS1_3genE3ELNS1_11target_archE908ELNS1_3gpuE7ELNS1_3repE0EEENS1_36merge_oddeven_config_static_selectorELNS0_4arch9wavefront6targetE1EEEvSJ_.private_seg_size, 0
	.set _ZN7rocprim17ROCPRIM_400000_NS6detail17trampoline_kernelINS0_14default_configENS1_38merge_sort_block_merge_config_selectorIttEEZZNS1_27merge_sort_block_merge_implIS3_N6thrust23THRUST_200600_302600_NS6detail15normal_iteratorINS8_10device_ptrItEEEESD_jNS1_19radix_merge_compareILb0ELb0EtNS0_19identity_decomposerEEEEE10hipError_tT0_T1_T2_jT3_P12ihipStream_tbPNSt15iterator_traitsISI_E10value_typeEPNSO_ISJ_E10value_typeEPSK_NS1_7vsmem_tEENKUlT_SI_SJ_SK_E_clISD_PtSD_S10_EESH_SX_SI_SJ_SK_EUlSX_E1_NS1_11comp_targetILNS1_3genE3ELNS1_11target_archE908ELNS1_3gpuE7ELNS1_3repE0EEENS1_36merge_oddeven_config_static_selectorELNS0_4arch9wavefront6targetE1EEEvSJ_.uses_vcc, 0
	.set _ZN7rocprim17ROCPRIM_400000_NS6detail17trampoline_kernelINS0_14default_configENS1_38merge_sort_block_merge_config_selectorIttEEZZNS1_27merge_sort_block_merge_implIS3_N6thrust23THRUST_200600_302600_NS6detail15normal_iteratorINS8_10device_ptrItEEEESD_jNS1_19radix_merge_compareILb0ELb0EtNS0_19identity_decomposerEEEEE10hipError_tT0_T1_T2_jT3_P12ihipStream_tbPNSt15iterator_traitsISI_E10value_typeEPNSO_ISJ_E10value_typeEPSK_NS1_7vsmem_tEENKUlT_SI_SJ_SK_E_clISD_PtSD_S10_EESH_SX_SI_SJ_SK_EUlSX_E1_NS1_11comp_targetILNS1_3genE3ELNS1_11target_archE908ELNS1_3gpuE7ELNS1_3repE0EEENS1_36merge_oddeven_config_static_selectorELNS0_4arch9wavefront6targetE1EEEvSJ_.uses_flat_scratch, 0
	.set _ZN7rocprim17ROCPRIM_400000_NS6detail17trampoline_kernelINS0_14default_configENS1_38merge_sort_block_merge_config_selectorIttEEZZNS1_27merge_sort_block_merge_implIS3_N6thrust23THRUST_200600_302600_NS6detail15normal_iteratorINS8_10device_ptrItEEEESD_jNS1_19radix_merge_compareILb0ELb0EtNS0_19identity_decomposerEEEEE10hipError_tT0_T1_T2_jT3_P12ihipStream_tbPNSt15iterator_traitsISI_E10value_typeEPNSO_ISJ_E10value_typeEPSK_NS1_7vsmem_tEENKUlT_SI_SJ_SK_E_clISD_PtSD_S10_EESH_SX_SI_SJ_SK_EUlSX_E1_NS1_11comp_targetILNS1_3genE3ELNS1_11target_archE908ELNS1_3gpuE7ELNS1_3repE0EEENS1_36merge_oddeven_config_static_selectorELNS0_4arch9wavefront6targetE1EEEvSJ_.has_dyn_sized_stack, 0
	.set _ZN7rocprim17ROCPRIM_400000_NS6detail17trampoline_kernelINS0_14default_configENS1_38merge_sort_block_merge_config_selectorIttEEZZNS1_27merge_sort_block_merge_implIS3_N6thrust23THRUST_200600_302600_NS6detail15normal_iteratorINS8_10device_ptrItEEEESD_jNS1_19radix_merge_compareILb0ELb0EtNS0_19identity_decomposerEEEEE10hipError_tT0_T1_T2_jT3_P12ihipStream_tbPNSt15iterator_traitsISI_E10value_typeEPNSO_ISJ_E10value_typeEPSK_NS1_7vsmem_tEENKUlT_SI_SJ_SK_E_clISD_PtSD_S10_EESH_SX_SI_SJ_SK_EUlSX_E1_NS1_11comp_targetILNS1_3genE3ELNS1_11target_archE908ELNS1_3gpuE7ELNS1_3repE0EEENS1_36merge_oddeven_config_static_selectorELNS0_4arch9wavefront6targetE1EEEvSJ_.has_recursion, 0
	.set _ZN7rocprim17ROCPRIM_400000_NS6detail17trampoline_kernelINS0_14default_configENS1_38merge_sort_block_merge_config_selectorIttEEZZNS1_27merge_sort_block_merge_implIS3_N6thrust23THRUST_200600_302600_NS6detail15normal_iteratorINS8_10device_ptrItEEEESD_jNS1_19radix_merge_compareILb0ELb0EtNS0_19identity_decomposerEEEEE10hipError_tT0_T1_T2_jT3_P12ihipStream_tbPNSt15iterator_traitsISI_E10value_typeEPNSO_ISJ_E10value_typeEPSK_NS1_7vsmem_tEENKUlT_SI_SJ_SK_E_clISD_PtSD_S10_EESH_SX_SI_SJ_SK_EUlSX_E1_NS1_11comp_targetILNS1_3genE3ELNS1_11target_archE908ELNS1_3gpuE7ELNS1_3repE0EEENS1_36merge_oddeven_config_static_selectorELNS0_4arch9wavefront6targetE1EEEvSJ_.has_indirect_call, 0
	.section	.AMDGPU.csdata,"",@progbits
; Kernel info:
; codeLenInByte = 0
; TotalNumSgprs: 6
; NumVgprs: 0
; NumAgprs: 0
; TotalNumVgprs: 0
; ScratchSize: 0
; MemoryBound: 0
; FloatMode: 240
; IeeeMode: 1
; LDSByteSize: 0 bytes/workgroup (compile time only)
; SGPRBlocks: 0
; VGPRBlocks: 0
; NumSGPRsForWavesPerEU: 6
; NumVGPRsForWavesPerEU: 1
; AccumOffset: 4
; Occupancy: 8
; WaveLimiterHint : 0
; COMPUTE_PGM_RSRC2:SCRATCH_EN: 0
; COMPUTE_PGM_RSRC2:USER_SGPR: 2
; COMPUTE_PGM_RSRC2:TRAP_HANDLER: 0
; COMPUTE_PGM_RSRC2:TGID_X_EN: 1
; COMPUTE_PGM_RSRC2:TGID_Y_EN: 0
; COMPUTE_PGM_RSRC2:TGID_Z_EN: 0
; COMPUTE_PGM_RSRC2:TIDIG_COMP_CNT: 0
; COMPUTE_PGM_RSRC3_GFX90A:ACCUM_OFFSET: 0
; COMPUTE_PGM_RSRC3_GFX90A:TG_SPLIT: 0
	.section	.text._ZN7rocprim17ROCPRIM_400000_NS6detail17trampoline_kernelINS0_14default_configENS1_38merge_sort_block_merge_config_selectorIttEEZZNS1_27merge_sort_block_merge_implIS3_N6thrust23THRUST_200600_302600_NS6detail15normal_iteratorINS8_10device_ptrItEEEESD_jNS1_19radix_merge_compareILb0ELb0EtNS0_19identity_decomposerEEEEE10hipError_tT0_T1_T2_jT3_P12ihipStream_tbPNSt15iterator_traitsISI_E10value_typeEPNSO_ISJ_E10value_typeEPSK_NS1_7vsmem_tEENKUlT_SI_SJ_SK_E_clISD_PtSD_S10_EESH_SX_SI_SJ_SK_EUlSX_E1_NS1_11comp_targetILNS1_3genE2ELNS1_11target_archE906ELNS1_3gpuE6ELNS1_3repE0EEENS1_36merge_oddeven_config_static_selectorELNS0_4arch9wavefront6targetE1EEEvSJ_,"axG",@progbits,_ZN7rocprim17ROCPRIM_400000_NS6detail17trampoline_kernelINS0_14default_configENS1_38merge_sort_block_merge_config_selectorIttEEZZNS1_27merge_sort_block_merge_implIS3_N6thrust23THRUST_200600_302600_NS6detail15normal_iteratorINS8_10device_ptrItEEEESD_jNS1_19radix_merge_compareILb0ELb0EtNS0_19identity_decomposerEEEEE10hipError_tT0_T1_T2_jT3_P12ihipStream_tbPNSt15iterator_traitsISI_E10value_typeEPNSO_ISJ_E10value_typeEPSK_NS1_7vsmem_tEENKUlT_SI_SJ_SK_E_clISD_PtSD_S10_EESH_SX_SI_SJ_SK_EUlSX_E1_NS1_11comp_targetILNS1_3genE2ELNS1_11target_archE906ELNS1_3gpuE6ELNS1_3repE0EEENS1_36merge_oddeven_config_static_selectorELNS0_4arch9wavefront6targetE1EEEvSJ_,comdat
	.protected	_ZN7rocprim17ROCPRIM_400000_NS6detail17trampoline_kernelINS0_14default_configENS1_38merge_sort_block_merge_config_selectorIttEEZZNS1_27merge_sort_block_merge_implIS3_N6thrust23THRUST_200600_302600_NS6detail15normal_iteratorINS8_10device_ptrItEEEESD_jNS1_19radix_merge_compareILb0ELb0EtNS0_19identity_decomposerEEEEE10hipError_tT0_T1_T2_jT3_P12ihipStream_tbPNSt15iterator_traitsISI_E10value_typeEPNSO_ISJ_E10value_typeEPSK_NS1_7vsmem_tEENKUlT_SI_SJ_SK_E_clISD_PtSD_S10_EESH_SX_SI_SJ_SK_EUlSX_E1_NS1_11comp_targetILNS1_3genE2ELNS1_11target_archE906ELNS1_3gpuE6ELNS1_3repE0EEENS1_36merge_oddeven_config_static_selectorELNS0_4arch9wavefront6targetE1EEEvSJ_ ; -- Begin function _ZN7rocprim17ROCPRIM_400000_NS6detail17trampoline_kernelINS0_14default_configENS1_38merge_sort_block_merge_config_selectorIttEEZZNS1_27merge_sort_block_merge_implIS3_N6thrust23THRUST_200600_302600_NS6detail15normal_iteratorINS8_10device_ptrItEEEESD_jNS1_19radix_merge_compareILb0ELb0EtNS0_19identity_decomposerEEEEE10hipError_tT0_T1_T2_jT3_P12ihipStream_tbPNSt15iterator_traitsISI_E10value_typeEPNSO_ISJ_E10value_typeEPSK_NS1_7vsmem_tEENKUlT_SI_SJ_SK_E_clISD_PtSD_S10_EESH_SX_SI_SJ_SK_EUlSX_E1_NS1_11comp_targetILNS1_3genE2ELNS1_11target_archE906ELNS1_3gpuE6ELNS1_3repE0EEENS1_36merge_oddeven_config_static_selectorELNS0_4arch9wavefront6targetE1EEEvSJ_
	.globl	_ZN7rocprim17ROCPRIM_400000_NS6detail17trampoline_kernelINS0_14default_configENS1_38merge_sort_block_merge_config_selectorIttEEZZNS1_27merge_sort_block_merge_implIS3_N6thrust23THRUST_200600_302600_NS6detail15normal_iteratorINS8_10device_ptrItEEEESD_jNS1_19radix_merge_compareILb0ELb0EtNS0_19identity_decomposerEEEEE10hipError_tT0_T1_T2_jT3_P12ihipStream_tbPNSt15iterator_traitsISI_E10value_typeEPNSO_ISJ_E10value_typeEPSK_NS1_7vsmem_tEENKUlT_SI_SJ_SK_E_clISD_PtSD_S10_EESH_SX_SI_SJ_SK_EUlSX_E1_NS1_11comp_targetILNS1_3genE2ELNS1_11target_archE906ELNS1_3gpuE6ELNS1_3repE0EEENS1_36merge_oddeven_config_static_selectorELNS0_4arch9wavefront6targetE1EEEvSJ_
	.p2align	8
	.type	_ZN7rocprim17ROCPRIM_400000_NS6detail17trampoline_kernelINS0_14default_configENS1_38merge_sort_block_merge_config_selectorIttEEZZNS1_27merge_sort_block_merge_implIS3_N6thrust23THRUST_200600_302600_NS6detail15normal_iteratorINS8_10device_ptrItEEEESD_jNS1_19radix_merge_compareILb0ELb0EtNS0_19identity_decomposerEEEEE10hipError_tT0_T1_T2_jT3_P12ihipStream_tbPNSt15iterator_traitsISI_E10value_typeEPNSO_ISJ_E10value_typeEPSK_NS1_7vsmem_tEENKUlT_SI_SJ_SK_E_clISD_PtSD_S10_EESH_SX_SI_SJ_SK_EUlSX_E1_NS1_11comp_targetILNS1_3genE2ELNS1_11target_archE906ELNS1_3gpuE6ELNS1_3repE0EEENS1_36merge_oddeven_config_static_selectorELNS0_4arch9wavefront6targetE1EEEvSJ_,@function
_ZN7rocprim17ROCPRIM_400000_NS6detail17trampoline_kernelINS0_14default_configENS1_38merge_sort_block_merge_config_selectorIttEEZZNS1_27merge_sort_block_merge_implIS3_N6thrust23THRUST_200600_302600_NS6detail15normal_iteratorINS8_10device_ptrItEEEESD_jNS1_19radix_merge_compareILb0ELb0EtNS0_19identity_decomposerEEEEE10hipError_tT0_T1_T2_jT3_P12ihipStream_tbPNSt15iterator_traitsISI_E10value_typeEPNSO_ISJ_E10value_typeEPSK_NS1_7vsmem_tEENKUlT_SI_SJ_SK_E_clISD_PtSD_S10_EESH_SX_SI_SJ_SK_EUlSX_E1_NS1_11comp_targetILNS1_3genE2ELNS1_11target_archE906ELNS1_3gpuE6ELNS1_3repE0EEENS1_36merge_oddeven_config_static_selectorELNS0_4arch9wavefront6targetE1EEEvSJ_: ; @_ZN7rocprim17ROCPRIM_400000_NS6detail17trampoline_kernelINS0_14default_configENS1_38merge_sort_block_merge_config_selectorIttEEZZNS1_27merge_sort_block_merge_implIS3_N6thrust23THRUST_200600_302600_NS6detail15normal_iteratorINS8_10device_ptrItEEEESD_jNS1_19radix_merge_compareILb0ELb0EtNS0_19identity_decomposerEEEEE10hipError_tT0_T1_T2_jT3_P12ihipStream_tbPNSt15iterator_traitsISI_E10value_typeEPNSO_ISJ_E10value_typeEPSK_NS1_7vsmem_tEENKUlT_SI_SJ_SK_E_clISD_PtSD_S10_EESH_SX_SI_SJ_SK_EUlSX_E1_NS1_11comp_targetILNS1_3genE2ELNS1_11target_archE906ELNS1_3gpuE6ELNS1_3repE0EEENS1_36merge_oddeven_config_static_selectorELNS0_4arch9wavefront6targetE1EEEvSJ_
; %bb.0:
	.section	.rodata,"a",@progbits
	.p2align	6, 0x0
	.amdhsa_kernel _ZN7rocprim17ROCPRIM_400000_NS6detail17trampoline_kernelINS0_14default_configENS1_38merge_sort_block_merge_config_selectorIttEEZZNS1_27merge_sort_block_merge_implIS3_N6thrust23THRUST_200600_302600_NS6detail15normal_iteratorINS8_10device_ptrItEEEESD_jNS1_19radix_merge_compareILb0ELb0EtNS0_19identity_decomposerEEEEE10hipError_tT0_T1_T2_jT3_P12ihipStream_tbPNSt15iterator_traitsISI_E10value_typeEPNSO_ISJ_E10value_typeEPSK_NS1_7vsmem_tEENKUlT_SI_SJ_SK_E_clISD_PtSD_S10_EESH_SX_SI_SJ_SK_EUlSX_E1_NS1_11comp_targetILNS1_3genE2ELNS1_11target_archE906ELNS1_3gpuE6ELNS1_3repE0EEENS1_36merge_oddeven_config_static_selectorELNS0_4arch9wavefront6targetE1EEEvSJ_
		.amdhsa_group_segment_fixed_size 0
		.amdhsa_private_segment_fixed_size 0
		.amdhsa_kernarg_size 48
		.amdhsa_user_sgpr_count 2
		.amdhsa_user_sgpr_dispatch_ptr 0
		.amdhsa_user_sgpr_queue_ptr 0
		.amdhsa_user_sgpr_kernarg_segment_ptr 1
		.amdhsa_user_sgpr_dispatch_id 0
		.amdhsa_user_sgpr_kernarg_preload_length 0
		.amdhsa_user_sgpr_kernarg_preload_offset 0
		.amdhsa_user_sgpr_private_segment_size 0
		.amdhsa_uses_dynamic_stack 0
		.amdhsa_enable_private_segment 0
		.amdhsa_system_sgpr_workgroup_id_x 1
		.amdhsa_system_sgpr_workgroup_id_y 0
		.amdhsa_system_sgpr_workgroup_id_z 0
		.amdhsa_system_sgpr_workgroup_info 0
		.amdhsa_system_vgpr_workitem_id 0
		.amdhsa_next_free_vgpr 1
		.amdhsa_next_free_sgpr 0
		.amdhsa_accum_offset 4
		.amdhsa_reserve_vcc 0
		.amdhsa_float_round_mode_32 0
		.amdhsa_float_round_mode_16_64 0
		.amdhsa_float_denorm_mode_32 3
		.amdhsa_float_denorm_mode_16_64 3
		.amdhsa_dx10_clamp 1
		.amdhsa_ieee_mode 1
		.amdhsa_fp16_overflow 0
		.amdhsa_tg_split 0
		.amdhsa_exception_fp_ieee_invalid_op 0
		.amdhsa_exception_fp_denorm_src 0
		.amdhsa_exception_fp_ieee_div_zero 0
		.amdhsa_exception_fp_ieee_overflow 0
		.amdhsa_exception_fp_ieee_underflow 0
		.amdhsa_exception_fp_ieee_inexact 0
		.amdhsa_exception_int_div_zero 0
	.end_amdhsa_kernel
	.section	.text._ZN7rocprim17ROCPRIM_400000_NS6detail17trampoline_kernelINS0_14default_configENS1_38merge_sort_block_merge_config_selectorIttEEZZNS1_27merge_sort_block_merge_implIS3_N6thrust23THRUST_200600_302600_NS6detail15normal_iteratorINS8_10device_ptrItEEEESD_jNS1_19radix_merge_compareILb0ELb0EtNS0_19identity_decomposerEEEEE10hipError_tT0_T1_T2_jT3_P12ihipStream_tbPNSt15iterator_traitsISI_E10value_typeEPNSO_ISJ_E10value_typeEPSK_NS1_7vsmem_tEENKUlT_SI_SJ_SK_E_clISD_PtSD_S10_EESH_SX_SI_SJ_SK_EUlSX_E1_NS1_11comp_targetILNS1_3genE2ELNS1_11target_archE906ELNS1_3gpuE6ELNS1_3repE0EEENS1_36merge_oddeven_config_static_selectorELNS0_4arch9wavefront6targetE1EEEvSJ_,"axG",@progbits,_ZN7rocprim17ROCPRIM_400000_NS6detail17trampoline_kernelINS0_14default_configENS1_38merge_sort_block_merge_config_selectorIttEEZZNS1_27merge_sort_block_merge_implIS3_N6thrust23THRUST_200600_302600_NS6detail15normal_iteratorINS8_10device_ptrItEEEESD_jNS1_19radix_merge_compareILb0ELb0EtNS0_19identity_decomposerEEEEE10hipError_tT0_T1_T2_jT3_P12ihipStream_tbPNSt15iterator_traitsISI_E10value_typeEPNSO_ISJ_E10value_typeEPSK_NS1_7vsmem_tEENKUlT_SI_SJ_SK_E_clISD_PtSD_S10_EESH_SX_SI_SJ_SK_EUlSX_E1_NS1_11comp_targetILNS1_3genE2ELNS1_11target_archE906ELNS1_3gpuE6ELNS1_3repE0EEENS1_36merge_oddeven_config_static_selectorELNS0_4arch9wavefront6targetE1EEEvSJ_,comdat
.Lfunc_end887:
	.size	_ZN7rocprim17ROCPRIM_400000_NS6detail17trampoline_kernelINS0_14default_configENS1_38merge_sort_block_merge_config_selectorIttEEZZNS1_27merge_sort_block_merge_implIS3_N6thrust23THRUST_200600_302600_NS6detail15normal_iteratorINS8_10device_ptrItEEEESD_jNS1_19radix_merge_compareILb0ELb0EtNS0_19identity_decomposerEEEEE10hipError_tT0_T1_T2_jT3_P12ihipStream_tbPNSt15iterator_traitsISI_E10value_typeEPNSO_ISJ_E10value_typeEPSK_NS1_7vsmem_tEENKUlT_SI_SJ_SK_E_clISD_PtSD_S10_EESH_SX_SI_SJ_SK_EUlSX_E1_NS1_11comp_targetILNS1_3genE2ELNS1_11target_archE906ELNS1_3gpuE6ELNS1_3repE0EEENS1_36merge_oddeven_config_static_selectorELNS0_4arch9wavefront6targetE1EEEvSJ_, .Lfunc_end887-_ZN7rocprim17ROCPRIM_400000_NS6detail17trampoline_kernelINS0_14default_configENS1_38merge_sort_block_merge_config_selectorIttEEZZNS1_27merge_sort_block_merge_implIS3_N6thrust23THRUST_200600_302600_NS6detail15normal_iteratorINS8_10device_ptrItEEEESD_jNS1_19radix_merge_compareILb0ELb0EtNS0_19identity_decomposerEEEEE10hipError_tT0_T1_T2_jT3_P12ihipStream_tbPNSt15iterator_traitsISI_E10value_typeEPNSO_ISJ_E10value_typeEPSK_NS1_7vsmem_tEENKUlT_SI_SJ_SK_E_clISD_PtSD_S10_EESH_SX_SI_SJ_SK_EUlSX_E1_NS1_11comp_targetILNS1_3genE2ELNS1_11target_archE906ELNS1_3gpuE6ELNS1_3repE0EEENS1_36merge_oddeven_config_static_selectorELNS0_4arch9wavefront6targetE1EEEvSJ_
                                        ; -- End function
	.set _ZN7rocprim17ROCPRIM_400000_NS6detail17trampoline_kernelINS0_14default_configENS1_38merge_sort_block_merge_config_selectorIttEEZZNS1_27merge_sort_block_merge_implIS3_N6thrust23THRUST_200600_302600_NS6detail15normal_iteratorINS8_10device_ptrItEEEESD_jNS1_19radix_merge_compareILb0ELb0EtNS0_19identity_decomposerEEEEE10hipError_tT0_T1_T2_jT3_P12ihipStream_tbPNSt15iterator_traitsISI_E10value_typeEPNSO_ISJ_E10value_typeEPSK_NS1_7vsmem_tEENKUlT_SI_SJ_SK_E_clISD_PtSD_S10_EESH_SX_SI_SJ_SK_EUlSX_E1_NS1_11comp_targetILNS1_3genE2ELNS1_11target_archE906ELNS1_3gpuE6ELNS1_3repE0EEENS1_36merge_oddeven_config_static_selectorELNS0_4arch9wavefront6targetE1EEEvSJ_.num_vgpr, 0
	.set _ZN7rocprim17ROCPRIM_400000_NS6detail17trampoline_kernelINS0_14default_configENS1_38merge_sort_block_merge_config_selectorIttEEZZNS1_27merge_sort_block_merge_implIS3_N6thrust23THRUST_200600_302600_NS6detail15normal_iteratorINS8_10device_ptrItEEEESD_jNS1_19radix_merge_compareILb0ELb0EtNS0_19identity_decomposerEEEEE10hipError_tT0_T1_T2_jT3_P12ihipStream_tbPNSt15iterator_traitsISI_E10value_typeEPNSO_ISJ_E10value_typeEPSK_NS1_7vsmem_tEENKUlT_SI_SJ_SK_E_clISD_PtSD_S10_EESH_SX_SI_SJ_SK_EUlSX_E1_NS1_11comp_targetILNS1_3genE2ELNS1_11target_archE906ELNS1_3gpuE6ELNS1_3repE0EEENS1_36merge_oddeven_config_static_selectorELNS0_4arch9wavefront6targetE1EEEvSJ_.num_agpr, 0
	.set _ZN7rocprim17ROCPRIM_400000_NS6detail17trampoline_kernelINS0_14default_configENS1_38merge_sort_block_merge_config_selectorIttEEZZNS1_27merge_sort_block_merge_implIS3_N6thrust23THRUST_200600_302600_NS6detail15normal_iteratorINS8_10device_ptrItEEEESD_jNS1_19radix_merge_compareILb0ELb0EtNS0_19identity_decomposerEEEEE10hipError_tT0_T1_T2_jT3_P12ihipStream_tbPNSt15iterator_traitsISI_E10value_typeEPNSO_ISJ_E10value_typeEPSK_NS1_7vsmem_tEENKUlT_SI_SJ_SK_E_clISD_PtSD_S10_EESH_SX_SI_SJ_SK_EUlSX_E1_NS1_11comp_targetILNS1_3genE2ELNS1_11target_archE906ELNS1_3gpuE6ELNS1_3repE0EEENS1_36merge_oddeven_config_static_selectorELNS0_4arch9wavefront6targetE1EEEvSJ_.numbered_sgpr, 0
	.set _ZN7rocprim17ROCPRIM_400000_NS6detail17trampoline_kernelINS0_14default_configENS1_38merge_sort_block_merge_config_selectorIttEEZZNS1_27merge_sort_block_merge_implIS3_N6thrust23THRUST_200600_302600_NS6detail15normal_iteratorINS8_10device_ptrItEEEESD_jNS1_19radix_merge_compareILb0ELb0EtNS0_19identity_decomposerEEEEE10hipError_tT0_T1_T2_jT3_P12ihipStream_tbPNSt15iterator_traitsISI_E10value_typeEPNSO_ISJ_E10value_typeEPSK_NS1_7vsmem_tEENKUlT_SI_SJ_SK_E_clISD_PtSD_S10_EESH_SX_SI_SJ_SK_EUlSX_E1_NS1_11comp_targetILNS1_3genE2ELNS1_11target_archE906ELNS1_3gpuE6ELNS1_3repE0EEENS1_36merge_oddeven_config_static_selectorELNS0_4arch9wavefront6targetE1EEEvSJ_.num_named_barrier, 0
	.set _ZN7rocprim17ROCPRIM_400000_NS6detail17trampoline_kernelINS0_14default_configENS1_38merge_sort_block_merge_config_selectorIttEEZZNS1_27merge_sort_block_merge_implIS3_N6thrust23THRUST_200600_302600_NS6detail15normal_iteratorINS8_10device_ptrItEEEESD_jNS1_19radix_merge_compareILb0ELb0EtNS0_19identity_decomposerEEEEE10hipError_tT0_T1_T2_jT3_P12ihipStream_tbPNSt15iterator_traitsISI_E10value_typeEPNSO_ISJ_E10value_typeEPSK_NS1_7vsmem_tEENKUlT_SI_SJ_SK_E_clISD_PtSD_S10_EESH_SX_SI_SJ_SK_EUlSX_E1_NS1_11comp_targetILNS1_3genE2ELNS1_11target_archE906ELNS1_3gpuE6ELNS1_3repE0EEENS1_36merge_oddeven_config_static_selectorELNS0_4arch9wavefront6targetE1EEEvSJ_.private_seg_size, 0
	.set _ZN7rocprim17ROCPRIM_400000_NS6detail17trampoline_kernelINS0_14default_configENS1_38merge_sort_block_merge_config_selectorIttEEZZNS1_27merge_sort_block_merge_implIS3_N6thrust23THRUST_200600_302600_NS6detail15normal_iteratorINS8_10device_ptrItEEEESD_jNS1_19radix_merge_compareILb0ELb0EtNS0_19identity_decomposerEEEEE10hipError_tT0_T1_T2_jT3_P12ihipStream_tbPNSt15iterator_traitsISI_E10value_typeEPNSO_ISJ_E10value_typeEPSK_NS1_7vsmem_tEENKUlT_SI_SJ_SK_E_clISD_PtSD_S10_EESH_SX_SI_SJ_SK_EUlSX_E1_NS1_11comp_targetILNS1_3genE2ELNS1_11target_archE906ELNS1_3gpuE6ELNS1_3repE0EEENS1_36merge_oddeven_config_static_selectorELNS0_4arch9wavefront6targetE1EEEvSJ_.uses_vcc, 0
	.set _ZN7rocprim17ROCPRIM_400000_NS6detail17trampoline_kernelINS0_14default_configENS1_38merge_sort_block_merge_config_selectorIttEEZZNS1_27merge_sort_block_merge_implIS3_N6thrust23THRUST_200600_302600_NS6detail15normal_iteratorINS8_10device_ptrItEEEESD_jNS1_19radix_merge_compareILb0ELb0EtNS0_19identity_decomposerEEEEE10hipError_tT0_T1_T2_jT3_P12ihipStream_tbPNSt15iterator_traitsISI_E10value_typeEPNSO_ISJ_E10value_typeEPSK_NS1_7vsmem_tEENKUlT_SI_SJ_SK_E_clISD_PtSD_S10_EESH_SX_SI_SJ_SK_EUlSX_E1_NS1_11comp_targetILNS1_3genE2ELNS1_11target_archE906ELNS1_3gpuE6ELNS1_3repE0EEENS1_36merge_oddeven_config_static_selectorELNS0_4arch9wavefront6targetE1EEEvSJ_.uses_flat_scratch, 0
	.set _ZN7rocprim17ROCPRIM_400000_NS6detail17trampoline_kernelINS0_14default_configENS1_38merge_sort_block_merge_config_selectorIttEEZZNS1_27merge_sort_block_merge_implIS3_N6thrust23THRUST_200600_302600_NS6detail15normal_iteratorINS8_10device_ptrItEEEESD_jNS1_19radix_merge_compareILb0ELb0EtNS0_19identity_decomposerEEEEE10hipError_tT0_T1_T2_jT3_P12ihipStream_tbPNSt15iterator_traitsISI_E10value_typeEPNSO_ISJ_E10value_typeEPSK_NS1_7vsmem_tEENKUlT_SI_SJ_SK_E_clISD_PtSD_S10_EESH_SX_SI_SJ_SK_EUlSX_E1_NS1_11comp_targetILNS1_3genE2ELNS1_11target_archE906ELNS1_3gpuE6ELNS1_3repE0EEENS1_36merge_oddeven_config_static_selectorELNS0_4arch9wavefront6targetE1EEEvSJ_.has_dyn_sized_stack, 0
	.set _ZN7rocprim17ROCPRIM_400000_NS6detail17trampoline_kernelINS0_14default_configENS1_38merge_sort_block_merge_config_selectorIttEEZZNS1_27merge_sort_block_merge_implIS3_N6thrust23THRUST_200600_302600_NS6detail15normal_iteratorINS8_10device_ptrItEEEESD_jNS1_19radix_merge_compareILb0ELb0EtNS0_19identity_decomposerEEEEE10hipError_tT0_T1_T2_jT3_P12ihipStream_tbPNSt15iterator_traitsISI_E10value_typeEPNSO_ISJ_E10value_typeEPSK_NS1_7vsmem_tEENKUlT_SI_SJ_SK_E_clISD_PtSD_S10_EESH_SX_SI_SJ_SK_EUlSX_E1_NS1_11comp_targetILNS1_3genE2ELNS1_11target_archE906ELNS1_3gpuE6ELNS1_3repE0EEENS1_36merge_oddeven_config_static_selectorELNS0_4arch9wavefront6targetE1EEEvSJ_.has_recursion, 0
	.set _ZN7rocprim17ROCPRIM_400000_NS6detail17trampoline_kernelINS0_14default_configENS1_38merge_sort_block_merge_config_selectorIttEEZZNS1_27merge_sort_block_merge_implIS3_N6thrust23THRUST_200600_302600_NS6detail15normal_iteratorINS8_10device_ptrItEEEESD_jNS1_19radix_merge_compareILb0ELb0EtNS0_19identity_decomposerEEEEE10hipError_tT0_T1_T2_jT3_P12ihipStream_tbPNSt15iterator_traitsISI_E10value_typeEPNSO_ISJ_E10value_typeEPSK_NS1_7vsmem_tEENKUlT_SI_SJ_SK_E_clISD_PtSD_S10_EESH_SX_SI_SJ_SK_EUlSX_E1_NS1_11comp_targetILNS1_3genE2ELNS1_11target_archE906ELNS1_3gpuE6ELNS1_3repE0EEENS1_36merge_oddeven_config_static_selectorELNS0_4arch9wavefront6targetE1EEEvSJ_.has_indirect_call, 0
	.section	.AMDGPU.csdata,"",@progbits
; Kernel info:
; codeLenInByte = 0
; TotalNumSgprs: 6
; NumVgprs: 0
; NumAgprs: 0
; TotalNumVgprs: 0
; ScratchSize: 0
; MemoryBound: 0
; FloatMode: 240
; IeeeMode: 1
; LDSByteSize: 0 bytes/workgroup (compile time only)
; SGPRBlocks: 0
; VGPRBlocks: 0
; NumSGPRsForWavesPerEU: 6
; NumVGPRsForWavesPerEU: 1
; AccumOffset: 4
; Occupancy: 8
; WaveLimiterHint : 0
; COMPUTE_PGM_RSRC2:SCRATCH_EN: 0
; COMPUTE_PGM_RSRC2:USER_SGPR: 2
; COMPUTE_PGM_RSRC2:TRAP_HANDLER: 0
; COMPUTE_PGM_RSRC2:TGID_X_EN: 1
; COMPUTE_PGM_RSRC2:TGID_Y_EN: 0
; COMPUTE_PGM_RSRC2:TGID_Z_EN: 0
; COMPUTE_PGM_RSRC2:TIDIG_COMP_CNT: 0
; COMPUTE_PGM_RSRC3_GFX90A:ACCUM_OFFSET: 0
; COMPUTE_PGM_RSRC3_GFX90A:TG_SPLIT: 0
	.section	.text._ZN7rocprim17ROCPRIM_400000_NS6detail17trampoline_kernelINS0_14default_configENS1_38merge_sort_block_merge_config_selectorIttEEZZNS1_27merge_sort_block_merge_implIS3_N6thrust23THRUST_200600_302600_NS6detail15normal_iteratorINS8_10device_ptrItEEEESD_jNS1_19radix_merge_compareILb0ELb0EtNS0_19identity_decomposerEEEEE10hipError_tT0_T1_T2_jT3_P12ihipStream_tbPNSt15iterator_traitsISI_E10value_typeEPNSO_ISJ_E10value_typeEPSK_NS1_7vsmem_tEENKUlT_SI_SJ_SK_E_clISD_PtSD_S10_EESH_SX_SI_SJ_SK_EUlSX_E1_NS1_11comp_targetILNS1_3genE9ELNS1_11target_archE1100ELNS1_3gpuE3ELNS1_3repE0EEENS1_36merge_oddeven_config_static_selectorELNS0_4arch9wavefront6targetE1EEEvSJ_,"axG",@progbits,_ZN7rocprim17ROCPRIM_400000_NS6detail17trampoline_kernelINS0_14default_configENS1_38merge_sort_block_merge_config_selectorIttEEZZNS1_27merge_sort_block_merge_implIS3_N6thrust23THRUST_200600_302600_NS6detail15normal_iteratorINS8_10device_ptrItEEEESD_jNS1_19radix_merge_compareILb0ELb0EtNS0_19identity_decomposerEEEEE10hipError_tT0_T1_T2_jT3_P12ihipStream_tbPNSt15iterator_traitsISI_E10value_typeEPNSO_ISJ_E10value_typeEPSK_NS1_7vsmem_tEENKUlT_SI_SJ_SK_E_clISD_PtSD_S10_EESH_SX_SI_SJ_SK_EUlSX_E1_NS1_11comp_targetILNS1_3genE9ELNS1_11target_archE1100ELNS1_3gpuE3ELNS1_3repE0EEENS1_36merge_oddeven_config_static_selectorELNS0_4arch9wavefront6targetE1EEEvSJ_,comdat
	.protected	_ZN7rocprim17ROCPRIM_400000_NS6detail17trampoline_kernelINS0_14default_configENS1_38merge_sort_block_merge_config_selectorIttEEZZNS1_27merge_sort_block_merge_implIS3_N6thrust23THRUST_200600_302600_NS6detail15normal_iteratorINS8_10device_ptrItEEEESD_jNS1_19radix_merge_compareILb0ELb0EtNS0_19identity_decomposerEEEEE10hipError_tT0_T1_T2_jT3_P12ihipStream_tbPNSt15iterator_traitsISI_E10value_typeEPNSO_ISJ_E10value_typeEPSK_NS1_7vsmem_tEENKUlT_SI_SJ_SK_E_clISD_PtSD_S10_EESH_SX_SI_SJ_SK_EUlSX_E1_NS1_11comp_targetILNS1_3genE9ELNS1_11target_archE1100ELNS1_3gpuE3ELNS1_3repE0EEENS1_36merge_oddeven_config_static_selectorELNS0_4arch9wavefront6targetE1EEEvSJ_ ; -- Begin function _ZN7rocprim17ROCPRIM_400000_NS6detail17trampoline_kernelINS0_14default_configENS1_38merge_sort_block_merge_config_selectorIttEEZZNS1_27merge_sort_block_merge_implIS3_N6thrust23THRUST_200600_302600_NS6detail15normal_iteratorINS8_10device_ptrItEEEESD_jNS1_19radix_merge_compareILb0ELb0EtNS0_19identity_decomposerEEEEE10hipError_tT0_T1_T2_jT3_P12ihipStream_tbPNSt15iterator_traitsISI_E10value_typeEPNSO_ISJ_E10value_typeEPSK_NS1_7vsmem_tEENKUlT_SI_SJ_SK_E_clISD_PtSD_S10_EESH_SX_SI_SJ_SK_EUlSX_E1_NS1_11comp_targetILNS1_3genE9ELNS1_11target_archE1100ELNS1_3gpuE3ELNS1_3repE0EEENS1_36merge_oddeven_config_static_selectorELNS0_4arch9wavefront6targetE1EEEvSJ_
	.globl	_ZN7rocprim17ROCPRIM_400000_NS6detail17trampoline_kernelINS0_14default_configENS1_38merge_sort_block_merge_config_selectorIttEEZZNS1_27merge_sort_block_merge_implIS3_N6thrust23THRUST_200600_302600_NS6detail15normal_iteratorINS8_10device_ptrItEEEESD_jNS1_19radix_merge_compareILb0ELb0EtNS0_19identity_decomposerEEEEE10hipError_tT0_T1_T2_jT3_P12ihipStream_tbPNSt15iterator_traitsISI_E10value_typeEPNSO_ISJ_E10value_typeEPSK_NS1_7vsmem_tEENKUlT_SI_SJ_SK_E_clISD_PtSD_S10_EESH_SX_SI_SJ_SK_EUlSX_E1_NS1_11comp_targetILNS1_3genE9ELNS1_11target_archE1100ELNS1_3gpuE3ELNS1_3repE0EEENS1_36merge_oddeven_config_static_selectorELNS0_4arch9wavefront6targetE1EEEvSJ_
	.p2align	8
	.type	_ZN7rocprim17ROCPRIM_400000_NS6detail17trampoline_kernelINS0_14default_configENS1_38merge_sort_block_merge_config_selectorIttEEZZNS1_27merge_sort_block_merge_implIS3_N6thrust23THRUST_200600_302600_NS6detail15normal_iteratorINS8_10device_ptrItEEEESD_jNS1_19radix_merge_compareILb0ELb0EtNS0_19identity_decomposerEEEEE10hipError_tT0_T1_T2_jT3_P12ihipStream_tbPNSt15iterator_traitsISI_E10value_typeEPNSO_ISJ_E10value_typeEPSK_NS1_7vsmem_tEENKUlT_SI_SJ_SK_E_clISD_PtSD_S10_EESH_SX_SI_SJ_SK_EUlSX_E1_NS1_11comp_targetILNS1_3genE9ELNS1_11target_archE1100ELNS1_3gpuE3ELNS1_3repE0EEENS1_36merge_oddeven_config_static_selectorELNS0_4arch9wavefront6targetE1EEEvSJ_,@function
_ZN7rocprim17ROCPRIM_400000_NS6detail17trampoline_kernelINS0_14default_configENS1_38merge_sort_block_merge_config_selectorIttEEZZNS1_27merge_sort_block_merge_implIS3_N6thrust23THRUST_200600_302600_NS6detail15normal_iteratorINS8_10device_ptrItEEEESD_jNS1_19radix_merge_compareILb0ELb0EtNS0_19identity_decomposerEEEEE10hipError_tT0_T1_T2_jT3_P12ihipStream_tbPNSt15iterator_traitsISI_E10value_typeEPNSO_ISJ_E10value_typeEPSK_NS1_7vsmem_tEENKUlT_SI_SJ_SK_E_clISD_PtSD_S10_EESH_SX_SI_SJ_SK_EUlSX_E1_NS1_11comp_targetILNS1_3genE9ELNS1_11target_archE1100ELNS1_3gpuE3ELNS1_3repE0EEENS1_36merge_oddeven_config_static_selectorELNS0_4arch9wavefront6targetE1EEEvSJ_: ; @_ZN7rocprim17ROCPRIM_400000_NS6detail17trampoline_kernelINS0_14default_configENS1_38merge_sort_block_merge_config_selectorIttEEZZNS1_27merge_sort_block_merge_implIS3_N6thrust23THRUST_200600_302600_NS6detail15normal_iteratorINS8_10device_ptrItEEEESD_jNS1_19radix_merge_compareILb0ELb0EtNS0_19identity_decomposerEEEEE10hipError_tT0_T1_T2_jT3_P12ihipStream_tbPNSt15iterator_traitsISI_E10value_typeEPNSO_ISJ_E10value_typeEPSK_NS1_7vsmem_tEENKUlT_SI_SJ_SK_E_clISD_PtSD_S10_EESH_SX_SI_SJ_SK_EUlSX_E1_NS1_11comp_targetILNS1_3genE9ELNS1_11target_archE1100ELNS1_3gpuE3ELNS1_3repE0EEENS1_36merge_oddeven_config_static_selectorELNS0_4arch9wavefront6targetE1EEEvSJ_
; %bb.0:
	.section	.rodata,"a",@progbits
	.p2align	6, 0x0
	.amdhsa_kernel _ZN7rocprim17ROCPRIM_400000_NS6detail17trampoline_kernelINS0_14default_configENS1_38merge_sort_block_merge_config_selectorIttEEZZNS1_27merge_sort_block_merge_implIS3_N6thrust23THRUST_200600_302600_NS6detail15normal_iteratorINS8_10device_ptrItEEEESD_jNS1_19radix_merge_compareILb0ELb0EtNS0_19identity_decomposerEEEEE10hipError_tT0_T1_T2_jT3_P12ihipStream_tbPNSt15iterator_traitsISI_E10value_typeEPNSO_ISJ_E10value_typeEPSK_NS1_7vsmem_tEENKUlT_SI_SJ_SK_E_clISD_PtSD_S10_EESH_SX_SI_SJ_SK_EUlSX_E1_NS1_11comp_targetILNS1_3genE9ELNS1_11target_archE1100ELNS1_3gpuE3ELNS1_3repE0EEENS1_36merge_oddeven_config_static_selectorELNS0_4arch9wavefront6targetE1EEEvSJ_
		.amdhsa_group_segment_fixed_size 0
		.amdhsa_private_segment_fixed_size 0
		.amdhsa_kernarg_size 48
		.amdhsa_user_sgpr_count 2
		.amdhsa_user_sgpr_dispatch_ptr 0
		.amdhsa_user_sgpr_queue_ptr 0
		.amdhsa_user_sgpr_kernarg_segment_ptr 1
		.amdhsa_user_sgpr_dispatch_id 0
		.amdhsa_user_sgpr_kernarg_preload_length 0
		.amdhsa_user_sgpr_kernarg_preload_offset 0
		.amdhsa_user_sgpr_private_segment_size 0
		.amdhsa_uses_dynamic_stack 0
		.amdhsa_enable_private_segment 0
		.amdhsa_system_sgpr_workgroup_id_x 1
		.amdhsa_system_sgpr_workgroup_id_y 0
		.amdhsa_system_sgpr_workgroup_id_z 0
		.amdhsa_system_sgpr_workgroup_info 0
		.amdhsa_system_vgpr_workitem_id 0
		.amdhsa_next_free_vgpr 1
		.amdhsa_next_free_sgpr 0
		.amdhsa_accum_offset 4
		.amdhsa_reserve_vcc 0
		.amdhsa_float_round_mode_32 0
		.amdhsa_float_round_mode_16_64 0
		.amdhsa_float_denorm_mode_32 3
		.amdhsa_float_denorm_mode_16_64 3
		.amdhsa_dx10_clamp 1
		.amdhsa_ieee_mode 1
		.amdhsa_fp16_overflow 0
		.amdhsa_tg_split 0
		.amdhsa_exception_fp_ieee_invalid_op 0
		.amdhsa_exception_fp_denorm_src 0
		.amdhsa_exception_fp_ieee_div_zero 0
		.amdhsa_exception_fp_ieee_overflow 0
		.amdhsa_exception_fp_ieee_underflow 0
		.amdhsa_exception_fp_ieee_inexact 0
		.amdhsa_exception_int_div_zero 0
	.end_amdhsa_kernel
	.section	.text._ZN7rocprim17ROCPRIM_400000_NS6detail17trampoline_kernelINS0_14default_configENS1_38merge_sort_block_merge_config_selectorIttEEZZNS1_27merge_sort_block_merge_implIS3_N6thrust23THRUST_200600_302600_NS6detail15normal_iteratorINS8_10device_ptrItEEEESD_jNS1_19radix_merge_compareILb0ELb0EtNS0_19identity_decomposerEEEEE10hipError_tT0_T1_T2_jT3_P12ihipStream_tbPNSt15iterator_traitsISI_E10value_typeEPNSO_ISJ_E10value_typeEPSK_NS1_7vsmem_tEENKUlT_SI_SJ_SK_E_clISD_PtSD_S10_EESH_SX_SI_SJ_SK_EUlSX_E1_NS1_11comp_targetILNS1_3genE9ELNS1_11target_archE1100ELNS1_3gpuE3ELNS1_3repE0EEENS1_36merge_oddeven_config_static_selectorELNS0_4arch9wavefront6targetE1EEEvSJ_,"axG",@progbits,_ZN7rocprim17ROCPRIM_400000_NS6detail17trampoline_kernelINS0_14default_configENS1_38merge_sort_block_merge_config_selectorIttEEZZNS1_27merge_sort_block_merge_implIS3_N6thrust23THRUST_200600_302600_NS6detail15normal_iteratorINS8_10device_ptrItEEEESD_jNS1_19radix_merge_compareILb0ELb0EtNS0_19identity_decomposerEEEEE10hipError_tT0_T1_T2_jT3_P12ihipStream_tbPNSt15iterator_traitsISI_E10value_typeEPNSO_ISJ_E10value_typeEPSK_NS1_7vsmem_tEENKUlT_SI_SJ_SK_E_clISD_PtSD_S10_EESH_SX_SI_SJ_SK_EUlSX_E1_NS1_11comp_targetILNS1_3genE9ELNS1_11target_archE1100ELNS1_3gpuE3ELNS1_3repE0EEENS1_36merge_oddeven_config_static_selectorELNS0_4arch9wavefront6targetE1EEEvSJ_,comdat
.Lfunc_end888:
	.size	_ZN7rocprim17ROCPRIM_400000_NS6detail17trampoline_kernelINS0_14default_configENS1_38merge_sort_block_merge_config_selectorIttEEZZNS1_27merge_sort_block_merge_implIS3_N6thrust23THRUST_200600_302600_NS6detail15normal_iteratorINS8_10device_ptrItEEEESD_jNS1_19radix_merge_compareILb0ELb0EtNS0_19identity_decomposerEEEEE10hipError_tT0_T1_T2_jT3_P12ihipStream_tbPNSt15iterator_traitsISI_E10value_typeEPNSO_ISJ_E10value_typeEPSK_NS1_7vsmem_tEENKUlT_SI_SJ_SK_E_clISD_PtSD_S10_EESH_SX_SI_SJ_SK_EUlSX_E1_NS1_11comp_targetILNS1_3genE9ELNS1_11target_archE1100ELNS1_3gpuE3ELNS1_3repE0EEENS1_36merge_oddeven_config_static_selectorELNS0_4arch9wavefront6targetE1EEEvSJ_, .Lfunc_end888-_ZN7rocprim17ROCPRIM_400000_NS6detail17trampoline_kernelINS0_14default_configENS1_38merge_sort_block_merge_config_selectorIttEEZZNS1_27merge_sort_block_merge_implIS3_N6thrust23THRUST_200600_302600_NS6detail15normal_iteratorINS8_10device_ptrItEEEESD_jNS1_19radix_merge_compareILb0ELb0EtNS0_19identity_decomposerEEEEE10hipError_tT0_T1_T2_jT3_P12ihipStream_tbPNSt15iterator_traitsISI_E10value_typeEPNSO_ISJ_E10value_typeEPSK_NS1_7vsmem_tEENKUlT_SI_SJ_SK_E_clISD_PtSD_S10_EESH_SX_SI_SJ_SK_EUlSX_E1_NS1_11comp_targetILNS1_3genE9ELNS1_11target_archE1100ELNS1_3gpuE3ELNS1_3repE0EEENS1_36merge_oddeven_config_static_selectorELNS0_4arch9wavefront6targetE1EEEvSJ_
                                        ; -- End function
	.set _ZN7rocprim17ROCPRIM_400000_NS6detail17trampoline_kernelINS0_14default_configENS1_38merge_sort_block_merge_config_selectorIttEEZZNS1_27merge_sort_block_merge_implIS3_N6thrust23THRUST_200600_302600_NS6detail15normal_iteratorINS8_10device_ptrItEEEESD_jNS1_19radix_merge_compareILb0ELb0EtNS0_19identity_decomposerEEEEE10hipError_tT0_T1_T2_jT3_P12ihipStream_tbPNSt15iterator_traitsISI_E10value_typeEPNSO_ISJ_E10value_typeEPSK_NS1_7vsmem_tEENKUlT_SI_SJ_SK_E_clISD_PtSD_S10_EESH_SX_SI_SJ_SK_EUlSX_E1_NS1_11comp_targetILNS1_3genE9ELNS1_11target_archE1100ELNS1_3gpuE3ELNS1_3repE0EEENS1_36merge_oddeven_config_static_selectorELNS0_4arch9wavefront6targetE1EEEvSJ_.num_vgpr, 0
	.set _ZN7rocprim17ROCPRIM_400000_NS6detail17trampoline_kernelINS0_14default_configENS1_38merge_sort_block_merge_config_selectorIttEEZZNS1_27merge_sort_block_merge_implIS3_N6thrust23THRUST_200600_302600_NS6detail15normal_iteratorINS8_10device_ptrItEEEESD_jNS1_19radix_merge_compareILb0ELb0EtNS0_19identity_decomposerEEEEE10hipError_tT0_T1_T2_jT3_P12ihipStream_tbPNSt15iterator_traitsISI_E10value_typeEPNSO_ISJ_E10value_typeEPSK_NS1_7vsmem_tEENKUlT_SI_SJ_SK_E_clISD_PtSD_S10_EESH_SX_SI_SJ_SK_EUlSX_E1_NS1_11comp_targetILNS1_3genE9ELNS1_11target_archE1100ELNS1_3gpuE3ELNS1_3repE0EEENS1_36merge_oddeven_config_static_selectorELNS0_4arch9wavefront6targetE1EEEvSJ_.num_agpr, 0
	.set _ZN7rocprim17ROCPRIM_400000_NS6detail17trampoline_kernelINS0_14default_configENS1_38merge_sort_block_merge_config_selectorIttEEZZNS1_27merge_sort_block_merge_implIS3_N6thrust23THRUST_200600_302600_NS6detail15normal_iteratorINS8_10device_ptrItEEEESD_jNS1_19radix_merge_compareILb0ELb0EtNS0_19identity_decomposerEEEEE10hipError_tT0_T1_T2_jT3_P12ihipStream_tbPNSt15iterator_traitsISI_E10value_typeEPNSO_ISJ_E10value_typeEPSK_NS1_7vsmem_tEENKUlT_SI_SJ_SK_E_clISD_PtSD_S10_EESH_SX_SI_SJ_SK_EUlSX_E1_NS1_11comp_targetILNS1_3genE9ELNS1_11target_archE1100ELNS1_3gpuE3ELNS1_3repE0EEENS1_36merge_oddeven_config_static_selectorELNS0_4arch9wavefront6targetE1EEEvSJ_.numbered_sgpr, 0
	.set _ZN7rocprim17ROCPRIM_400000_NS6detail17trampoline_kernelINS0_14default_configENS1_38merge_sort_block_merge_config_selectorIttEEZZNS1_27merge_sort_block_merge_implIS3_N6thrust23THRUST_200600_302600_NS6detail15normal_iteratorINS8_10device_ptrItEEEESD_jNS1_19radix_merge_compareILb0ELb0EtNS0_19identity_decomposerEEEEE10hipError_tT0_T1_T2_jT3_P12ihipStream_tbPNSt15iterator_traitsISI_E10value_typeEPNSO_ISJ_E10value_typeEPSK_NS1_7vsmem_tEENKUlT_SI_SJ_SK_E_clISD_PtSD_S10_EESH_SX_SI_SJ_SK_EUlSX_E1_NS1_11comp_targetILNS1_3genE9ELNS1_11target_archE1100ELNS1_3gpuE3ELNS1_3repE0EEENS1_36merge_oddeven_config_static_selectorELNS0_4arch9wavefront6targetE1EEEvSJ_.num_named_barrier, 0
	.set _ZN7rocprim17ROCPRIM_400000_NS6detail17trampoline_kernelINS0_14default_configENS1_38merge_sort_block_merge_config_selectorIttEEZZNS1_27merge_sort_block_merge_implIS3_N6thrust23THRUST_200600_302600_NS6detail15normal_iteratorINS8_10device_ptrItEEEESD_jNS1_19radix_merge_compareILb0ELb0EtNS0_19identity_decomposerEEEEE10hipError_tT0_T1_T2_jT3_P12ihipStream_tbPNSt15iterator_traitsISI_E10value_typeEPNSO_ISJ_E10value_typeEPSK_NS1_7vsmem_tEENKUlT_SI_SJ_SK_E_clISD_PtSD_S10_EESH_SX_SI_SJ_SK_EUlSX_E1_NS1_11comp_targetILNS1_3genE9ELNS1_11target_archE1100ELNS1_3gpuE3ELNS1_3repE0EEENS1_36merge_oddeven_config_static_selectorELNS0_4arch9wavefront6targetE1EEEvSJ_.private_seg_size, 0
	.set _ZN7rocprim17ROCPRIM_400000_NS6detail17trampoline_kernelINS0_14default_configENS1_38merge_sort_block_merge_config_selectorIttEEZZNS1_27merge_sort_block_merge_implIS3_N6thrust23THRUST_200600_302600_NS6detail15normal_iteratorINS8_10device_ptrItEEEESD_jNS1_19radix_merge_compareILb0ELb0EtNS0_19identity_decomposerEEEEE10hipError_tT0_T1_T2_jT3_P12ihipStream_tbPNSt15iterator_traitsISI_E10value_typeEPNSO_ISJ_E10value_typeEPSK_NS1_7vsmem_tEENKUlT_SI_SJ_SK_E_clISD_PtSD_S10_EESH_SX_SI_SJ_SK_EUlSX_E1_NS1_11comp_targetILNS1_3genE9ELNS1_11target_archE1100ELNS1_3gpuE3ELNS1_3repE0EEENS1_36merge_oddeven_config_static_selectorELNS0_4arch9wavefront6targetE1EEEvSJ_.uses_vcc, 0
	.set _ZN7rocprim17ROCPRIM_400000_NS6detail17trampoline_kernelINS0_14default_configENS1_38merge_sort_block_merge_config_selectorIttEEZZNS1_27merge_sort_block_merge_implIS3_N6thrust23THRUST_200600_302600_NS6detail15normal_iteratorINS8_10device_ptrItEEEESD_jNS1_19radix_merge_compareILb0ELb0EtNS0_19identity_decomposerEEEEE10hipError_tT0_T1_T2_jT3_P12ihipStream_tbPNSt15iterator_traitsISI_E10value_typeEPNSO_ISJ_E10value_typeEPSK_NS1_7vsmem_tEENKUlT_SI_SJ_SK_E_clISD_PtSD_S10_EESH_SX_SI_SJ_SK_EUlSX_E1_NS1_11comp_targetILNS1_3genE9ELNS1_11target_archE1100ELNS1_3gpuE3ELNS1_3repE0EEENS1_36merge_oddeven_config_static_selectorELNS0_4arch9wavefront6targetE1EEEvSJ_.uses_flat_scratch, 0
	.set _ZN7rocprim17ROCPRIM_400000_NS6detail17trampoline_kernelINS0_14default_configENS1_38merge_sort_block_merge_config_selectorIttEEZZNS1_27merge_sort_block_merge_implIS3_N6thrust23THRUST_200600_302600_NS6detail15normal_iteratorINS8_10device_ptrItEEEESD_jNS1_19radix_merge_compareILb0ELb0EtNS0_19identity_decomposerEEEEE10hipError_tT0_T1_T2_jT3_P12ihipStream_tbPNSt15iterator_traitsISI_E10value_typeEPNSO_ISJ_E10value_typeEPSK_NS1_7vsmem_tEENKUlT_SI_SJ_SK_E_clISD_PtSD_S10_EESH_SX_SI_SJ_SK_EUlSX_E1_NS1_11comp_targetILNS1_3genE9ELNS1_11target_archE1100ELNS1_3gpuE3ELNS1_3repE0EEENS1_36merge_oddeven_config_static_selectorELNS0_4arch9wavefront6targetE1EEEvSJ_.has_dyn_sized_stack, 0
	.set _ZN7rocprim17ROCPRIM_400000_NS6detail17trampoline_kernelINS0_14default_configENS1_38merge_sort_block_merge_config_selectorIttEEZZNS1_27merge_sort_block_merge_implIS3_N6thrust23THRUST_200600_302600_NS6detail15normal_iteratorINS8_10device_ptrItEEEESD_jNS1_19radix_merge_compareILb0ELb0EtNS0_19identity_decomposerEEEEE10hipError_tT0_T1_T2_jT3_P12ihipStream_tbPNSt15iterator_traitsISI_E10value_typeEPNSO_ISJ_E10value_typeEPSK_NS1_7vsmem_tEENKUlT_SI_SJ_SK_E_clISD_PtSD_S10_EESH_SX_SI_SJ_SK_EUlSX_E1_NS1_11comp_targetILNS1_3genE9ELNS1_11target_archE1100ELNS1_3gpuE3ELNS1_3repE0EEENS1_36merge_oddeven_config_static_selectorELNS0_4arch9wavefront6targetE1EEEvSJ_.has_recursion, 0
	.set _ZN7rocprim17ROCPRIM_400000_NS6detail17trampoline_kernelINS0_14default_configENS1_38merge_sort_block_merge_config_selectorIttEEZZNS1_27merge_sort_block_merge_implIS3_N6thrust23THRUST_200600_302600_NS6detail15normal_iteratorINS8_10device_ptrItEEEESD_jNS1_19radix_merge_compareILb0ELb0EtNS0_19identity_decomposerEEEEE10hipError_tT0_T1_T2_jT3_P12ihipStream_tbPNSt15iterator_traitsISI_E10value_typeEPNSO_ISJ_E10value_typeEPSK_NS1_7vsmem_tEENKUlT_SI_SJ_SK_E_clISD_PtSD_S10_EESH_SX_SI_SJ_SK_EUlSX_E1_NS1_11comp_targetILNS1_3genE9ELNS1_11target_archE1100ELNS1_3gpuE3ELNS1_3repE0EEENS1_36merge_oddeven_config_static_selectorELNS0_4arch9wavefront6targetE1EEEvSJ_.has_indirect_call, 0
	.section	.AMDGPU.csdata,"",@progbits
; Kernel info:
; codeLenInByte = 0
; TotalNumSgprs: 6
; NumVgprs: 0
; NumAgprs: 0
; TotalNumVgprs: 0
; ScratchSize: 0
; MemoryBound: 0
; FloatMode: 240
; IeeeMode: 1
; LDSByteSize: 0 bytes/workgroup (compile time only)
; SGPRBlocks: 0
; VGPRBlocks: 0
; NumSGPRsForWavesPerEU: 6
; NumVGPRsForWavesPerEU: 1
; AccumOffset: 4
; Occupancy: 8
; WaveLimiterHint : 0
; COMPUTE_PGM_RSRC2:SCRATCH_EN: 0
; COMPUTE_PGM_RSRC2:USER_SGPR: 2
; COMPUTE_PGM_RSRC2:TRAP_HANDLER: 0
; COMPUTE_PGM_RSRC2:TGID_X_EN: 1
; COMPUTE_PGM_RSRC2:TGID_Y_EN: 0
; COMPUTE_PGM_RSRC2:TGID_Z_EN: 0
; COMPUTE_PGM_RSRC2:TIDIG_COMP_CNT: 0
; COMPUTE_PGM_RSRC3_GFX90A:ACCUM_OFFSET: 0
; COMPUTE_PGM_RSRC3_GFX90A:TG_SPLIT: 0
	.section	.text._ZN7rocprim17ROCPRIM_400000_NS6detail17trampoline_kernelINS0_14default_configENS1_38merge_sort_block_merge_config_selectorIttEEZZNS1_27merge_sort_block_merge_implIS3_N6thrust23THRUST_200600_302600_NS6detail15normal_iteratorINS8_10device_ptrItEEEESD_jNS1_19radix_merge_compareILb0ELb0EtNS0_19identity_decomposerEEEEE10hipError_tT0_T1_T2_jT3_P12ihipStream_tbPNSt15iterator_traitsISI_E10value_typeEPNSO_ISJ_E10value_typeEPSK_NS1_7vsmem_tEENKUlT_SI_SJ_SK_E_clISD_PtSD_S10_EESH_SX_SI_SJ_SK_EUlSX_E1_NS1_11comp_targetILNS1_3genE8ELNS1_11target_archE1030ELNS1_3gpuE2ELNS1_3repE0EEENS1_36merge_oddeven_config_static_selectorELNS0_4arch9wavefront6targetE1EEEvSJ_,"axG",@progbits,_ZN7rocprim17ROCPRIM_400000_NS6detail17trampoline_kernelINS0_14default_configENS1_38merge_sort_block_merge_config_selectorIttEEZZNS1_27merge_sort_block_merge_implIS3_N6thrust23THRUST_200600_302600_NS6detail15normal_iteratorINS8_10device_ptrItEEEESD_jNS1_19radix_merge_compareILb0ELb0EtNS0_19identity_decomposerEEEEE10hipError_tT0_T1_T2_jT3_P12ihipStream_tbPNSt15iterator_traitsISI_E10value_typeEPNSO_ISJ_E10value_typeEPSK_NS1_7vsmem_tEENKUlT_SI_SJ_SK_E_clISD_PtSD_S10_EESH_SX_SI_SJ_SK_EUlSX_E1_NS1_11comp_targetILNS1_3genE8ELNS1_11target_archE1030ELNS1_3gpuE2ELNS1_3repE0EEENS1_36merge_oddeven_config_static_selectorELNS0_4arch9wavefront6targetE1EEEvSJ_,comdat
	.protected	_ZN7rocprim17ROCPRIM_400000_NS6detail17trampoline_kernelINS0_14default_configENS1_38merge_sort_block_merge_config_selectorIttEEZZNS1_27merge_sort_block_merge_implIS3_N6thrust23THRUST_200600_302600_NS6detail15normal_iteratorINS8_10device_ptrItEEEESD_jNS1_19radix_merge_compareILb0ELb0EtNS0_19identity_decomposerEEEEE10hipError_tT0_T1_T2_jT3_P12ihipStream_tbPNSt15iterator_traitsISI_E10value_typeEPNSO_ISJ_E10value_typeEPSK_NS1_7vsmem_tEENKUlT_SI_SJ_SK_E_clISD_PtSD_S10_EESH_SX_SI_SJ_SK_EUlSX_E1_NS1_11comp_targetILNS1_3genE8ELNS1_11target_archE1030ELNS1_3gpuE2ELNS1_3repE0EEENS1_36merge_oddeven_config_static_selectorELNS0_4arch9wavefront6targetE1EEEvSJ_ ; -- Begin function _ZN7rocprim17ROCPRIM_400000_NS6detail17trampoline_kernelINS0_14default_configENS1_38merge_sort_block_merge_config_selectorIttEEZZNS1_27merge_sort_block_merge_implIS3_N6thrust23THRUST_200600_302600_NS6detail15normal_iteratorINS8_10device_ptrItEEEESD_jNS1_19radix_merge_compareILb0ELb0EtNS0_19identity_decomposerEEEEE10hipError_tT0_T1_T2_jT3_P12ihipStream_tbPNSt15iterator_traitsISI_E10value_typeEPNSO_ISJ_E10value_typeEPSK_NS1_7vsmem_tEENKUlT_SI_SJ_SK_E_clISD_PtSD_S10_EESH_SX_SI_SJ_SK_EUlSX_E1_NS1_11comp_targetILNS1_3genE8ELNS1_11target_archE1030ELNS1_3gpuE2ELNS1_3repE0EEENS1_36merge_oddeven_config_static_selectorELNS0_4arch9wavefront6targetE1EEEvSJ_
	.globl	_ZN7rocprim17ROCPRIM_400000_NS6detail17trampoline_kernelINS0_14default_configENS1_38merge_sort_block_merge_config_selectorIttEEZZNS1_27merge_sort_block_merge_implIS3_N6thrust23THRUST_200600_302600_NS6detail15normal_iteratorINS8_10device_ptrItEEEESD_jNS1_19radix_merge_compareILb0ELb0EtNS0_19identity_decomposerEEEEE10hipError_tT0_T1_T2_jT3_P12ihipStream_tbPNSt15iterator_traitsISI_E10value_typeEPNSO_ISJ_E10value_typeEPSK_NS1_7vsmem_tEENKUlT_SI_SJ_SK_E_clISD_PtSD_S10_EESH_SX_SI_SJ_SK_EUlSX_E1_NS1_11comp_targetILNS1_3genE8ELNS1_11target_archE1030ELNS1_3gpuE2ELNS1_3repE0EEENS1_36merge_oddeven_config_static_selectorELNS0_4arch9wavefront6targetE1EEEvSJ_
	.p2align	8
	.type	_ZN7rocprim17ROCPRIM_400000_NS6detail17trampoline_kernelINS0_14default_configENS1_38merge_sort_block_merge_config_selectorIttEEZZNS1_27merge_sort_block_merge_implIS3_N6thrust23THRUST_200600_302600_NS6detail15normal_iteratorINS8_10device_ptrItEEEESD_jNS1_19radix_merge_compareILb0ELb0EtNS0_19identity_decomposerEEEEE10hipError_tT0_T1_T2_jT3_P12ihipStream_tbPNSt15iterator_traitsISI_E10value_typeEPNSO_ISJ_E10value_typeEPSK_NS1_7vsmem_tEENKUlT_SI_SJ_SK_E_clISD_PtSD_S10_EESH_SX_SI_SJ_SK_EUlSX_E1_NS1_11comp_targetILNS1_3genE8ELNS1_11target_archE1030ELNS1_3gpuE2ELNS1_3repE0EEENS1_36merge_oddeven_config_static_selectorELNS0_4arch9wavefront6targetE1EEEvSJ_,@function
_ZN7rocprim17ROCPRIM_400000_NS6detail17trampoline_kernelINS0_14default_configENS1_38merge_sort_block_merge_config_selectorIttEEZZNS1_27merge_sort_block_merge_implIS3_N6thrust23THRUST_200600_302600_NS6detail15normal_iteratorINS8_10device_ptrItEEEESD_jNS1_19radix_merge_compareILb0ELb0EtNS0_19identity_decomposerEEEEE10hipError_tT0_T1_T2_jT3_P12ihipStream_tbPNSt15iterator_traitsISI_E10value_typeEPNSO_ISJ_E10value_typeEPSK_NS1_7vsmem_tEENKUlT_SI_SJ_SK_E_clISD_PtSD_S10_EESH_SX_SI_SJ_SK_EUlSX_E1_NS1_11comp_targetILNS1_3genE8ELNS1_11target_archE1030ELNS1_3gpuE2ELNS1_3repE0EEENS1_36merge_oddeven_config_static_selectorELNS0_4arch9wavefront6targetE1EEEvSJ_: ; @_ZN7rocprim17ROCPRIM_400000_NS6detail17trampoline_kernelINS0_14default_configENS1_38merge_sort_block_merge_config_selectorIttEEZZNS1_27merge_sort_block_merge_implIS3_N6thrust23THRUST_200600_302600_NS6detail15normal_iteratorINS8_10device_ptrItEEEESD_jNS1_19radix_merge_compareILb0ELb0EtNS0_19identity_decomposerEEEEE10hipError_tT0_T1_T2_jT3_P12ihipStream_tbPNSt15iterator_traitsISI_E10value_typeEPNSO_ISJ_E10value_typeEPSK_NS1_7vsmem_tEENKUlT_SI_SJ_SK_E_clISD_PtSD_S10_EESH_SX_SI_SJ_SK_EUlSX_E1_NS1_11comp_targetILNS1_3genE8ELNS1_11target_archE1030ELNS1_3gpuE2ELNS1_3repE0EEENS1_36merge_oddeven_config_static_selectorELNS0_4arch9wavefront6targetE1EEEvSJ_
; %bb.0:
	.section	.rodata,"a",@progbits
	.p2align	6, 0x0
	.amdhsa_kernel _ZN7rocprim17ROCPRIM_400000_NS6detail17trampoline_kernelINS0_14default_configENS1_38merge_sort_block_merge_config_selectorIttEEZZNS1_27merge_sort_block_merge_implIS3_N6thrust23THRUST_200600_302600_NS6detail15normal_iteratorINS8_10device_ptrItEEEESD_jNS1_19radix_merge_compareILb0ELb0EtNS0_19identity_decomposerEEEEE10hipError_tT0_T1_T2_jT3_P12ihipStream_tbPNSt15iterator_traitsISI_E10value_typeEPNSO_ISJ_E10value_typeEPSK_NS1_7vsmem_tEENKUlT_SI_SJ_SK_E_clISD_PtSD_S10_EESH_SX_SI_SJ_SK_EUlSX_E1_NS1_11comp_targetILNS1_3genE8ELNS1_11target_archE1030ELNS1_3gpuE2ELNS1_3repE0EEENS1_36merge_oddeven_config_static_selectorELNS0_4arch9wavefront6targetE1EEEvSJ_
		.amdhsa_group_segment_fixed_size 0
		.amdhsa_private_segment_fixed_size 0
		.amdhsa_kernarg_size 48
		.amdhsa_user_sgpr_count 2
		.amdhsa_user_sgpr_dispatch_ptr 0
		.amdhsa_user_sgpr_queue_ptr 0
		.amdhsa_user_sgpr_kernarg_segment_ptr 1
		.amdhsa_user_sgpr_dispatch_id 0
		.amdhsa_user_sgpr_kernarg_preload_length 0
		.amdhsa_user_sgpr_kernarg_preload_offset 0
		.amdhsa_user_sgpr_private_segment_size 0
		.amdhsa_uses_dynamic_stack 0
		.amdhsa_enable_private_segment 0
		.amdhsa_system_sgpr_workgroup_id_x 1
		.amdhsa_system_sgpr_workgroup_id_y 0
		.amdhsa_system_sgpr_workgroup_id_z 0
		.amdhsa_system_sgpr_workgroup_info 0
		.amdhsa_system_vgpr_workitem_id 0
		.amdhsa_next_free_vgpr 1
		.amdhsa_next_free_sgpr 0
		.amdhsa_accum_offset 4
		.amdhsa_reserve_vcc 0
		.amdhsa_float_round_mode_32 0
		.amdhsa_float_round_mode_16_64 0
		.amdhsa_float_denorm_mode_32 3
		.amdhsa_float_denorm_mode_16_64 3
		.amdhsa_dx10_clamp 1
		.amdhsa_ieee_mode 1
		.amdhsa_fp16_overflow 0
		.amdhsa_tg_split 0
		.amdhsa_exception_fp_ieee_invalid_op 0
		.amdhsa_exception_fp_denorm_src 0
		.amdhsa_exception_fp_ieee_div_zero 0
		.amdhsa_exception_fp_ieee_overflow 0
		.amdhsa_exception_fp_ieee_underflow 0
		.amdhsa_exception_fp_ieee_inexact 0
		.amdhsa_exception_int_div_zero 0
	.end_amdhsa_kernel
	.section	.text._ZN7rocprim17ROCPRIM_400000_NS6detail17trampoline_kernelINS0_14default_configENS1_38merge_sort_block_merge_config_selectorIttEEZZNS1_27merge_sort_block_merge_implIS3_N6thrust23THRUST_200600_302600_NS6detail15normal_iteratorINS8_10device_ptrItEEEESD_jNS1_19radix_merge_compareILb0ELb0EtNS0_19identity_decomposerEEEEE10hipError_tT0_T1_T2_jT3_P12ihipStream_tbPNSt15iterator_traitsISI_E10value_typeEPNSO_ISJ_E10value_typeEPSK_NS1_7vsmem_tEENKUlT_SI_SJ_SK_E_clISD_PtSD_S10_EESH_SX_SI_SJ_SK_EUlSX_E1_NS1_11comp_targetILNS1_3genE8ELNS1_11target_archE1030ELNS1_3gpuE2ELNS1_3repE0EEENS1_36merge_oddeven_config_static_selectorELNS0_4arch9wavefront6targetE1EEEvSJ_,"axG",@progbits,_ZN7rocprim17ROCPRIM_400000_NS6detail17trampoline_kernelINS0_14default_configENS1_38merge_sort_block_merge_config_selectorIttEEZZNS1_27merge_sort_block_merge_implIS3_N6thrust23THRUST_200600_302600_NS6detail15normal_iteratorINS8_10device_ptrItEEEESD_jNS1_19radix_merge_compareILb0ELb0EtNS0_19identity_decomposerEEEEE10hipError_tT0_T1_T2_jT3_P12ihipStream_tbPNSt15iterator_traitsISI_E10value_typeEPNSO_ISJ_E10value_typeEPSK_NS1_7vsmem_tEENKUlT_SI_SJ_SK_E_clISD_PtSD_S10_EESH_SX_SI_SJ_SK_EUlSX_E1_NS1_11comp_targetILNS1_3genE8ELNS1_11target_archE1030ELNS1_3gpuE2ELNS1_3repE0EEENS1_36merge_oddeven_config_static_selectorELNS0_4arch9wavefront6targetE1EEEvSJ_,comdat
.Lfunc_end889:
	.size	_ZN7rocprim17ROCPRIM_400000_NS6detail17trampoline_kernelINS0_14default_configENS1_38merge_sort_block_merge_config_selectorIttEEZZNS1_27merge_sort_block_merge_implIS3_N6thrust23THRUST_200600_302600_NS6detail15normal_iteratorINS8_10device_ptrItEEEESD_jNS1_19radix_merge_compareILb0ELb0EtNS0_19identity_decomposerEEEEE10hipError_tT0_T1_T2_jT3_P12ihipStream_tbPNSt15iterator_traitsISI_E10value_typeEPNSO_ISJ_E10value_typeEPSK_NS1_7vsmem_tEENKUlT_SI_SJ_SK_E_clISD_PtSD_S10_EESH_SX_SI_SJ_SK_EUlSX_E1_NS1_11comp_targetILNS1_3genE8ELNS1_11target_archE1030ELNS1_3gpuE2ELNS1_3repE0EEENS1_36merge_oddeven_config_static_selectorELNS0_4arch9wavefront6targetE1EEEvSJ_, .Lfunc_end889-_ZN7rocprim17ROCPRIM_400000_NS6detail17trampoline_kernelINS0_14default_configENS1_38merge_sort_block_merge_config_selectorIttEEZZNS1_27merge_sort_block_merge_implIS3_N6thrust23THRUST_200600_302600_NS6detail15normal_iteratorINS8_10device_ptrItEEEESD_jNS1_19radix_merge_compareILb0ELb0EtNS0_19identity_decomposerEEEEE10hipError_tT0_T1_T2_jT3_P12ihipStream_tbPNSt15iterator_traitsISI_E10value_typeEPNSO_ISJ_E10value_typeEPSK_NS1_7vsmem_tEENKUlT_SI_SJ_SK_E_clISD_PtSD_S10_EESH_SX_SI_SJ_SK_EUlSX_E1_NS1_11comp_targetILNS1_3genE8ELNS1_11target_archE1030ELNS1_3gpuE2ELNS1_3repE0EEENS1_36merge_oddeven_config_static_selectorELNS0_4arch9wavefront6targetE1EEEvSJ_
                                        ; -- End function
	.set _ZN7rocprim17ROCPRIM_400000_NS6detail17trampoline_kernelINS0_14default_configENS1_38merge_sort_block_merge_config_selectorIttEEZZNS1_27merge_sort_block_merge_implIS3_N6thrust23THRUST_200600_302600_NS6detail15normal_iteratorINS8_10device_ptrItEEEESD_jNS1_19radix_merge_compareILb0ELb0EtNS0_19identity_decomposerEEEEE10hipError_tT0_T1_T2_jT3_P12ihipStream_tbPNSt15iterator_traitsISI_E10value_typeEPNSO_ISJ_E10value_typeEPSK_NS1_7vsmem_tEENKUlT_SI_SJ_SK_E_clISD_PtSD_S10_EESH_SX_SI_SJ_SK_EUlSX_E1_NS1_11comp_targetILNS1_3genE8ELNS1_11target_archE1030ELNS1_3gpuE2ELNS1_3repE0EEENS1_36merge_oddeven_config_static_selectorELNS0_4arch9wavefront6targetE1EEEvSJ_.num_vgpr, 0
	.set _ZN7rocprim17ROCPRIM_400000_NS6detail17trampoline_kernelINS0_14default_configENS1_38merge_sort_block_merge_config_selectorIttEEZZNS1_27merge_sort_block_merge_implIS3_N6thrust23THRUST_200600_302600_NS6detail15normal_iteratorINS8_10device_ptrItEEEESD_jNS1_19radix_merge_compareILb0ELb0EtNS0_19identity_decomposerEEEEE10hipError_tT0_T1_T2_jT3_P12ihipStream_tbPNSt15iterator_traitsISI_E10value_typeEPNSO_ISJ_E10value_typeEPSK_NS1_7vsmem_tEENKUlT_SI_SJ_SK_E_clISD_PtSD_S10_EESH_SX_SI_SJ_SK_EUlSX_E1_NS1_11comp_targetILNS1_3genE8ELNS1_11target_archE1030ELNS1_3gpuE2ELNS1_3repE0EEENS1_36merge_oddeven_config_static_selectorELNS0_4arch9wavefront6targetE1EEEvSJ_.num_agpr, 0
	.set _ZN7rocprim17ROCPRIM_400000_NS6detail17trampoline_kernelINS0_14default_configENS1_38merge_sort_block_merge_config_selectorIttEEZZNS1_27merge_sort_block_merge_implIS3_N6thrust23THRUST_200600_302600_NS6detail15normal_iteratorINS8_10device_ptrItEEEESD_jNS1_19radix_merge_compareILb0ELb0EtNS0_19identity_decomposerEEEEE10hipError_tT0_T1_T2_jT3_P12ihipStream_tbPNSt15iterator_traitsISI_E10value_typeEPNSO_ISJ_E10value_typeEPSK_NS1_7vsmem_tEENKUlT_SI_SJ_SK_E_clISD_PtSD_S10_EESH_SX_SI_SJ_SK_EUlSX_E1_NS1_11comp_targetILNS1_3genE8ELNS1_11target_archE1030ELNS1_3gpuE2ELNS1_3repE0EEENS1_36merge_oddeven_config_static_selectorELNS0_4arch9wavefront6targetE1EEEvSJ_.numbered_sgpr, 0
	.set _ZN7rocprim17ROCPRIM_400000_NS6detail17trampoline_kernelINS0_14default_configENS1_38merge_sort_block_merge_config_selectorIttEEZZNS1_27merge_sort_block_merge_implIS3_N6thrust23THRUST_200600_302600_NS6detail15normal_iteratorINS8_10device_ptrItEEEESD_jNS1_19radix_merge_compareILb0ELb0EtNS0_19identity_decomposerEEEEE10hipError_tT0_T1_T2_jT3_P12ihipStream_tbPNSt15iterator_traitsISI_E10value_typeEPNSO_ISJ_E10value_typeEPSK_NS1_7vsmem_tEENKUlT_SI_SJ_SK_E_clISD_PtSD_S10_EESH_SX_SI_SJ_SK_EUlSX_E1_NS1_11comp_targetILNS1_3genE8ELNS1_11target_archE1030ELNS1_3gpuE2ELNS1_3repE0EEENS1_36merge_oddeven_config_static_selectorELNS0_4arch9wavefront6targetE1EEEvSJ_.num_named_barrier, 0
	.set _ZN7rocprim17ROCPRIM_400000_NS6detail17trampoline_kernelINS0_14default_configENS1_38merge_sort_block_merge_config_selectorIttEEZZNS1_27merge_sort_block_merge_implIS3_N6thrust23THRUST_200600_302600_NS6detail15normal_iteratorINS8_10device_ptrItEEEESD_jNS1_19radix_merge_compareILb0ELb0EtNS0_19identity_decomposerEEEEE10hipError_tT0_T1_T2_jT3_P12ihipStream_tbPNSt15iterator_traitsISI_E10value_typeEPNSO_ISJ_E10value_typeEPSK_NS1_7vsmem_tEENKUlT_SI_SJ_SK_E_clISD_PtSD_S10_EESH_SX_SI_SJ_SK_EUlSX_E1_NS1_11comp_targetILNS1_3genE8ELNS1_11target_archE1030ELNS1_3gpuE2ELNS1_3repE0EEENS1_36merge_oddeven_config_static_selectorELNS0_4arch9wavefront6targetE1EEEvSJ_.private_seg_size, 0
	.set _ZN7rocprim17ROCPRIM_400000_NS6detail17trampoline_kernelINS0_14default_configENS1_38merge_sort_block_merge_config_selectorIttEEZZNS1_27merge_sort_block_merge_implIS3_N6thrust23THRUST_200600_302600_NS6detail15normal_iteratorINS8_10device_ptrItEEEESD_jNS1_19radix_merge_compareILb0ELb0EtNS0_19identity_decomposerEEEEE10hipError_tT0_T1_T2_jT3_P12ihipStream_tbPNSt15iterator_traitsISI_E10value_typeEPNSO_ISJ_E10value_typeEPSK_NS1_7vsmem_tEENKUlT_SI_SJ_SK_E_clISD_PtSD_S10_EESH_SX_SI_SJ_SK_EUlSX_E1_NS1_11comp_targetILNS1_3genE8ELNS1_11target_archE1030ELNS1_3gpuE2ELNS1_3repE0EEENS1_36merge_oddeven_config_static_selectorELNS0_4arch9wavefront6targetE1EEEvSJ_.uses_vcc, 0
	.set _ZN7rocprim17ROCPRIM_400000_NS6detail17trampoline_kernelINS0_14default_configENS1_38merge_sort_block_merge_config_selectorIttEEZZNS1_27merge_sort_block_merge_implIS3_N6thrust23THRUST_200600_302600_NS6detail15normal_iteratorINS8_10device_ptrItEEEESD_jNS1_19radix_merge_compareILb0ELb0EtNS0_19identity_decomposerEEEEE10hipError_tT0_T1_T2_jT3_P12ihipStream_tbPNSt15iterator_traitsISI_E10value_typeEPNSO_ISJ_E10value_typeEPSK_NS1_7vsmem_tEENKUlT_SI_SJ_SK_E_clISD_PtSD_S10_EESH_SX_SI_SJ_SK_EUlSX_E1_NS1_11comp_targetILNS1_3genE8ELNS1_11target_archE1030ELNS1_3gpuE2ELNS1_3repE0EEENS1_36merge_oddeven_config_static_selectorELNS0_4arch9wavefront6targetE1EEEvSJ_.uses_flat_scratch, 0
	.set _ZN7rocprim17ROCPRIM_400000_NS6detail17trampoline_kernelINS0_14default_configENS1_38merge_sort_block_merge_config_selectorIttEEZZNS1_27merge_sort_block_merge_implIS3_N6thrust23THRUST_200600_302600_NS6detail15normal_iteratorINS8_10device_ptrItEEEESD_jNS1_19radix_merge_compareILb0ELb0EtNS0_19identity_decomposerEEEEE10hipError_tT0_T1_T2_jT3_P12ihipStream_tbPNSt15iterator_traitsISI_E10value_typeEPNSO_ISJ_E10value_typeEPSK_NS1_7vsmem_tEENKUlT_SI_SJ_SK_E_clISD_PtSD_S10_EESH_SX_SI_SJ_SK_EUlSX_E1_NS1_11comp_targetILNS1_3genE8ELNS1_11target_archE1030ELNS1_3gpuE2ELNS1_3repE0EEENS1_36merge_oddeven_config_static_selectorELNS0_4arch9wavefront6targetE1EEEvSJ_.has_dyn_sized_stack, 0
	.set _ZN7rocprim17ROCPRIM_400000_NS6detail17trampoline_kernelINS0_14default_configENS1_38merge_sort_block_merge_config_selectorIttEEZZNS1_27merge_sort_block_merge_implIS3_N6thrust23THRUST_200600_302600_NS6detail15normal_iteratorINS8_10device_ptrItEEEESD_jNS1_19radix_merge_compareILb0ELb0EtNS0_19identity_decomposerEEEEE10hipError_tT0_T1_T2_jT3_P12ihipStream_tbPNSt15iterator_traitsISI_E10value_typeEPNSO_ISJ_E10value_typeEPSK_NS1_7vsmem_tEENKUlT_SI_SJ_SK_E_clISD_PtSD_S10_EESH_SX_SI_SJ_SK_EUlSX_E1_NS1_11comp_targetILNS1_3genE8ELNS1_11target_archE1030ELNS1_3gpuE2ELNS1_3repE0EEENS1_36merge_oddeven_config_static_selectorELNS0_4arch9wavefront6targetE1EEEvSJ_.has_recursion, 0
	.set _ZN7rocprim17ROCPRIM_400000_NS6detail17trampoline_kernelINS0_14default_configENS1_38merge_sort_block_merge_config_selectorIttEEZZNS1_27merge_sort_block_merge_implIS3_N6thrust23THRUST_200600_302600_NS6detail15normal_iteratorINS8_10device_ptrItEEEESD_jNS1_19radix_merge_compareILb0ELb0EtNS0_19identity_decomposerEEEEE10hipError_tT0_T1_T2_jT3_P12ihipStream_tbPNSt15iterator_traitsISI_E10value_typeEPNSO_ISJ_E10value_typeEPSK_NS1_7vsmem_tEENKUlT_SI_SJ_SK_E_clISD_PtSD_S10_EESH_SX_SI_SJ_SK_EUlSX_E1_NS1_11comp_targetILNS1_3genE8ELNS1_11target_archE1030ELNS1_3gpuE2ELNS1_3repE0EEENS1_36merge_oddeven_config_static_selectorELNS0_4arch9wavefront6targetE1EEEvSJ_.has_indirect_call, 0
	.section	.AMDGPU.csdata,"",@progbits
; Kernel info:
; codeLenInByte = 0
; TotalNumSgprs: 6
; NumVgprs: 0
; NumAgprs: 0
; TotalNumVgprs: 0
; ScratchSize: 0
; MemoryBound: 0
; FloatMode: 240
; IeeeMode: 1
; LDSByteSize: 0 bytes/workgroup (compile time only)
; SGPRBlocks: 0
; VGPRBlocks: 0
; NumSGPRsForWavesPerEU: 6
; NumVGPRsForWavesPerEU: 1
; AccumOffset: 4
; Occupancy: 8
; WaveLimiterHint : 0
; COMPUTE_PGM_RSRC2:SCRATCH_EN: 0
; COMPUTE_PGM_RSRC2:USER_SGPR: 2
; COMPUTE_PGM_RSRC2:TRAP_HANDLER: 0
; COMPUTE_PGM_RSRC2:TGID_X_EN: 1
; COMPUTE_PGM_RSRC2:TGID_Y_EN: 0
; COMPUTE_PGM_RSRC2:TGID_Z_EN: 0
; COMPUTE_PGM_RSRC2:TIDIG_COMP_CNT: 0
; COMPUTE_PGM_RSRC3_GFX90A:ACCUM_OFFSET: 0
; COMPUTE_PGM_RSRC3_GFX90A:TG_SPLIT: 0
	.section	.text._ZN7rocprim17ROCPRIM_400000_NS6detail17trampoline_kernelINS0_14default_configENS1_25transform_config_selectorItLb0EEEZNS1_14transform_implILb0ES3_S5_PtN6thrust23THRUST_200600_302600_NS6detail15normal_iteratorINS9_10device_ptrItEEEENS0_8identityItEEEE10hipError_tT2_T3_mT4_P12ihipStream_tbEUlT_E_NS1_11comp_targetILNS1_3genE0ELNS1_11target_archE4294967295ELNS1_3gpuE0ELNS1_3repE0EEENS1_30default_config_static_selectorELNS0_4arch9wavefront6targetE1EEEvT1_,"axG",@progbits,_ZN7rocprim17ROCPRIM_400000_NS6detail17trampoline_kernelINS0_14default_configENS1_25transform_config_selectorItLb0EEEZNS1_14transform_implILb0ES3_S5_PtN6thrust23THRUST_200600_302600_NS6detail15normal_iteratorINS9_10device_ptrItEEEENS0_8identityItEEEE10hipError_tT2_T3_mT4_P12ihipStream_tbEUlT_E_NS1_11comp_targetILNS1_3genE0ELNS1_11target_archE4294967295ELNS1_3gpuE0ELNS1_3repE0EEENS1_30default_config_static_selectorELNS0_4arch9wavefront6targetE1EEEvT1_,comdat
	.protected	_ZN7rocprim17ROCPRIM_400000_NS6detail17trampoline_kernelINS0_14default_configENS1_25transform_config_selectorItLb0EEEZNS1_14transform_implILb0ES3_S5_PtN6thrust23THRUST_200600_302600_NS6detail15normal_iteratorINS9_10device_ptrItEEEENS0_8identityItEEEE10hipError_tT2_T3_mT4_P12ihipStream_tbEUlT_E_NS1_11comp_targetILNS1_3genE0ELNS1_11target_archE4294967295ELNS1_3gpuE0ELNS1_3repE0EEENS1_30default_config_static_selectorELNS0_4arch9wavefront6targetE1EEEvT1_ ; -- Begin function _ZN7rocprim17ROCPRIM_400000_NS6detail17trampoline_kernelINS0_14default_configENS1_25transform_config_selectorItLb0EEEZNS1_14transform_implILb0ES3_S5_PtN6thrust23THRUST_200600_302600_NS6detail15normal_iteratorINS9_10device_ptrItEEEENS0_8identityItEEEE10hipError_tT2_T3_mT4_P12ihipStream_tbEUlT_E_NS1_11comp_targetILNS1_3genE0ELNS1_11target_archE4294967295ELNS1_3gpuE0ELNS1_3repE0EEENS1_30default_config_static_selectorELNS0_4arch9wavefront6targetE1EEEvT1_
	.globl	_ZN7rocprim17ROCPRIM_400000_NS6detail17trampoline_kernelINS0_14default_configENS1_25transform_config_selectorItLb0EEEZNS1_14transform_implILb0ES3_S5_PtN6thrust23THRUST_200600_302600_NS6detail15normal_iteratorINS9_10device_ptrItEEEENS0_8identityItEEEE10hipError_tT2_T3_mT4_P12ihipStream_tbEUlT_E_NS1_11comp_targetILNS1_3genE0ELNS1_11target_archE4294967295ELNS1_3gpuE0ELNS1_3repE0EEENS1_30default_config_static_selectorELNS0_4arch9wavefront6targetE1EEEvT1_
	.p2align	8
	.type	_ZN7rocprim17ROCPRIM_400000_NS6detail17trampoline_kernelINS0_14default_configENS1_25transform_config_selectorItLb0EEEZNS1_14transform_implILb0ES3_S5_PtN6thrust23THRUST_200600_302600_NS6detail15normal_iteratorINS9_10device_ptrItEEEENS0_8identityItEEEE10hipError_tT2_T3_mT4_P12ihipStream_tbEUlT_E_NS1_11comp_targetILNS1_3genE0ELNS1_11target_archE4294967295ELNS1_3gpuE0ELNS1_3repE0EEENS1_30default_config_static_selectorELNS0_4arch9wavefront6targetE1EEEvT1_,@function
_ZN7rocprim17ROCPRIM_400000_NS6detail17trampoline_kernelINS0_14default_configENS1_25transform_config_selectorItLb0EEEZNS1_14transform_implILb0ES3_S5_PtN6thrust23THRUST_200600_302600_NS6detail15normal_iteratorINS9_10device_ptrItEEEENS0_8identityItEEEE10hipError_tT2_T3_mT4_P12ihipStream_tbEUlT_E_NS1_11comp_targetILNS1_3genE0ELNS1_11target_archE4294967295ELNS1_3gpuE0ELNS1_3repE0EEENS1_30default_config_static_selectorELNS0_4arch9wavefront6targetE1EEEvT1_: ; @_ZN7rocprim17ROCPRIM_400000_NS6detail17trampoline_kernelINS0_14default_configENS1_25transform_config_selectorItLb0EEEZNS1_14transform_implILb0ES3_S5_PtN6thrust23THRUST_200600_302600_NS6detail15normal_iteratorINS9_10device_ptrItEEEENS0_8identityItEEEE10hipError_tT2_T3_mT4_P12ihipStream_tbEUlT_E_NS1_11comp_targetILNS1_3genE0ELNS1_11target_archE4294967295ELNS1_3gpuE0ELNS1_3repE0EEENS1_30default_config_static_selectorELNS0_4arch9wavefront6targetE1EEEvT1_
; %bb.0:
	s_load_dwordx8 s[4:11], s[0:1], 0x0
	s_load_dword s3, s[0:1], 0x28
	v_lshlrev_b32_e32 v4, 1, v0
	s_waitcnt lgkmcnt(0)
	s_lshl_b64 s[0:1], s[6:7], 1
	s_add_u32 s4, s4, s0
	s_addc_u32 s5, s5, s1
	s_add_u32 s9, s10, s0
	s_addc_u32 s16, s11, s1
	s_lshl_b32 s0, s2, 9
	s_mov_b32 s1, 0
	s_add_i32 s3, s3, -1
	s_lshl_b64 s[12:13], s[0:1], 1
	s_add_u32 s14, s4, s12
	s_addc_u32 s15, s5, s13
	s_cmp_lg_u32 s2, s3
	s_cbranch_scc0 .LBB890_2
; %bb.1:
	global_load_ushort v2, v4, s[14:15]
	global_load_ushort v3, v4, s[14:15] offset:256
	global_load_ushort v8, v4, s[14:15] offset:512
	;; [unrolled: 1-line block ×3, first 2 shown]
	s_add_u32 s4, s9, s12
	v_mov_b32_e32 v5, 0
	s_addc_u32 s5, s16, s13
	v_lshl_add_u64 v[6:7], s[4:5], 0, v[4:5]
	s_mov_b64 s[10:11], -1
	s_waitcnt vmcnt(3)
	flat_store_short v[6:7], v2
	s_waitcnt vmcnt(0)
	flat_store_short v[6:7], v3 offset:256
	flat_store_short v[6:7], v8 offset:512
	s_cbranch_execz .LBB890_3
	s_branch .LBB890_17
.LBB890_2:
	s_mov_b64 s[10:11], 0
                                        ; implicit-def: $vgpr1
                                        ; implicit-def: $vgpr6_vgpr7
.LBB890_3:
	s_sub_i32 s6, s8, s0
	v_mov_b32_e32 v2, 0
	v_cmp_gt_u32_e32 vcc, s6, v0
	v_mov_b32_e32 v3, v2
	s_and_saveexec_b64 s[0:1], vcc
	s_cbranch_execz .LBB890_5
; %bb.4:
	global_load_ushort v1, v4, s[14:15]
	v_mov_b32_e32 v7, v2
	s_waitcnt vmcnt(0)
	v_and_b32_e32 v6, 0xffff, v1
	v_mov_b64_e32 v[2:3], v[6:7]
.LBB890_5:
	s_or_b64 exec, exec, s[0:1]
	v_or_b32_e32 v1, 0x80, v0
	v_cmp_gt_u32_e64 s[0:1], s6, v1
	s_and_saveexec_b64 s[2:3], s[0:1]
	s_cbranch_execz .LBB890_7
; %bb.6:
	global_load_ushort v1, v4, s[14:15] offset:256
	s_mov_b32 s4, 0x5040100
	s_waitcnt vmcnt(0)
	v_perm_b32 v2, v1, v2, s4
.LBB890_7:
	s_or_b64 exec, exec, s[2:3]
	v_or_b32_e32 v1, 0x100, v0
	v_cmp_gt_u32_e64 s[2:3], s6, v1
	s_and_saveexec_b64 s[4:5], s[2:3]
	s_cbranch_execz .LBB890_9
; %bb.8:
	global_load_ushort v1, v4, s[14:15] offset:512
	s_mov_b32 s7, 0xffff
	s_waitcnt vmcnt(0)
	v_bfi_b32 v3, s7, v1, v3
.LBB890_9:
	s_or_b64 exec, exec, s[4:5]
	v_or_b32_e32 v1, 0x180, v0
	v_cmp_gt_u32_e64 s[4:5], s6, v1
	v_cmp_le_u32_e64 s[6:7], s6, v1
	s_and_saveexec_b64 s[18:19], s[6:7]
	s_xor_b64 s[6:7], exec, s[18:19]
	s_andn2_saveexec_b64 s[6:7], s[6:7]
	s_cbranch_execz .LBB890_11
; %bb.10:
	v_lshlrev_b32_e32 v1, 1, v0
	global_load_ushort v1, v1, s[14:15] offset:768
	s_mov_b32 s8, 0x5040100
	s_waitcnt vmcnt(0)
	v_perm_b32 v3, v1, v3, s8
.LBB890_11:
	s_or_b64 exec, exec, s[6:7]
	s_add_u32 s6, s9, s12
	v_mov_b32_e32 v5, 0
	s_addc_u32 s7, s16, s13
	v_lshlrev_b32_e32 v4, 1, v0
	v_cndmask_b32_sdwa v1, v5, v2, vcc dst_sel:DWORD dst_unused:UNUSED_PAD src0_sel:DWORD src1_sel:WORD_0
	v_lshl_add_u64 v[6:7], s[6:7], 0, v[4:5]
	s_and_saveexec_b64 s[6:7], vcc
	s_cbranch_execnz .LBB890_20
; %bb.12:
	s_or_b64 exec, exec, s[6:7]
	v_cndmask_b32_e64 v0, v1, v2, s[0:1]
	s_and_saveexec_b64 s[6:7], s[0:1]
	s_cbranch_execnz .LBB890_21
.LBB890_13:
	s_or_b64 exec, exec, s[6:7]
	s_and_saveexec_b64 s[0:1], s[2:3]
	s_cbranch_execnz .LBB890_22
.LBB890_14:
	s_or_b64 exec, exec, s[0:1]
                                        ; implicit-def: $vgpr1
	s_and_saveexec_b64 s[0:1], s[4:5]
.LBB890_15:
	v_cndmask_b32_e64 v0, 0, v3, s[4:5]
	v_lshrrev_b32_e32 v1, 16, v0
	s_or_b64 s[10:11], s[10:11], exec
.LBB890_16:
	s_or_b64 exec, exec, s[0:1]
.LBB890_17:
	s_and_saveexec_b64 s[0:1], s[10:11]
	s_cbranch_execnz .LBB890_19
; %bb.18:
	s_endpgm
.LBB890_19:
	flat_store_short v[6:7], v1 offset:768
	s_endpgm
.LBB890_20:
	flat_store_short v[6:7], v1
	s_or_b64 exec, exec, s[6:7]
	v_cndmask_b32_e64 v0, v1, v2, s[0:1]
	s_and_saveexec_b64 s[6:7], s[0:1]
	s_cbranch_execz .LBB890_13
.LBB890_21:
	flat_store_short_d16_hi v[6:7], v0 offset:256
	s_or_b64 exec, exec, s[6:7]
	s_and_saveexec_b64 s[0:1], s[2:3]
	s_cbranch_execz .LBB890_14
.LBB890_22:
	v_cndmask_b32_e64 v0, 0, v3, s[2:3]
	flat_store_short v[6:7], v0 offset:512
	s_or_b64 exec, exec, s[0:1]
                                        ; implicit-def: $vgpr1
	s_and_saveexec_b64 s[0:1], s[4:5]
	s_cbranch_execnz .LBB890_15
	s_branch .LBB890_16
	.section	.rodata,"a",@progbits
	.p2align	6, 0x0
	.amdhsa_kernel _ZN7rocprim17ROCPRIM_400000_NS6detail17trampoline_kernelINS0_14default_configENS1_25transform_config_selectorItLb0EEEZNS1_14transform_implILb0ES3_S5_PtN6thrust23THRUST_200600_302600_NS6detail15normal_iteratorINS9_10device_ptrItEEEENS0_8identityItEEEE10hipError_tT2_T3_mT4_P12ihipStream_tbEUlT_E_NS1_11comp_targetILNS1_3genE0ELNS1_11target_archE4294967295ELNS1_3gpuE0ELNS1_3repE0EEENS1_30default_config_static_selectorELNS0_4arch9wavefront6targetE1EEEvT1_
		.amdhsa_group_segment_fixed_size 0
		.amdhsa_private_segment_fixed_size 0
		.amdhsa_kernarg_size 296
		.amdhsa_user_sgpr_count 2
		.amdhsa_user_sgpr_dispatch_ptr 0
		.amdhsa_user_sgpr_queue_ptr 0
		.amdhsa_user_sgpr_kernarg_segment_ptr 1
		.amdhsa_user_sgpr_dispatch_id 0
		.amdhsa_user_sgpr_kernarg_preload_length 0
		.amdhsa_user_sgpr_kernarg_preload_offset 0
		.amdhsa_user_sgpr_private_segment_size 0
		.amdhsa_uses_dynamic_stack 0
		.amdhsa_enable_private_segment 0
		.amdhsa_system_sgpr_workgroup_id_x 1
		.amdhsa_system_sgpr_workgroup_id_y 0
		.amdhsa_system_sgpr_workgroup_id_z 0
		.amdhsa_system_sgpr_workgroup_info 0
		.amdhsa_system_vgpr_workitem_id 0
		.amdhsa_next_free_vgpr 9
		.amdhsa_next_free_sgpr 20
		.amdhsa_accum_offset 12
		.amdhsa_reserve_vcc 1
		.amdhsa_float_round_mode_32 0
		.amdhsa_float_round_mode_16_64 0
		.amdhsa_float_denorm_mode_32 3
		.amdhsa_float_denorm_mode_16_64 3
		.amdhsa_dx10_clamp 1
		.amdhsa_ieee_mode 1
		.amdhsa_fp16_overflow 0
		.amdhsa_tg_split 0
		.amdhsa_exception_fp_ieee_invalid_op 0
		.amdhsa_exception_fp_denorm_src 0
		.amdhsa_exception_fp_ieee_div_zero 0
		.amdhsa_exception_fp_ieee_overflow 0
		.amdhsa_exception_fp_ieee_underflow 0
		.amdhsa_exception_fp_ieee_inexact 0
		.amdhsa_exception_int_div_zero 0
	.end_amdhsa_kernel
	.section	.text._ZN7rocprim17ROCPRIM_400000_NS6detail17trampoline_kernelINS0_14default_configENS1_25transform_config_selectorItLb0EEEZNS1_14transform_implILb0ES3_S5_PtN6thrust23THRUST_200600_302600_NS6detail15normal_iteratorINS9_10device_ptrItEEEENS0_8identityItEEEE10hipError_tT2_T3_mT4_P12ihipStream_tbEUlT_E_NS1_11comp_targetILNS1_3genE0ELNS1_11target_archE4294967295ELNS1_3gpuE0ELNS1_3repE0EEENS1_30default_config_static_selectorELNS0_4arch9wavefront6targetE1EEEvT1_,"axG",@progbits,_ZN7rocprim17ROCPRIM_400000_NS6detail17trampoline_kernelINS0_14default_configENS1_25transform_config_selectorItLb0EEEZNS1_14transform_implILb0ES3_S5_PtN6thrust23THRUST_200600_302600_NS6detail15normal_iteratorINS9_10device_ptrItEEEENS0_8identityItEEEE10hipError_tT2_T3_mT4_P12ihipStream_tbEUlT_E_NS1_11comp_targetILNS1_3genE0ELNS1_11target_archE4294967295ELNS1_3gpuE0ELNS1_3repE0EEENS1_30default_config_static_selectorELNS0_4arch9wavefront6targetE1EEEvT1_,comdat
.Lfunc_end890:
	.size	_ZN7rocprim17ROCPRIM_400000_NS6detail17trampoline_kernelINS0_14default_configENS1_25transform_config_selectorItLb0EEEZNS1_14transform_implILb0ES3_S5_PtN6thrust23THRUST_200600_302600_NS6detail15normal_iteratorINS9_10device_ptrItEEEENS0_8identityItEEEE10hipError_tT2_T3_mT4_P12ihipStream_tbEUlT_E_NS1_11comp_targetILNS1_3genE0ELNS1_11target_archE4294967295ELNS1_3gpuE0ELNS1_3repE0EEENS1_30default_config_static_selectorELNS0_4arch9wavefront6targetE1EEEvT1_, .Lfunc_end890-_ZN7rocprim17ROCPRIM_400000_NS6detail17trampoline_kernelINS0_14default_configENS1_25transform_config_selectorItLb0EEEZNS1_14transform_implILb0ES3_S5_PtN6thrust23THRUST_200600_302600_NS6detail15normal_iteratorINS9_10device_ptrItEEEENS0_8identityItEEEE10hipError_tT2_T3_mT4_P12ihipStream_tbEUlT_E_NS1_11comp_targetILNS1_3genE0ELNS1_11target_archE4294967295ELNS1_3gpuE0ELNS1_3repE0EEENS1_30default_config_static_selectorELNS0_4arch9wavefront6targetE1EEEvT1_
                                        ; -- End function
	.set _ZN7rocprim17ROCPRIM_400000_NS6detail17trampoline_kernelINS0_14default_configENS1_25transform_config_selectorItLb0EEEZNS1_14transform_implILb0ES3_S5_PtN6thrust23THRUST_200600_302600_NS6detail15normal_iteratorINS9_10device_ptrItEEEENS0_8identityItEEEE10hipError_tT2_T3_mT4_P12ihipStream_tbEUlT_E_NS1_11comp_targetILNS1_3genE0ELNS1_11target_archE4294967295ELNS1_3gpuE0ELNS1_3repE0EEENS1_30default_config_static_selectorELNS0_4arch9wavefront6targetE1EEEvT1_.num_vgpr, 9
	.set _ZN7rocprim17ROCPRIM_400000_NS6detail17trampoline_kernelINS0_14default_configENS1_25transform_config_selectorItLb0EEEZNS1_14transform_implILb0ES3_S5_PtN6thrust23THRUST_200600_302600_NS6detail15normal_iteratorINS9_10device_ptrItEEEENS0_8identityItEEEE10hipError_tT2_T3_mT4_P12ihipStream_tbEUlT_E_NS1_11comp_targetILNS1_3genE0ELNS1_11target_archE4294967295ELNS1_3gpuE0ELNS1_3repE0EEENS1_30default_config_static_selectorELNS0_4arch9wavefront6targetE1EEEvT1_.num_agpr, 0
	.set _ZN7rocprim17ROCPRIM_400000_NS6detail17trampoline_kernelINS0_14default_configENS1_25transform_config_selectorItLb0EEEZNS1_14transform_implILb0ES3_S5_PtN6thrust23THRUST_200600_302600_NS6detail15normal_iteratorINS9_10device_ptrItEEEENS0_8identityItEEEE10hipError_tT2_T3_mT4_P12ihipStream_tbEUlT_E_NS1_11comp_targetILNS1_3genE0ELNS1_11target_archE4294967295ELNS1_3gpuE0ELNS1_3repE0EEENS1_30default_config_static_selectorELNS0_4arch9wavefront6targetE1EEEvT1_.numbered_sgpr, 20
	.set _ZN7rocprim17ROCPRIM_400000_NS6detail17trampoline_kernelINS0_14default_configENS1_25transform_config_selectorItLb0EEEZNS1_14transform_implILb0ES3_S5_PtN6thrust23THRUST_200600_302600_NS6detail15normal_iteratorINS9_10device_ptrItEEEENS0_8identityItEEEE10hipError_tT2_T3_mT4_P12ihipStream_tbEUlT_E_NS1_11comp_targetILNS1_3genE0ELNS1_11target_archE4294967295ELNS1_3gpuE0ELNS1_3repE0EEENS1_30default_config_static_selectorELNS0_4arch9wavefront6targetE1EEEvT1_.num_named_barrier, 0
	.set _ZN7rocprim17ROCPRIM_400000_NS6detail17trampoline_kernelINS0_14default_configENS1_25transform_config_selectorItLb0EEEZNS1_14transform_implILb0ES3_S5_PtN6thrust23THRUST_200600_302600_NS6detail15normal_iteratorINS9_10device_ptrItEEEENS0_8identityItEEEE10hipError_tT2_T3_mT4_P12ihipStream_tbEUlT_E_NS1_11comp_targetILNS1_3genE0ELNS1_11target_archE4294967295ELNS1_3gpuE0ELNS1_3repE0EEENS1_30default_config_static_selectorELNS0_4arch9wavefront6targetE1EEEvT1_.private_seg_size, 0
	.set _ZN7rocprim17ROCPRIM_400000_NS6detail17trampoline_kernelINS0_14default_configENS1_25transform_config_selectorItLb0EEEZNS1_14transform_implILb0ES3_S5_PtN6thrust23THRUST_200600_302600_NS6detail15normal_iteratorINS9_10device_ptrItEEEENS0_8identityItEEEE10hipError_tT2_T3_mT4_P12ihipStream_tbEUlT_E_NS1_11comp_targetILNS1_3genE0ELNS1_11target_archE4294967295ELNS1_3gpuE0ELNS1_3repE0EEENS1_30default_config_static_selectorELNS0_4arch9wavefront6targetE1EEEvT1_.uses_vcc, 1
	.set _ZN7rocprim17ROCPRIM_400000_NS6detail17trampoline_kernelINS0_14default_configENS1_25transform_config_selectorItLb0EEEZNS1_14transform_implILb0ES3_S5_PtN6thrust23THRUST_200600_302600_NS6detail15normal_iteratorINS9_10device_ptrItEEEENS0_8identityItEEEE10hipError_tT2_T3_mT4_P12ihipStream_tbEUlT_E_NS1_11comp_targetILNS1_3genE0ELNS1_11target_archE4294967295ELNS1_3gpuE0ELNS1_3repE0EEENS1_30default_config_static_selectorELNS0_4arch9wavefront6targetE1EEEvT1_.uses_flat_scratch, 0
	.set _ZN7rocprim17ROCPRIM_400000_NS6detail17trampoline_kernelINS0_14default_configENS1_25transform_config_selectorItLb0EEEZNS1_14transform_implILb0ES3_S5_PtN6thrust23THRUST_200600_302600_NS6detail15normal_iteratorINS9_10device_ptrItEEEENS0_8identityItEEEE10hipError_tT2_T3_mT4_P12ihipStream_tbEUlT_E_NS1_11comp_targetILNS1_3genE0ELNS1_11target_archE4294967295ELNS1_3gpuE0ELNS1_3repE0EEENS1_30default_config_static_selectorELNS0_4arch9wavefront6targetE1EEEvT1_.has_dyn_sized_stack, 0
	.set _ZN7rocprim17ROCPRIM_400000_NS6detail17trampoline_kernelINS0_14default_configENS1_25transform_config_selectorItLb0EEEZNS1_14transform_implILb0ES3_S5_PtN6thrust23THRUST_200600_302600_NS6detail15normal_iteratorINS9_10device_ptrItEEEENS0_8identityItEEEE10hipError_tT2_T3_mT4_P12ihipStream_tbEUlT_E_NS1_11comp_targetILNS1_3genE0ELNS1_11target_archE4294967295ELNS1_3gpuE0ELNS1_3repE0EEENS1_30default_config_static_selectorELNS0_4arch9wavefront6targetE1EEEvT1_.has_recursion, 0
	.set _ZN7rocprim17ROCPRIM_400000_NS6detail17trampoline_kernelINS0_14default_configENS1_25transform_config_selectorItLb0EEEZNS1_14transform_implILb0ES3_S5_PtN6thrust23THRUST_200600_302600_NS6detail15normal_iteratorINS9_10device_ptrItEEEENS0_8identityItEEEE10hipError_tT2_T3_mT4_P12ihipStream_tbEUlT_E_NS1_11comp_targetILNS1_3genE0ELNS1_11target_archE4294967295ELNS1_3gpuE0ELNS1_3repE0EEENS1_30default_config_static_selectorELNS0_4arch9wavefront6targetE1EEEvT1_.has_indirect_call, 0
	.section	.AMDGPU.csdata,"",@progbits
; Kernel info:
; codeLenInByte = 624
; TotalNumSgprs: 26
; NumVgprs: 9
; NumAgprs: 0
; TotalNumVgprs: 9
; ScratchSize: 0
; MemoryBound: 0
; FloatMode: 240
; IeeeMode: 1
; LDSByteSize: 0 bytes/workgroup (compile time only)
; SGPRBlocks: 3
; VGPRBlocks: 1
; NumSGPRsForWavesPerEU: 26
; NumVGPRsForWavesPerEU: 9
; AccumOffset: 12
; Occupancy: 8
; WaveLimiterHint : 1
; COMPUTE_PGM_RSRC2:SCRATCH_EN: 0
; COMPUTE_PGM_RSRC2:USER_SGPR: 2
; COMPUTE_PGM_RSRC2:TRAP_HANDLER: 0
; COMPUTE_PGM_RSRC2:TGID_X_EN: 1
; COMPUTE_PGM_RSRC2:TGID_Y_EN: 0
; COMPUTE_PGM_RSRC2:TGID_Z_EN: 0
; COMPUTE_PGM_RSRC2:TIDIG_COMP_CNT: 0
; COMPUTE_PGM_RSRC3_GFX90A:ACCUM_OFFSET: 2
; COMPUTE_PGM_RSRC3_GFX90A:TG_SPLIT: 0
	.section	.text._ZN7rocprim17ROCPRIM_400000_NS6detail17trampoline_kernelINS0_14default_configENS1_25transform_config_selectorItLb0EEEZNS1_14transform_implILb0ES3_S5_PtN6thrust23THRUST_200600_302600_NS6detail15normal_iteratorINS9_10device_ptrItEEEENS0_8identityItEEEE10hipError_tT2_T3_mT4_P12ihipStream_tbEUlT_E_NS1_11comp_targetILNS1_3genE5ELNS1_11target_archE942ELNS1_3gpuE9ELNS1_3repE0EEENS1_30default_config_static_selectorELNS0_4arch9wavefront6targetE1EEEvT1_,"axG",@progbits,_ZN7rocprim17ROCPRIM_400000_NS6detail17trampoline_kernelINS0_14default_configENS1_25transform_config_selectorItLb0EEEZNS1_14transform_implILb0ES3_S5_PtN6thrust23THRUST_200600_302600_NS6detail15normal_iteratorINS9_10device_ptrItEEEENS0_8identityItEEEE10hipError_tT2_T3_mT4_P12ihipStream_tbEUlT_E_NS1_11comp_targetILNS1_3genE5ELNS1_11target_archE942ELNS1_3gpuE9ELNS1_3repE0EEENS1_30default_config_static_selectorELNS0_4arch9wavefront6targetE1EEEvT1_,comdat
	.protected	_ZN7rocprim17ROCPRIM_400000_NS6detail17trampoline_kernelINS0_14default_configENS1_25transform_config_selectorItLb0EEEZNS1_14transform_implILb0ES3_S5_PtN6thrust23THRUST_200600_302600_NS6detail15normal_iteratorINS9_10device_ptrItEEEENS0_8identityItEEEE10hipError_tT2_T3_mT4_P12ihipStream_tbEUlT_E_NS1_11comp_targetILNS1_3genE5ELNS1_11target_archE942ELNS1_3gpuE9ELNS1_3repE0EEENS1_30default_config_static_selectorELNS0_4arch9wavefront6targetE1EEEvT1_ ; -- Begin function _ZN7rocprim17ROCPRIM_400000_NS6detail17trampoline_kernelINS0_14default_configENS1_25transform_config_selectorItLb0EEEZNS1_14transform_implILb0ES3_S5_PtN6thrust23THRUST_200600_302600_NS6detail15normal_iteratorINS9_10device_ptrItEEEENS0_8identityItEEEE10hipError_tT2_T3_mT4_P12ihipStream_tbEUlT_E_NS1_11comp_targetILNS1_3genE5ELNS1_11target_archE942ELNS1_3gpuE9ELNS1_3repE0EEENS1_30default_config_static_selectorELNS0_4arch9wavefront6targetE1EEEvT1_
	.globl	_ZN7rocprim17ROCPRIM_400000_NS6detail17trampoline_kernelINS0_14default_configENS1_25transform_config_selectorItLb0EEEZNS1_14transform_implILb0ES3_S5_PtN6thrust23THRUST_200600_302600_NS6detail15normal_iteratorINS9_10device_ptrItEEEENS0_8identityItEEEE10hipError_tT2_T3_mT4_P12ihipStream_tbEUlT_E_NS1_11comp_targetILNS1_3genE5ELNS1_11target_archE942ELNS1_3gpuE9ELNS1_3repE0EEENS1_30default_config_static_selectorELNS0_4arch9wavefront6targetE1EEEvT1_
	.p2align	8
	.type	_ZN7rocprim17ROCPRIM_400000_NS6detail17trampoline_kernelINS0_14default_configENS1_25transform_config_selectorItLb0EEEZNS1_14transform_implILb0ES3_S5_PtN6thrust23THRUST_200600_302600_NS6detail15normal_iteratorINS9_10device_ptrItEEEENS0_8identityItEEEE10hipError_tT2_T3_mT4_P12ihipStream_tbEUlT_E_NS1_11comp_targetILNS1_3genE5ELNS1_11target_archE942ELNS1_3gpuE9ELNS1_3repE0EEENS1_30default_config_static_selectorELNS0_4arch9wavefront6targetE1EEEvT1_,@function
_ZN7rocprim17ROCPRIM_400000_NS6detail17trampoline_kernelINS0_14default_configENS1_25transform_config_selectorItLb0EEEZNS1_14transform_implILb0ES3_S5_PtN6thrust23THRUST_200600_302600_NS6detail15normal_iteratorINS9_10device_ptrItEEEENS0_8identityItEEEE10hipError_tT2_T3_mT4_P12ihipStream_tbEUlT_E_NS1_11comp_targetILNS1_3genE5ELNS1_11target_archE942ELNS1_3gpuE9ELNS1_3repE0EEENS1_30default_config_static_selectorELNS0_4arch9wavefront6targetE1EEEvT1_: ; @_ZN7rocprim17ROCPRIM_400000_NS6detail17trampoline_kernelINS0_14default_configENS1_25transform_config_selectorItLb0EEEZNS1_14transform_implILb0ES3_S5_PtN6thrust23THRUST_200600_302600_NS6detail15normal_iteratorINS9_10device_ptrItEEEENS0_8identityItEEEE10hipError_tT2_T3_mT4_P12ihipStream_tbEUlT_E_NS1_11comp_targetILNS1_3genE5ELNS1_11target_archE942ELNS1_3gpuE9ELNS1_3repE0EEENS1_30default_config_static_selectorELNS0_4arch9wavefront6targetE1EEEvT1_
; %bb.0:
	.section	.rodata,"a",@progbits
	.p2align	6, 0x0
	.amdhsa_kernel _ZN7rocprim17ROCPRIM_400000_NS6detail17trampoline_kernelINS0_14default_configENS1_25transform_config_selectorItLb0EEEZNS1_14transform_implILb0ES3_S5_PtN6thrust23THRUST_200600_302600_NS6detail15normal_iteratorINS9_10device_ptrItEEEENS0_8identityItEEEE10hipError_tT2_T3_mT4_P12ihipStream_tbEUlT_E_NS1_11comp_targetILNS1_3genE5ELNS1_11target_archE942ELNS1_3gpuE9ELNS1_3repE0EEENS1_30default_config_static_selectorELNS0_4arch9wavefront6targetE1EEEvT1_
		.amdhsa_group_segment_fixed_size 0
		.amdhsa_private_segment_fixed_size 0
		.amdhsa_kernarg_size 40
		.amdhsa_user_sgpr_count 2
		.amdhsa_user_sgpr_dispatch_ptr 0
		.amdhsa_user_sgpr_queue_ptr 0
		.amdhsa_user_sgpr_kernarg_segment_ptr 1
		.amdhsa_user_sgpr_dispatch_id 0
		.amdhsa_user_sgpr_kernarg_preload_length 0
		.amdhsa_user_sgpr_kernarg_preload_offset 0
		.amdhsa_user_sgpr_private_segment_size 0
		.amdhsa_uses_dynamic_stack 0
		.amdhsa_enable_private_segment 0
		.amdhsa_system_sgpr_workgroup_id_x 1
		.amdhsa_system_sgpr_workgroup_id_y 0
		.amdhsa_system_sgpr_workgroup_id_z 0
		.amdhsa_system_sgpr_workgroup_info 0
		.amdhsa_system_vgpr_workitem_id 0
		.amdhsa_next_free_vgpr 1
		.amdhsa_next_free_sgpr 0
		.amdhsa_accum_offset 4
		.amdhsa_reserve_vcc 0
		.amdhsa_float_round_mode_32 0
		.amdhsa_float_round_mode_16_64 0
		.amdhsa_float_denorm_mode_32 3
		.amdhsa_float_denorm_mode_16_64 3
		.amdhsa_dx10_clamp 1
		.amdhsa_ieee_mode 1
		.amdhsa_fp16_overflow 0
		.amdhsa_tg_split 0
		.amdhsa_exception_fp_ieee_invalid_op 0
		.amdhsa_exception_fp_denorm_src 0
		.amdhsa_exception_fp_ieee_div_zero 0
		.amdhsa_exception_fp_ieee_overflow 0
		.amdhsa_exception_fp_ieee_underflow 0
		.amdhsa_exception_fp_ieee_inexact 0
		.amdhsa_exception_int_div_zero 0
	.end_amdhsa_kernel
	.section	.text._ZN7rocprim17ROCPRIM_400000_NS6detail17trampoline_kernelINS0_14default_configENS1_25transform_config_selectorItLb0EEEZNS1_14transform_implILb0ES3_S5_PtN6thrust23THRUST_200600_302600_NS6detail15normal_iteratorINS9_10device_ptrItEEEENS0_8identityItEEEE10hipError_tT2_T3_mT4_P12ihipStream_tbEUlT_E_NS1_11comp_targetILNS1_3genE5ELNS1_11target_archE942ELNS1_3gpuE9ELNS1_3repE0EEENS1_30default_config_static_selectorELNS0_4arch9wavefront6targetE1EEEvT1_,"axG",@progbits,_ZN7rocprim17ROCPRIM_400000_NS6detail17trampoline_kernelINS0_14default_configENS1_25transform_config_selectorItLb0EEEZNS1_14transform_implILb0ES3_S5_PtN6thrust23THRUST_200600_302600_NS6detail15normal_iteratorINS9_10device_ptrItEEEENS0_8identityItEEEE10hipError_tT2_T3_mT4_P12ihipStream_tbEUlT_E_NS1_11comp_targetILNS1_3genE5ELNS1_11target_archE942ELNS1_3gpuE9ELNS1_3repE0EEENS1_30default_config_static_selectorELNS0_4arch9wavefront6targetE1EEEvT1_,comdat
.Lfunc_end891:
	.size	_ZN7rocprim17ROCPRIM_400000_NS6detail17trampoline_kernelINS0_14default_configENS1_25transform_config_selectorItLb0EEEZNS1_14transform_implILb0ES3_S5_PtN6thrust23THRUST_200600_302600_NS6detail15normal_iteratorINS9_10device_ptrItEEEENS0_8identityItEEEE10hipError_tT2_T3_mT4_P12ihipStream_tbEUlT_E_NS1_11comp_targetILNS1_3genE5ELNS1_11target_archE942ELNS1_3gpuE9ELNS1_3repE0EEENS1_30default_config_static_selectorELNS0_4arch9wavefront6targetE1EEEvT1_, .Lfunc_end891-_ZN7rocprim17ROCPRIM_400000_NS6detail17trampoline_kernelINS0_14default_configENS1_25transform_config_selectorItLb0EEEZNS1_14transform_implILb0ES3_S5_PtN6thrust23THRUST_200600_302600_NS6detail15normal_iteratorINS9_10device_ptrItEEEENS0_8identityItEEEE10hipError_tT2_T3_mT4_P12ihipStream_tbEUlT_E_NS1_11comp_targetILNS1_3genE5ELNS1_11target_archE942ELNS1_3gpuE9ELNS1_3repE0EEENS1_30default_config_static_selectorELNS0_4arch9wavefront6targetE1EEEvT1_
                                        ; -- End function
	.set _ZN7rocprim17ROCPRIM_400000_NS6detail17trampoline_kernelINS0_14default_configENS1_25transform_config_selectorItLb0EEEZNS1_14transform_implILb0ES3_S5_PtN6thrust23THRUST_200600_302600_NS6detail15normal_iteratorINS9_10device_ptrItEEEENS0_8identityItEEEE10hipError_tT2_T3_mT4_P12ihipStream_tbEUlT_E_NS1_11comp_targetILNS1_3genE5ELNS1_11target_archE942ELNS1_3gpuE9ELNS1_3repE0EEENS1_30default_config_static_selectorELNS0_4arch9wavefront6targetE1EEEvT1_.num_vgpr, 0
	.set _ZN7rocprim17ROCPRIM_400000_NS6detail17trampoline_kernelINS0_14default_configENS1_25transform_config_selectorItLb0EEEZNS1_14transform_implILb0ES3_S5_PtN6thrust23THRUST_200600_302600_NS6detail15normal_iteratorINS9_10device_ptrItEEEENS0_8identityItEEEE10hipError_tT2_T3_mT4_P12ihipStream_tbEUlT_E_NS1_11comp_targetILNS1_3genE5ELNS1_11target_archE942ELNS1_3gpuE9ELNS1_3repE0EEENS1_30default_config_static_selectorELNS0_4arch9wavefront6targetE1EEEvT1_.num_agpr, 0
	.set _ZN7rocprim17ROCPRIM_400000_NS6detail17trampoline_kernelINS0_14default_configENS1_25transform_config_selectorItLb0EEEZNS1_14transform_implILb0ES3_S5_PtN6thrust23THRUST_200600_302600_NS6detail15normal_iteratorINS9_10device_ptrItEEEENS0_8identityItEEEE10hipError_tT2_T3_mT4_P12ihipStream_tbEUlT_E_NS1_11comp_targetILNS1_3genE5ELNS1_11target_archE942ELNS1_3gpuE9ELNS1_3repE0EEENS1_30default_config_static_selectorELNS0_4arch9wavefront6targetE1EEEvT1_.numbered_sgpr, 0
	.set _ZN7rocprim17ROCPRIM_400000_NS6detail17trampoline_kernelINS0_14default_configENS1_25transform_config_selectorItLb0EEEZNS1_14transform_implILb0ES3_S5_PtN6thrust23THRUST_200600_302600_NS6detail15normal_iteratorINS9_10device_ptrItEEEENS0_8identityItEEEE10hipError_tT2_T3_mT4_P12ihipStream_tbEUlT_E_NS1_11comp_targetILNS1_3genE5ELNS1_11target_archE942ELNS1_3gpuE9ELNS1_3repE0EEENS1_30default_config_static_selectorELNS0_4arch9wavefront6targetE1EEEvT1_.num_named_barrier, 0
	.set _ZN7rocprim17ROCPRIM_400000_NS6detail17trampoline_kernelINS0_14default_configENS1_25transform_config_selectorItLb0EEEZNS1_14transform_implILb0ES3_S5_PtN6thrust23THRUST_200600_302600_NS6detail15normal_iteratorINS9_10device_ptrItEEEENS0_8identityItEEEE10hipError_tT2_T3_mT4_P12ihipStream_tbEUlT_E_NS1_11comp_targetILNS1_3genE5ELNS1_11target_archE942ELNS1_3gpuE9ELNS1_3repE0EEENS1_30default_config_static_selectorELNS0_4arch9wavefront6targetE1EEEvT1_.private_seg_size, 0
	.set _ZN7rocprim17ROCPRIM_400000_NS6detail17trampoline_kernelINS0_14default_configENS1_25transform_config_selectorItLb0EEEZNS1_14transform_implILb0ES3_S5_PtN6thrust23THRUST_200600_302600_NS6detail15normal_iteratorINS9_10device_ptrItEEEENS0_8identityItEEEE10hipError_tT2_T3_mT4_P12ihipStream_tbEUlT_E_NS1_11comp_targetILNS1_3genE5ELNS1_11target_archE942ELNS1_3gpuE9ELNS1_3repE0EEENS1_30default_config_static_selectorELNS0_4arch9wavefront6targetE1EEEvT1_.uses_vcc, 0
	.set _ZN7rocprim17ROCPRIM_400000_NS6detail17trampoline_kernelINS0_14default_configENS1_25transform_config_selectorItLb0EEEZNS1_14transform_implILb0ES3_S5_PtN6thrust23THRUST_200600_302600_NS6detail15normal_iteratorINS9_10device_ptrItEEEENS0_8identityItEEEE10hipError_tT2_T3_mT4_P12ihipStream_tbEUlT_E_NS1_11comp_targetILNS1_3genE5ELNS1_11target_archE942ELNS1_3gpuE9ELNS1_3repE0EEENS1_30default_config_static_selectorELNS0_4arch9wavefront6targetE1EEEvT1_.uses_flat_scratch, 0
	.set _ZN7rocprim17ROCPRIM_400000_NS6detail17trampoline_kernelINS0_14default_configENS1_25transform_config_selectorItLb0EEEZNS1_14transform_implILb0ES3_S5_PtN6thrust23THRUST_200600_302600_NS6detail15normal_iteratorINS9_10device_ptrItEEEENS0_8identityItEEEE10hipError_tT2_T3_mT4_P12ihipStream_tbEUlT_E_NS1_11comp_targetILNS1_3genE5ELNS1_11target_archE942ELNS1_3gpuE9ELNS1_3repE0EEENS1_30default_config_static_selectorELNS0_4arch9wavefront6targetE1EEEvT1_.has_dyn_sized_stack, 0
	.set _ZN7rocprim17ROCPRIM_400000_NS6detail17trampoline_kernelINS0_14default_configENS1_25transform_config_selectorItLb0EEEZNS1_14transform_implILb0ES3_S5_PtN6thrust23THRUST_200600_302600_NS6detail15normal_iteratorINS9_10device_ptrItEEEENS0_8identityItEEEE10hipError_tT2_T3_mT4_P12ihipStream_tbEUlT_E_NS1_11comp_targetILNS1_3genE5ELNS1_11target_archE942ELNS1_3gpuE9ELNS1_3repE0EEENS1_30default_config_static_selectorELNS0_4arch9wavefront6targetE1EEEvT1_.has_recursion, 0
	.set _ZN7rocprim17ROCPRIM_400000_NS6detail17trampoline_kernelINS0_14default_configENS1_25transform_config_selectorItLb0EEEZNS1_14transform_implILb0ES3_S5_PtN6thrust23THRUST_200600_302600_NS6detail15normal_iteratorINS9_10device_ptrItEEEENS0_8identityItEEEE10hipError_tT2_T3_mT4_P12ihipStream_tbEUlT_E_NS1_11comp_targetILNS1_3genE5ELNS1_11target_archE942ELNS1_3gpuE9ELNS1_3repE0EEENS1_30default_config_static_selectorELNS0_4arch9wavefront6targetE1EEEvT1_.has_indirect_call, 0
	.section	.AMDGPU.csdata,"",@progbits
; Kernel info:
; codeLenInByte = 0
; TotalNumSgprs: 6
; NumVgprs: 0
; NumAgprs: 0
; TotalNumVgprs: 0
; ScratchSize: 0
; MemoryBound: 0
; FloatMode: 240
; IeeeMode: 1
; LDSByteSize: 0 bytes/workgroup (compile time only)
; SGPRBlocks: 0
; VGPRBlocks: 0
; NumSGPRsForWavesPerEU: 6
; NumVGPRsForWavesPerEU: 1
; AccumOffset: 4
; Occupancy: 8
; WaveLimiterHint : 0
; COMPUTE_PGM_RSRC2:SCRATCH_EN: 0
; COMPUTE_PGM_RSRC2:USER_SGPR: 2
; COMPUTE_PGM_RSRC2:TRAP_HANDLER: 0
; COMPUTE_PGM_RSRC2:TGID_X_EN: 1
; COMPUTE_PGM_RSRC2:TGID_Y_EN: 0
; COMPUTE_PGM_RSRC2:TGID_Z_EN: 0
; COMPUTE_PGM_RSRC2:TIDIG_COMP_CNT: 0
; COMPUTE_PGM_RSRC3_GFX90A:ACCUM_OFFSET: 0
; COMPUTE_PGM_RSRC3_GFX90A:TG_SPLIT: 0
	.section	.text._ZN7rocprim17ROCPRIM_400000_NS6detail17trampoline_kernelINS0_14default_configENS1_25transform_config_selectorItLb0EEEZNS1_14transform_implILb0ES3_S5_PtN6thrust23THRUST_200600_302600_NS6detail15normal_iteratorINS9_10device_ptrItEEEENS0_8identityItEEEE10hipError_tT2_T3_mT4_P12ihipStream_tbEUlT_E_NS1_11comp_targetILNS1_3genE4ELNS1_11target_archE910ELNS1_3gpuE8ELNS1_3repE0EEENS1_30default_config_static_selectorELNS0_4arch9wavefront6targetE1EEEvT1_,"axG",@progbits,_ZN7rocprim17ROCPRIM_400000_NS6detail17trampoline_kernelINS0_14default_configENS1_25transform_config_selectorItLb0EEEZNS1_14transform_implILb0ES3_S5_PtN6thrust23THRUST_200600_302600_NS6detail15normal_iteratorINS9_10device_ptrItEEEENS0_8identityItEEEE10hipError_tT2_T3_mT4_P12ihipStream_tbEUlT_E_NS1_11comp_targetILNS1_3genE4ELNS1_11target_archE910ELNS1_3gpuE8ELNS1_3repE0EEENS1_30default_config_static_selectorELNS0_4arch9wavefront6targetE1EEEvT1_,comdat
	.protected	_ZN7rocprim17ROCPRIM_400000_NS6detail17trampoline_kernelINS0_14default_configENS1_25transform_config_selectorItLb0EEEZNS1_14transform_implILb0ES3_S5_PtN6thrust23THRUST_200600_302600_NS6detail15normal_iteratorINS9_10device_ptrItEEEENS0_8identityItEEEE10hipError_tT2_T3_mT4_P12ihipStream_tbEUlT_E_NS1_11comp_targetILNS1_3genE4ELNS1_11target_archE910ELNS1_3gpuE8ELNS1_3repE0EEENS1_30default_config_static_selectorELNS0_4arch9wavefront6targetE1EEEvT1_ ; -- Begin function _ZN7rocprim17ROCPRIM_400000_NS6detail17trampoline_kernelINS0_14default_configENS1_25transform_config_selectorItLb0EEEZNS1_14transform_implILb0ES3_S5_PtN6thrust23THRUST_200600_302600_NS6detail15normal_iteratorINS9_10device_ptrItEEEENS0_8identityItEEEE10hipError_tT2_T3_mT4_P12ihipStream_tbEUlT_E_NS1_11comp_targetILNS1_3genE4ELNS1_11target_archE910ELNS1_3gpuE8ELNS1_3repE0EEENS1_30default_config_static_selectorELNS0_4arch9wavefront6targetE1EEEvT1_
	.globl	_ZN7rocprim17ROCPRIM_400000_NS6detail17trampoline_kernelINS0_14default_configENS1_25transform_config_selectorItLb0EEEZNS1_14transform_implILb0ES3_S5_PtN6thrust23THRUST_200600_302600_NS6detail15normal_iteratorINS9_10device_ptrItEEEENS0_8identityItEEEE10hipError_tT2_T3_mT4_P12ihipStream_tbEUlT_E_NS1_11comp_targetILNS1_3genE4ELNS1_11target_archE910ELNS1_3gpuE8ELNS1_3repE0EEENS1_30default_config_static_selectorELNS0_4arch9wavefront6targetE1EEEvT1_
	.p2align	8
	.type	_ZN7rocprim17ROCPRIM_400000_NS6detail17trampoline_kernelINS0_14default_configENS1_25transform_config_selectorItLb0EEEZNS1_14transform_implILb0ES3_S5_PtN6thrust23THRUST_200600_302600_NS6detail15normal_iteratorINS9_10device_ptrItEEEENS0_8identityItEEEE10hipError_tT2_T3_mT4_P12ihipStream_tbEUlT_E_NS1_11comp_targetILNS1_3genE4ELNS1_11target_archE910ELNS1_3gpuE8ELNS1_3repE0EEENS1_30default_config_static_selectorELNS0_4arch9wavefront6targetE1EEEvT1_,@function
_ZN7rocprim17ROCPRIM_400000_NS6detail17trampoline_kernelINS0_14default_configENS1_25transform_config_selectorItLb0EEEZNS1_14transform_implILb0ES3_S5_PtN6thrust23THRUST_200600_302600_NS6detail15normal_iteratorINS9_10device_ptrItEEEENS0_8identityItEEEE10hipError_tT2_T3_mT4_P12ihipStream_tbEUlT_E_NS1_11comp_targetILNS1_3genE4ELNS1_11target_archE910ELNS1_3gpuE8ELNS1_3repE0EEENS1_30default_config_static_selectorELNS0_4arch9wavefront6targetE1EEEvT1_: ; @_ZN7rocprim17ROCPRIM_400000_NS6detail17trampoline_kernelINS0_14default_configENS1_25transform_config_selectorItLb0EEEZNS1_14transform_implILb0ES3_S5_PtN6thrust23THRUST_200600_302600_NS6detail15normal_iteratorINS9_10device_ptrItEEEENS0_8identityItEEEE10hipError_tT2_T3_mT4_P12ihipStream_tbEUlT_E_NS1_11comp_targetILNS1_3genE4ELNS1_11target_archE910ELNS1_3gpuE8ELNS1_3repE0EEENS1_30default_config_static_selectorELNS0_4arch9wavefront6targetE1EEEvT1_
; %bb.0:
	.section	.rodata,"a",@progbits
	.p2align	6, 0x0
	.amdhsa_kernel _ZN7rocprim17ROCPRIM_400000_NS6detail17trampoline_kernelINS0_14default_configENS1_25transform_config_selectorItLb0EEEZNS1_14transform_implILb0ES3_S5_PtN6thrust23THRUST_200600_302600_NS6detail15normal_iteratorINS9_10device_ptrItEEEENS0_8identityItEEEE10hipError_tT2_T3_mT4_P12ihipStream_tbEUlT_E_NS1_11comp_targetILNS1_3genE4ELNS1_11target_archE910ELNS1_3gpuE8ELNS1_3repE0EEENS1_30default_config_static_selectorELNS0_4arch9wavefront6targetE1EEEvT1_
		.amdhsa_group_segment_fixed_size 0
		.amdhsa_private_segment_fixed_size 0
		.amdhsa_kernarg_size 40
		.amdhsa_user_sgpr_count 2
		.amdhsa_user_sgpr_dispatch_ptr 0
		.amdhsa_user_sgpr_queue_ptr 0
		.amdhsa_user_sgpr_kernarg_segment_ptr 1
		.amdhsa_user_sgpr_dispatch_id 0
		.amdhsa_user_sgpr_kernarg_preload_length 0
		.amdhsa_user_sgpr_kernarg_preload_offset 0
		.amdhsa_user_sgpr_private_segment_size 0
		.amdhsa_uses_dynamic_stack 0
		.amdhsa_enable_private_segment 0
		.amdhsa_system_sgpr_workgroup_id_x 1
		.amdhsa_system_sgpr_workgroup_id_y 0
		.amdhsa_system_sgpr_workgroup_id_z 0
		.amdhsa_system_sgpr_workgroup_info 0
		.amdhsa_system_vgpr_workitem_id 0
		.amdhsa_next_free_vgpr 1
		.amdhsa_next_free_sgpr 0
		.amdhsa_accum_offset 4
		.amdhsa_reserve_vcc 0
		.amdhsa_float_round_mode_32 0
		.amdhsa_float_round_mode_16_64 0
		.amdhsa_float_denorm_mode_32 3
		.amdhsa_float_denorm_mode_16_64 3
		.amdhsa_dx10_clamp 1
		.amdhsa_ieee_mode 1
		.amdhsa_fp16_overflow 0
		.amdhsa_tg_split 0
		.amdhsa_exception_fp_ieee_invalid_op 0
		.amdhsa_exception_fp_denorm_src 0
		.amdhsa_exception_fp_ieee_div_zero 0
		.amdhsa_exception_fp_ieee_overflow 0
		.amdhsa_exception_fp_ieee_underflow 0
		.amdhsa_exception_fp_ieee_inexact 0
		.amdhsa_exception_int_div_zero 0
	.end_amdhsa_kernel
	.section	.text._ZN7rocprim17ROCPRIM_400000_NS6detail17trampoline_kernelINS0_14default_configENS1_25transform_config_selectorItLb0EEEZNS1_14transform_implILb0ES3_S5_PtN6thrust23THRUST_200600_302600_NS6detail15normal_iteratorINS9_10device_ptrItEEEENS0_8identityItEEEE10hipError_tT2_T3_mT4_P12ihipStream_tbEUlT_E_NS1_11comp_targetILNS1_3genE4ELNS1_11target_archE910ELNS1_3gpuE8ELNS1_3repE0EEENS1_30default_config_static_selectorELNS0_4arch9wavefront6targetE1EEEvT1_,"axG",@progbits,_ZN7rocprim17ROCPRIM_400000_NS6detail17trampoline_kernelINS0_14default_configENS1_25transform_config_selectorItLb0EEEZNS1_14transform_implILb0ES3_S5_PtN6thrust23THRUST_200600_302600_NS6detail15normal_iteratorINS9_10device_ptrItEEEENS0_8identityItEEEE10hipError_tT2_T3_mT4_P12ihipStream_tbEUlT_E_NS1_11comp_targetILNS1_3genE4ELNS1_11target_archE910ELNS1_3gpuE8ELNS1_3repE0EEENS1_30default_config_static_selectorELNS0_4arch9wavefront6targetE1EEEvT1_,comdat
.Lfunc_end892:
	.size	_ZN7rocprim17ROCPRIM_400000_NS6detail17trampoline_kernelINS0_14default_configENS1_25transform_config_selectorItLb0EEEZNS1_14transform_implILb0ES3_S5_PtN6thrust23THRUST_200600_302600_NS6detail15normal_iteratorINS9_10device_ptrItEEEENS0_8identityItEEEE10hipError_tT2_T3_mT4_P12ihipStream_tbEUlT_E_NS1_11comp_targetILNS1_3genE4ELNS1_11target_archE910ELNS1_3gpuE8ELNS1_3repE0EEENS1_30default_config_static_selectorELNS0_4arch9wavefront6targetE1EEEvT1_, .Lfunc_end892-_ZN7rocprim17ROCPRIM_400000_NS6detail17trampoline_kernelINS0_14default_configENS1_25transform_config_selectorItLb0EEEZNS1_14transform_implILb0ES3_S5_PtN6thrust23THRUST_200600_302600_NS6detail15normal_iteratorINS9_10device_ptrItEEEENS0_8identityItEEEE10hipError_tT2_T3_mT4_P12ihipStream_tbEUlT_E_NS1_11comp_targetILNS1_3genE4ELNS1_11target_archE910ELNS1_3gpuE8ELNS1_3repE0EEENS1_30default_config_static_selectorELNS0_4arch9wavefront6targetE1EEEvT1_
                                        ; -- End function
	.set _ZN7rocprim17ROCPRIM_400000_NS6detail17trampoline_kernelINS0_14default_configENS1_25transform_config_selectorItLb0EEEZNS1_14transform_implILb0ES3_S5_PtN6thrust23THRUST_200600_302600_NS6detail15normal_iteratorINS9_10device_ptrItEEEENS0_8identityItEEEE10hipError_tT2_T3_mT4_P12ihipStream_tbEUlT_E_NS1_11comp_targetILNS1_3genE4ELNS1_11target_archE910ELNS1_3gpuE8ELNS1_3repE0EEENS1_30default_config_static_selectorELNS0_4arch9wavefront6targetE1EEEvT1_.num_vgpr, 0
	.set _ZN7rocprim17ROCPRIM_400000_NS6detail17trampoline_kernelINS0_14default_configENS1_25transform_config_selectorItLb0EEEZNS1_14transform_implILb0ES3_S5_PtN6thrust23THRUST_200600_302600_NS6detail15normal_iteratorINS9_10device_ptrItEEEENS0_8identityItEEEE10hipError_tT2_T3_mT4_P12ihipStream_tbEUlT_E_NS1_11comp_targetILNS1_3genE4ELNS1_11target_archE910ELNS1_3gpuE8ELNS1_3repE0EEENS1_30default_config_static_selectorELNS0_4arch9wavefront6targetE1EEEvT1_.num_agpr, 0
	.set _ZN7rocprim17ROCPRIM_400000_NS6detail17trampoline_kernelINS0_14default_configENS1_25transform_config_selectorItLb0EEEZNS1_14transform_implILb0ES3_S5_PtN6thrust23THRUST_200600_302600_NS6detail15normal_iteratorINS9_10device_ptrItEEEENS0_8identityItEEEE10hipError_tT2_T3_mT4_P12ihipStream_tbEUlT_E_NS1_11comp_targetILNS1_3genE4ELNS1_11target_archE910ELNS1_3gpuE8ELNS1_3repE0EEENS1_30default_config_static_selectorELNS0_4arch9wavefront6targetE1EEEvT1_.numbered_sgpr, 0
	.set _ZN7rocprim17ROCPRIM_400000_NS6detail17trampoline_kernelINS0_14default_configENS1_25transform_config_selectorItLb0EEEZNS1_14transform_implILb0ES3_S5_PtN6thrust23THRUST_200600_302600_NS6detail15normal_iteratorINS9_10device_ptrItEEEENS0_8identityItEEEE10hipError_tT2_T3_mT4_P12ihipStream_tbEUlT_E_NS1_11comp_targetILNS1_3genE4ELNS1_11target_archE910ELNS1_3gpuE8ELNS1_3repE0EEENS1_30default_config_static_selectorELNS0_4arch9wavefront6targetE1EEEvT1_.num_named_barrier, 0
	.set _ZN7rocprim17ROCPRIM_400000_NS6detail17trampoline_kernelINS0_14default_configENS1_25transform_config_selectorItLb0EEEZNS1_14transform_implILb0ES3_S5_PtN6thrust23THRUST_200600_302600_NS6detail15normal_iteratorINS9_10device_ptrItEEEENS0_8identityItEEEE10hipError_tT2_T3_mT4_P12ihipStream_tbEUlT_E_NS1_11comp_targetILNS1_3genE4ELNS1_11target_archE910ELNS1_3gpuE8ELNS1_3repE0EEENS1_30default_config_static_selectorELNS0_4arch9wavefront6targetE1EEEvT1_.private_seg_size, 0
	.set _ZN7rocprim17ROCPRIM_400000_NS6detail17trampoline_kernelINS0_14default_configENS1_25transform_config_selectorItLb0EEEZNS1_14transform_implILb0ES3_S5_PtN6thrust23THRUST_200600_302600_NS6detail15normal_iteratorINS9_10device_ptrItEEEENS0_8identityItEEEE10hipError_tT2_T3_mT4_P12ihipStream_tbEUlT_E_NS1_11comp_targetILNS1_3genE4ELNS1_11target_archE910ELNS1_3gpuE8ELNS1_3repE0EEENS1_30default_config_static_selectorELNS0_4arch9wavefront6targetE1EEEvT1_.uses_vcc, 0
	.set _ZN7rocprim17ROCPRIM_400000_NS6detail17trampoline_kernelINS0_14default_configENS1_25transform_config_selectorItLb0EEEZNS1_14transform_implILb0ES3_S5_PtN6thrust23THRUST_200600_302600_NS6detail15normal_iteratorINS9_10device_ptrItEEEENS0_8identityItEEEE10hipError_tT2_T3_mT4_P12ihipStream_tbEUlT_E_NS1_11comp_targetILNS1_3genE4ELNS1_11target_archE910ELNS1_3gpuE8ELNS1_3repE0EEENS1_30default_config_static_selectorELNS0_4arch9wavefront6targetE1EEEvT1_.uses_flat_scratch, 0
	.set _ZN7rocprim17ROCPRIM_400000_NS6detail17trampoline_kernelINS0_14default_configENS1_25transform_config_selectorItLb0EEEZNS1_14transform_implILb0ES3_S5_PtN6thrust23THRUST_200600_302600_NS6detail15normal_iteratorINS9_10device_ptrItEEEENS0_8identityItEEEE10hipError_tT2_T3_mT4_P12ihipStream_tbEUlT_E_NS1_11comp_targetILNS1_3genE4ELNS1_11target_archE910ELNS1_3gpuE8ELNS1_3repE0EEENS1_30default_config_static_selectorELNS0_4arch9wavefront6targetE1EEEvT1_.has_dyn_sized_stack, 0
	.set _ZN7rocprim17ROCPRIM_400000_NS6detail17trampoline_kernelINS0_14default_configENS1_25transform_config_selectorItLb0EEEZNS1_14transform_implILb0ES3_S5_PtN6thrust23THRUST_200600_302600_NS6detail15normal_iteratorINS9_10device_ptrItEEEENS0_8identityItEEEE10hipError_tT2_T3_mT4_P12ihipStream_tbEUlT_E_NS1_11comp_targetILNS1_3genE4ELNS1_11target_archE910ELNS1_3gpuE8ELNS1_3repE0EEENS1_30default_config_static_selectorELNS0_4arch9wavefront6targetE1EEEvT1_.has_recursion, 0
	.set _ZN7rocprim17ROCPRIM_400000_NS6detail17trampoline_kernelINS0_14default_configENS1_25transform_config_selectorItLb0EEEZNS1_14transform_implILb0ES3_S5_PtN6thrust23THRUST_200600_302600_NS6detail15normal_iteratorINS9_10device_ptrItEEEENS0_8identityItEEEE10hipError_tT2_T3_mT4_P12ihipStream_tbEUlT_E_NS1_11comp_targetILNS1_3genE4ELNS1_11target_archE910ELNS1_3gpuE8ELNS1_3repE0EEENS1_30default_config_static_selectorELNS0_4arch9wavefront6targetE1EEEvT1_.has_indirect_call, 0
	.section	.AMDGPU.csdata,"",@progbits
; Kernel info:
; codeLenInByte = 0
; TotalNumSgprs: 6
; NumVgprs: 0
; NumAgprs: 0
; TotalNumVgprs: 0
; ScratchSize: 0
; MemoryBound: 0
; FloatMode: 240
; IeeeMode: 1
; LDSByteSize: 0 bytes/workgroup (compile time only)
; SGPRBlocks: 0
; VGPRBlocks: 0
; NumSGPRsForWavesPerEU: 6
; NumVGPRsForWavesPerEU: 1
; AccumOffset: 4
; Occupancy: 8
; WaveLimiterHint : 0
; COMPUTE_PGM_RSRC2:SCRATCH_EN: 0
; COMPUTE_PGM_RSRC2:USER_SGPR: 2
; COMPUTE_PGM_RSRC2:TRAP_HANDLER: 0
; COMPUTE_PGM_RSRC2:TGID_X_EN: 1
; COMPUTE_PGM_RSRC2:TGID_Y_EN: 0
; COMPUTE_PGM_RSRC2:TGID_Z_EN: 0
; COMPUTE_PGM_RSRC2:TIDIG_COMP_CNT: 0
; COMPUTE_PGM_RSRC3_GFX90A:ACCUM_OFFSET: 0
; COMPUTE_PGM_RSRC3_GFX90A:TG_SPLIT: 0
	.section	.text._ZN7rocprim17ROCPRIM_400000_NS6detail17trampoline_kernelINS0_14default_configENS1_25transform_config_selectorItLb0EEEZNS1_14transform_implILb0ES3_S5_PtN6thrust23THRUST_200600_302600_NS6detail15normal_iteratorINS9_10device_ptrItEEEENS0_8identityItEEEE10hipError_tT2_T3_mT4_P12ihipStream_tbEUlT_E_NS1_11comp_targetILNS1_3genE3ELNS1_11target_archE908ELNS1_3gpuE7ELNS1_3repE0EEENS1_30default_config_static_selectorELNS0_4arch9wavefront6targetE1EEEvT1_,"axG",@progbits,_ZN7rocprim17ROCPRIM_400000_NS6detail17trampoline_kernelINS0_14default_configENS1_25transform_config_selectorItLb0EEEZNS1_14transform_implILb0ES3_S5_PtN6thrust23THRUST_200600_302600_NS6detail15normal_iteratorINS9_10device_ptrItEEEENS0_8identityItEEEE10hipError_tT2_T3_mT4_P12ihipStream_tbEUlT_E_NS1_11comp_targetILNS1_3genE3ELNS1_11target_archE908ELNS1_3gpuE7ELNS1_3repE0EEENS1_30default_config_static_selectorELNS0_4arch9wavefront6targetE1EEEvT1_,comdat
	.protected	_ZN7rocprim17ROCPRIM_400000_NS6detail17trampoline_kernelINS0_14default_configENS1_25transform_config_selectorItLb0EEEZNS1_14transform_implILb0ES3_S5_PtN6thrust23THRUST_200600_302600_NS6detail15normal_iteratorINS9_10device_ptrItEEEENS0_8identityItEEEE10hipError_tT2_T3_mT4_P12ihipStream_tbEUlT_E_NS1_11comp_targetILNS1_3genE3ELNS1_11target_archE908ELNS1_3gpuE7ELNS1_3repE0EEENS1_30default_config_static_selectorELNS0_4arch9wavefront6targetE1EEEvT1_ ; -- Begin function _ZN7rocprim17ROCPRIM_400000_NS6detail17trampoline_kernelINS0_14default_configENS1_25transform_config_selectorItLb0EEEZNS1_14transform_implILb0ES3_S5_PtN6thrust23THRUST_200600_302600_NS6detail15normal_iteratorINS9_10device_ptrItEEEENS0_8identityItEEEE10hipError_tT2_T3_mT4_P12ihipStream_tbEUlT_E_NS1_11comp_targetILNS1_3genE3ELNS1_11target_archE908ELNS1_3gpuE7ELNS1_3repE0EEENS1_30default_config_static_selectorELNS0_4arch9wavefront6targetE1EEEvT1_
	.globl	_ZN7rocprim17ROCPRIM_400000_NS6detail17trampoline_kernelINS0_14default_configENS1_25transform_config_selectorItLb0EEEZNS1_14transform_implILb0ES3_S5_PtN6thrust23THRUST_200600_302600_NS6detail15normal_iteratorINS9_10device_ptrItEEEENS0_8identityItEEEE10hipError_tT2_T3_mT4_P12ihipStream_tbEUlT_E_NS1_11comp_targetILNS1_3genE3ELNS1_11target_archE908ELNS1_3gpuE7ELNS1_3repE0EEENS1_30default_config_static_selectorELNS0_4arch9wavefront6targetE1EEEvT1_
	.p2align	8
	.type	_ZN7rocprim17ROCPRIM_400000_NS6detail17trampoline_kernelINS0_14default_configENS1_25transform_config_selectorItLb0EEEZNS1_14transform_implILb0ES3_S5_PtN6thrust23THRUST_200600_302600_NS6detail15normal_iteratorINS9_10device_ptrItEEEENS0_8identityItEEEE10hipError_tT2_T3_mT4_P12ihipStream_tbEUlT_E_NS1_11comp_targetILNS1_3genE3ELNS1_11target_archE908ELNS1_3gpuE7ELNS1_3repE0EEENS1_30default_config_static_selectorELNS0_4arch9wavefront6targetE1EEEvT1_,@function
_ZN7rocprim17ROCPRIM_400000_NS6detail17trampoline_kernelINS0_14default_configENS1_25transform_config_selectorItLb0EEEZNS1_14transform_implILb0ES3_S5_PtN6thrust23THRUST_200600_302600_NS6detail15normal_iteratorINS9_10device_ptrItEEEENS0_8identityItEEEE10hipError_tT2_T3_mT4_P12ihipStream_tbEUlT_E_NS1_11comp_targetILNS1_3genE3ELNS1_11target_archE908ELNS1_3gpuE7ELNS1_3repE0EEENS1_30default_config_static_selectorELNS0_4arch9wavefront6targetE1EEEvT1_: ; @_ZN7rocprim17ROCPRIM_400000_NS6detail17trampoline_kernelINS0_14default_configENS1_25transform_config_selectorItLb0EEEZNS1_14transform_implILb0ES3_S5_PtN6thrust23THRUST_200600_302600_NS6detail15normal_iteratorINS9_10device_ptrItEEEENS0_8identityItEEEE10hipError_tT2_T3_mT4_P12ihipStream_tbEUlT_E_NS1_11comp_targetILNS1_3genE3ELNS1_11target_archE908ELNS1_3gpuE7ELNS1_3repE0EEENS1_30default_config_static_selectorELNS0_4arch9wavefront6targetE1EEEvT1_
; %bb.0:
	.section	.rodata,"a",@progbits
	.p2align	6, 0x0
	.amdhsa_kernel _ZN7rocprim17ROCPRIM_400000_NS6detail17trampoline_kernelINS0_14default_configENS1_25transform_config_selectorItLb0EEEZNS1_14transform_implILb0ES3_S5_PtN6thrust23THRUST_200600_302600_NS6detail15normal_iteratorINS9_10device_ptrItEEEENS0_8identityItEEEE10hipError_tT2_T3_mT4_P12ihipStream_tbEUlT_E_NS1_11comp_targetILNS1_3genE3ELNS1_11target_archE908ELNS1_3gpuE7ELNS1_3repE0EEENS1_30default_config_static_selectorELNS0_4arch9wavefront6targetE1EEEvT1_
		.amdhsa_group_segment_fixed_size 0
		.amdhsa_private_segment_fixed_size 0
		.amdhsa_kernarg_size 40
		.amdhsa_user_sgpr_count 2
		.amdhsa_user_sgpr_dispatch_ptr 0
		.amdhsa_user_sgpr_queue_ptr 0
		.amdhsa_user_sgpr_kernarg_segment_ptr 1
		.amdhsa_user_sgpr_dispatch_id 0
		.amdhsa_user_sgpr_kernarg_preload_length 0
		.amdhsa_user_sgpr_kernarg_preload_offset 0
		.amdhsa_user_sgpr_private_segment_size 0
		.amdhsa_uses_dynamic_stack 0
		.amdhsa_enable_private_segment 0
		.amdhsa_system_sgpr_workgroup_id_x 1
		.amdhsa_system_sgpr_workgroup_id_y 0
		.amdhsa_system_sgpr_workgroup_id_z 0
		.amdhsa_system_sgpr_workgroup_info 0
		.amdhsa_system_vgpr_workitem_id 0
		.amdhsa_next_free_vgpr 1
		.amdhsa_next_free_sgpr 0
		.amdhsa_accum_offset 4
		.amdhsa_reserve_vcc 0
		.amdhsa_float_round_mode_32 0
		.amdhsa_float_round_mode_16_64 0
		.amdhsa_float_denorm_mode_32 3
		.amdhsa_float_denorm_mode_16_64 3
		.amdhsa_dx10_clamp 1
		.amdhsa_ieee_mode 1
		.amdhsa_fp16_overflow 0
		.amdhsa_tg_split 0
		.amdhsa_exception_fp_ieee_invalid_op 0
		.amdhsa_exception_fp_denorm_src 0
		.amdhsa_exception_fp_ieee_div_zero 0
		.amdhsa_exception_fp_ieee_overflow 0
		.amdhsa_exception_fp_ieee_underflow 0
		.amdhsa_exception_fp_ieee_inexact 0
		.amdhsa_exception_int_div_zero 0
	.end_amdhsa_kernel
	.section	.text._ZN7rocprim17ROCPRIM_400000_NS6detail17trampoline_kernelINS0_14default_configENS1_25transform_config_selectorItLb0EEEZNS1_14transform_implILb0ES3_S5_PtN6thrust23THRUST_200600_302600_NS6detail15normal_iteratorINS9_10device_ptrItEEEENS0_8identityItEEEE10hipError_tT2_T3_mT4_P12ihipStream_tbEUlT_E_NS1_11comp_targetILNS1_3genE3ELNS1_11target_archE908ELNS1_3gpuE7ELNS1_3repE0EEENS1_30default_config_static_selectorELNS0_4arch9wavefront6targetE1EEEvT1_,"axG",@progbits,_ZN7rocprim17ROCPRIM_400000_NS6detail17trampoline_kernelINS0_14default_configENS1_25transform_config_selectorItLb0EEEZNS1_14transform_implILb0ES3_S5_PtN6thrust23THRUST_200600_302600_NS6detail15normal_iteratorINS9_10device_ptrItEEEENS0_8identityItEEEE10hipError_tT2_T3_mT4_P12ihipStream_tbEUlT_E_NS1_11comp_targetILNS1_3genE3ELNS1_11target_archE908ELNS1_3gpuE7ELNS1_3repE0EEENS1_30default_config_static_selectorELNS0_4arch9wavefront6targetE1EEEvT1_,comdat
.Lfunc_end893:
	.size	_ZN7rocprim17ROCPRIM_400000_NS6detail17trampoline_kernelINS0_14default_configENS1_25transform_config_selectorItLb0EEEZNS1_14transform_implILb0ES3_S5_PtN6thrust23THRUST_200600_302600_NS6detail15normal_iteratorINS9_10device_ptrItEEEENS0_8identityItEEEE10hipError_tT2_T3_mT4_P12ihipStream_tbEUlT_E_NS1_11comp_targetILNS1_3genE3ELNS1_11target_archE908ELNS1_3gpuE7ELNS1_3repE0EEENS1_30default_config_static_selectorELNS0_4arch9wavefront6targetE1EEEvT1_, .Lfunc_end893-_ZN7rocprim17ROCPRIM_400000_NS6detail17trampoline_kernelINS0_14default_configENS1_25transform_config_selectorItLb0EEEZNS1_14transform_implILb0ES3_S5_PtN6thrust23THRUST_200600_302600_NS6detail15normal_iteratorINS9_10device_ptrItEEEENS0_8identityItEEEE10hipError_tT2_T3_mT4_P12ihipStream_tbEUlT_E_NS1_11comp_targetILNS1_3genE3ELNS1_11target_archE908ELNS1_3gpuE7ELNS1_3repE0EEENS1_30default_config_static_selectorELNS0_4arch9wavefront6targetE1EEEvT1_
                                        ; -- End function
	.set _ZN7rocprim17ROCPRIM_400000_NS6detail17trampoline_kernelINS0_14default_configENS1_25transform_config_selectorItLb0EEEZNS1_14transform_implILb0ES3_S5_PtN6thrust23THRUST_200600_302600_NS6detail15normal_iteratorINS9_10device_ptrItEEEENS0_8identityItEEEE10hipError_tT2_T3_mT4_P12ihipStream_tbEUlT_E_NS1_11comp_targetILNS1_3genE3ELNS1_11target_archE908ELNS1_3gpuE7ELNS1_3repE0EEENS1_30default_config_static_selectorELNS0_4arch9wavefront6targetE1EEEvT1_.num_vgpr, 0
	.set _ZN7rocprim17ROCPRIM_400000_NS6detail17trampoline_kernelINS0_14default_configENS1_25transform_config_selectorItLb0EEEZNS1_14transform_implILb0ES3_S5_PtN6thrust23THRUST_200600_302600_NS6detail15normal_iteratorINS9_10device_ptrItEEEENS0_8identityItEEEE10hipError_tT2_T3_mT4_P12ihipStream_tbEUlT_E_NS1_11comp_targetILNS1_3genE3ELNS1_11target_archE908ELNS1_3gpuE7ELNS1_3repE0EEENS1_30default_config_static_selectorELNS0_4arch9wavefront6targetE1EEEvT1_.num_agpr, 0
	.set _ZN7rocprim17ROCPRIM_400000_NS6detail17trampoline_kernelINS0_14default_configENS1_25transform_config_selectorItLb0EEEZNS1_14transform_implILb0ES3_S5_PtN6thrust23THRUST_200600_302600_NS6detail15normal_iteratorINS9_10device_ptrItEEEENS0_8identityItEEEE10hipError_tT2_T3_mT4_P12ihipStream_tbEUlT_E_NS1_11comp_targetILNS1_3genE3ELNS1_11target_archE908ELNS1_3gpuE7ELNS1_3repE0EEENS1_30default_config_static_selectorELNS0_4arch9wavefront6targetE1EEEvT1_.numbered_sgpr, 0
	.set _ZN7rocprim17ROCPRIM_400000_NS6detail17trampoline_kernelINS0_14default_configENS1_25transform_config_selectorItLb0EEEZNS1_14transform_implILb0ES3_S5_PtN6thrust23THRUST_200600_302600_NS6detail15normal_iteratorINS9_10device_ptrItEEEENS0_8identityItEEEE10hipError_tT2_T3_mT4_P12ihipStream_tbEUlT_E_NS1_11comp_targetILNS1_3genE3ELNS1_11target_archE908ELNS1_3gpuE7ELNS1_3repE0EEENS1_30default_config_static_selectorELNS0_4arch9wavefront6targetE1EEEvT1_.num_named_barrier, 0
	.set _ZN7rocprim17ROCPRIM_400000_NS6detail17trampoline_kernelINS0_14default_configENS1_25transform_config_selectorItLb0EEEZNS1_14transform_implILb0ES3_S5_PtN6thrust23THRUST_200600_302600_NS6detail15normal_iteratorINS9_10device_ptrItEEEENS0_8identityItEEEE10hipError_tT2_T3_mT4_P12ihipStream_tbEUlT_E_NS1_11comp_targetILNS1_3genE3ELNS1_11target_archE908ELNS1_3gpuE7ELNS1_3repE0EEENS1_30default_config_static_selectorELNS0_4arch9wavefront6targetE1EEEvT1_.private_seg_size, 0
	.set _ZN7rocprim17ROCPRIM_400000_NS6detail17trampoline_kernelINS0_14default_configENS1_25transform_config_selectorItLb0EEEZNS1_14transform_implILb0ES3_S5_PtN6thrust23THRUST_200600_302600_NS6detail15normal_iteratorINS9_10device_ptrItEEEENS0_8identityItEEEE10hipError_tT2_T3_mT4_P12ihipStream_tbEUlT_E_NS1_11comp_targetILNS1_3genE3ELNS1_11target_archE908ELNS1_3gpuE7ELNS1_3repE0EEENS1_30default_config_static_selectorELNS0_4arch9wavefront6targetE1EEEvT1_.uses_vcc, 0
	.set _ZN7rocprim17ROCPRIM_400000_NS6detail17trampoline_kernelINS0_14default_configENS1_25transform_config_selectorItLb0EEEZNS1_14transform_implILb0ES3_S5_PtN6thrust23THRUST_200600_302600_NS6detail15normal_iteratorINS9_10device_ptrItEEEENS0_8identityItEEEE10hipError_tT2_T3_mT4_P12ihipStream_tbEUlT_E_NS1_11comp_targetILNS1_3genE3ELNS1_11target_archE908ELNS1_3gpuE7ELNS1_3repE0EEENS1_30default_config_static_selectorELNS0_4arch9wavefront6targetE1EEEvT1_.uses_flat_scratch, 0
	.set _ZN7rocprim17ROCPRIM_400000_NS6detail17trampoline_kernelINS0_14default_configENS1_25transform_config_selectorItLb0EEEZNS1_14transform_implILb0ES3_S5_PtN6thrust23THRUST_200600_302600_NS6detail15normal_iteratorINS9_10device_ptrItEEEENS0_8identityItEEEE10hipError_tT2_T3_mT4_P12ihipStream_tbEUlT_E_NS1_11comp_targetILNS1_3genE3ELNS1_11target_archE908ELNS1_3gpuE7ELNS1_3repE0EEENS1_30default_config_static_selectorELNS0_4arch9wavefront6targetE1EEEvT1_.has_dyn_sized_stack, 0
	.set _ZN7rocprim17ROCPRIM_400000_NS6detail17trampoline_kernelINS0_14default_configENS1_25transform_config_selectorItLb0EEEZNS1_14transform_implILb0ES3_S5_PtN6thrust23THRUST_200600_302600_NS6detail15normal_iteratorINS9_10device_ptrItEEEENS0_8identityItEEEE10hipError_tT2_T3_mT4_P12ihipStream_tbEUlT_E_NS1_11comp_targetILNS1_3genE3ELNS1_11target_archE908ELNS1_3gpuE7ELNS1_3repE0EEENS1_30default_config_static_selectorELNS0_4arch9wavefront6targetE1EEEvT1_.has_recursion, 0
	.set _ZN7rocprim17ROCPRIM_400000_NS6detail17trampoline_kernelINS0_14default_configENS1_25transform_config_selectorItLb0EEEZNS1_14transform_implILb0ES3_S5_PtN6thrust23THRUST_200600_302600_NS6detail15normal_iteratorINS9_10device_ptrItEEEENS0_8identityItEEEE10hipError_tT2_T3_mT4_P12ihipStream_tbEUlT_E_NS1_11comp_targetILNS1_3genE3ELNS1_11target_archE908ELNS1_3gpuE7ELNS1_3repE0EEENS1_30default_config_static_selectorELNS0_4arch9wavefront6targetE1EEEvT1_.has_indirect_call, 0
	.section	.AMDGPU.csdata,"",@progbits
; Kernel info:
; codeLenInByte = 0
; TotalNumSgprs: 6
; NumVgprs: 0
; NumAgprs: 0
; TotalNumVgprs: 0
; ScratchSize: 0
; MemoryBound: 0
; FloatMode: 240
; IeeeMode: 1
; LDSByteSize: 0 bytes/workgroup (compile time only)
; SGPRBlocks: 0
; VGPRBlocks: 0
; NumSGPRsForWavesPerEU: 6
; NumVGPRsForWavesPerEU: 1
; AccumOffset: 4
; Occupancy: 8
; WaveLimiterHint : 0
; COMPUTE_PGM_RSRC2:SCRATCH_EN: 0
; COMPUTE_PGM_RSRC2:USER_SGPR: 2
; COMPUTE_PGM_RSRC2:TRAP_HANDLER: 0
; COMPUTE_PGM_RSRC2:TGID_X_EN: 1
; COMPUTE_PGM_RSRC2:TGID_Y_EN: 0
; COMPUTE_PGM_RSRC2:TGID_Z_EN: 0
; COMPUTE_PGM_RSRC2:TIDIG_COMP_CNT: 0
; COMPUTE_PGM_RSRC3_GFX90A:ACCUM_OFFSET: 0
; COMPUTE_PGM_RSRC3_GFX90A:TG_SPLIT: 0
	.section	.text._ZN7rocprim17ROCPRIM_400000_NS6detail17trampoline_kernelINS0_14default_configENS1_25transform_config_selectorItLb0EEEZNS1_14transform_implILb0ES3_S5_PtN6thrust23THRUST_200600_302600_NS6detail15normal_iteratorINS9_10device_ptrItEEEENS0_8identityItEEEE10hipError_tT2_T3_mT4_P12ihipStream_tbEUlT_E_NS1_11comp_targetILNS1_3genE2ELNS1_11target_archE906ELNS1_3gpuE6ELNS1_3repE0EEENS1_30default_config_static_selectorELNS0_4arch9wavefront6targetE1EEEvT1_,"axG",@progbits,_ZN7rocprim17ROCPRIM_400000_NS6detail17trampoline_kernelINS0_14default_configENS1_25transform_config_selectorItLb0EEEZNS1_14transform_implILb0ES3_S5_PtN6thrust23THRUST_200600_302600_NS6detail15normal_iteratorINS9_10device_ptrItEEEENS0_8identityItEEEE10hipError_tT2_T3_mT4_P12ihipStream_tbEUlT_E_NS1_11comp_targetILNS1_3genE2ELNS1_11target_archE906ELNS1_3gpuE6ELNS1_3repE0EEENS1_30default_config_static_selectorELNS0_4arch9wavefront6targetE1EEEvT1_,comdat
	.protected	_ZN7rocprim17ROCPRIM_400000_NS6detail17trampoline_kernelINS0_14default_configENS1_25transform_config_selectorItLb0EEEZNS1_14transform_implILb0ES3_S5_PtN6thrust23THRUST_200600_302600_NS6detail15normal_iteratorINS9_10device_ptrItEEEENS0_8identityItEEEE10hipError_tT2_T3_mT4_P12ihipStream_tbEUlT_E_NS1_11comp_targetILNS1_3genE2ELNS1_11target_archE906ELNS1_3gpuE6ELNS1_3repE0EEENS1_30default_config_static_selectorELNS0_4arch9wavefront6targetE1EEEvT1_ ; -- Begin function _ZN7rocprim17ROCPRIM_400000_NS6detail17trampoline_kernelINS0_14default_configENS1_25transform_config_selectorItLb0EEEZNS1_14transform_implILb0ES3_S5_PtN6thrust23THRUST_200600_302600_NS6detail15normal_iteratorINS9_10device_ptrItEEEENS0_8identityItEEEE10hipError_tT2_T3_mT4_P12ihipStream_tbEUlT_E_NS1_11comp_targetILNS1_3genE2ELNS1_11target_archE906ELNS1_3gpuE6ELNS1_3repE0EEENS1_30default_config_static_selectorELNS0_4arch9wavefront6targetE1EEEvT1_
	.globl	_ZN7rocprim17ROCPRIM_400000_NS6detail17trampoline_kernelINS0_14default_configENS1_25transform_config_selectorItLb0EEEZNS1_14transform_implILb0ES3_S5_PtN6thrust23THRUST_200600_302600_NS6detail15normal_iteratorINS9_10device_ptrItEEEENS0_8identityItEEEE10hipError_tT2_T3_mT4_P12ihipStream_tbEUlT_E_NS1_11comp_targetILNS1_3genE2ELNS1_11target_archE906ELNS1_3gpuE6ELNS1_3repE0EEENS1_30default_config_static_selectorELNS0_4arch9wavefront6targetE1EEEvT1_
	.p2align	8
	.type	_ZN7rocprim17ROCPRIM_400000_NS6detail17trampoline_kernelINS0_14default_configENS1_25transform_config_selectorItLb0EEEZNS1_14transform_implILb0ES3_S5_PtN6thrust23THRUST_200600_302600_NS6detail15normal_iteratorINS9_10device_ptrItEEEENS0_8identityItEEEE10hipError_tT2_T3_mT4_P12ihipStream_tbEUlT_E_NS1_11comp_targetILNS1_3genE2ELNS1_11target_archE906ELNS1_3gpuE6ELNS1_3repE0EEENS1_30default_config_static_selectorELNS0_4arch9wavefront6targetE1EEEvT1_,@function
_ZN7rocprim17ROCPRIM_400000_NS6detail17trampoline_kernelINS0_14default_configENS1_25transform_config_selectorItLb0EEEZNS1_14transform_implILb0ES3_S5_PtN6thrust23THRUST_200600_302600_NS6detail15normal_iteratorINS9_10device_ptrItEEEENS0_8identityItEEEE10hipError_tT2_T3_mT4_P12ihipStream_tbEUlT_E_NS1_11comp_targetILNS1_3genE2ELNS1_11target_archE906ELNS1_3gpuE6ELNS1_3repE0EEENS1_30default_config_static_selectorELNS0_4arch9wavefront6targetE1EEEvT1_: ; @_ZN7rocprim17ROCPRIM_400000_NS6detail17trampoline_kernelINS0_14default_configENS1_25transform_config_selectorItLb0EEEZNS1_14transform_implILb0ES3_S5_PtN6thrust23THRUST_200600_302600_NS6detail15normal_iteratorINS9_10device_ptrItEEEENS0_8identityItEEEE10hipError_tT2_T3_mT4_P12ihipStream_tbEUlT_E_NS1_11comp_targetILNS1_3genE2ELNS1_11target_archE906ELNS1_3gpuE6ELNS1_3repE0EEENS1_30default_config_static_selectorELNS0_4arch9wavefront6targetE1EEEvT1_
; %bb.0:
	.section	.rodata,"a",@progbits
	.p2align	6, 0x0
	.amdhsa_kernel _ZN7rocprim17ROCPRIM_400000_NS6detail17trampoline_kernelINS0_14default_configENS1_25transform_config_selectorItLb0EEEZNS1_14transform_implILb0ES3_S5_PtN6thrust23THRUST_200600_302600_NS6detail15normal_iteratorINS9_10device_ptrItEEEENS0_8identityItEEEE10hipError_tT2_T3_mT4_P12ihipStream_tbEUlT_E_NS1_11comp_targetILNS1_3genE2ELNS1_11target_archE906ELNS1_3gpuE6ELNS1_3repE0EEENS1_30default_config_static_selectorELNS0_4arch9wavefront6targetE1EEEvT1_
		.amdhsa_group_segment_fixed_size 0
		.amdhsa_private_segment_fixed_size 0
		.amdhsa_kernarg_size 40
		.amdhsa_user_sgpr_count 2
		.amdhsa_user_sgpr_dispatch_ptr 0
		.amdhsa_user_sgpr_queue_ptr 0
		.amdhsa_user_sgpr_kernarg_segment_ptr 1
		.amdhsa_user_sgpr_dispatch_id 0
		.amdhsa_user_sgpr_kernarg_preload_length 0
		.amdhsa_user_sgpr_kernarg_preload_offset 0
		.amdhsa_user_sgpr_private_segment_size 0
		.amdhsa_uses_dynamic_stack 0
		.amdhsa_enable_private_segment 0
		.amdhsa_system_sgpr_workgroup_id_x 1
		.amdhsa_system_sgpr_workgroup_id_y 0
		.amdhsa_system_sgpr_workgroup_id_z 0
		.amdhsa_system_sgpr_workgroup_info 0
		.amdhsa_system_vgpr_workitem_id 0
		.amdhsa_next_free_vgpr 1
		.amdhsa_next_free_sgpr 0
		.amdhsa_accum_offset 4
		.amdhsa_reserve_vcc 0
		.amdhsa_float_round_mode_32 0
		.amdhsa_float_round_mode_16_64 0
		.amdhsa_float_denorm_mode_32 3
		.amdhsa_float_denorm_mode_16_64 3
		.amdhsa_dx10_clamp 1
		.amdhsa_ieee_mode 1
		.amdhsa_fp16_overflow 0
		.amdhsa_tg_split 0
		.amdhsa_exception_fp_ieee_invalid_op 0
		.amdhsa_exception_fp_denorm_src 0
		.amdhsa_exception_fp_ieee_div_zero 0
		.amdhsa_exception_fp_ieee_overflow 0
		.amdhsa_exception_fp_ieee_underflow 0
		.amdhsa_exception_fp_ieee_inexact 0
		.amdhsa_exception_int_div_zero 0
	.end_amdhsa_kernel
	.section	.text._ZN7rocprim17ROCPRIM_400000_NS6detail17trampoline_kernelINS0_14default_configENS1_25transform_config_selectorItLb0EEEZNS1_14transform_implILb0ES3_S5_PtN6thrust23THRUST_200600_302600_NS6detail15normal_iteratorINS9_10device_ptrItEEEENS0_8identityItEEEE10hipError_tT2_T3_mT4_P12ihipStream_tbEUlT_E_NS1_11comp_targetILNS1_3genE2ELNS1_11target_archE906ELNS1_3gpuE6ELNS1_3repE0EEENS1_30default_config_static_selectorELNS0_4arch9wavefront6targetE1EEEvT1_,"axG",@progbits,_ZN7rocprim17ROCPRIM_400000_NS6detail17trampoline_kernelINS0_14default_configENS1_25transform_config_selectorItLb0EEEZNS1_14transform_implILb0ES3_S5_PtN6thrust23THRUST_200600_302600_NS6detail15normal_iteratorINS9_10device_ptrItEEEENS0_8identityItEEEE10hipError_tT2_T3_mT4_P12ihipStream_tbEUlT_E_NS1_11comp_targetILNS1_3genE2ELNS1_11target_archE906ELNS1_3gpuE6ELNS1_3repE0EEENS1_30default_config_static_selectorELNS0_4arch9wavefront6targetE1EEEvT1_,comdat
.Lfunc_end894:
	.size	_ZN7rocprim17ROCPRIM_400000_NS6detail17trampoline_kernelINS0_14default_configENS1_25transform_config_selectorItLb0EEEZNS1_14transform_implILb0ES3_S5_PtN6thrust23THRUST_200600_302600_NS6detail15normal_iteratorINS9_10device_ptrItEEEENS0_8identityItEEEE10hipError_tT2_T3_mT4_P12ihipStream_tbEUlT_E_NS1_11comp_targetILNS1_3genE2ELNS1_11target_archE906ELNS1_3gpuE6ELNS1_3repE0EEENS1_30default_config_static_selectorELNS0_4arch9wavefront6targetE1EEEvT1_, .Lfunc_end894-_ZN7rocprim17ROCPRIM_400000_NS6detail17trampoline_kernelINS0_14default_configENS1_25transform_config_selectorItLb0EEEZNS1_14transform_implILb0ES3_S5_PtN6thrust23THRUST_200600_302600_NS6detail15normal_iteratorINS9_10device_ptrItEEEENS0_8identityItEEEE10hipError_tT2_T3_mT4_P12ihipStream_tbEUlT_E_NS1_11comp_targetILNS1_3genE2ELNS1_11target_archE906ELNS1_3gpuE6ELNS1_3repE0EEENS1_30default_config_static_selectorELNS0_4arch9wavefront6targetE1EEEvT1_
                                        ; -- End function
	.set _ZN7rocprim17ROCPRIM_400000_NS6detail17trampoline_kernelINS0_14default_configENS1_25transform_config_selectorItLb0EEEZNS1_14transform_implILb0ES3_S5_PtN6thrust23THRUST_200600_302600_NS6detail15normal_iteratorINS9_10device_ptrItEEEENS0_8identityItEEEE10hipError_tT2_T3_mT4_P12ihipStream_tbEUlT_E_NS1_11comp_targetILNS1_3genE2ELNS1_11target_archE906ELNS1_3gpuE6ELNS1_3repE0EEENS1_30default_config_static_selectorELNS0_4arch9wavefront6targetE1EEEvT1_.num_vgpr, 0
	.set _ZN7rocprim17ROCPRIM_400000_NS6detail17trampoline_kernelINS0_14default_configENS1_25transform_config_selectorItLb0EEEZNS1_14transform_implILb0ES3_S5_PtN6thrust23THRUST_200600_302600_NS6detail15normal_iteratorINS9_10device_ptrItEEEENS0_8identityItEEEE10hipError_tT2_T3_mT4_P12ihipStream_tbEUlT_E_NS1_11comp_targetILNS1_3genE2ELNS1_11target_archE906ELNS1_3gpuE6ELNS1_3repE0EEENS1_30default_config_static_selectorELNS0_4arch9wavefront6targetE1EEEvT1_.num_agpr, 0
	.set _ZN7rocprim17ROCPRIM_400000_NS6detail17trampoline_kernelINS0_14default_configENS1_25transform_config_selectorItLb0EEEZNS1_14transform_implILb0ES3_S5_PtN6thrust23THRUST_200600_302600_NS6detail15normal_iteratorINS9_10device_ptrItEEEENS0_8identityItEEEE10hipError_tT2_T3_mT4_P12ihipStream_tbEUlT_E_NS1_11comp_targetILNS1_3genE2ELNS1_11target_archE906ELNS1_3gpuE6ELNS1_3repE0EEENS1_30default_config_static_selectorELNS0_4arch9wavefront6targetE1EEEvT1_.numbered_sgpr, 0
	.set _ZN7rocprim17ROCPRIM_400000_NS6detail17trampoline_kernelINS0_14default_configENS1_25transform_config_selectorItLb0EEEZNS1_14transform_implILb0ES3_S5_PtN6thrust23THRUST_200600_302600_NS6detail15normal_iteratorINS9_10device_ptrItEEEENS0_8identityItEEEE10hipError_tT2_T3_mT4_P12ihipStream_tbEUlT_E_NS1_11comp_targetILNS1_3genE2ELNS1_11target_archE906ELNS1_3gpuE6ELNS1_3repE0EEENS1_30default_config_static_selectorELNS0_4arch9wavefront6targetE1EEEvT1_.num_named_barrier, 0
	.set _ZN7rocprim17ROCPRIM_400000_NS6detail17trampoline_kernelINS0_14default_configENS1_25transform_config_selectorItLb0EEEZNS1_14transform_implILb0ES3_S5_PtN6thrust23THRUST_200600_302600_NS6detail15normal_iteratorINS9_10device_ptrItEEEENS0_8identityItEEEE10hipError_tT2_T3_mT4_P12ihipStream_tbEUlT_E_NS1_11comp_targetILNS1_3genE2ELNS1_11target_archE906ELNS1_3gpuE6ELNS1_3repE0EEENS1_30default_config_static_selectorELNS0_4arch9wavefront6targetE1EEEvT1_.private_seg_size, 0
	.set _ZN7rocprim17ROCPRIM_400000_NS6detail17trampoline_kernelINS0_14default_configENS1_25transform_config_selectorItLb0EEEZNS1_14transform_implILb0ES3_S5_PtN6thrust23THRUST_200600_302600_NS6detail15normal_iteratorINS9_10device_ptrItEEEENS0_8identityItEEEE10hipError_tT2_T3_mT4_P12ihipStream_tbEUlT_E_NS1_11comp_targetILNS1_3genE2ELNS1_11target_archE906ELNS1_3gpuE6ELNS1_3repE0EEENS1_30default_config_static_selectorELNS0_4arch9wavefront6targetE1EEEvT1_.uses_vcc, 0
	.set _ZN7rocprim17ROCPRIM_400000_NS6detail17trampoline_kernelINS0_14default_configENS1_25transform_config_selectorItLb0EEEZNS1_14transform_implILb0ES3_S5_PtN6thrust23THRUST_200600_302600_NS6detail15normal_iteratorINS9_10device_ptrItEEEENS0_8identityItEEEE10hipError_tT2_T3_mT4_P12ihipStream_tbEUlT_E_NS1_11comp_targetILNS1_3genE2ELNS1_11target_archE906ELNS1_3gpuE6ELNS1_3repE0EEENS1_30default_config_static_selectorELNS0_4arch9wavefront6targetE1EEEvT1_.uses_flat_scratch, 0
	.set _ZN7rocprim17ROCPRIM_400000_NS6detail17trampoline_kernelINS0_14default_configENS1_25transform_config_selectorItLb0EEEZNS1_14transform_implILb0ES3_S5_PtN6thrust23THRUST_200600_302600_NS6detail15normal_iteratorINS9_10device_ptrItEEEENS0_8identityItEEEE10hipError_tT2_T3_mT4_P12ihipStream_tbEUlT_E_NS1_11comp_targetILNS1_3genE2ELNS1_11target_archE906ELNS1_3gpuE6ELNS1_3repE0EEENS1_30default_config_static_selectorELNS0_4arch9wavefront6targetE1EEEvT1_.has_dyn_sized_stack, 0
	.set _ZN7rocprim17ROCPRIM_400000_NS6detail17trampoline_kernelINS0_14default_configENS1_25transform_config_selectorItLb0EEEZNS1_14transform_implILb0ES3_S5_PtN6thrust23THRUST_200600_302600_NS6detail15normal_iteratorINS9_10device_ptrItEEEENS0_8identityItEEEE10hipError_tT2_T3_mT4_P12ihipStream_tbEUlT_E_NS1_11comp_targetILNS1_3genE2ELNS1_11target_archE906ELNS1_3gpuE6ELNS1_3repE0EEENS1_30default_config_static_selectorELNS0_4arch9wavefront6targetE1EEEvT1_.has_recursion, 0
	.set _ZN7rocprim17ROCPRIM_400000_NS6detail17trampoline_kernelINS0_14default_configENS1_25transform_config_selectorItLb0EEEZNS1_14transform_implILb0ES3_S5_PtN6thrust23THRUST_200600_302600_NS6detail15normal_iteratorINS9_10device_ptrItEEEENS0_8identityItEEEE10hipError_tT2_T3_mT4_P12ihipStream_tbEUlT_E_NS1_11comp_targetILNS1_3genE2ELNS1_11target_archE906ELNS1_3gpuE6ELNS1_3repE0EEENS1_30default_config_static_selectorELNS0_4arch9wavefront6targetE1EEEvT1_.has_indirect_call, 0
	.section	.AMDGPU.csdata,"",@progbits
; Kernel info:
; codeLenInByte = 0
; TotalNumSgprs: 6
; NumVgprs: 0
; NumAgprs: 0
; TotalNumVgprs: 0
; ScratchSize: 0
; MemoryBound: 0
; FloatMode: 240
; IeeeMode: 1
; LDSByteSize: 0 bytes/workgroup (compile time only)
; SGPRBlocks: 0
; VGPRBlocks: 0
; NumSGPRsForWavesPerEU: 6
; NumVGPRsForWavesPerEU: 1
; AccumOffset: 4
; Occupancy: 8
; WaveLimiterHint : 0
; COMPUTE_PGM_RSRC2:SCRATCH_EN: 0
; COMPUTE_PGM_RSRC2:USER_SGPR: 2
; COMPUTE_PGM_RSRC2:TRAP_HANDLER: 0
; COMPUTE_PGM_RSRC2:TGID_X_EN: 1
; COMPUTE_PGM_RSRC2:TGID_Y_EN: 0
; COMPUTE_PGM_RSRC2:TGID_Z_EN: 0
; COMPUTE_PGM_RSRC2:TIDIG_COMP_CNT: 0
; COMPUTE_PGM_RSRC3_GFX90A:ACCUM_OFFSET: 0
; COMPUTE_PGM_RSRC3_GFX90A:TG_SPLIT: 0
	.section	.text._ZN7rocprim17ROCPRIM_400000_NS6detail17trampoline_kernelINS0_14default_configENS1_25transform_config_selectorItLb0EEEZNS1_14transform_implILb0ES3_S5_PtN6thrust23THRUST_200600_302600_NS6detail15normal_iteratorINS9_10device_ptrItEEEENS0_8identityItEEEE10hipError_tT2_T3_mT4_P12ihipStream_tbEUlT_E_NS1_11comp_targetILNS1_3genE10ELNS1_11target_archE1201ELNS1_3gpuE5ELNS1_3repE0EEENS1_30default_config_static_selectorELNS0_4arch9wavefront6targetE1EEEvT1_,"axG",@progbits,_ZN7rocprim17ROCPRIM_400000_NS6detail17trampoline_kernelINS0_14default_configENS1_25transform_config_selectorItLb0EEEZNS1_14transform_implILb0ES3_S5_PtN6thrust23THRUST_200600_302600_NS6detail15normal_iteratorINS9_10device_ptrItEEEENS0_8identityItEEEE10hipError_tT2_T3_mT4_P12ihipStream_tbEUlT_E_NS1_11comp_targetILNS1_3genE10ELNS1_11target_archE1201ELNS1_3gpuE5ELNS1_3repE0EEENS1_30default_config_static_selectorELNS0_4arch9wavefront6targetE1EEEvT1_,comdat
	.protected	_ZN7rocprim17ROCPRIM_400000_NS6detail17trampoline_kernelINS0_14default_configENS1_25transform_config_selectorItLb0EEEZNS1_14transform_implILb0ES3_S5_PtN6thrust23THRUST_200600_302600_NS6detail15normal_iteratorINS9_10device_ptrItEEEENS0_8identityItEEEE10hipError_tT2_T3_mT4_P12ihipStream_tbEUlT_E_NS1_11comp_targetILNS1_3genE10ELNS1_11target_archE1201ELNS1_3gpuE5ELNS1_3repE0EEENS1_30default_config_static_selectorELNS0_4arch9wavefront6targetE1EEEvT1_ ; -- Begin function _ZN7rocprim17ROCPRIM_400000_NS6detail17trampoline_kernelINS0_14default_configENS1_25transform_config_selectorItLb0EEEZNS1_14transform_implILb0ES3_S5_PtN6thrust23THRUST_200600_302600_NS6detail15normal_iteratorINS9_10device_ptrItEEEENS0_8identityItEEEE10hipError_tT2_T3_mT4_P12ihipStream_tbEUlT_E_NS1_11comp_targetILNS1_3genE10ELNS1_11target_archE1201ELNS1_3gpuE5ELNS1_3repE0EEENS1_30default_config_static_selectorELNS0_4arch9wavefront6targetE1EEEvT1_
	.globl	_ZN7rocprim17ROCPRIM_400000_NS6detail17trampoline_kernelINS0_14default_configENS1_25transform_config_selectorItLb0EEEZNS1_14transform_implILb0ES3_S5_PtN6thrust23THRUST_200600_302600_NS6detail15normal_iteratorINS9_10device_ptrItEEEENS0_8identityItEEEE10hipError_tT2_T3_mT4_P12ihipStream_tbEUlT_E_NS1_11comp_targetILNS1_3genE10ELNS1_11target_archE1201ELNS1_3gpuE5ELNS1_3repE0EEENS1_30default_config_static_selectorELNS0_4arch9wavefront6targetE1EEEvT1_
	.p2align	8
	.type	_ZN7rocprim17ROCPRIM_400000_NS6detail17trampoline_kernelINS0_14default_configENS1_25transform_config_selectorItLb0EEEZNS1_14transform_implILb0ES3_S5_PtN6thrust23THRUST_200600_302600_NS6detail15normal_iteratorINS9_10device_ptrItEEEENS0_8identityItEEEE10hipError_tT2_T3_mT4_P12ihipStream_tbEUlT_E_NS1_11comp_targetILNS1_3genE10ELNS1_11target_archE1201ELNS1_3gpuE5ELNS1_3repE0EEENS1_30default_config_static_selectorELNS0_4arch9wavefront6targetE1EEEvT1_,@function
_ZN7rocprim17ROCPRIM_400000_NS6detail17trampoline_kernelINS0_14default_configENS1_25transform_config_selectorItLb0EEEZNS1_14transform_implILb0ES3_S5_PtN6thrust23THRUST_200600_302600_NS6detail15normal_iteratorINS9_10device_ptrItEEEENS0_8identityItEEEE10hipError_tT2_T3_mT4_P12ihipStream_tbEUlT_E_NS1_11comp_targetILNS1_3genE10ELNS1_11target_archE1201ELNS1_3gpuE5ELNS1_3repE0EEENS1_30default_config_static_selectorELNS0_4arch9wavefront6targetE1EEEvT1_: ; @_ZN7rocprim17ROCPRIM_400000_NS6detail17trampoline_kernelINS0_14default_configENS1_25transform_config_selectorItLb0EEEZNS1_14transform_implILb0ES3_S5_PtN6thrust23THRUST_200600_302600_NS6detail15normal_iteratorINS9_10device_ptrItEEEENS0_8identityItEEEE10hipError_tT2_T3_mT4_P12ihipStream_tbEUlT_E_NS1_11comp_targetILNS1_3genE10ELNS1_11target_archE1201ELNS1_3gpuE5ELNS1_3repE0EEENS1_30default_config_static_selectorELNS0_4arch9wavefront6targetE1EEEvT1_
; %bb.0:
	.section	.rodata,"a",@progbits
	.p2align	6, 0x0
	.amdhsa_kernel _ZN7rocprim17ROCPRIM_400000_NS6detail17trampoline_kernelINS0_14default_configENS1_25transform_config_selectorItLb0EEEZNS1_14transform_implILb0ES3_S5_PtN6thrust23THRUST_200600_302600_NS6detail15normal_iteratorINS9_10device_ptrItEEEENS0_8identityItEEEE10hipError_tT2_T3_mT4_P12ihipStream_tbEUlT_E_NS1_11comp_targetILNS1_3genE10ELNS1_11target_archE1201ELNS1_3gpuE5ELNS1_3repE0EEENS1_30default_config_static_selectorELNS0_4arch9wavefront6targetE1EEEvT1_
		.amdhsa_group_segment_fixed_size 0
		.amdhsa_private_segment_fixed_size 0
		.amdhsa_kernarg_size 40
		.amdhsa_user_sgpr_count 2
		.amdhsa_user_sgpr_dispatch_ptr 0
		.amdhsa_user_sgpr_queue_ptr 0
		.amdhsa_user_sgpr_kernarg_segment_ptr 1
		.amdhsa_user_sgpr_dispatch_id 0
		.amdhsa_user_sgpr_kernarg_preload_length 0
		.amdhsa_user_sgpr_kernarg_preload_offset 0
		.amdhsa_user_sgpr_private_segment_size 0
		.amdhsa_uses_dynamic_stack 0
		.amdhsa_enable_private_segment 0
		.amdhsa_system_sgpr_workgroup_id_x 1
		.amdhsa_system_sgpr_workgroup_id_y 0
		.amdhsa_system_sgpr_workgroup_id_z 0
		.amdhsa_system_sgpr_workgroup_info 0
		.amdhsa_system_vgpr_workitem_id 0
		.amdhsa_next_free_vgpr 1
		.amdhsa_next_free_sgpr 0
		.amdhsa_accum_offset 4
		.amdhsa_reserve_vcc 0
		.amdhsa_float_round_mode_32 0
		.amdhsa_float_round_mode_16_64 0
		.amdhsa_float_denorm_mode_32 3
		.amdhsa_float_denorm_mode_16_64 3
		.amdhsa_dx10_clamp 1
		.amdhsa_ieee_mode 1
		.amdhsa_fp16_overflow 0
		.amdhsa_tg_split 0
		.amdhsa_exception_fp_ieee_invalid_op 0
		.amdhsa_exception_fp_denorm_src 0
		.amdhsa_exception_fp_ieee_div_zero 0
		.amdhsa_exception_fp_ieee_overflow 0
		.amdhsa_exception_fp_ieee_underflow 0
		.amdhsa_exception_fp_ieee_inexact 0
		.amdhsa_exception_int_div_zero 0
	.end_amdhsa_kernel
	.section	.text._ZN7rocprim17ROCPRIM_400000_NS6detail17trampoline_kernelINS0_14default_configENS1_25transform_config_selectorItLb0EEEZNS1_14transform_implILb0ES3_S5_PtN6thrust23THRUST_200600_302600_NS6detail15normal_iteratorINS9_10device_ptrItEEEENS0_8identityItEEEE10hipError_tT2_T3_mT4_P12ihipStream_tbEUlT_E_NS1_11comp_targetILNS1_3genE10ELNS1_11target_archE1201ELNS1_3gpuE5ELNS1_3repE0EEENS1_30default_config_static_selectorELNS0_4arch9wavefront6targetE1EEEvT1_,"axG",@progbits,_ZN7rocprim17ROCPRIM_400000_NS6detail17trampoline_kernelINS0_14default_configENS1_25transform_config_selectorItLb0EEEZNS1_14transform_implILb0ES3_S5_PtN6thrust23THRUST_200600_302600_NS6detail15normal_iteratorINS9_10device_ptrItEEEENS0_8identityItEEEE10hipError_tT2_T3_mT4_P12ihipStream_tbEUlT_E_NS1_11comp_targetILNS1_3genE10ELNS1_11target_archE1201ELNS1_3gpuE5ELNS1_3repE0EEENS1_30default_config_static_selectorELNS0_4arch9wavefront6targetE1EEEvT1_,comdat
.Lfunc_end895:
	.size	_ZN7rocprim17ROCPRIM_400000_NS6detail17trampoline_kernelINS0_14default_configENS1_25transform_config_selectorItLb0EEEZNS1_14transform_implILb0ES3_S5_PtN6thrust23THRUST_200600_302600_NS6detail15normal_iteratorINS9_10device_ptrItEEEENS0_8identityItEEEE10hipError_tT2_T3_mT4_P12ihipStream_tbEUlT_E_NS1_11comp_targetILNS1_3genE10ELNS1_11target_archE1201ELNS1_3gpuE5ELNS1_3repE0EEENS1_30default_config_static_selectorELNS0_4arch9wavefront6targetE1EEEvT1_, .Lfunc_end895-_ZN7rocprim17ROCPRIM_400000_NS6detail17trampoline_kernelINS0_14default_configENS1_25transform_config_selectorItLb0EEEZNS1_14transform_implILb0ES3_S5_PtN6thrust23THRUST_200600_302600_NS6detail15normal_iteratorINS9_10device_ptrItEEEENS0_8identityItEEEE10hipError_tT2_T3_mT4_P12ihipStream_tbEUlT_E_NS1_11comp_targetILNS1_3genE10ELNS1_11target_archE1201ELNS1_3gpuE5ELNS1_3repE0EEENS1_30default_config_static_selectorELNS0_4arch9wavefront6targetE1EEEvT1_
                                        ; -- End function
	.set _ZN7rocprim17ROCPRIM_400000_NS6detail17trampoline_kernelINS0_14default_configENS1_25transform_config_selectorItLb0EEEZNS1_14transform_implILb0ES3_S5_PtN6thrust23THRUST_200600_302600_NS6detail15normal_iteratorINS9_10device_ptrItEEEENS0_8identityItEEEE10hipError_tT2_T3_mT4_P12ihipStream_tbEUlT_E_NS1_11comp_targetILNS1_3genE10ELNS1_11target_archE1201ELNS1_3gpuE5ELNS1_3repE0EEENS1_30default_config_static_selectorELNS0_4arch9wavefront6targetE1EEEvT1_.num_vgpr, 0
	.set _ZN7rocprim17ROCPRIM_400000_NS6detail17trampoline_kernelINS0_14default_configENS1_25transform_config_selectorItLb0EEEZNS1_14transform_implILb0ES3_S5_PtN6thrust23THRUST_200600_302600_NS6detail15normal_iteratorINS9_10device_ptrItEEEENS0_8identityItEEEE10hipError_tT2_T3_mT4_P12ihipStream_tbEUlT_E_NS1_11comp_targetILNS1_3genE10ELNS1_11target_archE1201ELNS1_3gpuE5ELNS1_3repE0EEENS1_30default_config_static_selectorELNS0_4arch9wavefront6targetE1EEEvT1_.num_agpr, 0
	.set _ZN7rocprim17ROCPRIM_400000_NS6detail17trampoline_kernelINS0_14default_configENS1_25transform_config_selectorItLb0EEEZNS1_14transform_implILb0ES3_S5_PtN6thrust23THRUST_200600_302600_NS6detail15normal_iteratorINS9_10device_ptrItEEEENS0_8identityItEEEE10hipError_tT2_T3_mT4_P12ihipStream_tbEUlT_E_NS1_11comp_targetILNS1_3genE10ELNS1_11target_archE1201ELNS1_3gpuE5ELNS1_3repE0EEENS1_30default_config_static_selectorELNS0_4arch9wavefront6targetE1EEEvT1_.numbered_sgpr, 0
	.set _ZN7rocprim17ROCPRIM_400000_NS6detail17trampoline_kernelINS0_14default_configENS1_25transform_config_selectorItLb0EEEZNS1_14transform_implILb0ES3_S5_PtN6thrust23THRUST_200600_302600_NS6detail15normal_iteratorINS9_10device_ptrItEEEENS0_8identityItEEEE10hipError_tT2_T3_mT4_P12ihipStream_tbEUlT_E_NS1_11comp_targetILNS1_3genE10ELNS1_11target_archE1201ELNS1_3gpuE5ELNS1_3repE0EEENS1_30default_config_static_selectorELNS0_4arch9wavefront6targetE1EEEvT1_.num_named_barrier, 0
	.set _ZN7rocprim17ROCPRIM_400000_NS6detail17trampoline_kernelINS0_14default_configENS1_25transform_config_selectorItLb0EEEZNS1_14transform_implILb0ES3_S5_PtN6thrust23THRUST_200600_302600_NS6detail15normal_iteratorINS9_10device_ptrItEEEENS0_8identityItEEEE10hipError_tT2_T3_mT4_P12ihipStream_tbEUlT_E_NS1_11comp_targetILNS1_3genE10ELNS1_11target_archE1201ELNS1_3gpuE5ELNS1_3repE0EEENS1_30default_config_static_selectorELNS0_4arch9wavefront6targetE1EEEvT1_.private_seg_size, 0
	.set _ZN7rocprim17ROCPRIM_400000_NS6detail17trampoline_kernelINS0_14default_configENS1_25transform_config_selectorItLb0EEEZNS1_14transform_implILb0ES3_S5_PtN6thrust23THRUST_200600_302600_NS6detail15normal_iteratorINS9_10device_ptrItEEEENS0_8identityItEEEE10hipError_tT2_T3_mT4_P12ihipStream_tbEUlT_E_NS1_11comp_targetILNS1_3genE10ELNS1_11target_archE1201ELNS1_3gpuE5ELNS1_3repE0EEENS1_30default_config_static_selectorELNS0_4arch9wavefront6targetE1EEEvT1_.uses_vcc, 0
	.set _ZN7rocprim17ROCPRIM_400000_NS6detail17trampoline_kernelINS0_14default_configENS1_25transform_config_selectorItLb0EEEZNS1_14transform_implILb0ES3_S5_PtN6thrust23THRUST_200600_302600_NS6detail15normal_iteratorINS9_10device_ptrItEEEENS0_8identityItEEEE10hipError_tT2_T3_mT4_P12ihipStream_tbEUlT_E_NS1_11comp_targetILNS1_3genE10ELNS1_11target_archE1201ELNS1_3gpuE5ELNS1_3repE0EEENS1_30default_config_static_selectorELNS0_4arch9wavefront6targetE1EEEvT1_.uses_flat_scratch, 0
	.set _ZN7rocprim17ROCPRIM_400000_NS6detail17trampoline_kernelINS0_14default_configENS1_25transform_config_selectorItLb0EEEZNS1_14transform_implILb0ES3_S5_PtN6thrust23THRUST_200600_302600_NS6detail15normal_iteratorINS9_10device_ptrItEEEENS0_8identityItEEEE10hipError_tT2_T3_mT4_P12ihipStream_tbEUlT_E_NS1_11comp_targetILNS1_3genE10ELNS1_11target_archE1201ELNS1_3gpuE5ELNS1_3repE0EEENS1_30default_config_static_selectorELNS0_4arch9wavefront6targetE1EEEvT1_.has_dyn_sized_stack, 0
	.set _ZN7rocprim17ROCPRIM_400000_NS6detail17trampoline_kernelINS0_14default_configENS1_25transform_config_selectorItLb0EEEZNS1_14transform_implILb0ES3_S5_PtN6thrust23THRUST_200600_302600_NS6detail15normal_iteratorINS9_10device_ptrItEEEENS0_8identityItEEEE10hipError_tT2_T3_mT4_P12ihipStream_tbEUlT_E_NS1_11comp_targetILNS1_3genE10ELNS1_11target_archE1201ELNS1_3gpuE5ELNS1_3repE0EEENS1_30default_config_static_selectorELNS0_4arch9wavefront6targetE1EEEvT1_.has_recursion, 0
	.set _ZN7rocprim17ROCPRIM_400000_NS6detail17trampoline_kernelINS0_14default_configENS1_25transform_config_selectorItLb0EEEZNS1_14transform_implILb0ES3_S5_PtN6thrust23THRUST_200600_302600_NS6detail15normal_iteratorINS9_10device_ptrItEEEENS0_8identityItEEEE10hipError_tT2_T3_mT4_P12ihipStream_tbEUlT_E_NS1_11comp_targetILNS1_3genE10ELNS1_11target_archE1201ELNS1_3gpuE5ELNS1_3repE0EEENS1_30default_config_static_selectorELNS0_4arch9wavefront6targetE1EEEvT1_.has_indirect_call, 0
	.section	.AMDGPU.csdata,"",@progbits
; Kernel info:
; codeLenInByte = 0
; TotalNumSgprs: 6
; NumVgprs: 0
; NumAgprs: 0
; TotalNumVgprs: 0
; ScratchSize: 0
; MemoryBound: 0
; FloatMode: 240
; IeeeMode: 1
; LDSByteSize: 0 bytes/workgroup (compile time only)
; SGPRBlocks: 0
; VGPRBlocks: 0
; NumSGPRsForWavesPerEU: 6
; NumVGPRsForWavesPerEU: 1
; AccumOffset: 4
; Occupancy: 8
; WaveLimiterHint : 0
; COMPUTE_PGM_RSRC2:SCRATCH_EN: 0
; COMPUTE_PGM_RSRC2:USER_SGPR: 2
; COMPUTE_PGM_RSRC2:TRAP_HANDLER: 0
; COMPUTE_PGM_RSRC2:TGID_X_EN: 1
; COMPUTE_PGM_RSRC2:TGID_Y_EN: 0
; COMPUTE_PGM_RSRC2:TGID_Z_EN: 0
; COMPUTE_PGM_RSRC2:TIDIG_COMP_CNT: 0
; COMPUTE_PGM_RSRC3_GFX90A:ACCUM_OFFSET: 0
; COMPUTE_PGM_RSRC3_GFX90A:TG_SPLIT: 0
	.section	.text._ZN7rocprim17ROCPRIM_400000_NS6detail17trampoline_kernelINS0_14default_configENS1_25transform_config_selectorItLb0EEEZNS1_14transform_implILb0ES3_S5_PtN6thrust23THRUST_200600_302600_NS6detail15normal_iteratorINS9_10device_ptrItEEEENS0_8identityItEEEE10hipError_tT2_T3_mT4_P12ihipStream_tbEUlT_E_NS1_11comp_targetILNS1_3genE10ELNS1_11target_archE1200ELNS1_3gpuE4ELNS1_3repE0EEENS1_30default_config_static_selectorELNS0_4arch9wavefront6targetE1EEEvT1_,"axG",@progbits,_ZN7rocprim17ROCPRIM_400000_NS6detail17trampoline_kernelINS0_14default_configENS1_25transform_config_selectorItLb0EEEZNS1_14transform_implILb0ES3_S5_PtN6thrust23THRUST_200600_302600_NS6detail15normal_iteratorINS9_10device_ptrItEEEENS0_8identityItEEEE10hipError_tT2_T3_mT4_P12ihipStream_tbEUlT_E_NS1_11comp_targetILNS1_3genE10ELNS1_11target_archE1200ELNS1_3gpuE4ELNS1_3repE0EEENS1_30default_config_static_selectorELNS0_4arch9wavefront6targetE1EEEvT1_,comdat
	.protected	_ZN7rocprim17ROCPRIM_400000_NS6detail17trampoline_kernelINS0_14default_configENS1_25transform_config_selectorItLb0EEEZNS1_14transform_implILb0ES3_S5_PtN6thrust23THRUST_200600_302600_NS6detail15normal_iteratorINS9_10device_ptrItEEEENS0_8identityItEEEE10hipError_tT2_T3_mT4_P12ihipStream_tbEUlT_E_NS1_11comp_targetILNS1_3genE10ELNS1_11target_archE1200ELNS1_3gpuE4ELNS1_3repE0EEENS1_30default_config_static_selectorELNS0_4arch9wavefront6targetE1EEEvT1_ ; -- Begin function _ZN7rocprim17ROCPRIM_400000_NS6detail17trampoline_kernelINS0_14default_configENS1_25transform_config_selectorItLb0EEEZNS1_14transform_implILb0ES3_S5_PtN6thrust23THRUST_200600_302600_NS6detail15normal_iteratorINS9_10device_ptrItEEEENS0_8identityItEEEE10hipError_tT2_T3_mT4_P12ihipStream_tbEUlT_E_NS1_11comp_targetILNS1_3genE10ELNS1_11target_archE1200ELNS1_3gpuE4ELNS1_3repE0EEENS1_30default_config_static_selectorELNS0_4arch9wavefront6targetE1EEEvT1_
	.globl	_ZN7rocprim17ROCPRIM_400000_NS6detail17trampoline_kernelINS0_14default_configENS1_25transform_config_selectorItLb0EEEZNS1_14transform_implILb0ES3_S5_PtN6thrust23THRUST_200600_302600_NS6detail15normal_iteratorINS9_10device_ptrItEEEENS0_8identityItEEEE10hipError_tT2_T3_mT4_P12ihipStream_tbEUlT_E_NS1_11comp_targetILNS1_3genE10ELNS1_11target_archE1200ELNS1_3gpuE4ELNS1_3repE0EEENS1_30default_config_static_selectorELNS0_4arch9wavefront6targetE1EEEvT1_
	.p2align	8
	.type	_ZN7rocprim17ROCPRIM_400000_NS6detail17trampoline_kernelINS0_14default_configENS1_25transform_config_selectorItLb0EEEZNS1_14transform_implILb0ES3_S5_PtN6thrust23THRUST_200600_302600_NS6detail15normal_iteratorINS9_10device_ptrItEEEENS0_8identityItEEEE10hipError_tT2_T3_mT4_P12ihipStream_tbEUlT_E_NS1_11comp_targetILNS1_3genE10ELNS1_11target_archE1200ELNS1_3gpuE4ELNS1_3repE0EEENS1_30default_config_static_selectorELNS0_4arch9wavefront6targetE1EEEvT1_,@function
_ZN7rocprim17ROCPRIM_400000_NS6detail17trampoline_kernelINS0_14default_configENS1_25transform_config_selectorItLb0EEEZNS1_14transform_implILb0ES3_S5_PtN6thrust23THRUST_200600_302600_NS6detail15normal_iteratorINS9_10device_ptrItEEEENS0_8identityItEEEE10hipError_tT2_T3_mT4_P12ihipStream_tbEUlT_E_NS1_11comp_targetILNS1_3genE10ELNS1_11target_archE1200ELNS1_3gpuE4ELNS1_3repE0EEENS1_30default_config_static_selectorELNS0_4arch9wavefront6targetE1EEEvT1_: ; @_ZN7rocprim17ROCPRIM_400000_NS6detail17trampoline_kernelINS0_14default_configENS1_25transform_config_selectorItLb0EEEZNS1_14transform_implILb0ES3_S5_PtN6thrust23THRUST_200600_302600_NS6detail15normal_iteratorINS9_10device_ptrItEEEENS0_8identityItEEEE10hipError_tT2_T3_mT4_P12ihipStream_tbEUlT_E_NS1_11comp_targetILNS1_3genE10ELNS1_11target_archE1200ELNS1_3gpuE4ELNS1_3repE0EEENS1_30default_config_static_selectorELNS0_4arch9wavefront6targetE1EEEvT1_
; %bb.0:
	.section	.rodata,"a",@progbits
	.p2align	6, 0x0
	.amdhsa_kernel _ZN7rocprim17ROCPRIM_400000_NS6detail17trampoline_kernelINS0_14default_configENS1_25transform_config_selectorItLb0EEEZNS1_14transform_implILb0ES3_S5_PtN6thrust23THRUST_200600_302600_NS6detail15normal_iteratorINS9_10device_ptrItEEEENS0_8identityItEEEE10hipError_tT2_T3_mT4_P12ihipStream_tbEUlT_E_NS1_11comp_targetILNS1_3genE10ELNS1_11target_archE1200ELNS1_3gpuE4ELNS1_3repE0EEENS1_30default_config_static_selectorELNS0_4arch9wavefront6targetE1EEEvT1_
		.amdhsa_group_segment_fixed_size 0
		.amdhsa_private_segment_fixed_size 0
		.amdhsa_kernarg_size 40
		.amdhsa_user_sgpr_count 2
		.amdhsa_user_sgpr_dispatch_ptr 0
		.amdhsa_user_sgpr_queue_ptr 0
		.amdhsa_user_sgpr_kernarg_segment_ptr 1
		.amdhsa_user_sgpr_dispatch_id 0
		.amdhsa_user_sgpr_kernarg_preload_length 0
		.amdhsa_user_sgpr_kernarg_preload_offset 0
		.amdhsa_user_sgpr_private_segment_size 0
		.amdhsa_uses_dynamic_stack 0
		.amdhsa_enable_private_segment 0
		.amdhsa_system_sgpr_workgroup_id_x 1
		.amdhsa_system_sgpr_workgroup_id_y 0
		.amdhsa_system_sgpr_workgroup_id_z 0
		.amdhsa_system_sgpr_workgroup_info 0
		.amdhsa_system_vgpr_workitem_id 0
		.amdhsa_next_free_vgpr 1
		.amdhsa_next_free_sgpr 0
		.amdhsa_accum_offset 4
		.amdhsa_reserve_vcc 0
		.amdhsa_float_round_mode_32 0
		.amdhsa_float_round_mode_16_64 0
		.amdhsa_float_denorm_mode_32 3
		.amdhsa_float_denorm_mode_16_64 3
		.amdhsa_dx10_clamp 1
		.amdhsa_ieee_mode 1
		.amdhsa_fp16_overflow 0
		.amdhsa_tg_split 0
		.amdhsa_exception_fp_ieee_invalid_op 0
		.amdhsa_exception_fp_denorm_src 0
		.amdhsa_exception_fp_ieee_div_zero 0
		.amdhsa_exception_fp_ieee_overflow 0
		.amdhsa_exception_fp_ieee_underflow 0
		.amdhsa_exception_fp_ieee_inexact 0
		.amdhsa_exception_int_div_zero 0
	.end_amdhsa_kernel
	.section	.text._ZN7rocprim17ROCPRIM_400000_NS6detail17trampoline_kernelINS0_14default_configENS1_25transform_config_selectorItLb0EEEZNS1_14transform_implILb0ES3_S5_PtN6thrust23THRUST_200600_302600_NS6detail15normal_iteratorINS9_10device_ptrItEEEENS0_8identityItEEEE10hipError_tT2_T3_mT4_P12ihipStream_tbEUlT_E_NS1_11comp_targetILNS1_3genE10ELNS1_11target_archE1200ELNS1_3gpuE4ELNS1_3repE0EEENS1_30default_config_static_selectorELNS0_4arch9wavefront6targetE1EEEvT1_,"axG",@progbits,_ZN7rocprim17ROCPRIM_400000_NS6detail17trampoline_kernelINS0_14default_configENS1_25transform_config_selectorItLb0EEEZNS1_14transform_implILb0ES3_S5_PtN6thrust23THRUST_200600_302600_NS6detail15normal_iteratorINS9_10device_ptrItEEEENS0_8identityItEEEE10hipError_tT2_T3_mT4_P12ihipStream_tbEUlT_E_NS1_11comp_targetILNS1_3genE10ELNS1_11target_archE1200ELNS1_3gpuE4ELNS1_3repE0EEENS1_30default_config_static_selectorELNS0_4arch9wavefront6targetE1EEEvT1_,comdat
.Lfunc_end896:
	.size	_ZN7rocprim17ROCPRIM_400000_NS6detail17trampoline_kernelINS0_14default_configENS1_25transform_config_selectorItLb0EEEZNS1_14transform_implILb0ES3_S5_PtN6thrust23THRUST_200600_302600_NS6detail15normal_iteratorINS9_10device_ptrItEEEENS0_8identityItEEEE10hipError_tT2_T3_mT4_P12ihipStream_tbEUlT_E_NS1_11comp_targetILNS1_3genE10ELNS1_11target_archE1200ELNS1_3gpuE4ELNS1_3repE0EEENS1_30default_config_static_selectorELNS0_4arch9wavefront6targetE1EEEvT1_, .Lfunc_end896-_ZN7rocprim17ROCPRIM_400000_NS6detail17trampoline_kernelINS0_14default_configENS1_25transform_config_selectorItLb0EEEZNS1_14transform_implILb0ES3_S5_PtN6thrust23THRUST_200600_302600_NS6detail15normal_iteratorINS9_10device_ptrItEEEENS0_8identityItEEEE10hipError_tT2_T3_mT4_P12ihipStream_tbEUlT_E_NS1_11comp_targetILNS1_3genE10ELNS1_11target_archE1200ELNS1_3gpuE4ELNS1_3repE0EEENS1_30default_config_static_selectorELNS0_4arch9wavefront6targetE1EEEvT1_
                                        ; -- End function
	.set _ZN7rocprim17ROCPRIM_400000_NS6detail17trampoline_kernelINS0_14default_configENS1_25transform_config_selectorItLb0EEEZNS1_14transform_implILb0ES3_S5_PtN6thrust23THRUST_200600_302600_NS6detail15normal_iteratorINS9_10device_ptrItEEEENS0_8identityItEEEE10hipError_tT2_T3_mT4_P12ihipStream_tbEUlT_E_NS1_11comp_targetILNS1_3genE10ELNS1_11target_archE1200ELNS1_3gpuE4ELNS1_3repE0EEENS1_30default_config_static_selectorELNS0_4arch9wavefront6targetE1EEEvT1_.num_vgpr, 0
	.set _ZN7rocprim17ROCPRIM_400000_NS6detail17trampoline_kernelINS0_14default_configENS1_25transform_config_selectorItLb0EEEZNS1_14transform_implILb0ES3_S5_PtN6thrust23THRUST_200600_302600_NS6detail15normal_iteratorINS9_10device_ptrItEEEENS0_8identityItEEEE10hipError_tT2_T3_mT4_P12ihipStream_tbEUlT_E_NS1_11comp_targetILNS1_3genE10ELNS1_11target_archE1200ELNS1_3gpuE4ELNS1_3repE0EEENS1_30default_config_static_selectorELNS0_4arch9wavefront6targetE1EEEvT1_.num_agpr, 0
	.set _ZN7rocprim17ROCPRIM_400000_NS6detail17trampoline_kernelINS0_14default_configENS1_25transform_config_selectorItLb0EEEZNS1_14transform_implILb0ES3_S5_PtN6thrust23THRUST_200600_302600_NS6detail15normal_iteratorINS9_10device_ptrItEEEENS0_8identityItEEEE10hipError_tT2_T3_mT4_P12ihipStream_tbEUlT_E_NS1_11comp_targetILNS1_3genE10ELNS1_11target_archE1200ELNS1_3gpuE4ELNS1_3repE0EEENS1_30default_config_static_selectorELNS0_4arch9wavefront6targetE1EEEvT1_.numbered_sgpr, 0
	.set _ZN7rocprim17ROCPRIM_400000_NS6detail17trampoline_kernelINS0_14default_configENS1_25transform_config_selectorItLb0EEEZNS1_14transform_implILb0ES3_S5_PtN6thrust23THRUST_200600_302600_NS6detail15normal_iteratorINS9_10device_ptrItEEEENS0_8identityItEEEE10hipError_tT2_T3_mT4_P12ihipStream_tbEUlT_E_NS1_11comp_targetILNS1_3genE10ELNS1_11target_archE1200ELNS1_3gpuE4ELNS1_3repE0EEENS1_30default_config_static_selectorELNS0_4arch9wavefront6targetE1EEEvT1_.num_named_barrier, 0
	.set _ZN7rocprim17ROCPRIM_400000_NS6detail17trampoline_kernelINS0_14default_configENS1_25transform_config_selectorItLb0EEEZNS1_14transform_implILb0ES3_S5_PtN6thrust23THRUST_200600_302600_NS6detail15normal_iteratorINS9_10device_ptrItEEEENS0_8identityItEEEE10hipError_tT2_T3_mT4_P12ihipStream_tbEUlT_E_NS1_11comp_targetILNS1_3genE10ELNS1_11target_archE1200ELNS1_3gpuE4ELNS1_3repE0EEENS1_30default_config_static_selectorELNS0_4arch9wavefront6targetE1EEEvT1_.private_seg_size, 0
	.set _ZN7rocprim17ROCPRIM_400000_NS6detail17trampoline_kernelINS0_14default_configENS1_25transform_config_selectorItLb0EEEZNS1_14transform_implILb0ES3_S5_PtN6thrust23THRUST_200600_302600_NS6detail15normal_iteratorINS9_10device_ptrItEEEENS0_8identityItEEEE10hipError_tT2_T3_mT4_P12ihipStream_tbEUlT_E_NS1_11comp_targetILNS1_3genE10ELNS1_11target_archE1200ELNS1_3gpuE4ELNS1_3repE0EEENS1_30default_config_static_selectorELNS0_4arch9wavefront6targetE1EEEvT1_.uses_vcc, 0
	.set _ZN7rocprim17ROCPRIM_400000_NS6detail17trampoline_kernelINS0_14default_configENS1_25transform_config_selectorItLb0EEEZNS1_14transform_implILb0ES3_S5_PtN6thrust23THRUST_200600_302600_NS6detail15normal_iteratorINS9_10device_ptrItEEEENS0_8identityItEEEE10hipError_tT2_T3_mT4_P12ihipStream_tbEUlT_E_NS1_11comp_targetILNS1_3genE10ELNS1_11target_archE1200ELNS1_3gpuE4ELNS1_3repE0EEENS1_30default_config_static_selectorELNS0_4arch9wavefront6targetE1EEEvT1_.uses_flat_scratch, 0
	.set _ZN7rocprim17ROCPRIM_400000_NS6detail17trampoline_kernelINS0_14default_configENS1_25transform_config_selectorItLb0EEEZNS1_14transform_implILb0ES3_S5_PtN6thrust23THRUST_200600_302600_NS6detail15normal_iteratorINS9_10device_ptrItEEEENS0_8identityItEEEE10hipError_tT2_T3_mT4_P12ihipStream_tbEUlT_E_NS1_11comp_targetILNS1_3genE10ELNS1_11target_archE1200ELNS1_3gpuE4ELNS1_3repE0EEENS1_30default_config_static_selectorELNS0_4arch9wavefront6targetE1EEEvT1_.has_dyn_sized_stack, 0
	.set _ZN7rocprim17ROCPRIM_400000_NS6detail17trampoline_kernelINS0_14default_configENS1_25transform_config_selectorItLb0EEEZNS1_14transform_implILb0ES3_S5_PtN6thrust23THRUST_200600_302600_NS6detail15normal_iteratorINS9_10device_ptrItEEEENS0_8identityItEEEE10hipError_tT2_T3_mT4_P12ihipStream_tbEUlT_E_NS1_11comp_targetILNS1_3genE10ELNS1_11target_archE1200ELNS1_3gpuE4ELNS1_3repE0EEENS1_30default_config_static_selectorELNS0_4arch9wavefront6targetE1EEEvT1_.has_recursion, 0
	.set _ZN7rocprim17ROCPRIM_400000_NS6detail17trampoline_kernelINS0_14default_configENS1_25transform_config_selectorItLb0EEEZNS1_14transform_implILb0ES3_S5_PtN6thrust23THRUST_200600_302600_NS6detail15normal_iteratorINS9_10device_ptrItEEEENS0_8identityItEEEE10hipError_tT2_T3_mT4_P12ihipStream_tbEUlT_E_NS1_11comp_targetILNS1_3genE10ELNS1_11target_archE1200ELNS1_3gpuE4ELNS1_3repE0EEENS1_30default_config_static_selectorELNS0_4arch9wavefront6targetE1EEEvT1_.has_indirect_call, 0
	.section	.AMDGPU.csdata,"",@progbits
; Kernel info:
; codeLenInByte = 0
; TotalNumSgprs: 6
; NumVgprs: 0
; NumAgprs: 0
; TotalNumVgprs: 0
; ScratchSize: 0
; MemoryBound: 0
; FloatMode: 240
; IeeeMode: 1
; LDSByteSize: 0 bytes/workgroup (compile time only)
; SGPRBlocks: 0
; VGPRBlocks: 0
; NumSGPRsForWavesPerEU: 6
; NumVGPRsForWavesPerEU: 1
; AccumOffset: 4
; Occupancy: 8
; WaveLimiterHint : 0
; COMPUTE_PGM_RSRC2:SCRATCH_EN: 0
; COMPUTE_PGM_RSRC2:USER_SGPR: 2
; COMPUTE_PGM_RSRC2:TRAP_HANDLER: 0
; COMPUTE_PGM_RSRC2:TGID_X_EN: 1
; COMPUTE_PGM_RSRC2:TGID_Y_EN: 0
; COMPUTE_PGM_RSRC2:TGID_Z_EN: 0
; COMPUTE_PGM_RSRC2:TIDIG_COMP_CNT: 0
; COMPUTE_PGM_RSRC3_GFX90A:ACCUM_OFFSET: 0
; COMPUTE_PGM_RSRC3_GFX90A:TG_SPLIT: 0
	.section	.text._ZN7rocprim17ROCPRIM_400000_NS6detail17trampoline_kernelINS0_14default_configENS1_25transform_config_selectorItLb0EEEZNS1_14transform_implILb0ES3_S5_PtN6thrust23THRUST_200600_302600_NS6detail15normal_iteratorINS9_10device_ptrItEEEENS0_8identityItEEEE10hipError_tT2_T3_mT4_P12ihipStream_tbEUlT_E_NS1_11comp_targetILNS1_3genE9ELNS1_11target_archE1100ELNS1_3gpuE3ELNS1_3repE0EEENS1_30default_config_static_selectorELNS0_4arch9wavefront6targetE1EEEvT1_,"axG",@progbits,_ZN7rocprim17ROCPRIM_400000_NS6detail17trampoline_kernelINS0_14default_configENS1_25transform_config_selectorItLb0EEEZNS1_14transform_implILb0ES3_S5_PtN6thrust23THRUST_200600_302600_NS6detail15normal_iteratorINS9_10device_ptrItEEEENS0_8identityItEEEE10hipError_tT2_T3_mT4_P12ihipStream_tbEUlT_E_NS1_11comp_targetILNS1_3genE9ELNS1_11target_archE1100ELNS1_3gpuE3ELNS1_3repE0EEENS1_30default_config_static_selectorELNS0_4arch9wavefront6targetE1EEEvT1_,comdat
	.protected	_ZN7rocprim17ROCPRIM_400000_NS6detail17trampoline_kernelINS0_14default_configENS1_25transform_config_selectorItLb0EEEZNS1_14transform_implILb0ES3_S5_PtN6thrust23THRUST_200600_302600_NS6detail15normal_iteratorINS9_10device_ptrItEEEENS0_8identityItEEEE10hipError_tT2_T3_mT4_P12ihipStream_tbEUlT_E_NS1_11comp_targetILNS1_3genE9ELNS1_11target_archE1100ELNS1_3gpuE3ELNS1_3repE0EEENS1_30default_config_static_selectorELNS0_4arch9wavefront6targetE1EEEvT1_ ; -- Begin function _ZN7rocprim17ROCPRIM_400000_NS6detail17trampoline_kernelINS0_14default_configENS1_25transform_config_selectorItLb0EEEZNS1_14transform_implILb0ES3_S5_PtN6thrust23THRUST_200600_302600_NS6detail15normal_iteratorINS9_10device_ptrItEEEENS0_8identityItEEEE10hipError_tT2_T3_mT4_P12ihipStream_tbEUlT_E_NS1_11comp_targetILNS1_3genE9ELNS1_11target_archE1100ELNS1_3gpuE3ELNS1_3repE0EEENS1_30default_config_static_selectorELNS0_4arch9wavefront6targetE1EEEvT1_
	.globl	_ZN7rocprim17ROCPRIM_400000_NS6detail17trampoline_kernelINS0_14default_configENS1_25transform_config_selectorItLb0EEEZNS1_14transform_implILb0ES3_S5_PtN6thrust23THRUST_200600_302600_NS6detail15normal_iteratorINS9_10device_ptrItEEEENS0_8identityItEEEE10hipError_tT2_T3_mT4_P12ihipStream_tbEUlT_E_NS1_11comp_targetILNS1_3genE9ELNS1_11target_archE1100ELNS1_3gpuE3ELNS1_3repE0EEENS1_30default_config_static_selectorELNS0_4arch9wavefront6targetE1EEEvT1_
	.p2align	8
	.type	_ZN7rocprim17ROCPRIM_400000_NS6detail17trampoline_kernelINS0_14default_configENS1_25transform_config_selectorItLb0EEEZNS1_14transform_implILb0ES3_S5_PtN6thrust23THRUST_200600_302600_NS6detail15normal_iteratorINS9_10device_ptrItEEEENS0_8identityItEEEE10hipError_tT2_T3_mT4_P12ihipStream_tbEUlT_E_NS1_11comp_targetILNS1_3genE9ELNS1_11target_archE1100ELNS1_3gpuE3ELNS1_3repE0EEENS1_30default_config_static_selectorELNS0_4arch9wavefront6targetE1EEEvT1_,@function
_ZN7rocprim17ROCPRIM_400000_NS6detail17trampoline_kernelINS0_14default_configENS1_25transform_config_selectorItLb0EEEZNS1_14transform_implILb0ES3_S5_PtN6thrust23THRUST_200600_302600_NS6detail15normal_iteratorINS9_10device_ptrItEEEENS0_8identityItEEEE10hipError_tT2_T3_mT4_P12ihipStream_tbEUlT_E_NS1_11comp_targetILNS1_3genE9ELNS1_11target_archE1100ELNS1_3gpuE3ELNS1_3repE0EEENS1_30default_config_static_selectorELNS0_4arch9wavefront6targetE1EEEvT1_: ; @_ZN7rocprim17ROCPRIM_400000_NS6detail17trampoline_kernelINS0_14default_configENS1_25transform_config_selectorItLb0EEEZNS1_14transform_implILb0ES3_S5_PtN6thrust23THRUST_200600_302600_NS6detail15normal_iteratorINS9_10device_ptrItEEEENS0_8identityItEEEE10hipError_tT2_T3_mT4_P12ihipStream_tbEUlT_E_NS1_11comp_targetILNS1_3genE9ELNS1_11target_archE1100ELNS1_3gpuE3ELNS1_3repE0EEENS1_30default_config_static_selectorELNS0_4arch9wavefront6targetE1EEEvT1_
; %bb.0:
	.section	.rodata,"a",@progbits
	.p2align	6, 0x0
	.amdhsa_kernel _ZN7rocprim17ROCPRIM_400000_NS6detail17trampoline_kernelINS0_14default_configENS1_25transform_config_selectorItLb0EEEZNS1_14transform_implILb0ES3_S5_PtN6thrust23THRUST_200600_302600_NS6detail15normal_iteratorINS9_10device_ptrItEEEENS0_8identityItEEEE10hipError_tT2_T3_mT4_P12ihipStream_tbEUlT_E_NS1_11comp_targetILNS1_3genE9ELNS1_11target_archE1100ELNS1_3gpuE3ELNS1_3repE0EEENS1_30default_config_static_selectorELNS0_4arch9wavefront6targetE1EEEvT1_
		.amdhsa_group_segment_fixed_size 0
		.amdhsa_private_segment_fixed_size 0
		.amdhsa_kernarg_size 40
		.amdhsa_user_sgpr_count 2
		.amdhsa_user_sgpr_dispatch_ptr 0
		.amdhsa_user_sgpr_queue_ptr 0
		.amdhsa_user_sgpr_kernarg_segment_ptr 1
		.amdhsa_user_sgpr_dispatch_id 0
		.amdhsa_user_sgpr_kernarg_preload_length 0
		.amdhsa_user_sgpr_kernarg_preload_offset 0
		.amdhsa_user_sgpr_private_segment_size 0
		.amdhsa_uses_dynamic_stack 0
		.amdhsa_enable_private_segment 0
		.amdhsa_system_sgpr_workgroup_id_x 1
		.amdhsa_system_sgpr_workgroup_id_y 0
		.amdhsa_system_sgpr_workgroup_id_z 0
		.amdhsa_system_sgpr_workgroup_info 0
		.amdhsa_system_vgpr_workitem_id 0
		.amdhsa_next_free_vgpr 1
		.amdhsa_next_free_sgpr 0
		.amdhsa_accum_offset 4
		.amdhsa_reserve_vcc 0
		.amdhsa_float_round_mode_32 0
		.amdhsa_float_round_mode_16_64 0
		.amdhsa_float_denorm_mode_32 3
		.amdhsa_float_denorm_mode_16_64 3
		.amdhsa_dx10_clamp 1
		.amdhsa_ieee_mode 1
		.amdhsa_fp16_overflow 0
		.amdhsa_tg_split 0
		.amdhsa_exception_fp_ieee_invalid_op 0
		.amdhsa_exception_fp_denorm_src 0
		.amdhsa_exception_fp_ieee_div_zero 0
		.amdhsa_exception_fp_ieee_overflow 0
		.amdhsa_exception_fp_ieee_underflow 0
		.amdhsa_exception_fp_ieee_inexact 0
		.amdhsa_exception_int_div_zero 0
	.end_amdhsa_kernel
	.section	.text._ZN7rocprim17ROCPRIM_400000_NS6detail17trampoline_kernelINS0_14default_configENS1_25transform_config_selectorItLb0EEEZNS1_14transform_implILb0ES3_S5_PtN6thrust23THRUST_200600_302600_NS6detail15normal_iteratorINS9_10device_ptrItEEEENS0_8identityItEEEE10hipError_tT2_T3_mT4_P12ihipStream_tbEUlT_E_NS1_11comp_targetILNS1_3genE9ELNS1_11target_archE1100ELNS1_3gpuE3ELNS1_3repE0EEENS1_30default_config_static_selectorELNS0_4arch9wavefront6targetE1EEEvT1_,"axG",@progbits,_ZN7rocprim17ROCPRIM_400000_NS6detail17trampoline_kernelINS0_14default_configENS1_25transform_config_selectorItLb0EEEZNS1_14transform_implILb0ES3_S5_PtN6thrust23THRUST_200600_302600_NS6detail15normal_iteratorINS9_10device_ptrItEEEENS0_8identityItEEEE10hipError_tT2_T3_mT4_P12ihipStream_tbEUlT_E_NS1_11comp_targetILNS1_3genE9ELNS1_11target_archE1100ELNS1_3gpuE3ELNS1_3repE0EEENS1_30default_config_static_selectorELNS0_4arch9wavefront6targetE1EEEvT1_,comdat
.Lfunc_end897:
	.size	_ZN7rocprim17ROCPRIM_400000_NS6detail17trampoline_kernelINS0_14default_configENS1_25transform_config_selectorItLb0EEEZNS1_14transform_implILb0ES3_S5_PtN6thrust23THRUST_200600_302600_NS6detail15normal_iteratorINS9_10device_ptrItEEEENS0_8identityItEEEE10hipError_tT2_T3_mT4_P12ihipStream_tbEUlT_E_NS1_11comp_targetILNS1_3genE9ELNS1_11target_archE1100ELNS1_3gpuE3ELNS1_3repE0EEENS1_30default_config_static_selectorELNS0_4arch9wavefront6targetE1EEEvT1_, .Lfunc_end897-_ZN7rocprim17ROCPRIM_400000_NS6detail17trampoline_kernelINS0_14default_configENS1_25transform_config_selectorItLb0EEEZNS1_14transform_implILb0ES3_S5_PtN6thrust23THRUST_200600_302600_NS6detail15normal_iteratorINS9_10device_ptrItEEEENS0_8identityItEEEE10hipError_tT2_T3_mT4_P12ihipStream_tbEUlT_E_NS1_11comp_targetILNS1_3genE9ELNS1_11target_archE1100ELNS1_3gpuE3ELNS1_3repE0EEENS1_30default_config_static_selectorELNS0_4arch9wavefront6targetE1EEEvT1_
                                        ; -- End function
	.set _ZN7rocprim17ROCPRIM_400000_NS6detail17trampoline_kernelINS0_14default_configENS1_25transform_config_selectorItLb0EEEZNS1_14transform_implILb0ES3_S5_PtN6thrust23THRUST_200600_302600_NS6detail15normal_iteratorINS9_10device_ptrItEEEENS0_8identityItEEEE10hipError_tT2_T3_mT4_P12ihipStream_tbEUlT_E_NS1_11comp_targetILNS1_3genE9ELNS1_11target_archE1100ELNS1_3gpuE3ELNS1_3repE0EEENS1_30default_config_static_selectorELNS0_4arch9wavefront6targetE1EEEvT1_.num_vgpr, 0
	.set _ZN7rocprim17ROCPRIM_400000_NS6detail17trampoline_kernelINS0_14default_configENS1_25transform_config_selectorItLb0EEEZNS1_14transform_implILb0ES3_S5_PtN6thrust23THRUST_200600_302600_NS6detail15normal_iteratorINS9_10device_ptrItEEEENS0_8identityItEEEE10hipError_tT2_T3_mT4_P12ihipStream_tbEUlT_E_NS1_11comp_targetILNS1_3genE9ELNS1_11target_archE1100ELNS1_3gpuE3ELNS1_3repE0EEENS1_30default_config_static_selectorELNS0_4arch9wavefront6targetE1EEEvT1_.num_agpr, 0
	.set _ZN7rocprim17ROCPRIM_400000_NS6detail17trampoline_kernelINS0_14default_configENS1_25transform_config_selectorItLb0EEEZNS1_14transform_implILb0ES3_S5_PtN6thrust23THRUST_200600_302600_NS6detail15normal_iteratorINS9_10device_ptrItEEEENS0_8identityItEEEE10hipError_tT2_T3_mT4_P12ihipStream_tbEUlT_E_NS1_11comp_targetILNS1_3genE9ELNS1_11target_archE1100ELNS1_3gpuE3ELNS1_3repE0EEENS1_30default_config_static_selectorELNS0_4arch9wavefront6targetE1EEEvT1_.numbered_sgpr, 0
	.set _ZN7rocprim17ROCPRIM_400000_NS6detail17trampoline_kernelINS0_14default_configENS1_25transform_config_selectorItLb0EEEZNS1_14transform_implILb0ES3_S5_PtN6thrust23THRUST_200600_302600_NS6detail15normal_iteratorINS9_10device_ptrItEEEENS0_8identityItEEEE10hipError_tT2_T3_mT4_P12ihipStream_tbEUlT_E_NS1_11comp_targetILNS1_3genE9ELNS1_11target_archE1100ELNS1_3gpuE3ELNS1_3repE0EEENS1_30default_config_static_selectorELNS0_4arch9wavefront6targetE1EEEvT1_.num_named_barrier, 0
	.set _ZN7rocprim17ROCPRIM_400000_NS6detail17trampoline_kernelINS0_14default_configENS1_25transform_config_selectorItLb0EEEZNS1_14transform_implILb0ES3_S5_PtN6thrust23THRUST_200600_302600_NS6detail15normal_iteratorINS9_10device_ptrItEEEENS0_8identityItEEEE10hipError_tT2_T3_mT4_P12ihipStream_tbEUlT_E_NS1_11comp_targetILNS1_3genE9ELNS1_11target_archE1100ELNS1_3gpuE3ELNS1_3repE0EEENS1_30default_config_static_selectorELNS0_4arch9wavefront6targetE1EEEvT1_.private_seg_size, 0
	.set _ZN7rocprim17ROCPRIM_400000_NS6detail17trampoline_kernelINS0_14default_configENS1_25transform_config_selectorItLb0EEEZNS1_14transform_implILb0ES3_S5_PtN6thrust23THRUST_200600_302600_NS6detail15normal_iteratorINS9_10device_ptrItEEEENS0_8identityItEEEE10hipError_tT2_T3_mT4_P12ihipStream_tbEUlT_E_NS1_11comp_targetILNS1_3genE9ELNS1_11target_archE1100ELNS1_3gpuE3ELNS1_3repE0EEENS1_30default_config_static_selectorELNS0_4arch9wavefront6targetE1EEEvT1_.uses_vcc, 0
	.set _ZN7rocprim17ROCPRIM_400000_NS6detail17trampoline_kernelINS0_14default_configENS1_25transform_config_selectorItLb0EEEZNS1_14transform_implILb0ES3_S5_PtN6thrust23THRUST_200600_302600_NS6detail15normal_iteratorINS9_10device_ptrItEEEENS0_8identityItEEEE10hipError_tT2_T3_mT4_P12ihipStream_tbEUlT_E_NS1_11comp_targetILNS1_3genE9ELNS1_11target_archE1100ELNS1_3gpuE3ELNS1_3repE0EEENS1_30default_config_static_selectorELNS0_4arch9wavefront6targetE1EEEvT1_.uses_flat_scratch, 0
	.set _ZN7rocprim17ROCPRIM_400000_NS6detail17trampoline_kernelINS0_14default_configENS1_25transform_config_selectorItLb0EEEZNS1_14transform_implILb0ES3_S5_PtN6thrust23THRUST_200600_302600_NS6detail15normal_iteratorINS9_10device_ptrItEEEENS0_8identityItEEEE10hipError_tT2_T3_mT4_P12ihipStream_tbEUlT_E_NS1_11comp_targetILNS1_3genE9ELNS1_11target_archE1100ELNS1_3gpuE3ELNS1_3repE0EEENS1_30default_config_static_selectorELNS0_4arch9wavefront6targetE1EEEvT1_.has_dyn_sized_stack, 0
	.set _ZN7rocprim17ROCPRIM_400000_NS6detail17trampoline_kernelINS0_14default_configENS1_25transform_config_selectorItLb0EEEZNS1_14transform_implILb0ES3_S5_PtN6thrust23THRUST_200600_302600_NS6detail15normal_iteratorINS9_10device_ptrItEEEENS0_8identityItEEEE10hipError_tT2_T3_mT4_P12ihipStream_tbEUlT_E_NS1_11comp_targetILNS1_3genE9ELNS1_11target_archE1100ELNS1_3gpuE3ELNS1_3repE0EEENS1_30default_config_static_selectorELNS0_4arch9wavefront6targetE1EEEvT1_.has_recursion, 0
	.set _ZN7rocprim17ROCPRIM_400000_NS6detail17trampoline_kernelINS0_14default_configENS1_25transform_config_selectorItLb0EEEZNS1_14transform_implILb0ES3_S5_PtN6thrust23THRUST_200600_302600_NS6detail15normal_iteratorINS9_10device_ptrItEEEENS0_8identityItEEEE10hipError_tT2_T3_mT4_P12ihipStream_tbEUlT_E_NS1_11comp_targetILNS1_3genE9ELNS1_11target_archE1100ELNS1_3gpuE3ELNS1_3repE0EEENS1_30default_config_static_selectorELNS0_4arch9wavefront6targetE1EEEvT1_.has_indirect_call, 0
	.section	.AMDGPU.csdata,"",@progbits
; Kernel info:
; codeLenInByte = 0
; TotalNumSgprs: 6
; NumVgprs: 0
; NumAgprs: 0
; TotalNumVgprs: 0
; ScratchSize: 0
; MemoryBound: 0
; FloatMode: 240
; IeeeMode: 1
; LDSByteSize: 0 bytes/workgroup (compile time only)
; SGPRBlocks: 0
; VGPRBlocks: 0
; NumSGPRsForWavesPerEU: 6
; NumVGPRsForWavesPerEU: 1
; AccumOffset: 4
; Occupancy: 8
; WaveLimiterHint : 0
; COMPUTE_PGM_RSRC2:SCRATCH_EN: 0
; COMPUTE_PGM_RSRC2:USER_SGPR: 2
; COMPUTE_PGM_RSRC2:TRAP_HANDLER: 0
; COMPUTE_PGM_RSRC2:TGID_X_EN: 1
; COMPUTE_PGM_RSRC2:TGID_Y_EN: 0
; COMPUTE_PGM_RSRC2:TGID_Z_EN: 0
; COMPUTE_PGM_RSRC2:TIDIG_COMP_CNT: 0
; COMPUTE_PGM_RSRC3_GFX90A:ACCUM_OFFSET: 0
; COMPUTE_PGM_RSRC3_GFX90A:TG_SPLIT: 0
	.section	.text._ZN7rocprim17ROCPRIM_400000_NS6detail17trampoline_kernelINS0_14default_configENS1_25transform_config_selectorItLb0EEEZNS1_14transform_implILb0ES3_S5_PtN6thrust23THRUST_200600_302600_NS6detail15normal_iteratorINS9_10device_ptrItEEEENS0_8identityItEEEE10hipError_tT2_T3_mT4_P12ihipStream_tbEUlT_E_NS1_11comp_targetILNS1_3genE8ELNS1_11target_archE1030ELNS1_3gpuE2ELNS1_3repE0EEENS1_30default_config_static_selectorELNS0_4arch9wavefront6targetE1EEEvT1_,"axG",@progbits,_ZN7rocprim17ROCPRIM_400000_NS6detail17trampoline_kernelINS0_14default_configENS1_25transform_config_selectorItLb0EEEZNS1_14transform_implILb0ES3_S5_PtN6thrust23THRUST_200600_302600_NS6detail15normal_iteratorINS9_10device_ptrItEEEENS0_8identityItEEEE10hipError_tT2_T3_mT4_P12ihipStream_tbEUlT_E_NS1_11comp_targetILNS1_3genE8ELNS1_11target_archE1030ELNS1_3gpuE2ELNS1_3repE0EEENS1_30default_config_static_selectorELNS0_4arch9wavefront6targetE1EEEvT1_,comdat
	.protected	_ZN7rocprim17ROCPRIM_400000_NS6detail17trampoline_kernelINS0_14default_configENS1_25transform_config_selectorItLb0EEEZNS1_14transform_implILb0ES3_S5_PtN6thrust23THRUST_200600_302600_NS6detail15normal_iteratorINS9_10device_ptrItEEEENS0_8identityItEEEE10hipError_tT2_T3_mT4_P12ihipStream_tbEUlT_E_NS1_11comp_targetILNS1_3genE8ELNS1_11target_archE1030ELNS1_3gpuE2ELNS1_3repE0EEENS1_30default_config_static_selectorELNS0_4arch9wavefront6targetE1EEEvT1_ ; -- Begin function _ZN7rocprim17ROCPRIM_400000_NS6detail17trampoline_kernelINS0_14default_configENS1_25transform_config_selectorItLb0EEEZNS1_14transform_implILb0ES3_S5_PtN6thrust23THRUST_200600_302600_NS6detail15normal_iteratorINS9_10device_ptrItEEEENS0_8identityItEEEE10hipError_tT2_T3_mT4_P12ihipStream_tbEUlT_E_NS1_11comp_targetILNS1_3genE8ELNS1_11target_archE1030ELNS1_3gpuE2ELNS1_3repE0EEENS1_30default_config_static_selectorELNS0_4arch9wavefront6targetE1EEEvT1_
	.globl	_ZN7rocprim17ROCPRIM_400000_NS6detail17trampoline_kernelINS0_14default_configENS1_25transform_config_selectorItLb0EEEZNS1_14transform_implILb0ES3_S5_PtN6thrust23THRUST_200600_302600_NS6detail15normal_iteratorINS9_10device_ptrItEEEENS0_8identityItEEEE10hipError_tT2_T3_mT4_P12ihipStream_tbEUlT_E_NS1_11comp_targetILNS1_3genE8ELNS1_11target_archE1030ELNS1_3gpuE2ELNS1_3repE0EEENS1_30default_config_static_selectorELNS0_4arch9wavefront6targetE1EEEvT1_
	.p2align	8
	.type	_ZN7rocprim17ROCPRIM_400000_NS6detail17trampoline_kernelINS0_14default_configENS1_25transform_config_selectorItLb0EEEZNS1_14transform_implILb0ES3_S5_PtN6thrust23THRUST_200600_302600_NS6detail15normal_iteratorINS9_10device_ptrItEEEENS0_8identityItEEEE10hipError_tT2_T3_mT4_P12ihipStream_tbEUlT_E_NS1_11comp_targetILNS1_3genE8ELNS1_11target_archE1030ELNS1_3gpuE2ELNS1_3repE0EEENS1_30default_config_static_selectorELNS0_4arch9wavefront6targetE1EEEvT1_,@function
_ZN7rocprim17ROCPRIM_400000_NS6detail17trampoline_kernelINS0_14default_configENS1_25transform_config_selectorItLb0EEEZNS1_14transform_implILb0ES3_S5_PtN6thrust23THRUST_200600_302600_NS6detail15normal_iteratorINS9_10device_ptrItEEEENS0_8identityItEEEE10hipError_tT2_T3_mT4_P12ihipStream_tbEUlT_E_NS1_11comp_targetILNS1_3genE8ELNS1_11target_archE1030ELNS1_3gpuE2ELNS1_3repE0EEENS1_30default_config_static_selectorELNS0_4arch9wavefront6targetE1EEEvT1_: ; @_ZN7rocprim17ROCPRIM_400000_NS6detail17trampoline_kernelINS0_14default_configENS1_25transform_config_selectorItLb0EEEZNS1_14transform_implILb0ES3_S5_PtN6thrust23THRUST_200600_302600_NS6detail15normal_iteratorINS9_10device_ptrItEEEENS0_8identityItEEEE10hipError_tT2_T3_mT4_P12ihipStream_tbEUlT_E_NS1_11comp_targetILNS1_3genE8ELNS1_11target_archE1030ELNS1_3gpuE2ELNS1_3repE0EEENS1_30default_config_static_selectorELNS0_4arch9wavefront6targetE1EEEvT1_
; %bb.0:
	.section	.rodata,"a",@progbits
	.p2align	6, 0x0
	.amdhsa_kernel _ZN7rocprim17ROCPRIM_400000_NS6detail17trampoline_kernelINS0_14default_configENS1_25transform_config_selectorItLb0EEEZNS1_14transform_implILb0ES3_S5_PtN6thrust23THRUST_200600_302600_NS6detail15normal_iteratorINS9_10device_ptrItEEEENS0_8identityItEEEE10hipError_tT2_T3_mT4_P12ihipStream_tbEUlT_E_NS1_11comp_targetILNS1_3genE8ELNS1_11target_archE1030ELNS1_3gpuE2ELNS1_3repE0EEENS1_30default_config_static_selectorELNS0_4arch9wavefront6targetE1EEEvT1_
		.amdhsa_group_segment_fixed_size 0
		.amdhsa_private_segment_fixed_size 0
		.amdhsa_kernarg_size 40
		.amdhsa_user_sgpr_count 2
		.amdhsa_user_sgpr_dispatch_ptr 0
		.amdhsa_user_sgpr_queue_ptr 0
		.amdhsa_user_sgpr_kernarg_segment_ptr 1
		.amdhsa_user_sgpr_dispatch_id 0
		.amdhsa_user_sgpr_kernarg_preload_length 0
		.amdhsa_user_sgpr_kernarg_preload_offset 0
		.amdhsa_user_sgpr_private_segment_size 0
		.amdhsa_uses_dynamic_stack 0
		.amdhsa_enable_private_segment 0
		.amdhsa_system_sgpr_workgroup_id_x 1
		.amdhsa_system_sgpr_workgroup_id_y 0
		.amdhsa_system_sgpr_workgroup_id_z 0
		.amdhsa_system_sgpr_workgroup_info 0
		.amdhsa_system_vgpr_workitem_id 0
		.amdhsa_next_free_vgpr 1
		.amdhsa_next_free_sgpr 0
		.amdhsa_accum_offset 4
		.amdhsa_reserve_vcc 0
		.amdhsa_float_round_mode_32 0
		.amdhsa_float_round_mode_16_64 0
		.amdhsa_float_denorm_mode_32 3
		.amdhsa_float_denorm_mode_16_64 3
		.amdhsa_dx10_clamp 1
		.amdhsa_ieee_mode 1
		.amdhsa_fp16_overflow 0
		.amdhsa_tg_split 0
		.amdhsa_exception_fp_ieee_invalid_op 0
		.amdhsa_exception_fp_denorm_src 0
		.amdhsa_exception_fp_ieee_div_zero 0
		.amdhsa_exception_fp_ieee_overflow 0
		.amdhsa_exception_fp_ieee_underflow 0
		.amdhsa_exception_fp_ieee_inexact 0
		.amdhsa_exception_int_div_zero 0
	.end_amdhsa_kernel
	.section	.text._ZN7rocprim17ROCPRIM_400000_NS6detail17trampoline_kernelINS0_14default_configENS1_25transform_config_selectorItLb0EEEZNS1_14transform_implILb0ES3_S5_PtN6thrust23THRUST_200600_302600_NS6detail15normal_iteratorINS9_10device_ptrItEEEENS0_8identityItEEEE10hipError_tT2_T3_mT4_P12ihipStream_tbEUlT_E_NS1_11comp_targetILNS1_3genE8ELNS1_11target_archE1030ELNS1_3gpuE2ELNS1_3repE0EEENS1_30default_config_static_selectorELNS0_4arch9wavefront6targetE1EEEvT1_,"axG",@progbits,_ZN7rocprim17ROCPRIM_400000_NS6detail17trampoline_kernelINS0_14default_configENS1_25transform_config_selectorItLb0EEEZNS1_14transform_implILb0ES3_S5_PtN6thrust23THRUST_200600_302600_NS6detail15normal_iteratorINS9_10device_ptrItEEEENS0_8identityItEEEE10hipError_tT2_T3_mT4_P12ihipStream_tbEUlT_E_NS1_11comp_targetILNS1_3genE8ELNS1_11target_archE1030ELNS1_3gpuE2ELNS1_3repE0EEENS1_30default_config_static_selectorELNS0_4arch9wavefront6targetE1EEEvT1_,comdat
.Lfunc_end898:
	.size	_ZN7rocprim17ROCPRIM_400000_NS6detail17trampoline_kernelINS0_14default_configENS1_25transform_config_selectorItLb0EEEZNS1_14transform_implILb0ES3_S5_PtN6thrust23THRUST_200600_302600_NS6detail15normal_iteratorINS9_10device_ptrItEEEENS0_8identityItEEEE10hipError_tT2_T3_mT4_P12ihipStream_tbEUlT_E_NS1_11comp_targetILNS1_3genE8ELNS1_11target_archE1030ELNS1_3gpuE2ELNS1_3repE0EEENS1_30default_config_static_selectorELNS0_4arch9wavefront6targetE1EEEvT1_, .Lfunc_end898-_ZN7rocprim17ROCPRIM_400000_NS6detail17trampoline_kernelINS0_14default_configENS1_25transform_config_selectorItLb0EEEZNS1_14transform_implILb0ES3_S5_PtN6thrust23THRUST_200600_302600_NS6detail15normal_iteratorINS9_10device_ptrItEEEENS0_8identityItEEEE10hipError_tT2_T3_mT4_P12ihipStream_tbEUlT_E_NS1_11comp_targetILNS1_3genE8ELNS1_11target_archE1030ELNS1_3gpuE2ELNS1_3repE0EEENS1_30default_config_static_selectorELNS0_4arch9wavefront6targetE1EEEvT1_
                                        ; -- End function
	.set _ZN7rocprim17ROCPRIM_400000_NS6detail17trampoline_kernelINS0_14default_configENS1_25transform_config_selectorItLb0EEEZNS1_14transform_implILb0ES3_S5_PtN6thrust23THRUST_200600_302600_NS6detail15normal_iteratorINS9_10device_ptrItEEEENS0_8identityItEEEE10hipError_tT2_T3_mT4_P12ihipStream_tbEUlT_E_NS1_11comp_targetILNS1_3genE8ELNS1_11target_archE1030ELNS1_3gpuE2ELNS1_3repE0EEENS1_30default_config_static_selectorELNS0_4arch9wavefront6targetE1EEEvT1_.num_vgpr, 0
	.set _ZN7rocprim17ROCPRIM_400000_NS6detail17trampoline_kernelINS0_14default_configENS1_25transform_config_selectorItLb0EEEZNS1_14transform_implILb0ES3_S5_PtN6thrust23THRUST_200600_302600_NS6detail15normal_iteratorINS9_10device_ptrItEEEENS0_8identityItEEEE10hipError_tT2_T3_mT4_P12ihipStream_tbEUlT_E_NS1_11comp_targetILNS1_3genE8ELNS1_11target_archE1030ELNS1_3gpuE2ELNS1_3repE0EEENS1_30default_config_static_selectorELNS0_4arch9wavefront6targetE1EEEvT1_.num_agpr, 0
	.set _ZN7rocprim17ROCPRIM_400000_NS6detail17trampoline_kernelINS0_14default_configENS1_25transform_config_selectorItLb0EEEZNS1_14transform_implILb0ES3_S5_PtN6thrust23THRUST_200600_302600_NS6detail15normal_iteratorINS9_10device_ptrItEEEENS0_8identityItEEEE10hipError_tT2_T3_mT4_P12ihipStream_tbEUlT_E_NS1_11comp_targetILNS1_3genE8ELNS1_11target_archE1030ELNS1_3gpuE2ELNS1_3repE0EEENS1_30default_config_static_selectorELNS0_4arch9wavefront6targetE1EEEvT1_.numbered_sgpr, 0
	.set _ZN7rocprim17ROCPRIM_400000_NS6detail17trampoline_kernelINS0_14default_configENS1_25transform_config_selectorItLb0EEEZNS1_14transform_implILb0ES3_S5_PtN6thrust23THRUST_200600_302600_NS6detail15normal_iteratorINS9_10device_ptrItEEEENS0_8identityItEEEE10hipError_tT2_T3_mT4_P12ihipStream_tbEUlT_E_NS1_11comp_targetILNS1_3genE8ELNS1_11target_archE1030ELNS1_3gpuE2ELNS1_3repE0EEENS1_30default_config_static_selectorELNS0_4arch9wavefront6targetE1EEEvT1_.num_named_barrier, 0
	.set _ZN7rocprim17ROCPRIM_400000_NS6detail17trampoline_kernelINS0_14default_configENS1_25transform_config_selectorItLb0EEEZNS1_14transform_implILb0ES3_S5_PtN6thrust23THRUST_200600_302600_NS6detail15normal_iteratorINS9_10device_ptrItEEEENS0_8identityItEEEE10hipError_tT2_T3_mT4_P12ihipStream_tbEUlT_E_NS1_11comp_targetILNS1_3genE8ELNS1_11target_archE1030ELNS1_3gpuE2ELNS1_3repE0EEENS1_30default_config_static_selectorELNS0_4arch9wavefront6targetE1EEEvT1_.private_seg_size, 0
	.set _ZN7rocprim17ROCPRIM_400000_NS6detail17trampoline_kernelINS0_14default_configENS1_25transform_config_selectorItLb0EEEZNS1_14transform_implILb0ES3_S5_PtN6thrust23THRUST_200600_302600_NS6detail15normal_iteratorINS9_10device_ptrItEEEENS0_8identityItEEEE10hipError_tT2_T3_mT4_P12ihipStream_tbEUlT_E_NS1_11comp_targetILNS1_3genE8ELNS1_11target_archE1030ELNS1_3gpuE2ELNS1_3repE0EEENS1_30default_config_static_selectorELNS0_4arch9wavefront6targetE1EEEvT1_.uses_vcc, 0
	.set _ZN7rocprim17ROCPRIM_400000_NS6detail17trampoline_kernelINS0_14default_configENS1_25transform_config_selectorItLb0EEEZNS1_14transform_implILb0ES3_S5_PtN6thrust23THRUST_200600_302600_NS6detail15normal_iteratorINS9_10device_ptrItEEEENS0_8identityItEEEE10hipError_tT2_T3_mT4_P12ihipStream_tbEUlT_E_NS1_11comp_targetILNS1_3genE8ELNS1_11target_archE1030ELNS1_3gpuE2ELNS1_3repE0EEENS1_30default_config_static_selectorELNS0_4arch9wavefront6targetE1EEEvT1_.uses_flat_scratch, 0
	.set _ZN7rocprim17ROCPRIM_400000_NS6detail17trampoline_kernelINS0_14default_configENS1_25transform_config_selectorItLb0EEEZNS1_14transform_implILb0ES3_S5_PtN6thrust23THRUST_200600_302600_NS6detail15normal_iteratorINS9_10device_ptrItEEEENS0_8identityItEEEE10hipError_tT2_T3_mT4_P12ihipStream_tbEUlT_E_NS1_11comp_targetILNS1_3genE8ELNS1_11target_archE1030ELNS1_3gpuE2ELNS1_3repE0EEENS1_30default_config_static_selectorELNS0_4arch9wavefront6targetE1EEEvT1_.has_dyn_sized_stack, 0
	.set _ZN7rocprim17ROCPRIM_400000_NS6detail17trampoline_kernelINS0_14default_configENS1_25transform_config_selectorItLb0EEEZNS1_14transform_implILb0ES3_S5_PtN6thrust23THRUST_200600_302600_NS6detail15normal_iteratorINS9_10device_ptrItEEEENS0_8identityItEEEE10hipError_tT2_T3_mT4_P12ihipStream_tbEUlT_E_NS1_11comp_targetILNS1_3genE8ELNS1_11target_archE1030ELNS1_3gpuE2ELNS1_3repE0EEENS1_30default_config_static_selectorELNS0_4arch9wavefront6targetE1EEEvT1_.has_recursion, 0
	.set _ZN7rocprim17ROCPRIM_400000_NS6detail17trampoline_kernelINS0_14default_configENS1_25transform_config_selectorItLb0EEEZNS1_14transform_implILb0ES3_S5_PtN6thrust23THRUST_200600_302600_NS6detail15normal_iteratorINS9_10device_ptrItEEEENS0_8identityItEEEE10hipError_tT2_T3_mT4_P12ihipStream_tbEUlT_E_NS1_11comp_targetILNS1_3genE8ELNS1_11target_archE1030ELNS1_3gpuE2ELNS1_3repE0EEENS1_30default_config_static_selectorELNS0_4arch9wavefront6targetE1EEEvT1_.has_indirect_call, 0
	.section	.AMDGPU.csdata,"",@progbits
; Kernel info:
; codeLenInByte = 0
; TotalNumSgprs: 6
; NumVgprs: 0
; NumAgprs: 0
; TotalNumVgprs: 0
; ScratchSize: 0
; MemoryBound: 0
; FloatMode: 240
; IeeeMode: 1
; LDSByteSize: 0 bytes/workgroup (compile time only)
; SGPRBlocks: 0
; VGPRBlocks: 0
; NumSGPRsForWavesPerEU: 6
; NumVGPRsForWavesPerEU: 1
; AccumOffset: 4
; Occupancy: 8
; WaveLimiterHint : 0
; COMPUTE_PGM_RSRC2:SCRATCH_EN: 0
; COMPUTE_PGM_RSRC2:USER_SGPR: 2
; COMPUTE_PGM_RSRC2:TRAP_HANDLER: 0
; COMPUTE_PGM_RSRC2:TGID_X_EN: 1
; COMPUTE_PGM_RSRC2:TGID_Y_EN: 0
; COMPUTE_PGM_RSRC2:TGID_Z_EN: 0
; COMPUTE_PGM_RSRC2:TIDIG_COMP_CNT: 0
; COMPUTE_PGM_RSRC3_GFX90A:ACCUM_OFFSET: 0
; COMPUTE_PGM_RSRC3_GFX90A:TG_SPLIT: 0
	.section	.text._ZN7rocprim17ROCPRIM_400000_NS6detail17trampoline_kernelINS0_14default_configENS1_38merge_sort_block_merge_config_selectorIttEEZZNS1_27merge_sort_block_merge_implIS3_N6thrust23THRUST_200600_302600_NS6detail15normal_iteratorINS8_10device_ptrItEEEESD_jNS1_19radix_merge_compareILb0ELb1EtNS0_19identity_decomposerEEEEE10hipError_tT0_T1_T2_jT3_P12ihipStream_tbPNSt15iterator_traitsISI_E10value_typeEPNSO_ISJ_E10value_typeEPSK_NS1_7vsmem_tEENKUlT_SI_SJ_SK_E_clIPtSD_S10_SD_EESH_SX_SI_SJ_SK_EUlSX_E_NS1_11comp_targetILNS1_3genE0ELNS1_11target_archE4294967295ELNS1_3gpuE0ELNS1_3repE0EEENS1_48merge_mergepath_partition_config_static_selectorELNS0_4arch9wavefront6targetE1EEEvSJ_,"axG",@progbits,_ZN7rocprim17ROCPRIM_400000_NS6detail17trampoline_kernelINS0_14default_configENS1_38merge_sort_block_merge_config_selectorIttEEZZNS1_27merge_sort_block_merge_implIS3_N6thrust23THRUST_200600_302600_NS6detail15normal_iteratorINS8_10device_ptrItEEEESD_jNS1_19radix_merge_compareILb0ELb1EtNS0_19identity_decomposerEEEEE10hipError_tT0_T1_T2_jT3_P12ihipStream_tbPNSt15iterator_traitsISI_E10value_typeEPNSO_ISJ_E10value_typeEPSK_NS1_7vsmem_tEENKUlT_SI_SJ_SK_E_clIPtSD_S10_SD_EESH_SX_SI_SJ_SK_EUlSX_E_NS1_11comp_targetILNS1_3genE0ELNS1_11target_archE4294967295ELNS1_3gpuE0ELNS1_3repE0EEENS1_48merge_mergepath_partition_config_static_selectorELNS0_4arch9wavefront6targetE1EEEvSJ_,comdat
	.protected	_ZN7rocprim17ROCPRIM_400000_NS6detail17trampoline_kernelINS0_14default_configENS1_38merge_sort_block_merge_config_selectorIttEEZZNS1_27merge_sort_block_merge_implIS3_N6thrust23THRUST_200600_302600_NS6detail15normal_iteratorINS8_10device_ptrItEEEESD_jNS1_19radix_merge_compareILb0ELb1EtNS0_19identity_decomposerEEEEE10hipError_tT0_T1_T2_jT3_P12ihipStream_tbPNSt15iterator_traitsISI_E10value_typeEPNSO_ISJ_E10value_typeEPSK_NS1_7vsmem_tEENKUlT_SI_SJ_SK_E_clIPtSD_S10_SD_EESH_SX_SI_SJ_SK_EUlSX_E_NS1_11comp_targetILNS1_3genE0ELNS1_11target_archE4294967295ELNS1_3gpuE0ELNS1_3repE0EEENS1_48merge_mergepath_partition_config_static_selectorELNS0_4arch9wavefront6targetE1EEEvSJ_ ; -- Begin function _ZN7rocprim17ROCPRIM_400000_NS6detail17trampoline_kernelINS0_14default_configENS1_38merge_sort_block_merge_config_selectorIttEEZZNS1_27merge_sort_block_merge_implIS3_N6thrust23THRUST_200600_302600_NS6detail15normal_iteratorINS8_10device_ptrItEEEESD_jNS1_19radix_merge_compareILb0ELb1EtNS0_19identity_decomposerEEEEE10hipError_tT0_T1_T2_jT3_P12ihipStream_tbPNSt15iterator_traitsISI_E10value_typeEPNSO_ISJ_E10value_typeEPSK_NS1_7vsmem_tEENKUlT_SI_SJ_SK_E_clIPtSD_S10_SD_EESH_SX_SI_SJ_SK_EUlSX_E_NS1_11comp_targetILNS1_3genE0ELNS1_11target_archE4294967295ELNS1_3gpuE0ELNS1_3repE0EEENS1_48merge_mergepath_partition_config_static_selectorELNS0_4arch9wavefront6targetE1EEEvSJ_
	.globl	_ZN7rocprim17ROCPRIM_400000_NS6detail17trampoline_kernelINS0_14default_configENS1_38merge_sort_block_merge_config_selectorIttEEZZNS1_27merge_sort_block_merge_implIS3_N6thrust23THRUST_200600_302600_NS6detail15normal_iteratorINS8_10device_ptrItEEEESD_jNS1_19radix_merge_compareILb0ELb1EtNS0_19identity_decomposerEEEEE10hipError_tT0_T1_T2_jT3_P12ihipStream_tbPNSt15iterator_traitsISI_E10value_typeEPNSO_ISJ_E10value_typeEPSK_NS1_7vsmem_tEENKUlT_SI_SJ_SK_E_clIPtSD_S10_SD_EESH_SX_SI_SJ_SK_EUlSX_E_NS1_11comp_targetILNS1_3genE0ELNS1_11target_archE4294967295ELNS1_3gpuE0ELNS1_3repE0EEENS1_48merge_mergepath_partition_config_static_selectorELNS0_4arch9wavefront6targetE1EEEvSJ_
	.p2align	8
	.type	_ZN7rocprim17ROCPRIM_400000_NS6detail17trampoline_kernelINS0_14default_configENS1_38merge_sort_block_merge_config_selectorIttEEZZNS1_27merge_sort_block_merge_implIS3_N6thrust23THRUST_200600_302600_NS6detail15normal_iteratorINS8_10device_ptrItEEEESD_jNS1_19radix_merge_compareILb0ELb1EtNS0_19identity_decomposerEEEEE10hipError_tT0_T1_T2_jT3_P12ihipStream_tbPNSt15iterator_traitsISI_E10value_typeEPNSO_ISJ_E10value_typeEPSK_NS1_7vsmem_tEENKUlT_SI_SJ_SK_E_clIPtSD_S10_SD_EESH_SX_SI_SJ_SK_EUlSX_E_NS1_11comp_targetILNS1_3genE0ELNS1_11target_archE4294967295ELNS1_3gpuE0ELNS1_3repE0EEENS1_48merge_mergepath_partition_config_static_selectorELNS0_4arch9wavefront6targetE1EEEvSJ_,@function
_ZN7rocprim17ROCPRIM_400000_NS6detail17trampoline_kernelINS0_14default_configENS1_38merge_sort_block_merge_config_selectorIttEEZZNS1_27merge_sort_block_merge_implIS3_N6thrust23THRUST_200600_302600_NS6detail15normal_iteratorINS8_10device_ptrItEEEESD_jNS1_19radix_merge_compareILb0ELb1EtNS0_19identity_decomposerEEEEE10hipError_tT0_T1_T2_jT3_P12ihipStream_tbPNSt15iterator_traitsISI_E10value_typeEPNSO_ISJ_E10value_typeEPSK_NS1_7vsmem_tEENKUlT_SI_SJ_SK_E_clIPtSD_S10_SD_EESH_SX_SI_SJ_SK_EUlSX_E_NS1_11comp_targetILNS1_3genE0ELNS1_11target_archE4294967295ELNS1_3gpuE0ELNS1_3repE0EEENS1_48merge_mergepath_partition_config_static_selectorELNS0_4arch9wavefront6targetE1EEEvSJ_: ; @_ZN7rocprim17ROCPRIM_400000_NS6detail17trampoline_kernelINS0_14default_configENS1_38merge_sort_block_merge_config_selectorIttEEZZNS1_27merge_sort_block_merge_implIS3_N6thrust23THRUST_200600_302600_NS6detail15normal_iteratorINS8_10device_ptrItEEEESD_jNS1_19radix_merge_compareILb0ELb1EtNS0_19identity_decomposerEEEEE10hipError_tT0_T1_T2_jT3_P12ihipStream_tbPNSt15iterator_traitsISI_E10value_typeEPNSO_ISJ_E10value_typeEPSK_NS1_7vsmem_tEENKUlT_SI_SJ_SK_E_clIPtSD_S10_SD_EESH_SX_SI_SJ_SK_EUlSX_E_NS1_11comp_targetILNS1_3genE0ELNS1_11target_archE4294967295ELNS1_3gpuE0ELNS1_3repE0EEENS1_48merge_mergepath_partition_config_static_selectorELNS0_4arch9wavefront6targetE1EEEvSJ_
; %bb.0:
	s_load_dword s3, s[0:1], 0x0
	v_lshl_or_b32 v0, s2, 7, v0
	s_waitcnt lgkmcnt(0)
	v_cmp_gt_u32_e32 vcc, s3, v0
	s_and_saveexec_b64 s[2:3], vcc
	s_cbranch_execz .LBB899_6
; %bb.1:
	s_load_dwordx2 s[4:5], s[0:1], 0x4
	s_load_dwordx2 s[2:3], s[0:1], 0x20
	s_waitcnt lgkmcnt(0)
	s_lshr_b32 s6, s4, 9
	s_and_b32 s6, s6, 0x7ffffe
	s_add_i32 s7, s6, -1
	s_sub_i32 s6, 0, s6
	v_and_b32_e32 v1, s6, v0
	v_lshlrev_b32_e32 v1, 10, v1
	v_min_u32_e32 v2, s5, v1
	v_add_u32_e32 v1, s4, v1
	v_min_u32_e32 v4, s5, v1
	v_add_u32_e32 v1, s4, v4
	v_and_b32_e32 v3, s7, v0
	v_min_u32_e32 v1, s5, v1
	v_sub_u32_e32 v5, v1, v2
	v_lshlrev_b32_e32 v3, 10, v3
	v_min_u32_e32 v10, v5, v3
	v_sub_u32_e32 v3, v4, v2
	v_sub_u32_e32 v1, v1, v4
	v_sub_u32_e64 v1, v10, v1 clamp
	v_min_u32_e32 v11, v10, v3
	v_cmp_lt_u32_e32 vcc, v1, v11
	s_and_saveexec_b64 s[4:5], vcc
	s_cbranch_execz .LBB899_5
; %bb.2:
	s_load_dwordx2 s[8:9], s[0:1], 0x10
	s_load_dword s6, s[0:1], 0x18
	v_mov_b32_e32 v5, 0
	v_mov_b32_e32 v3, v5
	s_mov_b64 s[0:1], 0
	s_waitcnt lgkmcnt(0)
	v_lshl_add_u64 v[6:7], v[2:3], 1, s[8:9]
	v_lshl_add_u64 v[8:9], v[4:5], 1, s[8:9]
.LBB899_3:                              ; =>This Inner Loop Header: Depth=1
	v_add_u32_e32 v3, v11, v1
	v_lshrrev_b32_e32 v16, 1, v3
	v_and_b32_e32 v4, -2, v3
	v_mov_b32_e32 v13, v5
	v_xad_u32 v12, v16, -1, v10
	v_lshl_add_u64 v[14:15], v[6:7], 0, v[4:5]
	v_lshl_add_u64 v[12:13], v[12:13], 1, v[8:9]
	global_load_ushort v3, v[14:15], off
	global_load_ushort v4, v[12:13], off
	v_add_u32_e32 v12, 1, v16
	s_waitcnt vmcnt(1)
	v_and_b32_e32 v3, s6, v3
	s_waitcnt vmcnt(0)
	v_and_b32_e32 v4, s6, v4
	v_cmp_gt_u16_e32 vcc, v3, v4
	s_nop 1
	v_cndmask_b32_e32 v11, v11, v16, vcc
	v_cndmask_b32_e32 v1, v12, v1, vcc
	v_cmp_ge_u32_e32 vcc, v1, v11
	s_or_b64 s[0:1], vcc, s[0:1]
	s_andn2_b64 exec, exec, s[0:1]
	s_cbranch_execnz .LBB899_3
; %bb.4:
	s_or_b64 exec, exec, s[0:1]
.LBB899_5:
	s_or_b64 exec, exec, s[4:5]
	v_add_u32_e32 v2, v1, v2
	v_mov_b32_e32 v1, 0
	v_lshl_add_u64 v[0:1], v[0:1], 2, s[2:3]
	global_store_dword v[0:1], v2, off
.LBB899_6:
	s_endpgm
	.section	.rodata,"a",@progbits
	.p2align	6, 0x0
	.amdhsa_kernel _ZN7rocprim17ROCPRIM_400000_NS6detail17trampoline_kernelINS0_14default_configENS1_38merge_sort_block_merge_config_selectorIttEEZZNS1_27merge_sort_block_merge_implIS3_N6thrust23THRUST_200600_302600_NS6detail15normal_iteratorINS8_10device_ptrItEEEESD_jNS1_19radix_merge_compareILb0ELb1EtNS0_19identity_decomposerEEEEE10hipError_tT0_T1_T2_jT3_P12ihipStream_tbPNSt15iterator_traitsISI_E10value_typeEPNSO_ISJ_E10value_typeEPSK_NS1_7vsmem_tEENKUlT_SI_SJ_SK_E_clIPtSD_S10_SD_EESH_SX_SI_SJ_SK_EUlSX_E_NS1_11comp_targetILNS1_3genE0ELNS1_11target_archE4294967295ELNS1_3gpuE0ELNS1_3repE0EEENS1_48merge_mergepath_partition_config_static_selectorELNS0_4arch9wavefront6targetE1EEEvSJ_
		.amdhsa_group_segment_fixed_size 0
		.amdhsa_private_segment_fixed_size 0
		.amdhsa_kernarg_size 40
		.amdhsa_user_sgpr_count 2
		.amdhsa_user_sgpr_dispatch_ptr 0
		.amdhsa_user_sgpr_queue_ptr 0
		.amdhsa_user_sgpr_kernarg_segment_ptr 1
		.amdhsa_user_sgpr_dispatch_id 0
		.amdhsa_user_sgpr_kernarg_preload_length 0
		.amdhsa_user_sgpr_kernarg_preload_offset 0
		.amdhsa_user_sgpr_private_segment_size 0
		.amdhsa_uses_dynamic_stack 0
		.amdhsa_enable_private_segment 0
		.amdhsa_system_sgpr_workgroup_id_x 1
		.amdhsa_system_sgpr_workgroup_id_y 0
		.amdhsa_system_sgpr_workgroup_id_z 0
		.amdhsa_system_sgpr_workgroup_info 0
		.amdhsa_system_vgpr_workitem_id 0
		.amdhsa_next_free_vgpr 17
		.amdhsa_next_free_sgpr 10
		.amdhsa_accum_offset 20
		.amdhsa_reserve_vcc 1
		.amdhsa_float_round_mode_32 0
		.amdhsa_float_round_mode_16_64 0
		.amdhsa_float_denorm_mode_32 3
		.amdhsa_float_denorm_mode_16_64 3
		.amdhsa_dx10_clamp 1
		.amdhsa_ieee_mode 1
		.amdhsa_fp16_overflow 0
		.amdhsa_tg_split 0
		.amdhsa_exception_fp_ieee_invalid_op 0
		.amdhsa_exception_fp_denorm_src 0
		.amdhsa_exception_fp_ieee_div_zero 0
		.amdhsa_exception_fp_ieee_overflow 0
		.amdhsa_exception_fp_ieee_underflow 0
		.amdhsa_exception_fp_ieee_inexact 0
		.amdhsa_exception_int_div_zero 0
	.end_amdhsa_kernel
	.section	.text._ZN7rocprim17ROCPRIM_400000_NS6detail17trampoline_kernelINS0_14default_configENS1_38merge_sort_block_merge_config_selectorIttEEZZNS1_27merge_sort_block_merge_implIS3_N6thrust23THRUST_200600_302600_NS6detail15normal_iteratorINS8_10device_ptrItEEEESD_jNS1_19radix_merge_compareILb0ELb1EtNS0_19identity_decomposerEEEEE10hipError_tT0_T1_T2_jT3_P12ihipStream_tbPNSt15iterator_traitsISI_E10value_typeEPNSO_ISJ_E10value_typeEPSK_NS1_7vsmem_tEENKUlT_SI_SJ_SK_E_clIPtSD_S10_SD_EESH_SX_SI_SJ_SK_EUlSX_E_NS1_11comp_targetILNS1_3genE0ELNS1_11target_archE4294967295ELNS1_3gpuE0ELNS1_3repE0EEENS1_48merge_mergepath_partition_config_static_selectorELNS0_4arch9wavefront6targetE1EEEvSJ_,"axG",@progbits,_ZN7rocprim17ROCPRIM_400000_NS6detail17trampoline_kernelINS0_14default_configENS1_38merge_sort_block_merge_config_selectorIttEEZZNS1_27merge_sort_block_merge_implIS3_N6thrust23THRUST_200600_302600_NS6detail15normal_iteratorINS8_10device_ptrItEEEESD_jNS1_19radix_merge_compareILb0ELb1EtNS0_19identity_decomposerEEEEE10hipError_tT0_T1_T2_jT3_P12ihipStream_tbPNSt15iterator_traitsISI_E10value_typeEPNSO_ISJ_E10value_typeEPSK_NS1_7vsmem_tEENKUlT_SI_SJ_SK_E_clIPtSD_S10_SD_EESH_SX_SI_SJ_SK_EUlSX_E_NS1_11comp_targetILNS1_3genE0ELNS1_11target_archE4294967295ELNS1_3gpuE0ELNS1_3repE0EEENS1_48merge_mergepath_partition_config_static_selectorELNS0_4arch9wavefront6targetE1EEEvSJ_,comdat
.Lfunc_end899:
	.size	_ZN7rocprim17ROCPRIM_400000_NS6detail17trampoline_kernelINS0_14default_configENS1_38merge_sort_block_merge_config_selectorIttEEZZNS1_27merge_sort_block_merge_implIS3_N6thrust23THRUST_200600_302600_NS6detail15normal_iteratorINS8_10device_ptrItEEEESD_jNS1_19radix_merge_compareILb0ELb1EtNS0_19identity_decomposerEEEEE10hipError_tT0_T1_T2_jT3_P12ihipStream_tbPNSt15iterator_traitsISI_E10value_typeEPNSO_ISJ_E10value_typeEPSK_NS1_7vsmem_tEENKUlT_SI_SJ_SK_E_clIPtSD_S10_SD_EESH_SX_SI_SJ_SK_EUlSX_E_NS1_11comp_targetILNS1_3genE0ELNS1_11target_archE4294967295ELNS1_3gpuE0ELNS1_3repE0EEENS1_48merge_mergepath_partition_config_static_selectorELNS0_4arch9wavefront6targetE1EEEvSJ_, .Lfunc_end899-_ZN7rocprim17ROCPRIM_400000_NS6detail17trampoline_kernelINS0_14default_configENS1_38merge_sort_block_merge_config_selectorIttEEZZNS1_27merge_sort_block_merge_implIS3_N6thrust23THRUST_200600_302600_NS6detail15normal_iteratorINS8_10device_ptrItEEEESD_jNS1_19radix_merge_compareILb0ELb1EtNS0_19identity_decomposerEEEEE10hipError_tT0_T1_T2_jT3_P12ihipStream_tbPNSt15iterator_traitsISI_E10value_typeEPNSO_ISJ_E10value_typeEPSK_NS1_7vsmem_tEENKUlT_SI_SJ_SK_E_clIPtSD_S10_SD_EESH_SX_SI_SJ_SK_EUlSX_E_NS1_11comp_targetILNS1_3genE0ELNS1_11target_archE4294967295ELNS1_3gpuE0ELNS1_3repE0EEENS1_48merge_mergepath_partition_config_static_selectorELNS0_4arch9wavefront6targetE1EEEvSJ_
                                        ; -- End function
	.set _ZN7rocprim17ROCPRIM_400000_NS6detail17trampoline_kernelINS0_14default_configENS1_38merge_sort_block_merge_config_selectorIttEEZZNS1_27merge_sort_block_merge_implIS3_N6thrust23THRUST_200600_302600_NS6detail15normal_iteratorINS8_10device_ptrItEEEESD_jNS1_19radix_merge_compareILb0ELb1EtNS0_19identity_decomposerEEEEE10hipError_tT0_T1_T2_jT3_P12ihipStream_tbPNSt15iterator_traitsISI_E10value_typeEPNSO_ISJ_E10value_typeEPSK_NS1_7vsmem_tEENKUlT_SI_SJ_SK_E_clIPtSD_S10_SD_EESH_SX_SI_SJ_SK_EUlSX_E_NS1_11comp_targetILNS1_3genE0ELNS1_11target_archE4294967295ELNS1_3gpuE0ELNS1_3repE0EEENS1_48merge_mergepath_partition_config_static_selectorELNS0_4arch9wavefront6targetE1EEEvSJ_.num_vgpr, 17
	.set _ZN7rocprim17ROCPRIM_400000_NS6detail17trampoline_kernelINS0_14default_configENS1_38merge_sort_block_merge_config_selectorIttEEZZNS1_27merge_sort_block_merge_implIS3_N6thrust23THRUST_200600_302600_NS6detail15normal_iteratorINS8_10device_ptrItEEEESD_jNS1_19radix_merge_compareILb0ELb1EtNS0_19identity_decomposerEEEEE10hipError_tT0_T1_T2_jT3_P12ihipStream_tbPNSt15iterator_traitsISI_E10value_typeEPNSO_ISJ_E10value_typeEPSK_NS1_7vsmem_tEENKUlT_SI_SJ_SK_E_clIPtSD_S10_SD_EESH_SX_SI_SJ_SK_EUlSX_E_NS1_11comp_targetILNS1_3genE0ELNS1_11target_archE4294967295ELNS1_3gpuE0ELNS1_3repE0EEENS1_48merge_mergepath_partition_config_static_selectorELNS0_4arch9wavefront6targetE1EEEvSJ_.num_agpr, 0
	.set _ZN7rocprim17ROCPRIM_400000_NS6detail17trampoline_kernelINS0_14default_configENS1_38merge_sort_block_merge_config_selectorIttEEZZNS1_27merge_sort_block_merge_implIS3_N6thrust23THRUST_200600_302600_NS6detail15normal_iteratorINS8_10device_ptrItEEEESD_jNS1_19radix_merge_compareILb0ELb1EtNS0_19identity_decomposerEEEEE10hipError_tT0_T1_T2_jT3_P12ihipStream_tbPNSt15iterator_traitsISI_E10value_typeEPNSO_ISJ_E10value_typeEPSK_NS1_7vsmem_tEENKUlT_SI_SJ_SK_E_clIPtSD_S10_SD_EESH_SX_SI_SJ_SK_EUlSX_E_NS1_11comp_targetILNS1_3genE0ELNS1_11target_archE4294967295ELNS1_3gpuE0ELNS1_3repE0EEENS1_48merge_mergepath_partition_config_static_selectorELNS0_4arch9wavefront6targetE1EEEvSJ_.numbered_sgpr, 10
	.set _ZN7rocprim17ROCPRIM_400000_NS6detail17trampoline_kernelINS0_14default_configENS1_38merge_sort_block_merge_config_selectorIttEEZZNS1_27merge_sort_block_merge_implIS3_N6thrust23THRUST_200600_302600_NS6detail15normal_iteratorINS8_10device_ptrItEEEESD_jNS1_19radix_merge_compareILb0ELb1EtNS0_19identity_decomposerEEEEE10hipError_tT0_T1_T2_jT3_P12ihipStream_tbPNSt15iterator_traitsISI_E10value_typeEPNSO_ISJ_E10value_typeEPSK_NS1_7vsmem_tEENKUlT_SI_SJ_SK_E_clIPtSD_S10_SD_EESH_SX_SI_SJ_SK_EUlSX_E_NS1_11comp_targetILNS1_3genE0ELNS1_11target_archE4294967295ELNS1_3gpuE0ELNS1_3repE0EEENS1_48merge_mergepath_partition_config_static_selectorELNS0_4arch9wavefront6targetE1EEEvSJ_.num_named_barrier, 0
	.set _ZN7rocprim17ROCPRIM_400000_NS6detail17trampoline_kernelINS0_14default_configENS1_38merge_sort_block_merge_config_selectorIttEEZZNS1_27merge_sort_block_merge_implIS3_N6thrust23THRUST_200600_302600_NS6detail15normal_iteratorINS8_10device_ptrItEEEESD_jNS1_19radix_merge_compareILb0ELb1EtNS0_19identity_decomposerEEEEE10hipError_tT0_T1_T2_jT3_P12ihipStream_tbPNSt15iterator_traitsISI_E10value_typeEPNSO_ISJ_E10value_typeEPSK_NS1_7vsmem_tEENKUlT_SI_SJ_SK_E_clIPtSD_S10_SD_EESH_SX_SI_SJ_SK_EUlSX_E_NS1_11comp_targetILNS1_3genE0ELNS1_11target_archE4294967295ELNS1_3gpuE0ELNS1_3repE0EEENS1_48merge_mergepath_partition_config_static_selectorELNS0_4arch9wavefront6targetE1EEEvSJ_.private_seg_size, 0
	.set _ZN7rocprim17ROCPRIM_400000_NS6detail17trampoline_kernelINS0_14default_configENS1_38merge_sort_block_merge_config_selectorIttEEZZNS1_27merge_sort_block_merge_implIS3_N6thrust23THRUST_200600_302600_NS6detail15normal_iteratorINS8_10device_ptrItEEEESD_jNS1_19radix_merge_compareILb0ELb1EtNS0_19identity_decomposerEEEEE10hipError_tT0_T1_T2_jT3_P12ihipStream_tbPNSt15iterator_traitsISI_E10value_typeEPNSO_ISJ_E10value_typeEPSK_NS1_7vsmem_tEENKUlT_SI_SJ_SK_E_clIPtSD_S10_SD_EESH_SX_SI_SJ_SK_EUlSX_E_NS1_11comp_targetILNS1_3genE0ELNS1_11target_archE4294967295ELNS1_3gpuE0ELNS1_3repE0EEENS1_48merge_mergepath_partition_config_static_selectorELNS0_4arch9wavefront6targetE1EEEvSJ_.uses_vcc, 1
	.set _ZN7rocprim17ROCPRIM_400000_NS6detail17trampoline_kernelINS0_14default_configENS1_38merge_sort_block_merge_config_selectorIttEEZZNS1_27merge_sort_block_merge_implIS3_N6thrust23THRUST_200600_302600_NS6detail15normal_iteratorINS8_10device_ptrItEEEESD_jNS1_19radix_merge_compareILb0ELb1EtNS0_19identity_decomposerEEEEE10hipError_tT0_T1_T2_jT3_P12ihipStream_tbPNSt15iterator_traitsISI_E10value_typeEPNSO_ISJ_E10value_typeEPSK_NS1_7vsmem_tEENKUlT_SI_SJ_SK_E_clIPtSD_S10_SD_EESH_SX_SI_SJ_SK_EUlSX_E_NS1_11comp_targetILNS1_3genE0ELNS1_11target_archE4294967295ELNS1_3gpuE0ELNS1_3repE0EEENS1_48merge_mergepath_partition_config_static_selectorELNS0_4arch9wavefront6targetE1EEEvSJ_.uses_flat_scratch, 0
	.set _ZN7rocprim17ROCPRIM_400000_NS6detail17trampoline_kernelINS0_14default_configENS1_38merge_sort_block_merge_config_selectorIttEEZZNS1_27merge_sort_block_merge_implIS3_N6thrust23THRUST_200600_302600_NS6detail15normal_iteratorINS8_10device_ptrItEEEESD_jNS1_19radix_merge_compareILb0ELb1EtNS0_19identity_decomposerEEEEE10hipError_tT0_T1_T2_jT3_P12ihipStream_tbPNSt15iterator_traitsISI_E10value_typeEPNSO_ISJ_E10value_typeEPSK_NS1_7vsmem_tEENKUlT_SI_SJ_SK_E_clIPtSD_S10_SD_EESH_SX_SI_SJ_SK_EUlSX_E_NS1_11comp_targetILNS1_3genE0ELNS1_11target_archE4294967295ELNS1_3gpuE0ELNS1_3repE0EEENS1_48merge_mergepath_partition_config_static_selectorELNS0_4arch9wavefront6targetE1EEEvSJ_.has_dyn_sized_stack, 0
	.set _ZN7rocprim17ROCPRIM_400000_NS6detail17trampoline_kernelINS0_14default_configENS1_38merge_sort_block_merge_config_selectorIttEEZZNS1_27merge_sort_block_merge_implIS3_N6thrust23THRUST_200600_302600_NS6detail15normal_iteratorINS8_10device_ptrItEEEESD_jNS1_19radix_merge_compareILb0ELb1EtNS0_19identity_decomposerEEEEE10hipError_tT0_T1_T2_jT3_P12ihipStream_tbPNSt15iterator_traitsISI_E10value_typeEPNSO_ISJ_E10value_typeEPSK_NS1_7vsmem_tEENKUlT_SI_SJ_SK_E_clIPtSD_S10_SD_EESH_SX_SI_SJ_SK_EUlSX_E_NS1_11comp_targetILNS1_3genE0ELNS1_11target_archE4294967295ELNS1_3gpuE0ELNS1_3repE0EEENS1_48merge_mergepath_partition_config_static_selectorELNS0_4arch9wavefront6targetE1EEEvSJ_.has_recursion, 0
	.set _ZN7rocprim17ROCPRIM_400000_NS6detail17trampoline_kernelINS0_14default_configENS1_38merge_sort_block_merge_config_selectorIttEEZZNS1_27merge_sort_block_merge_implIS3_N6thrust23THRUST_200600_302600_NS6detail15normal_iteratorINS8_10device_ptrItEEEESD_jNS1_19radix_merge_compareILb0ELb1EtNS0_19identity_decomposerEEEEE10hipError_tT0_T1_T2_jT3_P12ihipStream_tbPNSt15iterator_traitsISI_E10value_typeEPNSO_ISJ_E10value_typeEPSK_NS1_7vsmem_tEENKUlT_SI_SJ_SK_E_clIPtSD_S10_SD_EESH_SX_SI_SJ_SK_EUlSX_E_NS1_11comp_targetILNS1_3genE0ELNS1_11target_archE4294967295ELNS1_3gpuE0ELNS1_3repE0EEENS1_48merge_mergepath_partition_config_static_selectorELNS0_4arch9wavefront6targetE1EEEvSJ_.has_indirect_call, 0
	.section	.AMDGPU.csdata,"",@progbits
; Kernel info:
; codeLenInByte = 340
; TotalNumSgprs: 16
; NumVgprs: 17
; NumAgprs: 0
; TotalNumVgprs: 17
; ScratchSize: 0
; MemoryBound: 0
; FloatMode: 240
; IeeeMode: 1
; LDSByteSize: 0 bytes/workgroup (compile time only)
; SGPRBlocks: 1
; VGPRBlocks: 2
; NumSGPRsForWavesPerEU: 16
; NumVGPRsForWavesPerEU: 17
; AccumOffset: 20
; Occupancy: 8
; WaveLimiterHint : 0
; COMPUTE_PGM_RSRC2:SCRATCH_EN: 0
; COMPUTE_PGM_RSRC2:USER_SGPR: 2
; COMPUTE_PGM_RSRC2:TRAP_HANDLER: 0
; COMPUTE_PGM_RSRC2:TGID_X_EN: 1
; COMPUTE_PGM_RSRC2:TGID_Y_EN: 0
; COMPUTE_PGM_RSRC2:TGID_Z_EN: 0
; COMPUTE_PGM_RSRC2:TIDIG_COMP_CNT: 0
; COMPUTE_PGM_RSRC3_GFX90A:ACCUM_OFFSET: 4
; COMPUTE_PGM_RSRC3_GFX90A:TG_SPLIT: 0
	.section	.text._ZN7rocprim17ROCPRIM_400000_NS6detail17trampoline_kernelINS0_14default_configENS1_38merge_sort_block_merge_config_selectorIttEEZZNS1_27merge_sort_block_merge_implIS3_N6thrust23THRUST_200600_302600_NS6detail15normal_iteratorINS8_10device_ptrItEEEESD_jNS1_19radix_merge_compareILb0ELb1EtNS0_19identity_decomposerEEEEE10hipError_tT0_T1_T2_jT3_P12ihipStream_tbPNSt15iterator_traitsISI_E10value_typeEPNSO_ISJ_E10value_typeEPSK_NS1_7vsmem_tEENKUlT_SI_SJ_SK_E_clIPtSD_S10_SD_EESH_SX_SI_SJ_SK_EUlSX_E_NS1_11comp_targetILNS1_3genE10ELNS1_11target_archE1201ELNS1_3gpuE5ELNS1_3repE0EEENS1_48merge_mergepath_partition_config_static_selectorELNS0_4arch9wavefront6targetE1EEEvSJ_,"axG",@progbits,_ZN7rocprim17ROCPRIM_400000_NS6detail17trampoline_kernelINS0_14default_configENS1_38merge_sort_block_merge_config_selectorIttEEZZNS1_27merge_sort_block_merge_implIS3_N6thrust23THRUST_200600_302600_NS6detail15normal_iteratorINS8_10device_ptrItEEEESD_jNS1_19radix_merge_compareILb0ELb1EtNS0_19identity_decomposerEEEEE10hipError_tT0_T1_T2_jT3_P12ihipStream_tbPNSt15iterator_traitsISI_E10value_typeEPNSO_ISJ_E10value_typeEPSK_NS1_7vsmem_tEENKUlT_SI_SJ_SK_E_clIPtSD_S10_SD_EESH_SX_SI_SJ_SK_EUlSX_E_NS1_11comp_targetILNS1_3genE10ELNS1_11target_archE1201ELNS1_3gpuE5ELNS1_3repE0EEENS1_48merge_mergepath_partition_config_static_selectorELNS0_4arch9wavefront6targetE1EEEvSJ_,comdat
	.protected	_ZN7rocprim17ROCPRIM_400000_NS6detail17trampoline_kernelINS0_14default_configENS1_38merge_sort_block_merge_config_selectorIttEEZZNS1_27merge_sort_block_merge_implIS3_N6thrust23THRUST_200600_302600_NS6detail15normal_iteratorINS8_10device_ptrItEEEESD_jNS1_19radix_merge_compareILb0ELb1EtNS0_19identity_decomposerEEEEE10hipError_tT0_T1_T2_jT3_P12ihipStream_tbPNSt15iterator_traitsISI_E10value_typeEPNSO_ISJ_E10value_typeEPSK_NS1_7vsmem_tEENKUlT_SI_SJ_SK_E_clIPtSD_S10_SD_EESH_SX_SI_SJ_SK_EUlSX_E_NS1_11comp_targetILNS1_3genE10ELNS1_11target_archE1201ELNS1_3gpuE5ELNS1_3repE0EEENS1_48merge_mergepath_partition_config_static_selectorELNS0_4arch9wavefront6targetE1EEEvSJ_ ; -- Begin function _ZN7rocprim17ROCPRIM_400000_NS6detail17trampoline_kernelINS0_14default_configENS1_38merge_sort_block_merge_config_selectorIttEEZZNS1_27merge_sort_block_merge_implIS3_N6thrust23THRUST_200600_302600_NS6detail15normal_iteratorINS8_10device_ptrItEEEESD_jNS1_19radix_merge_compareILb0ELb1EtNS0_19identity_decomposerEEEEE10hipError_tT0_T1_T2_jT3_P12ihipStream_tbPNSt15iterator_traitsISI_E10value_typeEPNSO_ISJ_E10value_typeEPSK_NS1_7vsmem_tEENKUlT_SI_SJ_SK_E_clIPtSD_S10_SD_EESH_SX_SI_SJ_SK_EUlSX_E_NS1_11comp_targetILNS1_3genE10ELNS1_11target_archE1201ELNS1_3gpuE5ELNS1_3repE0EEENS1_48merge_mergepath_partition_config_static_selectorELNS0_4arch9wavefront6targetE1EEEvSJ_
	.globl	_ZN7rocprim17ROCPRIM_400000_NS6detail17trampoline_kernelINS0_14default_configENS1_38merge_sort_block_merge_config_selectorIttEEZZNS1_27merge_sort_block_merge_implIS3_N6thrust23THRUST_200600_302600_NS6detail15normal_iteratorINS8_10device_ptrItEEEESD_jNS1_19radix_merge_compareILb0ELb1EtNS0_19identity_decomposerEEEEE10hipError_tT0_T1_T2_jT3_P12ihipStream_tbPNSt15iterator_traitsISI_E10value_typeEPNSO_ISJ_E10value_typeEPSK_NS1_7vsmem_tEENKUlT_SI_SJ_SK_E_clIPtSD_S10_SD_EESH_SX_SI_SJ_SK_EUlSX_E_NS1_11comp_targetILNS1_3genE10ELNS1_11target_archE1201ELNS1_3gpuE5ELNS1_3repE0EEENS1_48merge_mergepath_partition_config_static_selectorELNS0_4arch9wavefront6targetE1EEEvSJ_
	.p2align	8
	.type	_ZN7rocprim17ROCPRIM_400000_NS6detail17trampoline_kernelINS0_14default_configENS1_38merge_sort_block_merge_config_selectorIttEEZZNS1_27merge_sort_block_merge_implIS3_N6thrust23THRUST_200600_302600_NS6detail15normal_iteratorINS8_10device_ptrItEEEESD_jNS1_19radix_merge_compareILb0ELb1EtNS0_19identity_decomposerEEEEE10hipError_tT0_T1_T2_jT3_P12ihipStream_tbPNSt15iterator_traitsISI_E10value_typeEPNSO_ISJ_E10value_typeEPSK_NS1_7vsmem_tEENKUlT_SI_SJ_SK_E_clIPtSD_S10_SD_EESH_SX_SI_SJ_SK_EUlSX_E_NS1_11comp_targetILNS1_3genE10ELNS1_11target_archE1201ELNS1_3gpuE5ELNS1_3repE0EEENS1_48merge_mergepath_partition_config_static_selectorELNS0_4arch9wavefront6targetE1EEEvSJ_,@function
_ZN7rocprim17ROCPRIM_400000_NS6detail17trampoline_kernelINS0_14default_configENS1_38merge_sort_block_merge_config_selectorIttEEZZNS1_27merge_sort_block_merge_implIS3_N6thrust23THRUST_200600_302600_NS6detail15normal_iteratorINS8_10device_ptrItEEEESD_jNS1_19radix_merge_compareILb0ELb1EtNS0_19identity_decomposerEEEEE10hipError_tT0_T1_T2_jT3_P12ihipStream_tbPNSt15iterator_traitsISI_E10value_typeEPNSO_ISJ_E10value_typeEPSK_NS1_7vsmem_tEENKUlT_SI_SJ_SK_E_clIPtSD_S10_SD_EESH_SX_SI_SJ_SK_EUlSX_E_NS1_11comp_targetILNS1_3genE10ELNS1_11target_archE1201ELNS1_3gpuE5ELNS1_3repE0EEENS1_48merge_mergepath_partition_config_static_selectorELNS0_4arch9wavefront6targetE1EEEvSJ_: ; @_ZN7rocprim17ROCPRIM_400000_NS6detail17trampoline_kernelINS0_14default_configENS1_38merge_sort_block_merge_config_selectorIttEEZZNS1_27merge_sort_block_merge_implIS3_N6thrust23THRUST_200600_302600_NS6detail15normal_iteratorINS8_10device_ptrItEEEESD_jNS1_19radix_merge_compareILb0ELb1EtNS0_19identity_decomposerEEEEE10hipError_tT0_T1_T2_jT3_P12ihipStream_tbPNSt15iterator_traitsISI_E10value_typeEPNSO_ISJ_E10value_typeEPSK_NS1_7vsmem_tEENKUlT_SI_SJ_SK_E_clIPtSD_S10_SD_EESH_SX_SI_SJ_SK_EUlSX_E_NS1_11comp_targetILNS1_3genE10ELNS1_11target_archE1201ELNS1_3gpuE5ELNS1_3repE0EEENS1_48merge_mergepath_partition_config_static_selectorELNS0_4arch9wavefront6targetE1EEEvSJ_
; %bb.0:
	.section	.rodata,"a",@progbits
	.p2align	6, 0x0
	.amdhsa_kernel _ZN7rocprim17ROCPRIM_400000_NS6detail17trampoline_kernelINS0_14default_configENS1_38merge_sort_block_merge_config_selectorIttEEZZNS1_27merge_sort_block_merge_implIS3_N6thrust23THRUST_200600_302600_NS6detail15normal_iteratorINS8_10device_ptrItEEEESD_jNS1_19radix_merge_compareILb0ELb1EtNS0_19identity_decomposerEEEEE10hipError_tT0_T1_T2_jT3_P12ihipStream_tbPNSt15iterator_traitsISI_E10value_typeEPNSO_ISJ_E10value_typeEPSK_NS1_7vsmem_tEENKUlT_SI_SJ_SK_E_clIPtSD_S10_SD_EESH_SX_SI_SJ_SK_EUlSX_E_NS1_11comp_targetILNS1_3genE10ELNS1_11target_archE1201ELNS1_3gpuE5ELNS1_3repE0EEENS1_48merge_mergepath_partition_config_static_selectorELNS0_4arch9wavefront6targetE1EEEvSJ_
		.amdhsa_group_segment_fixed_size 0
		.amdhsa_private_segment_fixed_size 0
		.amdhsa_kernarg_size 40
		.amdhsa_user_sgpr_count 2
		.amdhsa_user_sgpr_dispatch_ptr 0
		.amdhsa_user_sgpr_queue_ptr 0
		.amdhsa_user_sgpr_kernarg_segment_ptr 1
		.amdhsa_user_sgpr_dispatch_id 0
		.amdhsa_user_sgpr_kernarg_preload_length 0
		.amdhsa_user_sgpr_kernarg_preload_offset 0
		.amdhsa_user_sgpr_private_segment_size 0
		.amdhsa_uses_dynamic_stack 0
		.amdhsa_enable_private_segment 0
		.amdhsa_system_sgpr_workgroup_id_x 1
		.amdhsa_system_sgpr_workgroup_id_y 0
		.amdhsa_system_sgpr_workgroup_id_z 0
		.amdhsa_system_sgpr_workgroup_info 0
		.amdhsa_system_vgpr_workitem_id 0
		.amdhsa_next_free_vgpr 1
		.amdhsa_next_free_sgpr 0
		.amdhsa_accum_offset 4
		.amdhsa_reserve_vcc 0
		.amdhsa_float_round_mode_32 0
		.amdhsa_float_round_mode_16_64 0
		.amdhsa_float_denorm_mode_32 3
		.amdhsa_float_denorm_mode_16_64 3
		.amdhsa_dx10_clamp 1
		.amdhsa_ieee_mode 1
		.amdhsa_fp16_overflow 0
		.amdhsa_tg_split 0
		.amdhsa_exception_fp_ieee_invalid_op 0
		.amdhsa_exception_fp_denorm_src 0
		.amdhsa_exception_fp_ieee_div_zero 0
		.amdhsa_exception_fp_ieee_overflow 0
		.amdhsa_exception_fp_ieee_underflow 0
		.amdhsa_exception_fp_ieee_inexact 0
		.amdhsa_exception_int_div_zero 0
	.end_amdhsa_kernel
	.section	.text._ZN7rocprim17ROCPRIM_400000_NS6detail17trampoline_kernelINS0_14default_configENS1_38merge_sort_block_merge_config_selectorIttEEZZNS1_27merge_sort_block_merge_implIS3_N6thrust23THRUST_200600_302600_NS6detail15normal_iteratorINS8_10device_ptrItEEEESD_jNS1_19radix_merge_compareILb0ELb1EtNS0_19identity_decomposerEEEEE10hipError_tT0_T1_T2_jT3_P12ihipStream_tbPNSt15iterator_traitsISI_E10value_typeEPNSO_ISJ_E10value_typeEPSK_NS1_7vsmem_tEENKUlT_SI_SJ_SK_E_clIPtSD_S10_SD_EESH_SX_SI_SJ_SK_EUlSX_E_NS1_11comp_targetILNS1_3genE10ELNS1_11target_archE1201ELNS1_3gpuE5ELNS1_3repE0EEENS1_48merge_mergepath_partition_config_static_selectorELNS0_4arch9wavefront6targetE1EEEvSJ_,"axG",@progbits,_ZN7rocprim17ROCPRIM_400000_NS6detail17trampoline_kernelINS0_14default_configENS1_38merge_sort_block_merge_config_selectorIttEEZZNS1_27merge_sort_block_merge_implIS3_N6thrust23THRUST_200600_302600_NS6detail15normal_iteratorINS8_10device_ptrItEEEESD_jNS1_19radix_merge_compareILb0ELb1EtNS0_19identity_decomposerEEEEE10hipError_tT0_T1_T2_jT3_P12ihipStream_tbPNSt15iterator_traitsISI_E10value_typeEPNSO_ISJ_E10value_typeEPSK_NS1_7vsmem_tEENKUlT_SI_SJ_SK_E_clIPtSD_S10_SD_EESH_SX_SI_SJ_SK_EUlSX_E_NS1_11comp_targetILNS1_3genE10ELNS1_11target_archE1201ELNS1_3gpuE5ELNS1_3repE0EEENS1_48merge_mergepath_partition_config_static_selectorELNS0_4arch9wavefront6targetE1EEEvSJ_,comdat
.Lfunc_end900:
	.size	_ZN7rocprim17ROCPRIM_400000_NS6detail17trampoline_kernelINS0_14default_configENS1_38merge_sort_block_merge_config_selectorIttEEZZNS1_27merge_sort_block_merge_implIS3_N6thrust23THRUST_200600_302600_NS6detail15normal_iteratorINS8_10device_ptrItEEEESD_jNS1_19radix_merge_compareILb0ELb1EtNS0_19identity_decomposerEEEEE10hipError_tT0_T1_T2_jT3_P12ihipStream_tbPNSt15iterator_traitsISI_E10value_typeEPNSO_ISJ_E10value_typeEPSK_NS1_7vsmem_tEENKUlT_SI_SJ_SK_E_clIPtSD_S10_SD_EESH_SX_SI_SJ_SK_EUlSX_E_NS1_11comp_targetILNS1_3genE10ELNS1_11target_archE1201ELNS1_3gpuE5ELNS1_3repE0EEENS1_48merge_mergepath_partition_config_static_selectorELNS0_4arch9wavefront6targetE1EEEvSJ_, .Lfunc_end900-_ZN7rocprim17ROCPRIM_400000_NS6detail17trampoline_kernelINS0_14default_configENS1_38merge_sort_block_merge_config_selectorIttEEZZNS1_27merge_sort_block_merge_implIS3_N6thrust23THRUST_200600_302600_NS6detail15normal_iteratorINS8_10device_ptrItEEEESD_jNS1_19radix_merge_compareILb0ELb1EtNS0_19identity_decomposerEEEEE10hipError_tT0_T1_T2_jT3_P12ihipStream_tbPNSt15iterator_traitsISI_E10value_typeEPNSO_ISJ_E10value_typeEPSK_NS1_7vsmem_tEENKUlT_SI_SJ_SK_E_clIPtSD_S10_SD_EESH_SX_SI_SJ_SK_EUlSX_E_NS1_11comp_targetILNS1_3genE10ELNS1_11target_archE1201ELNS1_3gpuE5ELNS1_3repE0EEENS1_48merge_mergepath_partition_config_static_selectorELNS0_4arch9wavefront6targetE1EEEvSJ_
                                        ; -- End function
	.set _ZN7rocprim17ROCPRIM_400000_NS6detail17trampoline_kernelINS0_14default_configENS1_38merge_sort_block_merge_config_selectorIttEEZZNS1_27merge_sort_block_merge_implIS3_N6thrust23THRUST_200600_302600_NS6detail15normal_iteratorINS8_10device_ptrItEEEESD_jNS1_19radix_merge_compareILb0ELb1EtNS0_19identity_decomposerEEEEE10hipError_tT0_T1_T2_jT3_P12ihipStream_tbPNSt15iterator_traitsISI_E10value_typeEPNSO_ISJ_E10value_typeEPSK_NS1_7vsmem_tEENKUlT_SI_SJ_SK_E_clIPtSD_S10_SD_EESH_SX_SI_SJ_SK_EUlSX_E_NS1_11comp_targetILNS1_3genE10ELNS1_11target_archE1201ELNS1_3gpuE5ELNS1_3repE0EEENS1_48merge_mergepath_partition_config_static_selectorELNS0_4arch9wavefront6targetE1EEEvSJ_.num_vgpr, 0
	.set _ZN7rocprim17ROCPRIM_400000_NS6detail17trampoline_kernelINS0_14default_configENS1_38merge_sort_block_merge_config_selectorIttEEZZNS1_27merge_sort_block_merge_implIS3_N6thrust23THRUST_200600_302600_NS6detail15normal_iteratorINS8_10device_ptrItEEEESD_jNS1_19radix_merge_compareILb0ELb1EtNS0_19identity_decomposerEEEEE10hipError_tT0_T1_T2_jT3_P12ihipStream_tbPNSt15iterator_traitsISI_E10value_typeEPNSO_ISJ_E10value_typeEPSK_NS1_7vsmem_tEENKUlT_SI_SJ_SK_E_clIPtSD_S10_SD_EESH_SX_SI_SJ_SK_EUlSX_E_NS1_11comp_targetILNS1_3genE10ELNS1_11target_archE1201ELNS1_3gpuE5ELNS1_3repE0EEENS1_48merge_mergepath_partition_config_static_selectorELNS0_4arch9wavefront6targetE1EEEvSJ_.num_agpr, 0
	.set _ZN7rocprim17ROCPRIM_400000_NS6detail17trampoline_kernelINS0_14default_configENS1_38merge_sort_block_merge_config_selectorIttEEZZNS1_27merge_sort_block_merge_implIS3_N6thrust23THRUST_200600_302600_NS6detail15normal_iteratorINS8_10device_ptrItEEEESD_jNS1_19radix_merge_compareILb0ELb1EtNS0_19identity_decomposerEEEEE10hipError_tT0_T1_T2_jT3_P12ihipStream_tbPNSt15iterator_traitsISI_E10value_typeEPNSO_ISJ_E10value_typeEPSK_NS1_7vsmem_tEENKUlT_SI_SJ_SK_E_clIPtSD_S10_SD_EESH_SX_SI_SJ_SK_EUlSX_E_NS1_11comp_targetILNS1_3genE10ELNS1_11target_archE1201ELNS1_3gpuE5ELNS1_3repE0EEENS1_48merge_mergepath_partition_config_static_selectorELNS0_4arch9wavefront6targetE1EEEvSJ_.numbered_sgpr, 0
	.set _ZN7rocprim17ROCPRIM_400000_NS6detail17trampoline_kernelINS0_14default_configENS1_38merge_sort_block_merge_config_selectorIttEEZZNS1_27merge_sort_block_merge_implIS3_N6thrust23THRUST_200600_302600_NS6detail15normal_iteratorINS8_10device_ptrItEEEESD_jNS1_19radix_merge_compareILb0ELb1EtNS0_19identity_decomposerEEEEE10hipError_tT0_T1_T2_jT3_P12ihipStream_tbPNSt15iterator_traitsISI_E10value_typeEPNSO_ISJ_E10value_typeEPSK_NS1_7vsmem_tEENKUlT_SI_SJ_SK_E_clIPtSD_S10_SD_EESH_SX_SI_SJ_SK_EUlSX_E_NS1_11comp_targetILNS1_3genE10ELNS1_11target_archE1201ELNS1_3gpuE5ELNS1_3repE0EEENS1_48merge_mergepath_partition_config_static_selectorELNS0_4arch9wavefront6targetE1EEEvSJ_.num_named_barrier, 0
	.set _ZN7rocprim17ROCPRIM_400000_NS6detail17trampoline_kernelINS0_14default_configENS1_38merge_sort_block_merge_config_selectorIttEEZZNS1_27merge_sort_block_merge_implIS3_N6thrust23THRUST_200600_302600_NS6detail15normal_iteratorINS8_10device_ptrItEEEESD_jNS1_19radix_merge_compareILb0ELb1EtNS0_19identity_decomposerEEEEE10hipError_tT0_T1_T2_jT3_P12ihipStream_tbPNSt15iterator_traitsISI_E10value_typeEPNSO_ISJ_E10value_typeEPSK_NS1_7vsmem_tEENKUlT_SI_SJ_SK_E_clIPtSD_S10_SD_EESH_SX_SI_SJ_SK_EUlSX_E_NS1_11comp_targetILNS1_3genE10ELNS1_11target_archE1201ELNS1_3gpuE5ELNS1_3repE0EEENS1_48merge_mergepath_partition_config_static_selectorELNS0_4arch9wavefront6targetE1EEEvSJ_.private_seg_size, 0
	.set _ZN7rocprim17ROCPRIM_400000_NS6detail17trampoline_kernelINS0_14default_configENS1_38merge_sort_block_merge_config_selectorIttEEZZNS1_27merge_sort_block_merge_implIS3_N6thrust23THRUST_200600_302600_NS6detail15normal_iteratorINS8_10device_ptrItEEEESD_jNS1_19radix_merge_compareILb0ELb1EtNS0_19identity_decomposerEEEEE10hipError_tT0_T1_T2_jT3_P12ihipStream_tbPNSt15iterator_traitsISI_E10value_typeEPNSO_ISJ_E10value_typeEPSK_NS1_7vsmem_tEENKUlT_SI_SJ_SK_E_clIPtSD_S10_SD_EESH_SX_SI_SJ_SK_EUlSX_E_NS1_11comp_targetILNS1_3genE10ELNS1_11target_archE1201ELNS1_3gpuE5ELNS1_3repE0EEENS1_48merge_mergepath_partition_config_static_selectorELNS0_4arch9wavefront6targetE1EEEvSJ_.uses_vcc, 0
	.set _ZN7rocprim17ROCPRIM_400000_NS6detail17trampoline_kernelINS0_14default_configENS1_38merge_sort_block_merge_config_selectorIttEEZZNS1_27merge_sort_block_merge_implIS3_N6thrust23THRUST_200600_302600_NS6detail15normal_iteratorINS8_10device_ptrItEEEESD_jNS1_19radix_merge_compareILb0ELb1EtNS0_19identity_decomposerEEEEE10hipError_tT0_T1_T2_jT3_P12ihipStream_tbPNSt15iterator_traitsISI_E10value_typeEPNSO_ISJ_E10value_typeEPSK_NS1_7vsmem_tEENKUlT_SI_SJ_SK_E_clIPtSD_S10_SD_EESH_SX_SI_SJ_SK_EUlSX_E_NS1_11comp_targetILNS1_3genE10ELNS1_11target_archE1201ELNS1_3gpuE5ELNS1_3repE0EEENS1_48merge_mergepath_partition_config_static_selectorELNS0_4arch9wavefront6targetE1EEEvSJ_.uses_flat_scratch, 0
	.set _ZN7rocprim17ROCPRIM_400000_NS6detail17trampoline_kernelINS0_14default_configENS1_38merge_sort_block_merge_config_selectorIttEEZZNS1_27merge_sort_block_merge_implIS3_N6thrust23THRUST_200600_302600_NS6detail15normal_iteratorINS8_10device_ptrItEEEESD_jNS1_19radix_merge_compareILb0ELb1EtNS0_19identity_decomposerEEEEE10hipError_tT0_T1_T2_jT3_P12ihipStream_tbPNSt15iterator_traitsISI_E10value_typeEPNSO_ISJ_E10value_typeEPSK_NS1_7vsmem_tEENKUlT_SI_SJ_SK_E_clIPtSD_S10_SD_EESH_SX_SI_SJ_SK_EUlSX_E_NS1_11comp_targetILNS1_3genE10ELNS1_11target_archE1201ELNS1_3gpuE5ELNS1_3repE0EEENS1_48merge_mergepath_partition_config_static_selectorELNS0_4arch9wavefront6targetE1EEEvSJ_.has_dyn_sized_stack, 0
	.set _ZN7rocprim17ROCPRIM_400000_NS6detail17trampoline_kernelINS0_14default_configENS1_38merge_sort_block_merge_config_selectorIttEEZZNS1_27merge_sort_block_merge_implIS3_N6thrust23THRUST_200600_302600_NS6detail15normal_iteratorINS8_10device_ptrItEEEESD_jNS1_19radix_merge_compareILb0ELb1EtNS0_19identity_decomposerEEEEE10hipError_tT0_T1_T2_jT3_P12ihipStream_tbPNSt15iterator_traitsISI_E10value_typeEPNSO_ISJ_E10value_typeEPSK_NS1_7vsmem_tEENKUlT_SI_SJ_SK_E_clIPtSD_S10_SD_EESH_SX_SI_SJ_SK_EUlSX_E_NS1_11comp_targetILNS1_3genE10ELNS1_11target_archE1201ELNS1_3gpuE5ELNS1_3repE0EEENS1_48merge_mergepath_partition_config_static_selectorELNS0_4arch9wavefront6targetE1EEEvSJ_.has_recursion, 0
	.set _ZN7rocprim17ROCPRIM_400000_NS6detail17trampoline_kernelINS0_14default_configENS1_38merge_sort_block_merge_config_selectorIttEEZZNS1_27merge_sort_block_merge_implIS3_N6thrust23THRUST_200600_302600_NS6detail15normal_iteratorINS8_10device_ptrItEEEESD_jNS1_19radix_merge_compareILb0ELb1EtNS0_19identity_decomposerEEEEE10hipError_tT0_T1_T2_jT3_P12ihipStream_tbPNSt15iterator_traitsISI_E10value_typeEPNSO_ISJ_E10value_typeEPSK_NS1_7vsmem_tEENKUlT_SI_SJ_SK_E_clIPtSD_S10_SD_EESH_SX_SI_SJ_SK_EUlSX_E_NS1_11comp_targetILNS1_3genE10ELNS1_11target_archE1201ELNS1_3gpuE5ELNS1_3repE0EEENS1_48merge_mergepath_partition_config_static_selectorELNS0_4arch9wavefront6targetE1EEEvSJ_.has_indirect_call, 0
	.section	.AMDGPU.csdata,"",@progbits
; Kernel info:
; codeLenInByte = 0
; TotalNumSgprs: 6
; NumVgprs: 0
; NumAgprs: 0
; TotalNumVgprs: 0
; ScratchSize: 0
; MemoryBound: 0
; FloatMode: 240
; IeeeMode: 1
; LDSByteSize: 0 bytes/workgroup (compile time only)
; SGPRBlocks: 0
; VGPRBlocks: 0
; NumSGPRsForWavesPerEU: 6
; NumVGPRsForWavesPerEU: 1
; AccumOffset: 4
; Occupancy: 8
; WaveLimiterHint : 0
; COMPUTE_PGM_RSRC2:SCRATCH_EN: 0
; COMPUTE_PGM_RSRC2:USER_SGPR: 2
; COMPUTE_PGM_RSRC2:TRAP_HANDLER: 0
; COMPUTE_PGM_RSRC2:TGID_X_EN: 1
; COMPUTE_PGM_RSRC2:TGID_Y_EN: 0
; COMPUTE_PGM_RSRC2:TGID_Z_EN: 0
; COMPUTE_PGM_RSRC2:TIDIG_COMP_CNT: 0
; COMPUTE_PGM_RSRC3_GFX90A:ACCUM_OFFSET: 0
; COMPUTE_PGM_RSRC3_GFX90A:TG_SPLIT: 0
	.section	.text._ZN7rocprim17ROCPRIM_400000_NS6detail17trampoline_kernelINS0_14default_configENS1_38merge_sort_block_merge_config_selectorIttEEZZNS1_27merge_sort_block_merge_implIS3_N6thrust23THRUST_200600_302600_NS6detail15normal_iteratorINS8_10device_ptrItEEEESD_jNS1_19radix_merge_compareILb0ELb1EtNS0_19identity_decomposerEEEEE10hipError_tT0_T1_T2_jT3_P12ihipStream_tbPNSt15iterator_traitsISI_E10value_typeEPNSO_ISJ_E10value_typeEPSK_NS1_7vsmem_tEENKUlT_SI_SJ_SK_E_clIPtSD_S10_SD_EESH_SX_SI_SJ_SK_EUlSX_E_NS1_11comp_targetILNS1_3genE5ELNS1_11target_archE942ELNS1_3gpuE9ELNS1_3repE0EEENS1_48merge_mergepath_partition_config_static_selectorELNS0_4arch9wavefront6targetE1EEEvSJ_,"axG",@progbits,_ZN7rocprim17ROCPRIM_400000_NS6detail17trampoline_kernelINS0_14default_configENS1_38merge_sort_block_merge_config_selectorIttEEZZNS1_27merge_sort_block_merge_implIS3_N6thrust23THRUST_200600_302600_NS6detail15normal_iteratorINS8_10device_ptrItEEEESD_jNS1_19radix_merge_compareILb0ELb1EtNS0_19identity_decomposerEEEEE10hipError_tT0_T1_T2_jT3_P12ihipStream_tbPNSt15iterator_traitsISI_E10value_typeEPNSO_ISJ_E10value_typeEPSK_NS1_7vsmem_tEENKUlT_SI_SJ_SK_E_clIPtSD_S10_SD_EESH_SX_SI_SJ_SK_EUlSX_E_NS1_11comp_targetILNS1_3genE5ELNS1_11target_archE942ELNS1_3gpuE9ELNS1_3repE0EEENS1_48merge_mergepath_partition_config_static_selectorELNS0_4arch9wavefront6targetE1EEEvSJ_,comdat
	.protected	_ZN7rocprim17ROCPRIM_400000_NS6detail17trampoline_kernelINS0_14default_configENS1_38merge_sort_block_merge_config_selectorIttEEZZNS1_27merge_sort_block_merge_implIS3_N6thrust23THRUST_200600_302600_NS6detail15normal_iteratorINS8_10device_ptrItEEEESD_jNS1_19radix_merge_compareILb0ELb1EtNS0_19identity_decomposerEEEEE10hipError_tT0_T1_T2_jT3_P12ihipStream_tbPNSt15iterator_traitsISI_E10value_typeEPNSO_ISJ_E10value_typeEPSK_NS1_7vsmem_tEENKUlT_SI_SJ_SK_E_clIPtSD_S10_SD_EESH_SX_SI_SJ_SK_EUlSX_E_NS1_11comp_targetILNS1_3genE5ELNS1_11target_archE942ELNS1_3gpuE9ELNS1_3repE0EEENS1_48merge_mergepath_partition_config_static_selectorELNS0_4arch9wavefront6targetE1EEEvSJ_ ; -- Begin function _ZN7rocprim17ROCPRIM_400000_NS6detail17trampoline_kernelINS0_14default_configENS1_38merge_sort_block_merge_config_selectorIttEEZZNS1_27merge_sort_block_merge_implIS3_N6thrust23THRUST_200600_302600_NS6detail15normal_iteratorINS8_10device_ptrItEEEESD_jNS1_19radix_merge_compareILb0ELb1EtNS0_19identity_decomposerEEEEE10hipError_tT0_T1_T2_jT3_P12ihipStream_tbPNSt15iterator_traitsISI_E10value_typeEPNSO_ISJ_E10value_typeEPSK_NS1_7vsmem_tEENKUlT_SI_SJ_SK_E_clIPtSD_S10_SD_EESH_SX_SI_SJ_SK_EUlSX_E_NS1_11comp_targetILNS1_3genE5ELNS1_11target_archE942ELNS1_3gpuE9ELNS1_3repE0EEENS1_48merge_mergepath_partition_config_static_selectorELNS0_4arch9wavefront6targetE1EEEvSJ_
	.globl	_ZN7rocprim17ROCPRIM_400000_NS6detail17trampoline_kernelINS0_14default_configENS1_38merge_sort_block_merge_config_selectorIttEEZZNS1_27merge_sort_block_merge_implIS3_N6thrust23THRUST_200600_302600_NS6detail15normal_iteratorINS8_10device_ptrItEEEESD_jNS1_19radix_merge_compareILb0ELb1EtNS0_19identity_decomposerEEEEE10hipError_tT0_T1_T2_jT3_P12ihipStream_tbPNSt15iterator_traitsISI_E10value_typeEPNSO_ISJ_E10value_typeEPSK_NS1_7vsmem_tEENKUlT_SI_SJ_SK_E_clIPtSD_S10_SD_EESH_SX_SI_SJ_SK_EUlSX_E_NS1_11comp_targetILNS1_3genE5ELNS1_11target_archE942ELNS1_3gpuE9ELNS1_3repE0EEENS1_48merge_mergepath_partition_config_static_selectorELNS0_4arch9wavefront6targetE1EEEvSJ_
	.p2align	8
	.type	_ZN7rocprim17ROCPRIM_400000_NS6detail17trampoline_kernelINS0_14default_configENS1_38merge_sort_block_merge_config_selectorIttEEZZNS1_27merge_sort_block_merge_implIS3_N6thrust23THRUST_200600_302600_NS6detail15normal_iteratorINS8_10device_ptrItEEEESD_jNS1_19radix_merge_compareILb0ELb1EtNS0_19identity_decomposerEEEEE10hipError_tT0_T1_T2_jT3_P12ihipStream_tbPNSt15iterator_traitsISI_E10value_typeEPNSO_ISJ_E10value_typeEPSK_NS1_7vsmem_tEENKUlT_SI_SJ_SK_E_clIPtSD_S10_SD_EESH_SX_SI_SJ_SK_EUlSX_E_NS1_11comp_targetILNS1_3genE5ELNS1_11target_archE942ELNS1_3gpuE9ELNS1_3repE0EEENS1_48merge_mergepath_partition_config_static_selectorELNS0_4arch9wavefront6targetE1EEEvSJ_,@function
_ZN7rocprim17ROCPRIM_400000_NS6detail17trampoline_kernelINS0_14default_configENS1_38merge_sort_block_merge_config_selectorIttEEZZNS1_27merge_sort_block_merge_implIS3_N6thrust23THRUST_200600_302600_NS6detail15normal_iteratorINS8_10device_ptrItEEEESD_jNS1_19radix_merge_compareILb0ELb1EtNS0_19identity_decomposerEEEEE10hipError_tT0_T1_T2_jT3_P12ihipStream_tbPNSt15iterator_traitsISI_E10value_typeEPNSO_ISJ_E10value_typeEPSK_NS1_7vsmem_tEENKUlT_SI_SJ_SK_E_clIPtSD_S10_SD_EESH_SX_SI_SJ_SK_EUlSX_E_NS1_11comp_targetILNS1_3genE5ELNS1_11target_archE942ELNS1_3gpuE9ELNS1_3repE0EEENS1_48merge_mergepath_partition_config_static_selectorELNS0_4arch9wavefront6targetE1EEEvSJ_: ; @_ZN7rocprim17ROCPRIM_400000_NS6detail17trampoline_kernelINS0_14default_configENS1_38merge_sort_block_merge_config_selectorIttEEZZNS1_27merge_sort_block_merge_implIS3_N6thrust23THRUST_200600_302600_NS6detail15normal_iteratorINS8_10device_ptrItEEEESD_jNS1_19radix_merge_compareILb0ELb1EtNS0_19identity_decomposerEEEEE10hipError_tT0_T1_T2_jT3_P12ihipStream_tbPNSt15iterator_traitsISI_E10value_typeEPNSO_ISJ_E10value_typeEPSK_NS1_7vsmem_tEENKUlT_SI_SJ_SK_E_clIPtSD_S10_SD_EESH_SX_SI_SJ_SK_EUlSX_E_NS1_11comp_targetILNS1_3genE5ELNS1_11target_archE942ELNS1_3gpuE9ELNS1_3repE0EEENS1_48merge_mergepath_partition_config_static_selectorELNS0_4arch9wavefront6targetE1EEEvSJ_
; %bb.0:
	.section	.rodata,"a",@progbits
	.p2align	6, 0x0
	.amdhsa_kernel _ZN7rocprim17ROCPRIM_400000_NS6detail17trampoline_kernelINS0_14default_configENS1_38merge_sort_block_merge_config_selectorIttEEZZNS1_27merge_sort_block_merge_implIS3_N6thrust23THRUST_200600_302600_NS6detail15normal_iteratorINS8_10device_ptrItEEEESD_jNS1_19radix_merge_compareILb0ELb1EtNS0_19identity_decomposerEEEEE10hipError_tT0_T1_T2_jT3_P12ihipStream_tbPNSt15iterator_traitsISI_E10value_typeEPNSO_ISJ_E10value_typeEPSK_NS1_7vsmem_tEENKUlT_SI_SJ_SK_E_clIPtSD_S10_SD_EESH_SX_SI_SJ_SK_EUlSX_E_NS1_11comp_targetILNS1_3genE5ELNS1_11target_archE942ELNS1_3gpuE9ELNS1_3repE0EEENS1_48merge_mergepath_partition_config_static_selectorELNS0_4arch9wavefront6targetE1EEEvSJ_
		.amdhsa_group_segment_fixed_size 0
		.amdhsa_private_segment_fixed_size 0
		.amdhsa_kernarg_size 40
		.amdhsa_user_sgpr_count 2
		.amdhsa_user_sgpr_dispatch_ptr 0
		.amdhsa_user_sgpr_queue_ptr 0
		.amdhsa_user_sgpr_kernarg_segment_ptr 1
		.amdhsa_user_sgpr_dispatch_id 0
		.amdhsa_user_sgpr_kernarg_preload_length 0
		.amdhsa_user_sgpr_kernarg_preload_offset 0
		.amdhsa_user_sgpr_private_segment_size 0
		.amdhsa_uses_dynamic_stack 0
		.amdhsa_enable_private_segment 0
		.amdhsa_system_sgpr_workgroup_id_x 1
		.amdhsa_system_sgpr_workgroup_id_y 0
		.amdhsa_system_sgpr_workgroup_id_z 0
		.amdhsa_system_sgpr_workgroup_info 0
		.amdhsa_system_vgpr_workitem_id 0
		.amdhsa_next_free_vgpr 1
		.amdhsa_next_free_sgpr 0
		.amdhsa_accum_offset 4
		.amdhsa_reserve_vcc 0
		.amdhsa_float_round_mode_32 0
		.amdhsa_float_round_mode_16_64 0
		.amdhsa_float_denorm_mode_32 3
		.amdhsa_float_denorm_mode_16_64 3
		.amdhsa_dx10_clamp 1
		.amdhsa_ieee_mode 1
		.amdhsa_fp16_overflow 0
		.amdhsa_tg_split 0
		.amdhsa_exception_fp_ieee_invalid_op 0
		.amdhsa_exception_fp_denorm_src 0
		.amdhsa_exception_fp_ieee_div_zero 0
		.amdhsa_exception_fp_ieee_overflow 0
		.amdhsa_exception_fp_ieee_underflow 0
		.amdhsa_exception_fp_ieee_inexact 0
		.amdhsa_exception_int_div_zero 0
	.end_amdhsa_kernel
	.section	.text._ZN7rocprim17ROCPRIM_400000_NS6detail17trampoline_kernelINS0_14default_configENS1_38merge_sort_block_merge_config_selectorIttEEZZNS1_27merge_sort_block_merge_implIS3_N6thrust23THRUST_200600_302600_NS6detail15normal_iteratorINS8_10device_ptrItEEEESD_jNS1_19radix_merge_compareILb0ELb1EtNS0_19identity_decomposerEEEEE10hipError_tT0_T1_T2_jT3_P12ihipStream_tbPNSt15iterator_traitsISI_E10value_typeEPNSO_ISJ_E10value_typeEPSK_NS1_7vsmem_tEENKUlT_SI_SJ_SK_E_clIPtSD_S10_SD_EESH_SX_SI_SJ_SK_EUlSX_E_NS1_11comp_targetILNS1_3genE5ELNS1_11target_archE942ELNS1_3gpuE9ELNS1_3repE0EEENS1_48merge_mergepath_partition_config_static_selectorELNS0_4arch9wavefront6targetE1EEEvSJ_,"axG",@progbits,_ZN7rocprim17ROCPRIM_400000_NS6detail17trampoline_kernelINS0_14default_configENS1_38merge_sort_block_merge_config_selectorIttEEZZNS1_27merge_sort_block_merge_implIS3_N6thrust23THRUST_200600_302600_NS6detail15normal_iteratorINS8_10device_ptrItEEEESD_jNS1_19radix_merge_compareILb0ELb1EtNS0_19identity_decomposerEEEEE10hipError_tT0_T1_T2_jT3_P12ihipStream_tbPNSt15iterator_traitsISI_E10value_typeEPNSO_ISJ_E10value_typeEPSK_NS1_7vsmem_tEENKUlT_SI_SJ_SK_E_clIPtSD_S10_SD_EESH_SX_SI_SJ_SK_EUlSX_E_NS1_11comp_targetILNS1_3genE5ELNS1_11target_archE942ELNS1_3gpuE9ELNS1_3repE0EEENS1_48merge_mergepath_partition_config_static_selectorELNS0_4arch9wavefront6targetE1EEEvSJ_,comdat
.Lfunc_end901:
	.size	_ZN7rocprim17ROCPRIM_400000_NS6detail17trampoline_kernelINS0_14default_configENS1_38merge_sort_block_merge_config_selectorIttEEZZNS1_27merge_sort_block_merge_implIS3_N6thrust23THRUST_200600_302600_NS6detail15normal_iteratorINS8_10device_ptrItEEEESD_jNS1_19radix_merge_compareILb0ELb1EtNS0_19identity_decomposerEEEEE10hipError_tT0_T1_T2_jT3_P12ihipStream_tbPNSt15iterator_traitsISI_E10value_typeEPNSO_ISJ_E10value_typeEPSK_NS1_7vsmem_tEENKUlT_SI_SJ_SK_E_clIPtSD_S10_SD_EESH_SX_SI_SJ_SK_EUlSX_E_NS1_11comp_targetILNS1_3genE5ELNS1_11target_archE942ELNS1_3gpuE9ELNS1_3repE0EEENS1_48merge_mergepath_partition_config_static_selectorELNS0_4arch9wavefront6targetE1EEEvSJ_, .Lfunc_end901-_ZN7rocprim17ROCPRIM_400000_NS6detail17trampoline_kernelINS0_14default_configENS1_38merge_sort_block_merge_config_selectorIttEEZZNS1_27merge_sort_block_merge_implIS3_N6thrust23THRUST_200600_302600_NS6detail15normal_iteratorINS8_10device_ptrItEEEESD_jNS1_19radix_merge_compareILb0ELb1EtNS0_19identity_decomposerEEEEE10hipError_tT0_T1_T2_jT3_P12ihipStream_tbPNSt15iterator_traitsISI_E10value_typeEPNSO_ISJ_E10value_typeEPSK_NS1_7vsmem_tEENKUlT_SI_SJ_SK_E_clIPtSD_S10_SD_EESH_SX_SI_SJ_SK_EUlSX_E_NS1_11comp_targetILNS1_3genE5ELNS1_11target_archE942ELNS1_3gpuE9ELNS1_3repE0EEENS1_48merge_mergepath_partition_config_static_selectorELNS0_4arch9wavefront6targetE1EEEvSJ_
                                        ; -- End function
	.set _ZN7rocprim17ROCPRIM_400000_NS6detail17trampoline_kernelINS0_14default_configENS1_38merge_sort_block_merge_config_selectorIttEEZZNS1_27merge_sort_block_merge_implIS3_N6thrust23THRUST_200600_302600_NS6detail15normal_iteratorINS8_10device_ptrItEEEESD_jNS1_19radix_merge_compareILb0ELb1EtNS0_19identity_decomposerEEEEE10hipError_tT0_T1_T2_jT3_P12ihipStream_tbPNSt15iterator_traitsISI_E10value_typeEPNSO_ISJ_E10value_typeEPSK_NS1_7vsmem_tEENKUlT_SI_SJ_SK_E_clIPtSD_S10_SD_EESH_SX_SI_SJ_SK_EUlSX_E_NS1_11comp_targetILNS1_3genE5ELNS1_11target_archE942ELNS1_3gpuE9ELNS1_3repE0EEENS1_48merge_mergepath_partition_config_static_selectorELNS0_4arch9wavefront6targetE1EEEvSJ_.num_vgpr, 0
	.set _ZN7rocprim17ROCPRIM_400000_NS6detail17trampoline_kernelINS0_14default_configENS1_38merge_sort_block_merge_config_selectorIttEEZZNS1_27merge_sort_block_merge_implIS3_N6thrust23THRUST_200600_302600_NS6detail15normal_iteratorINS8_10device_ptrItEEEESD_jNS1_19radix_merge_compareILb0ELb1EtNS0_19identity_decomposerEEEEE10hipError_tT0_T1_T2_jT3_P12ihipStream_tbPNSt15iterator_traitsISI_E10value_typeEPNSO_ISJ_E10value_typeEPSK_NS1_7vsmem_tEENKUlT_SI_SJ_SK_E_clIPtSD_S10_SD_EESH_SX_SI_SJ_SK_EUlSX_E_NS1_11comp_targetILNS1_3genE5ELNS1_11target_archE942ELNS1_3gpuE9ELNS1_3repE0EEENS1_48merge_mergepath_partition_config_static_selectorELNS0_4arch9wavefront6targetE1EEEvSJ_.num_agpr, 0
	.set _ZN7rocprim17ROCPRIM_400000_NS6detail17trampoline_kernelINS0_14default_configENS1_38merge_sort_block_merge_config_selectorIttEEZZNS1_27merge_sort_block_merge_implIS3_N6thrust23THRUST_200600_302600_NS6detail15normal_iteratorINS8_10device_ptrItEEEESD_jNS1_19radix_merge_compareILb0ELb1EtNS0_19identity_decomposerEEEEE10hipError_tT0_T1_T2_jT3_P12ihipStream_tbPNSt15iterator_traitsISI_E10value_typeEPNSO_ISJ_E10value_typeEPSK_NS1_7vsmem_tEENKUlT_SI_SJ_SK_E_clIPtSD_S10_SD_EESH_SX_SI_SJ_SK_EUlSX_E_NS1_11comp_targetILNS1_3genE5ELNS1_11target_archE942ELNS1_3gpuE9ELNS1_3repE0EEENS1_48merge_mergepath_partition_config_static_selectorELNS0_4arch9wavefront6targetE1EEEvSJ_.numbered_sgpr, 0
	.set _ZN7rocprim17ROCPRIM_400000_NS6detail17trampoline_kernelINS0_14default_configENS1_38merge_sort_block_merge_config_selectorIttEEZZNS1_27merge_sort_block_merge_implIS3_N6thrust23THRUST_200600_302600_NS6detail15normal_iteratorINS8_10device_ptrItEEEESD_jNS1_19radix_merge_compareILb0ELb1EtNS0_19identity_decomposerEEEEE10hipError_tT0_T1_T2_jT3_P12ihipStream_tbPNSt15iterator_traitsISI_E10value_typeEPNSO_ISJ_E10value_typeEPSK_NS1_7vsmem_tEENKUlT_SI_SJ_SK_E_clIPtSD_S10_SD_EESH_SX_SI_SJ_SK_EUlSX_E_NS1_11comp_targetILNS1_3genE5ELNS1_11target_archE942ELNS1_3gpuE9ELNS1_3repE0EEENS1_48merge_mergepath_partition_config_static_selectorELNS0_4arch9wavefront6targetE1EEEvSJ_.num_named_barrier, 0
	.set _ZN7rocprim17ROCPRIM_400000_NS6detail17trampoline_kernelINS0_14default_configENS1_38merge_sort_block_merge_config_selectorIttEEZZNS1_27merge_sort_block_merge_implIS3_N6thrust23THRUST_200600_302600_NS6detail15normal_iteratorINS8_10device_ptrItEEEESD_jNS1_19radix_merge_compareILb0ELb1EtNS0_19identity_decomposerEEEEE10hipError_tT0_T1_T2_jT3_P12ihipStream_tbPNSt15iterator_traitsISI_E10value_typeEPNSO_ISJ_E10value_typeEPSK_NS1_7vsmem_tEENKUlT_SI_SJ_SK_E_clIPtSD_S10_SD_EESH_SX_SI_SJ_SK_EUlSX_E_NS1_11comp_targetILNS1_3genE5ELNS1_11target_archE942ELNS1_3gpuE9ELNS1_3repE0EEENS1_48merge_mergepath_partition_config_static_selectorELNS0_4arch9wavefront6targetE1EEEvSJ_.private_seg_size, 0
	.set _ZN7rocprim17ROCPRIM_400000_NS6detail17trampoline_kernelINS0_14default_configENS1_38merge_sort_block_merge_config_selectorIttEEZZNS1_27merge_sort_block_merge_implIS3_N6thrust23THRUST_200600_302600_NS6detail15normal_iteratorINS8_10device_ptrItEEEESD_jNS1_19radix_merge_compareILb0ELb1EtNS0_19identity_decomposerEEEEE10hipError_tT0_T1_T2_jT3_P12ihipStream_tbPNSt15iterator_traitsISI_E10value_typeEPNSO_ISJ_E10value_typeEPSK_NS1_7vsmem_tEENKUlT_SI_SJ_SK_E_clIPtSD_S10_SD_EESH_SX_SI_SJ_SK_EUlSX_E_NS1_11comp_targetILNS1_3genE5ELNS1_11target_archE942ELNS1_3gpuE9ELNS1_3repE0EEENS1_48merge_mergepath_partition_config_static_selectorELNS0_4arch9wavefront6targetE1EEEvSJ_.uses_vcc, 0
	.set _ZN7rocprim17ROCPRIM_400000_NS6detail17trampoline_kernelINS0_14default_configENS1_38merge_sort_block_merge_config_selectorIttEEZZNS1_27merge_sort_block_merge_implIS3_N6thrust23THRUST_200600_302600_NS6detail15normal_iteratorINS8_10device_ptrItEEEESD_jNS1_19radix_merge_compareILb0ELb1EtNS0_19identity_decomposerEEEEE10hipError_tT0_T1_T2_jT3_P12ihipStream_tbPNSt15iterator_traitsISI_E10value_typeEPNSO_ISJ_E10value_typeEPSK_NS1_7vsmem_tEENKUlT_SI_SJ_SK_E_clIPtSD_S10_SD_EESH_SX_SI_SJ_SK_EUlSX_E_NS1_11comp_targetILNS1_3genE5ELNS1_11target_archE942ELNS1_3gpuE9ELNS1_3repE0EEENS1_48merge_mergepath_partition_config_static_selectorELNS0_4arch9wavefront6targetE1EEEvSJ_.uses_flat_scratch, 0
	.set _ZN7rocprim17ROCPRIM_400000_NS6detail17trampoline_kernelINS0_14default_configENS1_38merge_sort_block_merge_config_selectorIttEEZZNS1_27merge_sort_block_merge_implIS3_N6thrust23THRUST_200600_302600_NS6detail15normal_iteratorINS8_10device_ptrItEEEESD_jNS1_19radix_merge_compareILb0ELb1EtNS0_19identity_decomposerEEEEE10hipError_tT0_T1_T2_jT3_P12ihipStream_tbPNSt15iterator_traitsISI_E10value_typeEPNSO_ISJ_E10value_typeEPSK_NS1_7vsmem_tEENKUlT_SI_SJ_SK_E_clIPtSD_S10_SD_EESH_SX_SI_SJ_SK_EUlSX_E_NS1_11comp_targetILNS1_3genE5ELNS1_11target_archE942ELNS1_3gpuE9ELNS1_3repE0EEENS1_48merge_mergepath_partition_config_static_selectorELNS0_4arch9wavefront6targetE1EEEvSJ_.has_dyn_sized_stack, 0
	.set _ZN7rocprim17ROCPRIM_400000_NS6detail17trampoline_kernelINS0_14default_configENS1_38merge_sort_block_merge_config_selectorIttEEZZNS1_27merge_sort_block_merge_implIS3_N6thrust23THRUST_200600_302600_NS6detail15normal_iteratorINS8_10device_ptrItEEEESD_jNS1_19radix_merge_compareILb0ELb1EtNS0_19identity_decomposerEEEEE10hipError_tT0_T1_T2_jT3_P12ihipStream_tbPNSt15iterator_traitsISI_E10value_typeEPNSO_ISJ_E10value_typeEPSK_NS1_7vsmem_tEENKUlT_SI_SJ_SK_E_clIPtSD_S10_SD_EESH_SX_SI_SJ_SK_EUlSX_E_NS1_11comp_targetILNS1_3genE5ELNS1_11target_archE942ELNS1_3gpuE9ELNS1_3repE0EEENS1_48merge_mergepath_partition_config_static_selectorELNS0_4arch9wavefront6targetE1EEEvSJ_.has_recursion, 0
	.set _ZN7rocprim17ROCPRIM_400000_NS6detail17trampoline_kernelINS0_14default_configENS1_38merge_sort_block_merge_config_selectorIttEEZZNS1_27merge_sort_block_merge_implIS3_N6thrust23THRUST_200600_302600_NS6detail15normal_iteratorINS8_10device_ptrItEEEESD_jNS1_19radix_merge_compareILb0ELb1EtNS0_19identity_decomposerEEEEE10hipError_tT0_T1_T2_jT3_P12ihipStream_tbPNSt15iterator_traitsISI_E10value_typeEPNSO_ISJ_E10value_typeEPSK_NS1_7vsmem_tEENKUlT_SI_SJ_SK_E_clIPtSD_S10_SD_EESH_SX_SI_SJ_SK_EUlSX_E_NS1_11comp_targetILNS1_3genE5ELNS1_11target_archE942ELNS1_3gpuE9ELNS1_3repE0EEENS1_48merge_mergepath_partition_config_static_selectorELNS0_4arch9wavefront6targetE1EEEvSJ_.has_indirect_call, 0
	.section	.AMDGPU.csdata,"",@progbits
; Kernel info:
; codeLenInByte = 0
; TotalNumSgprs: 6
; NumVgprs: 0
; NumAgprs: 0
; TotalNumVgprs: 0
; ScratchSize: 0
; MemoryBound: 0
; FloatMode: 240
; IeeeMode: 1
; LDSByteSize: 0 bytes/workgroup (compile time only)
; SGPRBlocks: 0
; VGPRBlocks: 0
; NumSGPRsForWavesPerEU: 6
; NumVGPRsForWavesPerEU: 1
; AccumOffset: 4
; Occupancy: 8
; WaveLimiterHint : 0
; COMPUTE_PGM_RSRC2:SCRATCH_EN: 0
; COMPUTE_PGM_RSRC2:USER_SGPR: 2
; COMPUTE_PGM_RSRC2:TRAP_HANDLER: 0
; COMPUTE_PGM_RSRC2:TGID_X_EN: 1
; COMPUTE_PGM_RSRC2:TGID_Y_EN: 0
; COMPUTE_PGM_RSRC2:TGID_Z_EN: 0
; COMPUTE_PGM_RSRC2:TIDIG_COMP_CNT: 0
; COMPUTE_PGM_RSRC3_GFX90A:ACCUM_OFFSET: 0
; COMPUTE_PGM_RSRC3_GFX90A:TG_SPLIT: 0
	.section	.text._ZN7rocprim17ROCPRIM_400000_NS6detail17trampoline_kernelINS0_14default_configENS1_38merge_sort_block_merge_config_selectorIttEEZZNS1_27merge_sort_block_merge_implIS3_N6thrust23THRUST_200600_302600_NS6detail15normal_iteratorINS8_10device_ptrItEEEESD_jNS1_19radix_merge_compareILb0ELb1EtNS0_19identity_decomposerEEEEE10hipError_tT0_T1_T2_jT3_P12ihipStream_tbPNSt15iterator_traitsISI_E10value_typeEPNSO_ISJ_E10value_typeEPSK_NS1_7vsmem_tEENKUlT_SI_SJ_SK_E_clIPtSD_S10_SD_EESH_SX_SI_SJ_SK_EUlSX_E_NS1_11comp_targetILNS1_3genE4ELNS1_11target_archE910ELNS1_3gpuE8ELNS1_3repE0EEENS1_48merge_mergepath_partition_config_static_selectorELNS0_4arch9wavefront6targetE1EEEvSJ_,"axG",@progbits,_ZN7rocprim17ROCPRIM_400000_NS6detail17trampoline_kernelINS0_14default_configENS1_38merge_sort_block_merge_config_selectorIttEEZZNS1_27merge_sort_block_merge_implIS3_N6thrust23THRUST_200600_302600_NS6detail15normal_iteratorINS8_10device_ptrItEEEESD_jNS1_19radix_merge_compareILb0ELb1EtNS0_19identity_decomposerEEEEE10hipError_tT0_T1_T2_jT3_P12ihipStream_tbPNSt15iterator_traitsISI_E10value_typeEPNSO_ISJ_E10value_typeEPSK_NS1_7vsmem_tEENKUlT_SI_SJ_SK_E_clIPtSD_S10_SD_EESH_SX_SI_SJ_SK_EUlSX_E_NS1_11comp_targetILNS1_3genE4ELNS1_11target_archE910ELNS1_3gpuE8ELNS1_3repE0EEENS1_48merge_mergepath_partition_config_static_selectorELNS0_4arch9wavefront6targetE1EEEvSJ_,comdat
	.protected	_ZN7rocprim17ROCPRIM_400000_NS6detail17trampoline_kernelINS0_14default_configENS1_38merge_sort_block_merge_config_selectorIttEEZZNS1_27merge_sort_block_merge_implIS3_N6thrust23THRUST_200600_302600_NS6detail15normal_iteratorINS8_10device_ptrItEEEESD_jNS1_19radix_merge_compareILb0ELb1EtNS0_19identity_decomposerEEEEE10hipError_tT0_T1_T2_jT3_P12ihipStream_tbPNSt15iterator_traitsISI_E10value_typeEPNSO_ISJ_E10value_typeEPSK_NS1_7vsmem_tEENKUlT_SI_SJ_SK_E_clIPtSD_S10_SD_EESH_SX_SI_SJ_SK_EUlSX_E_NS1_11comp_targetILNS1_3genE4ELNS1_11target_archE910ELNS1_3gpuE8ELNS1_3repE0EEENS1_48merge_mergepath_partition_config_static_selectorELNS0_4arch9wavefront6targetE1EEEvSJ_ ; -- Begin function _ZN7rocprim17ROCPRIM_400000_NS6detail17trampoline_kernelINS0_14default_configENS1_38merge_sort_block_merge_config_selectorIttEEZZNS1_27merge_sort_block_merge_implIS3_N6thrust23THRUST_200600_302600_NS6detail15normal_iteratorINS8_10device_ptrItEEEESD_jNS1_19radix_merge_compareILb0ELb1EtNS0_19identity_decomposerEEEEE10hipError_tT0_T1_T2_jT3_P12ihipStream_tbPNSt15iterator_traitsISI_E10value_typeEPNSO_ISJ_E10value_typeEPSK_NS1_7vsmem_tEENKUlT_SI_SJ_SK_E_clIPtSD_S10_SD_EESH_SX_SI_SJ_SK_EUlSX_E_NS1_11comp_targetILNS1_3genE4ELNS1_11target_archE910ELNS1_3gpuE8ELNS1_3repE0EEENS1_48merge_mergepath_partition_config_static_selectorELNS0_4arch9wavefront6targetE1EEEvSJ_
	.globl	_ZN7rocprim17ROCPRIM_400000_NS6detail17trampoline_kernelINS0_14default_configENS1_38merge_sort_block_merge_config_selectorIttEEZZNS1_27merge_sort_block_merge_implIS3_N6thrust23THRUST_200600_302600_NS6detail15normal_iteratorINS8_10device_ptrItEEEESD_jNS1_19radix_merge_compareILb0ELb1EtNS0_19identity_decomposerEEEEE10hipError_tT0_T1_T2_jT3_P12ihipStream_tbPNSt15iterator_traitsISI_E10value_typeEPNSO_ISJ_E10value_typeEPSK_NS1_7vsmem_tEENKUlT_SI_SJ_SK_E_clIPtSD_S10_SD_EESH_SX_SI_SJ_SK_EUlSX_E_NS1_11comp_targetILNS1_3genE4ELNS1_11target_archE910ELNS1_3gpuE8ELNS1_3repE0EEENS1_48merge_mergepath_partition_config_static_selectorELNS0_4arch9wavefront6targetE1EEEvSJ_
	.p2align	8
	.type	_ZN7rocprim17ROCPRIM_400000_NS6detail17trampoline_kernelINS0_14default_configENS1_38merge_sort_block_merge_config_selectorIttEEZZNS1_27merge_sort_block_merge_implIS3_N6thrust23THRUST_200600_302600_NS6detail15normal_iteratorINS8_10device_ptrItEEEESD_jNS1_19radix_merge_compareILb0ELb1EtNS0_19identity_decomposerEEEEE10hipError_tT0_T1_T2_jT3_P12ihipStream_tbPNSt15iterator_traitsISI_E10value_typeEPNSO_ISJ_E10value_typeEPSK_NS1_7vsmem_tEENKUlT_SI_SJ_SK_E_clIPtSD_S10_SD_EESH_SX_SI_SJ_SK_EUlSX_E_NS1_11comp_targetILNS1_3genE4ELNS1_11target_archE910ELNS1_3gpuE8ELNS1_3repE0EEENS1_48merge_mergepath_partition_config_static_selectorELNS0_4arch9wavefront6targetE1EEEvSJ_,@function
_ZN7rocprim17ROCPRIM_400000_NS6detail17trampoline_kernelINS0_14default_configENS1_38merge_sort_block_merge_config_selectorIttEEZZNS1_27merge_sort_block_merge_implIS3_N6thrust23THRUST_200600_302600_NS6detail15normal_iteratorINS8_10device_ptrItEEEESD_jNS1_19radix_merge_compareILb0ELb1EtNS0_19identity_decomposerEEEEE10hipError_tT0_T1_T2_jT3_P12ihipStream_tbPNSt15iterator_traitsISI_E10value_typeEPNSO_ISJ_E10value_typeEPSK_NS1_7vsmem_tEENKUlT_SI_SJ_SK_E_clIPtSD_S10_SD_EESH_SX_SI_SJ_SK_EUlSX_E_NS1_11comp_targetILNS1_3genE4ELNS1_11target_archE910ELNS1_3gpuE8ELNS1_3repE0EEENS1_48merge_mergepath_partition_config_static_selectorELNS0_4arch9wavefront6targetE1EEEvSJ_: ; @_ZN7rocprim17ROCPRIM_400000_NS6detail17trampoline_kernelINS0_14default_configENS1_38merge_sort_block_merge_config_selectorIttEEZZNS1_27merge_sort_block_merge_implIS3_N6thrust23THRUST_200600_302600_NS6detail15normal_iteratorINS8_10device_ptrItEEEESD_jNS1_19radix_merge_compareILb0ELb1EtNS0_19identity_decomposerEEEEE10hipError_tT0_T1_T2_jT3_P12ihipStream_tbPNSt15iterator_traitsISI_E10value_typeEPNSO_ISJ_E10value_typeEPSK_NS1_7vsmem_tEENKUlT_SI_SJ_SK_E_clIPtSD_S10_SD_EESH_SX_SI_SJ_SK_EUlSX_E_NS1_11comp_targetILNS1_3genE4ELNS1_11target_archE910ELNS1_3gpuE8ELNS1_3repE0EEENS1_48merge_mergepath_partition_config_static_selectorELNS0_4arch9wavefront6targetE1EEEvSJ_
; %bb.0:
	.section	.rodata,"a",@progbits
	.p2align	6, 0x0
	.amdhsa_kernel _ZN7rocprim17ROCPRIM_400000_NS6detail17trampoline_kernelINS0_14default_configENS1_38merge_sort_block_merge_config_selectorIttEEZZNS1_27merge_sort_block_merge_implIS3_N6thrust23THRUST_200600_302600_NS6detail15normal_iteratorINS8_10device_ptrItEEEESD_jNS1_19radix_merge_compareILb0ELb1EtNS0_19identity_decomposerEEEEE10hipError_tT0_T1_T2_jT3_P12ihipStream_tbPNSt15iterator_traitsISI_E10value_typeEPNSO_ISJ_E10value_typeEPSK_NS1_7vsmem_tEENKUlT_SI_SJ_SK_E_clIPtSD_S10_SD_EESH_SX_SI_SJ_SK_EUlSX_E_NS1_11comp_targetILNS1_3genE4ELNS1_11target_archE910ELNS1_3gpuE8ELNS1_3repE0EEENS1_48merge_mergepath_partition_config_static_selectorELNS0_4arch9wavefront6targetE1EEEvSJ_
		.amdhsa_group_segment_fixed_size 0
		.amdhsa_private_segment_fixed_size 0
		.amdhsa_kernarg_size 40
		.amdhsa_user_sgpr_count 2
		.amdhsa_user_sgpr_dispatch_ptr 0
		.amdhsa_user_sgpr_queue_ptr 0
		.amdhsa_user_sgpr_kernarg_segment_ptr 1
		.amdhsa_user_sgpr_dispatch_id 0
		.amdhsa_user_sgpr_kernarg_preload_length 0
		.amdhsa_user_sgpr_kernarg_preload_offset 0
		.amdhsa_user_sgpr_private_segment_size 0
		.amdhsa_uses_dynamic_stack 0
		.amdhsa_enable_private_segment 0
		.amdhsa_system_sgpr_workgroup_id_x 1
		.amdhsa_system_sgpr_workgroup_id_y 0
		.amdhsa_system_sgpr_workgroup_id_z 0
		.amdhsa_system_sgpr_workgroup_info 0
		.amdhsa_system_vgpr_workitem_id 0
		.amdhsa_next_free_vgpr 1
		.amdhsa_next_free_sgpr 0
		.amdhsa_accum_offset 4
		.amdhsa_reserve_vcc 0
		.amdhsa_float_round_mode_32 0
		.amdhsa_float_round_mode_16_64 0
		.amdhsa_float_denorm_mode_32 3
		.amdhsa_float_denorm_mode_16_64 3
		.amdhsa_dx10_clamp 1
		.amdhsa_ieee_mode 1
		.amdhsa_fp16_overflow 0
		.amdhsa_tg_split 0
		.amdhsa_exception_fp_ieee_invalid_op 0
		.amdhsa_exception_fp_denorm_src 0
		.amdhsa_exception_fp_ieee_div_zero 0
		.amdhsa_exception_fp_ieee_overflow 0
		.amdhsa_exception_fp_ieee_underflow 0
		.amdhsa_exception_fp_ieee_inexact 0
		.amdhsa_exception_int_div_zero 0
	.end_amdhsa_kernel
	.section	.text._ZN7rocprim17ROCPRIM_400000_NS6detail17trampoline_kernelINS0_14default_configENS1_38merge_sort_block_merge_config_selectorIttEEZZNS1_27merge_sort_block_merge_implIS3_N6thrust23THRUST_200600_302600_NS6detail15normal_iteratorINS8_10device_ptrItEEEESD_jNS1_19radix_merge_compareILb0ELb1EtNS0_19identity_decomposerEEEEE10hipError_tT0_T1_T2_jT3_P12ihipStream_tbPNSt15iterator_traitsISI_E10value_typeEPNSO_ISJ_E10value_typeEPSK_NS1_7vsmem_tEENKUlT_SI_SJ_SK_E_clIPtSD_S10_SD_EESH_SX_SI_SJ_SK_EUlSX_E_NS1_11comp_targetILNS1_3genE4ELNS1_11target_archE910ELNS1_3gpuE8ELNS1_3repE0EEENS1_48merge_mergepath_partition_config_static_selectorELNS0_4arch9wavefront6targetE1EEEvSJ_,"axG",@progbits,_ZN7rocprim17ROCPRIM_400000_NS6detail17trampoline_kernelINS0_14default_configENS1_38merge_sort_block_merge_config_selectorIttEEZZNS1_27merge_sort_block_merge_implIS3_N6thrust23THRUST_200600_302600_NS6detail15normal_iteratorINS8_10device_ptrItEEEESD_jNS1_19radix_merge_compareILb0ELb1EtNS0_19identity_decomposerEEEEE10hipError_tT0_T1_T2_jT3_P12ihipStream_tbPNSt15iterator_traitsISI_E10value_typeEPNSO_ISJ_E10value_typeEPSK_NS1_7vsmem_tEENKUlT_SI_SJ_SK_E_clIPtSD_S10_SD_EESH_SX_SI_SJ_SK_EUlSX_E_NS1_11comp_targetILNS1_3genE4ELNS1_11target_archE910ELNS1_3gpuE8ELNS1_3repE0EEENS1_48merge_mergepath_partition_config_static_selectorELNS0_4arch9wavefront6targetE1EEEvSJ_,comdat
.Lfunc_end902:
	.size	_ZN7rocprim17ROCPRIM_400000_NS6detail17trampoline_kernelINS0_14default_configENS1_38merge_sort_block_merge_config_selectorIttEEZZNS1_27merge_sort_block_merge_implIS3_N6thrust23THRUST_200600_302600_NS6detail15normal_iteratorINS8_10device_ptrItEEEESD_jNS1_19radix_merge_compareILb0ELb1EtNS0_19identity_decomposerEEEEE10hipError_tT0_T1_T2_jT3_P12ihipStream_tbPNSt15iterator_traitsISI_E10value_typeEPNSO_ISJ_E10value_typeEPSK_NS1_7vsmem_tEENKUlT_SI_SJ_SK_E_clIPtSD_S10_SD_EESH_SX_SI_SJ_SK_EUlSX_E_NS1_11comp_targetILNS1_3genE4ELNS1_11target_archE910ELNS1_3gpuE8ELNS1_3repE0EEENS1_48merge_mergepath_partition_config_static_selectorELNS0_4arch9wavefront6targetE1EEEvSJ_, .Lfunc_end902-_ZN7rocprim17ROCPRIM_400000_NS6detail17trampoline_kernelINS0_14default_configENS1_38merge_sort_block_merge_config_selectorIttEEZZNS1_27merge_sort_block_merge_implIS3_N6thrust23THRUST_200600_302600_NS6detail15normal_iteratorINS8_10device_ptrItEEEESD_jNS1_19radix_merge_compareILb0ELb1EtNS0_19identity_decomposerEEEEE10hipError_tT0_T1_T2_jT3_P12ihipStream_tbPNSt15iterator_traitsISI_E10value_typeEPNSO_ISJ_E10value_typeEPSK_NS1_7vsmem_tEENKUlT_SI_SJ_SK_E_clIPtSD_S10_SD_EESH_SX_SI_SJ_SK_EUlSX_E_NS1_11comp_targetILNS1_3genE4ELNS1_11target_archE910ELNS1_3gpuE8ELNS1_3repE0EEENS1_48merge_mergepath_partition_config_static_selectorELNS0_4arch9wavefront6targetE1EEEvSJ_
                                        ; -- End function
	.set _ZN7rocprim17ROCPRIM_400000_NS6detail17trampoline_kernelINS0_14default_configENS1_38merge_sort_block_merge_config_selectorIttEEZZNS1_27merge_sort_block_merge_implIS3_N6thrust23THRUST_200600_302600_NS6detail15normal_iteratorINS8_10device_ptrItEEEESD_jNS1_19radix_merge_compareILb0ELb1EtNS0_19identity_decomposerEEEEE10hipError_tT0_T1_T2_jT3_P12ihipStream_tbPNSt15iterator_traitsISI_E10value_typeEPNSO_ISJ_E10value_typeEPSK_NS1_7vsmem_tEENKUlT_SI_SJ_SK_E_clIPtSD_S10_SD_EESH_SX_SI_SJ_SK_EUlSX_E_NS1_11comp_targetILNS1_3genE4ELNS1_11target_archE910ELNS1_3gpuE8ELNS1_3repE0EEENS1_48merge_mergepath_partition_config_static_selectorELNS0_4arch9wavefront6targetE1EEEvSJ_.num_vgpr, 0
	.set _ZN7rocprim17ROCPRIM_400000_NS6detail17trampoline_kernelINS0_14default_configENS1_38merge_sort_block_merge_config_selectorIttEEZZNS1_27merge_sort_block_merge_implIS3_N6thrust23THRUST_200600_302600_NS6detail15normal_iteratorINS8_10device_ptrItEEEESD_jNS1_19radix_merge_compareILb0ELb1EtNS0_19identity_decomposerEEEEE10hipError_tT0_T1_T2_jT3_P12ihipStream_tbPNSt15iterator_traitsISI_E10value_typeEPNSO_ISJ_E10value_typeEPSK_NS1_7vsmem_tEENKUlT_SI_SJ_SK_E_clIPtSD_S10_SD_EESH_SX_SI_SJ_SK_EUlSX_E_NS1_11comp_targetILNS1_3genE4ELNS1_11target_archE910ELNS1_3gpuE8ELNS1_3repE0EEENS1_48merge_mergepath_partition_config_static_selectorELNS0_4arch9wavefront6targetE1EEEvSJ_.num_agpr, 0
	.set _ZN7rocprim17ROCPRIM_400000_NS6detail17trampoline_kernelINS0_14default_configENS1_38merge_sort_block_merge_config_selectorIttEEZZNS1_27merge_sort_block_merge_implIS3_N6thrust23THRUST_200600_302600_NS6detail15normal_iteratorINS8_10device_ptrItEEEESD_jNS1_19radix_merge_compareILb0ELb1EtNS0_19identity_decomposerEEEEE10hipError_tT0_T1_T2_jT3_P12ihipStream_tbPNSt15iterator_traitsISI_E10value_typeEPNSO_ISJ_E10value_typeEPSK_NS1_7vsmem_tEENKUlT_SI_SJ_SK_E_clIPtSD_S10_SD_EESH_SX_SI_SJ_SK_EUlSX_E_NS1_11comp_targetILNS1_3genE4ELNS1_11target_archE910ELNS1_3gpuE8ELNS1_3repE0EEENS1_48merge_mergepath_partition_config_static_selectorELNS0_4arch9wavefront6targetE1EEEvSJ_.numbered_sgpr, 0
	.set _ZN7rocprim17ROCPRIM_400000_NS6detail17trampoline_kernelINS0_14default_configENS1_38merge_sort_block_merge_config_selectorIttEEZZNS1_27merge_sort_block_merge_implIS3_N6thrust23THRUST_200600_302600_NS6detail15normal_iteratorINS8_10device_ptrItEEEESD_jNS1_19radix_merge_compareILb0ELb1EtNS0_19identity_decomposerEEEEE10hipError_tT0_T1_T2_jT3_P12ihipStream_tbPNSt15iterator_traitsISI_E10value_typeEPNSO_ISJ_E10value_typeEPSK_NS1_7vsmem_tEENKUlT_SI_SJ_SK_E_clIPtSD_S10_SD_EESH_SX_SI_SJ_SK_EUlSX_E_NS1_11comp_targetILNS1_3genE4ELNS1_11target_archE910ELNS1_3gpuE8ELNS1_3repE0EEENS1_48merge_mergepath_partition_config_static_selectorELNS0_4arch9wavefront6targetE1EEEvSJ_.num_named_barrier, 0
	.set _ZN7rocprim17ROCPRIM_400000_NS6detail17trampoline_kernelINS0_14default_configENS1_38merge_sort_block_merge_config_selectorIttEEZZNS1_27merge_sort_block_merge_implIS3_N6thrust23THRUST_200600_302600_NS6detail15normal_iteratorINS8_10device_ptrItEEEESD_jNS1_19radix_merge_compareILb0ELb1EtNS0_19identity_decomposerEEEEE10hipError_tT0_T1_T2_jT3_P12ihipStream_tbPNSt15iterator_traitsISI_E10value_typeEPNSO_ISJ_E10value_typeEPSK_NS1_7vsmem_tEENKUlT_SI_SJ_SK_E_clIPtSD_S10_SD_EESH_SX_SI_SJ_SK_EUlSX_E_NS1_11comp_targetILNS1_3genE4ELNS1_11target_archE910ELNS1_3gpuE8ELNS1_3repE0EEENS1_48merge_mergepath_partition_config_static_selectorELNS0_4arch9wavefront6targetE1EEEvSJ_.private_seg_size, 0
	.set _ZN7rocprim17ROCPRIM_400000_NS6detail17trampoline_kernelINS0_14default_configENS1_38merge_sort_block_merge_config_selectorIttEEZZNS1_27merge_sort_block_merge_implIS3_N6thrust23THRUST_200600_302600_NS6detail15normal_iteratorINS8_10device_ptrItEEEESD_jNS1_19radix_merge_compareILb0ELb1EtNS0_19identity_decomposerEEEEE10hipError_tT0_T1_T2_jT3_P12ihipStream_tbPNSt15iterator_traitsISI_E10value_typeEPNSO_ISJ_E10value_typeEPSK_NS1_7vsmem_tEENKUlT_SI_SJ_SK_E_clIPtSD_S10_SD_EESH_SX_SI_SJ_SK_EUlSX_E_NS1_11comp_targetILNS1_3genE4ELNS1_11target_archE910ELNS1_3gpuE8ELNS1_3repE0EEENS1_48merge_mergepath_partition_config_static_selectorELNS0_4arch9wavefront6targetE1EEEvSJ_.uses_vcc, 0
	.set _ZN7rocprim17ROCPRIM_400000_NS6detail17trampoline_kernelINS0_14default_configENS1_38merge_sort_block_merge_config_selectorIttEEZZNS1_27merge_sort_block_merge_implIS3_N6thrust23THRUST_200600_302600_NS6detail15normal_iteratorINS8_10device_ptrItEEEESD_jNS1_19radix_merge_compareILb0ELb1EtNS0_19identity_decomposerEEEEE10hipError_tT0_T1_T2_jT3_P12ihipStream_tbPNSt15iterator_traitsISI_E10value_typeEPNSO_ISJ_E10value_typeEPSK_NS1_7vsmem_tEENKUlT_SI_SJ_SK_E_clIPtSD_S10_SD_EESH_SX_SI_SJ_SK_EUlSX_E_NS1_11comp_targetILNS1_3genE4ELNS1_11target_archE910ELNS1_3gpuE8ELNS1_3repE0EEENS1_48merge_mergepath_partition_config_static_selectorELNS0_4arch9wavefront6targetE1EEEvSJ_.uses_flat_scratch, 0
	.set _ZN7rocprim17ROCPRIM_400000_NS6detail17trampoline_kernelINS0_14default_configENS1_38merge_sort_block_merge_config_selectorIttEEZZNS1_27merge_sort_block_merge_implIS3_N6thrust23THRUST_200600_302600_NS6detail15normal_iteratorINS8_10device_ptrItEEEESD_jNS1_19radix_merge_compareILb0ELb1EtNS0_19identity_decomposerEEEEE10hipError_tT0_T1_T2_jT3_P12ihipStream_tbPNSt15iterator_traitsISI_E10value_typeEPNSO_ISJ_E10value_typeEPSK_NS1_7vsmem_tEENKUlT_SI_SJ_SK_E_clIPtSD_S10_SD_EESH_SX_SI_SJ_SK_EUlSX_E_NS1_11comp_targetILNS1_3genE4ELNS1_11target_archE910ELNS1_3gpuE8ELNS1_3repE0EEENS1_48merge_mergepath_partition_config_static_selectorELNS0_4arch9wavefront6targetE1EEEvSJ_.has_dyn_sized_stack, 0
	.set _ZN7rocprim17ROCPRIM_400000_NS6detail17trampoline_kernelINS0_14default_configENS1_38merge_sort_block_merge_config_selectorIttEEZZNS1_27merge_sort_block_merge_implIS3_N6thrust23THRUST_200600_302600_NS6detail15normal_iteratorINS8_10device_ptrItEEEESD_jNS1_19radix_merge_compareILb0ELb1EtNS0_19identity_decomposerEEEEE10hipError_tT0_T1_T2_jT3_P12ihipStream_tbPNSt15iterator_traitsISI_E10value_typeEPNSO_ISJ_E10value_typeEPSK_NS1_7vsmem_tEENKUlT_SI_SJ_SK_E_clIPtSD_S10_SD_EESH_SX_SI_SJ_SK_EUlSX_E_NS1_11comp_targetILNS1_3genE4ELNS1_11target_archE910ELNS1_3gpuE8ELNS1_3repE0EEENS1_48merge_mergepath_partition_config_static_selectorELNS0_4arch9wavefront6targetE1EEEvSJ_.has_recursion, 0
	.set _ZN7rocprim17ROCPRIM_400000_NS6detail17trampoline_kernelINS0_14default_configENS1_38merge_sort_block_merge_config_selectorIttEEZZNS1_27merge_sort_block_merge_implIS3_N6thrust23THRUST_200600_302600_NS6detail15normal_iteratorINS8_10device_ptrItEEEESD_jNS1_19radix_merge_compareILb0ELb1EtNS0_19identity_decomposerEEEEE10hipError_tT0_T1_T2_jT3_P12ihipStream_tbPNSt15iterator_traitsISI_E10value_typeEPNSO_ISJ_E10value_typeEPSK_NS1_7vsmem_tEENKUlT_SI_SJ_SK_E_clIPtSD_S10_SD_EESH_SX_SI_SJ_SK_EUlSX_E_NS1_11comp_targetILNS1_3genE4ELNS1_11target_archE910ELNS1_3gpuE8ELNS1_3repE0EEENS1_48merge_mergepath_partition_config_static_selectorELNS0_4arch9wavefront6targetE1EEEvSJ_.has_indirect_call, 0
	.section	.AMDGPU.csdata,"",@progbits
; Kernel info:
; codeLenInByte = 0
; TotalNumSgprs: 6
; NumVgprs: 0
; NumAgprs: 0
; TotalNumVgprs: 0
; ScratchSize: 0
; MemoryBound: 0
; FloatMode: 240
; IeeeMode: 1
; LDSByteSize: 0 bytes/workgroup (compile time only)
; SGPRBlocks: 0
; VGPRBlocks: 0
; NumSGPRsForWavesPerEU: 6
; NumVGPRsForWavesPerEU: 1
; AccumOffset: 4
; Occupancy: 8
; WaveLimiterHint : 0
; COMPUTE_PGM_RSRC2:SCRATCH_EN: 0
; COMPUTE_PGM_RSRC2:USER_SGPR: 2
; COMPUTE_PGM_RSRC2:TRAP_HANDLER: 0
; COMPUTE_PGM_RSRC2:TGID_X_EN: 1
; COMPUTE_PGM_RSRC2:TGID_Y_EN: 0
; COMPUTE_PGM_RSRC2:TGID_Z_EN: 0
; COMPUTE_PGM_RSRC2:TIDIG_COMP_CNT: 0
; COMPUTE_PGM_RSRC3_GFX90A:ACCUM_OFFSET: 0
; COMPUTE_PGM_RSRC3_GFX90A:TG_SPLIT: 0
	.section	.text._ZN7rocprim17ROCPRIM_400000_NS6detail17trampoline_kernelINS0_14default_configENS1_38merge_sort_block_merge_config_selectorIttEEZZNS1_27merge_sort_block_merge_implIS3_N6thrust23THRUST_200600_302600_NS6detail15normal_iteratorINS8_10device_ptrItEEEESD_jNS1_19radix_merge_compareILb0ELb1EtNS0_19identity_decomposerEEEEE10hipError_tT0_T1_T2_jT3_P12ihipStream_tbPNSt15iterator_traitsISI_E10value_typeEPNSO_ISJ_E10value_typeEPSK_NS1_7vsmem_tEENKUlT_SI_SJ_SK_E_clIPtSD_S10_SD_EESH_SX_SI_SJ_SK_EUlSX_E_NS1_11comp_targetILNS1_3genE3ELNS1_11target_archE908ELNS1_3gpuE7ELNS1_3repE0EEENS1_48merge_mergepath_partition_config_static_selectorELNS0_4arch9wavefront6targetE1EEEvSJ_,"axG",@progbits,_ZN7rocprim17ROCPRIM_400000_NS6detail17trampoline_kernelINS0_14default_configENS1_38merge_sort_block_merge_config_selectorIttEEZZNS1_27merge_sort_block_merge_implIS3_N6thrust23THRUST_200600_302600_NS6detail15normal_iteratorINS8_10device_ptrItEEEESD_jNS1_19radix_merge_compareILb0ELb1EtNS0_19identity_decomposerEEEEE10hipError_tT0_T1_T2_jT3_P12ihipStream_tbPNSt15iterator_traitsISI_E10value_typeEPNSO_ISJ_E10value_typeEPSK_NS1_7vsmem_tEENKUlT_SI_SJ_SK_E_clIPtSD_S10_SD_EESH_SX_SI_SJ_SK_EUlSX_E_NS1_11comp_targetILNS1_3genE3ELNS1_11target_archE908ELNS1_3gpuE7ELNS1_3repE0EEENS1_48merge_mergepath_partition_config_static_selectorELNS0_4arch9wavefront6targetE1EEEvSJ_,comdat
	.protected	_ZN7rocprim17ROCPRIM_400000_NS6detail17trampoline_kernelINS0_14default_configENS1_38merge_sort_block_merge_config_selectorIttEEZZNS1_27merge_sort_block_merge_implIS3_N6thrust23THRUST_200600_302600_NS6detail15normal_iteratorINS8_10device_ptrItEEEESD_jNS1_19radix_merge_compareILb0ELb1EtNS0_19identity_decomposerEEEEE10hipError_tT0_T1_T2_jT3_P12ihipStream_tbPNSt15iterator_traitsISI_E10value_typeEPNSO_ISJ_E10value_typeEPSK_NS1_7vsmem_tEENKUlT_SI_SJ_SK_E_clIPtSD_S10_SD_EESH_SX_SI_SJ_SK_EUlSX_E_NS1_11comp_targetILNS1_3genE3ELNS1_11target_archE908ELNS1_3gpuE7ELNS1_3repE0EEENS1_48merge_mergepath_partition_config_static_selectorELNS0_4arch9wavefront6targetE1EEEvSJ_ ; -- Begin function _ZN7rocprim17ROCPRIM_400000_NS6detail17trampoline_kernelINS0_14default_configENS1_38merge_sort_block_merge_config_selectorIttEEZZNS1_27merge_sort_block_merge_implIS3_N6thrust23THRUST_200600_302600_NS6detail15normal_iteratorINS8_10device_ptrItEEEESD_jNS1_19radix_merge_compareILb0ELb1EtNS0_19identity_decomposerEEEEE10hipError_tT0_T1_T2_jT3_P12ihipStream_tbPNSt15iterator_traitsISI_E10value_typeEPNSO_ISJ_E10value_typeEPSK_NS1_7vsmem_tEENKUlT_SI_SJ_SK_E_clIPtSD_S10_SD_EESH_SX_SI_SJ_SK_EUlSX_E_NS1_11comp_targetILNS1_3genE3ELNS1_11target_archE908ELNS1_3gpuE7ELNS1_3repE0EEENS1_48merge_mergepath_partition_config_static_selectorELNS0_4arch9wavefront6targetE1EEEvSJ_
	.globl	_ZN7rocprim17ROCPRIM_400000_NS6detail17trampoline_kernelINS0_14default_configENS1_38merge_sort_block_merge_config_selectorIttEEZZNS1_27merge_sort_block_merge_implIS3_N6thrust23THRUST_200600_302600_NS6detail15normal_iteratorINS8_10device_ptrItEEEESD_jNS1_19radix_merge_compareILb0ELb1EtNS0_19identity_decomposerEEEEE10hipError_tT0_T1_T2_jT3_P12ihipStream_tbPNSt15iterator_traitsISI_E10value_typeEPNSO_ISJ_E10value_typeEPSK_NS1_7vsmem_tEENKUlT_SI_SJ_SK_E_clIPtSD_S10_SD_EESH_SX_SI_SJ_SK_EUlSX_E_NS1_11comp_targetILNS1_3genE3ELNS1_11target_archE908ELNS1_3gpuE7ELNS1_3repE0EEENS1_48merge_mergepath_partition_config_static_selectorELNS0_4arch9wavefront6targetE1EEEvSJ_
	.p2align	8
	.type	_ZN7rocprim17ROCPRIM_400000_NS6detail17trampoline_kernelINS0_14default_configENS1_38merge_sort_block_merge_config_selectorIttEEZZNS1_27merge_sort_block_merge_implIS3_N6thrust23THRUST_200600_302600_NS6detail15normal_iteratorINS8_10device_ptrItEEEESD_jNS1_19radix_merge_compareILb0ELb1EtNS0_19identity_decomposerEEEEE10hipError_tT0_T1_T2_jT3_P12ihipStream_tbPNSt15iterator_traitsISI_E10value_typeEPNSO_ISJ_E10value_typeEPSK_NS1_7vsmem_tEENKUlT_SI_SJ_SK_E_clIPtSD_S10_SD_EESH_SX_SI_SJ_SK_EUlSX_E_NS1_11comp_targetILNS1_3genE3ELNS1_11target_archE908ELNS1_3gpuE7ELNS1_3repE0EEENS1_48merge_mergepath_partition_config_static_selectorELNS0_4arch9wavefront6targetE1EEEvSJ_,@function
_ZN7rocprim17ROCPRIM_400000_NS6detail17trampoline_kernelINS0_14default_configENS1_38merge_sort_block_merge_config_selectorIttEEZZNS1_27merge_sort_block_merge_implIS3_N6thrust23THRUST_200600_302600_NS6detail15normal_iteratorINS8_10device_ptrItEEEESD_jNS1_19radix_merge_compareILb0ELb1EtNS0_19identity_decomposerEEEEE10hipError_tT0_T1_T2_jT3_P12ihipStream_tbPNSt15iterator_traitsISI_E10value_typeEPNSO_ISJ_E10value_typeEPSK_NS1_7vsmem_tEENKUlT_SI_SJ_SK_E_clIPtSD_S10_SD_EESH_SX_SI_SJ_SK_EUlSX_E_NS1_11comp_targetILNS1_3genE3ELNS1_11target_archE908ELNS1_3gpuE7ELNS1_3repE0EEENS1_48merge_mergepath_partition_config_static_selectorELNS0_4arch9wavefront6targetE1EEEvSJ_: ; @_ZN7rocprim17ROCPRIM_400000_NS6detail17trampoline_kernelINS0_14default_configENS1_38merge_sort_block_merge_config_selectorIttEEZZNS1_27merge_sort_block_merge_implIS3_N6thrust23THRUST_200600_302600_NS6detail15normal_iteratorINS8_10device_ptrItEEEESD_jNS1_19radix_merge_compareILb0ELb1EtNS0_19identity_decomposerEEEEE10hipError_tT0_T1_T2_jT3_P12ihipStream_tbPNSt15iterator_traitsISI_E10value_typeEPNSO_ISJ_E10value_typeEPSK_NS1_7vsmem_tEENKUlT_SI_SJ_SK_E_clIPtSD_S10_SD_EESH_SX_SI_SJ_SK_EUlSX_E_NS1_11comp_targetILNS1_3genE3ELNS1_11target_archE908ELNS1_3gpuE7ELNS1_3repE0EEENS1_48merge_mergepath_partition_config_static_selectorELNS0_4arch9wavefront6targetE1EEEvSJ_
; %bb.0:
	.section	.rodata,"a",@progbits
	.p2align	6, 0x0
	.amdhsa_kernel _ZN7rocprim17ROCPRIM_400000_NS6detail17trampoline_kernelINS0_14default_configENS1_38merge_sort_block_merge_config_selectorIttEEZZNS1_27merge_sort_block_merge_implIS3_N6thrust23THRUST_200600_302600_NS6detail15normal_iteratorINS8_10device_ptrItEEEESD_jNS1_19radix_merge_compareILb0ELb1EtNS0_19identity_decomposerEEEEE10hipError_tT0_T1_T2_jT3_P12ihipStream_tbPNSt15iterator_traitsISI_E10value_typeEPNSO_ISJ_E10value_typeEPSK_NS1_7vsmem_tEENKUlT_SI_SJ_SK_E_clIPtSD_S10_SD_EESH_SX_SI_SJ_SK_EUlSX_E_NS1_11comp_targetILNS1_3genE3ELNS1_11target_archE908ELNS1_3gpuE7ELNS1_3repE0EEENS1_48merge_mergepath_partition_config_static_selectorELNS0_4arch9wavefront6targetE1EEEvSJ_
		.amdhsa_group_segment_fixed_size 0
		.amdhsa_private_segment_fixed_size 0
		.amdhsa_kernarg_size 40
		.amdhsa_user_sgpr_count 2
		.amdhsa_user_sgpr_dispatch_ptr 0
		.amdhsa_user_sgpr_queue_ptr 0
		.amdhsa_user_sgpr_kernarg_segment_ptr 1
		.amdhsa_user_sgpr_dispatch_id 0
		.amdhsa_user_sgpr_kernarg_preload_length 0
		.amdhsa_user_sgpr_kernarg_preload_offset 0
		.amdhsa_user_sgpr_private_segment_size 0
		.amdhsa_uses_dynamic_stack 0
		.amdhsa_enable_private_segment 0
		.amdhsa_system_sgpr_workgroup_id_x 1
		.amdhsa_system_sgpr_workgroup_id_y 0
		.amdhsa_system_sgpr_workgroup_id_z 0
		.amdhsa_system_sgpr_workgroup_info 0
		.amdhsa_system_vgpr_workitem_id 0
		.amdhsa_next_free_vgpr 1
		.amdhsa_next_free_sgpr 0
		.amdhsa_accum_offset 4
		.amdhsa_reserve_vcc 0
		.amdhsa_float_round_mode_32 0
		.amdhsa_float_round_mode_16_64 0
		.amdhsa_float_denorm_mode_32 3
		.amdhsa_float_denorm_mode_16_64 3
		.amdhsa_dx10_clamp 1
		.amdhsa_ieee_mode 1
		.amdhsa_fp16_overflow 0
		.amdhsa_tg_split 0
		.amdhsa_exception_fp_ieee_invalid_op 0
		.amdhsa_exception_fp_denorm_src 0
		.amdhsa_exception_fp_ieee_div_zero 0
		.amdhsa_exception_fp_ieee_overflow 0
		.amdhsa_exception_fp_ieee_underflow 0
		.amdhsa_exception_fp_ieee_inexact 0
		.amdhsa_exception_int_div_zero 0
	.end_amdhsa_kernel
	.section	.text._ZN7rocprim17ROCPRIM_400000_NS6detail17trampoline_kernelINS0_14default_configENS1_38merge_sort_block_merge_config_selectorIttEEZZNS1_27merge_sort_block_merge_implIS3_N6thrust23THRUST_200600_302600_NS6detail15normal_iteratorINS8_10device_ptrItEEEESD_jNS1_19radix_merge_compareILb0ELb1EtNS0_19identity_decomposerEEEEE10hipError_tT0_T1_T2_jT3_P12ihipStream_tbPNSt15iterator_traitsISI_E10value_typeEPNSO_ISJ_E10value_typeEPSK_NS1_7vsmem_tEENKUlT_SI_SJ_SK_E_clIPtSD_S10_SD_EESH_SX_SI_SJ_SK_EUlSX_E_NS1_11comp_targetILNS1_3genE3ELNS1_11target_archE908ELNS1_3gpuE7ELNS1_3repE0EEENS1_48merge_mergepath_partition_config_static_selectorELNS0_4arch9wavefront6targetE1EEEvSJ_,"axG",@progbits,_ZN7rocprim17ROCPRIM_400000_NS6detail17trampoline_kernelINS0_14default_configENS1_38merge_sort_block_merge_config_selectorIttEEZZNS1_27merge_sort_block_merge_implIS3_N6thrust23THRUST_200600_302600_NS6detail15normal_iteratorINS8_10device_ptrItEEEESD_jNS1_19radix_merge_compareILb0ELb1EtNS0_19identity_decomposerEEEEE10hipError_tT0_T1_T2_jT3_P12ihipStream_tbPNSt15iterator_traitsISI_E10value_typeEPNSO_ISJ_E10value_typeEPSK_NS1_7vsmem_tEENKUlT_SI_SJ_SK_E_clIPtSD_S10_SD_EESH_SX_SI_SJ_SK_EUlSX_E_NS1_11comp_targetILNS1_3genE3ELNS1_11target_archE908ELNS1_3gpuE7ELNS1_3repE0EEENS1_48merge_mergepath_partition_config_static_selectorELNS0_4arch9wavefront6targetE1EEEvSJ_,comdat
.Lfunc_end903:
	.size	_ZN7rocprim17ROCPRIM_400000_NS6detail17trampoline_kernelINS0_14default_configENS1_38merge_sort_block_merge_config_selectorIttEEZZNS1_27merge_sort_block_merge_implIS3_N6thrust23THRUST_200600_302600_NS6detail15normal_iteratorINS8_10device_ptrItEEEESD_jNS1_19radix_merge_compareILb0ELb1EtNS0_19identity_decomposerEEEEE10hipError_tT0_T1_T2_jT3_P12ihipStream_tbPNSt15iterator_traitsISI_E10value_typeEPNSO_ISJ_E10value_typeEPSK_NS1_7vsmem_tEENKUlT_SI_SJ_SK_E_clIPtSD_S10_SD_EESH_SX_SI_SJ_SK_EUlSX_E_NS1_11comp_targetILNS1_3genE3ELNS1_11target_archE908ELNS1_3gpuE7ELNS1_3repE0EEENS1_48merge_mergepath_partition_config_static_selectorELNS0_4arch9wavefront6targetE1EEEvSJ_, .Lfunc_end903-_ZN7rocprim17ROCPRIM_400000_NS6detail17trampoline_kernelINS0_14default_configENS1_38merge_sort_block_merge_config_selectorIttEEZZNS1_27merge_sort_block_merge_implIS3_N6thrust23THRUST_200600_302600_NS6detail15normal_iteratorINS8_10device_ptrItEEEESD_jNS1_19radix_merge_compareILb0ELb1EtNS0_19identity_decomposerEEEEE10hipError_tT0_T1_T2_jT3_P12ihipStream_tbPNSt15iterator_traitsISI_E10value_typeEPNSO_ISJ_E10value_typeEPSK_NS1_7vsmem_tEENKUlT_SI_SJ_SK_E_clIPtSD_S10_SD_EESH_SX_SI_SJ_SK_EUlSX_E_NS1_11comp_targetILNS1_3genE3ELNS1_11target_archE908ELNS1_3gpuE7ELNS1_3repE0EEENS1_48merge_mergepath_partition_config_static_selectorELNS0_4arch9wavefront6targetE1EEEvSJ_
                                        ; -- End function
	.set _ZN7rocprim17ROCPRIM_400000_NS6detail17trampoline_kernelINS0_14default_configENS1_38merge_sort_block_merge_config_selectorIttEEZZNS1_27merge_sort_block_merge_implIS3_N6thrust23THRUST_200600_302600_NS6detail15normal_iteratorINS8_10device_ptrItEEEESD_jNS1_19radix_merge_compareILb0ELb1EtNS0_19identity_decomposerEEEEE10hipError_tT0_T1_T2_jT3_P12ihipStream_tbPNSt15iterator_traitsISI_E10value_typeEPNSO_ISJ_E10value_typeEPSK_NS1_7vsmem_tEENKUlT_SI_SJ_SK_E_clIPtSD_S10_SD_EESH_SX_SI_SJ_SK_EUlSX_E_NS1_11comp_targetILNS1_3genE3ELNS1_11target_archE908ELNS1_3gpuE7ELNS1_3repE0EEENS1_48merge_mergepath_partition_config_static_selectorELNS0_4arch9wavefront6targetE1EEEvSJ_.num_vgpr, 0
	.set _ZN7rocprim17ROCPRIM_400000_NS6detail17trampoline_kernelINS0_14default_configENS1_38merge_sort_block_merge_config_selectorIttEEZZNS1_27merge_sort_block_merge_implIS3_N6thrust23THRUST_200600_302600_NS6detail15normal_iteratorINS8_10device_ptrItEEEESD_jNS1_19radix_merge_compareILb0ELb1EtNS0_19identity_decomposerEEEEE10hipError_tT0_T1_T2_jT3_P12ihipStream_tbPNSt15iterator_traitsISI_E10value_typeEPNSO_ISJ_E10value_typeEPSK_NS1_7vsmem_tEENKUlT_SI_SJ_SK_E_clIPtSD_S10_SD_EESH_SX_SI_SJ_SK_EUlSX_E_NS1_11comp_targetILNS1_3genE3ELNS1_11target_archE908ELNS1_3gpuE7ELNS1_3repE0EEENS1_48merge_mergepath_partition_config_static_selectorELNS0_4arch9wavefront6targetE1EEEvSJ_.num_agpr, 0
	.set _ZN7rocprim17ROCPRIM_400000_NS6detail17trampoline_kernelINS0_14default_configENS1_38merge_sort_block_merge_config_selectorIttEEZZNS1_27merge_sort_block_merge_implIS3_N6thrust23THRUST_200600_302600_NS6detail15normal_iteratorINS8_10device_ptrItEEEESD_jNS1_19radix_merge_compareILb0ELb1EtNS0_19identity_decomposerEEEEE10hipError_tT0_T1_T2_jT3_P12ihipStream_tbPNSt15iterator_traitsISI_E10value_typeEPNSO_ISJ_E10value_typeEPSK_NS1_7vsmem_tEENKUlT_SI_SJ_SK_E_clIPtSD_S10_SD_EESH_SX_SI_SJ_SK_EUlSX_E_NS1_11comp_targetILNS1_3genE3ELNS1_11target_archE908ELNS1_3gpuE7ELNS1_3repE0EEENS1_48merge_mergepath_partition_config_static_selectorELNS0_4arch9wavefront6targetE1EEEvSJ_.numbered_sgpr, 0
	.set _ZN7rocprim17ROCPRIM_400000_NS6detail17trampoline_kernelINS0_14default_configENS1_38merge_sort_block_merge_config_selectorIttEEZZNS1_27merge_sort_block_merge_implIS3_N6thrust23THRUST_200600_302600_NS6detail15normal_iteratorINS8_10device_ptrItEEEESD_jNS1_19radix_merge_compareILb0ELb1EtNS0_19identity_decomposerEEEEE10hipError_tT0_T1_T2_jT3_P12ihipStream_tbPNSt15iterator_traitsISI_E10value_typeEPNSO_ISJ_E10value_typeEPSK_NS1_7vsmem_tEENKUlT_SI_SJ_SK_E_clIPtSD_S10_SD_EESH_SX_SI_SJ_SK_EUlSX_E_NS1_11comp_targetILNS1_3genE3ELNS1_11target_archE908ELNS1_3gpuE7ELNS1_3repE0EEENS1_48merge_mergepath_partition_config_static_selectorELNS0_4arch9wavefront6targetE1EEEvSJ_.num_named_barrier, 0
	.set _ZN7rocprim17ROCPRIM_400000_NS6detail17trampoline_kernelINS0_14default_configENS1_38merge_sort_block_merge_config_selectorIttEEZZNS1_27merge_sort_block_merge_implIS3_N6thrust23THRUST_200600_302600_NS6detail15normal_iteratorINS8_10device_ptrItEEEESD_jNS1_19radix_merge_compareILb0ELb1EtNS0_19identity_decomposerEEEEE10hipError_tT0_T1_T2_jT3_P12ihipStream_tbPNSt15iterator_traitsISI_E10value_typeEPNSO_ISJ_E10value_typeEPSK_NS1_7vsmem_tEENKUlT_SI_SJ_SK_E_clIPtSD_S10_SD_EESH_SX_SI_SJ_SK_EUlSX_E_NS1_11comp_targetILNS1_3genE3ELNS1_11target_archE908ELNS1_3gpuE7ELNS1_3repE0EEENS1_48merge_mergepath_partition_config_static_selectorELNS0_4arch9wavefront6targetE1EEEvSJ_.private_seg_size, 0
	.set _ZN7rocprim17ROCPRIM_400000_NS6detail17trampoline_kernelINS0_14default_configENS1_38merge_sort_block_merge_config_selectorIttEEZZNS1_27merge_sort_block_merge_implIS3_N6thrust23THRUST_200600_302600_NS6detail15normal_iteratorINS8_10device_ptrItEEEESD_jNS1_19radix_merge_compareILb0ELb1EtNS0_19identity_decomposerEEEEE10hipError_tT0_T1_T2_jT3_P12ihipStream_tbPNSt15iterator_traitsISI_E10value_typeEPNSO_ISJ_E10value_typeEPSK_NS1_7vsmem_tEENKUlT_SI_SJ_SK_E_clIPtSD_S10_SD_EESH_SX_SI_SJ_SK_EUlSX_E_NS1_11comp_targetILNS1_3genE3ELNS1_11target_archE908ELNS1_3gpuE7ELNS1_3repE0EEENS1_48merge_mergepath_partition_config_static_selectorELNS0_4arch9wavefront6targetE1EEEvSJ_.uses_vcc, 0
	.set _ZN7rocprim17ROCPRIM_400000_NS6detail17trampoline_kernelINS0_14default_configENS1_38merge_sort_block_merge_config_selectorIttEEZZNS1_27merge_sort_block_merge_implIS3_N6thrust23THRUST_200600_302600_NS6detail15normal_iteratorINS8_10device_ptrItEEEESD_jNS1_19radix_merge_compareILb0ELb1EtNS0_19identity_decomposerEEEEE10hipError_tT0_T1_T2_jT3_P12ihipStream_tbPNSt15iterator_traitsISI_E10value_typeEPNSO_ISJ_E10value_typeEPSK_NS1_7vsmem_tEENKUlT_SI_SJ_SK_E_clIPtSD_S10_SD_EESH_SX_SI_SJ_SK_EUlSX_E_NS1_11comp_targetILNS1_3genE3ELNS1_11target_archE908ELNS1_3gpuE7ELNS1_3repE0EEENS1_48merge_mergepath_partition_config_static_selectorELNS0_4arch9wavefront6targetE1EEEvSJ_.uses_flat_scratch, 0
	.set _ZN7rocprim17ROCPRIM_400000_NS6detail17trampoline_kernelINS0_14default_configENS1_38merge_sort_block_merge_config_selectorIttEEZZNS1_27merge_sort_block_merge_implIS3_N6thrust23THRUST_200600_302600_NS6detail15normal_iteratorINS8_10device_ptrItEEEESD_jNS1_19radix_merge_compareILb0ELb1EtNS0_19identity_decomposerEEEEE10hipError_tT0_T1_T2_jT3_P12ihipStream_tbPNSt15iterator_traitsISI_E10value_typeEPNSO_ISJ_E10value_typeEPSK_NS1_7vsmem_tEENKUlT_SI_SJ_SK_E_clIPtSD_S10_SD_EESH_SX_SI_SJ_SK_EUlSX_E_NS1_11comp_targetILNS1_3genE3ELNS1_11target_archE908ELNS1_3gpuE7ELNS1_3repE0EEENS1_48merge_mergepath_partition_config_static_selectorELNS0_4arch9wavefront6targetE1EEEvSJ_.has_dyn_sized_stack, 0
	.set _ZN7rocprim17ROCPRIM_400000_NS6detail17trampoline_kernelINS0_14default_configENS1_38merge_sort_block_merge_config_selectorIttEEZZNS1_27merge_sort_block_merge_implIS3_N6thrust23THRUST_200600_302600_NS6detail15normal_iteratorINS8_10device_ptrItEEEESD_jNS1_19radix_merge_compareILb0ELb1EtNS0_19identity_decomposerEEEEE10hipError_tT0_T1_T2_jT3_P12ihipStream_tbPNSt15iterator_traitsISI_E10value_typeEPNSO_ISJ_E10value_typeEPSK_NS1_7vsmem_tEENKUlT_SI_SJ_SK_E_clIPtSD_S10_SD_EESH_SX_SI_SJ_SK_EUlSX_E_NS1_11comp_targetILNS1_3genE3ELNS1_11target_archE908ELNS1_3gpuE7ELNS1_3repE0EEENS1_48merge_mergepath_partition_config_static_selectorELNS0_4arch9wavefront6targetE1EEEvSJ_.has_recursion, 0
	.set _ZN7rocprim17ROCPRIM_400000_NS6detail17trampoline_kernelINS0_14default_configENS1_38merge_sort_block_merge_config_selectorIttEEZZNS1_27merge_sort_block_merge_implIS3_N6thrust23THRUST_200600_302600_NS6detail15normal_iteratorINS8_10device_ptrItEEEESD_jNS1_19radix_merge_compareILb0ELb1EtNS0_19identity_decomposerEEEEE10hipError_tT0_T1_T2_jT3_P12ihipStream_tbPNSt15iterator_traitsISI_E10value_typeEPNSO_ISJ_E10value_typeEPSK_NS1_7vsmem_tEENKUlT_SI_SJ_SK_E_clIPtSD_S10_SD_EESH_SX_SI_SJ_SK_EUlSX_E_NS1_11comp_targetILNS1_3genE3ELNS1_11target_archE908ELNS1_3gpuE7ELNS1_3repE0EEENS1_48merge_mergepath_partition_config_static_selectorELNS0_4arch9wavefront6targetE1EEEvSJ_.has_indirect_call, 0
	.section	.AMDGPU.csdata,"",@progbits
; Kernel info:
; codeLenInByte = 0
; TotalNumSgprs: 6
; NumVgprs: 0
; NumAgprs: 0
; TotalNumVgprs: 0
; ScratchSize: 0
; MemoryBound: 0
; FloatMode: 240
; IeeeMode: 1
; LDSByteSize: 0 bytes/workgroup (compile time only)
; SGPRBlocks: 0
; VGPRBlocks: 0
; NumSGPRsForWavesPerEU: 6
; NumVGPRsForWavesPerEU: 1
; AccumOffset: 4
; Occupancy: 8
; WaveLimiterHint : 0
; COMPUTE_PGM_RSRC2:SCRATCH_EN: 0
; COMPUTE_PGM_RSRC2:USER_SGPR: 2
; COMPUTE_PGM_RSRC2:TRAP_HANDLER: 0
; COMPUTE_PGM_RSRC2:TGID_X_EN: 1
; COMPUTE_PGM_RSRC2:TGID_Y_EN: 0
; COMPUTE_PGM_RSRC2:TGID_Z_EN: 0
; COMPUTE_PGM_RSRC2:TIDIG_COMP_CNT: 0
; COMPUTE_PGM_RSRC3_GFX90A:ACCUM_OFFSET: 0
; COMPUTE_PGM_RSRC3_GFX90A:TG_SPLIT: 0
	.section	.text._ZN7rocprim17ROCPRIM_400000_NS6detail17trampoline_kernelINS0_14default_configENS1_38merge_sort_block_merge_config_selectorIttEEZZNS1_27merge_sort_block_merge_implIS3_N6thrust23THRUST_200600_302600_NS6detail15normal_iteratorINS8_10device_ptrItEEEESD_jNS1_19radix_merge_compareILb0ELb1EtNS0_19identity_decomposerEEEEE10hipError_tT0_T1_T2_jT3_P12ihipStream_tbPNSt15iterator_traitsISI_E10value_typeEPNSO_ISJ_E10value_typeEPSK_NS1_7vsmem_tEENKUlT_SI_SJ_SK_E_clIPtSD_S10_SD_EESH_SX_SI_SJ_SK_EUlSX_E_NS1_11comp_targetILNS1_3genE2ELNS1_11target_archE906ELNS1_3gpuE6ELNS1_3repE0EEENS1_48merge_mergepath_partition_config_static_selectorELNS0_4arch9wavefront6targetE1EEEvSJ_,"axG",@progbits,_ZN7rocprim17ROCPRIM_400000_NS6detail17trampoline_kernelINS0_14default_configENS1_38merge_sort_block_merge_config_selectorIttEEZZNS1_27merge_sort_block_merge_implIS3_N6thrust23THRUST_200600_302600_NS6detail15normal_iteratorINS8_10device_ptrItEEEESD_jNS1_19radix_merge_compareILb0ELb1EtNS0_19identity_decomposerEEEEE10hipError_tT0_T1_T2_jT3_P12ihipStream_tbPNSt15iterator_traitsISI_E10value_typeEPNSO_ISJ_E10value_typeEPSK_NS1_7vsmem_tEENKUlT_SI_SJ_SK_E_clIPtSD_S10_SD_EESH_SX_SI_SJ_SK_EUlSX_E_NS1_11comp_targetILNS1_3genE2ELNS1_11target_archE906ELNS1_3gpuE6ELNS1_3repE0EEENS1_48merge_mergepath_partition_config_static_selectorELNS0_4arch9wavefront6targetE1EEEvSJ_,comdat
	.protected	_ZN7rocprim17ROCPRIM_400000_NS6detail17trampoline_kernelINS0_14default_configENS1_38merge_sort_block_merge_config_selectorIttEEZZNS1_27merge_sort_block_merge_implIS3_N6thrust23THRUST_200600_302600_NS6detail15normal_iteratorINS8_10device_ptrItEEEESD_jNS1_19radix_merge_compareILb0ELb1EtNS0_19identity_decomposerEEEEE10hipError_tT0_T1_T2_jT3_P12ihipStream_tbPNSt15iterator_traitsISI_E10value_typeEPNSO_ISJ_E10value_typeEPSK_NS1_7vsmem_tEENKUlT_SI_SJ_SK_E_clIPtSD_S10_SD_EESH_SX_SI_SJ_SK_EUlSX_E_NS1_11comp_targetILNS1_3genE2ELNS1_11target_archE906ELNS1_3gpuE6ELNS1_3repE0EEENS1_48merge_mergepath_partition_config_static_selectorELNS0_4arch9wavefront6targetE1EEEvSJ_ ; -- Begin function _ZN7rocprim17ROCPRIM_400000_NS6detail17trampoline_kernelINS0_14default_configENS1_38merge_sort_block_merge_config_selectorIttEEZZNS1_27merge_sort_block_merge_implIS3_N6thrust23THRUST_200600_302600_NS6detail15normal_iteratorINS8_10device_ptrItEEEESD_jNS1_19radix_merge_compareILb0ELb1EtNS0_19identity_decomposerEEEEE10hipError_tT0_T1_T2_jT3_P12ihipStream_tbPNSt15iterator_traitsISI_E10value_typeEPNSO_ISJ_E10value_typeEPSK_NS1_7vsmem_tEENKUlT_SI_SJ_SK_E_clIPtSD_S10_SD_EESH_SX_SI_SJ_SK_EUlSX_E_NS1_11comp_targetILNS1_3genE2ELNS1_11target_archE906ELNS1_3gpuE6ELNS1_3repE0EEENS1_48merge_mergepath_partition_config_static_selectorELNS0_4arch9wavefront6targetE1EEEvSJ_
	.globl	_ZN7rocprim17ROCPRIM_400000_NS6detail17trampoline_kernelINS0_14default_configENS1_38merge_sort_block_merge_config_selectorIttEEZZNS1_27merge_sort_block_merge_implIS3_N6thrust23THRUST_200600_302600_NS6detail15normal_iteratorINS8_10device_ptrItEEEESD_jNS1_19radix_merge_compareILb0ELb1EtNS0_19identity_decomposerEEEEE10hipError_tT0_T1_T2_jT3_P12ihipStream_tbPNSt15iterator_traitsISI_E10value_typeEPNSO_ISJ_E10value_typeEPSK_NS1_7vsmem_tEENKUlT_SI_SJ_SK_E_clIPtSD_S10_SD_EESH_SX_SI_SJ_SK_EUlSX_E_NS1_11comp_targetILNS1_3genE2ELNS1_11target_archE906ELNS1_3gpuE6ELNS1_3repE0EEENS1_48merge_mergepath_partition_config_static_selectorELNS0_4arch9wavefront6targetE1EEEvSJ_
	.p2align	8
	.type	_ZN7rocprim17ROCPRIM_400000_NS6detail17trampoline_kernelINS0_14default_configENS1_38merge_sort_block_merge_config_selectorIttEEZZNS1_27merge_sort_block_merge_implIS3_N6thrust23THRUST_200600_302600_NS6detail15normal_iteratorINS8_10device_ptrItEEEESD_jNS1_19radix_merge_compareILb0ELb1EtNS0_19identity_decomposerEEEEE10hipError_tT0_T1_T2_jT3_P12ihipStream_tbPNSt15iterator_traitsISI_E10value_typeEPNSO_ISJ_E10value_typeEPSK_NS1_7vsmem_tEENKUlT_SI_SJ_SK_E_clIPtSD_S10_SD_EESH_SX_SI_SJ_SK_EUlSX_E_NS1_11comp_targetILNS1_3genE2ELNS1_11target_archE906ELNS1_3gpuE6ELNS1_3repE0EEENS1_48merge_mergepath_partition_config_static_selectorELNS0_4arch9wavefront6targetE1EEEvSJ_,@function
_ZN7rocprim17ROCPRIM_400000_NS6detail17trampoline_kernelINS0_14default_configENS1_38merge_sort_block_merge_config_selectorIttEEZZNS1_27merge_sort_block_merge_implIS3_N6thrust23THRUST_200600_302600_NS6detail15normal_iteratorINS8_10device_ptrItEEEESD_jNS1_19radix_merge_compareILb0ELb1EtNS0_19identity_decomposerEEEEE10hipError_tT0_T1_T2_jT3_P12ihipStream_tbPNSt15iterator_traitsISI_E10value_typeEPNSO_ISJ_E10value_typeEPSK_NS1_7vsmem_tEENKUlT_SI_SJ_SK_E_clIPtSD_S10_SD_EESH_SX_SI_SJ_SK_EUlSX_E_NS1_11comp_targetILNS1_3genE2ELNS1_11target_archE906ELNS1_3gpuE6ELNS1_3repE0EEENS1_48merge_mergepath_partition_config_static_selectorELNS0_4arch9wavefront6targetE1EEEvSJ_: ; @_ZN7rocprim17ROCPRIM_400000_NS6detail17trampoline_kernelINS0_14default_configENS1_38merge_sort_block_merge_config_selectorIttEEZZNS1_27merge_sort_block_merge_implIS3_N6thrust23THRUST_200600_302600_NS6detail15normal_iteratorINS8_10device_ptrItEEEESD_jNS1_19radix_merge_compareILb0ELb1EtNS0_19identity_decomposerEEEEE10hipError_tT0_T1_T2_jT3_P12ihipStream_tbPNSt15iterator_traitsISI_E10value_typeEPNSO_ISJ_E10value_typeEPSK_NS1_7vsmem_tEENKUlT_SI_SJ_SK_E_clIPtSD_S10_SD_EESH_SX_SI_SJ_SK_EUlSX_E_NS1_11comp_targetILNS1_3genE2ELNS1_11target_archE906ELNS1_3gpuE6ELNS1_3repE0EEENS1_48merge_mergepath_partition_config_static_selectorELNS0_4arch9wavefront6targetE1EEEvSJ_
; %bb.0:
	.section	.rodata,"a",@progbits
	.p2align	6, 0x0
	.amdhsa_kernel _ZN7rocprim17ROCPRIM_400000_NS6detail17trampoline_kernelINS0_14default_configENS1_38merge_sort_block_merge_config_selectorIttEEZZNS1_27merge_sort_block_merge_implIS3_N6thrust23THRUST_200600_302600_NS6detail15normal_iteratorINS8_10device_ptrItEEEESD_jNS1_19radix_merge_compareILb0ELb1EtNS0_19identity_decomposerEEEEE10hipError_tT0_T1_T2_jT3_P12ihipStream_tbPNSt15iterator_traitsISI_E10value_typeEPNSO_ISJ_E10value_typeEPSK_NS1_7vsmem_tEENKUlT_SI_SJ_SK_E_clIPtSD_S10_SD_EESH_SX_SI_SJ_SK_EUlSX_E_NS1_11comp_targetILNS1_3genE2ELNS1_11target_archE906ELNS1_3gpuE6ELNS1_3repE0EEENS1_48merge_mergepath_partition_config_static_selectorELNS0_4arch9wavefront6targetE1EEEvSJ_
		.amdhsa_group_segment_fixed_size 0
		.amdhsa_private_segment_fixed_size 0
		.amdhsa_kernarg_size 40
		.amdhsa_user_sgpr_count 2
		.amdhsa_user_sgpr_dispatch_ptr 0
		.amdhsa_user_sgpr_queue_ptr 0
		.amdhsa_user_sgpr_kernarg_segment_ptr 1
		.amdhsa_user_sgpr_dispatch_id 0
		.amdhsa_user_sgpr_kernarg_preload_length 0
		.amdhsa_user_sgpr_kernarg_preload_offset 0
		.amdhsa_user_sgpr_private_segment_size 0
		.amdhsa_uses_dynamic_stack 0
		.amdhsa_enable_private_segment 0
		.amdhsa_system_sgpr_workgroup_id_x 1
		.amdhsa_system_sgpr_workgroup_id_y 0
		.amdhsa_system_sgpr_workgroup_id_z 0
		.amdhsa_system_sgpr_workgroup_info 0
		.amdhsa_system_vgpr_workitem_id 0
		.amdhsa_next_free_vgpr 1
		.amdhsa_next_free_sgpr 0
		.amdhsa_accum_offset 4
		.amdhsa_reserve_vcc 0
		.amdhsa_float_round_mode_32 0
		.amdhsa_float_round_mode_16_64 0
		.amdhsa_float_denorm_mode_32 3
		.amdhsa_float_denorm_mode_16_64 3
		.amdhsa_dx10_clamp 1
		.amdhsa_ieee_mode 1
		.amdhsa_fp16_overflow 0
		.amdhsa_tg_split 0
		.amdhsa_exception_fp_ieee_invalid_op 0
		.amdhsa_exception_fp_denorm_src 0
		.amdhsa_exception_fp_ieee_div_zero 0
		.amdhsa_exception_fp_ieee_overflow 0
		.amdhsa_exception_fp_ieee_underflow 0
		.amdhsa_exception_fp_ieee_inexact 0
		.amdhsa_exception_int_div_zero 0
	.end_amdhsa_kernel
	.section	.text._ZN7rocprim17ROCPRIM_400000_NS6detail17trampoline_kernelINS0_14default_configENS1_38merge_sort_block_merge_config_selectorIttEEZZNS1_27merge_sort_block_merge_implIS3_N6thrust23THRUST_200600_302600_NS6detail15normal_iteratorINS8_10device_ptrItEEEESD_jNS1_19radix_merge_compareILb0ELb1EtNS0_19identity_decomposerEEEEE10hipError_tT0_T1_T2_jT3_P12ihipStream_tbPNSt15iterator_traitsISI_E10value_typeEPNSO_ISJ_E10value_typeEPSK_NS1_7vsmem_tEENKUlT_SI_SJ_SK_E_clIPtSD_S10_SD_EESH_SX_SI_SJ_SK_EUlSX_E_NS1_11comp_targetILNS1_3genE2ELNS1_11target_archE906ELNS1_3gpuE6ELNS1_3repE0EEENS1_48merge_mergepath_partition_config_static_selectorELNS0_4arch9wavefront6targetE1EEEvSJ_,"axG",@progbits,_ZN7rocprim17ROCPRIM_400000_NS6detail17trampoline_kernelINS0_14default_configENS1_38merge_sort_block_merge_config_selectorIttEEZZNS1_27merge_sort_block_merge_implIS3_N6thrust23THRUST_200600_302600_NS6detail15normal_iteratorINS8_10device_ptrItEEEESD_jNS1_19radix_merge_compareILb0ELb1EtNS0_19identity_decomposerEEEEE10hipError_tT0_T1_T2_jT3_P12ihipStream_tbPNSt15iterator_traitsISI_E10value_typeEPNSO_ISJ_E10value_typeEPSK_NS1_7vsmem_tEENKUlT_SI_SJ_SK_E_clIPtSD_S10_SD_EESH_SX_SI_SJ_SK_EUlSX_E_NS1_11comp_targetILNS1_3genE2ELNS1_11target_archE906ELNS1_3gpuE6ELNS1_3repE0EEENS1_48merge_mergepath_partition_config_static_selectorELNS0_4arch9wavefront6targetE1EEEvSJ_,comdat
.Lfunc_end904:
	.size	_ZN7rocprim17ROCPRIM_400000_NS6detail17trampoline_kernelINS0_14default_configENS1_38merge_sort_block_merge_config_selectorIttEEZZNS1_27merge_sort_block_merge_implIS3_N6thrust23THRUST_200600_302600_NS6detail15normal_iteratorINS8_10device_ptrItEEEESD_jNS1_19radix_merge_compareILb0ELb1EtNS0_19identity_decomposerEEEEE10hipError_tT0_T1_T2_jT3_P12ihipStream_tbPNSt15iterator_traitsISI_E10value_typeEPNSO_ISJ_E10value_typeEPSK_NS1_7vsmem_tEENKUlT_SI_SJ_SK_E_clIPtSD_S10_SD_EESH_SX_SI_SJ_SK_EUlSX_E_NS1_11comp_targetILNS1_3genE2ELNS1_11target_archE906ELNS1_3gpuE6ELNS1_3repE0EEENS1_48merge_mergepath_partition_config_static_selectorELNS0_4arch9wavefront6targetE1EEEvSJ_, .Lfunc_end904-_ZN7rocprim17ROCPRIM_400000_NS6detail17trampoline_kernelINS0_14default_configENS1_38merge_sort_block_merge_config_selectorIttEEZZNS1_27merge_sort_block_merge_implIS3_N6thrust23THRUST_200600_302600_NS6detail15normal_iteratorINS8_10device_ptrItEEEESD_jNS1_19radix_merge_compareILb0ELb1EtNS0_19identity_decomposerEEEEE10hipError_tT0_T1_T2_jT3_P12ihipStream_tbPNSt15iterator_traitsISI_E10value_typeEPNSO_ISJ_E10value_typeEPSK_NS1_7vsmem_tEENKUlT_SI_SJ_SK_E_clIPtSD_S10_SD_EESH_SX_SI_SJ_SK_EUlSX_E_NS1_11comp_targetILNS1_3genE2ELNS1_11target_archE906ELNS1_3gpuE6ELNS1_3repE0EEENS1_48merge_mergepath_partition_config_static_selectorELNS0_4arch9wavefront6targetE1EEEvSJ_
                                        ; -- End function
	.set _ZN7rocprim17ROCPRIM_400000_NS6detail17trampoline_kernelINS0_14default_configENS1_38merge_sort_block_merge_config_selectorIttEEZZNS1_27merge_sort_block_merge_implIS3_N6thrust23THRUST_200600_302600_NS6detail15normal_iteratorINS8_10device_ptrItEEEESD_jNS1_19radix_merge_compareILb0ELb1EtNS0_19identity_decomposerEEEEE10hipError_tT0_T1_T2_jT3_P12ihipStream_tbPNSt15iterator_traitsISI_E10value_typeEPNSO_ISJ_E10value_typeEPSK_NS1_7vsmem_tEENKUlT_SI_SJ_SK_E_clIPtSD_S10_SD_EESH_SX_SI_SJ_SK_EUlSX_E_NS1_11comp_targetILNS1_3genE2ELNS1_11target_archE906ELNS1_3gpuE6ELNS1_3repE0EEENS1_48merge_mergepath_partition_config_static_selectorELNS0_4arch9wavefront6targetE1EEEvSJ_.num_vgpr, 0
	.set _ZN7rocprim17ROCPRIM_400000_NS6detail17trampoline_kernelINS0_14default_configENS1_38merge_sort_block_merge_config_selectorIttEEZZNS1_27merge_sort_block_merge_implIS3_N6thrust23THRUST_200600_302600_NS6detail15normal_iteratorINS8_10device_ptrItEEEESD_jNS1_19radix_merge_compareILb0ELb1EtNS0_19identity_decomposerEEEEE10hipError_tT0_T1_T2_jT3_P12ihipStream_tbPNSt15iterator_traitsISI_E10value_typeEPNSO_ISJ_E10value_typeEPSK_NS1_7vsmem_tEENKUlT_SI_SJ_SK_E_clIPtSD_S10_SD_EESH_SX_SI_SJ_SK_EUlSX_E_NS1_11comp_targetILNS1_3genE2ELNS1_11target_archE906ELNS1_3gpuE6ELNS1_3repE0EEENS1_48merge_mergepath_partition_config_static_selectorELNS0_4arch9wavefront6targetE1EEEvSJ_.num_agpr, 0
	.set _ZN7rocprim17ROCPRIM_400000_NS6detail17trampoline_kernelINS0_14default_configENS1_38merge_sort_block_merge_config_selectorIttEEZZNS1_27merge_sort_block_merge_implIS3_N6thrust23THRUST_200600_302600_NS6detail15normal_iteratorINS8_10device_ptrItEEEESD_jNS1_19radix_merge_compareILb0ELb1EtNS0_19identity_decomposerEEEEE10hipError_tT0_T1_T2_jT3_P12ihipStream_tbPNSt15iterator_traitsISI_E10value_typeEPNSO_ISJ_E10value_typeEPSK_NS1_7vsmem_tEENKUlT_SI_SJ_SK_E_clIPtSD_S10_SD_EESH_SX_SI_SJ_SK_EUlSX_E_NS1_11comp_targetILNS1_3genE2ELNS1_11target_archE906ELNS1_3gpuE6ELNS1_3repE0EEENS1_48merge_mergepath_partition_config_static_selectorELNS0_4arch9wavefront6targetE1EEEvSJ_.numbered_sgpr, 0
	.set _ZN7rocprim17ROCPRIM_400000_NS6detail17trampoline_kernelINS0_14default_configENS1_38merge_sort_block_merge_config_selectorIttEEZZNS1_27merge_sort_block_merge_implIS3_N6thrust23THRUST_200600_302600_NS6detail15normal_iteratorINS8_10device_ptrItEEEESD_jNS1_19radix_merge_compareILb0ELb1EtNS0_19identity_decomposerEEEEE10hipError_tT0_T1_T2_jT3_P12ihipStream_tbPNSt15iterator_traitsISI_E10value_typeEPNSO_ISJ_E10value_typeEPSK_NS1_7vsmem_tEENKUlT_SI_SJ_SK_E_clIPtSD_S10_SD_EESH_SX_SI_SJ_SK_EUlSX_E_NS1_11comp_targetILNS1_3genE2ELNS1_11target_archE906ELNS1_3gpuE6ELNS1_3repE0EEENS1_48merge_mergepath_partition_config_static_selectorELNS0_4arch9wavefront6targetE1EEEvSJ_.num_named_barrier, 0
	.set _ZN7rocprim17ROCPRIM_400000_NS6detail17trampoline_kernelINS0_14default_configENS1_38merge_sort_block_merge_config_selectorIttEEZZNS1_27merge_sort_block_merge_implIS3_N6thrust23THRUST_200600_302600_NS6detail15normal_iteratorINS8_10device_ptrItEEEESD_jNS1_19radix_merge_compareILb0ELb1EtNS0_19identity_decomposerEEEEE10hipError_tT0_T1_T2_jT3_P12ihipStream_tbPNSt15iterator_traitsISI_E10value_typeEPNSO_ISJ_E10value_typeEPSK_NS1_7vsmem_tEENKUlT_SI_SJ_SK_E_clIPtSD_S10_SD_EESH_SX_SI_SJ_SK_EUlSX_E_NS1_11comp_targetILNS1_3genE2ELNS1_11target_archE906ELNS1_3gpuE6ELNS1_3repE0EEENS1_48merge_mergepath_partition_config_static_selectorELNS0_4arch9wavefront6targetE1EEEvSJ_.private_seg_size, 0
	.set _ZN7rocprim17ROCPRIM_400000_NS6detail17trampoline_kernelINS0_14default_configENS1_38merge_sort_block_merge_config_selectorIttEEZZNS1_27merge_sort_block_merge_implIS3_N6thrust23THRUST_200600_302600_NS6detail15normal_iteratorINS8_10device_ptrItEEEESD_jNS1_19radix_merge_compareILb0ELb1EtNS0_19identity_decomposerEEEEE10hipError_tT0_T1_T2_jT3_P12ihipStream_tbPNSt15iterator_traitsISI_E10value_typeEPNSO_ISJ_E10value_typeEPSK_NS1_7vsmem_tEENKUlT_SI_SJ_SK_E_clIPtSD_S10_SD_EESH_SX_SI_SJ_SK_EUlSX_E_NS1_11comp_targetILNS1_3genE2ELNS1_11target_archE906ELNS1_3gpuE6ELNS1_3repE0EEENS1_48merge_mergepath_partition_config_static_selectorELNS0_4arch9wavefront6targetE1EEEvSJ_.uses_vcc, 0
	.set _ZN7rocprim17ROCPRIM_400000_NS6detail17trampoline_kernelINS0_14default_configENS1_38merge_sort_block_merge_config_selectorIttEEZZNS1_27merge_sort_block_merge_implIS3_N6thrust23THRUST_200600_302600_NS6detail15normal_iteratorINS8_10device_ptrItEEEESD_jNS1_19radix_merge_compareILb0ELb1EtNS0_19identity_decomposerEEEEE10hipError_tT0_T1_T2_jT3_P12ihipStream_tbPNSt15iterator_traitsISI_E10value_typeEPNSO_ISJ_E10value_typeEPSK_NS1_7vsmem_tEENKUlT_SI_SJ_SK_E_clIPtSD_S10_SD_EESH_SX_SI_SJ_SK_EUlSX_E_NS1_11comp_targetILNS1_3genE2ELNS1_11target_archE906ELNS1_3gpuE6ELNS1_3repE0EEENS1_48merge_mergepath_partition_config_static_selectorELNS0_4arch9wavefront6targetE1EEEvSJ_.uses_flat_scratch, 0
	.set _ZN7rocprim17ROCPRIM_400000_NS6detail17trampoline_kernelINS0_14default_configENS1_38merge_sort_block_merge_config_selectorIttEEZZNS1_27merge_sort_block_merge_implIS3_N6thrust23THRUST_200600_302600_NS6detail15normal_iteratorINS8_10device_ptrItEEEESD_jNS1_19radix_merge_compareILb0ELb1EtNS0_19identity_decomposerEEEEE10hipError_tT0_T1_T2_jT3_P12ihipStream_tbPNSt15iterator_traitsISI_E10value_typeEPNSO_ISJ_E10value_typeEPSK_NS1_7vsmem_tEENKUlT_SI_SJ_SK_E_clIPtSD_S10_SD_EESH_SX_SI_SJ_SK_EUlSX_E_NS1_11comp_targetILNS1_3genE2ELNS1_11target_archE906ELNS1_3gpuE6ELNS1_3repE0EEENS1_48merge_mergepath_partition_config_static_selectorELNS0_4arch9wavefront6targetE1EEEvSJ_.has_dyn_sized_stack, 0
	.set _ZN7rocprim17ROCPRIM_400000_NS6detail17trampoline_kernelINS0_14default_configENS1_38merge_sort_block_merge_config_selectorIttEEZZNS1_27merge_sort_block_merge_implIS3_N6thrust23THRUST_200600_302600_NS6detail15normal_iteratorINS8_10device_ptrItEEEESD_jNS1_19radix_merge_compareILb0ELb1EtNS0_19identity_decomposerEEEEE10hipError_tT0_T1_T2_jT3_P12ihipStream_tbPNSt15iterator_traitsISI_E10value_typeEPNSO_ISJ_E10value_typeEPSK_NS1_7vsmem_tEENKUlT_SI_SJ_SK_E_clIPtSD_S10_SD_EESH_SX_SI_SJ_SK_EUlSX_E_NS1_11comp_targetILNS1_3genE2ELNS1_11target_archE906ELNS1_3gpuE6ELNS1_3repE0EEENS1_48merge_mergepath_partition_config_static_selectorELNS0_4arch9wavefront6targetE1EEEvSJ_.has_recursion, 0
	.set _ZN7rocprim17ROCPRIM_400000_NS6detail17trampoline_kernelINS0_14default_configENS1_38merge_sort_block_merge_config_selectorIttEEZZNS1_27merge_sort_block_merge_implIS3_N6thrust23THRUST_200600_302600_NS6detail15normal_iteratorINS8_10device_ptrItEEEESD_jNS1_19radix_merge_compareILb0ELb1EtNS0_19identity_decomposerEEEEE10hipError_tT0_T1_T2_jT3_P12ihipStream_tbPNSt15iterator_traitsISI_E10value_typeEPNSO_ISJ_E10value_typeEPSK_NS1_7vsmem_tEENKUlT_SI_SJ_SK_E_clIPtSD_S10_SD_EESH_SX_SI_SJ_SK_EUlSX_E_NS1_11comp_targetILNS1_3genE2ELNS1_11target_archE906ELNS1_3gpuE6ELNS1_3repE0EEENS1_48merge_mergepath_partition_config_static_selectorELNS0_4arch9wavefront6targetE1EEEvSJ_.has_indirect_call, 0
	.section	.AMDGPU.csdata,"",@progbits
; Kernel info:
; codeLenInByte = 0
; TotalNumSgprs: 6
; NumVgprs: 0
; NumAgprs: 0
; TotalNumVgprs: 0
; ScratchSize: 0
; MemoryBound: 0
; FloatMode: 240
; IeeeMode: 1
; LDSByteSize: 0 bytes/workgroup (compile time only)
; SGPRBlocks: 0
; VGPRBlocks: 0
; NumSGPRsForWavesPerEU: 6
; NumVGPRsForWavesPerEU: 1
; AccumOffset: 4
; Occupancy: 8
; WaveLimiterHint : 0
; COMPUTE_PGM_RSRC2:SCRATCH_EN: 0
; COMPUTE_PGM_RSRC2:USER_SGPR: 2
; COMPUTE_PGM_RSRC2:TRAP_HANDLER: 0
; COMPUTE_PGM_RSRC2:TGID_X_EN: 1
; COMPUTE_PGM_RSRC2:TGID_Y_EN: 0
; COMPUTE_PGM_RSRC2:TGID_Z_EN: 0
; COMPUTE_PGM_RSRC2:TIDIG_COMP_CNT: 0
; COMPUTE_PGM_RSRC3_GFX90A:ACCUM_OFFSET: 0
; COMPUTE_PGM_RSRC3_GFX90A:TG_SPLIT: 0
	.section	.text._ZN7rocprim17ROCPRIM_400000_NS6detail17trampoline_kernelINS0_14default_configENS1_38merge_sort_block_merge_config_selectorIttEEZZNS1_27merge_sort_block_merge_implIS3_N6thrust23THRUST_200600_302600_NS6detail15normal_iteratorINS8_10device_ptrItEEEESD_jNS1_19radix_merge_compareILb0ELb1EtNS0_19identity_decomposerEEEEE10hipError_tT0_T1_T2_jT3_P12ihipStream_tbPNSt15iterator_traitsISI_E10value_typeEPNSO_ISJ_E10value_typeEPSK_NS1_7vsmem_tEENKUlT_SI_SJ_SK_E_clIPtSD_S10_SD_EESH_SX_SI_SJ_SK_EUlSX_E_NS1_11comp_targetILNS1_3genE9ELNS1_11target_archE1100ELNS1_3gpuE3ELNS1_3repE0EEENS1_48merge_mergepath_partition_config_static_selectorELNS0_4arch9wavefront6targetE1EEEvSJ_,"axG",@progbits,_ZN7rocprim17ROCPRIM_400000_NS6detail17trampoline_kernelINS0_14default_configENS1_38merge_sort_block_merge_config_selectorIttEEZZNS1_27merge_sort_block_merge_implIS3_N6thrust23THRUST_200600_302600_NS6detail15normal_iteratorINS8_10device_ptrItEEEESD_jNS1_19radix_merge_compareILb0ELb1EtNS0_19identity_decomposerEEEEE10hipError_tT0_T1_T2_jT3_P12ihipStream_tbPNSt15iterator_traitsISI_E10value_typeEPNSO_ISJ_E10value_typeEPSK_NS1_7vsmem_tEENKUlT_SI_SJ_SK_E_clIPtSD_S10_SD_EESH_SX_SI_SJ_SK_EUlSX_E_NS1_11comp_targetILNS1_3genE9ELNS1_11target_archE1100ELNS1_3gpuE3ELNS1_3repE0EEENS1_48merge_mergepath_partition_config_static_selectorELNS0_4arch9wavefront6targetE1EEEvSJ_,comdat
	.protected	_ZN7rocprim17ROCPRIM_400000_NS6detail17trampoline_kernelINS0_14default_configENS1_38merge_sort_block_merge_config_selectorIttEEZZNS1_27merge_sort_block_merge_implIS3_N6thrust23THRUST_200600_302600_NS6detail15normal_iteratorINS8_10device_ptrItEEEESD_jNS1_19radix_merge_compareILb0ELb1EtNS0_19identity_decomposerEEEEE10hipError_tT0_T1_T2_jT3_P12ihipStream_tbPNSt15iterator_traitsISI_E10value_typeEPNSO_ISJ_E10value_typeEPSK_NS1_7vsmem_tEENKUlT_SI_SJ_SK_E_clIPtSD_S10_SD_EESH_SX_SI_SJ_SK_EUlSX_E_NS1_11comp_targetILNS1_3genE9ELNS1_11target_archE1100ELNS1_3gpuE3ELNS1_3repE0EEENS1_48merge_mergepath_partition_config_static_selectorELNS0_4arch9wavefront6targetE1EEEvSJ_ ; -- Begin function _ZN7rocprim17ROCPRIM_400000_NS6detail17trampoline_kernelINS0_14default_configENS1_38merge_sort_block_merge_config_selectorIttEEZZNS1_27merge_sort_block_merge_implIS3_N6thrust23THRUST_200600_302600_NS6detail15normal_iteratorINS8_10device_ptrItEEEESD_jNS1_19radix_merge_compareILb0ELb1EtNS0_19identity_decomposerEEEEE10hipError_tT0_T1_T2_jT3_P12ihipStream_tbPNSt15iterator_traitsISI_E10value_typeEPNSO_ISJ_E10value_typeEPSK_NS1_7vsmem_tEENKUlT_SI_SJ_SK_E_clIPtSD_S10_SD_EESH_SX_SI_SJ_SK_EUlSX_E_NS1_11comp_targetILNS1_3genE9ELNS1_11target_archE1100ELNS1_3gpuE3ELNS1_3repE0EEENS1_48merge_mergepath_partition_config_static_selectorELNS0_4arch9wavefront6targetE1EEEvSJ_
	.globl	_ZN7rocprim17ROCPRIM_400000_NS6detail17trampoline_kernelINS0_14default_configENS1_38merge_sort_block_merge_config_selectorIttEEZZNS1_27merge_sort_block_merge_implIS3_N6thrust23THRUST_200600_302600_NS6detail15normal_iteratorINS8_10device_ptrItEEEESD_jNS1_19radix_merge_compareILb0ELb1EtNS0_19identity_decomposerEEEEE10hipError_tT0_T1_T2_jT3_P12ihipStream_tbPNSt15iterator_traitsISI_E10value_typeEPNSO_ISJ_E10value_typeEPSK_NS1_7vsmem_tEENKUlT_SI_SJ_SK_E_clIPtSD_S10_SD_EESH_SX_SI_SJ_SK_EUlSX_E_NS1_11comp_targetILNS1_3genE9ELNS1_11target_archE1100ELNS1_3gpuE3ELNS1_3repE0EEENS1_48merge_mergepath_partition_config_static_selectorELNS0_4arch9wavefront6targetE1EEEvSJ_
	.p2align	8
	.type	_ZN7rocprim17ROCPRIM_400000_NS6detail17trampoline_kernelINS0_14default_configENS1_38merge_sort_block_merge_config_selectorIttEEZZNS1_27merge_sort_block_merge_implIS3_N6thrust23THRUST_200600_302600_NS6detail15normal_iteratorINS8_10device_ptrItEEEESD_jNS1_19radix_merge_compareILb0ELb1EtNS0_19identity_decomposerEEEEE10hipError_tT0_T1_T2_jT3_P12ihipStream_tbPNSt15iterator_traitsISI_E10value_typeEPNSO_ISJ_E10value_typeEPSK_NS1_7vsmem_tEENKUlT_SI_SJ_SK_E_clIPtSD_S10_SD_EESH_SX_SI_SJ_SK_EUlSX_E_NS1_11comp_targetILNS1_3genE9ELNS1_11target_archE1100ELNS1_3gpuE3ELNS1_3repE0EEENS1_48merge_mergepath_partition_config_static_selectorELNS0_4arch9wavefront6targetE1EEEvSJ_,@function
_ZN7rocprim17ROCPRIM_400000_NS6detail17trampoline_kernelINS0_14default_configENS1_38merge_sort_block_merge_config_selectorIttEEZZNS1_27merge_sort_block_merge_implIS3_N6thrust23THRUST_200600_302600_NS6detail15normal_iteratorINS8_10device_ptrItEEEESD_jNS1_19radix_merge_compareILb0ELb1EtNS0_19identity_decomposerEEEEE10hipError_tT0_T1_T2_jT3_P12ihipStream_tbPNSt15iterator_traitsISI_E10value_typeEPNSO_ISJ_E10value_typeEPSK_NS1_7vsmem_tEENKUlT_SI_SJ_SK_E_clIPtSD_S10_SD_EESH_SX_SI_SJ_SK_EUlSX_E_NS1_11comp_targetILNS1_3genE9ELNS1_11target_archE1100ELNS1_3gpuE3ELNS1_3repE0EEENS1_48merge_mergepath_partition_config_static_selectorELNS0_4arch9wavefront6targetE1EEEvSJ_: ; @_ZN7rocprim17ROCPRIM_400000_NS6detail17trampoline_kernelINS0_14default_configENS1_38merge_sort_block_merge_config_selectorIttEEZZNS1_27merge_sort_block_merge_implIS3_N6thrust23THRUST_200600_302600_NS6detail15normal_iteratorINS8_10device_ptrItEEEESD_jNS1_19radix_merge_compareILb0ELb1EtNS0_19identity_decomposerEEEEE10hipError_tT0_T1_T2_jT3_P12ihipStream_tbPNSt15iterator_traitsISI_E10value_typeEPNSO_ISJ_E10value_typeEPSK_NS1_7vsmem_tEENKUlT_SI_SJ_SK_E_clIPtSD_S10_SD_EESH_SX_SI_SJ_SK_EUlSX_E_NS1_11comp_targetILNS1_3genE9ELNS1_11target_archE1100ELNS1_3gpuE3ELNS1_3repE0EEENS1_48merge_mergepath_partition_config_static_selectorELNS0_4arch9wavefront6targetE1EEEvSJ_
; %bb.0:
	.section	.rodata,"a",@progbits
	.p2align	6, 0x0
	.amdhsa_kernel _ZN7rocprim17ROCPRIM_400000_NS6detail17trampoline_kernelINS0_14default_configENS1_38merge_sort_block_merge_config_selectorIttEEZZNS1_27merge_sort_block_merge_implIS3_N6thrust23THRUST_200600_302600_NS6detail15normal_iteratorINS8_10device_ptrItEEEESD_jNS1_19radix_merge_compareILb0ELb1EtNS0_19identity_decomposerEEEEE10hipError_tT0_T1_T2_jT3_P12ihipStream_tbPNSt15iterator_traitsISI_E10value_typeEPNSO_ISJ_E10value_typeEPSK_NS1_7vsmem_tEENKUlT_SI_SJ_SK_E_clIPtSD_S10_SD_EESH_SX_SI_SJ_SK_EUlSX_E_NS1_11comp_targetILNS1_3genE9ELNS1_11target_archE1100ELNS1_3gpuE3ELNS1_3repE0EEENS1_48merge_mergepath_partition_config_static_selectorELNS0_4arch9wavefront6targetE1EEEvSJ_
		.amdhsa_group_segment_fixed_size 0
		.amdhsa_private_segment_fixed_size 0
		.amdhsa_kernarg_size 40
		.amdhsa_user_sgpr_count 2
		.amdhsa_user_sgpr_dispatch_ptr 0
		.amdhsa_user_sgpr_queue_ptr 0
		.amdhsa_user_sgpr_kernarg_segment_ptr 1
		.amdhsa_user_sgpr_dispatch_id 0
		.amdhsa_user_sgpr_kernarg_preload_length 0
		.amdhsa_user_sgpr_kernarg_preload_offset 0
		.amdhsa_user_sgpr_private_segment_size 0
		.amdhsa_uses_dynamic_stack 0
		.amdhsa_enable_private_segment 0
		.amdhsa_system_sgpr_workgroup_id_x 1
		.amdhsa_system_sgpr_workgroup_id_y 0
		.amdhsa_system_sgpr_workgroup_id_z 0
		.amdhsa_system_sgpr_workgroup_info 0
		.amdhsa_system_vgpr_workitem_id 0
		.amdhsa_next_free_vgpr 1
		.amdhsa_next_free_sgpr 0
		.amdhsa_accum_offset 4
		.amdhsa_reserve_vcc 0
		.amdhsa_float_round_mode_32 0
		.amdhsa_float_round_mode_16_64 0
		.amdhsa_float_denorm_mode_32 3
		.amdhsa_float_denorm_mode_16_64 3
		.amdhsa_dx10_clamp 1
		.amdhsa_ieee_mode 1
		.amdhsa_fp16_overflow 0
		.amdhsa_tg_split 0
		.amdhsa_exception_fp_ieee_invalid_op 0
		.amdhsa_exception_fp_denorm_src 0
		.amdhsa_exception_fp_ieee_div_zero 0
		.amdhsa_exception_fp_ieee_overflow 0
		.amdhsa_exception_fp_ieee_underflow 0
		.amdhsa_exception_fp_ieee_inexact 0
		.amdhsa_exception_int_div_zero 0
	.end_amdhsa_kernel
	.section	.text._ZN7rocprim17ROCPRIM_400000_NS6detail17trampoline_kernelINS0_14default_configENS1_38merge_sort_block_merge_config_selectorIttEEZZNS1_27merge_sort_block_merge_implIS3_N6thrust23THRUST_200600_302600_NS6detail15normal_iteratorINS8_10device_ptrItEEEESD_jNS1_19radix_merge_compareILb0ELb1EtNS0_19identity_decomposerEEEEE10hipError_tT0_T1_T2_jT3_P12ihipStream_tbPNSt15iterator_traitsISI_E10value_typeEPNSO_ISJ_E10value_typeEPSK_NS1_7vsmem_tEENKUlT_SI_SJ_SK_E_clIPtSD_S10_SD_EESH_SX_SI_SJ_SK_EUlSX_E_NS1_11comp_targetILNS1_3genE9ELNS1_11target_archE1100ELNS1_3gpuE3ELNS1_3repE0EEENS1_48merge_mergepath_partition_config_static_selectorELNS0_4arch9wavefront6targetE1EEEvSJ_,"axG",@progbits,_ZN7rocprim17ROCPRIM_400000_NS6detail17trampoline_kernelINS0_14default_configENS1_38merge_sort_block_merge_config_selectorIttEEZZNS1_27merge_sort_block_merge_implIS3_N6thrust23THRUST_200600_302600_NS6detail15normal_iteratorINS8_10device_ptrItEEEESD_jNS1_19radix_merge_compareILb0ELb1EtNS0_19identity_decomposerEEEEE10hipError_tT0_T1_T2_jT3_P12ihipStream_tbPNSt15iterator_traitsISI_E10value_typeEPNSO_ISJ_E10value_typeEPSK_NS1_7vsmem_tEENKUlT_SI_SJ_SK_E_clIPtSD_S10_SD_EESH_SX_SI_SJ_SK_EUlSX_E_NS1_11comp_targetILNS1_3genE9ELNS1_11target_archE1100ELNS1_3gpuE3ELNS1_3repE0EEENS1_48merge_mergepath_partition_config_static_selectorELNS0_4arch9wavefront6targetE1EEEvSJ_,comdat
.Lfunc_end905:
	.size	_ZN7rocprim17ROCPRIM_400000_NS6detail17trampoline_kernelINS0_14default_configENS1_38merge_sort_block_merge_config_selectorIttEEZZNS1_27merge_sort_block_merge_implIS3_N6thrust23THRUST_200600_302600_NS6detail15normal_iteratorINS8_10device_ptrItEEEESD_jNS1_19radix_merge_compareILb0ELb1EtNS0_19identity_decomposerEEEEE10hipError_tT0_T1_T2_jT3_P12ihipStream_tbPNSt15iterator_traitsISI_E10value_typeEPNSO_ISJ_E10value_typeEPSK_NS1_7vsmem_tEENKUlT_SI_SJ_SK_E_clIPtSD_S10_SD_EESH_SX_SI_SJ_SK_EUlSX_E_NS1_11comp_targetILNS1_3genE9ELNS1_11target_archE1100ELNS1_3gpuE3ELNS1_3repE0EEENS1_48merge_mergepath_partition_config_static_selectorELNS0_4arch9wavefront6targetE1EEEvSJ_, .Lfunc_end905-_ZN7rocprim17ROCPRIM_400000_NS6detail17trampoline_kernelINS0_14default_configENS1_38merge_sort_block_merge_config_selectorIttEEZZNS1_27merge_sort_block_merge_implIS3_N6thrust23THRUST_200600_302600_NS6detail15normal_iteratorINS8_10device_ptrItEEEESD_jNS1_19radix_merge_compareILb0ELb1EtNS0_19identity_decomposerEEEEE10hipError_tT0_T1_T2_jT3_P12ihipStream_tbPNSt15iterator_traitsISI_E10value_typeEPNSO_ISJ_E10value_typeEPSK_NS1_7vsmem_tEENKUlT_SI_SJ_SK_E_clIPtSD_S10_SD_EESH_SX_SI_SJ_SK_EUlSX_E_NS1_11comp_targetILNS1_3genE9ELNS1_11target_archE1100ELNS1_3gpuE3ELNS1_3repE0EEENS1_48merge_mergepath_partition_config_static_selectorELNS0_4arch9wavefront6targetE1EEEvSJ_
                                        ; -- End function
	.set _ZN7rocprim17ROCPRIM_400000_NS6detail17trampoline_kernelINS0_14default_configENS1_38merge_sort_block_merge_config_selectorIttEEZZNS1_27merge_sort_block_merge_implIS3_N6thrust23THRUST_200600_302600_NS6detail15normal_iteratorINS8_10device_ptrItEEEESD_jNS1_19radix_merge_compareILb0ELb1EtNS0_19identity_decomposerEEEEE10hipError_tT0_T1_T2_jT3_P12ihipStream_tbPNSt15iterator_traitsISI_E10value_typeEPNSO_ISJ_E10value_typeEPSK_NS1_7vsmem_tEENKUlT_SI_SJ_SK_E_clIPtSD_S10_SD_EESH_SX_SI_SJ_SK_EUlSX_E_NS1_11comp_targetILNS1_3genE9ELNS1_11target_archE1100ELNS1_3gpuE3ELNS1_3repE0EEENS1_48merge_mergepath_partition_config_static_selectorELNS0_4arch9wavefront6targetE1EEEvSJ_.num_vgpr, 0
	.set _ZN7rocprim17ROCPRIM_400000_NS6detail17trampoline_kernelINS0_14default_configENS1_38merge_sort_block_merge_config_selectorIttEEZZNS1_27merge_sort_block_merge_implIS3_N6thrust23THRUST_200600_302600_NS6detail15normal_iteratorINS8_10device_ptrItEEEESD_jNS1_19radix_merge_compareILb0ELb1EtNS0_19identity_decomposerEEEEE10hipError_tT0_T1_T2_jT3_P12ihipStream_tbPNSt15iterator_traitsISI_E10value_typeEPNSO_ISJ_E10value_typeEPSK_NS1_7vsmem_tEENKUlT_SI_SJ_SK_E_clIPtSD_S10_SD_EESH_SX_SI_SJ_SK_EUlSX_E_NS1_11comp_targetILNS1_3genE9ELNS1_11target_archE1100ELNS1_3gpuE3ELNS1_3repE0EEENS1_48merge_mergepath_partition_config_static_selectorELNS0_4arch9wavefront6targetE1EEEvSJ_.num_agpr, 0
	.set _ZN7rocprim17ROCPRIM_400000_NS6detail17trampoline_kernelINS0_14default_configENS1_38merge_sort_block_merge_config_selectorIttEEZZNS1_27merge_sort_block_merge_implIS3_N6thrust23THRUST_200600_302600_NS6detail15normal_iteratorINS8_10device_ptrItEEEESD_jNS1_19radix_merge_compareILb0ELb1EtNS0_19identity_decomposerEEEEE10hipError_tT0_T1_T2_jT3_P12ihipStream_tbPNSt15iterator_traitsISI_E10value_typeEPNSO_ISJ_E10value_typeEPSK_NS1_7vsmem_tEENKUlT_SI_SJ_SK_E_clIPtSD_S10_SD_EESH_SX_SI_SJ_SK_EUlSX_E_NS1_11comp_targetILNS1_3genE9ELNS1_11target_archE1100ELNS1_3gpuE3ELNS1_3repE0EEENS1_48merge_mergepath_partition_config_static_selectorELNS0_4arch9wavefront6targetE1EEEvSJ_.numbered_sgpr, 0
	.set _ZN7rocprim17ROCPRIM_400000_NS6detail17trampoline_kernelINS0_14default_configENS1_38merge_sort_block_merge_config_selectorIttEEZZNS1_27merge_sort_block_merge_implIS3_N6thrust23THRUST_200600_302600_NS6detail15normal_iteratorINS8_10device_ptrItEEEESD_jNS1_19radix_merge_compareILb0ELb1EtNS0_19identity_decomposerEEEEE10hipError_tT0_T1_T2_jT3_P12ihipStream_tbPNSt15iterator_traitsISI_E10value_typeEPNSO_ISJ_E10value_typeEPSK_NS1_7vsmem_tEENKUlT_SI_SJ_SK_E_clIPtSD_S10_SD_EESH_SX_SI_SJ_SK_EUlSX_E_NS1_11comp_targetILNS1_3genE9ELNS1_11target_archE1100ELNS1_3gpuE3ELNS1_3repE0EEENS1_48merge_mergepath_partition_config_static_selectorELNS0_4arch9wavefront6targetE1EEEvSJ_.num_named_barrier, 0
	.set _ZN7rocprim17ROCPRIM_400000_NS6detail17trampoline_kernelINS0_14default_configENS1_38merge_sort_block_merge_config_selectorIttEEZZNS1_27merge_sort_block_merge_implIS3_N6thrust23THRUST_200600_302600_NS6detail15normal_iteratorINS8_10device_ptrItEEEESD_jNS1_19radix_merge_compareILb0ELb1EtNS0_19identity_decomposerEEEEE10hipError_tT0_T1_T2_jT3_P12ihipStream_tbPNSt15iterator_traitsISI_E10value_typeEPNSO_ISJ_E10value_typeEPSK_NS1_7vsmem_tEENKUlT_SI_SJ_SK_E_clIPtSD_S10_SD_EESH_SX_SI_SJ_SK_EUlSX_E_NS1_11comp_targetILNS1_3genE9ELNS1_11target_archE1100ELNS1_3gpuE3ELNS1_3repE0EEENS1_48merge_mergepath_partition_config_static_selectorELNS0_4arch9wavefront6targetE1EEEvSJ_.private_seg_size, 0
	.set _ZN7rocprim17ROCPRIM_400000_NS6detail17trampoline_kernelINS0_14default_configENS1_38merge_sort_block_merge_config_selectorIttEEZZNS1_27merge_sort_block_merge_implIS3_N6thrust23THRUST_200600_302600_NS6detail15normal_iteratorINS8_10device_ptrItEEEESD_jNS1_19radix_merge_compareILb0ELb1EtNS0_19identity_decomposerEEEEE10hipError_tT0_T1_T2_jT3_P12ihipStream_tbPNSt15iterator_traitsISI_E10value_typeEPNSO_ISJ_E10value_typeEPSK_NS1_7vsmem_tEENKUlT_SI_SJ_SK_E_clIPtSD_S10_SD_EESH_SX_SI_SJ_SK_EUlSX_E_NS1_11comp_targetILNS1_3genE9ELNS1_11target_archE1100ELNS1_3gpuE3ELNS1_3repE0EEENS1_48merge_mergepath_partition_config_static_selectorELNS0_4arch9wavefront6targetE1EEEvSJ_.uses_vcc, 0
	.set _ZN7rocprim17ROCPRIM_400000_NS6detail17trampoline_kernelINS0_14default_configENS1_38merge_sort_block_merge_config_selectorIttEEZZNS1_27merge_sort_block_merge_implIS3_N6thrust23THRUST_200600_302600_NS6detail15normal_iteratorINS8_10device_ptrItEEEESD_jNS1_19radix_merge_compareILb0ELb1EtNS0_19identity_decomposerEEEEE10hipError_tT0_T1_T2_jT3_P12ihipStream_tbPNSt15iterator_traitsISI_E10value_typeEPNSO_ISJ_E10value_typeEPSK_NS1_7vsmem_tEENKUlT_SI_SJ_SK_E_clIPtSD_S10_SD_EESH_SX_SI_SJ_SK_EUlSX_E_NS1_11comp_targetILNS1_3genE9ELNS1_11target_archE1100ELNS1_3gpuE3ELNS1_3repE0EEENS1_48merge_mergepath_partition_config_static_selectorELNS0_4arch9wavefront6targetE1EEEvSJ_.uses_flat_scratch, 0
	.set _ZN7rocprim17ROCPRIM_400000_NS6detail17trampoline_kernelINS0_14default_configENS1_38merge_sort_block_merge_config_selectorIttEEZZNS1_27merge_sort_block_merge_implIS3_N6thrust23THRUST_200600_302600_NS6detail15normal_iteratorINS8_10device_ptrItEEEESD_jNS1_19radix_merge_compareILb0ELb1EtNS0_19identity_decomposerEEEEE10hipError_tT0_T1_T2_jT3_P12ihipStream_tbPNSt15iterator_traitsISI_E10value_typeEPNSO_ISJ_E10value_typeEPSK_NS1_7vsmem_tEENKUlT_SI_SJ_SK_E_clIPtSD_S10_SD_EESH_SX_SI_SJ_SK_EUlSX_E_NS1_11comp_targetILNS1_3genE9ELNS1_11target_archE1100ELNS1_3gpuE3ELNS1_3repE0EEENS1_48merge_mergepath_partition_config_static_selectorELNS0_4arch9wavefront6targetE1EEEvSJ_.has_dyn_sized_stack, 0
	.set _ZN7rocprim17ROCPRIM_400000_NS6detail17trampoline_kernelINS0_14default_configENS1_38merge_sort_block_merge_config_selectorIttEEZZNS1_27merge_sort_block_merge_implIS3_N6thrust23THRUST_200600_302600_NS6detail15normal_iteratorINS8_10device_ptrItEEEESD_jNS1_19radix_merge_compareILb0ELb1EtNS0_19identity_decomposerEEEEE10hipError_tT0_T1_T2_jT3_P12ihipStream_tbPNSt15iterator_traitsISI_E10value_typeEPNSO_ISJ_E10value_typeEPSK_NS1_7vsmem_tEENKUlT_SI_SJ_SK_E_clIPtSD_S10_SD_EESH_SX_SI_SJ_SK_EUlSX_E_NS1_11comp_targetILNS1_3genE9ELNS1_11target_archE1100ELNS1_3gpuE3ELNS1_3repE0EEENS1_48merge_mergepath_partition_config_static_selectorELNS0_4arch9wavefront6targetE1EEEvSJ_.has_recursion, 0
	.set _ZN7rocprim17ROCPRIM_400000_NS6detail17trampoline_kernelINS0_14default_configENS1_38merge_sort_block_merge_config_selectorIttEEZZNS1_27merge_sort_block_merge_implIS3_N6thrust23THRUST_200600_302600_NS6detail15normal_iteratorINS8_10device_ptrItEEEESD_jNS1_19radix_merge_compareILb0ELb1EtNS0_19identity_decomposerEEEEE10hipError_tT0_T1_T2_jT3_P12ihipStream_tbPNSt15iterator_traitsISI_E10value_typeEPNSO_ISJ_E10value_typeEPSK_NS1_7vsmem_tEENKUlT_SI_SJ_SK_E_clIPtSD_S10_SD_EESH_SX_SI_SJ_SK_EUlSX_E_NS1_11comp_targetILNS1_3genE9ELNS1_11target_archE1100ELNS1_3gpuE3ELNS1_3repE0EEENS1_48merge_mergepath_partition_config_static_selectorELNS0_4arch9wavefront6targetE1EEEvSJ_.has_indirect_call, 0
	.section	.AMDGPU.csdata,"",@progbits
; Kernel info:
; codeLenInByte = 0
; TotalNumSgprs: 6
; NumVgprs: 0
; NumAgprs: 0
; TotalNumVgprs: 0
; ScratchSize: 0
; MemoryBound: 0
; FloatMode: 240
; IeeeMode: 1
; LDSByteSize: 0 bytes/workgroup (compile time only)
; SGPRBlocks: 0
; VGPRBlocks: 0
; NumSGPRsForWavesPerEU: 6
; NumVGPRsForWavesPerEU: 1
; AccumOffset: 4
; Occupancy: 8
; WaveLimiterHint : 0
; COMPUTE_PGM_RSRC2:SCRATCH_EN: 0
; COMPUTE_PGM_RSRC2:USER_SGPR: 2
; COMPUTE_PGM_RSRC2:TRAP_HANDLER: 0
; COMPUTE_PGM_RSRC2:TGID_X_EN: 1
; COMPUTE_PGM_RSRC2:TGID_Y_EN: 0
; COMPUTE_PGM_RSRC2:TGID_Z_EN: 0
; COMPUTE_PGM_RSRC2:TIDIG_COMP_CNT: 0
; COMPUTE_PGM_RSRC3_GFX90A:ACCUM_OFFSET: 0
; COMPUTE_PGM_RSRC3_GFX90A:TG_SPLIT: 0
	.section	.text._ZN7rocprim17ROCPRIM_400000_NS6detail17trampoline_kernelINS0_14default_configENS1_38merge_sort_block_merge_config_selectorIttEEZZNS1_27merge_sort_block_merge_implIS3_N6thrust23THRUST_200600_302600_NS6detail15normal_iteratorINS8_10device_ptrItEEEESD_jNS1_19radix_merge_compareILb0ELb1EtNS0_19identity_decomposerEEEEE10hipError_tT0_T1_T2_jT3_P12ihipStream_tbPNSt15iterator_traitsISI_E10value_typeEPNSO_ISJ_E10value_typeEPSK_NS1_7vsmem_tEENKUlT_SI_SJ_SK_E_clIPtSD_S10_SD_EESH_SX_SI_SJ_SK_EUlSX_E_NS1_11comp_targetILNS1_3genE8ELNS1_11target_archE1030ELNS1_3gpuE2ELNS1_3repE0EEENS1_48merge_mergepath_partition_config_static_selectorELNS0_4arch9wavefront6targetE1EEEvSJ_,"axG",@progbits,_ZN7rocprim17ROCPRIM_400000_NS6detail17trampoline_kernelINS0_14default_configENS1_38merge_sort_block_merge_config_selectorIttEEZZNS1_27merge_sort_block_merge_implIS3_N6thrust23THRUST_200600_302600_NS6detail15normal_iteratorINS8_10device_ptrItEEEESD_jNS1_19radix_merge_compareILb0ELb1EtNS0_19identity_decomposerEEEEE10hipError_tT0_T1_T2_jT3_P12ihipStream_tbPNSt15iterator_traitsISI_E10value_typeEPNSO_ISJ_E10value_typeEPSK_NS1_7vsmem_tEENKUlT_SI_SJ_SK_E_clIPtSD_S10_SD_EESH_SX_SI_SJ_SK_EUlSX_E_NS1_11comp_targetILNS1_3genE8ELNS1_11target_archE1030ELNS1_3gpuE2ELNS1_3repE0EEENS1_48merge_mergepath_partition_config_static_selectorELNS0_4arch9wavefront6targetE1EEEvSJ_,comdat
	.protected	_ZN7rocprim17ROCPRIM_400000_NS6detail17trampoline_kernelINS0_14default_configENS1_38merge_sort_block_merge_config_selectorIttEEZZNS1_27merge_sort_block_merge_implIS3_N6thrust23THRUST_200600_302600_NS6detail15normal_iteratorINS8_10device_ptrItEEEESD_jNS1_19radix_merge_compareILb0ELb1EtNS0_19identity_decomposerEEEEE10hipError_tT0_T1_T2_jT3_P12ihipStream_tbPNSt15iterator_traitsISI_E10value_typeEPNSO_ISJ_E10value_typeEPSK_NS1_7vsmem_tEENKUlT_SI_SJ_SK_E_clIPtSD_S10_SD_EESH_SX_SI_SJ_SK_EUlSX_E_NS1_11comp_targetILNS1_3genE8ELNS1_11target_archE1030ELNS1_3gpuE2ELNS1_3repE0EEENS1_48merge_mergepath_partition_config_static_selectorELNS0_4arch9wavefront6targetE1EEEvSJ_ ; -- Begin function _ZN7rocprim17ROCPRIM_400000_NS6detail17trampoline_kernelINS0_14default_configENS1_38merge_sort_block_merge_config_selectorIttEEZZNS1_27merge_sort_block_merge_implIS3_N6thrust23THRUST_200600_302600_NS6detail15normal_iteratorINS8_10device_ptrItEEEESD_jNS1_19radix_merge_compareILb0ELb1EtNS0_19identity_decomposerEEEEE10hipError_tT0_T1_T2_jT3_P12ihipStream_tbPNSt15iterator_traitsISI_E10value_typeEPNSO_ISJ_E10value_typeEPSK_NS1_7vsmem_tEENKUlT_SI_SJ_SK_E_clIPtSD_S10_SD_EESH_SX_SI_SJ_SK_EUlSX_E_NS1_11comp_targetILNS1_3genE8ELNS1_11target_archE1030ELNS1_3gpuE2ELNS1_3repE0EEENS1_48merge_mergepath_partition_config_static_selectorELNS0_4arch9wavefront6targetE1EEEvSJ_
	.globl	_ZN7rocprim17ROCPRIM_400000_NS6detail17trampoline_kernelINS0_14default_configENS1_38merge_sort_block_merge_config_selectorIttEEZZNS1_27merge_sort_block_merge_implIS3_N6thrust23THRUST_200600_302600_NS6detail15normal_iteratorINS8_10device_ptrItEEEESD_jNS1_19radix_merge_compareILb0ELb1EtNS0_19identity_decomposerEEEEE10hipError_tT0_T1_T2_jT3_P12ihipStream_tbPNSt15iterator_traitsISI_E10value_typeEPNSO_ISJ_E10value_typeEPSK_NS1_7vsmem_tEENKUlT_SI_SJ_SK_E_clIPtSD_S10_SD_EESH_SX_SI_SJ_SK_EUlSX_E_NS1_11comp_targetILNS1_3genE8ELNS1_11target_archE1030ELNS1_3gpuE2ELNS1_3repE0EEENS1_48merge_mergepath_partition_config_static_selectorELNS0_4arch9wavefront6targetE1EEEvSJ_
	.p2align	8
	.type	_ZN7rocprim17ROCPRIM_400000_NS6detail17trampoline_kernelINS0_14default_configENS1_38merge_sort_block_merge_config_selectorIttEEZZNS1_27merge_sort_block_merge_implIS3_N6thrust23THRUST_200600_302600_NS6detail15normal_iteratorINS8_10device_ptrItEEEESD_jNS1_19radix_merge_compareILb0ELb1EtNS0_19identity_decomposerEEEEE10hipError_tT0_T1_T2_jT3_P12ihipStream_tbPNSt15iterator_traitsISI_E10value_typeEPNSO_ISJ_E10value_typeEPSK_NS1_7vsmem_tEENKUlT_SI_SJ_SK_E_clIPtSD_S10_SD_EESH_SX_SI_SJ_SK_EUlSX_E_NS1_11comp_targetILNS1_3genE8ELNS1_11target_archE1030ELNS1_3gpuE2ELNS1_3repE0EEENS1_48merge_mergepath_partition_config_static_selectorELNS0_4arch9wavefront6targetE1EEEvSJ_,@function
_ZN7rocprim17ROCPRIM_400000_NS6detail17trampoline_kernelINS0_14default_configENS1_38merge_sort_block_merge_config_selectorIttEEZZNS1_27merge_sort_block_merge_implIS3_N6thrust23THRUST_200600_302600_NS6detail15normal_iteratorINS8_10device_ptrItEEEESD_jNS1_19radix_merge_compareILb0ELb1EtNS0_19identity_decomposerEEEEE10hipError_tT0_T1_T2_jT3_P12ihipStream_tbPNSt15iterator_traitsISI_E10value_typeEPNSO_ISJ_E10value_typeEPSK_NS1_7vsmem_tEENKUlT_SI_SJ_SK_E_clIPtSD_S10_SD_EESH_SX_SI_SJ_SK_EUlSX_E_NS1_11comp_targetILNS1_3genE8ELNS1_11target_archE1030ELNS1_3gpuE2ELNS1_3repE0EEENS1_48merge_mergepath_partition_config_static_selectorELNS0_4arch9wavefront6targetE1EEEvSJ_: ; @_ZN7rocprim17ROCPRIM_400000_NS6detail17trampoline_kernelINS0_14default_configENS1_38merge_sort_block_merge_config_selectorIttEEZZNS1_27merge_sort_block_merge_implIS3_N6thrust23THRUST_200600_302600_NS6detail15normal_iteratorINS8_10device_ptrItEEEESD_jNS1_19radix_merge_compareILb0ELb1EtNS0_19identity_decomposerEEEEE10hipError_tT0_T1_T2_jT3_P12ihipStream_tbPNSt15iterator_traitsISI_E10value_typeEPNSO_ISJ_E10value_typeEPSK_NS1_7vsmem_tEENKUlT_SI_SJ_SK_E_clIPtSD_S10_SD_EESH_SX_SI_SJ_SK_EUlSX_E_NS1_11comp_targetILNS1_3genE8ELNS1_11target_archE1030ELNS1_3gpuE2ELNS1_3repE0EEENS1_48merge_mergepath_partition_config_static_selectorELNS0_4arch9wavefront6targetE1EEEvSJ_
; %bb.0:
	.section	.rodata,"a",@progbits
	.p2align	6, 0x0
	.amdhsa_kernel _ZN7rocprim17ROCPRIM_400000_NS6detail17trampoline_kernelINS0_14default_configENS1_38merge_sort_block_merge_config_selectorIttEEZZNS1_27merge_sort_block_merge_implIS3_N6thrust23THRUST_200600_302600_NS6detail15normal_iteratorINS8_10device_ptrItEEEESD_jNS1_19radix_merge_compareILb0ELb1EtNS0_19identity_decomposerEEEEE10hipError_tT0_T1_T2_jT3_P12ihipStream_tbPNSt15iterator_traitsISI_E10value_typeEPNSO_ISJ_E10value_typeEPSK_NS1_7vsmem_tEENKUlT_SI_SJ_SK_E_clIPtSD_S10_SD_EESH_SX_SI_SJ_SK_EUlSX_E_NS1_11comp_targetILNS1_3genE8ELNS1_11target_archE1030ELNS1_3gpuE2ELNS1_3repE0EEENS1_48merge_mergepath_partition_config_static_selectorELNS0_4arch9wavefront6targetE1EEEvSJ_
		.amdhsa_group_segment_fixed_size 0
		.amdhsa_private_segment_fixed_size 0
		.amdhsa_kernarg_size 40
		.amdhsa_user_sgpr_count 2
		.amdhsa_user_sgpr_dispatch_ptr 0
		.amdhsa_user_sgpr_queue_ptr 0
		.amdhsa_user_sgpr_kernarg_segment_ptr 1
		.amdhsa_user_sgpr_dispatch_id 0
		.amdhsa_user_sgpr_kernarg_preload_length 0
		.amdhsa_user_sgpr_kernarg_preload_offset 0
		.amdhsa_user_sgpr_private_segment_size 0
		.amdhsa_uses_dynamic_stack 0
		.amdhsa_enable_private_segment 0
		.amdhsa_system_sgpr_workgroup_id_x 1
		.amdhsa_system_sgpr_workgroup_id_y 0
		.amdhsa_system_sgpr_workgroup_id_z 0
		.amdhsa_system_sgpr_workgroup_info 0
		.amdhsa_system_vgpr_workitem_id 0
		.amdhsa_next_free_vgpr 1
		.amdhsa_next_free_sgpr 0
		.amdhsa_accum_offset 4
		.amdhsa_reserve_vcc 0
		.amdhsa_float_round_mode_32 0
		.amdhsa_float_round_mode_16_64 0
		.amdhsa_float_denorm_mode_32 3
		.amdhsa_float_denorm_mode_16_64 3
		.amdhsa_dx10_clamp 1
		.amdhsa_ieee_mode 1
		.amdhsa_fp16_overflow 0
		.amdhsa_tg_split 0
		.amdhsa_exception_fp_ieee_invalid_op 0
		.amdhsa_exception_fp_denorm_src 0
		.amdhsa_exception_fp_ieee_div_zero 0
		.amdhsa_exception_fp_ieee_overflow 0
		.amdhsa_exception_fp_ieee_underflow 0
		.amdhsa_exception_fp_ieee_inexact 0
		.amdhsa_exception_int_div_zero 0
	.end_amdhsa_kernel
	.section	.text._ZN7rocprim17ROCPRIM_400000_NS6detail17trampoline_kernelINS0_14default_configENS1_38merge_sort_block_merge_config_selectorIttEEZZNS1_27merge_sort_block_merge_implIS3_N6thrust23THRUST_200600_302600_NS6detail15normal_iteratorINS8_10device_ptrItEEEESD_jNS1_19radix_merge_compareILb0ELb1EtNS0_19identity_decomposerEEEEE10hipError_tT0_T1_T2_jT3_P12ihipStream_tbPNSt15iterator_traitsISI_E10value_typeEPNSO_ISJ_E10value_typeEPSK_NS1_7vsmem_tEENKUlT_SI_SJ_SK_E_clIPtSD_S10_SD_EESH_SX_SI_SJ_SK_EUlSX_E_NS1_11comp_targetILNS1_3genE8ELNS1_11target_archE1030ELNS1_3gpuE2ELNS1_3repE0EEENS1_48merge_mergepath_partition_config_static_selectorELNS0_4arch9wavefront6targetE1EEEvSJ_,"axG",@progbits,_ZN7rocprim17ROCPRIM_400000_NS6detail17trampoline_kernelINS0_14default_configENS1_38merge_sort_block_merge_config_selectorIttEEZZNS1_27merge_sort_block_merge_implIS3_N6thrust23THRUST_200600_302600_NS6detail15normal_iteratorINS8_10device_ptrItEEEESD_jNS1_19radix_merge_compareILb0ELb1EtNS0_19identity_decomposerEEEEE10hipError_tT0_T1_T2_jT3_P12ihipStream_tbPNSt15iterator_traitsISI_E10value_typeEPNSO_ISJ_E10value_typeEPSK_NS1_7vsmem_tEENKUlT_SI_SJ_SK_E_clIPtSD_S10_SD_EESH_SX_SI_SJ_SK_EUlSX_E_NS1_11comp_targetILNS1_3genE8ELNS1_11target_archE1030ELNS1_3gpuE2ELNS1_3repE0EEENS1_48merge_mergepath_partition_config_static_selectorELNS0_4arch9wavefront6targetE1EEEvSJ_,comdat
.Lfunc_end906:
	.size	_ZN7rocprim17ROCPRIM_400000_NS6detail17trampoline_kernelINS0_14default_configENS1_38merge_sort_block_merge_config_selectorIttEEZZNS1_27merge_sort_block_merge_implIS3_N6thrust23THRUST_200600_302600_NS6detail15normal_iteratorINS8_10device_ptrItEEEESD_jNS1_19radix_merge_compareILb0ELb1EtNS0_19identity_decomposerEEEEE10hipError_tT0_T1_T2_jT3_P12ihipStream_tbPNSt15iterator_traitsISI_E10value_typeEPNSO_ISJ_E10value_typeEPSK_NS1_7vsmem_tEENKUlT_SI_SJ_SK_E_clIPtSD_S10_SD_EESH_SX_SI_SJ_SK_EUlSX_E_NS1_11comp_targetILNS1_3genE8ELNS1_11target_archE1030ELNS1_3gpuE2ELNS1_3repE0EEENS1_48merge_mergepath_partition_config_static_selectorELNS0_4arch9wavefront6targetE1EEEvSJ_, .Lfunc_end906-_ZN7rocprim17ROCPRIM_400000_NS6detail17trampoline_kernelINS0_14default_configENS1_38merge_sort_block_merge_config_selectorIttEEZZNS1_27merge_sort_block_merge_implIS3_N6thrust23THRUST_200600_302600_NS6detail15normal_iteratorINS8_10device_ptrItEEEESD_jNS1_19radix_merge_compareILb0ELb1EtNS0_19identity_decomposerEEEEE10hipError_tT0_T1_T2_jT3_P12ihipStream_tbPNSt15iterator_traitsISI_E10value_typeEPNSO_ISJ_E10value_typeEPSK_NS1_7vsmem_tEENKUlT_SI_SJ_SK_E_clIPtSD_S10_SD_EESH_SX_SI_SJ_SK_EUlSX_E_NS1_11comp_targetILNS1_3genE8ELNS1_11target_archE1030ELNS1_3gpuE2ELNS1_3repE0EEENS1_48merge_mergepath_partition_config_static_selectorELNS0_4arch9wavefront6targetE1EEEvSJ_
                                        ; -- End function
	.set _ZN7rocprim17ROCPRIM_400000_NS6detail17trampoline_kernelINS0_14default_configENS1_38merge_sort_block_merge_config_selectorIttEEZZNS1_27merge_sort_block_merge_implIS3_N6thrust23THRUST_200600_302600_NS6detail15normal_iteratorINS8_10device_ptrItEEEESD_jNS1_19radix_merge_compareILb0ELb1EtNS0_19identity_decomposerEEEEE10hipError_tT0_T1_T2_jT3_P12ihipStream_tbPNSt15iterator_traitsISI_E10value_typeEPNSO_ISJ_E10value_typeEPSK_NS1_7vsmem_tEENKUlT_SI_SJ_SK_E_clIPtSD_S10_SD_EESH_SX_SI_SJ_SK_EUlSX_E_NS1_11comp_targetILNS1_3genE8ELNS1_11target_archE1030ELNS1_3gpuE2ELNS1_3repE0EEENS1_48merge_mergepath_partition_config_static_selectorELNS0_4arch9wavefront6targetE1EEEvSJ_.num_vgpr, 0
	.set _ZN7rocprim17ROCPRIM_400000_NS6detail17trampoline_kernelINS0_14default_configENS1_38merge_sort_block_merge_config_selectorIttEEZZNS1_27merge_sort_block_merge_implIS3_N6thrust23THRUST_200600_302600_NS6detail15normal_iteratorINS8_10device_ptrItEEEESD_jNS1_19radix_merge_compareILb0ELb1EtNS0_19identity_decomposerEEEEE10hipError_tT0_T1_T2_jT3_P12ihipStream_tbPNSt15iterator_traitsISI_E10value_typeEPNSO_ISJ_E10value_typeEPSK_NS1_7vsmem_tEENKUlT_SI_SJ_SK_E_clIPtSD_S10_SD_EESH_SX_SI_SJ_SK_EUlSX_E_NS1_11comp_targetILNS1_3genE8ELNS1_11target_archE1030ELNS1_3gpuE2ELNS1_3repE0EEENS1_48merge_mergepath_partition_config_static_selectorELNS0_4arch9wavefront6targetE1EEEvSJ_.num_agpr, 0
	.set _ZN7rocprim17ROCPRIM_400000_NS6detail17trampoline_kernelINS0_14default_configENS1_38merge_sort_block_merge_config_selectorIttEEZZNS1_27merge_sort_block_merge_implIS3_N6thrust23THRUST_200600_302600_NS6detail15normal_iteratorINS8_10device_ptrItEEEESD_jNS1_19radix_merge_compareILb0ELb1EtNS0_19identity_decomposerEEEEE10hipError_tT0_T1_T2_jT3_P12ihipStream_tbPNSt15iterator_traitsISI_E10value_typeEPNSO_ISJ_E10value_typeEPSK_NS1_7vsmem_tEENKUlT_SI_SJ_SK_E_clIPtSD_S10_SD_EESH_SX_SI_SJ_SK_EUlSX_E_NS1_11comp_targetILNS1_3genE8ELNS1_11target_archE1030ELNS1_3gpuE2ELNS1_3repE0EEENS1_48merge_mergepath_partition_config_static_selectorELNS0_4arch9wavefront6targetE1EEEvSJ_.numbered_sgpr, 0
	.set _ZN7rocprim17ROCPRIM_400000_NS6detail17trampoline_kernelINS0_14default_configENS1_38merge_sort_block_merge_config_selectorIttEEZZNS1_27merge_sort_block_merge_implIS3_N6thrust23THRUST_200600_302600_NS6detail15normal_iteratorINS8_10device_ptrItEEEESD_jNS1_19radix_merge_compareILb0ELb1EtNS0_19identity_decomposerEEEEE10hipError_tT0_T1_T2_jT3_P12ihipStream_tbPNSt15iterator_traitsISI_E10value_typeEPNSO_ISJ_E10value_typeEPSK_NS1_7vsmem_tEENKUlT_SI_SJ_SK_E_clIPtSD_S10_SD_EESH_SX_SI_SJ_SK_EUlSX_E_NS1_11comp_targetILNS1_3genE8ELNS1_11target_archE1030ELNS1_3gpuE2ELNS1_3repE0EEENS1_48merge_mergepath_partition_config_static_selectorELNS0_4arch9wavefront6targetE1EEEvSJ_.num_named_barrier, 0
	.set _ZN7rocprim17ROCPRIM_400000_NS6detail17trampoline_kernelINS0_14default_configENS1_38merge_sort_block_merge_config_selectorIttEEZZNS1_27merge_sort_block_merge_implIS3_N6thrust23THRUST_200600_302600_NS6detail15normal_iteratorINS8_10device_ptrItEEEESD_jNS1_19radix_merge_compareILb0ELb1EtNS0_19identity_decomposerEEEEE10hipError_tT0_T1_T2_jT3_P12ihipStream_tbPNSt15iterator_traitsISI_E10value_typeEPNSO_ISJ_E10value_typeEPSK_NS1_7vsmem_tEENKUlT_SI_SJ_SK_E_clIPtSD_S10_SD_EESH_SX_SI_SJ_SK_EUlSX_E_NS1_11comp_targetILNS1_3genE8ELNS1_11target_archE1030ELNS1_3gpuE2ELNS1_3repE0EEENS1_48merge_mergepath_partition_config_static_selectorELNS0_4arch9wavefront6targetE1EEEvSJ_.private_seg_size, 0
	.set _ZN7rocprim17ROCPRIM_400000_NS6detail17trampoline_kernelINS0_14default_configENS1_38merge_sort_block_merge_config_selectorIttEEZZNS1_27merge_sort_block_merge_implIS3_N6thrust23THRUST_200600_302600_NS6detail15normal_iteratorINS8_10device_ptrItEEEESD_jNS1_19radix_merge_compareILb0ELb1EtNS0_19identity_decomposerEEEEE10hipError_tT0_T1_T2_jT3_P12ihipStream_tbPNSt15iterator_traitsISI_E10value_typeEPNSO_ISJ_E10value_typeEPSK_NS1_7vsmem_tEENKUlT_SI_SJ_SK_E_clIPtSD_S10_SD_EESH_SX_SI_SJ_SK_EUlSX_E_NS1_11comp_targetILNS1_3genE8ELNS1_11target_archE1030ELNS1_3gpuE2ELNS1_3repE0EEENS1_48merge_mergepath_partition_config_static_selectorELNS0_4arch9wavefront6targetE1EEEvSJ_.uses_vcc, 0
	.set _ZN7rocprim17ROCPRIM_400000_NS6detail17trampoline_kernelINS0_14default_configENS1_38merge_sort_block_merge_config_selectorIttEEZZNS1_27merge_sort_block_merge_implIS3_N6thrust23THRUST_200600_302600_NS6detail15normal_iteratorINS8_10device_ptrItEEEESD_jNS1_19radix_merge_compareILb0ELb1EtNS0_19identity_decomposerEEEEE10hipError_tT0_T1_T2_jT3_P12ihipStream_tbPNSt15iterator_traitsISI_E10value_typeEPNSO_ISJ_E10value_typeEPSK_NS1_7vsmem_tEENKUlT_SI_SJ_SK_E_clIPtSD_S10_SD_EESH_SX_SI_SJ_SK_EUlSX_E_NS1_11comp_targetILNS1_3genE8ELNS1_11target_archE1030ELNS1_3gpuE2ELNS1_3repE0EEENS1_48merge_mergepath_partition_config_static_selectorELNS0_4arch9wavefront6targetE1EEEvSJ_.uses_flat_scratch, 0
	.set _ZN7rocprim17ROCPRIM_400000_NS6detail17trampoline_kernelINS0_14default_configENS1_38merge_sort_block_merge_config_selectorIttEEZZNS1_27merge_sort_block_merge_implIS3_N6thrust23THRUST_200600_302600_NS6detail15normal_iteratorINS8_10device_ptrItEEEESD_jNS1_19radix_merge_compareILb0ELb1EtNS0_19identity_decomposerEEEEE10hipError_tT0_T1_T2_jT3_P12ihipStream_tbPNSt15iterator_traitsISI_E10value_typeEPNSO_ISJ_E10value_typeEPSK_NS1_7vsmem_tEENKUlT_SI_SJ_SK_E_clIPtSD_S10_SD_EESH_SX_SI_SJ_SK_EUlSX_E_NS1_11comp_targetILNS1_3genE8ELNS1_11target_archE1030ELNS1_3gpuE2ELNS1_3repE0EEENS1_48merge_mergepath_partition_config_static_selectorELNS0_4arch9wavefront6targetE1EEEvSJ_.has_dyn_sized_stack, 0
	.set _ZN7rocprim17ROCPRIM_400000_NS6detail17trampoline_kernelINS0_14default_configENS1_38merge_sort_block_merge_config_selectorIttEEZZNS1_27merge_sort_block_merge_implIS3_N6thrust23THRUST_200600_302600_NS6detail15normal_iteratorINS8_10device_ptrItEEEESD_jNS1_19radix_merge_compareILb0ELb1EtNS0_19identity_decomposerEEEEE10hipError_tT0_T1_T2_jT3_P12ihipStream_tbPNSt15iterator_traitsISI_E10value_typeEPNSO_ISJ_E10value_typeEPSK_NS1_7vsmem_tEENKUlT_SI_SJ_SK_E_clIPtSD_S10_SD_EESH_SX_SI_SJ_SK_EUlSX_E_NS1_11comp_targetILNS1_3genE8ELNS1_11target_archE1030ELNS1_3gpuE2ELNS1_3repE0EEENS1_48merge_mergepath_partition_config_static_selectorELNS0_4arch9wavefront6targetE1EEEvSJ_.has_recursion, 0
	.set _ZN7rocprim17ROCPRIM_400000_NS6detail17trampoline_kernelINS0_14default_configENS1_38merge_sort_block_merge_config_selectorIttEEZZNS1_27merge_sort_block_merge_implIS3_N6thrust23THRUST_200600_302600_NS6detail15normal_iteratorINS8_10device_ptrItEEEESD_jNS1_19radix_merge_compareILb0ELb1EtNS0_19identity_decomposerEEEEE10hipError_tT0_T1_T2_jT3_P12ihipStream_tbPNSt15iterator_traitsISI_E10value_typeEPNSO_ISJ_E10value_typeEPSK_NS1_7vsmem_tEENKUlT_SI_SJ_SK_E_clIPtSD_S10_SD_EESH_SX_SI_SJ_SK_EUlSX_E_NS1_11comp_targetILNS1_3genE8ELNS1_11target_archE1030ELNS1_3gpuE2ELNS1_3repE0EEENS1_48merge_mergepath_partition_config_static_selectorELNS0_4arch9wavefront6targetE1EEEvSJ_.has_indirect_call, 0
	.section	.AMDGPU.csdata,"",@progbits
; Kernel info:
; codeLenInByte = 0
; TotalNumSgprs: 6
; NumVgprs: 0
; NumAgprs: 0
; TotalNumVgprs: 0
; ScratchSize: 0
; MemoryBound: 0
; FloatMode: 240
; IeeeMode: 1
; LDSByteSize: 0 bytes/workgroup (compile time only)
; SGPRBlocks: 0
; VGPRBlocks: 0
; NumSGPRsForWavesPerEU: 6
; NumVGPRsForWavesPerEU: 1
; AccumOffset: 4
; Occupancy: 8
; WaveLimiterHint : 0
; COMPUTE_PGM_RSRC2:SCRATCH_EN: 0
; COMPUTE_PGM_RSRC2:USER_SGPR: 2
; COMPUTE_PGM_RSRC2:TRAP_HANDLER: 0
; COMPUTE_PGM_RSRC2:TGID_X_EN: 1
; COMPUTE_PGM_RSRC2:TGID_Y_EN: 0
; COMPUTE_PGM_RSRC2:TGID_Z_EN: 0
; COMPUTE_PGM_RSRC2:TIDIG_COMP_CNT: 0
; COMPUTE_PGM_RSRC3_GFX90A:ACCUM_OFFSET: 0
; COMPUTE_PGM_RSRC3_GFX90A:TG_SPLIT: 0
	.section	.text._ZN7rocprim17ROCPRIM_400000_NS6detail17trampoline_kernelINS0_14default_configENS1_38merge_sort_block_merge_config_selectorIttEEZZNS1_27merge_sort_block_merge_implIS3_N6thrust23THRUST_200600_302600_NS6detail15normal_iteratorINS8_10device_ptrItEEEESD_jNS1_19radix_merge_compareILb0ELb1EtNS0_19identity_decomposerEEEEE10hipError_tT0_T1_T2_jT3_P12ihipStream_tbPNSt15iterator_traitsISI_E10value_typeEPNSO_ISJ_E10value_typeEPSK_NS1_7vsmem_tEENKUlT_SI_SJ_SK_E_clIPtSD_S10_SD_EESH_SX_SI_SJ_SK_EUlSX_E0_NS1_11comp_targetILNS1_3genE0ELNS1_11target_archE4294967295ELNS1_3gpuE0ELNS1_3repE0EEENS1_38merge_mergepath_config_static_selectorELNS0_4arch9wavefront6targetE1EEEvSJ_,"axG",@progbits,_ZN7rocprim17ROCPRIM_400000_NS6detail17trampoline_kernelINS0_14default_configENS1_38merge_sort_block_merge_config_selectorIttEEZZNS1_27merge_sort_block_merge_implIS3_N6thrust23THRUST_200600_302600_NS6detail15normal_iteratorINS8_10device_ptrItEEEESD_jNS1_19radix_merge_compareILb0ELb1EtNS0_19identity_decomposerEEEEE10hipError_tT0_T1_T2_jT3_P12ihipStream_tbPNSt15iterator_traitsISI_E10value_typeEPNSO_ISJ_E10value_typeEPSK_NS1_7vsmem_tEENKUlT_SI_SJ_SK_E_clIPtSD_S10_SD_EESH_SX_SI_SJ_SK_EUlSX_E0_NS1_11comp_targetILNS1_3genE0ELNS1_11target_archE4294967295ELNS1_3gpuE0ELNS1_3repE0EEENS1_38merge_mergepath_config_static_selectorELNS0_4arch9wavefront6targetE1EEEvSJ_,comdat
	.protected	_ZN7rocprim17ROCPRIM_400000_NS6detail17trampoline_kernelINS0_14default_configENS1_38merge_sort_block_merge_config_selectorIttEEZZNS1_27merge_sort_block_merge_implIS3_N6thrust23THRUST_200600_302600_NS6detail15normal_iteratorINS8_10device_ptrItEEEESD_jNS1_19radix_merge_compareILb0ELb1EtNS0_19identity_decomposerEEEEE10hipError_tT0_T1_T2_jT3_P12ihipStream_tbPNSt15iterator_traitsISI_E10value_typeEPNSO_ISJ_E10value_typeEPSK_NS1_7vsmem_tEENKUlT_SI_SJ_SK_E_clIPtSD_S10_SD_EESH_SX_SI_SJ_SK_EUlSX_E0_NS1_11comp_targetILNS1_3genE0ELNS1_11target_archE4294967295ELNS1_3gpuE0ELNS1_3repE0EEENS1_38merge_mergepath_config_static_selectorELNS0_4arch9wavefront6targetE1EEEvSJ_ ; -- Begin function _ZN7rocprim17ROCPRIM_400000_NS6detail17trampoline_kernelINS0_14default_configENS1_38merge_sort_block_merge_config_selectorIttEEZZNS1_27merge_sort_block_merge_implIS3_N6thrust23THRUST_200600_302600_NS6detail15normal_iteratorINS8_10device_ptrItEEEESD_jNS1_19radix_merge_compareILb0ELb1EtNS0_19identity_decomposerEEEEE10hipError_tT0_T1_T2_jT3_P12ihipStream_tbPNSt15iterator_traitsISI_E10value_typeEPNSO_ISJ_E10value_typeEPSK_NS1_7vsmem_tEENKUlT_SI_SJ_SK_E_clIPtSD_S10_SD_EESH_SX_SI_SJ_SK_EUlSX_E0_NS1_11comp_targetILNS1_3genE0ELNS1_11target_archE4294967295ELNS1_3gpuE0ELNS1_3repE0EEENS1_38merge_mergepath_config_static_selectorELNS0_4arch9wavefront6targetE1EEEvSJ_
	.globl	_ZN7rocprim17ROCPRIM_400000_NS6detail17trampoline_kernelINS0_14default_configENS1_38merge_sort_block_merge_config_selectorIttEEZZNS1_27merge_sort_block_merge_implIS3_N6thrust23THRUST_200600_302600_NS6detail15normal_iteratorINS8_10device_ptrItEEEESD_jNS1_19radix_merge_compareILb0ELb1EtNS0_19identity_decomposerEEEEE10hipError_tT0_T1_T2_jT3_P12ihipStream_tbPNSt15iterator_traitsISI_E10value_typeEPNSO_ISJ_E10value_typeEPSK_NS1_7vsmem_tEENKUlT_SI_SJ_SK_E_clIPtSD_S10_SD_EESH_SX_SI_SJ_SK_EUlSX_E0_NS1_11comp_targetILNS1_3genE0ELNS1_11target_archE4294967295ELNS1_3gpuE0ELNS1_3repE0EEENS1_38merge_mergepath_config_static_selectorELNS0_4arch9wavefront6targetE1EEEvSJ_
	.p2align	8
	.type	_ZN7rocprim17ROCPRIM_400000_NS6detail17trampoline_kernelINS0_14default_configENS1_38merge_sort_block_merge_config_selectorIttEEZZNS1_27merge_sort_block_merge_implIS3_N6thrust23THRUST_200600_302600_NS6detail15normal_iteratorINS8_10device_ptrItEEEESD_jNS1_19radix_merge_compareILb0ELb1EtNS0_19identity_decomposerEEEEE10hipError_tT0_T1_T2_jT3_P12ihipStream_tbPNSt15iterator_traitsISI_E10value_typeEPNSO_ISJ_E10value_typeEPSK_NS1_7vsmem_tEENKUlT_SI_SJ_SK_E_clIPtSD_S10_SD_EESH_SX_SI_SJ_SK_EUlSX_E0_NS1_11comp_targetILNS1_3genE0ELNS1_11target_archE4294967295ELNS1_3gpuE0ELNS1_3repE0EEENS1_38merge_mergepath_config_static_selectorELNS0_4arch9wavefront6targetE1EEEvSJ_,@function
_ZN7rocprim17ROCPRIM_400000_NS6detail17trampoline_kernelINS0_14default_configENS1_38merge_sort_block_merge_config_selectorIttEEZZNS1_27merge_sort_block_merge_implIS3_N6thrust23THRUST_200600_302600_NS6detail15normal_iteratorINS8_10device_ptrItEEEESD_jNS1_19radix_merge_compareILb0ELb1EtNS0_19identity_decomposerEEEEE10hipError_tT0_T1_T2_jT3_P12ihipStream_tbPNSt15iterator_traitsISI_E10value_typeEPNSO_ISJ_E10value_typeEPSK_NS1_7vsmem_tEENKUlT_SI_SJ_SK_E_clIPtSD_S10_SD_EESH_SX_SI_SJ_SK_EUlSX_E0_NS1_11comp_targetILNS1_3genE0ELNS1_11target_archE4294967295ELNS1_3gpuE0ELNS1_3repE0EEENS1_38merge_mergepath_config_static_selectorELNS0_4arch9wavefront6targetE1EEEvSJ_: ; @_ZN7rocprim17ROCPRIM_400000_NS6detail17trampoline_kernelINS0_14default_configENS1_38merge_sort_block_merge_config_selectorIttEEZZNS1_27merge_sort_block_merge_implIS3_N6thrust23THRUST_200600_302600_NS6detail15normal_iteratorINS8_10device_ptrItEEEESD_jNS1_19radix_merge_compareILb0ELb1EtNS0_19identity_decomposerEEEEE10hipError_tT0_T1_T2_jT3_P12ihipStream_tbPNSt15iterator_traitsISI_E10value_typeEPNSO_ISJ_E10value_typeEPSK_NS1_7vsmem_tEENKUlT_SI_SJ_SK_E_clIPtSD_S10_SD_EESH_SX_SI_SJ_SK_EUlSX_E0_NS1_11comp_targetILNS1_3genE0ELNS1_11target_archE4294967295ELNS1_3gpuE0ELNS1_3repE0EEENS1_38merge_mergepath_config_static_selectorELNS0_4arch9wavefront6targetE1EEEvSJ_
; %bb.0:
	s_load_dwordx2 s[30:31], s[0:1], 0x40
	s_load_dword s5, s[0:1], 0x30
	s_add_u32 s26, s0, 64
	s_addc_u32 s27, s1, 0
	s_waitcnt lgkmcnt(0)
	s_mul_i32 s4, s31, s4
	s_add_i32 s3, s4, s3
	s_mul_i32 s3, s3, s30
	s_add_i32 s28, s3, s2
	s_cmp_ge_u32 s28, s5
	s_cbranch_scc1 .LBB907_70
; %bb.1:
	s_load_dwordx8 s[16:23], s[0:1], 0x10
	s_load_dwordx2 s[10:11], s[0:1], 0x8
	s_load_dwordx2 s[4:5], s[0:1], 0x38
	s_mov_b32 s29, 0
	s_mov_b32 s13, s29
	s_waitcnt lgkmcnt(0)
	s_lshr_b32 s31, s22, 10
	s_cmp_lg_u32 s28, s31
	s_cselect_b64 s[24:25], -1, 0
	s_lshl_b64 s[6:7], s[28:29], 2
	s_add_u32 s4, s4, s6
	s_addc_u32 s5, s5, s7
	s_lshr_b32 s3, s23, 9
	s_and_b32 s3, s3, 0x7ffffe
	s_load_dwordx2 s[6:7], s[4:5], 0x0
	s_sub_i32 s3, 0, s3
	s_and_b32 s4, s28, s3
	s_lshl_b32 s5, s4, 10
	s_lshl_b32 s14, s28, 10
	;; [unrolled: 1-line block ×3, first 2 shown]
	s_sub_i32 s8, s14, s5
	s_add_i32 s4, s4, s23
	s_add_i32 s8, s4, s8
	s_waitcnt lgkmcnt(0)
	s_sub_i32 s9, s8, s6
	s_sub_i32 s8, s8, s7
	s_sub_i32 s4, s4, s5
	s_min_u32 s12, s22, s9
	s_addk_i32 s8, 0x400
	s_or_b32 s3, s28, s3
	s_min_u32 s5, s22, s4
	s_add_i32 s4, s4, s23
	s_cmp_eq_u32 s3, -1
	s_cselect_b32 s3, s4, s8
	s_cselect_b32 s4, s5, s7
	s_mov_b32 s7, s29
	s_min_u32 s23, s3, s22
	s_sub_i32 s15, s4, s6
	s_lshl_b64 s[4:5], s[6:7], 1
	s_add_u32 s8, s10, s4
	s_addc_u32 s9, s11, s5
	s_lshl_b64 s[6:7], s[12:13], 1
	s_add_u32 s10, s10, s6
	s_addc_u32 s11, s11, s7
	s_cmp_lt_u32 s2, s30
	v_mov_b32_e32 v11, 0
	s_cselect_b32 s2, 12, 18
	global_load_dword v1, v11, s[26:27] offset:14
	s_add_u32 s2, s26, s2
	s_addc_u32 s3, s27, 0
	global_load_ushort v2, v11, s[2:3]
	s_cmp_eq_u32 s28, s31
	v_lshlrev_b32_e32 v10, 1, v0
	s_waitcnt vmcnt(1)
	v_lshrrev_b32_e32 v3, 16, v1
	v_and_b32_e32 v1, 0xffff, v1
	v_mul_lo_u32 v1, v1, v3
	s_waitcnt vmcnt(0)
	v_mul_lo_u32 v1, v1, v2
	v_add_u32_e32 v14, v1, v0
	v_add_u32_e32 v12, v14, v1
	s_cbranch_scc1 .LBB907_3
; %bb.2:
	v_subrev_co_u32_e32 v4, vcc, s15, v0
	v_mov_b32_e32 v5, v11
	v_lshl_add_u64 v[2:3], s[8:9], 0, v[10:11]
	v_lshl_add_u64 v[4:5], v[4:5], 1, s[10:11]
	v_cndmask_b32_e32 v3, v5, v3, vcc
	v_cndmask_b32_e32 v2, v4, v2, vcc
	v_mov_b32_e32 v15, v11
	v_subrev_co_u32_e32 v4, vcc, s15, v14
	v_mov_b32_e32 v5, v11
	global_load_ushort v8, v[2:3], off
	v_lshl_add_u64 v[2:3], v[14:15], 1, s[8:9]
	v_lshl_add_u64 v[4:5], v[4:5], 1, s[10:11]
	v_cndmask_b32_e32 v3, v5, v3, vcc
	v_cndmask_b32_e32 v2, v4, v2, vcc
	v_mov_b32_e32 v13, v11
	v_subrev_co_u32_e32 v4, vcc, s15, v12
	v_mov_b32_e32 v5, v11
	global_load_ushort v9, v[2:3], off
	v_lshl_add_u64 v[2:3], v[12:13], 1, s[8:9]
	v_lshl_add_u64 v[4:5], v[4:5], 1, s[10:11]
	v_cndmask_b32_e32 v3, v5, v3, vcc
	v_cndmask_b32_e32 v2, v4, v2, vcc
	global_load_ushort v13, v[2:3], off
	v_add_u32_e32 v2, v12, v1
	v_mov_b32_e32 v3, v11
	v_subrev_co_u32_e32 v6, vcc, s15, v2
	v_mov_b32_e32 v7, v11
	v_lshl_add_u64 v[4:5], v[2:3], 1, s[8:9]
	v_lshl_add_u64 v[6:7], v[6:7], 1, s[10:11]
	v_add_u32_e32 v2, v2, v1
	v_cndmask_b32_e32 v5, v7, v5, vcc
	v_cndmask_b32_e32 v4, v6, v4, vcc
	v_subrev_co_u32_e32 v6, vcc, s15, v2
	v_mov_b32_e32 v7, v11
	global_load_ushort v15, v[4:5], off
	v_lshl_add_u64 v[4:5], v[2:3], 1, s[8:9]
	v_lshl_add_u64 v[6:7], v[6:7], 1, s[10:11]
	v_add_u32_e32 v2, v2, v1
	v_cndmask_b32_e32 v5, v7, v5, vcc
	v_cndmask_b32_e32 v4, v6, v4, vcc
	v_subrev_co_u32_e32 v6, vcc, s15, v2
	v_mov_b32_e32 v7, v11
	global_load_ushort v16, v[4:5], off
	;; [unrolled: 8-line block ×3, first 2 shown]
	v_lshl_add_u64 v[4:5], v[2:3], 1, s[8:9]
	v_lshl_add_u64 v[6:7], v[6:7], 1, s[10:11]
	v_cndmask_b32_e32 v5, v7, v5, vcc
	v_cndmask_b32_e32 v4, v6, v4, vcc
	global_load_ushort v5, v[4:5], off
	s_mov_b32 s2, 0x5040100
	v_add_u32_e32 v6, v2, v1
	s_waitcnt vmcnt(5)
	v_perm_b32 v2, v9, v8, s2
	s_waitcnt vmcnt(3)
	v_perm_b32 v3, v15, v13, s2
	;; [unrolled: 2-line block ×3, first 2 shown]
	s_mov_b64 s[2:3], -1
	s_sub_i32 s23, s23, s12
	s_cbranch_execz .LBB907_4
	s_branch .LBB907_17
.LBB907_3:
	s_mov_b64 s[2:3], 0
                                        ; implicit-def: $vgpr6
                                        ; implicit-def: $vgpr2_vgpr3_vgpr4_vgpr5
	s_sub_i32 s23, s23, s12
.LBB907_4:
	s_add_i32 s12, s23, s15
	v_mov_b32_e32 v2, 0
	v_cmp_gt_u32_e32 vcc, s12, v0
	v_mov_b32_e32 v3, v2
	v_mov_b32_e32 v4, v2
	s_waitcnt vmcnt(0)
	v_mov_b32_e32 v5, v2
	s_and_saveexec_b64 s[2:3], vcc
	s_cbranch_execnz .LBB907_71
; %bb.5:
	s_or_b64 exec, exec, s[2:3]
	v_cmp_gt_u32_e32 vcc, s12, v14
	s_and_saveexec_b64 s[2:3], vcc
	s_cbranch_execnz .LBB907_72
.LBB907_6:
	s_or_b64 exec, exec, s[2:3]
	v_cmp_gt_u32_e32 vcc, s12, v12
	s_and_saveexec_b64 s[2:3], vcc
	s_cbranch_execz .LBB907_8
.LBB907_7:
	v_mov_b32_e32 v13, 0
	v_subrev_co_u32_e32 v8, vcc, s15, v12
	v_mov_b32_e32 v9, v13
	v_lshl_add_u64 v[6:7], v[12:13], 1, s[8:9]
	v_lshl_add_u64 v[8:9], v[8:9], 1, s[10:11]
	v_cndmask_b32_e32 v7, v9, v7, vcc
	v_cndmask_b32_e32 v6, v8, v6, vcc
	global_load_ushort v6, v[6:7], off
	s_mov_b32 s13, 0xffff
	s_waitcnt vmcnt(0)
	v_bfi_b32 v3, s13, v6, v3
.LBB907_8:
	s_or_b64 exec, exec, s[2:3]
	v_add_u32_e32 v6, v12, v1
	v_cmp_gt_u32_e32 vcc, s12, v6
	s_and_saveexec_b64 s[2:3], vcc
	s_cbranch_execz .LBB907_10
; %bb.9:
	v_mov_b32_e32 v7, 0
	v_subrev_co_u32_e32 v16, vcc, s15, v6
	v_mov_b32_e32 v17, v7
	v_lshl_add_u64 v[8:9], v[6:7], 1, s[8:9]
	v_lshl_add_u64 v[16:17], v[16:17], 1, s[10:11]
	v_cndmask_b32_e32 v9, v17, v9, vcc
	v_cndmask_b32_e32 v8, v16, v8, vcc
	global_load_ushort v7, v[8:9], off
	s_mov_b32 s13, 0x5040100
	s_waitcnt vmcnt(0)
	v_perm_b32 v3, v7, v3, s13
.LBB907_10:
	s_or_b64 exec, exec, s[2:3]
	v_add_u32_e32 v6, v6, v1
	v_cmp_gt_u32_e32 vcc, s12, v6
	s_and_saveexec_b64 s[2:3], vcc
	s_cbranch_execz .LBB907_12
; %bb.11:
	v_mov_b32_e32 v7, 0
	v_subrev_co_u32_e32 v16, vcc, s15, v6
	v_mov_b32_e32 v17, v7
	v_lshl_add_u64 v[8:9], v[6:7], 1, s[8:9]
	v_lshl_add_u64 v[16:17], v[16:17], 1, s[10:11]
	v_cndmask_b32_e32 v9, v17, v9, vcc
	v_cndmask_b32_e32 v8, v16, v8, vcc
	global_load_ushort v7, v[8:9], off
	s_mov_b32 s13, 0xffff
	s_waitcnt vmcnt(0)
	v_bfi_b32 v4, s13, v7, v4
.LBB907_12:
	s_or_b64 exec, exec, s[2:3]
	v_add_u32_e32 v6, v6, v1
	v_cmp_gt_u32_e32 vcc, s12, v6
	s_and_saveexec_b64 s[2:3], vcc
	s_cbranch_execz .LBB907_14
; %bb.13:
	v_mov_b32_e32 v7, 0
	v_subrev_co_u32_e32 v16, vcc, s15, v6
	v_mov_b32_e32 v17, v7
	v_lshl_add_u64 v[8:9], v[6:7], 1, s[8:9]
	v_lshl_add_u64 v[16:17], v[16:17], 1, s[10:11]
	v_cndmask_b32_e32 v9, v17, v9, vcc
	v_cndmask_b32_e32 v8, v16, v8, vcc
	global_load_ushort v7, v[8:9], off
	s_mov_b32 s13, 0x5040100
	s_waitcnt vmcnt(0)
	v_perm_b32 v4, v7, v4, s13
.LBB907_14:
	s_or_b64 exec, exec, s[2:3]
	v_add_u32_e32 v6, v6, v1
	v_cmp_gt_u32_e32 vcc, s12, v6
	s_and_saveexec_b64 s[2:3], vcc
	s_cbranch_execz .LBB907_16
; %bb.15:
	v_mov_b32_e32 v7, 0
	v_subrev_co_u32_e32 v16, vcc, s15, v6
	v_mov_b32_e32 v17, v7
	v_lshl_add_u64 v[8:9], v[6:7], 1, s[8:9]
	v_lshl_add_u64 v[16:17], v[16:17], 1, s[10:11]
	v_cndmask_b32_e32 v9, v17, v9, vcc
	v_cndmask_b32_e32 v8, v16, v8, vcc
	global_load_ushort v7, v[8:9], off
	s_mov_b32 s13, 0xffff
	s_waitcnt vmcnt(0)
	v_bfi_b32 v5, s13, v7, v5
.LBB907_16:
	s_or_b64 exec, exec, s[2:3]
	v_add_u32_e32 v6, v6, v1
	v_cmp_gt_u32_e64 s[2:3], s12, v6
.LBB907_17:
	s_and_saveexec_b64 s[12:13], s[2:3]
	s_cbranch_execz .LBB907_19
; %bb.18:
	v_mov_b32_e32 v7, 0
	v_lshl_add_u64 v[8:9], v[6:7], 1, s[8:9]
	v_subrev_co_u32_e32 v6, vcc, s15, v6
	v_lshl_add_u64 v[6:7], v[6:7], 1, s[10:11]
	s_nop 0
	v_cndmask_b32_e32 v7, v7, v9, vcc
	v_cndmask_b32_e32 v6, v6, v8, vcc
	global_load_ushort v6, v[6:7], off
	s_mov_b32 s2, 0x5040100
	s_waitcnt vmcnt(0)
	v_perm_b32 v5, v6, v5, s2
.LBB907_19:
	s_or_b64 exec, exec, s[12:13]
	s_add_u32 s2, s18, s4
	s_addc_u32 s3, s19, s5
	s_add_u32 s4, s18, s6
	v_mov_b32_e32 v11, 0
	v_lshrrev_b32_e32 v16, 16, v2
	v_lshrrev_b32_e32 v17, 16, v3
	;; [unrolled: 1-line block ×3, first 2 shown]
	s_waitcnt vmcnt(0)
	v_lshrrev_b32_e32 v19, 16, v5
	s_addc_u32 s5, s19, s7
	s_andn2_b64 vcc, exec, s[24:25]
	ds_write_b16 v10, v2
	ds_write_b16 v10, v16 offset:256
	ds_write_b16 v10, v3 offset:512
	;; [unrolled: 1-line block ×7, first 2 shown]
	s_cbranch_vccnz .LBB907_21
; %bb.20:
	v_subrev_co_u32_e32 v8, vcc, s15, v0
	v_mov_b32_e32 v9, v11
	v_lshl_add_u64 v[6:7], s[2:3], 0, v[10:11]
	v_lshl_add_u64 v[8:9], v[8:9], 1, s[4:5]
	v_cndmask_b32_e32 v7, v9, v7, vcc
	v_cndmask_b32_e32 v6, v8, v6, vcc
	v_mov_b32_e32 v15, v11
	v_subrev_co_u32_e32 v8, vcc, s15, v14
	v_mov_b32_e32 v9, v11
	global_load_ushort v22, v[6:7], off
	v_lshl_add_u64 v[6:7], v[14:15], 1, s[2:3]
	v_lshl_add_u64 v[8:9], v[8:9], 1, s[4:5]
	v_cndmask_b32_e32 v7, v9, v7, vcc
	v_cndmask_b32_e32 v6, v8, v6, vcc
	v_mov_b32_e32 v13, v11
	v_subrev_co_u32_e32 v8, vcc, s15, v12
	v_mov_b32_e32 v9, v11
	global_load_ushort v15, v[6:7], off
	v_lshl_add_u64 v[6:7], v[12:13], 1, s[2:3]
	v_lshl_add_u64 v[8:9], v[8:9], 1, s[4:5]
	v_cndmask_b32_e32 v7, v9, v7, vcc
	v_cndmask_b32_e32 v6, v8, v6, vcc
	global_load_ushort v13, v[6:7], off
	v_add_u32_e32 v6, v12, v1
	v_mov_b32_e32 v7, v11
	v_subrev_co_u32_e32 v20, vcc, s15, v6
	v_mov_b32_e32 v21, v11
	v_lshl_add_u64 v[8:9], v[6:7], 1, s[2:3]
	v_lshl_add_u64 v[20:21], v[20:21], 1, s[4:5]
	v_add_u32_e32 v6, v6, v1
	v_cndmask_b32_e32 v9, v21, v9, vcc
	v_cndmask_b32_e32 v8, v20, v8, vcc
	v_subrev_co_u32_e32 v20, vcc, s15, v6
	v_mov_b32_e32 v21, v11
	global_load_ushort v23, v[8:9], off
	v_lshl_add_u64 v[8:9], v[6:7], 1, s[2:3]
	v_lshl_add_u64 v[20:21], v[20:21], 1, s[4:5]
	v_add_u32_e32 v6, v6, v1
	v_cndmask_b32_e32 v9, v21, v9, vcc
	v_cndmask_b32_e32 v8, v20, v8, vcc
	v_subrev_co_u32_e32 v20, vcc, s15, v6
	v_mov_b32_e32 v21, v11
	global_load_ushort v24, v[8:9], off
	;; [unrolled: 8-line block ×3, first 2 shown]
	v_lshl_add_u64 v[8:9], v[6:7], 1, s[2:3]
	v_lshl_add_u64 v[20:21], v[20:21], 1, s[4:5]
	v_cndmask_b32_e32 v9, v21, v9, vcc
	v_cndmask_b32_e32 v8, v20, v8, vcc
	v_add_u32_e32 v6, v6, v1
	global_load_ushort v20, v[8:9], off
	v_lshl_add_u64 v[8:9], v[6:7], 1, s[2:3]
	v_subrev_co_u32_e32 v6, vcc, s15, v6
	v_lshl_add_u64 v[6:7], v[6:7], 1, s[4:5]
	s_nop 0
	v_cndmask_b32_e32 v7, v7, v9, vcc
	v_cndmask_b32_e32 v6, v6, v8, vcc
	global_load_ushort v9, v[6:7], off
	s_mov_b32 s6, 0x5040100
	s_add_i32 s26, s23, s15
	s_waitcnt vmcnt(6)
	v_perm_b32 v6, v15, v22, s6
	s_waitcnt vmcnt(4)
	v_perm_b32 v7, v23, v13, s6
	;; [unrolled: 2-line block ×4, first 2 shown]
	s_cbranch_execz .LBB907_22
	s_branch .LBB907_37
.LBB907_21:
                                        ; implicit-def: $vgpr6_vgpr7_vgpr8_vgpr9
                                        ; implicit-def: $sgpr26
.LBB907_22:
	s_add_i32 s26, s23, s15
	v_mov_b32_e32 v6, 0
	v_cmp_gt_u32_e32 vcc, s26, v0
	v_mov_b32_e32 v7, v6
	v_mov_b32_e32 v8, v6
	;; [unrolled: 1-line block ×3, first 2 shown]
	s_and_saveexec_b64 s[6:7], vcc
	s_cbranch_execnz .LBB907_73
; %bb.23:
	s_or_b64 exec, exec, s[6:7]
	v_cmp_gt_u32_e32 vcc, s26, v14
	s_and_saveexec_b64 s[6:7], vcc
	s_cbranch_execnz .LBB907_74
.LBB907_24:
	s_or_b64 exec, exec, s[6:7]
	v_cmp_gt_u32_e32 vcc, s26, v12
	s_and_saveexec_b64 s[6:7], vcc
	s_cbranch_execz .LBB907_26
.LBB907_25:
	v_mov_b32_e32 v13, 0
	v_subrev_co_u32_e32 v20, vcc, s15, v12
	v_mov_b32_e32 v21, v13
	v_lshl_add_u64 v[14:15], v[12:13], 1, s[2:3]
	v_lshl_add_u64 v[20:21], v[20:21], 1, s[4:5]
	v_cndmask_b32_e32 v15, v21, v15, vcc
	v_cndmask_b32_e32 v14, v20, v14, vcc
	global_load_ushort v11, v[14:15], off
	s_mov_b32 s8, 0xffff
	s_waitcnt vmcnt(0)
	v_bfi_b32 v7, s8, v11, v7
.LBB907_26:
	s_or_b64 exec, exec, s[6:7]
	v_add_u32_e32 v12, v12, v1
	v_cmp_gt_u32_e32 vcc, s26, v12
	s_and_saveexec_b64 s[6:7], vcc
	s_cbranch_execz .LBB907_28
; %bb.27:
	v_mov_b32_e32 v13, 0
	v_subrev_co_u32_e32 v20, vcc, s15, v12
	v_mov_b32_e32 v21, v13
	v_lshl_add_u64 v[14:15], v[12:13], 1, s[2:3]
	v_lshl_add_u64 v[20:21], v[20:21], 1, s[4:5]
	v_cndmask_b32_e32 v15, v21, v15, vcc
	v_cndmask_b32_e32 v14, v20, v14, vcc
	global_load_ushort v11, v[14:15], off
	s_mov_b32 s8, 0x5040100
	s_waitcnt vmcnt(0)
	v_perm_b32 v7, v11, v7, s8
.LBB907_28:
	s_or_b64 exec, exec, s[6:7]
	v_add_u32_e32 v12, v12, v1
	v_cmp_gt_u32_e32 vcc, s26, v12
	s_and_saveexec_b64 s[6:7], vcc
	s_cbranch_execz .LBB907_30
; %bb.29:
	v_mov_b32_e32 v13, 0
	v_subrev_co_u32_e32 v20, vcc, s15, v12
	v_mov_b32_e32 v21, v13
	v_lshl_add_u64 v[14:15], v[12:13], 1, s[2:3]
	v_lshl_add_u64 v[20:21], v[20:21], 1, s[4:5]
	v_cndmask_b32_e32 v15, v21, v15, vcc
	v_cndmask_b32_e32 v14, v20, v14, vcc
	global_load_ushort v11, v[14:15], off
	s_mov_b32 s8, 0xffff
	s_waitcnt vmcnt(0)
	v_bfi_b32 v8, s8, v11, v8
.LBB907_30:
	s_or_b64 exec, exec, s[6:7]
	v_add_u32_e32 v12, v12, v1
	v_cmp_gt_u32_e32 vcc, s26, v12
	s_and_saveexec_b64 s[6:7], vcc
	s_cbranch_execz .LBB907_32
; %bb.31:
	v_mov_b32_e32 v13, 0
	v_subrev_co_u32_e32 v20, vcc, s15, v12
	v_mov_b32_e32 v21, v13
	v_lshl_add_u64 v[14:15], v[12:13], 1, s[2:3]
	v_lshl_add_u64 v[20:21], v[20:21], 1, s[4:5]
	v_cndmask_b32_e32 v15, v21, v15, vcc
	v_cndmask_b32_e32 v14, v20, v14, vcc
	global_load_ushort v11, v[14:15], off
	s_mov_b32 s8, 0x5040100
	s_waitcnt vmcnt(0)
	v_perm_b32 v8, v11, v8, s8
.LBB907_32:
	s_or_b64 exec, exec, s[6:7]
	v_add_u32_e32 v12, v12, v1
	v_cmp_gt_u32_e32 vcc, s26, v12
	s_and_saveexec_b64 s[6:7], vcc
	s_cbranch_execz .LBB907_34
; %bb.33:
	v_mov_b32_e32 v13, 0
	v_subrev_co_u32_e32 v20, vcc, s15, v12
	v_mov_b32_e32 v21, v13
	v_lshl_add_u64 v[14:15], v[12:13], 1, s[2:3]
	v_lshl_add_u64 v[20:21], v[20:21], 1, s[4:5]
	v_cndmask_b32_e32 v15, v21, v15, vcc
	v_cndmask_b32_e32 v14, v20, v14, vcc
	global_load_ushort v11, v[14:15], off
	s_mov_b32 s8, 0xffff
	s_waitcnt vmcnt(0)
	v_bfi_b32 v9, s8, v11, v9
.LBB907_34:
	s_or_b64 exec, exec, s[6:7]
	v_add_u32_e32 v12, v12, v1
	v_cmp_gt_u32_e32 vcc, s26, v12
	s_and_saveexec_b64 s[6:7], vcc
	s_cbranch_execz .LBB907_36
; %bb.35:
	v_mov_b32_e32 v13, 0
	v_lshl_add_u64 v[14:15], v[12:13], 1, s[2:3]
	v_subrev_co_u32_e32 v12, vcc, s15, v12
	v_lshl_add_u64 v[12:13], v[12:13], 1, s[4:5]
	s_nop 0
	v_cndmask_b32_e32 v13, v13, v15, vcc
	v_cndmask_b32_e32 v12, v12, v14, vcc
	global_load_ushort v1, v[12:13], off
	s_mov_b32 s2, 0x5040100
	s_waitcnt vmcnt(0)
	v_perm_b32 v9, v1, v9, s2
.LBB907_36:
	s_or_b64 exec, exec, s[6:7]
.LBB907_37:
	s_load_dword s27, s[0:1], 0x34
	v_lshlrev_b32_e32 v1, 3, v0
	v_min_u32_e32 v11, s26, v1
	v_sub_u32_e64 v20, v11, s23 clamp
	v_min_u32_e32 v12, s15, v11
	v_cmp_lt_u32_e32 vcc, v20, v12
	s_waitcnt lgkmcnt(0)
	s_barrier
	s_and_saveexec_b64 s[0:1], vcc
	s_cbranch_execz .LBB907_41
; %bb.38:
	v_lshlrev_b32_e32 v13, 1, v11
	v_lshl_add_u32 v13, s15, 1, v13
	s_mov_b64 s[2:3], 0
.LBB907_39:                             ; =>This Inner Loop Header: Depth=1
	v_add_u32_e32 v14, v12, v20
	v_lshrrev_b32_e32 v15, 1, v14
	v_not_b32_e32 v21, v15
	v_and_b32_e32 v14, -2, v14
	v_lshl_add_u32 v21, v21, 1, v13
	ds_read_u16 v14, v14
	ds_read_u16 v21, v21
	v_add_u32_e32 v22, 1, v15
	s_waitcnt lgkmcnt(1)
	v_and_b32_e32 v14, s27, v14
	s_waitcnt lgkmcnt(0)
	v_and_b32_e32 v21, s27, v21
	v_cmp_gt_u16_e32 vcc, v14, v21
	s_nop 1
	v_cndmask_b32_e32 v12, v12, v15, vcc
	v_cndmask_b32_e32 v20, v22, v20, vcc
	v_cmp_ge_u32_e32 vcc, v20, v12
	s_or_b64 s[2:3], vcc, s[2:3]
	s_andn2_b64 exec, exec, s[2:3]
	s_cbranch_execnz .LBB907_39
; %bb.40:
	s_or_b64 exec, exec, s[2:3]
.LBB907_41:
	s_or_b64 exec, exec, s[0:1]
	v_sub_u32_e32 v11, v11, v20
	v_add_u32_e32 v24, s15, v11
	v_cmp_ge_u32_e32 vcc, s15, v20
	v_cmp_ge_u32_e64 s[0:1], s26, v24
	s_or_b64 s[0:1], vcc, s[0:1]
	v_mov_b32_e32 v23, 0
	v_mov_b32_e32 v22, 0
	;; [unrolled: 1-line block ×8, first 2 shown]
	s_and_saveexec_b64 s[18:19], s[0:1]
	s_cbranch_execz .LBB907_47
; %bb.42:
	v_cmp_gt_u32_e32 vcc, s15, v20
                                        ; implicit-def: $vgpr2
	s_and_saveexec_b64 s[0:1], vcc
; %bb.43:
	v_lshlrev_b32_e32 v2, 1, v20
	ds_read_u16 v2, v2
; %bb.44:
	s_or_b64 exec, exec, s[0:1]
	v_cmp_le_u32_e64 s[0:1], s26, v24
	v_cmp_gt_u32_e64 s[2:3], s26, v24
                                        ; implicit-def: $vgpr3
	s_and_saveexec_b64 s[4:5], s[2:3]
; %bb.45:
	v_lshlrev_b32_e32 v3, 1, v24
	ds_read_u16 v3, v3
; %bb.46:
	s_or_b64 exec, exec, s[4:5]
	s_waitcnt lgkmcnt(0)
	v_and_b32_e32 v4, s27, v3
	v_and_b32_e32 v5, s27, v2
	v_cmp_le_u16_e64 s[2:3], v5, v4
	s_and_b64 s[2:3], vcc, s[2:3]
	s_or_b64 vcc, s[0:1], s[2:3]
	v_mov_b32_e32 v4, s26
	v_mov_b32_e32 v5, s15
	v_cndmask_b32_e32 v11, v24, v20, vcc
	v_cndmask_b32_e32 v12, v4, v5, vcc
	v_add_u32_e32 v13, 1, v11
	v_add_u32_e32 v12, -1, v12
	v_min_u32_e32 v12, v13, v12
	v_lshlrev_b32_e32 v12, 1, v12
	ds_read_u16 v12, v12
	v_cndmask_b32_e32 v14, v13, v24, vcc
	v_cndmask_b32_e32 v13, v20, v13, vcc
	v_cmp_gt_u32_e64 s[2:3], s15, v13
	v_cmp_le_u32_e64 s[0:1], s26, v14
	s_waitcnt lgkmcnt(0)
	v_cndmask_b32_e32 v16, v12, v3, vcc
	v_cndmask_b32_e32 v17, v2, v12, vcc
	v_and_b32_e32 v12, s27, v16
	v_and_b32_e32 v15, s27, v17
	v_cmp_le_u16_e64 s[4:5], v15, v12
	s_and_b64 s[2:3], s[2:3], s[4:5]
	s_or_b64 s[0:1], s[0:1], s[2:3]
	v_cndmask_b32_e64 v12, v14, v13, s[0:1]
	v_cndmask_b32_e64 v15, v4, v5, s[0:1]
	v_add_u32_e32 v18, 1, v12
	v_add_u32_e32 v15, -1, v15
	v_min_u32_e32 v15, v18, v15
	v_lshlrev_b32_e32 v15, 1, v15
	ds_read_u16 v15, v15
	v_cndmask_b32_e64 v14, v18, v14, s[0:1]
	v_cmp_le_u32_e64 s[2:3], s26, v14
	v_cndmask_b32_e32 v2, v3, v2, vcc
	s_waitcnt lgkmcnt(0)
	v_cndmask_b32_e64 v19, v15, v16, s[0:1]
	v_cndmask_b32_e64 v20, v17, v15, s[0:1]
	;; [unrolled: 1-line block ×3, first 2 shown]
	v_and_b32_e32 v13, s27, v19
	v_and_b32_e32 v18, s27, v20
	v_cmp_gt_u32_e64 s[4:5], s15, v15
	v_cmp_le_u16_e64 s[6:7], v18, v13
	s_and_b64 s[4:5], s[4:5], s[6:7]
	s_or_b64 s[2:3], s[2:3], s[4:5]
	v_cndmask_b32_e64 v13, v14, v15, s[2:3]
	v_cndmask_b32_e64 v18, v4, v5, s[2:3]
	v_add_u32_e32 v21, 1, v13
	v_add_u32_e32 v18, -1, v18
	v_min_u32_e32 v18, v21, v18
	v_lshlrev_b32_e32 v18, 1, v18
	ds_read_u16 v18, v18
	v_cndmask_b32_e64 v22, v21, v14, s[2:3]
	v_cndmask_b32_e64 v15, v15, v21, s[2:3]
	v_cmp_gt_u32_e64 s[6:7], s15, v15
	v_cmp_le_u32_e64 s[4:5], s26, v22
	s_waitcnt lgkmcnt(0)
	v_cndmask_b32_e64 v23, v18, v19, s[2:3]
	v_cndmask_b32_e64 v18, v20, v18, s[2:3]
	v_and_b32_e32 v14, s27, v23
	v_and_b32_e32 v21, s27, v18
	v_cmp_le_u16_e64 s[8:9], v21, v14
	s_and_b64 s[6:7], s[6:7], s[8:9]
	s_or_b64 s[4:5], s[4:5], s[6:7]
	v_cndmask_b32_e64 v14, v22, v15, s[4:5]
	v_cndmask_b32_e64 v21, v4, v5, s[4:5]
	v_add_u32_e32 v24, 1, v14
	v_add_u32_e32 v21, -1, v21
	v_min_u32_e32 v21, v24, v21
	v_lshlrev_b32_e32 v21, 1, v21
	ds_read_u16 v21, v21
	v_cndmask_b32_e64 v3, v19, v20, s[2:3]
	v_cndmask_b32_e64 v16, v16, v17, s[0:1]
	s_waitcnt lgkmcnt(0)
	v_cndmask_b32_e64 v25, v21, v23, s[4:5]
	v_cndmask_b32_e64 v26, v18, v21, s[4:5]
	v_cndmask_b32_e64 v21, v24, v22, s[4:5]
	v_cndmask_b32_e64 v22, v15, v24, s[4:5]
	v_and_b32_e32 v15, s27, v25
	v_and_b32_e32 v24, s27, v26
	v_cmp_gt_u32_e64 s[8:9], s15, v22
	v_cmp_le_u16_e64 s[10:11], v24, v15
	v_cmp_le_u32_e64 s[6:7], s26, v21
	s_and_b64 s[8:9], s[8:9], s[10:11]
	s_or_b64 s[6:7], s[6:7], s[8:9]
	v_cndmask_b32_e64 v15, v21, v22, s[6:7]
	v_cndmask_b32_e64 v24, v4, v5, s[6:7]
	v_add_u32_e32 v27, 1, v15
	v_add_u32_e32 v24, -1, v24
	v_min_u32_e32 v24, v27, v24
	v_lshlrev_b32_e32 v24, 1, v24
	ds_read_u16 v24, v24
	v_cndmask_b32_e64 v29, v27, v21, s[6:7]
	v_cndmask_b32_e64 v22, v22, v27, s[6:7]
	v_cmp_gt_u32_e64 s[10:11], s15, v22
	v_cmp_le_u32_e64 s[8:9], s26, v29
	s_waitcnt lgkmcnt(0)
	v_cndmask_b32_e64 v28, v24, v25, s[6:7]
	v_cndmask_b32_e64 v24, v26, v24, s[6:7]
	v_and_b32_e32 v21, s27, v28
	v_and_b32_e32 v27, s27, v24
	v_cmp_le_u16_e64 s[12:13], v27, v21
	s_and_b64 s[10:11], s[10:11], s[12:13]
	s_or_b64 s[8:9], s[8:9], s[10:11]
	v_cndmask_b32_e64 v21, v29, v22, s[8:9]
	v_cndmask_b32_e64 v27, v4, v5, s[8:9]
	v_add_u32_e32 v30, 1, v21
	v_add_u32_e32 v27, -1, v27
	v_min_u32_e32 v27, v30, v27
	v_lshlrev_b32_e32 v27, 1, v27
	ds_read_u16 v27, v27
	s_waitcnt lgkmcnt(0)
	v_cndmask_b32_e64 v19, v27, v28, s[8:9]
	v_cndmask_b32_e64 v20, v24, v27, s[8:9]
	v_cndmask_b32_e64 v27, v30, v29, s[8:9]
	v_cndmask_b32_e64 v29, v22, v30, s[8:9]
	v_and_b32_e32 v17, s27, v19
	v_and_b32_e32 v22, s27, v20
	v_cmp_gt_u32_e64 s[0:1], s15, v29
	v_cmp_le_u16_e64 s[2:3], v22, v17
	v_cmp_le_u32_e32 vcc, s26, v27
	s_and_b64 s[0:1], s[0:1], s[2:3]
	s_or_b64 vcc, vcc, s[0:1]
	v_cndmask_b32_e32 v22, v27, v29, vcc
	v_cndmask_b32_e32 v4, v4, v5, vcc
	v_add_u32_e32 v30, 1, v22
	v_add_u32_e32 v4, -1, v4
	v_min_u32_e32 v4, v30, v4
	v_lshlrev_b32_e32 v4, 1, v4
	ds_read_u16 v31, v4
	v_cndmask_b32_e32 v5, v19, v20, vcc
	v_cndmask_b32_e64 v17, v23, v18, s[4:5]
	v_cndmask_b32_e64 v4, v25, v26, s[6:7]
	;; [unrolled: 1-line block ×3, first 2 shown]
	s_waitcnt lgkmcnt(0)
	v_cndmask_b32_e32 v19, v31, v19, vcc
	v_cndmask_b32_e32 v20, v20, v31, vcc
	;; [unrolled: 1-line block ×3, first 2 shown]
	v_and_b32_e32 v25, s27, v19
	v_and_b32_e32 v26, s27, v20
	v_cndmask_b32_e32 v23, v30, v27, vcc
	v_cmp_gt_u32_e64 s[0:1], s15, v24
	v_cmp_le_u16_e64 s[2:3], v26, v25
	v_cmp_le_u32_e32 vcc, s26, v23
	s_and_b64 s[0:1], s[0:1], s[2:3]
	s_or_b64 vcc, vcc, s[0:1]
	v_cndmask_b32_e32 v23, v23, v24, vcc
	v_cndmask_b32_e32 v19, v19, v20, vcc
.LBB907_47:
	s_or_b64 exec, exec, s[18:19]
	s_barrier
	ds_write_b16 v10, v6
	ds_write_b16_d16_hi v10, v6 offset:256
	ds_write_b16 v10, v7 offset:512
	ds_write_b16_d16_hi v10, v7 offset:768
	ds_write_b16 v10, v8 offset:1024
	;; [unrolled: 2-line block ×3, first 2 shown]
	ds_write_b16_d16_hi v10, v9 offset:1792
	v_lshlrev_b32_e32 v6, 1, v11
	v_lshlrev_b32_e32 v7, 1, v12
	;; [unrolled: 1-line block ×7, first 2 shown]
	s_waitcnt lgkmcnt(0)
	s_barrier
	v_lshlrev_b32_e32 v20, 1, v23
	ds_read_u16 v6, v6
	ds_read_u16 v7, v7
	;; [unrolled: 1-line block ×8, first 2 shown]
	v_lshrrev_b32_e32 v11, 1, v0
	v_and_b32_e32 v11, 60, v11
	s_mov_b32 s0, 0x5040100
	v_lshl_add_u32 v1, v1, 1, v11
	v_perm_b32 v3, v17, v3, s0
	v_perm_b32 v2, v16, v2, s0
	s_waitcnt lgkmcnt(0)
	s_barrier
	s_barrier
	ds_write2_b32 v1, v2, v3 offset1:1
	v_perm_b32 v2, v19, v5, s0
	v_perm_b32 v3, v18, v4, s0
	ds_write2_b32 v1, v3, v2 offset0:2 offset1:3
	v_lshrrev_b32_e32 v2, 4, v0
	v_and_b32_e32 v2, 4, v2
	v_or_b32_e32 v28, 0x80, v0
	v_add_u32_e32 v4, v2, v10
	v_lshrrev_b32_e32 v2, 4, v28
	v_and_b32_e32 v2, 12, v2
	v_or_b32_e32 v27, 0x100, v0
	v_add_u32_e32 v5, v2, v10
	v_lshrrev_b32_e32 v2, 4, v27
	v_and_b32_e32 v2, 20, v2
	v_or_b32_e32 v26, 0x180, v0
	v_add_u32_e32 v16, v2, v10
	v_lshrrev_b32_e32 v2, 4, v26
	v_and_b32_e32 v2, 28, v2
	v_or_b32_e32 v25, 0x200, v0
	v_add_u32_e32 v17, v2, v10
	v_lshrrev_b32_e32 v2, 4, v25
	v_and_b32_e32 v2, 36, v2
	v_or_b32_e32 v24, 0x280, v0
	v_add_u32_e32 v18, v2, v10
	v_lshrrev_b32_e32 v2, 4, v24
	v_and_b32_e32 v2, 44, v2
	v_or_b32_e32 v23, 0x300, v0
	s_mov_b32 s15, 0
	v_add_u32_e32 v19, v2, v10
	v_lshrrev_b32_e32 v2, 4, v23
	s_lshl_b64 s[12:13], s[14:15], 1
	v_and_b32_e32 v2, 52, v2
	v_or_b32_e32 v22, 0x380, v0
	s_add_u32 s2, s16, s12
	v_add_u32_e32 v20, v2, v10
	v_lshrrev_b32_e32 v2, 4, v22
	s_addc_u32 s3, s17, s13
	v_and_b32_e32 v2, 60, v2
	v_mov_b32_e32 v11, 0
	v_add_u32_e32 v21, v2, v10
	v_lshl_add_u64 v[2:3], s[2:3], 0, v[10:11]
	s_and_b64 vcc, exec, s[24:25]
	s_waitcnt lgkmcnt(0)
	s_cbranch_vccz .LBB907_49
; %bb.48:
	s_barrier
	ds_read_u16 v11, v4
	ds_read_u16 v29, v5 offset:256
	ds_read_u16 v30, v16 offset:512
	;; [unrolled: 1-line block ×7, first 2 shown]
	s_add_u32 s2, s20, s12
	s_addc_u32 s3, s21, s13
	s_waitcnt lgkmcnt(7)
	global_store_short v[2:3], v11, off
	s_waitcnt lgkmcnt(6)
	global_store_short v[2:3], v29, off offset:256
	s_waitcnt lgkmcnt(5)
	global_store_short v[2:3], v30, off offset:512
	;; [unrolled: 2-line block ×7, first 2 shown]
	v_perm_b32 v11, v13, v12, s0
	v_perm_b32 v29, v7, v6, s0
	s_barrier
	ds_write2_b32 v1, v29, v11 offset1:1
	v_perm_b32 v11, v15, v14, s0
	v_perm_b32 v29, v9, v8, s0
	ds_write2_b32 v1, v29, v11 offset0:2 offset1:3
	s_waitcnt lgkmcnt(0)
	s_barrier
	ds_read_u16 v11, v4
	ds_read_u16 v30, v5 offset:256
	ds_read_u16 v31, v16 offset:512
	ds_read_u16 v32, v17 offset:768
	ds_read_u16 v33, v18 offset:1024
	ds_read_u16 v34, v19 offset:1280
	ds_read_u16 v35, v20 offset:1536
	ds_read_u16 v29, v21 offset:1792
	s_waitcnt lgkmcnt(7)
	global_store_short v10, v11, s[2:3]
	s_waitcnt lgkmcnt(6)
	global_store_short v10, v30, s[2:3] offset:256
	s_waitcnt lgkmcnt(5)
	global_store_short v10, v31, s[2:3] offset:512
	;; [unrolled: 2-line block ×6, first 2 shown]
	s_mov_b64 s[16:17], -1
	s_cbranch_execz .LBB907_50
	s_branch .LBB907_68
.LBB907_49:
	s_mov_b64 s[16:17], 0
                                        ; implicit-def: $vgpr29
.LBB907_50:
	s_barrier
	s_waitcnt lgkmcnt(0)
	ds_read_u16 v34, v5 offset:256
	ds_read_u16 v33, v16 offset:512
	;; [unrolled: 1-line block ×7, first 2 shown]
	s_sub_i32 s16, s22, s14
	v_cmp_gt_u32_e32 vcc, s16, v0
	s_and_saveexec_b64 s[0:1], vcc
	s_cbranch_execnz .LBB907_75
; %bb.51:
	s_or_b64 exec, exec, s[0:1]
	v_cmp_gt_u32_e64 s[0:1], s16, v28
	s_and_saveexec_b64 s[2:3], s[0:1]
	s_cbranch_execnz .LBB907_76
.LBB907_52:
	s_or_b64 exec, exec, s[2:3]
	v_cmp_gt_u32_e64 s[2:3], s16, v27
	s_and_saveexec_b64 s[4:5], s[2:3]
	s_cbranch_execnz .LBB907_77
.LBB907_53:
	s_or_b64 exec, exec, s[4:5]
	v_cmp_gt_u32_e64 s[4:5], s16, v26
	s_and_saveexec_b64 s[6:7], s[4:5]
	s_cbranch_execnz .LBB907_78
.LBB907_54:
	s_or_b64 exec, exec, s[6:7]
	v_cmp_gt_u32_e64 s[6:7], s16, v25
	s_and_saveexec_b64 s[8:9], s[6:7]
	s_cbranch_execnz .LBB907_79
.LBB907_55:
	s_or_b64 exec, exec, s[8:9]
	v_cmp_gt_u32_e64 s[8:9], s16, v24
	s_and_saveexec_b64 s[10:11], s[8:9]
	s_cbranch_execnz .LBB907_80
.LBB907_56:
	s_or_b64 exec, exec, s[10:11]
	v_cmp_gt_u32_e64 s[10:11], s16, v23
	s_and_saveexec_b64 s[14:15], s[10:11]
	s_cbranch_execnz .LBB907_81
.LBB907_57:
	s_or_b64 exec, exec, s[14:15]
	v_cmp_gt_u32_e64 s[16:17], s16, v22
	s_and_saveexec_b64 s[14:15], s[16:17]
	s_cbranch_execz .LBB907_59
.LBB907_58:
	s_waitcnt lgkmcnt(0)
	global_store_short v[2:3], v11, off offset:1792
.LBB907_59:
	s_or_b64 exec, exec, s[14:15]
	s_mov_b32 s14, 0x5040100
	v_perm_b32 v0, v13, v12, s14
	v_perm_b32 v2, v7, v6, s14
	s_waitcnt lgkmcnt(0)
	s_barrier
	ds_write2_b32 v1, v2, v0 offset1:1
	v_perm_b32 v0, v15, v14, s14
	v_perm_b32 v2, v9, v8, s14
	ds_write2_b32 v1, v2, v0 offset0:2 offset1:3
	s_waitcnt lgkmcnt(0)
	s_barrier
	ds_read_u16 v8, v5 offset:256
	ds_read_u16 v7, v16 offset:512
	;; [unrolled: 1-line block ×7, first 2 shown]
	s_add_u32 s14, s20, s12
	s_addc_u32 s15, s21, s13
	v_mov_b32_e32 v11, 0
	v_lshl_add_u64 v[0:1], s[14:15], 0, v[10:11]
	s_and_saveexec_b64 s[14:15], vcc
	s_cbranch_execnz .LBB907_82
; %bb.60:
	s_or_b64 exec, exec, s[14:15]
	s_and_saveexec_b64 s[14:15], s[0:1]
	s_cbranch_execnz .LBB907_83
.LBB907_61:
	s_or_b64 exec, exec, s[14:15]
	s_and_saveexec_b64 s[0:1], s[2:3]
	s_cbranch_execnz .LBB907_84
.LBB907_62:
	s_or_b64 exec, exec, s[0:1]
	s_and_saveexec_b64 s[0:1], s[4:5]
	s_cbranch_execnz .LBB907_85
.LBB907_63:
	s_or_b64 exec, exec, s[0:1]
	s_and_saveexec_b64 s[0:1], s[6:7]
	s_cbranch_execnz .LBB907_86
.LBB907_64:
	s_or_b64 exec, exec, s[0:1]
	s_and_saveexec_b64 s[0:1], s[8:9]
	s_cbranch_execnz .LBB907_87
.LBB907_65:
	s_or_b64 exec, exec, s[0:1]
	s_and_saveexec_b64 s[0:1], s[10:11]
	s_cbranch_execz .LBB907_67
.LBB907_66:
	s_waitcnt lgkmcnt(1)
	global_store_short v[0:1], v2, off offset:1536
.LBB907_67:
	s_or_b64 exec, exec, s[0:1]
.LBB907_68:
	s_and_saveexec_b64 s[0:1], s[16:17]
	s_cbranch_execz .LBB907_70
; %bb.69:
	s_add_u32 s0, s20, s12
	s_addc_u32 s1, s21, s13
	s_waitcnt lgkmcnt(0)
	global_store_short v10, v29, s[0:1] offset:1792
.LBB907_70:
	s_endpgm
.LBB907_71:
	v_mov_b32_e32 v11, v2
	v_subrev_co_u32_e32 v6, vcc, s15, v0
	v_mov_b32_e32 v7, v2
	v_lshl_add_u64 v[4:5], s[8:9], 0, v[10:11]
	v_lshl_add_u64 v[6:7], v[6:7], 1, s[10:11]
	v_cndmask_b32_e32 v5, v7, v5, vcc
	v_cndmask_b32_e32 v4, v6, v4, vcc
	global_load_ushort v3, v[4:5], off
	v_mov_b32_e32 v5, v2
	v_mov_b32_e32 v6, v2
	;; [unrolled: 1-line block ×3, first 2 shown]
	s_waitcnt vmcnt(0)
	v_and_b32_e32 v4, 0xffff, v3
	v_mov_b64_e32 v[2:3], v[4:5]
	v_mov_b64_e32 v[4:5], v[6:7]
	s_or_b64 exec, exec, s[2:3]
	v_cmp_gt_u32_e32 vcc, s12, v14
	s_and_saveexec_b64 s[2:3], vcc
	s_cbranch_execz .LBB907_6
.LBB907_72:
	v_mov_b32_e32 v15, 0
	v_subrev_co_u32_e32 v8, vcc, s15, v14
	v_mov_b32_e32 v9, v15
	v_lshl_add_u64 v[6:7], v[14:15], 1, s[8:9]
	v_lshl_add_u64 v[8:9], v[8:9], 1, s[10:11]
	v_cndmask_b32_e32 v7, v9, v7, vcc
	v_cndmask_b32_e32 v6, v8, v6, vcc
	global_load_ushort v6, v[6:7], off
	s_mov_b32 s13, 0x5040100
	s_waitcnt vmcnt(0)
	v_perm_b32 v2, v6, v2, s13
	s_or_b64 exec, exec, s[2:3]
	v_cmp_gt_u32_e32 vcc, s12, v12
	s_and_saveexec_b64 s[2:3], vcc
	s_cbranch_execnz .LBB907_7
	s_branch .LBB907_8
.LBB907_73:
	v_mov_b32_e32 v11, v6
	v_subrev_co_u32_e32 v20, vcc, s15, v0
	v_mov_b32_e32 v21, v6
	v_lshl_add_u64 v[8:9], s[2:3], 0, v[10:11]
	v_lshl_add_u64 v[20:21], v[20:21], 1, s[4:5]
	v_cndmask_b32_e32 v9, v21, v9, vcc
	v_cndmask_b32_e32 v8, v20, v8, vcc
	global_load_ushort v7, v[8:9], off
	v_mov_b32_e32 v21, v6
	v_mov_b32_e32 v22, v6
	;; [unrolled: 1-line block ×3, first 2 shown]
	s_waitcnt vmcnt(0)
	v_and_b32_e32 v20, 0xffff, v7
	v_mov_b64_e32 v[6:7], v[20:21]
	v_mov_b64_e32 v[8:9], v[22:23]
	s_or_b64 exec, exec, s[6:7]
	v_cmp_gt_u32_e32 vcc, s26, v14
	s_and_saveexec_b64 s[6:7], vcc
	s_cbranch_execz .LBB907_24
.LBB907_74:
	v_mov_b32_e32 v15, 0
	v_lshl_add_u64 v[20:21], v[14:15], 1, s[2:3]
	v_subrev_co_u32_e32 v14, vcc, s15, v14
	v_lshl_add_u64 v[14:15], v[14:15], 1, s[4:5]
	s_nop 0
	v_cndmask_b32_e32 v15, v15, v21, vcc
	v_cndmask_b32_e32 v14, v14, v20, vcc
	global_load_ushort v11, v[14:15], off
	s_mov_b32 s8, 0x5040100
	s_waitcnt vmcnt(0)
	v_perm_b32 v6, v11, v6, s8
	s_or_b64 exec, exec, s[6:7]
	v_cmp_gt_u32_e32 vcc, s26, v12
	s_and_saveexec_b64 s[6:7], vcc
	s_cbranch_execnz .LBB907_25
	s_branch .LBB907_26
.LBB907_75:
	ds_read_u16 v0, v4
	s_waitcnt lgkmcnt(0)
	global_store_short v[2:3], v0, off
	s_or_b64 exec, exec, s[0:1]
	v_cmp_gt_u32_e64 s[0:1], s16, v28
	s_and_saveexec_b64 s[2:3], s[0:1]
	s_cbranch_execz .LBB907_52
.LBB907_76:
	s_waitcnt lgkmcnt(6)
	global_store_short v[2:3], v34, off offset:256
	s_or_b64 exec, exec, s[2:3]
	v_cmp_gt_u32_e64 s[2:3], s16, v27
	s_and_saveexec_b64 s[4:5], s[2:3]
	s_cbranch_execz .LBB907_53
.LBB907_77:
	s_waitcnt lgkmcnt(5)
	global_store_short v[2:3], v33, off offset:512
	s_or_b64 exec, exec, s[4:5]
	v_cmp_gt_u32_e64 s[4:5], s16, v26
	s_and_saveexec_b64 s[6:7], s[4:5]
	s_cbranch_execz .LBB907_54
.LBB907_78:
	s_waitcnt lgkmcnt(4)
	global_store_short v[2:3], v32, off offset:768
	s_or_b64 exec, exec, s[6:7]
	v_cmp_gt_u32_e64 s[6:7], s16, v25
	s_and_saveexec_b64 s[8:9], s[6:7]
	s_cbranch_execz .LBB907_55
.LBB907_79:
	s_waitcnt lgkmcnt(3)
	global_store_short v[2:3], v31, off offset:1024
	s_or_b64 exec, exec, s[8:9]
	v_cmp_gt_u32_e64 s[8:9], s16, v24
	s_and_saveexec_b64 s[10:11], s[8:9]
	s_cbranch_execz .LBB907_56
.LBB907_80:
	s_waitcnt lgkmcnt(2)
	global_store_short v[2:3], v30, off offset:1280
	s_or_b64 exec, exec, s[10:11]
	v_cmp_gt_u32_e64 s[10:11], s16, v23
	s_and_saveexec_b64 s[14:15], s[10:11]
	s_cbranch_execz .LBB907_57
.LBB907_81:
	s_waitcnt lgkmcnt(1)
	global_store_short v[2:3], v29, off offset:1536
	s_or_b64 exec, exec, s[14:15]
	v_cmp_gt_u32_e64 s[16:17], s16, v22
	s_and_saveexec_b64 s[14:15], s[16:17]
	s_cbranch_execnz .LBB907_58
	s_branch .LBB907_59
.LBB907_82:
	ds_read_u16 v4, v4
	s_waitcnt lgkmcnt(0)
	global_store_short v[0:1], v4, off
	s_or_b64 exec, exec, s[14:15]
	s_and_saveexec_b64 s[14:15], s[0:1]
	s_cbranch_execz .LBB907_61
.LBB907_83:
	s_waitcnt lgkmcnt(6)
	global_store_short v[0:1], v8, off offset:256
	s_or_b64 exec, exec, s[14:15]
	s_and_saveexec_b64 s[0:1], s[2:3]
	s_cbranch_execz .LBB907_62
.LBB907_84:
	s_waitcnt lgkmcnt(5)
	global_store_short v[0:1], v7, off offset:512
	s_or_b64 exec, exec, s[0:1]
	s_and_saveexec_b64 s[0:1], s[4:5]
	s_cbranch_execz .LBB907_63
.LBB907_85:
	s_waitcnt lgkmcnt(4)
	global_store_short v[0:1], v6, off offset:768
	s_or_b64 exec, exec, s[0:1]
	s_and_saveexec_b64 s[0:1], s[6:7]
	s_cbranch_execz .LBB907_64
.LBB907_86:
	s_waitcnt lgkmcnt(3)
	global_store_short v[0:1], v5, off offset:1024
	s_or_b64 exec, exec, s[0:1]
	s_and_saveexec_b64 s[0:1], s[8:9]
	s_cbranch_execz .LBB907_65
.LBB907_87:
	s_waitcnt lgkmcnt(2)
	global_store_short v[0:1], v3, off offset:1280
	s_or_b64 exec, exec, s[0:1]
	s_and_saveexec_b64 s[0:1], s[10:11]
	s_cbranch_execnz .LBB907_66
	s_branch .LBB907_67
	.section	.rodata,"a",@progbits
	.p2align	6, 0x0
	.amdhsa_kernel _ZN7rocprim17ROCPRIM_400000_NS6detail17trampoline_kernelINS0_14default_configENS1_38merge_sort_block_merge_config_selectorIttEEZZNS1_27merge_sort_block_merge_implIS3_N6thrust23THRUST_200600_302600_NS6detail15normal_iteratorINS8_10device_ptrItEEEESD_jNS1_19radix_merge_compareILb0ELb1EtNS0_19identity_decomposerEEEEE10hipError_tT0_T1_T2_jT3_P12ihipStream_tbPNSt15iterator_traitsISI_E10value_typeEPNSO_ISJ_E10value_typeEPSK_NS1_7vsmem_tEENKUlT_SI_SJ_SK_E_clIPtSD_S10_SD_EESH_SX_SI_SJ_SK_EUlSX_E0_NS1_11comp_targetILNS1_3genE0ELNS1_11target_archE4294967295ELNS1_3gpuE0ELNS1_3repE0EEENS1_38merge_mergepath_config_static_selectorELNS0_4arch9wavefront6targetE1EEEvSJ_
		.amdhsa_group_segment_fixed_size 2112
		.amdhsa_private_segment_fixed_size 0
		.amdhsa_kernarg_size 320
		.amdhsa_user_sgpr_count 2
		.amdhsa_user_sgpr_dispatch_ptr 0
		.amdhsa_user_sgpr_queue_ptr 0
		.amdhsa_user_sgpr_kernarg_segment_ptr 1
		.amdhsa_user_sgpr_dispatch_id 0
		.amdhsa_user_sgpr_kernarg_preload_length 0
		.amdhsa_user_sgpr_kernarg_preload_offset 0
		.amdhsa_user_sgpr_private_segment_size 0
		.amdhsa_uses_dynamic_stack 0
		.amdhsa_enable_private_segment 0
		.amdhsa_system_sgpr_workgroup_id_x 1
		.amdhsa_system_sgpr_workgroup_id_y 1
		.amdhsa_system_sgpr_workgroup_id_z 1
		.amdhsa_system_sgpr_workgroup_info 0
		.amdhsa_system_vgpr_workitem_id 0
		.amdhsa_next_free_vgpr 36
		.amdhsa_next_free_sgpr 32
		.amdhsa_accum_offset 36
		.amdhsa_reserve_vcc 1
		.amdhsa_float_round_mode_32 0
		.amdhsa_float_round_mode_16_64 0
		.amdhsa_float_denorm_mode_32 3
		.amdhsa_float_denorm_mode_16_64 3
		.amdhsa_dx10_clamp 1
		.amdhsa_ieee_mode 1
		.amdhsa_fp16_overflow 0
		.amdhsa_tg_split 0
		.amdhsa_exception_fp_ieee_invalid_op 0
		.amdhsa_exception_fp_denorm_src 0
		.amdhsa_exception_fp_ieee_div_zero 0
		.amdhsa_exception_fp_ieee_overflow 0
		.amdhsa_exception_fp_ieee_underflow 0
		.amdhsa_exception_fp_ieee_inexact 0
		.amdhsa_exception_int_div_zero 0
	.end_amdhsa_kernel
	.section	.text._ZN7rocprim17ROCPRIM_400000_NS6detail17trampoline_kernelINS0_14default_configENS1_38merge_sort_block_merge_config_selectorIttEEZZNS1_27merge_sort_block_merge_implIS3_N6thrust23THRUST_200600_302600_NS6detail15normal_iteratorINS8_10device_ptrItEEEESD_jNS1_19radix_merge_compareILb0ELb1EtNS0_19identity_decomposerEEEEE10hipError_tT0_T1_T2_jT3_P12ihipStream_tbPNSt15iterator_traitsISI_E10value_typeEPNSO_ISJ_E10value_typeEPSK_NS1_7vsmem_tEENKUlT_SI_SJ_SK_E_clIPtSD_S10_SD_EESH_SX_SI_SJ_SK_EUlSX_E0_NS1_11comp_targetILNS1_3genE0ELNS1_11target_archE4294967295ELNS1_3gpuE0ELNS1_3repE0EEENS1_38merge_mergepath_config_static_selectorELNS0_4arch9wavefront6targetE1EEEvSJ_,"axG",@progbits,_ZN7rocprim17ROCPRIM_400000_NS6detail17trampoline_kernelINS0_14default_configENS1_38merge_sort_block_merge_config_selectorIttEEZZNS1_27merge_sort_block_merge_implIS3_N6thrust23THRUST_200600_302600_NS6detail15normal_iteratorINS8_10device_ptrItEEEESD_jNS1_19radix_merge_compareILb0ELb1EtNS0_19identity_decomposerEEEEE10hipError_tT0_T1_T2_jT3_P12ihipStream_tbPNSt15iterator_traitsISI_E10value_typeEPNSO_ISJ_E10value_typeEPSK_NS1_7vsmem_tEENKUlT_SI_SJ_SK_E_clIPtSD_S10_SD_EESH_SX_SI_SJ_SK_EUlSX_E0_NS1_11comp_targetILNS1_3genE0ELNS1_11target_archE4294967295ELNS1_3gpuE0ELNS1_3repE0EEENS1_38merge_mergepath_config_static_selectorELNS0_4arch9wavefront6targetE1EEEvSJ_,comdat
.Lfunc_end907:
	.size	_ZN7rocprim17ROCPRIM_400000_NS6detail17trampoline_kernelINS0_14default_configENS1_38merge_sort_block_merge_config_selectorIttEEZZNS1_27merge_sort_block_merge_implIS3_N6thrust23THRUST_200600_302600_NS6detail15normal_iteratorINS8_10device_ptrItEEEESD_jNS1_19radix_merge_compareILb0ELb1EtNS0_19identity_decomposerEEEEE10hipError_tT0_T1_T2_jT3_P12ihipStream_tbPNSt15iterator_traitsISI_E10value_typeEPNSO_ISJ_E10value_typeEPSK_NS1_7vsmem_tEENKUlT_SI_SJ_SK_E_clIPtSD_S10_SD_EESH_SX_SI_SJ_SK_EUlSX_E0_NS1_11comp_targetILNS1_3genE0ELNS1_11target_archE4294967295ELNS1_3gpuE0ELNS1_3repE0EEENS1_38merge_mergepath_config_static_selectorELNS0_4arch9wavefront6targetE1EEEvSJ_, .Lfunc_end907-_ZN7rocprim17ROCPRIM_400000_NS6detail17trampoline_kernelINS0_14default_configENS1_38merge_sort_block_merge_config_selectorIttEEZZNS1_27merge_sort_block_merge_implIS3_N6thrust23THRUST_200600_302600_NS6detail15normal_iteratorINS8_10device_ptrItEEEESD_jNS1_19radix_merge_compareILb0ELb1EtNS0_19identity_decomposerEEEEE10hipError_tT0_T1_T2_jT3_P12ihipStream_tbPNSt15iterator_traitsISI_E10value_typeEPNSO_ISJ_E10value_typeEPSK_NS1_7vsmem_tEENKUlT_SI_SJ_SK_E_clIPtSD_S10_SD_EESH_SX_SI_SJ_SK_EUlSX_E0_NS1_11comp_targetILNS1_3genE0ELNS1_11target_archE4294967295ELNS1_3gpuE0ELNS1_3repE0EEENS1_38merge_mergepath_config_static_selectorELNS0_4arch9wavefront6targetE1EEEvSJ_
                                        ; -- End function
	.set _ZN7rocprim17ROCPRIM_400000_NS6detail17trampoline_kernelINS0_14default_configENS1_38merge_sort_block_merge_config_selectorIttEEZZNS1_27merge_sort_block_merge_implIS3_N6thrust23THRUST_200600_302600_NS6detail15normal_iteratorINS8_10device_ptrItEEEESD_jNS1_19radix_merge_compareILb0ELb1EtNS0_19identity_decomposerEEEEE10hipError_tT0_T1_T2_jT3_P12ihipStream_tbPNSt15iterator_traitsISI_E10value_typeEPNSO_ISJ_E10value_typeEPSK_NS1_7vsmem_tEENKUlT_SI_SJ_SK_E_clIPtSD_S10_SD_EESH_SX_SI_SJ_SK_EUlSX_E0_NS1_11comp_targetILNS1_3genE0ELNS1_11target_archE4294967295ELNS1_3gpuE0ELNS1_3repE0EEENS1_38merge_mergepath_config_static_selectorELNS0_4arch9wavefront6targetE1EEEvSJ_.num_vgpr, 36
	.set _ZN7rocprim17ROCPRIM_400000_NS6detail17trampoline_kernelINS0_14default_configENS1_38merge_sort_block_merge_config_selectorIttEEZZNS1_27merge_sort_block_merge_implIS3_N6thrust23THRUST_200600_302600_NS6detail15normal_iteratorINS8_10device_ptrItEEEESD_jNS1_19radix_merge_compareILb0ELb1EtNS0_19identity_decomposerEEEEE10hipError_tT0_T1_T2_jT3_P12ihipStream_tbPNSt15iterator_traitsISI_E10value_typeEPNSO_ISJ_E10value_typeEPSK_NS1_7vsmem_tEENKUlT_SI_SJ_SK_E_clIPtSD_S10_SD_EESH_SX_SI_SJ_SK_EUlSX_E0_NS1_11comp_targetILNS1_3genE0ELNS1_11target_archE4294967295ELNS1_3gpuE0ELNS1_3repE0EEENS1_38merge_mergepath_config_static_selectorELNS0_4arch9wavefront6targetE1EEEvSJ_.num_agpr, 0
	.set _ZN7rocprim17ROCPRIM_400000_NS6detail17trampoline_kernelINS0_14default_configENS1_38merge_sort_block_merge_config_selectorIttEEZZNS1_27merge_sort_block_merge_implIS3_N6thrust23THRUST_200600_302600_NS6detail15normal_iteratorINS8_10device_ptrItEEEESD_jNS1_19radix_merge_compareILb0ELb1EtNS0_19identity_decomposerEEEEE10hipError_tT0_T1_T2_jT3_P12ihipStream_tbPNSt15iterator_traitsISI_E10value_typeEPNSO_ISJ_E10value_typeEPSK_NS1_7vsmem_tEENKUlT_SI_SJ_SK_E_clIPtSD_S10_SD_EESH_SX_SI_SJ_SK_EUlSX_E0_NS1_11comp_targetILNS1_3genE0ELNS1_11target_archE4294967295ELNS1_3gpuE0ELNS1_3repE0EEENS1_38merge_mergepath_config_static_selectorELNS0_4arch9wavefront6targetE1EEEvSJ_.numbered_sgpr, 32
	.set _ZN7rocprim17ROCPRIM_400000_NS6detail17trampoline_kernelINS0_14default_configENS1_38merge_sort_block_merge_config_selectorIttEEZZNS1_27merge_sort_block_merge_implIS3_N6thrust23THRUST_200600_302600_NS6detail15normal_iteratorINS8_10device_ptrItEEEESD_jNS1_19radix_merge_compareILb0ELb1EtNS0_19identity_decomposerEEEEE10hipError_tT0_T1_T2_jT3_P12ihipStream_tbPNSt15iterator_traitsISI_E10value_typeEPNSO_ISJ_E10value_typeEPSK_NS1_7vsmem_tEENKUlT_SI_SJ_SK_E_clIPtSD_S10_SD_EESH_SX_SI_SJ_SK_EUlSX_E0_NS1_11comp_targetILNS1_3genE0ELNS1_11target_archE4294967295ELNS1_3gpuE0ELNS1_3repE0EEENS1_38merge_mergepath_config_static_selectorELNS0_4arch9wavefront6targetE1EEEvSJ_.num_named_barrier, 0
	.set _ZN7rocprim17ROCPRIM_400000_NS6detail17trampoline_kernelINS0_14default_configENS1_38merge_sort_block_merge_config_selectorIttEEZZNS1_27merge_sort_block_merge_implIS3_N6thrust23THRUST_200600_302600_NS6detail15normal_iteratorINS8_10device_ptrItEEEESD_jNS1_19radix_merge_compareILb0ELb1EtNS0_19identity_decomposerEEEEE10hipError_tT0_T1_T2_jT3_P12ihipStream_tbPNSt15iterator_traitsISI_E10value_typeEPNSO_ISJ_E10value_typeEPSK_NS1_7vsmem_tEENKUlT_SI_SJ_SK_E_clIPtSD_S10_SD_EESH_SX_SI_SJ_SK_EUlSX_E0_NS1_11comp_targetILNS1_3genE0ELNS1_11target_archE4294967295ELNS1_3gpuE0ELNS1_3repE0EEENS1_38merge_mergepath_config_static_selectorELNS0_4arch9wavefront6targetE1EEEvSJ_.private_seg_size, 0
	.set _ZN7rocprim17ROCPRIM_400000_NS6detail17trampoline_kernelINS0_14default_configENS1_38merge_sort_block_merge_config_selectorIttEEZZNS1_27merge_sort_block_merge_implIS3_N6thrust23THRUST_200600_302600_NS6detail15normal_iteratorINS8_10device_ptrItEEEESD_jNS1_19radix_merge_compareILb0ELb1EtNS0_19identity_decomposerEEEEE10hipError_tT0_T1_T2_jT3_P12ihipStream_tbPNSt15iterator_traitsISI_E10value_typeEPNSO_ISJ_E10value_typeEPSK_NS1_7vsmem_tEENKUlT_SI_SJ_SK_E_clIPtSD_S10_SD_EESH_SX_SI_SJ_SK_EUlSX_E0_NS1_11comp_targetILNS1_3genE0ELNS1_11target_archE4294967295ELNS1_3gpuE0ELNS1_3repE0EEENS1_38merge_mergepath_config_static_selectorELNS0_4arch9wavefront6targetE1EEEvSJ_.uses_vcc, 1
	.set _ZN7rocprim17ROCPRIM_400000_NS6detail17trampoline_kernelINS0_14default_configENS1_38merge_sort_block_merge_config_selectorIttEEZZNS1_27merge_sort_block_merge_implIS3_N6thrust23THRUST_200600_302600_NS6detail15normal_iteratorINS8_10device_ptrItEEEESD_jNS1_19radix_merge_compareILb0ELb1EtNS0_19identity_decomposerEEEEE10hipError_tT0_T1_T2_jT3_P12ihipStream_tbPNSt15iterator_traitsISI_E10value_typeEPNSO_ISJ_E10value_typeEPSK_NS1_7vsmem_tEENKUlT_SI_SJ_SK_E_clIPtSD_S10_SD_EESH_SX_SI_SJ_SK_EUlSX_E0_NS1_11comp_targetILNS1_3genE0ELNS1_11target_archE4294967295ELNS1_3gpuE0ELNS1_3repE0EEENS1_38merge_mergepath_config_static_selectorELNS0_4arch9wavefront6targetE1EEEvSJ_.uses_flat_scratch, 0
	.set _ZN7rocprim17ROCPRIM_400000_NS6detail17trampoline_kernelINS0_14default_configENS1_38merge_sort_block_merge_config_selectorIttEEZZNS1_27merge_sort_block_merge_implIS3_N6thrust23THRUST_200600_302600_NS6detail15normal_iteratorINS8_10device_ptrItEEEESD_jNS1_19radix_merge_compareILb0ELb1EtNS0_19identity_decomposerEEEEE10hipError_tT0_T1_T2_jT3_P12ihipStream_tbPNSt15iterator_traitsISI_E10value_typeEPNSO_ISJ_E10value_typeEPSK_NS1_7vsmem_tEENKUlT_SI_SJ_SK_E_clIPtSD_S10_SD_EESH_SX_SI_SJ_SK_EUlSX_E0_NS1_11comp_targetILNS1_3genE0ELNS1_11target_archE4294967295ELNS1_3gpuE0ELNS1_3repE0EEENS1_38merge_mergepath_config_static_selectorELNS0_4arch9wavefront6targetE1EEEvSJ_.has_dyn_sized_stack, 0
	.set _ZN7rocprim17ROCPRIM_400000_NS6detail17trampoline_kernelINS0_14default_configENS1_38merge_sort_block_merge_config_selectorIttEEZZNS1_27merge_sort_block_merge_implIS3_N6thrust23THRUST_200600_302600_NS6detail15normal_iteratorINS8_10device_ptrItEEEESD_jNS1_19radix_merge_compareILb0ELb1EtNS0_19identity_decomposerEEEEE10hipError_tT0_T1_T2_jT3_P12ihipStream_tbPNSt15iterator_traitsISI_E10value_typeEPNSO_ISJ_E10value_typeEPSK_NS1_7vsmem_tEENKUlT_SI_SJ_SK_E_clIPtSD_S10_SD_EESH_SX_SI_SJ_SK_EUlSX_E0_NS1_11comp_targetILNS1_3genE0ELNS1_11target_archE4294967295ELNS1_3gpuE0ELNS1_3repE0EEENS1_38merge_mergepath_config_static_selectorELNS0_4arch9wavefront6targetE1EEEvSJ_.has_recursion, 0
	.set _ZN7rocprim17ROCPRIM_400000_NS6detail17trampoline_kernelINS0_14default_configENS1_38merge_sort_block_merge_config_selectorIttEEZZNS1_27merge_sort_block_merge_implIS3_N6thrust23THRUST_200600_302600_NS6detail15normal_iteratorINS8_10device_ptrItEEEESD_jNS1_19radix_merge_compareILb0ELb1EtNS0_19identity_decomposerEEEEE10hipError_tT0_T1_T2_jT3_P12ihipStream_tbPNSt15iterator_traitsISI_E10value_typeEPNSO_ISJ_E10value_typeEPSK_NS1_7vsmem_tEENKUlT_SI_SJ_SK_E_clIPtSD_S10_SD_EESH_SX_SI_SJ_SK_EUlSX_E0_NS1_11comp_targetILNS1_3genE0ELNS1_11target_archE4294967295ELNS1_3gpuE0ELNS1_3repE0EEENS1_38merge_mergepath_config_static_selectorELNS0_4arch9wavefront6targetE1EEEvSJ_.has_indirect_call, 0
	.section	.AMDGPU.csdata,"",@progbits
; Kernel info:
; codeLenInByte = 5604
; TotalNumSgprs: 38
; NumVgprs: 36
; NumAgprs: 0
; TotalNumVgprs: 36
; ScratchSize: 0
; MemoryBound: 0
; FloatMode: 240
; IeeeMode: 1
; LDSByteSize: 2112 bytes/workgroup (compile time only)
; SGPRBlocks: 4
; VGPRBlocks: 4
; NumSGPRsForWavesPerEU: 38
; NumVGPRsForWavesPerEU: 36
; AccumOffset: 36
; Occupancy: 8
; WaveLimiterHint : 1
; COMPUTE_PGM_RSRC2:SCRATCH_EN: 0
; COMPUTE_PGM_RSRC2:USER_SGPR: 2
; COMPUTE_PGM_RSRC2:TRAP_HANDLER: 0
; COMPUTE_PGM_RSRC2:TGID_X_EN: 1
; COMPUTE_PGM_RSRC2:TGID_Y_EN: 1
; COMPUTE_PGM_RSRC2:TGID_Z_EN: 1
; COMPUTE_PGM_RSRC2:TIDIG_COMP_CNT: 0
; COMPUTE_PGM_RSRC3_GFX90A:ACCUM_OFFSET: 8
; COMPUTE_PGM_RSRC3_GFX90A:TG_SPLIT: 0
	.section	.text._ZN7rocprim17ROCPRIM_400000_NS6detail17trampoline_kernelINS0_14default_configENS1_38merge_sort_block_merge_config_selectorIttEEZZNS1_27merge_sort_block_merge_implIS3_N6thrust23THRUST_200600_302600_NS6detail15normal_iteratorINS8_10device_ptrItEEEESD_jNS1_19radix_merge_compareILb0ELb1EtNS0_19identity_decomposerEEEEE10hipError_tT0_T1_T2_jT3_P12ihipStream_tbPNSt15iterator_traitsISI_E10value_typeEPNSO_ISJ_E10value_typeEPSK_NS1_7vsmem_tEENKUlT_SI_SJ_SK_E_clIPtSD_S10_SD_EESH_SX_SI_SJ_SK_EUlSX_E0_NS1_11comp_targetILNS1_3genE10ELNS1_11target_archE1201ELNS1_3gpuE5ELNS1_3repE0EEENS1_38merge_mergepath_config_static_selectorELNS0_4arch9wavefront6targetE1EEEvSJ_,"axG",@progbits,_ZN7rocprim17ROCPRIM_400000_NS6detail17trampoline_kernelINS0_14default_configENS1_38merge_sort_block_merge_config_selectorIttEEZZNS1_27merge_sort_block_merge_implIS3_N6thrust23THRUST_200600_302600_NS6detail15normal_iteratorINS8_10device_ptrItEEEESD_jNS1_19radix_merge_compareILb0ELb1EtNS0_19identity_decomposerEEEEE10hipError_tT0_T1_T2_jT3_P12ihipStream_tbPNSt15iterator_traitsISI_E10value_typeEPNSO_ISJ_E10value_typeEPSK_NS1_7vsmem_tEENKUlT_SI_SJ_SK_E_clIPtSD_S10_SD_EESH_SX_SI_SJ_SK_EUlSX_E0_NS1_11comp_targetILNS1_3genE10ELNS1_11target_archE1201ELNS1_3gpuE5ELNS1_3repE0EEENS1_38merge_mergepath_config_static_selectorELNS0_4arch9wavefront6targetE1EEEvSJ_,comdat
	.protected	_ZN7rocprim17ROCPRIM_400000_NS6detail17trampoline_kernelINS0_14default_configENS1_38merge_sort_block_merge_config_selectorIttEEZZNS1_27merge_sort_block_merge_implIS3_N6thrust23THRUST_200600_302600_NS6detail15normal_iteratorINS8_10device_ptrItEEEESD_jNS1_19radix_merge_compareILb0ELb1EtNS0_19identity_decomposerEEEEE10hipError_tT0_T1_T2_jT3_P12ihipStream_tbPNSt15iterator_traitsISI_E10value_typeEPNSO_ISJ_E10value_typeEPSK_NS1_7vsmem_tEENKUlT_SI_SJ_SK_E_clIPtSD_S10_SD_EESH_SX_SI_SJ_SK_EUlSX_E0_NS1_11comp_targetILNS1_3genE10ELNS1_11target_archE1201ELNS1_3gpuE5ELNS1_3repE0EEENS1_38merge_mergepath_config_static_selectorELNS0_4arch9wavefront6targetE1EEEvSJ_ ; -- Begin function _ZN7rocprim17ROCPRIM_400000_NS6detail17trampoline_kernelINS0_14default_configENS1_38merge_sort_block_merge_config_selectorIttEEZZNS1_27merge_sort_block_merge_implIS3_N6thrust23THRUST_200600_302600_NS6detail15normal_iteratorINS8_10device_ptrItEEEESD_jNS1_19radix_merge_compareILb0ELb1EtNS0_19identity_decomposerEEEEE10hipError_tT0_T1_T2_jT3_P12ihipStream_tbPNSt15iterator_traitsISI_E10value_typeEPNSO_ISJ_E10value_typeEPSK_NS1_7vsmem_tEENKUlT_SI_SJ_SK_E_clIPtSD_S10_SD_EESH_SX_SI_SJ_SK_EUlSX_E0_NS1_11comp_targetILNS1_3genE10ELNS1_11target_archE1201ELNS1_3gpuE5ELNS1_3repE0EEENS1_38merge_mergepath_config_static_selectorELNS0_4arch9wavefront6targetE1EEEvSJ_
	.globl	_ZN7rocprim17ROCPRIM_400000_NS6detail17trampoline_kernelINS0_14default_configENS1_38merge_sort_block_merge_config_selectorIttEEZZNS1_27merge_sort_block_merge_implIS3_N6thrust23THRUST_200600_302600_NS6detail15normal_iteratorINS8_10device_ptrItEEEESD_jNS1_19radix_merge_compareILb0ELb1EtNS0_19identity_decomposerEEEEE10hipError_tT0_T1_T2_jT3_P12ihipStream_tbPNSt15iterator_traitsISI_E10value_typeEPNSO_ISJ_E10value_typeEPSK_NS1_7vsmem_tEENKUlT_SI_SJ_SK_E_clIPtSD_S10_SD_EESH_SX_SI_SJ_SK_EUlSX_E0_NS1_11comp_targetILNS1_3genE10ELNS1_11target_archE1201ELNS1_3gpuE5ELNS1_3repE0EEENS1_38merge_mergepath_config_static_selectorELNS0_4arch9wavefront6targetE1EEEvSJ_
	.p2align	8
	.type	_ZN7rocprim17ROCPRIM_400000_NS6detail17trampoline_kernelINS0_14default_configENS1_38merge_sort_block_merge_config_selectorIttEEZZNS1_27merge_sort_block_merge_implIS3_N6thrust23THRUST_200600_302600_NS6detail15normal_iteratorINS8_10device_ptrItEEEESD_jNS1_19radix_merge_compareILb0ELb1EtNS0_19identity_decomposerEEEEE10hipError_tT0_T1_T2_jT3_P12ihipStream_tbPNSt15iterator_traitsISI_E10value_typeEPNSO_ISJ_E10value_typeEPSK_NS1_7vsmem_tEENKUlT_SI_SJ_SK_E_clIPtSD_S10_SD_EESH_SX_SI_SJ_SK_EUlSX_E0_NS1_11comp_targetILNS1_3genE10ELNS1_11target_archE1201ELNS1_3gpuE5ELNS1_3repE0EEENS1_38merge_mergepath_config_static_selectorELNS0_4arch9wavefront6targetE1EEEvSJ_,@function
_ZN7rocprim17ROCPRIM_400000_NS6detail17trampoline_kernelINS0_14default_configENS1_38merge_sort_block_merge_config_selectorIttEEZZNS1_27merge_sort_block_merge_implIS3_N6thrust23THRUST_200600_302600_NS6detail15normal_iteratorINS8_10device_ptrItEEEESD_jNS1_19radix_merge_compareILb0ELb1EtNS0_19identity_decomposerEEEEE10hipError_tT0_T1_T2_jT3_P12ihipStream_tbPNSt15iterator_traitsISI_E10value_typeEPNSO_ISJ_E10value_typeEPSK_NS1_7vsmem_tEENKUlT_SI_SJ_SK_E_clIPtSD_S10_SD_EESH_SX_SI_SJ_SK_EUlSX_E0_NS1_11comp_targetILNS1_3genE10ELNS1_11target_archE1201ELNS1_3gpuE5ELNS1_3repE0EEENS1_38merge_mergepath_config_static_selectorELNS0_4arch9wavefront6targetE1EEEvSJ_: ; @_ZN7rocprim17ROCPRIM_400000_NS6detail17trampoline_kernelINS0_14default_configENS1_38merge_sort_block_merge_config_selectorIttEEZZNS1_27merge_sort_block_merge_implIS3_N6thrust23THRUST_200600_302600_NS6detail15normal_iteratorINS8_10device_ptrItEEEESD_jNS1_19radix_merge_compareILb0ELb1EtNS0_19identity_decomposerEEEEE10hipError_tT0_T1_T2_jT3_P12ihipStream_tbPNSt15iterator_traitsISI_E10value_typeEPNSO_ISJ_E10value_typeEPSK_NS1_7vsmem_tEENKUlT_SI_SJ_SK_E_clIPtSD_S10_SD_EESH_SX_SI_SJ_SK_EUlSX_E0_NS1_11comp_targetILNS1_3genE10ELNS1_11target_archE1201ELNS1_3gpuE5ELNS1_3repE0EEENS1_38merge_mergepath_config_static_selectorELNS0_4arch9wavefront6targetE1EEEvSJ_
; %bb.0:
	.section	.rodata,"a",@progbits
	.p2align	6, 0x0
	.amdhsa_kernel _ZN7rocprim17ROCPRIM_400000_NS6detail17trampoline_kernelINS0_14default_configENS1_38merge_sort_block_merge_config_selectorIttEEZZNS1_27merge_sort_block_merge_implIS3_N6thrust23THRUST_200600_302600_NS6detail15normal_iteratorINS8_10device_ptrItEEEESD_jNS1_19radix_merge_compareILb0ELb1EtNS0_19identity_decomposerEEEEE10hipError_tT0_T1_T2_jT3_P12ihipStream_tbPNSt15iterator_traitsISI_E10value_typeEPNSO_ISJ_E10value_typeEPSK_NS1_7vsmem_tEENKUlT_SI_SJ_SK_E_clIPtSD_S10_SD_EESH_SX_SI_SJ_SK_EUlSX_E0_NS1_11comp_targetILNS1_3genE10ELNS1_11target_archE1201ELNS1_3gpuE5ELNS1_3repE0EEENS1_38merge_mergepath_config_static_selectorELNS0_4arch9wavefront6targetE1EEEvSJ_
		.amdhsa_group_segment_fixed_size 0
		.amdhsa_private_segment_fixed_size 0
		.amdhsa_kernarg_size 64
		.amdhsa_user_sgpr_count 2
		.amdhsa_user_sgpr_dispatch_ptr 0
		.amdhsa_user_sgpr_queue_ptr 0
		.amdhsa_user_sgpr_kernarg_segment_ptr 1
		.amdhsa_user_sgpr_dispatch_id 0
		.amdhsa_user_sgpr_kernarg_preload_length 0
		.amdhsa_user_sgpr_kernarg_preload_offset 0
		.amdhsa_user_sgpr_private_segment_size 0
		.amdhsa_uses_dynamic_stack 0
		.amdhsa_enable_private_segment 0
		.amdhsa_system_sgpr_workgroup_id_x 1
		.amdhsa_system_sgpr_workgroup_id_y 0
		.amdhsa_system_sgpr_workgroup_id_z 0
		.amdhsa_system_sgpr_workgroup_info 0
		.amdhsa_system_vgpr_workitem_id 0
		.amdhsa_next_free_vgpr 1
		.amdhsa_next_free_sgpr 0
		.amdhsa_accum_offset 4
		.amdhsa_reserve_vcc 0
		.amdhsa_float_round_mode_32 0
		.amdhsa_float_round_mode_16_64 0
		.amdhsa_float_denorm_mode_32 3
		.amdhsa_float_denorm_mode_16_64 3
		.amdhsa_dx10_clamp 1
		.amdhsa_ieee_mode 1
		.amdhsa_fp16_overflow 0
		.amdhsa_tg_split 0
		.amdhsa_exception_fp_ieee_invalid_op 0
		.amdhsa_exception_fp_denorm_src 0
		.amdhsa_exception_fp_ieee_div_zero 0
		.amdhsa_exception_fp_ieee_overflow 0
		.amdhsa_exception_fp_ieee_underflow 0
		.amdhsa_exception_fp_ieee_inexact 0
		.amdhsa_exception_int_div_zero 0
	.end_amdhsa_kernel
	.section	.text._ZN7rocprim17ROCPRIM_400000_NS6detail17trampoline_kernelINS0_14default_configENS1_38merge_sort_block_merge_config_selectorIttEEZZNS1_27merge_sort_block_merge_implIS3_N6thrust23THRUST_200600_302600_NS6detail15normal_iteratorINS8_10device_ptrItEEEESD_jNS1_19radix_merge_compareILb0ELb1EtNS0_19identity_decomposerEEEEE10hipError_tT0_T1_T2_jT3_P12ihipStream_tbPNSt15iterator_traitsISI_E10value_typeEPNSO_ISJ_E10value_typeEPSK_NS1_7vsmem_tEENKUlT_SI_SJ_SK_E_clIPtSD_S10_SD_EESH_SX_SI_SJ_SK_EUlSX_E0_NS1_11comp_targetILNS1_3genE10ELNS1_11target_archE1201ELNS1_3gpuE5ELNS1_3repE0EEENS1_38merge_mergepath_config_static_selectorELNS0_4arch9wavefront6targetE1EEEvSJ_,"axG",@progbits,_ZN7rocprim17ROCPRIM_400000_NS6detail17trampoline_kernelINS0_14default_configENS1_38merge_sort_block_merge_config_selectorIttEEZZNS1_27merge_sort_block_merge_implIS3_N6thrust23THRUST_200600_302600_NS6detail15normal_iteratorINS8_10device_ptrItEEEESD_jNS1_19radix_merge_compareILb0ELb1EtNS0_19identity_decomposerEEEEE10hipError_tT0_T1_T2_jT3_P12ihipStream_tbPNSt15iterator_traitsISI_E10value_typeEPNSO_ISJ_E10value_typeEPSK_NS1_7vsmem_tEENKUlT_SI_SJ_SK_E_clIPtSD_S10_SD_EESH_SX_SI_SJ_SK_EUlSX_E0_NS1_11comp_targetILNS1_3genE10ELNS1_11target_archE1201ELNS1_3gpuE5ELNS1_3repE0EEENS1_38merge_mergepath_config_static_selectorELNS0_4arch9wavefront6targetE1EEEvSJ_,comdat
.Lfunc_end908:
	.size	_ZN7rocprim17ROCPRIM_400000_NS6detail17trampoline_kernelINS0_14default_configENS1_38merge_sort_block_merge_config_selectorIttEEZZNS1_27merge_sort_block_merge_implIS3_N6thrust23THRUST_200600_302600_NS6detail15normal_iteratorINS8_10device_ptrItEEEESD_jNS1_19radix_merge_compareILb0ELb1EtNS0_19identity_decomposerEEEEE10hipError_tT0_T1_T2_jT3_P12ihipStream_tbPNSt15iterator_traitsISI_E10value_typeEPNSO_ISJ_E10value_typeEPSK_NS1_7vsmem_tEENKUlT_SI_SJ_SK_E_clIPtSD_S10_SD_EESH_SX_SI_SJ_SK_EUlSX_E0_NS1_11comp_targetILNS1_3genE10ELNS1_11target_archE1201ELNS1_3gpuE5ELNS1_3repE0EEENS1_38merge_mergepath_config_static_selectorELNS0_4arch9wavefront6targetE1EEEvSJ_, .Lfunc_end908-_ZN7rocprim17ROCPRIM_400000_NS6detail17trampoline_kernelINS0_14default_configENS1_38merge_sort_block_merge_config_selectorIttEEZZNS1_27merge_sort_block_merge_implIS3_N6thrust23THRUST_200600_302600_NS6detail15normal_iteratorINS8_10device_ptrItEEEESD_jNS1_19radix_merge_compareILb0ELb1EtNS0_19identity_decomposerEEEEE10hipError_tT0_T1_T2_jT3_P12ihipStream_tbPNSt15iterator_traitsISI_E10value_typeEPNSO_ISJ_E10value_typeEPSK_NS1_7vsmem_tEENKUlT_SI_SJ_SK_E_clIPtSD_S10_SD_EESH_SX_SI_SJ_SK_EUlSX_E0_NS1_11comp_targetILNS1_3genE10ELNS1_11target_archE1201ELNS1_3gpuE5ELNS1_3repE0EEENS1_38merge_mergepath_config_static_selectorELNS0_4arch9wavefront6targetE1EEEvSJ_
                                        ; -- End function
	.set _ZN7rocprim17ROCPRIM_400000_NS6detail17trampoline_kernelINS0_14default_configENS1_38merge_sort_block_merge_config_selectorIttEEZZNS1_27merge_sort_block_merge_implIS3_N6thrust23THRUST_200600_302600_NS6detail15normal_iteratorINS8_10device_ptrItEEEESD_jNS1_19radix_merge_compareILb0ELb1EtNS0_19identity_decomposerEEEEE10hipError_tT0_T1_T2_jT3_P12ihipStream_tbPNSt15iterator_traitsISI_E10value_typeEPNSO_ISJ_E10value_typeEPSK_NS1_7vsmem_tEENKUlT_SI_SJ_SK_E_clIPtSD_S10_SD_EESH_SX_SI_SJ_SK_EUlSX_E0_NS1_11comp_targetILNS1_3genE10ELNS1_11target_archE1201ELNS1_3gpuE5ELNS1_3repE0EEENS1_38merge_mergepath_config_static_selectorELNS0_4arch9wavefront6targetE1EEEvSJ_.num_vgpr, 0
	.set _ZN7rocprim17ROCPRIM_400000_NS6detail17trampoline_kernelINS0_14default_configENS1_38merge_sort_block_merge_config_selectorIttEEZZNS1_27merge_sort_block_merge_implIS3_N6thrust23THRUST_200600_302600_NS6detail15normal_iteratorINS8_10device_ptrItEEEESD_jNS1_19radix_merge_compareILb0ELb1EtNS0_19identity_decomposerEEEEE10hipError_tT0_T1_T2_jT3_P12ihipStream_tbPNSt15iterator_traitsISI_E10value_typeEPNSO_ISJ_E10value_typeEPSK_NS1_7vsmem_tEENKUlT_SI_SJ_SK_E_clIPtSD_S10_SD_EESH_SX_SI_SJ_SK_EUlSX_E0_NS1_11comp_targetILNS1_3genE10ELNS1_11target_archE1201ELNS1_3gpuE5ELNS1_3repE0EEENS1_38merge_mergepath_config_static_selectorELNS0_4arch9wavefront6targetE1EEEvSJ_.num_agpr, 0
	.set _ZN7rocprim17ROCPRIM_400000_NS6detail17trampoline_kernelINS0_14default_configENS1_38merge_sort_block_merge_config_selectorIttEEZZNS1_27merge_sort_block_merge_implIS3_N6thrust23THRUST_200600_302600_NS6detail15normal_iteratorINS8_10device_ptrItEEEESD_jNS1_19radix_merge_compareILb0ELb1EtNS0_19identity_decomposerEEEEE10hipError_tT0_T1_T2_jT3_P12ihipStream_tbPNSt15iterator_traitsISI_E10value_typeEPNSO_ISJ_E10value_typeEPSK_NS1_7vsmem_tEENKUlT_SI_SJ_SK_E_clIPtSD_S10_SD_EESH_SX_SI_SJ_SK_EUlSX_E0_NS1_11comp_targetILNS1_3genE10ELNS1_11target_archE1201ELNS1_3gpuE5ELNS1_3repE0EEENS1_38merge_mergepath_config_static_selectorELNS0_4arch9wavefront6targetE1EEEvSJ_.numbered_sgpr, 0
	.set _ZN7rocprim17ROCPRIM_400000_NS6detail17trampoline_kernelINS0_14default_configENS1_38merge_sort_block_merge_config_selectorIttEEZZNS1_27merge_sort_block_merge_implIS3_N6thrust23THRUST_200600_302600_NS6detail15normal_iteratorINS8_10device_ptrItEEEESD_jNS1_19radix_merge_compareILb0ELb1EtNS0_19identity_decomposerEEEEE10hipError_tT0_T1_T2_jT3_P12ihipStream_tbPNSt15iterator_traitsISI_E10value_typeEPNSO_ISJ_E10value_typeEPSK_NS1_7vsmem_tEENKUlT_SI_SJ_SK_E_clIPtSD_S10_SD_EESH_SX_SI_SJ_SK_EUlSX_E0_NS1_11comp_targetILNS1_3genE10ELNS1_11target_archE1201ELNS1_3gpuE5ELNS1_3repE0EEENS1_38merge_mergepath_config_static_selectorELNS0_4arch9wavefront6targetE1EEEvSJ_.num_named_barrier, 0
	.set _ZN7rocprim17ROCPRIM_400000_NS6detail17trampoline_kernelINS0_14default_configENS1_38merge_sort_block_merge_config_selectorIttEEZZNS1_27merge_sort_block_merge_implIS3_N6thrust23THRUST_200600_302600_NS6detail15normal_iteratorINS8_10device_ptrItEEEESD_jNS1_19radix_merge_compareILb0ELb1EtNS0_19identity_decomposerEEEEE10hipError_tT0_T1_T2_jT3_P12ihipStream_tbPNSt15iterator_traitsISI_E10value_typeEPNSO_ISJ_E10value_typeEPSK_NS1_7vsmem_tEENKUlT_SI_SJ_SK_E_clIPtSD_S10_SD_EESH_SX_SI_SJ_SK_EUlSX_E0_NS1_11comp_targetILNS1_3genE10ELNS1_11target_archE1201ELNS1_3gpuE5ELNS1_3repE0EEENS1_38merge_mergepath_config_static_selectorELNS0_4arch9wavefront6targetE1EEEvSJ_.private_seg_size, 0
	.set _ZN7rocprim17ROCPRIM_400000_NS6detail17trampoline_kernelINS0_14default_configENS1_38merge_sort_block_merge_config_selectorIttEEZZNS1_27merge_sort_block_merge_implIS3_N6thrust23THRUST_200600_302600_NS6detail15normal_iteratorINS8_10device_ptrItEEEESD_jNS1_19radix_merge_compareILb0ELb1EtNS0_19identity_decomposerEEEEE10hipError_tT0_T1_T2_jT3_P12ihipStream_tbPNSt15iterator_traitsISI_E10value_typeEPNSO_ISJ_E10value_typeEPSK_NS1_7vsmem_tEENKUlT_SI_SJ_SK_E_clIPtSD_S10_SD_EESH_SX_SI_SJ_SK_EUlSX_E0_NS1_11comp_targetILNS1_3genE10ELNS1_11target_archE1201ELNS1_3gpuE5ELNS1_3repE0EEENS1_38merge_mergepath_config_static_selectorELNS0_4arch9wavefront6targetE1EEEvSJ_.uses_vcc, 0
	.set _ZN7rocprim17ROCPRIM_400000_NS6detail17trampoline_kernelINS0_14default_configENS1_38merge_sort_block_merge_config_selectorIttEEZZNS1_27merge_sort_block_merge_implIS3_N6thrust23THRUST_200600_302600_NS6detail15normal_iteratorINS8_10device_ptrItEEEESD_jNS1_19radix_merge_compareILb0ELb1EtNS0_19identity_decomposerEEEEE10hipError_tT0_T1_T2_jT3_P12ihipStream_tbPNSt15iterator_traitsISI_E10value_typeEPNSO_ISJ_E10value_typeEPSK_NS1_7vsmem_tEENKUlT_SI_SJ_SK_E_clIPtSD_S10_SD_EESH_SX_SI_SJ_SK_EUlSX_E0_NS1_11comp_targetILNS1_3genE10ELNS1_11target_archE1201ELNS1_3gpuE5ELNS1_3repE0EEENS1_38merge_mergepath_config_static_selectorELNS0_4arch9wavefront6targetE1EEEvSJ_.uses_flat_scratch, 0
	.set _ZN7rocprim17ROCPRIM_400000_NS6detail17trampoline_kernelINS0_14default_configENS1_38merge_sort_block_merge_config_selectorIttEEZZNS1_27merge_sort_block_merge_implIS3_N6thrust23THRUST_200600_302600_NS6detail15normal_iteratorINS8_10device_ptrItEEEESD_jNS1_19radix_merge_compareILb0ELb1EtNS0_19identity_decomposerEEEEE10hipError_tT0_T1_T2_jT3_P12ihipStream_tbPNSt15iterator_traitsISI_E10value_typeEPNSO_ISJ_E10value_typeEPSK_NS1_7vsmem_tEENKUlT_SI_SJ_SK_E_clIPtSD_S10_SD_EESH_SX_SI_SJ_SK_EUlSX_E0_NS1_11comp_targetILNS1_3genE10ELNS1_11target_archE1201ELNS1_3gpuE5ELNS1_3repE0EEENS1_38merge_mergepath_config_static_selectorELNS0_4arch9wavefront6targetE1EEEvSJ_.has_dyn_sized_stack, 0
	.set _ZN7rocprim17ROCPRIM_400000_NS6detail17trampoline_kernelINS0_14default_configENS1_38merge_sort_block_merge_config_selectorIttEEZZNS1_27merge_sort_block_merge_implIS3_N6thrust23THRUST_200600_302600_NS6detail15normal_iteratorINS8_10device_ptrItEEEESD_jNS1_19radix_merge_compareILb0ELb1EtNS0_19identity_decomposerEEEEE10hipError_tT0_T1_T2_jT3_P12ihipStream_tbPNSt15iterator_traitsISI_E10value_typeEPNSO_ISJ_E10value_typeEPSK_NS1_7vsmem_tEENKUlT_SI_SJ_SK_E_clIPtSD_S10_SD_EESH_SX_SI_SJ_SK_EUlSX_E0_NS1_11comp_targetILNS1_3genE10ELNS1_11target_archE1201ELNS1_3gpuE5ELNS1_3repE0EEENS1_38merge_mergepath_config_static_selectorELNS0_4arch9wavefront6targetE1EEEvSJ_.has_recursion, 0
	.set _ZN7rocprim17ROCPRIM_400000_NS6detail17trampoline_kernelINS0_14default_configENS1_38merge_sort_block_merge_config_selectorIttEEZZNS1_27merge_sort_block_merge_implIS3_N6thrust23THRUST_200600_302600_NS6detail15normal_iteratorINS8_10device_ptrItEEEESD_jNS1_19radix_merge_compareILb0ELb1EtNS0_19identity_decomposerEEEEE10hipError_tT0_T1_T2_jT3_P12ihipStream_tbPNSt15iterator_traitsISI_E10value_typeEPNSO_ISJ_E10value_typeEPSK_NS1_7vsmem_tEENKUlT_SI_SJ_SK_E_clIPtSD_S10_SD_EESH_SX_SI_SJ_SK_EUlSX_E0_NS1_11comp_targetILNS1_3genE10ELNS1_11target_archE1201ELNS1_3gpuE5ELNS1_3repE0EEENS1_38merge_mergepath_config_static_selectorELNS0_4arch9wavefront6targetE1EEEvSJ_.has_indirect_call, 0
	.section	.AMDGPU.csdata,"",@progbits
; Kernel info:
; codeLenInByte = 0
; TotalNumSgprs: 6
; NumVgprs: 0
; NumAgprs: 0
; TotalNumVgprs: 0
; ScratchSize: 0
; MemoryBound: 0
; FloatMode: 240
; IeeeMode: 1
; LDSByteSize: 0 bytes/workgroup (compile time only)
; SGPRBlocks: 0
; VGPRBlocks: 0
; NumSGPRsForWavesPerEU: 6
; NumVGPRsForWavesPerEU: 1
; AccumOffset: 4
; Occupancy: 8
; WaveLimiterHint : 0
; COMPUTE_PGM_RSRC2:SCRATCH_EN: 0
; COMPUTE_PGM_RSRC2:USER_SGPR: 2
; COMPUTE_PGM_RSRC2:TRAP_HANDLER: 0
; COMPUTE_PGM_RSRC2:TGID_X_EN: 1
; COMPUTE_PGM_RSRC2:TGID_Y_EN: 0
; COMPUTE_PGM_RSRC2:TGID_Z_EN: 0
; COMPUTE_PGM_RSRC2:TIDIG_COMP_CNT: 0
; COMPUTE_PGM_RSRC3_GFX90A:ACCUM_OFFSET: 0
; COMPUTE_PGM_RSRC3_GFX90A:TG_SPLIT: 0
	.section	.text._ZN7rocprim17ROCPRIM_400000_NS6detail17trampoline_kernelINS0_14default_configENS1_38merge_sort_block_merge_config_selectorIttEEZZNS1_27merge_sort_block_merge_implIS3_N6thrust23THRUST_200600_302600_NS6detail15normal_iteratorINS8_10device_ptrItEEEESD_jNS1_19radix_merge_compareILb0ELb1EtNS0_19identity_decomposerEEEEE10hipError_tT0_T1_T2_jT3_P12ihipStream_tbPNSt15iterator_traitsISI_E10value_typeEPNSO_ISJ_E10value_typeEPSK_NS1_7vsmem_tEENKUlT_SI_SJ_SK_E_clIPtSD_S10_SD_EESH_SX_SI_SJ_SK_EUlSX_E0_NS1_11comp_targetILNS1_3genE5ELNS1_11target_archE942ELNS1_3gpuE9ELNS1_3repE0EEENS1_38merge_mergepath_config_static_selectorELNS0_4arch9wavefront6targetE1EEEvSJ_,"axG",@progbits,_ZN7rocprim17ROCPRIM_400000_NS6detail17trampoline_kernelINS0_14default_configENS1_38merge_sort_block_merge_config_selectorIttEEZZNS1_27merge_sort_block_merge_implIS3_N6thrust23THRUST_200600_302600_NS6detail15normal_iteratorINS8_10device_ptrItEEEESD_jNS1_19radix_merge_compareILb0ELb1EtNS0_19identity_decomposerEEEEE10hipError_tT0_T1_T2_jT3_P12ihipStream_tbPNSt15iterator_traitsISI_E10value_typeEPNSO_ISJ_E10value_typeEPSK_NS1_7vsmem_tEENKUlT_SI_SJ_SK_E_clIPtSD_S10_SD_EESH_SX_SI_SJ_SK_EUlSX_E0_NS1_11comp_targetILNS1_3genE5ELNS1_11target_archE942ELNS1_3gpuE9ELNS1_3repE0EEENS1_38merge_mergepath_config_static_selectorELNS0_4arch9wavefront6targetE1EEEvSJ_,comdat
	.protected	_ZN7rocprim17ROCPRIM_400000_NS6detail17trampoline_kernelINS0_14default_configENS1_38merge_sort_block_merge_config_selectorIttEEZZNS1_27merge_sort_block_merge_implIS3_N6thrust23THRUST_200600_302600_NS6detail15normal_iteratorINS8_10device_ptrItEEEESD_jNS1_19radix_merge_compareILb0ELb1EtNS0_19identity_decomposerEEEEE10hipError_tT0_T1_T2_jT3_P12ihipStream_tbPNSt15iterator_traitsISI_E10value_typeEPNSO_ISJ_E10value_typeEPSK_NS1_7vsmem_tEENKUlT_SI_SJ_SK_E_clIPtSD_S10_SD_EESH_SX_SI_SJ_SK_EUlSX_E0_NS1_11comp_targetILNS1_3genE5ELNS1_11target_archE942ELNS1_3gpuE9ELNS1_3repE0EEENS1_38merge_mergepath_config_static_selectorELNS0_4arch9wavefront6targetE1EEEvSJ_ ; -- Begin function _ZN7rocprim17ROCPRIM_400000_NS6detail17trampoline_kernelINS0_14default_configENS1_38merge_sort_block_merge_config_selectorIttEEZZNS1_27merge_sort_block_merge_implIS3_N6thrust23THRUST_200600_302600_NS6detail15normal_iteratorINS8_10device_ptrItEEEESD_jNS1_19radix_merge_compareILb0ELb1EtNS0_19identity_decomposerEEEEE10hipError_tT0_T1_T2_jT3_P12ihipStream_tbPNSt15iterator_traitsISI_E10value_typeEPNSO_ISJ_E10value_typeEPSK_NS1_7vsmem_tEENKUlT_SI_SJ_SK_E_clIPtSD_S10_SD_EESH_SX_SI_SJ_SK_EUlSX_E0_NS1_11comp_targetILNS1_3genE5ELNS1_11target_archE942ELNS1_3gpuE9ELNS1_3repE0EEENS1_38merge_mergepath_config_static_selectorELNS0_4arch9wavefront6targetE1EEEvSJ_
	.globl	_ZN7rocprim17ROCPRIM_400000_NS6detail17trampoline_kernelINS0_14default_configENS1_38merge_sort_block_merge_config_selectorIttEEZZNS1_27merge_sort_block_merge_implIS3_N6thrust23THRUST_200600_302600_NS6detail15normal_iteratorINS8_10device_ptrItEEEESD_jNS1_19radix_merge_compareILb0ELb1EtNS0_19identity_decomposerEEEEE10hipError_tT0_T1_T2_jT3_P12ihipStream_tbPNSt15iterator_traitsISI_E10value_typeEPNSO_ISJ_E10value_typeEPSK_NS1_7vsmem_tEENKUlT_SI_SJ_SK_E_clIPtSD_S10_SD_EESH_SX_SI_SJ_SK_EUlSX_E0_NS1_11comp_targetILNS1_3genE5ELNS1_11target_archE942ELNS1_3gpuE9ELNS1_3repE0EEENS1_38merge_mergepath_config_static_selectorELNS0_4arch9wavefront6targetE1EEEvSJ_
	.p2align	8
	.type	_ZN7rocprim17ROCPRIM_400000_NS6detail17trampoline_kernelINS0_14default_configENS1_38merge_sort_block_merge_config_selectorIttEEZZNS1_27merge_sort_block_merge_implIS3_N6thrust23THRUST_200600_302600_NS6detail15normal_iteratorINS8_10device_ptrItEEEESD_jNS1_19radix_merge_compareILb0ELb1EtNS0_19identity_decomposerEEEEE10hipError_tT0_T1_T2_jT3_P12ihipStream_tbPNSt15iterator_traitsISI_E10value_typeEPNSO_ISJ_E10value_typeEPSK_NS1_7vsmem_tEENKUlT_SI_SJ_SK_E_clIPtSD_S10_SD_EESH_SX_SI_SJ_SK_EUlSX_E0_NS1_11comp_targetILNS1_3genE5ELNS1_11target_archE942ELNS1_3gpuE9ELNS1_3repE0EEENS1_38merge_mergepath_config_static_selectorELNS0_4arch9wavefront6targetE1EEEvSJ_,@function
_ZN7rocprim17ROCPRIM_400000_NS6detail17trampoline_kernelINS0_14default_configENS1_38merge_sort_block_merge_config_selectorIttEEZZNS1_27merge_sort_block_merge_implIS3_N6thrust23THRUST_200600_302600_NS6detail15normal_iteratorINS8_10device_ptrItEEEESD_jNS1_19radix_merge_compareILb0ELb1EtNS0_19identity_decomposerEEEEE10hipError_tT0_T1_T2_jT3_P12ihipStream_tbPNSt15iterator_traitsISI_E10value_typeEPNSO_ISJ_E10value_typeEPSK_NS1_7vsmem_tEENKUlT_SI_SJ_SK_E_clIPtSD_S10_SD_EESH_SX_SI_SJ_SK_EUlSX_E0_NS1_11comp_targetILNS1_3genE5ELNS1_11target_archE942ELNS1_3gpuE9ELNS1_3repE0EEENS1_38merge_mergepath_config_static_selectorELNS0_4arch9wavefront6targetE1EEEvSJ_: ; @_ZN7rocprim17ROCPRIM_400000_NS6detail17trampoline_kernelINS0_14default_configENS1_38merge_sort_block_merge_config_selectorIttEEZZNS1_27merge_sort_block_merge_implIS3_N6thrust23THRUST_200600_302600_NS6detail15normal_iteratorINS8_10device_ptrItEEEESD_jNS1_19radix_merge_compareILb0ELb1EtNS0_19identity_decomposerEEEEE10hipError_tT0_T1_T2_jT3_P12ihipStream_tbPNSt15iterator_traitsISI_E10value_typeEPNSO_ISJ_E10value_typeEPSK_NS1_7vsmem_tEENKUlT_SI_SJ_SK_E_clIPtSD_S10_SD_EESH_SX_SI_SJ_SK_EUlSX_E0_NS1_11comp_targetILNS1_3genE5ELNS1_11target_archE942ELNS1_3gpuE9ELNS1_3repE0EEENS1_38merge_mergepath_config_static_selectorELNS0_4arch9wavefront6targetE1EEEvSJ_
; %bb.0:
	.section	.rodata,"a",@progbits
	.p2align	6, 0x0
	.amdhsa_kernel _ZN7rocprim17ROCPRIM_400000_NS6detail17trampoline_kernelINS0_14default_configENS1_38merge_sort_block_merge_config_selectorIttEEZZNS1_27merge_sort_block_merge_implIS3_N6thrust23THRUST_200600_302600_NS6detail15normal_iteratorINS8_10device_ptrItEEEESD_jNS1_19radix_merge_compareILb0ELb1EtNS0_19identity_decomposerEEEEE10hipError_tT0_T1_T2_jT3_P12ihipStream_tbPNSt15iterator_traitsISI_E10value_typeEPNSO_ISJ_E10value_typeEPSK_NS1_7vsmem_tEENKUlT_SI_SJ_SK_E_clIPtSD_S10_SD_EESH_SX_SI_SJ_SK_EUlSX_E0_NS1_11comp_targetILNS1_3genE5ELNS1_11target_archE942ELNS1_3gpuE9ELNS1_3repE0EEENS1_38merge_mergepath_config_static_selectorELNS0_4arch9wavefront6targetE1EEEvSJ_
		.amdhsa_group_segment_fixed_size 0
		.amdhsa_private_segment_fixed_size 0
		.amdhsa_kernarg_size 64
		.amdhsa_user_sgpr_count 2
		.amdhsa_user_sgpr_dispatch_ptr 0
		.amdhsa_user_sgpr_queue_ptr 0
		.amdhsa_user_sgpr_kernarg_segment_ptr 1
		.amdhsa_user_sgpr_dispatch_id 0
		.amdhsa_user_sgpr_kernarg_preload_length 0
		.amdhsa_user_sgpr_kernarg_preload_offset 0
		.amdhsa_user_sgpr_private_segment_size 0
		.amdhsa_uses_dynamic_stack 0
		.amdhsa_enable_private_segment 0
		.amdhsa_system_sgpr_workgroup_id_x 1
		.amdhsa_system_sgpr_workgroup_id_y 0
		.amdhsa_system_sgpr_workgroup_id_z 0
		.amdhsa_system_sgpr_workgroup_info 0
		.amdhsa_system_vgpr_workitem_id 0
		.amdhsa_next_free_vgpr 1
		.amdhsa_next_free_sgpr 0
		.amdhsa_accum_offset 4
		.amdhsa_reserve_vcc 0
		.amdhsa_float_round_mode_32 0
		.amdhsa_float_round_mode_16_64 0
		.amdhsa_float_denorm_mode_32 3
		.amdhsa_float_denorm_mode_16_64 3
		.amdhsa_dx10_clamp 1
		.amdhsa_ieee_mode 1
		.amdhsa_fp16_overflow 0
		.amdhsa_tg_split 0
		.amdhsa_exception_fp_ieee_invalid_op 0
		.amdhsa_exception_fp_denorm_src 0
		.amdhsa_exception_fp_ieee_div_zero 0
		.amdhsa_exception_fp_ieee_overflow 0
		.amdhsa_exception_fp_ieee_underflow 0
		.amdhsa_exception_fp_ieee_inexact 0
		.amdhsa_exception_int_div_zero 0
	.end_amdhsa_kernel
	.section	.text._ZN7rocprim17ROCPRIM_400000_NS6detail17trampoline_kernelINS0_14default_configENS1_38merge_sort_block_merge_config_selectorIttEEZZNS1_27merge_sort_block_merge_implIS3_N6thrust23THRUST_200600_302600_NS6detail15normal_iteratorINS8_10device_ptrItEEEESD_jNS1_19radix_merge_compareILb0ELb1EtNS0_19identity_decomposerEEEEE10hipError_tT0_T1_T2_jT3_P12ihipStream_tbPNSt15iterator_traitsISI_E10value_typeEPNSO_ISJ_E10value_typeEPSK_NS1_7vsmem_tEENKUlT_SI_SJ_SK_E_clIPtSD_S10_SD_EESH_SX_SI_SJ_SK_EUlSX_E0_NS1_11comp_targetILNS1_3genE5ELNS1_11target_archE942ELNS1_3gpuE9ELNS1_3repE0EEENS1_38merge_mergepath_config_static_selectorELNS0_4arch9wavefront6targetE1EEEvSJ_,"axG",@progbits,_ZN7rocprim17ROCPRIM_400000_NS6detail17trampoline_kernelINS0_14default_configENS1_38merge_sort_block_merge_config_selectorIttEEZZNS1_27merge_sort_block_merge_implIS3_N6thrust23THRUST_200600_302600_NS6detail15normal_iteratorINS8_10device_ptrItEEEESD_jNS1_19radix_merge_compareILb0ELb1EtNS0_19identity_decomposerEEEEE10hipError_tT0_T1_T2_jT3_P12ihipStream_tbPNSt15iterator_traitsISI_E10value_typeEPNSO_ISJ_E10value_typeEPSK_NS1_7vsmem_tEENKUlT_SI_SJ_SK_E_clIPtSD_S10_SD_EESH_SX_SI_SJ_SK_EUlSX_E0_NS1_11comp_targetILNS1_3genE5ELNS1_11target_archE942ELNS1_3gpuE9ELNS1_3repE0EEENS1_38merge_mergepath_config_static_selectorELNS0_4arch9wavefront6targetE1EEEvSJ_,comdat
.Lfunc_end909:
	.size	_ZN7rocprim17ROCPRIM_400000_NS6detail17trampoline_kernelINS0_14default_configENS1_38merge_sort_block_merge_config_selectorIttEEZZNS1_27merge_sort_block_merge_implIS3_N6thrust23THRUST_200600_302600_NS6detail15normal_iteratorINS8_10device_ptrItEEEESD_jNS1_19radix_merge_compareILb0ELb1EtNS0_19identity_decomposerEEEEE10hipError_tT0_T1_T2_jT3_P12ihipStream_tbPNSt15iterator_traitsISI_E10value_typeEPNSO_ISJ_E10value_typeEPSK_NS1_7vsmem_tEENKUlT_SI_SJ_SK_E_clIPtSD_S10_SD_EESH_SX_SI_SJ_SK_EUlSX_E0_NS1_11comp_targetILNS1_3genE5ELNS1_11target_archE942ELNS1_3gpuE9ELNS1_3repE0EEENS1_38merge_mergepath_config_static_selectorELNS0_4arch9wavefront6targetE1EEEvSJ_, .Lfunc_end909-_ZN7rocprim17ROCPRIM_400000_NS6detail17trampoline_kernelINS0_14default_configENS1_38merge_sort_block_merge_config_selectorIttEEZZNS1_27merge_sort_block_merge_implIS3_N6thrust23THRUST_200600_302600_NS6detail15normal_iteratorINS8_10device_ptrItEEEESD_jNS1_19radix_merge_compareILb0ELb1EtNS0_19identity_decomposerEEEEE10hipError_tT0_T1_T2_jT3_P12ihipStream_tbPNSt15iterator_traitsISI_E10value_typeEPNSO_ISJ_E10value_typeEPSK_NS1_7vsmem_tEENKUlT_SI_SJ_SK_E_clIPtSD_S10_SD_EESH_SX_SI_SJ_SK_EUlSX_E0_NS1_11comp_targetILNS1_3genE5ELNS1_11target_archE942ELNS1_3gpuE9ELNS1_3repE0EEENS1_38merge_mergepath_config_static_selectorELNS0_4arch9wavefront6targetE1EEEvSJ_
                                        ; -- End function
	.set _ZN7rocprim17ROCPRIM_400000_NS6detail17trampoline_kernelINS0_14default_configENS1_38merge_sort_block_merge_config_selectorIttEEZZNS1_27merge_sort_block_merge_implIS3_N6thrust23THRUST_200600_302600_NS6detail15normal_iteratorINS8_10device_ptrItEEEESD_jNS1_19radix_merge_compareILb0ELb1EtNS0_19identity_decomposerEEEEE10hipError_tT0_T1_T2_jT3_P12ihipStream_tbPNSt15iterator_traitsISI_E10value_typeEPNSO_ISJ_E10value_typeEPSK_NS1_7vsmem_tEENKUlT_SI_SJ_SK_E_clIPtSD_S10_SD_EESH_SX_SI_SJ_SK_EUlSX_E0_NS1_11comp_targetILNS1_3genE5ELNS1_11target_archE942ELNS1_3gpuE9ELNS1_3repE0EEENS1_38merge_mergepath_config_static_selectorELNS0_4arch9wavefront6targetE1EEEvSJ_.num_vgpr, 0
	.set _ZN7rocprim17ROCPRIM_400000_NS6detail17trampoline_kernelINS0_14default_configENS1_38merge_sort_block_merge_config_selectorIttEEZZNS1_27merge_sort_block_merge_implIS3_N6thrust23THRUST_200600_302600_NS6detail15normal_iteratorINS8_10device_ptrItEEEESD_jNS1_19radix_merge_compareILb0ELb1EtNS0_19identity_decomposerEEEEE10hipError_tT0_T1_T2_jT3_P12ihipStream_tbPNSt15iterator_traitsISI_E10value_typeEPNSO_ISJ_E10value_typeEPSK_NS1_7vsmem_tEENKUlT_SI_SJ_SK_E_clIPtSD_S10_SD_EESH_SX_SI_SJ_SK_EUlSX_E0_NS1_11comp_targetILNS1_3genE5ELNS1_11target_archE942ELNS1_3gpuE9ELNS1_3repE0EEENS1_38merge_mergepath_config_static_selectorELNS0_4arch9wavefront6targetE1EEEvSJ_.num_agpr, 0
	.set _ZN7rocprim17ROCPRIM_400000_NS6detail17trampoline_kernelINS0_14default_configENS1_38merge_sort_block_merge_config_selectorIttEEZZNS1_27merge_sort_block_merge_implIS3_N6thrust23THRUST_200600_302600_NS6detail15normal_iteratorINS8_10device_ptrItEEEESD_jNS1_19radix_merge_compareILb0ELb1EtNS0_19identity_decomposerEEEEE10hipError_tT0_T1_T2_jT3_P12ihipStream_tbPNSt15iterator_traitsISI_E10value_typeEPNSO_ISJ_E10value_typeEPSK_NS1_7vsmem_tEENKUlT_SI_SJ_SK_E_clIPtSD_S10_SD_EESH_SX_SI_SJ_SK_EUlSX_E0_NS1_11comp_targetILNS1_3genE5ELNS1_11target_archE942ELNS1_3gpuE9ELNS1_3repE0EEENS1_38merge_mergepath_config_static_selectorELNS0_4arch9wavefront6targetE1EEEvSJ_.numbered_sgpr, 0
	.set _ZN7rocprim17ROCPRIM_400000_NS6detail17trampoline_kernelINS0_14default_configENS1_38merge_sort_block_merge_config_selectorIttEEZZNS1_27merge_sort_block_merge_implIS3_N6thrust23THRUST_200600_302600_NS6detail15normal_iteratorINS8_10device_ptrItEEEESD_jNS1_19radix_merge_compareILb0ELb1EtNS0_19identity_decomposerEEEEE10hipError_tT0_T1_T2_jT3_P12ihipStream_tbPNSt15iterator_traitsISI_E10value_typeEPNSO_ISJ_E10value_typeEPSK_NS1_7vsmem_tEENKUlT_SI_SJ_SK_E_clIPtSD_S10_SD_EESH_SX_SI_SJ_SK_EUlSX_E0_NS1_11comp_targetILNS1_3genE5ELNS1_11target_archE942ELNS1_3gpuE9ELNS1_3repE0EEENS1_38merge_mergepath_config_static_selectorELNS0_4arch9wavefront6targetE1EEEvSJ_.num_named_barrier, 0
	.set _ZN7rocprim17ROCPRIM_400000_NS6detail17trampoline_kernelINS0_14default_configENS1_38merge_sort_block_merge_config_selectorIttEEZZNS1_27merge_sort_block_merge_implIS3_N6thrust23THRUST_200600_302600_NS6detail15normal_iteratorINS8_10device_ptrItEEEESD_jNS1_19radix_merge_compareILb0ELb1EtNS0_19identity_decomposerEEEEE10hipError_tT0_T1_T2_jT3_P12ihipStream_tbPNSt15iterator_traitsISI_E10value_typeEPNSO_ISJ_E10value_typeEPSK_NS1_7vsmem_tEENKUlT_SI_SJ_SK_E_clIPtSD_S10_SD_EESH_SX_SI_SJ_SK_EUlSX_E0_NS1_11comp_targetILNS1_3genE5ELNS1_11target_archE942ELNS1_3gpuE9ELNS1_3repE0EEENS1_38merge_mergepath_config_static_selectorELNS0_4arch9wavefront6targetE1EEEvSJ_.private_seg_size, 0
	.set _ZN7rocprim17ROCPRIM_400000_NS6detail17trampoline_kernelINS0_14default_configENS1_38merge_sort_block_merge_config_selectorIttEEZZNS1_27merge_sort_block_merge_implIS3_N6thrust23THRUST_200600_302600_NS6detail15normal_iteratorINS8_10device_ptrItEEEESD_jNS1_19radix_merge_compareILb0ELb1EtNS0_19identity_decomposerEEEEE10hipError_tT0_T1_T2_jT3_P12ihipStream_tbPNSt15iterator_traitsISI_E10value_typeEPNSO_ISJ_E10value_typeEPSK_NS1_7vsmem_tEENKUlT_SI_SJ_SK_E_clIPtSD_S10_SD_EESH_SX_SI_SJ_SK_EUlSX_E0_NS1_11comp_targetILNS1_3genE5ELNS1_11target_archE942ELNS1_3gpuE9ELNS1_3repE0EEENS1_38merge_mergepath_config_static_selectorELNS0_4arch9wavefront6targetE1EEEvSJ_.uses_vcc, 0
	.set _ZN7rocprim17ROCPRIM_400000_NS6detail17trampoline_kernelINS0_14default_configENS1_38merge_sort_block_merge_config_selectorIttEEZZNS1_27merge_sort_block_merge_implIS3_N6thrust23THRUST_200600_302600_NS6detail15normal_iteratorINS8_10device_ptrItEEEESD_jNS1_19radix_merge_compareILb0ELb1EtNS0_19identity_decomposerEEEEE10hipError_tT0_T1_T2_jT3_P12ihipStream_tbPNSt15iterator_traitsISI_E10value_typeEPNSO_ISJ_E10value_typeEPSK_NS1_7vsmem_tEENKUlT_SI_SJ_SK_E_clIPtSD_S10_SD_EESH_SX_SI_SJ_SK_EUlSX_E0_NS1_11comp_targetILNS1_3genE5ELNS1_11target_archE942ELNS1_3gpuE9ELNS1_3repE0EEENS1_38merge_mergepath_config_static_selectorELNS0_4arch9wavefront6targetE1EEEvSJ_.uses_flat_scratch, 0
	.set _ZN7rocprim17ROCPRIM_400000_NS6detail17trampoline_kernelINS0_14default_configENS1_38merge_sort_block_merge_config_selectorIttEEZZNS1_27merge_sort_block_merge_implIS3_N6thrust23THRUST_200600_302600_NS6detail15normal_iteratorINS8_10device_ptrItEEEESD_jNS1_19radix_merge_compareILb0ELb1EtNS0_19identity_decomposerEEEEE10hipError_tT0_T1_T2_jT3_P12ihipStream_tbPNSt15iterator_traitsISI_E10value_typeEPNSO_ISJ_E10value_typeEPSK_NS1_7vsmem_tEENKUlT_SI_SJ_SK_E_clIPtSD_S10_SD_EESH_SX_SI_SJ_SK_EUlSX_E0_NS1_11comp_targetILNS1_3genE5ELNS1_11target_archE942ELNS1_3gpuE9ELNS1_3repE0EEENS1_38merge_mergepath_config_static_selectorELNS0_4arch9wavefront6targetE1EEEvSJ_.has_dyn_sized_stack, 0
	.set _ZN7rocprim17ROCPRIM_400000_NS6detail17trampoline_kernelINS0_14default_configENS1_38merge_sort_block_merge_config_selectorIttEEZZNS1_27merge_sort_block_merge_implIS3_N6thrust23THRUST_200600_302600_NS6detail15normal_iteratorINS8_10device_ptrItEEEESD_jNS1_19radix_merge_compareILb0ELb1EtNS0_19identity_decomposerEEEEE10hipError_tT0_T1_T2_jT3_P12ihipStream_tbPNSt15iterator_traitsISI_E10value_typeEPNSO_ISJ_E10value_typeEPSK_NS1_7vsmem_tEENKUlT_SI_SJ_SK_E_clIPtSD_S10_SD_EESH_SX_SI_SJ_SK_EUlSX_E0_NS1_11comp_targetILNS1_3genE5ELNS1_11target_archE942ELNS1_3gpuE9ELNS1_3repE0EEENS1_38merge_mergepath_config_static_selectorELNS0_4arch9wavefront6targetE1EEEvSJ_.has_recursion, 0
	.set _ZN7rocprim17ROCPRIM_400000_NS6detail17trampoline_kernelINS0_14default_configENS1_38merge_sort_block_merge_config_selectorIttEEZZNS1_27merge_sort_block_merge_implIS3_N6thrust23THRUST_200600_302600_NS6detail15normal_iteratorINS8_10device_ptrItEEEESD_jNS1_19radix_merge_compareILb0ELb1EtNS0_19identity_decomposerEEEEE10hipError_tT0_T1_T2_jT3_P12ihipStream_tbPNSt15iterator_traitsISI_E10value_typeEPNSO_ISJ_E10value_typeEPSK_NS1_7vsmem_tEENKUlT_SI_SJ_SK_E_clIPtSD_S10_SD_EESH_SX_SI_SJ_SK_EUlSX_E0_NS1_11comp_targetILNS1_3genE5ELNS1_11target_archE942ELNS1_3gpuE9ELNS1_3repE0EEENS1_38merge_mergepath_config_static_selectorELNS0_4arch9wavefront6targetE1EEEvSJ_.has_indirect_call, 0
	.section	.AMDGPU.csdata,"",@progbits
; Kernel info:
; codeLenInByte = 0
; TotalNumSgprs: 6
; NumVgprs: 0
; NumAgprs: 0
; TotalNumVgprs: 0
; ScratchSize: 0
; MemoryBound: 0
; FloatMode: 240
; IeeeMode: 1
; LDSByteSize: 0 bytes/workgroup (compile time only)
; SGPRBlocks: 0
; VGPRBlocks: 0
; NumSGPRsForWavesPerEU: 6
; NumVGPRsForWavesPerEU: 1
; AccumOffset: 4
; Occupancy: 8
; WaveLimiterHint : 0
; COMPUTE_PGM_RSRC2:SCRATCH_EN: 0
; COMPUTE_PGM_RSRC2:USER_SGPR: 2
; COMPUTE_PGM_RSRC2:TRAP_HANDLER: 0
; COMPUTE_PGM_RSRC2:TGID_X_EN: 1
; COMPUTE_PGM_RSRC2:TGID_Y_EN: 0
; COMPUTE_PGM_RSRC2:TGID_Z_EN: 0
; COMPUTE_PGM_RSRC2:TIDIG_COMP_CNT: 0
; COMPUTE_PGM_RSRC3_GFX90A:ACCUM_OFFSET: 0
; COMPUTE_PGM_RSRC3_GFX90A:TG_SPLIT: 0
	.section	.text._ZN7rocprim17ROCPRIM_400000_NS6detail17trampoline_kernelINS0_14default_configENS1_38merge_sort_block_merge_config_selectorIttEEZZNS1_27merge_sort_block_merge_implIS3_N6thrust23THRUST_200600_302600_NS6detail15normal_iteratorINS8_10device_ptrItEEEESD_jNS1_19radix_merge_compareILb0ELb1EtNS0_19identity_decomposerEEEEE10hipError_tT0_T1_T2_jT3_P12ihipStream_tbPNSt15iterator_traitsISI_E10value_typeEPNSO_ISJ_E10value_typeEPSK_NS1_7vsmem_tEENKUlT_SI_SJ_SK_E_clIPtSD_S10_SD_EESH_SX_SI_SJ_SK_EUlSX_E0_NS1_11comp_targetILNS1_3genE4ELNS1_11target_archE910ELNS1_3gpuE8ELNS1_3repE0EEENS1_38merge_mergepath_config_static_selectorELNS0_4arch9wavefront6targetE1EEEvSJ_,"axG",@progbits,_ZN7rocprim17ROCPRIM_400000_NS6detail17trampoline_kernelINS0_14default_configENS1_38merge_sort_block_merge_config_selectorIttEEZZNS1_27merge_sort_block_merge_implIS3_N6thrust23THRUST_200600_302600_NS6detail15normal_iteratorINS8_10device_ptrItEEEESD_jNS1_19radix_merge_compareILb0ELb1EtNS0_19identity_decomposerEEEEE10hipError_tT0_T1_T2_jT3_P12ihipStream_tbPNSt15iterator_traitsISI_E10value_typeEPNSO_ISJ_E10value_typeEPSK_NS1_7vsmem_tEENKUlT_SI_SJ_SK_E_clIPtSD_S10_SD_EESH_SX_SI_SJ_SK_EUlSX_E0_NS1_11comp_targetILNS1_3genE4ELNS1_11target_archE910ELNS1_3gpuE8ELNS1_3repE0EEENS1_38merge_mergepath_config_static_selectorELNS0_4arch9wavefront6targetE1EEEvSJ_,comdat
	.protected	_ZN7rocprim17ROCPRIM_400000_NS6detail17trampoline_kernelINS0_14default_configENS1_38merge_sort_block_merge_config_selectorIttEEZZNS1_27merge_sort_block_merge_implIS3_N6thrust23THRUST_200600_302600_NS6detail15normal_iteratorINS8_10device_ptrItEEEESD_jNS1_19radix_merge_compareILb0ELb1EtNS0_19identity_decomposerEEEEE10hipError_tT0_T1_T2_jT3_P12ihipStream_tbPNSt15iterator_traitsISI_E10value_typeEPNSO_ISJ_E10value_typeEPSK_NS1_7vsmem_tEENKUlT_SI_SJ_SK_E_clIPtSD_S10_SD_EESH_SX_SI_SJ_SK_EUlSX_E0_NS1_11comp_targetILNS1_3genE4ELNS1_11target_archE910ELNS1_3gpuE8ELNS1_3repE0EEENS1_38merge_mergepath_config_static_selectorELNS0_4arch9wavefront6targetE1EEEvSJ_ ; -- Begin function _ZN7rocprim17ROCPRIM_400000_NS6detail17trampoline_kernelINS0_14default_configENS1_38merge_sort_block_merge_config_selectorIttEEZZNS1_27merge_sort_block_merge_implIS3_N6thrust23THRUST_200600_302600_NS6detail15normal_iteratorINS8_10device_ptrItEEEESD_jNS1_19radix_merge_compareILb0ELb1EtNS0_19identity_decomposerEEEEE10hipError_tT0_T1_T2_jT3_P12ihipStream_tbPNSt15iterator_traitsISI_E10value_typeEPNSO_ISJ_E10value_typeEPSK_NS1_7vsmem_tEENKUlT_SI_SJ_SK_E_clIPtSD_S10_SD_EESH_SX_SI_SJ_SK_EUlSX_E0_NS1_11comp_targetILNS1_3genE4ELNS1_11target_archE910ELNS1_3gpuE8ELNS1_3repE0EEENS1_38merge_mergepath_config_static_selectorELNS0_4arch9wavefront6targetE1EEEvSJ_
	.globl	_ZN7rocprim17ROCPRIM_400000_NS6detail17trampoline_kernelINS0_14default_configENS1_38merge_sort_block_merge_config_selectorIttEEZZNS1_27merge_sort_block_merge_implIS3_N6thrust23THRUST_200600_302600_NS6detail15normal_iteratorINS8_10device_ptrItEEEESD_jNS1_19radix_merge_compareILb0ELb1EtNS0_19identity_decomposerEEEEE10hipError_tT0_T1_T2_jT3_P12ihipStream_tbPNSt15iterator_traitsISI_E10value_typeEPNSO_ISJ_E10value_typeEPSK_NS1_7vsmem_tEENKUlT_SI_SJ_SK_E_clIPtSD_S10_SD_EESH_SX_SI_SJ_SK_EUlSX_E0_NS1_11comp_targetILNS1_3genE4ELNS1_11target_archE910ELNS1_3gpuE8ELNS1_3repE0EEENS1_38merge_mergepath_config_static_selectorELNS0_4arch9wavefront6targetE1EEEvSJ_
	.p2align	8
	.type	_ZN7rocprim17ROCPRIM_400000_NS6detail17trampoline_kernelINS0_14default_configENS1_38merge_sort_block_merge_config_selectorIttEEZZNS1_27merge_sort_block_merge_implIS3_N6thrust23THRUST_200600_302600_NS6detail15normal_iteratorINS8_10device_ptrItEEEESD_jNS1_19radix_merge_compareILb0ELb1EtNS0_19identity_decomposerEEEEE10hipError_tT0_T1_T2_jT3_P12ihipStream_tbPNSt15iterator_traitsISI_E10value_typeEPNSO_ISJ_E10value_typeEPSK_NS1_7vsmem_tEENKUlT_SI_SJ_SK_E_clIPtSD_S10_SD_EESH_SX_SI_SJ_SK_EUlSX_E0_NS1_11comp_targetILNS1_3genE4ELNS1_11target_archE910ELNS1_3gpuE8ELNS1_3repE0EEENS1_38merge_mergepath_config_static_selectorELNS0_4arch9wavefront6targetE1EEEvSJ_,@function
_ZN7rocprim17ROCPRIM_400000_NS6detail17trampoline_kernelINS0_14default_configENS1_38merge_sort_block_merge_config_selectorIttEEZZNS1_27merge_sort_block_merge_implIS3_N6thrust23THRUST_200600_302600_NS6detail15normal_iteratorINS8_10device_ptrItEEEESD_jNS1_19radix_merge_compareILb0ELb1EtNS0_19identity_decomposerEEEEE10hipError_tT0_T1_T2_jT3_P12ihipStream_tbPNSt15iterator_traitsISI_E10value_typeEPNSO_ISJ_E10value_typeEPSK_NS1_7vsmem_tEENKUlT_SI_SJ_SK_E_clIPtSD_S10_SD_EESH_SX_SI_SJ_SK_EUlSX_E0_NS1_11comp_targetILNS1_3genE4ELNS1_11target_archE910ELNS1_3gpuE8ELNS1_3repE0EEENS1_38merge_mergepath_config_static_selectorELNS0_4arch9wavefront6targetE1EEEvSJ_: ; @_ZN7rocprim17ROCPRIM_400000_NS6detail17trampoline_kernelINS0_14default_configENS1_38merge_sort_block_merge_config_selectorIttEEZZNS1_27merge_sort_block_merge_implIS3_N6thrust23THRUST_200600_302600_NS6detail15normal_iteratorINS8_10device_ptrItEEEESD_jNS1_19radix_merge_compareILb0ELb1EtNS0_19identity_decomposerEEEEE10hipError_tT0_T1_T2_jT3_P12ihipStream_tbPNSt15iterator_traitsISI_E10value_typeEPNSO_ISJ_E10value_typeEPSK_NS1_7vsmem_tEENKUlT_SI_SJ_SK_E_clIPtSD_S10_SD_EESH_SX_SI_SJ_SK_EUlSX_E0_NS1_11comp_targetILNS1_3genE4ELNS1_11target_archE910ELNS1_3gpuE8ELNS1_3repE0EEENS1_38merge_mergepath_config_static_selectorELNS0_4arch9wavefront6targetE1EEEvSJ_
; %bb.0:
	.section	.rodata,"a",@progbits
	.p2align	6, 0x0
	.amdhsa_kernel _ZN7rocprim17ROCPRIM_400000_NS6detail17trampoline_kernelINS0_14default_configENS1_38merge_sort_block_merge_config_selectorIttEEZZNS1_27merge_sort_block_merge_implIS3_N6thrust23THRUST_200600_302600_NS6detail15normal_iteratorINS8_10device_ptrItEEEESD_jNS1_19radix_merge_compareILb0ELb1EtNS0_19identity_decomposerEEEEE10hipError_tT0_T1_T2_jT3_P12ihipStream_tbPNSt15iterator_traitsISI_E10value_typeEPNSO_ISJ_E10value_typeEPSK_NS1_7vsmem_tEENKUlT_SI_SJ_SK_E_clIPtSD_S10_SD_EESH_SX_SI_SJ_SK_EUlSX_E0_NS1_11comp_targetILNS1_3genE4ELNS1_11target_archE910ELNS1_3gpuE8ELNS1_3repE0EEENS1_38merge_mergepath_config_static_selectorELNS0_4arch9wavefront6targetE1EEEvSJ_
		.amdhsa_group_segment_fixed_size 0
		.amdhsa_private_segment_fixed_size 0
		.amdhsa_kernarg_size 64
		.amdhsa_user_sgpr_count 2
		.amdhsa_user_sgpr_dispatch_ptr 0
		.amdhsa_user_sgpr_queue_ptr 0
		.amdhsa_user_sgpr_kernarg_segment_ptr 1
		.amdhsa_user_sgpr_dispatch_id 0
		.amdhsa_user_sgpr_kernarg_preload_length 0
		.amdhsa_user_sgpr_kernarg_preload_offset 0
		.amdhsa_user_sgpr_private_segment_size 0
		.amdhsa_uses_dynamic_stack 0
		.amdhsa_enable_private_segment 0
		.amdhsa_system_sgpr_workgroup_id_x 1
		.amdhsa_system_sgpr_workgroup_id_y 0
		.amdhsa_system_sgpr_workgroup_id_z 0
		.amdhsa_system_sgpr_workgroup_info 0
		.amdhsa_system_vgpr_workitem_id 0
		.amdhsa_next_free_vgpr 1
		.amdhsa_next_free_sgpr 0
		.amdhsa_accum_offset 4
		.amdhsa_reserve_vcc 0
		.amdhsa_float_round_mode_32 0
		.amdhsa_float_round_mode_16_64 0
		.amdhsa_float_denorm_mode_32 3
		.amdhsa_float_denorm_mode_16_64 3
		.amdhsa_dx10_clamp 1
		.amdhsa_ieee_mode 1
		.amdhsa_fp16_overflow 0
		.amdhsa_tg_split 0
		.amdhsa_exception_fp_ieee_invalid_op 0
		.amdhsa_exception_fp_denorm_src 0
		.amdhsa_exception_fp_ieee_div_zero 0
		.amdhsa_exception_fp_ieee_overflow 0
		.amdhsa_exception_fp_ieee_underflow 0
		.amdhsa_exception_fp_ieee_inexact 0
		.amdhsa_exception_int_div_zero 0
	.end_amdhsa_kernel
	.section	.text._ZN7rocprim17ROCPRIM_400000_NS6detail17trampoline_kernelINS0_14default_configENS1_38merge_sort_block_merge_config_selectorIttEEZZNS1_27merge_sort_block_merge_implIS3_N6thrust23THRUST_200600_302600_NS6detail15normal_iteratorINS8_10device_ptrItEEEESD_jNS1_19radix_merge_compareILb0ELb1EtNS0_19identity_decomposerEEEEE10hipError_tT0_T1_T2_jT3_P12ihipStream_tbPNSt15iterator_traitsISI_E10value_typeEPNSO_ISJ_E10value_typeEPSK_NS1_7vsmem_tEENKUlT_SI_SJ_SK_E_clIPtSD_S10_SD_EESH_SX_SI_SJ_SK_EUlSX_E0_NS1_11comp_targetILNS1_3genE4ELNS1_11target_archE910ELNS1_3gpuE8ELNS1_3repE0EEENS1_38merge_mergepath_config_static_selectorELNS0_4arch9wavefront6targetE1EEEvSJ_,"axG",@progbits,_ZN7rocprim17ROCPRIM_400000_NS6detail17trampoline_kernelINS0_14default_configENS1_38merge_sort_block_merge_config_selectorIttEEZZNS1_27merge_sort_block_merge_implIS3_N6thrust23THRUST_200600_302600_NS6detail15normal_iteratorINS8_10device_ptrItEEEESD_jNS1_19radix_merge_compareILb0ELb1EtNS0_19identity_decomposerEEEEE10hipError_tT0_T1_T2_jT3_P12ihipStream_tbPNSt15iterator_traitsISI_E10value_typeEPNSO_ISJ_E10value_typeEPSK_NS1_7vsmem_tEENKUlT_SI_SJ_SK_E_clIPtSD_S10_SD_EESH_SX_SI_SJ_SK_EUlSX_E0_NS1_11comp_targetILNS1_3genE4ELNS1_11target_archE910ELNS1_3gpuE8ELNS1_3repE0EEENS1_38merge_mergepath_config_static_selectorELNS0_4arch9wavefront6targetE1EEEvSJ_,comdat
.Lfunc_end910:
	.size	_ZN7rocprim17ROCPRIM_400000_NS6detail17trampoline_kernelINS0_14default_configENS1_38merge_sort_block_merge_config_selectorIttEEZZNS1_27merge_sort_block_merge_implIS3_N6thrust23THRUST_200600_302600_NS6detail15normal_iteratorINS8_10device_ptrItEEEESD_jNS1_19radix_merge_compareILb0ELb1EtNS0_19identity_decomposerEEEEE10hipError_tT0_T1_T2_jT3_P12ihipStream_tbPNSt15iterator_traitsISI_E10value_typeEPNSO_ISJ_E10value_typeEPSK_NS1_7vsmem_tEENKUlT_SI_SJ_SK_E_clIPtSD_S10_SD_EESH_SX_SI_SJ_SK_EUlSX_E0_NS1_11comp_targetILNS1_3genE4ELNS1_11target_archE910ELNS1_3gpuE8ELNS1_3repE0EEENS1_38merge_mergepath_config_static_selectorELNS0_4arch9wavefront6targetE1EEEvSJ_, .Lfunc_end910-_ZN7rocprim17ROCPRIM_400000_NS6detail17trampoline_kernelINS0_14default_configENS1_38merge_sort_block_merge_config_selectorIttEEZZNS1_27merge_sort_block_merge_implIS3_N6thrust23THRUST_200600_302600_NS6detail15normal_iteratorINS8_10device_ptrItEEEESD_jNS1_19radix_merge_compareILb0ELb1EtNS0_19identity_decomposerEEEEE10hipError_tT0_T1_T2_jT3_P12ihipStream_tbPNSt15iterator_traitsISI_E10value_typeEPNSO_ISJ_E10value_typeEPSK_NS1_7vsmem_tEENKUlT_SI_SJ_SK_E_clIPtSD_S10_SD_EESH_SX_SI_SJ_SK_EUlSX_E0_NS1_11comp_targetILNS1_3genE4ELNS1_11target_archE910ELNS1_3gpuE8ELNS1_3repE0EEENS1_38merge_mergepath_config_static_selectorELNS0_4arch9wavefront6targetE1EEEvSJ_
                                        ; -- End function
	.set _ZN7rocprim17ROCPRIM_400000_NS6detail17trampoline_kernelINS0_14default_configENS1_38merge_sort_block_merge_config_selectorIttEEZZNS1_27merge_sort_block_merge_implIS3_N6thrust23THRUST_200600_302600_NS6detail15normal_iteratorINS8_10device_ptrItEEEESD_jNS1_19radix_merge_compareILb0ELb1EtNS0_19identity_decomposerEEEEE10hipError_tT0_T1_T2_jT3_P12ihipStream_tbPNSt15iterator_traitsISI_E10value_typeEPNSO_ISJ_E10value_typeEPSK_NS1_7vsmem_tEENKUlT_SI_SJ_SK_E_clIPtSD_S10_SD_EESH_SX_SI_SJ_SK_EUlSX_E0_NS1_11comp_targetILNS1_3genE4ELNS1_11target_archE910ELNS1_3gpuE8ELNS1_3repE0EEENS1_38merge_mergepath_config_static_selectorELNS0_4arch9wavefront6targetE1EEEvSJ_.num_vgpr, 0
	.set _ZN7rocprim17ROCPRIM_400000_NS6detail17trampoline_kernelINS0_14default_configENS1_38merge_sort_block_merge_config_selectorIttEEZZNS1_27merge_sort_block_merge_implIS3_N6thrust23THRUST_200600_302600_NS6detail15normal_iteratorINS8_10device_ptrItEEEESD_jNS1_19radix_merge_compareILb0ELb1EtNS0_19identity_decomposerEEEEE10hipError_tT0_T1_T2_jT3_P12ihipStream_tbPNSt15iterator_traitsISI_E10value_typeEPNSO_ISJ_E10value_typeEPSK_NS1_7vsmem_tEENKUlT_SI_SJ_SK_E_clIPtSD_S10_SD_EESH_SX_SI_SJ_SK_EUlSX_E0_NS1_11comp_targetILNS1_3genE4ELNS1_11target_archE910ELNS1_3gpuE8ELNS1_3repE0EEENS1_38merge_mergepath_config_static_selectorELNS0_4arch9wavefront6targetE1EEEvSJ_.num_agpr, 0
	.set _ZN7rocprim17ROCPRIM_400000_NS6detail17trampoline_kernelINS0_14default_configENS1_38merge_sort_block_merge_config_selectorIttEEZZNS1_27merge_sort_block_merge_implIS3_N6thrust23THRUST_200600_302600_NS6detail15normal_iteratorINS8_10device_ptrItEEEESD_jNS1_19radix_merge_compareILb0ELb1EtNS0_19identity_decomposerEEEEE10hipError_tT0_T1_T2_jT3_P12ihipStream_tbPNSt15iterator_traitsISI_E10value_typeEPNSO_ISJ_E10value_typeEPSK_NS1_7vsmem_tEENKUlT_SI_SJ_SK_E_clIPtSD_S10_SD_EESH_SX_SI_SJ_SK_EUlSX_E0_NS1_11comp_targetILNS1_3genE4ELNS1_11target_archE910ELNS1_3gpuE8ELNS1_3repE0EEENS1_38merge_mergepath_config_static_selectorELNS0_4arch9wavefront6targetE1EEEvSJ_.numbered_sgpr, 0
	.set _ZN7rocprim17ROCPRIM_400000_NS6detail17trampoline_kernelINS0_14default_configENS1_38merge_sort_block_merge_config_selectorIttEEZZNS1_27merge_sort_block_merge_implIS3_N6thrust23THRUST_200600_302600_NS6detail15normal_iteratorINS8_10device_ptrItEEEESD_jNS1_19radix_merge_compareILb0ELb1EtNS0_19identity_decomposerEEEEE10hipError_tT0_T1_T2_jT3_P12ihipStream_tbPNSt15iterator_traitsISI_E10value_typeEPNSO_ISJ_E10value_typeEPSK_NS1_7vsmem_tEENKUlT_SI_SJ_SK_E_clIPtSD_S10_SD_EESH_SX_SI_SJ_SK_EUlSX_E0_NS1_11comp_targetILNS1_3genE4ELNS1_11target_archE910ELNS1_3gpuE8ELNS1_3repE0EEENS1_38merge_mergepath_config_static_selectorELNS0_4arch9wavefront6targetE1EEEvSJ_.num_named_barrier, 0
	.set _ZN7rocprim17ROCPRIM_400000_NS6detail17trampoline_kernelINS0_14default_configENS1_38merge_sort_block_merge_config_selectorIttEEZZNS1_27merge_sort_block_merge_implIS3_N6thrust23THRUST_200600_302600_NS6detail15normal_iteratorINS8_10device_ptrItEEEESD_jNS1_19radix_merge_compareILb0ELb1EtNS0_19identity_decomposerEEEEE10hipError_tT0_T1_T2_jT3_P12ihipStream_tbPNSt15iterator_traitsISI_E10value_typeEPNSO_ISJ_E10value_typeEPSK_NS1_7vsmem_tEENKUlT_SI_SJ_SK_E_clIPtSD_S10_SD_EESH_SX_SI_SJ_SK_EUlSX_E0_NS1_11comp_targetILNS1_3genE4ELNS1_11target_archE910ELNS1_3gpuE8ELNS1_3repE0EEENS1_38merge_mergepath_config_static_selectorELNS0_4arch9wavefront6targetE1EEEvSJ_.private_seg_size, 0
	.set _ZN7rocprim17ROCPRIM_400000_NS6detail17trampoline_kernelINS0_14default_configENS1_38merge_sort_block_merge_config_selectorIttEEZZNS1_27merge_sort_block_merge_implIS3_N6thrust23THRUST_200600_302600_NS6detail15normal_iteratorINS8_10device_ptrItEEEESD_jNS1_19radix_merge_compareILb0ELb1EtNS0_19identity_decomposerEEEEE10hipError_tT0_T1_T2_jT3_P12ihipStream_tbPNSt15iterator_traitsISI_E10value_typeEPNSO_ISJ_E10value_typeEPSK_NS1_7vsmem_tEENKUlT_SI_SJ_SK_E_clIPtSD_S10_SD_EESH_SX_SI_SJ_SK_EUlSX_E0_NS1_11comp_targetILNS1_3genE4ELNS1_11target_archE910ELNS1_3gpuE8ELNS1_3repE0EEENS1_38merge_mergepath_config_static_selectorELNS0_4arch9wavefront6targetE1EEEvSJ_.uses_vcc, 0
	.set _ZN7rocprim17ROCPRIM_400000_NS6detail17trampoline_kernelINS0_14default_configENS1_38merge_sort_block_merge_config_selectorIttEEZZNS1_27merge_sort_block_merge_implIS3_N6thrust23THRUST_200600_302600_NS6detail15normal_iteratorINS8_10device_ptrItEEEESD_jNS1_19radix_merge_compareILb0ELb1EtNS0_19identity_decomposerEEEEE10hipError_tT0_T1_T2_jT3_P12ihipStream_tbPNSt15iterator_traitsISI_E10value_typeEPNSO_ISJ_E10value_typeEPSK_NS1_7vsmem_tEENKUlT_SI_SJ_SK_E_clIPtSD_S10_SD_EESH_SX_SI_SJ_SK_EUlSX_E0_NS1_11comp_targetILNS1_3genE4ELNS1_11target_archE910ELNS1_3gpuE8ELNS1_3repE0EEENS1_38merge_mergepath_config_static_selectorELNS0_4arch9wavefront6targetE1EEEvSJ_.uses_flat_scratch, 0
	.set _ZN7rocprim17ROCPRIM_400000_NS6detail17trampoline_kernelINS0_14default_configENS1_38merge_sort_block_merge_config_selectorIttEEZZNS1_27merge_sort_block_merge_implIS3_N6thrust23THRUST_200600_302600_NS6detail15normal_iteratorINS8_10device_ptrItEEEESD_jNS1_19radix_merge_compareILb0ELb1EtNS0_19identity_decomposerEEEEE10hipError_tT0_T1_T2_jT3_P12ihipStream_tbPNSt15iterator_traitsISI_E10value_typeEPNSO_ISJ_E10value_typeEPSK_NS1_7vsmem_tEENKUlT_SI_SJ_SK_E_clIPtSD_S10_SD_EESH_SX_SI_SJ_SK_EUlSX_E0_NS1_11comp_targetILNS1_3genE4ELNS1_11target_archE910ELNS1_3gpuE8ELNS1_3repE0EEENS1_38merge_mergepath_config_static_selectorELNS0_4arch9wavefront6targetE1EEEvSJ_.has_dyn_sized_stack, 0
	.set _ZN7rocprim17ROCPRIM_400000_NS6detail17trampoline_kernelINS0_14default_configENS1_38merge_sort_block_merge_config_selectorIttEEZZNS1_27merge_sort_block_merge_implIS3_N6thrust23THRUST_200600_302600_NS6detail15normal_iteratorINS8_10device_ptrItEEEESD_jNS1_19radix_merge_compareILb0ELb1EtNS0_19identity_decomposerEEEEE10hipError_tT0_T1_T2_jT3_P12ihipStream_tbPNSt15iterator_traitsISI_E10value_typeEPNSO_ISJ_E10value_typeEPSK_NS1_7vsmem_tEENKUlT_SI_SJ_SK_E_clIPtSD_S10_SD_EESH_SX_SI_SJ_SK_EUlSX_E0_NS1_11comp_targetILNS1_3genE4ELNS1_11target_archE910ELNS1_3gpuE8ELNS1_3repE0EEENS1_38merge_mergepath_config_static_selectorELNS0_4arch9wavefront6targetE1EEEvSJ_.has_recursion, 0
	.set _ZN7rocprim17ROCPRIM_400000_NS6detail17trampoline_kernelINS0_14default_configENS1_38merge_sort_block_merge_config_selectorIttEEZZNS1_27merge_sort_block_merge_implIS3_N6thrust23THRUST_200600_302600_NS6detail15normal_iteratorINS8_10device_ptrItEEEESD_jNS1_19radix_merge_compareILb0ELb1EtNS0_19identity_decomposerEEEEE10hipError_tT0_T1_T2_jT3_P12ihipStream_tbPNSt15iterator_traitsISI_E10value_typeEPNSO_ISJ_E10value_typeEPSK_NS1_7vsmem_tEENKUlT_SI_SJ_SK_E_clIPtSD_S10_SD_EESH_SX_SI_SJ_SK_EUlSX_E0_NS1_11comp_targetILNS1_3genE4ELNS1_11target_archE910ELNS1_3gpuE8ELNS1_3repE0EEENS1_38merge_mergepath_config_static_selectorELNS0_4arch9wavefront6targetE1EEEvSJ_.has_indirect_call, 0
	.section	.AMDGPU.csdata,"",@progbits
; Kernel info:
; codeLenInByte = 0
; TotalNumSgprs: 6
; NumVgprs: 0
; NumAgprs: 0
; TotalNumVgprs: 0
; ScratchSize: 0
; MemoryBound: 0
; FloatMode: 240
; IeeeMode: 1
; LDSByteSize: 0 bytes/workgroup (compile time only)
; SGPRBlocks: 0
; VGPRBlocks: 0
; NumSGPRsForWavesPerEU: 6
; NumVGPRsForWavesPerEU: 1
; AccumOffset: 4
; Occupancy: 8
; WaveLimiterHint : 0
; COMPUTE_PGM_RSRC2:SCRATCH_EN: 0
; COMPUTE_PGM_RSRC2:USER_SGPR: 2
; COMPUTE_PGM_RSRC2:TRAP_HANDLER: 0
; COMPUTE_PGM_RSRC2:TGID_X_EN: 1
; COMPUTE_PGM_RSRC2:TGID_Y_EN: 0
; COMPUTE_PGM_RSRC2:TGID_Z_EN: 0
; COMPUTE_PGM_RSRC2:TIDIG_COMP_CNT: 0
; COMPUTE_PGM_RSRC3_GFX90A:ACCUM_OFFSET: 0
; COMPUTE_PGM_RSRC3_GFX90A:TG_SPLIT: 0
	.section	.text._ZN7rocprim17ROCPRIM_400000_NS6detail17trampoline_kernelINS0_14default_configENS1_38merge_sort_block_merge_config_selectorIttEEZZNS1_27merge_sort_block_merge_implIS3_N6thrust23THRUST_200600_302600_NS6detail15normal_iteratorINS8_10device_ptrItEEEESD_jNS1_19radix_merge_compareILb0ELb1EtNS0_19identity_decomposerEEEEE10hipError_tT0_T1_T2_jT3_P12ihipStream_tbPNSt15iterator_traitsISI_E10value_typeEPNSO_ISJ_E10value_typeEPSK_NS1_7vsmem_tEENKUlT_SI_SJ_SK_E_clIPtSD_S10_SD_EESH_SX_SI_SJ_SK_EUlSX_E0_NS1_11comp_targetILNS1_3genE3ELNS1_11target_archE908ELNS1_3gpuE7ELNS1_3repE0EEENS1_38merge_mergepath_config_static_selectorELNS0_4arch9wavefront6targetE1EEEvSJ_,"axG",@progbits,_ZN7rocprim17ROCPRIM_400000_NS6detail17trampoline_kernelINS0_14default_configENS1_38merge_sort_block_merge_config_selectorIttEEZZNS1_27merge_sort_block_merge_implIS3_N6thrust23THRUST_200600_302600_NS6detail15normal_iteratorINS8_10device_ptrItEEEESD_jNS1_19radix_merge_compareILb0ELb1EtNS0_19identity_decomposerEEEEE10hipError_tT0_T1_T2_jT3_P12ihipStream_tbPNSt15iterator_traitsISI_E10value_typeEPNSO_ISJ_E10value_typeEPSK_NS1_7vsmem_tEENKUlT_SI_SJ_SK_E_clIPtSD_S10_SD_EESH_SX_SI_SJ_SK_EUlSX_E0_NS1_11comp_targetILNS1_3genE3ELNS1_11target_archE908ELNS1_3gpuE7ELNS1_3repE0EEENS1_38merge_mergepath_config_static_selectorELNS0_4arch9wavefront6targetE1EEEvSJ_,comdat
	.protected	_ZN7rocprim17ROCPRIM_400000_NS6detail17trampoline_kernelINS0_14default_configENS1_38merge_sort_block_merge_config_selectorIttEEZZNS1_27merge_sort_block_merge_implIS3_N6thrust23THRUST_200600_302600_NS6detail15normal_iteratorINS8_10device_ptrItEEEESD_jNS1_19radix_merge_compareILb0ELb1EtNS0_19identity_decomposerEEEEE10hipError_tT0_T1_T2_jT3_P12ihipStream_tbPNSt15iterator_traitsISI_E10value_typeEPNSO_ISJ_E10value_typeEPSK_NS1_7vsmem_tEENKUlT_SI_SJ_SK_E_clIPtSD_S10_SD_EESH_SX_SI_SJ_SK_EUlSX_E0_NS1_11comp_targetILNS1_3genE3ELNS1_11target_archE908ELNS1_3gpuE7ELNS1_3repE0EEENS1_38merge_mergepath_config_static_selectorELNS0_4arch9wavefront6targetE1EEEvSJ_ ; -- Begin function _ZN7rocprim17ROCPRIM_400000_NS6detail17trampoline_kernelINS0_14default_configENS1_38merge_sort_block_merge_config_selectorIttEEZZNS1_27merge_sort_block_merge_implIS3_N6thrust23THRUST_200600_302600_NS6detail15normal_iteratorINS8_10device_ptrItEEEESD_jNS1_19radix_merge_compareILb0ELb1EtNS0_19identity_decomposerEEEEE10hipError_tT0_T1_T2_jT3_P12ihipStream_tbPNSt15iterator_traitsISI_E10value_typeEPNSO_ISJ_E10value_typeEPSK_NS1_7vsmem_tEENKUlT_SI_SJ_SK_E_clIPtSD_S10_SD_EESH_SX_SI_SJ_SK_EUlSX_E0_NS1_11comp_targetILNS1_3genE3ELNS1_11target_archE908ELNS1_3gpuE7ELNS1_3repE0EEENS1_38merge_mergepath_config_static_selectorELNS0_4arch9wavefront6targetE1EEEvSJ_
	.globl	_ZN7rocprim17ROCPRIM_400000_NS6detail17trampoline_kernelINS0_14default_configENS1_38merge_sort_block_merge_config_selectorIttEEZZNS1_27merge_sort_block_merge_implIS3_N6thrust23THRUST_200600_302600_NS6detail15normal_iteratorINS8_10device_ptrItEEEESD_jNS1_19radix_merge_compareILb0ELb1EtNS0_19identity_decomposerEEEEE10hipError_tT0_T1_T2_jT3_P12ihipStream_tbPNSt15iterator_traitsISI_E10value_typeEPNSO_ISJ_E10value_typeEPSK_NS1_7vsmem_tEENKUlT_SI_SJ_SK_E_clIPtSD_S10_SD_EESH_SX_SI_SJ_SK_EUlSX_E0_NS1_11comp_targetILNS1_3genE3ELNS1_11target_archE908ELNS1_3gpuE7ELNS1_3repE0EEENS1_38merge_mergepath_config_static_selectorELNS0_4arch9wavefront6targetE1EEEvSJ_
	.p2align	8
	.type	_ZN7rocprim17ROCPRIM_400000_NS6detail17trampoline_kernelINS0_14default_configENS1_38merge_sort_block_merge_config_selectorIttEEZZNS1_27merge_sort_block_merge_implIS3_N6thrust23THRUST_200600_302600_NS6detail15normal_iteratorINS8_10device_ptrItEEEESD_jNS1_19radix_merge_compareILb0ELb1EtNS0_19identity_decomposerEEEEE10hipError_tT0_T1_T2_jT3_P12ihipStream_tbPNSt15iterator_traitsISI_E10value_typeEPNSO_ISJ_E10value_typeEPSK_NS1_7vsmem_tEENKUlT_SI_SJ_SK_E_clIPtSD_S10_SD_EESH_SX_SI_SJ_SK_EUlSX_E0_NS1_11comp_targetILNS1_3genE3ELNS1_11target_archE908ELNS1_3gpuE7ELNS1_3repE0EEENS1_38merge_mergepath_config_static_selectorELNS0_4arch9wavefront6targetE1EEEvSJ_,@function
_ZN7rocprim17ROCPRIM_400000_NS6detail17trampoline_kernelINS0_14default_configENS1_38merge_sort_block_merge_config_selectorIttEEZZNS1_27merge_sort_block_merge_implIS3_N6thrust23THRUST_200600_302600_NS6detail15normal_iteratorINS8_10device_ptrItEEEESD_jNS1_19radix_merge_compareILb0ELb1EtNS0_19identity_decomposerEEEEE10hipError_tT0_T1_T2_jT3_P12ihipStream_tbPNSt15iterator_traitsISI_E10value_typeEPNSO_ISJ_E10value_typeEPSK_NS1_7vsmem_tEENKUlT_SI_SJ_SK_E_clIPtSD_S10_SD_EESH_SX_SI_SJ_SK_EUlSX_E0_NS1_11comp_targetILNS1_3genE3ELNS1_11target_archE908ELNS1_3gpuE7ELNS1_3repE0EEENS1_38merge_mergepath_config_static_selectorELNS0_4arch9wavefront6targetE1EEEvSJ_: ; @_ZN7rocprim17ROCPRIM_400000_NS6detail17trampoline_kernelINS0_14default_configENS1_38merge_sort_block_merge_config_selectorIttEEZZNS1_27merge_sort_block_merge_implIS3_N6thrust23THRUST_200600_302600_NS6detail15normal_iteratorINS8_10device_ptrItEEEESD_jNS1_19radix_merge_compareILb0ELb1EtNS0_19identity_decomposerEEEEE10hipError_tT0_T1_T2_jT3_P12ihipStream_tbPNSt15iterator_traitsISI_E10value_typeEPNSO_ISJ_E10value_typeEPSK_NS1_7vsmem_tEENKUlT_SI_SJ_SK_E_clIPtSD_S10_SD_EESH_SX_SI_SJ_SK_EUlSX_E0_NS1_11comp_targetILNS1_3genE3ELNS1_11target_archE908ELNS1_3gpuE7ELNS1_3repE0EEENS1_38merge_mergepath_config_static_selectorELNS0_4arch9wavefront6targetE1EEEvSJ_
; %bb.0:
	.section	.rodata,"a",@progbits
	.p2align	6, 0x0
	.amdhsa_kernel _ZN7rocprim17ROCPRIM_400000_NS6detail17trampoline_kernelINS0_14default_configENS1_38merge_sort_block_merge_config_selectorIttEEZZNS1_27merge_sort_block_merge_implIS3_N6thrust23THRUST_200600_302600_NS6detail15normal_iteratorINS8_10device_ptrItEEEESD_jNS1_19radix_merge_compareILb0ELb1EtNS0_19identity_decomposerEEEEE10hipError_tT0_T1_T2_jT3_P12ihipStream_tbPNSt15iterator_traitsISI_E10value_typeEPNSO_ISJ_E10value_typeEPSK_NS1_7vsmem_tEENKUlT_SI_SJ_SK_E_clIPtSD_S10_SD_EESH_SX_SI_SJ_SK_EUlSX_E0_NS1_11comp_targetILNS1_3genE3ELNS1_11target_archE908ELNS1_3gpuE7ELNS1_3repE0EEENS1_38merge_mergepath_config_static_selectorELNS0_4arch9wavefront6targetE1EEEvSJ_
		.amdhsa_group_segment_fixed_size 0
		.amdhsa_private_segment_fixed_size 0
		.amdhsa_kernarg_size 64
		.amdhsa_user_sgpr_count 2
		.amdhsa_user_sgpr_dispatch_ptr 0
		.amdhsa_user_sgpr_queue_ptr 0
		.amdhsa_user_sgpr_kernarg_segment_ptr 1
		.amdhsa_user_sgpr_dispatch_id 0
		.amdhsa_user_sgpr_kernarg_preload_length 0
		.amdhsa_user_sgpr_kernarg_preload_offset 0
		.amdhsa_user_sgpr_private_segment_size 0
		.amdhsa_uses_dynamic_stack 0
		.amdhsa_enable_private_segment 0
		.amdhsa_system_sgpr_workgroup_id_x 1
		.amdhsa_system_sgpr_workgroup_id_y 0
		.amdhsa_system_sgpr_workgroup_id_z 0
		.amdhsa_system_sgpr_workgroup_info 0
		.amdhsa_system_vgpr_workitem_id 0
		.amdhsa_next_free_vgpr 1
		.amdhsa_next_free_sgpr 0
		.amdhsa_accum_offset 4
		.amdhsa_reserve_vcc 0
		.amdhsa_float_round_mode_32 0
		.amdhsa_float_round_mode_16_64 0
		.amdhsa_float_denorm_mode_32 3
		.amdhsa_float_denorm_mode_16_64 3
		.amdhsa_dx10_clamp 1
		.amdhsa_ieee_mode 1
		.amdhsa_fp16_overflow 0
		.amdhsa_tg_split 0
		.amdhsa_exception_fp_ieee_invalid_op 0
		.amdhsa_exception_fp_denorm_src 0
		.amdhsa_exception_fp_ieee_div_zero 0
		.amdhsa_exception_fp_ieee_overflow 0
		.amdhsa_exception_fp_ieee_underflow 0
		.amdhsa_exception_fp_ieee_inexact 0
		.amdhsa_exception_int_div_zero 0
	.end_amdhsa_kernel
	.section	.text._ZN7rocprim17ROCPRIM_400000_NS6detail17trampoline_kernelINS0_14default_configENS1_38merge_sort_block_merge_config_selectorIttEEZZNS1_27merge_sort_block_merge_implIS3_N6thrust23THRUST_200600_302600_NS6detail15normal_iteratorINS8_10device_ptrItEEEESD_jNS1_19radix_merge_compareILb0ELb1EtNS0_19identity_decomposerEEEEE10hipError_tT0_T1_T2_jT3_P12ihipStream_tbPNSt15iterator_traitsISI_E10value_typeEPNSO_ISJ_E10value_typeEPSK_NS1_7vsmem_tEENKUlT_SI_SJ_SK_E_clIPtSD_S10_SD_EESH_SX_SI_SJ_SK_EUlSX_E0_NS1_11comp_targetILNS1_3genE3ELNS1_11target_archE908ELNS1_3gpuE7ELNS1_3repE0EEENS1_38merge_mergepath_config_static_selectorELNS0_4arch9wavefront6targetE1EEEvSJ_,"axG",@progbits,_ZN7rocprim17ROCPRIM_400000_NS6detail17trampoline_kernelINS0_14default_configENS1_38merge_sort_block_merge_config_selectorIttEEZZNS1_27merge_sort_block_merge_implIS3_N6thrust23THRUST_200600_302600_NS6detail15normal_iteratorINS8_10device_ptrItEEEESD_jNS1_19radix_merge_compareILb0ELb1EtNS0_19identity_decomposerEEEEE10hipError_tT0_T1_T2_jT3_P12ihipStream_tbPNSt15iterator_traitsISI_E10value_typeEPNSO_ISJ_E10value_typeEPSK_NS1_7vsmem_tEENKUlT_SI_SJ_SK_E_clIPtSD_S10_SD_EESH_SX_SI_SJ_SK_EUlSX_E0_NS1_11comp_targetILNS1_3genE3ELNS1_11target_archE908ELNS1_3gpuE7ELNS1_3repE0EEENS1_38merge_mergepath_config_static_selectorELNS0_4arch9wavefront6targetE1EEEvSJ_,comdat
.Lfunc_end911:
	.size	_ZN7rocprim17ROCPRIM_400000_NS6detail17trampoline_kernelINS0_14default_configENS1_38merge_sort_block_merge_config_selectorIttEEZZNS1_27merge_sort_block_merge_implIS3_N6thrust23THRUST_200600_302600_NS6detail15normal_iteratorINS8_10device_ptrItEEEESD_jNS1_19radix_merge_compareILb0ELb1EtNS0_19identity_decomposerEEEEE10hipError_tT0_T1_T2_jT3_P12ihipStream_tbPNSt15iterator_traitsISI_E10value_typeEPNSO_ISJ_E10value_typeEPSK_NS1_7vsmem_tEENKUlT_SI_SJ_SK_E_clIPtSD_S10_SD_EESH_SX_SI_SJ_SK_EUlSX_E0_NS1_11comp_targetILNS1_3genE3ELNS1_11target_archE908ELNS1_3gpuE7ELNS1_3repE0EEENS1_38merge_mergepath_config_static_selectorELNS0_4arch9wavefront6targetE1EEEvSJ_, .Lfunc_end911-_ZN7rocprim17ROCPRIM_400000_NS6detail17trampoline_kernelINS0_14default_configENS1_38merge_sort_block_merge_config_selectorIttEEZZNS1_27merge_sort_block_merge_implIS3_N6thrust23THRUST_200600_302600_NS6detail15normal_iteratorINS8_10device_ptrItEEEESD_jNS1_19radix_merge_compareILb0ELb1EtNS0_19identity_decomposerEEEEE10hipError_tT0_T1_T2_jT3_P12ihipStream_tbPNSt15iterator_traitsISI_E10value_typeEPNSO_ISJ_E10value_typeEPSK_NS1_7vsmem_tEENKUlT_SI_SJ_SK_E_clIPtSD_S10_SD_EESH_SX_SI_SJ_SK_EUlSX_E0_NS1_11comp_targetILNS1_3genE3ELNS1_11target_archE908ELNS1_3gpuE7ELNS1_3repE0EEENS1_38merge_mergepath_config_static_selectorELNS0_4arch9wavefront6targetE1EEEvSJ_
                                        ; -- End function
	.set _ZN7rocprim17ROCPRIM_400000_NS6detail17trampoline_kernelINS0_14default_configENS1_38merge_sort_block_merge_config_selectorIttEEZZNS1_27merge_sort_block_merge_implIS3_N6thrust23THRUST_200600_302600_NS6detail15normal_iteratorINS8_10device_ptrItEEEESD_jNS1_19radix_merge_compareILb0ELb1EtNS0_19identity_decomposerEEEEE10hipError_tT0_T1_T2_jT3_P12ihipStream_tbPNSt15iterator_traitsISI_E10value_typeEPNSO_ISJ_E10value_typeEPSK_NS1_7vsmem_tEENKUlT_SI_SJ_SK_E_clIPtSD_S10_SD_EESH_SX_SI_SJ_SK_EUlSX_E0_NS1_11comp_targetILNS1_3genE3ELNS1_11target_archE908ELNS1_3gpuE7ELNS1_3repE0EEENS1_38merge_mergepath_config_static_selectorELNS0_4arch9wavefront6targetE1EEEvSJ_.num_vgpr, 0
	.set _ZN7rocprim17ROCPRIM_400000_NS6detail17trampoline_kernelINS0_14default_configENS1_38merge_sort_block_merge_config_selectorIttEEZZNS1_27merge_sort_block_merge_implIS3_N6thrust23THRUST_200600_302600_NS6detail15normal_iteratorINS8_10device_ptrItEEEESD_jNS1_19radix_merge_compareILb0ELb1EtNS0_19identity_decomposerEEEEE10hipError_tT0_T1_T2_jT3_P12ihipStream_tbPNSt15iterator_traitsISI_E10value_typeEPNSO_ISJ_E10value_typeEPSK_NS1_7vsmem_tEENKUlT_SI_SJ_SK_E_clIPtSD_S10_SD_EESH_SX_SI_SJ_SK_EUlSX_E0_NS1_11comp_targetILNS1_3genE3ELNS1_11target_archE908ELNS1_3gpuE7ELNS1_3repE0EEENS1_38merge_mergepath_config_static_selectorELNS0_4arch9wavefront6targetE1EEEvSJ_.num_agpr, 0
	.set _ZN7rocprim17ROCPRIM_400000_NS6detail17trampoline_kernelINS0_14default_configENS1_38merge_sort_block_merge_config_selectorIttEEZZNS1_27merge_sort_block_merge_implIS3_N6thrust23THRUST_200600_302600_NS6detail15normal_iteratorINS8_10device_ptrItEEEESD_jNS1_19radix_merge_compareILb0ELb1EtNS0_19identity_decomposerEEEEE10hipError_tT0_T1_T2_jT3_P12ihipStream_tbPNSt15iterator_traitsISI_E10value_typeEPNSO_ISJ_E10value_typeEPSK_NS1_7vsmem_tEENKUlT_SI_SJ_SK_E_clIPtSD_S10_SD_EESH_SX_SI_SJ_SK_EUlSX_E0_NS1_11comp_targetILNS1_3genE3ELNS1_11target_archE908ELNS1_3gpuE7ELNS1_3repE0EEENS1_38merge_mergepath_config_static_selectorELNS0_4arch9wavefront6targetE1EEEvSJ_.numbered_sgpr, 0
	.set _ZN7rocprim17ROCPRIM_400000_NS6detail17trampoline_kernelINS0_14default_configENS1_38merge_sort_block_merge_config_selectorIttEEZZNS1_27merge_sort_block_merge_implIS3_N6thrust23THRUST_200600_302600_NS6detail15normal_iteratorINS8_10device_ptrItEEEESD_jNS1_19radix_merge_compareILb0ELb1EtNS0_19identity_decomposerEEEEE10hipError_tT0_T1_T2_jT3_P12ihipStream_tbPNSt15iterator_traitsISI_E10value_typeEPNSO_ISJ_E10value_typeEPSK_NS1_7vsmem_tEENKUlT_SI_SJ_SK_E_clIPtSD_S10_SD_EESH_SX_SI_SJ_SK_EUlSX_E0_NS1_11comp_targetILNS1_3genE3ELNS1_11target_archE908ELNS1_3gpuE7ELNS1_3repE0EEENS1_38merge_mergepath_config_static_selectorELNS0_4arch9wavefront6targetE1EEEvSJ_.num_named_barrier, 0
	.set _ZN7rocprim17ROCPRIM_400000_NS6detail17trampoline_kernelINS0_14default_configENS1_38merge_sort_block_merge_config_selectorIttEEZZNS1_27merge_sort_block_merge_implIS3_N6thrust23THRUST_200600_302600_NS6detail15normal_iteratorINS8_10device_ptrItEEEESD_jNS1_19radix_merge_compareILb0ELb1EtNS0_19identity_decomposerEEEEE10hipError_tT0_T1_T2_jT3_P12ihipStream_tbPNSt15iterator_traitsISI_E10value_typeEPNSO_ISJ_E10value_typeEPSK_NS1_7vsmem_tEENKUlT_SI_SJ_SK_E_clIPtSD_S10_SD_EESH_SX_SI_SJ_SK_EUlSX_E0_NS1_11comp_targetILNS1_3genE3ELNS1_11target_archE908ELNS1_3gpuE7ELNS1_3repE0EEENS1_38merge_mergepath_config_static_selectorELNS0_4arch9wavefront6targetE1EEEvSJ_.private_seg_size, 0
	.set _ZN7rocprim17ROCPRIM_400000_NS6detail17trampoline_kernelINS0_14default_configENS1_38merge_sort_block_merge_config_selectorIttEEZZNS1_27merge_sort_block_merge_implIS3_N6thrust23THRUST_200600_302600_NS6detail15normal_iteratorINS8_10device_ptrItEEEESD_jNS1_19radix_merge_compareILb0ELb1EtNS0_19identity_decomposerEEEEE10hipError_tT0_T1_T2_jT3_P12ihipStream_tbPNSt15iterator_traitsISI_E10value_typeEPNSO_ISJ_E10value_typeEPSK_NS1_7vsmem_tEENKUlT_SI_SJ_SK_E_clIPtSD_S10_SD_EESH_SX_SI_SJ_SK_EUlSX_E0_NS1_11comp_targetILNS1_3genE3ELNS1_11target_archE908ELNS1_3gpuE7ELNS1_3repE0EEENS1_38merge_mergepath_config_static_selectorELNS0_4arch9wavefront6targetE1EEEvSJ_.uses_vcc, 0
	.set _ZN7rocprim17ROCPRIM_400000_NS6detail17trampoline_kernelINS0_14default_configENS1_38merge_sort_block_merge_config_selectorIttEEZZNS1_27merge_sort_block_merge_implIS3_N6thrust23THRUST_200600_302600_NS6detail15normal_iteratorINS8_10device_ptrItEEEESD_jNS1_19radix_merge_compareILb0ELb1EtNS0_19identity_decomposerEEEEE10hipError_tT0_T1_T2_jT3_P12ihipStream_tbPNSt15iterator_traitsISI_E10value_typeEPNSO_ISJ_E10value_typeEPSK_NS1_7vsmem_tEENKUlT_SI_SJ_SK_E_clIPtSD_S10_SD_EESH_SX_SI_SJ_SK_EUlSX_E0_NS1_11comp_targetILNS1_3genE3ELNS1_11target_archE908ELNS1_3gpuE7ELNS1_3repE0EEENS1_38merge_mergepath_config_static_selectorELNS0_4arch9wavefront6targetE1EEEvSJ_.uses_flat_scratch, 0
	.set _ZN7rocprim17ROCPRIM_400000_NS6detail17trampoline_kernelINS0_14default_configENS1_38merge_sort_block_merge_config_selectorIttEEZZNS1_27merge_sort_block_merge_implIS3_N6thrust23THRUST_200600_302600_NS6detail15normal_iteratorINS8_10device_ptrItEEEESD_jNS1_19radix_merge_compareILb0ELb1EtNS0_19identity_decomposerEEEEE10hipError_tT0_T1_T2_jT3_P12ihipStream_tbPNSt15iterator_traitsISI_E10value_typeEPNSO_ISJ_E10value_typeEPSK_NS1_7vsmem_tEENKUlT_SI_SJ_SK_E_clIPtSD_S10_SD_EESH_SX_SI_SJ_SK_EUlSX_E0_NS1_11comp_targetILNS1_3genE3ELNS1_11target_archE908ELNS1_3gpuE7ELNS1_3repE0EEENS1_38merge_mergepath_config_static_selectorELNS0_4arch9wavefront6targetE1EEEvSJ_.has_dyn_sized_stack, 0
	.set _ZN7rocprim17ROCPRIM_400000_NS6detail17trampoline_kernelINS0_14default_configENS1_38merge_sort_block_merge_config_selectorIttEEZZNS1_27merge_sort_block_merge_implIS3_N6thrust23THRUST_200600_302600_NS6detail15normal_iteratorINS8_10device_ptrItEEEESD_jNS1_19radix_merge_compareILb0ELb1EtNS0_19identity_decomposerEEEEE10hipError_tT0_T1_T2_jT3_P12ihipStream_tbPNSt15iterator_traitsISI_E10value_typeEPNSO_ISJ_E10value_typeEPSK_NS1_7vsmem_tEENKUlT_SI_SJ_SK_E_clIPtSD_S10_SD_EESH_SX_SI_SJ_SK_EUlSX_E0_NS1_11comp_targetILNS1_3genE3ELNS1_11target_archE908ELNS1_3gpuE7ELNS1_3repE0EEENS1_38merge_mergepath_config_static_selectorELNS0_4arch9wavefront6targetE1EEEvSJ_.has_recursion, 0
	.set _ZN7rocprim17ROCPRIM_400000_NS6detail17trampoline_kernelINS0_14default_configENS1_38merge_sort_block_merge_config_selectorIttEEZZNS1_27merge_sort_block_merge_implIS3_N6thrust23THRUST_200600_302600_NS6detail15normal_iteratorINS8_10device_ptrItEEEESD_jNS1_19radix_merge_compareILb0ELb1EtNS0_19identity_decomposerEEEEE10hipError_tT0_T1_T2_jT3_P12ihipStream_tbPNSt15iterator_traitsISI_E10value_typeEPNSO_ISJ_E10value_typeEPSK_NS1_7vsmem_tEENKUlT_SI_SJ_SK_E_clIPtSD_S10_SD_EESH_SX_SI_SJ_SK_EUlSX_E0_NS1_11comp_targetILNS1_3genE3ELNS1_11target_archE908ELNS1_3gpuE7ELNS1_3repE0EEENS1_38merge_mergepath_config_static_selectorELNS0_4arch9wavefront6targetE1EEEvSJ_.has_indirect_call, 0
	.section	.AMDGPU.csdata,"",@progbits
; Kernel info:
; codeLenInByte = 0
; TotalNumSgprs: 6
; NumVgprs: 0
; NumAgprs: 0
; TotalNumVgprs: 0
; ScratchSize: 0
; MemoryBound: 0
; FloatMode: 240
; IeeeMode: 1
; LDSByteSize: 0 bytes/workgroup (compile time only)
; SGPRBlocks: 0
; VGPRBlocks: 0
; NumSGPRsForWavesPerEU: 6
; NumVGPRsForWavesPerEU: 1
; AccumOffset: 4
; Occupancy: 8
; WaveLimiterHint : 0
; COMPUTE_PGM_RSRC2:SCRATCH_EN: 0
; COMPUTE_PGM_RSRC2:USER_SGPR: 2
; COMPUTE_PGM_RSRC2:TRAP_HANDLER: 0
; COMPUTE_PGM_RSRC2:TGID_X_EN: 1
; COMPUTE_PGM_RSRC2:TGID_Y_EN: 0
; COMPUTE_PGM_RSRC2:TGID_Z_EN: 0
; COMPUTE_PGM_RSRC2:TIDIG_COMP_CNT: 0
; COMPUTE_PGM_RSRC3_GFX90A:ACCUM_OFFSET: 0
; COMPUTE_PGM_RSRC3_GFX90A:TG_SPLIT: 0
	.section	.text._ZN7rocprim17ROCPRIM_400000_NS6detail17trampoline_kernelINS0_14default_configENS1_38merge_sort_block_merge_config_selectorIttEEZZNS1_27merge_sort_block_merge_implIS3_N6thrust23THRUST_200600_302600_NS6detail15normal_iteratorINS8_10device_ptrItEEEESD_jNS1_19radix_merge_compareILb0ELb1EtNS0_19identity_decomposerEEEEE10hipError_tT0_T1_T2_jT3_P12ihipStream_tbPNSt15iterator_traitsISI_E10value_typeEPNSO_ISJ_E10value_typeEPSK_NS1_7vsmem_tEENKUlT_SI_SJ_SK_E_clIPtSD_S10_SD_EESH_SX_SI_SJ_SK_EUlSX_E0_NS1_11comp_targetILNS1_3genE2ELNS1_11target_archE906ELNS1_3gpuE6ELNS1_3repE0EEENS1_38merge_mergepath_config_static_selectorELNS0_4arch9wavefront6targetE1EEEvSJ_,"axG",@progbits,_ZN7rocprim17ROCPRIM_400000_NS6detail17trampoline_kernelINS0_14default_configENS1_38merge_sort_block_merge_config_selectorIttEEZZNS1_27merge_sort_block_merge_implIS3_N6thrust23THRUST_200600_302600_NS6detail15normal_iteratorINS8_10device_ptrItEEEESD_jNS1_19radix_merge_compareILb0ELb1EtNS0_19identity_decomposerEEEEE10hipError_tT0_T1_T2_jT3_P12ihipStream_tbPNSt15iterator_traitsISI_E10value_typeEPNSO_ISJ_E10value_typeEPSK_NS1_7vsmem_tEENKUlT_SI_SJ_SK_E_clIPtSD_S10_SD_EESH_SX_SI_SJ_SK_EUlSX_E0_NS1_11comp_targetILNS1_3genE2ELNS1_11target_archE906ELNS1_3gpuE6ELNS1_3repE0EEENS1_38merge_mergepath_config_static_selectorELNS0_4arch9wavefront6targetE1EEEvSJ_,comdat
	.protected	_ZN7rocprim17ROCPRIM_400000_NS6detail17trampoline_kernelINS0_14default_configENS1_38merge_sort_block_merge_config_selectorIttEEZZNS1_27merge_sort_block_merge_implIS3_N6thrust23THRUST_200600_302600_NS6detail15normal_iteratorINS8_10device_ptrItEEEESD_jNS1_19radix_merge_compareILb0ELb1EtNS0_19identity_decomposerEEEEE10hipError_tT0_T1_T2_jT3_P12ihipStream_tbPNSt15iterator_traitsISI_E10value_typeEPNSO_ISJ_E10value_typeEPSK_NS1_7vsmem_tEENKUlT_SI_SJ_SK_E_clIPtSD_S10_SD_EESH_SX_SI_SJ_SK_EUlSX_E0_NS1_11comp_targetILNS1_3genE2ELNS1_11target_archE906ELNS1_3gpuE6ELNS1_3repE0EEENS1_38merge_mergepath_config_static_selectorELNS0_4arch9wavefront6targetE1EEEvSJ_ ; -- Begin function _ZN7rocprim17ROCPRIM_400000_NS6detail17trampoline_kernelINS0_14default_configENS1_38merge_sort_block_merge_config_selectorIttEEZZNS1_27merge_sort_block_merge_implIS3_N6thrust23THRUST_200600_302600_NS6detail15normal_iteratorINS8_10device_ptrItEEEESD_jNS1_19radix_merge_compareILb0ELb1EtNS0_19identity_decomposerEEEEE10hipError_tT0_T1_T2_jT3_P12ihipStream_tbPNSt15iterator_traitsISI_E10value_typeEPNSO_ISJ_E10value_typeEPSK_NS1_7vsmem_tEENKUlT_SI_SJ_SK_E_clIPtSD_S10_SD_EESH_SX_SI_SJ_SK_EUlSX_E0_NS1_11comp_targetILNS1_3genE2ELNS1_11target_archE906ELNS1_3gpuE6ELNS1_3repE0EEENS1_38merge_mergepath_config_static_selectorELNS0_4arch9wavefront6targetE1EEEvSJ_
	.globl	_ZN7rocprim17ROCPRIM_400000_NS6detail17trampoline_kernelINS0_14default_configENS1_38merge_sort_block_merge_config_selectorIttEEZZNS1_27merge_sort_block_merge_implIS3_N6thrust23THRUST_200600_302600_NS6detail15normal_iteratorINS8_10device_ptrItEEEESD_jNS1_19radix_merge_compareILb0ELb1EtNS0_19identity_decomposerEEEEE10hipError_tT0_T1_T2_jT3_P12ihipStream_tbPNSt15iterator_traitsISI_E10value_typeEPNSO_ISJ_E10value_typeEPSK_NS1_7vsmem_tEENKUlT_SI_SJ_SK_E_clIPtSD_S10_SD_EESH_SX_SI_SJ_SK_EUlSX_E0_NS1_11comp_targetILNS1_3genE2ELNS1_11target_archE906ELNS1_3gpuE6ELNS1_3repE0EEENS1_38merge_mergepath_config_static_selectorELNS0_4arch9wavefront6targetE1EEEvSJ_
	.p2align	8
	.type	_ZN7rocprim17ROCPRIM_400000_NS6detail17trampoline_kernelINS0_14default_configENS1_38merge_sort_block_merge_config_selectorIttEEZZNS1_27merge_sort_block_merge_implIS3_N6thrust23THRUST_200600_302600_NS6detail15normal_iteratorINS8_10device_ptrItEEEESD_jNS1_19radix_merge_compareILb0ELb1EtNS0_19identity_decomposerEEEEE10hipError_tT0_T1_T2_jT3_P12ihipStream_tbPNSt15iterator_traitsISI_E10value_typeEPNSO_ISJ_E10value_typeEPSK_NS1_7vsmem_tEENKUlT_SI_SJ_SK_E_clIPtSD_S10_SD_EESH_SX_SI_SJ_SK_EUlSX_E0_NS1_11comp_targetILNS1_3genE2ELNS1_11target_archE906ELNS1_3gpuE6ELNS1_3repE0EEENS1_38merge_mergepath_config_static_selectorELNS0_4arch9wavefront6targetE1EEEvSJ_,@function
_ZN7rocprim17ROCPRIM_400000_NS6detail17trampoline_kernelINS0_14default_configENS1_38merge_sort_block_merge_config_selectorIttEEZZNS1_27merge_sort_block_merge_implIS3_N6thrust23THRUST_200600_302600_NS6detail15normal_iteratorINS8_10device_ptrItEEEESD_jNS1_19radix_merge_compareILb0ELb1EtNS0_19identity_decomposerEEEEE10hipError_tT0_T1_T2_jT3_P12ihipStream_tbPNSt15iterator_traitsISI_E10value_typeEPNSO_ISJ_E10value_typeEPSK_NS1_7vsmem_tEENKUlT_SI_SJ_SK_E_clIPtSD_S10_SD_EESH_SX_SI_SJ_SK_EUlSX_E0_NS1_11comp_targetILNS1_3genE2ELNS1_11target_archE906ELNS1_3gpuE6ELNS1_3repE0EEENS1_38merge_mergepath_config_static_selectorELNS0_4arch9wavefront6targetE1EEEvSJ_: ; @_ZN7rocprim17ROCPRIM_400000_NS6detail17trampoline_kernelINS0_14default_configENS1_38merge_sort_block_merge_config_selectorIttEEZZNS1_27merge_sort_block_merge_implIS3_N6thrust23THRUST_200600_302600_NS6detail15normal_iteratorINS8_10device_ptrItEEEESD_jNS1_19radix_merge_compareILb0ELb1EtNS0_19identity_decomposerEEEEE10hipError_tT0_T1_T2_jT3_P12ihipStream_tbPNSt15iterator_traitsISI_E10value_typeEPNSO_ISJ_E10value_typeEPSK_NS1_7vsmem_tEENKUlT_SI_SJ_SK_E_clIPtSD_S10_SD_EESH_SX_SI_SJ_SK_EUlSX_E0_NS1_11comp_targetILNS1_3genE2ELNS1_11target_archE906ELNS1_3gpuE6ELNS1_3repE0EEENS1_38merge_mergepath_config_static_selectorELNS0_4arch9wavefront6targetE1EEEvSJ_
; %bb.0:
	.section	.rodata,"a",@progbits
	.p2align	6, 0x0
	.amdhsa_kernel _ZN7rocprim17ROCPRIM_400000_NS6detail17trampoline_kernelINS0_14default_configENS1_38merge_sort_block_merge_config_selectorIttEEZZNS1_27merge_sort_block_merge_implIS3_N6thrust23THRUST_200600_302600_NS6detail15normal_iteratorINS8_10device_ptrItEEEESD_jNS1_19radix_merge_compareILb0ELb1EtNS0_19identity_decomposerEEEEE10hipError_tT0_T1_T2_jT3_P12ihipStream_tbPNSt15iterator_traitsISI_E10value_typeEPNSO_ISJ_E10value_typeEPSK_NS1_7vsmem_tEENKUlT_SI_SJ_SK_E_clIPtSD_S10_SD_EESH_SX_SI_SJ_SK_EUlSX_E0_NS1_11comp_targetILNS1_3genE2ELNS1_11target_archE906ELNS1_3gpuE6ELNS1_3repE0EEENS1_38merge_mergepath_config_static_selectorELNS0_4arch9wavefront6targetE1EEEvSJ_
		.amdhsa_group_segment_fixed_size 0
		.amdhsa_private_segment_fixed_size 0
		.amdhsa_kernarg_size 64
		.amdhsa_user_sgpr_count 2
		.amdhsa_user_sgpr_dispatch_ptr 0
		.amdhsa_user_sgpr_queue_ptr 0
		.amdhsa_user_sgpr_kernarg_segment_ptr 1
		.amdhsa_user_sgpr_dispatch_id 0
		.amdhsa_user_sgpr_kernarg_preload_length 0
		.amdhsa_user_sgpr_kernarg_preload_offset 0
		.amdhsa_user_sgpr_private_segment_size 0
		.amdhsa_uses_dynamic_stack 0
		.amdhsa_enable_private_segment 0
		.amdhsa_system_sgpr_workgroup_id_x 1
		.amdhsa_system_sgpr_workgroup_id_y 0
		.amdhsa_system_sgpr_workgroup_id_z 0
		.amdhsa_system_sgpr_workgroup_info 0
		.amdhsa_system_vgpr_workitem_id 0
		.amdhsa_next_free_vgpr 1
		.amdhsa_next_free_sgpr 0
		.amdhsa_accum_offset 4
		.amdhsa_reserve_vcc 0
		.amdhsa_float_round_mode_32 0
		.amdhsa_float_round_mode_16_64 0
		.amdhsa_float_denorm_mode_32 3
		.amdhsa_float_denorm_mode_16_64 3
		.amdhsa_dx10_clamp 1
		.amdhsa_ieee_mode 1
		.amdhsa_fp16_overflow 0
		.amdhsa_tg_split 0
		.amdhsa_exception_fp_ieee_invalid_op 0
		.amdhsa_exception_fp_denorm_src 0
		.amdhsa_exception_fp_ieee_div_zero 0
		.amdhsa_exception_fp_ieee_overflow 0
		.amdhsa_exception_fp_ieee_underflow 0
		.amdhsa_exception_fp_ieee_inexact 0
		.amdhsa_exception_int_div_zero 0
	.end_amdhsa_kernel
	.section	.text._ZN7rocprim17ROCPRIM_400000_NS6detail17trampoline_kernelINS0_14default_configENS1_38merge_sort_block_merge_config_selectorIttEEZZNS1_27merge_sort_block_merge_implIS3_N6thrust23THRUST_200600_302600_NS6detail15normal_iteratorINS8_10device_ptrItEEEESD_jNS1_19radix_merge_compareILb0ELb1EtNS0_19identity_decomposerEEEEE10hipError_tT0_T1_T2_jT3_P12ihipStream_tbPNSt15iterator_traitsISI_E10value_typeEPNSO_ISJ_E10value_typeEPSK_NS1_7vsmem_tEENKUlT_SI_SJ_SK_E_clIPtSD_S10_SD_EESH_SX_SI_SJ_SK_EUlSX_E0_NS1_11comp_targetILNS1_3genE2ELNS1_11target_archE906ELNS1_3gpuE6ELNS1_3repE0EEENS1_38merge_mergepath_config_static_selectorELNS0_4arch9wavefront6targetE1EEEvSJ_,"axG",@progbits,_ZN7rocprim17ROCPRIM_400000_NS6detail17trampoline_kernelINS0_14default_configENS1_38merge_sort_block_merge_config_selectorIttEEZZNS1_27merge_sort_block_merge_implIS3_N6thrust23THRUST_200600_302600_NS6detail15normal_iteratorINS8_10device_ptrItEEEESD_jNS1_19radix_merge_compareILb0ELb1EtNS0_19identity_decomposerEEEEE10hipError_tT0_T1_T2_jT3_P12ihipStream_tbPNSt15iterator_traitsISI_E10value_typeEPNSO_ISJ_E10value_typeEPSK_NS1_7vsmem_tEENKUlT_SI_SJ_SK_E_clIPtSD_S10_SD_EESH_SX_SI_SJ_SK_EUlSX_E0_NS1_11comp_targetILNS1_3genE2ELNS1_11target_archE906ELNS1_3gpuE6ELNS1_3repE0EEENS1_38merge_mergepath_config_static_selectorELNS0_4arch9wavefront6targetE1EEEvSJ_,comdat
.Lfunc_end912:
	.size	_ZN7rocprim17ROCPRIM_400000_NS6detail17trampoline_kernelINS0_14default_configENS1_38merge_sort_block_merge_config_selectorIttEEZZNS1_27merge_sort_block_merge_implIS3_N6thrust23THRUST_200600_302600_NS6detail15normal_iteratorINS8_10device_ptrItEEEESD_jNS1_19radix_merge_compareILb0ELb1EtNS0_19identity_decomposerEEEEE10hipError_tT0_T1_T2_jT3_P12ihipStream_tbPNSt15iterator_traitsISI_E10value_typeEPNSO_ISJ_E10value_typeEPSK_NS1_7vsmem_tEENKUlT_SI_SJ_SK_E_clIPtSD_S10_SD_EESH_SX_SI_SJ_SK_EUlSX_E0_NS1_11comp_targetILNS1_3genE2ELNS1_11target_archE906ELNS1_3gpuE6ELNS1_3repE0EEENS1_38merge_mergepath_config_static_selectorELNS0_4arch9wavefront6targetE1EEEvSJ_, .Lfunc_end912-_ZN7rocprim17ROCPRIM_400000_NS6detail17trampoline_kernelINS0_14default_configENS1_38merge_sort_block_merge_config_selectorIttEEZZNS1_27merge_sort_block_merge_implIS3_N6thrust23THRUST_200600_302600_NS6detail15normal_iteratorINS8_10device_ptrItEEEESD_jNS1_19radix_merge_compareILb0ELb1EtNS0_19identity_decomposerEEEEE10hipError_tT0_T1_T2_jT3_P12ihipStream_tbPNSt15iterator_traitsISI_E10value_typeEPNSO_ISJ_E10value_typeEPSK_NS1_7vsmem_tEENKUlT_SI_SJ_SK_E_clIPtSD_S10_SD_EESH_SX_SI_SJ_SK_EUlSX_E0_NS1_11comp_targetILNS1_3genE2ELNS1_11target_archE906ELNS1_3gpuE6ELNS1_3repE0EEENS1_38merge_mergepath_config_static_selectorELNS0_4arch9wavefront6targetE1EEEvSJ_
                                        ; -- End function
	.set _ZN7rocprim17ROCPRIM_400000_NS6detail17trampoline_kernelINS0_14default_configENS1_38merge_sort_block_merge_config_selectorIttEEZZNS1_27merge_sort_block_merge_implIS3_N6thrust23THRUST_200600_302600_NS6detail15normal_iteratorINS8_10device_ptrItEEEESD_jNS1_19radix_merge_compareILb0ELb1EtNS0_19identity_decomposerEEEEE10hipError_tT0_T1_T2_jT3_P12ihipStream_tbPNSt15iterator_traitsISI_E10value_typeEPNSO_ISJ_E10value_typeEPSK_NS1_7vsmem_tEENKUlT_SI_SJ_SK_E_clIPtSD_S10_SD_EESH_SX_SI_SJ_SK_EUlSX_E0_NS1_11comp_targetILNS1_3genE2ELNS1_11target_archE906ELNS1_3gpuE6ELNS1_3repE0EEENS1_38merge_mergepath_config_static_selectorELNS0_4arch9wavefront6targetE1EEEvSJ_.num_vgpr, 0
	.set _ZN7rocprim17ROCPRIM_400000_NS6detail17trampoline_kernelINS0_14default_configENS1_38merge_sort_block_merge_config_selectorIttEEZZNS1_27merge_sort_block_merge_implIS3_N6thrust23THRUST_200600_302600_NS6detail15normal_iteratorINS8_10device_ptrItEEEESD_jNS1_19radix_merge_compareILb0ELb1EtNS0_19identity_decomposerEEEEE10hipError_tT0_T1_T2_jT3_P12ihipStream_tbPNSt15iterator_traitsISI_E10value_typeEPNSO_ISJ_E10value_typeEPSK_NS1_7vsmem_tEENKUlT_SI_SJ_SK_E_clIPtSD_S10_SD_EESH_SX_SI_SJ_SK_EUlSX_E0_NS1_11comp_targetILNS1_3genE2ELNS1_11target_archE906ELNS1_3gpuE6ELNS1_3repE0EEENS1_38merge_mergepath_config_static_selectorELNS0_4arch9wavefront6targetE1EEEvSJ_.num_agpr, 0
	.set _ZN7rocprim17ROCPRIM_400000_NS6detail17trampoline_kernelINS0_14default_configENS1_38merge_sort_block_merge_config_selectorIttEEZZNS1_27merge_sort_block_merge_implIS3_N6thrust23THRUST_200600_302600_NS6detail15normal_iteratorINS8_10device_ptrItEEEESD_jNS1_19radix_merge_compareILb0ELb1EtNS0_19identity_decomposerEEEEE10hipError_tT0_T1_T2_jT3_P12ihipStream_tbPNSt15iterator_traitsISI_E10value_typeEPNSO_ISJ_E10value_typeEPSK_NS1_7vsmem_tEENKUlT_SI_SJ_SK_E_clIPtSD_S10_SD_EESH_SX_SI_SJ_SK_EUlSX_E0_NS1_11comp_targetILNS1_3genE2ELNS1_11target_archE906ELNS1_3gpuE6ELNS1_3repE0EEENS1_38merge_mergepath_config_static_selectorELNS0_4arch9wavefront6targetE1EEEvSJ_.numbered_sgpr, 0
	.set _ZN7rocprim17ROCPRIM_400000_NS6detail17trampoline_kernelINS0_14default_configENS1_38merge_sort_block_merge_config_selectorIttEEZZNS1_27merge_sort_block_merge_implIS3_N6thrust23THRUST_200600_302600_NS6detail15normal_iteratorINS8_10device_ptrItEEEESD_jNS1_19radix_merge_compareILb0ELb1EtNS0_19identity_decomposerEEEEE10hipError_tT0_T1_T2_jT3_P12ihipStream_tbPNSt15iterator_traitsISI_E10value_typeEPNSO_ISJ_E10value_typeEPSK_NS1_7vsmem_tEENKUlT_SI_SJ_SK_E_clIPtSD_S10_SD_EESH_SX_SI_SJ_SK_EUlSX_E0_NS1_11comp_targetILNS1_3genE2ELNS1_11target_archE906ELNS1_3gpuE6ELNS1_3repE0EEENS1_38merge_mergepath_config_static_selectorELNS0_4arch9wavefront6targetE1EEEvSJ_.num_named_barrier, 0
	.set _ZN7rocprim17ROCPRIM_400000_NS6detail17trampoline_kernelINS0_14default_configENS1_38merge_sort_block_merge_config_selectorIttEEZZNS1_27merge_sort_block_merge_implIS3_N6thrust23THRUST_200600_302600_NS6detail15normal_iteratorINS8_10device_ptrItEEEESD_jNS1_19radix_merge_compareILb0ELb1EtNS0_19identity_decomposerEEEEE10hipError_tT0_T1_T2_jT3_P12ihipStream_tbPNSt15iterator_traitsISI_E10value_typeEPNSO_ISJ_E10value_typeEPSK_NS1_7vsmem_tEENKUlT_SI_SJ_SK_E_clIPtSD_S10_SD_EESH_SX_SI_SJ_SK_EUlSX_E0_NS1_11comp_targetILNS1_3genE2ELNS1_11target_archE906ELNS1_3gpuE6ELNS1_3repE0EEENS1_38merge_mergepath_config_static_selectorELNS0_4arch9wavefront6targetE1EEEvSJ_.private_seg_size, 0
	.set _ZN7rocprim17ROCPRIM_400000_NS6detail17trampoline_kernelINS0_14default_configENS1_38merge_sort_block_merge_config_selectorIttEEZZNS1_27merge_sort_block_merge_implIS3_N6thrust23THRUST_200600_302600_NS6detail15normal_iteratorINS8_10device_ptrItEEEESD_jNS1_19radix_merge_compareILb0ELb1EtNS0_19identity_decomposerEEEEE10hipError_tT0_T1_T2_jT3_P12ihipStream_tbPNSt15iterator_traitsISI_E10value_typeEPNSO_ISJ_E10value_typeEPSK_NS1_7vsmem_tEENKUlT_SI_SJ_SK_E_clIPtSD_S10_SD_EESH_SX_SI_SJ_SK_EUlSX_E0_NS1_11comp_targetILNS1_3genE2ELNS1_11target_archE906ELNS1_3gpuE6ELNS1_3repE0EEENS1_38merge_mergepath_config_static_selectorELNS0_4arch9wavefront6targetE1EEEvSJ_.uses_vcc, 0
	.set _ZN7rocprim17ROCPRIM_400000_NS6detail17trampoline_kernelINS0_14default_configENS1_38merge_sort_block_merge_config_selectorIttEEZZNS1_27merge_sort_block_merge_implIS3_N6thrust23THRUST_200600_302600_NS6detail15normal_iteratorINS8_10device_ptrItEEEESD_jNS1_19radix_merge_compareILb0ELb1EtNS0_19identity_decomposerEEEEE10hipError_tT0_T1_T2_jT3_P12ihipStream_tbPNSt15iterator_traitsISI_E10value_typeEPNSO_ISJ_E10value_typeEPSK_NS1_7vsmem_tEENKUlT_SI_SJ_SK_E_clIPtSD_S10_SD_EESH_SX_SI_SJ_SK_EUlSX_E0_NS1_11comp_targetILNS1_3genE2ELNS1_11target_archE906ELNS1_3gpuE6ELNS1_3repE0EEENS1_38merge_mergepath_config_static_selectorELNS0_4arch9wavefront6targetE1EEEvSJ_.uses_flat_scratch, 0
	.set _ZN7rocprim17ROCPRIM_400000_NS6detail17trampoline_kernelINS0_14default_configENS1_38merge_sort_block_merge_config_selectorIttEEZZNS1_27merge_sort_block_merge_implIS3_N6thrust23THRUST_200600_302600_NS6detail15normal_iteratorINS8_10device_ptrItEEEESD_jNS1_19radix_merge_compareILb0ELb1EtNS0_19identity_decomposerEEEEE10hipError_tT0_T1_T2_jT3_P12ihipStream_tbPNSt15iterator_traitsISI_E10value_typeEPNSO_ISJ_E10value_typeEPSK_NS1_7vsmem_tEENKUlT_SI_SJ_SK_E_clIPtSD_S10_SD_EESH_SX_SI_SJ_SK_EUlSX_E0_NS1_11comp_targetILNS1_3genE2ELNS1_11target_archE906ELNS1_3gpuE6ELNS1_3repE0EEENS1_38merge_mergepath_config_static_selectorELNS0_4arch9wavefront6targetE1EEEvSJ_.has_dyn_sized_stack, 0
	.set _ZN7rocprim17ROCPRIM_400000_NS6detail17trampoline_kernelINS0_14default_configENS1_38merge_sort_block_merge_config_selectorIttEEZZNS1_27merge_sort_block_merge_implIS3_N6thrust23THRUST_200600_302600_NS6detail15normal_iteratorINS8_10device_ptrItEEEESD_jNS1_19radix_merge_compareILb0ELb1EtNS0_19identity_decomposerEEEEE10hipError_tT0_T1_T2_jT3_P12ihipStream_tbPNSt15iterator_traitsISI_E10value_typeEPNSO_ISJ_E10value_typeEPSK_NS1_7vsmem_tEENKUlT_SI_SJ_SK_E_clIPtSD_S10_SD_EESH_SX_SI_SJ_SK_EUlSX_E0_NS1_11comp_targetILNS1_3genE2ELNS1_11target_archE906ELNS1_3gpuE6ELNS1_3repE0EEENS1_38merge_mergepath_config_static_selectorELNS0_4arch9wavefront6targetE1EEEvSJ_.has_recursion, 0
	.set _ZN7rocprim17ROCPRIM_400000_NS6detail17trampoline_kernelINS0_14default_configENS1_38merge_sort_block_merge_config_selectorIttEEZZNS1_27merge_sort_block_merge_implIS3_N6thrust23THRUST_200600_302600_NS6detail15normal_iteratorINS8_10device_ptrItEEEESD_jNS1_19radix_merge_compareILb0ELb1EtNS0_19identity_decomposerEEEEE10hipError_tT0_T1_T2_jT3_P12ihipStream_tbPNSt15iterator_traitsISI_E10value_typeEPNSO_ISJ_E10value_typeEPSK_NS1_7vsmem_tEENKUlT_SI_SJ_SK_E_clIPtSD_S10_SD_EESH_SX_SI_SJ_SK_EUlSX_E0_NS1_11comp_targetILNS1_3genE2ELNS1_11target_archE906ELNS1_3gpuE6ELNS1_3repE0EEENS1_38merge_mergepath_config_static_selectorELNS0_4arch9wavefront6targetE1EEEvSJ_.has_indirect_call, 0
	.section	.AMDGPU.csdata,"",@progbits
; Kernel info:
; codeLenInByte = 0
; TotalNumSgprs: 6
; NumVgprs: 0
; NumAgprs: 0
; TotalNumVgprs: 0
; ScratchSize: 0
; MemoryBound: 0
; FloatMode: 240
; IeeeMode: 1
; LDSByteSize: 0 bytes/workgroup (compile time only)
; SGPRBlocks: 0
; VGPRBlocks: 0
; NumSGPRsForWavesPerEU: 6
; NumVGPRsForWavesPerEU: 1
; AccumOffset: 4
; Occupancy: 8
; WaveLimiterHint : 0
; COMPUTE_PGM_RSRC2:SCRATCH_EN: 0
; COMPUTE_PGM_RSRC2:USER_SGPR: 2
; COMPUTE_PGM_RSRC2:TRAP_HANDLER: 0
; COMPUTE_PGM_RSRC2:TGID_X_EN: 1
; COMPUTE_PGM_RSRC2:TGID_Y_EN: 0
; COMPUTE_PGM_RSRC2:TGID_Z_EN: 0
; COMPUTE_PGM_RSRC2:TIDIG_COMP_CNT: 0
; COMPUTE_PGM_RSRC3_GFX90A:ACCUM_OFFSET: 0
; COMPUTE_PGM_RSRC3_GFX90A:TG_SPLIT: 0
	.section	.text._ZN7rocprim17ROCPRIM_400000_NS6detail17trampoline_kernelINS0_14default_configENS1_38merge_sort_block_merge_config_selectorIttEEZZNS1_27merge_sort_block_merge_implIS3_N6thrust23THRUST_200600_302600_NS6detail15normal_iteratorINS8_10device_ptrItEEEESD_jNS1_19radix_merge_compareILb0ELb1EtNS0_19identity_decomposerEEEEE10hipError_tT0_T1_T2_jT3_P12ihipStream_tbPNSt15iterator_traitsISI_E10value_typeEPNSO_ISJ_E10value_typeEPSK_NS1_7vsmem_tEENKUlT_SI_SJ_SK_E_clIPtSD_S10_SD_EESH_SX_SI_SJ_SK_EUlSX_E0_NS1_11comp_targetILNS1_3genE9ELNS1_11target_archE1100ELNS1_3gpuE3ELNS1_3repE0EEENS1_38merge_mergepath_config_static_selectorELNS0_4arch9wavefront6targetE1EEEvSJ_,"axG",@progbits,_ZN7rocprim17ROCPRIM_400000_NS6detail17trampoline_kernelINS0_14default_configENS1_38merge_sort_block_merge_config_selectorIttEEZZNS1_27merge_sort_block_merge_implIS3_N6thrust23THRUST_200600_302600_NS6detail15normal_iteratorINS8_10device_ptrItEEEESD_jNS1_19radix_merge_compareILb0ELb1EtNS0_19identity_decomposerEEEEE10hipError_tT0_T1_T2_jT3_P12ihipStream_tbPNSt15iterator_traitsISI_E10value_typeEPNSO_ISJ_E10value_typeEPSK_NS1_7vsmem_tEENKUlT_SI_SJ_SK_E_clIPtSD_S10_SD_EESH_SX_SI_SJ_SK_EUlSX_E0_NS1_11comp_targetILNS1_3genE9ELNS1_11target_archE1100ELNS1_3gpuE3ELNS1_3repE0EEENS1_38merge_mergepath_config_static_selectorELNS0_4arch9wavefront6targetE1EEEvSJ_,comdat
	.protected	_ZN7rocprim17ROCPRIM_400000_NS6detail17trampoline_kernelINS0_14default_configENS1_38merge_sort_block_merge_config_selectorIttEEZZNS1_27merge_sort_block_merge_implIS3_N6thrust23THRUST_200600_302600_NS6detail15normal_iteratorINS8_10device_ptrItEEEESD_jNS1_19radix_merge_compareILb0ELb1EtNS0_19identity_decomposerEEEEE10hipError_tT0_T1_T2_jT3_P12ihipStream_tbPNSt15iterator_traitsISI_E10value_typeEPNSO_ISJ_E10value_typeEPSK_NS1_7vsmem_tEENKUlT_SI_SJ_SK_E_clIPtSD_S10_SD_EESH_SX_SI_SJ_SK_EUlSX_E0_NS1_11comp_targetILNS1_3genE9ELNS1_11target_archE1100ELNS1_3gpuE3ELNS1_3repE0EEENS1_38merge_mergepath_config_static_selectorELNS0_4arch9wavefront6targetE1EEEvSJ_ ; -- Begin function _ZN7rocprim17ROCPRIM_400000_NS6detail17trampoline_kernelINS0_14default_configENS1_38merge_sort_block_merge_config_selectorIttEEZZNS1_27merge_sort_block_merge_implIS3_N6thrust23THRUST_200600_302600_NS6detail15normal_iteratorINS8_10device_ptrItEEEESD_jNS1_19radix_merge_compareILb0ELb1EtNS0_19identity_decomposerEEEEE10hipError_tT0_T1_T2_jT3_P12ihipStream_tbPNSt15iterator_traitsISI_E10value_typeEPNSO_ISJ_E10value_typeEPSK_NS1_7vsmem_tEENKUlT_SI_SJ_SK_E_clIPtSD_S10_SD_EESH_SX_SI_SJ_SK_EUlSX_E0_NS1_11comp_targetILNS1_3genE9ELNS1_11target_archE1100ELNS1_3gpuE3ELNS1_3repE0EEENS1_38merge_mergepath_config_static_selectorELNS0_4arch9wavefront6targetE1EEEvSJ_
	.globl	_ZN7rocprim17ROCPRIM_400000_NS6detail17trampoline_kernelINS0_14default_configENS1_38merge_sort_block_merge_config_selectorIttEEZZNS1_27merge_sort_block_merge_implIS3_N6thrust23THRUST_200600_302600_NS6detail15normal_iteratorINS8_10device_ptrItEEEESD_jNS1_19radix_merge_compareILb0ELb1EtNS0_19identity_decomposerEEEEE10hipError_tT0_T1_T2_jT3_P12ihipStream_tbPNSt15iterator_traitsISI_E10value_typeEPNSO_ISJ_E10value_typeEPSK_NS1_7vsmem_tEENKUlT_SI_SJ_SK_E_clIPtSD_S10_SD_EESH_SX_SI_SJ_SK_EUlSX_E0_NS1_11comp_targetILNS1_3genE9ELNS1_11target_archE1100ELNS1_3gpuE3ELNS1_3repE0EEENS1_38merge_mergepath_config_static_selectorELNS0_4arch9wavefront6targetE1EEEvSJ_
	.p2align	8
	.type	_ZN7rocprim17ROCPRIM_400000_NS6detail17trampoline_kernelINS0_14default_configENS1_38merge_sort_block_merge_config_selectorIttEEZZNS1_27merge_sort_block_merge_implIS3_N6thrust23THRUST_200600_302600_NS6detail15normal_iteratorINS8_10device_ptrItEEEESD_jNS1_19radix_merge_compareILb0ELb1EtNS0_19identity_decomposerEEEEE10hipError_tT0_T1_T2_jT3_P12ihipStream_tbPNSt15iterator_traitsISI_E10value_typeEPNSO_ISJ_E10value_typeEPSK_NS1_7vsmem_tEENKUlT_SI_SJ_SK_E_clIPtSD_S10_SD_EESH_SX_SI_SJ_SK_EUlSX_E0_NS1_11comp_targetILNS1_3genE9ELNS1_11target_archE1100ELNS1_3gpuE3ELNS1_3repE0EEENS1_38merge_mergepath_config_static_selectorELNS0_4arch9wavefront6targetE1EEEvSJ_,@function
_ZN7rocprim17ROCPRIM_400000_NS6detail17trampoline_kernelINS0_14default_configENS1_38merge_sort_block_merge_config_selectorIttEEZZNS1_27merge_sort_block_merge_implIS3_N6thrust23THRUST_200600_302600_NS6detail15normal_iteratorINS8_10device_ptrItEEEESD_jNS1_19radix_merge_compareILb0ELb1EtNS0_19identity_decomposerEEEEE10hipError_tT0_T1_T2_jT3_P12ihipStream_tbPNSt15iterator_traitsISI_E10value_typeEPNSO_ISJ_E10value_typeEPSK_NS1_7vsmem_tEENKUlT_SI_SJ_SK_E_clIPtSD_S10_SD_EESH_SX_SI_SJ_SK_EUlSX_E0_NS1_11comp_targetILNS1_3genE9ELNS1_11target_archE1100ELNS1_3gpuE3ELNS1_3repE0EEENS1_38merge_mergepath_config_static_selectorELNS0_4arch9wavefront6targetE1EEEvSJ_: ; @_ZN7rocprim17ROCPRIM_400000_NS6detail17trampoline_kernelINS0_14default_configENS1_38merge_sort_block_merge_config_selectorIttEEZZNS1_27merge_sort_block_merge_implIS3_N6thrust23THRUST_200600_302600_NS6detail15normal_iteratorINS8_10device_ptrItEEEESD_jNS1_19radix_merge_compareILb0ELb1EtNS0_19identity_decomposerEEEEE10hipError_tT0_T1_T2_jT3_P12ihipStream_tbPNSt15iterator_traitsISI_E10value_typeEPNSO_ISJ_E10value_typeEPSK_NS1_7vsmem_tEENKUlT_SI_SJ_SK_E_clIPtSD_S10_SD_EESH_SX_SI_SJ_SK_EUlSX_E0_NS1_11comp_targetILNS1_3genE9ELNS1_11target_archE1100ELNS1_3gpuE3ELNS1_3repE0EEENS1_38merge_mergepath_config_static_selectorELNS0_4arch9wavefront6targetE1EEEvSJ_
; %bb.0:
	.section	.rodata,"a",@progbits
	.p2align	6, 0x0
	.amdhsa_kernel _ZN7rocprim17ROCPRIM_400000_NS6detail17trampoline_kernelINS0_14default_configENS1_38merge_sort_block_merge_config_selectorIttEEZZNS1_27merge_sort_block_merge_implIS3_N6thrust23THRUST_200600_302600_NS6detail15normal_iteratorINS8_10device_ptrItEEEESD_jNS1_19radix_merge_compareILb0ELb1EtNS0_19identity_decomposerEEEEE10hipError_tT0_T1_T2_jT3_P12ihipStream_tbPNSt15iterator_traitsISI_E10value_typeEPNSO_ISJ_E10value_typeEPSK_NS1_7vsmem_tEENKUlT_SI_SJ_SK_E_clIPtSD_S10_SD_EESH_SX_SI_SJ_SK_EUlSX_E0_NS1_11comp_targetILNS1_3genE9ELNS1_11target_archE1100ELNS1_3gpuE3ELNS1_3repE0EEENS1_38merge_mergepath_config_static_selectorELNS0_4arch9wavefront6targetE1EEEvSJ_
		.amdhsa_group_segment_fixed_size 0
		.amdhsa_private_segment_fixed_size 0
		.amdhsa_kernarg_size 64
		.amdhsa_user_sgpr_count 2
		.amdhsa_user_sgpr_dispatch_ptr 0
		.amdhsa_user_sgpr_queue_ptr 0
		.amdhsa_user_sgpr_kernarg_segment_ptr 1
		.amdhsa_user_sgpr_dispatch_id 0
		.amdhsa_user_sgpr_kernarg_preload_length 0
		.amdhsa_user_sgpr_kernarg_preload_offset 0
		.amdhsa_user_sgpr_private_segment_size 0
		.amdhsa_uses_dynamic_stack 0
		.amdhsa_enable_private_segment 0
		.amdhsa_system_sgpr_workgroup_id_x 1
		.amdhsa_system_sgpr_workgroup_id_y 0
		.amdhsa_system_sgpr_workgroup_id_z 0
		.amdhsa_system_sgpr_workgroup_info 0
		.amdhsa_system_vgpr_workitem_id 0
		.amdhsa_next_free_vgpr 1
		.amdhsa_next_free_sgpr 0
		.amdhsa_accum_offset 4
		.amdhsa_reserve_vcc 0
		.amdhsa_float_round_mode_32 0
		.amdhsa_float_round_mode_16_64 0
		.amdhsa_float_denorm_mode_32 3
		.amdhsa_float_denorm_mode_16_64 3
		.amdhsa_dx10_clamp 1
		.amdhsa_ieee_mode 1
		.amdhsa_fp16_overflow 0
		.amdhsa_tg_split 0
		.amdhsa_exception_fp_ieee_invalid_op 0
		.amdhsa_exception_fp_denorm_src 0
		.amdhsa_exception_fp_ieee_div_zero 0
		.amdhsa_exception_fp_ieee_overflow 0
		.amdhsa_exception_fp_ieee_underflow 0
		.amdhsa_exception_fp_ieee_inexact 0
		.amdhsa_exception_int_div_zero 0
	.end_amdhsa_kernel
	.section	.text._ZN7rocprim17ROCPRIM_400000_NS6detail17trampoline_kernelINS0_14default_configENS1_38merge_sort_block_merge_config_selectorIttEEZZNS1_27merge_sort_block_merge_implIS3_N6thrust23THRUST_200600_302600_NS6detail15normal_iteratorINS8_10device_ptrItEEEESD_jNS1_19radix_merge_compareILb0ELb1EtNS0_19identity_decomposerEEEEE10hipError_tT0_T1_T2_jT3_P12ihipStream_tbPNSt15iterator_traitsISI_E10value_typeEPNSO_ISJ_E10value_typeEPSK_NS1_7vsmem_tEENKUlT_SI_SJ_SK_E_clIPtSD_S10_SD_EESH_SX_SI_SJ_SK_EUlSX_E0_NS1_11comp_targetILNS1_3genE9ELNS1_11target_archE1100ELNS1_3gpuE3ELNS1_3repE0EEENS1_38merge_mergepath_config_static_selectorELNS0_4arch9wavefront6targetE1EEEvSJ_,"axG",@progbits,_ZN7rocprim17ROCPRIM_400000_NS6detail17trampoline_kernelINS0_14default_configENS1_38merge_sort_block_merge_config_selectorIttEEZZNS1_27merge_sort_block_merge_implIS3_N6thrust23THRUST_200600_302600_NS6detail15normal_iteratorINS8_10device_ptrItEEEESD_jNS1_19radix_merge_compareILb0ELb1EtNS0_19identity_decomposerEEEEE10hipError_tT0_T1_T2_jT3_P12ihipStream_tbPNSt15iterator_traitsISI_E10value_typeEPNSO_ISJ_E10value_typeEPSK_NS1_7vsmem_tEENKUlT_SI_SJ_SK_E_clIPtSD_S10_SD_EESH_SX_SI_SJ_SK_EUlSX_E0_NS1_11comp_targetILNS1_3genE9ELNS1_11target_archE1100ELNS1_3gpuE3ELNS1_3repE0EEENS1_38merge_mergepath_config_static_selectorELNS0_4arch9wavefront6targetE1EEEvSJ_,comdat
.Lfunc_end913:
	.size	_ZN7rocprim17ROCPRIM_400000_NS6detail17trampoline_kernelINS0_14default_configENS1_38merge_sort_block_merge_config_selectorIttEEZZNS1_27merge_sort_block_merge_implIS3_N6thrust23THRUST_200600_302600_NS6detail15normal_iteratorINS8_10device_ptrItEEEESD_jNS1_19radix_merge_compareILb0ELb1EtNS0_19identity_decomposerEEEEE10hipError_tT0_T1_T2_jT3_P12ihipStream_tbPNSt15iterator_traitsISI_E10value_typeEPNSO_ISJ_E10value_typeEPSK_NS1_7vsmem_tEENKUlT_SI_SJ_SK_E_clIPtSD_S10_SD_EESH_SX_SI_SJ_SK_EUlSX_E0_NS1_11comp_targetILNS1_3genE9ELNS1_11target_archE1100ELNS1_3gpuE3ELNS1_3repE0EEENS1_38merge_mergepath_config_static_selectorELNS0_4arch9wavefront6targetE1EEEvSJ_, .Lfunc_end913-_ZN7rocprim17ROCPRIM_400000_NS6detail17trampoline_kernelINS0_14default_configENS1_38merge_sort_block_merge_config_selectorIttEEZZNS1_27merge_sort_block_merge_implIS3_N6thrust23THRUST_200600_302600_NS6detail15normal_iteratorINS8_10device_ptrItEEEESD_jNS1_19radix_merge_compareILb0ELb1EtNS0_19identity_decomposerEEEEE10hipError_tT0_T1_T2_jT3_P12ihipStream_tbPNSt15iterator_traitsISI_E10value_typeEPNSO_ISJ_E10value_typeEPSK_NS1_7vsmem_tEENKUlT_SI_SJ_SK_E_clIPtSD_S10_SD_EESH_SX_SI_SJ_SK_EUlSX_E0_NS1_11comp_targetILNS1_3genE9ELNS1_11target_archE1100ELNS1_3gpuE3ELNS1_3repE0EEENS1_38merge_mergepath_config_static_selectorELNS0_4arch9wavefront6targetE1EEEvSJ_
                                        ; -- End function
	.set _ZN7rocprim17ROCPRIM_400000_NS6detail17trampoline_kernelINS0_14default_configENS1_38merge_sort_block_merge_config_selectorIttEEZZNS1_27merge_sort_block_merge_implIS3_N6thrust23THRUST_200600_302600_NS6detail15normal_iteratorINS8_10device_ptrItEEEESD_jNS1_19radix_merge_compareILb0ELb1EtNS0_19identity_decomposerEEEEE10hipError_tT0_T1_T2_jT3_P12ihipStream_tbPNSt15iterator_traitsISI_E10value_typeEPNSO_ISJ_E10value_typeEPSK_NS1_7vsmem_tEENKUlT_SI_SJ_SK_E_clIPtSD_S10_SD_EESH_SX_SI_SJ_SK_EUlSX_E0_NS1_11comp_targetILNS1_3genE9ELNS1_11target_archE1100ELNS1_3gpuE3ELNS1_3repE0EEENS1_38merge_mergepath_config_static_selectorELNS0_4arch9wavefront6targetE1EEEvSJ_.num_vgpr, 0
	.set _ZN7rocprim17ROCPRIM_400000_NS6detail17trampoline_kernelINS0_14default_configENS1_38merge_sort_block_merge_config_selectorIttEEZZNS1_27merge_sort_block_merge_implIS3_N6thrust23THRUST_200600_302600_NS6detail15normal_iteratorINS8_10device_ptrItEEEESD_jNS1_19radix_merge_compareILb0ELb1EtNS0_19identity_decomposerEEEEE10hipError_tT0_T1_T2_jT3_P12ihipStream_tbPNSt15iterator_traitsISI_E10value_typeEPNSO_ISJ_E10value_typeEPSK_NS1_7vsmem_tEENKUlT_SI_SJ_SK_E_clIPtSD_S10_SD_EESH_SX_SI_SJ_SK_EUlSX_E0_NS1_11comp_targetILNS1_3genE9ELNS1_11target_archE1100ELNS1_3gpuE3ELNS1_3repE0EEENS1_38merge_mergepath_config_static_selectorELNS0_4arch9wavefront6targetE1EEEvSJ_.num_agpr, 0
	.set _ZN7rocprim17ROCPRIM_400000_NS6detail17trampoline_kernelINS0_14default_configENS1_38merge_sort_block_merge_config_selectorIttEEZZNS1_27merge_sort_block_merge_implIS3_N6thrust23THRUST_200600_302600_NS6detail15normal_iteratorINS8_10device_ptrItEEEESD_jNS1_19radix_merge_compareILb0ELb1EtNS0_19identity_decomposerEEEEE10hipError_tT0_T1_T2_jT3_P12ihipStream_tbPNSt15iterator_traitsISI_E10value_typeEPNSO_ISJ_E10value_typeEPSK_NS1_7vsmem_tEENKUlT_SI_SJ_SK_E_clIPtSD_S10_SD_EESH_SX_SI_SJ_SK_EUlSX_E0_NS1_11comp_targetILNS1_3genE9ELNS1_11target_archE1100ELNS1_3gpuE3ELNS1_3repE0EEENS1_38merge_mergepath_config_static_selectorELNS0_4arch9wavefront6targetE1EEEvSJ_.numbered_sgpr, 0
	.set _ZN7rocprim17ROCPRIM_400000_NS6detail17trampoline_kernelINS0_14default_configENS1_38merge_sort_block_merge_config_selectorIttEEZZNS1_27merge_sort_block_merge_implIS3_N6thrust23THRUST_200600_302600_NS6detail15normal_iteratorINS8_10device_ptrItEEEESD_jNS1_19radix_merge_compareILb0ELb1EtNS0_19identity_decomposerEEEEE10hipError_tT0_T1_T2_jT3_P12ihipStream_tbPNSt15iterator_traitsISI_E10value_typeEPNSO_ISJ_E10value_typeEPSK_NS1_7vsmem_tEENKUlT_SI_SJ_SK_E_clIPtSD_S10_SD_EESH_SX_SI_SJ_SK_EUlSX_E0_NS1_11comp_targetILNS1_3genE9ELNS1_11target_archE1100ELNS1_3gpuE3ELNS1_3repE0EEENS1_38merge_mergepath_config_static_selectorELNS0_4arch9wavefront6targetE1EEEvSJ_.num_named_barrier, 0
	.set _ZN7rocprim17ROCPRIM_400000_NS6detail17trampoline_kernelINS0_14default_configENS1_38merge_sort_block_merge_config_selectorIttEEZZNS1_27merge_sort_block_merge_implIS3_N6thrust23THRUST_200600_302600_NS6detail15normal_iteratorINS8_10device_ptrItEEEESD_jNS1_19radix_merge_compareILb0ELb1EtNS0_19identity_decomposerEEEEE10hipError_tT0_T1_T2_jT3_P12ihipStream_tbPNSt15iterator_traitsISI_E10value_typeEPNSO_ISJ_E10value_typeEPSK_NS1_7vsmem_tEENKUlT_SI_SJ_SK_E_clIPtSD_S10_SD_EESH_SX_SI_SJ_SK_EUlSX_E0_NS1_11comp_targetILNS1_3genE9ELNS1_11target_archE1100ELNS1_3gpuE3ELNS1_3repE0EEENS1_38merge_mergepath_config_static_selectorELNS0_4arch9wavefront6targetE1EEEvSJ_.private_seg_size, 0
	.set _ZN7rocprim17ROCPRIM_400000_NS6detail17trampoline_kernelINS0_14default_configENS1_38merge_sort_block_merge_config_selectorIttEEZZNS1_27merge_sort_block_merge_implIS3_N6thrust23THRUST_200600_302600_NS6detail15normal_iteratorINS8_10device_ptrItEEEESD_jNS1_19radix_merge_compareILb0ELb1EtNS0_19identity_decomposerEEEEE10hipError_tT0_T1_T2_jT3_P12ihipStream_tbPNSt15iterator_traitsISI_E10value_typeEPNSO_ISJ_E10value_typeEPSK_NS1_7vsmem_tEENKUlT_SI_SJ_SK_E_clIPtSD_S10_SD_EESH_SX_SI_SJ_SK_EUlSX_E0_NS1_11comp_targetILNS1_3genE9ELNS1_11target_archE1100ELNS1_3gpuE3ELNS1_3repE0EEENS1_38merge_mergepath_config_static_selectorELNS0_4arch9wavefront6targetE1EEEvSJ_.uses_vcc, 0
	.set _ZN7rocprim17ROCPRIM_400000_NS6detail17trampoline_kernelINS0_14default_configENS1_38merge_sort_block_merge_config_selectorIttEEZZNS1_27merge_sort_block_merge_implIS3_N6thrust23THRUST_200600_302600_NS6detail15normal_iteratorINS8_10device_ptrItEEEESD_jNS1_19radix_merge_compareILb0ELb1EtNS0_19identity_decomposerEEEEE10hipError_tT0_T1_T2_jT3_P12ihipStream_tbPNSt15iterator_traitsISI_E10value_typeEPNSO_ISJ_E10value_typeEPSK_NS1_7vsmem_tEENKUlT_SI_SJ_SK_E_clIPtSD_S10_SD_EESH_SX_SI_SJ_SK_EUlSX_E0_NS1_11comp_targetILNS1_3genE9ELNS1_11target_archE1100ELNS1_3gpuE3ELNS1_3repE0EEENS1_38merge_mergepath_config_static_selectorELNS0_4arch9wavefront6targetE1EEEvSJ_.uses_flat_scratch, 0
	.set _ZN7rocprim17ROCPRIM_400000_NS6detail17trampoline_kernelINS0_14default_configENS1_38merge_sort_block_merge_config_selectorIttEEZZNS1_27merge_sort_block_merge_implIS3_N6thrust23THRUST_200600_302600_NS6detail15normal_iteratorINS8_10device_ptrItEEEESD_jNS1_19radix_merge_compareILb0ELb1EtNS0_19identity_decomposerEEEEE10hipError_tT0_T1_T2_jT3_P12ihipStream_tbPNSt15iterator_traitsISI_E10value_typeEPNSO_ISJ_E10value_typeEPSK_NS1_7vsmem_tEENKUlT_SI_SJ_SK_E_clIPtSD_S10_SD_EESH_SX_SI_SJ_SK_EUlSX_E0_NS1_11comp_targetILNS1_3genE9ELNS1_11target_archE1100ELNS1_3gpuE3ELNS1_3repE0EEENS1_38merge_mergepath_config_static_selectorELNS0_4arch9wavefront6targetE1EEEvSJ_.has_dyn_sized_stack, 0
	.set _ZN7rocprim17ROCPRIM_400000_NS6detail17trampoline_kernelINS0_14default_configENS1_38merge_sort_block_merge_config_selectorIttEEZZNS1_27merge_sort_block_merge_implIS3_N6thrust23THRUST_200600_302600_NS6detail15normal_iteratorINS8_10device_ptrItEEEESD_jNS1_19radix_merge_compareILb0ELb1EtNS0_19identity_decomposerEEEEE10hipError_tT0_T1_T2_jT3_P12ihipStream_tbPNSt15iterator_traitsISI_E10value_typeEPNSO_ISJ_E10value_typeEPSK_NS1_7vsmem_tEENKUlT_SI_SJ_SK_E_clIPtSD_S10_SD_EESH_SX_SI_SJ_SK_EUlSX_E0_NS1_11comp_targetILNS1_3genE9ELNS1_11target_archE1100ELNS1_3gpuE3ELNS1_3repE0EEENS1_38merge_mergepath_config_static_selectorELNS0_4arch9wavefront6targetE1EEEvSJ_.has_recursion, 0
	.set _ZN7rocprim17ROCPRIM_400000_NS6detail17trampoline_kernelINS0_14default_configENS1_38merge_sort_block_merge_config_selectorIttEEZZNS1_27merge_sort_block_merge_implIS3_N6thrust23THRUST_200600_302600_NS6detail15normal_iteratorINS8_10device_ptrItEEEESD_jNS1_19radix_merge_compareILb0ELb1EtNS0_19identity_decomposerEEEEE10hipError_tT0_T1_T2_jT3_P12ihipStream_tbPNSt15iterator_traitsISI_E10value_typeEPNSO_ISJ_E10value_typeEPSK_NS1_7vsmem_tEENKUlT_SI_SJ_SK_E_clIPtSD_S10_SD_EESH_SX_SI_SJ_SK_EUlSX_E0_NS1_11comp_targetILNS1_3genE9ELNS1_11target_archE1100ELNS1_3gpuE3ELNS1_3repE0EEENS1_38merge_mergepath_config_static_selectorELNS0_4arch9wavefront6targetE1EEEvSJ_.has_indirect_call, 0
	.section	.AMDGPU.csdata,"",@progbits
; Kernel info:
; codeLenInByte = 0
; TotalNumSgprs: 6
; NumVgprs: 0
; NumAgprs: 0
; TotalNumVgprs: 0
; ScratchSize: 0
; MemoryBound: 0
; FloatMode: 240
; IeeeMode: 1
; LDSByteSize: 0 bytes/workgroup (compile time only)
; SGPRBlocks: 0
; VGPRBlocks: 0
; NumSGPRsForWavesPerEU: 6
; NumVGPRsForWavesPerEU: 1
; AccumOffset: 4
; Occupancy: 8
; WaveLimiterHint : 0
; COMPUTE_PGM_RSRC2:SCRATCH_EN: 0
; COMPUTE_PGM_RSRC2:USER_SGPR: 2
; COMPUTE_PGM_RSRC2:TRAP_HANDLER: 0
; COMPUTE_PGM_RSRC2:TGID_X_EN: 1
; COMPUTE_PGM_RSRC2:TGID_Y_EN: 0
; COMPUTE_PGM_RSRC2:TGID_Z_EN: 0
; COMPUTE_PGM_RSRC2:TIDIG_COMP_CNT: 0
; COMPUTE_PGM_RSRC3_GFX90A:ACCUM_OFFSET: 0
; COMPUTE_PGM_RSRC3_GFX90A:TG_SPLIT: 0
	.section	.text._ZN7rocprim17ROCPRIM_400000_NS6detail17trampoline_kernelINS0_14default_configENS1_38merge_sort_block_merge_config_selectorIttEEZZNS1_27merge_sort_block_merge_implIS3_N6thrust23THRUST_200600_302600_NS6detail15normal_iteratorINS8_10device_ptrItEEEESD_jNS1_19radix_merge_compareILb0ELb1EtNS0_19identity_decomposerEEEEE10hipError_tT0_T1_T2_jT3_P12ihipStream_tbPNSt15iterator_traitsISI_E10value_typeEPNSO_ISJ_E10value_typeEPSK_NS1_7vsmem_tEENKUlT_SI_SJ_SK_E_clIPtSD_S10_SD_EESH_SX_SI_SJ_SK_EUlSX_E0_NS1_11comp_targetILNS1_3genE8ELNS1_11target_archE1030ELNS1_3gpuE2ELNS1_3repE0EEENS1_38merge_mergepath_config_static_selectorELNS0_4arch9wavefront6targetE1EEEvSJ_,"axG",@progbits,_ZN7rocprim17ROCPRIM_400000_NS6detail17trampoline_kernelINS0_14default_configENS1_38merge_sort_block_merge_config_selectorIttEEZZNS1_27merge_sort_block_merge_implIS3_N6thrust23THRUST_200600_302600_NS6detail15normal_iteratorINS8_10device_ptrItEEEESD_jNS1_19radix_merge_compareILb0ELb1EtNS0_19identity_decomposerEEEEE10hipError_tT0_T1_T2_jT3_P12ihipStream_tbPNSt15iterator_traitsISI_E10value_typeEPNSO_ISJ_E10value_typeEPSK_NS1_7vsmem_tEENKUlT_SI_SJ_SK_E_clIPtSD_S10_SD_EESH_SX_SI_SJ_SK_EUlSX_E0_NS1_11comp_targetILNS1_3genE8ELNS1_11target_archE1030ELNS1_3gpuE2ELNS1_3repE0EEENS1_38merge_mergepath_config_static_selectorELNS0_4arch9wavefront6targetE1EEEvSJ_,comdat
	.protected	_ZN7rocprim17ROCPRIM_400000_NS6detail17trampoline_kernelINS0_14default_configENS1_38merge_sort_block_merge_config_selectorIttEEZZNS1_27merge_sort_block_merge_implIS3_N6thrust23THRUST_200600_302600_NS6detail15normal_iteratorINS8_10device_ptrItEEEESD_jNS1_19radix_merge_compareILb0ELb1EtNS0_19identity_decomposerEEEEE10hipError_tT0_T1_T2_jT3_P12ihipStream_tbPNSt15iterator_traitsISI_E10value_typeEPNSO_ISJ_E10value_typeEPSK_NS1_7vsmem_tEENKUlT_SI_SJ_SK_E_clIPtSD_S10_SD_EESH_SX_SI_SJ_SK_EUlSX_E0_NS1_11comp_targetILNS1_3genE8ELNS1_11target_archE1030ELNS1_3gpuE2ELNS1_3repE0EEENS1_38merge_mergepath_config_static_selectorELNS0_4arch9wavefront6targetE1EEEvSJ_ ; -- Begin function _ZN7rocprim17ROCPRIM_400000_NS6detail17trampoline_kernelINS0_14default_configENS1_38merge_sort_block_merge_config_selectorIttEEZZNS1_27merge_sort_block_merge_implIS3_N6thrust23THRUST_200600_302600_NS6detail15normal_iteratorINS8_10device_ptrItEEEESD_jNS1_19radix_merge_compareILb0ELb1EtNS0_19identity_decomposerEEEEE10hipError_tT0_T1_T2_jT3_P12ihipStream_tbPNSt15iterator_traitsISI_E10value_typeEPNSO_ISJ_E10value_typeEPSK_NS1_7vsmem_tEENKUlT_SI_SJ_SK_E_clIPtSD_S10_SD_EESH_SX_SI_SJ_SK_EUlSX_E0_NS1_11comp_targetILNS1_3genE8ELNS1_11target_archE1030ELNS1_3gpuE2ELNS1_3repE0EEENS1_38merge_mergepath_config_static_selectorELNS0_4arch9wavefront6targetE1EEEvSJ_
	.globl	_ZN7rocprim17ROCPRIM_400000_NS6detail17trampoline_kernelINS0_14default_configENS1_38merge_sort_block_merge_config_selectorIttEEZZNS1_27merge_sort_block_merge_implIS3_N6thrust23THRUST_200600_302600_NS6detail15normal_iteratorINS8_10device_ptrItEEEESD_jNS1_19radix_merge_compareILb0ELb1EtNS0_19identity_decomposerEEEEE10hipError_tT0_T1_T2_jT3_P12ihipStream_tbPNSt15iterator_traitsISI_E10value_typeEPNSO_ISJ_E10value_typeEPSK_NS1_7vsmem_tEENKUlT_SI_SJ_SK_E_clIPtSD_S10_SD_EESH_SX_SI_SJ_SK_EUlSX_E0_NS1_11comp_targetILNS1_3genE8ELNS1_11target_archE1030ELNS1_3gpuE2ELNS1_3repE0EEENS1_38merge_mergepath_config_static_selectorELNS0_4arch9wavefront6targetE1EEEvSJ_
	.p2align	8
	.type	_ZN7rocprim17ROCPRIM_400000_NS6detail17trampoline_kernelINS0_14default_configENS1_38merge_sort_block_merge_config_selectorIttEEZZNS1_27merge_sort_block_merge_implIS3_N6thrust23THRUST_200600_302600_NS6detail15normal_iteratorINS8_10device_ptrItEEEESD_jNS1_19radix_merge_compareILb0ELb1EtNS0_19identity_decomposerEEEEE10hipError_tT0_T1_T2_jT3_P12ihipStream_tbPNSt15iterator_traitsISI_E10value_typeEPNSO_ISJ_E10value_typeEPSK_NS1_7vsmem_tEENKUlT_SI_SJ_SK_E_clIPtSD_S10_SD_EESH_SX_SI_SJ_SK_EUlSX_E0_NS1_11comp_targetILNS1_3genE8ELNS1_11target_archE1030ELNS1_3gpuE2ELNS1_3repE0EEENS1_38merge_mergepath_config_static_selectorELNS0_4arch9wavefront6targetE1EEEvSJ_,@function
_ZN7rocprim17ROCPRIM_400000_NS6detail17trampoline_kernelINS0_14default_configENS1_38merge_sort_block_merge_config_selectorIttEEZZNS1_27merge_sort_block_merge_implIS3_N6thrust23THRUST_200600_302600_NS6detail15normal_iteratorINS8_10device_ptrItEEEESD_jNS1_19radix_merge_compareILb0ELb1EtNS0_19identity_decomposerEEEEE10hipError_tT0_T1_T2_jT3_P12ihipStream_tbPNSt15iterator_traitsISI_E10value_typeEPNSO_ISJ_E10value_typeEPSK_NS1_7vsmem_tEENKUlT_SI_SJ_SK_E_clIPtSD_S10_SD_EESH_SX_SI_SJ_SK_EUlSX_E0_NS1_11comp_targetILNS1_3genE8ELNS1_11target_archE1030ELNS1_3gpuE2ELNS1_3repE0EEENS1_38merge_mergepath_config_static_selectorELNS0_4arch9wavefront6targetE1EEEvSJ_: ; @_ZN7rocprim17ROCPRIM_400000_NS6detail17trampoline_kernelINS0_14default_configENS1_38merge_sort_block_merge_config_selectorIttEEZZNS1_27merge_sort_block_merge_implIS3_N6thrust23THRUST_200600_302600_NS6detail15normal_iteratorINS8_10device_ptrItEEEESD_jNS1_19radix_merge_compareILb0ELb1EtNS0_19identity_decomposerEEEEE10hipError_tT0_T1_T2_jT3_P12ihipStream_tbPNSt15iterator_traitsISI_E10value_typeEPNSO_ISJ_E10value_typeEPSK_NS1_7vsmem_tEENKUlT_SI_SJ_SK_E_clIPtSD_S10_SD_EESH_SX_SI_SJ_SK_EUlSX_E0_NS1_11comp_targetILNS1_3genE8ELNS1_11target_archE1030ELNS1_3gpuE2ELNS1_3repE0EEENS1_38merge_mergepath_config_static_selectorELNS0_4arch9wavefront6targetE1EEEvSJ_
; %bb.0:
	.section	.rodata,"a",@progbits
	.p2align	6, 0x0
	.amdhsa_kernel _ZN7rocprim17ROCPRIM_400000_NS6detail17trampoline_kernelINS0_14default_configENS1_38merge_sort_block_merge_config_selectorIttEEZZNS1_27merge_sort_block_merge_implIS3_N6thrust23THRUST_200600_302600_NS6detail15normal_iteratorINS8_10device_ptrItEEEESD_jNS1_19radix_merge_compareILb0ELb1EtNS0_19identity_decomposerEEEEE10hipError_tT0_T1_T2_jT3_P12ihipStream_tbPNSt15iterator_traitsISI_E10value_typeEPNSO_ISJ_E10value_typeEPSK_NS1_7vsmem_tEENKUlT_SI_SJ_SK_E_clIPtSD_S10_SD_EESH_SX_SI_SJ_SK_EUlSX_E0_NS1_11comp_targetILNS1_3genE8ELNS1_11target_archE1030ELNS1_3gpuE2ELNS1_3repE0EEENS1_38merge_mergepath_config_static_selectorELNS0_4arch9wavefront6targetE1EEEvSJ_
		.amdhsa_group_segment_fixed_size 0
		.amdhsa_private_segment_fixed_size 0
		.amdhsa_kernarg_size 64
		.amdhsa_user_sgpr_count 2
		.amdhsa_user_sgpr_dispatch_ptr 0
		.amdhsa_user_sgpr_queue_ptr 0
		.amdhsa_user_sgpr_kernarg_segment_ptr 1
		.amdhsa_user_sgpr_dispatch_id 0
		.amdhsa_user_sgpr_kernarg_preload_length 0
		.amdhsa_user_sgpr_kernarg_preload_offset 0
		.amdhsa_user_sgpr_private_segment_size 0
		.amdhsa_uses_dynamic_stack 0
		.amdhsa_enable_private_segment 0
		.amdhsa_system_sgpr_workgroup_id_x 1
		.amdhsa_system_sgpr_workgroup_id_y 0
		.amdhsa_system_sgpr_workgroup_id_z 0
		.amdhsa_system_sgpr_workgroup_info 0
		.amdhsa_system_vgpr_workitem_id 0
		.amdhsa_next_free_vgpr 1
		.amdhsa_next_free_sgpr 0
		.amdhsa_accum_offset 4
		.amdhsa_reserve_vcc 0
		.amdhsa_float_round_mode_32 0
		.amdhsa_float_round_mode_16_64 0
		.amdhsa_float_denorm_mode_32 3
		.amdhsa_float_denorm_mode_16_64 3
		.amdhsa_dx10_clamp 1
		.amdhsa_ieee_mode 1
		.amdhsa_fp16_overflow 0
		.amdhsa_tg_split 0
		.amdhsa_exception_fp_ieee_invalid_op 0
		.amdhsa_exception_fp_denorm_src 0
		.amdhsa_exception_fp_ieee_div_zero 0
		.amdhsa_exception_fp_ieee_overflow 0
		.amdhsa_exception_fp_ieee_underflow 0
		.amdhsa_exception_fp_ieee_inexact 0
		.amdhsa_exception_int_div_zero 0
	.end_amdhsa_kernel
	.section	.text._ZN7rocprim17ROCPRIM_400000_NS6detail17trampoline_kernelINS0_14default_configENS1_38merge_sort_block_merge_config_selectorIttEEZZNS1_27merge_sort_block_merge_implIS3_N6thrust23THRUST_200600_302600_NS6detail15normal_iteratorINS8_10device_ptrItEEEESD_jNS1_19radix_merge_compareILb0ELb1EtNS0_19identity_decomposerEEEEE10hipError_tT0_T1_T2_jT3_P12ihipStream_tbPNSt15iterator_traitsISI_E10value_typeEPNSO_ISJ_E10value_typeEPSK_NS1_7vsmem_tEENKUlT_SI_SJ_SK_E_clIPtSD_S10_SD_EESH_SX_SI_SJ_SK_EUlSX_E0_NS1_11comp_targetILNS1_3genE8ELNS1_11target_archE1030ELNS1_3gpuE2ELNS1_3repE0EEENS1_38merge_mergepath_config_static_selectorELNS0_4arch9wavefront6targetE1EEEvSJ_,"axG",@progbits,_ZN7rocprim17ROCPRIM_400000_NS6detail17trampoline_kernelINS0_14default_configENS1_38merge_sort_block_merge_config_selectorIttEEZZNS1_27merge_sort_block_merge_implIS3_N6thrust23THRUST_200600_302600_NS6detail15normal_iteratorINS8_10device_ptrItEEEESD_jNS1_19radix_merge_compareILb0ELb1EtNS0_19identity_decomposerEEEEE10hipError_tT0_T1_T2_jT3_P12ihipStream_tbPNSt15iterator_traitsISI_E10value_typeEPNSO_ISJ_E10value_typeEPSK_NS1_7vsmem_tEENKUlT_SI_SJ_SK_E_clIPtSD_S10_SD_EESH_SX_SI_SJ_SK_EUlSX_E0_NS1_11comp_targetILNS1_3genE8ELNS1_11target_archE1030ELNS1_3gpuE2ELNS1_3repE0EEENS1_38merge_mergepath_config_static_selectorELNS0_4arch9wavefront6targetE1EEEvSJ_,comdat
.Lfunc_end914:
	.size	_ZN7rocprim17ROCPRIM_400000_NS6detail17trampoline_kernelINS0_14default_configENS1_38merge_sort_block_merge_config_selectorIttEEZZNS1_27merge_sort_block_merge_implIS3_N6thrust23THRUST_200600_302600_NS6detail15normal_iteratorINS8_10device_ptrItEEEESD_jNS1_19radix_merge_compareILb0ELb1EtNS0_19identity_decomposerEEEEE10hipError_tT0_T1_T2_jT3_P12ihipStream_tbPNSt15iterator_traitsISI_E10value_typeEPNSO_ISJ_E10value_typeEPSK_NS1_7vsmem_tEENKUlT_SI_SJ_SK_E_clIPtSD_S10_SD_EESH_SX_SI_SJ_SK_EUlSX_E0_NS1_11comp_targetILNS1_3genE8ELNS1_11target_archE1030ELNS1_3gpuE2ELNS1_3repE0EEENS1_38merge_mergepath_config_static_selectorELNS0_4arch9wavefront6targetE1EEEvSJ_, .Lfunc_end914-_ZN7rocprim17ROCPRIM_400000_NS6detail17trampoline_kernelINS0_14default_configENS1_38merge_sort_block_merge_config_selectorIttEEZZNS1_27merge_sort_block_merge_implIS3_N6thrust23THRUST_200600_302600_NS6detail15normal_iteratorINS8_10device_ptrItEEEESD_jNS1_19radix_merge_compareILb0ELb1EtNS0_19identity_decomposerEEEEE10hipError_tT0_T1_T2_jT3_P12ihipStream_tbPNSt15iterator_traitsISI_E10value_typeEPNSO_ISJ_E10value_typeEPSK_NS1_7vsmem_tEENKUlT_SI_SJ_SK_E_clIPtSD_S10_SD_EESH_SX_SI_SJ_SK_EUlSX_E0_NS1_11comp_targetILNS1_3genE8ELNS1_11target_archE1030ELNS1_3gpuE2ELNS1_3repE0EEENS1_38merge_mergepath_config_static_selectorELNS0_4arch9wavefront6targetE1EEEvSJ_
                                        ; -- End function
	.set _ZN7rocprim17ROCPRIM_400000_NS6detail17trampoline_kernelINS0_14default_configENS1_38merge_sort_block_merge_config_selectorIttEEZZNS1_27merge_sort_block_merge_implIS3_N6thrust23THRUST_200600_302600_NS6detail15normal_iteratorINS8_10device_ptrItEEEESD_jNS1_19radix_merge_compareILb0ELb1EtNS0_19identity_decomposerEEEEE10hipError_tT0_T1_T2_jT3_P12ihipStream_tbPNSt15iterator_traitsISI_E10value_typeEPNSO_ISJ_E10value_typeEPSK_NS1_7vsmem_tEENKUlT_SI_SJ_SK_E_clIPtSD_S10_SD_EESH_SX_SI_SJ_SK_EUlSX_E0_NS1_11comp_targetILNS1_3genE8ELNS1_11target_archE1030ELNS1_3gpuE2ELNS1_3repE0EEENS1_38merge_mergepath_config_static_selectorELNS0_4arch9wavefront6targetE1EEEvSJ_.num_vgpr, 0
	.set _ZN7rocprim17ROCPRIM_400000_NS6detail17trampoline_kernelINS0_14default_configENS1_38merge_sort_block_merge_config_selectorIttEEZZNS1_27merge_sort_block_merge_implIS3_N6thrust23THRUST_200600_302600_NS6detail15normal_iteratorINS8_10device_ptrItEEEESD_jNS1_19radix_merge_compareILb0ELb1EtNS0_19identity_decomposerEEEEE10hipError_tT0_T1_T2_jT3_P12ihipStream_tbPNSt15iterator_traitsISI_E10value_typeEPNSO_ISJ_E10value_typeEPSK_NS1_7vsmem_tEENKUlT_SI_SJ_SK_E_clIPtSD_S10_SD_EESH_SX_SI_SJ_SK_EUlSX_E0_NS1_11comp_targetILNS1_3genE8ELNS1_11target_archE1030ELNS1_3gpuE2ELNS1_3repE0EEENS1_38merge_mergepath_config_static_selectorELNS0_4arch9wavefront6targetE1EEEvSJ_.num_agpr, 0
	.set _ZN7rocprim17ROCPRIM_400000_NS6detail17trampoline_kernelINS0_14default_configENS1_38merge_sort_block_merge_config_selectorIttEEZZNS1_27merge_sort_block_merge_implIS3_N6thrust23THRUST_200600_302600_NS6detail15normal_iteratorINS8_10device_ptrItEEEESD_jNS1_19radix_merge_compareILb0ELb1EtNS0_19identity_decomposerEEEEE10hipError_tT0_T1_T2_jT3_P12ihipStream_tbPNSt15iterator_traitsISI_E10value_typeEPNSO_ISJ_E10value_typeEPSK_NS1_7vsmem_tEENKUlT_SI_SJ_SK_E_clIPtSD_S10_SD_EESH_SX_SI_SJ_SK_EUlSX_E0_NS1_11comp_targetILNS1_3genE8ELNS1_11target_archE1030ELNS1_3gpuE2ELNS1_3repE0EEENS1_38merge_mergepath_config_static_selectorELNS0_4arch9wavefront6targetE1EEEvSJ_.numbered_sgpr, 0
	.set _ZN7rocprim17ROCPRIM_400000_NS6detail17trampoline_kernelINS0_14default_configENS1_38merge_sort_block_merge_config_selectorIttEEZZNS1_27merge_sort_block_merge_implIS3_N6thrust23THRUST_200600_302600_NS6detail15normal_iteratorINS8_10device_ptrItEEEESD_jNS1_19radix_merge_compareILb0ELb1EtNS0_19identity_decomposerEEEEE10hipError_tT0_T1_T2_jT3_P12ihipStream_tbPNSt15iterator_traitsISI_E10value_typeEPNSO_ISJ_E10value_typeEPSK_NS1_7vsmem_tEENKUlT_SI_SJ_SK_E_clIPtSD_S10_SD_EESH_SX_SI_SJ_SK_EUlSX_E0_NS1_11comp_targetILNS1_3genE8ELNS1_11target_archE1030ELNS1_3gpuE2ELNS1_3repE0EEENS1_38merge_mergepath_config_static_selectorELNS0_4arch9wavefront6targetE1EEEvSJ_.num_named_barrier, 0
	.set _ZN7rocprim17ROCPRIM_400000_NS6detail17trampoline_kernelINS0_14default_configENS1_38merge_sort_block_merge_config_selectorIttEEZZNS1_27merge_sort_block_merge_implIS3_N6thrust23THRUST_200600_302600_NS6detail15normal_iteratorINS8_10device_ptrItEEEESD_jNS1_19radix_merge_compareILb0ELb1EtNS0_19identity_decomposerEEEEE10hipError_tT0_T1_T2_jT3_P12ihipStream_tbPNSt15iterator_traitsISI_E10value_typeEPNSO_ISJ_E10value_typeEPSK_NS1_7vsmem_tEENKUlT_SI_SJ_SK_E_clIPtSD_S10_SD_EESH_SX_SI_SJ_SK_EUlSX_E0_NS1_11comp_targetILNS1_3genE8ELNS1_11target_archE1030ELNS1_3gpuE2ELNS1_3repE0EEENS1_38merge_mergepath_config_static_selectorELNS0_4arch9wavefront6targetE1EEEvSJ_.private_seg_size, 0
	.set _ZN7rocprim17ROCPRIM_400000_NS6detail17trampoline_kernelINS0_14default_configENS1_38merge_sort_block_merge_config_selectorIttEEZZNS1_27merge_sort_block_merge_implIS3_N6thrust23THRUST_200600_302600_NS6detail15normal_iteratorINS8_10device_ptrItEEEESD_jNS1_19radix_merge_compareILb0ELb1EtNS0_19identity_decomposerEEEEE10hipError_tT0_T1_T2_jT3_P12ihipStream_tbPNSt15iterator_traitsISI_E10value_typeEPNSO_ISJ_E10value_typeEPSK_NS1_7vsmem_tEENKUlT_SI_SJ_SK_E_clIPtSD_S10_SD_EESH_SX_SI_SJ_SK_EUlSX_E0_NS1_11comp_targetILNS1_3genE8ELNS1_11target_archE1030ELNS1_3gpuE2ELNS1_3repE0EEENS1_38merge_mergepath_config_static_selectorELNS0_4arch9wavefront6targetE1EEEvSJ_.uses_vcc, 0
	.set _ZN7rocprim17ROCPRIM_400000_NS6detail17trampoline_kernelINS0_14default_configENS1_38merge_sort_block_merge_config_selectorIttEEZZNS1_27merge_sort_block_merge_implIS3_N6thrust23THRUST_200600_302600_NS6detail15normal_iteratorINS8_10device_ptrItEEEESD_jNS1_19radix_merge_compareILb0ELb1EtNS0_19identity_decomposerEEEEE10hipError_tT0_T1_T2_jT3_P12ihipStream_tbPNSt15iterator_traitsISI_E10value_typeEPNSO_ISJ_E10value_typeEPSK_NS1_7vsmem_tEENKUlT_SI_SJ_SK_E_clIPtSD_S10_SD_EESH_SX_SI_SJ_SK_EUlSX_E0_NS1_11comp_targetILNS1_3genE8ELNS1_11target_archE1030ELNS1_3gpuE2ELNS1_3repE0EEENS1_38merge_mergepath_config_static_selectorELNS0_4arch9wavefront6targetE1EEEvSJ_.uses_flat_scratch, 0
	.set _ZN7rocprim17ROCPRIM_400000_NS6detail17trampoline_kernelINS0_14default_configENS1_38merge_sort_block_merge_config_selectorIttEEZZNS1_27merge_sort_block_merge_implIS3_N6thrust23THRUST_200600_302600_NS6detail15normal_iteratorINS8_10device_ptrItEEEESD_jNS1_19radix_merge_compareILb0ELb1EtNS0_19identity_decomposerEEEEE10hipError_tT0_T1_T2_jT3_P12ihipStream_tbPNSt15iterator_traitsISI_E10value_typeEPNSO_ISJ_E10value_typeEPSK_NS1_7vsmem_tEENKUlT_SI_SJ_SK_E_clIPtSD_S10_SD_EESH_SX_SI_SJ_SK_EUlSX_E0_NS1_11comp_targetILNS1_3genE8ELNS1_11target_archE1030ELNS1_3gpuE2ELNS1_3repE0EEENS1_38merge_mergepath_config_static_selectorELNS0_4arch9wavefront6targetE1EEEvSJ_.has_dyn_sized_stack, 0
	.set _ZN7rocprim17ROCPRIM_400000_NS6detail17trampoline_kernelINS0_14default_configENS1_38merge_sort_block_merge_config_selectorIttEEZZNS1_27merge_sort_block_merge_implIS3_N6thrust23THRUST_200600_302600_NS6detail15normal_iteratorINS8_10device_ptrItEEEESD_jNS1_19radix_merge_compareILb0ELb1EtNS0_19identity_decomposerEEEEE10hipError_tT0_T1_T2_jT3_P12ihipStream_tbPNSt15iterator_traitsISI_E10value_typeEPNSO_ISJ_E10value_typeEPSK_NS1_7vsmem_tEENKUlT_SI_SJ_SK_E_clIPtSD_S10_SD_EESH_SX_SI_SJ_SK_EUlSX_E0_NS1_11comp_targetILNS1_3genE8ELNS1_11target_archE1030ELNS1_3gpuE2ELNS1_3repE0EEENS1_38merge_mergepath_config_static_selectorELNS0_4arch9wavefront6targetE1EEEvSJ_.has_recursion, 0
	.set _ZN7rocprim17ROCPRIM_400000_NS6detail17trampoline_kernelINS0_14default_configENS1_38merge_sort_block_merge_config_selectorIttEEZZNS1_27merge_sort_block_merge_implIS3_N6thrust23THRUST_200600_302600_NS6detail15normal_iteratorINS8_10device_ptrItEEEESD_jNS1_19radix_merge_compareILb0ELb1EtNS0_19identity_decomposerEEEEE10hipError_tT0_T1_T2_jT3_P12ihipStream_tbPNSt15iterator_traitsISI_E10value_typeEPNSO_ISJ_E10value_typeEPSK_NS1_7vsmem_tEENKUlT_SI_SJ_SK_E_clIPtSD_S10_SD_EESH_SX_SI_SJ_SK_EUlSX_E0_NS1_11comp_targetILNS1_3genE8ELNS1_11target_archE1030ELNS1_3gpuE2ELNS1_3repE0EEENS1_38merge_mergepath_config_static_selectorELNS0_4arch9wavefront6targetE1EEEvSJ_.has_indirect_call, 0
	.section	.AMDGPU.csdata,"",@progbits
; Kernel info:
; codeLenInByte = 0
; TotalNumSgprs: 6
; NumVgprs: 0
; NumAgprs: 0
; TotalNumVgprs: 0
; ScratchSize: 0
; MemoryBound: 0
; FloatMode: 240
; IeeeMode: 1
; LDSByteSize: 0 bytes/workgroup (compile time only)
; SGPRBlocks: 0
; VGPRBlocks: 0
; NumSGPRsForWavesPerEU: 6
; NumVGPRsForWavesPerEU: 1
; AccumOffset: 4
; Occupancy: 8
; WaveLimiterHint : 0
; COMPUTE_PGM_RSRC2:SCRATCH_EN: 0
; COMPUTE_PGM_RSRC2:USER_SGPR: 2
; COMPUTE_PGM_RSRC2:TRAP_HANDLER: 0
; COMPUTE_PGM_RSRC2:TGID_X_EN: 1
; COMPUTE_PGM_RSRC2:TGID_Y_EN: 0
; COMPUTE_PGM_RSRC2:TGID_Z_EN: 0
; COMPUTE_PGM_RSRC2:TIDIG_COMP_CNT: 0
; COMPUTE_PGM_RSRC3_GFX90A:ACCUM_OFFSET: 0
; COMPUTE_PGM_RSRC3_GFX90A:TG_SPLIT: 0
	.section	.text._ZN7rocprim17ROCPRIM_400000_NS6detail17trampoline_kernelINS0_14default_configENS1_38merge_sort_block_merge_config_selectorIttEEZZNS1_27merge_sort_block_merge_implIS3_N6thrust23THRUST_200600_302600_NS6detail15normal_iteratorINS8_10device_ptrItEEEESD_jNS1_19radix_merge_compareILb0ELb1EtNS0_19identity_decomposerEEEEE10hipError_tT0_T1_T2_jT3_P12ihipStream_tbPNSt15iterator_traitsISI_E10value_typeEPNSO_ISJ_E10value_typeEPSK_NS1_7vsmem_tEENKUlT_SI_SJ_SK_E_clIPtSD_S10_SD_EESH_SX_SI_SJ_SK_EUlSX_E1_NS1_11comp_targetILNS1_3genE0ELNS1_11target_archE4294967295ELNS1_3gpuE0ELNS1_3repE0EEENS1_36merge_oddeven_config_static_selectorELNS0_4arch9wavefront6targetE1EEEvSJ_,"axG",@progbits,_ZN7rocprim17ROCPRIM_400000_NS6detail17trampoline_kernelINS0_14default_configENS1_38merge_sort_block_merge_config_selectorIttEEZZNS1_27merge_sort_block_merge_implIS3_N6thrust23THRUST_200600_302600_NS6detail15normal_iteratorINS8_10device_ptrItEEEESD_jNS1_19radix_merge_compareILb0ELb1EtNS0_19identity_decomposerEEEEE10hipError_tT0_T1_T2_jT3_P12ihipStream_tbPNSt15iterator_traitsISI_E10value_typeEPNSO_ISJ_E10value_typeEPSK_NS1_7vsmem_tEENKUlT_SI_SJ_SK_E_clIPtSD_S10_SD_EESH_SX_SI_SJ_SK_EUlSX_E1_NS1_11comp_targetILNS1_3genE0ELNS1_11target_archE4294967295ELNS1_3gpuE0ELNS1_3repE0EEENS1_36merge_oddeven_config_static_selectorELNS0_4arch9wavefront6targetE1EEEvSJ_,comdat
	.protected	_ZN7rocprim17ROCPRIM_400000_NS6detail17trampoline_kernelINS0_14default_configENS1_38merge_sort_block_merge_config_selectorIttEEZZNS1_27merge_sort_block_merge_implIS3_N6thrust23THRUST_200600_302600_NS6detail15normal_iteratorINS8_10device_ptrItEEEESD_jNS1_19radix_merge_compareILb0ELb1EtNS0_19identity_decomposerEEEEE10hipError_tT0_T1_T2_jT3_P12ihipStream_tbPNSt15iterator_traitsISI_E10value_typeEPNSO_ISJ_E10value_typeEPSK_NS1_7vsmem_tEENKUlT_SI_SJ_SK_E_clIPtSD_S10_SD_EESH_SX_SI_SJ_SK_EUlSX_E1_NS1_11comp_targetILNS1_3genE0ELNS1_11target_archE4294967295ELNS1_3gpuE0ELNS1_3repE0EEENS1_36merge_oddeven_config_static_selectorELNS0_4arch9wavefront6targetE1EEEvSJ_ ; -- Begin function _ZN7rocprim17ROCPRIM_400000_NS6detail17trampoline_kernelINS0_14default_configENS1_38merge_sort_block_merge_config_selectorIttEEZZNS1_27merge_sort_block_merge_implIS3_N6thrust23THRUST_200600_302600_NS6detail15normal_iteratorINS8_10device_ptrItEEEESD_jNS1_19radix_merge_compareILb0ELb1EtNS0_19identity_decomposerEEEEE10hipError_tT0_T1_T2_jT3_P12ihipStream_tbPNSt15iterator_traitsISI_E10value_typeEPNSO_ISJ_E10value_typeEPSK_NS1_7vsmem_tEENKUlT_SI_SJ_SK_E_clIPtSD_S10_SD_EESH_SX_SI_SJ_SK_EUlSX_E1_NS1_11comp_targetILNS1_3genE0ELNS1_11target_archE4294967295ELNS1_3gpuE0ELNS1_3repE0EEENS1_36merge_oddeven_config_static_selectorELNS0_4arch9wavefront6targetE1EEEvSJ_
	.globl	_ZN7rocprim17ROCPRIM_400000_NS6detail17trampoline_kernelINS0_14default_configENS1_38merge_sort_block_merge_config_selectorIttEEZZNS1_27merge_sort_block_merge_implIS3_N6thrust23THRUST_200600_302600_NS6detail15normal_iteratorINS8_10device_ptrItEEEESD_jNS1_19radix_merge_compareILb0ELb1EtNS0_19identity_decomposerEEEEE10hipError_tT0_T1_T2_jT3_P12ihipStream_tbPNSt15iterator_traitsISI_E10value_typeEPNSO_ISJ_E10value_typeEPSK_NS1_7vsmem_tEENKUlT_SI_SJ_SK_E_clIPtSD_S10_SD_EESH_SX_SI_SJ_SK_EUlSX_E1_NS1_11comp_targetILNS1_3genE0ELNS1_11target_archE4294967295ELNS1_3gpuE0ELNS1_3repE0EEENS1_36merge_oddeven_config_static_selectorELNS0_4arch9wavefront6targetE1EEEvSJ_
	.p2align	8
	.type	_ZN7rocprim17ROCPRIM_400000_NS6detail17trampoline_kernelINS0_14default_configENS1_38merge_sort_block_merge_config_selectorIttEEZZNS1_27merge_sort_block_merge_implIS3_N6thrust23THRUST_200600_302600_NS6detail15normal_iteratorINS8_10device_ptrItEEEESD_jNS1_19radix_merge_compareILb0ELb1EtNS0_19identity_decomposerEEEEE10hipError_tT0_T1_T2_jT3_P12ihipStream_tbPNSt15iterator_traitsISI_E10value_typeEPNSO_ISJ_E10value_typeEPSK_NS1_7vsmem_tEENKUlT_SI_SJ_SK_E_clIPtSD_S10_SD_EESH_SX_SI_SJ_SK_EUlSX_E1_NS1_11comp_targetILNS1_3genE0ELNS1_11target_archE4294967295ELNS1_3gpuE0ELNS1_3repE0EEENS1_36merge_oddeven_config_static_selectorELNS0_4arch9wavefront6targetE1EEEvSJ_,@function
_ZN7rocprim17ROCPRIM_400000_NS6detail17trampoline_kernelINS0_14default_configENS1_38merge_sort_block_merge_config_selectorIttEEZZNS1_27merge_sort_block_merge_implIS3_N6thrust23THRUST_200600_302600_NS6detail15normal_iteratorINS8_10device_ptrItEEEESD_jNS1_19radix_merge_compareILb0ELb1EtNS0_19identity_decomposerEEEEE10hipError_tT0_T1_T2_jT3_P12ihipStream_tbPNSt15iterator_traitsISI_E10value_typeEPNSO_ISJ_E10value_typeEPSK_NS1_7vsmem_tEENKUlT_SI_SJ_SK_E_clIPtSD_S10_SD_EESH_SX_SI_SJ_SK_EUlSX_E1_NS1_11comp_targetILNS1_3genE0ELNS1_11target_archE4294967295ELNS1_3gpuE0ELNS1_3repE0EEENS1_36merge_oddeven_config_static_selectorELNS0_4arch9wavefront6targetE1EEEvSJ_: ; @_ZN7rocprim17ROCPRIM_400000_NS6detail17trampoline_kernelINS0_14default_configENS1_38merge_sort_block_merge_config_selectorIttEEZZNS1_27merge_sort_block_merge_implIS3_N6thrust23THRUST_200600_302600_NS6detail15normal_iteratorINS8_10device_ptrItEEEESD_jNS1_19radix_merge_compareILb0ELb1EtNS0_19identity_decomposerEEEEE10hipError_tT0_T1_T2_jT3_P12ihipStream_tbPNSt15iterator_traitsISI_E10value_typeEPNSO_ISJ_E10value_typeEPSK_NS1_7vsmem_tEENKUlT_SI_SJ_SK_E_clIPtSD_S10_SD_EESH_SX_SI_SJ_SK_EUlSX_E1_NS1_11comp_targetILNS1_3genE0ELNS1_11target_archE4294967295ELNS1_3gpuE0ELNS1_3repE0EEENS1_36merge_oddeven_config_static_selectorELNS0_4arch9wavefront6targetE1EEEvSJ_
; %bb.0:
	s_load_dword s20, s[0:1], 0x20
	s_waitcnt lgkmcnt(0)
	s_lshr_b32 s3, s20, 8
	s_cmp_eq_u32 s2, s3
	s_cselect_b64 s[16:17], -1, 0
	s_cmp_lg_u32 s2, s3
	s_cselect_b64 s[4:5], -1, 0
	s_lshl_b32 s18, s2, 8
	s_sub_i32 s3, s20, s18
	v_cmp_gt_u32_e64 s[6:7], s3, v0
	s_or_b64 s[4:5], s[4:5], s[6:7]
	s_and_saveexec_b64 s[8:9], s[4:5]
	s_cbranch_execz .LBB915_24
; %bb.1:
	s_load_dwordx8 s[8:15], s[0:1], 0x0
	s_mov_b32 s19, 0
	s_lshl_b64 s[4:5], s[18:19], 1
	v_lshlrev_b32_e32 v1, 1, v0
	s_load_dword s19, s[0:1], 0x24
	s_waitcnt lgkmcnt(0)
	s_add_u32 s22, s8, s4
	s_addc_u32 s23, s9, s5
	s_add_u32 s4, s12, s4
	s_addc_u32 s5, s13, s5
	global_load_ushort v2, v1, s[4:5]
	global_load_ushort v3, v1, s[22:23]
	s_lshr_b32 s3, s19, 8
	s_sub_i32 s4, 0, s3
	s_and_b32 s2, s2, s4
	s_and_b32 s3, s2, s3
	s_lshl_b32 s21, s2, 8
	s_sub_i32 s12, 0, s19
	s_cmp_eq_u32 s3, 0
	s_cselect_b64 s[4:5], -1, 0
	s_and_b64 s[2:3], s[4:5], exec
	s_cselect_b32 s12, s19, s12
	s_add_i32 s12, s12, s21
	s_mov_b64 s[2:3], -1
	s_cmp_gt_u32 s20, s12
	v_add_u32_e32 v0, s18, v0
	s_cbranch_scc1 .LBB915_9
; %bb.2:
	s_and_b64 vcc, exec, s[16:17]
	s_cbranch_vccz .LBB915_6
; %bb.3:
	v_cmp_gt_u32_e32 vcc, s20, v0
	s_and_saveexec_b64 s[2:3], vcc
	s_cbranch_execz .LBB915_5
; %bb.4:
	v_mov_b32_e32 v1, 0
	v_lshlrev_b64 v[4:5], 1, v[0:1]
	v_lshl_add_u64 v[6:7], s[10:11], 0, v[4:5]
	v_lshl_add_u64 v[4:5], s[14:15], 0, v[4:5]
	s_waitcnt vmcnt(0)
	global_store_short v[6:7], v3, off
	global_store_short v[4:5], v2, off
.LBB915_5:
	s_or_b64 exec, exec, s[2:3]
	s_mov_b64 s[2:3], 0
.LBB915_6:
	s_andn2_b64 vcc, exec, s[2:3]
	s_cbranch_vccnz .LBB915_8
; %bb.7:
	v_mov_b32_e32 v1, 0
	v_lshlrev_b64 v[4:5], 1, v[0:1]
	v_lshl_add_u64 v[6:7], s[10:11], 0, v[4:5]
	v_lshl_add_u64 v[4:5], s[14:15], 0, v[4:5]
	s_waitcnt vmcnt(0)
	global_store_short v[6:7], v3, off
	global_store_short v[4:5], v2, off
.LBB915_8:
	s_mov_b64 s[2:3], 0
.LBB915_9:
	s_andn2_b64 vcc, exec, s[2:3]
	s_cbranch_vccnz .LBB915_24
; %bb.10:
	s_load_dword s13, s[0:1], 0x28
	s_min_u32 s18, s12, s20
	s_add_i32 s0, s18, s19
	s_min_u32 s19, s0, s20
	s_min_u32 s0, s21, s18
	s_add_i32 s21, s21, s18
	v_subrev_u32_e32 v0, s21, v0
	v_add_u32_e32 v0, s0, v0
	s_waitcnt vmcnt(0) lgkmcnt(0)
	v_and_b32_e32 v1, s13, v3
	s_mov_b64 s[0:1], -1
	s_and_b64 vcc, exec, s[16:17]
	s_cbranch_vccz .LBB915_18
; %bb.11:
	s_and_saveexec_b64 s[0:1], s[6:7]
	s_cbranch_execz .LBB915_17
; %bb.12:
	s_cmp_ge_u32 s12, s19
	v_mov_b32_e32 v4, s18
	s_cbranch_scc1 .LBB915_16
; %bb.13:
	s_mov_b64 s[2:3], 0
	v_mov_b32_e32 v5, s19
	v_mov_b32_e32 v4, s18
.LBB915_14:                             ; =>This Inner Loop Header: Depth=1
	v_add_u32_e32 v6, v4, v5
	v_and_b32_e32 v7, -2, v6
	global_load_ushort v7, v7, s[8:9]
	v_lshrrev_b32_e32 v6, 1, v6
	v_add_u32_e32 v8, 1, v6
	s_waitcnt vmcnt(0)
	v_and_b32_e32 v7, s13, v7
	v_cmp_gt_u16_e32 vcc, v1, v7
	s_nop 1
	v_cndmask_b32_e64 v9, 0, 1, vcc
	v_cmp_le_u16_e32 vcc, v7, v1
	s_nop 1
	v_cndmask_b32_e64 v7, 0, 1, vcc
	v_cndmask_b32_e64 v7, v7, v9, s[4:5]
	v_and_b32_e32 v7, 1, v7
	v_cmp_eq_u32_e32 vcc, 1, v7
	s_nop 1
	v_cndmask_b32_e32 v5, v6, v5, vcc
	v_cndmask_b32_e32 v4, v4, v8, vcc
	v_cmp_ge_u32_e32 vcc, v4, v5
	s_or_b64 s[2:3], vcc, s[2:3]
	s_andn2_b64 exec, exec, s[2:3]
	s_cbranch_execnz .LBB915_14
; %bb.15:
	s_or_b64 exec, exec, s[2:3]
.LBB915_16:
	v_add_u32_e32 v4, v4, v0
	v_mov_b32_e32 v5, 0
	v_lshlrev_b64 v[4:5], 1, v[4:5]
	v_lshl_add_u64 v[6:7], s[10:11], 0, v[4:5]
	v_lshl_add_u64 v[4:5], s[14:15], 0, v[4:5]
	global_store_short v[6:7], v3, off
	global_store_short v[4:5], v2, off
.LBB915_17:
	s_or_b64 exec, exec, s[0:1]
	s_mov_b64 s[0:1], 0
.LBB915_18:
	s_andn2_b64 vcc, exec, s[0:1]
	s_cbranch_vccnz .LBB915_24
; %bb.19:
	s_cmp_ge_u32 s12, s19
	v_mov_b32_e32 v4, s18
	s_cbranch_scc1 .LBB915_23
; %bb.20:
	s_mov_b64 s[0:1], 0
	v_mov_b32_e32 v5, s19
	v_mov_b32_e32 v4, s18
.LBB915_21:                             ; =>This Inner Loop Header: Depth=1
	v_add_u32_e32 v6, v4, v5
	v_and_b32_e32 v7, -2, v6
	global_load_ushort v7, v7, s[8:9]
	v_lshrrev_b32_e32 v6, 1, v6
	v_add_u32_e32 v8, 1, v6
	s_waitcnt vmcnt(0)
	v_and_b32_e32 v7, s13, v7
	v_cmp_gt_u16_e32 vcc, v1, v7
	s_nop 1
	v_cndmask_b32_e64 v9, 0, 1, vcc
	v_cmp_le_u16_e32 vcc, v7, v1
	s_nop 1
	v_cndmask_b32_e64 v7, 0, 1, vcc
	v_cndmask_b32_e64 v7, v7, v9, s[4:5]
	v_and_b32_e32 v7, 1, v7
	v_cmp_eq_u32_e32 vcc, 1, v7
	s_nop 1
	v_cndmask_b32_e32 v5, v6, v5, vcc
	v_cndmask_b32_e32 v4, v4, v8, vcc
	v_cmp_ge_u32_e32 vcc, v4, v5
	s_or_b64 s[0:1], vcc, s[0:1]
	s_andn2_b64 exec, exec, s[0:1]
	s_cbranch_execnz .LBB915_21
; %bb.22:
	s_or_b64 exec, exec, s[0:1]
.LBB915_23:
	v_add_u32_e32 v0, v4, v0
	v_mov_b32_e32 v1, 0
	v_lshlrev_b64 v[0:1], 1, v[0:1]
	v_lshl_add_u64 v[4:5], s[10:11], 0, v[0:1]
	v_lshl_add_u64 v[0:1], s[14:15], 0, v[0:1]
	global_store_short v[4:5], v3, off
	global_store_short v[0:1], v2, off
.LBB915_24:
	s_endpgm
	.section	.rodata,"a",@progbits
	.p2align	6, 0x0
	.amdhsa_kernel _ZN7rocprim17ROCPRIM_400000_NS6detail17trampoline_kernelINS0_14default_configENS1_38merge_sort_block_merge_config_selectorIttEEZZNS1_27merge_sort_block_merge_implIS3_N6thrust23THRUST_200600_302600_NS6detail15normal_iteratorINS8_10device_ptrItEEEESD_jNS1_19radix_merge_compareILb0ELb1EtNS0_19identity_decomposerEEEEE10hipError_tT0_T1_T2_jT3_P12ihipStream_tbPNSt15iterator_traitsISI_E10value_typeEPNSO_ISJ_E10value_typeEPSK_NS1_7vsmem_tEENKUlT_SI_SJ_SK_E_clIPtSD_S10_SD_EESH_SX_SI_SJ_SK_EUlSX_E1_NS1_11comp_targetILNS1_3genE0ELNS1_11target_archE4294967295ELNS1_3gpuE0ELNS1_3repE0EEENS1_36merge_oddeven_config_static_selectorELNS0_4arch9wavefront6targetE1EEEvSJ_
		.amdhsa_group_segment_fixed_size 0
		.amdhsa_private_segment_fixed_size 0
		.amdhsa_kernarg_size 48
		.amdhsa_user_sgpr_count 2
		.amdhsa_user_sgpr_dispatch_ptr 0
		.amdhsa_user_sgpr_queue_ptr 0
		.amdhsa_user_sgpr_kernarg_segment_ptr 1
		.amdhsa_user_sgpr_dispatch_id 0
		.amdhsa_user_sgpr_kernarg_preload_length 0
		.amdhsa_user_sgpr_kernarg_preload_offset 0
		.amdhsa_user_sgpr_private_segment_size 0
		.amdhsa_uses_dynamic_stack 0
		.amdhsa_enable_private_segment 0
		.amdhsa_system_sgpr_workgroup_id_x 1
		.amdhsa_system_sgpr_workgroup_id_y 0
		.amdhsa_system_sgpr_workgroup_id_z 0
		.amdhsa_system_sgpr_workgroup_info 0
		.amdhsa_system_vgpr_workitem_id 0
		.amdhsa_next_free_vgpr 10
		.amdhsa_next_free_sgpr 24
		.amdhsa_accum_offset 12
		.amdhsa_reserve_vcc 1
		.amdhsa_float_round_mode_32 0
		.amdhsa_float_round_mode_16_64 0
		.amdhsa_float_denorm_mode_32 3
		.amdhsa_float_denorm_mode_16_64 3
		.amdhsa_dx10_clamp 1
		.amdhsa_ieee_mode 1
		.amdhsa_fp16_overflow 0
		.amdhsa_tg_split 0
		.amdhsa_exception_fp_ieee_invalid_op 0
		.amdhsa_exception_fp_denorm_src 0
		.amdhsa_exception_fp_ieee_div_zero 0
		.amdhsa_exception_fp_ieee_overflow 0
		.amdhsa_exception_fp_ieee_underflow 0
		.amdhsa_exception_fp_ieee_inexact 0
		.amdhsa_exception_int_div_zero 0
	.end_amdhsa_kernel
	.section	.text._ZN7rocprim17ROCPRIM_400000_NS6detail17trampoline_kernelINS0_14default_configENS1_38merge_sort_block_merge_config_selectorIttEEZZNS1_27merge_sort_block_merge_implIS3_N6thrust23THRUST_200600_302600_NS6detail15normal_iteratorINS8_10device_ptrItEEEESD_jNS1_19radix_merge_compareILb0ELb1EtNS0_19identity_decomposerEEEEE10hipError_tT0_T1_T2_jT3_P12ihipStream_tbPNSt15iterator_traitsISI_E10value_typeEPNSO_ISJ_E10value_typeEPSK_NS1_7vsmem_tEENKUlT_SI_SJ_SK_E_clIPtSD_S10_SD_EESH_SX_SI_SJ_SK_EUlSX_E1_NS1_11comp_targetILNS1_3genE0ELNS1_11target_archE4294967295ELNS1_3gpuE0ELNS1_3repE0EEENS1_36merge_oddeven_config_static_selectorELNS0_4arch9wavefront6targetE1EEEvSJ_,"axG",@progbits,_ZN7rocprim17ROCPRIM_400000_NS6detail17trampoline_kernelINS0_14default_configENS1_38merge_sort_block_merge_config_selectorIttEEZZNS1_27merge_sort_block_merge_implIS3_N6thrust23THRUST_200600_302600_NS6detail15normal_iteratorINS8_10device_ptrItEEEESD_jNS1_19radix_merge_compareILb0ELb1EtNS0_19identity_decomposerEEEEE10hipError_tT0_T1_T2_jT3_P12ihipStream_tbPNSt15iterator_traitsISI_E10value_typeEPNSO_ISJ_E10value_typeEPSK_NS1_7vsmem_tEENKUlT_SI_SJ_SK_E_clIPtSD_S10_SD_EESH_SX_SI_SJ_SK_EUlSX_E1_NS1_11comp_targetILNS1_3genE0ELNS1_11target_archE4294967295ELNS1_3gpuE0ELNS1_3repE0EEENS1_36merge_oddeven_config_static_selectorELNS0_4arch9wavefront6targetE1EEEvSJ_,comdat
.Lfunc_end915:
	.size	_ZN7rocprim17ROCPRIM_400000_NS6detail17trampoline_kernelINS0_14default_configENS1_38merge_sort_block_merge_config_selectorIttEEZZNS1_27merge_sort_block_merge_implIS3_N6thrust23THRUST_200600_302600_NS6detail15normal_iteratorINS8_10device_ptrItEEEESD_jNS1_19radix_merge_compareILb0ELb1EtNS0_19identity_decomposerEEEEE10hipError_tT0_T1_T2_jT3_P12ihipStream_tbPNSt15iterator_traitsISI_E10value_typeEPNSO_ISJ_E10value_typeEPSK_NS1_7vsmem_tEENKUlT_SI_SJ_SK_E_clIPtSD_S10_SD_EESH_SX_SI_SJ_SK_EUlSX_E1_NS1_11comp_targetILNS1_3genE0ELNS1_11target_archE4294967295ELNS1_3gpuE0ELNS1_3repE0EEENS1_36merge_oddeven_config_static_selectorELNS0_4arch9wavefront6targetE1EEEvSJ_, .Lfunc_end915-_ZN7rocprim17ROCPRIM_400000_NS6detail17trampoline_kernelINS0_14default_configENS1_38merge_sort_block_merge_config_selectorIttEEZZNS1_27merge_sort_block_merge_implIS3_N6thrust23THRUST_200600_302600_NS6detail15normal_iteratorINS8_10device_ptrItEEEESD_jNS1_19radix_merge_compareILb0ELb1EtNS0_19identity_decomposerEEEEE10hipError_tT0_T1_T2_jT3_P12ihipStream_tbPNSt15iterator_traitsISI_E10value_typeEPNSO_ISJ_E10value_typeEPSK_NS1_7vsmem_tEENKUlT_SI_SJ_SK_E_clIPtSD_S10_SD_EESH_SX_SI_SJ_SK_EUlSX_E1_NS1_11comp_targetILNS1_3genE0ELNS1_11target_archE4294967295ELNS1_3gpuE0ELNS1_3repE0EEENS1_36merge_oddeven_config_static_selectorELNS0_4arch9wavefront6targetE1EEEvSJ_
                                        ; -- End function
	.set _ZN7rocprim17ROCPRIM_400000_NS6detail17trampoline_kernelINS0_14default_configENS1_38merge_sort_block_merge_config_selectorIttEEZZNS1_27merge_sort_block_merge_implIS3_N6thrust23THRUST_200600_302600_NS6detail15normal_iteratorINS8_10device_ptrItEEEESD_jNS1_19radix_merge_compareILb0ELb1EtNS0_19identity_decomposerEEEEE10hipError_tT0_T1_T2_jT3_P12ihipStream_tbPNSt15iterator_traitsISI_E10value_typeEPNSO_ISJ_E10value_typeEPSK_NS1_7vsmem_tEENKUlT_SI_SJ_SK_E_clIPtSD_S10_SD_EESH_SX_SI_SJ_SK_EUlSX_E1_NS1_11comp_targetILNS1_3genE0ELNS1_11target_archE4294967295ELNS1_3gpuE0ELNS1_3repE0EEENS1_36merge_oddeven_config_static_selectorELNS0_4arch9wavefront6targetE1EEEvSJ_.num_vgpr, 10
	.set _ZN7rocprim17ROCPRIM_400000_NS6detail17trampoline_kernelINS0_14default_configENS1_38merge_sort_block_merge_config_selectorIttEEZZNS1_27merge_sort_block_merge_implIS3_N6thrust23THRUST_200600_302600_NS6detail15normal_iteratorINS8_10device_ptrItEEEESD_jNS1_19radix_merge_compareILb0ELb1EtNS0_19identity_decomposerEEEEE10hipError_tT0_T1_T2_jT3_P12ihipStream_tbPNSt15iterator_traitsISI_E10value_typeEPNSO_ISJ_E10value_typeEPSK_NS1_7vsmem_tEENKUlT_SI_SJ_SK_E_clIPtSD_S10_SD_EESH_SX_SI_SJ_SK_EUlSX_E1_NS1_11comp_targetILNS1_3genE0ELNS1_11target_archE4294967295ELNS1_3gpuE0ELNS1_3repE0EEENS1_36merge_oddeven_config_static_selectorELNS0_4arch9wavefront6targetE1EEEvSJ_.num_agpr, 0
	.set _ZN7rocprim17ROCPRIM_400000_NS6detail17trampoline_kernelINS0_14default_configENS1_38merge_sort_block_merge_config_selectorIttEEZZNS1_27merge_sort_block_merge_implIS3_N6thrust23THRUST_200600_302600_NS6detail15normal_iteratorINS8_10device_ptrItEEEESD_jNS1_19radix_merge_compareILb0ELb1EtNS0_19identity_decomposerEEEEE10hipError_tT0_T1_T2_jT3_P12ihipStream_tbPNSt15iterator_traitsISI_E10value_typeEPNSO_ISJ_E10value_typeEPSK_NS1_7vsmem_tEENKUlT_SI_SJ_SK_E_clIPtSD_S10_SD_EESH_SX_SI_SJ_SK_EUlSX_E1_NS1_11comp_targetILNS1_3genE0ELNS1_11target_archE4294967295ELNS1_3gpuE0ELNS1_3repE0EEENS1_36merge_oddeven_config_static_selectorELNS0_4arch9wavefront6targetE1EEEvSJ_.numbered_sgpr, 24
	.set _ZN7rocprim17ROCPRIM_400000_NS6detail17trampoline_kernelINS0_14default_configENS1_38merge_sort_block_merge_config_selectorIttEEZZNS1_27merge_sort_block_merge_implIS3_N6thrust23THRUST_200600_302600_NS6detail15normal_iteratorINS8_10device_ptrItEEEESD_jNS1_19radix_merge_compareILb0ELb1EtNS0_19identity_decomposerEEEEE10hipError_tT0_T1_T2_jT3_P12ihipStream_tbPNSt15iterator_traitsISI_E10value_typeEPNSO_ISJ_E10value_typeEPSK_NS1_7vsmem_tEENKUlT_SI_SJ_SK_E_clIPtSD_S10_SD_EESH_SX_SI_SJ_SK_EUlSX_E1_NS1_11comp_targetILNS1_3genE0ELNS1_11target_archE4294967295ELNS1_3gpuE0ELNS1_3repE0EEENS1_36merge_oddeven_config_static_selectorELNS0_4arch9wavefront6targetE1EEEvSJ_.num_named_barrier, 0
	.set _ZN7rocprim17ROCPRIM_400000_NS6detail17trampoline_kernelINS0_14default_configENS1_38merge_sort_block_merge_config_selectorIttEEZZNS1_27merge_sort_block_merge_implIS3_N6thrust23THRUST_200600_302600_NS6detail15normal_iteratorINS8_10device_ptrItEEEESD_jNS1_19radix_merge_compareILb0ELb1EtNS0_19identity_decomposerEEEEE10hipError_tT0_T1_T2_jT3_P12ihipStream_tbPNSt15iterator_traitsISI_E10value_typeEPNSO_ISJ_E10value_typeEPSK_NS1_7vsmem_tEENKUlT_SI_SJ_SK_E_clIPtSD_S10_SD_EESH_SX_SI_SJ_SK_EUlSX_E1_NS1_11comp_targetILNS1_3genE0ELNS1_11target_archE4294967295ELNS1_3gpuE0ELNS1_3repE0EEENS1_36merge_oddeven_config_static_selectorELNS0_4arch9wavefront6targetE1EEEvSJ_.private_seg_size, 0
	.set _ZN7rocprim17ROCPRIM_400000_NS6detail17trampoline_kernelINS0_14default_configENS1_38merge_sort_block_merge_config_selectorIttEEZZNS1_27merge_sort_block_merge_implIS3_N6thrust23THRUST_200600_302600_NS6detail15normal_iteratorINS8_10device_ptrItEEEESD_jNS1_19radix_merge_compareILb0ELb1EtNS0_19identity_decomposerEEEEE10hipError_tT0_T1_T2_jT3_P12ihipStream_tbPNSt15iterator_traitsISI_E10value_typeEPNSO_ISJ_E10value_typeEPSK_NS1_7vsmem_tEENKUlT_SI_SJ_SK_E_clIPtSD_S10_SD_EESH_SX_SI_SJ_SK_EUlSX_E1_NS1_11comp_targetILNS1_3genE0ELNS1_11target_archE4294967295ELNS1_3gpuE0ELNS1_3repE0EEENS1_36merge_oddeven_config_static_selectorELNS0_4arch9wavefront6targetE1EEEvSJ_.uses_vcc, 1
	.set _ZN7rocprim17ROCPRIM_400000_NS6detail17trampoline_kernelINS0_14default_configENS1_38merge_sort_block_merge_config_selectorIttEEZZNS1_27merge_sort_block_merge_implIS3_N6thrust23THRUST_200600_302600_NS6detail15normal_iteratorINS8_10device_ptrItEEEESD_jNS1_19radix_merge_compareILb0ELb1EtNS0_19identity_decomposerEEEEE10hipError_tT0_T1_T2_jT3_P12ihipStream_tbPNSt15iterator_traitsISI_E10value_typeEPNSO_ISJ_E10value_typeEPSK_NS1_7vsmem_tEENKUlT_SI_SJ_SK_E_clIPtSD_S10_SD_EESH_SX_SI_SJ_SK_EUlSX_E1_NS1_11comp_targetILNS1_3genE0ELNS1_11target_archE4294967295ELNS1_3gpuE0ELNS1_3repE0EEENS1_36merge_oddeven_config_static_selectorELNS0_4arch9wavefront6targetE1EEEvSJ_.uses_flat_scratch, 0
	.set _ZN7rocprim17ROCPRIM_400000_NS6detail17trampoline_kernelINS0_14default_configENS1_38merge_sort_block_merge_config_selectorIttEEZZNS1_27merge_sort_block_merge_implIS3_N6thrust23THRUST_200600_302600_NS6detail15normal_iteratorINS8_10device_ptrItEEEESD_jNS1_19radix_merge_compareILb0ELb1EtNS0_19identity_decomposerEEEEE10hipError_tT0_T1_T2_jT3_P12ihipStream_tbPNSt15iterator_traitsISI_E10value_typeEPNSO_ISJ_E10value_typeEPSK_NS1_7vsmem_tEENKUlT_SI_SJ_SK_E_clIPtSD_S10_SD_EESH_SX_SI_SJ_SK_EUlSX_E1_NS1_11comp_targetILNS1_3genE0ELNS1_11target_archE4294967295ELNS1_3gpuE0ELNS1_3repE0EEENS1_36merge_oddeven_config_static_selectorELNS0_4arch9wavefront6targetE1EEEvSJ_.has_dyn_sized_stack, 0
	.set _ZN7rocprim17ROCPRIM_400000_NS6detail17trampoline_kernelINS0_14default_configENS1_38merge_sort_block_merge_config_selectorIttEEZZNS1_27merge_sort_block_merge_implIS3_N6thrust23THRUST_200600_302600_NS6detail15normal_iteratorINS8_10device_ptrItEEEESD_jNS1_19radix_merge_compareILb0ELb1EtNS0_19identity_decomposerEEEEE10hipError_tT0_T1_T2_jT3_P12ihipStream_tbPNSt15iterator_traitsISI_E10value_typeEPNSO_ISJ_E10value_typeEPSK_NS1_7vsmem_tEENKUlT_SI_SJ_SK_E_clIPtSD_S10_SD_EESH_SX_SI_SJ_SK_EUlSX_E1_NS1_11comp_targetILNS1_3genE0ELNS1_11target_archE4294967295ELNS1_3gpuE0ELNS1_3repE0EEENS1_36merge_oddeven_config_static_selectorELNS0_4arch9wavefront6targetE1EEEvSJ_.has_recursion, 0
	.set _ZN7rocprim17ROCPRIM_400000_NS6detail17trampoline_kernelINS0_14default_configENS1_38merge_sort_block_merge_config_selectorIttEEZZNS1_27merge_sort_block_merge_implIS3_N6thrust23THRUST_200600_302600_NS6detail15normal_iteratorINS8_10device_ptrItEEEESD_jNS1_19radix_merge_compareILb0ELb1EtNS0_19identity_decomposerEEEEE10hipError_tT0_T1_T2_jT3_P12ihipStream_tbPNSt15iterator_traitsISI_E10value_typeEPNSO_ISJ_E10value_typeEPSK_NS1_7vsmem_tEENKUlT_SI_SJ_SK_E_clIPtSD_S10_SD_EESH_SX_SI_SJ_SK_EUlSX_E1_NS1_11comp_targetILNS1_3genE0ELNS1_11target_archE4294967295ELNS1_3gpuE0ELNS1_3repE0EEENS1_36merge_oddeven_config_static_selectorELNS0_4arch9wavefront6targetE1EEEvSJ_.has_indirect_call, 0
	.section	.AMDGPU.csdata,"",@progbits
; Kernel info:
; codeLenInByte = 780
; TotalNumSgprs: 30
; NumVgprs: 10
; NumAgprs: 0
; TotalNumVgprs: 10
; ScratchSize: 0
; MemoryBound: 0
; FloatMode: 240
; IeeeMode: 1
; LDSByteSize: 0 bytes/workgroup (compile time only)
; SGPRBlocks: 3
; VGPRBlocks: 1
; NumSGPRsForWavesPerEU: 30
; NumVGPRsForWavesPerEU: 10
; AccumOffset: 12
; Occupancy: 8
; WaveLimiterHint : 0
; COMPUTE_PGM_RSRC2:SCRATCH_EN: 0
; COMPUTE_PGM_RSRC2:USER_SGPR: 2
; COMPUTE_PGM_RSRC2:TRAP_HANDLER: 0
; COMPUTE_PGM_RSRC2:TGID_X_EN: 1
; COMPUTE_PGM_RSRC2:TGID_Y_EN: 0
; COMPUTE_PGM_RSRC2:TGID_Z_EN: 0
; COMPUTE_PGM_RSRC2:TIDIG_COMP_CNT: 0
; COMPUTE_PGM_RSRC3_GFX90A:ACCUM_OFFSET: 2
; COMPUTE_PGM_RSRC3_GFX90A:TG_SPLIT: 0
	.section	.text._ZN7rocprim17ROCPRIM_400000_NS6detail17trampoline_kernelINS0_14default_configENS1_38merge_sort_block_merge_config_selectorIttEEZZNS1_27merge_sort_block_merge_implIS3_N6thrust23THRUST_200600_302600_NS6detail15normal_iteratorINS8_10device_ptrItEEEESD_jNS1_19radix_merge_compareILb0ELb1EtNS0_19identity_decomposerEEEEE10hipError_tT0_T1_T2_jT3_P12ihipStream_tbPNSt15iterator_traitsISI_E10value_typeEPNSO_ISJ_E10value_typeEPSK_NS1_7vsmem_tEENKUlT_SI_SJ_SK_E_clIPtSD_S10_SD_EESH_SX_SI_SJ_SK_EUlSX_E1_NS1_11comp_targetILNS1_3genE10ELNS1_11target_archE1201ELNS1_3gpuE5ELNS1_3repE0EEENS1_36merge_oddeven_config_static_selectorELNS0_4arch9wavefront6targetE1EEEvSJ_,"axG",@progbits,_ZN7rocprim17ROCPRIM_400000_NS6detail17trampoline_kernelINS0_14default_configENS1_38merge_sort_block_merge_config_selectorIttEEZZNS1_27merge_sort_block_merge_implIS3_N6thrust23THRUST_200600_302600_NS6detail15normal_iteratorINS8_10device_ptrItEEEESD_jNS1_19radix_merge_compareILb0ELb1EtNS0_19identity_decomposerEEEEE10hipError_tT0_T1_T2_jT3_P12ihipStream_tbPNSt15iterator_traitsISI_E10value_typeEPNSO_ISJ_E10value_typeEPSK_NS1_7vsmem_tEENKUlT_SI_SJ_SK_E_clIPtSD_S10_SD_EESH_SX_SI_SJ_SK_EUlSX_E1_NS1_11comp_targetILNS1_3genE10ELNS1_11target_archE1201ELNS1_3gpuE5ELNS1_3repE0EEENS1_36merge_oddeven_config_static_selectorELNS0_4arch9wavefront6targetE1EEEvSJ_,comdat
	.protected	_ZN7rocprim17ROCPRIM_400000_NS6detail17trampoline_kernelINS0_14default_configENS1_38merge_sort_block_merge_config_selectorIttEEZZNS1_27merge_sort_block_merge_implIS3_N6thrust23THRUST_200600_302600_NS6detail15normal_iteratorINS8_10device_ptrItEEEESD_jNS1_19radix_merge_compareILb0ELb1EtNS0_19identity_decomposerEEEEE10hipError_tT0_T1_T2_jT3_P12ihipStream_tbPNSt15iterator_traitsISI_E10value_typeEPNSO_ISJ_E10value_typeEPSK_NS1_7vsmem_tEENKUlT_SI_SJ_SK_E_clIPtSD_S10_SD_EESH_SX_SI_SJ_SK_EUlSX_E1_NS1_11comp_targetILNS1_3genE10ELNS1_11target_archE1201ELNS1_3gpuE5ELNS1_3repE0EEENS1_36merge_oddeven_config_static_selectorELNS0_4arch9wavefront6targetE1EEEvSJ_ ; -- Begin function _ZN7rocprim17ROCPRIM_400000_NS6detail17trampoline_kernelINS0_14default_configENS1_38merge_sort_block_merge_config_selectorIttEEZZNS1_27merge_sort_block_merge_implIS3_N6thrust23THRUST_200600_302600_NS6detail15normal_iteratorINS8_10device_ptrItEEEESD_jNS1_19radix_merge_compareILb0ELb1EtNS0_19identity_decomposerEEEEE10hipError_tT0_T1_T2_jT3_P12ihipStream_tbPNSt15iterator_traitsISI_E10value_typeEPNSO_ISJ_E10value_typeEPSK_NS1_7vsmem_tEENKUlT_SI_SJ_SK_E_clIPtSD_S10_SD_EESH_SX_SI_SJ_SK_EUlSX_E1_NS1_11comp_targetILNS1_3genE10ELNS1_11target_archE1201ELNS1_3gpuE5ELNS1_3repE0EEENS1_36merge_oddeven_config_static_selectorELNS0_4arch9wavefront6targetE1EEEvSJ_
	.globl	_ZN7rocprim17ROCPRIM_400000_NS6detail17trampoline_kernelINS0_14default_configENS1_38merge_sort_block_merge_config_selectorIttEEZZNS1_27merge_sort_block_merge_implIS3_N6thrust23THRUST_200600_302600_NS6detail15normal_iteratorINS8_10device_ptrItEEEESD_jNS1_19radix_merge_compareILb0ELb1EtNS0_19identity_decomposerEEEEE10hipError_tT0_T1_T2_jT3_P12ihipStream_tbPNSt15iterator_traitsISI_E10value_typeEPNSO_ISJ_E10value_typeEPSK_NS1_7vsmem_tEENKUlT_SI_SJ_SK_E_clIPtSD_S10_SD_EESH_SX_SI_SJ_SK_EUlSX_E1_NS1_11comp_targetILNS1_3genE10ELNS1_11target_archE1201ELNS1_3gpuE5ELNS1_3repE0EEENS1_36merge_oddeven_config_static_selectorELNS0_4arch9wavefront6targetE1EEEvSJ_
	.p2align	8
	.type	_ZN7rocprim17ROCPRIM_400000_NS6detail17trampoline_kernelINS0_14default_configENS1_38merge_sort_block_merge_config_selectorIttEEZZNS1_27merge_sort_block_merge_implIS3_N6thrust23THRUST_200600_302600_NS6detail15normal_iteratorINS8_10device_ptrItEEEESD_jNS1_19radix_merge_compareILb0ELb1EtNS0_19identity_decomposerEEEEE10hipError_tT0_T1_T2_jT3_P12ihipStream_tbPNSt15iterator_traitsISI_E10value_typeEPNSO_ISJ_E10value_typeEPSK_NS1_7vsmem_tEENKUlT_SI_SJ_SK_E_clIPtSD_S10_SD_EESH_SX_SI_SJ_SK_EUlSX_E1_NS1_11comp_targetILNS1_3genE10ELNS1_11target_archE1201ELNS1_3gpuE5ELNS1_3repE0EEENS1_36merge_oddeven_config_static_selectorELNS0_4arch9wavefront6targetE1EEEvSJ_,@function
_ZN7rocprim17ROCPRIM_400000_NS6detail17trampoline_kernelINS0_14default_configENS1_38merge_sort_block_merge_config_selectorIttEEZZNS1_27merge_sort_block_merge_implIS3_N6thrust23THRUST_200600_302600_NS6detail15normal_iteratorINS8_10device_ptrItEEEESD_jNS1_19radix_merge_compareILb0ELb1EtNS0_19identity_decomposerEEEEE10hipError_tT0_T1_T2_jT3_P12ihipStream_tbPNSt15iterator_traitsISI_E10value_typeEPNSO_ISJ_E10value_typeEPSK_NS1_7vsmem_tEENKUlT_SI_SJ_SK_E_clIPtSD_S10_SD_EESH_SX_SI_SJ_SK_EUlSX_E1_NS1_11comp_targetILNS1_3genE10ELNS1_11target_archE1201ELNS1_3gpuE5ELNS1_3repE0EEENS1_36merge_oddeven_config_static_selectorELNS0_4arch9wavefront6targetE1EEEvSJ_: ; @_ZN7rocprim17ROCPRIM_400000_NS6detail17trampoline_kernelINS0_14default_configENS1_38merge_sort_block_merge_config_selectorIttEEZZNS1_27merge_sort_block_merge_implIS3_N6thrust23THRUST_200600_302600_NS6detail15normal_iteratorINS8_10device_ptrItEEEESD_jNS1_19radix_merge_compareILb0ELb1EtNS0_19identity_decomposerEEEEE10hipError_tT0_T1_T2_jT3_P12ihipStream_tbPNSt15iterator_traitsISI_E10value_typeEPNSO_ISJ_E10value_typeEPSK_NS1_7vsmem_tEENKUlT_SI_SJ_SK_E_clIPtSD_S10_SD_EESH_SX_SI_SJ_SK_EUlSX_E1_NS1_11comp_targetILNS1_3genE10ELNS1_11target_archE1201ELNS1_3gpuE5ELNS1_3repE0EEENS1_36merge_oddeven_config_static_selectorELNS0_4arch9wavefront6targetE1EEEvSJ_
; %bb.0:
	.section	.rodata,"a",@progbits
	.p2align	6, 0x0
	.amdhsa_kernel _ZN7rocprim17ROCPRIM_400000_NS6detail17trampoline_kernelINS0_14default_configENS1_38merge_sort_block_merge_config_selectorIttEEZZNS1_27merge_sort_block_merge_implIS3_N6thrust23THRUST_200600_302600_NS6detail15normal_iteratorINS8_10device_ptrItEEEESD_jNS1_19radix_merge_compareILb0ELb1EtNS0_19identity_decomposerEEEEE10hipError_tT0_T1_T2_jT3_P12ihipStream_tbPNSt15iterator_traitsISI_E10value_typeEPNSO_ISJ_E10value_typeEPSK_NS1_7vsmem_tEENKUlT_SI_SJ_SK_E_clIPtSD_S10_SD_EESH_SX_SI_SJ_SK_EUlSX_E1_NS1_11comp_targetILNS1_3genE10ELNS1_11target_archE1201ELNS1_3gpuE5ELNS1_3repE0EEENS1_36merge_oddeven_config_static_selectorELNS0_4arch9wavefront6targetE1EEEvSJ_
		.amdhsa_group_segment_fixed_size 0
		.amdhsa_private_segment_fixed_size 0
		.amdhsa_kernarg_size 48
		.amdhsa_user_sgpr_count 2
		.amdhsa_user_sgpr_dispatch_ptr 0
		.amdhsa_user_sgpr_queue_ptr 0
		.amdhsa_user_sgpr_kernarg_segment_ptr 1
		.amdhsa_user_sgpr_dispatch_id 0
		.amdhsa_user_sgpr_kernarg_preload_length 0
		.amdhsa_user_sgpr_kernarg_preload_offset 0
		.amdhsa_user_sgpr_private_segment_size 0
		.amdhsa_uses_dynamic_stack 0
		.amdhsa_enable_private_segment 0
		.amdhsa_system_sgpr_workgroup_id_x 1
		.amdhsa_system_sgpr_workgroup_id_y 0
		.amdhsa_system_sgpr_workgroup_id_z 0
		.amdhsa_system_sgpr_workgroup_info 0
		.amdhsa_system_vgpr_workitem_id 0
		.amdhsa_next_free_vgpr 1
		.amdhsa_next_free_sgpr 0
		.amdhsa_accum_offset 4
		.amdhsa_reserve_vcc 0
		.amdhsa_float_round_mode_32 0
		.amdhsa_float_round_mode_16_64 0
		.amdhsa_float_denorm_mode_32 3
		.amdhsa_float_denorm_mode_16_64 3
		.amdhsa_dx10_clamp 1
		.amdhsa_ieee_mode 1
		.amdhsa_fp16_overflow 0
		.amdhsa_tg_split 0
		.amdhsa_exception_fp_ieee_invalid_op 0
		.amdhsa_exception_fp_denorm_src 0
		.amdhsa_exception_fp_ieee_div_zero 0
		.amdhsa_exception_fp_ieee_overflow 0
		.amdhsa_exception_fp_ieee_underflow 0
		.amdhsa_exception_fp_ieee_inexact 0
		.amdhsa_exception_int_div_zero 0
	.end_amdhsa_kernel
	.section	.text._ZN7rocprim17ROCPRIM_400000_NS6detail17trampoline_kernelINS0_14default_configENS1_38merge_sort_block_merge_config_selectorIttEEZZNS1_27merge_sort_block_merge_implIS3_N6thrust23THRUST_200600_302600_NS6detail15normal_iteratorINS8_10device_ptrItEEEESD_jNS1_19radix_merge_compareILb0ELb1EtNS0_19identity_decomposerEEEEE10hipError_tT0_T1_T2_jT3_P12ihipStream_tbPNSt15iterator_traitsISI_E10value_typeEPNSO_ISJ_E10value_typeEPSK_NS1_7vsmem_tEENKUlT_SI_SJ_SK_E_clIPtSD_S10_SD_EESH_SX_SI_SJ_SK_EUlSX_E1_NS1_11comp_targetILNS1_3genE10ELNS1_11target_archE1201ELNS1_3gpuE5ELNS1_3repE0EEENS1_36merge_oddeven_config_static_selectorELNS0_4arch9wavefront6targetE1EEEvSJ_,"axG",@progbits,_ZN7rocprim17ROCPRIM_400000_NS6detail17trampoline_kernelINS0_14default_configENS1_38merge_sort_block_merge_config_selectorIttEEZZNS1_27merge_sort_block_merge_implIS3_N6thrust23THRUST_200600_302600_NS6detail15normal_iteratorINS8_10device_ptrItEEEESD_jNS1_19radix_merge_compareILb0ELb1EtNS0_19identity_decomposerEEEEE10hipError_tT0_T1_T2_jT3_P12ihipStream_tbPNSt15iterator_traitsISI_E10value_typeEPNSO_ISJ_E10value_typeEPSK_NS1_7vsmem_tEENKUlT_SI_SJ_SK_E_clIPtSD_S10_SD_EESH_SX_SI_SJ_SK_EUlSX_E1_NS1_11comp_targetILNS1_3genE10ELNS1_11target_archE1201ELNS1_3gpuE5ELNS1_3repE0EEENS1_36merge_oddeven_config_static_selectorELNS0_4arch9wavefront6targetE1EEEvSJ_,comdat
.Lfunc_end916:
	.size	_ZN7rocprim17ROCPRIM_400000_NS6detail17trampoline_kernelINS0_14default_configENS1_38merge_sort_block_merge_config_selectorIttEEZZNS1_27merge_sort_block_merge_implIS3_N6thrust23THRUST_200600_302600_NS6detail15normal_iteratorINS8_10device_ptrItEEEESD_jNS1_19radix_merge_compareILb0ELb1EtNS0_19identity_decomposerEEEEE10hipError_tT0_T1_T2_jT3_P12ihipStream_tbPNSt15iterator_traitsISI_E10value_typeEPNSO_ISJ_E10value_typeEPSK_NS1_7vsmem_tEENKUlT_SI_SJ_SK_E_clIPtSD_S10_SD_EESH_SX_SI_SJ_SK_EUlSX_E1_NS1_11comp_targetILNS1_3genE10ELNS1_11target_archE1201ELNS1_3gpuE5ELNS1_3repE0EEENS1_36merge_oddeven_config_static_selectorELNS0_4arch9wavefront6targetE1EEEvSJ_, .Lfunc_end916-_ZN7rocprim17ROCPRIM_400000_NS6detail17trampoline_kernelINS0_14default_configENS1_38merge_sort_block_merge_config_selectorIttEEZZNS1_27merge_sort_block_merge_implIS3_N6thrust23THRUST_200600_302600_NS6detail15normal_iteratorINS8_10device_ptrItEEEESD_jNS1_19radix_merge_compareILb0ELb1EtNS0_19identity_decomposerEEEEE10hipError_tT0_T1_T2_jT3_P12ihipStream_tbPNSt15iterator_traitsISI_E10value_typeEPNSO_ISJ_E10value_typeEPSK_NS1_7vsmem_tEENKUlT_SI_SJ_SK_E_clIPtSD_S10_SD_EESH_SX_SI_SJ_SK_EUlSX_E1_NS1_11comp_targetILNS1_3genE10ELNS1_11target_archE1201ELNS1_3gpuE5ELNS1_3repE0EEENS1_36merge_oddeven_config_static_selectorELNS0_4arch9wavefront6targetE1EEEvSJ_
                                        ; -- End function
	.set _ZN7rocprim17ROCPRIM_400000_NS6detail17trampoline_kernelINS0_14default_configENS1_38merge_sort_block_merge_config_selectorIttEEZZNS1_27merge_sort_block_merge_implIS3_N6thrust23THRUST_200600_302600_NS6detail15normal_iteratorINS8_10device_ptrItEEEESD_jNS1_19radix_merge_compareILb0ELb1EtNS0_19identity_decomposerEEEEE10hipError_tT0_T1_T2_jT3_P12ihipStream_tbPNSt15iterator_traitsISI_E10value_typeEPNSO_ISJ_E10value_typeEPSK_NS1_7vsmem_tEENKUlT_SI_SJ_SK_E_clIPtSD_S10_SD_EESH_SX_SI_SJ_SK_EUlSX_E1_NS1_11comp_targetILNS1_3genE10ELNS1_11target_archE1201ELNS1_3gpuE5ELNS1_3repE0EEENS1_36merge_oddeven_config_static_selectorELNS0_4arch9wavefront6targetE1EEEvSJ_.num_vgpr, 0
	.set _ZN7rocprim17ROCPRIM_400000_NS6detail17trampoline_kernelINS0_14default_configENS1_38merge_sort_block_merge_config_selectorIttEEZZNS1_27merge_sort_block_merge_implIS3_N6thrust23THRUST_200600_302600_NS6detail15normal_iteratorINS8_10device_ptrItEEEESD_jNS1_19radix_merge_compareILb0ELb1EtNS0_19identity_decomposerEEEEE10hipError_tT0_T1_T2_jT3_P12ihipStream_tbPNSt15iterator_traitsISI_E10value_typeEPNSO_ISJ_E10value_typeEPSK_NS1_7vsmem_tEENKUlT_SI_SJ_SK_E_clIPtSD_S10_SD_EESH_SX_SI_SJ_SK_EUlSX_E1_NS1_11comp_targetILNS1_3genE10ELNS1_11target_archE1201ELNS1_3gpuE5ELNS1_3repE0EEENS1_36merge_oddeven_config_static_selectorELNS0_4arch9wavefront6targetE1EEEvSJ_.num_agpr, 0
	.set _ZN7rocprim17ROCPRIM_400000_NS6detail17trampoline_kernelINS0_14default_configENS1_38merge_sort_block_merge_config_selectorIttEEZZNS1_27merge_sort_block_merge_implIS3_N6thrust23THRUST_200600_302600_NS6detail15normal_iteratorINS8_10device_ptrItEEEESD_jNS1_19radix_merge_compareILb0ELb1EtNS0_19identity_decomposerEEEEE10hipError_tT0_T1_T2_jT3_P12ihipStream_tbPNSt15iterator_traitsISI_E10value_typeEPNSO_ISJ_E10value_typeEPSK_NS1_7vsmem_tEENKUlT_SI_SJ_SK_E_clIPtSD_S10_SD_EESH_SX_SI_SJ_SK_EUlSX_E1_NS1_11comp_targetILNS1_3genE10ELNS1_11target_archE1201ELNS1_3gpuE5ELNS1_3repE0EEENS1_36merge_oddeven_config_static_selectorELNS0_4arch9wavefront6targetE1EEEvSJ_.numbered_sgpr, 0
	.set _ZN7rocprim17ROCPRIM_400000_NS6detail17trampoline_kernelINS0_14default_configENS1_38merge_sort_block_merge_config_selectorIttEEZZNS1_27merge_sort_block_merge_implIS3_N6thrust23THRUST_200600_302600_NS6detail15normal_iteratorINS8_10device_ptrItEEEESD_jNS1_19radix_merge_compareILb0ELb1EtNS0_19identity_decomposerEEEEE10hipError_tT0_T1_T2_jT3_P12ihipStream_tbPNSt15iterator_traitsISI_E10value_typeEPNSO_ISJ_E10value_typeEPSK_NS1_7vsmem_tEENKUlT_SI_SJ_SK_E_clIPtSD_S10_SD_EESH_SX_SI_SJ_SK_EUlSX_E1_NS1_11comp_targetILNS1_3genE10ELNS1_11target_archE1201ELNS1_3gpuE5ELNS1_3repE0EEENS1_36merge_oddeven_config_static_selectorELNS0_4arch9wavefront6targetE1EEEvSJ_.num_named_barrier, 0
	.set _ZN7rocprim17ROCPRIM_400000_NS6detail17trampoline_kernelINS0_14default_configENS1_38merge_sort_block_merge_config_selectorIttEEZZNS1_27merge_sort_block_merge_implIS3_N6thrust23THRUST_200600_302600_NS6detail15normal_iteratorINS8_10device_ptrItEEEESD_jNS1_19radix_merge_compareILb0ELb1EtNS0_19identity_decomposerEEEEE10hipError_tT0_T1_T2_jT3_P12ihipStream_tbPNSt15iterator_traitsISI_E10value_typeEPNSO_ISJ_E10value_typeEPSK_NS1_7vsmem_tEENKUlT_SI_SJ_SK_E_clIPtSD_S10_SD_EESH_SX_SI_SJ_SK_EUlSX_E1_NS1_11comp_targetILNS1_3genE10ELNS1_11target_archE1201ELNS1_3gpuE5ELNS1_3repE0EEENS1_36merge_oddeven_config_static_selectorELNS0_4arch9wavefront6targetE1EEEvSJ_.private_seg_size, 0
	.set _ZN7rocprim17ROCPRIM_400000_NS6detail17trampoline_kernelINS0_14default_configENS1_38merge_sort_block_merge_config_selectorIttEEZZNS1_27merge_sort_block_merge_implIS3_N6thrust23THRUST_200600_302600_NS6detail15normal_iteratorINS8_10device_ptrItEEEESD_jNS1_19radix_merge_compareILb0ELb1EtNS0_19identity_decomposerEEEEE10hipError_tT0_T1_T2_jT3_P12ihipStream_tbPNSt15iterator_traitsISI_E10value_typeEPNSO_ISJ_E10value_typeEPSK_NS1_7vsmem_tEENKUlT_SI_SJ_SK_E_clIPtSD_S10_SD_EESH_SX_SI_SJ_SK_EUlSX_E1_NS1_11comp_targetILNS1_3genE10ELNS1_11target_archE1201ELNS1_3gpuE5ELNS1_3repE0EEENS1_36merge_oddeven_config_static_selectorELNS0_4arch9wavefront6targetE1EEEvSJ_.uses_vcc, 0
	.set _ZN7rocprim17ROCPRIM_400000_NS6detail17trampoline_kernelINS0_14default_configENS1_38merge_sort_block_merge_config_selectorIttEEZZNS1_27merge_sort_block_merge_implIS3_N6thrust23THRUST_200600_302600_NS6detail15normal_iteratorINS8_10device_ptrItEEEESD_jNS1_19radix_merge_compareILb0ELb1EtNS0_19identity_decomposerEEEEE10hipError_tT0_T1_T2_jT3_P12ihipStream_tbPNSt15iterator_traitsISI_E10value_typeEPNSO_ISJ_E10value_typeEPSK_NS1_7vsmem_tEENKUlT_SI_SJ_SK_E_clIPtSD_S10_SD_EESH_SX_SI_SJ_SK_EUlSX_E1_NS1_11comp_targetILNS1_3genE10ELNS1_11target_archE1201ELNS1_3gpuE5ELNS1_3repE0EEENS1_36merge_oddeven_config_static_selectorELNS0_4arch9wavefront6targetE1EEEvSJ_.uses_flat_scratch, 0
	.set _ZN7rocprim17ROCPRIM_400000_NS6detail17trampoline_kernelINS0_14default_configENS1_38merge_sort_block_merge_config_selectorIttEEZZNS1_27merge_sort_block_merge_implIS3_N6thrust23THRUST_200600_302600_NS6detail15normal_iteratorINS8_10device_ptrItEEEESD_jNS1_19radix_merge_compareILb0ELb1EtNS0_19identity_decomposerEEEEE10hipError_tT0_T1_T2_jT3_P12ihipStream_tbPNSt15iterator_traitsISI_E10value_typeEPNSO_ISJ_E10value_typeEPSK_NS1_7vsmem_tEENKUlT_SI_SJ_SK_E_clIPtSD_S10_SD_EESH_SX_SI_SJ_SK_EUlSX_E1_NS1_11comp_targetILNS1_3genE10ELNS1_11target_archE1201ELNS1_3gpuE5ELNS1_3repE0EEENS1_36merge_oddeven_config_static_selectorELNS0_4arch9wavefront6targetE1EEEvSJ_.has_dyn_sized_stack, 0
	.set _ZN7rocprim17ROCPRIM_400000_NS6detail17trampoline_kernelINS0_14default_configENS1_38merge_sort_block_merge_config_selectorIttEEZZNS1_27merge_sort_block_merge_implIS3_N6thrust23THRUST_200600_302600_NS6detail15normal_iteratorINS8_10device_ptrItEEEESD_jNS1_19radix_merge_compareILb0ELb1EtNS0_19identity_decomposerEEEEE10hipError_tT0_T1_T2_jT3_P12ihipStream_tbPNSt15iterator_traitsISI_E10value_typeEPNSO_ISJ_E10value_typeEPSK_NS1_7vsmem_tEENKUlT_SI_SJ_SK_E_clIPtSD_S10_SD_EESH_SX_SI_SJ_SK_EUlSX_E1_NS1_11comp_targetILNS1_3genE10ELNS1_11target_archE1201ELNS1_3gpuE5ELNS1_3repE0EEENS1_36merge_oddeven_config_static_selectorELNS0_4arch9wavefront6targetE1EEEvSJ_.has_recursion, 0
	.set _ZN7rocprim17ROCPRIM_400000_NS6detail17trampoline_kernelINS0_14default_configENS1_38merge_sort_block_merge_config_selectorIttEEZZNS1_27merge_sort_block_merge_implIS3_N6thrust23THRUST_200600_302600_NS6detail15normal_iteratorINS8_10device_ptrItEEEESD_jNS1_19radix_merge_compareILb0ELb1EtNS0_19identity_decomposerEEEEE10hipError_tT0_T1_T2_jT3_P12ihipStream_tbPNSt15iterator_traitsISI_E10value_typeEPNSO_ISJ_E10value_typeEPSK_NS1_7vsmem_tEENKUlT_SI_SJ_SK_E_clIPtSD_S10_SD_EESH_SX_SI_SJ_SK_EUlSX_E1_NS1_11comp_targetILNS1_3genE10ELNS1_11target_archE1201ELNS1_3gpuE5ELNS1_3repE0EEENS1_36merge_oddeven_config_static_selectorELNS0_4arch9wavefront6targetE1EEEvSJ_.has_indirect_call, 0
	.section	.AMDGPU.csdata,"",@progbits
; Kernel info:
; codeLenInByte = 0
; TotalNumSgprs: 6
; NumVgprs: 0
; NumAgprs: 0
; TotalNumVgprs: 0
; ScratchSize: 0
; MemoryBound: 0
; FloatMode: 240
; IeeeMode: 1
; LDSByteSize: 0 bytes/workgroup (compile time only)
; SGPRBlocks: 0
; VGPRBlocks: 0
; NumSGPRsForWavesPerEU: 6
; NumVGPRsForWavesPerEU: 1
; AccumOffset: 4
; Occupancy: 8
; WaveLimiterHint : 0
; COMPUTE_PGM_RSRC2:SCRATCH_EN: 0
; COMPUTE_PGM_RSRC2:USER_SGPR: 2
; COMPUTE_PGM_RSRC2:TRAP_HANDLER: 0
; COMPUTE_PGM_RSRC2:TGID_X_EN: 1
; COMPUTE_PGM_RSRC2:TGID_Y_EN: 0
; COMPUTE_PGM_RSRC2:TGID_Z_EN: 0
; COMPUTE_PGM_RSRC2:TIDIG_COMP_CNT: 0
; COMPUTE_PGM_RSRC3_GFX90A:ACCUM_OFFSET: 0
; COMPUTE_PGM_RSRC3_GFX90A:TG_SPLIT: 0
	.section	.text._ZN7rocprim17ROCPRIM_400000_NS6detail17trampoline_kernelINS0_14default_configENS1_38merge_sort_block_merge_config_selectorIttEEZZNS1_27merge_sort_block_merge_implIS3_N6thrust23THRUST_200600_302600_NS6detail15normal_iteratorINS8_10device_ptrItEEEESD_jNS1_19radix_merge_compareILb0ELb1EtNS0_19identity_decomposerEEEEE10hipError_tT0_T1_T2_jT3_P12ihipStream_tbPNSt15iterator_traitsISI_E10value_typeEPNSO_ISJ_E10value_typeEPSK_NS1_7vsmem_tEENKUlT_SI_SJ_SK_E_clIPtSD_S10_SD_EESH_SX_SI_SJ_SK_EUlSX_E1_NS1_11comp_targetILNS1_3genE5ELNS1_11target_archE942ELNS1_3gpuE9ELNS1_3repE0EEENS1_36merge_oddeven_config_static_selectorELNS0_4arch9wavefront6targetE1EEEvSJ_,"axG",@progbits,_ZN7rocprim17ROCPRIM_400000_NS6detail17trampoline_kernelINS0_14default_configENS1_38merge_sort_block_merge_config_selectorIttEEZZNS1_27merge_sort_block_merge_implIS3_N6thrust23THRUST_200600_302600_NS6detail15normal_iteratorINS8_10device_ptrItEEEESD_jNS1_19radix_merge_compareILb0ELb1EtNS0_19identity_decomposerEEEEE10hipError_tT0_T1_T2_jT3_P12ihipStream_tbPNSt15iterator_traitsISI_E10value_typeEPNSO_ISJ_E10value_typeEPSK_NS1_7vsmem_tEENKUlT_SI_SJ_SK_E_clIPtSD_S10_SD_EESH_SX_SI_SJ_SK_EUlSX_E1_NS1_11comp_targetILNS1_3genE5ELNS1_11target_archE942ELNS1_3gpuE9ELNS1_3repE0EEENS1_36merge_oddeven_config_static_selectorELNS0_4arch9wavefront6targetE1EEEvSJ_,comdat
	.protected	_ZN7rocprim17ROCPRIM_400000_NS6detail17trampoline_kernelINS0_14default_configENS1_38merge_sort_block_merge_config_selectorIttEEZZNS1_27merge_sort_block_merge_implIS3_N6thrust23THRUST_200600_302600_NS6detail15normal_iteratorINS8_10device_ptrItEEEESD_jNS1_19radix_merge_compareILb0ELb1EtNS0_19identity_decomposerEEEEE10hipError_tT0_T1_T2_jT3_P12ihipStream_tbPNSt15iterator_traitsISI_E10value_typeEPNSO_ISJ_E10value_typeEPSK_NS1_7vsmem_tEENKUlT_SI_SJ_SK_E_clIPtSD_S10_SD_EESH_SX_SI_SJ_SK_EUlSX_E1_NS1_11comp_targetILNS1_3genE5ELNS1_11target_archE942ELNS1_3gpuE9ELNS1_3repE0EEENS1_36merge_oddeven_config_static_selectorELNS0_4arch9wavefront6targetE1EEEvSJ_ ; -- Begin function _ZN7rocprim17ROCPRIM_400000_NS6detail17trampoline_kernelINS0_14default_configENS1_38merge_sort_block_merge_config_selectorIttEEZZNS1_27merge_sort_block_merge_implIS3_N6thrust23THRUST_200600_302600_NS6detail15normal_iteratorINS8_10device_ptrItEEEESD_jNS1_19radix_merge_compareILb0ELb1EtNS0_19identity_decomposerEEEEE10hipError_tT0_T1_T2_jT3_P12ihipStream_tbPNSt15iterator_traitsISI_E10value_typeEPNSO_ISJ_E10value_typeEPSK_NS1_7vsmem_tEENKUlT_SI_SJ_SK_E_clIPtSD_S10_SD_EESH_SX_SI_SJ_SK_EUlSX_E1_NS1_11comp_targetILNS1_3genE5ELNS1_11target_archE942ELNS1_3gpuE9ELNS1_3repE0EEENS1_36merge_oddeven_config_static_selectorELNS0_4arch9wavefront6targetE1EEEvSJ_
	.globl	_ZN7rocprim17ROCPRIM_400000_NS6detail17trampoline_kernelINS0_14default_configENS1_38merge_sort_block_merge_config_selectorIttEEZZNS1_27merge_sort_block_merge_implIS3_N6thrust23THRUST_200600_302600_NS6detail15normal_iteratorINS8_10device_ptrItEEEESD_jNS1_19radix_merge_compareILb0ELb1EtNS0_19identity_decomposerEEEEE10hipError_tT0_T1_T2_jT3_P12ihipStream_tbPNSt15iterator_traitsISI_E10value_typeEPNSO_ISJ_E10value_typeEPSK_NS1_7vsmem_tEENKUlT_SI_SJ_SK_E_clIPtSD_S10_SD_EESH_SX_SI_SJ_SK_EUlSX_E1_NS1_11comp_targetILNS1_3genE5ELNS1_11target_archE942ELNS1_3gpuE9ELNS1_3repE0EEENS1_36merge_oddeven_config_static_selectorELNS0_4arch9wavefront6targetE1EEEvSJ_
	.p2align	8
	.type	_ZN7rocprim17ROCPRIM_400000_NS6detail17trampoline_kernelINS0_14default_configENS1_38merge_sort_block_merge_config_selectorIttEEZZNS1_27merge_sort_block_merge_implIS3_N6thrust23THRUST_200600_302600_NS6detail15normal_iteratorINS8_10device_ptrItEEEESD_jNS1_19radix_merge_compareILb0ELb1EtNS0_19identity_decomposerEEEEE10hipError_tT0_T1_T2_jT3_P12ihipStream_tbPNSt15iterator_traitsISI_E10value_typeEPNSO_ISJ_E10value_typeEPSK_NS1_7vsmem_tEENKUlT_SI_SJ_SK_E_clIPtSD_S10_SD_EESH_SX_SI_SJ_SK_EUlSX_E1_NS1_11comp_targetILNS1_3genE5ELNS1_11target_archE942ELNS1_3gpuE9ELNS1_3repE0EEENS1_36merge_oddeven_config_static_selectorELNS0_4arch9wavefront6targetE1EEEvSJ_,@function
_ZN7rocprim17ROCPRIM_400000_NS6detail17trampoline_kernelINS0_14default_configENS1_38merge_sort_block_merge_config_selectorIttEEZZNS1_27merge_sort_block_merge_implIS3_N6thrust23THRUST_200600_302600_NS6detail15normal_iteratorINS8_10device_ptrItEEEESD_jNS1_19radix_merge_compareILb0ELb1EtNS0_19identity_decomposerEEEEE10hipError_tT0_T1_T2_jT3_P12ihipStream_tbPNSt15iterator_traitsISI_E10value_typeEPNSO_ISJ_E10value_typeEPSK_NS1_7vsmem_tEENKUlT_SI_SJ_SK_E_clIPtSD_S10_SD_EESH_SX_SI_SJ_SK_EUlSX_E1_NS1_11comp_targetILNS1_3genE5ELNS1_11target_archE942ELNS1_3gpuE9ELNS1_3repE0EEENS1_36merge_oddeven_config_static_selectorELNS0_4arch9wavefront6targetE1EEEvSJ_: ; @_ZN7rocprim17ROCPRIM_400000_NS6detail17trampoline_kernelINS0_14default_configENS1_38merge_sort_block_merge_config_selectorIttEEZZNS1_27merge_sort_block_merge_implIS3_N6thrust23THRUST_200600_302600_NS6detail15normal_iteratorINS8_10device_ptrItEEEESD_jNS1_19radix_merge_compareILb0ELb1EtNS0_19identity_decomposerEEEEE10hipError_tT0_T1_T2_jT3_P12ihipStream_tbPNSt15iterator_traitsISI_E10value_typeEPNSO_ISJ_E10value_typeEPSK_NS1_7vsmem_tEENKUlT_SI_SJ_SK_E_clIPtSD_S10_SD_EESH_SX_SI_SJ_SK_EUlSX_E1_NS1_11comp_targetILNS1_3genE5ELNS1_11target_archE942ELNS1_3gpuE9ELNS1_3repE0EEENS1_36merge_oddeven_config_static_selectorELNS0_4arch9wavefront6targetE1EEEvSJ_
; %bb.0:
	.section	.rodata,"a",@progbits
	.p2align	6, 0x0
	.amdhsa_kernel _ZN7rocprim17ROCPRIM_400000_NS6detail17trampoline_kernelINS0_14default_configENS1_38merge_sort_block_merge_config_selectorIttEEZZNS1_27merge_sort_block_merge_implIS3_N6thrust23THRUST_200600_302600_NS6detail15normal_iteratorINS8_10device_ptrItEEEESD_jNS1_19radix_merge_compareILb0ELb1EtNS0_19identity_decomposerEEEEE10hipError_tT0_T1_T2_jT3_P12ihipStream_tbPNSt15iterator_traitsISI_E10value_typeEPNSO_ISJ_E10value_typeEPSK_NS1_7vsmem_tEENKUlT_SI_SJ_SK_E_clIPtSD_S10_SD_EESH_SX_SI_SJ_SK_EUlSX_E1_NS1_11comp_targetILNS1_3genE5ELNS1_11target_archE942ELNS1_3gpuE9ELNS1_3repE0EEENS1_36merge_oddeven_config_static_selectorELNS0_4arch9wavefront6targetE1EEEvSJ_
		.amdhsa_group_segment_fixed_size 0
		.amdhsa_private_segment_fixed_size 0
		.amdhsa_kernarg_size 48
		.amdhsa_user_sgpr_count 2
		.amdhsa_user_sgpr_dispatch_ptr 0
		.amdhsa_user_sgpr_queue_ptr 0
		.amdhsa_user_sgpr_kernarg_segment_ptr 1
		.amdhsa_user_sgpr_dispatch_id 0
		.amdhsa_user_sgpr_kernarg_preload_length 0
		.amdhsa_user_sgpr_kernarg_preload_offset 0
		.amdhsa_user_sgpr_private_segment_size 0
		.amdhsa_uses_dynamic_stack 0
		.amdhsa_enable_private_segment 0
		.amdhsa_system_sgpr_workgroup_id_x 1
		.amdhsa_system_sgpr_workgroup_id_y 0
		.amdhsa_system_sgpr_workgroup_id_z 0
		.amdhsa_system_sgpr_workgroup_info 0
		.amdhsa_system_vgpr_workitem_id 0
		.amdhsa_next_free_vgpr 1
		.amdhsa_next_free_sgpr 0
		.amdhsa_accum_offset 4
		.amdhsa_reserve_vcc 0
		.amdhsa_float_round_mode_32 0
		.amdhsa_float_round_mode_16_64 0
		.amdhsa_float_denorm_mode_32 3
		.amdhsa_float_denorm_mode_16_64 3
		.amdhsa_dx10_clamp 1
		.amdhsa_ieee_mode 1
		.amdhsa_fp16_overflow 0
		.amdhsa_tg_split 0
		.amdhsa_exception_fp_ieee_invalid_op 0
		.amdhsa_exception_fp_denorm_src 0
		.amdhsa_exception_fp_ieee_div_zero 0
		.amdhsa_exception_fp_ieee_overflow 0
		.amdhsa_exception_fp_ieee_underflow 0
		.amdhsa_exception_fp_ieee_inexact 0
		.amdhsa_exception_int_div_zero 0
	.end_amdhsa_kernel
	.section	.text._ZN7rocprim17ROCPRIM_400000_NS6detail17trampoline_kernelINS0_14default_configENS1_38merge_sort_block_merge_config_selectorIttEEZZNS1_27merge_sort_block_merge_implIS3_N6thrust23THRUST_200600_302600_NS6detail15normal_iteratorINS8_10device_ptrItEEEESD_jNS1_19radix_merge_compareILb0ELb1EtNS0_19identity_decomposerEEEEE10hipError_tT0_T1_T2_jT3_P12ihipStream_tbPNSt15iterator_traitsISI_E10value_typeEPNSO_ISJ_E10value_typeEPSK_NS1_7vsmem_tEENKUlT_SI_SJ_SK_E_clIPtSD_S10_SD_EESH_SX_SI_SJ_SK_EUlSX_E1_NS1_11comp_targetILNS1_3genE5ELNS1_11target_archE942ELNS1_3gpuE9ELNS1_3repE0EEENS1_36merge_oddeven_config_static_selectorELNS0_4arch9wavefront6targetE1EEEvSJ_,"axG",@progbits,_ZN7rocprim17ROCPRIM_400000_NS6detail17trampoline_kernelINS0_14default_configENS1_38merge_sort_block_merge_config_selectorIttEEZZNS1_27merge_sort_block_merge_implIS3_N6thrust23THRUST_200600_302600_NS6detail15normal_iteratorINS8_10device_ptrItEEEESD_jNS1_19radix_merge_compareILb0ELb1EtNS0_19identity_decomposerEEEEE10hipError_tT0_T1_T2_jT3_P12ihipStream_tbPNSt15iterator_traitsISI_E10value_typeEPNSO_ISJ_E10value_typeEPSK_NS1_7vsmem_tEENKUlT_SI_SJ_SK_E_clIPtSD_S10_SD_EESH_SX_SI_SJ_SK_EUlSX_E1_NS1_11comp_targetILNS1_3genE5ELNS1_11target_archE942ELNS1_3gpuE9ELNS1_3repE0EEENS1_36merge_oddeven_config_static_selectorELNS0_4arch9wavefront6targetE1EEEvSJ_,comdat
.Lfunc_end917:
	.size	_ZN7rocprim17ROCPRIM_400000_NS6detail17trampoline_kernelINS0_14default_configENS1_38merge_sort_block_merge_config_selectorIttEEZZNS1_27merge_sort_block_merge_implIS3_N6thrust23THRUST_200600_302600_NS6detail15normal_iteratorINS8_10device_ptrItEEEESD_jNS1_19radix_merge_compareILb0ELb1EtNS0_19identity_decomposerEEEEE10hipError_tT0_T1_T2_jT3_P12ihipStream_tbPNSt15iterator_traitsISI_E10value_typeEPNSO_ISJ_E10value_typeEPSK_NS1_7vsmem_tEENKUlT_SI_SJ_SK_E_clIPtSD_S10_SD_EESH_SX_SI_SJ_SK_EUlSX_E1_NS1_11comp_targetILNS1_3genE5ELNS1_11target_archE942ELNS1_3gpuE9ELNS1_3repE0EEENS1_36merge_oddeven_config_static_selectorELNS0_4arch9wavefront6targetE1EEEvSJ_, .Lfunc_end917-_ZN7rocprim17ROCPRIM_400000_NS6detail17trampoline_kernelINS0_14default_configENS1_38merge_sort_block_merge_config_selectorIttEEZZNS1_27merge_sort_block_merge_implIS3_N6thrust23THRUST_200600_302600_NS6detail15normal_iteratorINS8_10device_ptrItEEEESD_jNS1_19radix_merge_compareILb0ELb1EtNS0_19identity_decomposerEEEEE10hipError_tT0_T1_T2_jT3_P12ihipStream_tbPNSt15iterator_traitsISI_E10value_typeEPNSO_ISJ_E10value_typeEPSK_NS1_7vsmem_tEENKUlT_SI_SJ_SK_E_clIPtSD_S10_SD_EESH_SX_SI_SJ_SK_EUlSX_E1_NS1_11comp_targetILNS1_3genE5ELNS1_11target_archE942ELNS1_3gpuE9ELNS1_3repE0EEENS1_36merge_oddeven_config_static_selectorELNS0_4arch9wavefront6targetE1EEEvSJ_
                                        ; -- End function
	.set _ZN7rocprim17ROCPRIM_400000_NS6detail17trampoline_kernelINS0_14default_configENS1_38merge_sort_block_merge_config_selectorIttEEZZNS1_27merge_sort_block_merge_implIS3_N6thrust23THRUST_200600_302600_NS6detail15normal_iteratorINS8_10device_ptrItEEEESD_jNS1_19radix_merge_compareILb0ELb1EtNS0_19identity_decomposerEEEEE10hipError_tT0_T1_T2_jT3_P12ihipStream_tbPNSt15iterator_traitsISI_E10value_typeEPNSO_ISJ_E10value_typeEPSK_NS1_7vsmem_tEENKUlT_SI_SJ_SK_E_clIPtSD_S10_SD_EESH_SX_SI_SJ_SK_EUlSX_E1_NS1_11comp_targetILNS1_3genE5ELNS1_11target_archE942ELNS1_3gpuE9ELNS1_3repE0EEENS1_36merge_oddeven_config_static_selectorELNS0_4arch9wavefront6targetE1EEEvSJ_.num_vgpr, 0
	.set _ZN7rocprim17ROCPRIM_400000_NS6detail17trampoline_kernelINS0_14default_configENS1_38merge_sort_block_merge_config_selectorIttEEZZNS1_27merge_sort_block_merge_implIS3_N6thrust23THRUST_200600_302600_NS6detail15normal_iteratorINS8_10device_ptrItEEEESD_jNS1_19radix_merge_compareILb0ELb1EtNS0_19identity_decomposerEEEEE10hipError_tT0_T1_T2_jT3_P12ihipStream_tbPNSt15iterator_traitsISI_E10value_typeEPNSO_ISJ_E10value_typeEPSK_NS1_7vsmem_tEENKUlT_SI_SJ_SK_E_clIPtSD_S10_SD_EESH_SX_SI_SJ_SK_EUlSX_E1_NS1_11comp_targetILNS1_3genE5ELNS1_11target_archE942ELNS1_3gpuE9ELNS1_3repE0EEENS1_36merge_oddeven_config_static_selectorELNS0_4arch9wavefront6targetE1EEEvSJ_.num_agpr, 0
	.set _ZN7rocprim17ROCPRIM_400000_NS6detail17trampoline_kernelINS0_14default_configENS1_38merge_sort_block_merge_config_selectorIttEEZZNS1_27merge_sort_block_merge_implIS3_N6thrust23THRUST_200600_302600_NS6detail15normal_iteratorINS8_10device_ptrItEEEESD_jNS1_19radix_merge_compareILb0ELb1EtNS0_19identity_decomposerEEEEE10hipError_tT0_T1_T2_jT3_P12ihipStream_tbPNSt15iterator_traitsISI_E10value_typeEPNSO_ISJ_E10value_typeEPSK_NS1_7vsmem_tEENKUlT_SI_SJ_SK_E_clIPtSD_S10_SD_EESH_SX_SI_SJ_SK_EUlSX_E1_NS1_11comp_targetILNS1_3genE5ELNS1_11target_archE942ELNS1_3gpuE9ELNS1_3repE0EEENS1_36merge_oddeven_config_static_selectorELNS0_4arch9wavefront6targetE1EEEvSJ_.numbered_sgpr, 0
	.set _ZN7rocprim17ROCPRIM_400000_NS6detail17trampoline_kernelINS0_14default_configENS1_38merge_sort_block_merge_config_selectorIttEEZZNS1_27merge_sort_block_merge_implIS3_N6thrust23THRUST_200600_302600_NS6detail15normal_iteratorINS8_10device_ptrItEEEESD_jNS1_19radix_merge_compareILb0ELb1EtNS0_19identity_decomposerEEEEE10hipError_tT0_T1_T2_jT3_P12ihipStream_tbPNSt15iterator_traitsISI_E10value_typeEPNSO_ISJ_E10value_typeEPSK_NS1_7vsmem_tEENKUlT_SI_SJ_SK_E_clIPtSD_S10_SD_EESH_SX_SI_SJ_SK_EUlSX_E1_NS1_11comp_targetILNS1_3genE5ELNS1_11target_archE942ELNS1_3gpuE9ELNS1_3repE0EEENS1_36merge_oddeven_config_static_selectorELNS0_4arch9wavefront6targetE1EEEvSJ_.num_named_barrier, 0
	.set _ZN7rocprim17ROCPRIM_400000_NS6detail17trampoline_kernelINS0_14default_configENS1_38merge_sort_block_merge_config_selectorIttEEZZNS1_27merge_sort_block_merge_implIS3_N6thrust23THRUST_200600_302600_NS6detail15normal_iteratorINS8_10device_ptrItEEEESD_jNS1_19radix_merge_compareILb0ELb1EtNS0_19identity_decomposerEEEEE10hipError_tT0_T1_T2_jT3_P12ihipStream_tbPNSt15iterator_traitsISI_E10value_typeEPNSO_ISJ_E10value_typeEPSK_NS1_7vsmem_tEENKUlT_SI_SJ_SK_E_clIPtSD_S10_SD_EESH_SX_SI_SJ_SK_EUlSX_E1_NS1_11comp_targetILNS1_3genE5ELNS1_11target_archE942ELNS1_3gpuE9ELNS1_3repE0EEENS1_36merge_oddeven_config_static_selectorELNS0_4arch9wavefront6targetE1EEEvSJ_.private_seg_size, 0
	.set _ZN7rocprim17ROCPRIM_400000_NS6detail17trampoline_kernelINS0_14default_configENS1_38merge_sort_block_merge_config_selectorIttEEZZNS1_27merge_sort_block_merge_implIS3_N6thrust23THRUST_200600_302600_NS6detail15normal_iteratorINS8_10device_ptrItEEEESD_jNS1_19radix_merge_compareILb0ELb1EtNS0_19identity_decomposerEEEEE10hipError_tT0_T1_T2_jT3_P12ihipStream_tbPNSt15iterator_traitsISI_E10value_typeEPNSO_ISJ_E10value_typeEPSK_NS1_7vsmem_tEENKUlT_SI_SJ_SK_E_clIPtSD_S10_SD_EESH_SX_SI_SJ_SK_EUlSX_E1_NS1_11comp_targetILNS1_3genE5ELNS1_11target_archE942ELNS1_3gpuE9ELNS1_3repE0EEENS1_36merge_oddeven_config_static_selectorELNS0_4arch9wavefront6targetE1EEEvSJ_.uses_vcc, 0
	.set _ZN7rocprim17ROCPRIM_400000_NS6detail17trampoline_kernelINS0_14default_configENS1_38merge_sort_block_merge_config_selectorIttEEZZNS1_27merge_sort_block_merge_implIS3_N6thrust23THRUST_200600_302600_NS6detail15normal_iteratorINS8_10device_ptrItEEEESD_jNS1_19radix_merge_compareILb0ELb1EtNS0_19identity_decomposerEEEEE10hipError_tT0_T1_T2_jT3_P12ihipStream_tbPNSt15iterator_traitsISI_E10value_typeEPNSO_ISJ_E10value_typeEPSK_NS1_7vsmem_tEENKUlT_SI_SJ_SK_E_clIPtSD_S10_SD_EESH_SX_SI_SJ_SK_EUlSX_E1_NS1_11comp_targetILNS1_3genE5ELNS1_11target_archE942ELNS1_3gpuE9ELNS1_3repE0EEENS1_36merge_oddeven_config_static_selectorELNS0_4arch9wavefront6targetE1EEEvSJ_.uses_flat_scratch, 0
	.set _ZN7rocprim17ROCPRIM_400000_NS6detail17trampoline_kernelINS0_14default_configENS1_38merge_sort_block_merge_config_selectorIttEEZZNS1_27merge_sort_block_merge_implIS3_N6thrust23THRUST_200600_302600_NS6detail15normal_iteratorINS8_10device_ptrItEEEESD_jNS1_19radix_merge_compareILb0ELb1EtNS0_19identity_decomposerEEEEE10hipError_tT0_T1_T2_jT3_P12ihipStream_tbPNSt15iterator_traitsISI_E10value_typeEPNSO_ISJ_E10value_typeEPSK_NS1_7vsmem_tEENKUlT_SI_SJ_SK_E_clIPtSD_S10_SD_EESH_SX_SI_SJ_SK_EUlSX_E1_NS1_11comp_targetILNS1_3genE5ELNS1_11target_archE942ELNS1_3gpuE9ELNS1_3repE0EEENS1_36merge_oddeven_config_static_selectorELNS0_4arch9wavefront6targetE1EEEvSJ_.has_dyn_sized_stack, 0
	.set _ZN7rocprim17ROCPRIM_400000_NS6detail17trampoline_kernelINS0_14default_configENS1_38merge_sort_block_merge_config_selectorIttEEZZNS1_27merge_sort_block_merge_implIS3_N6thrust23THRUST_200600_302600_NS6detail15normal_iteratorINS8_10device_ptrItEEEESD_jNS1_19radix_merge_compareILb0ELb1EtNS0_19identity_decomposerEEEEE10hipError_tT0_T1_T2_jT3_P12ihipStream_tbPNSt15iterator_traitsISI_E10value_typeEPNSO_ISJ_E10value_typeEPSK_NS1_7vsmem_tEENKUlT_SI_SJ_SK_E_clIPtSD_S10_SD_EESH_SX_SI_SJ_SK_EUlSX_E1_NS1_11comp_targetILNS1_3genE5ELNS1_11target_archE942ELNS1_3gpuE9ELNS1_3repE0EEENS1_36merge_oddeven_config_static_selectorELNS0_4arch9wavefront6targetE1EEEvSJ_.has_recursion, 0
	.set _ZN7rocprim17ROCPRIM_400000_NS6detail17trampoline_kernelINS0_14default_configENS1_38merge_sort_block_merge_config_selectorIttEEZZNS1_27merge_sort_block_merge_implIS3_N6thrust23THRUST_200600_302600_NS6detail15normal_iteratorINS8_10device_ptrItEEEESD_jNS1_19radix_merge_compareILb0ELb1EtNS0_19identity_decomposerEEEEE10hipError_tT0_T1_T2_jT3_P12ihipStream_tbPNSt15iterator_traitsISI_E10value_typeEPNSO_ISJ_E10value_typeEPSK_NS1_7vsmem_tEENKUlT_SI_SJ_SK_E_clIPtSD_S10_SD_EESH_SX_SI_SJ_SK_EUlSX_E1_NS1_11comp_targetILNS1_3genE5ELNS1_11target_archE942ELNS1_3gpuE9ELNS1_3repE0EEENS1_36merge_oddeven_config_static_selectorELNS0_4arch9wavefront6targetE1EEEvSJ_.has_indirect_call, 0
	.section	.AMDGPU.csdata,"",@progbits
; Kernel info:
; codeLenInByte = 0
; TotalNumSgprs: 6
; NumVgprs: 0
; NumAgprs: 0
; TotalNumVgprs: 0
; ScratchSize: 0
; MemoryBound: 0
; FloatMode: 240
; IeeeMode: 1
; LDSByteSize: 0 bytes/workgroup (compile time only)
; SGPRBlocks: 0
; VGPRBlocks: 0
; NumSGPRsForWavesPerEU: 6
; NumVGPRsForWavesPerEU: 1
; AccumOffset: 4
; Occupancy: 8
; WaveLimiterHint : 0
; COMPUTE_PGM_RSRC2:SCRATCH_EN: 0
; COMPUTE_PGM_RSRC2:USER_SGPR: 2
; COMPUTE_PGM_RSRC2:TRAP_HANDLER: 0
; COMPUTE_PGM_RSRC2:TGID_X_EN: 1
; COMPUTE_PGM_RSRC2:TGID_Y_EN: 0
; COMPUTE_PGM_RSRC2:TGID_Z_EN: 0
; COMPUTE_PGM_RSRC2:TIDIG_COMP_CNT: 0
; COMPUTE_PGM_RSRC3_GFX90A:ACCUM_OFFSET: 0
; COMPUTE_PGM_RSRC3_GFX90A:TG_SPLIT: 0
	.section	.text._ZN7rocprim17ROCPRIM_400000_NS6detail17trampoline_kernelINS0_14default_configENS1_38merge_sort_block_merge_config_selectorIttEEZZNS1_27merge_sort_block_merge_implIS3_N6thrust23THRUST_200600_302600_NS6detail15normal_iteratorINS8_10device_ptrItEEEESD_jNS1_19radix_merge_compareILb0ELb1EtNS0_19identity_decomposerEEEEE10hipError_tT0_T1_T2_jT3_P12ihipStream_tbPNSt15iterator_traitsISI_E10value_typeEPNSO_ISJ_E10value_typeEPSK_NS1_7vsmem_tEENKUlT_SI_SJ_SK_E_clIPtSD_S10_SD_EESH_SX_SI_SJ_SK_EUlSX_E1_NS1_11comp_targetILNS1_3genE4ELNS1_11target_archE910ELNS1_3gpuE8ELNS1_3repE0EEENS1_36merge_oddeven_config_static_selectorELNS0_4arch9wavefront6targetE1EEEvSJ_,"axG",@progbits,_ZN7rocprim17ROCPRIM_400000_NS6detail17trampoline_kernelINS0_14default_configENS1_38merge_sort_block_merge_config_selectorIttEEZZNS1_27merge_sort_block_merge_implIS3_N6thrust23THRUST_200600_302600_NS6detail15normal_iteratorINS8_10device_ptrItEEEESD_jNS1_19radix_merge_compareILb0ELb1EtNS0_19identity_decomposerEEEEE10hipError_tT0_T1_T2_jT3_P12ihipStream_tbPNSt15iterator_traitsISI_E10value_typeEPNSO_ISJ_E10value_typeEPSK_NS1_7vsmem_tEENKUlT_SI_SJ_SK_E_clIPtSD_S10_SD_EESH_SX_SI_SJ_SK_EUlSX_E1_NS1_11comp_targetILNS1_3genE4ELNS1_11target_archE910ELNS1_3gpuE8ELNS1_3repE0EEENS1_36merge_oddeven_config_static_selectorELNS0_4arch9wavefront6targetE1EEEvSJ_,comdat
	.protected	_ZN7rocprim17ROCPRIM_400000_NS6detail17trampoline_kernelINS0_14default_configENS1_38merge_sort_block_merge_config_selectorIttEEZZNS1_27merge_sort_block_merge_implIS3_N6thrust23THRUST_200600_302600_NS6detail15normal_iteratorINS8_10device_ptrItEEEESD_jNS1_19radix_merge_compareILb0ELb1EtNS0_19identity_decomposerEEEEE10hipError_tT0_T1_T2_jT3_P12ihipStream_tbPNSt15iterator_traitsISI_E10value_typeEPNSO_ISJ_E10value_typeEPSK_NS1_7vsmem_tEENKUlT_SI_SJ_SK_E_clIPtSD_S10_SD_EESH_SX_SI_SJ_SK_EUlSX_E1_NS1_11comp_targetILNS1_3genE4ELNS1_11target_archE910ELNS1_3gpuE8ELNS1_3repE0EEENS1_36merge_oddeven_config_static_selectorELNS0_4arch9wavefront6targetE1EEEvSJ_ ; -- Begin function _ZN7rocprim17ROCPRIM_400000_NS6detail17trampoline_kernelINS0_14default_configENS1_38merge_sort_block_merge_config_selectorIttEEZZNS1_27merge_sort_block_merge_implIS3_N6thrust23THRUST_200600_302600_NS6detail15normal_iteratorINS8_10device_ptrItEEEESD_jNS1_19radix_merge_compareILb0ELb1EtNS0_19identity_decomposerEEEEE10hipError_tT0_T1_T2_jT3_P12ihipStream_tbPNSt15iterator_traitsISI_E10value_typeEPNSO_ISJ_E10value_typeEPSK_NS1_7vsmem_tEENKUlT_SI_SJ_SK_E_clIPtSD_S10_SD_EESH_SX_SI_SJ_SK_EUlSX_E1_NS1_11comp_targetILNS1_3genE4ELNS1_11target_archE910ELNS1_3gpuE8ELNS1_3repE0EEENS1_36merge_oddeven_config_static_selectorELNS0_4arch9wavefront6targetE1EEEvSJ_
	.globl	_ZN7rocprim17ROCPRIM_400000_NS6detail17trampoline_kernelINS0_14default_configENS1_38merge_sort_block_merge_config_selectorIttEEZZNS1_27merge_sort_block_merge_implIS3_N6thrust23THRUST_200600_302600_NS6detail15normal_iteratorINS8_10device_ptrItEEEESD_jNS1_19radix_merge_compareILb0ELb1EtNS0_19identity_decomposerEEEEE10hipError_tT0_T1_T2_jT3_P12ihipStream_tbPNSt15iterator_traitsISI_E10value_typeEPNSO_ISJ_E10value_typeEPSK_NS1_7vsmem_tEENKUlT_SI_SJ_SK_E_clIPtSD_S10_SD_EESH_SX_SI_SJ_SK_EUlSX_E1_NS1_11comp_targetILNS1_3genE4ELNS1_11target_archE910ELNS1_3gpuE8ELNS1_3repE0EEENS1_36merge_oddeven_config_static_selectorELNS0_4arch9wavefront6targetE1EEEvSJ_
	.p2align	8
	.type	_ZN7rocprim17ROCPRIM_400000_NS6detail17trampoline_kernelINS0_14default_configENS1_38merge_sort_block_merge_config_selectorIttEEZZNS1_27merge_sort_block_merge_implIS3_N6thrust23THRUST_200600_302600_NS6detail15normal_iteratorINS8_10device_ptrItEEEESD_jNS1_19radix_merge_compareILb0ELb1EtNS0_19identity_decomposerEEEEE10hipError_tT0_T1_T2_jT3_P12ihipStream_tbPNSt15iterator_traitsISI_E10value_typeEPNSO_ISJ_E10value_typeEPSK_NS1_7vsmem_tEENKUlT_SI_SJ_SK_E_clIPtSD_S10_SD_EESH_SX_SI_SJ_SK_EUlSX_E1_NS1_11comp_targetILNS1_3genE4ELNS1_11target_archE910ELNS1_3gpuE8ELNS1_3repE0EEENS1_36merge_oddeven_config_static_selectorELNS0_4arch9wavefront6targetE1EEEvSJ_,@function
_ZN7rocprim17ROCPRIM_400000_NS6detail17trampoline_kernelINS0_14default_configENS1_38merge_sort_block_merge_config_selectorIttEEZZNS1_27merge_sort_block_merge_implIS3_N6thrust23THRUST_200600_302600_NS6detail15normal_iteratorINS8_10device_ptrItEEEESD_jNS1_19radix_merge_compareILb0ELb1EtNS0_19identity_decomposerEEEEE10hipError_tT0_T1_T2_jT3_P12ihipStream_tbPNSt15iterator_traitsISI_E10value_typeEPNSO_ISJ_E10value_typeEPSK_NS1_7vsmem_tEENKUlT_SI_SJ_SK_E_clIPtSD_S10_SD_EESH_SX_SI_SJ_SK_EUlSX_E1_NS1_11comp_targetILNS1_3genE4ELNS1_11target_archE910ELNS1_3gpuE8ELNS1_3repE0EEENS1_36merge_oddeven_config_static_selectorELNS0_4arch9wavefront6targetE1EEEvSJ_: ; @_ZN7rocprim17ROCPRIM_400000_NS6detail17trampoline_kernelINS0_14default_configENS1_38merge_sort_block_merge_config_selectorIttEEZZNS1_27merge_sort_block_merge_implIS3_N6thrust23THRUST_200600_302600_NS6detail15normal_iteratorINS8_10device_ptrItEEEESD_jNS1_19radix_merge_compareILb0ELb1EtNS0_19identity_decomposerEEEEE10hipError_tT0_T1_T2_jT3_P12ihipStream_tbPNSt15iterator_traitsISI_E10value_typeEPNSO_ISJ_E10value_typeEPSK_NS1_7vsmem_tEENKUlT_SI_SJ_SK_E_clIPtSD_S10_SD_EESH_SX_SI_SJ_SK_EUlSX_E1_NS1_11comp_targetILNS1_3genE4ELNS1_11target_archE910ELNS1_3gpuE8ELNS1_3repE0EEENS1_36merge_oddeven_config_static_selectorELNS0_4arch9wavefront6targetE1EEEvSJ_
; %bb.0:
	.section	.rodata,"a",@progbits
	.p2align	6, 0x0
	.amdhsa_kernel _ZN7rocprim17ROCPRIM_400000_NS6detail17trampoline_kernelINS0_14default_configENS1_38merge_sort_block_merge_config_selectorIttEEZZNS1_27merge_sort_block_merge_implIS3_N6thrust23THRUST_200600_302600_NS6detail15normal_iteratorINS8_10device_ptrItEEEESD_jNS1_19radix_merge_compareILb0ELb1EtNS0_19identity_decomposerEEEEE10hipError_tT0_T1_T2_jT3_P12ihipStream_tbPNSt15iterator_traitsISI_E10value_typeEPNSO_ISJ_E10value_typeEPSK_NS1_7vsmem_tEENKUlT_SI_SJ_SK_E_clIPtSD_S10_SD_EESH_SX_SI_SJ_SK_EUlSX_E1_NS1_11comp_targetILNS1_3genE4ELNS1_11target_archE910ELNS1_3gpuE8ELNS1_3repE0EEENS1_36merge_oddeven_config_static_selectorELNS0_4arch9wavefront6targetE1EEEvSJ_
		.amdhsa_group_segment_fixed_size 0
		.amdhsa_private_segment_fixed_size 0
		.amdhsa_kernarg_size 48
		.amdhsa_user_sgpr_count 2
		.amdhsa_user_sgpr_dispatch_ptr 0
		.amdhsa_user_sgpr_queue_ptr 0
		.amdhsa_user_sgpr_kernarg_segment_ptr 1
		.amdhsa_user_sgpr_dispatch_id 0
		.amdhsa_user_sgpr_kernarg_preload_length 0
		.amdhsa_user_sgpr_kernarg_preload_offset 0
		.amdhsa_user_sgpr_private_segment_size 0
		.amdhsa_uses_dynamic_stack 0
		.amdhsa_enable_private_segment 0
		.amdhsa_system_sgpr_workgroup_id_x 1
		.amdhsa_system_sgpr_workgroup_id_y 0
		.amdhsa_system_sgpr_workgroup_id_z 0
		.amdhsa_system_sgpr_workgroup_info 0
		.amdhsa_system_vgpr_workitem_id 0
		.amdhsa_next_free_vgpr 1
		.amdhsa_next_free_sgpr 0
		.amdhsa_accum_offset 4
		.amdhsa_reserve_vcc 0
		.amdhsa_float_round_mode_32 0
		.amdhsa_float_round_mode_16_64 0
		.amdhsa_float_denorm_mode_32 3
		.amdhsa_float_denorm_mode_16_64 3
		.amdhsa_dx10_clamp 1
		.amdhsa_ieee_mode 1
		.amdhsa_fp16_overflow 0
		.amdhsa_tg_split 0
		.amdhsa_exception_fp_ieee_invalid_op 0
		.amdhsa_exception_fp_denorm_src 0
		.amdhsa_exception_fp_ieee_div_zero 0
		.amdhsa_exception_fp_ieee_overflow 0
		.amdhsa_exception_fp_ieee_underflow 0
		.amdhsa_exception_fp_ieee_inexact 0
		.amdhsa_exception_int_div_zero 0
	.end_amdhsa_kernel
	.section	.text._ZN7rocprim17ROCPRIM_400000_NS6detail17trampoline_kernelINS0_14default_configENS1_38merge_sort_block_merge_config_selectorIttEEZZNS1_27merge_sort_block_merge_implIS3_N6thrust23THRUST_200600_302600_NS6detail15normal_iteratorINS8_10device_ptrItEEEESD_jNS1_19radix_merge_compareILb0ELb1EtNS0_19identity_decomposerEEEEE10hipError_tT0_T1_T2_jT3_P12ihipStream_tbPNSt15iterator_traitsISI_E10value_typeEPNSO_ISJ_E10value_typeEPSK_NS1_7vsmem_tEENKUlT_SI_SJ_SK_E_clIPtSD_S10_SD_EESH_SX_SI_SJ_SK_EUlSX_E1_NS1_11comp_targetILNS1_3genE4ELNS1_11target_archE910ELNS1_3gpuE8ELNS1_3repE0EEENS1_36merge_oddeven_config_static_selectorELNS0_4arch9wavefront6targetE1EEEvSJ_,"axG",@progbits,_ZN7rocprim17ROCPRIM_400000_NS6detail17trampoline_kernelINS0_14default_configENS1_38merge_sort_block_merge_config_selectorIttEEZZNS1_27merge_sort_block_merge_implIS3_N6thrust23THRUST_200600_302600_NS6detail15normal_iteratorINS8_10device_ptrItEEEESD_jNS1_19radix_merge_compareILb0ELb1EtNS0_19identity_decomposerEEEEE10hipError_tT0_T1_T2_jT3_P12ihipStream_tbPNSt15iterator_traitsISI_E10value_typeEPNSO_ISJ_E10value_typeEPSK_NS1_7vsmem_tEENKUlT_SI_SJ_SK_E_clIPtSD_S10_SD_EESH_SX_SI_SJ_SK_EUlSX_E1_NS1_11comp_targetILNS1_3genE4ELNS1_11target_archE910ELNS1_3gpuE8ELNS1_3repE0EEENS1_36merge_oddeven_config_static_selectorELNS0_4arch9wavefront6targetE1EEEvSJ_,comdat
.Lfunc_end918:
	.size	_ZN7rocprim17ROCPRIM_400000_NS6detail17trampoline_kernelINS0_14default_configENS1_38merge_sort_block_merge_config_selectorIttEEZZNS1_27merge_sort_block_merge_implIS3_N6thrust23THRUST_200600_302600_NS6detail15normal_iteratorINS8_10device_ptrItEEEESD_jNS1_19radix_merge_compareILb0ELb1EtNS0_19identity_decomposerEEEEE10hipError_tT0_T1_T2_jT3_P12ihipStream_tbPNSt15iterator_traitsISI_E10value_typeEPNSO_ISJ_E10value_typeEPSK_NS1_7vsmem_tEENKUlT_SI_SJ_SK_E_clIPtSD_S10_SD_EESH_SX_SI_SJ_SK_EUlSX_E1_NS1_11comp_targetILNS1_3genE4ELNS1_11target_archE910ELNS1_3gpuE8ELNS1_3repE0EEENS1_36merge_oddeven_config_static_selectorELNS0_4arch9wavefront6targetE1EEEvSJ_, .Lfunc_end918-_ZN7rocprim17ROCPRIM_400000_NS6detail17trampoline_kernelINS0_14default_configENS1_38merge_sort_block_merge_config_selectorIttEEZZNS1_27merge_sort_block_merge_implIS3_N6thrust23THRUST_200600_302600_NS6detail15normal_iteratorINS8_10device_ptrItEEEESD_jNS1_19radix_merge_compareILb0ELb1EtNS0_19identity_decomposerEEEEE10hipError_tT0_T1_T2_jT3_P12ihipStream_tbPNSt15iterator_traitsISI_E10value_typeEPNSO_ISJ_E10value_typeEPSK_NS1_7vsmem_tEENKUlT_SI_SJ_SK_E_clIPtSD_S10_SD_EESH_SX_SI_SJ_SK_EUlSX_E1_NS1_11comp_targetILNS1_3genE4ELNS1_11target_archE910ELNS1_3gpuE8ELNS1_3repE0EEENS1_36merge_oddeven_config_static_selectorELNS0_4arch9wavefront6targetE1EEEvSJ_
                                        ; -- End function
	.set _ZN7rocprim17ROCPRIM_400000_NS6detail17trampoline_kernelINS0_14default_configENS1_38merge_sort_block_merge_config_selectorIttEEZZNS1_27merge_sort_block_merge_implIS3_N6thrust23THRUST_200600_302600_NS6detail15normal_iteratorINS8_10device_ptrItEEEESD_jNS1_19radix_merge_compareILb0ELb1EtNS0_19identity_decomposerEEEEE10hipError_tT0_T1_T2_jT3_P12ihipStream_tbPNSt15iterator_traitsISI_E10value_typeEPNSO_ISJ_E10value_typeEPSK_NS1_7vsmem_tEENKUlT_SI_SJ_SK_E_clIPtSD_S10_SD_EESH_SX_SI_SJ_SK_EUlSX_E1_NS1_11comp_targetILNS1_3genE4ELNS1_11target_archE910ELNS1_3gpuE8ELNS1_3repE0EEENS1_36merge_oddeven_config_static_selectorELNS0_4arch9wavefront6targetE1EEEvSJ_.num_vgpr, 0
	.set _ZN7rocprim17ROCPRIM_400000_NS6detail17trampoline_kernelINS0_14default_configENS1_38merge_sort_block_merge_config_selectorIttEEZZNS1_27merge_sort_block_merge_implIS3_N6thrust23THRUST_200600_302600_NS6detail15normal_iteratorINS8_10device_ptrItEEEESD_jNS1_19radix_merge_compareILb0ELb1EtNS0_19identity_decomposerEEEEE10hipError_tT0_T1_T2_jT3_P12ihipStream_tbPNSt15iterator_traitsISI_E10value_typeEPNSO_ISJ_E10value_typeEPSK_NS1_7vsmem_tEENKUlT_SI_SJ_SK_E_clIPtSD_S10_SD_EESH_SX_SI_SJ_SK_EUlSX_E1_NS1_11comp_targetILNS1_3genE4ELNS1_11target_archE910ELNS1_3gpuE8ELNS1_3repE0EEENS1_36merge_oddeven_config_static_selectorELNS0_4arch9wavefront6targetE1EEEvSJ_.num_agpr, 0
	.set _ZN7rocprim17ROCPRIM_400000_NS6detail17trampoline_kernelINS0_14default_configENS1_38merge_sort_block_merge_config_selectorIttEEZZNS1_27merge_sort_block_merge_implIS3_N6thrust23THRUST_200600_302600_NS6detail15normal_iteratorINS8_10device_ptrItEEEESD_jNS1_19radix_merge_compareILb0ELb1EtNS0_19identity_decomposerEEEEE10hipError_tT0_T1_T2_jT3_P12ihipStream_tbPNSt15iterator_traitsISI_E10value_typeEPNSO_ISJ_E10value_typeEPSK_NS1_7vsmem_tEENKUlT_SI_SJ_SK_E_clIPtSD_S10_SD_EESH_SX_SI_SJ_SK_EUlSX_E1_NS1_11comp_targetILNS1_3genE4ELNS1_11target_archE910ELNS1_3gpuE8ELNS1_3repE0EEENS1_36merge_oddeven_config_static_selectorELNS0_4arch9wavefront6targetE1EEEvSJ_.numbered_sgpr, 0
	.set _ZN7rocprim17ROCPRIM_400000_NS6detail17trampoline_kernelINS0_14default_configENS1_38merge_sort_block_merge_config_selectorIttEEZZNS1_27merge_sort_block_merge_implIS3_N6thrust23THRUST_200600_302600_NS6detail15normal_iteratorINS8_10device_ptrItEEEESD_jNS1_19radix_merge_compareILb0ELb1EtNS0_19identity_decomposerEEEEE10hipError_tT0_T1_T2_jT3_P12ihipStream_tbPNSt15iterator_traitsISI_E10value_typeEPNSO_ISJ_E10value_typeEPSK_NS1_7vsmem_tEENKUlT_SI_SJ_SK_E_clIPtSD_S10_SD_EESH_SX_SI_SJ_SK_EUlSX_E1_NS1_11comp_targetILNS1_3genE4ELNS1_11target_archE910ELNS1_3gpuE8ELNS1_3repE0EEENS1_36merge_oddeven_config_static_selectorELNS0_4arch9wavefront6targetE1EEEvSJ_.num_named_barrier, 0
	.set _ZN7rocprim17ROCPRIM_400000_NS6detail17trampoline_kernelINS0_14default_configENS1_38merge_sort_block_merge_config_selectorIttEEZZNS1_27merge_sort_block_merge_implIS3_N6thrust23THRUST_200600_302600_NS6detail15normal_iteratorINS8_10device_ptrItEEEESD_jNS1_19radix_merge_compareILb0ELb1EtNS0_19identity_decomposerEEEEE10hipError_tT0_T1_T2_jT3_P12ihipStream_tbPNSt15iterator_traitsISI_E10value_typeEPNSO_ISJ_E10value_typeEPSK_NS1_7vsmem_tEENKUlT_SI_SJ_SK_E_clIPtSD_S10_SD_EESH_SX_SI_SJ_SK_EUlSX_E1_NS1_11comp_targetILNS1_3genE4ELNS1_11target_archE910ELNS1_3gpuE8ELNS1_3repE0EEENS1_36merge_oddeven_config_static_selectorELNS0_4arch9wavefront6targetE1EEEvSJ_.private_seg_size, 0
	.set _ZN7rocprim17ROCPRIM_400000_NS6detail17trampoline_kernelINS0_14default_configENS1_38merge_sort_block_merge_config_selectorIttEEZZNS1_27merge_sort_block_merge_implIS3_N6thrust23THRUST_200600_302600_NS6detail15normal_iteratorINS8_10device_ptrItEEEESD_jNS1_19radix_merge_compareILb0ELb1EtNS0_19identity_decomposerEEEEE10hipError_tT0_T1_T2_jT3_P12ihipStream_tbPNSt15iterator_traitsISI_E10value_typeEPNSO_ISJ_E10value_typeEPSK_NS1_7vsmem_tEENKUlT_SI_SJ_SK_E_clIPtSD_S10_SD_EESH_SX_SI_SJ_SK_EUlSX_E1_NS1_11comp_targetILNS1_3genE4ELNS1_11target_archE910ELNS1_3gpuE8ELNS1_3repE0EEENS1_36merge_oddeven_config_static_selectorELNS0_4arch9wavefront6targetE1EEEvSJ_.uses_vcc, 0
	.set _ZN7rocprim17ROCPRIM_400000_NS6detail17trampoline_kernelINS0_14default_configENS1_38merge_sort_block_merge_config_selectorIttEEZZNS1_27merge_sort_block_merge_implIS3_N6thrust23THRUST_200600_302600_NS6detail15normal_iteratorINS8_10device_ptrItEEEESD_jNS1_19radix_merge_compareILb0ELb1EtNS0_19identity_decomposerEEEEE10hipError_tT0_T1_T2_jT3_P12ihipStream_tbPNSt15iterator_traitsISI_E10value_typeEPNSO_ISJ_E10value_typeEPSK_NS1_7vsmem_tEENKUlT_SI_SJ_SK_E_clIPtSD_S10_SD_EESH_SX_SI_SJ_SK_EUlSX_E1_NS1_11comp_targetILNS1_3genE4ELNS1_11target_archE910ELNS1_3gpuE8ELNS1_3repE0EEENS1_36merge_oddeven_config_static_selectorELNS0_4arch9wavefront6targetE1EEEvSJ_.uses_flat_scratch, 0
	.set _ZN7rocprim17ROCPRIM_400000_NS6detail17trampoline_kernelINS0_14default_configENS1_38merge_sort_block_merge_config_selectorIttEEZZNS1_27merge_sort_block_merge_implIS3_N6thrust23THRUST_200600_302600_NS6detail15normal_iteratorINS8_10device_ptrItEEEESD_jNS1_19radix_merge_compareILb0ELb1EtNS0_19identity_decomposerEEEEE10hipError_tT0_T1_T2_jT3_P12ihipStream_tbPNSt15iterator_traitsISI_E10value_typeEPNSO_ISJ_E10value_typeEPSK_NS1_7vsmem_tEENKUlT_SI_SJ_SK_E_clIPtSD_S10_SD_EESH_SX_SI_SJ_SK_EUlSX_E1_NS1_11comp_targetILNS1_3genE4ELNS1_11target_archE910ELNS1_3gpuE8ELNS1_3repE0EEENS1_36merge_oddeven_config_static_selectorELNS0_4arch9wavefront6targetE1EEEvSJ_.has_dyn_sized_stack, 0
	.set _ZN7rocprim17ROCPRIM_400000_NS6detail17trampoline_kernelINS0_14default_configENS1_38merge_sort_block_merge_config_selectorIttEEZZNS1_27merge_sort_block_merge_implIS3_N6thrust23THRUST_200600_302600_NS6detail15normal_iteratorINS8_10device_ptrItEEEESD_jNS1_19radix_merge_compareILb0ELb1EtNS0_19identity_decomposerEEEEE10hipError_tT0_T1_T2_jT3_P12ihipStream_tbPNSt15iterator_traitsISI_E10value_typeEPNSO_ISJ_E10value_typeEPSK_NS1_7vsmem_tEENKUlT_SI_SJ_SK_E_clIPtSD_S10_SD_EESH_SX_SI_SJ_SK_EUlSX_E1_NS1_11comp_targetILNS1_3genE4ELNS1_11target_archE910ELNS1_3gpuE8ELNS1_3repE0EEENS1_36merge_oddeven_config_static_selectorELNS0_4arch9wavefront6targetE1EEEvSJ_.has_recursion, 0
	.set _ZN7rocprim17ROCPRIM_400000_NS6detail17trampoline_kernelINS0_14default_configENS1_38merge_sort_block_merge_config_selectorIttEEZZNS1_27merge_sort_block_merge_implIS3_N6thrust23THRUST_200600_302600_NS6detail15normal_iteratorINS8_10device_ptrItEEEESD_jNS1_19radix_merge_compareILb0ELb1EtNS0_19identity_decomposerEEEEE10hipError_tT0_T1_T2_jT3_P12ihipStream_tbPNSt15iterator_traitsISI_E10value_typeEPNSO_ISJ_E10value_typeEPSK_NS1_7vsmem_tEENKUlT_SI_SJ_SK_E_clIPtSD_S10_SD_EESH_SX_SI_SJ_SK_EUlSX_E1_NS1_11comp_targetILNS1_3genE4ELNS1_11target_archE910ELNS1_3gpuE8ELNS1_3repE0EEENS1_36merge_oddeven_config_static_selectorELNS0_4arch9wavefront6targetE1EEEvSJ_.has_indirect_call, 0
	.section	.AMDGPU.csdata,"",@progbits
; Kernel info:
; codeLenInByte = 0
; TotalNumSgprs: 6
; NumVgprs: 0
; NumAgprs: 0
; TotalNumVgprs: 0
; ScratchSize: 0
; MemoryBound: 0
; FloatMode: 240
; IeeeMode: 1
; LDSByteSize: 0 bytes/workgroup (compile time only)
; SGPRBlocks: 0
; VGPRBlocks: 0
; NumSGPRsForWavesPerEU: 6
; NumVGPRsForWavesPerEU: 1
; AccumOffset: 4
; Occupancy: 8
; WaveLimiterHint : 0
; COMPUTE_PGM_RSRC2:SCRATCH_EN: 0
; COMPUTE_PGM_RSRC2:USER_SGPR: 2
; COMPUTE_PGM_RSRC2:TRAP_HANDLER: 0
; COMPUTE_PGM_RSRC2:TGID_X_EN: 1
; COMPUTE_PGM_RSRC2:TGID_Y_EN: 0
; COMPUTE_PGM_RSRC2:TGID_Z_EN: 0
; COMPUTE_PGM_RSRC2:TIDIG_COMP_CNT: 0
; COMPUTE_PGM_RSRC3_GFX90A:ACCUM_OFFSET: 0
; COMPUTE_PGM_RSRC3_GFX90A:TG_SPLIT: 0
	.section	.text._ZN7rocprim17ROCPRIM_400000_NS6detail17trampoline_kernelINS0_14default_configENS1_38merge_sort_block_merge_config_selectorIttEEZZNS1_27merge_sort_block_merge_implIS3_N6thrust23THRUST_200600_302600_NS6detail15normal_iteratorINS8_10device_ptrItEEEESD_jNS1_19radix_merge_compareILb0ELb1EtNS0_19identity_decomposerEEEEE10hipError_tT0_T1_T2_jT3_P12ihipStream_tbPNSt15iterator_traitsISI_E10value_typeEPNSO_ISJ_E10value_typeEPSK_NS1_7vsmem_tEENKUlT_SI_SJ_SK_E_clIPtSD_S10_SD_EESH_SX_SI_SJ_SK_EUlSX_E1_NS1_11comp_targetILNS1_3genE3ELNS1_11target_archE908ELNS1_3gpuE7ELNS1_3repE0EEENS1_36merge_oddeven_config_static_selectorELNS0_4arch9wavefront6targetE1EEEvSJ_,"axG",@progbits,_ZN7rocprim17ROCPRIM_400000_NS6detail17trampoline_kernelINS0_14default_configENS1_38merge_sort_block_merge_config_selectorIttEEZZNS1_27merge_sort_block_merge_implIS3_N6thrust23THRUST_200600_302600_NS6detail15normal_iteratorINS8_10device_ptrItEEEESD_jNS1_19radix_merge_compareILb0ELb1EtNS0_19identity_decomposerEEEEE10hipError_tT0_T1_T2_jT3_P12ihipStream_tbPNSt15iterator_traitsISI_E10value_typeEPNSO_ISJ_E10value_typeEPSK_NS1_7vsmem_tEENKUlT_SI_SJ_SK_E_clIPtSD_S10_SD_EESH_SX_SI_SJ_SK_EUlSX_E1_NS1_11comp_targetILNS1_3genE3ELNS1_11target_archE908ELNS1_3gpuE7ELNS1_3repE0EEENS1_36merge_oddeven_config_static_selectorELNS0_4arch9wavefront6targetE1EEEvSJ_,comdat
	.protected	_ZN7rocprim17ROCPRIM_400000_NS6detail17trampoline_kernelINS0_14default_configENS1_38merge_sort_block_merge_config_selectorIttEEZZNS1_27merge_sort_block_merge_implIS3_N6thrust23THRUST_200600_302600_NS6detail15normal_iteratorINS8_10device_ptrItEEEESD_jNS1_19radix_merge_compareILb0ELb1EtNS0_19identity_decomposerEEEEE10hipError_tT0_T1_T2_jT3_P12ihipStream_tbPNSt15iterator_traitsISI_E10value_typeEPNSO_ISJ_E10value_typeEPSK_NS1_7vsmem_tEENKUlT_SI_SJ_SK_E_clIPtSD_S10_SD_EESH_SX_SI_SJ_SK_EUlSX_E1_NS1_11comp_targetILNS1_3genE3ELNS1_11target_archE908ELNS1_3gpuE7ELNS1_3repE0EEENS1_36merge_oddeven_config_static_selectorELNS0_4arch9wavefront6targetE1EEEvSJ_ ; -- Begin function _ZN7rocprim17ROCPRIM_400000_NS6detail17trampoline_kernelINS0_14default_configENS1_38merge_sort_block_merge_config_selectorIttEEZZNS1_27merge_sort_block_merge_implIS3_N6thrust23THRUST_200600_302600_NS6detail15normal_iteratorINS8_10device_ptrItEEEESD_jNS1_19radix_merge_compareILb0ELb1EtNS0_19identity_decomposerEEEEE10hipError_tT0_T1_T2_jT3_P12ihipStream_tbPNSt15iterator_traitsISI_E10value_typeEPNSO_ISJ_E10value_typeEPSK_NS1_7vsmem_tEENKUlT_SI_SJ_SK_E_clIPtSD_S10_SD_EESH_SX_SI_SJ_SK_EUlSX_E1_NS1_11comp_targetILNS1_3genE3ELNS1_11target_archE908ELNS1_3gpuE7ELNS1_3repE0EEENS1_36merge_oddeven_config_static_selectorELNS0_4arch9wavefront6targetE1EEEvSJ_
	.globl	_ZN7rocprim17ROCPRIM_400000_NS6detail17trampoline_kernelINS0_14default_configENS1_38merge_sort_block_merge_config_selectorIttEEZZNS1_27merge_sort_block_merge_implIS3_N6thrust23THRUST_200600_302600_NS6detail15normal_iteratorINS8_10device_ptrItEEEESD_jNS1_19radix_merge_compareILb0ELb1EtNS0_19identity_decomposerEEEEE10hipError_tT0_T1_T2_jT3_P12ihipStream_tbPNSt15iterator_traitsISI_E10value_typeEPNSO_ISJ_E10value_typeEPSK_NS1_7vsmem_tEENKUlT_SI_SJ_SK_E_clIPtSD_S10_SD_EESH_SX_SI_SJ_SK_EUlSX_E1_NS1_11comp_targetILNS1_3genE3ELNS1_11target_archE908ELNS1_3gpuE7ELNS1_3repE0EEENS1_36merge_oddeven_config_static_selectorELNS0_4arch9wavefront6targetE1EEEvSJ_
	.p2align	8
	.type	_ZN7rocprim17ROCPRIM_400000_NS6detail17trampoline_kernelINS0_14default_configENS1_38merge_sort_block_merge_config_selectorIttEEZZNS1_27merge_sort_block_merge_implIS3_N6thrust23THRUST_200600_302600_NS6detail15normal_iteratorINS8_10device_ptrItEEEESD_jNS1_19radix_merge_compareILb0ELb1EtNS0_19identity_decomposerEEEEE10hipError_tT0_T1_T2_jT3_P12ihipStream_tbPNSt15iterator_traitsISI_E10value_typeEPNSO_ISJ_E10value_typeEPSK_NS1_7vsmem_tEENKUlT_SI_SJ_SK_E_clIPtSD_S10_SD_EESH_SX_SI_SJ_SK_EUlSX_E1_NS1_11comp_targetILNS1_3genE3ELNS1_11target_archE908ELNS1_3gpuE7ELNS1_3repE0EEENS1_36merge_oddeven_config_static_selectorELNS0_4arch9wavefront6targetE1EEEvSJ_,@function
_ZN7rocprim17ROCPRIM_400000_NS6detail17trampoline_kernelINS0_14default_configENS1_38merge_sort_block_merge_config_selectorIttEEZZNS1_27merge_sort_block_merge_implIS3_N6thrust23THRUST_200600_302600_NS6detail15normal_iteratorINS8_10device_ptrItEEEESD_jNS1_19radix_merge_compareILb0ELb1EtNS0_19identity_decomposerEEEEE10hipError_tT0_T1_T2_jT3_P12ihipStream_tbPNSt15iterator_traitsISI_E10value_typeEPNSO_ISJ_E10value_typeEPSK_NS1_7vsmem_tEENKUlT_SI_SJ_SK_E_clIPtSD_S10_SD_EESH_SX_SI_SJ_SK_EUlSX_E1_NS1_11comp_targetILNS1_3genE3ELNS1_11target_archE908ELNS1_3gpuE7ELNS1_3repE0EEENS1_36merge_oddeven_config_static_selectorELNS0_4arch9wavefront6targetE1EEEvSJ_: ; @_ZN7rocprim17ROCPRIM_400000_NS6detail17trampoline_kernelINS0_14default_configENS1_38merge_sort_block_merge_config_selectorIttEEZZNS1_27merge_sort_block_merge_implIS3_N6thrust23THRUST_200600_302600_NS6detail15normal_iteratorINS8_10device_ptrItEEEESD_jNS1_19radix_merge_compareILb0ELb1EtNS0_19identity_decomposerEEEEE10hipError_tT0_T1_T2_jT3_P12ihipStream_tbPNSt15iterator_traitsISI_E10value_typeEPNSO_ISJ_E10value_typeEPSK_NS1_7vsmem_tEENKUlT_SI_SJ_SK_E_clIPtSD_S10_SD_EESH_SX_SI_SJ_SK_EUlSX_E1_NS1_11comp_targetILNS1_3genE3ELNS1_11target_archE908ELNS1_3gpuE7ELNS1_3repE0EEENS1_36merge_oddeven_config_static_selectorELNS0_4arch9wavefront6targetE1EEEvSJ_
; %bb.0:
	.section	.rodata,"a",@progbits
	.p2align	6, 0x0
	.amdhsa_kernel _ZN7rocprim17ROCPRIM_400000_NS6detail17trampoline_kernelINS0_14default_configENS1_38merge_sort_block_merge_config_selectorIttEEZZNS1_27merge_sort_block_merge_implIS3_N6thrust23THRUST_200600_302600_NS6detail15normal_iteratorINS8_10device_ptrItEEEESD_jNS1_19radix_merge_compareILb0ELb1EtNS0_19identity_decomposerEEEEE10hipError_tT0_T1_T2_jT3_P12ihipStream_tbPNSt15iterator_traitsISI_E10value_typeEPNSO_ISJ_E10value_typeEPSK_NS1_7vsmem_tEENKUlT_SI_SJ_SK_E_clIPtSD_S10_SD_EESH_SX_SI_SJ_SK_EUlSX_E1_NS1_11comp_targetILNS1_3genE3ELNS1_11target_archE908ELNS1_3gpuE7ELNS1_3repE0EEENS1_36merge_oddeven_config_static_selectorELNS0_4arch9wavefront6targetE1EEEvSJ_
		.amdhsa_group_segment_fixed_size 0
		.amdhsa_private_segment_fixed_size 0
		.amdhsa_kernarg_size 48
		.amdhsa_user_sgpr_count 2
		.amdhsa_user_sgpr_dispatch_ptr 0
		.amdhsa_user_sgpr_queue_ptr 0
		.amdhsa_user_sgpr_kernarg_segment_ptr 1
		.amdhsa_user_sgpr_dispatch_id 0
		.amdhsa_user_sgpr_kernarg_preload_length 0
		.amdhsa_user_sgpr_kernarg_preload_offset 0
		.amdhsa_user_sgpr_private_segment_size 0
		.amdhsa_uses_dynamic_stack 0
		.amdhsa_enable_private_segment 0
		.amdhsa_system_sgpr_workgroup_id_x 1
		.amdhsa_system_sgpr_workgroup_id_y 0
		.amdhsa_system_sgpr_workgroup_id_z 0
		.amdhsa_system_sgpr_workgroup_info 0
		.amdhsa_system_vgpr_workitem_id 0
		.amdhsa_next_free_vgpr 1
		.amdhsa_next_free_sgpr 0
		.amdhsa_accum_offset 4
		.amdhsa_reserve_vcc 0
		.amdhsa_float_round_mode_32 0
		.amdhsa_float_round_mode_16_64 0
		.amdhsa_float_denorm_mode_32 3
		.amdhsa_float_denorm_mode_16_64 3
		.amdhsa_dx10_clamp 1
		.amdhsa_ieee_mode 1
		.amdhsa_fp16_overflow 0
		.amdhsa_tg_split 0
		.amdhsa_exception_fp_ieee_invalid_op 0
		.amdhsa_exception_fp_denorm_src 0
		.amdhsa_exception_fp_ieee_div_zero 0
		.amdhsa_exception_fp_ieee_overflow 0
		.amdhsa_exception_fp_ieee_underflow 0
		.amdhsa_exception_fp_ieee_inexact 0
		.amdhsa_exception_int_div_zero 0
	.end_amdhsa_kernel
	.section	.text._ZN7rocprim17ROCPRIM_400000_NS6detail17trampoline_kernelINS0_14default_configENS1_38merge_sort_block_merge_config_selectorIttEEZZNS1_27merge_sort_block_merge_implIS3_N6thrust23THRUST_200600_302600_NS6detail15normal_iteratorINS8_10device_ptrItEEEESD_jNS1_19radix_merge_compareILb0ELb1EtNS0_19identity_decomposerEEEEE10hipError_tT0_T1_T2_jT3_P12ihipStream_tbPNSt15iterator_traitsISI_E10value_typeEPNSO_ISJ_E10value_typeEPSK_NS1_7vsmem_tEENKUlT_SI_SJ_SK_E_clIPtSD_S10_SD_EESH_SX_SI_SJ_SK_EUlSX_E1_NS1_11comp_targetILNS1_3genE3ELNS1_11target_archE908ELNS1_3gpuE7ELNS1_3repE0EEENS1_36merge_oddeven_config_static_selectorELNS0_4arch9wavefront6targetE1EEEvSJ_,"axG",@progbits,_ZN7rocprim17ROCPRIM_400000_NS6detail17trampoline_kernelINS0_14default_configENS1_38merge_sort_block_merge_config_selectorIttEEZZNS1_27merge_sort_block_merge_implIS3_N6thrust23THRUST_200600_302600_NS6detail15normal_iteratorINS8_10device_ptrItEEEESD_jNS1_19radix_merge_compareILb0ELb1EtNS0_19identity_decomposerEEEEE10hipError_tT0_T1_T2_jT3_P12ihipStream_tbPNSt15iterator_traitsISI_E10value_typeEPNSO_ISJ_E10value_typeEPSK_NS1_7vsmem_tEENKUlT_SI_SJ_SK_E_clIPtSD_S10_SD_EESH_SX_SI_SJ_SK_EUlSX_E1_NS1_11comp_targetILNS1_3genE3ELNS1_11target_archE908ELNS1_3gpuE7ELNS1_3repE0EEENS1_36merge_oddeven_config_static_selectorELNS0_4arch9wavefront6targetE1EEEvSJ_,comdat
.Lfunc_end919:
	.size	_ZN7rocprim17ROCPRIM_400000_NS6detail17trampoline_kernelINS0_14default_configENS1_38merge_sort_block_merge_config_selectorIttEEZZNS1_27merge_sort_block_merge_implIS3_N6thrust23THRUST_200600_302600_NS6detail15normal_iteratorINS8_10device_ptrItEEEESD_jNS1_19radix_merge_compareILb0ELb1EtNS0_19identity_decomposerEEEEE10hipError_tT0_T1_T2_jT3_P12ihipStream_tbPNSt15iterator_traitsISI_E10value_typeEPNSO_ISJ_E10value_typeEPSK_NS1_7vsmem_tEENKUlT_SI_SJ_SK_E_clIPtSD_S10_SD_EESH_SX_SI_SJ_SK_EUlSX_E1_NS1_11comp_targetILNS1_3genE3ELNS1_11target_archE908ELNS1_3gpuE7ELNS1_3repE0EEENS1_36merge_oddeven_config_static_selectorELNS0_4arch9wavefront6targetE1EEEvSJ_, .Lfunc_end919-_ZN7rocprim17ROCPRIM_400000_NS6detail17trampoline_kernelINS0_14default_configENS1_38merge_sort_block_merge_config_selectorIttEEZZNS1_27merge_sort_block_merge_implIS3_N6thrust23THRUST_200600_302600_NS6detail15normal_iteratorINS8_10device_ptrItEEEESD_jNS1_19radix_merge_compareILb0ELb1EtNS0_19identity_decomposerEEEEE10hipError_tT0_T1_T2_jT3_P12ihipStream_tbPNSt15iterator_traitsISI_E10value_typeEPNSO_ISJ_E10value_typeEPSK_NS1_7vsmem_tEENKUlT_SI_SJ_SK_E_clIPtSD_S10_SD_EESH_SX_SI_SJ_SK_EUlSX_E1_NS1_11comp_targetILNS1_3genE3ELNS1_11target_archE908ELNS1_3gpuE7ELNS1_3repE0EEENS1_36merge_oddeven_config_static_selectorELNS0_4arch9wavefront6targetE1EEEvSJ_
                                        ; -- End function
	.set _ZN7rocprim17ROCPRIM_400000_NS6detail17trampoline_kernelINS0_14default_configENS1_38merge_sort_block_merge_config_selectorIttEEZZNS1_27merge_sort_block_merge_implIS3_N6thrust23THRUST_200600_302600_NS6detail15normal_iteratorINS8_10device_ptrItEEEESD_jNS1_19radix_merge_compareILb0ELb1EtNS0_19identity_decomposerEEEEE10hipError_tT0_T1_T2_jT3_P12ihipStream_tbPNSt15iterator_traitsISI_E10value_typeEPNSO_ISJ_E10value_typeEPSK_NS1_7vsmem_tEENKUlT_SI_SJ_SK_E_clIPtSD_S10_SD_EESH_SX_SI_SJ_SK_EUlSX_E1_NS1_11comp_targetILNS1_3genE3ELNS1_11target_archE908ELNS1_3gpuE7ELNS1_3repE0EEENS1_36merge_oddeven_config_static_selectorELNS0_4arch9wavefront6targetE1EEEvSJ_.num_vgpr, 0
	.set _ZN7rocprim17ROCPRIM_400000_NS6detail17trampoline_kernelINS0_14default_configENS1_38merge_sort_block_merge_config_selectorIttEEZZNS1_27merge_sort_block_merge_implIS3_N6thrust23THRUST_200600_302600_NS6detail15normal_iteratorINS8_10device_ptrItEEEESD_jNS1_19radix_merge_compareILb0ELb1EtNS0_19identity_decomposerEEEEE10hipError_tT0_T1_T2_jT3_P12ihipStream_tbPNSt15iterator_traitsISI_E10value_typeEPNSO_ISJ_E10value_typeEPSK_NS1_7vsmem_tEENKUlT_SI_SJ_SK_E_clIPtSD_S10_SD_EESH_SX_SI_SJ_SK_EUlSX_E1_NS1_11comp_targetILNS1_3genE3ELNS1_11target_archE908ELNS1_3gpuE7ELNS1_3repE0EEENS1_36merge_oddeven_config_static_selectorELNS0_4arch9wavefront6targetE1EEEvSJ_.num_agpr, 0
	.set _ZN7rocprim17ROCPRIM_400000_NS6detail17trampoline_kernelINS0_14default_configENS1_38merge_sort_block_merge_config_selectorIttEEZZNS1_27merge_sort_block_merge_implIS3_N6thrust23THRUST_200600_302600_NS6detail15normal_iteratorINS8_10device_ptrItEEEESD_jNS1_19radix_merge_compareILb0ELb1EtNS0_19identity_decomposerEEEEE10hipError_tT0_T1_T2_jT3_P12ihipStream_tbPNSt15iterator_traitsISI_E10value_typeEPNSO_ISJ_E10value_typeEPSK_NS1_7vsmem_tEENKUlT_SI_SJ_SK_E_clIPtSD_S10_SD_EESH_SX_SI_SJ_SK_EUlSX_E1_NS1_11comp_targetILNS1_3genE3ELNS1_11target_archE908ELNS1_3gpuE7ELNS1_3repE0EEENS1_36merge_oddeven_config_static_selectorELNS0_4arch9wavefront6targetE1EEEvSJ_.numbered_sgpr, 0
	.set _ZN7rocprim17ROCPRIM_400000_NS6detail17trampoline_kernelINS0_14default_configENS1_38merge_sort_block_merge_config_selectorIttEEZZNS1_27merge_sort_block_merge_implIS3_N6thrust23THRUST_200600_302600_NS6detail15normal_iteratorINS8_10device_ptrItEEEESD_jNS1_19radix_merge_compareILb0ELb1EtNS0_19identity_decomposerEEEEE10hipError_tT0_T1_T2_jT3_P12ihipStream_tbPNSt15iterator_traitsISI_E10value_typeEPNSO_ISJ_E10value_typeEPSK_NS1_7vsmem_tEENKUlT_SI_SJ_SK_E_clIPtSD_S10_SD_EESH_SX_SI_SJ_SK_EUlSX_E1_NS1_11comp_targetILNS1_3genE3ELNS1_11target_archE908ELNS1_3gpuE7ELNS1_3repE0EEENS1_36merge_oddeven_config_static_selectorELNS0_4arch9wavefront6targetE1EEEvSJ_.num_named_barrier, 0
	.set _ZN7rocprim17ROCPRIM_400000_NS6detail17trampoline_kernelINS0_14default_configENS1_38merge_sort_block_merge_config_selectorIttEEZZNS1_27merge_sort_block_merge_implIS3_N6thrust23THRUST_200600_302600_NS6detail15normal_iteratorINS8_10device_ptrItEEEESD_jNS1_19radix_merge_compareILb0ELb1EtNS0_19identity_decomposerEEEEE10hipError_tT0_T1_T2_jT3_P12ihipStream_tbPNSt15iterator_traitsISI_E10value_typeEPNSO_ISJ_E10value_typeEPSK_NS1_7vsmem_tEENKUlT_SI_SJ_SK_E_clIPtSD_S10_SD_EESH_SX_SI_SJ_SK_EUlSX_E1_NS1_11comp_targetILNS1_3genE3ELNS1_11target_archE908ELNS1_3gpuE7ELNS1_3repE0EEENS1_36merge_oddeven_config_static_selectorELNS0_4arch9wavefront6targetE1EEEvSJ_.private_seg_size, 0
	.set _ZN7rocprim17ROCPRIM_400000_NS6detail17trampoline_kernelINS0_14default_configENS1_38merge_sort_block_merge_config_selectorIttEEZZNS1_27merge_sort_block_merge_implIS3_N6thrust23THRUST_200600_302600_NS6detail15normal_iteratorINS8_10device_ptrItEEEESD_jNS1_19radix_merge_compareILb0ELb1EtNS0_19identity_decomposerEEEEE10hipError_tT0_T1_T2_jT3_P12ihipStream_tbPNSt15iterator_traitsISI_E10value_typeEPNSO_ISJ_E10value_typeEPSK_NS1_7vsmem_tEENKUlT_SI_SJ_SK_E_clIPtSD_S10_SD_EESH_SX_SI_SJ_SK_EUlSX_E1_NS1_11comp_targetILNS1_3genE3ELNS1_11target_archE908ELNS1_3gpuE7ELNS1_3repE0EEENS1_36merge_oddeven_config_static_selectorELNS0_4arch9wavefront6targetE1EEEvSJ_.uses_vcc, 0
	.set _ZN7rocprim17ROCPRIM_400000_NS6detail17trampoline_kernelINS0_14default_configENS1_38merge_sort_block_merge_config_selectorIttEEZZNS1_27merge_sort_block_merge_implIS3_N6thrust23THRUST_200600_302600_NS6detail15normal_iteratorINS8_10device_ptrItEEEESD_jNS1_19radix_merge_compareILb0ELb1EtNS0_19identity_decomposerEEEEE10hipError_tT0_T1_T2_jT3_P12ihipStream_tbPNSt15iterator_traitsISI_E10value_typeEPNSO_ISJ_E10value_typeEPSK_NS1_7vsmem_tEENKUlT_SI_SJ_SK_E_clIPtSD_S10_SD_EESH_SX_SI_SJ_SK_EUlSX_E1_NS1_11comp_targetILNS1_3genE3ELNS1_11target_archE908ELNS1_3gpuE7ELNS1_3repE0EEENS1_36merge_oddeven_config_static_selectorELNS0_4arch9wavefront6targetE1EEEvSJ_.uses_flat_scratch, 0
	.set _ZN7rocprim17ROCPRIM_400000_NS6detail17trampoline_kernelINS0_14default_configENS1_38merge_sort_block_merge_config_selectorIttEEZZNS1_27merge_sort_block_merge_implIS3_N6thrust23THRUST_200600_302600_NS6detail15normal_iteratorINS8_10device_ptrItEEEESD_jNS1_19radix_merge_compareILb0ELb1EtNS0_19identity_decomposerEEEEE10hipError_tT0_T1_T2_jT3_P12ihipStream_tbPNSt15iterator_traitsISI_E10value_typeEPNSO_ISJ_E10value_typeEPSK_NS1_7vsmem_tEENKUlT_SI_SJ_SK_E_clIPtSD_S10_SD_EESH_SX_SI_SJ_SK_EUlSX_E1_NS1_11comp_targetILNS1_3genE3ELNS1_11target_archE908ELNS1_3gpuE7ELNS1_3repE0EEENS1_36merge_oddeven_config_static_selectorELNS0_4arch9wavefront6targetE1EEEvSJ_.has_dyn_sized_stack, 0
	.set _ZN7rocprim17ROCPRIM_400000_NS6detail17trampoline_kernelINS0_14default_configENS1_38merge_sort_block_merge_config_selectorIttEEZZNS1_27merge_sort_block_merge_implIS3_N6thrust23THRUST_200600_302600_NS6detail15normal_iteratorINS8_10device_ptrItEEEESD_jNS1_19radix_merge_compareILb0ELb1EtNS0_19identity_decomposerEEEEE10hipError_tT0_T1_T2_jT3_P12ihipStream_tbPNSt15iterator_traitsISI_E10value_typeEPNSO_ISJ_E10value_typeEPSK_NS1_7vsmem_tEENKUlT_SI_SJ_SK_E_clIPtSD_S10_SD_EESH_SX_SI_SJ_SK_EUlSX_E1_NS1_11comp_targetILNS1_3genE3ELNS1_11target_archE908ELNS1_3gpuE7ELNS1_3repE0EEENS1_36merge_oddeven_config_static_selectorELNS0_4arch9wavefront6targetE1EEEvSJ_.has_recursion, 0
	.set _ZN7rocprim17ROCPRIM_400000_NS6detail17trampoline_kernelINS0_14default_configENS1_38merge_sort_block_merge_config_selectorIttEEZZNS1_27merge_sort_block_merge_implIS3_N6thrust23THRUST_200600_302600_NS6detail15normal_iteratorINS8_10device_ptrItEEEESD_jNS1_19radix_merge_compareILb0ELb1EtNS0_19identity_decomposerEEEEE10hipError_tT0_T1_T2_jT3_P12ihipStream_tbPNSt15iterator_traitsISI_E10value_typeEPNSO_ISJ_E10value_typeEPSK_NS1_7vsmem_tEENKUlT_SI_SJ_SK_E_clIPtSD_S10_SD_EESH_SX_SI_SJ_SK_EUlSX_E1_NS1_11comp_targetILNS1_3genE3ELNS1_11target_archE908ELNS1_3gpuE7ELNS1_3repE0EEENS1_36merge_oddeven_config_static_selectorELNS0_4arch9wavefront6targetE1EEEvSJ_.has_indirect_call, 0
	.section	.AMDGPU.csdata,"",@progbits
; Kernel info:
; codeLenInByte = 0
; TotalNumSgprs: 6
; NumVgprs: 0
; NumAgprs: 0
; TotalNumVgprs: 0
; ScratchSize: 0
; MemoryBound: 0
; FloatMode: 240
; IeeeMode: 1
; LDSByteSize: 0 bytes/workgroup (compile time only)
; SGPRBlocks: 0
; VGPRBlocks: 0
; NumSGPRsForWavesPerEU: 6
; NumVGPRsForWavesPerEU: 1
; AccumOffset: 4
; Occupancy: 8
; WaveLimiterHint : 0
; COMPUTE_PGM_RSRC2:SCRATCH_EN: 0
; COMPUTE_PGM_RSRC2:USER_SGPR: 2
; COMPUTE_PGM_RSRC2:TRAP_HANDLER: 0
; COMPUTE_PGM_RSRC2:TGID_X_EN: 1
; COMPUTE_PGM_RSRC2:TGID_Y_EN: 0
; COMPUTE_PGM_RSRC2:TGID_Z_EN: 0
; COMPUTE_PGM_RSRC2:TIDIG_COMP_CNT: 0
; COMPUTE_PGM_RSRC3_GFX90A:ACCUM_OFFSET: 0
; COMPUTE_PGM_RSRC3_GFX90A:TG_SPLIT: 0
	.section	.text._ZN7rocprim17ROCPRIM_400000_NS6detail17trampoline_kernelINS0_14default_configENS1_38merge_sort_block_merge_config_selectorIttEEZZNS1_27merge_sort_block_merge_implIS3_N6thrust23THRUST_200600_302600_NS6detail15normal_iteratorINS8_10device_ptrItEEEESD_jNS1_19radix_merge_compareILb0ELb1EtNS0_19identity_decomposerEEEEE10hipError_tT0_T1_T2_jT3_P12ihipStream_tbPNSt15iterator_traitsISI_E10value_typeEPNSO_ISJ_E10value_typeEPSK_NS1_7vsmem_tEENKUlT_SI_SJ_SK_E_clIPtSD_S10_SD_EESH_SX_SI_SJ_SK_EUlSX_E1_NS1_11comp_targetILNS1_3genE2ELNS1_11target_archE906ELNS1_3gpuE6ELNS1_3repE0EEENS1_36merge_oddeven_config_static_selectorELNS0_4arch9wavefront6targetE1EEEvSJ_,"axG",@progbits,_ZN7rocprim17ROCPRIM_400000_NS6detail17trampoline_kernelINS0_14default_configENS1_38merge_sort_block_merge_config_selectorIttEEZZNS1_27merge_sort_block_merge_implIS3_N6thrust23THRUST_200600_302600_NS6detail15normal_iteratorINS8_10device_ptrItEEEESD_jNS1_19radix_merge_compareILb0ELb1EtNS0_19identity_decomposerEEEEE10hipError_tT0_T1_T2_jT3_P12ihipStream_tbPNSt15iterator_traitsISI_E10value_typeEPNSO_ISJ_E10value_typeEPSK_NS1_7vsmem_tEENKUlT_SI_SJ_SK_E_clIPtSD_S10_SD_EESH_SX_SI_SJ_SK_EUlSX_E1_NS1_11comp_targetILNS1_3genE2ELNS1_11target_archE906ELNS1_3gpuE6ELNS1_3repE0EEENS1_36merge_oddeven_config_static_selectorELNS0_4arch9wavefront6targetE1EEEvSJ_,comdat
	.protected	_ZN7rocprim17ROCPRIM_400000_NS6detail17trampoline_kernelINS0_14default_configENS1_38merge_sort_block_merge_config_selectorIttEEZZNS1_27merge_sort_block_merge_implIS3_N6thrust23THRUST_200600_302600_NS6detail15normal_iteratorINS8_10device_ptrItEEEESD_jNS1_19radix_merge_compareILb0ELb1EtNS0_19identity_decomposerEEEEE10hipError_tT0_T1_T2_jT3_P12ihipStream_tbPNSt15iterator_traitsISI_E10value_typeEPNSO_ISJ_E10value_typeEPSK_NS1_7vsmem_tEENKUlT_SI_SJ_SK_E_clIPtSD_S10_SD_EESH_SX_SI_SJ_SK_EUlSX_E1_NS1_11comp_targetILNS1_3genE2ELNS1_11target_archE906ELNS1_3gpuE6ELNS1_3repE0EEENS1_36merge_oddeven_config_static_selectorELNS0_4arch9wavefront6targetE1EEEvSJ_ ; -- Begin function _ZN7rocprim17ROCPRIM_400000_NS6detail17trampoline_kernelINS0_14default_configENS1_38merge_sort_block_merge_config_selectorIttEEZZNS1_27merge_sort_block_merge_implIS3_N6thrust23THRUST_200600_302600_NS6detail15normal_iteratorINS8_10device_ptrItEEEESD_jNS1_19radix_merge_compareILb0ELb1EtNS0_19identity_decomposerEEEEE10hipError_tT0_T1_T2_jT3_P12ihipStream_tbPNSt15iterator_traitsISI_E10value_typeEPNSO_ISJ_E10value_typeEPSK_NS1_7vsmem_tEENKUlT_SI_SJ_SK_E_clIPtSD_S10_SD_EESH_SX_SI_SJ_SK_EUlSX_E1_NS1_11comp_targetILNS1_3genE2ELNS1_11target_archE906ELNS1_3gpuE6ELNS1_3repE0EEENS1_36merge_oddeven_config_static_selectorELNS0_4arch9wavefront6targetE1EEEvSJ_
	.globl	_ZN7rocprim17ROCPRIM_400000_NS6detail17trampoline_kernelINS0_14default_configENS1_38merge_sort_block_merge_config_selectorIttEEZZNS1_27merge_sort_block_merge_implIS3_N6thrust23THRUST_200600_302600_NS6detail15normal_iteratorINS8_10device_ptrItEEEESD_jNS1_19radix_merge_compareILb0ELb1EtNS0_19identity_decomposerEEEEE10hipError_tT0_T1_T2_jT3_P12ihipStream_tbPNSt15iterator_traitsISI_E10value_typeEPNSO_ISJ_E10value_typeEPSK_NS1_7vsmem_tEENKUlT_SI_SJ_SK_E_clIPtSD_S10_SD_EESH_SX_SI_SJ_SK_EUlSX_E1_NS1_11comp_targetILNS1_3genE2ELNS1_11target_archE906ELNS1_3gpuE6ELNS1_3repE0EEENS1_36merge_oddeven_config_static_selectorELNS0_4arch9wavefront6targetE1EEEvSJ_
	.p2align	8
	.type	_ZN7rocprim17ROCPRIM_400000_NS6detail17trampoline_kernelINS0_14default_configENS1_38merge_sort_block_merge_config_selectorIttEEZZNS1_27merge_sort_block_merge_implIS3_N6thrust23THRUST_200600_302600_NS6detail15normal_iteratorINS8_10device_ptrItEEEESD_jNS1_19radix_merge_compareILb0ELb1EtNS0_19identity_decomposerEEEEE10hipError_tT0_T1_T2_jT3_P12ihipStream_tbPNSt15iterator_traitsISI_E10value_typeEPNSO_ISJ_E10value_typeEPSK_NS1_7vsmem_tEENKUlT_SI_SJ_SK_E_clIPtSD_S10_SD_EESH_SX_SI_SJ_SK_EUlSX_E1_NS1_11comp_targetILNS1_3genE2ELNS1_11target_archE906ELNS1_3gpuE6ELNS1_3repE0EEENS1_36merge_oddeven_config_static_selectorELNS0_4arch9wavefront6targetE1EEEvSJ_,@function
_ZN7rocprim17ROCPRIM_400000_NS6detail17trampoline_kernelINS0_14default_configENS1_38merge_sort_block_merge_config_selectorIttEEZZNS1_27merge_sort_block_merge_implIS3_N6thrust23THRUST_200600_302600_NS6detail15normal_iteratorINS8_10device_ptrItEEEESD_jNS1_19radix_merge_compareILb0ELb1EtNS0_19identity_decomposerEEEEE10hipError_tT0_T1_T2_jT3_P12ihipStream_tbPNSt15iterator_traitsISI_E10value_typeEPNSO_ISJ_E10value_typeEPSK_NS1_7vsmem_tEENKUlT_SI_SJ_SK_E_clIPtSD_S10_SD_EESH_SX_SI_SJ_SK_EUlSX_E1_NS1_11comp_targetILNS1_3genE2ELNS1_11target_archE906ELNS1_3gpuE6ELNS1_3repE0EEENS1_36merge_oddeven_config_static_selectorELNS0_4arch9wavefront6targetE1EEEvSJ_: ; @_ZN7rocprim17ROCPRIM_400000_NS6detail17trampoline_kernelINS0_14default_configENS1_38merge_sort_block_merge_config_selectorIttEEZZNS1_27merge_sort_block_merge_implIS3_N6thrust23THRUST_200600_302600_NS6detail15normal_iteratorINS8_10device_ptrItEEEESD_jNS1_19radix_merge_compareILb0ELb1EtNS0_19identity_decomposerEEEEE10hipError_tT0_T1_T2_jT3_P12ihipStream_tbPNSt15iterator_traitsISI_E10value_typeEPNSO_ISJ_E10value_typeEPSK_NS1_7vsmem_tEENKUlT_SI_SJ_SK_E_clIPtSD_S10_SD_EESH_SX_SI_SJ_SK_EUlSX_E1_NS1_11comp_targetILNS1_3genE2ELNS1_11target_archE906ELNS1_3gpuE6ELNS1_3repE0EEENS1_36merge_oddeven_config_static_selectorELNS0_4arch9wavefront6targetE1EEEvSJ_
; %bb.0:
	.section	.rodata,"a",@progbits
	.p2align	6, 0x0
	.amdhsa_kernel _ZN7rocprim17ROCPRIM_400000_NS6detail17trampoline_kernelINS0_14default_configENS1_38merge_sort_block_merge_config_selectorIttEEZZNS1_27merge_sort_block_merge_implIS3_N6thrust23THRUST_200600_302600_NS6detail15normal_iteratorINS8_10device_ptrItEEEESD_jNS1_19radix_merge_compareILb0ELb1EtNS0_19identity_decomposerEEEEE10hipError_tT0_T1_T2_jT3_P12ihipStream_tbPNSt15iterator_traitsISI_E10value_typeEPNSO_ISJ_E10value_typeEPSK_NS1_7vsmem_tEENKUlT_SI_SJ_SK_E_clIPtSD_S10_SD_EESH_SX_SI_SJ_SK_EUlSX_E1_NS1_11comp_targetILNS1_3genE2ELNS1_11target_archE906ELNS1_3gpuE6ELNS1_3repE0EEENS1_36merge_oddeven_config_static_selectorELNS0_4arch9wavefront6targetE1EEEvSJ_
		.amdhsa_group_segment_fixed_size 0
		.amdhsa_private_segment_fixed_size 0
		.amdhsa_kernarg_size 48
		.amdhsa_user_sgpr_count 2
		.amdhsa_user_sgpr_dispatch_ptr 0
		.amdhsa_user_sgpr_queue_ptr 0
		.amdhsa_user_sgpr_kernarg_segment_ptr 1
		.amdhsa_user_sgpr_dispatch_id 0
		.amdhsa_user_sgpr_kernarg_preload_length 0
		.amdhsa_user_sgpr_kernarg_preload_offset 0
		.amdhsa_user_sgpr_private_segment_size 0
		.amdhsa_uses_dynamic_stack 0
		.amdhsa_enable_private_segment 0
		.amdhsa_system_sgpr_workgroup_id_x 1
		.amdhsa_system_sgpr_workgroup_id_y 0
		.amdhsa_system_sgpr_workgroup_id_z 0
		.amdhsa_system_sgpr_workgroup_info 0
		.amdhsa_system_vgpr_workitem_id 0
		.amdhsa_next_free_vgpr 1
		.amdhsa_next_free_sgpr 0
		.amdhsa_accum_offset 4
		.amdhsa_reserve_vcc 0
		.amdhsa_float_round_mode_32 0
		.amdhsa_float_round_mode_16_64 0
		.amdhsa_float_denorm_mode_32 3
		.amdhsa_float_denorm_mode_16_64 3
		.amdhsa_dx10_clamp 1
		.amdhsa_ieee_mode 1
		.amdhsa_fp16_overflow 0
		.amdhsa_tg_split 0
		.amdhsa_exception_fp_ieee_invalid_op 0
		.amdhsa_exception_fp_denorm_src 0
		.amdhsa_exception_fp_ieee_div_zero 0
		.amdhsa_exception_fp_ieee_overflow 0
		.amdhsa_exception_fp_ieee_underflow 0
		.amdhsa_exception_fp_ieee_inexact 0
		.amdhsa_exception_int_div_zero 0
	.end_amdhsa_kernel
	.section	.text._ZN7rocprim17ROCPRIM_400000_NS6detail17trampoline_kernelINS0_14default_configENS1_38merge_sort_block_merge_config_selectorIttEEZZNS1_27merge_sort_block_merge_implIS3_N6thrust23THRUST_200600_302600_NS6detail15normal_iteratorINS8_10device_ptrItEEEESD_jNS1_19radix_merge_compareILb0ELb1EtNS0_19identity_decomposerEEEEE10hipError_tT0_T1_T2_jT3_P12ihipStream_tbPNSt15iterator_traitsISI_E10value_typeEPNSO_ISJ_E10value_typeEPSK_NS1_7vsmem_tEENKUlT_SI_SJ_SK_E_clIPtSD_S10_SD_EESH_SX_SI_SJ_SK_EUlSX_E1_NS1_11comp_targetILNS1_3genE2ELNS1_11target_archE906ELNS1_3gpuE6ELNS1_3repE0EEENS1_36merge_oddeven_config_static_selectorELNS0_4arch9wavefront6targetE1EEEvSJ_,"axG",@progbits,_ZN7rocprim17ROCPRIM_400000_NS6detail17trampoline_kernelINS0_14default_configENS1_38merge_sort_block_merge_config_selectorIttEEZZNS1_27merge_sort_block_merge_implIS3_N6thrust23THRUST_200600_302600_NS6detail15normal_iteratorINS8_10device_ptrItEEEESD_jNS1_19radix_merge_compareILb0ELb1EtNS0_19identity_decomposerEEEEE10hipError_tT0_T1_T2_jT3_P12ihipStream_tbPNSt15iterator_traitsISI_E10value_typeEPNSO_ISJ_E10value_typeEPSK_NS1_7vsmem_tEENKUlT_SI_SJ_SK_E_clIPtSD_S10_SD_EESH_SX_SI_SJ_SK_EUlSX_E1_NS1_11comp_targetILNS1_3genE2ELNS1_11target_archE906ELNS1_3gpuE6ELNS1_3repE0EEENS1_36merge_oddeven_config_static_selectorELNS0_4arch9wavefront6targetE1EEEvSJ_,comdat
.Lfunc_end920:
	.size	_ZN7rocprim17ROCPRIM_400000_NS6detail17trampoline_kernelINS0_14default_configENS1_38merge_sort_block_merge_config_selectorIttEEZZNS1_27merge_sort_block_merge_implIS3_N6thrust23THRUST_200600_302600_NS6detail15normal_iteratorINS8_10device_ptrItEEEESD_jNS1_19radix_merge_compareILb0ELb1EtNS0_19identity_decomposerEEEEE10hipError_tT0_T1_T2_jT3_P12ihipStream_tbPNSt15iterator_traitsISI_E10value_typeEPNSO_ISJ_E10value_typeEPSK_NS1_7vsmem_tEENKUlT_SI_SJ_SK_E_clIPtSD_S10_SD_EESH_SX_SI_SJ_SK_EUlSX_E1_NS1_11comp_targetILNS1_3genE2ELNS1_11target_archE906ELNS1_3gpuE6ELNS1_3repE0EEENS1_36merge_oddeven_config_static_selectorELNS0_4arch9wavefront6targetE1EEEvSJ_, .Lfunc_end920-_ZN7rocprim17ROCPRIM_400000_NS6detail17trampoline_kernelINS0_14default_configENS1_38merge_sort_block_merge_config_selectorIttEEZZNS1_27merge_sort_block_merge_implIS3_N6thrust23THRUST_200600_302600_NS6detail15normal_iteratorINS8_10device_ptrItEEEESD_jNS1_19radix_merge_compareILb0ELb1EtNS0_19identity_decomposerEEEEE10hipError_tT0_T1_T2_jT3_P12ihipStream_tbPNSt15iterator_traitsISI_E10value_typeEPNSO_ISJ_E10value_typeEPSK_NS1_7vsmem_tEENKUlT_SI_SJ_SK_E_clIPtSD_S10_SD_EESH_SX_SI_SJ_SK_EUlSX_E1_NS1_11comp_targetILNS1_3genE2ELNS1_11target_archE906ELNS1_3gpuE6ELNS1_3repE0EEENS1_36merge_oddeven_config_static_selectorELNS0_4arch9wavefront6targetE1EEEvSJ_
                                        ; -- End function
	.set _ZN7rocprim17ROCPRIM_400000_NS6detail17trampoline_kernelINS0_14default_configENS1_38merge_sort_block_merge_config_selectorIttEEZZNS1_27merge_sort_block_merge_implIS3_N6thrust23THRUST_200600_302600_NS6detail15normal_iteratorINS8_10device_ptrItEEEESD_jNS1_19radix_merge_compareILb0ELb1EtNS0_19identity_decomposerEEEEE10hipError_tT0_T1_T2_jT3_P12ihipStream_tbPNSt15iterator_traitsISI_E10value_typeEPNSO_ISJ_E10value_typeEPSK_NS1_7vsmem_tEENKUlT_SI_SJ_SK_E_clIPtSD_S10_SD_EESH_SX_SI_SJ_SK_EUlSX_E1_NS1_11comp_targetILNS1_3genE2ELNS1_11target_archE906ELNS1_3gpuE6ELNS1_3repE0EEENS1_36merge_oddeven_config_static_selectorELNS0_4arch9wavefront6targetE1EEEvSJ_.num_vgpr, 0
	.set _ZN7rocprim17ROCPRIM_400000_NS6detail17trampoline_kernelINS0_14default_configENS1_38merge_sort_block_merge_config_selectorIttEEZZNS1_27merge_sort_block_merge_implIS3_N6thrust23THRUST_200600_302600_NS6detail15normal_iteratorINS8_10device_ptrItEEEESD_jNS1_19radix_merge_compareILb0ELb1EtNS0_19identity_decomposerEEEEE10hipError_tT0_T1_T2_jT3_P12ihipStream_tbPNSt15iterator_traitsISI_E10value_typeEPNSO_ISJ_E10value_typeEPSK_NS1_7vsmem_tEENKUlT_SI_SJ_SK_E_clIPtSD_S10_SD_EESH_SX_SI_SJ_SK_EUlSX_E1_NS1_11comp_targetILNS1_3genE2ELNS1_11target_archE906ELNS1_3gpuE6ELNS1_3repE0EEENS1_36merge_oddeven_config_static_selectorELNS0_4arch9wavefront6targetE1EEEvSJ_.num_agpr, 0
	.set _ZN7rocprim17ROCPRIM_400000_NS6detail17trampoline_kernelINS0_14default_configENS1_38merge_sort_block_merge_config_selectorIttEEZZNS1_27merge_sort_block_merge_implIS3_N6thrust23THRUST_200600_302600_NS6detail15normal_iteratorINS8_10device_ptrItEEEESD_jNS1_19radix_merge_compareILb0ELb1EtNS0_19identity_decomposerEEEEE10hipError_tT0_T1_T2_jT3_P12ihipStream_tbPNSt15iterator_traitsISI_E10value_typeEPNSO_ISJ_E10value_typeEPSK_NS1_7vsmem_tEENKUlT_SI_SJ_SK_E_clIPtSD_S10_SD_EESH_SX_SI_SJ_SK_EUlSX_E1_NS1_11comp_targetILNS1_3genE2ELNS1_11target_archE906ELNS1_3gpuE6ELNS1_3repE0EEENS1_36merge_oddeven_config_static_selectorELNS0_4arch9wavefront6targetE1EEEvSJ_.numbered_sgpr, 0
	.set _ZN7rocprim17ROCPRIM_400000_NS6detail17trampoline_kernelINS0_14default_configENS1_38merge_sort_block_merge_config_selectorIttEEZZNS1_27merge_sort_block_merge_implIS3_N6thrust23THRUST_200600_302600_NS6detail15normal_iteratorINS8_10device_ptrItEEEESD_jNS1_19radix_merge_compareILb0ELb1EtNS0_19identity_decomposerEEEEE10hipError_tT0_T1_T2_jT3_P12ihipStream_tbPNSt15iterator_traitsISI_E10value_typeEPNSO_ISJ_E10value_typeEPSK_NS1_7vsmem_tEENKUlT_SI_SJ_SK_E_clIPtSD_S10_SD_EESH_SX_SI_SJ_SK_EUlSX_E1_NS1_11comp_targetILNS1_3genE2ELNS1_11target_archE906ELNS1_3gpuE6ELNS1_3repE0EEENS1_36merge_oddeven_config_static_selectorELNS0_4arch9wavefront6targetE1EEEvSJ_.num_named_barrier, 0
	.set _ZN7rocprim17ROCPRIM_400000_NS6detail17trampoline_kernelINS0_14default_configENS1_38merge_sort_block_merge_config_selectorIttEEZZNS1_27merge_sort_block_merge_implIS3_N6thrust23THRUST_200600_302600_NS6detail15normal_iteratorINS8_10device_ptrItEEEESD_jNS1_19radix_merge_compareILb0ELb1EtNS0_19identity_decomposerEEEEE10hipError_tT0_T1_T2_jT3_P12ihipStream_tbPNSt15iterator_traitsISI_E10value_typeEPNSO_ISJ_E10value_typeEPSK_NS1_7vsmem_tEENKUlT_SI_SJ_SK_E_clIPtSD_S10_SD_EESH_SX_SI_SJ_SK_EUlSX_E1_NS1_11comp_targetILNS1_3genE2ELNS1_11target_archE906ELNS1_3gpuE6ELNS1_3repE0EEENS1_36merge_oddeven_config_static_selectorELNS0_4arch9wavefront6targetE1EEEvSJ_.private_seg_size, 0
	.set _ZN7rocprim17ROCPRIM_400000_NS6detail17trampoline_kernelINS0_14default_configENS1_38merge_sort_block_merge_config_selectorIttEEZZNS1_27merge_sort_block_merge_implIS3_N6thrust23THRUST_200600_302600_NS6detail15normal_iteratorINS8_10device_ptrItEEEESD_jNS1_19radix_merge_compareILb0ELb1EtNS0_19identity_decomposerEEEEE10hipError_tT0_T1_T2_jT3_P12ihipStream_tbPNSt15iterator_traitsISI_E10value_typeEPNSO_ISJ_E10value_typeEPSK_NS1_7vsmem_tEENKUlT_SI_SJ_SK_E_clIPtSD_S10_SD_EESH_SX_SI_SJ_SK_EUlSX_E1_NS1_11comp_targetILNS1_3genE2ELNS1_11target_archE906ELNS1_3gpuE6ELNS1_3repE0EEENS1_36merge_oddeven_config_static_selectorELNS0_4arch9wavefront6targetE1EEEvSJ_.uses_vcc, 0
	.set _ZN7rocprim17ROCPRIM_400000_NS6detail17trampoline_kernelINS0_14default_configENS1_38merge_sort_block_merge_config_selectorIttEEZZNS1_27merge_sort_block_merge_implIS3_N6thrust23THRUST_200600_302600_NS6detail15normal_iteratorINS8_10device_ptrItEEEESD_jNS1_19radix_merge_compareILb0ELb1EtNS0_19identity_decomposerEEEEE10hipError_tT0_T1_T2_jT3_P12ihipStream_tbPNSt15iterator_traitsISI_E10value_typeEPNSO_ISJ_E10value_typeEPSK_NS1_7vsmem_tEENKUlT_SI_SJ_SK_E_clIPtSD_S10_SD_EESH_SX_SI_SJ_SK_EUlSX_E1_NS1_11comp_targetILNS1_3genE2ELNS1_11target_archE906ELNS1_3gpuE6ELNS1_3repE0EEENS1_36merge_oddeven_config_static_selectorELNS0_4arch9wavefront6targetE1EEEvSJ_.uses_flat_scratch, 0
	.set _ZN7rocprim17ROCPRIM_400000_NS6detail17trampoline_kernelINS0_14default_configENS1_38merge_sort_block_merge_config_selectorIttEEZZNS1_27merge_sort_block_merge_implIS3_N6thrust23THRUST_200600_302600_NS6detail15normal_iteratorINS8_10device_ptrItEEEESD_jNS1_19radix_merge_compareILb0ELb1EtNS0_19identity_decomposerEEEEE10hipError_tT0_T1_T2_jT3_P12ihipStream_tbPNSt15iterator_traitsISI_E10value_typeEPNSO_ISJ_E10value_typeEPSK_NS1_7vsmem_tEENKUlT_SI_SJ_SK_E_clIPtSD_S10_SD_EESH_SX_SI_SJ_SK_EUlSX_E1_NS1_11comp_targetILNS1_3genE2ELNS1_11target_archE906ELNS1_3gpuE6ELNS1_3repE0EEENS1_36merge_oddeven_config_static_selectorELNS0_4arch9wavefront6targetE1EEEvSJ_.has_dyn_sized_stack, 0
	.set _ZN7rocprim17ROCPRIM_400000_NS6detail17trampoline_kernelINS0_14default_configENS1_38merge_sort_block_merge_config_selectorIttEEZZNS1_27merge_sort_block_merge_implIS3_N6thrust23THRUST_200600_302600_NS6detail15normal_iteratorINS8_10device_ptrItEEEESD_jNS1_19radix_merge_compareILb0ELb1EtNS0_19identity_decomposerEEEEE10hipError_tT0_T1_T2_jT3_P12ihipStream_tbPNSt15iterator_traitsISI_E10value_typeEPNSO_ISJ_E10value_typeEPSK_NS1_7vsmem_tEENKUlT_SI_SJ_SK_E_clIPtSD_S10_SD_EESH_SX_SI_SJ_SK_EUlSX_E1_NS1_11comp_targetILNS1_3genE2ELNS1_11target_archE906ELNS1_3gpuE6ELNS1_3repE0EEENS1_36merge_oddeven_config_static_selectorELNS0_4arch9wavefront6targetE1EEEvSJ_.has_recursion, 0
	.set _ZN7rocprim17ROCPRIM_400000_NS6detail17trampoline_kernelINS0_14default_configENS1_38merge_sort_block_merge_config_selectorIttEEZZNS1_27merge_sort_block_merge_implIS3_N6thrust23THRUST_200600_302600_NS6detail15normal_iteratorINS8_10device_ptrItEEEESD_jNS1_19radix_merge_compareILb0ELb1EtNS0_19identity_decomposerEEEEE10hipError_tT0_T1_T2_jT3_P12ihipStream_tbPNSt15iterator_traitsISI_E10value_typeEPNSO_ISJ_E10value_typeEPSK_NS1_7vsmem_tEENKUlT_SI_SJ_SK_E_clIPtSD_S10_SD_EESH_SX_SI_SJ_SK_EUlSX_E1_NS1_11comp_targetILNS1_3genE2ELNS1_11target_archE906ELNS1_3gpuE6ELNS1_3repE0EEENS1_36merge_oddeven_config_static_selectorELNS0_4arch9wavefront6targetE1EEEvSJ_.has_indirect_call, 0
	.section	.AMDGPU.csdata,"",@progbits
; Kernel info:
; codeLenInByte = 0
; TotalNumSgprs: 6
; NumVgprs: 0
; NumAgprs: 0
; TotalNumVgprs: 0
; ScratchSize: 0
; MemoryBound: 0
; FloatMode: 240
; IeeeMode: 1
; LDSByteSize: 0 bytes/workgroup (compile time only)
; SGPRBlocks: 0
; VGPRBlocks: 0
; NumSGPRsForWavesPerEU: 6
; NumVGPRsForWavesPerEU: 1
; AccumOffset: 4
; Occupancy: 8
; WaveLimiterHint : 0
; COMPUTE_PGM_RSRC2:SCRATCH_EN: 0
; COMPUTE_PGM_RSRC2:USER_SGPR: 2
; COMPUTE_PGM_RSRC2:TRAP_HANDLER: 0
; COMPUTE_PGM_RSRC2:TGID_X_EN: 1
; COMPUTE_PGM_RSRC2:TGID_Y_EN: 0
; COMPUTE_PGM_RSRC2:TGID_Z_EN: 0
; COMPUTE_PGM_RSRC2:TIDIG_COMP_CNT: 0
; COMPUTE_PGM_RSRC3_GFX90A:ACCUM_OFFSET: 0
; COMPUTE_PGM_RSRC3_GFX90A:TG_SPLIT: 0
	.section	.text._ZN7rocprim17ROCPRIM_400000_NS6detail17trampoline_kernelINS0_14default_configENS1_38merge_sort_block_merge_config_selectorIttEEZZNS1_27merge_sort_block_merge_implIS3_N6thrust23THRUST_200600_302600_NS6detail15normal_iteratorINS8_10device_ptrItEEEESD_jNS1_19radix_merge_compareILb0ELb1EtNS0_19identity_decomposerEEEEE10hipError_tT0_T1_T2_jT3_P12ihipStream_tbPNSt15iterator_traitsISI_E10value_typeEPNSO_ISJ_E10value_typeEPSK_NS1_7vsmem_tEENKUlT_SI_SJ_SK_E_clIPtSD_S10_SD_EESH_SX_SI_SJ_SK_EUlSX_E1_NS1_11comp_targetILNS1_3genE9ELNS1_11target_archE1100ELNS1_3gpuE3ELNS1_3repE0EEENS1_36merge_oddeven_config_static_selectorELNS0_4arch9wavefront6targetE1EEEvSJ_,"axG",@progbits,_ZN7rocprim17ROCPRIM_400000_NS6detail17trampoline_kernelINS0_14default_configENS1_38merge_sort_block_merge_config_selectorIttEEZZNS1_27merge_sort_block_merge_implIS3_N6thrust23THRUST_200600_302600_NS6detail15normal_iteratorINS8_10device_ptrItEEEESD_jNS1_19radix_merge_compareILb0ELb1EtNS0_19identity_decomposerEEEEE10hipError_tT0_T1_T2_jT3_P12ihipStream_tbPNSt15iterator_traitsISI_E10value_typeEPNSO_ISJ_E10value_typeEPSK_NS1_7vsmem_tEENKUlT_SI_SJ_SK_E_clIPtSD_S10_SD_EESH_SX_SI_SJ_SK_EUlSX_E1_NS1_11comp_targetILNS1_3genE9ELNS1_11target_archE1100ELNS1_3gpuE3ELNS1_3repE0EEENS1_36merge_oddeven_config_static_selectorELNS0_4arch9wavefront6targetE1EEEvSJ_,comdat
	.protected	_ZN7rocprim17ROCPRIM_400000_NS6detail17trampoline_kernelINS0_14default_configENS1_38merge_sort_block_merge_config_selectorIttEEZZNS1_27merge_sort_block_merge_implIS3_N6thrust23THRUST_200600_302600_NS6detail15normal_iteratorINS8_10device_ptrItEEEESD_jNS1_19radix_merge_compareILb0ELb1EtNS0_19identity_decomposerEEEEE10hipError_tT0_T1_T2_jT3_P12ihipStream_tbPNSt15iterator_traitsISI_E10value_typeEPNSO_ISJ_E10value_typeEPSK_NS1_7vsmem_tEENKUlT_SI_SJ_SK_E_clIPtSD_S10_SD_EESH_SX_SI_SJ_SK_EUlSX_E1_NS1_11comp_targetILNS1_3genE9ELNS1_11target_archE1100ELNS1_3gpuE3ELNS1_3repE0EEENS1_36merge_oddeven_config_static_selectorELNS0_4arch9wavefront6targetE1EEEvSJ_ ; -- Begin function _ZN7rocprim17ROCPRIM_400000_NS6detail17trampoline_kernelINS0_14default_configENS1_38merge_sort_block_merge_config_selectorIttEEZZNS1_27merge_sort_block_merge_implIS3_N6thrust23THRUST_200600_302600_NS6detail15normal_iteratorINS8_10device_ptrItEEEESD_jNS1_19radix_merge_compareILb0ELb1EtNS0_19identity_decomposerEEEEE10hipError_tT0_T1_T2_jT3_P12ihipStream_tbPNSt15iterator_traitsISI_E10value_typeEPNSO_ISJ_E10value_typeEPSK_NS1_7vsmem_tEENKUlT_SI_SJ_SK_E_clIPtSD_S10_SD_EESH_SX_SI_SJ_SK_EUlSX_E1_NS1_11comp_targetILNS1_3genE9ELNS1_11target_archE1100ELNS1_3gpuE3ELNS1_3repE0EEENS1_36merge_oddeven_config_static_selectorELNS0_4arch9wavefront6targetE1EEEvSJ_
	.globl	_ZN7rocprim17ROCPRIM_400000_NS6detail17trampoline_kernelINS0_14default_configENS1_38merge_sort_block_merge_config_selectorIttEEZZNS1_27merge_sort_block_merge_implIS3_N6thrust23THRUST_200600_302600_NS6detail15normal_iteratorINS8_10device_ptrItEEEESD_jNS1_19radix_merge_compareILb0ELb1EtNS0_19identity_decomposerEEEEE10hipError_tT0_T1_T2_jT3_P12ihipStream_tbPNSt15iterator_traitsISI_E10value_typeEPNSO_ISJ_E10value_typeEPSK_NS1_7vsmem_tEENKUlT_SI_SJ_SK_E_clIPtSD_S10_SD_EESH_SX_SI_SJ_SK_EUlSX_E1_NS1_11comp_targetILNS1_3genE9ELNS1_11target_archE1100ELNS1_3gpuE3ELNS1_3repE0EEENS1_36merge_oddeven_config_static_selectorELNS0_4arch9wavefront6targetE1EEEvSJ_
	.p2align	8
	.type	_ZN7rocprim17ROCPRIM_400000_NS6detail17trampoline_kernelINS0_14default_configENS1_38merge_sort_block_merge_config_selectorIttEEZZNS1_27merge_sort_block_merge_implIS3_N6thrust23THRUST_200600_302600_NS6detail15normal_iteratorINS8_10device_ptrItEEEESD_jNS1_19radix_merge_compareILb0ELb1EtNS0_19identity_decomposerEEEEE10hipError_tT0_T1_T2_jT3_P12ihipStream_tbPNSt15iterator_traitsISI_E10value_typeEPNSO_ISJ_E10value_typeEPSK_NS1_7vsmem_tEENKUlT_SI_SJ_SK_E_clIPtSD_S10_SD_EESH_SX_SI_SJ_SK_EUlSX_E1_NS1_11comp_targetILNS1_3genE9ELNS1_11target_archE1100ELNS1_3gpuE3ELNS1_3repE0EEENS1_36merge_oddeven_config_static_selectorELNS0_4arch9wavefront6targetE1EEEvSJ_,@function
_ZN7rocprim17ROCPRIM_400000_NS6detail17trampoline_kernelINS0_14default_configENS1_38merge_sort_block_merge_config_selectorIttEEZZNS1_27merge_sort_block_merge_implIS3_N6thrust23THRUST_200600_302600_NS6detail15normal_iteratorINS8_10device_ptrItEEEESD_jNS1_19radix_merge_compareILb0ELb1EtNS0_19identity_decomposerEEEEE10hipError_tT0_T1_T2_jT3_P12ihipStream_tbPNSt15iterator_traitsISI_E10value_typeEPNSO_ISJ_E10value_typeEPSK_NS1_7vsmem_tEENKUlT_SI_SJ_SK_E_clIPtSD_S10_SD_EESH_SX_SI_SJ_SK_EUlSX_E1_NS1_11comp_targetILNS1_3genE9ELNS1_11target_archE1100ELNS1_3gpuE3ELNS1_3repE0EEENS1_36merge_oddeven_config_static_selectorELNS0_4arch9wavefront6targetE1EEEvSJ_: ; @_ZN7rocprim17ROCPRIM_400000_NS6detail17trampoline_kernelINS0_14default_configENS1_38merge_sort_block_merge_config_selectorIttEEZZNS1_27merge_sort_block_merge_implIS3_N6thrust23THRUST_200600_302600_NS6detail15normal_iteratorINS8_10device_ptrItEEEESD_jNS1_19radix_merge_compareILb0ELb1EtNS0_19identity_decomposerEEEEE10hipError_tT0_T1_T2_jT3_P12ihipStream_tbPNSt15iterator_traitsISI_E10value_typeEPNSO_ISJ_E10value_typeEPSK_NS1_7vsmem_tEENKUlT_SI_SJ_SK_E_clIPtSD_S10_SD_EESH_SX_SI_SJ_SK_EUlSX_E1_NS1_11comp_targetILNS1_3genE9ELNS1_11target_archE1100ELNS1_3gpuE3ELNS1_3repE0EEENS1_36merge_oddeven_config_static_selectorELNS0_4arch9wavefront6targetE1EEEvSJ_
; %bb.0:
	.section	.rodata,"a",@progbits
	.p2align	6, 0x0
	.amdhsa_kernel _ZN7rocprim17ROCPRIM_400000_NS6detail17trampoline_kernelINS0_14default_configENS1_38merge_sort_block_merge_config_selectorIttEEZZNS1_27merge_sort_block_merge_implIS3_N6thrust23THRUST_200600_302600_NS6detail15normal_iteratorINS8_10device_ptrItEEEESD_jNS1_19radix_merge_compareILb0ELb1EtNS0_19identity_decomposerEEEEE10hipError_tT0_T1_T2_jT3_P12ihipStream_tbPNSt15iterator_traitsISI_E10value_typeEPNSO_ISJ_E10value_typeEPSK_NS1_7vsmem_tEENKUlT_SI_SJ_SK_E_clIPtSD_S10_SD_EESH_SX_SI_SJ_SK_EUlSX_E1_NS1_11comp_targetILNS1_3genE9ELNS1_11target_archE1100ELNS1_3gpuE3ELNS1_3repE0EEENS1_36merge_oddeven_config_static_selectorELNS0_4arch9wavefront6targetE1EEEvSJ_
		.amdhsa_group_segment_fixed_size 0
		.amdhsa_private_segment_fixed_size 0
		.amdhsa_kernarg_size 48
		.amdhsa_user_sgpr_count 2
		.amdhsa_user_sgpr_dispatch_ptr 0
		.amdhsa_user_sgpr_queue_ptr 0
		.amdhsa_user_sgpr_kernarg_segment_ptr 1
		.amdhsa_user_sgpr_dispatch_id 0
		.amdhsa_user_sgpr_kernarg_preload_length 0
		.amdhsa_user_sgpr_kernarg_preload_offset 0
		.amdhsa_user_sgpr_private_segment_size 0
		.amdhsa_uses_dynamic_stack 0
		.amdhsa_enable_private_segment 0
		.amdhsa_system_sgpr_workgroup_id_x 1
		.amdhsa_system_sgpr_workgroup_id_y 0
		.amdhsa_system_sgpr_workgroup_id_z 0
		.amdhsa_system_sgpr_workgroup_info 0
		.amdhsa_system_vgpr_workitem_id 0
		.amdhsa_next_free_vgpr 1
		.amdhsa_next_free_sgpr 0
		.amdhsa_accum_offset 4
		.amdhsa_reserve_vcc 0
		.amdhsa_float_round_mode_32 0
		.amdhsa_float_round_mode_16_64 0
		.amdhsa_float_denorm_mode_32 3
		.amdhsa_float_denorm_mode_16_64 3
		.amdhsa_dx10_clamp 1
		.amdhsa_ieee_mode 1
		.amdhsa_fp16_overflow 0
		.amdhsa_tg_split 0
		.amdhsa_exception_fp_ieee_invalid_op 0
		.amdhsa_exception_fp_denorm_src 0
		.amdhsa_exception_fp_ieee_div_zero 0
		.amdhsa_exception_fp_ieee_overflow 0
		.amdhsa_exception_fp_ieee_underflow 0
		.amdhsa_exception_fp_ieee_inexact 0
		.amdhsa_exception_int_div_zero 0
	.end_amdhsa_kernel
	.section	.text._ZN7rocprim17ROCPRIM_400000_NS6detail17trampoline_kernelINS0_14default_configENS1_38merge_sort_block_merge_config_selectorIttEEZZNS1_27merge_sort_block_merge_implIS3_N6thrust23THRUST_200600_302600_NS6detail15normal_iteratorINS8_10device_ptrItEEEESD_jNS1_19radix_merge_compareILb0ELb1EtNS0_19identity_decomposerEEEEE10hipError_tT0_T1_T2_jT3_P12ihipStream_tbPNSt15iterator_traitsISI_E10value_typeEPNSO_ISJ_E10value_typeEPSK_NS1_7vsmem_tEENKUlT_SI_SJ_SK_E_clIPtSD_S10_SD_EESH_SX_SI_SJ_SK_EUlSX_E1_NS1_11comp_targetILNS1_3genE9ELNS1_11target_archE1100ELNS1_3gpuE3ELNS1_3repE0EEENS1_36merge_oddeven_config_static_selectorELNS0_4arch9wavefront6targetE1EEEvSJ_,"axG",@progbits,_ZN7rocprim17ROCPRIM_400000_NS6detail17trampoline_kernelINS0_14default_configENS1_38merge_sort_block_merge_config_selectorIttEEZZNS1_27merge_sort_block_merge_implIS3_N6thrust23THRUST_200600_302600_NS6detail15normal_iteratorINS8_10device_ptrItEEEESD_jNS1_19radix_merge_compareILb0ELb1EtNS0_19identity_decomposerEEEEE10hipError_tT0_T1_T2_jT3_P12ihipStream_tbPNSt15iterator_traitsISI_E10value_typeEPNSO_ISJ_E10value_typeEPSK_NS1_7vsmem_tEENKUlT_SI_SJ_SK_E_clIPtSD_S10_SD_EESH_SX_SI_SJ_SK_EUlSX_E1_NS1_11comp_targetILNS1_3genE9ELNS1_11target_archE1100ELNS1_3gpuE3ELNS1_3repE0EEENS1_36merge_oddeven_config_static_selectorELNS0_4arch9wavefront6targetE1EEEvSJ_,comdat
.Lfunc_end921:
	.size	_ZN7rocprim17ROCPRIM_400000_NS6detail17trampoline_kernelINS0_14default_configENS1_38merge_sort_block_merge_config_selectorIttEEZZNS1_27merge_sort_block_merge_implIS3_N6thrust23THRUST_200600_302600_NS6detail15normal_iteratorINS8_10device_ptrItEEEESD_jNS1_19radix_merge_compareILb0ELb1EtNS0_19identity_decomposerEEEEE10hipError_tT0_T1_T2_jT3_P12ihipStream_tbPNSt15iterator_traitsISI_E10value_typeEPNSO_ISJ_E10value_typeEPSK_NS1_7vsmem_tEENKUlT_SI_SJ_SK_E_clIPtSD_S10_SD_EESH_SX_SI_SJ_SK_EUlSX_E1_NS1_11comp_targetILNS1_3genE9ELNS1_11target_archE1100ELNS1_3gpuE3ELNS1_3repE0EEENS1_36merge_oddeven_config_static_selectorELNS0_4arch9wavefront6targetE1EEEvSJ_, .Lfunc_end921-_ZN7rocprim17ROCPRIM_400000_NS6detail17trampoline_kernelINS0_14default_configENS1_38merge_sort_block_merge_config_selectorIttEEZZNS1_27merge_sort_block_merge_implIS3_N6thrust23THRUST_200600_302600_NS6detail15normal_iteratorINS8_10device_ptrItEEEESD_jNS1_19radix_merge_compareILb0ELb1EtNS0_19identity_decomposerEEEEE10hipError_tT0_T1_T2_jT3_P12ihipStream_tbPNSt15iterator_traitsISI_E10value_typeEPNSO_ISJ_E10value_typeEPSK_NS1_7vsmem_tEENKUlT_SI_SJ_SK_E_clIPtSD_S10_SD_EESH_SX_SI_SJ_SK_EUlSX_E1_NS1_11comp_targetILNS1_3genE9ELNS1_11target_archE1100ELNS1_3gpuE3ELNS1_3repE0EEENS1_36merge_oddeven_config_static_selectorELNS0_4arch9wavefront6targetE1EEEvSJ_
                                        ; -- End function
	.set _ZN7rocprim17ROCPRIM_400000_NS6detail17trampoline_kernelINS0_14default_configENS1_38merge_sort_block_merge_config_selectorIttEEZZNS1_27merge_sort_block_merge_implIS3_N6thrust23THRUST_200600_302600_NS6detail15normal_iteratorINS8_10device_ptrItEEEESD_jNS1_19radix_merge_compareILb0ELb1EtNS0_19identity_decomposerEEEEE10hipError_tT0_T1_T2_jT3_P12ihipStream_tbPNSt15iterator_traitsISI_E10value_typeEPNSO_ISJ_E10value_typeEPSK_NS1_7vsmem_tEENKUlT_SI_SJ_SK_E_clIPtSD_S10_SD_EESH_SX_SI_SJ_SK_EUlSX_E1_NS1_11comp_targetILNS1_3genE9ELNS1_11target_archE1100ELNS1_3gpuE3ELNS1_3repE0EEENS1_36merge_oddeven_config_static_selectorELNS0_4arch9wavefront6targetE1EEEvSJ_.num_vgpr, 0
	.set _ZN7rocprim17ROCPRIM_400000_NS6detail17trampoline_kernelINS0_14default_configENS1_38merge_sort_block_merge_config_selectorIttEEZZNS1_27merge_sort_block_merge_implIS3_N6thrust23THRUST_200600_302600_NS6detail15normal_iteratorINS8_10device_ptrItEEEESD_jNS1_19radix_merge_compareILb0ELb1EtNS0_19identity_decomposerEEEEE10hipError_tT0_T1_T2_jT3_P12ihipStream_tbPNSt15iterator_traitsISI_E10value_typeEPNSO_ISJ_E10value_typeEPSK_NS1_7vsmem_tEENKUlT_SI_SJ_SK_E_clIPtSD_S10_SD_EESH_SX_SI_SJ_SK_EUlSX_E1_NS1_11comp_targetILNS1_3genE9ELNS1_11target_archE1100ELNS1_3gpuE3ELNS1_3repE0EEENS1_36merge_oddeven_config_static_selectorELNS0_4arch9wavefront6targetE1EEEvSJ_.num_agpr, 0
	.set _ZN7rocprim17ROCPRIM_400000_NS6detail17trampoline_kernelINS0_14default_configENS1_38merge_sort_block_merge_config_selectorIttEEZZNS1_27merge_sort_block_merge_implIS3_N6thrust23THRUST_200600_302600_NS6detail15normal_iteratorINS8_10device_ptrItEEEESD_jNS1_19radix_merge_compareILb0ELb1EtNS0_19identity_decomposerEEEEE10hipError_tT0_T1_T2_jT3_P12ihipStream_tbPNSt15iterator_traitsISI_E10value_typeEPNSO_ISJ_E10value_typeEPSK_NS1_7vsmem_tEENKUlT_SI_SJ_SK_E_clIPtSD_S10_SD_EESH_SX_SI_SJ_SK_EUlSX_E1_NS1_11comp_targetILNS1_3genE9ELNS1_11target_archE1100ELNS1_3gpuE3ELNS1_3repE0EEENS1_36merge_oddeven_config_static_selectorELNS0_4arch9wavefront6targetE1EEEvSJ_.numbered_sgpr, 0
	.set _ZN7rocprim17ROCPRIM_400000_NS6detail17trampoline_kernelINS0_14default_configENS1_38merge_sort_block_merge_config_selectorIttEEZZNS1_27merge_sort_block_merge_implIS3_N6thrust23THRUST_200600_302600_NS6detail15normal_iteratorINS8_10device_ptrItEEEESD_jNS1_19radix_merge_compareILb0ELb1EtNS0_19identity_decomposerEEEEE10hipError_tT0_T1_T2_jT3_P12ihipStream_tbPNSt15iterator_traitsISI_E10value_typeEPNSO_ISJ_E10value_typeEPSK_NS1_7vsmem_tEENKUlT_SI_SJ_SK_E_clIPtSD_S10_SD_EESH_SX_SI_SJ_SK_EUlSX_E1_NS1_11comp_targetILNS1_3genE9ELNS1_11target_archE1100ELNS1_3gpuE3ELNS1_3repE0EEENS1_36merge_oddeven_config_static_selectorELNS0_4arch9wavefront6targetE1EEEvSJ_.num_named_barrier, 0
	.set _ZN7rocprim17ROCPRIM_400000_NS6detail17trampoline_kernelINS0_14default_configENS1_38merge_sort_block_merge_config_selectorIttEEZZNS1_27merge_sort_block_merge_implIS3_N6thrust23THRUST_200600_302600_NS6detail15normal_iteratorINS8_10device_ptrItEEEESD_jNS1_19radix_merge_compareILb0ELb1EtNS0_19identity_decomposerEEEEE10hipError_tT0_T1_T2_jT3_P12ihipStream_tbPNSt15iterator_traitsISI_E10value_typeEPNSO_ISJ_E10value_typeEPSK_NS1_7vsmem_tEENKUlT_SI_SJ_SK_E_clIPtSD_S10_SD_EESH_SX_SI_SJ_SK_EUlSX_E1_NS1_11comp_targetILNS1_3genE9ELNS1_11target_archE1100ELNS1_3gpuE3ELNS1_3repE0EEENS1_36merge_oddeven_config_static_selectorELNS0_4arch9wavefront6targetE1EEEvSJ_.private_seg_size, 0
	.set _ZN7rocprim17ROCPRIM_400000_NS6detail17trampoline_kernelINS0_14default_configENS1_38merge_sort_block_merge_config_selectorIttEEZZNS1_27merge_sort_block_merge_implIS3_N6thrust23THRUST_200600_302600_NS6detail15normal_iteratorINS8_10device_ptrItEEEESD_jNS1_19radix_merge_compareILb0ELb1EtNS0_19identity_decomposerEEEEE10hipError_tT0_T1_T2_jT3_P12ihipStream_tbPNSt15iterator_traitsISI_E10value_typeEPNSO_ISJ_E10value_typeEPSK_NS1_7vsmem_tEENKUlT_SI_SJ_SK_E_clIPtSD_S10_SD_EESH_SX_SI_SJ_SK_EUlSX_E1_NS1_11comp_targetILNS1_3genE9ELNS1_11target_archE1100ELNS1_3gpuE3ELNS1_3repE0EEENS1_36merge_oddeven_config_static_selectorELNS0_4arch9wavefront6targetE1EEEvSJ_.uses_vcc, 0
	.set _ZN7rocprim17ROCPRIM_400000_NS6detail17trampoline_kernelINS0_14default_configENS1_38merge_sort_block_merge_config_selectorIttEEZZNS1_27merge_sort_block_merge_implIS3_N6thrust23THRUST_200600_302600_NS6detail15normal_iteratorINS8_10device_ptrItEEEESD_jNS1_19radix_merge_compareILb0ELb1EtNS0_19identity_decomposerEEEEE10hipError_tT0_T1_T2_jT3_P12ihipStream_tbPNSt15iterator_traitsISI_E10value_typeEPNSO_ISJ_E10value_typeEPSK_NS1_7vsmem_tEENKUlT_SI_SJ_SK_E_clIPtSD_S10_SD_EESH_SX_SI_SJ_SK_EUlSX_E1_NS1_11comp_targetILNS1_3genE9ELNS1_11target_archE1100ELNS1_3gpuE3ELNS1_3repE0EEENS1_36merge_oddeven_config_static_selectorELNS0_4arch9wavefront6targetE1EEEvSJ_.uses_flat_scratch, 0
	.set _ZN7rocprim17ROCPRIM_400000_NS6detail17trampoline_kernelINS0_14default_configENS1_38merge_sort_block_merge_config_selectorIttEEZZNS1_27merge_sort_block_merge_implIS3_N6thrust23THRUST_200600_302600_NS6detail15normal_iteratorINS8_10device_ptrItEEEESD_jNS1_19radix_merge_compareILb0ELb1EtNS0_19identity_decomposerEEEEE10hipError_tT0_T1_T2_jT3_P12ihipStream_tbPNSt15iterator_traitsISI_E10value_typeEPNSO_ISJ_E10value_typeEPSK_NS1_7vsmem_tEENKUlT_SI_SJ_SK_E_clIPtSD_S10_SD_EESH_SX_SI_SJ_SK_EUlSX_E1_NS1_11comp_targetILNS1_3genE9ELNS1_11target_archE1100ELNS1_3gpuE3ELNS1_3repE0EEENS1_36merge_oddeven_config_static_selectorELNS0_4arch9wavefront6targetE1EEEvSJ_.has_dyn_sized_stack, 0
	.set _ZN7rocprim17ROCPRIM_400000_NS6detail17trampoline_kernelINS0_14default_configENS1_38merge_sort_block_merge_config_selectorIttEEZZNS1_27merge_sort_block_merge_implIS3_N6thrust23THRUST_200600_302600_NS6detail15normal_iteratorINS8_10device_ptrItEEEESD_jNS1_19radix_merge_compareILb0ELb1EtNS0_19identity_decomposerEEEEE10hipError_tT0_T1_T2_jT3_P12ihipStream_tbPNSt15iterator_traitsISI_E10value_typeEPNSO_ISJ_E10value_typeEPSK_NS1_7vsmem_tEENKUlT_SI_SJ_SK_E_clIPtSD_S10_SD_EESH_SX_SI_SJ_SK_EUlSX_E1_NS1_11comp_targetILNS1_3genE9ELNS1_11target_archE1100ELNS1_3gpuE3ELNS1_3repE0EEENS1_36merge_oddeven_config_static_selectorELNS0_4arch9wavefront6targetE1EEEvSJ_.has_recursion, 0
	.set _ZN7rocprim17ROCPRIM_400000_NS6detail17trampoline_kernelINS0_14default_configENS1_38merge_sort_block_merge_config_selectorIttEEZZNS1_27merge_sort_block_merge_implIS3_N6thrust23THRUST_200600_302600_NS6detail15normal_iteratorINS8_10device_ptrItEEEESD_jNS1_19radix_merge_compareILb0ELb1EtNS0_19identity_decomposerEEEEE10hipError_tT0_T1_T2_jT3_P12ihipStream_tbPNSt15iterator_traitsISI_E10value_typeEPNSO_ISJ_E10value_typeEPSK_NS1_7vsmem_tEENKUlT_SI_SJ_SK_E_clIPtSD_S10_SD_EESH_SX_SI_SJ_SK_EUlSX_E1_NS1_11comp_targetILNS1_3genE9ELNS1_11target_archE1100ELNS1_3gpuE3ELNS1_3repE0EEENS1_36merge_oddeven_config_static_selectorELNS0_4arch9wavefront6targetE1EEEvSJ_.has_indirect_call, 0
	.section	.AMDGPU.csdata,"",@progbits
; Kernel info:
; codeLenInByte = 0
; TotalNumSgprs: 6
; NumVgprs: 0
; NumAgprs: 0
; TotalNumVgprs: 0
; ScratchSize: 0
; MemoryBound: 0
; FloatMode: 240
; IeeeMode: 1
; LDSByteSize: 0 bytes/workgroup (compile time only)
; SGPRBlocks: 0
; VGPRBlocks: 0
; NumSGPRsForWavesPerEU: 6
; NumVGPRsForWavesPerEU: 1
; AccumOffset: 4
; Occupancy: 8
; WaveLimiterHint : 0
; COMPUTE_PGM_RSRC2:SCRATCH_EN: 0
; COMPUTE_PGM_RSRC2:USER_SGPR: 2
; COMPUTE_PGM_RSRC2:TRAP_HANDLER: 0
; COMPUTE_PGM_RSRC2:TGID_X_EN: 1
; COMPUTE_PGM_RSRC2:TGID_Y_EN: 0
; COMPUTE_PGM_RSRC2:TGID_Z_EN: 0
; COMPUTE_PGM_RSRC2:TIDIG_COMP_CNT: 0
; COMPUTE_PGM_RSRC3_GFX90A:ACCUM_OFFSET: 0
; COMPUTE_PGM_RSRC3_GFX90A:TG_SPLIT: 0
	.section	.text._ZN7rocprim17ROCPRIM_400000_NS6detail17trampoline_kernelINS0_14default_configENS1_38merge_sort_block_merge_config_selectorIttEEZZNS1_27merge_sort_block_merge_implIS3_N6thrust23THRUST_200600_302600_NS6detail15normal_iteratorINS8_10device_ptrItEEEESD_jNS1_19radix_merge_compareILb0ELb1EtNS0_19identity_decomposerEEEEE10hipError_tT0_T1_T2_jT3_P12ihipStream_tbPNSt15iterator_traitsISI_E10value_typeEPNSO_ISJ_E10value_typeEPSK_NS1_7vsmem_tEENKUlT_SI_SJ_SK_E_clIPtSD_S10_SD_EESH_SX_SI_SJ_SK_EUlSX_E1_NS1_11comp_targetILNS1_3genE8ELNS1_11target_archE1030ELNS1_3gpuE2ELNS1_3repE0EEENS1_36merge_oddeven_config_static_selectorELNS0_4arch9wavefront6targetE1EEEvSJ_,"axG",@progbits,_ZN7rocprim17ROCPRIM_400000_NS6detail17trampoline_kernelINS0_14default_configENS1_38merge_sort_block_merge_config_selectorIttEEZZNS1_27merge_sort_block_merge_implIS3_N6thrust23THRUST_200600_302600_NS6detail15normal_iteratorINS8_10device_ptrItEEEESD_jNS1_19radix_merge_compareILb0ELb1EtNS0_19identity_decomposerEEEEE10hipError_tT0_T1_T2_jT3_P12ihipStream_tbPNSt15iterator_traitsISI_E10value_typeEPNSO_ISJ_E10value_typeEPSK_NS1_7vsmem_tEENKUlT_SI_SJ_SK_E_clIPtSD_S10_SD_EESH_SX_SI_SJ_SK_EUlSX_E1_NS1_11comp_targetILNS1_3genE8ELNS1_11target_archE1030ELNS1_3gpuE2ELNS1_3repE0EEENS1_36merge_oddeven_config_static_selectorELNS0_4arch9wavefront6targetE1EEEvSJ_,comdat
	.protected	_ZN7rocprim17ROCPRIM_400000_NS6detail17trampoline_kernelINS0_14default_configENS1_38merge_sort_block_merge_config_selectorIttEEZZNS1_27merge_sort_block_merge_implIS3_N6thrust23THRUST_200600_302600_NS6detail15normal_iteratorINS8_10device_ptrItEEEESD_jNS1_19radix_merge_compareILb0ELb1EtNS0_19identity_decomposerEEEEE10hipError_tT0_T1_T2_jT3_P12ihipStream_tbPNSt15iterator_traitsISI_E10value_typeEPNSO_ISJ_E10value_typeEPSK_NS1_7vsmem_tEENKUlT_SI_SJ_SK_E_clIPtSD_S10_SD_EESH_SX_SI_SJ_SK_EUlSX_E1_NS1_11comp_targetILNS1_3genE8ELNS1_11target_archE1030ELNS1_3gpuE2ELNS1_3repE0EEENS1_36merge_oddeven_config_static_selectorELNS0_4arch9wavefront6targetE1EEEvSJ_ ; -- Begin function _ZN7rocprim17ROCPRIM_400000_NS6detail17trampoline_kernelINS0_14default_configENS1_38merge_sort_block_merge_config_selectorIttEEZZNS1_27merge_sort_block_merge_implIS3_N6thrust23THRUST_200600_302600_NS6detail15normal_iteratorINS8_10device_ptrItEEEESD_jNS1_19radix_merge_compareILb0ELb1EtNS0_19identity_decomposerEEEEE10hipError_tT0_T1_T2_jT3_P12ihipStream_tbPNSt15iterator_traitsISI_E10value_typeEPNSO_ISJ_E10value_typeEPSK_NS1_7vsmem_tEENKUlT_SI_SJ_SK_E_clIPtSD_S10_SD_EESH_SX_SI_SJ_SK_EUlSX_E1_NS1_11comp_targetILNS1_3genE8ELNS1_11target_archE1030ELNS1_3gpuE2ELNS1_3repE0EEENS1_36merge_oddeven_config_static_selectorELNS0_4arch9wavefront6targetE1EEEvSJ_
	.globl	_ZN7rocprim17ROCPRIM_400000_NS6detail17trampoline_kernelINS0_14default_configENS1_38merge_sort_block_merge_config_selectorIttEEZZNS1_27merge_sort_block_merge_implIS3_N6thrust23THRUST_200600_302600_NS6detail15normal_iteratorINS8_10device_ptrItEEEESD_jNS1_19radix_merge_compareILb0ELb1EtNS0_19identity_decomposerEEEEE10hipError_tT0_T1_T2_jT3_P12ihipStream_tbPNSt15iterator_traitsISI_E10value_typeEPNSO_ISJ_E10value_typeEPSK_NS1_7vsmem_tEENKUlT_SI_SJ_SK_E_clIPtSD_S10_SD_EESH_SX_SI_SJ_SK_EUlSX_E1_NS1_11comp_targetILNS1_3genE8ELNS1_11target_archE1030ELNS1_3gpuE2ELNS1_3repE0EEENS1_36merge_oddeven_config_static_selectorELNS0_4arch9wavefront6targetE1EEEvSJ_
	.p2align	8
	.type	_ZN7rocprim17ROCPRIM_400000_NS6detail17trampoline_kernelINS0_14default_configENS1_38merge_sort_block_merge_config_selectorIttEEZZNS1_27merge_sort_block_merge_implIS3_N6thrust23THRUST_200600_302600_NS6detail15normal_iteratorINS8_10device_ptrItEEEESD_jNS1_19radix_merge_compareILb0ELb1EtNS0_19identity_decomposerEEEEE10hipError_tT0_T1_T2_jT3_P12ihipStream_tbPNSt15iterator_traitsISI_E10value_typeEPNSO_ISJ_E10value_typeEPSK_NS1_7vsmem_tEENKUlT_SI_SJ_SK_E_clIPtSD_S10_SD_EESH_SX_SI_SJ_SK_EUlSX_E1_NS1_11comp_targetILNS1_3genE8ELNS1_11target_archE1030ELNS1_3gpuE2ELNS1_3repE0EEENS1_36merge_oddeven_config_static_selectorELNS0_4arch9wavefront6targetE1EEEvSJ_,@function
_ZN7rocprim17ROCPRIM_400000_NS6detail17trampoline_kernelINS0_14default_configENS1_38merge_sort_block_merge_config_selectorIttEEZZNS1_27merge_sort_block_merge_implIS3_N6thrust23THRUST_200600_302600_NS6detail15normal_iteratorINS8_10device_ptrItEEEESD_jNS1_19radix_merge_compareILb0ELb1EtNS0_19identity_decomposerEEEEE10hipError_tT0_T1_T2_jT3_P12ihipStream_tbPNSt15iterator_traitsISI_E10value_typeEPNSO_ISJ_E10value_typeEPSK_NS1_7vsmem_tEENKUlT_SI_SJ_SK_E_clIPtSD_S10_SD_EESH_SX_SI_SJ_SK_EUlSX_E1_NS1_11comp_targetILNS1_3genE8ELNS1_11target_archE1030ELNS1_3gpuE2ELNS1_3repE0EEENS1_36merge_oddeven_config_static_selectorELNS0_4arch9wavefront6targetE1EEEvSJ_: ; @_ZN7rocprim17ROCPRIM_400000_NS6detail17trampoline_kernelINS0_14default_configENS1_38merge_sort_block_merge_config_selectorIttEEZZNS1_27merge_sort_block_merge_implIS3_N6thrust23THRUST_200600_302600_NS6detail15normal_iteratorINS8_10device_ptrItEEEESD_jNS1_19radix_merge_compareILb0ELb1EtNS0_19identity_decomposerEEEEE10hipError_tT0_T1_T2_jT3_P12ihipStream_tbPNSt15iterator_traitsISI_E10value_typeEPNSO_ISJ_E10value_typeEPSK_NS1_7vsmem_tEENKUlT_SI_SJ_SK_E_clIPtSD_S10_SD_EESH_SX_SI_SJ_SK_EUlSX_E1_NS1_11comp_targetILNS1_3genE8ELNS1_11target_archE1030ELNS1_3gpuE2ELNS1_3repE0EEENS1_36merge_oddeven_config_static_selectorELNS0_4arch9wavefront6targetE1EEEvSJ_
; %bb.0:
	.section	.rodata,"a",@progbits
	.p2align	6, 0x0
	.amdhsa_kernel _ZN7rocprim17ROCPRIM_400000_NS6detail17trampoline_kernelINS0_14default_configENS1_38merge_sort_block_merge_config_selectorIttEEZZNS1_27merge_sort_block_merge_implIS3_N6thrust23THRUST_200600_302600_NS6detail15normal_iteratorINS8_10device_ptrItEEEESD_jNS1_19radix_merge_compareILb0ELb1EtNS0_19identity_decomposerEEEEE10hipError_tT0_T1_T2_jT3_P12ihipStream_tbPNSt15iterator_traitsISI_E10value_typeEPNSO_ISJ_E10value_typeEPSK_NS1_7vsmem_tEENKUlT_SI_SJ_SK_E_clIPtSD_S10_SD_EESH_SX_SI_SJ_SK_EUlSX_E1_NS1_11comp_targetILNS1_3genE8ELNS1_11target_archE1030ELNS1_3gpuE2ELNS1_3repE0EEENS1_36merge_oddeven_config_static_selectorELNS0_4arch9wavefront6targetE1EEEvSJ_
		.amdhsa_group_segment_fixed_size 0
		.amdhsa_private_segment_fixed_size 0
		.amdhsa_kernarg_size 48
		.amdhsa_user_sgpr_count 2
		.amdhsa_user_sgpr_dispatch_ptr 0
		.amdhsa_user_sgpr_queue_ptr 0
		.amdhsa_user_sgpr_kernarg_segment_ptr 1
		.amdhsa_user_sgpr_dispatch_id 0
		.amdhsa_user_sgpr_kernarg_preload_length 0
		.amdhsa_user_sgpr_kernarg_preload_offset 0
		.amdhsa_user_sgpr_private_segment_size 0
		.amdhsa_uses_dynamic_stack 0
		.amdhsa_enable_private_segment 0
		.amdhsa_system_sgpr_workgroup_id_x 1
		.amdhsa_system_sgpr_workgroup_id_y 0
		.amdhsa_system_sgpr_workgroup_id_z 0
		.amdhsa_system_sgpr_workgroup_info 0
		.amdhsa_system_vgpr_workitem_id 0
		.amdhsa_next_free_vgpr 1
		.amdhsa_next_free_sgpr 0
		.amdhsa_accum_offset 4
		.amdhsa_reserve_vcc 0
		.amdhsa_float_round_mode_32 0
		.amdhsa_float_round_mode_16_64 0
		.amdhsa_float_denorm_mode_32 3
		.amdhsa_float_denorm_mode_16_64 3
		.amdhsa_dx10_clamp 1
		.amdhsa_ieee_mode 1
		.amdhsa_fp16_overflow 0
		.amdhsa_tg_split 0
		.amdhsa_exception_fp_ieee_invalid_op 0
		.amdhsa_exception_fp_denorm_src 0
		.amdhsa_exception_fp_ieee_div_zero 0
		.amdhsa_exception_fp_ieee_overflow 0
		.amdhsa_exception_fp_ieee_underflow 0
		.amdhsa_exception_fp_ieee_inexact 0
		.amdhsa_exception_int_div_zero 0
	.end_amdhsa_kernel
	.section	.text._ZN7rocprim17ROCPRIM_400000_NS6detail17trampoline_kernelINS0_14default_configENS1_38merge_sort_block_merge_config_selectorIttEEZZNS1_27merge_sort_block_merge_implIS3_N6thrust23THRUST_200600_302600_NS6detail15normal_iteratorINS8_10device_ptrItEEEESD_jNS1_19radix_merge_compareILb0ELb1EtNS0_19identity_decomposerEEEEE10hipError_tT0_T1_T2_jT3_P12ihipStream_tbPNSt15iterator_traitsISI_E10value_typeEPNSO_ISJ_E10value_typeEPSK_NS1_7vsmem_tEENKUlT_SI_SJ_SK_E_clIPtSD_S10_SD_EESH_SX_SI_SJ_SK_EUlSX_E1_NS1_11comp_targetILNS1_3genE8ELNS1_11target_archE1030ELNS1_3gpuE2ELNS1_3repE0EEENS1_36merge_oddeven_config_static_selectorELNS0_4arch9wavefront6targetE1EEEvSJ_,"axG",@progbits,_ZN7rocprim17ROCPRIM_400000_NS6detail17trampoline_kernelINS0_14default_configENS1_38merge_sort_block_merge_config_selectorIttEEZZNS1_27merge_sort_block_merge_implIS3_N6thrust23THRUST_200600_302600_NS6detail15normal_iteratorINS8_10device_ptrItEEEESD_jNS1_19radix_merge_compareILb0ELb1EtNS0_19identity_decomposerEEEEE10hipError_tT0_T1_T2_jT3_P12ihipStream_tbPNSt15iterator_traitsISI_E10value_typeEPNSO_ISJ_E10value_typeEPSK_NS1_7vsmem_tEENKUlT_SI_SJ_SK_E_clIPtSD_S10_SD_EESH_SX_SI_SJ_SK_EUlSX_E1_NS1_11comp_targetILNS1_3genE8ELNS1_11target_archE1030ELNS1_3gpuE2ELNS1_3repE0EEENS1_36merge_oddeven_config_static_selectorELNS0_4arch9wavefront6targetE1EEEvSJ_,comdat
.Lfunc_end922:
	.size	_ZN7rocprim17ROCPRIM_400000_NS6detail17trampoline_kernelINS0_14default_configENS1_38merge_sort_block_merge_config_selectorIttEEZZNS1_27merge_sort_block_merge_implIS3_N6thrust23THRUST_200600_302600_NS6detail15normal_iteratorINS8_10device_ptrItEEEESD_jNS1_19radix_merge_compareILb0ELb1EtNS0_19identity_decomposerEEEEE10hipError_tT0_T1_T2_jT3_P12ihipStream_tbPNSt15iterator_traitsISI_E10value_typeEPNSO_ISJ_E10value_typeEPSK_NS1_7vsmem_tEENKUlT_SI_SJ_SK_E_clIPtSD_S10_SD_EESH_SX_SI_SJ_SK_EUlSX_E1_NS1_11comp_targetILNS1_3genE8ELNS1_11target_archE1030ELNS1_3gpuE2ELNS1_3repE0EEENS1_36merge_oddeven_config_static_selectorELNS0_4arch9wavefront6targetE1EEEvSJ_, .Lfunc_end922-_ZN7rocprim17ROCPRIM_400000_NS6detail17trampoline_kernelINS0_14default_configENS1_38merge_sort_block_merge_config_selectorIttEEZZNS1_27merge_sort_block_merge_implIS3_N6thrust23THRUST_200600_302600_NS6detail15normal_iteratorINS8_10device_ptrItEEEESD_jNS1_19radix_merge_compareILb0ELb1EtNS0_19identity_decomposerEEEEE10hipError_tT0_T1_T2_jT3_P12ihipStream_tbPNSt15iterator_traitsISI_E10value_typeEPNSO_ISJ_E10value_typeEPSK_NS1_7vsmem_tEENKUlT_SI_SJ_SK_E_clIPtSD_S10_SD_EESH_SX_SI_SJ_SK_EUlSX_E1_NS1_11comp_targetILNS1_3genE8ELNS1_11target_archE1030ELNS1_3gpuE2ELNS1_3repE0EEENS1_36merge_oddeven_config_static_selectorELNS0_4arch9wavefront6targetE1EEEvSJ_
                                        ; -- End function
	.set _ZN7rocprim17ROCPRIM_400000_NS6detail17trampoline_kernelINS0_14default_configENS1_38merge_sort_block_merge_config_selectorIttEEZZNS1_27merge_sort_block_merge_implIS3_N6thrust23THRUST_200600_302600_NS6detail15normal_iteratorINS8_10device_ptrItEEEESD_jNS1_19radix_merge_compareILb0ELb1EtNS0_19identity_decomposerEEEEE10hipError_tT0_T1_T2_jT3_P12ihipStream_tbPNSt15iterator_traitsISI_E10value_typeEPNSO_ISJ_E10value_typeEPSK_NS1_7vsmem_tEENKUlT_SI_SJ_SK_E_clIPtSD_S10_SD_EESH_SX_SI_SJ_SK_EUlSX_E1_NS1_11comp_targetILNS1_3genE8ELNS1_11target_archE1030ELNS1_3gpuE2ELNS1_3repE0EEENS1_36merge_oddeven_config_static_selectorELNS0_4arch9wavefront6targetE1EEEvSJ_.num_vgpr, 0
	.set _ZN7rocprim17ROCPRIM_400000_NS6detail17trampoline_kernelINS0_14default_configENS1_38merge_sort_block_merge_config_selectorIttEEZZNS1_27merge_sort_block_merge_implIS3_N6thrust23THRUST_200600_302600_NS6detail15normal_iteratorINS8_10device_ptrItEEEESD_jNS1_19radix_merge_compareILb0ELb1EtNS0_19identity_decomposerEEEEE10hipError_tT0_T1_T2_jT3_P12ihipStream_tbPNSt15iterator_traitsISI_E10value_typeEPNSO_ISJ_E10value_typeEPSK_NS1_7vsmem_tEENKUlT_SI_SJ_SK_E_clIPtSD_S10_SD_EESH_SX_SI_SJ_SK_EUlSX_E1_NS1_11comp_targetILNS1_3genE8ELNS1_11target_archE1030ELNS1_3gpuE2ELNS1_3repE0EEENS1_36merge_oddeven_config_static_selectorELNS0_4arch9wavefront6targetE1EEEvSJ_.num_agpr, 0
	.set _ZN7rocprim17ROCPRIM_400000_NS6detail17trampoline_kernelINS0_14default_configENS1_38merge_sort_block_merge_config_selectorIttEEZZNS1_27merge_sort_block_merge_implIS3_N6thrust23THRUST_200600_302600_NS6detail15normal_iteratorINS8_10device_ptrItEEEESD_jNS1_19radix_merge_compareILb0ELb1EtNS0_19identity_decomposerEEEEE10hipError_tT0_T1_T2_jT3_P12ihipStream_tbPNSt15iterator_traitsISI_E10value_typeEPNSO_ISJ_E10value_typeEPSK_NS1_7vsmem_tEENKUlT_SI_SJ_SK_E_clIPtSD_S10_SD_EESH_SX_SI_SJ_SK_EUlSX_E1_NS1_11comp_targetILNS1_3genE8ELNS1_11target_archE1030ELNS1_3gpuE2ELNS1_3repE0EEENS1_36merge_oddeven_config_static_selectorELNS0_4arch9wavefront6targetE1EEEvSJ_.numbered_sgpr, 0
	.set _ZN7rocprim17ROCPRIM_400000_NS6detail17trampoline_kernelINS0_14default_configENS1_38merge_sort_block_merge_config_selectorIttEEZZNS1_27merge_sort_block_merge_implIS3_N6thrust23THRUST_200600_302600_NS6detail15normal_iteratorINS8_10device_ptrItEEEESD_jNS1_19radix_merge_compareILb0ELb1EtNS0_19identity_decomposerEEEEE10hipError_tT0_T1_T2_jT3_P12ihipStream_tbPNSt15iterator_traitsISI_E10value_typeEPNSO_ISJ_E10value_typeEPSK_NS1_7vsmem_tEENKUlT_SI_SJ_SK_E_clIPtSD_S10_SD_EESH_SX_SI_SJ_SK_EUlSX_E1_NS1_11comp_targetILNS1_3genE8ELNS1_11target_archE1030ELNS1_3gpuE2ELNS1_3repE0EEENS1_36merge_oddeven_config_static_selectorELNS0_4arch9wavefront6targetE1EEEvSJ_.num_named_barrier, 0
	.set _ZN7rocprim17ROCPRIM_400000_NS6detail17trampoline_kernelINS0_14default_configENS1_38merge_sort_block_merge_config_selectorIttEEZZNS1_27merge_sort_block_merge_implIS3_N6thrust23THRUST_200600_302600_NS6detail15normal_iteratorINS8_10device_ptrItEEEESD_jNS1_19radix_merge_compareILb0ELb1EtNS0_19identity_decomposerEEEEE10hipError_tT0_T1_T2_jT3_P12ihipStream_tbPNSt15iterator_traitsISI_E10value_typeEPNSO_ISJ_E10value_typeEPSK_NS1_7vsmem_tEENKUlT_SI_SJ_SK_E_clIPtSD_S10_SD_EESH_SX_SI_SJ_SK_EUlSX_E1_NS1_11comp_targetILNS1_3genE8ELNS1_11target_archE1030ELNS1_3gpuE2ELNS1_3repE0EEENS1_36merge_oddeven_config_static_selectorELNS0_4arch9wavefront6targetE1EEEvSJ_.private_seg_size, 0
	.set _ZN7rocprim17ROCPRIM_400000_NS6detail17trampoline_kernelINS0_14default_configENS1_38merge_sort_block_merge_config_selectorIttEEZZNS1_27merge_sort_block_merge_implIS3_N6thrust23THRUST_200600_302600_NS6detail15normal_iteratorINS8_10device_ptrItEEEESD_jNS1_19radix_merge_compareILb0ELb1EtNS0_19identity_decomposerEEEEE10hipError_tT0_T1_T2_jT3_P12ihipStream_tbPNSt15iterator_traitsISI_E10value_typeEPNSO_ISJ_E10value_typeEPSK_NS1_7vsmem_tEENKUlT_SI_SJ_SK_E_clIPtSD_S10_SD_EESH_SX_SI_SJ_SK_EUlSX_E1_NS1_11comp_targetILNS1_3genE8ELNS1_11target_archE1030ELNS1_3gpuE2ELNS1_3repE0EEENS1_36merge_oddeven_config_static_selectorELNS0_4arch9wavefront6targetE1EEEvSJ_.uses_vcc, 0
	.set _ZN7rocprim17ROCPRIM_400000_NS6detail17trampoline_kernelINS0_14default_configENS1_38merge_sort_block_merge_config_selectorIttEEZZNS1_27merge_sort_block_merge_implIS3_N6thrust23THRUST_200600_302600_NS6detail15normal_iteratorINS8_10device_ptrItEEEESD_jNS1_19radix_merge_compareILb0ELb1EtNS0_19identity_decomposerEEEEE10hipError_tT0_T1_T2_jT3_P12ihipStream_tbPNSt15iterator_traitsISI_E10value_typeEPNSO_ISJ_E10value_typeEPSK_NS1_7vsmem_tEENKUlT_SI_SJ_SK_E_clIPtSD_S10_SD_EESH_SX_SI_SJ_SK_EUlSX_E1_NS1_11comp_targetILNS1_3genE8ELNS1_11target_archE1030ELNS1_3gpuE2ELNS1_3repE0EEENS1_36merge_oddeven_config_static_selectorELNS0_4arch9wavefront6targetE1EEEvSJ_.uses_flat_scratch, 0
	.set _ZN7rocprim17ROCPRIM_400000_NS6detail17trampoline_kernelINS0_14default_configENS1_38merge_sort_block_merge_config_selectorIttEEZZNS1_27merge_sort_block_merge_implIS3_N6thrust23THRUST_200600_302600_NS6detail15normal_iteratorINS8_10device_ptrItEEEESD_jNS1_19radix_merge_compareILb0ELb1EtNS0_19identity_decomposerEEEEE10hipError_tT0_T1_T2_jT3_P12ihipStream_tbPNSt15iterator_traitsISI_E10value_typeEPNSO_ISJ_E10value_typeEPSK_NS1_7vsmem_tEENKUlT_SI_SJ_SK_E_clIPtSD_S10_SD_EESH_SX_SI_SJ_SK_EUlSX_E1_NS1_11comp_targetILNS1_3genE8ELNS1_11target_archE1030ELNS1_3gpuE2ELNS1_3repE0EEENS1_36merge_oddeven_config_static_selectorELNS0_4arch9wavefront6targetE1EEEvSJ_.has_dyn_sized_stack, 0
	.set _ZN7rocprim17ROCPRIM_400000_NS6detail17trampoline_kernelINS0_14default_configENS1_38merge_sort_block_merge_config_selectorIttEEZZNS1_27merge_sort_block_merge_implIS3_N6thrust23THRUST_200600_302600_NS6detail15normal_iteratorINS8_10device_ptrItEEEESD_jNS1_19radix_merge_compareILb0ELb1EtNS0_19identity_decomposerEEEEE10hipError_tT0_T1_T2_jT3_P12ihipStream_tbPNSt15iterator_traitsISI_E10value_typeEPNSO_ISJ_E10value_typeEPSK_NS1_7vsmem_tEENKUlT_SI_SJ_SK_E_clIPtSD_S10_SD_EESH_SX_SI_SJ_SK_EUlSX_E1_NS1_11comp_targetILNS1_3genE8ELNS1_11target_archE1030ELNS1_3gpuE2ELNS1_3repE0EEENS1_36merge_oddeven_config_static_selectorELNS0_4arch9wavefront6targetE1EEEvSJ_.has_recursion, 0
	.set _ZN7rocprim17ROCPRIM_400000_NS6detail17trampoline_kernelINS0_14default_configENS1_38merge_sort_block_merge_config_selectorIttEEZZNS1_27merge_sort_block_merge_implIS3_N6thrust23THRUST_200600_302600_NS6detail15normal_iteratorINS8_10device_ptrItEEEESD_jNS1_19radix_merge_compareILb0ELb1EtNS0_19identity_decomposerEEEEE10hipError_tT0_T1_T2_jT3_P12ihipStream_tbPNSt15iterator_traitsISI_E10value_typeEPNSO_ISJ_E10value_typeEPSK_NS1_7vsmem_tEENKUlT_SI_SJ_SK_E_clIPtSD_S10_SD_EESH_SX_SI_SJ_SK_EUlSX_E1_NS1_11comp_targetILNS1_3genE8ELNS1_11target_archE1030ELNS1_3gpuE2ELNS1_3repE0EEENS1_36merge_oddeven_config_static_selectorELNS0_4arch9wavefront6targetE1EEEvSJ_.has_indirect_call, 0
	.section	.AMDGPU.csdata,"",@progbits
; Kernel info:
; codeLenInByte = 0
; TotalNumSgprs: 6
; NumVgprs: 0
; NumAgprs: 0
; TotalNumVgprs: 0
; ScratchSize: 0
; MemoryBound: 0
; FloatMode: 240
; IeeeMode: 1
; LDSByteSize: 0 bytes/workgroup (compile time only)
; SGPRBlocks: 0
; VGPRBlocks: 0
; NumSGPRsForWavesPerEU: 6
; NumVGPRsForWavesPerEU: 1
; AccumOffset: 4
; Occupancy: 8
; WaveLimiterHint : 0
; COMPUTE_PGM_RSRC2:SCRATCH_EN: 0
; COMPUTE_PGM_RSRC2:USER_SGPR: 2
; COMPUTE_PGM_RSRC2:TRAP_HANDLER: 0
; COMPUTE_PGM_RSRC2:TGID_X_EN: 1
; COMPUTE_PGM_RSRC2:TGID_Y_EN: 0
; COMPUTE_PGM_RSRC2:TGID_Z_EN: 0
; COMPUTE_PGM_RSRC2:TIDIG_COMP_CNT: 0
; COMPUTE_PGM_RSRC3_GFX90A:ACCUM_OFFSET: 0
; COMPUTE_PGM_RSRC3_GFX90A:TG_SPLIT: 0
	.section	.text._ZN7rocprim17ROCPRIM_400000_NS6detail17trampoline_kernelINS0_14default_configENS1_38merge_sort_block_merge_config_selectorIttEEZZNS1_27merge_sort_block_merge_implIS3_N6thrust23THRUST_200600_302600_NS6detail15normal_iteratorINS8_10device_ptrItEEEESD_jNS1_19radix_merge_compareILb0ELb1EtNS0_19identity_decomposerEEEEE10hipError_tT0_T1_T2_jT3_P12ihipStream_tbPNSt15iterator_traitsISI_E10value_typeEPNSO_ISJ_E10value_typeEPSK_NS1_7vsmem_tEENKUlT_SI_SJ_SK_E_clISD_PtSD_S10_EESH_SX_SI_SJ_SK_EUlSX_E_NS1_11comp_targetILNS1_3genE0ELNS1_11target_archE4294967295ELNS1_3gpuE0ELNS1_3repE0EEENS1_48merge_mergepath_partition_config_static_selectorELNS0_4arch9wavefront6targetE1EEEvSJ_,"axG",@progbits,_ZN7rocprim17ROCPRIM_400000_NS6detail17trampoline_kernelINS0_14default_configENS1_38merge_sort_block_merge_config_selectorIttEEZZNS1_27merge_sort_block_merge_implIS3_N6thrust23THRUST_200600_302600_NS6detail15normal_iteratorINS8_10device_ptrItEEEESD_jNS1_19radix_merge_compareILb0ELb1EtNS0_19identity_decomposerEEEEE10hipError_tT0_T1_T2_jT3_P12ihipStream_tbPNSt15iterator_traitsISI_E10value_typeEPNSO_ISJ_E10value_typeEPSK_NS1_7vsmem_tEENKUlT_SI_SJ_SK_E_clISD_PtSD_S10_EESH_SX_SI_SJ_SK_EUlSX_E_NS1_11comp_targetILNS1_3genE0ELNS1_11target_archE4294967295ELNS1_3gpuE0ELNS1_3repE0EEENS1_48merge_mergepath_partition_config_static_selectorELNS0_4arch9wavefront6targetE1EEEvSJ_,comdat
	.protected	_ZN7rocprim17ROCPRIM_400000_NS6detail17trampoline_kernelINS0_14default_configENS1_38merge_sort_block_merge_config_selectorIttEEZZNS1_27merge_sort_block_merge_implIS3_N6thrust23THRUST_200600_302600_NS6detail15normal_iteratorINS8_10device_ptrItEEEESD_jNS1_19radix_merge_compareILb0ELb1EtNS0_19identity_decomposerEEEEE10hipError_tT0_T1_T2_jT3_P12ihipStream_tbPNSt15iterator_traitsISI_E10value_typeEPNSO_ISJ_E10value_typeEPSK_NS1_7vsmem_tEENKUlT_SI_SJ_SK_E_clISD_PtSD_S10_EESH_SX_SI_SJ_SK_EUlSX_E_NS1_11comp_targetILNS1_3genE0ELNS1_11target_archE4294967295ELNS1_3gpuE0ELNS1_3repE0EEENS1_48merge_mergepath_partition_config_static_selectorELNS0_4arch9wavefront6targetE1EEEvSJ_ ; -- Begin function _ZN7rocprim17ROCPRIM_400000_NS6detail17trampoline_kernelINS0_14default_configENS1_38merge_sort_block_merge_config_selectorIttEEZZNS1_27merge_sort_block_merge_implIS3_N6thrust23THRUST_200600_302600_NS6detail15normal_iteratorINS8_10device_ptrItEEEESD_jNS1_19radix_merge_compareILb0ELb1EtNS0_19identity_decomposerEEEEE10hipError_tT0_T1_T2_jT3_P12ihipStream_tbPNSt15iterator_traitsISI_E10value_typeEPNSO_ISJ_E10value_typeEPSK_NS1_7vsmem_tEENKUlT_SI_SJ_SK_E_clISD_PtSD_S10_EESH_SX_SI_SJ_SK_EUlSX_E_NS1_11comp_targetILNS1_3genE0ELNS1_11target_archE4294967295ELNS1_3gpuE0ELNS1_3repE0EEENS1_48merge_mergepath_partition_config_static_selectorELNS0_4arch9wavefront6targetE1EEEvSJ_
	.globl	_ZN7rocprim17ROCPRIM_400000_NS6detail17trampoline_kernelINS0_14default_configENS1_38merge_sort_block_merge_config_selectorIttEEZZNS1_27merge_sort_block_merge_implIS3_N6thrust23THRUST_200600_302600_NS6detail15normal_iteratorINS8_10device_ptrItEEEESD_jNS1_19radix_merge_compareILb0ELb1EtNS0_19identity_decomposerEEEEE10hipError_tT0_T1_T2_jT3_P12ihipStream_tbPNSt15iterator_traitsISI_E10value_typeEPNSO_ISJ_E10value_typeEPSK_NS1_7vsmem_tEENKUlT_SI_SJ_SK_E_clISD_PtSD_S10_EESH_SX_SI_SJ_SK_EUlSX_E_NS1_11comp_targetILNS1_3genE0ELNS1_11target_archE4294967295ELNS1_3gpuE0ELNS1_3repE0EEENS1_48merge_mergepath_partition_config_static_selectorELNS0_4arch9wavefront6targetE1EEEvSJ_
	.p2align	8
	.type	_ZN7rocprim17ROCPRIM_400000_NS6detail17trampoline_kernelINS0_14default_configENS1_38merge_sort_block_merge_config_selectorIttEEZZNS1_27merge_sort_block_merge_implIS3_N6thrust23THRUST_200600_302600_NS6detail15normal_iteratorINS8_10device_ptrItEEEESD_jNS1_19radix_merge_compareILb0ELb1EtNS0_19identity_decomposerEEEEE10hipError_tT0_T1_T2_jT3_P12ihipStream_tbPNSt15iterator_traitsISI_E10value_typeEPNSO_ISJ_E10value_typeEPSK_NS1_7vsmem_tEENKUlT_SI_SJ_SK_E_clISD_PtSD_S10_EESH_SX_SI_SJ_SK_EUlSX_E_NS1_11comp_targetILNS1_3genE0ELNS1_11target_archE4294967295ELNS1_3gpuE0ELNS1_3repE0EEENS1_48merge_mergepath_partition_config_static_selectorELNS0_4arch9wavefront6targetE1EEEvSJ_,@function
_ZN7rocprim17ROCPRIM_400000_NS6detail17trampoline_kernelINS0_14default_configENS1_38merge_sort_block_merge_config_selectorIttEEZZNS1_27merge_sort_block_merge_implIS3_N6thrust23THRUST_200600_302600_NS6detail15normal_iteratorINS8_10device_ptrItEEEESD_jNS1_19radix_merge_compareILb0ELb1EtNS0_19identity_decomposerEEEEE10hipError_tT0_T1_T2_jT3_P12ihipStream_tbPNSt15iterator_traitsISI_E10value_typeEPNSO_ISJ_E10value_typeEPSK_NS1_7vsmem_tEENKUlT_SI_SJ_SK_E_clISD_PtSD_S10_EESH_SX_SI_SJ_SK_EUlSX_E_NS1_11comp_targetILNS1_3genE0ELNS1_11target_archE4294967295ELNS1_3gpuE0ELNS1_3repE0EEENS1_48merge_mergepath_partition_config_static_selectorELNS0_4arch9wavefront6targetE1EEEvSJ_: ; @_ZN7rocprim17ROCPRIM_400000_NS6detail17trampoline_kernelINS0_14default_configENS1_38merge_sort_block_merge_config_selectorIttEEZZNS1_27merge_sort_block_merge_implIS3_N6thrust23THRUST_200600_302600_NS6detail15normal_iteratorINS8_10device_ptrItEEEESD_jNS1_19radix_merge_compareILb0ELb1EtNS0_19identity_decomposerEEEEE10hipError_tT0_T1_T2_jT3_P12ihipStream_tbPNSt15iterator_traitsISI_E10value_typeEPNSO_ISJ_E10value_typeEPSK_NS1_7vsmem_tEENKUlT_SI_SJ_SK_E_clISD_PtSD_S10_EESH_SX_SI_SJ_SK_EUlSX_E_NS1_11comp_targetILNS1_3genE0ELNS1_11target_archE4294967295ELNS1_3gpuE0ELNS1_3repE0EEENS1_48merge_mergepath_partition_config_static_selectorELNS0_4arch9wavefront6targetE1EEEvSJ_
; %bb.0:
	s_load_dword s3, s[0:1], 0x0
	v_lshl_or_b32 v0, s2, 7, v0
	s_waitcnt lgkmcnt(0)
	v_cmp_gt_u32_e32 vcc, s3, v0
	s_and_saveexec_b64 s[2:3], vcc
	s_cbranch_execz .LBB923_6
; %bb.1:
	s_load_dwordx2 s[4:5], s[0:1], 0x4
	s_load_dwordx2 s[2:3], s[0:1], 0x20
	s_waitcnt lgkmcnt(0)
	s_lshr_b32 s6, s4, 9
	s_and_b32 s6, s6, 0x7ffffe
	s_add_i32 s7, s6, -1
	s_sub_i32 s6, 0, s6
	v_and_b32_e32 v1, s6, v0
	v_lshlrev_b32_e32 v1, 10, v1
	v_min_u32_e32 v2, s5, v1
	v_add_u32_e32 v1, s4, v1
	v_min_u32_e32 v4, s5, v1
	v_add_u32_e32 v1, s4, v4
	v_and_b32_e32 v3, s7, v0
	v_min_u32_e32 v1, s5, v1
	v_sub_u32_e32 v5, v1, v2
	v_lshlrev_b32_e32 v3, 10, v3
	v_min_u32_e32 v10, v5, v3
	v_sub_u32_e32 v3, v4, v2
	v_sub_u32_e32 v1, v1, v4
	v_sub_u32_e64 v1, v10, v1 clamp
	v_min_u32_e32 v11, v10, v3
	v_cmp_lt_u32_e32 vcc, v1, v11
	s_and_saveexec_b64 s[4:5], vcc
	s_cbranch_execz .LBB923_5
; %bb.2:
	s_load_dwordx2 s[8:9], s[0:1], 0x10
	s_load_dword s6, s[0:1], 0x18
	v_mov_b32_e32 v5, 0
	v_mov_b32_e32 v3, v5
	s_mov_b64 s[0:1], 0
	s_waitcnt lgkmcnt(0)
	v_lshl_add_u64 v[6:7], v[2:3], 1, s[8:9]
	v_lshl_add_u64 v[8:9], v[4:5], 1, s[8:9]
.LBB923_3:                              ; =>This Inner Loop Header: Depth=1
	v_add_u32_e32 v3, v11, v1
	v_lshrrev_b32_e32 v16, 1, v3
	v_and_b32_e32 v4, -2, v3
	v_mov_b32_e32 v13, v5
	v_xad_u32 v12, v16, -1, v10
	v_lshl_add_u64 v[14:15], v[6:7], 0, v[4:5]
	v_lshl_add_u64 v[12:13], v[12:13], 1, v[8:9]
	flat_load_ushort v3, v[14:15]
	flat_load_ushort v4, v[12:13]
	v_add_u32_e32 v12, 1, v16
	s_waitcnt vmcnt(0) lgkmcnt(0)
	v_and_b32_e32 v3, s6, v3
	v_and_b32_e32 v4, s6, v4
	v_cmp_gt_u16_e32 vcc, v3, v4
	s_nop 1
	v_cndmask_b32_e32 v11, v11, v16, vcc
	v_cndmask_b32_e32 v1, v12, v1, vcc
	v_cmp_ge_u32_e32 vcc, v1, v11
	s_or_b64 s[0:1], vcc, s[0:1]
	s_andn2_b64 exec, exec, s[0:1]
	s_cbranch_execnz .LBB923_3
; %bb.4:
	s_or_b64 exec, exec, s[0:1]
.LBB923_5:
	s_or_b64 exec, exec, s[4:5]
	v_add_u32_e32 v2, v1, v2
	v_mov_b32_e32 v1, 0
	v_lshl_add_u64 v[0:1], v[0:1], 2, s[2:3]
	global_store_dword v[0:1], v2, off
.LBB923_6:
	s_endpgm
	.section	.rodata,"a",@progbits
	.p2align	6, 0x0
	.amdhsa_kernel _ZN7rocprim17ROCPRIM_400000_NS6detail17trampoline_kernelINS0_14default_configENS1_38merge_sort_block_merge_config_selectorIttEEZZNS1_27merge_sort_block_merge_implIS3_N6thrust23THRUST_200600_302600_NS6detail15normal_iteratorINS8_10device_ptrItEEEESD_jNS1_19radix_merge_compareILb0ELb1EtNS0_19identity_decomposerEEEEE10hipError_tT0_T1_T2_jT3_P12ihipStream_tbPNSt15iterator_traitsISI_E10value_typeEPNSO_ISJ_E10value_typeEPSK_NS1_7vsmem_tEENKUlT_SI_SJ_SK_E_clISD_PtSD_S10_EESH_SX_SI_SJ_SK_EUlSX_E_NS1_11comp_targetILNS1_3genE0ELNS1_11target_archE4294967295ELNS1_3gpuE0ELNS1_3repE0EEENS1_48merge_mergepath_partition_config_static_selectorELNS0_4arch9wavefront6targetE1EEEvSJ_
		.amdhsa_group_segment_fixed_size 0
		.amdhsa_private_segment_fixed_size 0
		.amdhsa_kernarg_size 40
		.amdhsa_user_sgpr_count 2
		.amdhsa_user_sgpr_dispatch_ptr 0
		.amdhsa_user_sgpr_queue_ptr 0
		.amdhsa_user_sgpr_kernarg_segment_ptr 1
		.amdhsa_user_sgpr_dispatch_id 0
		.amdhsa_user_sgpr_kernarg_preload_length 0
		.amdhsa_user_sgpr_kernarg_preload_offset 0
		.amdhsa_user_sgpr_private_segment_size 0
		.amdhsa_uses_dynamic_stack 0
		.amdhsa_enable_private_segment 0
		.amdhsa_system_sgpr_workgroup_id_x 1
		.amdhsa_system_sgpr_workgroup_id_y 0
		.amdhsa_system_sgpr_workgroup_id_z 0
		.amdhsa_system_sgpr_workgroup_info 0
		.amdhsa_system_vgpr_workitem_id 0
		.amdhsa_next_free_vgpr 17
		.amdhsa_next_free_sgpr 10
		.amdhsa_accum_offset 20
		.amdhsa_reserve_vcc 1
		.amdhsa_float_round_mode_32 0
		.amdhsa_float_round_mode_16_64 0
		.amdhsa_float_denorm_mode_32 3
		.amdhsa_float_denorm_mode_16_64 3
		.amdhsa_dx10_clamp 1
		.amdhsa_ieee_mode 1
		.amdhsa_fp16_overflow 0
		.amdhsa_tg_split 0
		.amdhsa_exception_fp_ieee_invalid_op 0
		.amdhsa_exception_fp_denorm_src 0
		.amdhsa_exception_fp_ieee_div_zero 0
		.amdhsa_exception_fp_ieee_overflow 0
		.amdhsa_exception_fp_ieee_underflow 0
		.amdhsa_exception_fp_ieee_inexact 0
		.amdhsa_exception_int_div_zero 0
	.end_amdhsa_kernel
	.section	.text._ZN7rocprim17ROCPRIM_400000_NS6detail17trampoline_kernelINS0_14default_configENS1_38merge_sort_block_merge_config_selectorIttEEZZNS1_27merge_sort_block_merge_implIS3_N6thrust23THRUST_200600_302600_NS6detail15normal_iteratorINS8_10device_ptrItEEEESD_jNS1_19radix_merge_compareILb0ELb1EtNS0_19identity_decomposerEEEEE10hipError_tT0_T1_T2_jT3_P12ihipStream_tbPNSt15iterator_traitsISI_E10value_typeEPNSO_ISJ_E10value_typeEPSK_NS1_7vsmem_tEENKUlT_SI_SJ_SK_E_clISD_PtSD_S10_EESH_SX_SI_SJ_SK_EUlSX_E_NS1_11comp_targetILNS1_3genE0ELNS1_11target_archE4294967295ELNS1_3gpuE0ELNS1_3repE0EEENS1_48merge_mergepath_partition_config_static_selectorELNS0_4arch9wavefront6targetE1EEEvSJ_,"axG",@progbits,_ZN7rocprim17ROCPRIM_400000_NS6detail17trampoline_kernelINS0_14default_configENS1_38merge_sort_block_merge_config_selectorIttEEZZNS1_27merge_sort_block_merge_implIS3_N6thrust23THRUST_200600_302600_NS6detail15normal_iteratorINS8_10device_ptrItEEEESD_jNS1_19radix_merge_compareILb0ELb1EtNS0_19identity_decomposerEEEEE10hipError_tT0_T1_T2_jT3_P12ihipStream_tbPNSt15iterator_traitsISI_E10value_typeEPNSO_ISJ_E10value_typeEPSK_NS1_7vsmem_tEENKUlT_SI_SJ_SK_E_clISD_PtSD_S10_EESH_SX_SI_SJ_SK_EUlSX_E_NS1_11comp_targetILNS1_3genE0ELNS1_11target_archE4294967295ELNS1_3gpuE0ELNS1_3repE0EEENS1_48merge_mergepath_partition_config_static_selectorELNS0_4arch9wavefront6targetE1EEEvSJ_,comdat
.Lfunc_end923:
	.size	_ZN7rocprim17ROCPRIM_400000_NS6detail17trampoline_kernelINS0_14default_configENS1_38merge_sort_block_merge_config_selectorIttEEZZNS1_27merge_sort_block_merge_implIS3_N6thrust23THRUST_200600_302600_NS6detail15normal_iteratorINS8_10device_ptrItEEEESD_jNS1_19radix_merge_compareILb0ELb1EtNS0_19identity_decomposerEEEEE10hipError_tT0_T1_T2_jT3_P12ihipStream_tbPNSt15iterator_traitsISI_E10value_typeEPNSO_ISJ_E10value_typeEPSK_NS1_7vsmem_tEENKUlT_SI_SJ_SK_E_clISD_PtSD_S10_EESH_SX_SI_SJ_SK_EUlSX_E_NS1_11comp_targetILNS1_3genE0ELNS1_11target_archE4294967295ELNS1_3gpuE0ELNS1_3repE0EEENS1_48merge_mergepath_partition_config_static_selectorELNS0_4arch9wavefront6targetE1EEEvSJ_, .Lfunc_end923-_ZN7rocprim17ROCPRIM_400000_NS6detail17trampoline_kernelINS0_14default_configENS1_38merge_sort_block_merge_config_selectorIttEEZZNS1_27merge_sort_block_merge_implIS3_N6thrust23THRUST_200600_302600_NS6detail15normal_iteratorINS8_10device_ptrItEEEESD_jNS1_19radix_merge_compareILb0ELb1EtNS0_19identity_decomposerEEEEE10hipError_tT0_T1_T2_jT3_P12ihipStream_tbPNSt15iterator_traitsISI_E10value_typeEPNSO_ISJ_E10value_typeEPSK_NS1_7vsmem_tEENKUlT_SI_SJ_SK_E_clISD_PtSD_S10_EESH_SX_SI_SJ_SK_EUlSX_E_NS1_11comp_targetILNS1_3genE0ELNS1_11target_archE4294967295ELNS1_3gpuE0ELNS1_3repE0EEENS1_48merge_mergepath_partition_config_static_selectorELNS0_4arch9wavefront6targetE1EEEvSJ_
                                        ; -- End function
	.set _ZN7rocprim17ROCPRIM_400000_NS6detail17trampoline_kernelINS0_14default_configENS1_38merge_sort_block_merge_config_selectorIttEEZZNS1_27merge_sort_block_merge_implIS3_N6thrust23THRUST_200600_302600_NS6detail15normal_iteratorINS8_10device_ptrItEEEESD_jNS1_19radix_merge_compareILb0ELb1EtNS0_19identity_decomposerEEEEE10hipError_tT0_T1_T2_jT3_P12ihipStream_tbPNSt15iterator_traitsISI_E10value_typeEPNSO_ISJ_E10value_typeEPSK_NS1_7vsmem_tEENKUlT_SI_SJ_SK_E_clISD_PtSD_S10_EESH_SX_SI_SJ_SK_EUlSX_E_NS1_11comp_targetILNS1_3genE0ELNS1_11target_archE4294967295ELNS1_3gpuE0ELNS1_3repE0EEENS1_48merge_mergepath_partition_config_static_selectorELNS0_4arch9wavefront6targetE1EEEvSJ_.num_vgpr, 17
	.set _ZN7rocprim17ROCPRIM_400000_NS6detail17trampoline_kernelINS0_14default_configENS1_38merge_sort_block_merge_config_selectorIttEEZZNS1_27merge_sort_block_merge_implIS3_N6thrust23THRUST_200600_302600_NS6detail15normal_iteratorINS8_10device_ptrItEEEESD_jNS1_19radix_merge_compareILb0ELb1EtNS0_19identity_decomposerEEEEE10hipError_tT0_T1_T2_jT3_P12ihipStream_tbPNSt15iterator_traitsISI_E10value_typeEPNSO_ISJ_E10value_typeEPSK_NS1_7vsmem_tEENKUlT_SI_SJ_SK_E_clISD_PtSD_S10_EESH_SX_SI_SJ_SK_EUlSX_E_NS1_11comp_targetILNS1_3genE0ELNS1_11target_archE4294967295ELNS1_3gpuE0ELNS1_3repE0EEENS1_48merge_mergepath_partition_config_static_selectorELNS0_4arch9wavefront6targetE1EEEvSJ_.num_agpr, 0
	.set _ZN7rocprim17ROCPRIM_400000_NS6detail17trampoline_kernelINS0_14default_configENS1_38merge_sort_block_merge_config_selectorIttEEZZNS1_27merge_sort_block_merge_implIS3_N6thrust23THRUST_200600_302600_NS6detail15normal_iteratorINS8_10device_ptrItEEEESD_jNS1_19radix_merge_compareILb0ELb1EtNS0_19identity_decomposerEEEEE10hipError_tT0_T1_T2_jT3_P12ihipStream_tbPNSt15iterator_traitsISI_E10value_typeEPNSO_ISJ_E10value_typeEPSK_NS1_7vsmem_tEENKUlT_SI_SJ_SK_E_clISD_PtSD_S10_EESH_SX_SI_SJ_SK_EUlSX_E_NS1_11comp_targetILNS1_3genE0ELNS1_11target_archE4294967295ELNS1_3gpuE0ELNS1_3repE0EEENS1_48merge_mergepath_partition_config_static_selectorELNS0_4arch9wavefront6targetE1EEEvSJ_.numbered_sgpr, 10
	.set _ZN7rocprim17ROCPRIM_400000_NS6detail17trampoline_kernelINS0_14default_configENS1_38merge_sort_block_merge_config_selectorIttEEZZNS1_27merge_sort_block_merge_implIS3_N6thrust23THRUST_200600_302600_NS6detail15normal_iteratorINS8_10device_ptrItEEEESD_jNS1_19radix_merge_compareILb0ELb1EtNS0_19identity_decomposerEEEEE10hipError_tT0_T1_T2_jT3_P12ihipStream_tbPNSt15iterator_traitsISI_E10value_typeEPNSO_ISJ_E10value_typeEPSK_NS1_7vsmem_tEENKUlT_SI_SJ_SK_E_clISD_PtSD_S10_EESH_SX_SI_SJ_SK_EUlSX_E_NS1_11comp_targetILNS1_3genE0ELNS1_11target_archE4294967295ELNS1_3gpuE0ELNS1_3repE0EEENS1_48merge_mergepath_partition_config_static_selectorELNS0_4arch9wavefront6targetE1EEEvSJ_.num_named_barrier, 0
	.set _ZN7rocprim17ROCPRIM_400000_NS6detail17trampoline_kernelINS0_14default_configENS1_38merge_sort_block_merge_config_selectorIttEEZZNS1_27merge_sort_block_merge_implIS3_N6thrust23THRUST_200600_302600_NS6detail15normal_iteratorINS8_10device_ptrItEEEESD_jNS1_19radix_merge_compareILb0ELb1EtNS0_19identity_decomposerEEEEE10hipError_tT0_T1_T2_jT3_P12ihipStream_tbPNSt15iterator_traitsISI_E10value_typeEPNSO_ISJ_E10value_typeEPSK_NS1_7vsmem_tEENKUlT_SI_SJ_SK_E_clISD_PtSD_S10_EESH_SX_SI_SJ_SK_EUlSX_E_NS1_11comp_targetILNS1_3genE0ELNS1_11target_archE4294967295ELNS1_3gpuE0ELNS1_3repE0EEENS1_48merge_mergepath_partition_config_static_selectorELNS0_4arch9wavefront6targetE1EEEvSJ_.private_seg_size, 0
	.set _ZN7rocprim17ROCPRIM_400000_NS6detail17trampoline_kernelINS0_14default_configENS1_38merge_sort_block_merge_config_selectorIttEEZZNS1_27merge_sort_block_merge_implIS3_N6thrust23THRUST_200600_302600_NS6detail15normal_iteratorINS8_10device_ptrItEEEESD_jNS1_19radix_merge_compareILb0ELb1EtNS0_19identity_decomposerEEEEE10hipError_tT0_T1_T2_jT3_P12ihipStream_tbPNSt15iterator_traitsISI_E10value_typeEPNSO_ISJ_E10value_typeEPSK_NS1_7vsmem_tEENKUlT_SI_SJ_SK_E_clISD_PtSD_S10_EESH_SX_SI_SJ_SK_EUlSX_E_NS1_11comp_targetILNS1_3genE0ELNS1_11target_archE4294967295ELNS1_3gpuE0ELNS1_3repE0EEENS1_48merge_mergepath_partition_config_static_selectorELNS0_4arch9wavefront6targetE1EEEvSJ_.uses_vcc, 1
	.set _ZN7rocprim17ROCPRIM_400000_NS6detail17trampoline_kernelINS0_14default_configENS1_38merge_sort_block_merge_config_selectorIttEEZZNS1_27merge_sort_block_merge_implIS3_N6thrust23THRUST_200600_302600_NS6detail15normal_iteratorINS8_10device_ptrItEEEESD_jNS1_19radix_merge_compareILb0ELb1EtNS0_19identity_decomposerEEEEE10hipError_tT0_T1_T2_jT3_P12ihipStream_tbPNSt15iterator_traitsISI_E10value_typeEPNSO_ISJ_E10value_typeEPSK_NS1_7vsmem_tEENKUlT_SI_SJ_SK_E_clISD_PtSD_S10_EESH_SX_SI_SJ_SK_EUlSX_E_NS1_11comp_targetILNS1_3genE0ELNS1_11target_archE4294967295ELNS1_3gpuE0ELNS1_3repE0EEENS1_48merge_mergepath_partition_config_static_selectorELNS0_4arch9wavefront6targetE1EEEvSJ_.uses_flat_scratch, 0
	.set _ZN7rocprim17ROCPRIM_400000_NS6detail17trampoline_kernelINS0_14default_configENS1_38merge_sort_block_merge_config_selectorIttEEZZNS1_27merge_sort_block_merge_implIS3_N6thrust23THRUST_200600_302600_NS6detail15normal_iteratorINS8_10device_ptrItEEEESD_jNS1_19radix_merge_compareILb0ELb1EtNS0_19identity_decomposerEEEEE10hipError_tT0_T1_T2_jT3_P12ihipStream_tbPNSt15iterator_traitsISI_E10value_typeEPNSO_ISJ_E10value_typeEPSK_NS1_7vsmem_tEENKUlT_SI_SJ_SK_E_clISD_PtSD_S10_EESH_SX_SI_SJ_SK_EUlSX_E_NS1_11comp_targetILNS1_3genE0ELNS1_11target_archE4294967295ELNS1_3gpuE0ELNS1_3repE0EEENS1_48merge_mergepath_partition_config_static_selectorELNS0_4arch9wavefront6targetE1EEEvSJ_.has_dyn_sized_stack, 0
	.set _ZN7rocprim17ROCPRIM_400000_NS6detail17trampoline_kernelINS0_14default_configENS1_38merge_sort_block_merge_config_selectorIttEEZZNS1_27merge_sort_block_merge_implIS3_N6thrust23THRUST_200600_302600_NS6detail15normal_iteratorINS8_10device_ptrItEEEESD_jNS1_19radix_merge_compareILb0ELb1EtNS0_19identity_decomposerEEEEE10hipError_tT0_T1_T2_jT3_P12ihipStream_tbPNSt15iterator_traitsISI_E10value_typeEPNSO_ISJ_E10value_typeEPSK_NS1_7vsmem_tEENKUlT_SI_SJ_SK_E_clISD_PtSD_S10_EESH_SX_SI_SJ_SK_EUlSX_E_NS1_11comp_targetILNS1_3genE0ELNS1_11target_archE4294967295ELNS1_3gpuE0ELNS1_3repE0EEENS1_48merge_mergepath_partition_config_static_selectorELNS0_4arch9wavefront6targetE1EEEvSJ_.has_recursion, 0
	.set _ZN7rocprim17ROCPRIM_400000_NS6detail17trampoline_kernelINS0_14default_configENS1_38merge_sort_block_merge_config_selectorIttEEZZNS1_27merge_sort_block_merge_implIS3_N6thrust23THRUST_200600_302600_NS6detail15normal_iteratorINS8_10device_ptrItEEEESD_jNS1_19radix_merge_compareILb0ELb1EtNS0_19identity_decomposerEEEEE10hipError_tT0_T1_T2_jT3_P12ihipStream_tbPNSt15iterator_traitsISI_E10value_typeEPNSO_ISJ_E10value_typeEPSK_NS1_7vsmem_tEENKUlT_SI_SJ_SK_E_clISD_PtSD_S10_EESH_SX_SI_SJ_SK_EUlSX_E_NS1_11comp_targetILNS1_3genE0ELNS1_11target_archE4294967295ELNS1_3gpuE0ELNS1_3repE0EEENS1_48merge_mergepath_partition_config_static_selectorELNS0_4arch9wavefront6targetE1EEEvSJ_.has_indirect_call, 0
	.section	.AMDGPU.csdata,"",@progbits
; Kernel info:
; codeLenInByte = 336
; TotalNumSgprs: 16
; NumVgprs: 17
; NumAgprs: 0
; TotalNumVgprs: 17
; ScratchSize: 0
; MemoryBound: 0
; FloatMode: 240
; IeeeMode: 1
; LDSByteSize: 0 bytes/workgroup (compile time only)
; SGPRBlocks: 1
; VGPRBlocks: 2
; NumSGPRsForWavesPerEU: 16
; NumVGPRsForWavesPerEU: 17
; AccumOffset: 20
; Occupancy: 8
; WaveLimiterHint : 0
; COMPUTE_PGM_RSRC2:SCRATCH_EN: 0
; COMPUTE_PGM_RSRC2:USER_SGPR: 2
; COMPUTE_PGM_RSRC2:TRAP_HANDLER: 0
; COMPUTE_PGM_RSRC2:TGID_X_EN: 1
; COMPUTE_PGM_RSRC2:TGID_Y_EN: 0
; COMPUTE_PGM_RSRC2:TGID_Z_EN: 0
; COMPUTE_PGM_RSRC2:TIDIG_COMP_CNT: 0
; COMPUTE_PGM_RSRC3_GFX90A:ACCUM_OFFSET: 4
; COMPUTE_PGM_RSRC3_GFX90A:TG_SPLIT: 0
	.section	.text._ZN7rocprim17ROCPRIM_400000_NS6detail17trampoline_kernelINS0_14default_configENS1_38merge_sort_block_merge_config_selectorIttEEZZNS1_27merge_sort_block_merge_implIS3_N6thrust23THRUST_200600_302600_NS6detail15normal_iteratorINS8_10device_ptrItEEEESD_jNS1_19radix_merge_compareILb0ELb1EtNS0_19identity_decomposerEEEEE10hipError_tT0_T1_T2_jT3_P12ihipStream_tbPNSt15iterator_traitsISI_E10value_typeEPNSO_ISJ_E10value_typeEPSK_NS1_7vsmem_tEENKUlT_SI_SJ_SK_E_clISD_PtSD_S10_EESH_SX_SI_SJ_SK_EUlSX_E_NS1_11comp_targetILNS1_3genE10ELNS1_11target_archE1201ELNS1_3gpuE5ELNS1_3repE0EEENS1_48merge_mergepath_partition_config_static_selectorELNS0_4arch9wavefront6targetE1EEEvSJ_,"axG",@progbits,_ZN7rocprim17ROCPRIM_400000_NS6detail17trampoline_kernelINS0_14default_configENS1_38merge_sort_block_merge_config_selectorIttEEZZNS1_27merge_sort_block_merge_implIS3_N6thrust23THRUST_200600_302600_NS6detail15normal_iteratorINS8_10device_ptrItEEEESD_jNS1_19radix_merge_compareILb0ELb1EtNS0_19identity_decomposerEEEEE10hipError_tT0_T1_T2_jT3_P12ihipStream_tbPNSt15iterator_traitsISI_E10value_typeEPNSO_ISJ_E10value_typeEPSK_NS1_7vsmem_tEENKUlT_SI_SJ_SK_E_clISD_PtSD_S10_EESH_SX_SI_SJ_SK_EUlSX_E_NS1_11comp_targetILNS1_3genE10ELNS1_11target_archE1201ELNS1_3gpuE5ELNS1_3repE0EEENS1_48merge_mergepath_partition_config_static_selectorELNS0_4arch9wavefront6targetE1EEEvSJ_,comdat
	.protected	_ZN7rocprim17ROCPRIM_400000_NS6detail17trampoline_kernelINS0_14default_configENS1_38merge_sort_block_merge_config_selectorIttEEZZNS1_27merge_sort_block_merge_implIS3_N6thrust23THRUST_200600_302600_NS6detail15normal_iteratorINS8_10device_ptrItEEEESD_jNS1_19radix_merge_compareILb0ELb1EtNS0_19identity_decomposerEEEEE10hipError_tT0_T1_T2_jT3_P12ihipStream_tbPNSt15iterator_traitsISI_E10value_typeEPNSO_ISJ_E10value_typeEPSK_NS1_7vsmem_tEENKUlT_SI_SJ_SK_E_clISD_PtSD_S10_EESH_SX_SI_SJ_SK_EUlSX_E_NS1_11comp_targetILNS1_3genE10ELNS1_11target_archE1201ELNS1_3gpuE5ELNS1_3repE0EEENS1_48merge_mergepath_partition_config_static_selectorELNS0_4arch9wavefront6targetE1EEEvSJ_ ; -- Begin function _ZN7rocprim17ROCPRIM_400000_NS6detail17trampoline_kernelINS0_14default_configENS1_38merge_sort_block_merge_config_selectorIttEEZZNS1_27merge_sort_block_merge_implIS3_N6thrust23THRUST_200600_302600_NS6detail15normal_iteratorINS8_10device_ptrItEEEESD_jNS1_19radix_merge_compareILb0ELb1EtNS0_19identity_decomposerEEEEE10hipError_tT0_T1_T2_jT3_P12ihipStream_tbPNSt15iterator_traitsISI_E10value_typeEPNSO_ISJ_E10value_typeEPSK_NS1_7vsmem_tEENKUlT_SI_SJ_SK_E_clISD_PtSD_S10_EESH_SX_SI_SJ_SK_EUlSX_E_NS1_11comp_targetILNS1_3genE10ELNS1_11target_archE1201ELNS1_3gpuE5ELNS1_3repE0EEENS1_48merge_mergepath_partition_config_static_selectorELNS0_4arch9wavefront6targetE1EEEvSJ_
	.globl	_ZN7rocprim17ROCPRIM_400000_NS6detail17trampoline_kernelINS0_14default_configENS1_38merge_sort_block_merge_config_selectorIttEEZZNS1_27merge_sort_block_merge_implIS3_N6thrust23THRUST_200600_302600_NS6detail15normal_iteratorINS8_10device_ptrItEEEESD_jNS1_19radix_merge_compareILb0ELb1EtNS0_19identity_decomposerEEEEE10hipError_tT0_T1_T2_jT3_P12ihipStream_tbPNSt15iterator_traitsISI_E10value_typeEPNSO_ISJ_E10value_typeEPSK_NS1_7vsmem_tEENKUlT_SI_SJ_SK_E_clISD_PtSD_S10_EESH_SX_SI_SJ_SK_EUlSX_E_NS1_11comp_targetILNS1_3genE10ELNS1_11target_archE1201ELNS1_3gpuE5ELNS1_3repE0EEENS1_48merge_mergepath_partition_config_static_selectorELNS0_4arch9wavefront6targetE1EEEvSJ_
	.p2align	8
	.type	_ZN7rocprim17ROCPRIM_400000_NS6detail17trampoline_kernelINS0_14default_configENS1_38merge_sort_block_merge_config_selectorIttEEZZNS1_27merge_sort_block_merge_implIS3_N6thrust23THRUST_200600_302600_NS6detail15normal_iteratorINS8_10device_ptrItEEEESD_jNS1_19radix_merge_compareILb0ELb1EtNS0_19identity_decomposerEEEEE10hipError_tT0_T1_T2_jT3_P12ihipStream_tbPNSt15iterator_traitsISI_E10value_typeEPNSO_ISJ_E10value_typeEPSK_NS1_7vsmem_tEENKUlT_SI_SJ_SK_E_clISD_PtSD_S10_EESH_SX_SI_SJ_SK_EUlSX_E_NS1_11comp_targetILNS1_3genE10ELNS1_11target_archE1201ELNS1_3gpuE5ELNS1_3repE0EEENS1_48merge_mergepath_partition_config_static_selectorELNS0_4arch9wavefront6targetE1EEEvSJ_,@function
_ZN7rocprim17ROCPRIM_400000_NS6detail17trampoline_kernelINS0_14default_configENS1_38merge_sort_block_merge_config_selectorIttEEZZNS1_27merge_sort_block_merge_implIS3_N6thrust23THRUST_200600_302600_NS6detail15normal_iteratorINS8_10device_ptrItEEEESD_jNS1_19radix_merge_compareILb0ELb1EtNS0_19identity_decomposerEEEEE10hipError_tT0_T1_T2_jT3_P12ihipStream_tbPNSt15iterator_traitsISI_E10value_typeEPNSO_ISJ_E10value_typeEPSK_NS1_7vsmem_tEENKUlT_SI_SJ_SK_E_clISD_PtSD_S10_EESH_SX_SI_SJ_SK_EUlSX_E_NS1_11comp_targetILNS1_3genE10ELNS1_11target_archE1201ELNS1_3gpuE5ELNS1_3repE0EEENS1_48merge_mergepath_partition_config_static_selectorELNS0_4arch9wavefront6targetE1EEEvSJ_: ; @_ZN7rocprim17ROCPRIM_400000_NS6detail17trampoline_kernelINS0_14default_configENS1_38merge_sort_block_merge_config_selectorIttEEZZNS1_27merge_sort_block_merge_implIS3_N6thrust23THRUST_200600_302600_NS6detail15normal_iteratorINS8_10device_ptrItEEEESD_jNS1_19radix_merge_compareILb0ELb1EtNS0_19identity_decomposerEEEEE10hipError_tT0_T1_T2_jT3_P12ihipStream_tbPNSt15iterator_traitsISI_E10value_typeEPNSO_ISJ_E10value_typeEPSK_NS1_7vsmem_tEENKUlT_SI_SJ_SK_E_clISD_PtSD_S10_EESH_SX_SI_SJ_SK_EUlSX_E_NS1_11comp_targetILNS1_3genE10ELNS1_11target_archE1201ELNS1_3gpuE5ELNS1_3repE0EEENS1_48merge_mergepath_partition_config_static_selectorELNS0_4arch9wavefront6targetE1EEEvSJ_
; %bb.0:
	.section	.rodata,"a",@progbits
	.p2align	6, 0x0
	.amdhsa_kernel _ZN7rocprim17ROCPRIM_400000_NS6detail17trampoline_kernelINS0_14default_configENS1_38merge_sort_block_merge_config_selectorIttEEZZNS1_27merge_sort_block_merge_implIS3_N6thrust23THRUST_200600_302600_NS6detail15normal_iteratorINS8_10device_ptrItEEEESD_jNS1_19radix_merge_compareILb0ELb1EtNS0_19identity_decomposerEEEEE10hipError_tT0_T1_T2_jT3_P12ihipStream_tbPNSt15iterator_traitsISI_E10value_typeEPNSO_ISJ_E10value_typeEPSK_NS1_7vsmem_tEENKUlT_SI_SJ_SK_E_clISD_PtSD_S10_EESH_SX_SI_SJ_SK_EUlSX_E_NS1_11comp_targetILNS1_3genE10ELNS1_11target_archE1201ELNS1_3gpuE5ELNS1_3repE0EEENS1_48merge_mergepath_partition_config_static_selectorELNS0_4arch9wavefront6targetE1EEEvSJ_
		.amdhsa_group_segment_fixed_size 0
		.amdhsa_private_segment_fixed_size 0
		.amdhsa_kernarg_size 40
		.amdhsa_user_sgpr_count 2
		.amdhsa_user_sgpr_dispatch_ptr 0
		.amdhsa_user_sgpr_queue_ptr 0
		.amdhsa_user_sgpr_kernarg_segment_ptr 1
		.amdhsa_user_sgpr_dispatch_id 0
		.amdhsa_user_sgpr_kernarg_preload_length 0
		.amdhsa_user_sgpr_kernarg_preload_offset 0
		.amdhsa_user_sgpr_private_segment_size 0
		.amdhsa_uses_dynamic_stack 0
		.amdhsa_enable_private_segment 0
		.amdhsa_system_sgpr_workgroup_id_x 1
		.amdhsa_system_sgpr_workgroup_id_y 0
		.amdhsa_system_sgpr_workgroup_id_z 0
		.amdhsa_system_sgpr_workgroup_info 0
		.amdhsa_system_vgpr_workitem_id 0
		.amdhsa_next_free_vgpr 1
		.amdhsa_next_free_sgpr 0
		.amdhsa_accum_offset 4
		.amdhsa_reserve_vcc 0
		.amdhsa_float_round_mode_32 0
		.amdhsa_float_round_mode_16_64 0
		.amdhsa_float_denorm_mode_32 3
		.amdhsa_float_denorm_mode_16_64 3
		.amdhsa_dx10_clamp 1
		.amdhsa_ieee_mode 1
		.amdhsa_fp16_overflow 0
		.amdhsa_tg_split 0
		.amdhsa_exception_fp_ieee_invalid_op 0
		.amdhsa_exception_fp_denorm_src 0
		.amdhsa_exception_fp_ieee_div_zero 0
		.amdhsa_exception_fp_ieee_overflow 0
		.amdhsa_exception_fp_ieee_underflow 0
		.amdhsa_exception_fp_ieee_inexact 0
		.amdhsa_exception_int_div_zero 0
	.end_amdhsa_kernel
	.section	.text._ZN7rocprim17ROCPRIM_400000_NS6detail17trampoline_kernelINS0_14default_configENS1_38merge_sort_block_merge_config_selectorIttEEZZNS1_27merge_sort_block_merge_implIS3_N6thrust23THRUST_200600_302600_NS6detail15normal_iteratorINS8_10device_ptrItEEEESD_jNS1_19radix_merge_compareILb0ELb1EtNS0_19identity_decomposerEEEEE10hipError_tT0_T1_T2_jT3_P12ihipStream_tbPNSt15iterator_traitsISI_E10value_typeEPNSO_ISJ_E10value_typeEPSK_NS1_7vsmem_tEENKUlT_SI_SJ_SK_E_clISD_PtSD_S10_EESH_SX_SI_SJ_SK_EUlSX_E_NS1_11comp_targetILNS1_3genE10ELNS1_11target_archE1201ELNS1_3gpuE5ELNS1_3repE0EEENS1_48merge_mergepath_partition_config_static_selectorELNS0_4arch9wavefront6targetE1EEEvSJ_,"axG",@progbits,_ZN7rocprim17ROCPRIM_400000_NS6detail17trampoline_kernelINS0_14default_configENS1_38merge_sort_block_merge_config_selectorIttEEZZNS1_27merge_sort_block_merge_implIS3_N6thrust23THRUST_200600_302600_NS6detail15normal_iteratorINS8_10device_ptrItEEEESD_jNS1_19radix_merge_compareILb0ELb1EtNS0_19identity_decomposerEEEEE10hipError_tT0_T1_T2_jT3_P12ihipStream_tbPNSt15iterator_traitsISI_E10value_typeEPNSO_ISJ_E10value_typeEPSK_NS1_7vsmem_tEENKUlT_SI_SJ_SK_E_clISD_PtSD_S10_EESH_SX_SI_SJ_SK_EUlSX_E_NS1_11comp_targetILNS1_3genE10ELNS1_11target_archE1201ELNS1_3gpuE5ELNS1_3repE0EEENS1_48merge_mergepath_partition_config_static_selectorELNS0_4arch9wavefront6targetE1EEEvSJ_,comdat
.Lfunc_end924:
	.size	_ZN7rocprim17ROCPRIM_400000_NS6detail17trampoline_kernelINS0_14default_configENS1_38merge_sort_block_merge_config_selectorIttEEZZNS1_27merge_sort_block_merge_implIS3_N6thrust23THRUST_200600_302600_NS6detail15normal_iteratorINS8_10device_ptrItEEEESD_jNS1_19radix_merge_compareILb0ELb1EtNS0_19identity_decomposerEEEEE10hipError_tT0_T1_T2_jT3_P12ihipStream_tbPNSt15iterator_traitsISI_E10value_typeEPNSO_ISJ_E10value_typeEPSK_NS1_7vsmem_tEENKUlT_SI_SJ_SK_E_clISD_PtSD_S10_EESH_SX_SI_SJ_SK_EUlSX_E_NS1_11comp_targetILNS1_3genE10ELNS1_11target_archE1201ELNS1_3gpuE5ELNS1_3repE0EEENS1_48merge_mergepath_partition_config_static_selectorELNS0_4arch9wavefront6targetE1EEEvSJ_, .Lfunc_end924-_ZN7rocprim17ROCPRIM_400000_NS6detail17trampoline_kernelINS0_14default_configENS1_38merge_sort_block_merge_config_selectorIttEEZZNS1_27merge_sort_block_merge_implIS3_N6thrust23THRUST_200600_302600_NS6detail15normal_iteratorINS8_10device_ptrItEEEESD_jNS1_19radix_merge_compareILb0ELb1EtNS0_19identity_decomposerEEEEE10hipError_tT0_T1_T2_jT3_P12ihipStream_tbPNSt15iterator_traitsISI_E10value_typeEPNSO_ISJ_E10value_typeEPSK_NS1_7vsmem_tEENKUlT_SI_SJ_SK_E_clISD_PtSD_S10_EESH_SX_SI_SJ_SK_EUlSX_E_NS1_11comp_targetILNS1_3genE10ELNS1_11target_archE1201ELNS1_3gpuE5ELNS1_3repE0EEENS1_48merge_mergepath_partition_config_static_selectorELNS0_4arch9wavefront6targetE1EEEvSJ_
                                        ; -- End function
	.set _ZN7rocprim17ROCPRIM_400000_NS6detail17trampoline_kernelINS0_14default_configENS1_38merge_sort_block_merge_config_selectorIttEEZZNS1_27merge_sort_block_merge_implIS3_N6thrust23THRUST_200600_302600_NS6detail15normal_iteratorINS8_10device_ptrItEEEESD_jNS1_19radix_merge_compareILb0ELb1EtNS0_19identity_decomposerEEEEE10hipError_tT0_T1_T2_jT3_P12ihipStream_tbPNSt15iterator_traitsISI_E10value_typeEPNSO_ISJ_E10value_typeEPSK_NS1_7vsmem_tEENKUlT_SI_SJ_SK_E_clISD_PtSD_S10_EESH_SX_SI_SJ_SK_EUlSX_E_NS1_11comp_targetILNS1_3genE10ELNS1_11target_archE1201ELNS1_3gpuE5ELNS1_3repE0EEENS1_48merge_mergepath_partition_config_static_selectorELNS0_4arch9wavefront6targetE1EEEvSJ_.num_vgpr, 0
	.set _ZN7rocprim17ROCPRIM_400000_NS6detail17trampoline_kernelINS0_14default_configENS1_38merge_sort_block_merge_config_selectorIttEEZZNS1_27merge_sort_block_merge_implIS3_N6thrust23THRUST_200600_302600_NS6detail15normal_iteratorINS8_10device_ptrItEEEESD_jNS1_19radix_merge_compareILb0ELb1EtNS0_19identity_decomposerEEEEE10hipError_tT0_T1_T2_jT3_P12ihipStream_tbPNSt15iterator_traitsISI_E10value_typeEPNSO_ISJ_E10value_typeEPSK_NS1_7vsmem_tEENKUlT_SI_SJ_SK_E_clISD_PtSD_S10_EESH_SX_SI_SJ_SK_EUlSX_E_NS1_11comp_targetILNS1_3genE10ELNS1_11target_archE1201ELNS1_3gpuE5ELNS1_3repE0EEENS1_48merge_mergepath_partition_config_static_selectorELNS0_4arch9wavefront6targetE1EEEvSJ_.num_agpr, 0
	.set _ZN7rocprim17ROCPRIM_400000_NS6detail17trampoline_kernelINS0_14default_configENS1_38merge_sort_block_merge_config_selectorIttEEZZNS1_27merge_sort_block_merge_implIS3_N6thrust23THRUST_200600_302600_NS6detail15normal_iteratorINS8_10device_ptrItEEEESD_jNS1_19radix_merge_compareILb0ELb1EtNS0_19identity_decomposerEEEEE10hipError_tT0_T1_T2_jT3_P12ihipStream_tbPNSt15iterator_traitsISI_E10value_typeEPNSO_ISJ_E10value_typeEPSK_NS1_7vsmem_tEENKUlT_SI_SJ_SK_E_clISD_PtSD_S10_EESH_SX_SI_SJ_SK_EUlSX_E_NS1_11comp_targetILNS1_3genE10ELNS1_11target_archE1201ELNS1_3gpuE5ELNS1_3repE0EEENS1_48merge_mergepath_partition_config_static_selectorELNS0_4arch9wavefront6targetE1EEEvSJ_.numbered_sgpr, 0
	.set _ZN7rocprim17ROCPRIM_400000_NS6detail17trampoline_kernelINS0_14default_configENS1_38merge_sort_block_merge_config_selectorIttEEZZNS1_27merge_sort_block_merge_implIS3_N6thrust23THRUST_200600_302600_NS6detail15normal_iteratorINS8_10device_ptrItEEEESD_jNS1_19radix_merge_compareILb0ELb1EtNS0_19identity_decomposerEEEEE10hipError_tT0_T1_T2_jT3_P12ihipStream_tbPNSt15iterator_traitsISI_E10value_typeEPNSO_ISJ_E10value_typeEPSK_NS1_7vsmem_tEENKUlT_SI_SJ_SK_E_clISD_PtSD_S10_EESH_SX_SI_SJ_SK_EUlSX_E_NS1_11comp_targetILNS1_3genE10ELNS1_11target_archE1201ELNS1_3gpuE5ELNS1_3repE0EEENS1_48merge_mergepath_partition_config_static_selectorELNS0_4arch9wavefront6targetE1EEEvSJ_.num_named_barrier, 0
	.set _ZN7rocprim17ROCPRIM_400000_NS6detail17trampoline_kernelINS0_14default_configENS1_38merge_sort_block_merge_config_selectorIttEEZZNS1_27merge_sort_block_merge_implIS3_N6thrust23THRUST_200600_302600_NS6detail15normal_iteratorINS8_10device_ptrItEEEESD_jNS1_19radix_merge_compareILb0ELb1EtNS0_19identity_decomposerEEEEE10hipError_tT0_T1_T2_jT3_P12ihipStream_tbPNSt15iterator_traitsISI_E10value_typeEPNSO_ISJ_E10value_typeEPSK_NS1_7vsmem_tEENKUlT_SI_SJ_SK_E_clISD_PtSD_S10_EESH_SX_SI_SJ_SK_EUlSX_E_NS1_11comp_targetILNS1_3genE10ELNS1_11target_archE1201ELNS1_3gpuE5ELNS1_3repE0EEENS1_48merge_mergepath_partition_config_static_selectorELNS0_4arch9wavefront6targetE1EEEvSJ_.private_seg_size, 0
	.set _ZN7rocprim17ROCPRIM_400000_NS6detail17trampoline_kernelINS0_14default_configENS1_38merge_sort_block_merge_config_selectorIttEEZZNS1_27merge_sort_block_merge_implIS3_N6thrust23THRUST_200600_302600_NS6detail15normal_iteratorINS8_10device_ptrItEEEESD_jNS1_19radix_merge_compareILb0ELb1EtNS0_19identity_decomposerEEEEE10hipError_tT0_T1_T2_jT3_P12ihipStream_tbPNSt15iterator_traitsISI_E10value_typeEPNSO_ISJ_E10value_typeEPSK_NS1_7vsmem_tEENKUlT_SI_SJ_SK_E_clISD_PtSD_S10_EESH_SX_SI_SJ_SK_EUlSX_E_NS1_11comp_targetILNS1_3genE10ELNS1_11target_archE1201ELNS1_3gpuE5ELNS1_3repE0EEENS1_48merge_mergepath_partition_config_static_selectorELNS0_4arch9wavefront6targetE1EEEvSJ_.uses_vcc, 0
	.set _ZN7rocprim17ROCPRIM_400000_NS6detail17trampoline_kernelINS0_14default_configENS1_38merge_sort_block_merge_config_selectorIttEEZZNS1_27merge_sort_block_merge_implIS3_N6thrust23THRUST_200600_302600_NS6detail15normal_iteratorINS8_10device_ptrItEEEESD_jNS1_19radix_merge_compareILb0ELb1EtNS0_19identity_decomposerEEEEE10hipError_tT0_T1_T2_jT3_P12ihipStream_tbPNSt15iterator_traitsISI_E10value_typeEPNSO_ISJ_E10value_typeEPSK_NS1_7vsmem_tEENKUlT_SI_SJ_SK_E_clISD_PtSD_S10_EESH_SX_SI_SJ_SK_EUlSX_E_NS1_11comp_targetILNS1_3genE10ELNS1_11target_archE1201ELNS1_3gpuE5ELNS1_3repE0EEENS1_48merge_mergepath_partition_config_static_selectorELNS0_4arch9wavefront6targetE1EEEvSJ_.uses_flat_scratch, 0
	.set _ZN7rocprim17ROCPRIM_400000_NS6detail17trampoline_kernelINS0_14default_configENS1_38merge_sort_block_merge_config_selectorIttEEZZNS1_27merge_sort_block_merge_implIS3_N6thrust23THRUST_200600_302600_NS6detail15normal_iteratorINS8_10device_ptrItEEEESD_jNS1_19radix_merge_compareILb0ELb1EtNS0_19identity_decomposerEEEEE10hipError_tT0_T1_T2_jT3_P12ihipStream_tbPNSt15iterator_traitsISI_E10value_typeEPNSO_ISJ_E10value_typeEPSK_NS1_7vsmem_tEENKUlT_SI_SJ_SK_E_clISD_PtSD_S10_EESH_SX_SI_SJ_SK_EUlSX_E_NS1_11comp_targetILNS1_3genE10ELNS1_11target_archE1201ELNS1_3gpuE5ELNS1_3repE0EEENS1_48merge_mergepath_partition_config_static_selectorELNS0_4arch9wavefront6targetE1EEEvSJ_.has_dyn_sized_stack, 0
	.set _ZN7rocprim17ROCPRIM_400000_NS6detail17trampoline_kernelINS0_14default_configENS1_38merge_sort_block_merge_config_selectorIttEEZZNS1_27merge_sort_block_merge_implIS3_N6thrust23THRUST_200600_302600_NS6detail15normal_iteratorINS8_10device_ptrItEEEESD_jNS1_19radix_merge_compareILb0ELb1EtNS0_19identity_decomposerEEEEE10hipError_tT0_T1_T2_jT3_P12ihipStream_tbPNSt15iterator_traitsISI_E10value_typeEPNSO_ISJ_E10value_typeEPSK_NS1_7vsmem_tEENKUlT_SI_SJ_SK_E_clISD_PtSD_S10_EESH_SX_SI_SJ_SK_EUlSX_E_NS1_11comp_targetILNS1_3genE10ELNS1_11target_archE1201ELNS1_3gpuE5ELNS1_3repE0EEENS1_48merge_mergepath_partition_config_static_selectorELNS0_4arch9wavefront6targetE1EEEvSJ_.has_recursion, 0
	.set _ZN7rocprim17ROCPRIM_400000_NS6detail17trampoline_kernelINS0_14default_configENS1_38merge_sort_block_merge_config_selectorIttEEZZNS1_27merge_sort_block_merge_implIS3_N6thrust23THRUST_200600_302600_NS6detail15normal_iteratorINS8_10device_ptrItEEEESD_jNS1_19radix_merge_compareILb0ELb1EtNS0_19identity_decomposerEEEEE10hipError_tT0_T1_T2_jT3_P12ihipStream_tbPNSt15iterator_traitsISI_E10value_typeEPNSO_ISJ_E10value_typeEPSK_NS1_7vsmem_tEENKUlT_SI_SJ_SK_E_clISD_PtSD_S10_EESH_SX_SI_SJ_SK_EUlSX_E_NS1_11comp_targetILNS1_3genE10ELNS1_11target_archE1201ELNS1_3gpuE5ELNS1_3repE0EEENS1_48merge_mergepath_partition_config_static_selectorELNS0_4arch9wavefront6targetE1EEEvSJ_.has_indirect_call, 0
	.section	.AMDGPU.csdata,"",@progbits
; Kernel info:
; codeLenInByte = 0
; TotalNumSgprs: 6
; NumVgprs: 0
; NumAgprs: 0
; TotalNumVgprs: 0
; ScratchSize: 0
; MemoryBound: 0
; FloatMode: 240
; IeeeMode: 1
; LDSByteSize: 0 bytes/workgroup (compile time only)
; SGPRBlocks: 0
; VGPRBlocks: 0
; NumSGPRsForWavesPerEU: 6
; NumVGPRsForWavesPerEU: 1
; AccumOffset: 4
; Occupancy: 8
; WaveLimiterHint : 0
; COMPUTE_PGM_RSRC2:SCRATCH_EN: 0
; COMPUTE_PGM_RSRC2:USER_SGPR: 2
; COMPUTE_PGM_RSRC2:TRAP_HANDLER: 0
; COMPUTE_PGM_RSRC2:TGID_X_EN: 1
; COMPUTE_PGM_RSRC2:TGID_Y_EN: 0
; COMPUTE_PGM_RSRC2:TGID_Z_EN: 0
; COMPUTE_PGM_RSRC2:TIDIG_COMP_CNT: 0
; COMPUTE_PGM_RSRC3_GFX90A:ACCUM_OFFSET: 0
; COMPUTE_PGM_RSRC3_GFX90A:TG_SPLIT: 0
	.section	.text._ZN7rocprim17ROCPRIM_400000_NS6detail17trampoline_kernelINS0_14default_configENS1_38merge_sort_block_merge_config_selectorIttEEZZNS1_27merge_sort_block_merge_implIS3_N6thrust23THRUST_200600_302600_NS6detail15normal_iteratorINS8_10device_ptrItEEEESD_jNS1_19radix_merge_compareILb0ELb1EtNS0_19identity_decomposerEEEEE10hipError_tT0_T1_T2_jT3_P12ihipStream_tbPNSt15iterator_traitsISI_E10value_typeEPNSO_ISJ_E10value_typeEPSK_NS1_7vsmem_tEENKUlT_SI_SJ_SK_E_clISD_PtSD_S10_EESH_SX_SI_SJ_SK_EUlSX_E_NS1_11comp_targetILNS1_3genE5ELNS1_11target_archE942ELNS1_3gpuE9ELNS1_3repE0EEENS1_48merge_mergepath_partition_config_static_selectorELNS0_4arch9wavefront6targetE1EEEvSJ_,"axG",@progbits,_ZN7rocprim17ROCPRIM_400000_NS6detail17trampoline_kernelINS0_14default_configENS1_38merge_sort_block_merge_config_selectorIttEEZZNS1_27merge_sort_block_merge_implIS3_N6thrust23THRUST_200600_302600_NS6detail15normal_iteratorINS8_10device_ptrItEEEESD_jNS1_19radix_merge_compareILb0ELb1EtNS0_19identity_decomposerEEEEE10hipError_tT0_T1_T2_jT3_P12ihipStream_tbPNSt15iterator_traitsISI_E10value_typeEPNSO_ISJ_E10value_typeEPSK_NS1_7vsmem_tEENKUlT_SI_SJ_SK_E_clISD_PtSD_S10_EESH_SX_SI_SJ_SK_EUlSX_E_NS1_11comp_targetILNS1_3genE5ELNS1_11target_archE942ELNS1_3gpuE9ELNS1_3repE0EEENS1_48merge_mergepath_partition_config_static_selectorELNS0_4arch9wavefront6targetE1EEEvSJ_,comdat
	.protected	_ZN7rocprim17ROCPRIM_400000_NS6detail17trampoline_kernelINS0_14default_configENS1_38merge_sort_block_merge_config_selectorIttEEZZNS1_27merge_sort_block_merge_implIS3_N6thrust23THRUST_200600_302600_NS6detail15normal_iteratorINS8_10device_ptrItEEEESD_jNS1_19radix_merge_compareILb0ELb1EtNS0_19identity_decomposerEEEEE10hipError_tT0_T1_T2_jT3_P12ihipStream_tbPNSt15iterator_traitsISI_E10value_typeEPNSO_ISJ_E10value_typeEPSK_NS1_7vsmem_tEENKUlT_SI_SJ_SK_E_clISD_PtSD_S10_EESH_SX_SI_SJ_SK_EUlSX_E_NS1_11comp_targetILNS1_3genE5ELNS1_11target_archE942ELNS1_3gpuE9ELNS1_3repE0EEENS1_48merge_mergepath_partition_config_static_selectorELNS0_4arch9wavefront6targetE1EEEvSJ_ ; -- Begin function _ZN7rocprim17ROCPRIM_400000_NS6detail17trampoline_kernelINS0_14default_configENS1_38merge_sort_block_merge_config_selectorIttEEZZNS1_27merge_sort_block_merge_implIS3_N6thrust23THRUST_200600_302600_NS6detail15normal_iteratorINS8_10device_ptrItEEEESD_jNS1_19radix_merge_compareILb0ELb1EtNS0_19identity_decomposerEEEEE10hipError_tT0_T1_T2_jT3_P12ihipStream_tbPNSt15iterator_traitsISI_E10value_typeEPNSO_ISJ_E10value_typeEPSK_NS1_7vsmem_tEENKUlT_SI_SJ_SK_E_clISD_PtSD_S10_EESH_SX_SI_SJ_SK_EUlSX_E_NS1_11comp_targetILNS1_3genE5ELNS1_11target_archE942ELNS1_3gpuE9ELNS1_3repE0EEENS1_48merge_mergepath_partition_config_static_selectorELNS0_4arch9wavefront6targetE1EEEvSJ_
	.globl	_ZN7rocprim17ROCPRIM_400000_NS6detail17trampoline_kernelINS0_14default_configENS1_38merge_sort_block_merge_config_selectorIttEEZZNS1_27merge_sort_block_merge_implIS3_N6thrust23THRUST_200600_302600_NS6detail15normal_iteratorINS8_10device_ptrItEEEESD_jNS1_19radix_merge_compareILb0ELb1EtNS0_19identity_decomposerEEEEE10hipError_tT0_T1_T2_jT3_P12ihipStream_tbPNSt15iterator_traitsISI_E10value_typeEPNSO_ISJ_E10value_typeEPSK_NS1_7vsmem_tEENKUlT_SI_SJ_SK_E_clISD_PtSD_S10_EESH_SX_SI_SJ_SK_EUlSX_E_NS1_11comp_targetILNS1_3genE5ELNS1_11target_archE942ELNS1_3gpuE9ELNS1_3repE0EEENS1_48merge_mergepath_partition_config_static_selectorELNS0_4arch9wavefront6targetE1EEEvSJ_
	.p2align	8
	.type	_ZN7rocprim17ROCPRIM_400000_NS6detail17trampoline_kernelINS0_14default_configENS1_38merge_sort_block_merge_config_selectorIttEEZZNS1_27merge_sort_block_merge_implIS3_N6thrust23THRUST_200600_302600_NS6detail15normal_iteratorINS8_10device_ptrItEEEESD_jNS1_19radix_merge_compareILb0ELb1EtNS0_19identity_decomposerEEEEE10hipError_tT0_T1_T2_jT3_P12ihipStream_tbPNSt15iterator_traitsISI_E10value_typeEPNSO_ISJ_E10value_typeEPSK_NS1_7vsmem_tEENKUlT_SI_SJ_SK_E_clISD_PtSD_S10_EESH_SX_SI_SJ_SK_EUlSX_E_NS1_11comp_targetILNS1_3genE5ELNS1_11target_archE942ELNS1_3gpuE9ELNS1_3repE0EEENS1_48merge_mergepath_partition_config_static_selectorELNS0_4arch9wavefront6targetE1EEEvSJ_,@function
_ZN7rocprim17ROCPRIM_400000_NS6detail17trampoline_kernelINS0_14default_configENS1_38merge_sort_block_merge_config_selectorIttEEZZNS1_27merge_sort_block_merge_implIS3_N6thrust23THRUST_200600_302600_NS6detail15normal_iteratorINS8_10device_ptrItEEEESD_jNS1_19radix_merge_compareILb0ELb1EtNS0_19identity_decomposerEEEEE10hipError_tT0_T1_T2_jT3_P12ihipStream_tbPNSt15iterator_traitsISI_E10value_typeEPNSO_ISJ_E10value_typeEPSK_NS1_7vsmem_tEENKUlT_SI_SJ_SK_E_clISD_PtSD_S10_EESH_SX_SI_SJ_SK_EUlSX_E_NS1_11comp_targetILNS1_3genE5ELNS1_11target_archE942ELNS1_3gpuE9ELNS1_3repE0EEENS1_48merge_mergepath_partition_config_static_selectorELNS0_4arch9wavefront6targetE1EEEvSJ_: ; @_ZN7rocprim17ROCPRIM_400000_NS6detail17trampoline_kernelINS0_14default_configENS1_38merge_sort_block_merge_config_selectorIttEEZZNS1_27merge_sort_block_merge_implIS3_N6thrust23THRUST_200600_302600_NS6detail15normal_iteratorINS8_10device_ptrItEEEESD_jNS1_19radix_merge_compareILb0ELb1EtNS0_19identity_decomposerEEEEE10hipError_tT0_T1_T2_jT3_P12ihipStream_tbPNSt15iterator_traitsISI_E10value_typeEPNSO_ISJ_E10value_typeEPSK_NS1_7vsmem_tEENKUlT_SI_SJ_SK_E_clISD_PtSD_S10_EESH_SX_SI_SJ_SK_EUlSX_E_NS1_11comp_targetILNS1_3genE5ELNS1_11target_archE942ELNS1_3gpuE9ELNS1_3repE0EEENS1_48merge_mergepath_partition_config_static_selectorELNS0_4arch9wavefront6targetE1EEEvSJ_
; %bb.0:
	.section	.rodata,"a",@progbits
	.p2align	6, 0x0
	.amdhsa_kernel _ZN7rocprim17ROCPRIM_400000_NS6detail17trampoline_kernelINS0_14default_configENS1_38merge_sort_block_merge_config_selectorIttEEZZNS1_27merge_sort_block_merge_implIS3_N6thrust23THRUST_200600_302600_NS6detail15normal_iteratorINS8_10device_ptrItEEEESD_jNS1_19radix_merge_compareILb0ELb1EtNS0_19identity_decomposerEEEEE10hipError_tT0_T1_T2_jT3_P12ihipStream_tbPNSt15iterator_traitsISI_E10value_typeEPNSO_ISJ_E10value_typeEPSK_NS1_7vsmem_tEENKUlT_SI_SJ_SK_E_clISD_PtSD_S10_EESH_SX_SI_SJ_SK_EUlSX_E_NS1_11comp_targetILNS1_3genE5ELNS1_11target_archE942ELNS1_3gpuE9ELNS1_3repE0EEENS1_48merge_mergepath_partition_config_static_selectorELNS0_4arch9wavefront6targetE1EEEvSJ_
		.amdhsa_group_segment_fixed_size 0
		.amdhsa_private_segment_fixed_size 0
		.amdhsa_kernarg_size 40
		.amdhsa_user_sgpr_count 2
		.amdhsa_user_sgpr_dispatch_ptr 0
		.amdhsa_user_sgpr_queue_ptr 0
		.amdhsa_user_sgpr_kernarg_segment_ptr 1
		.amdhsa_user_sgpr_dispatch_id 0
		.amdhsa_user_sgpr_kernarg_preload_length 0
		.amdhsa_user_sgpr_kernarg_preload_offset 0
		.amdhsa_user_sgpr_private_segment_size 0
		.amdhsa_uses_dynamic_stack 0
		.amdhsa_enable_private_segment 0
		.amdhsa_system_sgpr_workgroup_id_x 1
		.amdhsa_system_sgpr_workgroup_id_y 0
		.amdhsa_system_sgpr_workgroup_id_z 0
		.amdhsa_system_sgpr_workgroup_info 0
		.amdhsa_system_vgpr_workitem_id 0
		.amdhsa_next_free_vgpr 1
		.amdhsa_next_free_sgpr 0
		.amdhsa_accum_offset 4
		.amdhsa_reserve_vcc 0
		.amdhsa_float_round_mode_32 0
		.amdhsa_float_round_mode_16_64 0
		.amdhsa_float_denorm_mode_32 3
		.amdhsa_float_denorm_mode_16_64 3
		.amdhsa_dx10_clamp 1
		.amdhsa_ieee_mode 1
		.amdhsa_fp16_overflow 0
		.amdhsa_tg_split 0
		.amdhsa_exception_fp_ieee_invalid_op 0
		.amdhsa_exception_fp_denorm_src 0
		.amdhsa_exception_fp_ieee_div_zero 0
		.amdhsa_exception_fp_ieee_overflow 0
		.amdhsa_exception_fp_ieee_underflow 0
		.amdhsa_exception_fp_ieee_inexact 0
		.amdhsa_exception_int_div_zero 0
	.end_amdhsa_kernel
	.section	.text._ZN7rocprim17ROCPRIM_400000_NS6detail17trampoline_kernelINS0_14default_configENS1_38merge_sort_block_merge_config_selectorIttEEZZNS1_27merge_sort_block_merge_implIS3_N6thrust23THRUST_200600_302600_NS6detail15normal_iteratorINS8_10device_ptrItEEEESD_jNS1_19radix_merge_compareILb0ELb1EtNS0_19identity_decomposerEEEEE10hipError_tT0_T1_T2_jT3_P12ihipStream_tbPNSt15iterator_traitsISI_E10value_typeEPNSO_ISJ_E10value_typeEPSK_NS1_7vsmem_tEENKUlT_SI_SJ_SK_E_clISD_PtSD_S10_EESH_SX_SI_SJ_SK_EUlSX_E_NS1_11comp_targetILNS1_3genE5ELNS1_11target_archE942ELNS1_3gpuE9ELNS1_3repE0EEENS1_48merge_mergepath_partition_config_static_selectorELNS0_4arch9wavefront6targetE1EEEvSJ_,"axG",@progbits,_ZN7rocprim17ROCPRIM_400000_NS6detail17trampoline_kernelINS0_14default_configENS1_38merge_sort_block_merge_config_selectorIttEEZZNS1_27merge_sort_block_merge_implIS3_N6thrust23THRUST_200600_302600_NS6detail15normal_iteratorINS8_10device_ptrItEEEESD_jNS1_19radix_merge_compareILb0ELb1EtNS0_19identity_decomposerEEEEE10hipError_tT0_T1_T2_jT3_P12ihipStream_tbPNSt15iterator_traitsISI_E10value_typeEPNSO_ISJ_E10value_typeEPSK_NS1_7vsmem_tEENKUlT_SI_SJ_SK_E_clISD_PtSD_S10_EESH_SX_SI_SJ_SK_EUlSX_E_NS1_11comp_targetILNS1_3genE5ELNS1_11target_archE942ELNS1_3gpuE9ELNS1_3repE0EEENS1_48merge_mergepath_partition_config_static_selectorELNS0_4arch9wavefront6targetE1EEEvSJ_,comdat
.Lfunc_end925:
	.size	_ZN7rocprim17ROCPRIM_400000_NS6detail17trampoline_kernelINS0_14default_configENS1_38merge_sort_block_merge_config_selectorIttEEZZNS1_27merge_sort_block_merge_implIS3_N6thrust23THRUST_200600_302600_NS6detail15normal_iteratorINS8_10device_ptrItEEEESD_jNS1_19radix_merge_compareILb0ELb1EtNS0_19identity_decomposerEEEEE10hipError_tT0_T1_T2_jT3_P12ihipStream_tbPNSt15iterator_traitsISI_E10value_typeEPNSO_ISJ_E10value_typeEPSK_NS1_7vsmem_tEENKUlT_SI_SJ_SK_E_clISD_PtSD_S10_EESH_SX_SI_SJ_SK_EUlSX_E_NS1_11comp_targetILNS1_3genE5ELNS1_11target_archE942ELNS1_3gpuE9ELNS1_3repE0EEENS1_48merge_mergepath_partition_config_static_selectorELNS0_4arch9wavefront6targetE1EEEvSJ_, .Lfunc_end925-_ZN7rocprim17ROCPRIM_400000_NS6detail17trampoline_kernelINS0_14default_configENS1_38merge_sort_block_merge_config_selectorIttEEZZNS1_27merge_sort_block_merge_implIS3_N6thrust23THRUST_200600_302600_NS6detail15normal_iteratorINS8_10device_ptrItEEEESD_jNS1_19radix_merge_compareILb0ELb1EtNS0_19identity_decomposerEEEEE10hipError_tT0_T1_T2_jT3_P12ihipStream_tbPNSt15iterator_traitsISI_E10value_typeEPNSO_ISJ_E10value_typeEPSK_NS1_7vsmem_tEENKUlT_SI_SJ_SK_E_clISD_PtSD_S10_EESH_SX_SI_SJ_SK_EUlSX_E_NS1_11comp_targetILNS1_3genE5ELNS1_11target_archE942ELNS1_3gpuE9ELNS1_3repE0EEENS1_48merge_mergepath_partition_config_static_selectorELNS0_4arch9wavefront6targetE1EEEvSJ_
                                        ; -- End function
	.set _ZN7rocprim17ROCPRIM_400000_NS6detail17trampoline_kernelINS0_14default_configENS1_38merge_sort_block_merge_config_selectorIttEEZZNS1_27merge_sort_block_merge_implIS3_N6thrust23THRUST_200600_302600_NS6detail15normal_iteratorINS8_10device_ptrItEEEESD_jNS1_19radix_merge_compareILb0ELb1EtNS0_19identity_decomposerEEEEE10hipError_tT0_T1_T2_jT3_P12ihipStream_tbPNSt15iterator_traitsISI_E10value_typeEPNSO_ISJ_E10value_typeEPSK_NS1_7vsmem_tEENKUlT_SI_SJ_SK_E_clISD_PtSD_S10_EESH_SX_SI_SJ_SK_EUlSX_E_NS1_11comp_targetILNS1_3genE5ELNS1_11target_archE942ELNS1_3gpuE9ELNS1_3repE0EEENS1_48merge_mergepath_partition_config_static_selectorELNS0_4arch9wavefront6targetE1EEEvSJ_.num_vgpr, 0
	.set _ZN7rocprim17ROCPRIM_400000_NS6detail17trampoline_kernelINS0_14default_configENS1_38merge_sort_block_merge_config_selectorIttEEZZNS1_27merge_sort_block_merge_implIS3_N6thrust23THRUST_200600_302600_NS6detail15normal_iteratorINS8_10device_ptrItEEEESD_jNS1_19radix_merge_compareILb0ELb1EtNS0_19identity_decomposerEEEEE10hipError_tT0_T1_T2_jT3_P12ihipStream_tbPNSt15iterator_traitsISI_E10value_typeEPNSO_ISJ_E10value_typeEPSK_NS1_7vsmem_tEENKUlT_SI_SJ_SK_E_clISD_PtSD_S10_EESH_SX_SI_SJ_SK_EUlSX_E_NS1_11comp_targetILNS1_3genE5ELNS1_11target_archE942ELNS1_3gpuE9ELNS1_3repE0EEENS1_48merge_mergepath_partition_config_static_selectorELNS0_4arch9wavefront6targetE1EEEvSJ_.num_agpr, 0
	.set _ZN7rocprim17ROCPRIM_400000_NS6detail17trampoline_kernelINS0_14default_configENS1_38merge_sort_block_merge_config_selectorIttEEZZNS1_27merge_sort_block_merge_implIS3_N6thrust23THRUST_200600_302600_NS6detail15normal_iteratorINS8_10device_ptrItEEEESD_jNS1_19radix_merge_compareILb0ELb1EtNS0_19identity_decomposerEEEEE10hipError_tT0_T1_T2_jT3_P12ihipStream_tbPNSt15iterator_traitsISI_E10value_typeEPNSO_ISJ_E10value_typeEPSK_NS1_7vsmem_tEENKUlT_SI_SJ_SK_E_clISD_PtSD_S10_EESH_SX_SI_SJ_SK_EUlSX_E_NS1_11comp_targetILNS1_3genE5ELNS1_11target_archE942ELNS1_3gpuE9ELNS1_3repE0EEENS1_48merge_mergepath_partition_config_static_selectorELNS0_4arch9wavefront6targetE1EEEvSJ_.numbered_sgpr, 0
	.set _ZN7rocprim17ROCPRIM_400000_NS6detail17trampoline_kernelINS0_14default_configENS1_38merge_sort_block_merge_config_selectorIttEEZZNS1_27merge_sort_block_merge_implIS3_N6thrust23THRUST_200600_302600_NS6detail15normal_iteratorINS8_10device_ptrItEEEESD_jNS1_19radix_merge_compareILb0ELb1EtNS0_19identity_decomposerEEEEE10hipError_tT0_T1_T2_jT3_P12ihipStream_tbPNSt15iterator_traitsISI_E10value_typeEPNSO_ISJ_E10value_typeEPSK_NS1_7vsmem_tEENKUlT_SI_SJ_SK_E_clISD_PtSD_S10_EESH_SX_SI_SJ_SK_EUlSX_E_NS1_11comp_targetILNS1_3genE5ELNS1_11target_archE942ELNS1_3gpuE9ELNS1_3repE0EEENS1_48merge_mergepath_partition_config_static_selectorELNS0_4arch9wavefront6targetE1EEEvSJ_.num_named_barrier, 0
	.set _ZN7rocprim17ROCPRIM_400000_NS6detail17trampoline_kernelINS0_14default_configENS1_38merge_sort_block_merge_config_selectorIttEEZZNS1_27merge_sort_block_merge_implIS3_N6thrust23THRUST_200600_302600_NS6detail15normal_iteratorINS8_10device_ptrItEEEESD_jNS1_19radix_merge_compareILb0ELb1EtNS0_19identity_decomposerEEEEE10hipError_tT0_T1_T2_jT3_P12ihipStream_tbPNSt15iterator_traitsISI_E10value_typeEPNSO_ISJ_E10value_typeEPSK_NS1_7vsmem_tEENKUlT_SI_SJ_SK_E_clISD_PtSD_S10_EESH_SX_SI_SJ_SK_EUlSX_E_NS1_11comp_targetILNS1_3genE5ELNS1_11target_archE942ELNS1_3gpuE9ELNS1_3repE0EEENS1_48merge_mergepath_partition_config_static_selectorELNS0_4arch9wavefront6targetE1EEEvSJ_.private_seg_size, 0
	.set _ZN7rocprim17ROCPRIM_400000_NS6detail17trampoline_kernelINS0_14default_configENS1_38merge_sort_block_merge_config_selectorIttEEZZNS1_27merge_sort_block_merge_implIS3_N6thrust23THRUST_200600_302600_NS6detail15normal_iteratorINS8_10device_ptrItEEEESD_jNS1_19radix_merge_compareILb0ELb1EtNS0_19identity_decomposerEEEEE10hipError_tT0_T1_T2_jT3_P12ihipStream_tbPNSt15iterator_traitsISI_E10value_typeEPNSO_ISJ_E10value_typeEPSK_NS1_7vsmem_tEENKUlT_SI_SJ_SK_E_clISD_PtSD_S10_EESH_SX_SI_SJ_SK_EUlSX_E_NS1_11comp_targetILNS1_3genE5ELNS1_11target_archE942ELNS1_3gpuE9ELNS1_3repE0EEENS1_48merge_mergepath_partition_config_static_selectorELNS0_4arch9wavefront6targetE1EEEvSJ_.uses_vcc, 0
	.set _ZN7rocprim17ROCPRIM_400000_NS6detail17trampoline_kernelINS0_14default_configENS1_38merge_sort_block_merge_config_selectorIttEEZZNS1_27merge_sort_block_merge_implIS3_N6thrust23THRUST_200600_302600_NS6detail15normal_iteratorINS8_10device_ptrItEEEESD_jNS1_19radix_merge_compareILb0ELb1EtNS0_19identity_decomposerEEEEE10hipError_tT0_T1_T2_jT3_P12ihipStream_tbPNSt15iterator_traitsISI_E10value_typeEPNSO_ISJ_E10value_typeEPSK_NS1_7vsmem_tEENKUlT_SI_SJ_SK_E_clISD_PtSD_S10_EESH_SX_SI_SJ_SK_EUlSX_E_NS1_11comp_targetILNS1_3genE5ELNS1_11target_archE942ELNS1_3gpuE9ELNS1_3repE0EEENS1_48merge_mergepath_partition_config_static_selectorELNS0_4arch9wavefront6targetE1EEEvSJ_.uses_flat_scratch, 0
	.set _ZN7rocprim17ROCPRIM_400000_NS6detail17trampoline_kernelINS0_14default_configENS1_38merge_sort_block_merge_config_selectorIttEEZZNS1_27merge_sort_block_merge_implIS3_N6thrust23THRUST_200600_302600_NS6detail15normal_iteratorINS8_10device_ptrItEEEESD_jNS1_19radix_merge_compareILb0ELb1EtNS0_19identity_decomposerEEEEE10hipError_tT0_T1_T2_jT3_P12ihipStream_tbPNSt15iterator_traitsISI_E10value_typeEPNSO_ISJ_E10value_typeEPSK_NS1_7vsmem_tEENKUlT_SI_SJ_SK_E_clISD_PtSD_S10_EESH_SX_SI_SJ_SK_EUlSX_E_NS1_11comp_targetILNS1_3genE5ELNS1_11target_archE942ELNS1_3gpuE9ELNS1_3repE0EEENS1_48merge_mergepath_partition_config_static_selectorELNS0_4arch9wavefront6targetE1EEEvSJ_.has_dyn_sized_stack, 0
	.set _ZN7rocprim17ROCPRIM_400000_NS6detail17trampoline_kernelINS0_14default_configENS1_38merge_sort_block_merge_config_selectorIttEEZZNS1_27merge_sort_block_merge_implIS3_N6thrust23THRUST_200600_302600_NS6detail15normal_iteratorINS8_10device_ptrItEEEESD_jNS1_19radix_merge_compareILb0ELb1EtNS0_19identity_decomposerEEEEE10hipError_tT0_T1_T2_jT3_P12ihipStream_tbPNSt15iterator_traitsISI_E10value_typeEPNSO_ISJ_E10value_typeEPSK_NS1_7vsmem_tEENKUlT_SI_SJ_SK_E_clISD_PtSD_S10_EESH_SX_SI_SJ_SK_EUlSX_E_NS1_11comp_targetILNS1_3genE5ELNS1_11target_archE942ELNS1_3gpuE9ELNS1_3repE0EEENS1_48merge_mergepath_partition_config_static_selectorELNS0_4arch9wavefront6targetE1EEEvSJ_.has_recursion, 0
	.set _ZN7rocprim17ROCPRIM_400000_NS6detail17trampoline_kernelINS0_14default_configENS1_38merge_sort_block_merge_config_selectorIttEEZZNS1_27merge_sort_block_merge_implIS3_N6thrust23THRUST_200600_302600_NS6detail15normal_iteratorINS8_10device_ptrItEEEESD_jNS1_19radix_merge_compareILb0ELb1EtNS0_19identity_decomposerEEEEE10hipError_tT0_T1_T2_jT3_P12ihipStream_tbPNSt15iterator_traitsISI_E10value_typeEPNSO_ISJ_E10value_typeEPSK_NS1_7vsmem_tEENKUlT_SI_SJ_SK_E_clISD_PtSD_S10_EESH_SX_SI_SJ_SK_EUlSX_E_NS1_11comp_targetILNS1_3genE5ELNS1_11target_archE942ELNS1_3gpuE9ELNS1_3repE0EEENS1_48merge_mergepath_partition_config_static_selectorELNS0_4arch9wavefront6targetE1EEEvSJ_.has_indirect_call, 0
	.section	.AMDGPU.csdata,"",@progbits
; Kernel info:
; codeLenInByte = 0
; TotalNumSgprs: 6
; NumVgprs: 0
; NumAgprs: 0
; TotalNumVgprs: 0
; ScratchSize: 0
; MemoryBound: 0
; FloatMode: 240
; IeeeMode: 1
; LDSByteSize: 0 bytes/workgroup (compile time only)
; SGPRBlocks: 0
; VGPRBlocks: 0
; NumSGPRsForWavesPerEU: 6
; NumVGPRsForWavesPerEU: 1
; AccumOffset: 4
; Occupancy: 8
; WaveLimiterHint : 0
; COMPUTE_PGM_RSRC2:SCRATCH_EN: 0
; COMPUTE_PGM_RSRC2:USER_SGPR: 2
; COMPUTE_PGM_RSRC2:TRAP_HANDLER: 0
; COMPUTE_PGM_RSRC2:TGID_X_EN: 1
; COMPUTE_PGM_RSRC2:TGID_Y_EN: 0
; COMPUTE_PGM_RSRC2:TGID_Z_EN: 0
; COMPUTE_PGM_RSRC2:TIDIG_COMP_CNT: 0
; COMPUTE_PGM_RSRC3_GFX90A:ACCUM_OFFSET: 0
; COMPUTE_PGM_RSRC3_GFX90A:TG_SPLIT: 0
	.section	.text._ZN7rocprim17ROCPRIM_400000_NS6detail17trampoline_kernelINS0_14default_configENS1_38merge_sort_block_merge_config_selectorIttEEZZNS1_27merge_sort_block_merge_implIS3_N6thrust23THRUST_200600_302600_NS6detail15normal_iteratorINS8_10device_ptrItEEEESD_jNS1_19radix_merge_compareILb0ELb1EtNS0_19identity_decomposerEEEEE10hipError_tT0_T1_T2_jT3_P12ihipStream_tbPNSt15iterator_traitsISI_E10value_typeEPNSO_ISJ_E10value_typeEPSK_NS1_7vsmem_tEENKUlT_SI_SJ_SK_E_clISD_PtSD_S10_EESH_SX_SI_SJ_SK_EUlSX_E_NS1_11comp_targetILNS1_3genE4ELNS1_11target_archE910ELNS1_3gpuE8ELNS1_3repE0EEENS1_48merge_mergepath_partition_config_static_selectorELNS0_4arch9wavefront6targetE1EEEvSJ_,"axG",@progbits,_ZN7rocprim17ROCPRIM_400000_NS6detail17trampoline_kernelINS0_14default_configENS1_38merge_sort_block_merge_config_selectorIttEEZZNS1_27merge_sort_block_merge_implIS3_N6thrust23THRUST_200600_302600_NS6detail15normal_iteratorINS8_10device_ptrItEEEESD_jNS1_19radix_merge_compareILb0ELb1EtNS0_19identity_decomposerEEEEE10hipError_tT0_T1_T2_jT3_P12ihipStream_tbPNSt15iterator_traitsISI_E10value_typeEPNSO_ISJ_E10value_typeEPSK_NS1_7vsmem_tEENKUlT_SI_SJ_SK_E_clISD_PtSD_S10_EESH_SX_SI_SJ_SK_EUlSX_E_NS1_11comp_targetILNS1_3genE4ELNS1_11target_archE910ELNS1_3gpuE8ELNS1_3repE0EEENS1_48merge_mergepath_partition_config_static_selectorELNS0_4arch9wavefront6targetE1EEEvSJ_,comdat
	.protected	_ZN7rocprim17ROCPRIM_400000_NS6detail17trampoline_kernelINS0_14default_configENS1_38merge_sort_block_merge_config_selectorIttEEZZNS1_27merge_sort_block_merge_implIS3_N6thrust23THRUST_200600_302600_NS6detail15normal_iteratorINS8_10device_ptrItEEEESD_jNS1_19radix_merge_compareILb0ELb1EtNS0_19identity_decomposerEEEEE10hipError_tT0_T1_T2_jT3_P12ihipStream_tbPNSt15iterator_traitsISI_E10value_typeEPNSO_ISJ_E10value_typeEPSK_NS1_7vsmem_tEENKUlT_SI_SJ_SK_E_clISD_PtSD_S10_EESH_SX_SI_SJ_SK_EUlSX_E_NS1_11comp_targetILNS1_3genE4ELNS1_11target_archE910ELNS1_3gpuE8ELNS1_3repE0EEENS1_48merge_mergepath_partition_config_static_selectorELNS0_4arch9wavefront6targetE1EEEvSJ_ ; -- Begin function _ZN7rocprim17ROCPRIM_400000_NS6detail17trampoline_kernelINS0_14default_configENS1_38merge_sort_block_merge_config_selectorIttEEZZNS1_27merge_sort_block_merge_implIS3_N6thrust23THRUST_200600_302600_NS6detail15normal_iteratorINS8_10device_ptrItEEEESD_jNS1_19radix_merge_compareILb0ELb1EtNS0_19identity_decomposerEEEEE10hipError_tT0_T1_T2_jT3_P12ihipStream_tbPNSt15iterator_traitsISI_E10value_typeEPNSO_ISJ_E10value_typeEPSK_NS1_7vsmem_tEENKUlT_SI_SJ_SK_E_clISD_PtSD_S10_EESH_SX_SI_SJ_SK_EUlSX_E_NS1_11comp_targetILNS1_3genE4ELNS1_11target_archE910ELNS1_3gpuE8ELNS1_3repE0EEENS1_48merge_mergepath_partition_config_static_selectorELNS0_4arch9wavefront6targetE1EEEvSJ_
	.globl	_ZN7rocprim17ROCPRIM_400000_NS6detail17trampoline_kernelINS0_14default_configENS1_38merge_sort_block_merge_config_selectorIttEEZZNS1_27merge_sort_block_merge_implIS3_N6thrust23THRUST_200600_302600_NS6detail15normal_iteratorINS8_10device_ptrItEEEESD_jNS1_19radix_merge_compareILb0ELb1EtNS0_19identity_decomposerEEEEE10hipError_tT0_T1_T2_jT3_P12ihipStream_tbPNSt15iterator_traitsISI_E10value_typeEPNSO_ISJ_E10value_typeEPSK_NS1_7vsmem_tEENKUlT_SI_SJ_SK_E_clISD_PtSD_S10_EESH_SX_SI_SJ_SK_EUlSX_E_NS1_11comp_targetILNS1_3genE4ELNS1_11target_archE910ELNS1_3gpuE8ELNS1_3repE0EEENS1_48merge_mergepath_partition_config_static_selectorELNS0_4arch9wavefront6targetE1EEEvSJ_
	.p2align	8
	.type	_ZN7rocprim17ROCPRIM_400000_NS6detail17trampoline_kernelINS0_14default_configENS1_38merge_sort_block_merge_config_selectorIttEEZZNS1_27merge_sort_block_merge_implIS3_N6thrust23THRUST_200600_302600_NS6detail15normal_iteratorINS8_10device_ptrItEEEESD_jNS1_19radix_merge_compareILb0ELb1EtNS0_19identity_decomposerEEEEE10hipError_tT0_T1_T2_jT3_P12ihipStream_tbPNSt15iterator_traitsISI_E10value_typeEPNSO_ISJ_E10value_typeEPSK_NS1_7vsmem_tEENKUlT_SI_SJ_SK_E_clISD_PtSD_S10_EESH_SX_SI_SJ_SK_EUlSX_E_NS1_11comp_targetILNS1_3genE4ELNS1_11target_archE910ELNS1_3gpuE8ELNS1_3repE0EEENS1_48merge_mergepath_partition_config_static_selectorELNS0_4arch9wavefront6targetE1EEEvSJ_,@function
_ZN7rocprim17ROCPRIM_400000_NS6detail17trampoline_kernelINS0_14default_configENS1_38merge_sort_block_merge_config_selectorIttEEZZNS1_27merge_sort_block_merge_implIS3_N6thrust23THRUST_200600_302600_NS6detail15normal_iteratorINS8_10device_ptrItEEEESD_jNS1_19radix_merge_compareILb0ELb1EtNS0_19identity_decomposerEEEEE10hipError_tT0_T1_T2_jT3_P12ihipStream_tbPNSt15iterator_traitsISI_E10value_typeEPNSO_ISJ_E10value_typeEPSK_NS1_7vsmem_tEENKUlT_SI_SJ_SK_E_clISD_PtSD_S10_EESH_SX_SI_SJ_SK_EUlSX_E_NS1_11comp_targetILNS1_3genE4ELNS1_11target_archE910ELNS1_3gpuE8ELNS1_3repE0EEENS1_48merge_mergepath_partition_config_static_selectorELNS0_4arch9wavefront6targetE1EEEvSJ_: ; @_ZN7rocprim17ROCPRIM_400000_NS6detail17trampoline_kernelINS0_14default_configENS1_38merge_sort_block_merge_config_selectorIttEEZZNS1_27merge_sort_block_merge_implIS3_N6thrust23THRUST_200600_302600_NS6detail15normal_iteratorINS8_10device_ptrItEEEESD_jNS1_19radix_merge_compareILb0ELb1EtNS0_19identity_decomposerEEEEE10hipError_tT0_T1_T2_jT3_P12ihipStream_tbPNSt15iterator_traitsISI_E10value_typeEPNSO_ISJ_E10value_typeEPSK_NS1_7vsmem_tEENKUlT_SI_SJ_SK_E_clISD_PtSD_S10_EESH_SX_SI_SJ_SK_EUlSX_E_NS1_11comp_targetILNS1_3genE4ELNS1_11target_archE910ELNS1_3gpuE8ELNS1_3repE0EEENS1_48merge_mergepath_partition_config_static_selectorELNS0_4arch9wavefront6targetE1EEEvSJ_
; %bb.0:
	.section	.rodata,"a",@progbits
	.p2align	6, 0x0
	.amdhsa_kernel _ZN7rocprim17ROCPRIM_400000_NS6detail17trampoline_kernelINS0_14default_configENS1_38merge_sort_block_merge_config_selectorIttEEZZNS1_27merge_sort_block_merge_implIS3_N6thrust23THRUST_200600_302600_NS6detail15normal_iteratorINS8_10device_ptrItEEEESD_jNS1_19radix_merge_compareILb0ELb1EtNS0_19identity_decomposerEEEEE10hipError_tT0_T1_T2_jT3_P12ihipStream_tbPNSt15iterator_traitsISI_E10value_typeEPNSO_ISJ_E10value_typeEPSK_NS1_7vsmem_tEENKUlT_SI_SJ_SK_E_clISD_PtSD_S10_EESH_SX_SI_SJ_SK_EUlSX_E_NS1_11comp_targetILNS1_3genE4ELNS1_11target_archE910ELNS1_3gpuE8ELNS1_3repE0EEENS1_48merge_mergepath_partition_config_static_selectorELNS0_4arch9wavefront6targetE1EEEvSJ_
		.amdhsa_group_segment_fixed_size 0
		.amdhsa_private_segment_fixed_size 0
		.amdhsa_kernarg_size 40
		.amdhsa_user_sgpr_count 2
		.amdhsa_user_sgpr_dispatch_ptr 0
		.amdhsa_user_sgpr_queue_ptr 0
		.amdhsa_user_sgpr_kernarg_segment_ptr 1
		.amdhsa_user_sgpr_dispatch_id 0
		.amdhsa_user_sgpr_kernarg_preload_length 0
		.amdhsa_user_sgpr_kernarg_preload_offset 0
		.amdhsa_user_sgpr_private_segment_size 0
		.amdhsa_uses_dynamic_stack 0
		.amdhsa_enable_private_segment 0
		.amdhsa_system_sgpr_workgroup_id_x 1
		.amdhsa_system_sgpr_workgroup_id_y 0
		.amdhsa_system_sgpr_workgroup_id_z 0
		.amdhsa_system_sgpr_workgroup_info 0
		.amdhsa_system_vgpr_workitem_id 0
		.amdhsa_next_free_vgpr 1
		.amdhsa_next_free_sgpr 0
		.amdhsa_accum_offset 4
		.amdhsa_reserve_vcc 0
		.amdhsa_float_round_mode_32 0
		.amdhsa_float_round_mode_16_64 0
		.amdhsa_float_denorm_mode_32 3
		.amdhsa_float_denorm_mode_16_64 3
		.amdhsa_dx10_clamp 1
		.amdhsa_ieee_mode 1
		.amdhsa_fp16_overflow 0
		.amdhsa_tg_split 0
		.amdhsa_exception_fp_ieee_invalid_op 0
		.amdhsa_exception_fp_denorm_src 0
		.amdhsa_exception_fp_ieee_div_zero 0
		.amdhsa_exception_fp_ieee_overflow 0
		.amdhsa_exception_fp_ieee_underflow 0
		.amdhsa_exception_fp_ieee_inexact 0
		.amdhsa_exception_int_div_zero 0
	.end_amdhsa_kernel
	.section	.text._ZN7rocprim17ROCPRIM_400000_NS6detail17trampoline_kernelINS0_14default_configENS1_38merge_sort_block_merge_config_selectorIttEEZZNS1_27merge_sort_block_merge_implIS3_N6thrust23THRUST_200600_302600_NS6detail15normal_iteratorINS8_10device_ptrItEEEESD_jNS1_19radix_merge_compareILb0ELb1EtNS0_19identity_decomposerEEEEE10hipError_tT0_T1_T2_jT3_P12ihipStream_tbPNSt15iterator_traitsISI_E10value_typeEPNSO_ISJ_E10value_typeEPSK_NS1_7vsmem_tEENKUlT_SI_SJ_SK_E_clISD_PtSD_S10_EESH_SX_SI_SJ_SK_EUlSX_E_NS1_11comp_targetILNS1_3genE4ELNS1_11target_archE910ELNS1_3gpuE8ELNS1_3repE0EEENS1_48merge_mergepath_partition_config_static_selectorELNS0_4arch9wavefront6targetE1EEEvSJ_,"axG",@progbits,_ZN7rocprim17ROCPRIM_400000_NS6detail17trampoline_kernelINS0_14default_configENS1_38merge_sort_block_merge_config_selectorIttEEZZNS1_27merge_sort_block_merge_implIS3_N6thrust23THRUST_200600_302600_NS6detail15normal_iteratorINS8_10device_ptrItEEEESD_jNS1_19radix_merge_compareILb0ELb1EtNS0_19identity_decomposerEEEEE10hipError_tT0_T1_T2_jT3_P12ihipStream_tbPNSt15iterator_traitsISI_E10value_typeEPNSO_ISJ_E10value_typeEPSK_NS1_7vsmem_tEENKUlT_SI_SJ_SK_E_clISD_PtSD_S10_EESH_SX_SI_SJ_SK_EUlSX_E_NS1_11comp_targetILNS1_3genE4ELNS1_11target_archE910ELNS1_3gpuE8ELNS1_3repE0EEENS1_48merge_mergepath_partition_config_static_selectorELNS0_4arch9wavefront6targetE1EEEvSJ_,comdat
.Lfunc_end926:
	.size	_ZN7rocprim17ROCPRIM_400000_NS6detail17trampoline_kernelINS0_14default_configENS1_38merge_sort_block_merge_config_selectorIttEEZZNS1_27merge_sort_block_merge_implIS3_N6thrust23THRUST_200600_302600_NS6detail15normal_iteratorINS8_10device_ptrItEEEESD_jNS1_19radix_merge_compareILb0ELb1EtNS0_19identity_decomposerEEEEE10hipError_tT0_T1_T2_jT3_P12ihipStream_tbPNSt15iterator_traitsISI_E10value_typeEPNSO_ISJ_E10value_typeEPSK_NS1_7vsmem_tEENKUlT_SI_SJ_SK_E_clISD_PtSD_S10_EESH_SX_SI_SJ_SK_EUlSX_E_NS1_11comp_targetILNS1_3genE4ELNS1_11target_archE910ELNS1_3gpuE8ELNS1_3repE0EEENS1_48merge_mergepath_partition_config_static_selectorELNS0_4arch9wavefront6targetE1EEEvSJ_, .Lfunc_end926-_ZN7rocprim17ROCPRIM_400000_NS6detail17trampoline_kernelINS0_14default_configENS1_38merge_sort_block_merge_config_selectorIttEEZZNS1_27merge_sort_block_merge_implIS3_N6thrust23THRUST_200600_302600_NS6detail15normal_iteratorINS8_10device_ptrItEEEESD_jNS1_19radix_merge_compareILb0ELb1EtNS0_19identity_decomposerEEEEE10hipError_tT0_T1_T2_jT3_P12ihipStream_tbPNSt15iterator_traitsISI_E10value_typeEPNSO_ISJ_E10value_typeEPSK_NS1_7vsmem_tEENKUlT_SI_SJ_SK_E_clISD_PtSD_S10_EESH_SX_SI_SJ_SK_EUlSX_E_NS1_11comp_targetILNS1_3genE4ELNS1_11target_archE910ELNS1_3gpuE8ELNS1_3repE0EEENS1_48merge_mergepath_partition_config_static_selectorELNS0_4arch9wavefront6targetE1EEEvSJ_
                                        ; -- End function
	.set _ZN7rocprim17ROCPRIM_400000_NS6detail17trampoline_kernelINS0_14default_configENS1_38merge_sort_block_merge_config_selectorIttEEZZNS1_27merge_sort_block_merge_implIS3_N6thrust23THRUST_200600_302600_NS6detail15normal_iteratorINS8_10device_ptrItEEEESD_jNS1_19radix_merge_compareILb0ELb1EtNS0_19identity_decomposerEEEEE10hipError_tT0_T1_T2_jT3_P12ihipStream_tbPNSt15iterator_traitsISI_E10value_typeEPNSO_ISJ_E10value_typeEPSK_NS1_7vsmem_tEENKUlT_SI_SJ_SK_E_clISD_PtSD_S10_EESH_SX_SI_SJ_SK_EUlSX_E_NS1_11comp_targetILNS1_3genE4ELNS1_11target_archE910ELNS1_3gpuE8ELNS1_3repE0EEENS1_48merge_mergepath_partition_config_static_selectorELNS0_4arch9wavefront6targetE1EEEvSJ_.num_vgpr, 0
	.set _ZN7rocprim17ROCPRIM_400000_NS6detail17trampoline_kernelINS0_14default_configENS1_38merge_sort_block_merge_config_selectorIttEEZZNS1_27merge_sort_block_merge_implIS3_N6thrust23THRUST_200600_302600_NS6detail15normal_iteratorINS8_10device_ptrItEEEESD_jNS1_19radix_merge_compareILb0ELb1EtNS0_19identity_decomposerEEEEE10hipError_tT0_T1_T2_jT3_P12ihipStream_tbPNSt15iterator_traitsISI_E10value_typeEPNSO_ISJ_E10value_typeEPSK_NS1_7vsmem_tEENKUlT_SI_SJ_SK_E_clISD_PtSD_S10_EESH_SX_SI_SJ_SK_EUlSX_E_NS1_11comp_targetILNS1_3genE4ELNS1_11target_archE910ELNS1_3gpuE8ELNS1_3repE0EEENS1_48merge_mergepath_partition_config_static_selectorELNS0_4arch9wavefront6targetE1EEEvSJ_.num_agpr, 0
	.set _ZN7rocprim17ROCPRIM_400000_NS6detail17trampoline_kernelINS0_14default_configENS1_38merge_sort_block_merge_config_selectorIttEEZZNS1_27merge_sort_block_merge_implIS3_N6thrust23THRUST_200600_302600_NS6detail15normal_iteratorINS8_10device_ptrItEEEESD_jNS1_19radix_merge_compareILb0ELb1EtNS0_19identity_decomposerEEEEE10hipError_tT0_T1_T2_jT3_P12ihipStream_tbPNSt15iterator_traitsISI_E10value_typeEPNSO_ISJ_E10value_typeEPSK_NS1_7vsmem_tEENKUlT_SI_SJ_SK_E_clISD_PtSD_S10_EESH_SX_SI_SJ_SK_EUlSX_E_NS1_11comp_targetILNS1_3genE4ELNS1_11target_archE910ELNS1_3gpuE8ELNS1_3repE0EEENS1_48merge_mergepath_partition_config_static_selectorELNS0_4arch9wavefront6targetE1EEEvSJ_.numbered_sgpr, 0
	.set _ZN7rocprim17ROCPRIM_400000_NS6detail17trampoline_kernelINS0_14default_configENS1_38merge_sort_block_merge_config_selectorIttEEZZNS1_27merge_sort_block_merge_implIS3_N6thrust23THRUST_200600_302600_NS6detail15normal_iteratorINS8_10device_ptrItEEEESD_jNS1_19radix_merge_compareILb0ELb1EtNS0_19identity_decomposerEEEEE10hipError_tT0_T1_T2_jT3_P12ihipStream_tbPNSt15iterator_traitsISI_E10value_typeEPNSO_ISJ_E10value_typeEPSK_NS1_7vsmem_tEENKUlT_SI_SJ_SK_E_clISD_PtSD_S10_EESH_SX_SI_SJ_SK_EUlSX_E_NS1_11comp_targetILNS1_3genE4ELNS1_11target_archE910ELNS1_3gpuE8ELNS1_3repE0EEENS1_48merge_mergepath_partition_config_static_selectorELNS0_4arch9wavefront6targetE1EEEvSJ_.num_named_barrier, 0
	.set _ZN7rocprim17ROCPRIM_400000_NS6detail17trampoline_kernelINS0_14default_configENS1_38merge_sort_block_merge_config_selectorIttEEZZNS1_27merge_sort_block_merge_implIS3_N6thrust23THRUST_200600_302600_NS6detail15normal_iteratorINS8_10device_ptrItEEEESD_jNS1_19radix_merge_compareILb0ELb1EtNS0_19identity_decomposerEEEEE10hipError_tT0_T1_T2_jT3_P12ihipStream_tbPNSt15iterator_traitsISI_E10value_typeEPNSO_ISJ_E10value_typeEPSK_NS1_7vsmem_tEENKUlT_SI_SJ_SK_E_clISD_PtSD_S10_EESH_SX_SI_SJ_SK_EUlSX_E_NS1_11comp_targetILNS1_3genE4ELNS1_11target_archE910ELNS1_3gpuE8ELNS1_3repE0EEENS1_48merge_mergepath_partition_config_static_selectorELNS0_4arch9wavefront6targetE1EEEvSJ_.private_seg_size, 0
	.set _ZN7rocprim17ROCPRIM_400000_NS6detail17trampoline_kernelINS0_14default_configENS1_38merge_sort_block_merge_config_selectorIttEEZZNS1_27merge_sort_block_merge_implIS3_N6thrust23THRUST_200600_302600_NS6detail15normal_iteratorINS8_10device_ptrItEEEESD_jNS1_19radix_merge_compareILb0ELb1EtNS0_19identity_decomposerEEEEE10hipError_tT0_T1_T2_jT3_P12ihipStream_tbPNSt15iterator_traitsISI_E10value_typeEPNSO_ISJ_E10value_typeEPSK_NS1_7vsmem_tEENKUlT_SI_SJ_SK_E_clISD_PtSD_S10_EESH_SX_SI_SJ_SK_EUlSX_E_NS1_11comp_targetILNS1_3genE4ELNS1_11target_archE910ELNS1_3gpuE8ELNS1_3repE0EEENS1_48merge_mergepath_partition_config_static_selectorELNS0_4arch9wavefront6targetE1EEEvSJ_.uses_vcc, 0
	.set _ZN7rocprim17ROCPRIM_400000_NS6detail17trampoline_kernelINS0_14default_configENS1_38merge_sort_block_merge_config_selectorIttEEZZNS1_27merge_sort_block_merge_implIS3_N6thrust23THRUST_200600_302600_NS6detail15normal_iteratorINS8_10device_ptrItEEEESD_jNS1_19radix_merge_compareILb0ELb1EtNS0_19identity_decomposerEEEEE10hipError_tT0_T1_T2_jT3_P12ihipStream_tbPNSt15iterator_traitsISI_E10value_typeEPNSO_ISJ_E10value_typeEPSK_NS1_7vsmem_tEENKUlT_SI_SJ_SK_E_clISD_PtSD_S10_EESH_SX_SI_SJ_SK_EUlSX_E_NS1_11comp_targetILNS1_3genE4ELNS1_11target_archE910ELNS1_3gpuE8ELNS1_3repE0EEENS1_48merge_mergepath_partition_config_static_selectorELNS0_4arch9wavefront6targetE1EEEvSJ_.uses_flat_scratch, 0
	.set _ZN7rocprim17ROCPRIM_400000_NS6detail17trampoline_kernelINS0_14default_configENS1_38merge_sort_block_merge_config_selectorIttEEZZNS1_27merge_sort_block_merge_implIS3_N6thrust23THRUST_200600_302600_NS6detail15normal_iteratorINS8_10device_ptrItEEEESD_jNS1_19radix_merge_compareILb0ELb1EtNS0_19identity_decomposerEEEEE10hipError_tT0_T1_T2_jT3_P12ihipStream_tbPNSt15iterator_traitsISI_E10value_typeEPNSO_ISJ_E10value_typeEPSK_NS1_7vsmem_tEENKUlT_SI_SJ_SK_E_clISD_PtSD_S10_EESH_SX_SI_SJ_SK_EUlSX_E_NS1_11comp_targetILNS1_3genE4ELNS1_11target_archE910ELNS1_3gpuE8ELNS1_3repE0EEENS1_48merge_mergepath_partition_config_static_selectorELNS0_4arch9wavefront6targetE1EEEvSJ_.has_dyn_sized_stack, 0
	.set _ZN7rocprim17ROCPRIM_400000_NS6detail17trampoline_kernelINS0_14default_configENS1_38merge_sort_block_merge_config_selectorIttEEZZNS1_27merge_sort_block_merge_implIS3_N6thrust23THRUST_200600_302600_NS6detail15normal_iteratorINS8_10device_ptrItEEEESD_jNS1_19radix_merge_compareILb0ELb1EtNS0_19identity_decomposerEEEEE10hipError_tT0_T1_T2_jT3_P12ihipStream_tbPNSt15iterator_traitsISI_E10value_typeEPNSO_ISJ_E10value_typeEPSK_NS1_7vsmem_tEENKUlT_SI_SJ_SK_E_clISD_PtSD_S10_EESH_SX_SI_SJ_SK_EUlSX_E_NS1_11comp_targetILNS1_3genE4ELNS1_11target_archE910ELNS1_3gpuE8ELNS1_3repE0EEENS1_48merge_mergepath_partition_config_static_selectorELNS0_4arch9wavefront6targetE1EEEvSJ_.has_recursion, 0
	.set _ZN7rocprim17ROCPRIM_400000_NS6detail17trampoline_kernelINS0_14default_configENS1_38merge_sort_block_merge_config_selectorIttEEZZNS1_27merge_sort_block_merge_implIS3_N6thrust23THRUST_200600_302600_NS6detail15normal_iteratorINS8_10device_ptrItEEEESD_jNS1_19radix_merge_compareILb0ELb1EtNS0_19identity_decomposerEEEEE10hipError_tT0_T1_T2_jT3_P12ihipStream_tbPNSt15iterator_traitsISI_E10value_typeEPNSO_ISJ_E10value_typeEPSK_NS1_7vsmem_tEENKUlT_SI_SJ_SK_E_clISD_PtSD_S10_EESH_SX_SI_SJ_SK_EUlSX_E_NS1_11comp_targetILNS1_3genE4ELNS1_11target_archE910ELNS1_3gpuE8ELNS1_3repE0EEENS1_48merge_mergepath_partition_config_static_selectorELNS0_4arch9wavefront6targetE1EEEvSJ_.has_indirect_call, 0
	.section	.AMDGPU.csdata,"",@progbits
; Kernel info:
; codeLenInByte = 0
; TotalNumSgprs: 6
; NumVgprs: 0
; NumAgprs: 0
; TotalNumVgprs: 0
; ScratchSize: 0
; MemoryBound: 0
; FloatMode: 240
; IeeeMode: 1
; LDSByteSize: 0 bytes/workgroup (compile time only)
; SGPRBlocks: 0
; VGPRBlocks: 0
; NumSGPRsForWavesPerEU: 6
; NumVGPRsForWavesPerEU: 1
; AccumOffset: 4
; Occupancy: 8
; WaveLimiterHint : 0
; COMPUTE_PGM_RSRC2:SCRATCH_EN: 0
; COMPUTE_PGM_RSRC2:USER_SGPR: 2
; COMPUTE_PGM_RSRC2:TRAP_HANDLER: 0
; COMPUTE_PGM_RSRC2:TGID_X_EN: 1
; COMPUTE_PGM_RSRC2:TGID_Y_EN: 0
; COMPUTE_PGM_RSRC2:TGID_Z_EN: 0
; COMPUTE_PGM_RSRC2:TIDIG_COMP_CNT: 0
; COMPUTE_PGM_RSRC3_GFX90A:ACCUM_OFFSET: 0
; COMPUTE_PGM_RSRC3_GFX90A:TG_SPLIT: 0
	.section	.text._ZN7rocprim17ROCPRIM_400000_NS6detail17trampoline_kernelINS0_14default_configENS1_38merge_sort_block_merge_config_selectorIttEEZZNS1_27merge_sort_block_merge_implIS3_N6thrust23THRUST_200600_302600_NS6detail15normal_iteratorINS8_10device_ptrItEEEESD_jNS1_19radix_merge_compareILb0ELb1EtNS0_19identity_decomposerEEEEE10hipError_tT0_T1_T2_jT3_P12ihipStream_tbPNSt15iterator_traitsISI_E10value_typeEPNSO_ISJ_E10value_typeEPSK_NS1_7vsmem_tEENKUlT_SI_SJ_SK_E_clISD_PtSD_S10_EESH_SX_SI_SJ_SK_EUlSX_E_NS1_11comp_targetILNS1_3genE3ELNS1_11target_archE908ELNS1_3gpuE7ELNS1_3repE0EEENS1_48merge_mergepath_partition_config_static_selectorELNS0_4arch9wavefront6targetE1EEEvSJ_,"axG",@progbits,_ZN7rocprim17ROCPRIM_400000_NS6detail17trampoline_kernelINS0_14default_configENS1_38merge_sort_block_merge_config_selectorIttEEZZNS1_27merge_sort_block_merge_implIS3_N6thrust23THRUST_200600_302600_NS6detail15normal_iteratorINS8_10device_ptrItEEEESD_jNS1_19radix_merge_compareILb0ELb1EtNS0_19identity_decomposerEEEEE10hipError_tT0_T1_T2_jT3_P12ihipStream_tbPNSt15iterator_traitsISI_E10value_typeEPNSO_ISJ_E10value_typeEPSK_NS1_7vsmem_tEENKUlT_SI_SJ_SK_E_clISD_PtSD_S10_EESH_SX_SI_SJ_SK_EUlSX_E_NS1_11comp_targetILNS1_3genE3ELNS1_11target_archE908ELNS1_3gpuE7ELNS1_3repE0EEENS1_48merge_mergepath_partition_config_static_selectorELNS0_4arch9wavefront6targetE1EEEvSJ_,comdat
	.protected	_ZN7rocprim17ROCPRIM_400000_NS6detail17trampoline_kernelINS0_14default_configENS1_38merge_sort_block_merge_config_selectorIttEEZZNS1_27merge_sort_block_merge_implIS3_N6thrust23THRUST_200600_302600_NS6detail15normal_iteratorINS8_10device_ptrItEEEESD_jNS1_19radix_merge_compareILb0ELb1EtNS0_19identity_decomposerEEEEE10hipError_tT0_T1_T2_jT3_P12ihipStream_tbPNSt15iterator_traitsISI_E10value_typeEPNSO_ISJ_E10value_typeEPSK_NS1_7vsmem_tEENKUlT_SI_SJ_SK_E_clISD_PtSD_S10_EESH_SX_SI_SJ_SK_EUlSX_E_NS1_11comp_targetILNS1_3genE3ELNS1_11target_archE908ELNS1_3gpuE7ELNS1_3repE0EEENS1_48merge_mergepath_partition_config_static_selectorELNS0_4arch9wavefront6targetE1EEEvSJ_ ; -- Begin function _ZN7rocprim17ROCPRIM_400000_NS6detail17trampoline_kernelINS0_14default_configENS1_38merge_sort_block_merge_config_selectorIttEEZZNS1_27merge_sort_block_merge_implIS3_N6thrust23THRUST_200600_302600_NS6detail15normal_iteratorINS8_10device_ptrItEEEESD_jNS1_19radix_merge_compareILb0ELb1EtNS0_19identity_decomposerEEEEE10hipError_tT0_T1_T2_jT3_P12ihipStream_tbPNSt15iterator_traitsISI_E10value_typeEPNSO_ISJ_E10value_typeEPSK_NS1_7vsmem_tEENKUlT_SI_SJ_SK_E_clISD_PtSD_S10_EESH_SX_SI_SJ_SK_EUlSX_E_NS1_11comp_targetILNS1_3genE3ELNS1_11target_archE908ELNS1_3gpuE7ELNS1_3repE0EEENS1_48merge_mergepath_partition_config_static_selectorELNS0_4arch9wavefront6targetE1EEEvSJ_
	.globl	_ZN7rocprim17ROCPRIM_400000_NS6detail17trampoline_kernelINS0_14default_configENS1_38merge_sort_block_merge_config_selectorIttEEZZNS1_27merge_sort_block_merge_implIS3_N6thrust23THRUST_200600_302600_NS6detail15normal_iteratorINS8_10device_ptrItEEEESD_jNS1_19radix_merge_compareILb0ELb1EtNS0_19identity_decomposerEEEEE10hipError_tT0_T1_T2_jT3_P12ihipStream_tbPNSt15iterator_traitsISI_E10value_typeEPNSO_ISJ_E10value_typeEPSK_NS1_7vsmem_tEENKUlT_SI_SJ_SK_E_clISD_PtSD_S10_EESH_SX_SI_SJ_SK_EUlSX_E_NS1_11comp_targetILNS1_3genE3ELNS1_11target_archE908ELNS1_3gpuE7ELNS1_3repE0EEENS1_48merge_mergepath_partition_config_static_selectorELNS0_4arch9wavefront6targetE1EEEvSJ_
	.p2align	8
	.type	_ZN7rocprim17ROCPRIM_400000_NS6detail17trampoline_kernelINS0_14default_configENS1_38merge_sort_block_merge_config_selectorIttEEZZNS1_27merge_sort_block_merge_implIS3_N6thrust23THRUST_200600_302600_NS6detail15normal_iteratorINS8_10device_ptrItEEEESD_jNS1_19radix_merge_compareILb0ELb1EtNS0_19identity_decomposerEEEEE10hipError_tT0_T1_T2_jT3_P12ihipStream_tbPNSt15iterator_traitsISI_E10value_typeEPNSO_ISJ_E10value_typeEPSK_NS1_7vsmem_tEENKUlT_SI_SJ_SK_E_clISD_PtSD_S10_EESH_SX_SI_SJ_SK_EUlSX_E_NS1_11comp_targetILNS1_3genE3ELNS1_11target_archE908ELNS1_3gpuE7ELNS1_3repE0EEENS1_48merge_mergepath_partition_config_static_selectorELNS0_4arch9wavefront6targetE1EEEvSJ_,@function
_ZN7rocprim17ROCPRIM_400000_NS6detail17trampoline_kernelINS0_14default_configENS1_38merge_sort_block_merge_config_selectorIttEEZZNS1_27merge_sort_block_merge_implIS3_N6thrust23THRUST_200600_302600_NS6detail15normal_iteratorINS8_10device_ptrItEEEESD_jNS1_19radix_merge_compareILb0ELb1EtNS0_19identity_decomposerEEEEE10hipError_tT0_T1_T2_jT3_P12ihipStream_tbPNSt15iterator_traitsISI_E10value_typeEPNSO_ISJ_E10value_typeEPSK_NS1_7vsmem_tEENKUlT_SI_SJ_SK_E_clISD_PtSD_S10_EESH_SX_SI_SJ_SK_EUlSX_E_NS1_11comp_targetILNS1_3genE3ELNS1_11target_archE908ELNS1_3gpuE7ELNS1_3repE0EEENS1_48merge_mergepath_partition_config_static_selectorELNS0_4arch9wavefront6targetE1EEEvSJ_: ; @_ZN7rocprim17ROCPRIM_400000_NS6detail17trampoline_kernelINS0_14default_configENS1_38merge_sort_block_merge_config_selectorIttEEZZNS1_27merge_sort_block_merge_implIS3_N6thrust23THRUST_200600_302600_NS6detail15normal_iteratorINS8_10device_ptrItEEEESD_jNS1_19radix_merge_compareILb0ELb1EtNS0_19identity_decomposerEEEEE10hipError_tT0_T1_T2_jT3_P12ihipStream_tbPNSt15iterator_traitsISI_E10value_typeEPNSO_ISJ_E10value_typeEPSK_NS1_7vsmem_tEENKUlT_SI_SJ_SK_E_clISD_PtSD_S10_EESH_SX_SI_SJ_SK_EUlSX_E_NS1_11comp_targetILNS1_3genE3ELNS1_11target_archE908ELNS1_3gpuE7ELNS1_3repE0EEENS1_48merge_mergepath_partition_config_static_selectorELNS0_4arch9wavefront6targetE1EEEvSJ_
; %bb.0:
	.section	.rodata,"a",@progbits
	.p2align	6, 0x0
	.amdhsa_kernel _ZN7rocprim17ROCPRIM_400000_NS6detail17trampoline_kernelINS0_14default_configENS1_38merge_sort_block_merge_config_selectorIttEEZZNS1_27merge_sort_block_merge_implIS3_N6thrust23THRUST_200600_302600_NS6detail15normal_iteratorINS8_10device_ptrItEEEESD_jNS1_19radix_merge_compareILb0ELb1EtNS0_19identity_decomposerEEEEE10hipError_tT0_T1_T2_jT3_P12ihipStream_tbPNSt15iterator_traitsISI_E10value_typeEPNSO_ISJ_E10value_typeEPSK_NS1_7vsmem_tEENKUlT_SI_SJ_SK_E_clISD_PtSD_S10_EESH_SX_SI_SJ_SK_EUlSX_E_NS1_11comp_targetILNS1_3genE3ELNS1_11target_archE908ELNS1_3gpuE7ELNS1_3repE0EEENS1_48merge_mergepath_partition_config_static_selectorELNS0_4arch9wavefront6targetE1EEEvSJ_
		.amdhsa_group_segment_fixed_size 0
		.amdhsa_private_segment_fixed_size 0
		.amdhsa_kernarg_size 40
		.amdhsa_user_sgpr_count 2
		.amdhsa_user_sgpr_dispatch_ptr 0
		.amdhsa_user_sgpr_queue_ptr 0
		.amdhsa_user_sgpr_kernarg_segment_ptr 1
		.amdhsa_user_sgpr_dispatch_id 0
		.amdhsa_user_sgpr_kernarg_preload_length 0
		.amdhsa_user_sgpr_kernarg_preload_offset 0
		.amdhsa_user_sgpr_private_segment_size 0
		.amdhsa_uses_dynamic_stack 0
		.amdhsa_enable_private_segment 0
		.amdhsa_system_sgpr_workgroup_id_x 1
		.amdhsa_system_sgpr_workgroup_id_y 0
		.amdhsa_system_sgpr_workgroup_id_z 0
		.amdhsa_system_sgpr_workgroup_info 0
		.amdhsa_system_vgpr_workitem_id 0
		.amdhsa_next_free_vgpr 1
		.amdhsa_next_free_sgpr 0
		.amdhsa_accum_offset 4
		.amdhsa_reserve_vcc 0
		.amdhsa_float_round_mode_32 0
		.amdhsa_float_round_mode_16_64 0
		.amdhsa_float_denorm_mode_32 3
		.amdhsa_float_denorm_mode_16_64 3
		.amdhsa_dx10_clamp 1
		.amdhsa_ieee_mode 1
		.amdhsa_fp16_overflow 0
		.amdhsa_tg_split 0
		.amdhsa_exception_fp_ieee_invalid_op 0
		.amdhsa_exception_fp_denorm_src 0
		.amdhsa_exception_fp_ieee_div_zero 0
		.amdhsa_exception_fp_ieee_overflow 0
		.amdhsa_exception_fp_ieee_underflow 0
		.amdhsa_exception_fp_ieee_inexact 0
		.amdhsa_exception_int_div_zero 0
	.end_amdhsa_kernel
	.section	.text._ZN7rocprim17ROCPRIM_400000_NS6detail17trampoline_kernelINS0_14default_configENS1_38merge_sort_block_merge_config_selectorIttEEZZNS1_27merge_sort_block_merge_implIS3_N6thrust23THRUST_200600_302600_NS6detail15normal_iteratorINS8_10device_ptrItEEEESD_jNS1_19radix_merge_compareILb0ELb1EtNS0_19identity_decomposerEEEEE10hipError_tT0_T1_T2_jT3_P12ihipStream_tbPNSt15iterator_traitsISI_E10value_typeEPNSO_ISJ_E10value_typeEPSK_NS1_7vsmem_tEENKUlT_SI_SJ_SK_E_clISD_PtSD_S10_EESH_SX_SI_SJ_SK_EUlSX_E_NS1_11comp_targetILNS1_3genE3ELNS1_11target_archE908ELNS1_3gpuE7ELNS1_3repE0EEENS1_48merge_mergepath_partition_config_static_selectorELNS0_4arch9wavefront6targetE1EEEvSJ_,"axG",@progbits,_ZN7rocprim17ROCPRIM_400000_NS6detail17trampoline_kernelINS0_14default_configENS1_38merge_sort_block_merge_config_selectorIttEEZZNS1_27merge_sort_block_merge_implIS3_N6thrust23THRUST_200600_302600_NS6detail15normal_iteratorINS8_10device_ptrItEEEESD_jNS1_19radix_merge_compareILb0ELb1EtNS0_19identity_decomposerEEEEE10hipError_tT0_T1_T2_jT3_P12ihipStream_tbPNSt15iterator_traitsISI_E10value_typeEPNSO_ISJ_E10value_typeEPSK_NS1_7vsmem_tEENKUlT_SI_SJ_SK_E_clISD_PtSD_S10_EESH_SX_SI_SJ_SK_EUlSX_E_NS1_11comp_targetILNS1_3genE3ELNS1_11target_archE908ELNS1_3gpuE7ELNS1_3repE0EEENS1_48merge_mergepath_partition_config_static_selectorELNS0_4arch9wavefront6targetE1EEEvSJ_,comdat
.Lfunc_end927:
	.size	_ZN7rocprim17ROCPRIM_400000_NS6detail17trampoline_kernelINS0_14default_configENS1_38merge_sort_block_merge_config_selectorIttEEZZNS1_27merge_sort_block_merge_implIS3_N6thrust23THRUST_200600_302600_NS6detail15normal_iteratorINS8_10device_ptrItEEEESD_jNS1_19radix_merge_compareILb0ELb1EtNS0_19identity_decomposerEEEEE10hipError_tT0_T1_T2_jT3_P12ihipStream_tbPNSt15iterator_traitsISI_E10value_typeEPNSO_ISJ_E10value_typeEPSK_NS1_7vsmem_tEENKUlT_SI_SJ_SK_E_clISD_PtSD_S10_EESH_SX_SI_SJ_SK_EUlSX_E_NS1_11comp_targetILNS1_3genE3ELNS1_11target_archE908ELNS1_3gpuE7ELNS1_3repE0EEENS1_48merge_mergepath_partition_config_static_selectorELNS0_4arch9wavefront6targetE1EEEvSJ_, .Lfunc_end927-_ZN7rocprim17ROCPRIM_400000_NS6detail17trampoline_kernelINS0_14default_configENS1_38merge_sort_block_merge_config_selectorIttEEZZNS1_27merge_sort_block_merge_implIS3_N6thrust23THRUST_200600_302600_NS6detail15normal_iteratorINS8_10device_ptrItEEEESD_jNS1_19radix_merge_compareILb0ELb1EtNS0_19identity_decomposerEEEEE10hipError_tT0_T1_T2_jT3_P12ihipStream_tbPNSt15iterator_traitsISI_E10value_typeEPNSO_ISJ_E10value_typeEPSK_NS1_7vsmem_tEENKUlT_SI_SJ_SK_E_clISD_PtSD_S10_EESH_SX_SI_SJ_SK_EUlSX_E_NS1_11comp_targetILNS1_3genE3ELNS1_11target_archE908ELNS1_3gpuE7ELNS1_3repE0EEENS1_48merge_mergepath_partition_config_static_selectorELNS0_4arch9wavefront6targetE1EEEvSJ_
                                        ; -- End function
	.set _ZN7rocprim17ROCPRIM_400000_NS6detail17trampoline_kernelINS0_14default_configENS1_38merge_sort_block_merge_config_selectorIttEEZZNS1_27merge_sort_block_merge_implIS3_N6thrust23THRUST_200600_302600_NS6detail15normal_iteratorINS8_10device_ptrItEEEESD_jNS1_19radix_merge_compareILb0ELb1EtNS0_19identity_decomposerEEEEE10hipError_tT0_T1_T2_jT3_P12ihipStream_tbPNSt15iterator_traitsISI_E10value_typeEPNSO_ISJ_E10value_typeEPSK_NS1_7vsmem_tEENKUlT_SI_SJ_SK_E_clISD_PtSD_S10_EESH_SX_SI_SJ_SK_EUlSX_E_NS1_11comp_targetILNS1_3genE3ELNS1_11target_archE908ELNS1_3gpuE7ELNS1_3repE0EEENS1_48merge_mergepath_partition_config_static_selectorELNS0_4arch9wavefront6targetE1EEEvSJ_.num_vgpr, 0
	.set _ZN7rocprim17ROCPRIM_400000_NS6detail17trampoline_kernelINS0_14default_configENS1_38merge_sort_block_merge_config_selectorIttEEZZNS1_27merge_sort_block_merge_implIS3_N6thrust23THRUST_200600_302600_NS6detail15normal_iteratorINS8_10device_ptrItEEEESD_jNS1_19radix_merge_compareILb0ELb1EtNS0_19identity_decomposerEEEEE10hipError_tT0_T1_T2_jT3_P12ihipStream_tbPNSt15iterator_traitsISI_E10value_typeEPNSO_ISJ_E10value_typeEPSK_NS1_7vsmem_tEENKUlT_SI_SJ_SK_E_clISD_PtSD_S10_EESH_SX_SI_SJ_SK_EUlSX_E_NS1_11comp_targetILNS1_3genE3ELNS1_11target_archE908ELNS1_3gpuE7ELNS1_3repE0EEENS1_48merge_mergepath_partition_config_static_selectorELNS0_4arch9wavefront6targetE1EEEvSJ_.num_agpr, 0
	.set _ZN7rocprim17ROCPRIM_400000_NS6detail17trampoline_kernelINS0_14default_configENS1_38merge_sort_block_merge_config_selectorIttEEZZNS1_27merge_sort_block_merge_implIS3_N6thrust23THRUST_200600_302600_NS6detail15normal_iteratorINS8_10device_ptrItEEEESD_jNS1_19radix_merge_compareILb0ELb1EtNS0_19identity_decomposerEEEEE10hipError_tT0_T1_T2_jT3_P12ihipStream_tbPNSt15iterator_traitsISI_E10value_typeEPNSO_ISJ_E10value_typeEPSK_NS1_7vsmem_tEENKUlT_SI_SJ_SK_E_clISD_PtSD_S10_EESH_SX_SI_SJ_SK_EUlSX_E_NS1_11comp_targetILNS1_3genE3ELNS1_11target_archE908ELNS1_3gpuE7ELNS1_3repE0EEENS1_48merge_mergepath_partition_config_static_selectorELNS0_4arch9wavefront6targetE1EEEvSJ_.numbered_sgpr, 0
	.set _ZN7rocprim17ROCPRIM_400000_NS6detail17trampoline_kernelINS0_14default_configENS1_38merge_sort_block_merge_config_selectorIttEEZZNS1_27merge_sort_block_merge_implIS3_N6thrust23THRUST_200600_302600_NS6detail15normal_iteratorINS8_10device_ptrItEEEESD_jNS1_19radix_merge_compareILb0ELb1EtNS0_19identity_decomposerEEEEE10hipError_tT0_T1_T2_jT3_P12ihipStream_tbPNSt15iterator_traitsISI_E10value_typeEPNSO_ISJ_E10value_typeEPSK_NS1_7vsmem_tEENKUlT_SI_SJ_SK_E_clISD_PtSD_S10_EESH_SX_SI_SJ_SK_EUlSX_E_NS1_11comp_targetILNS1_3genE3ELNS1_11target_archE908ELNS1_3gpuE7ELNS1_3repE0EEENS1_48merge_mergepath_partition_config_static_selectorELNS0_4arch9wavefront6targetE1EEEvSJ_.num_named_barrier, 0
	.set _ZN7rocprim17ROCPRIM_400000_NS6detail17trampoline_kernelINS0_14default_configENS1_38merge_sort_block_merge_config_selectorIttEEZZNS1_27merge_sort_block_merge_implIS3_N6thrust23THRUST_200600_302600_NS6detail15normal_iteratorINS8_10device_ptrItEEEESD_jNS1_19radix_merge_compareILb0ELb1EtNS0_19identity_decomposerEEEEE10hipError_tT0_T1_T2_jT3_P12ihipStream_tbPNSt15iterator_traitsISI_E10value_typeEPNSO_ISJ_E10value_typeEPSK_NS1_7vsmem_tEENKUlT_SI_SJ_SK_E_clISD_PtSD_S10_EESH_SX_SI_SJ_SK_EUlSX_E_NS1_11comp_targetILNS1_3genE3ELNS1_11target_archE908ELNS1_3gpuE7ELNS1_3repE0EEENS1_48merge_mergepath_partition_config_static_selectorELNS0_4arch9wavefront6targetE1EEEvSJ_.private_seg_size, 0
	.set _ZN7rocprim17ROCPRIM_400000_NS6detail17trampoline_kernelINS0_14default_configENS1_38merge_sort_block_merge_config_selectorIttEEZZNS1_27merge_sort_block_merge_implIS3_N6thrust23THRUST_200600_302600_NS6detail15normal_iteratorINS8_10device_ptrItEEEESD_jNS1_19radix_merge_compareILb0ELb1EtNS0_19identity_decomposerEEEEE10hipError_tT0_T1_T2_jT3_P12ihipStream_tbPNSt15iterator_traitsISI_E10value_typeEPNSO_ISJ_E10value_typeEPSK_NS1_7vsmem_tEENKUlT_SI_SJ_SK_E_clISD_PtSD_S10_EESH_SX_SI_SJ_SK_EUlSX_E_NS1_11comp_targetILNS1_3genE3ELNS1_11target_archE908ELNS1_3gpuE7ELNS1_3repE0EEENS1_48merge_mergepath_partition_config_static_selectorELNS0_4arch9wavefront6targetE1EEEvSJ_.uses_vcc, 0
	.set _ZN7rocprim17ROCPRIM_400000_NS6detail17trampoline_kernelINS0_14default_configENS1_38merge_sort_block_merge_config_selectorIttEEZZNS1_27merge_sort_block_merge_implIS3_N6thrust23THRUST_200600_302600_NS6detail15normal_iteratorINS8_10device_ptrItEEEESD_jNS1_19radix_merge_compareILb0ELb1EtNS0_19identity_decomposerEEEEE10hipError_tT0_T1_T2_jT3_P12ihipStream_tbPNSt15iterator_traitsISI_E10value_typeEPNSO_ISJ_E10value_typeEPSK_NS1_7vsmem_tEENKUlT_SI_SJ_SK_E_clISD_PtSD_S10_EESH_SX_SI_SJ_SK_EUlSX_E_NS1_11comp_targetILNS1_3genE3ELNS1_11target_archE908ELNS1_3gpuE7ELNS1_3repE0EEENS1_48merge_mergepath_partition_config_static_selectorELNS0_4arch9wavefront6targetE1EEEvSJ_.uses_flat_scratch, 0
	.set _ZN7rocprim17ROCPRIM_400000_NS6detail17trampoline_kernelINS0_14default_configENS1_38merge_sort_block_merge_config_selectorIttEEZZNS1_27merge_sort_block_merge_implIS3_N6thrust23THRUST_200600_302600_NS6detail15normal_iteratorINS8_10device_ptrItEEEESD_jNS1_19radix_merge_compareILb0ELb1EtNS0_19identity_decomposerEEEEE10hipError_tT0_T1_T2_jT3_P12ihipStream_tbPNSt15iterator_traitsISI_E10value_typeEPNSO_ISJ_E10value_typeEPSK_NS1_7vsmem_tEENKUlT_SI_SJ_SK_E_clISD_PtSD_S10_EESH_SX_SI_SJ_SK_EUlSX_E_NS1_11comp_targetILNS1_3genE3ELNS1_11target_archE908ELNS1_3gpuE7ELNS1_3repE0EEENS1_48merge_mergepath_partition_config_static_selectorELNS0_4arch9wavefront6targetE1EEEvSJ_.has_dyn_sized_stack, 0
	.set _ZN7rocprim17ROCPRIM_400000_NS6detail17trampoline_kernelINS0_14default_configENS1_38merge_sort_block_merge_config_selectorIttEEZZNS1_27merge_sort_block_merge_implIS3_N6thrust23THRUST_200600_302600_NS6detail15normal_iteratorINS8_10device_ptrItEEEESD_jNS1_19radix_merge_compareILb0ELb1EtNS0_19identity_decomposerEEEEE10hipError_tT0_T1_T2_jT3_P12ihipStream_tbPNSt15iterator_traitsISI_E10value_typeEPNSO_ISJ_E10value_typeEPSK_NS1_7vsmem_tEENKUlT_SI_SJ_SK_E_clISD_PtSD_S10_EESH_SX_SI_SJ_SK_EUlSX_E_NS1_11comp_targetILNS1_3genE3ELNS1_11target_archE908ELNS1_3gpuE7ELNS1_3repE0EEENS1_48merge_mergepath_partition_config_static_selectorELNS0_4arch9wavefront6targetE1EEEvSJ_.has_recursion, 0
	.set _ZN7rocprim17ROCPRIM_400000_NS6detail17trampoline_kernelINS0_14default_configENS1_38merge_sort_block_merge_config_selectorIttEEZZNS1_27merge_sort_block_merge_implIS3_N6thrust23THRUST_200600_302600_NS6detail15normal_iteratorINS8_10device_ptrItEEEESD_jNS1_19radix_merge_compareILb0ELb1EtNS0_19identity_decomposerEEEEE10hipError_tT0_T1_T2_jT3_P12ihipStream_tbPNSt15iterator_traitsISI_E10value_typeEPNSO_ISJ_E10value_typeEPSK_NS1_7vsmem_tEENKUlT_SI_SJ_SK_E_clISD_PtSD_S10_EESH_SX_SI_SJ_SK_EUlSX_E_NS1_11comp_targetILNS1_3genE3ELNS1_11target_archE908ELNS1_3gpuE7ELNS1_3repE0EEENS1_48merge_mergepath_partition_config_static_selectorELNS0_4arch9wavefront6targetE1EEEvSJ_.has_indirect_call, 0
	.section	.AMDGPU.csdata,"",@progbits
; Kernel info:
; codeLenInByte = 0
; TotalNumSgprs: 6
; NumVgprs: 0
; NumAgprs: 0
; TotalNumVgprs: 0
; ScratchSize: 0
; MemoryBound: 0
; FloatMode: 240
; IeeeMode: 1
; LDSByteSize: 0 bytes/workgroup (compile time only)
; SGPRBlocks: 0
; VGPRBlocks: 0
; NumSGPRsForWavesPerEU: 6
; NumVGPRsForWavesPerEU: 1
; AccumOffset: 4
; Occupancy: 8
; WaveLimiterHint : 0
; COMPUTE_PGM_RSRC2:SCRATCH_EN: 0
; COMPUTE_PGM_RSRC2:USER_SGPR: 2
; COMPUTE_PGM_RSRC2:TRAP_HANDLER: 0
; COMPUTE_PGM_RSRC2:TGID_X_EN: 1
; COMPUTE_PGM_RSRC2:TGID_Y_EN: 0
; COMPUTE_PGM_RSRC2:TGID_Z_EN: 0
; COMPUTE_PGM_RSRC2:TIDIG_COMP_CNT: 0
; COMPUTE_PGM_RSRC3_GFX90A:ACCUM_OFFSET: 0
; COMPUTE_PGM_RSRC3_GFX90A:TG_SPLIT: 0
	.section	.text._ZN7rocprim17ROCPRIM_400000_NS6detail17trampoline_kernelINS0_14default_configENS1_38merge_sort_block_merge_config_selectorIttEEZZNS1_27merge_sort_block_merge_implIS3_N6thrust23THRUST_200600_302600_NS6detail15normal_iteratorINS8_10device_ptrItEEEESD_jNS1_19radix_merge_compareILb0ELb1EtNS0_19identity_decomposerEEEEE10hipError_tT0_T1_T2_jT3_P12ihipStream_tbPNSt15iterator_traitsISI_E10value_typeEPNSO_ISJ_E10value_typeEPSK_NS1_7vsmem_tEENKUlT_SI_SJ_SK_E_clISD_PtSD_S10_EESH_SX_SI_SJ_SK_EUlSX_E_NS1_11comp_targetILNS1_3genE2ELNS1_11target_archE906ELNS1_3gpuE6ELNS1_3repE0EEENS1_48merge_mergepath_partition_config_static_selectorELNS0_4arch9wavefront6targetE1EEEvSJ_,"axG",@progbits,_ZN7rocprim17ROCPRIM_400000_NS6detail17trampoline_kernelINS0_14default_configENS1_38merge_sort_block_merge_config_selectorIttEEZZNS1_27merge_sort_block_merge_implIS3_N6thrust23THRUST_200600_302600_NS6detail15normal_iteratorINS8_10device_ptrItEEEESD_jNS1_19radix_merge_compareILb0ELb1EtNS0_19identity_decomposerEEEEE10hipError_tT0_T1_T2_jT3_P12ihipStream_tbPNSt15iterator_traitsISI_E10value_typeEPNSO_ISJ_E10value_typeEPSK_NS1_7vsmem_tEENKUlT_SI_SJ_SK_E_clISD_PtSD_S10_EESH_SX_SI_SJ_SK_EUlSX_E_NS1_11comp_targetILNS1_3genE2ELNS1_11target_archE906ELNS1_3gpuE6ELNS1_3repE0EEENS1_48merge_mergepath_partition_config_static_selectorELNS0_4arch9wavefront6targetE1EEEvSJ_,comdat
	.protected	_ZN7rocprim17ROCPRIM_400000_NS6detail17trampoline_kernelINS0_14default_configENS1_38merge_sort_block_merge_config_selectorIttEEZZNS1_27merge_sort_block_merge_implIS3_N6thrust23THRUST_200600_302600_NS6detail15normal_iteratorINS8_10device_ptrItEEEESD_jNS1_19radix_merge_compareILb0ELb1EtNS0_19identity_decomposerEEEEE10hipError_tT0_T1_T2_jT3_P12ihipStream_tbPNSt15iterator_traitsISI_E10value_typeEPNSO_ISJ_E10value_typeEPSK_NS1_7vsmem_tEENKUlT_SI_SJ_SK_E_clISD_PtSD_S10_EESH_SX_SI_SJ_SK_EUlSX_E_NS1_11comp_targetILNS1_3genE2ELNS1_11target_archE906ELNS1_3gpuE6ELNS1_3repE0EEENS1_48merge_mergepath_partition_config_static_selectorELNS0_4arch9wavefront6targetE1EEEvSJ_ ; -- Begin function _ZN7rocprim17ROCPRIM_400000_NS6detail17trampoline_kernelINS0_14default_configENS1_38merge_sort_block_merge_config_selectorIttEEZZNS1_27merge_sort_block_merge_implIS3_N6thrust23THRUST_200600_302600_NS6detail15normal_iteratorINS8_10device_ptrItEEEESD_jNS1_19radix_merge_compareILb0ELb1EtNS0_19identity_decomposerEEEEE10hipError_tT0_T1_T2_jT3_P12ihipStream_tbPNSt15iterator_traitsISI_E10value_typeEPNSO_ISJ_E10value_typeEPSK_NS1_7vsmem_tEENKUlT_SI_SJ_SK_E_clISD_PtSD_S10_EESH_SX_SI_SJ_SK_EUlSX_E_NS1_11comp_targetILNS1_3genE2ELNS1_11target_archE906ELNS1_3gpuE6ELNS1_3repE0EEENS1_48merge_mergepath_partition_config_static_selectorELNS0_4arch9wavefront6targetE1EEEvSJ_
	.globl	_ZN7rocprim17ROCPRIM_400000_NS6detail17trampoline_kernelINS0_14default_configENS1_38merge_sort_block_merge_config_selectorIttEEZZNS1_27merge_sort_block_merge_implIS3_N6thrust23THRUST_200600_302600_NS6detail15normal_iteratorINS8_10device_ptrItEEEESD_jNS1_19radix_merge_compareILb0ELb1EtNS0_19identity_decomposerEEEEE10hipError_tT0_T1_T2_jT3_P12ihipStream_tbPNSt15iterator_traitsISI_E10value_typeEPNSO_ISJ_E10value_typeEPSK_NS1_7vsmem_tEENKUlT_SI_SJ_SK_E_clISD_PtSD_S10_EESH_SX_SI_SJ_SK_EUlSX_E_NS1_11comp_targetILNS1_3genE2ELNS1_11target_archE906ELNS1_3gpuE6ELNS1_3repE0EEENS1_48merge_mergepath_partition_config_static_selectorELNS0_4arch9wavefront6targetE1EEEvSJ_
	.p2align	8
	.type	_ZN7rocprim17ROCPRIM_400000_NS6detail17trampoline_kernelINS0_14default_configENS1_38merge_sort_block_merge_config_selectorIttEEZZNS1_27merge_sort_block_merge_implIS3_N6thrust23THRUST_200600_302600_NS6detail15normal_iteratorINS8_10device_ptrItEEEESD_jNS1_19radix_merge_compareILb0ELb1EtNS0_19identity_decomposerEEEEE10hipError_tT0_T1_T2_jT3_P12ihipStream_tbPNSt15iterator_traitsISI_E10value_typeEPNSO_ISJ_E10value_typeEPSK_NS1_7vsmem_tEENKUlT_SI_SJ_SK_E_clISD_PtSD_S10_EESH_SX_SI_SJ_SK_EUlSX_E_NS1_11comp_targetILNS1_3genE2ELNS1_11target_archE906ELNS1_3gpuE6ELNS1_3repE0EEENS1_48merge_mergepath_partition_config_static_selectorELNS0_4arch9wavefront6targetE1EEEvSJ_,@function
_ZN7rocprim17ROCPRIM_400000_NS6detail17trampoline_kernelINS0_14default_configENS1_38merge_sort_block_merge_config_selectorIttEEZZNS1_27merge_sort_block_merge_implIS3_N6thrust23THRUST_200600_302600_NS6detail15normal_iteratorINS8_10device_ptrItEEEESD_jNS1_19radix_merge_compareILb0ELb1EtNS0_19identity_decomposerEEEEE10hipError_tT0_T1_T2_jT3_P12ihipStream_tbPNSt15iterator_traitsISI_E10value_typeEPNSO_ISJ_E10value_typeEPSK_NS1_7vsmem_tEENKUlT_SI_SJ_SK_E_clISD_PtSD_S10_EESH_SX_SI_SJ_SK_EUlSX_E_NS1_11comp_targetILNS1_3genE2ELNS1_11target_archE906ELNS1_3gpuE6ELNS1_3repE0EEENS1_48merge_mergepath_partition_config_static_selectorELNS0_4arch9wavefront6targetE1EEEvSJ_: ; @_ZN7rocprim17ROCPRIM_400000_NS6detail17trampoline_kernelINS0_14default_configENS1_38merge_sort_block_merge_config_selectorIttEEZZNS1_27merge_sort_block_merge_implIS3_N6thrust23THRUST_200600_302600_NS6detail15normal_iteratorINS8_10device_ptrItEEEESD_jNS1_19radix_merge_compareILb0ELb1EtNS0_19identity_decomposerEEEEE10hipError_tT0_T1_T2_jT3_P12ihipStream_tbPNSt15iterator_traitsISI_E10value_typeEPNSO_ISJ_E10value_typeEPSK_NS1_7vsmem_tEENKUlT_SI_SJ_SK_E_clISD_PtSD_S10_EESH_SX_SI_SJ_SK_EUlSX_E_NS1_11comp_targetILNS1_3genE2ELNS1_11target_archE906ELNS1_3gpuE6ELNS1_3repE0EEENS1_48merge_mergepath_partition_config_static_selectorELNS0_4arch9wavefront6targetE1EEEvSJ_
; %bb.0:
	.section	.rodata,"a",@progbits
	.p2align	6, 0x0
	.amdhsa_kernel _ZN7rocprim17ROCPRIM_400000_NS6detail17trampoline_kernelINS0_14default_configENS1_38merge_sort_block_merge_config_selectorIttEEZZNS1_27merge_sort_block_merge_implIS3_N6thrust23THRUST_200600_302600_NS6detail15normal_iteratorINS8_10device_ptrItEEEESD_jNS1_19radix_merge_compareILb0ELb1EtNS0_19identity_decomposerEEEEE10hipError_tT0_T1_T2_jT3_P12ihipStream_tbPNSt15iterator_traitsISI_E10value_typeEPNSO_ISJ_E10value_typeEPSK_NS1_7vsmem_tEENKUlT_SI_SJ_SK_E_clISD_PtSD_S10_EESH_SX_SI_SJ_SK_EUlSX_E_NS1_11comp_targetILNS1_3genE2ELNS1_11target_archE906ELNS1_3gpuE6ELNS1_3repE0EEENS1_48merge_mergepath_partition_config_static_selectorELNS0_4arch9wavefront6targetE1EEEvSJ_
		.amdhsa_group_segment_fixed_size 0
		.amdhsa_private_segment_fixed_size 0
		.amdhsa_kernarg_size 40
		.amdhsa_user_sgpr_count 2
		.amdhsa_user_sgpr_dispatch_ptr 0
		.amdhsa_user_sgpr_queue_ptr 0
		.amdhsa_user_sgpr_kernarg_segment_ptr 1
		.amdhsa_user_sgpr_dispatch_id 0
		.amdhsa_user_sgpr_kernarg_preload_length 0
		.amdhsa_user_sgpr_kernarg_preload_offset 0
		.amdhsa_user_sgpr_private_segment_size 0
		.amdhsa_uses_dynamic_stack 0
		.amdhsa_enable_private_segment 0
		.amdhsa_system_sgpr_workgroup_id_x 1
		.amdhsa_system_sgpr_workgroup_id_y 0
		.amdhsa_system_sgpr_workgroup_id_z 0
		.amdhsa_system_sgpr_workgroup_info 0
		.amdhsa_system_vgpr_workitem_id 0
		.amdhsa_next_free_vgpr 1
		.amdhsa_next_free_sgpr 0
		.amdhsa_accum_offset 4
		.amdhsa_reserve_vcc 0
		.amdhsa_float_round_mode_32 0
		.amdhsa_float_round_mode_16_64 0
		.amdhsa_float_denorm_mode_32 3
		.amdhsa_float_denorm_mode_16_64 3
		.amdhsa_dx10_clamp 1
		.amdhsa_ieee_mode 1
		.amdhsa_fp16_overflow 0
		.amdhsa_tg_split 0
		.amdhsa_exception_fp_ieee_invalid_op 0
		.amdhsa_exception_fp_denorm_src 0
		.amdhsa_exception_fp_ieee_div_zero 0
		.amdhsa_exception_fp_ieee_overflow 0
		.amdhsa_exception_fp_ieee_underflow 0
		.amdhsa_exception_fp_ieee_inexact 0
		.amdhsa_exception_int_div_zero 0
	.end_amdhsa_kernel
	.section	.text._ZN7rocprim17ROCPRIM_400000_NS6detail17trampoline_kernelINS0_14default_configENS1_38merge_sort_block_merge_config_selectorIttEEZZNS1_27merge_sort_block_merge_implIS3_N6thrust23THRUST_200600_302600_NS6detail15normal_iteratorINS8_10device_ptrItEEEESD_jNS1_19radix_merge_compareILb0ELb1EtNS0_19identity_decomposerEEEEE10hipError_tT0_T1_T2_jT3_P12ihipStream_tbPNSt15iterator_traitsISI_E10value_typeEPNSO_ISJ_E10value_typeEPSK_NS1_7vsmem_tEENKUlT_SI_SJ_SK_E_clISD_PtSD_S10_EESH_SX_SI_SJ_SK_EUlSX_E_NS1_11comp_targetILNS1_3genE2ELNS1_11target_archE906ELNS1_3gpuE6ELNS1_3repE0EEENS1_48merge_mergepath_partition_config_static_selectorELNS0_4arch9wavefront6targetE1EEEvSJ_,"axG",@progbits,_ZN7rocprim17ROCPRIM_400000_NS6detail17trampoline_kernelINS0_14default_configENS1_38merge_sort_block_merge_config_selectorIttEEZZNS1_27merge_sort_block_merge_implIS3_N6thrust23THRUST_200600_302600_NS6detail15normal_iteratorINS8_10device_ptrItEEEESD_jNS1_19radix_merge_compareILb0ELb1EtNS0_19identity_decomposerEEEEE10hipError_tT0_T1_T2_jT3_P12ihipStream_tbPNSt15iterator_traitsISI_E10value_typeEPNSO_ISJ_E10value_typeEPSK_NS1_7vsmem_tEENKUlT_SI_SJ_SK_E_clISD_PtSD_S10_EESH_SX_SI_SJ_SK_EUlSX_E_NS1_11comp_targetILNS1_3genE2ELNS1_11target_archE906ELNS1_3gpuE6ELNS1_3repE0EEENS1_48merge_mergepath_partition_config_static_selectorELNS0_4arch9wavefront6targetE1EEEvSJ_,comdat
.Lfunc_end928:
	.size	_ZN7rocprim17ROCPRIM_400000_NS6detail17trampoline_kernelINS0_14default_configENS1_38merge_sort_block_merge_config_selectorIttEEZZNS1_27merge_sort_block_merge_implIS3_N6thrust23THRUST_200600_302600_NS6detail15normal_iteratorINS8_10device_ptrItEEEESD_jNS1_19radix_merge_compareILb0ELb1EtNS0_19identity_decomposerEEEEE10hipError_tT0_T1_T2_jT3_P12ihipStream_tbPNSt15iterator_traitsISI_E10value_typeEPNSO_ISJ_E10value_typeEPSK_NS1_7vsmem_tEENKUlT_SI_SJ_SK_E_clISD_PtSD_S10_EESH_SX_SI_SJ_SK_EUlSX_E_NS1_11comp_targetILNS1_3genE2ELNS1_11target_archE906ELNS1_3gpuE6ELNS1_3repE0EEENS1_48merge_mergepath_partition_config_static_selectorELNS0_4arch9wavefront6targetE1EEEvSJ_, .Lfunc_end928-_ZN7rocprim17ROCPRIM_400000_NS6detail17trampoline_kernelINS0_14default_configENS1_38merge_sort_block_merge_config_selectorIttEEZZNS1_27merge_sort_block_merge_implIS3_N6thrust23THRUST_200600_302600_NS6detail15normal_iteratorINS8_10device_ptrItEEEESD_jNS1_19radix_merge_compareILb0ELb1EtNS0_19identity_decomposerEEEEE10hipError_tT0_T1_T2_jT3_P12ihipStream_tbPNSt15iterator_traitsISI_E10value_typeEPNSO_ISJ_E10value_typeEPSK_NS1_7vsmem_tEENKUlT_SI_SJ_SK_E_clISD_PtSD_S10_EESH_SX_SI_SJ_SK_EUlSX_E_NS1_11comp_targetILNS1_3genE2ELNS1_11target_archE906ELNS1_3gpuE6ELNS1_3repE0EEENS1_48merge_mergepath_partition_config_static_selectorELNS0_4arch9wavefront6targetE1EEEvSJ_
                                        ; -- End function
	.set _ZN7rocprim17ROCPRIM_400000_NS6detail17trampoline_kernelINS0_14default_configENS1_38merge_sort_block_merge_config_selectorIttEEZZNS1_27merge_sort_block_merge_implIS3_N6thrust23THRUST_200600_302600_NS6detail15normal_iteratorINS8_10device_ptrItEEEESD_jNS1_19radix_merge_compareILb0ELb1EtNS0_19identity_decomposerEEEEE10hipError_tT0_T1_T2_jT3_P12ihipStream_tbPNSt15iterator_traitsISI_E10value_typeEPNSO_ISJ_E10value_typeEPSK_NS1_7vsmem_tEENKUlT_SI_SJ_SK_E_clISD_PtSD_S10_EESH_SX_SI_SJ_SK_EUlSX_E_NS1_11comp_targetILNS1_3genE2ELNS1_11target_archE906ELNS1_3gpuE6ELNS1_3repE0EEENS1_48merge_mergepath_partition_config_static_selectorELNS0_4arch9wavefront6targetE1EEEvSJ_.num_vgpr, 0
	.set _ZN7rocprim17ROCPRIM_400000_NS6detail17trampoline_kernelINS0_14default_configENS1_38merge_sort_block_merge_config_selectorIttEEZZNS1_27merge_sort_block_merge_implIS3_N6thrust23THRUST_200600_302600_NS6detail15normal_iteratorINS8_10device_ptrItEEEESD_jNS1_19radix_merge_compareILb0ELb1EtNS0_19identity_decomposerEEEEE10hipError_tT0_T1_T2_jT3_P12ihipStream_tbPNSt15iterator_traitsISI_E10value_typeEPNSO_ISJ_E10value_typeEPSK_NS1_7vsmem_tEENKUlT_SI_SJ_SK_E_clISD_PtSD_S10_EESH_SX_SI_SJ_SK_EUlSX_E_NS1_11comp_targetILNS1_3genE2ELNS1_11target_archE906ELNS1_3gpuE6ELNS1_3repE0EEENS1_48merge_mergepath_partition_config_static_selectorELNS0_4arch9wavefront6targetE1EEEvSJ_.num_agpr, 0
	.set _ZN7rocprim17ROCPRIM_400000_NS6detail17trampoline_kernelINS0_14default_configENS1_38merge_sort_block_merge_config_selectorIttEEZZNS1_27merge_sort_block_merge_implIS3_N6thrust23THRUST_200600_302600_NS6detail15normal_iteratorINS8_10device_ptrItEEEESD_jNS1_19radix_merge_compareILb0ELb1EtNS0_19identity_decomposerEEEEE10hipError_tT0_T1_T2_jT3_P12ihipStream_tbPNSt15iterator_traitsISI_E10value_typeEPNSO_ISJ_E10value_typeEPSK_NS1_7vsmem_tEENKUlT_SI_SJ_SK_E_clISD_PtSD_S10_EESH_SX_SI_SJ_SK_EUlSX_E_NS1_11comp_targetILNS1_3genE2ELNS1_11target_archE906ELNS1_3gpuE6ELNS1_3repE0EEENS1_48merge_mergepath_partition_config_static_selectorELNS0_4arch9wavefront6targetE1EEEvSJ_.numbered_sgpr, 0
	.set _ZN7rocprim17ROCPRIM_400000_NS6detail17trampoline_kernelINS0_14default_configENS1_38merge_sort_block_merge_config_selectorIttEEZZNS1_27merge_sort_block_merge_implIS3_N6thrust23THRUST_200600_302600_NS6detail15normal_iteratorINS8_10device_ptrItEEEESD_jNS1_19radix_merge_compareILb0ELb1EtNS0_19identity_decomposerEEEEE10hipError_tT0_T1_T2_jT3_P12ihipStream_tbPNSt15iterator_traitsISI_E10value_typeEPNSO_ISJ_E10value_typeEPSK_NS1_7vsmem_tEENKUlT_SI_SJ_SK_E_clISD_PtSD_S10_EESH_SX_SI_SJ_SK_EUlSX_E_NS1_11comp_targetILNS1_3genE2ELNS1_11target_archE906ELNS1_3gpuE6ELNS1_3repE0EEENS1_48merge_mergepath_partition_config_static_selectorELNS0_4arch9wavefront6targetE1EEEvSJ_.num_named_barrier, 0
	.set _ZN7rocprim17ROCPRIM_400000_NS6detail17trampoline_kernelINS0_14default_configENS1_38merge_sort_block_merge_config_selectorIttEEZZNS1_27merge_sort_block_merge_implIS3_N6thrust23THRUST_200600_302600_NS6detail15normal_iteratorINS8_10device_ptrItEEEESD_jNS1_19radix_merge_compareILb0ELb1EtNS0_19identity_decomposerEEEEE10hipError_tT0_T1_T2_jT3_P12ihipStream_tbPNSt15iterator_traitsISI_E10value_typeEPNSO_ISJ_E10value_typeEPSK_NS1_7vsmem_tEENKUlT_SI_SJ_SK_E_clISD_PtSD_S10_EESH_SX_SI_SJ_SK_EUlSX_E_NS1_11comp_targetILNS1_3genE2ELNS1_11target_archE906ELNS1_3gpuE6ELNS1_3repE0EEENS1_48merge_mergepath_partition_config_static_selectorELNS0_4arch9wavefront6targetE1EEEvSJ_.private_seg_size, 0
	.set _ZN7rocprim17ROCPRIM_400000_NS6detail17trampoline_kernelINS0_14default_configENS1_38merge_sort_block_merge_config_selectorIttEEZZNS1_27merge_sort_block_merge_implIS3_N6thrust23THRUST_200600_302600_NS6detail15normal_iteratorINS8_10device_ptrItEEEESD_jNS1_19radix_merge_compareILb0ELb1EtNS0_19identity_decomposerEEEEE10hipError_tT0_T1_T2_jT3_P12ihipStream_tbPNSt15iterator_traitsISI_E10value_typeEPNSO_ISJ_E10value_typeEPSK_NS1_7vsmem_tEENKUlT_SI_SJ_SK_E_clISD_PtSD_S10_EESH_SX_SI_SJ_SK_EUlSX_E_NS1_11comp_targetILNS1_3genE2ELNS1_11target_archE906ELNS1_3gpuE6ELNS1_3repE0EEENS1_48merge_mergepath_partition_config_static_selectorELNS0_4arch9wavefront6targetE1EEEvSJ_.uses_vcc, 0
	.set _ZN7rocprim17ROCPRIM_400000_NS6detail17trampoline_kernelINS0_14default_configENS1_38merge_sort_block_merge_config_selectorIttEEZZNS1_27merge_sort_block_merge_implIS3_N6thrust23THRUST_200600_302600_NS6detail15normal_iteratorINS8_10device_ptrItEEEESD_jNS1_19radix_merge_compareILb0ELb1EtNS0_19identity_decomposerEEEEE10hipError_tT0_T1_T2_jT3_P12ihipStream_tbPNSt15iterator_traitsISI_E10value_typeEPNSO_ISJ_E10value_typeEPSK_NS1_7vsmem_tEENKUlT_SI_SJ_SK_E_clISD_PtSD_S10_EESH_SX_SI_SJ_SK_EUlSX_E_NS1_11comp_targetILNS1_3genE2ELNS1_11target_archE906ELNS1_3gpuE6ELNS1_3repE0EEENS1_48merge_mergepath_partition_config_static_selectorELNS0_4arch9wavefront6targetE1EEEvSJ_.uses_flat_scratch, 0
	.set _ZN7rocprim17ROCPRIM_400000_NS6detail17trampoline_kernelINS0_14default_configENS1_38merge_sort_block_merge_config_selectorIttEEZZNS1_27merge_sort_block_merge_implIS3_N6thrust23THRUST_200600_302600_NS6detail15normal_iteratorINS8_10device_ptrItEEEESD_jNS1_19radix_merge_compareILb0ELb1EtNS0_19identity_decomposerEEEEE10hipError_tT0_T1_T2_jT3_P12ihipStream_tbPNSt15iterator_traitsISI_E10value_typeEPNSO_ISJ_E10value_typeEPSK_NS1_7vsmem_tEENKUlT_SI_SJ_SK_E_clISD_PtSD_S10_EESH_SX_SI_SJ_SK_EUlSX_E_NS1_11comp_targetILNS1_3genE2ELNS1_11target_archE906ELNS1_3gpuE6ELNS1_3repE0EEENS1_48merge_mergepath_partition_config_static_selectorELNS0_4arch9wavefront6targetE1EEEvSJ_.has_dyn_sized_stack, 0
	.set _ZN7rocprim17ROCPRIM_400000_NS6detail17trampoline_kernelINS0_14default_configENS1_38merge_sort_block_merge_config_selectorIttEEZZNS1_27merge_sort_block_merge_implIS3_N6thrust23THRUST_200600_302600_NS6detail15normal_iteratorINS8_10device_ptrItEEEESD_jNS1_19radix_merge_compareILb0ELb1EtNS0_19identity_decomposerEEEEE10hipError_tT0_T1_T2_jT3_P12ihipStream_tbPNSt15iterator_traitsISI_E10value_typeEPNSO_ISJ_E10value_typeEPSK_NS1_7vsmem_tEENKUlT_SI_SJ_SK_E_clISD_PtSD_S10_EESH_SX_SI_SJ_SK_EUlSX_E_NS1_11comp_targetILNS1_3genE2ELNS1_11target_archE906ELNS1_3gpuE6ELNS1_3repE0EEENS1_48merge_mergepath_partition_config_static_selectorELNS0_4arch9wavefront6targetE1EEEvSJ_.has_recursion, 0
	.set _ZN7rocprim17ROCPRIM_400000_NS6detail17trampoline_kernelINS0_14default_configENS1_38merge_sort_block_merge_config_selectorIttEEZZNS1_27merge_sort_block_merge_implIS3_N6thrust23THRUST_200600_302600_NS6detail15normal_iteratorINS8_10device_ptrItEEEESD_jNS1_19radix_merge_compareILb0ELb1EtNS0_19identity_decomposerEEEEE10hipError_tT0_T1_T2_jT3_P12ihipStream_tbPNSt15iterator_traitsISI_E10value_typeEPNSO_ISJ_E10value_typeEPSK_NS1_7vsmem_tEENKUlT_SI_SJ_SK_E_clISD_PtSD_S10_EESH_SX_SI_SJ_SK_EUlSX_E_NS1_11comp_targetILNS1_3genE2ELNS1_11target_archE906ELNS1_3gpuE6ELNS1_3repE0EEENS1_48merge_mergepath_partition_config_static_selectorELNS0_4arch9wavefront6targetE1EEEvSJ_.has_indirect_call, 0
	.section	.AMDGPU.csdata,"",@progbits
; Kernel info:
; codeLenInByte = 0
; TotalNumSgprs: 6
; NumVgprs: 0
; NumAgprs: 0
; TotalNumVgprs: 0
; ScratchSize: 0
; MemoryBound: 0
; FloatMode: 240
; IeeeMode: 1
; LDSByteSize: 0 bytes/workgroup (compile time only)
; SGPRBlocks: 0
; VGPRBlocks: 0
; NumSGPRsForWavesPerEU: 6
; NumVGPRsForWavesPerEU: 1
; AccumOffset: 4
; Occupancy: 8
; WaveLimiterHint : 0
; COMPUTE_PGM_RSRC2:SCRATCH_EN: 0
; COMPUTE_PGM_RSRC2:USER_SGPR: 2
; COMPUTE_PGM_RSRC2:TRAP_HANDLER: 0
; COMPUTE_PGM_RSRC2:TGID_X_EN: 1
; COMPUTE_PGM_RSRC2:TGID_Y_EN: 0
; COMPUTE_PGM_RSRC2:TGID_Z_EN: 0
; COMPUTE_PGM_RSRC2:TIDIG_COMP_CNT: 0
; COMPUTE_PGM_RSRC3_GFX90A:ACCUM_OFFSET: 0
; COMPUTE_PGM_RSRC3_GFX90A:TG_SPLIT: 0
	.section	.text._ZN7rocprim17ROCPRIM_400000_NS6detail17trampoline_kernelINS0_14default_configENS1_38merge_sort_block_merge_config_selectorIttEEZZNS1_27merge_sort_block_merge_implIS3_N6thrust23THRUST_200600_302600_NS6detail15normal_iteratorINS8_10device_ptrItEEEESD_jNS1_19radix_merge_compareILb0ELb1EtNS0_19identity_decomposerEEEEE10hipError_tT0_T1_T2_jT3_P12ihipStream_tbPNSt15iterator_traitsISI_E10value_typeEPNSO_ISJ_E10value_typeEPSK_NS1_7vsmem_tEENKUlT_SI_SJ_SK_E_clISD_PtSD_S10_EESH_SX_SI_SJ_SK_EUlSX_E_NS1_11comp_targetILNS1_3genE9ELNS1_11target_archE1100ELNS1_3gpuE3ELNS1_3repE0EEENS1_48merge_mergepath_partition_config_static_selectorELNS0_4arch9wavefront6targetE1EEEvSJ_,"axG",@progbits,_ZN7rocprim17ROCPRIM_400000_NS6detail17trampoline_kernelINS0_14default_configENS1_38merge_sort_block_merge_config_selectorIttEEZZNS1_27merge_sort_block_merge_implIS3_N6thrust23THRUST_200600_302600_NS6detail15normal_iteratorINS8_10device_ptrItEEEESD_jNS1_19radix_merge_compareILb0ELb1EtNS0_19identity_decomposerEEEEE10hipError_tT0_T1_T2_jT3_P12ihipStream_tbPNSt15iterator_traitsISI_E10value_typeEPNSO_ISJ_E10value_typeEPSK_NS1_7vsmem_tEENKUlT_SI_SJ_SK_E_clISD_PtSD_S10_EESH_SX_SI_SJ_SK_EUlSX_E_NS1_11comp_targetILNS1_3genE9ELNS1_11target_archE1100ELNS1_3gpuE3ELNS1_3repE0EEENS1_48merge_mergepath_partition_config_static_selectorELNS0_4arch9wavefront6targetE1EEEvSJ_,comdat
	.protected	_ZN7rocprim17ROCPRIM_400000_NS6detail17trampoline_kernelINS0_14default_configENS1_38merge_sort_block_merge_config_selectorIttEEZZNS1_27merge_sort_block_merge_implIS3_N6thrust23THRUST_200600_302600_NS6detail15normal_iteratorINS8_10device_ptrItEEEESD_jNS1_19radix_merge_compareILb0ELb1EtNS0_19identity_decomposerEEEEE10hipError_tT0_T1_T2_jT3_P12ihipStream_tbPNSt15iterator_traitsISI_E10value_typeEPNSO_ISJ_E10value_typeEPSK_NS1_7vsmem_tEENKUlT_SI_SJ_SK_E_clISD_PtSD_S10_EESH_SX_SI_SJ_SK_EUlSX_E_NS1_11comp_targetILNS1_3genE9ELNS1_11target_archE1100ELNS1_3gpuE3ELNS1_3repE0EEENS1_48merge_mergepath_partition_config_static_selectorELNS0_4arch9wavefront6targetE1EEEvSJ_ ; -- Begin function _ZN7rocprim17ROCPRIM_400000_NS6detail17trampoline_kernelINS0_14default_configENS1_38merge_sort_block_merge_config_selectorIttEEZZNS1_27merge_sort_block_merge_implIS3_N6thrust23THRUST_200600_302600_NS6detail15normal_iteratorINS8_10device_ptrItEEEESD_jNS1_19radix_merge_compareILb0ELb1EtNS0_19identity_decomposerEEEEE10hipError_tT0_T1_T2_jT3_P12ihipStream_tbPNSt15iterator_traitsISI_E10value_typeEPNSO_ISJ_E10value_typeEPSK_NS1_7vsmem_tEENKUlT_SI_SJ_SK_E_clISD_PtSD_S10_EESH_SX_SI_SJ_SK_EUlSX_E_NS1_11comp_targetILNS1_3genE9ELNS1_11target_archE1100ELNS1_3gpuE3ELNS1_3repE0EEENS1_48merge_mergepath_partition_config_static_selectorELNS0_4arch9wavefront6targetE1EEEvSJ_
	.globl	_ZN7rocprim17ROCPRIM_400000_NS6detail17trampoline_kernelINS0_14default_configENS1_38merge_sort_block_merge_config_selectorIttEEZZNS1_27merge_sort_block_merge_implIS3_N6thrust23THRUST_200600_302600_NS6detail15normal_iteratorINS8_10device_ptrItEEEESD_jNS1_19radix_merge_compareILb0ELb1EtNS0_19identity_decomposerEEEEE10hipError_tT0_T1_T2_jT3_P12ihipStream_tbPNSt15iterator_traitsISI_E10value_typeEPNSO_ISJ_E10value_typeEPSK_NS1_7vsmem_tEENKUlT_SI_SJ_SK_E_clISD_PtSD_S10_EESH_SX_SI_SJ_SK_EUlSX_E_NS1_11comp_targetILNS1_3genE9ELNS1_11target_archE1100ELNS1_3gpuE3ELNS1_3repE0EEENS1_48merge_mergepath_partition_config_static_selectorELNS0_4arch9wavefront6targetE1EEEvSJ_
	.p2align	8
	.type	_ZN7rocprim17ROCPRIM_400000_NS6detail17trampoline_kernelINS0_14default_configENS1_38merge_sort_block_merge_config_selectorIttEEZZNS1_27merge_sort_block_merge_implIS3_N6thrust23THRUST_200600_302600_NS6detail15normal_iteratorINS8_10device_ptrItEEEESD_jNS1_19radix_merge_compareILb0ELb1EtNS0_19identity_decomposerEEEEE10hipError_tT0_T1_T2_jT3_P12ihipStream_tbPNSt15iterator_traitsISI_E10value_typeEPNSO_ISJ_E10value_typeEPSK_NS1_7vsmem_tEENKUlT_SI_SJ_SK_E_clISD_PtSD_S10_EESH_SX_SI_SJ_SK_EUlSX_E_NS1_11comp_targetILNS1_3genE9ELNS1_11target_archE1100ELNS1_3gpuE3ELNS1_3repE0EEENS1_48merge_mergepath_partition_config_static_selectorELNS0_4arch9wavefront6targetE1EEEvSJ_,@function
_ZN7rocprim17ROCPRIM_400000_NS6detail17trampoline_kernelINS0_14default_configENS1_38merge_sort_block_merge_config_selectorIttEEZZNS1_27merge_sort_block_merge_implIS3_N6thrust23THRUST_200600_302600_NS6detail15normal_iteratorINS8_10device_ptrItEEEESD_jNS1_19radix_merge_compareILb0ELb1EtNS0_19identity_decomposerEEEEE10hipError_tT0_T1_T2_jT3_P12ihipStream_tbPNSt15iterator_traitsISI_E10value_typeEPNSO_ISJ_E10value_typeEPSK_NS1_7vsmem_tEENKUlT_SI_SJ_SK_E_clISD_PtSD_S10_EESH_SX_SI_SJ_SK_EUlSX_E_NS1_11comp_targetILNS1_3genE9ELNS1_11target_archE1100ELNS1_3gpuE3ELNS1_3repE0EEENS1_48merge_mergepath_partition_config_static_selectorELNS0_4arch9wavefront6targetE1EEEvSJ_: ; @_ZN7rocprim17ROCPRIM_400000_NS6detail17trampoline_kernelINS0_14default_configENS1_38merge_sort_block_merge_config_selectorIttEEZZNS1_27merge_sort_block_merge_implIS3_N6thrust23THRUST_200600_302600_NS6detail15normal_iteratorINS8_10device_ptrItEEEESD_jNS1_19radix_merge_compareILb0ELb1EtNS0_19identity_decomposerEEEEE10hipError_tT0_T1_T2_jT3_P12ihipStream_tbPNSt15iterator_traitsISI_E10value_typeEPNSO_ISJ_E10value_typeEPSK_NS1_7vsmem_tEENKUlT_SI_SJ_SK_E_clISD_PtSD_S10_EESH_SX_SI_SJ_SK_EUlSX_E_NS1_11comp_targetILNS1_3genE9ELNS1_11target_archE1100ELNS1_3gpuE3ELNS1_3repE0EEENS1_48merge_mergepath_partition_config_static_selectorELNS0_4arch9wavefront6targetE1EEEvSJ_
; %bb.0:
	.section	.rodata,"a",@progbits
	.p2align	6, 0x0
	.amdhsa_kernel _ZN7rocprim17ROCPRIM_400000_NS6detail17trampoline_kernelINS0_14default_configENS1_38merge_sort_block_merge_config_selectorIttEEZZNS1_27merge_sort_block_merge_implIS3_N6thrust23THRUST_200600_302600_NS6detail15normal_iteratorINS8_10device_ptrItEEEESD_jNS1_19radix_merge_compareILb0ELb1EtNS0_19identity_decomposerEEEEE10hipError_tT0_T1_T2_jT3_P12ihipStream_tbPNSt15iterator_traitsISI_E10value_typeEPNSO_ISJ_E10value_typeEPSK_NS1_7vsmem_tEENKUlT_SI_SJ_SK_E_clISD_PtSD_S10_EESH_SX_SI_SJ_SK_EUlSX_E_NS1_11comp_targetILNS1_3genE9ELNS1_11target_archE1100ELNS1_3gpuE3ELNS1_3repE0EEENS1_48merge_mergepath_partition_config_static_selectorELNS0_4arch9wavefront6targetE1EEEvSJ_
		.amdhsa_group_segment_fixed_size 0
		.amdhsa_private_segment_fixed_size 0
		.amdhsa_kernarg_size 40
		.amdhsa_user_sgpr_count 2
		.amdhsa_user_sgpr_dispatch_ptr 0
		.amdhsa_user_sgpr_queue_ptr 0
		.amdhsa_user_sgpr_kernarg_segment_ptr 1
		.amdhsa_user_sgpr_dispatch_id 0
		.amdhsa_user_sgpr_kernarg_preload_length 0
		.amdhsa_user_sgpr_kernarg_preload_offset 0
		.amdhsa_user_sgpr_private_segment_size 0
		.amdhsa_uses_dynamic_stack 0
		.amdhsa_enable_private_segment 0
		.amdhsa_system_sgpr_workgroup_id_x 1
		.amdhsa_system_sgpr_workgroup_id_y 0
		.amdhsa_system_sgpr_workgroup_id_z 0
		.amdhsa_system_sgpr_workgroup_info 0
		.amdhsa_system_vgpr_workitem_id 0
		.amdhsa_next_free_vgpr 1
		.amdhsa_next_free_sgpr 0
		.amdhsa_accum_offset 4
		.amdhsa_reserve_vcc 0
		.amdhsa_float_round_mode_32 0
		.amdhsa_float_round_mode_16_64 0
		.amdhsa_float_denorm_mode_32 3
		.amdhsa_float_denorm_mode_16_64 3
		.amdhsa_dx10_clamp 1
		.amdhsa_ieee_mode 1
		.amdhsa_fp16_overflow 0
		.amdhsa_tg_split 0
		.amdhsa_exception_fp_ieee_invalid_op 0
		.amdhsa_exception_fp_denorm_src 0
		.amdhsa_exception_fp_ieee_div_zero 0
		.amdhsa_exception_fp_ieee_overflow 0
		.amdhsa_exception_fp_ieee_underflow 0
		.amdhsa_exception_fp_ieee_inexact 0
		.amdhsa_exception_int_div_zero 0
	.end_amdhsa_kernel
	.section	.text._ZN7rocprim17ROCPRIM_400000_NS6detail17trampoline_kernelINS0_14default_configENS1_38merge_sort_block_merge_config_selectorIttEEZZNS1_27merge_sort_block_merge_implIS3_N6thrust23THRUST_200600_302600_NS6detail15normal_iteratorINS8_10device_ptrItEEEESD_jNS1_19radix_merge_compareILb0ELb1EtNS0_19identity_decomposerEEEEE10hipError_tT0_T1_T2_jT3_P12ihipStream_tbPNSt15iterator_traitsISI_E10value_typeEPNSO_ISJ_E10value_typeEPSK_NS1_7vsmem_tEENKUlT_SI_SJ_SK_E_clISD_PtSD_S10_EESH_SX_SI_SJ_SK_EUlSX_E_NS1_11comp_targetILNS1_3genE9ELNS1_11target_archE1100ELNS1_3gpuE3ELNS1_3repE0EEENS1_48merge_mergepath_partition_config_static_selectorELNS0_4arch9wavefront6targetE1EEEvSJ_,"axG",@progbits,_ZN7rocprim17ROCPRIM_400000_NS6detail17trampoline_kernelINS0_14default_configENS1_38merge_sort_block_merge_config_selectorIttEEZZNS1_27merge_sort_block_merge_implIS3_N6thrust23THRUST_200600_302600_NS6detail15normal_iteratorINS8_10device_ptrItEEEESD_jNS1_19radix_merge_compareILb0ELb1EtNS0_19identity_decomposerEEEEE10hipError_tT0_T1_T2_jT3_P12ihipStream_tbPNSt15iterator_traitsISI_E10value_typeEPNSO_ISJ_E10value_typeEPSK_NS1_7vsmem_tEENKUlT_SI_SJ_SK_E_clISD_PtSD_S10_EESH_SX_SI_SJ_SK_EUlSX_E_NS1_11comp_targetILNS1_3genE9ELNS1_11target_archE1100ELNS1_3gpuE3ELNS1_3repE0EEENS1_48merge_mergepath_partition_config_static_selectorELNS0_4arch9wavefront6targetE1EEEvSJ_,comdat
.Lfunc_end929:
	.size	_ZN7rocprim17ROCPRIM_400000_NS6detail17trampoline_kernelINS0_14default_configENS1_38merge_sort_block_merge_config_selectorIttEEZZNS1_27merge_sort_block_merge_implIS3_N6thrust23THRUST_200600_302600_NS6detail15normal_iteratorINS8_10device_ptrItEEEESD_jNS1_19radix_merge_compareILb0ELb1EtNS0_19identity_decomposerEEEEE10hipError_tT0_T1_T2_jT3_P12ihipStream_tbPNSt15iterator_traitsISI_E10value_typeEPNSO_ISJ_E10value_typeEPSK_NS1_7vsmem_tEENKUlT_SI_SJ_SK_E_clISD_PtSD_S10_EESH_SX_SI_SJ_SK_EUlSX_E_NS1_11comp_targetILNS1_3genE9ELNS1_11target_archE1100ELNS1_3gpuE3ELNS1_3repE0EEENS1_48merge_mergepath_partition_config_static_selectorELNS0_4arch9wavefront6targetE1EEEvSJ_, .Lfunc_end929-_ZN7rocprim17ROCPRIM_400000_NS6detail17trampoline_kernelINS0_14default_configENS1_38merge_sort_block_merge_config_selectorIttEEZZNS1_27merge_sort_block_merge_implIS3_N6thrust23THRUST_200600_302600_NS6detail15normal_iteratorINS8_10device_ptrItEEEESD_jNS1_19radix_merge_compareILb0ELb1EtNS0_19identity_decomposerEEEEE10hipError_tT0_T1_T2_jT3_P12ihipStream_tbPNSt15iterator_traitsISI_E10value_typeEPNSO_ISJ_E10value_typeEPSK_NS1_7vsmem_tEENKUlT_SI_SJ_SK_E_clISD_PtSD_S10_EESH_SX_SI_SJ_SK_EUlSX_E_NS1_11comp_targetILNS1_3genE9ELNS1_11target_archE1100ELNS1_3gpuE3ELNS1_3repE0EEENS1_48merge_mergepath_partition_config_static_selectorELNS0_4arch9wavefront6targetE1EEEvSJ_
                                        ; -- End function
	.set _ZN7rocprim17ROCPRIM_400000_NS6detail17trampoline_kernelINS0_14default_configENS1_38merge_sort_block_merge_config_selectorIttEEZZNS1_27merge_sort_block_merge_implIS3_N6thrust23THRUST_200600_302600_NS6detail15normal_iteratorINS8_10device_ptrItEEEESD_jNS1_19radix_merge_compareILb0ELb1EtNS0_19identity_decomposerEEEEE10hipError_tT0_T1_T2_jT3_P12ihipStream_tbPNSt15iterator_traitsISI_E10value_typeEPNSO_ISJ_E10value_typeEPSK_NS1_7vsmem_tEENKUlT_SI_SJ_SK_E_clISD_PtSD_S10_EESH_SX_SI_SJ_SK_EUlSX_E_NS1_11comp_targetILNS1_3genE9ELNS1_11target_archE1100ELNS1_3gpuE3ELNS1_3repE0EEENS1_48merge_mergepath_partition_config_static_selectorELNS0_4arch9wavefront6targetE1EEEvSJ_.num_vgpr, 0
	.set _ZN7rocprim17ROCPRIM_400000_NS6detail17trampoline_kernelINS0_14default_configENS1_38merge_sort_block_merge_config_selectorIttEEZZNS1_27merge_sort_block_merge_implIS3_N6thrust23THRUST_200600_302600_NS6detail15normal_iteratorINS8_10device_ptrItEEEESD_jNS1_19radix_merge_compareILb0ELb1EtNS0_19identity_decomposerEEEEE10hipError_tT0_T1_T2_jT3_P12ihipStream_tbPNSt15iterator_traitsISI_E10value_typeEPNSO_ISJ_E10value_typeEPSK_NS1_7vsmem_tEENKUlT_SI_SJ_SK_E_clISD_PtSD_S10_EESH_SX_SI_SJ_SK_EUlSX_E_NS1_11comp_targetILNS1_3genE9ELNS1_11target_archE1100ELNS1_3gpuE3ELNS1_3repE0EEENS1_48merge_mergepath_partition_config_static_selectorELNS0_4arch9wavefront6targetE1EEEvSJ_.num_agpr, 0
	.set _ZN7rocprim17ROCPRIM_400000_NS6detail17trampoline_kernelINS0_14default_configENS1_38merge_sort_block_merge_config_selectorIttEEZZNS1_27merge_sort_block_merge_implIS3_N6thrust23THRUST_200600_302600_NS6detail15normal_iteratorINS8_10device_ptrItEEEESD_jNS1_19radix_merge_compareILb0ELb1EtNS0_19identity_decomposerEEEEE10hipError_tT0_T1_T2_jT3_P12ihipStream_tbPNSt15iterator_traitsISI_E10value_typeEPNSO_ISJ_E10value_typeEPSK_NS1_7vsmem_tEENKUlT_SI_SJ_SK_E_clISD_PtSD_S10_EESH_SX_SI_SJ_SK_EUlSX_E_NS1_11comp_targetILNS1_3genE9ELNS1_11target_archE1100ELNS1_3gpuE3ELNS1_3repE0EEENS1_48merge_mergepath_partition_config_static_selectorELNS0_4arch9wavefront6targetE1EEEvSJ_.numbered_sgpr, 0
	.set _ZN7rocprim17ROCPRIM_400000_NS6detail17trampoline_kernelINS0_14default_configENS1_38merge_sort_block_merge_config_selectorIttEEZZNS1_27merge_sort_block_merge_implIS3_N6thrust23THRUST_200600_302600_NS6detail15normal_iteratorINS8_10device_ptrItEEEESD_jNS1_19radix_merge_compareILb0ELb1EtNS0_19identity_decomposerEEEEE10hipError_tT0_T1_T2_jT3_P12ihipStream_tbPNSt15iterator_traitsISI_E10value_typeEPNSO_ISJ_E10value_typeEPSK_NS1_7vsmem_tEENKUlT_SI_SJ_SK_E_clISD_PtSD_S10_EESH_SX_SI_SJ_SK_EUlSX_E_NS1_11comp_targetILNS1_3genE9ELNS1_11target_archE1100ELNS1_3gpuE3ELNS1_3repE0EEENS1_48merge_mergepath_partition_config_static_selectorELNS0_4arch9wavefront6targetE1EEEvSJ_.num_named_barrier, 0
	.set _ZN7rocprim17ROCPRIM_400000_NS6detail17trampoline_kernelINS0_14default_configENS1_38merge_sort_block_merge_config_selectorIttEEZZNS1_27merge_sort_block_merge_implIS3_N6thrust23THRUST_200600_302600_NS6detail15normal_iteratorINS8_10device_ptrItEEEESD_jNS1_19radix_merge_compareILb0ELb1EtNS0_19identity_decomposerEEEEE10hipError_tT0_T1_T2_jT3_P12ihipStream_tbPNSt15iterator_traitsISI_E10value_typeEPNSO_ISJ_E10value_typeEPSK_NS1_7vsmem_tEENKUlT_SI_SJ_SK_E_clISD_PtSD_S10_EESH_SX_SI_SJ_SK_EUlSX_E_NS1_11comp_targetILNS1_3genE9ELNS1_11target_archE1100ELNS1_3gpuE3ELNS1_3repE0EEENS1_48merge_mergepath_partition_config_static_selectorELNS0_4arch9wavefront6targetE1EEEvSJ_.private_seg_size, 0
	.set _ZN7rocprim17ROCPRIM_400000_NS6detail17trampoline_kernelINS0_14default_configENS1_38merge_sort_block_merge_config_selectorIttEEZZNS1_27merge_sort_block_merge_implIS3_N6thrust23THRUST_200600_302600_NS6detail15normal_iteratorINS8_10device_ptrItEEEESD_jNS1_19radix_merge_compareILb0ELb1EtNS0_19identity_decomposerEEEEE10hipError_tT0_T1_T2_jT3_P12ihipStream_tbPNSt15iterator_traitsISI_E10value_typeEPNSO_ISJ_E10value_typeEPSK_NS1_7vsmem_tEENKUlT_SI_SJ_SK_E_clISD_PtSD_S10_EESH_SX_SI_SJ_SK_EUlSX_E_NS1_11comp_targetILNS1_3genE9ELNS1_11target_archE1100ELNS1_3gpuE3ELNS1_3repE0EEENS1_48merge_mergepath_partition_config_static_selectorELNS0_4arch9wavefront6targetE1EEEvSJ_.uses_vcc, 0
	.set _ZN7rocprim17ROCPRIM_400000_NS6detail17trampoline_kernelINS0_14default_configENS1_38merge_sort_block_merge_config_selectorIttEEZZNS1_27merge_sort_block_merge_implIS3_N6thrust23THRUST_200600_302600_NS6detail15normal_iteratorINS8_10device_ptrItEEEESD_jNS1_19radix_merge_compareILb0ELb1EtNS0_19identity_decomposerEEEEE10hipError_tT0_T1_T2_jT3_P12ihipStream_tbPNSt15iterator_traitsISI_E10value_typeEPNSO_ISJ_E10value_typeEPSK_NS1_7vsmem_tEENKUlT_SI_SJ_SK_E_clISD_PtSD_S10_EESH_SX_SI_SJ_SK_EUlSX_E_NS1_11comp_targetILNS1_3genE9ELNS1_11target_archE1100ELNS1_3gpuE3ELNS1_3repE0EEENS1_48merge_mergepath_partition_config_static_selectorELNS0_4arch9wavefront6targetE1EEEvSJ_.uses_flat_scratch, 0
	.set _ZN7rocprim17ROCPRIM_400000_NS6detail17trampoline_kernelINS0_14default_configENS1_38merge_sort_block_merge_config_selectorIttEEZZNS1_27merge_sort_block_merge_implIS3_N6thrust23THRUST_200600_302600_NS6detail15normal_iteratorINS8_10device_ptrItEEEESD_jNS1_19radix_merge_compareILb0ELb1EtNS0_19identity_decomposerEEEEE10hipError_tT0_T1_T2_jT3_P12ihipStream_tbPNSt15iterator_traitsISI_E10value_typeEPNSO_ISJ_E10value_typeEPSK_NS1_7vsmem_tEENKUlT_SI_SJ_SK_E_clISD_PtSD_S10_EESH_SX_SI_SJ_SK_EUlSX_E_NS1_11comp_targetILNS1_3genE9ELNS1_11target_archE1100ELNS1_3gpuE3ELNS1_3repE0EEENS1_48merge_mergepath_partition_config_static_selectorELNS0_4arch9wavefront6targetE1EEEvSJ_.has_dyn_sized_stack, 0
	.set _ZN7rocprim17ROCPRIM_400000_NS6detail17trampoline_kernelINS0_14default_configENS1_38merge_sort_block_merge_config_selectorIttEEZZNS1_27merge_sort_block_merge_implIS3_N6thrust23THRUST_200600_302600_NS6detail15normal_iteratorINS8_10device_ptrItEEEESD_jNS1_19radix_merge_compareILb0ELb1EtNS0_19identity_decomposerEEEEE10hipError_tT0_T1_T2_jT3_P12ihipStream_tbPNSt15iterator_traitsISI_E10value_typeEPNSO_ISJ_E10value_typeEPSK_NS1_7vsmem_tEENKUlT_SI_SJ_SK_E_clISD_PtSD_S10_EESH_SX_SI_SJ_SK_EUlSX_E_NS1_11comp_targetILNS1_3genE9ELNS1_11target_archE1100ELNS1_3gpuE3ELNS1_3repE0EEENS1_48merge_mergepath_partition_config_static_selectorELNS0_4arch9wavefront6targetE1EEEvSJ_.has_recursion, 0
	.set _ZN7rocprim17ROCPRIM_400000_NS6detail17trampoline_kernelINS0_14default_configENS1_38merge_sort_block_merge_config_selectorIttEEZZNS1_27merge_sort_block_merge_implIS3_N6thrust23THRUST_200600_302600_NS6detail15normal_iteratorINS8_10device_ptrItEEEESD_jNS1_19radix_merge_compareILb0ELb1EtNS0_19identity_decomposerEEEEE10hipError_tT0_T1_T2_jT3_P12ihipStream_tbPNSt15iterator_traitsISI_E10value_typeEPNSO_ISJ_E10value_typeEPSK_NS1_7vsmem_tEENKUlT_SI_SJ_SK_E_clISD_PtSD_S10_EESH_SX_SI_SJ_SK_EUlSX_E_NS1_11comp_targetILNS1_3genE9ELNS1_11target_archE1100ELNS1_3gpuE3ELNS1_3repE0EEENS1_48merge_mergepath_partition_config_static_selectorELNS0_4arch9wavefront6targetE1EEEvSJ_.has_indirect_call, 0
	.section	.AMDGPU.csdata,"",@progbits
; Kernel info:
; codeLenInByte = 0
; TotalNumSgprs: 6
; NumVgprs: 0
; NumAgprs: 0
; TotalNumVgprs: 0
; ScratchSize: 0
; MemoryBound: 0
; FloatMode: 240
; IeeeMode: 1
; LDSByteSize: 0 bytes/workgroup (compile time only)
; SGPRBlocks: 0
; VGPRBlocks: 0
; NumSGPRsForWavesPerEU: 6
; NumVGPRsForWavesPerEU: 1
; AccumOffset: 4
; Occupancy: 8
; WaveLimiterHint : 0
; COMPUTE_PGM_RSRC2:SCRATCH_EN: 0
; COMPUTE_PGM_RSRC2:USER_SGPR: 2
; COMPUTE_PGM_RSRC2:TRAP_HANDLER: 0
; COMPUTE_PGM_RSRC2:TGID_X_EN: 1
; COMPUTE_PGM_RSRC2:TGID_Y_EN: 0
; COMPUTE_PGM_RSRC2:TGID_Z_EN: 0
; COMPUTE_PGM_RSRC2:TIDIG_COMP_CNT: 0
; COMPUTE_PGM_RSRC3_GFX90A:ACCUM_OFFSET: 0
; COMPUTE_PGM_RSRC3_GFX90A:TG_SPLIT: 0
	.section	.text._ZN7rocprim17ROCPRIM_400000_NS6detail17trampoline_kernelINS0_14default_configENS1_38merge_sort_block_merge_config_selectorIttEEZZNS1_27merge_sort_block_merge_implIS3_N6thrust23THRUST_200600_302600_NS6detail15normal_iteratorINS8_10device_ptrItEEEESD_jNS1_19radix_merge_compareILb0ELb1EtNS0_19identity_decomposerEEEEE10hipError_tT0_T1_T2_jT3_P12ihipStream_tbPNSt15iterator_traitsISI_E10value_typeEPNSO_ISJ_E10value_typeEPSK_NS1_7vsmem_tEENKUlT_SI_SJ_SK_E_clISD_PtSD_S10_EESH_SX_SI_SJ_SK_EUlSX_E_NS1_11comp_targetILNS1_3genE8ELNS1_11target_archE1030ELNS1_3gpuE2ELNS1_3repE0EEENS1_48merge_mergepath_partition_config_static_selectorELNS0_4arch9wavefront6targetE1EEEvSJ_,"axG",@progbits,_ZN7rocprim17ROCPRIM_400000_NS6detail17trampoline_kernelINS0_14default_configENS1_38merge_sort_block_merge_config_selectorIttEEZZNS1_27merge_sort_block_merge_implIS3_N6thrust23THRUST_200600_302600_NS6detail15normal_iteratorINS8_10device_ptrItEEEESD_jNS1_19radix_merge_compareILb0ELb1EtNS0_19identity_decomposerEEEEE10hipError_tT0_T1_T2_jT3_P12ihipStream_tbPNSt15iterator_traitsISI_E10value_typeEPNSO_ISJ_E10value_typeEPSK_NS1_7vsmem_tEENKUlT_SI_SJ_SK_E_clISD_PtSD_S10_EESH_SX_SI_SJ_SK_EUlSX_E_NS1_11comp_targetILNS1_3genE8ELNS1_11target_archE1030ELNS1_3gpuE2ELNS1_3repE0EEENS1_48merge_mergepath_partition_config_static_selectorELNS0_4arch9wavefront6targetE1EEEvSJ_,comdat
	.protected	_ZN7rocprim17ROCPRIM_400000_NS6detail17trampoline_kernelINS0_14default_configENS1_38merge_sort_block_merge_config_selectorIttEEZZNS1_27merge_sort_block_merge_implIS3_N6thrust23THRUST_200600_302600_NS6detail15normal_iteratorINS8_10device_ptrItEEEESD_jNS1_19radix_merge_compareILb0ELb1EtNS0_19identity_decomposerEEEEE10hipError_tT0_T1_T2_jT3_P12ihipStream_tbPNSt15iterator_traitsISI_E10value_typeEPNSO_ISJ_E10value_typeEPSK_NS1_7vsmem_tEENKUlT_SI_SJ_SK_E_clISD_PtSD_S10_EESH_SX_SI_SJ_SK_EUlSX_E_NS1_11comp_targetILNS1_3genE8ELNS1_11target_archE1030ELNS1_3gpuE2ELNS1_3repE0EEENS1_48merge_mergepath_partition_config_static_selectorELNS0_4arch9wavefront6targetE1EEEvSJ_ ; -- Begin function _ZN7rocprim17ROCPRIM_400000_NS6detail17trampoline_kernelINS0_14default_configENS1_38merge_sort_block_merge_config_selectorIttEEZZNS1_27merge_sort_block_merge_implIS3_N6thrust23THRUST_200600_302600_NS6detail15normal_iteratorINS8_10device_ptrItEEEESD_jNS1_19radix_merge_compareILb0ELb1EtNS0_19identity_decomposerEEEEE10hipError_tT0_T1_T2_jT3_P12ihipStream_tbPNSt15iterator_traitsISI_E10value_typeEPNSO_ISJ_E10value_typeEPSK_NS1_7vsmem_tEENKUlT_SI_SJ_SK_E_clISD_PtSD_S10_EESH_SX_SI_SJ_SK_EUlSX_E_NS1_11comp_targetILNS1_3genE8ELNS1_11target_archE1030ELNS1_3gpuE2ELNS1_3repE0EEENS1_48merge_mergepath_partition_config_static_selectorELNS0_4arch9wavefront6targetE1EEEvSJ_
	.globl	_ZN7rocprim17ROCPRIM_400000_NS6detail17trampoline_kernelINS0_14default_configENS1_38merge_sort_block_merge_config_selectorIttEEZZNS1_27merge_sort_block_merge_implIS3_N6thrust23THRUST_200600_302600_NS6detail15normal_iteratorINS8_10device_ptrItEEEESD_jNS1_19radix_merge_compareILb0ELb1EtNS0_19identity_decomposerEEEEE10hipError_tT0_T1_T2_jT3_P12ihipStream_tbPNSt15iterator_traitsISI_E10value_typeEPNSO_ISJ_E10value_typeEPSK_NS1_7vsmem_tEENKUlT_SI_SJ_SK_E_clISD_PtSD_S10_EESH_SX_SI_SJ_SK_EUlSX_E_NS1_11comp_targetILNS1_3genE8ELNS1_11target_archE1030ELNS1_3gpuE2ELNS1_3repE0EEENS1_48merge_mergepath_partition_config_static_selectorELNS0_4arch9wavefront6targetE1EEEvSJ_
	.p2align	8
	.type	_ZN7rocprim17ROCPRIM_400000_NS6detail17trampoline_kernelINS0_14default_configENS1_38merge_sort_block_merge_config_selectorIttEEZZNS1_27merge_sort_block_merge_implIS3_N6thrust23THRUST_200600_302600_NS6detail15normal_iteratorINS8_10device_ptrItEEEESD_jNS1_19radix_merge_compareILb0ELb1EtNS0_19identity_decomposerEEEEE10hipError_tT0_T1_T2_jT3_P12ihipStream_tbPNSt15iterator_traitsISI_E10value_typeEPNSO_ISJ_E10value_typeEPSK_NS1_7vsmem_tEENKUlT_SI_SJ_SK_E_clISD_PtSD_S10_EESH_SX_SI_SJ_SK_EUlSX_E_NS1_11comp_targetILNS1_3genE8ELNS1_11target_archE1030ELNS1_3gpuE2ELNS1_3repE0EEENS1_48merge_mergepath_partition_config_static_selectorELNS0_4arch9wavefront6targetE1EEEvSJ_,@function
_ZN7rocprim17ROCPRIM_400000_NS6detail17trampoline_kernelINS0_14default_configENS1_38merge_sort_block_merge_config_selectorIttEEZZNS1_27merge_sort_block_merge_implIS3_N6thrust23THRUST_200600_302600_NS6detail15normal_iteratorINS8_10device_ptrItEEEESD_jNS1_19radix_merge_compareILb0ELb1EtNS0_19identity_decomposerEEEEE10hipError_tT0_T1_T2_jT3_P12ihipStream_tbPNSt15iterator_traitsISI_E10value_typeEPNSO_ISJ_E10value_typeEPSK_NS1_7vsmem_tEENKUlT_SI_SJ_SK_E_clISD_PtSD_S10_EESH_SX_SI_SJ_SK_EUlSX_E_NS1_11comp_targetILNS1_3genE8ELNS1_11target_archE1030ELNS1_3gpuE2ELNS1_3repE0EEENS1_48merge_mergepath_partition_config_static_selectorELNS0_4arch9wavefront6targetE1EEEvSJ_: ; @_ZN7rocprim17ROCPRIM_400000_NS6detail17trampoline_kernelINS0_14default_configENS1_38merge_sort_block_merge_config_selectorIttEEZZNS1_27merge_sort_block_merge_implIS3_N6thrust23THRUST_200600_302600_NS6detail15normal_iteratorINS8_10device_ptrItEEEESD_jNS1_19radix_merge_compareILb0ELb1EtNS0_19identity_decomposerEEEEE10hipError_tT0_T1_T2_jT3_P12ihipStream_tbPNSt15iterator_traitsISI_E10value_typeEPNSO_ISJ_E10value_typeEPSK_NS1_7vsmem_tEENKUlT_SI_SJ_SK_E_clISD_PtSD_S10_EESH_SX_SI_SJ_SK_EUlSX_E_NS1_11comp_targetILNS1_3genE8ELNS1_11target_archE1030ELNS1_3gpuE2ELNS1_3repE0EEENS1_48merge_mergepath_partition_config_static_selectorELNS0_4arch9wavefront6targetE1EEEvSJ_
; %bb.0:
	.section	.rodata,"a",@progbits
	.p2align	6, 0x0
	.amdhsa_kernel _ZN7rocprim17ROCPRIM_400000_NS6detail17trampoline_kernelINS0_14default_configENS1_38merge_sort_block_merge_config_selectorIttEEZZNS1_27merge_sort_block_merge_implIS3_N6thrust23THRUST_200600_302600_NS6detail15normal_iteratorINS8_10device_ptrItEEEESD_jNS1_19radix_merge_compareILb0ELb1EtNS0_19identity_decomposerEEEEE10hipError_tT0_T1_T2_jT3_P12ihipStream_tbPNSt15iterator_traitsISI_E10value_typeEPNSO_ISJ_E10value_typeEPSK_NS1_7vsmem_tEENKUlT_SI_SJ_SK_E_clISD_PtSD_S10_EESH_SX_SI_SJ_SK_EUlSX_E_NS1_11comp_targetILNS1_3genE8ELNS1_11target_archE1030ELNS1_3gpuE2ELNS1_3repE0EEENS1_48merge_mergepath_partition_config_static_selectorELNS0_4arch9wavefront6targetE1EEEvSJ_
		.amdhsa_group_segment_fixed_size 0
		.amdhsa_private_segment_fixed_size 0
		.amdhsa_kernarg_size 40
		.amdhsa_user_sgpr_count 2
		.amdhsa_user_sgpr_dispatch_ptr 0
		.amdhsa_user_sgpr_queue_ptr 0
		.amdhsa_user_sgpr_kernarg_segment_ptr 1
		.amdhsa_user_sgpr_dispatch_id 0
		.amdhsa_user_sgpr_kernarg_preload_length 0
		.amdhsa_user_sgpr_kernarg_preload_offset 0
		.amdhsa_user_sgpr_private_segment_size 0
		.amdhsa_uses_dynamic_stack 0
		.amdhsa_enable_private_segment 0
		.amdhsa_system_sgpr_workgroup_id_x 1
		.amdhsa_system_sgpr_workgroup_id_y 0
		.amdhsa_system_sgpr_workgroup_id_z 0
		.amdhsa_system_sgpr_workgroup_info 0
		.amdhsa_system_vgpr_workitem_id 0
		.amdhsa_next_free_vgpr 1
		.amdhsa_next_free_sgpr 0
		.amdhsa_accum_offset 4
		.amdhsa_reserve_vcc 0
		.amdhsa_float_round_mode_32 0
		.amdhsa_float_round_mode_16_64 0
		.amdhsa_float_denorm_mode_32 3
		.amdhsa_float_denorm_mode_16_64 3
		.amdhsa_dx10_clamp 1
		.amdhsa_ieee_mode 1
		.amdhsa_fp16_overflow 0
		.amdhsa_tg_split 0
		.amdhsa_exception_fp_ieee_invalid_op 0
		.amdhsa_exception_fp_denorm_src 0
		.amdhsa_exception_fp_ieee_div_zero 0
		.amdhsa_exception_fp_ieee_overflow 0
		.amdhsa_exception_fp_ieee_underflow 0
		.amdhsa_exception_fp_ieee_inexact 0
		.amdhsa_exception_int_div_zero 0
	.end_amdhsa_kernel
	.section	.text._ZN7rocprim17ROCPRIM_400000_NS6detail17trampoline_kernelINS0_14default_configENS1_38merge_sort_block_merge_config_selectorIttEEZZNS1_27merge_sort_block_merge_implIS3_N6thrust23THRUST_200600_302600_NS6detail15normal_iteratorINS8_10device_ptrItEEEESD_jNS1_19radix_merge_compareILb0ELb1EtNS0_19identity_decomposerEEEEE10hipError_tT0_T1_T2_jT3_P12ihipStream_tbPNSt15iterator_traitsISI_E10value_typeEPNSO_ISJ_E10value_typeEPSK_NS1_7vsmem_tEENKUlT_SI_SJ_SK_E_clISD_PtSD_S10_EESH_SX_SI_SJ_SK_EUlSX_E_NS1_11comp_targetILNS1_3genE8ELNS1_11target_archE1030ELNS1_3gpuE2ELNS1_3repE0EEENS1_48merge_mergepath_partition_config_static_selectorELNS0_4arch9wavefront6targetE1EEEvSJ_,"axG",@progbits,_ZN7rocprim17ROCPRIM_400000_NS6detail17trampoline_kernelINS0_14default_configENS1_38merge_sort_block_merge_config_selectorIttEEZZNS1_27merge_sort_block_merge_implIS3_N6thrust23THRUST_200600_302600_NS6detail15normal_iteratorINS8_10device_ptrItEEEESD_jNS1_19radix_merge_compareILb0ELb1EtNS0_19identity_decomposerEEEEE10hipError_tT0_T1_T2_jT3_P12ihipStream_tbPNSt15iterator_traitsISI_E10value_typeEPNSO_ISJ_E10value_typeEPSK_NS1_7vsmem_tEENKUlT_SI_SJ_SK_E_clISD_PtSD_S10_EESH_SX_SI_SJ_SK_EUlSX_E_NS1_11comp_targetILNS1_3genE8ELNS1_11target_archE1030ELNS1_3gpuE2ELNS1_3repE0EEENS1_48merge_mergepath_partition_config_static_selectorELNS0_4arch9wavefront6targetE1EEEvSJ_,comdat
.Lfunc_end930:
	.size	_ZN7rocprim17ROCPRIM_400000_NS6detail17trampoline_kernelINS0_14default_configENS1_38merge_sort_block_merge_config_selectorIttEEZZNS1_27merge_sort_block_merge_implIS3_N6thrust23THRUST_200600_302600_NS6detail15normal_iteratorINS8_10device_ptrItEEEESD_jNS1_19radix_merge_compareILb0ELb1EtNS0_19identity_decomposerEEEEE10hipError_tT0_T1_T2_jT3_P12ihipStream_tbPNSt15iterator_traitsISI_E10value_typeEPNSO_ISJ_E10value_typeEPSK_NS1_7vsmem_tEENKUlT_SI_SJ_SK_E_clISD_PtSD_S10_EESH_SX_SI_SJ_SK_EUlSX_E_NS1_11comp_targetILNS1_3genE8ELNS1_11target_archE1030ELNS1_3gpuE2ELNS1_3repE0EEENS1_48merge_mergepath_partition_config_static_selectorELNS0_4arch9wavefront6targetE1EEEvSJ_, .Lfunc_end930-_ZN7rocprim17ROCPRIM_400000_NS6detail17trampoline_kernelINS0_14default_configENS1_38merge_sort_block_merge_config_selectorIttEEZZNS1_27merge_sort_block_merge_implIS3_N6thrust23THRUST_200600_302600_NS6detail15normal_iteratorINS8_10device_ptrItEEEESD_jNS1_19radix_merge_compareILb0ELb1EtNS0_19identity_decomposerEEEEE10hipError_tT0_T1_T2_jT3_P12ihipStream_tbPNSt15iterator_traitsISI_E10value_typeEPNSO_ISJ_E10value_typeEPSK_NS1_7vsmem_tEENKUlT_SI_SJ_SK_E_clISD_PtSD_S10_EESH_SX_SI_SJ_SK_EUlSX_E_NS1_11comp_targetILNS1_3genE8ELNS1_11target_archE1030ELNS1_3gpuE2ELNS1_3repE0EEENS1_48merge_mergepath_partition_config_static_selectorELNS0_4arch9wavefront6targetE1EEEvSJ_
                                        ; -- End function
	.set _ZN7rocprim17ROCPRIM_400000_NS6detail17trampoline_kernelINS0_14default_configENS1_38merge_sort_block_merge_config_selectorIttEEZZNS1_27merge_sort_block_merge_implIS3_N6thrust23THRUST_200600_302600_NS6detail15normal_iteratorINS8_10device_ptrItEEEESD_jNS1_19radix_merge_compareILb0ELb1EtNS0_19identity_decomposerEEEEE10hipError_tT0_T1_T2_jT3_P12ihipStream_tbPNSt15iterator_traitsISI_E10value_typeEPNSO_ISJ_E10value_typeEPSK_NS1_7vsmem_tEENKUlT_SI_SJ_SK_E_clISD_PtSD_S10_EESH_SX_SI_SJ_SK_EUlSX_E_NS1_11comp_targetILNS1_3genE8ELNS1_11target_archE1030ELNS1_3gpuE2ELNS1_3repE0EEENS1_48merge_mergepath_partition_config_static_selectorELNS0_4arch9wavefront6targetE1EEEvSJ_.num_vgpr, 0
	.set _ZN7rocprim17ROCPRIM_400000_NS6detail17trampoline_kernelINS0_14default_configENS1_38merge_sort_block_merge_config_selectorIttEEZZNS1_27merge_sort_block_merge_implIS3_N6thrust23THRUST_200600_302600_NS6detail15normal_iteratorINS8_10device_ptrItEEEESD_jNS1_19radix_merge_compareILb0ELb1EtNS0_19identity_decomposerEEEEE10hipError_tT0_T1_T2_jT3_P12ihipStream_tbPNSt15iterator_traitsISI_E10value_typeEPNSO_ISJ_E10value_typeEPSK_NS1_7vsmem_tEENKUlT_SI_SJ_SK_E_clISD_PtSD_S10_EESH_SX_SI_SJ_SK_EUlSX_E_NS1_11comp_targetILNS1_3genE8ELNS1_11target_archE1030ELNS1_3gpuE2ELNS1_3repE0EEENS1_48merge_mergepath_partition_config_static_selectorELNS0_4arch9wavefront6targetE1EEEvSJ_.num_agpr, 0
	.set _ZN7rocprim17ROCPRIM_400000_NS6detail17trampoline_kernelINS0_14default_configENS1_38merge_sort_block_merge_config_selectorIttEEZZNS1_27merge_sort_block_merge_implIS3_N6thrust23THRUST_200600_302600_NS6detail15normal_iteratorINS8_10device_ptrItEEEESD_jNS1_19radix_merge_compareILb0ELb1EtNS0_19identity_decomposerEEEEE10hipError_tT0_T1_T2_jT3_P12ihipStream_tbPNSt15iterator_traitsISI_E10value_typeEPNSO_ISJ_E10value_typeEPSK_NS1_7vsmem_tEENKUlT_SI_SJ_SK_E_clISD_PtSD_S10_EESH_SX_SI_SJ_SK_EUlSX_E_NS1_11comp_targetILNS1_3genE8ELNS1_11target_archE1030ELNS1_3gpuE2ELNS1_3repE0EEENS1_48merge_mergepath_partition_config_static_selectorELNS0_4arch9wavefront6targetE1EEEvSJ_.numbered_sgpr, 0
	.set _ZN7rocprim17ROCPRIM_400000_NS6detail17trampoline_kernelINS0_14default_configENS1_38merge_sort_block_merge_config_selectorIttEEZZNS1_27merge_sort_block_merge_implIS3_N6thrust23THRUST_200600_302600_NS6detail15normal_iteratorINS8_10device_ptrItEEEESD_jNS1_19radix_merge_compareILb0ELb1EtNS0_19identity_decomposerEEEEE10hipError_tT0_T1_T2_jT3_P12ihipStream_tbPNSt15iterator_traitsISI_E10value_typeEPNSO_ISJ_E10value_typeEPSK_NS1_7vsmem_tEENKUlT_SI_SJ_SK_E_clISD_PtSD_S10_EESH_SX_SI_SJ_SK_EUlSX_E_NS1_11comp_targetILNS1_3genE8ELNS1_11target_archE1030ELNS1_3gpuE2ELNS1_3repE0EEENS1_48merge_mergepath_partition_config_static_selectorELNS0_4arch9wavefront6targetE1EEEvSJ_.num_named_barrier, 0
	.set _ZN7rocprim17ROCPRIM_400000_NS6detail17trampoline_kernelINS0_14default_configENS1_38merge_sort_block_merge_config_selectorIttEEZZNS1_27merge_sort_block_merge_implIS3_N6thrust23THRUST_200600_302600_NS6detail15normal_iteratorINS8_10device_ptrItEEEESD_jNS1_19radix_merge_compareILb0ELb1EtNS0_19identity_decomposerEEEEE10hipError_tT0_T1_T2_jT3_P12ihipStream_tbPNSt15iterator_traitsISI_E10value_typeEPNSO_ISJ_E10value_typeEPSK_NS1_7vsmem_tEENKUlT_SI_SJ_SK_E_clISD_PtSD_S10_EESH_SX_SI_SJ_SK_EUlSX_E_NS1_11comp_targetILNS1_3genE8ELNS1_11target_archE1030ELNS1_3gpuE2ELNS1_3repE0EEENS1_48merge_mergepath_partition_config_static_selectorELNS0_4arch9wavefront6targetE1EEEvSJ_.private_seg_size, 0
	.set _ZN7rocprim17ROCPRIM_400000_NS6detail17trampoline_kernelINS0_14default_configENS1_38merge_sort_block_merge_config_selectorIttEEZZNS1_27merge_sort_block_merge_implIS3_N6thrust23THRUST_200600_302600_NS6detail15normal_iteratorINS8_10device_ptrItEEEESD_jNS1_19radix_merge_compareILb0ELb1EtNS0_19identity_decomposerEEEEE10hipError_tT0_T1_T2_jT3_P12ihipStream_tbPNSt15iterator_traitsISI_E10value_typeEPNSO_ISJ_E10value_typeEPSK_NS1_7vsmem_tEENKUlT_SI_SJ_SK_E_clISD_PtSD_S10_EESH_SX_SI_SJ_SK_EUlSX_E_NS1_11comp_targetILNS1_3genE8ELNS1_11target_archE1030ELNS1_3gpuE2ELNS1_3repE0EEENS1_48merge_mergepath_partition_config_static_selectorELNS0_4arch9wavefront6targetE1EEEvSJ_.uses_vcc, 0
	.set _ZN7rocprim17ROCPRIM_400000_NS6detail17trampoline_kernelINS0_14default_configENS1_38merge_sort_block_merge_config_selectorIttEEZZNS1_27merge_sort_block_merge_implIS3_N6thrust23THRUST_200600_302600_NS6detail15normal_iteratorINS8_10device_ptrItEEEESD_jNS1_19radix_merge_compareILb0ELb1EtNS0_19identity_decomposerEEEEE10hipError_tT0_T1_T2_jT3_P12ihipStream_tbPNSt15iterator_traitsISI_E10value_typeEPNSO_ISJ_E10value_typeEPSK_NS1_7vsmem_tEENKUlT_SI_SJ_SK_E_clISD_PtSD_S10_EESH_SX_SI_SJ_SK_EUlSX_E_NS1_11comp_targetILNS1_3genE8ELNS1_11target_archE1030ELNS1_3gpuE2ELNS1_3repE0EEENS1_48merge_mergepath_partition_config_static_selectorELNS0_4arch9wavefront6targetE1EEEvSJ_.uses_flat_scratch, 0
	.set _ZN7rocprim17ROCPRIM_400000_NS6detail17trampoline_kernelINS0_14default_configENS1_38merge_sort_block_merge_config_selectorIttEEZZNS1_27merge_sort_block_merge_implIS3_N6thrust23THRUST_200600_302600_NS6detail15normal_iteratorINS8_10device_ptrItEEEESD_jNS1_19radix_merge_compareILb0ELb1EtNS0_19identity_decomposerEEEEE10hipError_tT0_T1_T2_jT3_P12ihipStream_tbPNSt15iterator_traitsISI_E10value_typeEPNSO_ISJ_E10value_typeEPSK_NS1_7vsmem_tEENKUlT_SI_SJ_SK_E_clISD_PtSD_S10_EESH_SX_SI_SJ_SK_EUlSX_E_NS1_11comp_targetILNS1_3genE8ELNS1_11target_archE1030ELNS1_3gpuE2ELNS1_3repE0EEENS1_48merge_mergepath_partition_config_static_selectorELNS0_4arch9wavefront6targetE1EEEvSJ_.has_dyn_sized_stack, 0
	.set _ZN7rocprim17ROCPRIM_400000_NS6detail17trampoline_kernelINS0_14default_configENS1_38merge_sort_block_merge_config_selectorIttEEZZNS1_27merge_sort_block_merge_implIS3_N6thrust23THRUST_200600_302600_NS6detail15normal_iteratorINS8_10device_ptrItEEEESD_jNS1_19radix_merge_compareILb0ELb1EtNS0_19identity_decomposerEEEEE10hipError_tT0_T1_T2_jT3_P12ihipStream_tbPNSt15iterator_traitsISI_E10value_typeEPNSO_ISJ_E10value_typeEPSK_NS1_7vsmem_tEENKUlT_SI_SJ_SK_E_clISD_PtSD_S10_EESH_SX_SI_SJ_SK_EUlSX_E_NS1_11comp_targetILNS1_3genE8ELNS1_11target_archE1030ELNS1_3gpuE2ELNS1_3repE0EEENS1_48merge_mergepath_partition_config_static_selectorELNS0_4arch9wavefront6targetE1EEEvSJ_.has_recursion, 0
	.set _ZN7rocprim17ROCPRIM_400000_NS6detail17trampoline_kernelINS0_14default_configENS1_38merge_sort_block_merge_config_selectorIttEEZZNS1_27merge_sort_block_merge_implIS3_N6thrust23THRUST_200600_302600_NS6detail15normal_iteratorINS8_10device_ptrItEEEESD_jNS1_19radix_merge_compareILb0ELb1EtNS0_19identity_decomposerEEEEE10hipError_tT0_T1_T2_jT3_P12ihipStream_tbPNSt15iterator_traitsISI_E10value_typeEPNSO_ISJ_E10value_typeEPSK_NS1_7vsmem_tEENKUlT_SI_SJ_SK_E_clISD_PtSD_S10_EESH_SX_SI_SJ_SK_EUlSX_E_NS1_11comp_targetILNS1_3genE8ELNS1_11target_archE1030ELNS1_3gpuE2ELNS1_3repE0EEENS1_48merge_mergepath_partition_config_static_selectorELNS0_4arch9wavefront6targetE1EEEvSJ_.has_indirect_call, 0
	.section	.AMDGPU.csdata,"",@progbits
; Kernel info:
; codeLenInByte = 0
; TotalNumSgprs: 6
; NumVgprs: 0
; NumAgprs: 0
; TotalNumVgprs: 0
; ScratchSize: 0
; MemoryBound: 0
; FloatMode: 240
; IeeeMode: 1
; LDSByteSize: 0 bytes/workgroup (compile time only)
; SGPRBlocks: 0
; VGPRBlocks: 0
; NumSGPRsForWavesPerEU: 6
; NumVGPRsForWavesPerEU: 1
; AccumOffset: 4
; Occupancy: 8
; WaveLimiterHint : 0
; COMPUTE_PGM_RSRC2:SCRATCH_EN: 0
; COMPUTE_PGM_RSRC2:USER_SGPR: 2
; COMPUTE_PGM_RSRC2:TRAP_HANDLER: 0
; COMPUTE_PGM_RSRC2:TGID_X_EN: 1
; COMPUTE_PGM_RSRC2:TGID_Y_EN: 0
; COMPUTE_PGM_RSRC2:TGID_Z_EN: 0
; COMPUTE_PGM_RSRC2:TIDIG_COMP_CNT: 0
; COMPUTE_PGM_RSRC3_GFX90A:ACCUM_OFFSET: 0
; COMPUTE_PGM_RSRC3_GFX90A:TG_SPLIT: 0
	.section	.text._ZN7rocprim17ROCPRIM_400000_NS6detail17trampoline_kernelINS0_14default_configENS1_38merge_sort_block_merge_config_selectorIttEEZZNS1_27merge_sort_block_merge_implIS3_N6thrust23THRUST_200600_302600_NS6detail15normal_iteratorINS8_10device_ptrItEEEESD_jNS1_19radix_merge_compareILb0ELb1EtNS0_19identity_decomposerEEEEE10hipError_tT0_T1_T2_jT3_P12ihipStream_tbPNSt15iterator_traitsISI_E10value_typeEPNSO_ISJ_E10value_typeEPSK_NS1_7vsmem_tEENKUlT_SI_SJ_SK_E_clISD_PtSD_S10_EESH_SX_SI_SJ_SK_EUlSX_E0_NS1_11comp_targetILNS1_3genE0ELNS1_11target_archE4294967295ELNS1_3gpuE0ELNS1_3repE0EEENS1_38merge_mergepath_config_static_selectorELNS0_4arch9wavefront6targetE1EEEvSJ_,"axG",@progbits,_ZN7rocprim17ROCPRIM_400000_NS6detail17trampoline_kernelINS0_14default_configENS1_38merge_sort_block_merge_config_selectorIttEEZZNS1_27merge_sort_block_merge_implIS3_N6thrust23THRUST_200600_302600_NS6detail15normal_iteratorINS8_10device_ptrItEEEESD_jNS1_19radix_merge_compareILb0ELb1EtNS0_19identity_decomposerEEEEE10hipError_tT0_T1_T2_jT3_P12ihipStream_tbPNSt15iterator_traitsISI_E10value_typeEPNSO_ISJ_E10value_typeEPSK_NS1_7vsmem_tEENKUlT_SI_SJ_SK_E_clISD_PtSD_S10_EESH_SX_SI_SJ_SK_EUlSX_E0_NS1_11comp_targetILNS1_3genE0ELNS1_11target_archE4294967295ELNS1_3gpuE0ELNS1_3repE0EEENS1_38merge_mergepath_config_static_selectorELNS0_4arch9wavefront6targetE1EEEvSJ_,comdat
	.protected	_ZN7rocprim17ROCPRIM_400000_NS6detail17trampoline_kernelINS0_14default_configENS1_38merge_sort_block_merge_config_selectorIttEEZZNS1_27merge_sort_block_merge_implIS3_N6thrust23THRUST_200600_302600_NS6detail15normal_iteratorINS8_10device_ptrItEEEESD_jNS1_19radix_merge_compareILb0ELb1EtNS0_19identity_decomposerEEEEE10hipError_tT0_T1_T2_jT3_P12ihipStream_tbPNSt15iterator_traitsISI_E10value_typeEPNSO_ISJ_E10value_typeEPSK_NS1_7vsmem_tEENKUlT_SI_SJ_SK_E_clISD_PtSD_S10_EESH_SX_SI_SJ_SK_EUlSX_E0_NS1_11comp_targetILNS1_3genE0ELNS1_11target_archE4294967295ELNS1_3gpuE0ELNS1_3repE0EEENS1_38merge_mergepath_config_static_selectorELNS0_4arch9wavefront6targetE1EEEvSJ_ ; -- Begin function _ZN7rocprim17ROCPRIM_400000_NS6detail17trampoline_kernelINS0_14default_configENS1_38merge_sort_block_merge_config_selectorIttEEZZNS1_27merge_sort_block_merge_implIS3_N6thrust23THRUST_200600_302600_NS6detail15normal_iteratorINS8_10device_ptrItEEEESD_jNS1_19radix_merge_compareILb0ELb1EtNS0_19identity_decomposerEEEEE10hipError_tT0_T1_T2_jT3_P12ihipStream_tbPNSt15iterator_traitsISI_E10value_typeEPNSO_ISJ_E10value_typeEPSK_NS1_7vsmem_tEENKUlT_SI_SJ_SK_E_clISD_PtSD_S10_EESH_SX_SI_SJ_SK_EUlSX_E0_NS1_11comp_targetILNS1_3genE0ELNS1_11target_archE4294967295ELNS1_3gpuE0ELNS1_3repE0EEENS1_38merge_mergepath_config_static_selectorELNS0_4arch9wavefront6targetE1EEEvSJ_
	.globl	_ZN7rocprim17ROCPRIM_400000_NS6detail17trampoline_kernelINS0_14default_configENS1_38merge_sort_block_merge_config_selectorIttEEZZNS1_27merge_sort_block_merge_implIS3_N6thrust23THRUST_200600_302600_NS6detail15normal_iteratorINS8_10device_ptrItEEEESD_jNS1_19radix_merge_compareILb0ELb1EtNS0_19identity_decomposerEEEEE10hipError_tT0_T1_T2_jT3_P12ihipStream_tbPNSt15iterator_traitsISI_E10value_typeEPNSO_ISJ_E10value_typeEPSK_NS1_7vsmem_tEENKUlT_SI_SJ_SK_E_clISD_PtSD_S10_EESH_SX_SI_SJ_SK_EUlSX_E0_NS1_11comp_targetILNS1_3genE0ELNS1_11target_archE4294967295ELNS1_3gpuE0ELNS1_3repE0EEENS1_38merge_mergepath_config_static_selectorELNS0_4arch9wavefront6targetE1EEEvSJ_
	.p2align	8
	.type	_ZN7rocprim17ROCPRIM_400000_NS6detail17trampoline_kernelINS0_14default_configENS1_38merge_sort_block_merge_config_selectorIttEEZZNS1_27merge_sort_block_merge_implIS3_N6thrust23THRUST_200600_302600_NS6detail15normal_iteratorINS8_10device_ptrItEEEESD_jNS1_19radix_merge_compareILb0ELb1EtNS0_19identity_decomposerEEEEE10hipError_tT0_T1_T2_jT3_P12ihipStream_tbPNSt15iterator_traitsISI_E10value_typeEPNSO_ISJ_E10value_typeEPSK_NS1_7vsmem_tEENKUlT_SI_SJ_SK_E_clISD_PtSD_S10_EESH_SX_SI_SJ_SK_EUlSX_E0_NS1_11comp_targetILNS1_3genE0ELNS1_11target_archE4294967295ELNS1_3gpuE0ELNS1_3repE0EEENS1_38merge_mergepath_config_static_selectorELNS0_4arch9wavefront6targetE1EEEvSJ_,@function
_ZN7rocprim17ROCPRIM_400000_NS6detail17trampoline_kernelINS0_14default_configENS1_38merge_sort_block_merge_config_selectorIttEEZZNS1_27merge_sort_block_merge_implIS3_N6thrust23THRUST_200600_302600_NS6detail15normal_iteratorINS8_10device_ptrItEEEESD_jNS1_19radix_merge_compareILb0ELb1EtNS0_19identity_decomposerEEEEE10hipError_tT0_T1_T2_jT3_P12ihipStream_tbPNSt15iterator_traitsISI_E10value_typeEPNSO_ISJ_E10value_typeEPSK_NS1_7vsmem_tEENKUlT_SI_SJ_SK_E_clISD_PtSD_S10_EESH_SX_SI_SJ_SK_EUlSX_E0_NS1_11comp_targetILNS1_3genE0ELNS1_11target_archE4294967295ELNS1_3gpuE0ELNS1_3repE0EEENS1_38merge_mergepath_config_static_selectorELNS0_4arch9wavefront6targetE1EEEvSJ_: ; @_ZN7rocprim17ROCPRIM_400000_NS6detail17trampoline_kernelINS0_14default_configENS1_38merge_sort_block_merge_config_selectorIttEEZZNS1_27merge_sort_block_merge_implIS3_N6thrust23THRUST_200600_302600_NS6detail15normal_iteratorINS8_10device_ptrItEEEESD_jNS1_19radix_merge_compareILb0ELb1EtNS0_19identity_decomposerEEEEE10hipError_tT0_T1_T2_jT3_P12ihipStream_tbPNSt15iterator_traitsISI_E10value_typeEPNSO_ISJ_E10value_typeEPSK_NS1_7vsmem_tEENKUlT_SI_SJ_SK_E_clISD_PtSD_S10_EESH_SX_SI_SJ_SK_EUlSX_E0_NS1_11comp_targetILNS1_3genE0ELNS1_11target_archE4294967295ELNS1_3gpuE0ELNS1_3repE0EEENS1_38merge_mergepath_config_static_selectorELNS0_4arch9wavefront6targetE1EEEvSJ_
; %bb.0:
	s_load_dwordx2 s[30:31], s[0:1], 0x40
	s_load_dword s5, s[0:1], 0x30
	s_add_u32 s26, s0, 64
	s_addc_u32 s27, s1, 0
	s_waitcnt lgkmcnt(0)
	s_mul_i32 s4, s31, s4
	s_add_i32 s3, s4, s3
	s_mul_i32 s3, s3, s30
	s_add_i32 s28, s3, s2
	s_cmp_ge_u32 s28, s5
	s_cbranch_scc1 .LBB931_70
; %bb.1:
	s_load_dwordx8 s[16:23], s[0:1], 0x10
	s_load_dwordx2 s[10:11], s[0:1], 0x8
	s_load_dwordx2 s[4:5], s[0:1], 0x38
	s_mov_b32 s29, 0
	s_mov_b32 s13, s29
	s_waitcnt lgkmcnt(0)
	s_lshr_b32 s31, s22, 10
	s_cmp_lg_u32 s28, s31
	s_cselect_b64 s[24:25], -1, 0
	s_lshl_b64 s[6:7], s[28:29], 2
	s_add_u32 s4, s4, s6
	s_addc_u32 s5, s5, s7
	s_lshr_b32 s3, s23, 9
	s_and_b32 s3, s3, 0x7ffffe
	s_load_dwordx2 s[6:7], s[4:5], 0x0
	s_sub_i32 s3, 0, s3
	s_and_b32 s4, s28, s3
	s_lshl_b32 s5, s4, 10
	s_lshl_b32 s14, s28, 10
	;; [unrolled: 1-line block ×3, first 2 shown]
	s_sub_i32 s8, s14, s5
	s_add_i32 s4, s4, s23
	s_add_i32 s8, s4, s8
	s_waitcnt lgkmcnt(0)
	s_sub_i32 s9, s8, s6
	s_sub_i32 s8, s8, s7
	;; [unrolled: 1-line block ×3, first 2 shown]
	s_min_u32 s12, s22, s9
	s_addk_i32 s8, 0x400
	s_or_b32 s3, s28, s3
	s_min_u32 s5, s22, s4
	s_add_i32 s4, s4, s23
	s_cmp_eq_u32 s3, -1
	s_cselect_b32 s3, s4, s8
	s_cselect_b32 s4, s5, s7
	s_mov_b32 s7, s29
	s_min_u32 s23, s3, s22
	s_sub_i32 s15, s4, s6
	s_lshl_b64 s[4:5], s[6:7], 1
	s_add_u32 s8, s10, s4
	s_addc_u32 s9, s11, s5
	s_lshl_b64 s[6:7], s[12:13], 1
	s_add_u32 s10, s10, s6
	s_addc_u32 s11, s11, s7
	s_cmp_lt_u32 s2, s30
	v_mov_b32_e32 v3, 0
	s_cselect_b32 s2, 12, 18
	global_load_dword v1, v3, s[26:27] offset:14
	s_add_u32 s2, s26, s2
	s_addc_u32 s3, s27, 0
	global_load_ushort v2, v3, s[2:3]
	s_cmp_eq_u32 s28, s31
	v_lshlrev_b32_e32 v10, 1, v0
	s_waitcnt vmcnt(1)
	v_lshrrev_b32_e32 v4, 16, v1
	v_and_b32_e32 v1, 0xffff, v1
	v_mul_lo_u32 v1, v1, v4
	s_waitcnt vmcnt(0)
	v_mul_lo_u32 v1, v1, v2
	v_add_u32_e32 v14, v1, v0
	v_add_u32_e32 v12, v14, v1
	s_cbranch_scc1 .LBB931_3
; %bb.2:
	v_mov_b32_e32 v11, v3
	v_subrev_co_u32_e32 v2, vcc, s15, v0
	v_lshl_add_u64 v[4:5], s[8:9], 0, v[10:11]
	v_lshl_add_u64 v[6:7], v[2:3], 1, s[10:11]
	v_cndmask_b32_e32 v5, v7, v5, vcc
	v_cndmask_b32_e32 v4, v6, v4, vcc
	v_mov_b32_e32 v15, v3
	v_subrev_co_u32_e32 v2, vcc, s15, v14
	global_load_ushort v11, v[4:5], off
	v_lshl_add_u64 v[4:5], v[14:15], 1, s[8:9]
	v_lshl_add_u64 v[6:7], v[2:3], 1, s[10:11]
	v_cndmask_b32_e32 v5, v7, v5, vcc
	v_cndmask_b32_e32 v4, v6, v4, vcc
	v_mov_b32_e32 v13, v3
	v_subrev_co_u32_e32 v2, vcc, s15, v12
	global_load_ushort v15, v[4:5], off
	v_lshl_add_u64 v[4:5], v[12:13], 1, s[8:9]
	v_lshl_add_u64 v[6:7], v[2:3], 1, s[10:11]
	v_cndmask_b32_e32 v5, v7, v5, vcc
	v_cndmask_b32_e32 v4, v6, v4, vcc
	global_load_ushort v13, v[4:5], off
	v_add_u32_e32 v4, v12, v1
	v_mov_b32_e32 v5, v3
	v_subrev_co_u32_e32 v2, vcc, s15, v4
	v_lshl_add_u64 v[6:7], v[4:5], 1, s[8:9]
	v_lshl_add_u64 v[8:9], v[2:3], 1, s[10:11]
	v_add_u32_e32 v4, v4, v1
	v_cndmask_b32_e32 v7, v9, v7, vcc
	v_cndmask_b32_e32 v6, v8, v6, vcc
	v_subrev_co_u32_e32 v2, vcc, s15, v4
	global_load_ushort v16, v[6:7], off
	v_lshl_add_u64 v[6:7], v[4:5], 1, s[8:9]
	v_lshl_add_u64 v[8:9], v[2:3], 1, s[10:11]
	v_add_u32_e32 v4, v4, v1
	v_cndmask_b32_e32 v7, v9, v7, vcc
	v_cndmask_b32_e32 v6, v8, v6, vcc
	v_subrev_co_u32_e32 v2, vcc, s15, v4
	global_load_ushort v17, v[6:7], off
	;; [unrolled: 7-line block ×3, first 2 shown]
	v_lshl_add_u64 v[6:7], v[4:5], 1, s[8:9]
	v_lshl_add_u64 v[2:3], v[2:3], 1, s[10:11]
	v_cndmask_b32_e32 v3, v3, v7, vcc
	v_cndmask_b32_e32 v2, v2, v6, vcc
	global_load_ushort v5, v[2:3], off
	s_mov_b32 s2, 0x5040100
	v_add_u32_e32 v6, v4, v1
	s_waitcnt vmcnt(5)
	v_perm_b32 v2, v15, v11, s2
	s_waitcnt vmcnt(3)
	v_perm_b32 v3, v16, v13, s2
	;; [unrolled: 2-line block ×3, first 2 shown]
	s_mov_b64 s[2:3], -1
	s_waitcnt vmcnt(0)
	v_and_b32_e32 v5, 0xffff, v5
	s_sub_i32 s23, s23, s12
	s_cbranch_execz .LBB931_4
	s_branch .LBB931_17
.LBB931_3:
	s_mov_b64 s[2:3], 0
                                        ; implicit-def: $vgpr6
                                        ; implicit-def: $vgpr2_vgpr3_vgpr4_vgpr5
	s_sub_i32 s23, s23, s12
.LBB931_4:
	s_add_i32 s12, s23, s15
	v_mov_b32_e32 v2, 0
	v_cmp_gt_u32_e32 vcc, s12, v0
	v_mov_b32_e32 v3, v2
	v_mov_b32_e32 v4, v2
	;; [unrolled: 1-line block ×3, first 2 shown]
	s_and_saveexec_b64 s[2:3], vcc
	s_cbranch_execnz .LBB931_71
; %bb.5:
	s_or_b64 exec, exec, s[2:3]
	v_cmp_gt_u32_e32 vcc, s12, v14
	s_and_saveexec_b64 s[2:3], vcc
	s_cbranch_execnz .LBB931_72
.LBB931_6:
	s_or_b64 exec, exec, s[2:3]
	v_cmp_gt_u32_e32 vcc, s12, v12
	s_and_saveexec_b64 s[2:3], vcc
	s_cbranch_execz .LBB931_8
.LBB931_7:
	v_mov_b32_e32 v13, 0
	v_subrev_co_u32_e32 v8, vcc, s15, v12
	v_mov_b32_e32 v9, v13
	v_lshl_add_u64 v[6:7], v[12:13], 1, s[8:9]
	v_lshl_add_u64 v[8:9], v[8:9], 1, s[10:11]
	v_cndmask_b32_e32 v7, v9, v7, vcc
	v_cndmask_b32_e32 v6, v8, v6, vcc
	global_load_ushort v6, v[6:7], off
	s_mov_b32 s13, 0xffff
	s_waitcnt vmcnt(0)
	v_bfi_b32 v3, s13, v6, v3
.LBB931_8:
	s_or_b64 exec, exec, s[2:3]
	v_add_u32_e32 v6, v12, v1
	v_cmp_gt_u32_e32 vcc, s12, v6
	s_and_saveexec_b64 s[2:3], vcc
	s_cbranch_execz .LBB931_10
; %bb.9:
	v_mov_b32_e32 v7, 0
	v_subrev_co_u32_e32 v16, vcc, s15, v6
	v_mov_b32_e32 v17, v7
	v_lshl_add_u64 v[8:9], v[6:7], 1, s[8:9]
	v_lshl_add_u64 v[16:17], v[16:17], 1, s[10:11]
	v_cndmask_b32_e32 v9, v17, v9, vcc
	v_cndmask_b32_e32 v8, v16, v8, vcc
	global_load_ushort v7, v[8:9], off
	s_mov_b32 s13, 0x5040100
	s_waitcnt vmcnt(0)
	v_perm_b32 v3, v7, v3, s13
.LBB931_10:
	s_or_b64 exec, exec, s[2:3]
	v_add_u32_e32 v6, v6, v1
	v_cmp_gt_u32_e32 vcc, s12, v6
	s_and_saveexec_b64 s[2:3], vcc
	s_cbranch_execz .LBB931_12
; %bb.11:
	v_mov_b32_e32 v7, 0
	v_subrev_co_u32_e32 v16, vcc, s15, v6
	v_mov_b32_e32 v17, v7
	v_lshl_add_u64 v[8:9], v[6:7], 1, s[8:9]
	v_lshl_add_u64 v[16:17], v[16:17], 1, s[10:11]
	v_cndmask_b32_e32 v9, v17, v9, vcc
	v_cndmask_b32_e32 v8, v16, v8, vcc
	global_load_ushort v7, v[8:9], off
	s_mov_b32 s13, 0xffff
	s_waitcnt vmcnt(0)
	v_bfi_b32 v4, s13, v7, v4
.LBB931_12:
	s_or_b64 exec, exec, s[2:3]
	v_add_u32_e32 v6, v6, v1
	v_cmp_gt_u32_e32 vcc, s12, v6
	s_and_saveexec_b64 s[2:3], vcc
	s_cbranch_execz .LBB931_14
; %bb.13:
	v_mov_b32_e32 v7, 0
	v_subrev_co_u32_e32 v16, vcc, s15, v6
	v_mov_b32_e32 v17, v7
	v_lshl_add_u64 v[8:9], v[6:7], 1, s[8:9]
	v_lshl_add_u64 v[16:17], v[16:17], 1, s[10:11]
	v_cndmask_b32_e32 v9, v17, v9, vcc
	v_cndmask_b32_e32 v8, v16, v8, vcc
	global_load_ushort v7, v[8:9], off
	s_mov_b32 s13, 0x5040100
	s_waitcnt vmcnt(0)
	v_perm_b32 v4, v7, v4, s13
.LBB931_14:
	s_or_b64 exec, exec, s[2:3]
	v_add_u32_e32 v6, v6, v1
	v_cmp_gt_u32_e32 vcc, s12, v6
	s_and_saveexec_b64 s[2:3], vcc
	s_cbranch_execz .LBB931_16
; %bb.15:
	v_mov_b32_e32 v7, 0
	v_subrev_co_u32_e32 v16, vcc, s15, v6
	v_mov_b32_e32 v17, v7
	v_lshl_add_u64 v[8:9], v[6:7], 1, s[8:9]
	v_lshl_add_u64 v[16:17], v[16:17], 1, s[10:11]
	v_cndmask_b32_e32 v9, v17, v9, vcc
	v_cndmask_b32_e32 v8, v16, v8, vcc
	global_load_ushort v7, v[8:9], off
	s_mov_b32 s13, 0xffff
	s_waitcnt vmcnt(0)
	v_bfi_b32 v5, s13, v7, v5
.LBB931_16:
	s_or_b64 exec, exec, s[2:3]
	v_add_u32_e32 v6, v6, v1
	v_cmp_gt_u32_e64 s[2:3], s12, v6
.LBB931_17:
	s_and_saveexec_b64 s[12:13], s[2:3]
	s_cbranch_execz .LBB931_19
; %bb.18:
	v_mov_b32_e32 v9, 0
	v_mov_b32_e32 v7, v9
	v_subrev_co_u32_e32 v8, vcc, s15, v6
	v_lshl_add_u64 v[16:17], v[6:7], 1, s[8:9]
	v_lshl_add_u64 v[6:7], v[8:9], 1, s[10:11]
	v_cndmask_b32_e32 v7, v7, v17, vcc
	v_cndmask_b32_e32 v6, v6, v16, vcc
	global_load_ushort v6, v[6:7], off
	s_mov_b32 s2, 0x5040100
	s_waitcnt vmcnt(0)
	v_perm_b32 v5, v6, v5, s2
.LBB931_19:
	s_or_b64 exec, exec, s[12:13]
	s_add_u32 s2, s18, s4
	s_addc_u32 s3, s19, s5
	s_add_u32 s4, s18, s6
	v_mov_b32_e32 v7, 0
	v_lshrrev_b32_e32 v18, 16, v2
	v_lshrrev_b32_e32 v19, 16, v3
	;; [unrolled: 1-line block ×4, first 2 shown]
	s_addc_u32 s5, s19, s7
	s_andn2_b64 vcc, exec, s[24:25]
	ds_write_b16 v10, v2
	ds_write_b16 v10, v18 offset:256
	ds_write_b16 v10, v3 offset:512
	;; [unrolled: 1-line block ×7, first 2 shown]
	s_cbranch_vccnz .LBB931_21
; %bb.20:
	v_mov_b32_e32 v11, v7
	v_subrev_co_u32_e32 v6, vcc, s15, v0
	v_lshl_add_u64 v[8:9], s[2:3], 0, v[10:11]
	v_lshl_add_u64 v[16:17], v[6:7], 1, s[4:5]
	v_cndmask_b32_e32 v9, v17, v9, vcc
	v_cndmask_b32_e32 v8, v16, v8, vcc
	v_mov_b32_e32 v15, v7
	v_subrev_co_u32_e32 v6, vcc, s15, v14
	global_load_ushort v11, v[8:9], off
	v_lshl_add_u64 v[8:9], v[14:15], 1, s[2:3]
	v_lshl_add_u64 v[16:17], v[6:7], 1, s[4:5]
	v_cndmask_b32_e32 v9, v17, v9, vcc
	v_cndmask_b32_e32 v8, v16, v8, vcc
	v_mov_b32_e32 v13, v7
	v_subrev_co_u32_e32 v6, vcc, s15, v12
	global_load_ushort v15, v[8:9], off
	v_lshl_add_u64 v[8:9], v[12:13], 1, s[2:3]
	v_lshl_add_u64 v[16:17], v[6:7], 1, s[4:5]
	v_cndmask_b32_e32 v9, v17, v9, vcc
	v_cndmask_b32_e32 v8, v16, v8, vcc
	global_load_ushort v13, v[8:9], off
	v_add_u32_e32 v8, v12, v1
	v_mov_b32_e32 v9, v7
	v_subrev_co_u32_e32 v6, vcc, s15, v8
	v_lshl_add_u64 v[16:17], v[8:9], 1, s[2:3]
	v_lshl_add_u64 v[22:23], v[6:7], 1, s[4:5]
	v_add_u32_e32 v8, v8, v1
	v_cndmask_b32_e32 v17, v23, v17, vcc
	v_cndmask_b32_e32 v16, v22, v16, vcc
	v_subrev_co_u32_e32 v6, vcc, s15, v8
	global_load_ushort v24, v[16:17], off
	v_lshl_add_u64 v[16:17], v[8:9], 1, s[2:3]
	v_lshl_add_u64 v[22:23], v[6:7], 1, s[4:5]
	v_add_u32_e32 v8, v8, v1
	v_cndmask_b32_e32 v17, v23, v17, vcc
	v_cndmask_b32_e32 v16, v22, v16, vcc
	v_subrev_co_u32_e32 v6, vcc, s15, v8
	global_load_ushort v25, v[16:17], off
	;; [unrolled: 7-line block ×3, first 2 shown]
	v_lshl_add_u64 v[16:17], v[8:9], 1, s[2:3]
	v_lshl_add_u64 v[6:7], v[6:7], 1, s[4:5]
	v_cndmask_b32_e32 v7, v7, v17, vcc
	v_cndmask_b32_e32 v6, v6, v16, vcc
	global_load_ushort v9, v[6:7], off
	s_mov_b32 s10, 0x5040100
	s_add_i32 s11, s23, s15
	s_mov_b64 s[6:7], -1
	v_add_u32_e32 v16, v8, v1
	s_waitcnt vmcnt(5)
	v_perm_b32 v6, v15, v11, s10
	v_mov_b32_e32 v11, s11
	s_waitcnt vmcnt(3)
	v_perm_b32 v7, v24, v13, s10
	s_waitcnt vmcnt(1)
	v_perm_b32 v8, v22, v25, s10
	s_waitcnt vmcnt(0)
	v_and_b32_e32 v9, 0xffff, v9
	s_cbranch_execz .LBB931_22
	s_branch .LBB931_35
.LBB931_21:
	s_mov_b64 s[6:7], 0
                                        ; implicit-def: $vgpr16
                                        ; implicit-def: $vgpr6_vgpr7_vgpr8_vgpr9
                                        ; implicit-def: $vgpr11
.LBB931_22:
	s_add_i32 s8, s23, s15
	v_mov_b32_e32 v6, 0
	v_cmp_gt_u32_e32 vcc, s8, v0
	v_mov_b32_e32 v7, v6
	v_mov_b32_e32 v8, v6
	;; [unrolled: 1-line block ×3, first 2 shown]
	s_and_saveexec_b64 s[6:7], vcc
	s_cbranch_execnz .LBB931_73
; %bb.23:
	s_or_b64 exec, exec, s[6:7]
	v_cmp_gt_u32_e32 vcc, s8, v14
	s_and_saveexec_b64 s[6:7], vcc
	s_cbranch_execnz .LBB931_74
.LBB931_24:
	s_or_b64 exec, exec, s[6:7]
	v_cmp_gt_u32_e32 vcc, s8, v12
	s_and_saveexec_b64 s[6:7], vcc
	s_cbranch_execz .LBB931_26
.LBB931_25:
	v_mov_b32_e32 v13, 0
	v_subrev_co_u32_e32 v16, vcc, s15, v12
	v_mov_b32_e32 v17, v13
	v_lshl_add_u64 v[14:15], v[12:13], 1, s[2:3]
	v_lshl_add_u64 v[16:17], v[16:17], 1, s[4:5]
	v_cndmask_b32_e32 v15, v17, v15, vcc
	v_cndmask_b32_e32 v14, v16, v14, vcc
	global_load_ushort v11, v[14:15], off
	s_mov_b32 s9, 0xffff
	s_waitcnt vmcnt(0)
	v_bfi_b32 v7, s9, v11, v7
.LBB931_26:
	s_or_b64 exec, exec, s[6:7]
	v_add_u32_e32 v12, v12, v1
	v_cmp_gt_u32_e32 vcc, s8, v12
	s_and_saveexec_b64 s[6:7], vcc
	s_cbranch_execz .LBB931_28
; %bb.27:
	v_mov_b32_e32 v13, 0
	v_subrev_co_u32_e32 v16, vcc, s15, v12
	v_mov_b32_e32 v17, v13
	v_lshl_add_u64 v[14:15], v[12:13], 1, s[2:3]
	v_lshl_add_u64 v[16:17], v[16:17], 1, s[4:5]
	v_cndmask_b32_e32 v15, v17, v15, vcc
	v_cndmask_b32_e32 v14, v16, v14, vcc
	global_load_ushort v11, v[14:15], off
	s_mov_b32 s9, 0x5040100
	s_waitcnt vmcnt(0)
	v_perm_b32 v7, v11, v7, s9
.LBB931_28:
	s_or_b64 exec, exec, s[6:7]
	v_add_u32_e32 v12, v12, v1
	v_cmp_gt_u32_e32 vcc, s8, v12
	s_and_saveexec_b64 s[6:7], vcc
	s_cbranch_execz .LBB931_30
; %bb.29:
	v_mov_b32_e32 v13, 0
	v_subrev_co_u32_e32 v16, vcc, s15, v12
	v_mov_b32_e32 v17, v13
	v_lshl_add_u64 v[14:15], v[12:13], 1, s[2:3]
	v_lshl_add_u64 v[16:17], v[16:17], 1, s[4:5]
	v_cndmask_b32_e32 v15, v17, v15, vcc
	v_cndmask_b32_e32 v14, v16, v14, vcc
	global_load_ushort v11, v[14:15], off
	s_mov_b32 s9, 0xffff
	s_waitcnt vmcnt(0)
	v_bfi_b32 v8, s9, v11, v8
.LBB931_30:
	s_or_b64 exec, exec, s[6:7]
	v_add_u32_e32 v12, v12, v1
	v_cmp_gt_u32_e32 vcc, s8, v12
	s_and_saveexec_b64 s[6:7], vcc
	s_cbranch_execz .LBB931_32
; %bb.31:
	v_mov_b32_e32 v13, 0
	v_subrev_co_u32_e32 v16, vcc, s15, v12
	v_mov_b32_e32 v17, v13
	v_lshl_add_u64 v[14:15], v[12:13], 1, s[2:3]
	v_lshl_add_u64 v[16:17], v[16:17], 1, s[4:5]
	v_cndmask_b32_e32 v15, v17, v15, vcc
	v_cndmask_b32_e32 v14, v16, v14, vcc
	global_load_ushort v11, v[14:15], off
	s_mov_b32 s9, 0x5040100
	s_waitcnt vmcnt(0)
	v_perm_b32 v8, v11, v8, s9
.LBB931_32:
	s_or_b64 exec, exec, s[6:7]
	v_add_u32_e32 v12, v12, v1
	v_cmp_gt_u32_e32 vcc, s8, v12
	s_and_saveexec_b64 s[6:7], vcc
	s_cbranch_execz .LBB931_34
; %bb.33:
	v_mov_b32_e32 v13, 0
	v_subrev_co_u32_e32 v16, vcc, s15, v12
	v_mov_b32_e32 v17, v13
	v_lshl_add_u64 v[14:15], v[12:13], 1, s[2:3]
	v_lshl_add_u64 v[16:17], v[16:17], 1, s[4:5]
	v_cndmask_b32_e32 v15, v17, v15, vcc
	v_cndmask_b32_e32 v14, v16, v14, vcc
	global_load_ushort v11, v[14:15], off
	s_mov_b32 s9, 0xffff
	s_waitcnt vmcnt(0)
	v_bfi_b32 v9, s9, v11, v9
.LBB931_34:
	s_or_b64 exec, exec, s[6:7]
	v_add_u32_e32 v16, v12, v1
	v_cmp_gt_u32_e64 s[6:7], s8, v16
	v_mov_b32_e32 v11, s8
.LBB931_35:
	s_and_saveexec_b64 s[8:9], s[6:7]
	s_cbranch_execz .LBB931_37
; %bb.36:
	v_mov_b32_e32 v13, 0
	v_mov_b32_e32 v17, v13
	v_subrev_co_u32_e32 v12, vcc, s15, v16
	v_lshl_add_u64 v[14:15], v[16:17], 1, s[2:3]
	v_lshl_add_u64 v[12:13], v[12:13], 1, s[4:5]
	v_cndmask_b32_e32 v13, v13, v15, vcc
	v_cndmask_b32_e32 v12, v12, v14, vcc
	global_load_ushort v1, v[12:13], off
	s_mov_b32 s2, 0x5040100
	s_waitcnt vmcnt(0)
	v_perm_b32 v9, v1, v9, s2
.LBB931_37:
	s_or_b64 exec, exec, s[8:9]
	s_load_dword s26, s[0:1], 0x34
	v_lshlrev_b32_e32 v1, 3, v0
	v_min_u32_e32 v12, v11, v1
	v_sub_u32_e64 v17, v12, s23 clamp
	v_min_u32_e32 v13, s15, v12
	v_cmp_lt_u32_e32 vcc, v17, v13
	s_waitcnt lgkmcnt(0)
	s_barrier
	s_and_saveexec_b64 s[0:1], vcc
	s_cbranch_execz .LBB931_41
; %bb.38:
	v_lshlrev_b32_e32 v14, 1, v12
	v_lshl_add_u32 v14, s15, 1, v14
	s_mov_b64 s[2:3], 0
.LBB931_39:                             ; =>This Inner Loop Header: Depth=1
	v_add_u32_e32 v15, v13, v17
	v_lshrrev_b32_e32 v16, 1, v15
	v_not_b32_e32 v22, v16
	v_and_b32_e32 v15, -2, v15
	v_lshl_add_u32 v22, v22, 1, v14
	ds_read_u16 v15, v15
	ds_read_u16 v22, v22
	v_add_u32_e32 v23, 1, v16
	s_waitcnt lgkmcnt(1)
	v_and_b32_e32 v15, s26, v15
	s_waitcnt lgkmcnt(0)
	v_and_b32_e32 v22, s26, v22
	v_cmp_gt_u16_e32 vcc, v15, v22
	s_nop 1
	v_cndmask_b32_e32 v13, v13, v16, vcc
	v_cndmask_b32_e32 v17, v23, v17, vcc
	v_cmp_ge_u32_e32 vcc, v17, v13
	s_or_b64 s[2:3], vcc, s[2:3]
	s_andn2_b64 exec, exec, s[2:3]
	s_cbranch_execnz .LBB931_39
; %bb.40:
	s_or_b64 exec, exec, s[2:3]
.LBB931_41:
	s_or_b64 exec, exec, s[0:1]
	v_sub_u32_e32 v12, v12, v17
	v_add_u32_e32 v25, s15, v12
	v_cmp_ge_u32_e32 vcc, s15, v17
	v_cmp_le_u32_e64 s[0:1], v25, v11
	s_or_b64 s[0:1], vcc, s[0:1]
	v_mov_b32_e32 v24, 0
	v_mov_b32_e32 v23, 0
	;; [unrolled: 1-line block ×8, first 2 shown]
	s_and_saveexec_b64 s[18:19], s[0:1]
	s_cbranch_execz .LBB931_47
; %bb.42:
	v_cmp_gt_u32_e32 vcc, s15, v17
                                        ; implicit-def: $vgpr2
	s_and_saveexec_b64 s[0:1], vcc
; %bb.43:
	v_lshlrev_b32_e32 v2, 1, v17
	ds_read_u16 v2, v2
; %bb.44:
	s_or_b64 exec, exec, s[0:1]
	v_cmp_ge_u32_e64 s[0:1], v25, v11
	v_cmp_lt_u32_e64 s[2:3], v25, v11
                                        ; implicit-def: $vgpr3
	s_and_saveexec_b64 s[4:5], s[2:3]
; %bb.45:
	v_lshlrev_b32_e32 v3, 1, v25
	ds_read_u16 v3, v3
; %bb.46:
	s_or_b64 exec, exec, s[4:5]
	s_waitcnt lgkmcnt(0)
	v_and_b32_e32 v4, s26, v3
	v_and_b32_e32 v5, s26, v2
	v_cmp_le_u16_e64 s[2:3], v5, v4
	s_and_b64 s[2:3], vcc, s[2:3]
	s_or_b64 vcc, s[0:1], s[2:3]
	v_mov_b32_e32 v4, s15
	v_cndmask_b32_e32 v12, v25, v17, vcc
	v_cndmask_b32_e32 v5, v11, v4, vcc
	v_add_u32_e32 v13, 1, v12
	v_add_u32_e32 v5, -1, v5
	v_min_u32_e32 v5, v13, v5
	v_lshlrev_b32_e32 v5, 1, v5
	ds_read_u16 v5, v5
	v_cndmask_b32_e32 v14, v13, v25, vcc
	v_cndmask_b32_e32 v15, v17, v13, vcc
	v_cmp_gt_u32_e64 s[2:3], s15, v15
	v_cmp_ge_u32_e64 s[0:1], v14, v11
	s_waitcnt lgkmcnt(0)
	v_cndmask_b32_e32 v18, v5, v3, vcc
	v_cndmask_b32_e32 v5, v2, v5, vcc
	v_and_b32_e32 v13, s26, v18
	v_and_b32_e32 v16, s26, v5
	v_cmp_le_u16_e64 s[4:5], v16, v13
	s_and_b64 s[2:3], s[2:3], s[4:5]
	s_or_b64 s[0:1], s[0:1], s[2:3]
	v_cndmask_b32_e64 v13, v14, v15, s[0:1]
	v_cndmask_b32_e64 v16, v11, v4, s[0:1]
	v_add_u32_e32 v17, 1, v13
	v_add_u32_e32 v16, -1, v16
	v_min_u32_e32 v16, v17, v16
	v_lshlrev_b32_e32 v16, 1, v16
	ds_read_u16 v16, v16
	v_cndmask_b32_e64 v15, v15, v17, s[0:1]
	v_cmp_gt_u32_e64 s[4:5], s15, v15
	v_cndmask_b32_e32 v2, v3, v2, vcc
	s_waitcnt lgkmcnt(0)
	v_cndmask_b32_e64 v19, v16, v18, s[0:1]
	v_cndmask_b32_e64 v20, v5, v16, s[0:1]
	v_cndmask_b32_e64 v16, v17, v14, s[0:1]
	v_and_b32_e32 v14, s26, v19
	v_and_b32_e32 v17, s26, v20
	v_cmp_le_u16_e64 s[6:7], v17, v14
	v_cmp_ge_u32_e64 s[2:3], v16, v11
	s_and_b64 s[4:5], s[4:5], s[6:7]
	s_or_b64 s[2:3], s[2:3], s[4:5]
	v_cndmask_b32_e64 v14, v16, v15, s[2:3]
	v_cndmask_b32_e64 v17, v11, v4, s[2:3]
	v_add_u32_e32 v21, 1, v14
	v_add_u32_e32 v17, -1, v17
	v_min_u32_e32 v17, v21, v17
	v_lshlrev_b32_e32 v17, 1, v17
	ds_read_u16 v17, v17
	v_cndmask_b32_e64 v16, v21, v16, s[2:3]
	v_cndmask_b32_e64 v21, v15, v21, s[2:3]
	v_cmp_gt_u32_e64 s[6:7], s15, v21
	v_cmp_ge_u32_e64 s[4:5], v16, v11
	s_waitcnt lgkmcnt(0)
	v_cndmask_b32_e64 v24, v17, v19, s[2:3]
	v_cndmask_b32_e64 v17, v20, v17, s[2:3]
	v_and_b32_e32 v15, s26, v24
	v_and_b32_e32 v22, s26, v17
	v_cmp_le_u16_e64 s[8:9], v22, v15
	s_and_b64 s[6:7], s[6:7], s[8:9]
	s_or_b64 s[4:5], s[4:5], s[6:7]
	v_cndmask_b32_e64 v15, v16, v21, s[4:5]
	v_cndmask_b32_e64 v22, v11, v4, s[4:5]
	v_add_u32_e32 v23, 1, v15
	v_add_u32_e32 v22, -1, v22
	v_min_u32_e32 v22, v23, v22
	v_lshlrev_b32_e32 v22, 1, v22
	ds_read_u16 v22, v22
	v_cndmask_b32_e64 v21, v21, v23, s[4:5]
	v_cmp_gt_u32_e64 s[8:9], s15, v21
	v_cndmask_b32_e64 v18, v18, v5, s[0:1]
	v_cndmask_b32_e64 v3, v19, v20, s[2:3]
	s_waitcnt lgkmcnt(0)
	v_cndmask_b32_e64 v25, v22, v24, s[4:5]
	v_cndmask_b32_e64 v26, v17, v22, s[4:5]
	;; [unrolled: 1-line block ×3, first 2 shown]
	v_and_b32_e32 v16, s26, v25
	v_and_b32_e32 v23, s26, v26
	v_cmp_le_u16_e64 s[10:11], v23, v16
	v_cmp_ge_u32_e64 s[6:7], v22, v11
	s_and_b64 s[8:9], s[8:9], s[10:11]
	s_or_b64 s[6:7], s[6:7], s[8:9]
	v_cndmask_b32_e64 v16, v22, v21, s[6:7]
	v_cndmask_b32_e64 v23, v11, v4, s[6:7]
	v_add_u32_e32 v27, 1, v16
	v_add_u32_e32 v23, -1, v23
	v_min_u32_e32 v23, v27, v23
	v_lshlrev_b32_e32 v23, 1, v23
	ds_read_u16 v23, v23
	v_cndmask_b32_e64 v21, v21, v27, s[6:7]
	v_cmp_gt_u32_e64 s[10:11], s15, v21
	s_waitcnt lgkmcnt(0)
	v_cndmask_b32_e64 v28, v23, v25, s[6:7]
	v_cndmask_b32_e64 v29, v26, v23, s[6:7]
	v_cndmask_b32_e64 v23, v27, v22, s[6:7]
	v_and_b32_e32 v22, s26, v28
	v_and_b32_e32 v27, s26, v29
	v_cmp_le_u16_e64 s[12:13], v27, v22
	v_cmp_ge_u32_e64 s[8:9], v23, v11
	s_and_b64 s[10:11], s[10:11], s[12:13]
	s_or_b64 s[8:9], s[8:9], s[10:11]
	v_cndmask_b32_e64 v22, v23, v21, s[8:9]
	v_cndmask_b32_e64 v27, v11, v4, s[8:9]
	v_add_u32_e32 v30, 1, v22
	v_add_u32_e32 v27, -1, v27
	v_min_u32_e32 v27, v30, v27
	v_lshlrev_b32_e32 v27, 1, v27
	ds_read_u16 v27, v27
	v_cndmask_b32_e64 v21, v21, v30, s[8:9]
	v_cndmask_b32_e64 v32, v30, v23, s[8:9]
	v_cmp_gt_u32_e64 s[0:1], s15, v21
	v_cmp_ge_u32_e32 vcc, v32, v11
	s_waitcnt lgkmcnt(0)
	v_cndmask_b32_e64 v31, v27, v28, s[8:9]
	v_cndmask_b32_e64 v27, v29, v27, s[8:9]
	v_and_b32_e32 v5, s26, v31
	v_and_b32_e32 v19, s26, v27
	v_cmp_le_u16_e64 s[2:3], v19, v5
	s_and_b64 s[0:1], s[0:1], s[2:3]
	s_or_b64 vcc, vcc, s[0:1]
	v_cndmask_b32_e32 v23, v32, v21, vcc
	v_cndmask_b32_e32 v4, v11, v4, vcc
	v_add_u32_e32 v30, 1, v23
	v_add_u32_e32 v4, -1, v4
	v_min_u32_e32 v4, v30, v4
	v_lshlrev_b32_e32 v4, 1, v4
	ds_read_u16 v33, v4
	v_cndmask_b32_e64 v19, v24, v17, s[4:5]
	v_cndmask_b32_e64 v4, v25, v26, s[6:7]
	v_cndmask_b32_e32 v24, v30, v32, vcc
	v_cndmask_b32_e32 v5, v31, v27, vcc
	s_waitcnt lgkmcnt(0)
	v_cndmask_b32_e32 v17, v33, v31, vcc
	v_cndmask_b32_e32 v25, v27, v33, vcc
	;; [unrolled: 1-line block ×3, first 2 shown]
	v_cmp_ge_u32_e32 vcc, v24, v11
	v_and_b32_e32 v11, s26, v17
	v_and_b32_e32 v26, s26, v25
	v_cmp_gt_u32_e64 s[0:1], s15, v21
	v_cmp_le_u16_e64 s[2:3], v26, v11
	s_and_b64 s[0:1], s[0:1], s[2:3]
	s_or_b64 vcc, vcc, s[0:1]
	v_cndmask_b32_e64 v20, v28, v29, s[8:9]
	v_cndmask_b32_e32 v24, v24, v21, vcc
	v_cndmask_b32_e32 v21, v17, v25, vcc
.LBB931_47:
	s_or_b64 exec, exec, s[18:19]
	s_barrier
	ds_write_b16 v10, v6
	ds_write_b16_d16_hi v10, v6 offset:256
	ds_write_b16 v10, v7 offset:512
	ds_write_b16_d16_hi v10, v7 offset:768
	ds_write_b16 v10, v8 offset:1024
	;; [unrolled: 2-line block ×3, first 2 shown]
	ds_write_b16_d16_hi v10, v9 offset:1792
	v_lshlrev_b32_e32 v6, 1, v12
	v_lshlrev_b32_e32 v7, 1, v13
	;; [unrolled: 1-line block ×7, first 2 shown]
	s_waitcnt lgkmcnt(0)
	s_barrier
	v_lshlrev_b32_e32 v16, 1, v24
	ds_read_u16 v6, v6
	ds_read_u16 v7, v7
	;; [unrolled: 1-line block ×8, first 2 shown]
	v_lshrrev_b32_e32 v11, 1, v0
	v_and_b32_e32 v11, 60, v11
	s_mov_b32 s0, 0x5040100
	v_lshl_add_u32 v1, v1, 1, v11
	v_perm_b32 v3, v19, v3, s0
	v_perm_b32 v2, v18, v2, s0
	s_waitcnt lgkmcnt(0)
	s_barrier
	s_barrier
	ds_write2_b32 v1, v2, v3 offset1:1
	v_perm_b32 v2, v21, v5, s0
	v_perm_b32 v3, v20, v4, s0
	ds_write2_b32 v1, v3, v2 offset0:2 offset1:3
	v_lshrrev_b32_e32 v2, 4, v0
	v_and_b32_e32 v2, 4, v2
	v_or_b32_e32 v28, 0x80, v0
	v_add_u32_e32 v4, v2, v10
	v_lshrrev_b32_e32 v2, 4, v28
	v_and_b32_e32 v2, 12, v2
	v_or_b32_e32 v27, 0x100, v0
	v_add_u32_e32 v5, v2, v10
	;; [unrolled: 4-line block ×5, first 2 shown]
	v_lshrrev_b32_e32 v2, 4, v24
	v_and_b32_e32 v2, 44, v2
	v_or_b32_e32 v23, 0x300, v0
	s_mov_b32 s15, 0
	v_add_u32_e32 v19, v2, v10
	v_lshrrev_b32_e32 v2, 4, v23
	s_lshl_b64 s[12:13], s[14:15], 1
	v_and_b32_e32 v2, 52, v2
	v_or_b32_e32 v22, 0x380, v0
	s_add_u32 s2, s16, s12
	v_add_u32_e32 v20, v2, v10
	v_lshrrev_b32_e32 v2, 4, v22
	s_addc_u32 s3, s17, s13
	v_and_b32_e32 v2, 60, v2
	v_mov_b32_e32 v11, 0
	v_add_u32_e32 v21, v2, v10
	v_lshl_add_u64 v[2:3], s[2:3], 0, v[10:11]
	s_and_b64 vcc, exec, s[24:25]
	s_waitcnt lgkmcnt(0)
	s_cbranch_vccz .LBB931_49
; %bb.48:
	s_barrier
	ds_read_u16 v11, v4
	ds_read_u16 v29, v5 offset:256
	ds_read_u16 v30, v16 offset:512
	;; [unrolled: 1-line block ×7, first 2 shown]
	s_add_u32 s2, s20, s12
	s_addc_u32 s3, s21, s13
	s_waitcnt lgkmcnt(7)
	global_store_short v[2:3], v11, off
	s_waitcnt lgkmcnt(6)
	global_store_short v[2:3], v29, off offset:256
	s_waitcnt lgkmcnt(5)
	global_store_short v[2:3], v30, off offset:512
	;; [unrolled: 2-line block ×7, first 2 shown]
	v_perm_b32 v11, v13, v12, s0
	v_perm_b32 v29, v7, v6, s0
	s_barrier
	ds_write2_b32 v1, v29, v11 offset1:1
	v_perm_b32 v11, v15, v14, s0
	v_perm_b32 v29, v9, v8, s0
	ds_write2_b32 v1, v29, v11 offset0:2 offset1:3
	s_waitcnt lgkmcnt(0)
	s_barrier
	ds_read_u16 v11, v4
	ds_read_u16 v30, v5 offset:256
	ds_read_u16 v31, v16 offset:512
	ds_read_u16 v32, v17 offset:768
	ds_read_u16 v33, v18 offset:1024
	ds_read_u16 v34, v19 offset:1280
	ds_read_u16 v35, v20 offset:1536
	ds_read_u16 v29, v21 offset:1792
	s_waitcnt lgkmcnt(7)
	global_store_short v10, v11, s[2:3]
	s_waitcnt lgkmcnt(6)
	global_store_short v10, v30, s[2:3] offset:256
	s_waitcnt lgkmcnt(5)
	global_store_short v10, v31, s[2:3] offset:512
	s_waitcnt lgkmcnt(4)
	global_store_short v10, v32, s[2:3] offset:768
	s_waitcnt lgkmcnt(3)
	global_store_short v10, v33, s[2:3] offset:1024
	s_waitcnt lgkmcnt(2)
	global_store_short v10, v34, s[2:3] offset:1280
	s_waitcnt lgkmcnt(1)
	global_store_short v10, v35, s[2:3] offset:1536
	s_mov_b64 s[16:17], -1
	s_cbranch_execz .LBB931_50
	s_branch .LBB931_68
.LBB931_49:
	s_mov_b64 s[16:17], 0
                                        ; implicit-def: $vgpr29
.LBB931_50:
	s_barrier
	s_waitcnt lgkmcnt(0)
	ds_read_u16 v34, v5 offset:256
	ds_read_u16 v33, v16 offset:512
	;; [unrolled: 1-line block ×7, first 2 shown]
	s_sub_i32 s16, s22, s14
	v_cmp_gt_u32_e32 vcc, s16, v0
	s_and_saveexec_b64 s[0:1], vcc
	s_cbranch_execnz .LBB931_75
; %bb.51:
	s_or_b64 exec, exec, s[0:1]
	v_cmp_gt_u32_e64 s[0:1], s16, v28
	s_and_saveexec_b64 s[2:3], s[0:1]
	s_cbranch_execnz .LBB931_76
.LBB931_52:
	s_or_b64 exec, exec, s[2:3]
	v_cmp_gt_u32_e64 s[2:3], s16, v27
	s_and_saveexec_b64 s[4:5], s[2:3]
	s_cbranch_execnz .LBB931_77
.LBB931_53:
	s_or_b64 exec, exec, s[4:5]
	v_cmp_gt_u32_e64 s[4:5], s16, v26
	s_and_saveexec_b64 s[6:7], s[4:5]
	s_cbranch_execnz .LBB931_78
.LBB931_54:
	s_or_b64 exec, exec, s[6:7]
	v_cmp_gt_u32_e64 s[6:7], s16, v25
	s_and_saveexec_b64 s[8:9], s[6:7]
	s_cbranch_execnz .LBB931_79
.LBB931_55:
	s_or_b64 exec, exec, s[8:9]
	v_cmp_gt_u32_e64 s[8:9], s16, v24
	s_and_saveexec_b64 s[10:11], s[8:9]
	s_cbranch_execnz .LBB931_80
.LBB931_56:
	s_or_b64 exec, exec, s[10:11]
	v_cmp_gt_u32_e64 s[10:11], s16, v23
	s_and_saveexec_b64 s[14:15], s[10:11]
	s_cbranch_execnz .LBB931_81
.LBB931_57:
	s_or_b64 exec, exec, s[14:15]
	v_cmp_gt_u32_e64 s[16:17], s16, v22
	s_and_saveexec_b64 s[14:15], s[16:17]
	s_cbranch_execz .LBB931_59
.LBB931_58:
	s_waitcnt lgkmcnt(0)
	global_store_short v[2:3], v11, off offset:1792
.LBB931_59:
	s_or_b64 exec, exec, s[14:15]
	s_mov_b32 s14, 0x5040100
	v_perm_b32 v0, v13, v12, s14
	v_perm_b32 v2, v7, v6, s14
	s_waitcnt lgkmcnt(0)
	s_barrier
	ds_write2_b32 v1, v2, v0 offset1:1
	v_perm_b32 v0, v15, v14, s14
	v_perm_b32 v2, v9, v8, s14
	ds_write2_b32 v1, v2, v0 offset0:2 offset1:3
	s_waitcnt lgkmcnt(0)
	s_barrier
	ds_read_u16 v8, v5 offset:256
	ds_read_u16 v7, v16 offset:512
	;; [unrolled: 1-line block ×7, first 2 shown]
	s_add_u32 s14, s20, s12
	s_addc_u32 s15, s21, s13
	v_mov_b32_e32 v11, 0
	v_lshl_add_u64 v[0:1], s[14:15], 0, v[10:11]
	s_and_saveexec_b64 s[14:15], vcc
	s_cbranch_execnz .LBB931_82
; %bb.60:
	s_or_b64 exec, exec, s[14:15]
	s_and_saveexec_b64 s[14:15], s[0:1]
	s_cbranch_execnz .LBB931_83
.LBB931_61:
	s_or_b64 exec, exec, s[14:15]
	s_and_saveexec_b64 s[0:1], s[2:3]
	s_cbranch_execnz .LBB931_84
.LBB931_62:
	s_or_b64 exec, exec, s[0:1]
	s_and_saveexec_b64 s[0:1], s[4:5]
	s_cbranch_execnz .LBB931_85
.LBB931_63:
	s_or_b64 exec, exec, s[0:1]
	s_and_saveexec_b64 s[0:1], s[6:7]
	s_cbranch_execnz .LBB931_86
.LBB931_64:
	s_or_b64 exec, exec, s[0:1]
	s_and_saveexec_b64 s[0:1], s[8:9]
	s_cbranch_execnz .LBB931_87
.LBB931_65:
	s_or_b64 exec, exec, s[0:1]
	s_and_saveexec_b64 s[0:1], s[10:11]
	s_cbranch_execz .LBB931_67
.LBB931_66:
	s_waitcnt lgkmcnt(1)
	global_store_short v[0:1], v2, off offset:1536
.LBB931_67:
	s_or_b64 exec, exec, s[0:1]
.LBB931_68:
	s_and_saveexec_b64 s[0:1], s[16:17]
	s_cbranch_execz .LBB931_70
; %bb.69:
	s_add_u32 s0, s20, s12
	s_addc_u32 s1, s21, s13
	s_waitcnt lgkmcnt(0)
	global_store_short v10, v29, s[0:1] offset:1792
.LBB931_70:
	s_endpgm
.LBB931_71:
	v_mov_b32_e32 v11, v2
	v_subrev_co_u32_e32 v6, vcc, s15, v0
	v_mov_b32_e32 v7, v2
	v_lshl_add_u64 v[4:5], s[8:9], 0, v[10:11]
	v_lshl_add_u64 v[6:7], v[6:7], 1, s[10:11]
	v_cndmask_b32_e32 v5, v7, v5, vcc
	v_cndmask_b32_e32 v4, v6, v4, vcc
	global_load_ushort v3, v[4:5], off
	v_mov_b32_e32 v5, v2
	v_mov_b32_e32 v6, v2
	;; [unrolled: 1-line block ×3, first 2 shown]
	s_waitcnt vmcnt(0)
	v_and_b32_e32 v4, 0xffff, v3
	v_mov_b64_e32 v[2:3], v[4:5]
	v_mov_b64_e32 v[4:5], v[6:7]
	s_or_b64 exec, exec, s[2:3]
	v_cmp_gt_u32_e32 vcc, s12, v14
	s_and_saveexec_b64 s[2:3], vcc
	s_cbranch_execz .LBB931_6
.LBB931_72:
	v_mov_b32_e32 v15, 0
	v_subrev_co_u32_e32 v8, vcc, s15, v14
	v_mov_b32_e32 v9, v15
	v_lshl_add_u64 v[6:7], v[14:15], 1, s[8:9]
	v_lshl_add_u64 v[8:9], v[8:9], 1, s[10:11]
	v_cndmask_b32_e32 v7, v9, v7, vcc
	v_cndmask_b32_e32 v6, v8, v6, vcc
	global_load_ushort v6, v[6:7], off
	s_mov_b32 s13, 0x5040100
	s_waitcnt vmcnt(0)
	v_perm_b32 v2, v6, v2, s13
	s_or_b64 exec, exec, s[2:3]
	v_cmp_gt_u32_e32 vcc, s12, v12
	s_and_saveexec_b64 s[2:3], vcc
	s_cbranch_execnz .LBB931_7
	s_branch .LBB931_8
.LBB931_73:
	v_mov_b32_e32 v11, v6
	v_subrev_co_u32_e32 v16, vcc, s15, v0
	v_mov_b32_e32 v17, v6
	v_lshl_add_u64 v[8:9], s[2:3], 0, v[10:11]
	v_lshl_add_u64 v[16:17], v[16:17], 1, s[4:5]
	v_cndmask_b32_e32 v9, v17, v9, vcc
	v_cndmask_b32_e32 v8, v16, v8, vcc
	global_load_ushort v7, v[8:9], off
	v_mov_b32_e32 v23, v6
	v_mov_b32_e32 v24, v6
	;; [unrolled: 1-line block ×3, first 2 shown]
	s_waitcnt vmcnt(0)
	v_and_b32_e32 v22, 0xffff, v7
	v_mov_b64_e32 v[6:7], v[22:23]
	v_mov_b64_e32 v[8:9], v[24:25]
	s_or_b64 exec, exec, s[6:7]
	v_cmp_gt_u32_e32 vcc, s8, v14
	s_and_saveexec_b64 s[6:7], vcc
	s_cbranch_execz .LBB931_24
.LBB931_74:
	v_mov_b32_e32 v15, 0
	v_lshl_add_u64 v[16:17], v[14:15], 1, s[2:3]
	v_subrev_co_u32_e32 v14, vcc, s15, v14
	v_lshl_add_u64 v[14:15], v[14:15], 1, s[4:5]
	s_nop 0
	v_cndmask_b32_e32 v15, v15, v17, vcc
	v_cndmask_b32_e32 v14, v14, v16, vcc
	global_load_ushort v11, v[14:15], off
	s_mov_b32 s9, 0x5040100
	s_waitcnt vmcnt(0)
	v_perm_b32 v6, v11, v6, s9
	s_or_b64 exec, exec, s[6:7]
	v_cmp_gt_u32_e32 vcc, s8, v12
	s_and_saveexec_b64 s[6:7], vcc
	s_cbranch_execnz .LBB931_25
	s_branch .LBB931_26
.LBB931_75:
	ds_read_u16 v0, v4
	s_waitcnt lgkmcnt(0)
	global_store_short v[2:3], v0, off
	s_or_b64 exec, exec, s[0:1]
	v_cmp_gt_u32_e64 s[0:1], s16, v28
	s_and_saveexec_b64 s[2:3], s[0:1]
	s_cbranch_execz .LBB931_52
.LBB931_76:
	s_waitcnt lgkmcnt(6)
	global_store_short v[2:3], v34, off offset:256
	s_or_b64 exec, exec, s[2:3]
	v_cmp_gt_u32_e64 s[2:3], s16, v27
	s_and_saveexec_b64 s[4:5], s[2:3]
	s_cbranch_execz .LBB931_53
.LBB931_77:
	s_waitcnt lgkmcnt(5)
	global_store_short v[2:3], v33, off offset:512
	s_or_b64 exec, exec, s[4:5]
	v_cmp_gt_u32_e64 s[4:5], s16, v26
	s_and_saveexec_b64 s[6:7], s[4:5]
	s_cbranch_execz .LBB931_54
.LBB931_78:
	s_waitcnt lgkmcnt(4)
	global_store_short v[2:3], v32, off offset:768
	s_or_b64 exec, exec, s[6:7]
	v_cmp_gt_u32_e64 s[6:7], s16, v25
	s_and_saveexec_b64 s[8:9], s[6:7]
	s_cbranch_execz .LBB931_55
.LBB931_79:
	s_waitcnt lgkmcnt(3)
	global_store_short v[2:3], v31, off offset:1024
	s_or_b64 exec, exec, s[8:9]
	v_cmp_gt_u32_e64 s[8:9], s16, v24
	s_and_saveexec_b64 s[10:11], s[8:9]
	s_cbranch_execz .LBB931_56
.LBB931_80:
	s_waitcnt lgkmcnt(2)
	global_store_short v[2:3], v30, off offset:1280
	s_or_b64 exec, exec, s[10:11]
	v_cmp_gt_u32_e64 s[10:11], s16, v23
	s_and_saveexec_b64 s[14:15], s[10:11]
	s_cbranch_execz .LBB931_57
.LBB931_81:
	s_waitcnt lgkmcnt(1)
	global_store_short v[2:3], v29, off offset:1536
	s_or_b64 exec, exec, s[14:15]
	v_cmp_gt_u32_e64 s[16:17], s16, v22
	s_and_saveexec_b64 s[14:15], s[16:17]
	s_cbranch_execnz .LBB931_58
	s_branch .LBB931_59
.LBB931_82:
	ds_read_u16 v4, v4
	s_waitcnt lgkmcnt(0)
	global_store_short v[0:1], v4, off
	s_or_b64 exec, exec, s[14:15]
	s_and_saveexec_b64 s[14:15], s[0:1]
	s_cbranch_execz .LBB931_61
.LBB931_83:
	s_waitcnt lgkmcnt(6)
	global_store_short v[0:1], v8, off offset:256
	s_or_b64 exec, exec, s[14:15]
	s_and_saveexec_b64 s[0:1], s[2:3]
	s_cbranch_execz .LBB931_62
.LBB931_84:
	s_waitcnt lgkmcnt(5)
	global_store_short v[0:1], v7, off offset:512
	s_or_b64 exec, exec, s[0:1]
	s_and_saveexec_b64 s[0:1], s[4:5]
	s_cbranch_execz .LBB931_63
.LBB931_85:
	s_waitcnt lgkmcnt(4)
	global_store_short v[0:1], v6, off offset:768
	s_or_b64 exec, exec, s[0:1]
	s_and_saveexec_b64 s[0:1], s[6:7]
	s_cbranch_execz .LBB931_64
.LBB931_86:
	s_waitcnt lgkmcnt(3)
	global_store_short v[0:1], v5, off offset:1024
	s_or_b64 exec, exec, s[0:1]
	s_and_saveexec_b64 s[0:1], s[8:9]
	s_cbranch_execz .LBB931_65
.LBB931_87:
	s_waitcnt lgkmcnt(2)
	global_store_short v[0:1], v3, off offset:1280
	s_or_b64 exec, exec, s[0:1]
	s_and_saveexec_b64 s[0:1], s[10:11]
	s_cbranch_execnz .LBB931_66
	s_branch .LBB931_67
	.section	.rodata,"a",@progbits
	.p2align	6, 0x0
	.amdhsa_kernel _ZN7rocprim17ROCPRIM_400000_NS6detail17trampoline_kernelINS0_14default_configENS1_38merge_sort_block_merge_config_selectorIttEEZZNS1_27merge_sort_block_merge_implIS3_N6thrust23THRUST_200600_302600_NS6detail15normal_iteratorINS8_10device_ptrItEEEESD_jNS1_19radix_merge_compareILb0ELb1EtNS0_19identity_decomposerEEEEE10hipError_tT0_T1_T2_jT3_P12ihipStream_tbPNSt15iterator_traitsISI_E10value_typeEPNSO_ISJ_E10value_typeEPSK_NS1_7vsmem_tEENKUlT_SI_SJ_SK_E_clISD_PtSD_S10_EESH_SX_SI_SJ_SK_EUlSX_E0_NS1_11comp_targetILNS1_3genE0ELNS1_11target_archE4294967295ELNS1_3gpuE0ELNS1_3repE0EEENS1_38merge_mergepath_config_static_selectorELNS0_4arch9wavefront6targetE1EEEvSJ_
		.amdhsa_group_segment_fixed_size 2112
		.amdhsa_private_segment_fixed_size 0
		.amdhsa_kernarg_size 320
		.amdhsa_user_sgpr_count 2
		.amdhsa_user_sgpr_dispatch_ptr 0
		.amdhsa_user_sgpr_queue_ptr 0
		.amdhsa_user_sgpr_kernarg_segment_ptr 1
		.amdhsa_user_sgpr_dispatch_id 0
		.amdhsa_user_sgpr_kernarg_preload_length 0
		.amdhsa_user_sgpr_kernarg_preload_offset 0
		.amdhsa_user_sgpr_private_segment_size 0
		.amdhsa_uses_dynamic_stack 0
		.amdhsa_enable_private_segment 0
		.amdhsa_system_sgpr_workgroup_id_x 1
		.amdhsa_system_sgpr_workgroup_id_y 1
		.amdhsa_system_sgpr_workgroup_id_z 1
		.amdhsa_system_sgpr_workgroup_info 0
		.amdhsa_system_vgpr_workitem_id 0
		.amdhsa_next_free_vgpr 36
		.amdhsa_next_free_sgpr 32
		.amdhsa_accum_offset 36
		.amdhsa_reserve_vcc 1
		.amdhsa_float_round_mode_32 0
		.amdhsa_float_round_mode_16_64 0
		.amdhsa_float_denorm_mode_32 3
		.amdhsa_float_denorm_mode_16_64 3
		.amdhsa_dx10_clamp 1
		.amdhsa_ieee_mode 1
		.amdhsa_fp16_overflow 0
		.amdhsa_tg_split 0
		.amdhsa_exception_fp_ieee_invalid_op 0
		.amdhsa_exception_fp_denorm_src 0
		.amdhsa_exception_fp_ieee_div_zero 0
		.amdhsa_exception_fp_ieee_overflow 0
		.amdhsa_exception_fp_ieee_underflow 0
		.amdhsa_exception_fp_ieee_inexact 0
		.amdhsa_exception_int_div_zero 0
	.end_amdhsa_kernel
	.section	.text._ZN7rocprim17ROCPRIM_400000_NS6detail17trampoline_kernelINS0_14default_configENS1_38merge_sort_block_merge_config_selectorIttEEZZNS1_27merge_sort_block_merge_implIS3_N6thrust23THRUST_200600_302600_NS6detail15normal_iteratorINS8_10device_ptrItEEEESD_jNS1_19radix_merge_compareILb0ELb1EtNS0_19identity_decomposerEEEEE10hipError_tT0_T1_T2_jT3_P12ihipStream_tbPNSt15iterator_traitsISI_E10value_typeEPNSO_ISJ_E10value_typeEPSK_NS1_7vsmem_tEENKUlT_SI_SJ_SK_E_clISD_PtSD_S10_EESH_SX_SI_SJ_SK_EUlSX_E0_NS1_11comp_targetILNS1_3genE0ELNS1_11target_archE4294967295ELNS1_3gpuE0ELNS1_3repE0EEENS1_38merge_mergepath_config_static_selectorELNS0_4arch9wavefront6targetE1EEEvSJ_,"axG",@progbits,_ZN7rocprim17ROCPRIM_400000_NS6detail17trampoline_kernelINS0_14default_configENS1_38merge_sort_block_merge_config_selectorIttEEZZNS1_27merge_sort_block_merge_implIS3_N6thrust23THRUST_200600_302600_NS6detail15normal_iteratorINS8_10device_ptrItEEEESD_jNS1_19radix_merge_compareILb0ELb1EtNS0_19identity_decomposerEEEEE10hipError_tT0_T1_T2_jT3_P12ihipStream_tbPNSt15iterator_traitsISI_E10value_typeEPNSO_ISJ_E10value_typeEPSK_NS1_7vsmem_tEENKUlT_SI_SJ_SK_E_clISD_PtSD_S10_EESH_SX_SI_SJ_SK_EUlSX_E0_NS1_11comp_targetILNS1_3genE0ELNS1_11target_archE4294967295ELNS1_3gpuE0ELNS1_3repE0EEENS1_38merge_mergepath_config_static_selectorELNS0_4arch9wavefront6targetE1EEEvSJ_,comdat
.Lfunc_end931:
	.size	_ZN7rocprim17ROCPRIM_400000_NS6detail17trampoline_kernelINS0_14default_configENS1_38merge_sort_block_merge_config_selectorIttEEZZNS1_27merge_sort_block_merge_implIS3_N6thrust23THRUST_200600_302600_NS6detail15normal_iteratorINS8_10device_ptrItEEEESD_jNS1_19radix_merge_compareILb0ELb1EtNS0_19identity_decomposerEEEEE10hipError_tT0_T1_T2_jT3_P12ihipStream_tbPNSt15iterator_traitsISI_E10value_typeEPNSO_ISJ_E10value_typeEPSK_NS1_7vsmem_tEENKUlT_SI_SJ_SK_E_clISD_PtSD_S10_EESH_SX_SI_SJ_SK_EUlSX_E0_NS1_11comp_targetILNS1_3genE0ELNS1_11target_archE4294967295ELNS1_3gpuE0ELNS1_3repE0EEENS1_38merge_mergepath_config_static_selectorELNS0_4arch9wavefront6targetE1EEEvSJ_, .Lfunc_end931-_ZN7rocprim17ROCPRIM_400000_NS6detail17trampoline_kernelINS0_14default_configENS1_38merge_sort_block_merge_config_selectorIttEEZZNS1_27merge_sort_block_merge_implIS3_N6thrust23THRUST_200600_302600_NS6detail15normal_iteratorINS8_10device_ptrItEEEESD_jNS1_19radix_merge_compareILb0ELb1EtNS0_19identity_decomposerEEEEE10hipError_tT0_T1_T2_jT3_P12ihipStream_tbPNSt15iterator_traitsISI_E10value_typeEPNSO_ISJ_E10value_typeEPSK_NS1_7vsmem_tEENKUlT_SI_SJ_SK_E_clISD_PtSD_S10_EESH_SX_SI_SJ_SK_EUlSX_E0_NS1_11comp_targetILNS1_3genE0ELNS1_11target_archE4294967295ELNS1_3gpuE0ELNS1_3repE0EEENS1_38merge_mergepath_config_static_selectorELNS0_4arch9wavefront6targetE1EEEvSJ_
                                        ; -- End function
	.set _ZN7rocprim17ROCPRIM_400000_NS6detail17trampoline_kernelINS0_14default_configENS1_38merge_sort_block_merge_config_selectorIttEEZZNS1_27merge_sort_block_merge_implIS3_N6thrust23THRUST_200600_302600_NS6detail15normal_iteratorINS8_10device_ptrItEEEESD_jNS1_19radix_merge_compareILb0ELb1EtNS0_19identity_decomposerEEEEE10hipError_tT0_T1_T2_jT3_P12ihipStream_tbPNSt15iterator_traitsISI_E10value_typeEPNSO_ISJ_E10value_typeEPSK_NS1_7vsmem_tEENKUlT_SI_SJ_SK_E_clISD_PtSD_S10_EESH_SX_SI_SJ_SK_EUlSX_E0_NS1_11comp_targetILNS1_3genE0ELNS1_11target_archE4294967295ELNS1_3gpuE0ELNS1_3repE0EEENS1_38merge_mergepath_config_static_selectorELNS0_4arch9wavefront6targetE1EEEvSJ_.num_vgpr, 36
	.set _ZN7rocprim17ROCPRIM_400000_NS6detail17trampoline_kernelINS0_14default_configENS1_38merge_sort_block_merge_config_selectorIttEEZZNS1_27merge_sort_block_merge_implIS3_N6thrust23THRUST_200600_302600_NS6detail15normal_iteratorINS8_10device_ptrItEEEESD_jNS1_19radix_merge_compareILb0ELb1EtNS0_19identity_decomposerEEEEE10hipError_tT0_T1_T2_jT3_P12ihipStream_tbPNSt15iterator_traitsISI_E10value_typeEPNSO_ISJ_E10value_typeEPSK_NS1_7vsmem_tEENKUlT_SI_SJ_SK_E_clISD_PtSD_S10_EESH_SX_SI_SJ_SK_EUlSX_E0_NS1_11comp_targetILNS1_3genE0ELNS1_11target_archE4294967295ELNS1_3gpuE0ELNS1_3repE0EEENS1_38merge_mergepath_config_static_selectorELNS0_4arch9wavefront6targetE1EEEvSJ_.num_agpr, 0
	.set _ZN7rocprim17ROCPRIM_400000_NS6detail17trampoline_kernelINS0_14default_configENS1_38merge_sort_block_merge_config_selectorIttEEZZNS1_27merge_sort_block_merge_implIS3_N6thrust23THRUST_200600_302600_NS6detail15normal_iteratorINS8_10device_ptrItEEEESD_jNS1_19radix_merge_compareILb0ELb1EtNS0_19identity_decomposerEEEEE10hipError_tT0_T1_T2_jT3_P12ihipStream_tbPNSt15iterator_traitsISI_E10value_typeEPNSO_ISJ_E10value_typeEPSK_NS1_7vsmem_tEENKUlT_SI_SJ_SK_E_clISD_PtSD_S10_EESH_SX_SI_SJ_SK_EUlSX_E0_NS1_11comp_targetILNS1_3genE0ELNS1_11target_archE4294967295ELNS1_3gpuE0ELNS1_3repE0EEENS1_38merge_mergepath_config_static_selectorELNS0_4arch9wavefront6targetE1EEEvSJ_.numbered_sgpr, 32
	.set _ZN7rocprim17ROCPRIM_400000_NS6detail17trampoline_kernelINS0_14default_configENS1_38merge_sort_block_merge_config_selectorIttEEZZNS1_27merge_sort_block_merge_implIS3_N6thrust23THRUST_200600_302600_NS6detail15normal_iteratorINS8_10device_ptrItEEEESD_jNS1_19radix_merge_compareILb0ELb1EtNS0_19identity_decomposerEEEEE10hipError_tT0_T1_T2_jT3_P12ihipStream_tbPNSt15iterator_traitsISI_E10value_typeEPNSO_ISJ_E10value_typeEPSK_NS1_7vsmem_tEENKUlT_SI_SJ_SK_E_clISD_PtSD_S10_EESH_SX_SI_SJ_SK_EUlSX_E0_NS1_11comp_targetILNS1_3genE0ELNS1_11target_archE4294967295ELNS1_3gpuE0ELNS1_3repE0EEENS1_38merge_mergepath_config_static_selectorELNS0_4arch9wavefront6targetE1EEEvSJ_.num_named_barrier, 0
	.set _ZN7rocprim17ROCPRIM_400000_NS6detail17trampoline_kernelINS0_14default_configENS1_38merge_sort_block_merge_config_selectorIttEEZZNS1_27merge_sort_block_merge_implIS3_N6thrust23THRUST_200600_302600_NS6detail15normal_iteratorINS8_10device_ptrItEEEESD_jNS1_19radix_merge_compareILb0ELb1EtNS0_19identity_decomposerEEEEE10hipError_tT0_T1_T2_jT3_P12ihipStream_tbPNSt15iterator_traitsISI_E10value_typeEPNSO_ISJ_E10value_typeEPSK_NS1_7vsmem_tEENKUlT_SI_SJ_SK_E_clISD_PtSD_S10_EESH_SX_SI_SJ_SK_EUlSX_E0_NS1_11comp_targetILNS1_3genE0ELNS1_11target_archE4294967295ELNS1_3gpuE0ELNS1_3repE0EEENS1_38merge_mergepath_config_static_selectorELNS0_4arch9wavefront6targetE1EEEvSJ_.private_seg_size, 0
	.set _ZN7rocprim17ROCPRIM_400000_NS6detail17trampoline_kernelINS0_14default_configENS1_38merge_sort_block_merge_config_selectorIttEEZZNS1_27merge_sort_block_merge_implIS3_N6thrust23THRUST_200600_302600_NS6detail15normal_iteratorINS8_10device_ptrItEEEESD_jNS1_19radix_merge_compareILb0ELb1EtNS0_19identity_decomposerEEEEE10hipError_tT0_T1_T2_jT3_P12ihipStream_tbPNSt15iterator_traitsISI_E10value_typeEPNSO_ISJ_E10value_typeEPSK_NS1_7vsmem_tEENKUlT_SI_SJ_SK_E_clISD_PtSD_S10_EESH_SX_SI_SJ_SK_EUlSX_E0_NS1_11comp_targetILNS1_3genE0ELNS1_11target_archE4294967295ELNS1_3gpuE0ELNS1_3repE0EEENS1_38merge_mergepath_config_static_selectorELNS0_4arch9wavefront6targetE1EEEvSJ_.uses_vcc, 1
	.set _ZN7rocprim17ROCPRIM_400000_NS6detail17trampoline_kernelINS0_14default_configENS1_38merge_sort_block_merge_config_selectorIttEEZZNS1_27merge_sort_block_merge_implIS3_N6thrust23THRUST_200600_302600_NS6detail15normal_iteratorINS8_10device_ptrItEEEESD_jNS1_19radix_merge_compareILb0ELb1EtNS0_19identity_decomposerEEEEE10hipError_tT0_T1_T2_jT3_P12ihipStream_tbPNSt15iterator_traitsISI_E10value_typeEPNSO_ISJ_E10value_typeEPSK_NS1_7vsmem_tEENKUlT_SI_SJ_SK_E_clISD_PtSD_S10_EESH_SX_SI_SJ_SK_EUlSX_E0_NS1_11comp_targetILNS1_3genE0ELNS1_11target_archE4294967295ELNS1_3gpuE0ELNS1_3repE0EEENS1_38merge_mergepath_config_static_selectorELNS0_4arch9wavefront6targetE1EEEvSJ_.uses_flat_scratch, 0
	.set _ZN7rocprim17ROCPRIM_400000_NS6detail17trampoline_kernelINS0_14default_configENS1_38merge_sort_block_merge_config_selectorIttEEZZNS1_27merge_sort_block_merge_implIS3_N6thrust23THRUST_200600_302600_NS6detail15normal_iteratorINS8_10device_ptrItEEEESD_jNS1_19radix_merge_compareILb0ELb1EtNS0_19identity_decomposerEEEEE10hipError_tT0_T1_T2_jT3_P12ihipStream_tbPNSt15iterator_traitsISI_E10value_typeEPNSO_ISJ_E10value_typeEPSK_NS1_7vsmem_tEENKUlT_SI_SJ_SK_E_clISD_PtSD_S10_EESH_SX_SI_SJ_SK_EUlSX_E0_NS1_11comp_targetILNS1_3genE0ELNS1_11target_archE4294967295ELNS1_3gpuE0ELNS1_3repE0EEENS1_38merge_mergepath_config_static_selectorELNS0_4arch9wavefront6targetE1EEEvSJ_.has_dyn_sized_stack, 0
	.set _ZN7rocprim17ROCPRIM_400000_NS6detail17trampoline_kernelINS0_14default_configENS1_38merge_sort_block_merge_config_selectorIttEEZZNS1_27merge_sort_block_merge_implIS3_N6thrust23THRUST_200600_302600_NS6detail15normal_iteratorINS8_10device_ptrItEEEESD_jNS1_19radix_merge_compareILb0ELb1EtNS0_19identity_decomposerEEEEE10hipError_tT0_T1_T2_jT3_P12ihipStream_tbPNSt15iterator_traitsISI_E10value_typeEPNSO_ISJ_E10value_typeEPSK_NS1_7vsmem_tEENKUlT_SI_SJ_SK_E_clISD_PtSD_S10_EESH_SX_SI_SJ_SK_EUlSX_E0_NS1_11comp_targetILNS1_3genE0ELNS1_11target_archE4294967295ELNS1_3gpuE0ELNS1_3repE0EEENS1_38merge_mergepath_config_static_selectorELNS0_4arch9wavefront6targetE1EEEvSJ_.has_recursion, 0
	.set _ZN7rocprim17ROCPRIM_400000_NS6detail17trampoline_kernelINS0_14default_configENS1_38merge_sort_block_merge_config_selectorIttEEZZNS1_27merge_sort_block_merge_implIS3_N6thrust23THRUST_200600_302600_NS6detail15normal_iteratorINS8_10device_ptrItEEEESD_jNS1_19radix_merge_compareILb0ELb1EtNS0_19identity_decomposerEEEEE10hipError_tT0_T1_T2_jT3_P12ihipStream_tbPNSt15iterator_traitsISI_E10value_typeEPNSO_ISJ_E10value_typeEPSK_NS1_7vsmem_tEENKUlT_SI_SJ_SK_E_clISD_PtSD_S10_EESH_SX_SI_SJ_SK_EUlSX_E0_NS1_11comp_targetILNS1_3genE0ELNS1_11target_archE4294967295ELNS1_3gpuE0ELNS1_3repE0EEENS1_38merge_mergepath_config_static_selectorELNS0_4arch9wavefront6targetE1EEEvSJ_.has_indirect_call, 0
	.section	.AMDGPU.csdata,"",@progbits
; Kernel info:
; codeLenInByte = 5536
; TotalNumSgprs: 38
; NumVgprs: 36
; NumAgprs: 0
; TotalNumVgprs: 36
; ScratchSize: 0
; MemoryBound: 0
; FloatMode: 240
; IeeeMode: 1
; LDSByteSize: 2112 bytes/workgroup (compile time only)
; SGPRBlocks: 4
; VGPRBlocks: 4
; NumSGPRsForWavesPerEU: 38
; NumVGPRsForWavesPerEU: 36
; AccumOffset: 36
; Occupancy: 8
; WaveLimiterHint : 1
; COMPUTE_PGM_RSRC2:SCRATCH_EN: 0
; COMPUTE_PGM_RSRC2:USER_SGPR: 2
; COMPUTE_PGM_RSRC2:TRAP_HANDLER: 0
; COMPUTE_PGM_RSRC2:TGID_X_EN: 1
; COMPUTE_PGM_RSRC2:TGID_Y_EN: 1
; COMPUTE_PGM_RSRC2:TGID_Z_EN: 1
; COMPUTE_PGM_RSRC2:TIDIG_COMP_CNT: 0
; COMPUTE_PGM_RSRC3_GFX90A:ACCUM_OFFSET: 8
; COMPUTE_PGM_RSRC3_GFX90A:TG_SPLIT: 0
	.section	.text._ZN7rocprim17ROCPRIM_400000_NS6detail17trampoline_kernelINS0_14default_configENS1_38merge_sort_block_merge_config_selectorIttEEZZNS1_27merge_sort_block_merge_implIS3_N6thrust23THRUST_200600_302600_NS6detail15normal_iteratorINS8_10device_ptrItEEEESD_jNS1_19radix_merge_compareILb0ELb1EtNS0_19identity_decomposerEEEEE10hipError_tT0_T1_T2_jT3_P12ihipStream_tbPNSt15iterator_traitsISI_E10value_typeEPNSO_ISJ_E10value_typeEPSK_NS1_7vsmem_tEENKUlT_SI_SJ_SK_E_clISD_PtSD_S10_EESH_SX_SI_SJ_SK_EUlSX_E0_NS1_11comp_targetILNS1_3genE10ELNS1_11target_archE1201ELNS1_3gpuE5ELNS1_3repE0EEENS1_38merge_mergepath_config_static_selectorELNS0_4arch9wavefront6targetE1EEEvSJ_,"axG",@progbits,_ZN7rocprim17ROCPRIM_400000_NS6detail17trampoline_kernelINS0_14default_configENS1_38merge_sort_block_merge_config_selectorIttEEZZNS1_27merge_sort_block_merge_implIS3_N6thrust23THRUST_200600_302600_NS6detail15normal_iteratorINS8_10device_ptrItEEEESD_jNS1_19radix_merge_compareILb0ELb1EtNS0_19identity_decomposerEEEEE10hipError_tT0_T1_T2_jT3_P12ihipStream_tbPNSt15iterator_traitsISI_E10value_typeEPNSO_ISJ_E10value_typeEPSK_NS1_7vsmem_tEENKUlT_SI_SJ_SK_E_clISD_PtSD_S10_EESH_SX_SI_SJ_SK_EUlSX_E0_NS1_11comp_targetILNS1_3genE10ELNS1_11target_archE1201ELNS1_3gpuE5ELNS1_3repE0EEENS1_38merge_mergepath_config_static_selectorELNS0_4arch9wavefront6targetE1EEEvSJ_,comdat
	.protected	_ZN7rocprim17ROCPRIM_400000_NS6detail17trampoline_kernelINS0_14default_configENS1_38merge_sort_block_merge_config_selectorIttEEZZNS1_27merge_sort_block_merge_implIS3_N6thrust23THRUST_200600_302600_NS6detail15normal_iteratorINS8_10device_ptrItEEEESD_jNS1_19radix_merge_compareILb0ELb1EtNS0_19identity_decomposerEEEEE10hipError_tT0_T1_T2_jT3_P12ihipStream_tbPNSt15iterator_traitsISI_E10value_typeEPNSO_ISJ_E10value_typeEPSK_NS1_7vsmem_tEENKUlT_SI_SJ_SK_E_clISD_PtSD_S10_EESH_SX_SI_SJ_SK_EUlSX_E0_NS1_11comp_targetILNS1_3genE10ELNS1_11target_archE1201ELNS1_3gpuE5ELNS1_3repE0EEENS1_38merge_mergepath_config_static_selectorELNS0_4arch9wavefront6targetE1EEEvSJ_ ; -- Begin function _ZN7rocprim17ROCPRIM_400000_NS6detail17trampoline_kernelINS0_14default_configENS1_38merge_sort_block_merge_config_selectorIttEEZZNS1_27merge_sort_block_merge_implIS3_N6thrust23THRUST_200600_302600_NS6detail15normal_iteratorINS8_10device_ptrItEEEESD_jNS1_19radix_merge_compareILb0ELb1EtNS0_19identity_decomposerEEEEE10hipError_tT0_T1_T2_jT3_P12ihipStream_tbPNSt15iterator_traitsISI_E10value_typeEPNSO_ISJ_E10value_typeEPSK_NS1_7vsmem_tEENKUlT_SI_SJ_SK_E_clISD_PtSD_S10_EESH_SX_SI_SJ_SK_EUlSX_E0_NS1_11comp_targetILNS1_3genE10ELNS1_11target_archE1201ELNS1_3gpuE5ELNS1_3repE0EEENS1_38merge_mergepath_config_static_selectorELNS0_4arch9wavefront6targetE1EEEvSJ_
	.globl	_ZN7rocprim17ROCPRIM_400000_NS6detail17trampoline_kernelINS0_14default_configENS1_38merge_sort_block_merge_config_selectorIttEEZZNS1_27merge_sort_block_merge_implIS3_N6thrust23THRUST_200600_302600_NS6detail15normal_iteratorINS8_10device_ptrItEEEESD_jNS1_19radix_merge_compareILb0ELb1EtNS0_19identity_decomposerEEEEE10hipError_tT0_T1_T2_jT3_P12ihipStream_tbPNSt15iterator_traitsISI_E10value_typeEPNSO_ISJ_E10value_typeEPSK_NS1_7vsmem_tEENKUlT_SI_SJ_SK_E_clISD_PtSD_S10_EESH_SX_SI_SJ_SK_EUlSX_E0_NS1_11comp_targetILNS1_3genE10ELNS1_11target_archE1201ELNS1_3gpuE5ELNS1_3repE0EEENS1_38merge_mergepath_config_static_selectorELNS0_4arch9wavefront6targetE1EEEvSJ_
	.p2align	8
	.type	_ZN7rocprim17ROCPRIM_400000_NS6detail17trampoline_kernelINS0_14default_configENS1_38merge_sort_block_merge_config_selectorIttEEZZNS1_27merge_sort_block_merge_implIS3_N6thrust23THRUST_200600_302600_NS6detail15normal_iteratorINS8_10device_ptrItEEEESD_jNS1_19radix_merge_compareILb0ELb1EtNS0_19identity_decomposerEEEEE10hipError_tT0_T1_T2_jT3_P12ihipStream_tbPNSt15iterator_traitsISI_E10value_typeEPNSO_ISJ_E10value_typeEPSK_NS1_7vsmem_tEENKUlT_SI_SJ_SK_E_clISD_PtSD_S10_EESH_SX_SI_SJ_SK_EUlSX_E0_NS1_11comp_targetILNS1_3genE10ELNS1_11target_archE1201ELNS1_3gpuE5ELNS1_3repE0EEENS1_38merge_mergepath_config_static_selectorELNS0_4arch9wavefront6targetE1EEEvSJ_,@function
_ZN7rocprim17ROCPRIM_400000_NS6detail17trampoline_kernelINS0_14default_configENS1_38merge_sort_block_merge_config_selectorIttEEZZNS1_27merge_sort_block_merge_implIS3_N6thrust23THRUST_200600_302600_NS6detail15normal_iteratorINS8_10device_ptrItEEEESD_jNS1_19radix_merge_compareILb0ELb1EtNS0_19identity_decomposerEEEEE10hipError_tT0_T1_T2_jT3_P12ihipStream_tbPNSt15iterator_traitsISI_E10value_typeEPNSO_ISJ_E10value_typeEPSK_NS1_7vsmem_tEENKUlT_SI_SJ_SK_E_clISD_PtSD_S10_EESH_SX_SI_SJ_SK_EUlSX_E0_NS1_11comp_targetILNS1_3genE10ELNS1_11target_archE1201ELNS1_3gpuE5ELNS1_3repE0EEENS1_38merge_mergepath_config_static_selectorELNS0_4arch9wavefront6targetE1EEEvSJ_: ; @_ZN7rocprim17ROCPRIM_400000_NS6detail17trampoline_kernelINS0_14default_configENS1_38merge_sort_block_merge_config_selectorIttEEZZNS1_27merge_sort_block_merge_implIS3_N6thrust23THRUST_200600_302600_NS6detail15normal_iteratorINS8_10device_ptrItEEEESD_jNS1_19radix_merge_compareILb0ELb1EtNS0_19identity_decomposerEEEEE10hipError_tT0_T1_T2_jT3_P12ihipStream_tbPNSt15iterator_traitsISI_E10value_typeEPNSO_ISJ_E10value_typeEPSK_NS1_7vsmem_tEENKUlT_SI_SJ_SK_E_clISD_PtSD_S10_EESH_SX_SI_SJ_SK_EUlSX_E0_NS1_11comp_targetILNS1_3genE10ELNS1_11target_archE1201ELNS1_3gpuE5ELNS1_3repE0EEENS1_38merge_mergepath_config_static_selectorELNS0_4arch9wavefront6targetE1EEEvSJ_
; %bb.0:
	.section	.rodata,"a",@progbits
	.p2align	6, 0x0
	.amdhsa_kernel _ZN7rocprim17ROCPRIM_400000_NS6detail17trampoline_kernelINS0_14default_configENS1_38merge_sort_block_merge_config_selectorIttEEZZNS1_27merge_sort_block_merge_implIS3_N6thrust23THRUST_200600_302600_NS6detail15normal_iteratorINS8_10device_ptrItEEEESD_jNS1_19radix_merge_compareILb0ELb1EtNS0_19identity_decomposerEEEEE10hipError_tT0_T1_T2_jT3_P12ihipStream_tbPNSt15iterator_traitsISI_E10value_typeEPNSO_ISJ_E10value_typeEPSK_NS1_7vsmem_tEENKUlT_SI_SJ_SK_E_clISD_PtSD_S10_EESH_SX_SI_SJ_SK_EUlSX_E0_NS1_11comp_targetILNS1_3genE10ELNS1_11target_archE1201ELNS1_3gpuE5ELNS1_3repE0EEENS1_38merge_mergepath_config_static_selectorELNS0_4arch9wavefront6targetE1EEEvSJ_
		.amdhsa_group_segment_fixed_size 0
		.amdhsa_private_segment_fixed_size 0
		.amdhsa_kernarg_size 64
		.amdhsa_user_sgpr_count 2
		.amdhsa_user_sgpr_dispatch_ptr 0
		.amdhsa_user_sgpr_queue_ptr 0
		.amdhsa_user_sgpr_kernarg_segment_ptr 1
		.amdhsa_user_sgpr_dispatch_id 0
		.amdhsa_user_sgpr_kernarg_preload_length 0
		.amdhsa_user_sgpr_kernarg_preload_offset 0
		.amdhsa_user_sgpr_private_segment_size 0
		.amdhsa_uses_dynamic_stack 0
		.amdhsa_enable_private_segment 0
		.amdhsa_system_sgpr_workgroup_id_x 1
		.amdhsa_system_sgpr_workgroup_id_y 0
		.amdhsa_system_sgpr_workgroup_id_z 0
		.amdhsa_system_sgpr_workgroup_info 0
		.amdhsa_system_vgpr_workitem_id 0
		.amdhsa_next_free_vgpr 1
		.amdhsa_next_free_sgpr 0
		.amdhsa_accum_offset 4
		.amdhsa_reserve_vcc 0
		.amdhsa_float_round_mode_32 0
		.amdhsa_float_round_mode_16_64 0
		.amdhsa_float_denorm_mode_32 3
		.amdhsa_float_denorm_mode_16_64 3
		.amdhsa_dx10_clamp 1
		.amdhsa_ieee_mode 1
		.amdhsa_fp16_overflow 0
		.amdhsa_tg_split 0
		.amdhsa_exception_fp_ieee_invalid_op 0
		.amdhsa_exception_fp_denorm_src 0
		.amdhsa_exception_fp_ieee_div_zero 0
		.amdhsa_exception_fp_ieee_overflow 0
		.amdhsa_exception_fp_ieee_underflow 0
		.amdhsa_exception_fp_ieee_inexact 0
		.amdhsa_exception_int_div_zero 0
	.end_amdhsa_kernel
	.section	.text._ZN7rocprim17ROCPRIM_400000_NS6detail17trampoline_kernelINS0_14default_configENS1_38merge_sort_block_merge_config_selectorIttEEZZNS1_27merge_sort_block_merge_implIS3_N6thrust23THRUST_200600_302600_NS6detail15normal_iteratorINS8_10device_ptrItEEEESD_jNS1_19radix_merge_compareILb0ELb1EtNS0_19identity_decomposerEEEEE10hipError_tT0_T1_T2_jT3_P12ihipStream_tbPNSt15iterator_traitsISI_E10value_typeEPNSO_ISJ_E10value_typeEPSK_NS1_7vsmem_tEENKUlT_SI_SJ_SK_E_clISD_PtSD_S10_EESH_SX_SI_SJ_SK_EUlSX_E0_NS1_11comp_targetILNS1_3genE10ELNS1_11target_archE1201ELNS1_3gpuE5ELNS1_3repE0EEENS1_38merge_mergepath_config_static_selectorELNS0_4arch9wavefront6targetE1EEEvSJ_,"axG",@progbits,_ZN7rocprim17ROCPRIM_400000_NS6detail17trampoline_kernelINS0_14default_configENS1_38merge_sort_block_merge_config_selectorIttEEZZNS1_27merge_sort_block_merge_implIS3_N6thrust23THRUST_200600_302600_NS6detail15normal_iteratorINS8_10device_ptrItEEEESD_jNS1_19radix_merge_compareILb0ELb1EtNS0_19identity_decomposerEEEEE10hipError_tT0_T1_T2_jT3_P12ihipStream_tbPNSt15iterator_traitsISI_E10value_typeEPNSO_ISJ_E10value_typeEPSK_NS1_7vsmem_tEENKUlT_SI_SJ_SK_E_clISD_PtSD_S10_EESH_SX_SI_SJ_SK_EUlSX_E0_NS1_11comp_targetILNS1_3genE10ELNS1_11target_archE1201ELNS1_3gpuE5ELNS1_3repE0EEENS1_38merge_mergepath_config_static_selectorELNS0_4arch9wavefront6targetE1EEEvSJ_,comdat
.Lfunc_end932:
	.size	_ZN7rocprim17ROCPRIM_400000_NS6detail17trampoline_kernelINS0_14default_configENS1_38merge_sort_block_merge_config_selectorIttEEZZNS1_27merge_sort_block_merge_implIS3_N6thrust23THRUST_200600_302600_NS6detail15normal_iteratorINS8_10device_ptrItEEEESD_jNS1_19radix_merge_compareILb0ELb1EtNS0_19identity_decomposerEEEEE10hipError_tT0_T1_T2_jT3_P12ihipStream_tbPNSt15iterator_traitsISI_E10value_typeEPNSO_ISJ_E10value_typeEPSK_NS1_7vsmem_tEENKUlT_SI_SJ_SK_E_clISD_PtSD_S10_EESH_SX_SI_SJ_SK_EUlSX_E0_NS1_11comp_targetILNS1_3genE10ELNS1_11target_archE1201ELNS1_3gpuE5ELNS1_3repE0EEENS1_38merge_mergepath_config_static_selectorELNS0_4arch9wavefront6targetE1EEEvSJ_, .Lfunc_end932-_ZN7rocprim17ROCPRIM_400000_NS6detail17trampoline_kernelINS0_14default_configENS1_38merge_sort_block_merge_config_selectorIttEEZZNS1_27merge_sort_block_merge_implIS3_N6thrust23THRUST_200600_302600_NS6detail15normal_iteratorINS8_10device_ptrItEEEESD_jNS1_19radix_merge_compareILb0ELb1EtNS0_19identity_decomposerEEEEE10hipError_tT0_T1_T2_jT3_P12ihipStream_tbPNSt15iterator_traitsISI_E10value_typeEPNSO_ISJ_E10value_typeEPSK_NS1_7vsmem_tEENKUlT_SI_SJ_SK_E_clISD_PtSD_S10_EESH_SX_SI_SJ_SK_EUlSX_E0_NS1_11comp_targetILNS1_3genE10ELNS1_11target_archE1201ELNS1_3gpuE5ELNS1_3repE0EEENS1_38merge_mergepath_config_static_selectorELNS0_4arch9wavefront6targetE1EEEvSJ_
                                        ; -- End function
	.set _ZN7rocprim17ROCPRIM_400000_NS6detail17trampoline_kernelINS0_14default_configENS1_38merge_sort_block_merge_config_selectorIttEEZZNS1_27merge_sort_block_merge_implIS3_N6thrust23THRUST_200600_302600_NS6detail15normal_iteratorINS8_10device_ptrItEEEESD_jNS1_19radix_merge_compareILb0ELb1EtNS0_19identity_decomposerEEEEE10hipError_tT0_T1_T2_jT3_P12ihipStream_tbPNSt15iterator_traitsISI_E10value_typeEPNSO_ISJ_E10value_typeEPSK_NS1_7vsmem_tEENKUlT_SI_SJ_SK_E_clISD_PtSD_S10_EESH_SX_SI_SJ_SK_EUlSX_E0_NS1_11comp_targetILNS1_3genE10ELNS1_11target_archE1201ELNS1_3gpuE5ELNS1_3repE0EEENS1_38merge_mergepath_config_static_selectorELNS0_4arch9wavefront6targetE1EEEvSJ_.num_vgpr, 0
	.set _ZN7rocprim17ROCPRIM_400000_NS6detail17trampoline_kernelINS0_14default_configENS1_38merge_sort_block_merge_config_selectorIttEEZZNS1_27merge_sort_block_merge_implIS3_N6thrust23THRUST_200600_302600_NS6detail15normal_iteratorINS8_10device_ptrItEEEESD_jNS1_19radix_merge_compareILb0ELb1EtNS0_19identity_decomposerEEEEE10hipError_tT0_T1_T2_jT3_P12ihipStream_tbPNSt15iterator_traitsISI_E10value_typeEPNSO_ISJ_E10value_typeEPSK_NS1_7vsmem_tEENKUlT_SI_SJ_SK_E_clISD_PtSD_S10_EESH_SX_SI_SJ_SK_EUlSX_E0_NS1_11comp_targetILNS1_3genE10ELNS1_11target_archE1201ELNS1_3gpuE5ELNS1_3repE0EEENS1_38merge_mergepath_config_static_selectorELNS0_4arch9wavefront6targetE1EEEvSJ_.num_agpr, 0
	.set _ZN7rocprim17ROCPRIM_400000_NS6detail17trampoline_kernelINS0_14default_configENS1_38merge_sort_block_merge_config_selectorIttEEZZNS1_27merge_sort_block_merge_implIS3_N6thrust23THRUST_200600_302600_NS6detail15normal_iteratorINS8_10device_ptrItEEEESD_jNS1_19radix_merge_compareILb0ELb1EtNS0_19identity_decomposerEEEEE10hipError_tT0_T1_T2_jT3_P12ihipStream_tbPNSt15iterator_traitsISI_E10value_typeEPNSO_ISJ_E10value_typeEPSK_NS1_7vsmem_tEENKUlT_SI_SJ_SK_E_clISD_PtSD_S10_EESH_SX_SI_SJ_SK_EUlSX_E0_NS1_11comp_targetILNS1_3genE10ELNS1_11target_archE1201ELNS1_3gpuE5ELNS1_3repE0EEENS1_38merge_mergepath_config_static_selectorELNS0_4arch9wavefront6targetE1EEEvSJ_.numbered_sgpr, 0
	.set _ZN7rocprim17ROCPRIM_400000_NS6detail17trampoline_kernelINS0_14default_configENS1_38merge_sort_block_merge_config_selectorIttEEZZNS1_27merge_sort_block_merge_implIS3_N6thrust23THRUST_200600_302600_NS6detail15normal_iteratorINS8_10device_ptrItEEEESD_jNS1_19radix_merge_compareILb0ELb1EtNS0_19identity_decomposerEEEEE10hipError_tT0_T1_T2_jT3_P12ihipStream_tbPNSt15iterator_traitsISI_E10value_typeEPNSO_ISJ_E10value_typeEPSK_NS1_7vsmem_tEENKUlT_SI_SJ_SK_E_clISD_PtSD_S10_EESH_SX_SI_SJ_SK_EUlSX_E0_NS1_11comp_targetILNS1_3genE10ELNS1_11target_archE1201ELNS1_3gpuE5ELNS1_3repE0EEENS1_38merge_mergepath_config_static_selectorELNS0_4arch9wavefront6targetE1EEEvSJ_.num_named_barrier, 0
	.set _ZN7rocprim17ROCPRIM_400000_NS6detail17trampoline_kernelINS0_14default_configENS1_38merge_sort_block_merge_config_selectorIttEEZZNS1_27merge_sort_block_merge_implIS3_N6thrust23THRUST_200600_302600_NS6detail15normal_iteratorINS8_10device_ptrItEEEESD_jNS1_19radix_merge_compareILb0ELb1EtNS0_19identity_decomposerEEEEE10hipError_tT0_T1_T2_jT3_P12ihipStream_tbPNSt15iterator_traitsISI_E10value_typeEPNSO_ISJ_E10value_typeEPSK_NS1_7vsmem_tEENKUlT_SI_SJ_SK_E_clISD_PtSD_S10_EESH_SX_SI_SJ_SK_EUlSX_E0_NS1_11comp_targetILNS1_3genE10ELNS1_11target_archE1201ELNS1_3gpuE5ELNS1_3repE0EEENS1_38merge_mergepath_config_static_selectorELNS0_4arch9wavefront6targetE1EEEvSJ_.private_seg_size, 0
	.set _ZN7rocprim17ROCPRIM_400000_NS6detail17trampoline_kernelINS0_14default_configENS1_38merge_sort_block_merge_config_selectorIttEEZZNS1_27merge_sort_block_merge_implIS3_N6thrust23THRUST_200600_302600_NS6detail15normal_iteratorINS8_10device_ptrItEEEESD_jNS1_19radix_merge_compareILb0ELb1EtNS0_19identity_decomposerEEEEE10hipError_tT0_T1_T2_jT3_P12ihipStream_tbPNSt15iterator_traitsISI_E10value_typeEPNSO_ISJ_E10value_typeEPSK_NS1_7vsmem_tEENKUlT_SI_SJ_SK_E_clISD_PtSD_S10_EESH_SX_SI_SJ_SK_EUlSX_E0_NS1_11comp_targetILNS1_3genE10ELNS1_11target_archE1201ELNS1_3gpuE5ELNS1_3repE0EEENS1_38merge_mergepath_config_static_selectorELNS0_4arch9wavefront6targetE1EEEvSJ_.uses_vcc, 0
	.set _ZN7rocprim17ROCPRIM_400000_NS6detail17trampoline_kernelINS0_14default_configENS1_38merge_sort_block_merge_config_selectorIttEEZZNS1_27merge_sort_block_merge_implIS3_N6thrust23THRUST_200600_302600_NS6detail15normal_iteratorINS8_10device_ptrItEEEESD_jNS1_19radix_merge_compareILb0ELb1EtNS0_19identity_decomposerEEEEE10hipError_tT0_T1_T2_jT3_P12ihipStream_tbPNSt15iterator_traitsISI_E10value_typeEPNSO_ISJ_E10value_typeEPSK_NS1_7vsmem_tEENKUlT_SI_SJ_SK_E_clISD_PtSD_S10_EESH_SX_SI_SJ_SK_EUlSX_E0_NS1_11comp_targetILNS1_3genE10ELNS1_11target_archE1201ELNS1_3gpuE5ELNS1_3repE0EEENS1_38merge_mergepath_config_static_selectorELNS0_4arch9wavefront6targetE1EEEvSJ_.uses_flat_scratch, 0
	.set _ZN7rocprim17ROCPRIM_400000_NS6detail17trampoline_kernelINS0_14default_configENS1_38merge_sort_block_merge_config_selectorIttEEZZNS1_27merge_sort_block_merge_implIS3_N6thrust23THRUST_200600_302600_NS6detail15normal_iteratorINS8_10device_ptrItEEEESD_jNS1_19radix_merge_compareILb0ELb1EtNS0_19identity_decomposerEEEEE10hipError_tT0_T1_T2_jT3_P12ihipStream_tbPNSt15iterator_traitsISI_E10value_typeEPNSO_ISJ_E10value_typeEPSK_NS1_7vsmem_tEENKUlT_SI_SJ_SK_E_clISD_PtSD_S10_EESH_SX_SI_SJ_SK_EUlSX_E0_NS1_11comp_targetILNS1_3genE10ELNS1_11target_archE1201ELNS1_3gpuE5ELNS1_3repE0EEENS1_38merge_mergepath_config_static_selectorELNS0_4arch9wavefront6targetE1EEEvSJ_.has_dyn_sized_stack, 0
	.set _ZN7rocprim17ROCPRIM_400000_NS6detail17trampoline_kernelINS0_14default_configENS1_38merge_sort_block_merge_config_selectorIttEEZZNS1_27merge_sort_block_merge_implIS3_N6thrust23THRUST_200600_302600_NS6detail15normal_iteratorINS8_10device_ptrItEEEESD_jNS1_19radix_merge_compareILb0ELb1EtNS0_19identity_decomposerEEEEE10hipError_tT0_T1_T2_jT3_P12ihipStream_tbPNSt15iterator_traitsISI_E10value_typeEPNSO_ISJ_E10value_typeEPSK_NS1_7vsmem_tEENKUlT_SI_SJ_SK_E_clISD_PtSD_S10_EESH_SX_SI_SJ_SK_EUlSX_E0_NS1_11comp_targetILNS1_3genE10ELNS1_11target_archE1201ELNS1_3gpuE5ELNS1_3repE0EEENS1_38merge_mergepath_config_static_selectorELNS0_4arch9wavefront6targetE1EEEvSJ_.has_recursion, 0
	.set _ZN7rocprim17ROCPRIM_400000_NS6detail17trampoline_kernelINS0_14default_configENS1_38merge_sort_block_merge_config_selectorIttEEZZNS1_27merge_sort_block_merge_implIS3_N6thrust23THRUST_200600_302600_NS6detail15normal_iteratorINS8_10device_ptrItEEEESD_jNS1_19radix_merge_compareILb0ELb1EtNS0_19identity_decomposerEEEEE10hipError_tT0_T1_T2_jT3_P12ihipStream_tbPNSt15iterator_traitsISI_E10value_typeEPNSO_ISJ_E10value_typeEPSK_NS1_7vsmem_tEENKUlT_SI_SJ_SK_E_clISD_PtSD_S10_EESH_SX_SI_SJ_SK_EUlSX_E0_NS1_11comp_targetILNS1_3genE10ELNS1_11target_archE1201ELNS1_3gpuE5ELNS1_3repE0EEENS1_38merge_mergepath_config_static_selectorELNS0_4arch9wavefront6targetE1EEEvSJ_.has_indirect_call, 0
	.section	.AMDGPU.csdata,"",@progbits
; Kernel info:
; codeLenInByte = 0
; TotalNumSgprs: 6
; NumVgprs: 0
; NumAgprs: 0
; TotalNumVgprs: 0
; ScratchSize: 0
; MemoryBound: 0
; FloatMode: 240
; IeeeMode: 1
; LDSByteSize: 0 bytes/workgroup (compile time only)
; SGPRBlocks: 0
; VGPRBlocks: 0
; NumSGPRsForWavesPerEU: 6
; NumVGPRsForWavesPerEU: 1
; AccumOffset: 4
; Occupancy: 8
; WaveLimiterHint : 0
; COMPUTE_PGM_RSRC2:SCRATCH_EN: 0
; COMPUTE_PGM_RSRC2:USER_SGPR: 2
; COMPUTE_PGM_RSRC2:TRAP_HANDLER: 0
; COMPUTE_PGM_RSRC2:TGID_X_EN: 1
; COMPUTE_PGM_RSRC2:TGID_Y_EN: 0
; COMPUTE_PGM_RSRC2:TGID_Z_EN: 0
; COMPUTE_PGM_RSRC2:TIDIG_COMP_CNT: 0
; COMPUTE_PGM_RSRC3_GFX90A:ACCUM_OFFSET: 0
; COMPUTE_PGM_RSRC3_GFX90A:TG_SPLIT: 0
	.section	.text._ZN7rocprim17ROCPRIM_400000_NS6detail17trampoline_kernelINS0_14default_configENS1_38merge_sort_block_merge_config_selectorIttEEZZNS1_27merge_sort_block_merge_implIS3_N6thrust23THRUST_200600_302600_NS6detail15normal_iteratorINS8_10device_ptrItEEEESD_jNS1_19radix_merge_compareILb0ELb1EtNS0_19identity_decomposerEEEEE10hipError_tT0_T1_T2_jT3_P12ihipStream_tbPNSt15iterator_traitsISI_E10value_typeEPNSO_ISJ_E10value_typeEPSK_NS1_7vsmem_tEENKUlT_SI_SJ_SK_E_clISD_PtSD_S10_EESH_SX_SI_SJ_SK_EUlSX_E0_NS1_11comp_targetILNS1_3genE5ELNS1_11target_archE942ELNS1_3gpuE9ELNS1_3repE0EEENS1_38merge_mergepath_config_static_selectorELNS0_4arch9wavefront6targetE1EEEvSJ_,"axG",@progbits,_ZN7rocprim17ROCPRIM_400000_NS6detail17trampoline_kernelINS0_14default_configENS1_38merge_sort_block_merge_config_selectorIttEEZZNS1_27merge_sort_block_merge_implIS3_N6thrust23THRUST_200600_302600_NS6detail15normal_iteratorINS8_10device_ptrItEEEESD_jNS1_19radix_merge_compareILb0ELb1EtNS0_19identity_decomposerEEEEE10hipError_tT0_T1_T2_jT3_P12ihipStream_tbPNSt15iterator_traitsISI_E10value_typeEPNSO_ISJ_E10value_typeEPSK_NS1_7vsmem_tEENKUlT_SI_SJ_SK_E_clISD_PtSD_S10_EESH_SX_SI_SJ_SK_EUlSX_E0_NS1_11comp_targetILNS1_3genE5ELNS1_11target_archE942ELNS1_3gpuE9ELNS1_3repE0EEENS1_38merge_mergepath_config_static_selectorELNS0_4arch9wavefront6targetE1EEEvSJ_,comdat
	.protected	_ZN7rocprim17ROCPRIM_400000_NS6detail17trampoline_kernelINS0_14default_configENS1_38merge_sort_block_merge_config_selectorIttEEZZNS1_27merge_sort_block_merge_implIS3_N6thrust23THRUST_200600_302600_NS6detail15normal_iteratorINS8_10device_ptrItEEEESD_jNS1_19radix_merge_compareILb0ELb1EtNS0_19identity_decomposerEEEEE10hipError_tT0_T1_T2_jT3_P12ihipStream_tbPNSt15iterator_traitsISI_E10value_typeEPNSO_ISJ_E10value_typeEPSK_NS1_7vsmem_tEENKUlT_SI_SJ_SK_E_clISD_PtSD_S10_EESH_SX_SI_SJ_SK_EUlSX_E0_NS1_11comp_targetILNS1_3genE5ELNS1_11target_archE942ELNS1_3gpuE9ELNS1_3repE0EEENS1_38merge_mergepath_config_static_selectorELNS0_4arch9wavefront6targetE1EEEvSJ_ ; -- Begin function _ZN7rocprim17ROCPRIM_400000_NS6detail17trampoline_kernelINS0_14default_configENS1_38merge_sort_block_merge_config_selectorIttEEZZNS1_27merge_sort_block_merge_implIS3_N6thrust23THRUST_200600_302600_NS6detail15normal_iteratorINS8_10device_ptrItEEEESD_jNS1_19radix_merge_compareILb0ELb1EtNS0_19identity_decomposerEEEEE10hipError_tT0_T1_T2_jT3_P12ihipStream_tbPNSt15iterator_traitsISI_E10value_typeEPNSO_ISJ_E10value_typeEPSK_NS1_7vsmem_tEENKUlT_SI_SJ_SK_E_clISD_PtSD_S10_EESH_SX_SI_SJ_SK_EUlSX_E0_NS1_11comp_targetILNS1_3genE5ELNS1_11target_archE942ELNS1_3gpuE9ELNS1_3repE0EEENS1_38merge_mergepath_config_static_selectorELNS0_4arch9wavefront6targetE1EEEvSJ_
	.globl	_ZN7rocprim17ROCPRIM_400000_NS6detail17trampoline_kernelINS0_14default_configENS1_38merge_sort_block_merge_config_selectorIttEEZZNS1_27merge_sort_block_merge_implIS3_N6thrust23THRUST_200600_302600_NS6detail15normal_iteratorINS8_10device_ptrItEEEESD_jNS1_19radix_merge_compareILb0ELb1EtNS0_19identity_decomposerEEEEE10hipError_tT0_T1_T2_jT3_P12ihipStream_tbPNSt15iterator_traitsISI_E10value_typeEPNSO_ISJ_E10value_typeEPSK_NS1_7vsmem_tEENKUlT_SI_SJ_SK_E_clISD_PtSD_S10_EESH_SX_SI_SJ_SK_EUlSX_E0_NS1_11comp_targetILNS1_3genE5ELNS1_11target_archE942ELNS1_3gpuE9ELNS1_3repE0EEENS1_38merge_mergepath_config_static_selectorELNS0_4arch9wavefront6targetE1EEEvSJ_
	.p2align	8
	.type	_ZN7rocprim17ROCPRIM_400000_NS6detail17trampoline_kernelINS0_14default_configENS1_38merge_sort_block_merge_config_selectorIttEEZZNS1_27merge_sort_block_merge_implIS3_N6thrust23THRUST_200600_302600_NS6detail15normal_iteratorINS8_10device_ptrItEEEESD_jNS1_19radix_merge_compareILb0ELb1EtNS0_19identity_decomposerEEEEE10hipError_tT0_T1_T2_jT3_P12ihipStream_tbPNSt15iterator_traitsISI_E10value_typeEPNSO_ISJ_E10value_typeEPSK_NS1_7vsmem_tEENKUlT_SI_SJ_SK_E_clISD_PtSD_S10_EESH_SX_SI_SJ_SK_EUlSX_E0_NS1_11comp_targetILNS1_3genE5ELNS1_11target_archE942ELNS1_3gpuE9ELNS1_3repE0EEENS1_38merge_mergepath_config_static_selectorELNS0_4arch9wavefront6targetE1EEEvSJ_,@function
_ZN7rocprim17ROCPRIM_400000_NS6detail17trampoline_kernelINS0_14default_configENS1_38merge_sort_block_merge_config_selectorIttEEZZNS1_27merge_sort_block_merge_implIS3_N6thrust23THRUST_200600_302600_NS6detail15normal_iteratorINS8_10device_ptrItEEEESD_jNS1_19radix_merge_compareILb0ELb1EtNS0_19identity_decomposerEEEEE10hipError_tT0_T1_T2_jT3_P12ihipStream_tbPNSt15iterator_traitsISI_E10value_typeEPNSO_ISJ_E10value_typeEPSK_NS1_7vsmem_tEENKUlT_SI_SJ_SK_E_clISD_PtSD_S10_EESH_SX_SI_SJ_SK_EUlSX_E0_NS1_11comp_targetILNS1_3genE5ELNS1_11target_archE942ELNS1_3gpuE9ELNS1_3repE0EEENS1_38merge_mergepath_config_static_selectorELNS0_4arch9wavefront6targetE1EEEvSJ_: ; @_ZN7rocprim17ROCPRIM_400000_NS6detail17trampoline_kernelINS0_14default_configENS1_38merge_sort_block_merge_config_selectorIttEEZZNS1_27merge_sort_block_merge_implIS3_N6thrust23THRUST_200600_302600_NS6detail15normal_iteratorINS8_10device_ptrItEEEESD_jNS1_19radix_merge_compareILb0ELb1EtNS0_19identity_decomposerEEEEE10hipError_tT0_T1_T2_jT3_P12ihipStream_tbPNSt15iterator_traitsISI_E10value_typeEPNSO_ISJ_E10value_typeEPSK_NS1_7vsmem_tEENKUlT_SI_SJ_SK_E_clISD_PtSD_S10_EESH_SX_SI_SJ_SK_EUlSX_E0_NS1_11comp_targetILNS1_3genE5ELNS1_11target_archE942ELNS1_3gpuE9ELNS1_3repE0EEENS1_38merge_mergepath_config_static_selectorELNS0_4arch9wavefront6targetE1EEEvSJ_
; %bb.0:
	.section	.rodata,"a",@progbits
	.p2align	6, 0x0
	.amdhsa_kernel _ZN7rocprim17ROCPRIM_400000_NS6detail17trampoline_kernelINS0_14default_configENS1_38merge_sort_block_merge_config_selectorIttEEZZNS1_27merge_sort_block_merge_implIS3_N6thrust23THRUST_200600_302600_NS6detail15normal_iteratorINS8_10device_ptrItEEEESD_jNS1_19radix_merge_compareILb0ELb1EtNS0_19identity_decomposerEEEEE10hipError_tT0_T1_T2_jT3_P12ihipStream_tbPNSt15iterator_traitsISI_E10value_typeEPNSO_ISJ_E10value_typeEPSK_NS1_7vsmem_tEENKUlT_SI_SJ_SK_E_clISD_PtSD_S10_EESH_SX_SI_SJ_SK_EUlSX_E0_NS1_11comp_targetILNS1_3genE5ELNS1_11target_archE942ELNS1_3gpuE9ELNS1_3repE0EEENS1_38merge_mergepath_config_static_selectorELNS0_4arch9wavefront6targetE1EEEvSJ_
		.amdhsa_group_segment_fixed_size 0
		.amdhsa_private_segment_fixed_size 0
		.amdhsa_kernarg_size 64
		.amdhsa_user_sgpr_count 2
		.amdhsa_user_sgpr_dispatch_ptr 0
		.amdhsa_user_sgpr_queue_ptr 0
		.amdhsa_user_sgpr_kernarg_segment_ptr 1
		.amdhsa_user_sgpr_dispatch_id 0
		.amdhsa_user_sgpr_kernarg_preload_length 0
		.amdhsa_user_sgpr_kernarg_preload_offset 0
		.amdhsa_user_sgpr_private_segment_size 0
		.amdhsa_uses_dynamic_stack 0
		.amdhsa_enable_private_segment 0
		.amdhsa_system_sgpr_workgroup_id_x 1
		.amdhsa_system_sgpr_workgroup_id_y 0
		.amdhsa_system_sgpr_workgroup_id_z 0
		.amdhsa_system_sgpr_workgroup_info 0
		.amdhsa_system_vgpr_workitem_id 0
		.amdhsa_next_free_vgpr 1
		.amdhsa_next_free_sgpr 0
		.amdhsa_accum_offset 4
		.amdhsa_reserve_vcc 0
		.amdhsa_float_round_mode_32 0
		.amdhsa_float_round_mode_16_64 0
		.amdhsa_float_denorm_mode_32 3
		.amdhsa_float_denorm_mode_16_64 3
		.amdhsa_dx10_clamp 1
		.amdhsa_ieee_mode 1
		.amdhsa_fp16_overflow 0
		.amdhsa_tg_split 0
		.amdhsa_exception_fp_ieee_invalid_op 0
		.amdhsa_exception_fp_denorm_src 0
		.amdhsa_exception_fp_ieee_div_zero 0
		.amdhsa_exception_fp_ieee_overflow 0
		.amdhsa_exception_fp_ieee_underflow 0
		.amdhsa_exception_fp_ieee_inexact 0
		.amdhsa_exception_int_div_zero 0
	.end_amdhsa_kernel
	.section	.text._ZN7rocprim17ROCPRIM_400000_NS6detail17trampoline_kernelINS0_14default_configENS1_38merge_sort_block_merge_config_selectorIttEEZZNS1_27merge_sort_block_merge_implIS3_N6thrust23THRUST_200600_302600_NS6detail15normal_iteratorINS8_10device_ptrItEEEESD_jNS1_19radix_merge_compareILb0ELb1EtNS0_19identity_decomposerEEEEE10hipError_tT0_T1_T2_jT3_P12ihipStream_tbPNSt15iterator_traitsISI_E10value_typeEPNSO_ISJ_E10value_typeEPSK_NS1_7vsmem_tEENKUlT_SI_SJ_SK_E_clISD_PtSD_S10_EESH_SX_SI_SJ_SK_EUlSX_E0_NS1_11comp_targetILNS1_3genE5ELNS1_11target_archE942ELNS1_3gpuE9ELNS1_3repE0EEENS1_38merge_mergepath_config_static_selectorELNS0_4arch9wavefront6targetE1EEEvSJ_,"axG",@progbits,_ZN7rocprim17ROCPRIM_400000_NS6detail17trampoline_kernelINS0_14default_configENS1_38merge_sort_block_merge_config_selectorIttEEZZNS1_27merge_sort_block_merge_implIS3_N6thrust23THRUST_200600_302600_NS6detail15normal_iteratorINS8_10device_ptrItEEEESD_jNS1_19radix_merge_compareILb0ELb1EtNS0_19identity_decomposerEEEEE10hipError_tT0_T1_T2_jT3_P12ihipStream_tbPNSt15iterator_traitsISI_E10value_typeEPNSO_ISJ_E10value_typeEPSK_NS1_7vsmem_tEENKUlT_SI_SJ_SK_E_clISD_PtSD_S10_EESH_SX_SI_SJ_SK_EUlSX_E0_NS1_11comp_targetILNS1_3genE5ELNS1_11target_archE942ELNS1_3gpuE9ELNS1_3repE0EEENS1_38merge_mergepath_config_static_selectorELNS0_4arch9wavefront6targetE1EEEvSJ_,comdat
.Lfunc_end933:
	.size	_ZN7rocprim17ROCPRIM_400000_NS6detail17trampoline_kernelINS0_14default_configENS1_38merge_sort_block_merge_config_selectorIttEEZZNS1_27merge_sort_block_merge_implIS3_N6thrust23THRUST_200600_302600_NS6detail15normal_iteratorINS8_10device_ptrItEEEESD_jNS1_19radix_merge_compareILb0ELb1EtNS0_19identity_decomposerEEEEE10hipError_tT0_T1_T2_jT3_P12ihipStream_tbPNSt15iterator_traitsISI_E10value_typeEPNSO_ISJ_E10value_typeEPSK_NS1_7vsmem_tEENKUlT_SI_SJ_SK_E_clISD_PtSD_S10_EESH_SX_SI_SJ_SK_EUlSX_E0_NS1_11comp_targetILNS1_3genE5ELNS1_11target_archE942ELNS1_3gpuE9ELNS1_3repE0EEENS1_38merge_mergepath_config_static_selectorELNS0_4arch9wavefront6targetE1EEEvSJ_, .Lfunc_end933-_ZN7rocprim17ROCPRIM_400000_NS6detail17trampoline_kernelINS0_14default_configENS1_38merge_sort_block_merge_config_selectorIttEEZZNS1_27merge_sort_block_merge_implIS3_N6thrust23THRUST_200600_302600_NS6detail15normal_iteratorINS8_10device_ptrItEEEESD_jNS1_19radix_merge_compareILb0ELb1EtNS0_19identity_decomposerEEEEE10hipError_tT0_T1_T2_jT3_P12ihipStream_tbPNSt15iterator_traitsISI_E10value_typeEPNSO_ISJ_E10value_typeEPSK_NS1_7vsmem_tEENKUlT_SI_SJ_SK_E_clISD_PtSD_S10_EESH_SX_SI_SJ_SK_EUlSX_E0_NS1_11comp_targetILNS1_3genE5ELNS1_11target_archE942ELNS1_3gpuE9ELNS1_3repE0EEENS1_38merge_mergepath_config_static_selectorELNS0_4arch9wavefront6targetE1EEEvSJ_
                                        ; -- End function
	.set _ZN7rocprim17ROCPRIM_400000_NS6detail17trampoline_kernelINS0_14default_configENS1_38merge_sort_block_merge_config_selectorIttEEZZNS1_27merge_sort_block_merge_implIS3_N6thrust23THRUST_200600_302600_NS6detail15normal_iteratorINS8_10device_ptrItEEEESD_jNS1_19radix_merge_compareILb0ELb1EtNS0_19identity_decomposerEEEEE10hipError_tT0_T1_T2_jT3_P12ihipStream_tbPNSt15iterator_traitsISI_E10value_typeEPNSO_ISJ_E10value_typeEPSK_NS1_7vsmem_tEENKUlT_SI_SJ_SK_E_clISD_PtSD_S10_EESH_SX_SI_SJ_SK_EUlSX_E0_NS1_11comp_targetILNS1_3genE5ELNS1_11target_archE942ELNS1_3gpuE9ELNS1_3repE0EEENS1_38merge_mergepath_config_static_selectorELNS0_4arch9wavefront6targetE1EEEvSJ_.num_vgpr, 0
	.set _ZN7rocprim17ROCPRIM_400000_NS6detail17trampoline_kernelINS0_14default_configENS1_38merge_sort_block_merge_config_selectorIttEEZZNS1_27merge_sort_block_merge_implIS3_N6thrust23THRUST_200600_302600_NS6detail15normal_iteratorINS8_10device_ptrItEEEESD_jNS1_19radix_merge_compareILb0ELb1EtNS0_19identity_decomposerEEEEE10hipError_tT0_T1_T2_jT3_P12ihipStream_tbPNSt15iterator_traitsISI_E10value_typeEPNSO_ISJ_E10value_typeEPSK_NS1_7vsmem_tEENKUlT_SI_SJ_SK_E_clISD_PtSD_S10_EESH_SX_SI_SJ_SK_EUlSX_E0_NS1_11comp_targetILNS1_3genE5ELNS1_11target_archE942ELNS1_3gpuE9ELNS1_3repE0EEENS1_38merge_mergepath_config_static_selectorELNS0_4arch9wavefront6targetE1EEEvSJ_.num_agpr, 0
	.set _ZN7rocprim17ROCPRIM_400000_NS6detail17trampoline_kernelINS0_14default_configENS1_38merge_sort_block_merge_config_selectorIttEEZZNS1_27merge_sort_block_merge_implIS3_N6thrust23THRUST_200600_302600_NS6detail15normal_iteratorINS8_10device_ptrItEEEESD_jNS1_19radix_merge_compareILb0ELb1EtNS0_19identity_decomposerEEEEE10hipError_tT0_T1_T2_jT3_P12ihipStream_tbPNSt15iterator_traitsISI_E10value_typeEPNSO_ISJ_E10value_typeEPSK_NS1_7vsmem_tEENKUlT_SI_SJ_SK_E_clISD_PtSD_S10_EESH_SX_SI_SJ_SK_EUlSX_E0_NS1_11comp_targetILNS1_3genE5ELNS1_11target_archE942ELNS1_3gpuE9ELNS1_3repE0EEENS1_38merge_mergepath_config_static_selectorELNS0_4arch9wavefront6targetE1EEEvSJ_.numbered_sgpr, 0
	.set _ZN7rocprim17ROCPRIM_400000_NS6detail17trampoline_kernelINS0_14default_configENS1_38merge_sort_block_merge_config_selectorIttEEZZNS1_27merge_sort_block_merge_implIS3_N6thrust23THRUST_200600_302600_NS6detail15normal_iteratorINS8_10device_ptrItEEEESD_jNS1_19radix_merge_compareILb0ELb1EtNS0_19identity_decomposerEEEEE10hipError_tT0_T1_T2_jT3_P12ihipStream_tbPNSt15iterator_traitsISI_E10value_typeEPNSO_ISJ_E10value_typeEPSK_NS1_7vsmem_tEENKUlT_SI_SJ_SK_E_clISD_PtSD_S10_EESH_SX_SI_SJ_SK_EUlSX_E0_NS1_11comp_targetILNS1_3genE5ELNS1_11target_archE942ELNS1_3gpuE9ELNS1_3repE0EEENS1_38merge_mergepath_config_static_selectorELNS0_4arch9wavefront6targetE1EEEvSJ_.num_named_barrier, 0
	.set _ZN7rocprim17ROCPRIM_400000_NS6detail17trampoline_kernelINS0_14default_configENS1_38merge_sort_block_merge_config_selectorIttEEZZNS1_27merge_sort_block_merge_implIS3_N6thrust23THRUST_200600_302600_NS6detail15normal_iteratorINS8_10device_ptrItEEEESD_jNS1_19radix_merge_compareILb0ELb1EtNS0_19identity_decomposerEEEEE10hipError_tT0_T1_T2_jT3_P12ihipStream_tbPNSt15iterator_traitsISI_E10value_typeEPNSO_ISJ_E10value_typeEPSK_NS1_7vsmem_tEENKUlT_SI_SJ_SK_E_clISD_PtSD_S10_EESH_SX_SI_SJ_SK_EUlSX_E0_NS1_11comp_targetILNS1_3genE5ELNS1_11target_archE942ELNS1_3gpuE9ELNS1_3repE0EEENS1_38merge_mergepath_config_static_selectorELNS0_4arch9wavefront6targetE1EEEvSJ_.private_seg_size, 0
	.set _ZN7rocprim17ROCPRIM_400000_NS6detail17trampoline_kernelINS0_14default_configENS1_38merge_sort_block_merge_config_selectorIttEEZZNS1_27merge_sort_block_merge_implIS3_N6thrust23THRUST_200600_302600_NS6detail15normal_iteratorINS8_10device_ptrItEEEESD_jNS1_19radix_merge_compareILb0ELb1EtNS0_19identity_decomposerEEEEE10hipError_tT0_T1_T2_jT3_P12ihipStream_tbPNSt15iterator_traitsISI_E10value_typeEPNSO_ISJ_E10value_typeEPSK_NS1_7vsmem_tEENKUlT_SI_SJ_SK_E_clISD_PtSD_S10_EESH_SX_SI_SJ_SK_EUlSX_E0_NS1_11comp_targetILNS1_3genE5ELNS1_11target_archE942ELNS1_3gpuE9ELNS1_3repE0EEENS1_38merge_mergepath_config_static_selectorELNS0_4arch9wavefront6targetE1EEEvSJ_.uses_vcc, 0
	.set _ZN7rocprim17ROCPRIM_400000_NS6detail17trampoline_kernelINS0_14default_configENS1_38merge_sort_block_merge_config_selectorIttEEZZNS1_27merge_sort_block_merge_implIS3_N6thrust23THRUST_200600_302600_NS6detail15normal_iteratorINS8_10device_ptrItEEEESD_jNS1_19radix_merge_compareILb0ELb1EtNS0_19identity_decomposerEEEEE10hipError_tT0_T1_T2_jT3_P12ihipStream_tbPNSt15iterator_traitsISI_E10value_typeEPNSO_ISJ_E10value_typeEPSK_NS1_7vsmem_tEENKUlT_SI_SJ_SK_E_clISD_PtSD_S10_EESH_SX_SI_SJ_SK_EUlSX_E0_NS1_11comp_targetILNS1_3genE5ELNS1_11target_archE942ELNS1_3gpuE9ELNS1_3repE0EEENS1_38merge_mergepath_config_static_selectorELNS0_4arch9wavefront6targetE1EEEvSJ_.uses_flat_scratch, 0
	.set _ZN7rocprim17ROCPRIM_400000_NS6detail17trampoline_kernelINS0_14default_configENS1_38merge_sort_block_merge_config_selectorIttEEZZNS1_27merge_sort_block_merge_implIS3_N6thrust23THRUST_200600_302600_NS6detail15normal_iteratorINS8_10device_ptrItEEEESD_jNS1_19radix_merge_compareILb0ELb1EtNS0_19identity_decomposerEEEEE10hipError_tT0_T1_T2_jT3_P12ihipStream_tbPNSt15iterator_traitsISI_E10value_typeEPNSO_ISJ_E10value_typeEPSK_NS1_7vsmem_tEENKUlT_SI_SJ_SK_E_clISD_PtSD_S10_EESH_SX_SI_SJ_SK_EUlSX_E0_NS1_11comp_targetILNS1_3genE5ELNS1_11target_archE942ELNS1_3gpuE9ELNS1_3repE0EEENS1_38merge_mergepath_config_static_selectorELNS0_4arch9wavefront6targetE1EEEvSJ_.has_dyn_sized_stack, 0
	.set _ZN7rocprim17ROCPRIM_400000_NS6detail17trampoline_kernelINS0_14default_configENS1_38merge_sort_block_merge_config_selectorIttEEZZNS1_27merge_sort_block_merge_implIS3_N6thrust23THRUST_200600_302600_NS6detail15normal_iteratorINS8_10device_ptrItEEEESD_jNS1_19radix_merge_compareILb0ELb1EtNS0_19identity_decomposerEEEEE10hipError_tT0_T1_T2_jT3_P12ihipStream_tbPNSt15iterator_traitsISI_E10value_typeEPNSO_ISJ_E10value_typeEPSK_NS1_7vsmem_tEENKUlT_SI_SJ_SK_E_clISD_PtSD_S10_EESH_SX_SI_SJ_SK_EUlSX_E0_NS1_11comp_targetILNS1_3genE5ELNS1_11target_archE942ELNS1_3gpuE9ELNS1_3repE0EEENS1_38merge_mergepath_config_static_selectorELNS0_4arch9wavefront6targetE1EEEvSJ_.has_recursion, 0
	.set _ZN7rocprim17ROCPRIM_400000_NS6detail17trampoline_kernelINS0_14default_configENS1_38merge_sort_block_merge_config_selectorIttEEZZNS1_27merge_sort_block_merge_implIS3_N6thrust23THRUST_200600_302600_NS6detail15normal_iteratorINS8_10device_ptrItEEEESD_jNS1_19radix_merge_compareILb0ELb1EtNS0_19identity_decomposerEEEEE10hipError_tT0_T1_T2_jT3_P12ihipStream_tbPNSt15iterator_traitsISI_E10value_typeEPNSO_ISJ_E10value_typeEPSK_NS1_7vsmem_tEENKUlT_SI_SJ_SK_E_clISD_PtSD_S10_EESH_SX_SI_SJ_SK_EUlSX_E0_NS1_11comp_targetILNS1_3genE5ELNS1_11target_archE942ELNS1_3gpuE9ELNS1_3repE0EEENS1_38merge_mergepath_config_static_selectorELNS0_4arch9wavefront6targetE1EEEvSJ_.has_indirect_call, 0
	.section	.AMDGPU.csdata,"",@progbits
; Kernel info:
; codeLenInByte = 0
; TotalNumSgprs: 6
; NumVgprs: 0
; NumAgprs: 0
; TotalNumVgprs: 0
; ScratchSize: 0
; MemoryBound: 0
; FloatMode: 240
; IeeeMode: 1
; LDSByteSize: 0 bytes/workgroup (compile time only)
; SGPRBlocks: 0
; VGPRBlocks: 0
; NumSGPRsForWavesPerEU: 6
; NumVGPRsForWavesPerEU: 1
; AccumOffset: 4
; Occupancy: 8
; WaveLimiterHint : 0
; COMPUTE_PGM_RSRC2:SCRATCH_EN: 0
; COMPUTE_PGM_RSRC2:USER_SGPR: 2
; COMPUTE_PGM_RSRC2:TRAP_HANDLER: 0
; COMPUTE_PGM_RSRC2:TGID_X_EN: 1
; COMPUTE_PGM_RSRC2:TGID_Y_EN: 0
; COMPUTE_PGM_RSRC2:TGID_Z_EN: 0
; COMPUTE_PGM_RSRC2:TIDIG_COMP_CNT: 0
; COMPUTE_PGM_RSRC3_GFX90A:ACCUM_OFFSET: 0
; COMPUTE_PGM_RSRC3_GFX90A:TG_SPLIT: 0
	.section	.text._ZN7rocprim17ROCPRIM_400000_NS6detail17trampoline_kernelINS0_14default_configENS1_38merge_sort_block_merge_config_selectorIttEEZZNS1_27merge_sort_block_merge_implIS3_N6thrust23THRUST_200600_302600_NS6detail15normal_iteratorINS8_10device_ptrItEEEESD_jNS1_19radix_merge_compareILb0ELb1EtNS0_19identity_decomposerEEEEE10hipError_tT0_T1_T2_jT3_P12ihipStream_tbPNSt15iterator_traitsISI_E10value_typeEPNSO_ISJ_E10value_typeEPSK_NS1_7vsmem_tEENKUlT_SI_SJ_SK_E_clISD_PtSD_S10_EESH_SX_SI_SJ_SK_EUlSX_E0_NS1_11comp_targetILNS1_3genE4ELNS1_11target_archE910ELNS1_3gpuE8ELNS1_3repE0EEENS1_38merge_mergepath_config_static_selectorELNS0_4arch9wavefront6targetE1EEEvSJ_,"axG",@progbits,_ZN7rocprim17ROCPRIM_400000_NS6detail17trampoline_kernelINS0_14default_configENS1_38merge_sort_block_merge_config_selectorIttEEZZNS1_27merge_sort_block_merge_implIS3_N6thrust23THRUST_200600_302600_NS6detail15normal_iteratorINS8_10device_ptrItEEEESD_jNS1_19radix_merge_compareILb0ELb1EtNS0_19identity_decomposerEEEEE10hipError_tT0_T1_T2_jT3_P12ihipStream_tbPNSt15iterator_traitsISI_E10value_typeEPNSO_ISJ_E10value_typeEPSK_NS1_7vsmem_tEENKUlT_SI_SJ_SK_E_clISD_PtSD_S10_EESH_SX_SI_SJ_SK_EUlSX_E0_NS1_11comp_targetILNS1_3genE4ELNS1_11target_archE910ELNS1_3gpuE8ELNS1_3repE0EEENS1_38merge_mergepath_config_static_selectorELNS0_4arch9wavefront6targetE1EEEvSJ_,comdat
	.protected	_ZN7rocprim17ROCPRIM_400000_NS6detail17trampoline_kernelINS0_14default_configENS1_38merge_sort_block_merge_config_selectorIttEEZZNS1_27merge_sort_block_merge_implIS3_N6thrust23THRUST_200600_302600_NS6detail15normal_iteratorINS8_10device_ptrItEEEESD_jNS1_19radix_merge_compareILb0ELb1EtNS0_19identity_decomposerEEEEE10hipError_tT0_T1_T2_jT3_P12ihipStream_tbPNSt15iterator_traitsISI_E10value_typeEPNSO_ISJ_E10value_typeEPSK_NS1_7vsmem_tEENKUlT_SI_SJ_SK_E_clISD_PtSD_S10_EESH_SX_SI_SJ_SK_EUlSX_E0_NS1_11comp_targetILNS1_3genE4ELNS1_11target_archE910ELNS1_3gpuE8ELNS1_3repE0EEENS1_38merge_mergepath_config_static_selectorELNS0_4arch9wavefront6targetE1EEEvSJ_ ; -- Begin function _ZN7rocprim17ROCPRIM_400000_NS6detail17trampoline_kernelINS0_14default_configENS1_38merge_sort_block_merge_config_selectorIttEEZZNS1_27merge_sort_block_merge_implIS3_N6thrust23THRUST_200600_302600_NS6detail15normal_iteratorINS8_10device_ptrItEEEESD_jNS1_19radix_merge_compareILb0ELb1EtNS0_19identity_decomposerEEEEE10hipError_tT0_T1_T2_jT3_P12ihipStream_tbPNSt15iterator_traitsISI_E10value_typeEPNSO_ISJ_E10value_typeEPSK_NS1_7vsmem_tEENKUlT_SI_SJ_SK_E_clISD_PtSD_S10_EESH_SX_SI_SJ_SK_EUlSX_E0_NS1_11comp_targetILNS1_3genE4ELNS1_11target_archE910ELNS1_3gpuE8ELNS1_3repE0EEENS1_38merge_mergepath_config_static_selectorELNS0_4arch9wavefront6targetE1EEEvSJ_
	.globl	_ZN7rocprim17ROCPRIM_400000_NS6detail17trampoline_kernelINS0_14default_configENS1_38merge_sort_block_merge_config_selectorIttEEZZNS1_27merge_sort_block_merge_implIS3_N6thrust23THRUST_200600_302600_NS6detail15normal_iteratorINS8_10device_ptrItEEEESD_jNS1_19radix_merge_compareILb0ELb1EtNS0_19identity_decomposerEEEEE10hipError_tT0_T1_T2_jT3_P12ihipStream_tbPNSt15iterator_traitsISI_E10value_typeEPNSO_ISJ_E10value_typeEPSK_NS1_7vsmem_tEENKUlT_SI_SJ_SK_E_clISD_PtSD_S10_EESH_SX_SI_SJ_SK_EUlSX_E0_NS1_11comp_targetILNS1_3genE4ELNS1_11target_archE910ELNS1_3gpuE8ELNS1_3repE0EEENS1_38merge_mergepath_config_static_selectorELNS0_4arch9wavefront6targetE1EEEvSJ_
	.p2align	8
	.type	_ZN7rocprim17ROCPRIM_400000_NS6detail17trampoline_kernelINS0_14default_configENS1_38merge_sort_block_merge_config_selectorIttEEZZNS1_27merge_sort_block_merge_implIS3_N6thrust23THRUST_200600_302600_NS6detail15normal_iteratorINS8_10device_ptrItEEEESD_jNS1_19radix_merge_compareILb0ELb1EtNS0_19identity_decomposerEEEEE10hipError_tT0_T1_T2_jT3_P12ihipStream_tbPNSt15iterator_traitsISI_E10value_typeEPNSO_ISJ_E10value_typeEPSK_NS1_7vsmem_tEENKUlT_SI_SJ_SK_E_clISD_PtSD_S10_EESH_SX_SI_SJ_SK_EUlSX_E0_NS1_11comp_targetILNS1_3genE4ELNS1_11target_archE910ELNS1_3gpuE8ELNS1_3repE0EEENS1_38merge_mergepath_config_static_selectorELNS0_4arch9wavefront6targetE1EEEvSJ_,@function
_ZN7rocprim17ROCPRIM_400000_NS6detail17trampoline_kernelINS0_14default_configENS1_38merge_sort_block_merge_config_selectorIttEEZZNS1_27merge_sort_block_merge_implIS3_N6thrust23THRUST_200600_302600_NS6detail15normal_iteratorINS8_10device_ptrItEEEESD_jNS1_19radix_merge_compareILb0ELb1EtNS0_19identity_decomposerEEEEE10hipError_tT0_T1_T2_jT3_P12ihipStream_tbPNSt15iterator_traitsISI_E10value_typeEPNSO_ISJ_E10value_typeEPSK_NS1_7vsmem_tEENKUlT_SI_SJ_SK_E_clISD_PtSD_S10_EESH_SX_SI_SJ_SK_EUlSX_E0_NS1_11comp_targetILNS1_3genE4ELNS1_11target_archE910ELNS1_3gpuE8ELNS1_3repE0EEENS1_38merge_mergepath_config_static_selectorELNS0_4arch9wavefront6targetE1EEEvSJ_: ; @_ZN7rocprim17ROCPRIM_400000_NS6detail17trampoline_kernelINS0_14default_configENS1_38merge_sort_block_merge_config_selectorIttEEZZNS1_27merge_sort_block_merge_implIS3_N6thrust23THRUST_200600_302600_NS6detail15normal_iteratorINS8_10device_ptrItEEEESD_jNS1_19radix_merge_compareILb0ELb1EtNS0_19identity_decomposerEEEEE10hipError_tT0_T1_T2_jT3_P12ihipStream_tbPNSt15iterator_traitsISI_E10value_typeEPNSO_ISJ_E10value_typeEPSK_NS1_7vsmem_tEENKUlT_SI_SJ_SK_E_clISD_PtSD_S10_EESH_SX_SI_SJ_SK_EUlSX_E0_NS1_11comp_targetILNS1_3genE4ELNS1_11target_archE910ELNS1_3gpuE8ELNS1_3repE0EEENS1_38merge_mergepath_config_static_selectorELNS0_4arch9wavefront6targetE1EEEvSJ_
; %bb.0:
	.section	.rodata,"a",@progbits
	.p2align	6, 0x0
	.amdhsa_kernel _ZN7rocprim17ROCPRIM_400000_NS6detail17trampoline_kernelINS0_14default_configENS1_38merge_sort_block_merge_config_selectorIttEEZZNS1_27merge_sort_block_merge_implIS3_N6thrust23THRUST_200600_302600_NS6detail15normal_iteratorINS8_10device_ptrItEEEESD_jNS1_19radix_merge_compareILb0ELb1EtNS0_19identity_decomposerEEEEE10hipError_tT0_T1_T2_jT3_P12ihipStream_tbPNSt15iterator_traitsISI_E10value_typeEPNSO_ISJ_E10value_typeEPSK_NS1_7vsmem_tEENKUlT_SI_SJ_SK_E_clISD_PtSD_S10_EESH_SX_SI_SJ_SK_EUlSX_E0_NS1_11comp_targetILNS1_3genE4ELNS1_11target_archE910ELNS1_3gpuE8ELNS1_3repE0EEENS1_38merge_mergepath_config_static_selectorELNS0_4arch9wavefront6targetE1EEEvSJ_
		.amdhsa_group_segment_fixed_size 0
		.amdhsa_private_segment_fixed_size 0
		.amdhsa_kernarg_size 64
		.amdhsa_user_sgpr_count 2
		.amdhsa_user_sgpr_dispatch_ptr 0
		.amdhsa_user_sgpr_queue_ptr 0
		.amdhsa_user_sgpr_kernarg_segment_ptr 1
		.amdhsa_user_sgpr_dispatch_id 0
		.amdhsa_user_sgpr_kernarg_preload_length 0
		.amdhsa_user_sgpr_kernarg_preload_offset 0
		.amdhsa_user_sgpr_private_segment_size 0
		.amdhsa_uses_dynamic_stack 0
		.amdhsa_enable_private_segment 0
		.amdhsa_system_sgpr_workgroup_id_x 1
		.amdhsa_system_sgpr_workgroup_id_y 0
		.amdhsa_system_sgpr_workgroup_id_z 0
		.amdhsa_system_sgpr_workgroup_info 0
		.amdhsa_system_vgpr_workitem_id 0
		.amdhsa_next_free_vgpr 1
		.amdhsa_next_free_sgpr 0
		.amdhsa_accum_offset 4
		.amdhsa_reserve_vcc 0
		.amdhsa_float_round_mode_32 0
		.amdhsa_float_round_mode_16_64 0
		.amdhsa_float_denorm_mode_32 3
		.amdhsa_float_denorm_mode_16_64 3
		.amdhsa_dx10_clamp 1
		.amdhsa_ieee_mode 1
		.amdhsa_fp16_overflow 0
		.amdhsa_tg_split 0
		.amdhsa_exception_fp_ieee_invalid_op 0
		.amdhsa_exception_fp_denorm_src 0
		.amdhsa_exception_fp_ieee_div_zero 0
		.amdhsa_exception_fp_ieee_overflow 0
		.amdhsa_exception_fp_ieee_underflow 0
		.amdhsa_exception_fp_ieee_inexact 0
		.amdhsa_exception_int_div_zero 0
	.end_amdhsa_kernel
	.section	.text._ZN7rocprim17ROCPRIM_400000_NS6detail17trampoline_kernelINS0_14default_configENS1_38merge_sort_block_merge_config_selectorIttEEZZNS1_27merge_sort_block_merge_implIS3_N6thrust23THRUST_200600_302600_NS6detail15normal_iteratorINS8_10device_ptrItEEEESD_jNS1_19radix_merge_compareILb0ELb1EtNS0_19identity_decomposerEEEEE10hipError_tT0_T1_T2_jT3_P12ihipStream_tbPNSt15iterator_traitsISI_E10value_typeEPNSO_ISJ_E10value_typeEPSK_NS1_7vsmem_tEENKUlT_SI_SJ_SK_E_clISD_PtSD_S10_EESH_SX_SI_SJ_SK_EUlSX_E0_NS1_11comp_targetILNS1_3genE4ELNS1_11target_archE910ELNS1_3gpuE8ELNS1_3repE0EEENS1_38merge_mergepath_config_static_selectorELNS0_4arch9wavefront6targetE1EEEvSJ_,"axG",@progbits,_ZN7rocprim17ROCPRIM_400000_NS6detail17trampoline_kernelINS0_14default_configENS1_38merge_sort_block_merge_config_selectorIttEEZZNS1_27merge_sort_block_merge_implIS3_N6thrust23THRUST_200600_302600_NS6detail15normal_iteratorINS8_10device_ptrItEEEESD_jNS1_19radix_merge_compareILb0ELb1EtNS0_19identity_decomposerEEEEE10hipError_tT0_T1_T2_jT3_P12ihipStream_tbPNSt15iterator_traitsISI_E10value_typeEPNSO_ISJ_E10value_typeEPSK_NS1_7vsmem_tEENKUlT_SI_SJ_SK_E_clISD_PtSD_S10_EESH_SX_SI_SJ_SK_EUlSX_E0_NS1_11comp_targetILNS1_3genE4ELNS1_11target_archE910ELNS1_3gpuE8ELNS1_3repE0EEENS1_38merge_mergepath_config_static_selectorELNS0_4arch9wavefront6targetE1EEEvSJ_,comdat
.Lfunc_end934:
	.size	_ZN7rocprim17ROCPRIM_400000_NS6detail17trampoline_kernelINS0_14default_configENS1_38merge_sort_block_merge_config_selectorIttEEZZNS1_27merge_sort_block_merge_implIS3_N6thrust23THRUST_200600_302600_NS6detail15normal_iteratorINS8_10device_ptrItEEEESD_jNS1_19radix_merge_compareILb0ELb1EtNS0_19identity_decomposerEEEEE10hipError_tT0_T1_T2_jT3_P12ihipStream_tbPNSt15iterator_traitsISI_E10value_typeEPNSO_ISJ_E10value_typeEPSK_NS1_7vsmem_tEENKUlT_SI_SJ_SK_E_clISD_PtSD_S10_EESH_SX_SI_SJ_SK_EUlSX_E0_NS1_11comp_targetILNS1_3genE4ELNS1_11target_archE910ELNS1_3gpuE8ELNS1_3repE0EEENS1_38merge_mergepath_config_static_selectorELNS0_4arch9wavefront6targetE1EEEvSJ_, .Lfunc_end934-_ZN7rocprim17ROCPRIM_400000_NS6detail17trampoline_kernelINS0_14default_configENS1_38merge_sort_block_merge_config_selectorIttEEZZNS1_27merge_sort_block_merge_implIS3_N6thrust23THRUST_200600_302600_NS6detail15normal_iteratorINS8_10device_ptrItEEEESD_jNS1_19radix_merge_compareILb0ELb1EtNS0_19identity_decomposerEEEEE10hipError_tT0_T1_T2_jT3_P12ihipStream_tbPNSt15iterator_traitsISI_E10value_typeEPNSO_ISJ_E10value_typeEPSK_NS1_7vsmem_tEENKUlT_SI_SJ_SK_E_clISD_PtSD_S10_EESH_SX_SI_SJ_SK_EUlSX_E0_NS1_11comp_targetILNS1_3genE4ELNS1_11target_archE910ELNS1_3gpuE8ELNS1_3repE0EEENS1_38merge_mergepath_config_static_selectorELNS0_4arch9wavefront6targetE1EEEvSJ_
                                        ; -- End function
	.set _ZN7rocprim17ROCPRIM_400000_NS6detail17trampoline_kernelINS0_14default_configENS1_38merge_sort_block_merge_config_selectorIttEEZZNS1_27merge_sort_block_merge_implIS3_N6thrust23THRUST_200600_302600_NS6detail15normal_iteratorINS8_10device_ptrItEEEESD_jNS1_19radix_merge_compareILb0ELb1EtNS0_19identity_decomposerEEEEE10hipError_tT0_T1_T2_jT3_P12ihipStream_tbPNSt15iterator_traitsISI_E10value_typeEPNSO_ISJ_E10value_typeEPSK_NS1_7vsmem_tEENKUlT_SI_SJ_SK_E_clISD_PtSD_S10_EESH_SX_SI_SJ_SK_EUlSX_E0_NS1_11comp_targetILNS1_3genE4ELNS1_11target_archE910ELNS1_3gpuE8ELNS1_3repE0EEENS1_38merge_mergepath_config_static_selectorELNS0_4arch9wavefront6targetE1EEEvSJ_.num_vgpr, 0
	.set _ZN7rocprim17ROCPRIM_400000_NS6detail17trampoline_kernelINS0_14default_configENS1_38merge_sort_block_merge_config_selectorIttEEZZNS1_27merge_sort_block_merge_implIS3_N6thrust23THRUST_200600_302600_NS6detail15normal_iteratorINS8_10device_ptrItEEEESD_jNS1_19radix_merge_compareILb0ELb1EtNS0_19identity_decomposerEEEEE10hipError_tT0_T1_T2_jT3_P12ihipStream_tbPNSt15iterator_traitsISI_E10value_typeEPNSO_ISJ_E10value_typeEPSK_NS1_7vsmem_tEENKUlT_SI_SJ_SK_E_clISD_PtSD_S10_EESH_SX_SI_SJ_SK_EUlSX_E0_NS1_11comp_targetILNS1_3genE4ELNS1_11target_archE910ELNS1_3gpuE8ELNS1_3repE0EEENS1_38merge_mergepath_config_static_selectorELNS0_4arch9wavefront6targetE1EEEvSJ_.num_agpr, 0
	.set _ZN7rocprim17ROCPRIM_400000_NS6detail17trampoline_kernelINS0_14default_configENS1_38merge_sort_block_merge_config_selectorIttEEZZNS1_27merge_sort_block_merge_implIS3_N6thrust23THRUST_200600_302600_NS6detail15normal_iteratorINS8_10device_ptrItEEEESD_jNS1_19radix_merge_compareILb0ELb1EtNS0_19identity_decomposerEEEEE10hipError_tT0_T1_T2_jT3_P12ihipStream_tbPNSt15iterator_traitsISI_E10value_typeEPNSO_ISJ_E10value_typeEPSK_NS1_7vsmem_tEENKUlT_SI_SJ_SK_E_clISD_PtSD_S10_EESH_SX_SI_SJ_SK_EUlSX_E0_NS1_11comp_targetILNS1_3genE4ELNS1_11target_archE910ELNS1_3gpuE8ELNS1_3repE0EEENS1_38merge_mergepath_config_static_selectorELNS0_4arch9wavefront6targetE1EEEvSJ_.numbered_sgpr, 0
	.set _ZN7rocprim17ROCPRIM_400000_NS6detail17trampoline_kernelINS0_14default_configENS1_38merge_sort_block_merge_config_selectorIttEEZZNS1_27merge_sort_block_merge_implIS3_N6thrust23THRUST_200600_302600_NS6detail15normal_iteratorINS8_10device_ptrItEEEESD_jNS1_19radix_merge_compareILb0ELb1EtNS0_19identity_decomposerEEEEE10hipError_tT0_T1_T2_jT3_P12ihipStream_tbPNSt15iterator_traitsISI_E10value_typeEPNSO_ISJ_E10value_typeEPSK_NS1_7vsmem_tEENKUlT_SI_SJ_SK_E_clISD_PtSD_S10_EESH_SX_SI_SJ_SK_EUlSX_E0_NS1_11comp_targetILNS1_3genE4ELNS1_11target_archE910ELNS1_3gpuE8ELNS1_3repE0EEENS1_38merge_mergepath_config_static_selectorELNS0_4arch9wavefront6targetE1EEEvSJ_.num_named_barrier, 0
	.set _ZN7rocprim17ROCPRIM_400000_NS6detail17trampoline_kernelINS0_14default_configENS1_38merge_sort_block_merge_config_selectorIttEEZZNS1_27merge_sort_block_merge_implIS3_N6thrust23THRUST_200600_302600_NS6detail15normal_iteratorINS8_10device_ptrItEEEESD_jNS1_19radix_merge_compareILb0ELb1EtNS0_19identity_decomposerEEEEE10hipError_tT0_T1_T2_jT3_P12ihipStream_tbPNSt15iterator_traitsISI_E10value_typeEPNSO_ISJ_E10value_typeEPSK_NS1_7vsmem_tEENKUlT_SI_SJ_SK_E_clISD_PtSD_S10_EESH_SX_SI_SJ_SK_EUlSX_E0_NS1_11comp_targetILNS1_3genE4ELNS1_11target_archE910ELNS1_3gpuE8ELNS1_3repE0EEENS1_38merge_mergepath_config_static_selectorELNS0_4arch9wavefront6targetE1EEEvSJ_.private_seg_size, 0
	.set _ZN7rocprim17ROCPRIM_400000_NS6detail17trampoline_kernelINS0_14default_configENS1_38merge_sort_block_merge_config_selectorIttEEZZNS1_27merge_sort_block_merge_implIS3_N6thrust23THRUST_200600_302600_NS6detail15normal_iteratorINS8_10device_ptrItEEEESD_jNS1_19radix_merge_compareILb0ELb1EtNS0_19identity_decomposerEEEEE10hipError_tT0_T1_T2_jT3_P12ihipStream_tbPNSt15iterator_traitsISI_E10value_typeEPNSO_ISJ_E10value_typeEPSK_NS1_7vsmem_tEENKUlT_SI_SJ_SK_E_clISD_PtSD_S10_EESH_SX_SI_SJ_SK_EUlSX_E0_NS1_11comp_targetILNS1_3genE4ELNS1_11target_archE910ELNS1_3gpuE8ELNS1_3repE0EEENS1_38merge_mergepath_config_static_selectorELNS0_4arch9wavefront6targetE1EEEvSJ_.uses_vcc, 0
	.set _ZN7rocprim17ROCPRIM_400000_NS6detail17trampoline_kernelINS0_14default_configENS1_38merge_sort_block_merge_config_selectorIttEEZZNS1_27merge_sort_block_merge_implIS3_N6thrust23THRUST_200600_302600_NS6detail15normal_iteratorINS8_10device_ptrItEEEESD_jNS1_19radix_merge_compareILb0ELb1EtNS0_19identity_decomposerEEEEE10hipError_tT0_T1_T2_jT3_P12ihipStream_tbPNSt15iterator_traitsISI_E10value_typeEPNSO_ISJ_E10value_typeEPSK_NS1_7vsmem_tEENKUlT_SI_SJ_SK_E_clISD_PtSD_S10_EESH_SX_SI_SJ_SK_EUlSX_E0_NS1_11comp_targetILNS1_3genE4ELNS1_11target_archE910ELNS1_3gpuE8ELNS1_3repE0EEENS1_38merge_mergepath_config_static_selectorELNS0_4arch9wavefront6targetE1EEEvSJ_.uses_flat_scratch, 0
	.set _ZN7rocprim17ROCPRIM_400000_NS6detail17trampoline_kernelINS0_14default_configENS1_38merge_sort_block_merge_config_selectorIttEEZZNS1_27merge_sort_block_merge_implIS3_N6thrust23THRUST_200600_302600_NS6detail15normal_iteratorINS8_10device_ptrItEEEESD_jNS1_19radix_merge_compareILb0ELb1EtNS0_19identity_decomposerEEEEE10hipError_tT0_T1_T2_jT3_P12ihipStream_tbPNSt15iterator_traitsISI_E10value_typeEPNSO_ISJ_E10value_typeEPSK_NS1_7vsmem_tEENKUlT_SI_SJ_SK_E_clISD_PtSD_S10_EESH_SX_SI_SJ_SK_EUlSX_E0_NS1_11comp_targetILNS1_3genE4ELNS1_11target_archE910ELNS1_3gpuE8ELNS1_3repE0EEENS1_38merge_mergepath_config_static_selectorELNS0_4arch9wavefront6targetE1EEEvSJ_.has_dyn_sized_stack, 0
	.set _ZN7rocprim17ROCPRIM_400000_NS6detail17trampoline_kernelINS0_14default_configENS1_38merge_sort_block_merge_config_selectorIttEEZZNS1_27merge_sort_block_merge_implIS3_N6thrust23THRUST_200600_302600_NS6detail15normal_iteratorINS8_10device_ptrItEEEESD_jNS1_19radix_merge_compareILb0ELb1EtNS0_19identity_decomposerEEEEE10hipError_tT0_T1_T2_jT3_P12ihipStream_tbPNSt15iterator_traitsISI_E10value_typeEPNSO_ISJ_E10value_typeEPSK_NS1_7vsmem_tEENKUlT_SI_SJ_SK_E_clISD_PtSD_S10_EESH_SX_SI_SJ_SK_EUlSX_E0_NS1_11comp_targetILNS1_3genE4ELNS1_11target_archE910ELNS1_3gpuE8ELNS1_3repE0EEENS1_38merge_mergepath_config_static_selectorELNS0_4arch9wavefront6targetE1EEEvSJ_.has_recursion, 0
	.set _ZN7rocprim17ROCPRIM_400000_NS6detail17trampoline_kernelINS0_14default_configENS1_38merge_sort_block_merge_config_selectorIttEEZZNS1_27merge_sort_block_merge_implIS3_N6thrust23THRUST_200600_302600_NS6detail15normal_iteratorINS8_10device_ptrItEEEESD_jNS1_19radix_merge_compareILb0ELb1EtNS0_19identity_decomposerEEEEE10hipError_tT0_T1_T2_jT3_P12ihipStream_tbPNSt15iterator_traitsISI_E10value_typeEPNSO_ISJ_E10value_typeEPSK_NS1_7vsmem_tEENKUlT_SI_SJ_SK_E_clISD_PtSD_S10_EESH_SX_SI_SJ_SK_EUlSX_E0_NS1_11comp_targetILNS1_3genE4ELNS1_11target_archE910ELNS1_3gpuE8ELNS1_3repE0EEENS1_38merge_mergepath_config_static_selectorELNS0_4arch9wavefront6targetE1EEEvSJ_.has_indirect_call, 0
	.section	.AMDGPU.csdata,"",@progbits
; Kernel info:
; codeLenInByte = 0
; TotalNumSgprs: 6
; NumVgprs: 0
; NumAgprs: 0
; TotalNumVgprs: 0
; ScratchSize: 0
; MemoryBound: 0
; FloatMode: 240
; IeeeMode: 1
; LDSByteSize: 0 bytes/workgroup (compile time only)
; SGPRBlocks: 0
; VGPRBlocks: 0
; NumSGPRsForWavesPerEU: 6
; NumVGPRsForWavesPerEU: 1
; AccumOffset: 4
; Occupancy: 8
; WaveLimiterHint : 0
; COMPUTE_PGM_RSRC2:SCRATCH_EN: 0
; COMPUTE_PGM_RSRC2:USER_SGPR: 2
; COMPUTE_PGM_RSRC2:TRAP_HANDLER: 0
; COMPUTE_PGM_RSRC2:TGID_X_EN: 1
; COMPUTE_PGM_RSRC2:TGID_Y_EN: 0
; COMPUTE_PGM_RSRC2:TGID_Z_EN: 0
; COMPUTE_PGM_RSRC2:TIDIG_COMP_CNT: 0
; COMPUTE_PGM_RSRC3_GFX90A:ACCUM_OFFSET: 0
; COMPUTE_PGM_RSRC3_GFX90A:TG_SPLIT: 0
	.section	.text._ZN7rocprim17ROCPRIM_400000_NS6detail17trampoline_kernelINS0_14default_configENS1_38merge_sort_block_merge_config_selectorIttEEZZNS1_27merge_sort_block_merge_implIS3_N6thrust23THRUST_200600_302600_NS6detail15normal_iteratorINS8_10device_ptrItEEEESD_jNS1_19radix_merge_compareILb0ELb1EtNS0_19identity_decomposerEEEEE10hipError_tT0_T1_T2_jT3_P12ihipStream_tbPNSt15iterator_traitsISI_E10value_typeEPNSO_ISJ_E10value_typeEPSK_NS1_7vsmem_tEENKUlT_SI_SJ_SK_E_clISD_PtSD_S10_EESH_SX_SI_SJ_SK_EUlSX_E0_NS1_11comp_targetILNS1_3genE3ELNS1_11target_archE908ELNS1_3gpuE7ELNS1_3repE0EEENS1_38merge_mergepath_config_static_selectorELNS0_4arch9wavefront6targetE1EEEvSJ_,"axG",@progbits,_ZN7rocprim17ROCPRIM_400000_NS6detail17trampoline_kernelINS0_14default_configENS1_38merge_sort_block_merge_config_selectorIttEEZZNS1_27merge_sort_block_merge_implIS3_N6thrust23THRUST_200600_302600_NS6detail15normal_iteratorINS8_10device_ptrItEEEESD_jNS1_19radix_merge_compareILb0ELb1EtNS0_19identity_decomposerEEEEE10hipError_tT0_T1_T2_jT3_P12ihipStream_tbPNSt15iterator_traitsISI_E10value_typeEPNSO_ISJ_E10value_typeEPSK_NS1_7vsmem_tEENKUlT_SI_SJ_SK_E_clISD_PtSD_S10_EESH_SX_SI_SJ_SK_EUlSX_E0_NS1_11comp_targetILNS1_3genE3ELNS1_11target_archE908ELNS1_3gpuE7ELNS1_3repE0EEENS1_38merge_mergepath_config_static_selectorELNS0_4arch9wavefront6targetE1EEEvSJ_,comdat
	.protected	_ZN7rocprim17ROCPRIM_400000_NS6detail17trampoline_kernelINS0_14default_configENS1_38merge_sort_block_merge_config_selectorIttEEZZNS1_27merge_sort_block_merge_implIS3_N6thrust23THRUST_200600_302600_NS6detail15normal_iteratorINS8_10device_ptrItEEEESD_jNS1_19radix_merge_compareILb0ELb1EtNS0_19identity_decomposerEEEEE10hipError_tT0_T1_T2_jT3_P12ihipStream_tbPNSt15iterator_traitsISI_E10value_typeEPNSO_ISJ_E10value_typeEPSK_NS1_7vsmem_tEENKUlT_SI_SJ_SK_E_clISD_PtSD_S10_EESH_SX_SI_SJ_SK_EUlSX_E0_NS1_11comp_targetILNS1_3genE3ELNS1_11target_archE908ELNS1_3gpuE7ELNS1_3repE0EEENS1_38merge_mergepath_config_static_selectorELNS0_4arch9wavefront6targetE1EEEvSJ_ ; -- Begin function _ZN7rocprim17ROCPRIM_400000_NS6detail17trampoline_kernelINS0_14default_configENS1_38merge_sort_block_merge_config_selectorIttEEZZNS1_27merge_sort_block_merge_implIS3_N6thrust23THRUST_200600_302600_NS6detail15normal_iteratorINS8_10device_ptrItEEEESD_jNS1_19radix_merge_compareILb0ELb1EtNS0_19identity_decomposerEEEEE10hipError_tT0_T1_T2_jT3_P12ihipStream_tbPNSt15iterator_traitsISI_E10value_typeEPNSO_ISJ_E10value_typeEPSK_NS1_7vsmem_tEENKUlT_SI_SJ_SK_E_clISD_PtSD_S10_EESH_SX_SI_SJ_SK_EUlSX_E0_NS1_11comp_targetILNS1_3genE3ELNS1_11target_archE908ELNS1_3gpuE7ELNS1_3repE0EEENS1_38merge_mergepath_config_static_selectorELNS0_4arch9wavefront6targetE1EEEvSJ_
	.globl	_ZN7rocprim17ROCPRIM_400000_NS6detail17trampoline_kernelINS0_14default_configENS1_38merge_sort_block_merge_config_selectorIttEEZZNS1_27merge_sort_block_merge_implIS3_N6thrust23THRUST_200600_302600_NS6detail15normal_iteratorINS8_10device_ptrItEEEESD_jNS1_19radix_merge_compareILb0ELb1EtNS0_19identity_decomposerEEEEE10hipError_tT0_T1_T2_jT3_P12ihipStream_tbPNSt15iterator_traitsISI_E10value_typeEPNSO_ISJ_E10value_typeEPSK_NS1_7vsmem_tEENKUlT_SI_SJ_SK_E_clISD_PtSD_S10_EESH_SX_SI_SJ_SK_EUlSX_E0_NS1_11comp_targetILNS1_3genE3ELNS1_11target_archE908ELNS1_3gpuE7ELNS1_3repE0EEENS1_38merge_mergepath_config_static_selectorELNS0_4arch9wavefront6targetE1EEEvSJ_
	.p2align	8
	.type	_ZN7rocprim17ROCPRIM_400000_NS6detail17trampoline_kernelINS0_14default_configENS1_38merge_sort_block_merge_config_selectorIttEEZZNS1_27merge_sort_block_merge_implIS3_N6thrust23THRUST_200600_302600_NS6detail15normal_iteratorINS8_10device_ptrItEEEESD_jNS1_19radix_merge_compareILb0ELb1EtNS0_19identity_decomposerEEEEE10hipError_tT0_T1_T2_jT3_P12ihipStream_tbPNSt15iterator_traitsISI_E10value_typeEPNSO_ISJ_E10value_typeEPSK_NS1_7vsmem_tEENKUlT_SI_SJ_SK_E_clISD_PtSD_S10_EESH_SX_SI_SJ_SK_EUlSX_E0_NS1_11comp_targetILNS1_3genE3ELNS1_11target_archE908ELNS1_3gpuE7ELNS1_3repE0EEENS1_38merge_mergepath_config_static_selectorELNS0_4arch9wavefront6targetE1EEEvSJ_,@function
_ZN7rocprim17ROCPRIM_400000_NS6detail17trampoline_kernelINS0_14default_configENS1_38merge_sort_block_merge_config_selectorIttEEZZNS1_27merge_sort_block_merge_implIS3_N6thrust23THRUST_200600_302600_NS6detail15normal_iteratorINS8_10device_ptrItEEEESD_jNS1_19radix_merge_compareILb0ELb1EtNS0_19identity_decomposerEEEEE10hipError_tT0_T1_T2_jT3_P12ihipStream_tbPNSt15iterator_traitsISI_E10value_typeEPNSO_ISJ_E10value_typeEPSK_NS1_7vsmem_tEENKUlT_SI_SJ_SK_E_clISD_PtSD_S10_EESH_SX_SI_SJ_SK_EUlSX_E0_NS1_11comp_targetILNS1_3genE3ELNS1_11target_archE908ELNS1_3gpuE7ELNS1_3repE0EEENS1_38merge_mergepath_config_static_selectorELNS0_4arch9wavefront6targetE1EEEvSJ_: ; @_ZN7rocprim17ROCPRIM_400000_NS6detail17trampoline_kernelINS0_14default_configENS1_38merge_sort_block_merge_config_selectorIttEEZZNS1_27merge_sort_block_merge_implIS3_N6thrust23THRUST_200600_302600_NS6detail15normal_iteratorINS8_10device_ptrItEEEESD_jNS1_19radix_merge_compareILb0ELb1EtNS0_19identity_decomposerEEEEE10hipError_tT0_T1_T2_jT3_P12ihipStream_tbPNSt15iterator_traitsISI_E10value_typeEPNSO_ISJ_E10value_typeEPSK_NS1_7vsmem_tEENKUlT_SI_SJ_SK_E_clISD_PtSD_S10_EESH_SX_SI_SJ_SK_EUlSX_E0_NS1_11comp_targetILNS1_3genE3ELNS1_11target_archE908ELNS1_3gpuE7ELNS1_3repE0EEENS1_38merge_mergepath_config_static_selectorELNS0_4arch9wavefront6targetE1EEEvSJ_
; %bb.0:
	.section	.rodata,"a",@progbits
	.p2align	6, 0x0
	.amdhsa_kernel _ZN7rocprim17ROCPRIM_400000_NS6detail17trampoline_kernelINS0_14default_configENS1_38merge_sort_block_merge_config_selectorIttEEZZNS1_27merge_sort_block_merge_implIS3_N6thrust23THRUST_200600_302600_NS6detail15normal_iteratorINS8_10device_ptrItEEEESD_jNS1_19radix_merge_compareILb0ELb1EtNS0_19identity_decomposerEEEEE10hipError_tT0_T1_T2_jT3_P12ihipStream_tbPNSt15iterator_traitsISI_E10value_typeEPNSO_ISJ_E10value_typeEPSK_NS1_7vsmem_tEENKUlT_SI_SJ_SK_E_clISD_PtSD_S10_EESH_SX_SI_SJ_SK_EUlSX_E0_NS1_11comp_targetILNS1_3genE3ELNS1_11target_archE908ELNS1_3gpuE7ELNS1_3repE0EEENS1_38merge_mergepath_config_static_selectorELNS0_4arch9wavefront6targetE1EEEvSJ_
		.amdhsa_group_segment_fixed_size 0
		.amdhsa_private_segment_fixed_size 0
		.amdhsa_kernarg_size 64
		.amdhsa_user_sgpr_count 2
		.amdhsa_user_sgpr_dispatch_ptr 0
		.amdhsa_user_sgpr_queue_ptr 0
		.amdhsa_user_sgpr_kernarg_segment_ptr 1
		.amdhsa_user_sgpr_dispatch_id 0
		.amdhsa_user_sgpr_kernarg_preload_length 0
		.amdhsa_user_sgpr_kernarg_preload_offset 0
		.amdhsa_user_sgpr_private_segment_size 0
		.amdhsa_uses_dynamic_stack 0
		.amdhsa_enable_private_segment 0
		.amdhsa_system_sgpr_workgroup_id_x 1
		.amdhsa_system_sgpr_workgroup_id_y 0
		.amdhsa_system_sgpr_workgroup_id_z 0
		.amdhsa_system_sgpr_workgroup_info 0
		.amdhsa_system_vgpr_workitem_id 0
		.amdhsa_next_free_vgpr 1
		.amdhsa_next_free_sgpr 0
		.amdhsa_accum_offset 4
		.amdhsa_reserve_vcc 0
		.amdhsa_float_round_mode_32 0
		.amdhsa_float_round_mode_16_64 0
		.amdhsa_float_denorm_mode_32 3
		.amdhsa_float_denorm_mode_16_64 3
		.amdhsa_dx10_clamp 1
		.amdhsa_ieee_mode 1
		.amdhsa_fp16_overflow 0
		.amdhsa_tg_split 0
		.amdhsa_exception_fp_ieee_invalid_op 0
		.amdhsa_exception_fp_denorm_src 0
		.amdhsa_exception_fp_ieee_div_zero 0
		.amdhsa_exception_fp_ieee_overflow 0
		.amdhsa_exception_fp_ieee_underflow 0
		.amdhsa_exception_fp_ieee_inexact 0
		.amdhsa_exception_int_div_zero 0
	.end_amdhsa_kernel
	.section	.text._ZN7rocprim17ROCPRIM_400000_NS6detail17trampoline_kernelINS0_14default_configENS1_38merge_sort_block_merge_config_selectorIttEEZZNS1_27merge_sort_block_merge_implIS3_N6thrust23THRUST_200600_302600_NS6detail15normal_iteratorINS8_10device_ptrItEEEESD_jNS1_19radix_merge_compareILb0ELb1EtNS0_19identity_decomposerEEEEE10hipError_tT0_T1_T2_jT3_P12ihipStream_tbPNSt15iterator_traitsISI_E10value_typeEPNSO_ISJ_E10value_typeEPSK_NS1_7vsmem_tEENKUlT_SI_SJ_SK_E_clISD_PtSD_S10_EESH_SX_SI_SJ_SK_EUlSX_E0_NS1_11comp_targetILNS1_3genE3ELNS1_11target_archE908ELNS1_3gpuE7ELNS1_3repE0EEENS1_38merge_mergepath_config_static_selectorELNS0_4arch9wavefront6targetE1EEEvSJ_,"axG",@progbits,_ZN7rocprim17ROCPRIM_400000_NS6detail17trampoline_kernelINS0_14default_configENS1_38merge_sort_block_merge_config_selectorIttEEZZNS1_27merge_sort_block_merge_implIS3_N6thrust23THRUST_200600_302600_NS6detail15normal_iteratorINS8_10device_ptrItEEEESD_jNS1_19radix_merge_compareILb0ELb1EtNS0_19identity_decomposerEEEEE10hipError_tT0_T1_T2_jT3_P12ihipStream_tbPNSt15iterator_traitsISI_E10value_typeEPNSO_ISJ_E10value_typeEPSK_NS1_7vsmem_tEENKUlT_SI_SJ_SK_E_clISD_PtSD_S10_EESH_SX_SI_SJ_SK_EUlSX_E0_NS1_11comp_targetILNS1_3genE3ELNS1_11target_archE908ELNS1_3gpuE7ELNS1_3repE0EEENS1_38merge_mergepath_config_static_selectorELNS0_4arch9wavefront6targetE1EEEvSJ_,comdat
.Lfunc_end935:
	.size	_ZN7rocprim17ROCPRIM_400000_NS6detail17trampoline_kernelINS0_14default_configENS1_38merge_sort_block_merge_config_selectorIttEEZZNS1_27merge_sort_block_merge_implIS3_N6thrust23THRUST_200600_302600_NS6detail15normal_iteratorINS8_10device_ptrItEEEESD_jNS1_19radix_merge_compareILb0ELb1EtNS0_19identity_decomposerEEEEE10hipError_tT0_T1_T2_jT3_P12ihipStream_tbPNSt15iterator_traitsISI_E10value_typeEPNSO_ISJ_E10value_typeEPSK_NS1_7vsmem_tEENKUlT_SI_SJ_SK_E_clISD_PtSD_S10_EESH_SX_SI_SJ_SK_EUlSX_E0_NS1_11comp_targetILNS1_3genE3ELNS1_11target_archE908ELNS1_3gpuE7ELNS1_3repE0EEENS1_38merge_mergepath_config_static_selectorELNS0_4arch9wavefront6targetE1EEEvSJ_, .Lfunc_end935-_ZN7rocprim17ROCPRIM_400000_NS6detail17trampoline_kernelINS0_14default_configENS1_38merge_sort_block_merge_config_selectorIttEEZZNS1_27merge_sort_block_merge_implIS3_N6thrust23THRUST_200600_302600_NS6detail15normal_iteratorINS8_10device_ptrItEEEESD_jNS1_19radix_merge_compareILb0ELb1EtNS0_19identity_decomposerEEEEE10hipError_tT0_T1_T2_jT3_P12ihipStream_tbPNSt15iterator_traitsISI_E10value_typeEPNSO_ISJ_E10value_typeEPSK_NS1_7vsmem_tEENKUlT_SI_SJ_SK_E_clISD_PtSD_S10_EESH_SX_SI_SJ_SK_EUlSX_E0_NS1_11comp_targetILNS1_3genE3ELNS1_11target_archE908ELNS1_3gpuE7ELNS1_3repE0EEENS1_38merge_mergepath_config_static_selectorELNS0_4arch9wavefront6targetE1EEEvSJ_
                                        ; -- End function
	.set _ZN7rocprim17ROCPRIM_400000_NS6detail17trampoline_kernelINS0_14default_configENS1_38merge_sort_block_merge_config_selectorIttEEZZNS1_27merge_sort_block_merge_implIS3_N6thrust23THRUST_200600_302600_NS6detail15normal_iteratorINS8_10device_ptrItEEEESD_jNS1_19radix_merge_compareILb0ELb1EtNS0_19identity_decomposerEEEEE10hipError_tT0_T1_T2_jT3_P12ihipStream_tbPNSt15iterator_traitsISI_E10value_typeEPNSO_ISJ_E10value_typeEPSK_NS1_7vsmem_tEENKUlT_SI_SJ_SK_E_clISD_PtSD_S10_EESH_SX_SI_SJ_SK_EUlSX_E0_NS1_11comp_targetILNS1_3genE3ELNS1_11target_archE908ELNS1_3gpuE7ELNS1_3repE0EEENS1_38merge_mergepath_config_static_selectorELNS0_4arch9wavefront6targetE1EEEvSJ_.num_vgpr, 0
	.set _ZN7rocprim17ROCPRIM_400000_NS6detail17trampoline_kernelINS0_14default_configENS1_38merge_sort_block_merge_config_selectorIttEEZZNS1_27merge_sort_block_merge_implIS3_N6thrust23THRUST_200600_302600_NS6detail15normal_iteratorINS8_10device_ptrItEEEESD_jNS1_19radix_merge_compareILb0ELb1EtNS0_19identity_decomposerEEEEE10hipError_tT0_T1_T2_jT3_P12ihipStream_tbPNSt15iterator_traitsISI_E10value_typeEPNSO_ISJ_E10value_typeEPSK_NS1_7vsmem_tEENKUlT_SI_SJ_SK_E_clISD_PtSD_S10_EESH_SX_SI_SJ_SK_EUlSX_E0_NS1_11comp_targetILNS1_3genE3ELNS1_11target_archE908ELNS1_3gpuE7ELNS1_3repE0EEENS1_38merge_mergepath_config_static_selectorELNS0_4arch9wavefront6targetE1EEEvSJ_.num_agpr, 0
	.set _ZN7rocprim17ROCPRIM_400000_NS6detail17trampoline_kernelINS0_14default_configENS1_38merge_sort_block_merge_config_selectorIttEEZZNS1_27merge_sort_block_merge_implIS3_N6thrust23THRUST_200600_302600_NS6detail15normal_iteratorINS8_10device_ptrItEEEESD_jNS1_19radix_merge_compareILb0ELb1EtNS0_19identity_decomposerEEEEE10hipError_tT0_T1_T2_jT3_P12ihipStream_tbPNSt15iterator_traitsISI_E10value_typeEPNSO_ISJ_E10value_typeEPSK_NS1_7vsmem_tEENKUlT_SI_SJ_SK_E_clISD_PtSD_S10_EESH_SX_SI_SJ_SK_EUlSX_E0_NS1_11comp_targetILNS1_3genE3ELNS1_11target_archE908ELNS1_3gpuE7ELNS1_3repE0EEENS1_38merge_mergepath_config_static_selectorELNS0_4arch9wavefront6targetE1EEEvSJ_.numbered_sgpr, 0
	.set _ZN7rocprim17ROCPRIM_400000_NS6detail17trampoline_kernelINS0_14default_configENS1_38merge_sort_block_merge_config_selectorIttEEZZNS1_27merge_sort_block_merge_implIS3_N6thrust23THRUST_200600_302600_NS6detail15normal_iteratorINS8_10device_ptrItEEEESD_jNS1_19radix_merge_compareILb0ELb1EtNS0_19identity_decomposerEEEEE10hipError_tT0_T1_T2_jT3_P12ihipStream_tbPNSt15iterator_traitsISI_E10value_typeEPNSO_ISJ_E10value_typeEPSK_NS1_7vsmem_tEENKUlT_SI_SJ_SK_E_clISD_PtSD_S10_EESH_SX_SI_SJ_SK_EUlSX_E0_NS1_11comp_targetILNS1_3genE3ELNS1_11target_archE908ELNS1_3gpuE7ELNS1_3repE0EEENS1_38merge_mergepath_config_static_selectorELNS0_4arch9wavefront6targetE1EEEvSJ_.num_named_barrier, 0
	.set _ZN7rocprim17ROCPRIM_400000_NS6detail17trampoline_kernelINS0_14default_configENS1_38merge_sort_block_merge_config_selectorIttEEZZNS1_27merge_sort_block_merge_implIS3_N6thrust23THRUST_200600_302600_NS6detail15normal_iteratorINS8_10device_ptrItEEEESD_jNS1_19radix_merge_compareILb0ELb1EtNS0_19identity_decomposerEEEEE10hipError_tT0_T1_T2_jT3_P12ihipStream_tbPNSt15iterator_traitsISI_E10value_typeEPNSO_ISJ_E10value_typeEPSK_NS1_7vsmem_tEENKUlT_SI_SJ_SK_E_clISD_PtSD_S10_EESH_SX_SI_SJ_SK_EUlSX_E0_NS1_11comp_targetILNS1_3genE3ELNS1_11target_archE908ELNS1_3gpuE7ELNS1_3repE0EEENS1_38merge_mergepath_config_static_selectorELNS0_4arch9wavefront6targetE1EEEvSJ_.private_seg_size, 0
	.set _ZN7rocprim17ROCPRIM_400000_NS6detail17trampoline_kernelINS0_14default_configENS1_38merge_sort_block_merge_config_selectorIttEEZZNS1_27merge_sort_block_merge_implIS3_N6thrust23THRUST_200600_302600_NS6detail15normal_iteratorINS8_10device_ptrItEEEESD_jNS1_19radix_merge_compareILb0ELb1EtNS0_19identity_decomposerEEEEE10hipError_tT0_T1_T2_jT3_P12ihipStream_tbPNSt15iterator_traitsISI_E10value_typeEPNSO_ISJ_E10value_typeEPSK_NS1_7vsmem_tEENKUlT_SI_SJ_SK_E_clISD_PtSD_S10_EESH_SX_SI_SJ_SK_EUlSX_E0_NS1_11comp_targetILNS1_3genE3ELNS1_11target_archE908ELNS1_3gpuE7ELNS1_3repE0EEENS1_38merge_mergepath_config_static_selectorELNS0_4arch9wavefront6targetE1EEEvSJ_.uses_vcc, 0
	.set _ZN7rocprim17ROCPRIM_400000_NS6detail17trampoline_kernelINS0_14default_configENS1_38merge_sort_block_merge_config_selectorIttEEZZNS1_27merge_sort_block_merge_implIS3_N6thrust23THRUST_200600_302600_NS6detail15normal_iteratorINS8_10device_ptrItEEEESD_jNS1_19radix_merge_compareILb0ELb1EtNS0_19identity_decomposerEEEEE10hipError_tT0_T1_T2_jT3_P12ihipStream_tbPNSt15iterator_traitsISI_E10value_typeEPNSO_ISJ_E10value_typeEPSK_NS1_7vsmem_tEENKUlT_SI_SJ_SK_E_clISD_PtSD_S10_EESH_SX_SI_SJ_SK_EUlSX_E0_NS1_11comp_targetILNS1_3genE3ELNS1_11target_archE908ELNS1_3gpuE7ELNS1_3repE0EEENS1_38merge_mergepath_config_static_selectorELNS0_4arch9wavefront6targetE1EEEvSJ_.uses_flat_scratch, 0
	.set _ZN7rocprim17ROCPRIM_400000_NS6detail17trampoline_kernelINS0_14default_configENS1_38merge_sort_block_merge_config_selectorIttEEZZNS1_27merge_sort_block_merge_implIS3_N6thrust23THRUST_200600_302600_NS6detail15normal_iteratorINS8_10device_ptrItEEEESD_jNS1_19radix_merge_compareILb0ELb1EtNS0_19identity_decomposerEEEEE10hipError_tT0_T1_T2_jT3_P12ihipStream_tbPNSt15iterator_traitsISI_E10value_typeEPNSO_ISJ_E10value_typeEPSK_NS1_7vsmem_tEENKUlT_SI_SJ_SK_E_clISD_PtSD_S10_EESH_SX_SI_SJ_SK_EUlSX_E0_NS1_11comp_targetILNS1_3genE3ELNS1_11target_archE908ELNS1_3gpuE7ELNS1_3repE0EEENS1_38merge_mergepath_config_static_selectorELNS0_4arch9wavefront6targetE1EEEvSJ_.has_dyn_sized_stack, 0
	.set _ZN7rocprim17ROCPRIM_400000_NS6detail17trampoline_kernelINS0_14default_configENS1_38merge_sort_block_merge_config_selectorIttEEZZNS1_27merge_sort_block_merge_implIS3_N6thrust23THRUST_200600_302600_NS6detail15normal_iteratorINS8_10device_ptrItEEEESD_jNS1_19radix_merge_compareILb0ELb1EtNS0_19identity_decomposerEEEEE10hipError_tT0_T1_T2_jT3_P12ihipStream_tbPNSt15iterator_traitsISI_E10value_typeEPNSO_ISJ_E10value_typeEPSK_NS1_7vsmem_tEENKUlT_SI_SJ_SK_E_clISD_PtSD_S10_EESH_SX_SI_SJ_SK_EUlSX_E0_NS1_11comp_targetILNS1_3genE3ELNS1_11target_archE908ELNS1_3gpuE7ELNS1_3repE0EEENS1_38merge_mergepath_config_static_selectorELNS0_4arch9wavefront6targetE1EEEvSJ_.has_recursion, 0
	.set _ZN7rocprim17ROCPRIM_400000_NS6detail17trampoline_kernelINS0_14default_configENS1_38merge_sort_block_merge_config_selectorIttEEZZNS1_27merge_sort_block_merge_implIS3_N6thrust23THRUST_200600_302600_NS6detail15normal_iteratorINS8_10device_ptrItEEEESD_jNS1_19radix_merge_compareILb0ELb1EtNS0_19identity_decomposerEEEEE10hipError_tT0_T1_T2_jT3_P12ihipStream_tbPNSt15iterator_traitsISI_E10value_typeEPNSO_ISJ_E10value_typeEPSK_NS1_7vsmem_tEENKUlT_SI_SJ_SK_E_clISD_PtSD_S10_EESH_SX_SI_SJ_SK_EUlSX_E0_NS1_11comp_targetILNS1_3genE3ELNS1_11target_archE908ELNS1_3gpuE7ELNS1_3repE0EEENS1_38merge_mergepath_config_static_selectorELNS0_4arch9wavefront6targetE1EEEvSJ_.has_indirect_call, 0
	.section	.AMDGPU.csdata,"",@progbits
; Kernel info:
; codeLenInByte = 0
; TotalNumSgprs: 6
; NumVgprs: 0
; NumAgprs: 0
; TotalNumVgprs: 0
; ScratchSize: 0
; MemoryBound: 0
; FloatMode: 240
; IeeeMode: 1
; LDSByteSize: 0 bytes/workgroup (compile time only)
; SGPRBlocks: 0
; VGPRBlocks: 0
; NumSGPRsForWavesPerEU: 6
; NumVGPRsForWavesPerEU: 1
; AccumOffset: 4
; Occupancy: 8
; WaveLimiterHint : 0
; COMPUTE_PGM_RSRC2:SCRATCH_EN: 0
; COMPUTE_PGM_RSRC2:USER_SGPR: 2
; COMPUTE_PGM_RSRC2:TRAP_HANDLER: 0
; COMPUTE_PGM_RSRC2:TGID_X_EN: 1
; COMPUTE_PGM_RSRC2:TGID_Y_EN: 0
; COMPUTE_PGM_RSRC2:TGID_Z_EN: 0
; COMPUTE_PGM_RSRC2:TIDIG_COMP_CNT: 0
; COMPUTE_PGM_RSRC3_GFX90A:ACCUM_OFFSET: 0
; COMPUTE_PGM_RSRC3_GFX90A:TG_SPLIT: 0
	.section	.text._ZN7rocprim17ROCPRIM_400000_NS6detail17trampoline_kernelINS0_14default_configENS1_38merge_sort_block_merge_config_selectorIttEEZZNS1_27merge_sort_block_merge_implIS3_N6thrust23THRUST_200600_302600_NS6detail15normal_iteratorINS8_10device_ptrItEEEESD_jNS1_19radix_merge_compareILb0ELb1EtNS0_19identity_decomposerEEEEE10hipError_tT0_T1_T2_jT3_P12ihipStream_tbPNSt15iterator_traitsISI_E10value_typeEPNSO_ISJ_E10value_typeEPSK_NS1_7vsmem_tEENKUlT_SI_SJ_SK_E_clISD_PtSD_S10_EESH_SX_SI_SJ_SK_EUlSX_E0_NS1_11comp_targetILNS1_3genE2ELNS1_11target_archE906ELNS1_3gpuE6ELNS1_3repE0EEENS1_38merge_mergepath_config_static_selectorELNS0_4arch9wavefront6targetE1EEEvSJ_,"axG",@progbits,_ZN7rocprim17ROCPRIM_400000_NS6detail17trampoline_kernelINS0_14default_configENS1_38merge_sort_block_merge_config_selectorIttEEZZNS1_27merge_sort_block_merge_implIS3_N6thrust23THRUST_200600_302600_NS6detail15normal_iteratorINS8_10device_ptrItEEEESD_jNS1_19radix_merge_compareILb0ELb1EtNS0_19identity_decomposerEEEEE10hipError_tT0_T1_T2_jT3_P12ihipStream_tbPNSt15iterator_traitsISI_E10value_typeEPNSO_ISJ_E10value_typeEPSK_NS1_7vsmem_tEENKUlT_SI_SJ_SK_E_clISD_PtSD_S10_EESH_SX_SI_SJ_SK_EUlSX_E0_NS1_11comp_targetILNS1_3genE2ELNS1_11target_archE906ELNS1_3gpuE6ELNS1_3repE0EEENS1_38merge_mergepath_config_static_selectorELNS0_4arch9wavefront6targetE1EEEvSJ_,comdat
	.protected	_ZN7rocprim17ROCPRIM_400000_NS6detail17trampoline_kernelINS0_14default_configENS1_38merge_sort_block_merge_config_selectorIttEEZZNS1_27merge_sort_block_merge_implIS3_N6thrust23THRUST_200600_302600_NS6detail15normal_iteratorINS8_10device_ptrItEEEESD_jNS1_19radix_merge_compareILb0ELb1EtNS0_19identity_decomposerEEEEE10hipError_tT0_T1_T2_jT3_P12ihipStream_tbPNSt15iterator_traitsISI_E10value_typeEPNSO_ISJ_E10value_typeEPSK_NS1_7vsmem_tEENKUlT_SI_SJ_SK_E_clISD_PtSD_S10_EESH_SX_SI_SJ_SK_EUlSX_E0_NS1_11comp_targetILNS1_3genE2ELNS1_11target_archE906ELNS1_3gpuE6ELNS1_3repE0EEENS1_38merge_mergepath_config_static_selectorELNS0_4arch9wavefront6targetE1EEEvSJ_ ; -- Begin function _ZN7rocprim17ROCPRIM_400000_NS6detail17trampoline_kernelINS0_14default_configENS1_38merge_sort_block_merge_config_selectorIttEEZZNS1_27merge_sort_block_merge_implIS3_N6thrust23THRUST_200600_302600_NS6detail15normal_iteratorINS8_10device_ptrItEEEESD_jNS1_19radix_merge_compareILb0ELb1EtNS0_19identity_decomposerEEEEE10hipError_tT0_T1_T2_jT3_P12ihipStream_tbPNSt15iterator_traitsISI_E10value_typeEPNSO_ISJ_E10value_typeEPSK_NS1_7vsmem_tEENKUlT_SI_SJ_SK_E_clISD_PtSD_S10_EESH_SX_SI_SJ_SK_EUlSX_E0_NS1_11comp_targetILNS1_3genE2ELNS1_11target_archE906ELNS1_3gpuE6ELNS1_3repE0EEENS1_38merge_mergepath_config_static_selectorELNS0_4arch9wavefront6targetE1EEEvSJ_
	.globl	_ZN7rocprim17ROCPRIM_400000_NS6detail17trampoline_kernelINS0_14default_configENS1_38merge_sort_block_merge_config_selectorIttEEZZNS1_27merge_sort_block_merge_implIS3_N6thrust23THRUST_200600_302600_NS6detail15normal_iteratorINS8_10device_ptrItEEEESD_jNS1_19radix_merge_compareILb0ELb1EtNS0_19identity_decomposerEEEEE10hipError_tT0_T1_T2_jT3_P12ihipStream_tbPNSt15iterator_traitsISI_E10value_typeEPNSO_ISJ_E10value_typeEPSK_NS1_7vsmem_tEENKUlT_SI_SJ_SK_E_clISD_PtSD_S10_EESH_SX_SI_SJ_SK_EUlSX_E0_NS1_11comp_targetILNS1_3genE2ELNS1_11target_archE906ELNS1_3gpuE6ELNS1_3repE0EEENS1_38merge_mergepath_config_static_selectorELNS0_4arch9wavefront6targetE1EEEvSJ_
	.p2align	8
	.type	_ZN7rocprim17ROCPRIM_400000_NS6detail17trampoline_kernelINS0_14default_configENS1_38merge_sort_block_merge_config_selectorIttEEZZNS1_27merge_sort_block_merge_implIS3_N6thrust23THRUST_200600_302600_NS6detail15normal_iteratorINS8_10device_ptrItEEEESD_jNS1_19radix_merge_compareILb0ELb1EtNS0_19identity_decomposerEEEEE10hipError_tT0_T1_T2_jT3_P12ihipStream_tbPNSt15iterator_traitsISI_E10value_typeEPNSO_ISJ_E10value_typeEPSK_NS1_7vsmem_tEENKUlT_SI_SJ_SK_E_clISD_PtSD_S10_EESH_SX_SI_SJ_SK_EUlSX_E0_NS1_11comp_targetILNS1_3genE2ELNS1_11target_archE906ELNS1_3gpuE6ELNS1_3repE0EEENS1_38merge_mergepath_config_static_selectorELNS0_4arch9wavefront6targetE1EEEvSJ_,@function
_ZN7rocprim17ROCPRIM_400000_NS6detail17trampoline_kernelINS0_14default_configENS1_38merge_sort_block_merge_config_selectorIttEEZZNS1_27merge_sort_block_merge_implIS3_N6thrust23THRUST_200600_302600_NS6detail15normal_iteratorINS8_10device_ptrItEEEESD_jNS1_19radix_merge_compareILb0ELb1EtNS0_19identity_decomposerEEEEE10hipError_tT0_T1_T2_jT3_P12ihipStream_tbPNSt15iterator_traitsISI_E10value_typeEPNSO_ISJ_E10value_typeEPSK_NS1_7vsmem_tEENKUlT_SI_SJ_SK_E_clISD_PtSD_S10_EESH_SX_SI_SJ_SK_EUlSX_E0_NS1_11comp_targetILNS1_3genE2ELNS1_11target_archE906ELNS1_3gpuE6ELNS1_3repE0EEENS1_38merge_mergepath_config_static_selectorELNS0_4arch9wavefront6targetE1EEEvSJ_: ; @_ZN7rocprim17ROCPRIM_400000_NS6detail17trampoline_kernelINS0_14default_configENS1_38merge_sort_block_merge_config_selectorIttEEZZNS1_27merge_sort_block_merge_implIS3_N6thrust23THRUST_200600_302600_NS6detail15normal_iteratorINS8_10device_ptrItEEEESD_jNS1_19radix_merge_compareILb0ELb1EtNS0_19identity_decomposerEEEEE10hipError_tT0_T1_T2_jT3_P12ihipStream_tbPNSt15iterator_traitsISI_E10value_typeEPNSO_ISJ_E10value_typeEPSK_NS1_7vsmem_tEENKUlT_SI_SJ_SK_E_clISD_PtSD_S10_EESH_SX_SI_SJ_SK_EUlSX_E0_NS1_11comp_targetILNS1_3genE2ELNS1_11target_archE906ELNS1_3gpuE6ELNS1_3repE0EEENS1_38merge_mergepath_config_static_selectorELNS0_4arch9wavefront6targetE1EEEvSJ_
; %bb.0:
	.section	.rodata,"a",@progbits
	.p2align	6, 0x0
	.amdhsa_kernel _ZN7rocprim17ROCPRIM_400000_NS6detail17trampoline_kernelINS0_14default_configENS1_38merge_sort_block_merge_config_selectorIttEEZZNS1_27merge_sort_block_merge_implIS3_N6thrust23THRUST_200600_302600_NS6detail15normal_iteratorINS8_10device_ptrItEEEESD_jNS1_19radix_merge_compareILb0ELb1EtNS0_19identity_decomposerEEEEE10hipError_tT0_T1_T2_jT3_P12ihipStream_tbPNSt15iterator_traitsISI_E10value_typeEPNSO_ISJ_E10value_typeEPSK_NS1_7vsmem_tEENKUlT_SI_SJ_SK_E_clISD_PtSD_S10_EESH_SX_SI_SJ_SK_EUlSX_E0_NS1_11comp_targetILNS1_3genE2ELNS1_11target_archE906ELNS1_3gpuE6ELNS1_3repE0EEENS1_38merge_mergepath_config_static_selectorELNS0_4arch9wavefront6targetE1EEEvSJ_
		.amdhsa_group_segment_fixed_size 0
		.amdhsa_private_segment_fixed_size 0
		.amdhsa_kernarg_size 64
		.amdhsa_user_sgpr_count 2
		.amdhsa_user_sgpr_dispatch_ptr 0
		.amdhsa_user_sgpr_queue_ptr 0
		.amdhsa_user_sgpr_kernarg_segment_ptr 1
		.amdhsa_user_sgpr_dispatch_id 0
		.amdhsa_user_sgpr_kernarg_preload_length 0
		.amdhsa_user_sgpr_kernarg_preload_offset 0
		.amdhsa_user_sgpr_private_segment_size 0
		.amdhsa_uses_dynamic_stack 0
		.amdhsa_enable_private_segment 0
		.amdhsa_system_sgpr_workgroup_id_x 1
		.amdhsa_system_sgpr_workgroup_id_y 0
		.amdhsa_system_sgpr_workgroup_id_z 0
		.amdhsa_system_sgpr_workgroup_info 0
		.amdhsa_system_vgpr_workitem_id 0
		.amdhsa_next_free_vgpr 1
		.amdhsa_next_free_sgpr 0
		.amdhsa_accum_offset 4
		.amdhsa_reserve_vcc 0
		.amdhsa_float_round_mode_32 0
		.amdhsa_float_round_mode_16_64 0
		.amdhsa_float_denorm_mode_32 3
		.amdhsa_float_denorm_mode_16_64 3
		.amdhsa_dx10_clamp 1
		.amdhsa_ieee_mode 1
		.amdhsa_fp16_overflow 0
		.amdhsa_tg_split 0
		.amdhsa_exception_fp_ieee_invalid_op 0
		.amdhsa_exception_fp_denorm_src 0
		.amdhsa_exception_fp_ieee_div_zero 0
		.amdhsa_exception_fp_ieee_overflow 0
		.amdhsa_exception_fp_ieee_underflow 0
		.amdhsa_exception_fp_ieee_inexact 0
		.amdhsa_exception_int_div_zero 0
	.end_amdhsa_kernel
	.section	.text._ZN7rocprim17ROCPRIM_400000_NS6detail17trampoline_kernelINS0_14default_configENS1_38merge_sort_block_merge_config_selectorIttEEZZNS1_27merge_sort_block_merge_implIS3_N6thrust23THRUST_200600_302600_NS6detail15normal_iteratorINS8_10device_ptrItEEEESD_jNS1_19radix_merge_compareILb0ELb1EtNS0_19identity_decomposerEEEEE10hipError_tT0_T1_T2_jT3_P12ihipStream_tbPNSt15iterator_traitsISI_E10value_typeEPNSO_ISJ_E10value_typeEPSK_NS1_7vsmem_tEENKUlT_SI_SJ_SK_E_clISD_PtSD_S10_EESH_SX_SI_SJ_SK_EUlSX_E0_NS1_11comp_targetILNS1_3genE2ELNS1_11target_archE906ELNS1_3gpuE6ELNS1_3repE0EEENS1_38merge_mergepath_config_static_selectorELNS0_4arch9wavefront6targetE1EEEvSJ_,"axG",@progbits,_ZN7rocprim17ROCPRIM_400000_NS6detail17trampoline_kernelINS0_14default_configENS1_38merge_sort_block_merge_config_selectorIttEEZZNS1_27merge_sort_block_merge_implIS3_N6thrust23THRUST_200600_302600_NS6detail15normal_iteratorINS8_10device_ptrItEEEESD_jNS1_19radix_merge_compareILb0ELb1EtNS0_19identity_decomposerEEEEE10hipError_tT0_T1_T2_jT3_P12ihipStream_tbPNSt15iterator_traitsISI_E10value_typeEPNSO_ISJ_E10value_typeEPSK_NS1_7vsmem_tEENKUlT_SI_SJ_SK_E_clISD_PtSD_S10_EESH_SX_SI_SJ_SK_EUlSX_E0_NS1_11comp_targetILNS1_3genE2ELNS1_11target_archE906ELNS1_3gpuE6ELNS1_3repE0EEENS1_38merge_mergepath_config_static_selectorELNS0_4arch9wavefront6targetE1EEEvSJ_,comdat
.Lfunc_end936:
	.size	_ZN7rocprim17ROCPRIM_400000_NS6detail17trampoline_kernelINS0_14default_configENS1_38merge_sort_block_merge_config_selectorIttEEZZNS1_27merge_sort_block_merge_implIS3_N6thrust23THRUST_200600_302600_NS6detail15normal_iteratorINS8_10device_ptrItEEEESD_jNS1_19radix_merge_compareILb0ELb1EtNS0_19identity_decomposerEEEEE10hipError_tT0_T1_T2_jT3_P12ihipStream_tbPNSt15iterator_traitsISI_E10value_typeEPNSO_ISJ_E10value_typeEPSK_NS1_7vsmem_tEENKUlT_SI_SJ_SK_E_clISD_PtSD_S10_EESH_SX_SI_SJ_SK_EUlSX_E0_NS1_11comp_targetILNS1_3genE2ELNS1_11target_archE906ELNS1_3gpuE6ELNS1_3repE0EEENS1_38merge_mergepath_config_static_selectorELNS0_4arch9wavefront6targetE1EEEvSJ_, .Lfunc_end936-_ZN7rocprim17ROCPRIM_400000_NS6detail17trampoline_kernelINS0_14default_configENS1_38merge_sort_block_merge_config_selectorIttEEZZNS1_27merge_sort_block_merge_implIS3_N6thrust23THRUST_200600_302600_NS6detail15normal_iteratorINS8_10device_ptrItEEEESD_jNS1_19radix_merge_compareILb0ELb1EtNS0_19identity_decomposerEEEEE10hipError_tT0_T1_T2_jT3_P12ihipStream_tbPNSt15iterator_traitsISI_E10value_typeEPNSO_ISJ_E10value_typeEPSK_NS1_7vsmem_tEENKUlT_SI_SJ_SK_E_clISD_PtSD_S10_EESH_SX_SI_SJ_SK_EUlSX_E0_NS1_11comp_targetILNS1_3genE2ELNS1_11target_archE906ELNS1_3gpuE6ELNS1_3repE0EEENS1_38merge_mergepath_config_static_selectorELNS0_4arch9wavefront6targetE1EEEvSJ_
                                        ; -- End function
	.set _ZN7rocprim17ROCPRIM_400000_NS6detail17trampoline_kernelINS0_14default_configENS1_38merge_sort_block_merge_config_selectorIttEEZZNS1_27merge_sort_block_merge_implIS3_N6thrust23THRUST_200600_302600_NS6detail15normal_iteratorINS8_10device_ptrItEEEESD_jNS1_19radix_merge_compareILb0ELb1EtNS0_19identity_decomposerEEEEE10hipError_tT0_T1_T2_jT3_P12ihipStream_tbPNSt15iterator_traitsISI_E10value_typeEPNSO_ISJ_E10value_typeEPSK_NS1_7vsmem_tEENKUlT_SI_SJ_SK_E_clISD_PtSD_S10_EESH_SX_SI_SJ_SK_EUlSX_E0_NS1_11comp_targetILNS1_3genE2ELNS1_11target_archE906ELNS1_3gpuE6ELNS1_3repE0EEENS1_38merge_mergepath_config_static_selectorELNS0_4arch9wavefront6targetE1EEEvSJ_.num_vgpr, 0
	.set _ZN7rocprim17ROCPRIM_400000_NS6detail17trampoline_kernelINS0_14default_configENS1_38merge_sort_block_merge_config_selectorIttEEZZNS1_27merge_sort_block_merge_implIS3_N6thrust23THRUST_200600_302600_NS6detail15normal_iteratorINS8_10device_ptrItEEEESD_jNS1_19radix_merge_compareILb0ELb1EtNS0_19identity_decomposerEEEEE10hipError_tT0_T1_T2_jT3_P12ihipStream_tbPNSt15iterator_traitsISI_E10value_typeEPNSO_ISJ_E10value_typeEPSK_NS1_7vsmem_tEENKUlT_SI_SJ_SK_E_clISD_PtSD_S10_EESH_SX_SI_SJ_SK_EUlSX_E0_NS1_11comp_targetILNS1_3genE2ELNS1_11target_archE906ELNS1_3gpuE6ELNS1_3repE0EEENS1_38merge_mergepath_config_static_selectorELNS0_4arch9wavefront6targetE1EEEvSJ_.num_agpr, 0
	.set _ZN7rocprim17ROCPRIM_400000_NS6detail17trampoline_kernelINS0_14default_configENS1_38merge_sort_block_merge_config_selectorIttEEZZNS1_27merge_sort_block_merge_implIS3_N6thrust23THRUST_200600_302600_NS6detail15normal_iteratorINS8_10device_ptrItEEEESD_jNS1_19radix_merge_compareILb0ELb1EtNS0_19identity_decomposerEEEEE10hipError_tT0_T1_T2_jT3_P12ihipStream_tbPNSt15iterator_traitsISI_E10value_typeEPNSO_ISJ_E10value_typeEPSK_NS1_7vsmem_tEENKUlT_SI_SJ_SK_E_clISD_PtSD_S10_EESH_SX_SI_SJ_SK_EUlSX_E0_NS1_11comp_targetILNS1_3genE2ELNS1_11target_archE906ELNS1_3gpuE6ELNS1_3repE0EEENS1_38merge_mergepath_config_static_selectorELNS0_4arch9wavefront6targetE1EEEvSJ_.numbered_sgpr, 0
	.set _ZN7rocprim17ROCPRIM_400000_NS6detail17trampoline_kernelINS0_14default_configENS1_38merge_sort_block_merge_config_selectorIttEEZZNS1_27merge_sort_block_merge_implIS3_N6thrust23THRUST_200600_302600_NS6detail15normal_iteratorINS8_10device_ptrItEEEESD_jNS1_19radix_merge_compareILb0ELb1EtNS0_19identity_decomposerEEEEE10hipError_tT0_T1_T2_jT3_P12ihipStream_tbPNSt15iterator_traitsISI_E10value_typeEPNSO_ISJ_E10value_typeEPSK_NS1_7vsmem_tEENKUlT_SI_SJ_SK_E_clISD_PtSD_S10_EESH_SX_SI_SJ_SK_EUlSX_E0_NS1_11comp_targetILNS1_3genE2ELNS1_11target_archE906ELNS1_3gpuE6ELNS1_3repE0EEENS1_38merge_mergepath_config_static_selectorELNS0_4arch9wavefront6targetE1EEEvSJ_.num_named_barrier, 0
	.set _ZN7rocprim17ROCPRIM_400000_NS6detail17trampoline_kernelINS0_14default_configENS1_38merge_sort_block_merge_config_selectorIttEEZZNS1_27merge_sort_block_merge_implIS3_N6thrust23THRUST_200600_302600_NS6detail15normal_iteratorINS8_10device_ptrItEEEESD_jNS1_19radix_merge_compareILb0ELb1EtNS0_19identity_decomposerEEEEE10hipError_tT0_T1_T2_jT3_P12ihipStream_tbPNSt15iterator_traitsISI_E10value_typeEPNSO_ISJ_E10value_typeEPSK_NS1_7vsmem_tEENKUlT_SI_SJ_SK_E_clISD_PtSD_S10_EESH_SX_SI_SJ_SK_EUlSX_E0_NS1_11comp_targetILNS1_3genE2ELNS1_11target_archE906ELNS1_3gpuE6ELNS1_3repE0EEENS1_38merge_mergepath_config_static_selectorELNS0_4arch9wavefront6targetE1EEEvSJ_.private_seg_size, 0
	.set _ZN7rocprim17ROCPRIM_400000_NS6detail17trampoline_kernelINS0_14default_configENS1_38merge_sort_block_merge_config_selectorIttEEZZNS1_27merge_sort_block_merge_implIS3_N6thrust23THRUST_200600_302600_NS6detail15normal_iteratorINS8_10device_ptrItEEEESD_jNS1_19radix_merge_compareILb0ELb1EtNS0_19identity_decomposerEEEEE10hipError_tT0_T1_T2_jT3_P12ihipStream_tbPNSt15iterator_traitsISI_E10value_typeEPNSO_ISJ_E10value_typeEPSK_NS1_7vsmem_tEENKUlT_SI_SJ_SK_E_clISD_PtSD_S10_EESH_SX_SI_SJ_SK_EUlSX_E0_NS1_11comp_targetILNS1_3genE2ELNS1_11target_archE906ELNS1_3gpuE6ELNS1_3repE0EEENS1_38merge_mergepath_config_static_selectorELNS0_4arch9wavefront6targetE1EEEvSJ_.uses_vcc, 0
	.set _ZN7rocprim17ROCPRIM_400000_NS6detail17trampoline_kernelINS0_14default_configENS1_38merge_sort_block_merge_config_selectorIttEEZZNS1_27merge_sort_block_merge_implIS3_N6thrust23THRUST_200600_302600_NS6detail15normal_iteratorINS8_10device_ptrItEEEESD_jNS1_19radix_merge_compareILb0ELb1EtNS0_19identity_decomposerEEEEE10hipError_tT0_T1_T2_jT3_P12ihipStream_tbPNSt15iterator_traitsISI_E10value_typeEPNSO_ISJ_E10value_typeEPSK_NS1_7vsmem_tEENKUlT_SI_SJ_SK_E_clISD_PtSD_S10_EESH_SX_SI_SJ_SK_EUlSX_E0_NS1_11comp_targetILNS1_3genE2ELNS1_11target_archE906ELNS1_3gpuE6ELNS1_3repE0EEENS1_38merge_mergepath_config_static_selectorELNS0_4arch9wavefront6targetE1EEEvSJ_.uses_flat_scratch, 0
	.set _ZN7rocprim17ROCPRIM_400000_NS6detail17trampoline_kernelINS0_14default_configENS1_38merge_sort_block_merge_config_selectorIttEEZZNS1_27merge_sort_block_merge_implIS3_N6thrust23THRUST_200600_302600_NS6detail15normal_iteratorINS8_10device_ptrItEEEESD_jNS1_19radix_merge_compareILb0ELb1EtNS0_19identity_decomposerEEEEE10hipError_tT0_T1_T2_jT3_P12ihipStream_tbPNSt15iterator_traitsISI_E10value_typeEPNSO_ISJ_E10value_typeEPSK_NS1_7vsmem_tEENKUlT_SI_SJ_SK_E_clISD_PtSD_S10_EESH_SX_SI_SJ_SK_EUlSX_E0_NS1_11comp_targetILNS1_3genE2ELNS1_11target_archE906ELNS1_3gpuE6ELNS1_3repE0EEENS1_38merge_mergepath_config_static_selectorELNS0_4arch9wavefront6targetE1EEEvSJ_.has_dyn_sized_stack, 0
	.set _ZN7rocprim17ROCPRIM_400000_NS6detail17trampoline_kernelINS0_14default_configENS1_38merge_sort_block_merge_config_selectorIttEEZZNS1_27merge_sort_block_merge_implIS3_N6thrust23THRUST_200600_302600_NS6detail15normal_iteratorINS8_10device_ptrItEEEESD_jNS1_19radix_merge_compareILb0ELb1EtNS0_19identity_decomposerEEEEE10hipError_tT0_T1_T2_jT3_P12ihipStream_tbPNSt15iterator_traitsISI_E10value_typeEPNSO_ISJ_E10value_typeEPSK_NS1_7vsmem_tEENKUlT_SI_SJ_SK_E_clISD_PtSD_S10_EESH_SX_SI_SJ_SK_EUlSX_E0_NS1_11comp_targetILNS1_3genE2ELNS1_11target_archE906ELNS1_3gpuE6ELNS1_3repE0EEENS1_38merge_mergepath_config_static_selectorELNS0_4arch9wavefront6targetE1EEEvSJ_.has_recursion, 0
	.set _ZN7rocprim17ROCPRIM_400000_NS6detail17trampoline_kernelINS0_14default_configENS1_38merge_sort_block_merge_config_selectorIttEEZZNS1_27merge_sort_block_merge_implIS3_N6thrust23THRUST_200600_302600_NS6detail15normal_iteratorINS8_10device_ptrItEEEESD_jNS1_19radix_merge_compareILb0ELb1EtNS0_19identity_decomposerEEEEE10hipError_tT0_T1_T2_jT3_P12ihipStream_tbPNSt15iterator_traitsISI_E10value_typeEPNSO_ISJ_E10value_typeEPSK_NS1_7vsmem_tEENKUlT_SI_SJ_SK_E_clISD_PtSD_S10_EESH_SX_SI_SJ_SK_EUlSX_E0_NS1_11comp_targetILNS1_3genE2ELNS1_11target_archE906ELNS1_3gpuE6ELNS1_3repE0EEENS1_38merge_mergepath_config_static_selectorELNS0_4arch9wavefront6targetE1EEEvSJ_.has_indirect_call, 0
	.section	.AMDGPU.csdata,"",@progbits
; Kernel info:
; codeLenInByte = 0
; TotalNumSgprs: 6
; NumVgprs: 0
; NumAgprs: 0
; TotalNumVgprs: 0
; ScratchSize: 0
; MemoryBound: 0
; FloatMode: 240
; IeeeMode: 1
; LDSByteSize: 0 bytes/workgroup (compile time only)
; SGPRBlocks: 0
; VGPRBlocks: 0
; NumSGPRsForWavesPerEU: 6
; NumVGPRsForWavesPerEU: 1
; AccumOffset: 4
; Occupancy: 8
; WaveLimiterHint : 0
; COMPUTE_PGM_RSRC2:SCRATCH_EN: 0
; COMPUTE_PGM_RSRC2:USER_SGPR: 2
; COMPUTE_PGM_RSRC2:TRAP_HANDLER: 0
; COMPUTE_PGM_RSRC2:TGID_X_EN: 1
; COMPUTE_PGM_RSRC2:TGID_Y_EN: 0
; COMPUTE_PGM_RSRC2:TGID_Z_EN: 0
; COMPUTE_PGM_RSRC2:TIDIG_COMP_CNT: 0
; COMPUTE_PGM_RSRC3_GFX90A:ACCUM_OFFSET: 0
; COMPUTE_PGM_RSRC3_GFX90A:TG_SPLIT: 0
	.section	.text._ZN7rocprim17ROCPRIM_400000_NS6detail17trampoline_kernelINS0_14default_configENS1_38merge_sort_block_merge_config_selectorIttEEZZNS1_27merge_sort_block_merge_implIS3_N6thrust23THRUST_200600_302600_NS6detail15normal_iteratorINS8_10device_ptrItEEEESD_jNS1_19radix_merge_compareILb0ELb1EtNS0_19identity_decomposerEEEEE10hipError_tT0_T1_T2_jT3_P12ihipStream_tbPNSt15iterator_traitsISI_E10value_typeEPNSO_ISJ_E10value_typeEPSK_NS1_7vsmem_tEENKUlT_SI_SJ_SK_E_clISD_PtSD_S10_EESH_SX_SI_SJ_SK_EUlSX_E0_NS1_11comp_targetILNS1_3genE9ELNS1_11target_archE1100ELNS1_3gpuE3ELNS1_3repE0EEENS1_38merge_mergepath_config_static_selectorELNS0_4arch9wavefront6targetE1EEEvSJ_,"axG",@progbits,_ZN7rocprim17ROCPRIM_400000_NS6detail17trampoline_kernelINS0_14default_configENS1_38merge_sort_block_merge_config_selectorIttEEZZNS1_27merge_sort_block_merge_implIS3_N6thrust23THRUST_200600_302600_NS6detail15normal_iteratorINS8_10device_ptrItEEEESD_jNS1_19radix_merge_compareILb0ELb1EtNS0_19identity_decomposerEEEEE10hipError_tT0_T1_T2_jT3_P12ihipStream_tbPNSt15iterator_traitsISI_E10value_typeEPNSO_ISJ_E10value_typeEPSK_NS1_7vsmem_tEENKUlT_SI_SJ_SK_E_clISD_PtSD_S10_EESH_SX_SI_SJ_SK_EUlSX_E0_NS1_11comp_targetILNS1_3genE9ELNS1_11target_archE1100ELNS1_3gpuE3ELNS1_3repE0EEENS1_38merge_mergepath_config_static_selectorELNS0_4arch9wavefront6targetE1EEEvSJ_,comdat
	.protected	_ZN7rocprim17ROCPRIM_400000_NS6detail17trampoline_kernelINS0_14default_configENS1_38merge_sort_block_merge_config_selectorIttEEZZNS1_27merge_sort_block_merge_implIS3_N6thrust23THRUST_200600_302600_NS6detail15normal_iteratorINS8_10device_ptrItEEEESD_jNS1_19radix_merge_compareILb0ELb1EtNS0_19identity_decomposerEEEEE10hipError_tT0_T1_T2_jT3_P12ihipStream_tbPNSt15iterator_traitsISI_E10value_typeEPNSO_ISJ_E10value_typeEPSK_NS1_7vsmem_tEENKUlT_SI_SJ_SK_E_clISD_PtSD_S10_EESH_SX_SI_SJ_SK_EUlSX_E0_NS1_11comp_targetILNS1_3genE9ELNS1_11target_archE1100ELNS1_3gpuE3ELNS1_3repE0EEENS1_38merge_mergepath_config_static_selectorELNS0_4arch9wavefront6targetE1EEEvSJ_ ; -- Begin function _ZN7rocprim17ROCPRIM_400000_NS6detail17trampoline_kernelINS0_14default_configENS1_38merge_sort_block_merge_config_selectorIttEEZZNS1_27merge_sort_block_merge_implIS3_N6thrust23THRUST_200600_302600_NS6detail15normal_iteratorINS8_10device_ptrItEEEESD_jNS1_19radix_merge_compareILb0ELb1EtNS0_19identity_decomposerEEEEE10hipError_tT0_T1_T2_jT3_P12ihipStream_tbPNSt15iterator_traitsISI_E10value_typeEPNSO_ISJ_E10value_typeEPSK_NS1_7vsmem_tEENKUlT_SI_SJ_SK_E_clISD_PtSD_S10_EESH_SX_SI_SJ_SK_EUlSX_E0_NS1_11comp_targetILNS1_3genE9ELNS1_11target_archE1100ELNS1_3gpuE3ELNS1_3repE0EEENS1_38merge_mergepath_config_static_selectorELNS0_4arch9wavefront6targetE1EEEvSJ_
	.globl	_ZN7rocprim17ROCPRIM_400000_NS6detail17trampoline_kernelINS0_14default_configENS1_38merge_sort_block_merge_config_selectorIttEEZZNS1_27merge_sort_block_merge_implIS3_N6thrust23THRUST_200600_302600_NS6detail15normal_iteratorINS8_10device_ptrItEEEESD_jNS1_19radix_merge_compareILb0ELb1EtNS0_19identity_decomposerEEEEE10hipError_tT0_T1_T2_jT3_P12ihipStream_tbPNSt15iterator_traitsISI_E10value_typeEPNSO_ISJ_E10value_typeEPSK_NS1_7vsmem_tEENKUlT_SI_SJ_SK_E_clISD_PtSD_S10_EESH_SX_SI_SJ_SK_EUlSX_E0_NS1_11comp_targetILNS1_3genE9ELNS1_11target_archE1100ELNS1_3gpuE3ELNS1_3repE0EEENS1_38merge_mergepath_config_static_selectorELNS0_4arch9wavefront6targetE1EEEvSJ_
	.p2align	8
	.type	_ZN7rocprim17ROCPRIM_400000_NS6detail17trampoline_kernelINS0_14default_configENS1_38merge_sort_block_merge_config_selectorIttEEZZNS1_27merge_sort_block_merge_implIS3_N6thrust23THRUST_200600_302600_NS6detail15normal_iteratorINS8_10device_ptrItEEEESD_jNS1_19radix_merge_compareILb0ELb1EtNS0_19identity_decomposerEEEEE10hipError_tT0_T1_T2_jT3_P12ihipStream_tbPNSt15iterator_traitsISI_E10value_typeEPNSO_ISJ_E10value_typeEPSK_NS1_7vsmem_tEENKUlT_SI_SJ_SK_E_clISD_PtSD_S10_EESH_SX_SI_SJ_SK_EUlSX_E0_NS1_11comp_targetILNS1_3genE9ELNS1_11target_archE1100ELNS1_3gpuE3ELNS1_3repE0EEENS1_38merge_mergepath_config_static_selectorELNS0_4arch9wavefront6targetE1EEEvSJ_,@function
_ZN7rocprim17ROCPRIM_400000_NS6detail17trampoline_kernelINS0_14default_configENS1_38merge_sort_block_merge_config_selectorIttEEZZNS1_27merge_sort_block_merge_implIS3_N6thrust23THRUST_200600_302600_NS6detail15normal_iteratorINS8_10device_ptrItEEEESD_jNS1_19radix_merge_compareILb0ELb1EtNS0_19identity_decomposerEEEEE10hipError_tT0_T1_T2_jT3_P12ihipStream_tbPNSt15iterator_traitsISI_E10value_typeEPNSO_ISJ_E10value_typeEPSK_NS1_7vsmem_tEENKUlT_SI_SJ_SK_E_clISD_PtSD_S10_EESH_SX_SI_SJ_SK_EUlSX_E0_NS1_11comp_targetILNS1_3genE9ELNS1_11target_archE1100ELNS1_3gpuE3ELNS1_3repE0EEENS1_38merge_mergepath_config_static_selectorELNS0_4arch9wavefront6targetE1EEEvSJ_: ; @_ZN7rocprim17ROCPRIM_400000_NS6detail17trampoline_kernelINS0_14default_configENS1_38merge_sort_block_merge_config_selectorIttEEZZNS1_27merge_sort_block_merge_implIS3_N6thrust23THRUST_200600_302600_NS6detail15normal_iteratorINS8_10device_ptrItEEEESD_jNS1_19radix_merge_compareILb0ELb1EtNS0_19identity_decomposerEEEEE10hipError_tT0_T1_T2_jT3_P12ihipStream_tbPNSt15iterator_traitsISI_E10value_typeEPNSO_ISJ_E10value_typeEPSK_NS1_7vsmem_tEENKUlT_SI_SJ_SK_E_clISD_PtSD_S10_EESH_SX_SI_SJ_SK_EUlSX_E0_NS1_11comp_targetILNS1_3genE9ELNS1_11target_archE1100ELNS1_3gpuE3ELNS1_3repE0EEENS1_38merge_mergepath_config_static_selectorELNS0_4arch9wavefront6targetE1EEEvSJ_
; %bb.0:
	.section	.rodata,"a",@progbits
	.p2align	6, 0x0
	.amdhsa_kernel _ZN7rocprim17ROCPRIM_400000_NS6detail17trampoline_kernelINS0_14default_configENS1_38merge_sort_block_merge_config_selectorIttEEZZNS1_27merge_sort_block_merge_implIS3_N6thrust23THRUST_200600_302600_NS6detail15normal_iteratorINS8_10device_ptrItEEEESD_jNS1_19radix_merge_compareILb0ELb1EtNS0_19identity_decomposerEEEEE10hipError_tT0_T1_T2_jT3_P12ihipStream_tbPNSt15iterator_traitsISI_E10value_typeEPNSO_ISJ_E10value_typeEPSK_NS1_7vsmem_tEENKUlT_SI_SJ_SK_E_clISD_PtSD_S10_EESH_SX_SI_SJ_SK_EUlSX_E0_NS1_11comp_targetILNS1_3genE9ELNS1_11target_archE1100ELNS1_3gpuE3ELNS1_3repE0EEENS1_38merge_mergepath_config_static_selectorELNS0_4arch9wavefront6targetE1EEEvSJ_
		.amdhsa_group_segment_fixed_size 0
		.amdhsa_private_segment_fixed_size 0
		.amdhsa_kernarg_size 64
		.amdhsa_user_sgpr_count 2
		.amdhsa_user_sgpr_dispatch_ptr 0
		.amdhsa_user_sgpr_queue_ptr 0
		.amdhsa_user_sgpr_kernarg_segment_ptr 1
		.amdhsa_user_sgpr_dispatch_id 0
		.amdhsa_user_sgpr_kernarg_preload_length 0
		.amdhsa_user_sgpr_kernarg_preload_offset 0
		.amdhsa_user_sgpr_private_segment_size 0
		.amdhsa_uses_dynamic_stack 0
		.amdhsa_enable_private_segment 0
		.amdhsa_system_sgpr_workgroup_id_x 1
		.amdhsa_system_sgpr_workgroup_id_y 0
		.amdhsa_system_sgpr_workgroup_id_z 0
		.amdhsa_system_sgpr_workgroup_info 0
		.amdhsa_system_vgpr_workitem_id 0
		.amdhsa_next_free_vgpr 1
		.amdhsa_next_free_sgpr 0
		.amdhsa_accum_offset 4
		.amdhsa_reserve_vcc 0
		.amdhsa_float_round_mode_32 0
		.amdhsa_float_round_mode_16_64 0
		.amdhsa_float_denorm_mode_32 3
		.amdhsa_float_denorm_mode_16_64 3
		.amdhsa_dx10_clamp 1
		.amdhsa_ieee_mode 1
		.amdhsa_fp16_overflow 0
		.amdhsa_tg_split 0
		.amdhsa_exception_fp_ieee_invalid_op 0
		.amdhsa_exception_fp_denorm_src 0
		.amdhsa_exception_fp_ieee_div_zero 0
		.amdhsa_exception_fp_ieee_overflow 0
		.amdhsa_exception_fp_ieee_underflow 0
		.amdhsa_exception_fp_ieee_inexact 0
		.amdhsa_exception_int_div_zero 0
	.end_amdhsa_kernel
	.section	.text._ZN7rocprim17ROCPRIM_400000_NS6detail17trampoline_kernelINS0_14default_configENS1_38merge_sort_block_merge_config_selectorIttEEZZNS1_27merge_sort_block_merge_implIS3_N6thrust23THRUST_200600_302600_NS6detail15normal_iteratorINS8_10device_ptrItEEEESD_jNS1_19radix_merge_compareILb0ELb1EtNS0_19identity_decomposerEEEEE10hipError_tT0_T1_T2_jT3_P12ihipStream_tbPNSt15iterator_traitsISI_E10value_typeEPNSO_ISJ_E10value_typeEPSK_NS1_7vsmem_tEENKUlT_SI_SJ_SK_E_clISD_PtSD_S10_EESH_SX_SI_SJ_SK_EUlSX_E0_NS1_11comp_targetILNS1_3genE9ELNS1_11target_archE1100ELNS1_3gpuE3ELNS1_3repE0EEENS1_38merge_mergepath_config_static_selectorELNS0_4arch9wavefront6targetE1EEEvSJ_,"axG",@progbits,_ZN7rocprim17ROCPRIM_400000_NS6detail17trampoline_kernelINS0_14default_configENS1_38merge_sort_block_merge_config_selectorIttEEZZNS1_27merge_sort_block_merge_implIS3_N6thrust23THRUST_200600_302600_NS6detail15normal_iteratorINS8_10device_ptrItEEEESD_jNS1_19radix_merge_compareILb0ELb1EtNS0_19identity_decomposerEEEEE10hipError_tT0_T1_T2_jT3_P12ihipStream_tbPNSt15iterator_traitsISI_E10value_typeEPNSO_ISJ_E10value_typeEPSK_NS1_7vsmem_tEENKUlT_SI_SJ_SK_E_clISD_PtSD_S10_EESH_SX_SI_SJ_SK_EUlSX_E0_NS1_11comp_targetILNS1_3genE9ELNS1_11target_archE1100ELNS1_3gpuE3ELNS1_3repE0EEENS1_38merge_mergepath_config_static_selectorELNS0_4arch9wavefront6targetE1EEEvSJ_,comdat
.Lfunc_end937:
	.size	_ZN7rocprim17ROCPRIM_400000_NS6detail17trampoline_kernelINS0_14default_configENS1_38merge_sort_block_merge_config_selectorIttEEZZNS1_27merge_sort_block_merge_implIS3_N6thrust23THRUST_200600_302600_NS6detail15normal_iteratorINS8_10device_ptrItEEEESD_jNS1_19radix_merge_compareILb0ELb1EtNS0_19identity_decomposerEEEEE10hipError_tT0_T1_T2_jT3_P12ihipStream_tbPNSt15iterator_traitsISI_E10value_typeEPNSO_ISJ_E10value_typeEPSK_NS1_7vsmem_tEENKUlT_SI_SJ_SK_E_clISD_PtSD_S10_EESH_SX_SI_SJ_SK_EUlSX_E0_NS1_11comp_targetILNS1_3genE9ELNS1_11target_archE1100ELNS1_3gpuE3ELNS1_3repE0EEENS1_38merge_mergepath_config_static_selectorELNS0_4arch9wavefront6targetE1EEEvSJ_, .Lfunc_end937-_ZN7rocprim17ROCPRIM_400000_NS6detail17trampoline_kernelINS0_14default_configENS1_38merge_sort_block_merge_config_selectorIttEEZZNS1_27merge_sort_block_merge_implIS3_N6thrust23THRUST_200600_302600_NS6detail15normal_iteratorINS8_10device_ptrItEEEESD_jNS1_19radix_merge_compareILb0ELb1EtNS0_19identity_decomposerEEEEE10hipError_tT0_T1_T2_jT3_P12ihipStream_tbPNSt15iterator_traitsISI_E10value_typeEPNSO_ISJ_E10value_typeEPSK_NS1_7vsmem_tEENKUlT_SI_SJ_SK_E_clISD_PtSD_S10_EESH_SX_SI_SJ_SK_EUlSX_E0_NS1_11comp_targetILNS1_3genE9ELNS1_11target_archE1100ELNS1_3gpuE3ELNS1_3repE0EEENS1_38merge_mergepath_config_static_selectorELNS0_4arch9wavefront6targetE1EEEvSJ_
                                        ; -- End function
	.set _ZN7rocprim17ROCPRIM_400000_NS6detail17trampoline_kernelINS0_14default_configENS1_38merge_sort_block_merge_config_selectorIttEEZZNS1_27merge_sort_block_merge_implIS3_N6thrust23THRUST_200600_302600_NS6detail15normal_iteratorINS8_10device_ptrItEEEESD_jNS1_19radix_merge_compareILb0ELb1EtNS0_19identity_decomposerEEEEE10hipError_tT0_T1_T2_jT3_P12ihipStream_tbPNSt15iterator_traitsISI_E10value_typeEPNSO_ISJ_E10value_typeEPSK_NS1_7vsmem_tEENKUlT_SI_SJ_SK_E_clISD_PtSD_S10_EESH_SX_SI_SJ_SK_EUlSX_E0_NS1_11comp_targetILNS1_3genE9ELNS1_11target_archE1100ELNS1_3gpuE3ELNS1_3repE0EEENS1_38merge_mergepath_config_static_selectorELNS0_4arch9wavefront6targetE1EEEvSJ_.num_vgpr, 0
	.set _ZN7rocprim17ROCPRIM_400000_NS6detail17trampoline_kernelINS0_14default_configENS1_38merge_sort_block_merge_config_selectorIttEEZZNS1_27merge_sort_block_merge_implIS3_N6thrust23THRUST_200600_302600_NS6detail15normal_iteratorINS8_10device_ptrItEEEESD_jNS1_19radix_merge_compareILb0ELb1EtNS0_19identity_decomposerEEEEE10hipError_tT0_T1_T2_jT3_P12ihipStream_tbPNSt15iterator_traitsISI_E10value_typeEPNSO_ISJ_E10value_typeEPSK_NS1_7vsmem_tEENKUlT_SI_SJ_SK_E_clISD_PtSD_S10_EESH_SX_SI_SJ_SK_EUlSX_E0_NS1_11comp_targetILNS1_3genE9ELNS1_11target_archE1100ELNS1_3gpuE3ELNS1_3repE0EEENS1_38merge_mergepath_config_static_selectorELNS0_4arch9wavefront6targetE1EEEvSJ_.num_agpr, 0
	.set _ZN7rocprim17ROCPRIM_400000_NS6detail17trampoline_kernelINS0_14default_configENS1_38merge_sort_block_merge_config_selectorIttEEZZNS1_27merge_sort_block_merge_implIS3_N6thrust23THRUST_200600_302600_NS6detail15normal_iteratorINS8_10device_ptrItEEEESD_jNS1_19radix_merge_compareILb0ELb1EtNS0_19identity_decomposerEEEEE10hipError_tT0_T1_T2_jT3_P12ihipStream_tbPNSt15iterator_traitsISI_E10value_typeEPNSO_ISJ_E10value_typeEPSK_NS1_7vsmem_tEENKUlT_SI_SJ_SK_E_clISD_PtSD_S10_EESH_SX_SI_SJ_SK_EUlSX_E0_NS1_11comp_targetILNS1_3genE9ELNS1_11target_archE1100ELNS1_3gpuE3ELNS1_3repE0EEENS1_38merge_mergepath_config_static_selectorELNS0_4arch9wavefront6targetE1EEEvSJ_.numbered_sgpr, 0
	.set _ZN7rocprim17ROCPRIM_400000_NS6detail17trampoline_kernelINS0_14default_configENS1_38merge_sort_block_merge_config_selectorIttEEZZNS1_27merge_sort_block_merge_implIS3_N6thrust23THRUST_200600_302600_NS6detail15normal_iteratorINS8_10device_ptrItEEEESD_jNS1_19radix_merge_compareILb0ELb1EtNS0_19identity_decomposerEEEEE10hipError_tT0_T1_T2_jT3_P12ihipStream_tbPNSt15iterator_traitsISI_E10value_typeEPNSO_ISJ_E10value_typeEPSK_NS1_7vsmem_tEENKUlT_SI_SJ_SK_E_clISD_PtSD_S10_EESH_SX_SI_SJ_SK_EUlSX_E0_NS1_11comp_targetILNS1_3genE9ELNS1_11target_archE1100ELNS1_3gpuE3ELNS1_3repE0EEENS1_38merge_mergepath_config_static_selectorELNS0_4arch9wavefront6targetE1EEEvSJ_.num_named_barrier, 0
	.set _ZN7rocprim17ROCPRIM_400000_NS6detail17trampoline_kernelINS0_14default_configENS1_38merge_sort_block_merge_config_selectorIttEEZZNS1_27merge_sort_block_merge_implIS3_N6thrust23THRUST_200600_302600_NS6detail15normal_iteratorINS8_10device_ptrItEEEESD_jNS1_19radix_merge_compareILb0ELb1EtNS0_19identity_decomposerEEEEE10hipError_tT0_T1_T2_jT3_P12ihipStream_tbPNSt15iterator_traitsISI_E10value_typeEPNSO_ISJ_E10value_typeEPSK_NS1_7vsmem_tEENKUlT_SI_SJ_SK_E_clISD_PtSD_S10_EESH_SX_SI_SJ_SK_EUlSX_E0_NS1_11comp_targetILNS1_3genE9ELNS1_11target_archE1100ELNS1_3gpuE3ELNS1_3repE0EEENS1_38merge_mergepath_config_static_selectorELNS0_4arch9wavefront6targetE1EEEvSJ_.private_seg_size, 0
	.set _ZN7rocprim17ROCPRIM_400000_NS6detail17trampoline_kernelINS0_14default_configENS1_38merge_sort_block_merge_config_selectorIttEEZZNS1_27merge_sort_block_merge_implIS3_N6thrust23THRUST_200600_302600_NS6detail15normal_iteratorINS8_10device_ptrItEEEESD_jNS1_19radix_merge_compareILb0ELb1EtNS0_19identity_decomposerEEEEE10hipError_tT0_T1_T2_jT3_P12ihipStream_tbPNSt15iterator_traitsISI_E10value_typeEPNSO_ISJ_E10value_typeEPSK_NS1_7vsmem_tEENKUlT_SI_SJ_SK_E_clISD_PtSD_S10_EESH_SX_SI_SJ_SK_EUlSX_E0_NS1_11comp_targetILNS1_3genE9ELNS1_11target_archE1100ELNS1_3gpuE3ELNS1_3repE0EEENS1_38merge_mergepath_config_static_selectorELNS0_4arch9wavefront6targetE1EEEvSJ_.uses_vcc, 0
	.set _ZN7rocprim17ROCPRIM_400000_NS6detail17trampoline_kernelINS0_14default_configENS1_38merge_sort_block_merge_config_selectorIttEEZZNS1_27merge_sort_block_merge_implIS3_N6thrust23THRUST_200600_302600_NS6detail15normal_iteratorINS8_10device_ptrItEEEESD_jNS1_19radix_merge_compareILb0ELb1EtNS0_19identity_decomposerEEEEE10hipError_tT0_T1_T2_jT3_P12ihipStream_tbPNSt15iterator_traitsISI_E10value_typeEPNSO_ISJ_E10value_typeEPSK_NS1_7vsmem_tEENKUlT_SI_SJ_SK_E_clISD_PtSD_S10_EESH_SX_SI_SJ_SK_EUlSX_E0_NS1_11comp_targetILNS1_3genE9ELNS1_11target_archE1100ELNS1_3gpuE3ELNS1_3repE0EEENS1_38merge_mergepath_config_static_selectorELNS0_4arch9wavefront6targetE1EEEvSJ_.uses_flat_scratch, 0
	.set _ZN7rocprim17ROCPRIM_400000_NS6detail17trampoline_kernelINS0_14default_configENS1_38merge_sort_block_merge_config_selectorIttEEZZNS1_27merge_sort_block_merge_implIS3_N6thrust23THRUST_200600_302600_NS6detail15normal_iteratorINS8_10device_ptrItEEEESD_jNS1_19radix_merge_compareILb0ELb1EtNS0_19identity_decomposerEEEEE10hipError_tT0_T1_T2_jT3_P12ihipStream_tbPNSt15iterator_traitsISI_E10value_typeEPNSO_ISJ_E10value_typeEPSK_NS1_7vsmem_tEENKUlT_SI_SJ_SK_E_clISD_PtSD_S10_EESH_SX_SI_SJ_SK_EUlSX_E0_NS1_11comp_targetILNS1_3genE9ELNS1_11target_archE1100ELNS1_3gpuE3ELNS1_3repE0EEENS1_38merge_mergepath_config_static_selectorELNS0_4arch9wavefront6targetE1EEEvSJ_.has_dyn_sized_stack, 0
	.set _ZN7rocprim17ROCPRIM_400000_NS6detail17trampoline_kernelINS0_14default_configENS1_38merge_sort_block_merge_config_selectorIttEEZZNS1_27merge_sort_block_merge_implIS3_N6thrust23THRUST_200600_302600_NS6detail15normal_iteratorINS8_10device_ptrItEEEESD_jNS1_19radix_merge_compareILb0ELb1EtNS0_19identity_decomposerEEEEE10hipError_tT0_T1_T2_jT3_P12ihipStream_tbPNSt15iterator_traitsISI_E10value_typeEPNSO_ISJ_E10value_typeEPSK_NS1_7vsmem_tEENKUlT_SI_SJ_SK_E_clISD_PtSD_S10_EESH_SX_SI_SJ_SK_EUlSX_E0_NS1_11comp_targetILNS1_3genE9ELNS1_11target_archE1100ELNS1_3gpuE3ELNS1_3repE0EEENS1_38merge_mergepath_config_static_selectorELNS0_4arch9wavefront6targetE1EEEvSJ_.has_recursion, 0
	.set _ZN7rocprim17ROCPRIM_400000_NS6detail17trampoline_kernelINS0_14default_configENS1_38merge_sort_block_merge_config_selectorIttEEZZNS1_27merge_sort_block_merge_implIS3_N6thrust23THRUST_200600_302600_NS6detail15normal_iteratorINS8_10device_ptrItEEEESD_jNS1_19radix_merge_compareILb0ELb1EtNS0_19identity_decomposerEEEEE10hipError_tT0_T1_T2_jT3_P12ihipStream_tbPNSt15iterator_traitsISI_E10value_typeEPNSO_ISJ_E10value_typeEPSK_NS1_7vsmem_tEENKUlT_SI_SJ_SK_E_clISD_PtSD_S10_EESH_SX_SI_SJ_SK_EUlSX_E0_NS1_11comp_targetILNS1_3genE9ELNS1_11target_archE1100ELNS1_3gpuE3ELNS1_3repE0EEENS1_38merge_mergepath_config_static_selectorELNS0_4arch9wavefront6targetE1EEEvSJ_.has_indirect_call, 0
	.section	.AMDGPU.csdata,"",@progbits
; Kernel info:
; codeLenInByte = 0
; TotalNumSgprs: 6
; NumVgprs: 0
; NumAgprs: 0
; TotalNumVgprs: 0
; ScratchSize: 0
; MemoryBound: 0
; FloatMode: 240
; IeeeMode: 1
; LDSByteSize: 0 bytes/workgroup (compile time only)
; SGPRBlocks: 0
; VGPRBlocks: 0
; NumSGPRsForWavesPerEU: 6
; NumVGPRsForWavesPerEU: 1
; AccumOffset: 4
; Occupancy: 8
; WaveLimiterHint : 0
; COMPUTE_PGM_RSRC2:SCRATCH_EN: 0
; COMPUTE_PGM_RSRC2:USER_SGPR: 2
; COMPUTE_PGM_RSRC2:TRAP_HANDLER: 0
; COMPUTE_PGM_RSRC2:TGID_X_EN: 1
; COMPUTE_PGM_RSRC2:TGID_Y_EN: 0
; COMPUTE_PGM_RSRC2:TGID_Z_EN: 0
; COMPUTE_PGM_RSRC2:TIDIG_COMP_CNT: 0
; COMPUTE_PGM_RSRC3_GFX90A:ACCUM_OFFSET: 0
; COMPUTE_PGM_RSRC3_GFX90A:TG_SPLIT: 0
	.section	.text._ZN7rocprim17ROCPRIM_400000_NS6detail17trampoline_kernelINS0_14default_configENS1_38merge_sort_block_merge_config_selectorIttEEZZNS1_27merge_sort_block_merge_implIS3_N6thrust23THRUST_200600_302600_NS6detail15normal_iteratorINS8_10device_ptrItEEEESD_jNS1_19radix_merge_compareILb0ELb1EtNS0_19identity_decomposerEEEEE10hipError_tT0_T1_T2_jT3_P12ihipStream_tbPNSt15iterator_traitsISI_E10value_typeEPNSO_ISJ_E10value_typeEPSK_NS1_7vsmem_tEENKUlT_SI_SJ_SK_E_clISD_PtSD_S10_EESH_SX_SI_SJ_SK_EUlSX_E0_NS1_11comp_targetILNS1_3genE8ELNS1_11target_archE1030ELNS1_3gpuE2ELNS1_3repE0EEENS1_38merge_mergepath_config_static_selectorELNS0_4arch9wavefront6targetE1EEEvSJ_,"axG",@progbits,_ZN7rocprim17ROCPRIM_400000_NS6detail17trampoline_kernelINS0_14default_configENS1_38merge_sort_block_merge_config_selectorIttEEZZNS1_27merge_sort_block_merge_implIS3_N6thrust23THRUST_200600_302600_NS6detail15normal_iteratorINS8_10device_ptrItEEEESD_jNS1_19radix_merge_compareILb0ELb1EtNS0_19identity_decomposerEEEEE10hipError_tT0_T1_T2_jT3_P12ihipStream_tbPNSt15iterator_traitsISI_E10value_typeEPNSO_ISJ_E10value_typeEPSK_NS1_7vsmem_tEENKUlT_SI_SJ_SK_E_clISD_PtSD_S10_EESH_SX_SI_SJ_SK_EUlSX_E0_NS1_11comp_targetILNS1_3genE8ELNS1_11target_archE1030ELNS1_3gpuE2ELNS1_3repE0EEENS1_38merge_mergepath_config_static_selectorELNS0_4arch9wavefront6targetE1EEEvSJ_,comdat
	.protected	_ZN7rocprim17ROCPRIM_400000_NS6detail17trampoline_kernelINS0_14default_configENS1_38merge_sort_block_merge_config_selectorIttEEZZNS1_27merge_sort_block_merge_implIS3_N6thrust23THRUST_200600_302600_NS6detail15normal_iteratorINS8_10device_ptrItEEEESD_jNS1_19radix_merge_compareILb0ELb1EtNS0_19identity_decomposerEEEEE10hipError_tT0_T1_T2_jT3_P12ihipStream_tbPNSt15iterator_traitsISI_E10value_typeEPNSO_ISJ_E10value_typeEPSK_NS1_7vsmem_tEENKUlT_SI_SJ_SK_E_clISD_PtSD_S10_EESH_SX_SI_SJ_SK_EUlSX_E0_NS1_11comp_targetILNS1_3genE8ELNS1_11target_archE1030ELNS1_3gpuE2ELNS1_3repE0EEENS1_38merge_mergepath_config_static_selectorELNS0_4arch9wavefront6targetE1EEEvSJ_ ; -- Begin function _ZN7rocprim17ROCPRIM_400000_NS6detail17trampoline_kernelINS0_14default_configENS1_38merge_sort_block_merge_config_selectorIttEEZZNS1_27merge_sort_block_merge_implIS3_N6thrust23THRUST_200600_302600_NS6detail15normal_iteratorINS8_10device_ptrItEEEESD_jNS1_19radix_merge_compareILb0ELb1EtNS0_19identity_decomposerEEEEE10hipError_tT0_T1_T2_jT3_P12ihipStream_tbPNSt15iterator_traitsISI_E10value_typeEPNSO_ISJ_E10value_typeEPSK_NS1_7vsmem_tEENKUlT_SI_SJ_SK_E_clISD_PtSD_S10_EESH_SX_SI_SJ_SK_EUlSX_E0_NS1_11comp_targetILNS1_3genE8ELNS1_11target_archE1030ELNS1_3gpuE2ELNS1_3repE0EEENS1_38merge_mergepath_config_static_selectorELNS0_4arch9wavefront6targetE1EEEvSJ_
	.globl	_ZN7rocprim17ROCPRIM_400000_NS6detail17trampoline_kernelINS0_14default_configENS1_38merge_sort_block_merge_config_selectorIttEEZZNS1_27merge_sort_block_merge_implIS3_N6thrust23THRUST_200600_302600_NS6detail15normal_iteratorINS8_10device_ptrItEEEESD_jNS1_19radix_merge_compareILb0ELb1EtNS0_19identity_decomposerEEEEE10hipError_tT0_T1_T2_jT3_P12ihipStream_tbPNSt15iterator_traitsISI_E10value_typeEPNSO_ISJ_E10value_typeEPSK_NS1_7vsmem_tEENKUlT_SI_SJ_SK_E_clISD_PtSD_S10_EESH_SX_SI_SJ_SK_EUlSX_E0_NS1_11comp_targetILNS1_3genE8ELNS1_11target_archE1030ELNS1_3gpuE2ELNS1_3repE0EEENS1_38merge_mergepath_config_static_selectorELNS0_4arch9wavefront6targetE1EEEvSJ_
	.p2align	8
	.type	_ZN7rocprim17ROCPRIM_400000_NS6detail17trampoline_kernelINS0_14default_configENS1_38merge_sort_block_merge_config_selectorIttEEZZNS1_27merge_sort_block_merge_implIS3_N6thrust23THRUST_200600_302600_NS6detail15normal_iteratorINS8_10device_ptrItEEEESD_jNS1_19radix_merge_compareILb0ELb1EtNS0_19identity_decomposerEEEEE10hipError_tT0_T1_T2_jT3_P12ihipStream_tbPNSt15iterator_traitsISI_E10value_typeEPNSO_ISJ_E10value_typeEPSK_NS1_7vsmem_tEENKUlT_SI_SJ_SK_E_clISD_PtSD_S10_EESH_SX_SI_SJ_SK_EUlSX_E0_NS1_11comp_targetILNS1_3genE8ELNS1_11target_archE1030ELNS1_3gpuE2ELNS1_3repE0EEENS1_38merge_mergepath_config_static_selectorELNS0_4arch9wavefront6targetE1EEEvSJ_,@function
_ZN7rocprim17ROCPRIM_400000_NS6detail17trampoline_kernelINS0_14default_configENS1_38merge_sort_block_merge_config_selectorIttEEZZNS1_27merge_sort_block_merge_implIS3_N6thrust23THRUST_200600_302600_NS6detail15normal_iteratorINS8_10device_ptrItEEEESD_jNS1_19radix_merge_compareILb0ELb1EtNS0_19identity_decomposerEEEEE10hipError_tT0_T1_T2_jT3_P12ihipStream_tbPNSt15iterator_traitsISI_E10value_typeEPNSO_ISJ_E10value_typeEPSK_NS1_7vsmem_tEENKUlT_SI_SJ_SK_E_clISD_PtSD_S10_EESH_SX_SI_SJ_SK_EUlSX_E0_NS1_11comp_targetILNS1_3genE8ELNS1_11target_archE1030ELNS1_3gpuE2ELNS1_3repE0EEENS1_38merge_mergepath_config_static_selectorELNS0_4arch9wavefront6targetE1EEEvSJ_: ; @_ZN7rocprim17ROCPRIM_400000_NS6detail17trampoline_kernelINS0_14default_configENS1_38merge_sort_block_merge_config_selectorIttEEZZNS1_27merge_sort_block_merge_implIS3_N6thrust23THRUST_200600_302600_NS6detail15normal_iteratorINS8_10device_ptrItEEEESD_jNS1_19radix_merge_compareILb0ELb1EtNS0_19identity_decomposerEEEEE10hipError_tT0_T1_T2_jT3_P12ihipStream_tbPNSt15iterator_traitsISI_E10value_typeEPNSO_ISJ_E10value_typeEPSK_NS1_7vsmem_tEENKUlT_SI_SJ_SK_E_clISD_PtSD_S10_EESH_SX_SI_SJ_SK_EUlSX_E0_NS1_11comp_targetILNS1_3genE8ELNS1_11target_archE1030ELNS1_3gpuE2ELNS1_3repE0EEENS1_38merge_mergepath_config_static_selectorELNS0_4arch9wavefront6targetE1EEEvSJ_
; %bb.0:
	.section	.rodata,"a",@progbits
	.p2align	6, 0x0
	.amdhsa_kernel _ZN7rocprim17ROCPRIM_400000_NS6detail17trampoline_kernelINS0_14default_configENS1_38merge_sort_block_merge_config_selectorIttEEZZNS1_27merge_sort_block_merge_implIS3_N6thrust23THRUST_200600_302600_NS6detail15normal_iteratorINS8_10device_ptrItEEEESD_jNS1_19radix_merge_compareILb0ELb1EtNS0_19identity_decomposerEEEEE10hipError_tT0_T1_T2_jT3_P12ihipStream_tbPNSt15iterator_traitsISI_E10value_typeEPNSO_ISJ_E10value_typeEPSK_NS1_7vsmem_tEENKUlT_SI_SJ_SK_E_clISD_PtSD_S10_EESH_SX_SI_SJ_SK_EUlSX_E0_NS1_11comp_targetILNS1_3genE8ELNS1_11target_archE1030ELNS1_3gpuE2ELNS1_3repE0EEENS1_38merge_mergepath_config_static_selectorELNS0_4arch9wavefront6targetE1EEEvSJ_
		.amdhsa_group_segment_fixed_size 0
		.amdhsa_private_segment_fixed_size 0
		.amdhsa_kernarg_size 64
		.amdhsa_user_sgpr_count 2
		.amdhsa_user_sgpr_dispatch_ptr 0
		.amdhsa_user_sgpr_queue_ptr 0
		.amdhsa_user_sgpr_kernarg_segment_ptr 1
		.amdhsa_user_sgpr_dispatch_id 0
		.amdhsa_user_sgpr_kernarg_preload_length 0
		.amdhsa_user_sgpr_kernarg_preload_offset 0
		.amdhsa_user_sgpr_private_segment_size 0
		.amdhsa_uses_dynamic_stack 0
		.amdhsa_enable_private_segment 0
		.amdhsa_system_sgpr_workgroup_id_x 1
		.amdhsa_system_sgpr_workgroup_id_y 0
		.amdhsa_system_sgpr_workgroup_id_z 0
		.amdhsa_system_sgpr_workgroup_info 0
		.amdhsa_system_vgpr_workitem_id 0
		.amdhsa_next_free_vgpr 1
		.amdhsa_next_free_sgpr 0
		.amdhsa_accum_offset 4
		.amdhsa_reserve_vcc 0
		.amdhsa_float_round_mode_32 0
		.amdhsa_float_round_mode_16_64 0
		.amdhsa_float_denorm_mode_32 3
		.amdhsa_float_denorm_mode_16_64 3
		.amdhsa_dx10_clamp 1
		.amdhsa_ieee_mode 1
		.amdhsa_fp16_overflow 0
		.amdhsa_tg_split 0
		.amdhsa_exception_fp_ieee_invalid_op 0
		.amdhsa_exception_fp_denorm_src 0
		.amdhsa_exception_fp_ieee_div_zero 0
		.amdhsa_exception_fp_ieee_overflow 0
		.amdhsa_exception_fp_ieee_underflow 0
		.amdhsa_exception_fp_ieee_inexact 0
		.amdhsa_exception_int_div_zero 0
	.end_amdhsa_kernel
	.section	.text._ZN7rocprim17ROCPRIM_400000_NS6detail17trampoline_kernelINS0_14default_configENS1_38merge_sort_block_merge_config_selectorIttEEZZNS1_27merge_sort_block_merge_implIS3_N6thrust23THRUST_200600_302600_NS6detail15normal_iteratorINS8_10device_ptrItEEEESD_jNS1_19radix_merge_compareILb0ELb1EtNS0_19identity_decomposerEEEEE10hipError_tT0_T1_T2_jT3_P12ihipStream_tbPNSt15iterator_traitsISI_E10value_typeEPNSO_ISJ_E10value_typeEPSK_NS1_7vsmem_tEENKUlT_SI_SJ_SK_E_clISD_PtSD_S10_EESH_SX_SI_SJ_SK_EUlSX_E0_NS1_11comp_targetILNS1_3genE8ELNS1_11target_archE1030ELNS1_3gpuE2ELNS1_3repE0EEENS1_38merge_mergepath_config_static_selectorELNS0_4arch9wavefront6targetE1EEEvSJ_,"axG",@progbits,_ZN7rocprim17ROCPRIM_400000_NS6detail17trampoline_kernelINS0_14default_configENS1_38merge_sort_block_merge_config_selectorIttEEZZNS1_27merge_sort_block_merge_implIS3_N6thrust23THRUST_200600_302600_NS6detail15normal_iteratorINS8_10device_ptrItEEEESD_jNS1_19radix_merge_compareILb0ELb1EtNS0_19identity_decomposerEEEEE10hipError_tT0_T1_T2_jT3_P12ihipStream_tbPNSt15iterator_traitsISI_E10value_typeEPNSO_ISJ_E10value_typeEPSK_NS1_7vsmem_tEENKUlT_SI_SJ_SK_E_clISD_PtSD_S10_EESH_SX_SI_SJ_SK_EUlSX_E0_NS1_11comp_targetILNS1_3genE8ELNS1_11target_archE1030ELNS1_3gpuE2ELNS1_3repE0EEENS1_38merge_mergepath_config_static_selectorELNS0_4arch9wavefront6targetE1EEEvSJ_,comdat
.Lfunc_end938:
	.size	_ZN7rocprim17ROCPRIM_400000_NS6detail17trampoline_kernelINS0_14default_configENS1_38merge_sort_block_merge_config_selectorIttEEZZNS1_27merge_sort_block_merge_implIS3_N6thrust23THRUST_200600_302600_NS6detail15normal_iteratorINS8_10device_ptrItEEEESD_jNS1_19radix_merge_compareILb0ELb1EtNS0_19identity_decomposerEEEEE10hipError_tT0_T1_T2_jT3_P12ihipStream_tbPNSt15iterator_traitsISI_E10value_typeEPNSO_ISJ_E10value_typeEPSK_NS1_7vsmem_tEENKUlT_SI_SJ_SK_E_clISD_PtSD_S10_EESH_SX_SI_SJ_SK_EUlSX_E0_NS1_11comp_targetILNS1_3genE8ELNS1_11target_archE1030ELNS1_3gpuE2ELNS1_3repE0EEENS1_38merge_mergepath_config_static_selectorELNS0_4arch9wavefront6targetE1EEEvSJ_, .Lfunc_end938-_ZN7rocprim17ROCPRIM_400000_NS6detail17trampoline_kernelINS0_14default_configENS1_38merge_sort_block_merge_config_selectorIttEEZZNS1_27merge_sort_block_merge_implIS3_N6thrust23THRUST_200600_302600_NS6detail15normal_iteratorINS8_10device_ptrItEEEESD_jNS1_19radix_merge_compareILb0ELb1EtNS0_19identity_decomposerEEEEE10hipError_tT0_T1_T2_jT3_P12ihipStream_tbPNSt15iterator_traitsISI_E10value_typeEPNSO_ISJ_E10value_typeEPSK_NS1_7vsmem_tEENKUlT_SI_SJ_SK_E_clISD_PtSD_S10_EESH_SX_SI_SJ_SK_EUlSX_E0_NS1_11comp_targetILNS1_3genE8ELNS1_11target_archE1030ELNS1_3gpuE2ELNS1_3repE0EEENS1_38merge_mergepath_config_static_selectorELNS0_4arch9wavefront6targetE1EEEvSJ_
                                        ; -- End function
	.set _ZN7rocprim17ROCPRIM_400000_NS6detail17trampoline_kernelINS0_14default_configENS1_38merge_sort_block_merge_config_selectorIttEEZZNS1_27merge_sort_block_merge_implIS3_N6thrust23THRUST_200600_302600_NS6detail15normal_iteratorINS8_10device_ptrItEEEESD_jNS1_19radix_merge_compareILb0ELb1EtNS0_19identity_decomposerEEEEE10hipError_tT0_T1_T2_jT3_P12ihipStream_tbPNSt15iterator_traitsISI_E10value_typeEPNSO_ISJ_E10value_typeEPSK_NS1_7vsmem_tEENKUlT_SI_SJ_SK_E_clISD_PtSD_S10_EESH_SX_SI_SJ_SK_EUlSX_E0_NS1_11comp_targetILNS1_3genE8ELNS1_11target_archE1030ELNS1_3gpuE2ELNS1_3repE0EEENS1_38merge_mergepath_config_static_selectorELNS0_4arch9wavefront6targetE1EEEvSJ_.num_vgpr, 0
	.set _ZN7rocprim17ROCPRIM_400000_NS6detail17trampoline_kernelINS0_14default_configENS1_38merge_sort_block_merge_config_selectorIttEEZZNS1_27merge_sort_block_merge_implIS3_N6thrust23THRUST_200600_302600_NS6detail15normal_iteratorINS8_10device_ptrItEEEESD_jNS1_19radix_merge_compareILb0ELb1EtNS0_19identity_decomposerEEEEE10hipError_tT0_T1_T2_jT3_P12ihipStream_tbPNSt15iterator_traitsISI_E10value_typeEPNSO_ISJ_E10value_typeEPSK_NS1_7vsmem_tEENKUlT_SI_SJ_SK_E_clISD_PtSD_S10_EESH_SX_SI_SJ_SK_EUlSX_E0_NS1_11comp_targetILNS1_3genE8ELNS1_11target_archE1030ELNS1_3gpuE2ELNS1_3repE0EEENS1_38merge_mergepath_config_static_selectorELNS0_4arch9wavefront6targetE1EEEvSJ_.num_agpr, 0
	.set _ZN7rocprim17ROCPRIM_400000_NS6detail17trampoline_kernelINS0_14default_configENS1_38merge_sort_block_merge_config_selectorIttEEZZNS1_27merge_sort_block_merge_implIS3_N6thrust23THRUST_200600_302600_NS6detail15normal_iteratorINS8_10device_ptrItEEEESD_jNS1_19radix_merge_compareILb0ELb1EtNS0_19identity_decomposerEEEEE10hipError_tT0_T1_T2_jT3_P12ihipStream_tbPNSt15iterator_traitsISI_E10value_typeEPNSO_ISJ_E10value_typeEPSK_NS1_7vsmem_tEENKUlT_SI_SJ_SK_E_clISD_PtSD_S10_EESH_SX_SI_SJ_SK_EUlSX_E0_NS1_11comp_targetILNS1_3genE8ELNS1_11target_archE1030ELNS1_3gpuE2ELNS1_3repE0EEENS1_38merge_mergepath_config_static_selectorELNS0_4arch9wavefront6targetE1EEEvSJ_.numbered_sgpr, 0
	.set _ZN7rocprim17ROCPRIM_400000_NS6detail17trampoline_kernelINS0_14default_configENS1_38merge_sort_block_merge_config_selectorIttEEZZNS1_27merge_sort_block_merge_implIS3_N6thrust23THRUST_200600_302600_NS6detail15normal_iteratorINS8_10device_ptrItEEEESD_jNS1_19radix_merge_compareILb0ELb1EtNS0_19identity_decomposerEEEEE10hipError_tT0_T1_T2_jT3_P12ihipStream_tbPNSt15iterator_traitsISI_E10value_typeEPNSO_ISJ_E10value_typeEPSK_NS1_7vsmem_tEENKUlT_SI_SJ_SK_E_clISD_PtSD_S10_EESH_SX_SI_SJ_SK_EUlSX_E0_NS1_11comp_targetILNS1_3genE8ELNS1_11target_archE1030ELNS1_3gpuE2ELNS1_3repE0EEENS1_38merge_mergepath_config_static_selectorELNS0_4arch9wavefront6targetE1EEEvSJ_.num_named_barrier, 0
	.set _ZN7rocprim17ROCPRIM_400000_NS6detail17trampoline_kernelINS0_14default_configENS1_38merge_sort_block_merge_config_selectorIttEEZZNS1_27merge_sort_block_merge_implIS3_N6thrust23THRUST_200600_302600_NS6detail15normal_iteratorINS8_10device_ptrItEEEESD_jNS1_19radix_merge_compareILb0ELb1EtNS0_19identity_decomposerEEEEE10hipError_tT0_T1_T2_jT3_P12ihipStream_tbPNSt15iterator_traitsISI_E10value_typeEPNSO_ISJ_E10value_typeEPSK_NS1_7vsmem_tEENKUlT_SI_SJ_SK_E_clISD_PtSD_S10_EESH_SX_SI_SJ_SK_EUlSX_E0_NS1_11comp_targetILNS1_3genE8ELNS1_11target_archE1030ELNS1_3gpuE2ELNS1_3repE0EEENS1_38merge_mergepath_config_static_selectorELNS0_4arch9wavefront6targetE1EEEvSJ_.private_seg_size, 0
	.set _ZN7rocprim17ROCPRIM_400000_NS6detail17trampoline_kernelINS0_14default_configENS1_38merge_sort_block_merge_config_selectorIttEEZZNS1_27merge_sort_block_merge_implIS3_N6thrust23THRUST_200600_302600_NS6detail15normal_iteratorINS8_10device_ptrItEEEESD_jNS1_19radix_merge_compareILb0ELb1EtNS0_19identity_decomposerEEEEE10hipError_tT0_T1_T2_jT3_P12ihipStream_tbPNSt15iterator_traitsISI_E10value_typeEPNSO_ISJ_E10value_typeEPSK_NS1_7vsmem_tEENKUlT_SI_SJ_SK_E_clISD_PtSD_S10_EESH_SX_SI_SJ_SK_EUlSX_E0_NS1_11comp_targetILNS1_3genE8ELNS1_11target_archE1030ELNS1_3gpuE2ELNS1_3repE0EEENS1_38merge_mergepath_config_static_selectorELNS0_4arch9wavefront6targetE1EEEvSJ_.uses_vcc, 0
	.set _ZN7rocprim17ROCPRIM_400000_NS6detail17trampoline_kernelINS0_14default_configENS1_38merge_sort_block_merge_config_selectorIttEEZZNS1_27merge_sort_block_merge_implIS3_N6thrust23THRUST_200600_302600_NS6detail15normal_iteratorINS8_10device_ptrItEEEESD_jNS1_19radix_merge_compareILb0ELb1EtNS0_19identity_decomposerEEEEE10hipError_tT0_T1_T2_jT3_P12ihipStream_tbPNSt15iterator_traitsISI_E10value_typeEPNSO_ISJ_E10value_typeEPSK_NS1_7vsmem_tEENKUlT_SI_SJ_SK_E_clISD_PtSD_S10_EESH_SX_SI_SJ_SK_EUlSX_E0_NS1_11comp_targetILNS1_3genE8ELNS1_11target_archE1030ELNS1_3gpuE2ELNS1_3repE0EEENS1_38merge_mergepath_config_static_selectorELNS0_4arch9wavefront6targetE1EEEvSJ_.uses_flat_scratch, 0
	.set _ZN7rocprim17ROCPRIM_400000_NS6detail17trampoline_kernelINS0_14default_configENS1_38merge_sort_block_merge_config_selectorIttEEZZNS1_27merge_sort_block_merge_implIS3_N6thrust23THRUST_200600_302600_NS6detail15normal_iteratorINS8_10device_ptrItEEEESD_jNS1_19radix_merge_compareILb0ELb1EtNS0_19identity_decomposerEEEEE10hipError_tT0_T1_T2_jT3_P12ihipStream_tbPNSt15iterator_traitsISI_E10value_typeEPNSO_ISJ_E10value_typeEPSK_NS1_7vsmem_tEENKUlT_SI_SJ_SK_E_clISD_PtSD_S10_EESH_SX_SI_SJ_SK_EUlSX_E0_NS1_11comp_targetILNS1_3genE8ELNS1_11target_archE1030ELNS1_3gpuE2ELNS1_3repE0EEENS1_38merge_mergepath_config_static_selectorELNS0_4arch9wavefront6targetE1EEEvSJ_.has_dyn_sized_stack, 0
	.set _ZN7rocprim17ROCPRIM_400000_NS6detail17trampoline_kernelINS0_14default_configENS1_38merge_sort_block_merge_config_selectorIttEEZZNS1_27merge_sort_block_merge_implIS3_N6thrust23THRUST_200600_302600_NS6detail15normal_iteratorINS8_10device_ptrItEEEESD_jNS1_19radix_merge_compareILb0ELb1EtNS0_19identity_decomposerEEEEE10hipError_tT0_T1_T2_jT3_P12ihipStream_tbPNSt15iterator_traitsISI_E10value_typeEPNSO_ISJ_E10value_typeEPSK_NS1_7vsmem_tEENKUlT_SI_SJ_SK_E_clISD_PtSD_S10_EESH_SX_SI_SJ_SK_EUlSX_E0_NS1_11comp_targetILNS1_3genE8ELNS1_11target_archE1030ELNS1_3gpuE2ELNS1_3repE0EEENS1_38merge_mergepath_config_static_selectorELNS0_4arch9wavefront6targetE1EEEvSJ_.has_recursion, 0
	.set _ZN7rocprim17ROCPRIM_400000_NS6detail17trampoline_kernelINS0_14default_configENS1_38merge_sort_block_merge_config_selectorIttEEZZNS1_27merge_sort_block_merge_implIS3_N6thrust23THRUST_200600_302600_NS6detail15normal_iteratorINS8_10device_ptrItEEEESD_jNS1_19radix_merge_compareILb0ELb1EtNS0_19identity_decomposerEEEEE10hipError_tT0_T1_T2_jT3_P12ihipStream_tbPNSt15iterator_traitsISI_E10value_typeEPNSO_ISJ_E10value_typeEPSK_NS1_7vsmem_tEENKUlT_SI_SJ_SK_E_clISD_PtSD_S10_EESH_SX_SI_SJ_SK_EUlSX_E0_NS1_11comp_targetILNS1_3genE8ELNS1_11target_archE1030ELNS1_3gpuE2ELNS1_3repE0EEENS1_38merge_mergepath_config_static_selectorELNS0_4arch9wavefront6targetE1EEEvSJ_.has_indirect_call, 0
	.section	.AMDGPU.csdata,"",@progbits
; Kernel info:
; codeLenInByte = 0
; TotalNumSgprs: 6
; NumVgprs: 0
; NumAgprs: 0
; TotalNumVgprs: 0
; ScratchSize: 0
; MemoryBound: 0
; FloatMode: 240
; IeeeMode: 1
; LDSByteSize: 0 bytes/workgroup (compile time only)
; SGPRBlocks: 0
; VGPRBlocks: 0
; NumSGPRsForWavesPerEU: 6
; NumVGPRsForWavesPerEU: 1
; AccumOffset: 4
; Occupancy: 8
; WaveLimiterHint : 0
; COMPUTE_PGM_RSRC2:SCRATCH_EN: 0
; COMPUTE_PGM_RSRC2:USER_SGPR: 2
; COMPUTE_PGM_RSRC2:TRAP_HANDLER: 0
; COMPUTE_PGM_RSRC2:TGID_X_EN: 1
; COMPUTE_PGM_RSRC2:TGID_Y_EN: 0
; COMPUTE_PGM_RSRC2:TGID_Z_EN: 0
; COMPUTE_PGM_RSRC2:TIDIG_COMP_CNT: 0
; COMPUTE_PGM_RSRC3_GFX90A:ACCUM_OFFSET: 0
; COMPUTE_PGM_RSRC3_GFX90A:TG_SPLIT: 0
	.section	.text._ZN7rocprim17ROCPRIM_400000_NS6detail17trampoline_kernelINS0_14default_configENS1_38merge_sort_block_merge_config_selectorIttEEZZNS1_27merge_sort_block_merge_implIS3_N6thrust23THRUST_200600_302600_NS6detail15normal_iteratorINS8_10device_ptrItEEEESD_jNS1_19radix_merge_compareILb0ELb1EtNS0_19identity_decomposerEEEEE10hipError_tT0_T1_T2_jT3_P12ihipStream_tbPNSt15iterator_traitsISI_E10value_typeEPNSO_ISJ_E10value_typeEPSK_NS1_7vsmem_tEENKUlT_SI_SJ_SK_E_clISD_PtSD_S10_EESH_SX_SI_SJ_SK_EUlSX_E1_NS1_11comp_targetILNS1_3genE0ELNS1_11target_archE4294967295ELNS1_3gpuE0ELNS1_3repE0EEENS1_36merge_oddeven_config_static_selectorELNS0_4arch9wavefront6targetE1EEEvSJ_,"axG",@progbits,_ZN7rocprim17ROCPRIM_400000_NS6detail17trampoline_kernelINS0_14default_configENS1_38merge_sort_block_merge_config_selectorIttEEZZNS1_27merge_sort_block_merge_implIS3_N6thrust23THRUST_200600_302600_NS6detail15normal_iteratorINS8_10device_ptrItEEEESD_jNS1_19radix_merge_compareILb0ELb1EtNS0_19identity_decomposerEEEEE10hipError_tT0_T1_T2_jT3_P12ihipStream_tbPNSt15iterator_traitsISI_E10value_typeEPNSO_ISJ_E10value_typeEPSK_NS1_7vsmem_tEENKUlT_SI_SJ_SK_E_clISD_PtSD_S10_EESH_SX_SI_SJ_SK_EUlSX_E1_NS1_11comp_targetILNS1_3genE0ELNS1_11target_archE4294967295ELNS1_3gpuE0ELNS1_3repE0EEENS1_36merge_oddeven_config_static_selectorELNS0_4arch9wavefront6targetE1EEEvSJ_,comdat
	.protected	_ZN7rocprim17ROCPRIM_400000_NS6detail17trampoline_kernelINS0_14default_configENS1_38merge_sort_block_merge_config_selectorIttEEZZNS1_27merge_sort_block_merge_implIS3_N6thrust23THRUST_200600_302600_NS6detail15normal_iteratorINS8_10device_ptrItEEEESD_jNS1_19radix_merge_compareILb0ELb1EtNS0_19identity_decomposerEEEEE10hipError_tT0_T1_T2_jT3_P12ihipStream_tbPNSt15iterator_traitsISI_E10value_typeEPNSO_ISJ_E10value_typeEPSK_NS1_7vsmem_tEENKUlT_SI_SJ_SK_E_clISD_PtSD_S10_EESH_SX_SI_SJ_SK_EUlSX_E1_NS1_11comp_targetILNS1_3genE0ELNS1_11target_archE4294967295ELNS1_3gpuE0ELNS1_3repE0EEENS1_36merge_oddeven_config_static_selectorELNS0_4arch9wavefront6targetE1EEEvSJ_ ; -- Begin function _ZN7rocprim17ROCPRIM_400000_NS6detail17trampoline_kernelINS0_14default_configENS1_38merge_sort_block_merge_config_selectorIttEEZZNS1_27merge_sort_block_merge_implIS3_N6thrust23THRUST_200600_302600_NS6detail15normal_iteratorINS8_10device_ptrItEEEESD_jNS1_19radix_merge_compareILb0ELb1EtNS0_19identity_decomposerEEEEE10hipError_tT0_T1_T2_jT3_P12ihipStream_tbPNSt15iterator_traitsISI_E10value_typeEPNSO_ISJ_E10value_typeEPSK_NS1_7vsmem_tEENKUlT_SI_SJ_SK_E_clISD_PtSD_S10_EESH_SX_SI_SJ_SK_EUlSX_E1_NS1_11comp_targetILNS1_3genE0ELNS1_11target_archE4294967295ELNS1_3gpuE0ELNS1_3repE0EEENS1_36merge_oddeven_config_static_selectorELNS0_4arch9wavefront6targetE1EEEvSJ_
	.globl	_ZN7rocprim17ROCPRIM_400000_NS6detail17trampoline_kernelINS0_14default_configENS1_38merge_sort_block_merge_config_selectorIttEEZZNS1_27merge_sort_block_merge_implIS3_N6thrust23THRUST_200600_302600_NS6detail15normal_iteratorINS8_10device_ptrItEEEESD_jNS1_19radix_merge_compareILb0ELb1EtNS0_19identity_decomposerEEEEE10hipError_tT0_T1_T2_jT3_P12ihipStream_tbPNSt15iterator_traitsISI_E10value_typeEPNSO_ISJ_E10value_typeEPSK_NS1_7vsmem_tEENKUlT_SI_SJ_SK_E_clISD_PtSD_S10_EESH_SX_SI_SJ_SK_EUlSX_E1_NS1_11comp_targetILNS1_3genE0ELNS1_11target_archE4294967295ELNS1_3gpuE0ELNS1_3repE0EEENS1_36merge_oddeven_config_static_selectorELNS0_4arch9wavefront6targetE1EEEvSJ_
	.p2align	8
	.type	_ZN7rocprim17ROCPRIM_400000_NS6detail17trampoline_kernelINS0_14default_configENS1_38merge_sort_block_merge_config_selectorIttEEZZNS1_27merge_sort_block_merge_implIS3_N6thrust23THRUST_200600_302600_NS6detail15normal_iteratorINS8_10device_ptrItEEEESD_jNS1_19radix_merge_compareILb0ELb1EtNS0_19identity_decomposerEEEEE10hipError_tT0_T1_T2_jT3_P12ihipStream_tbPNSt15iterator_traitsISI_E10value_typeEPNSO_ISJ_E10value_typeEPSK_NS1_7vsmem_tEENKUlT_SI_SJ_SK_E_clISD_PtSD_S10_EESH_SX_SI_SJ_SK_EUlSX_E1_NS1_11comp_targetILNS1_3genE0ELNS1_11target_archE4294967295ELNS1_3gpuE0ELNS1_3repE0EEENS1_36merge_oddeven_config_static_selectorELNS0_4arch9wavefront6targetE1EEEvSJ_,@function
_ZN7rocprim17ROCPRIM_400000_NS6detail17trampoline_kernelINS0_14default_configENS1_38merge_sort_block_merge_config_selectorIttEEZZNS1_27merge_sort_block_merge_implIS3_N6thrust23THRUST_200600_302600_NS6detail15normal_iteratorINS8_10device_ptrItEEEESD_jNS1_19radix_merge_compareILb0ELb1EtNS0_19identity_decomposerEEEEE10hipError_tT0_T1_T2_jT3_P12ihipStream_tbPNSt15iterator_traitsISI_E10value_typeEPNSO_ISJ_E10value_typeEPSK_NS1_7vsmem_tEENKUlT_SI_SJ_SK_E_clISD_PtSD_S10_EESH_SX_SI_SJ_SK_EUlSX_E1_NS1_11comp_targetILNS1_3genE0ELNS1_11target_archE4294967295ELNS1_3gpuE0ELNS1_3repE0EEENS1_36merge_oddeven_config_static_selectorELNS0_4arch9wavefront6targetE1EEEvSJ_: ; @_ZN7rocprim17ROCPRIM_400000_NS6detail17trampoline_kernelINS0_14default_configENS1_38merge_sort_block_merge_config_selectorIttEEZZNS1_27merge_sort_block_merge_implIS3_N6thrust23THRUST_200600_302600_NS6detail15normal_iteratorINS8_10device_ptrItEEEESD_jNS1_19radix_merge_compareILb0ELb1EtNS0_19identity_decomposerEEEEE10hipError_tT0_T1_T2_jT3_P12ihipStream_tbPNSt15iterator_traitsISI_E10value_typeEPNSO_ISJ_E10value_typeEPSK_NS1_7vsmem_tEENKUlT_SI_SJ_SK_E_clISD_PtSD_S10_EESH_SX_SI_SJ_SK_EUlSX_E1_NS1_11comp_targetILNS1_3genE0ELNS1_11target_archE4294967295ELNS1_3gpuE0ELNS1_3repE0EEENS1_36merge_oddeven_config_static_selectorELNS0_4arch9wavefront6targetE1EEEvSJ_
; %bb.0:
	s_load_dword s20, s[0:1], 0x20
	s_waitcnt lgkmcnt(0)
	s_lshr_b32 s3, s20, 8
	s_cmp_eq_u32 s2, s3
	s_cselect_b64 s[16:17], -1, 0
	s_cmp_lg_u32 s2, s3
	s_cselect_b64 s[4:5], -1, 0
	s_lshl_b32 s18, s2, 8
	s_sub_i32 s3, s20, s18
	v_cmp_gt_u32_e64 s[6:7], s3, v0
	s_or_b64 s[4:5], s[4:5], s[6:7]
	s_and_saveexec_b64 s[8:9], s[4:5]
	s_cbranch_execz .LBB939_24
; %bb.1:
	s_load_dwordx8 s[8:15], s[0:1], 0x0
	s_mov_b32 s19, 0
	s_lshl_b64 s[4:5], s[18:19], 1
	v_lshlrev_b32_e32 v1, 1, v0
	s_load_dword s19, s[0:1], 0x24
	s_waitcnt lgkmcnt(0)
	s_add_u32 s22, s8, s4
	s_addc_u32 s23, s9, s5
	s_add_u32 s4, s12, s4
	s_addc_u32 s5, s13, s5
	global_load_ushort v2, v1, s[4:5]
	global_load_ushort v3, v1, s[22:23]
	s_lshr_b32 s3, s19, 8
	s_sub_i32 s4, 0, s3
	s_and_b32 s2, s2, s4
	s_and_b32 s3, s2, s3
	s_lshl_b32 s21, s2, 8
	s_sub_i32 s12, 0, s19
	s_cmp_eq_u32 s3, 0
	s_cselect_b64 s[4:5], -1, 0
	s_and_b64 s[2:3], s[4:5], exec
	s_cselect_b32 s12, s19, s12
	s_add_i32 s12, s12, s21
	s_mov_b64 s[2:3], -1
	s_cmp_gt_u32 s20, s12
	v_add_u32_e32 v0, s18, v0
	s_cbranch_scc1 .LBB939_9
; %bb.2:
	s_and_b64 vcc, exec, s[16:17]
	s_cbranch_vccz .LBB939_6
; %bb.3:
	v_cmp_gt_u32_e32 vcc, s20, v0
	s_and_saveexec_b64 s[2:3], vcc
	s_cbranch_execz .LBB939_5
; %bb.4:
	v_mov_b32_e32 v1, 0
	v_lshlrev_b64 v[4:5], 1, v[0:1]
	v_lshl_add_u64 v[6:7], s[10:11], 0, v[4:5]
	v_lshl_add_u64 v[4:5], s[14:15], 0, v[4:5]
	s_waitcnt vmcnt(0)
	global_store_short v[6:7], v3, off
	global_store_short v[4:5], v2, off
.LBB939_5:
	s_or_b64 exec, exec, s[2:3]
	s_mov_b64 s[2:3], 0
.LBB939_6:
	s_andn2_b64 vcc, exec, s[2:3]
	s_cbranch_vccnz .LBB939_8
; %bb.7:
	v_mov_b32_e32 v1, 0
	v_lshlrev_b64 v[4:5], 1, v[0:1]
	v_lshl_add_u64 v[6:7], s[10:11], 0, v[4:5]
	v_lshl_add_u64 v[4:5], s[14:15], 0, v[4:5]
	s_waitcnt vmcnt(0)
	global_store_short v[6:7], v3, off
	global_store_short v[4:5], v2, off
.LBB939_8:
	s_mov_b64 s[2:3], 0
.LBB939_9:
	s_andn2_b64 vcc, exec, s[2:3]
	s_cbranch_vccnz .LBB939_24
; %bb.10:
	s_load_dword s13, s[0:1], 0x28
	s_min_u32 s18, s12, s20
	s_add_i32 s0, s18, s19
	s_min_u32 s19, s0, s20
	s_min_u32 s0, s21, s18
	s_add_i32 s21, s21, s18
	v_subrev_u32_e32 v0, s21, v0
	v_add_u32_e32 v0, s0, v0
	s_waitcnt vmcnt(0) lgkmcnt(0)
	v_and_b32_e32 v1, s13, v3
	s_mov_b64 s[0:1], -1
	s_and_b64 vcc, exec, s[16:17]
	s_cbranch_vccz .LBB939_18
; %bb.11:
	s_and_saveexec_b64 s[0:1], s[6:7]
	s_cbranch_execz .LBB939_17
; %bb.12:
	s_cmp_ge_u32 s12, s19
	v_mov_b32_e32 v4, s18
	s_cbranch_scc1 .LBB939_16
; %bb.13:
	s_mov_b64 s[2:3], 0
	v_mov_b32_e32 v5, s19
	v_mov_b32_e32 v4, s18
.LBB939_14:                             ; =>This Inner Loop Header: Depth=1
	v_add_u32_e32 v6, v4, v5
	v_and_b32_e32 v7, -2, v6
	global_load_ushort v7, v7, s[8:9]
	v_lshrrev_b32_e32 v6, 1, v6
	v_add_u32_e32 v8, 1, v6
	s_waitcnt vmcnt(0)
	v_and_b32_e32 v7, s13, v7
	v_cmp_gt_u16_e32 vcc, v1, v7
	s_nop 1
	v_cndmask_b32_e64 v9, 0, 1, vcc
	v_cmp_le_u16_e32 vcc, v7, v1
	s_nop 1
	v_cndmask_b32_e64 v7, 0, 1, vcc
	v_cndmask_b32_e64 v7, v7, v9, s[4:5]
	v_and_b32_e32 v7, 1, v7
	v_cmp_eq_u32_e32 vcc, 1, v7
	s_nop 1
	v_cndmask_b32_e32 v5, v6, v5, vcc
	v_cndmask_b32_e32 v4, v4, v8, vcc
	v_cmp_ge_u32_e32 vcc, v4, v5
	s_or_b64 s[2:3], vcc, s[2:3]
	s_andn2_b64 exec, exec, s[2:3]
	s_cbranch_execnz .LBB939_14
; %bb.15:
	s_or_b64 exec, exec, s[2:3]
.LBB939_16:
	v_add_u32_e32 v4, v4, v0
	v_mov_b32_e32 v5, 0
	v_lshlrev_b64 v[4:5], 1, v[4:5]
	v_lshl_add_u64 v[6:7], s[10:11], 0, v[4:5]
	v_lshl_add_u64 v[4:5], s[14:15], 0, v[4:5]
	global_store_short v[6:7], v3, off
	global_store_short v[4:5], v2, off
.LBB939_17:
	s_or_b64 exec, exec, s[0:1]
	s_mov_b64 s[0:1], 0
.LBB939_18:
	s_andn2_b64 vcc, exec, s[0:1]
	s_cbranch_vccnz .LBB939_24
; %bb.19:
	s_cmp_ge_u32 s12, s19
	v_mov_b32_e32 v4, s18
	s_cbranch_scc1 .LBB939_23
; %bb.20:
	s_mov_b64 s[0:1], 0
	v_mov_b32_e32 v5, s19
	v_mov_b32_e32 v4, s18
.LBB939_21:                             ; =>This Inner Loop Header: Depth=1
	v_add_u32_e32 v6, v4, v5
	v_and_b32_e32 v7, -2, v6
	global_load_ushort v7, v7, s[8:9]
	v_lshrrev_b32_e32 v6, 1, v6
	v_add_u32_e32 v8, 1, v6
	s_waitcnt vmcnt(0)
	v_and_b32_e32 v7, s13, v7
	v_cmp_gt_u16_e32 vcc, v1, v7
	s_nop 1
	v_cndmask_b32_e64 v9, 0, 1, vcc
	v_cmp_le_u16_e32 vcc, v7, v1
	s_nop 1
	v_cndmask_b32_e64 v7, 0, 1, vcc
	v_cndmask_b32_e64 v7, v7, v9, s[4:5]
	v_and_b32_e32 v7, 1, v7
	v_cmp_eq_u32_e32 vcc, 1, v7
	s_nop 1
	v_cndmask_b32_e32 v5, v6, v5, vcc
	v_cndmask_b32_e32 v4, v4, v8, vcc
	v_cmp_ge_u32_e32 vcc, v4, v5
	s_or_b64 s[0:1], vcc, s[0:1]
	s_andn2_b64 exec, exec, s[0:1]
	s_cbranch_execnz .LBB939_21
; %bb.22:
	s_or_b64 exec, exec, s[0:1]
.LBB939_23:
	v_add_u32_e32 v0, v4, v0
	v_mov_b32_e32 v1, 0
	v_lshlrev_b64 v[0:1], 1, v[0:1]
	v_lshl_add_u64 v[4:5], s[10:11], 0, v[0:1]
	v_lshl_add_u64 v[0:1], s[14:15], 0, v[0:1]
	global_store_short v[4:5], v3, off
	global_store_short v[0:1], v2, off
.LBB939_24:
	s_endpgm
	.section	.rodata,"a",@progbits
	.p2align	6, 0x0
	.amdhsa_kernel _ZN7rocprim17ROCPRIM_400000_NS6detail17trampoline_kernelINS0_14default_configENS1_38merge_sort_block_merge_config_selectorIttEEZZNS1_27merge_sort_block_merge_implIS3_N6thrust23THRUST_200600_302600_NS6detail15normal_iteratorINS8_10device_ptrItEEEESD_jNS1_19radix_merge_compareILb0ELb1EtNS0_19identity_decomposerEEEEE10hipError_tT0_T1_T2_jT3_P12ihipStream_tbPNSt15iterator_traitsISI_E10value_typeEPNSO_ISJ_E10value_typeEPSK_NS1_7vsmem_tEENKUlT_SI_SJ_SK_E_clISD_PtSD_S10_EESH_SX_SI_SJ_SK_EUlSX_E1_NS1_11comp_targetILNS1_3genE0ELNS1_11target_archE4294967295ELNS1_3gpuE0ELNS1_3repE0EEENS1_36merge_oddeven_config_static_selectorELNS0_4arch9wavefront6targetE1EEEvSJ_
		.amdhsa_group_segment_fixed_size 0
		.amdhsa_private_segment_fixed_size 0
		.amdhsa_kernarg_size 48
		.amdhsa_user_sgpr_count 2
		.amdhsa_user_sgpr_dispatch_ptr 0
		.amdhsa_user_sgpr_queue_ptr 0
		.amdhsa_user_sgpr_kernarg_segment_ptr 1
		.amdhsa_user_sgpr_dispatch_id 0
		.amdhsa_user_sgpr_kernarg_preload_length 0
		.amdhsa_user_sgpr_kernarg_preload_offset 0
		.amdhsa_user_sgpr_private_segment_size 0
		.amdhsa_uses_dynamic_stack 0
		.amdhsa_enable_private_segment 0
		.amdhsa_system_sgpr_workgroup_id_x 1
		.amdhsa_system_sgpr_workgroup_id_y 0
		.amdhsa_system_sgpr_workgroup_id_z 0
		.amdhsa_system_sgpr_workgroup_info 0
		.amdhsa_system_vgpr_workitem_id 0
		.amdhsa_next_free_vgpr 10
		.amdhsa_next_free_sgpr 24
		.amdhsa_accum_offset 12
		.amdhsa_reserve_vcc 1
		.amdhsa_float_round_mode_32 0
		.amdhsa_float_round_mode_16_64 0
		.amdhsa_float_denorm_mode_32 3
		.amdhsa_float_denorm_mode_16_64 3
		.amdhsa_dx10_clamp 1
		.amdhsa_ieee_mode 1
		.amdhsa_fp16_overflow 0
		.amdhsa_tg_split 0
		.amdhsa_exception_fp_ieee_invalid_op 0
		.amdhsa_exception_fp_denorm_src 0
		.amdhsa_exception_fp_ieee_div_zero 0
		.amdhsa_exception_fp_ieee_overflow 0
		.amdhsa_exception_fp_ieee_underflow 0
		.amdhsa_exception_fp_ieee_inexact 0
		.amdhsa_exception_int_div_zero 0
	.end_amdhsa_kernel
	.section	.text._ZN7rocprim17ROCPRIM_400000_NS6detail17trampoline_kernelINS0_14default_configENS1_38merge_sort_block_merge_config_selectorIttEEZZNS1_27merge_sort_block_merge_implIS3_N6thrust23THRUST_200600_302600_NS6detail15normal_iteratorINS8_10device_ptrItEEEESD_jNS1_19radix_merge_compareILb0ELb1EtNS0_19identity_decomposerEEEEE10hipError_tT0_T1_T2_jT3_P12ihipStream_tbPNSt15iterator_traitsISI_E10value_typeEPNSO_ISJ_E10value_typeEPSK_NS1_7vsmem_tEENKUlT_SI_SJ_SK_E_clISD_PtSD_S10_EESH_SX_SI_SJ_SK_EUlSX_E1_NS1_11comp_targetILNS1_3genE0ELNS1_11target_archE4294967295ELNS1_3gpuE0ELNS1_3repE0EEENS1_36merge_oddeven_config_static_selectorELNS0_4arch9wavefront6targetE1EEEvSJ_,"axG",@progbits,_ZN7rocprim17ROCPRIM_400000_NS6detail17trampoline_kernelINS0_14default_configENS1_38merge_sort_block_merge_config_selectorIttEEZZNS1_27merge_sort_block_merge_implIS3_N6thrust23THRUST_200600_302600_NS6detail15normal_iteratorINS8_10device_ptrItEEEESD_jNS1_19radix_merge_compareILb0ELb1EtNS0_19identity_decomposerEEEEE10hipError_tT0_T1_T2_jT3_P12ihipStream_tbPNSt15iterator_traitsISI_E10value_typeEPNSO_ISJ_E10value_typeEPSK_NS1_7vsmem_tEENKUlT_SI_SJ_SK_E_clISD_PtSD_S10_EESH_SX_SI_SJ_SK_EUlSX_E1_NS1_11comp_targetILNS1_3genE0ELNS1_11target_archE4294967295ELNS1_3gpuE0ELNS1_3repE0EEENS1_36merge_oddeven_config_static_selectorELNS0_4arch9wavefront6targetE1EEEvSJ_,comdat
.Lfunc_end939:
	.size	_ZN7rocprim17ROCPRIM_400000_NS6detail17trampoline_kernelINS0_14default_configENS1_38merge_sort_block_merge_config_selectorIttEEZZNS1_27merge_sort_block_merge_implIS3_N6thrust23THRUST_200600_302600_NS6detail15normal_iteratorINS8_10device_ptrItEEEESD_jNS1_19radix_merge_compareILb0ELb1EtNS0_19identity_decomposerEEEEE10hipError_tT0_T1_T2_jT3_P12ihipStream_tbPNSt15iterator_traitsISI_E10value_typeEPNSO_ISJ_E10value_typeEPSK_NS1_7vsmem_tEENKUlT_SI_SJ_SK_E_clISD_PtSD_S10_EESH_SX_SI_SJ_SK_EUlSX_E1_NS1_11comp_targetILNS1_3genE0ELNS1_11target_archE4294967295ELNS1_3gpuE0ELNS1_3repE0EEENS1_36merge_oddeven_config_static_selectorELNS0_4arch9wavefront6targetE1EEEvSJ_, .Lfunc_end939-_ZN7rocprim17ROCPRIM_400000_NS6detail17trampoline_kernelINS0_14default_configENS1_38merge_sort_block_merge_config_selectorIttEEZZNS1_27merge_sort_block_merge_implIS3_N6thrust23THRUST_200600_302600_NS6detail15normal_iteratorINS8_10device_ptrItEEEESD_jNS1_19radix_merge_compareILb0ELb1EtNS0_19identity_decomposerEEEEE10hipError_tT0_T1_T2_jT3_P12ihipStream_tbPNSt15iterator_traitsISI_E10value_typeEPNSO_ISJ_E10value_typeEPSK_NS1_7vsmem_tEENKUlT_SI_SJ_SK_E_clISD_PtSD_S10_EESH_SX_SI_SJ_SK_EUlSX_E1_NS1_11comp_targetILNS1_3genE0ELNS1_11target_archE4294967295ELNS1_3gpuE0ELNS1_3repE0EEENS1_36merge_oddeven_config_static_selectorELNS0_4arch9wavefront6targetE1EEEvSJ_
                                        ; -- End function
	.set _ZN7rocprim17ROCPRIM_400000_NS6detail17trampoline_kernelINS0_14default_configENS1_38merge_sort_block_merge_config_selectorIttEEZZNS1_27merge_sort_block_merge_implIS3_N6thrust23THRUST_200600_302600_NS6detail15normal_iteratorINS8_10device_ptrItEEEESD_jNS1_19radix_merge_compareILb0ELb1EtNS0_19identity_decomposerEEEEE10hipError_tT0_T1_T2_jT3_P12ihipStream_tbPNSt15iterator_traitsISI_E10value_typeEPNSO_ISJ_E10value_typeEPSK_NS1_7vsmem_tEENKUlT_SI_SJ_SK_E_clISD_PtSD_S10_EESH_SX_SI_SJ_SK_EUlSX_E1_NS1_11comp_targetILNS1_3genE0ELNS1_11target_archE4294967295ELNS1_3gpuE0ELNS1_3repE0EEENS1_36merge_oddeven_config_static_selectorELNS0_4arch9wavefront6targetE1EEEvSJ_.num_vgpr, 10
	.set _ZN7rocprim17ROCPRIM_400000_NS6detail17trampoline_kernelINS0_14default_configENS1_38merge_sort_block_merge_config_selectorIttEEZZNS1_27merge_sort_block_merge_implIS3_N6thrust23THRUST_200600_302600_NS6detail15normal_iteratorINS8_10device_ptrItEEEESD_jNS1_19radix_merge_compareILb0ELb1EtNS0_19identity_decomposerEEEEE10hipError_tT0_T1_T2_jT3_P12ihipStream_tbPNSt15iterator_traitsISI_E10value_typeEPNSO_ISJ_E10value_typeEPSK_NS1_7vsmem_tEENKUlT_SI_SJ_SK_E_clISD_PtSD_S10_EESH_SX_SI_SJ_SK_EUlSX_E1_NS1_11comp_targetILNS1_3genE0ELNS1_11target_archE4294967295ELNS1_3gpuE0ELNS1_3repE0EEENS1_36merge_oddeven_config_static_selectorELNS0_4arch9wavefront6targetE1EEEvSJ_.num_agpr, 0
	.set _ZN7rocprim17ROCPRIM_400000_NS6detail17trampoline_kernelINS0_14default_configENS1_38merge_sort_block_merge_config_selectorIttEEZZNS1_27merge_sort_block_merge_implIS3_N6thrust23THRUST_200600_302600_NS6detail15normal_iteratorINS8_10device_ptrItEEEESD_jNS1_19radix_merge_compareILb0ELb1EtNS0_19identity_decomposerEEEEE10hipError_tT0_T1_T2_jT3_P12ihipStream_tbPNSt15iterator_traitsISI_E10value_typeEPNSO_ISJ_E10value_typeEPSK_NS1_7vsmem_tEENKUlT_SI_SJ_SK_E_clISD_PtSD_S10_EESH_SX_SI_SJ_SK_EUlSX_E1_NS1_11comp_targetILNS1_3genE0ELNS1_11target_archE4294967295ELNS1_3gpuE0ELNS1_3repE0EEENS1_36merge_oddeven_config_static_selectorELNS0_4arch9wavefront6targetE1EEEvSJ_.numbered_sgpr, 24
	.set _ZN7rocprim17ROCPRIM_400000_NS6detail17trampoline_kernelINS0_14default_configENS1_38merge_sort_block_merge_config_selectorIttEEZZNS1_27merge_sort_block_merge_implIS3_N6thrust23THRUST_200600_302600_NS6detail15normal_iteratorINS8_10device_ptrItEEEESD_jNS1_19radix_merge_compareILb0ELb1EtNS0_19identity_decomposerEEEEE10hipError_tT0_T1_T2_jT3_P12ihipStream_tbPNSt15iterator_traitsISI_E10value_typeEPNSO_ISJ_E10value_typeEPSK_NS1_7vsmem_tEENKUlT_SI_SJ_SK_E_clISD_PtSD_S10_EESH_SX_SI_SJ_SK_EUlSX_E1_NS1_11comp_targetILNS1_3genE0ELNS1_11target_archE4294967295ELNS1_3gpuE0ELNS1_3repE0EEENS1_36merge_oddeven_config_static_selectorELNS0_4arch9wavefront6targetE1EEEvSJ_.num_named_barrier, 0
	.set _ZN7rocprim17ROCPRIM_400000_NS6detail17trampoline_kernelINS0_14default_configENS1_38merge_sort_block_merge_config_selectorIttEEZZNS1_27merge_sort_block_merge_implIS3_N6thrust23THRUST_200600_302600_NS6detail15normal_iteratorINS8_10device_ptrItEEEESD_jNS1_19radix_merge_compareILb0ELb1EtNS0_19identity_decomposerEEEEE10hipError_tT0_T1_T2_jT3_P12ihipStream_tbPNSt15iterator_traitsISI_E10value_typeEPNSO_ISJ_E10value_typeEPSK_NS1_7vsmem_tEENKUlT_SI_SJ_SK_E_clISD_PtSD_S10_EESH_SX_SI_SJ_SK_EUlSX_E1_NS1_11comp_targetILNS1_3genE0ELNS1_11target_archE4294967295ELNS1_3gpuE0ELNS1_3repE0EEENS1_36merge_oddeven_config_static_selectorELNS0_4arch9wavefront6targetE1EEEvSJ_.private_seg_size, 0
	.set _ZN7rocprim17ROCPRIM_400000_NS6detail17trampoline_kernelINS0_14default_configENS1_38merge_sort_block_merge_config_selectorIttEEZZNS1_27merge_sort_block_merge_implIS3_N6thrust23THRUST_200600_302600_NS6detail15normal_iteratorINS8_10device_ptrItEEEESD_jNS1_19radix_merge_compareILb0ELb1EtNS0_19identity_decomposerEEEEE10hipError_tT0_T1_T2_jT3_P12ihipStream_tbPNSt15iterator_traitsISI_E10value_typeEPNSO_ISJ_E10value_typeEPSK_NS1_7vsmem_tEENKUlT_SI_SJ_SK_E_clISD_PtSD_S10_EESH_SX_SI_SJ_SK_EUlSX_E1_NS1_11comp_targetILNS1_3genE0ELNS1_11target_archE4294967295ELNS1_3gpuE0ELNS1_3repE0EEENS1_36merge_oddeven_config_static_selectorELNS0_4arch9wavefront6targetE1EEEvSJ_.uses_vcc, 1
	.set _ZN7rocprim17ROCPRIM_400000_NS6detail17trampoline_kernelINS0_14default_configENS1_38merge_sort_block_merge_config_selectorIttEEZZNS1_27merge_sort_block_merge_implIS3_N6thrust23THRUST_200600_302600_NS6detail15normal_iteratorINS8_10device_ptrItEEEESD_jNS1_19radix_merge_compareILb0ELb1EtNS0_19identity_decomposerEEEEE10hipError_tT0_T1_T2_jT3_P12ihipStream_tbPNSt15iterator_traitsISI_E10value_typeEPNSO_ISJ_E10value_typeEPSK_NS1_7vsmem_tEENKUlT_SI_SJ_SK_E_clISD_PtSD_S10_EESH_SX_SI_SJ_SK_EUlSX_E1_NS1_11comp_targetILNS1_3genE0ELNS1_11target_archE4294967295ELNS1_3gpuE0ELNS1_3repE0EEENS1_36merge_oddeven_config_static_selectorELNS0_4arch9wavefront6targetE1EEEvSJ_.uses_flat_scratch, 0
	.set _ZN7rocprim17ROCPRIM_400000_NS6detail17trampoline_kernelINS0_14default_configENS1_38merge_sort_block_merge_config_selectorIttEEZZNS1_27merge_sort_block_merge_implIS3_N6thrust23THRUST_200600_302600_NS6detail15normal_iteratorINS8_10device_ptrItEEEESD_jNS1_19radix_merge_compareILb0ELb1EtNS0_19identity_decomposerEEEEE10hipError_tT0_T1_T2_jT3_P12ihipStream_tbPNSt15iterator_traitsISI_E10value_typeEPNSO_ISJ_E10value_typeEPSK_NS1_7vsmem_tEENKUlT_SI_SJ_SK_E_clISD_PtSD_S10_EESH_SX_SI_SJ_SK_EUlSX_E1_NS1_11comp_targetILNS1_3genE0ELNS1_11target_archE4294967295ELNS1_3gpuE0ELNS1_3repE0EEENS1_36merge_oddeven_config_static_selectorELNS0_4arch9wavefront6targetE1EEEvSJ_.has_dyn_sized_stack, 0
	.set _ZN7rocprim17ROCPRIM_400000_NS6detail17trampoline_kernelINS0_14default_configENS1_38merge_sort_block_merge_config_selectorIttEEZZNS1_27merge_sort_block_merge_implIS3_N6thrust23THRUST_200600_302600_NS6detail15normal_iteratorINS8_10device_ptrItEEEESD_jNS1_19radix_merge_compareILb0ELb1EtNS0_19identity_decomposerEEEEE10hipError_tT0_T1_T2_jT3_P12ihipStream_tbPNSt15iterator_traitsISI_E10value_typeEPNSO_ISJ_E10value_typeEPSK_NS1_7vsmem_tEENKUlT_SI_SJ_SK_E_clISD_PtSD_S10_EESH_SX_SI_SJ_SK_EUlSX_E1_NS1_11comp_targetILNS1_3genE0ELNS1_11target_archE4294967295ELNS1_3gpuE0ELNS1_3repE0EEENS1_36merge_oddeven_config_static_selectorELNS0_4arch9wavefront6targetE1EEEvSJ_.has_recursion, 0
	.set _ZN7rocprim17ROCPRIM_400000_NS6detail17trampoline_kernelINS0_14default_configENS1_38merge_sort_block_merge_config_selectorIttEEZZNS1_27merge_sort_block_merge_implIS3_N6thrust23THRUST_200600_302600_NS6detail15normal_iteratorINS8_10device_ptrItEEEESD_jNS1_19radix_merge_compareILb0ELb1EtNS0_19identity_decomposerEEEEE10hipError_tT0_T1_T2_jT3_P12ihipStream_tbPNSt15iterator_traitsISI_E10value_typeEPNSO_ISJ_E10value_typeEPSK_NS1_7vsmem_tEENKUlT_SI_SJ_SK_E_clISD_PtSD_S10_EESH_SX_SI_SJ_SK_EUlSX_E1_NS1_11comp_targetILNS1_3genE0ELNS1_11target_archE4294967295ELNS1_3gpuE0ELNS1_3repE0EEENS1_36merge_oddeven_config_static_selectorELNS0_4arch9wavefront6targetE1EEEvSJ_.has_indirect_call, 0
	.section	.AMDGPU.csdata,"",@progbits
; Kernel info:
; codeLenInByte = 780
; TotalNumSgprs: 30
; NumVgprs: 10
; NumAgprs: 0
; TotalNumVgprs: 10
; ScratchSize: 0
; MemoryBound: 0
; FloatMode: 240
; IeeeMode: 1
; LDSByteSize: 0 bytes/workgroup (compile time only)
; SGPRBlocks: 3
; VGPRBlocks: 1
; NumSGPRsForWavesPerEU: 30
; NumVGPRsForWavesPerEU: 10
; AccumOffset: 12
; Occupancy: 8
; WaveLimiterHint : 0
; COMPUTE_PGM_RSRC2:SCRATCH_EN: 0
; COMPUTE_PGM_RSRC2:USER_SGPR: 2
; COMPUTE_PGM_RSRC2:TRAP_HANDLER: 0
; COMPUTE_PGM_RSRC2:TGID_X_EN: 1
; COMPUTE_PGM_RSRC2:TGID_Y_EN: 0
; COMPUTE_PGM_RSRC2:TGID_Z_EN: 0
; COMPUTE_PGM_RSRC2:TIDIG_COMP_CNT: 0
; COMPUTE_PGM_RSRC3_GFX90A:ACCUM_OFFSET: 2
; COMPUTE_PGM_RSRC3_GFX90A:TG_SPLIT: 0
	.section	.text._ZN7rocprim17ROCPRIM_400000_NS6detail17trampoline_kernelINS0_14default_configENS1_38merge_sort_block_merge_config_selectorIttEEZZNS1_27merge_sort_block_merge_implIS3_N6thrust23THRUST_200600_302600_NS6detail15normal_iteratorINS8_10device_ptrItEEEESD_jNS1_19radix_merge_compareILb0ELb1EtNS0_19identity_decomposerEEEEE10hipError_tT0_T1_T2_jT3_P12ihipStream_tbPNSt15iterator_traitsISI_E10value_typeEPNSO_ISJ_E10value_typeEPSK_NS1_7vsmem_tEENKUlT_SI_SJ_SK_E_clISD_PtSD_S10_EESH_SX_SI_SJ_SK_EUlSX_E1_NS1_11comp_targetILNS1_3genE10ELNS1_11target_archE1201ELNS1_3gpuE5ELNS1_3repE0EEENS1_36merge_oddeven_config_static_selectorELNS0_4arch9wavefront6targetE1EEEvSJ_,"axG",@progbits,_ZN7rocprim17ROCPRIM_400000_NS6detail17trampoline_kernelINS0_14default_configENS1_38merge_sort_block_merge_config_selectorIttEEZZNS1_27merge_sort_block_merge_implIS3_N6thrust23THRUST_200600_302600_NS6detail15normal_iteratorINS8_10device_ptrItEEEESD_jNS1_19radix_merge_compareILb0ELb1EtNS0_19identity_decomposerEEEEE10hipError_tT0_T1_T2_jT3_P12ihipStream_tbPNSt15iterator_traitsISI_E10value_typeEPNSO_ISJ_E10value_typeEPSK_NS1_7vsmem_tEENKUlT_SI_SJ_SK_E_clISD_PtSD_S10_EESH_SX_SI_SJ_SK_EUlSX_E1_NS1_11comp_targetILNS1_3genE10ELNS1_11target_archE1201ELNS1_3gpuE5ELNS1_3repE0EEENS1_36merge_oddeven_config_static_selectorELNS0_4arch9wavefront6targetE1EEEvSJ_,comdat
	.protected	_ZN7rocprim17ROCPRIM_400000_NS6detail17trampoline_kernelINS0_14default_configENS1_38merge_sort_block_merge_config_selectorIttEEZZNS1_27merge_sort_block_merge_implIS3_N6thrust23THRUST_200600_302600_NS6detail15normal_iteratorINS8_10device_ptrItEEEESD_jNS1_19radix_merge_compareILb0ELb1EtNS0_19identity_decomposerEEEEE10hipError_tT0_T1_T2_jT3_P12ihipStream_tbPNSt15iterator_traitsISI_E10value_typeEPNSO_ISJ_E10value_typeEPSK_NS1_7vsmem_tEENKUlT_SI_SJ_SK_E_clISD_PtSD_S10_EESH_SX_SI_SJ_SK_EUlSX_E1_NS1_11comp_targetILNS1_3genE10ELNS1_11target_archE1201ELNS1_3gpuE5ELNS1_3repE0EEENS1_36merge_oddeven_config_static_selectorELNS0_4arch9wavefront6targetE1EEEvSJ_ ; -- Begin function _ZN7rocprim17ROCPRIM_400000_NS6detail17trampoline_kernelINS0_14default_configENS1_38merge_sort_block_merge_config_selectorIttEEZZNS1_27merge_sort_block_merge_implIS3_N6thrust23THRUST_200600_302600_NS6detail15normal_iteratorINS8_10device_ptrItEEEESD_jNS1_19radix_merge_compareILb0ELb1EtNS0_19identity_decomposerEEEEE10hipError_tT0_T1_T2_jT3_P12ihipStream_tbPNSt15iterator_traitsISI_E10value_typeEPNSO_ISJ_E10value_typeEPSK_NS1_7vsmem_tEENKUlT_SI_SJ_SK_E_clISD_PtSD_S10_EESH_SX_SI_SJ_SK_EUlSX_E1_NS1_11comp_targetILNS1_3genE10ELNS1_11target_archE1201ELNS1_3gpuE5ELNS1_3repE0EEENS1_36merge_oddeven_config_static_selectorELNS0_4arch9wavefront6targetE1EEEvSJ_
	.globl	_ZN7rocprim17ROCPRIM_400000_NS6detail17trampoline_kernelINS0_14default_configENS1_38merge_sort_block_merge_config_selectorIttEEZZNS1_27merge_sort_block_merge_implIS3_N6thrust23THRUST_200600_302600_NS6detail15normal_iteratorINS8_10device_ptrItEEEESD_jNS1_19radix_merge_compareILb0ELb1EtNS0_19identity_decomposerEEEEE10hipError_tT0_T1_T2_jT3_P12ihipStream_tbPNSt15iterator_traitsISI_E10value_typeEPNSO_ISJ_E10value_typeEPSK_NS1_7vsmem_tEENKUlT_SI_SJ_SK_E_clISD_PtSD_S10_EESH_SX_SI_SJ_SK_EUlSX_E1_NS1_11comp_targetILNS1_3genE10ELNS1_11target_archE1201ELNS1_3gpuE5ELNS1_3repE0EEENS1_36merge_oddeven_config_static_selectorELNS0_4arch9wavefront6targetE1EEEvSJ_
	.p2align	8
	.type	_ZN7rocprim17ROCPRIM_400000_NS6detail17trampoline_kernelINS0_14default_configENS1_38merge_sort_block_merge_config_selectorIttEEZZNS1_27merge_sort_block_merge_implIS3_N6thrust23THRUST_200600_302600_NS6detail15normal_iteratorINS8_10device_ptrItEEEESD_jNS1_19radix_merge_compareILb0ELb1EtNS0_19identity_decomposerEEEEE10hipError_tT0_T1_T2_jT3_P12ihipStream_tbPNSt15iterator_traitsISI_E10value_typeEPNSO_ISJ_E10value_typeEPSK_NS1_7vsmem_tEENKUlT_SI_SJ_SK_E_clISD_PtSD_S10_EESH_SX_SI_SJ_SK_EUlSX_E1_NS1_11comp_targetILNS1_3genE10ELNS1_11target_archE1201ELNS1_3gpuE5ELNS1_3repE0EEENS1_36merge_oddeven_config_static_selectorELNS0_4arch9wavefront6targetE1EEEvSJ_,@function
_ZN7rocprim17ROCPRIM_400000_NS6detail17trampoline_kernelINS0_14default_configENS1_38merge_sort_block_merge_config_selectorIttEEZZNS1_27merge_sort_block_merge_implIS3_N6thrust23THRUST_200600_302600_NS6detail15normal_iteratorINS8_10device_ptrItEEEESD_jNS1_19radix_merge_compareILb0ELb1EtNS0_19identity_decomposerEEEEE10hipError_tT0_T1_T2_jT3_P12ihipStream_tbPNSt15iterator_traitsISI_E10value_typeEPNSO_ISJ_E10value_typeEPSK_NS1_7vsmem_tEENKUlT_SI_SJ_SK_E_clISD_PtSD_S10_EESH_SX_SI_SJ_SK_EUlSX_E1_NS1_11comp_targetILNS1_3genE10ELNS1_11target_archE1201ELNS1_3gpuE5ELNS1_3repE0EEENS1_36merge_oddeven_config_static_selectorELNS0_4arch9wavefront6targetE1EEEvSJ_: ; @_ZN7rocprim17ROCPRIM_400000_NS6detail17trampoline_kernelINS0_14default_configENS1_38merge_sort_block_merge_config_selectorIttEEZZNS1_27merge_sort_block_merge_implIS3_N6thrust23THRUST_200600_302600_NS6detail15normal_iteratorINS8_10device_ptrItEEEESD_jNS1_19radix_merge_compareILb0ELb1EtNS0_19identity_decomposerEEEEE10hipError_tT0_T1_T2_jT3_P12ihipStream_tbPNSt15iterator_traitsISI_E10value_typeEPNSO_ISJ_E10value_typeEPSK_NS1_7vsmem_tEENKUlT_SI_SJ_SK_E_clISD_PtSD_S10_EESH_SX_SI_SJ_SK_EUlSX_E1_NS1_11comp_targetILNS1_3genE10ELNS1_11target_archE1201ELNS1_3gpuE5ELNS1_3repE0EEENS1_36merge_oddeven_config_static_selectorELNS0_4arch9wavefront6targetE1EEEvSJ_
; %bb.0:
	.section	.rodata,"a",@progbits
	.p2align	6, 0x0
	.amdhsa_kernel _ZN7rocprim17ROCPRIM_400000_NS6detail17trampoline_kernelINS0_14default_configENS1_38merge_sort_block_merge_config_selectorIttEEZZNS1_27merge_sort_block_merge_implIS3_N6thrust23THRUST_200600_302600_NS6detail15normal_iteratorINS8_10device_ptrItEEEESD_jNS1_19radix_merge_compareILb0ELb1EtNS0_19identity_decomposerEEEEE10hipError_tT0_T1_T2_jT3_P12ihipStream_tbPNSt15iterator_traitsISI_E10value_typeEPNSO_ISJ_E10value_typeEPSK_NS1_7vsmem_tEENKUlT_SI_SJ_SK_E_clISD_PtSD_S10_EESH_SX_SI_SJ_SK_EUlSX_E1_NS1_11comp_targetILNS1_3genE10ELNS1_11target_archE1201ELNS1_3gpuE5ELNS1_3repE0EEENS1_36merge_oddeven_config_static_selectorELNS0_4arch9wavefront6targetE1EEEvSJ_
		.amdhsa_group_segment_fixed_size 0
		.amdhsa_private_segment_fixed_size 0
		.amdhsa_kernarg_size 48
		.amdhsa_user_sgpr_count 2
		.amdhsa_user_sgpr_dispatch_ptr 0
		.amdhsa_user_sgpr_queue_ptr 0
		.amdhsa_user_sgpr_kernarg_segment_ptr 1
		.amdhsa_user_sgpr_dispatch_id 0
		.amdhsa_user_sgpr_kernarg_preload_length 0
		.amdhsa_user_sgpr_kernarg_preload_offset 0
		.amdhsa_user_sgpr_private_segment_size 0
		.amdhsa_uses_dynamic_stack 0
		.amdhsa_enable_private_segment 0
		.amdhsa_system_sgpr_workgroup_id_x 1
		.amdhsa_system_sgpr_workgroup_id_y 0
		.amdhsa_system_sgpr_workgroup_id_z 0
		.amdhsa_system_sgpr_workgroup_info 0
		.amdhsa_system_vgpr_workitem_id 0
		.amdhsa_next_free_vgpr 1
		.amdhsa_next_free_sgpr 0
		.amdhsa_accum_offset 4
		.amdhsa_reserve_vcc 0
		.amdhsa_float_round_mode_32 0
		.amdhsa_float_round_mode_16_64 0
		.amdhsa_float_denorm_mode_32 3
		.amdhsa_float_denorm_mode_16_64 3
		.amdhsa_dx10_clamp 1
		.amdhsa_ieee_mode 1
		.amdhsa_fp16_overflow 0
		.amdhsa_tg_split 0
		.amdhsa_exception_fp_ieee_invalid_op 0
		.amdhsa_exception_fp_denorm_src 0
		.amdhsa_exception_fp_ieee_div_zero 0
		.amdhsa_exception_fp_ieee_overflow 0
		.amdhsa_exception_fp_ieee_underflow 0
		.amdhsa_exception_fp_ieee_inexact 0
		.amdhsa_exception_int_div_zero 0
	.end_amdhsa_kernel
	.section	.text._ZN7rocprim17ROCPRIM_400000_NS6detail17trampoline_kernelINS0_14default_configENS1_38merge_sort_block_merge_config_selectorIttEEZZNS1_27merge_sort_block_merge_implIS3_N6thrust23THRUST_200600_302600_NS6detail15normal_iteratorINS8_10device_ptrItEEEESD_jNS1_19radix_merge_compareILb0ELb1EtNS0_19identity_decomposerEEEEE10hipError_tT0_T1_T2_jT3_P12ihipStream_tbPNSt15iterator_traitsISI_E10value_typeEPNSO_ISJ_E10value_typeEPSK_NS1_7vsmem_tEENKUlT_SI_SJ_SK_E_clISD_PtSD_S10_EESH_SX_SI_SJ_SK_EUlSX_E1_NS1_11comp_targetILNS1_3genE10ELNS1_11target_archE1201ELNS1_3gpuE5ELNS1_3repE0EEENS1_36merge_oddeven_config_static_selectorELNS0_4arch9wavefront6targetE1EEEvSJ_,"axG",@progbits,_ZN7rocprim17ROCPRIM_400000_NS6detail17trampoline_kernelINS0_14default_configENS1_38merge_sort_block_merge_config_selectorIttEEZZNS1_27merge_sort_block_merge_implIS3_N6thrust23THRUST_200600_302600_NS6detail15normal_iteratorINS8_10device_ptrItEEEESD_jNS1_19radix_merge_compareILb0ELb1EtNS0_19identity_decomposerEEEEE10hipError_tT0_T1_T2_jT3_P12ihipStream_tbPNSt15iterator_traitsISI_E10value_typeEPNSO_ISJ_E10value_typeEPSK_NS1_7vsmem_tEENKUlT_SI_SJ_SK_E_clISD_PtSD_S10_EESH_SX_SI_SJ_SK_EUlSX_E1_NS1_11comp_targetILNS1_3genE10ELNS1_11target_archE1201ELNS1_3gpuE5ELNS1_3repE0EEENS1_36merge_oddeven_config_static_selectorELNS0_4arch9wavefront6targetE1EEEvSJ_,comdat
.Lfunc_end940:
	.size	_ZN7rocprim17ROCPRIM_400000_NS6detail17trampoline_kernelINS0_14default_configENS1_38merge_sort_block_merge_config_selectorIttEEZZNS1_27merge_sort_block_merge_implIS3_N6thrust23THRUST_200600_302600_NS6detail15normal_iteratorINS8_10device_ptrItEEEESD_jNS1_19radix_merge_compareILb0ELb1EtNS0_19identity_decomposerEEEEE10hipError_tT0_T1_T2_jT3_P12ihipStream_tbPNSt15iterator_traitsISI_E10value_typeEPNSO_ISJ_E10value_typeEPSK_NS1_7vsmem_tEENKUlT_SI_SJ_SK_E_clISD_PtSD_S10_EESH_SX_SI_SJ_SK_EUlSX_E1_NS1_11comp_targetILNS1_3genE10ELNS1_11target_archE1201ELNS1_3gpuE5ELNS1_3repE0EEENS1_36merge_oddeven_config_static_selectorELNS0_4arch9wavefront6targetE1EEEvSJ_, .Lfunc_end940-_ZN7rocprim17ROCPRIM_400000_NS6detail17trampoline_kernelINS0_14default_configENS1_38merge_sort_block_merge_config_selectorIttEEZZNS1_27merge_sort_block_merge_implIS3_N6thrust23THRUST_200600_302600_NS6detail15normal_iteratorINS8_10device_ptrItEEEESD_jNS1_19radix_merge_compareILb0ELb1EtNS0_19identity_decomposerEEEEE10hipError_tT0_T1_T2_jT3_P12ihipStream_tbPNSt15iterator_traitsISI_E10value_typeEPNSO_ISJ_E10value_typeEPSK_NS1_7vsmem_tEENKUlT_SI_SJ_SK_E_clISD_PtSD_S10_EESH_SX_SI_SJ_SK_EUlSX_E1_NS1_11comp_targetILNS1_3genE10ELNS1_11target_archE1201ELNS1_3gpuE5ELNS1_3repE0EEENS1_36merge_oddeven_config_static_selectorELNS0_4arch9wavefront6targetE1EEEvSJ_
                                        ; -- End function
	.set _ZN7rocprim17ROCPRIM_400000_NS6detail17trampoline_kernelINS0_14default_configENS1_38merge_sort_block_merge_config_selectorIttEEZZNS1_27merge_sort_block_merge_implIS3_N6thrust23THRUST_200600_302600_NS6detail15normal_iteratorINS8_10device_ptrItEEEESD_jNS1_19radix_merge_compareILb0ELb1EtNS0_19identity_decomposerEEEEE10hipError_tT0_T1_T2_jT3_P12ihipStream_tbPNSt15iterator_traitsISI_E10value_typeEPNSO_ISJ_E10value_typeEPSK_NS1_7vsmem_tEENKUlT_SI_SJ_SK_E_clISD_PtSD_S10_EESH_SX_SI_SJ_SK_EUlSX_E1_NS1_11comp_targetILNS1_3genE10ELNS1_11target_archE1201ELNS1_3gpuE5ELNS1_3repE0EEENS1_36merge_oddeven_config_static_selectorELNS0_4arch9wavefront6targetE1EEEvSJ_.num_vgpr, 0
	.set _ZN7rocprim17ROCPRIM_400000_NS6detail17trampoline_kernelINS0_14default_configENS1_38merge_sort_block_merge_config_selectorIttEEZZNS1_27merge_sort_block_merge_implIS3_N6thrust23THRUST_200600_302600_NS6detail15normal_iteratorINS8_10device_ptrItEEEESD_jNS1_19radix_merge_compareILb0ELb1EtNS0_19identity_decomposerEEEEE10hipError_tT0_T1_T2_jT3_P12ihipStream_tbPNSt15iterator_traitsISI_E10value_typeEPNSO_ISJ_E10value_typeEPSK_NS1_7vsmem_tEENKUlT_SI_SJ_SK_E_clISD_PtSD_S10_EESH_SX_SI_SJ_SK_EUlSX_E1_NS1_11comp_targetILNS1_3genE10ELNS1_11target_archE1201ELNS1_3gpuE5ELNS1_3repE0EEENS1_36merge_oddeven_config_static_selectorELNS0_4arch9wavefront6targetE1EEEvSJ_.num_agpr, 0
	.set _ZN7rocprim17ROCPRIM_400000_NS6detail17trampoline_kernelINS0_14default_configENS1_38merge_sort_block_merge_config_selectorIttEEZZNS1_27merge_sort_block_merge_implIS3_N6thrust23THRUST_200600_302600_NS6detail15normal_iteratorINS8_10device_ptrItEEEESD_jNS1_19radix_merge_compareILb0ELb1EtNS0_19identity_decomposerEEEEE10hipError_tT0_T1_T2_jT3_P12ihipStream_tbPNSt15iterator_traitsISI_E10value_typeEPNSO_ISJ_E10value_typeEPSK_NS1_7vsmem_tEENKUlT_SI_SJ_SK_E_clISD_PtSD_S10_EESH_SX_SI_SJ_SK_EUlSX_E1_NS1_11comp_targetILNS1_3genE10ELNS1_11target_archE1201ELNS1_3gpuE5ELNS1_3repE0EEENS1_36merge_oddeven_config_static_selectorELNS0_4arch9wavefront6targetE1EEEvSJ_.numbered_sgpr, 0
	.set _ZN7rocprim17ROCPRIM_400000_NS6detail17trampoline_kernelINS0_14default_configENS1_38merge_sort_block_merge_config_selectorIttEEZZNS1_27merge_sort_block_merge_implIS3_N6thrust23THRUST_200600_302600_NS6detail15normal_iteratorINS8_10device_ptrItEEEESD_jNS1_19radix_merge_compareILb0ELb1EtNS0_19identity_decomposerEEEEE10hipError_tT0_T1_T2_jT3_P12ihipStream_tbPNSt15iterator_traitsISI_E10value_typeEPNSO_ISJ_E10value_typeEPSK_NS1_7vsmem_tEENKUlT_SI_SJ_SK_E_clISD_PtSD_S10_EESH_SX_SI_SJ_SK_EUlSX_E1_NS1_11comp_targetILNS1_3genE10ELNS1_11target_archE1201ELNS1_3gpuE5ELNS1_3repE0EEENS1_36merge_oddeven_config_static_selectorELNS0_4arch9wavefront6targetE1EEEvSJ_.num_named_barrier, 0
	.set _ZN7rocprim17ROCPRIM_400000_NS6detail17trampoline_kernelINS0_14default_configENS1_38merge_sort_block_merge_config_selectorIttEEZZNS1_27merge_sort_block_merge_implIS3_N6thrust23THRUST_200600_302600_NS6detail15normal_iteratorINS8_10device_ptrItEEEESD_jNS1_19radix_merge_compareILb0ELb1EtNS0_19identity_decomposerEEEEE10hipError_tT0_T1_T2_jT3_P12ihipStream_tbPNSt15iterator_traitsISI_E10value_typeEPNSO_ISJ_E10value_typeEPSK_NS1_7vsmem_tEENKUlT_SI_SJ_SK_E_clISD_PtSD_S10_EESH_SX_SI_SJ_SK_EUlSX_E1_NS1_11comp_targetILNS1_3genE10ELNS1_11target_archE1201ELNS1_3gpuE5ELNS1_3repE0EEENS1_36merge_oddeven_config_static_selectorELNS0_4arch9wavefront6targetE1EEEvSJ_.private_seg_size, 0
	.set _ZN7rocprim17ROCPRIM_400000_NS6detail17trampoline_kernelINS0_14default_configENS1_38merge_sort_block_merge_config_selectorIttEEZZNS1_27merge_sort_block_merge_implIS3_N6thrust23THRUST_200600_302600_NS6detail15normal_iteratorINS8_10device_ptrItEEEESD_jNS1_19radix_merge_compareILb0ELb1EtNS0_19identity_decomposerEEEEE10hipError_tT0_T1_T2_jT3_P12ihipStream_tbPNSt15iterator_traitsISI_E10value_typeEPNSO_ISJ_E10value_typeEPSK_NS1_7vsmem_tEENKUlT_SI_SJ_SK_E_clISD_PtSD_S10_EESH_SX_SI_SJ_SK_EUlSX_E1_NS1_11comp_targetILNS1_3genE10ELNS1_11target_archE1201ELNS1_3gpuE5ELNS1_3repE0EEENS1_36merge_oddeven_config_static_selectorELNS0_4arch9wavefront6targetE1EEEvSJ_.uses_vcc, 0
	.set _ZN7rocprim17ROCPRIM_400000_NS6detail17trampoline_kernelINS0_14default_configENS1_38merge_sort_block_merge_config_selectorIttEEZZNS1_27merge_sort_block_merge_implIS3_N6thrust23THRUST_200600_302600_NS6detail15normal_iteratorINS8_10device_ptrItEEEESD_jNS1_19radix_merge_compareILb0ELb1EtNS0_19identity_decomposerEEEEE10hipError_tT0_T1_T2_jT3_P12ihipStream_tbPNSt15iterator_traitsISI_E10value_typeEPNSO_ISJ_E10value_typeEPSK_NS1_7vsmem_tEENKUlT_SI_SJ_SK_E_clISD_PtSD_S10_EESH_SX_SI_SJ_SK_EUlSX_E1_NS1_11comp_targetILNS1_3genE10ELNS1_11target_archE1201ELNS1_3gpuE5ELNS1_3repE0EEENS1_36merge_oddeven_config_static_selectorELNS0_4arch9wavefront6targetE1EEEvSJ_.uses_flat_scratch, 0
	.set _ZN7rocprim17ROCPRIM_400000_NS6detail17trampoline_kernelINS0_14default_configENS1_38merge_sort_block_merge_config_selectorIttEEZZNS1_27merge_sort_block_merge_implIS3_N6thrust23THRUST_200600_302600_NS6detail15normal_iteratorINS8_10device_ptrItEEEESD_jNS1_19radix_merge_compareILb0ELb1EtNS0_19identity_decomposerEEEEE10hipError_tT0_T1_T2_jT3_P12ihipStream_tbPNSt15iterator_traitsISI_E10value_typeEPNSO_ISJ_E10value_typeEPSK_NS1_7vsmem_tEENKUlT_SI_SJ_SK_E_clISD_PtSD_S10_EESH_SX_SI_SJ_SK_EUlSX_E1_NS1_11comp_targetILNS1_3genE10ELNS1_11target_archE1201ELNS1_3gpuE5ELNS1_3repE0EEENS1_36merge_oddeven_config_static_selectorELNS0_4arch9wavefront6targetE1EEEvSJ_.has_dyn_sized_stack, 0
	.set _ZN7rocprim17ROCPRIM_400000_NS6detail17trampoline_kernelINS0_14default_configENS1_38merge_sort_block_merge_config_selectorIttEEZZNS1_27merge_sort_block_merge_implIS3_N6thrust23THRUST_200600_302600_NS6detail15normal_iteratorINS8_10device_ptrItEEEESD_jNS1_19radix_merge_compareILb0ELb1EtNS0_19identity_decomposerEEEEE10hipError_tT0_T1_T2_jT3_P12ihipStream_tbPNSt15iterator_traitsISI_E10value_typeEPNSO_ISJ_E10value_typeEPSK_NS1_7vsmem_tEENKUlT_SI_SJ_SK_E_clISD_PtSD_S10_EESH_SX_SI_SJ_SK_EUlSX_E1_NS1_11comp_targetILNS1_3genE10ELNS1_11target_archE1201ELNS1_3gpuE5ELNS1_3repE0EEENS1_36merge_oddeven_config_static_selectorELNS0_4arch9wavefront6targetE1EEEvSJ_.has_recursion, 0
	.set _ZN7rocprim17ROCPRIM_400000_NS6detail17trampoline_kernelINS0_14default_configENS1_38merge_sort_block_merge_config_selectorIttEEZZNS1_27merge_sort_block_merge_implIS3_N6thrust23THRUST_200600_302600_NS6detail15normal_iteratorINS8_10device_ptrItEEEESD_jNS1_19radix_merge_compareILb0ELb1EtNS0_19identity_decomposerEEEEE10hipError_tT0_T1_T2_jT3_P12ihipStream_tbPNSt15iterator_traitsISI_E10value_typeEPNSO_ISJ_E10value_typeEPSK_NS1_7vsmem_tEENKUlT_SI_SJ_SK_E_clISD_PtSD_S10_EESH_SX_SI_SJ_SK_EUlSX_E1_NS1_11comp_targetILNS1_3genE10ELNS1_11target_archE1201ELNS1_3gpuE5ELNS1_3repE0EEENS1_36merge_oddeven_config_static_selectorELNS0_4arch9wavefront6targetE1EEEvSJ_.has_indirect_call, 0
	.section	.AMDGPU.csdata,"",@progbits
; Kernel info:
; codeLenInByte = 0
; TotalNumSgprs: 6
; NumVgprs: 0
; NumAgprs: 0
; TotalNumVgprs: 0
; ScratchSize: 0
; MemoryBound: 0
; FloatMode: 240
; IeeeMode: 1
; LDSByteSize: 0 bytes/workgroup (compile time only)
; SGPRBlocks: 0
; VGPRBlocks: 0
; NumSGPRsForWavesPerEU: 6
; NumVGPRsForWavesPerEU: 1
; AccumOffset: 4
; Occupancy: 8
; WaveLimiterHint : 0
; COMPUTE_PGM_RSRC2:SCRATCH_EN: 0
; COMPUTE_PGM_RSRC2:USER_SGPR: 2
; COMPUTE_PGM_RSRC2:TRAP_HANDLER: 0
; COMPUTE_PGM_RSRC2:TGID_X_EN: 1
; COMPUTE_PGM_RSRC2:TGID_Y_EN: 0
; COMPUTE_PGM_RSRC2:TGID_Z_EN: 0
; COMPUTE_PGM_RSRC2:TIDIG_COMP_CNT: 0
; COMPUTE_PGM_RSRC3_GFX90A:ACCUM_OFFSET: 0
; COMPUTE_PGM_RSRC3_GFX90A:TG_SPLIT: 0
	.section	.text._ZN7rocprim17ROCPRIM_400000_NS6detail17trampoline_kernelINS0_14default_configENS1_38merge_sort_block_merge_config_selectorIttEEZZNS1_27merge_sort_block_merge_implIS3_N6thrust23THRUST_200600_302600_NS6detail15normal_iteratorINS8_10device_ptrItEEEESD_jNS1_19radix_merge_compareILb0ELb1EtNS0_19identity_decomposerEEEEE10hipError_tT0_T1_T2_jT3_P12ihipStream_tbPNSt15iterator_traitsISI_E10value_typeEPNSO_ISJ_E10value_typeEPSK_NS1_7vsmem_tEENKUlT_SI_SJ_SK_E_clISD_PtSD_S10_EESH_SX_SI_SJ_SK_EUlSX_E1_NS1_11comp_targetILNS1_3genE5ELNS1_11target_archE942ELNS1_3gpuE9ELNS1_3repE0EEENS1_36merge_oddeven_config_static_selectorELNS0_4arch9wavefront6targetE1EEEvSJ_,"axG",@progbits,_ZN7rocprim17ROCPRIM_400000_NS6detail17trampoline_kernelINS0_14default_configENS1_38merge_sort_block_merge_config_selectorIttEEZZNS1_27merge_sort_block_merge_implIS3_N6thrust23THRUST_200600_302600_NS6detail15normal_iteratorINS8_10device_ptrItEEEESD_jNS1_19radix_merge_compareILb0ELb1EtNS0_19identity_decomposerEEEEE10hipError_tT0_T1_T2_jT3_P12ihipStream_tbPNSt15iterator_traitsISI_E10value_typeEPNSO_ISJ_E10value_typeEPSK_NS1_7vsmem_tEENKUlT_SI_SJ_SK_E_clISD_PtSD_S10_EESH_SX_SI_SJ_SK_EUlSX_E1_NS1_11comp_targetILNS1_3genE5ELNS1_11target_archE942ELNS1_3gpuE9ELNS1_3repE0EEENS1_36merge_oddeven_config_static_selectorELNS0_4arch9wavefront6targetE1EEEvSJ_,comdat
	.protected	_ZN7rocprim17ROCPRIM_400000_NS6detail17trampoline_kernelINS0_14default_configENS1_38merge_sort_block_merge_config_selectorIttEEZZNS1_27merge_sort_block_merge_implIS3_N6thrust23THRUST_200600_302600_NS6detail15normal_iteratorINS8_10device_ptrItEEEESD_jNS1_19radix_merge_compareILb0ELb1EtNS0_19identity_decomposerEEEEE10hipError_tT0_T1_T2_jT3_P12ihipStream_tbPNSt15iterator_traitsISI_E10value_typeEPNSO_ISJ_E10value_typeEPSK_NS1_7vsmem_tEENKUlT_SI_SJ_SK_E_clISD_PtSD_S10_EESH_SX_SI_SJ_SK_EUlSX_E1_NS1_11comp_targetILNS1_3genE5ELNS1_11target_archE942ELNS1_3gpuE9ELNS1_3repE0EEENS1_36merge_oddeven_config_static_selectorELNS0_4arch9wavefront6targetE1EEEvSJ_ ; -- Begin function _ZN7rocprim17ROCPRIM_400000_NS6detail17trampoline_kernelINS0_14default_configENS1_38merge_sort_block_merge_config_selectorIttEEZZNS1_27merge_sort_block_merge_implIS3_N6thrust23THRUST_200600_302600_NS6detail15normal_iteratorINS8_10device_ptrItEEEESD_jNS1_19radix_merge_compareILb0ELb1EtNS0_19identity_decomposerEEEEE10hipError_tT0_T1_T2_jT3_P12ihipStream_tbPNSt15iterator_traitsISI_E10value_typeEPNSO_ISJ_E10value_typeEPSK_NS1_7vsmem_tEENKUlT_SI_SJ_SK_E_clISD_PtSD_S10_EESH_SX_SI_SJ_SK_EUlSX_E1_NS1_11comp_targetILNS1_3genE5ELNS1_11target_archE942ELNS1_3gpuE9ELNS1_3repE0EEENS1_36merge_oddeven_config_static_selectorELNS0_4arch9wavefront6targetE1EEEvSJ_
	.globl	_ZN7rocprim17ROCPRIM_400000_NS6detail17trampoline_kernelINS0_14default_configENS1_38merge_sort_block_merge_config_selectorIttEEZZNS1_27merge_sort_block_merge_implIS3_N6thrust23THRUST_200600_302600_NS6detail15normal_iteratorINS8_10device_ptrItEEEESD_jNS1_19radix_merge_compareILb0ELb1EtNS0_19identity_decomposerEEEEE10hipError_tT0_T1_T2_jT3_P12ihipStream_tbPNSt15iterator_traitsISI_E10value_typeEPNSO_ISJ_E10value_typeEPSK_NS1_7vsmem_tEENKUlT_SI_SJ_SK_E_clISD_PtSD_S10_EESH_SX_SI_SJ_SK_EUlSX_E1_NS1_11comp_targetILNS1_3genE5ELNS1_11target_archE942ELNS1_3gpuE9ELNS1_3repE0EEENS1_36merge_oddeven_config_static_selectorELNS0_4arch9wavefront6targetE1EEEvSJ_
	.p2align	8
	.type	_ZN7rocprim17ROCPRIM_400000_NS6detail17trampoline_kernelINS0_14default_configENS1_38merge_sort_block_merge_config_selectorIttEEZZNS1_27merge_sort_block_merge_implIS3_N6thrust23THRUST_200600_302600_NS6detail15normal_iteratorINS8_10device_ptrItEEEESD_jNS1_19radix_merge_compareILb0ELb1EtNS0_19identity_decomposerEEEEE10hipError_tT0_T1_T2_jT3_P12ihipStream_tbPNSt15iterator_traitsISI_E10value_typeEPNSO_ISJ_E10value_typeEPSK_NS1_7vsmem_tEENKUlT_SI_SJ_SK_E_clISD_PtSD_S10_EESH_SX_SI_SJ_SK_EUlSX_E1_NS1_11comp_targetILNS1_3genE5ELNS1_11target_archE942ELNS1_3gpuE9ELNS1_3repE0EEENS1_36merge_oddeven_config_static_selectorELNS0_4arch9wavefront6targetE1EEEvSJ_,@function
_ZN7rocprim17ROCPRIM_400000_NS6detail17trampoline_kernelINS0_14default_configENS1_38merge_sort_block_merge_config_selectorIttEEZZNS1_27merge_sort_block_merge_implIS3_N6thrust23THRUST_200600_302600_NS6detail15normal_iteratorINS8_10device_ptrItEEEESD_jNS1_19radix_merge_compareILb0ELb1EtNS0_19identity_decomposerEEEEE10hipError_tT0_T1_T2_jT3_P12ihipStream_tbPNSt15iterator_traitsISI_E10value_typeEPNSO_ISJ_E10value_typeEPSK_NS1_7vsmem_tEENKUlT_SI_SJ_SK_E_clISD_PtSD_S10_EESH_SX_SI_SJ_SK_EUlSX_E1_NS1_11comp_targetILNS1_3genE5ELNS1_11target_archE942ELNS1_3gpuE9ELNS1_3repE0EEENS1_36merge_oddeven_config_static_selectorELNS0_4arch9wavefront6targetE1EEEvSJ_: ; @_ZN7rocprim17ROCPRIM_400000_NS6detail17trampoline_kernelINS0_14default_configENS1_38merge_sort_block_merge_config_selectorIttEEZZNS1_27merge_sort_block_merge_implIS3_N6thrust23THRUST_200600_302600_NS6detail15normal_iteratorINS8_10device_ptrItEEEESD_jNS1_19radix_merge_compareILb0ELb1EtNS0_19identity_decomposerEEEEE10hipError_tT0_T1_T2_jT3_P12ihipStream_tbPNSt15iterator_traitsISI_E10value_typeEPNSO_ISJ_E10value_typeEPSK_NS1_7vsmem_tEENKUlT_SI_SJ_SK_E_clISD_PtSD_S10_EESH_SX_SI_SJ_SK_EUlSX_E1_NS1_11comp_targetILNS1_3genE5ELNS1_11target_archE942ELNS1_3gpuE9ELNS1_3repE0EEENS1_36merge_oddeven_config_static_selectorELNS0_4arch9wavefront6targetE1EEEvSJ_
; %bb.0:
	.section	.rodata,"a",@progbits
	.p2align	6, 0x0
	.amdhsa_kernel _ZN7rocprim17ROCPRIM_400000_NS6detail17trampoline_kernelINS0_14default_configENS1_38merge_sort_block_merge_config_selectorIttEEZZNS1_27merge_sort_block_merge_implIS3_N6thrust23THRUST_200600_302600_NS6detail15normal_iteratorINS8_10device_ptrItEEEESD_jNS1_19radix_merge_compareILb0ELb1EtNS0_19identity_decomposerEEEEE10hipError_tT0_T1_T2_jT3_P12ihipStream_tbPNSt15iterator_traitsISI_E10value_typeEPNSO_ISJ_E10value_typeEPSK_NS1_7vsmem_tEENKUlT_SI_SJ_SK_E_clISD_PtSD_S10_EESH_SX_SI_SJ_SK_EUlSX_E1_NS1_11comp_targetILNS1_3genE5ELNS1_11target_archE942ELNS1_3gpuE9ELNS1_3repE0EEENS1_36merge_oddeven_config_static_selectorELNS0_4arch9wavefront6targetE1EEEvSJ_
		.amdhsa_group_segment_fixed_size 0
		.amdhsa_private_segment_fixed_size 0
		.amdhsa_kernarg_size 48
		.amdhsa_user_sgpr_count 2
		.amdhsa_user_sgpr_dispatch_ptr 0
		.amdhsa_user_sgpr_queue_ptr 0
		.amdhsa_user_sgpr_kernarg_segment_ptr 1
		.amdhsa_user_sgpr_dispatch_id 0
		.amdhsa_user_sgpr_kernarg_preload_length 0
		.amdhsa_user_sgpr_kernarg_preload_offset 0
		.amdhsa_user_sgpr_private_segment_size 0
		.amdhsa_uses_dynamic_stack 0
		.amdhsa_enable_private_segment 0
		.amdhsa_system_sgpr_workgroup_id_x 1
		.amdhsa_system_sgpr_workgroup_id_y 0
		.amdhsa_system_sgpr_workgroup_id_z 0
		.amdhsa_system_sgpr_workgroup_info 0
		.amdhsa_system_vgpr_workitem_id 0
		.amdhsa_next_free_vgpr 1
		.amdhsa_next_free_sgpr 0
		.amdhsa_accum_offset 4
		.amdhsa_reserve_vcc 0
		.amdhsa_float_round_mode_32 0
		.amdhsa_float_round_mode_16_64 0
		.amdhsa_float_denorm_mode_32 3
		.amdhsa_float_denorm_mode_16_64 3
		.amdhsa_dx10_clamp 1
		.amdhsa_ieee_mode 1
		.amdhsa_fp16_overflow 0
		.amdhsa_tg_split 0
		.amdhsa_exception_fp_ieee_invalid_op 0
		.amdhsa_exception_fp_denorm_src 0
		.amdhsa_exception_fp_ieee_div_zero 0
		.amdhsa_exception_fp_ieee_overflow 0
		.amdhsa_exception_fp_ieee_underflow 0
		.amdhsa_exception_fp_ieee_inexact 0
		.amdhsa_exception_int_div_zero 0
	.end_amdhsa_kernel
	.section	.text._ZN7rocprim17ROCPRIM_400000_NS6detail17trampoline_kernelINS0_14default_configENS1_38merge_sort_block_merge_config_selectorIttEEZZNS1_27merge_sort_block_merge_implIS3_N6thrust23THRUST_200600_302600_NS6detail15normal_iteratorINS8_10device_ptrItEEEESD_jNS1_19radix_merge_compareILb0ELb1EtNS0_19identity_decomposerEEEEE10hipError_tT0_T1_T2_jT3_P12ihipStream_tbPNSt15iterator_traitsISI_E10value_typeEPNSO_ISJ_E10value_typeEPSK_NS1_7vsmem_tEENKUlT_SI_SJ_SK_E_clISD_PtSD_S10_EESH_SX_SI_SJ_SK_EUlSX_E1_NS1_11comp_targetILNS1_3genE5ELNS1_11target_archE942ELNS1_3gpuE9ELNS1_3repE0EEENS1_36merge_oddeven_config_static_selectorELNS0_4arch9wavefront6targetE1EEEvSJ_,"axG",@progbits,_ZN7rocprim17ROCPRIM_400000_NS6detail17trampoline_kernelINS0_14default_configENS1_38merge_sort_block_merge_config_selectorIttEEZZNS1_27merge_sort_block_merge_implIS3_N6thrust23THRUST_200600_302600_NS6detail15normal_iteratorINS8_10device_ptrItEEEESD_jNS1_19radix_merge_compareILb0ELb1EtNS0_19identity_decomposerEEEEE10hipError_tT0_T1_T2_jT3_P12ihipStream_tbPNSt15iterator_traitsISI_E10value_typeEPNSO_ISJ_E10value_typeEPSK_NS1_7vsmem_tEENKUlT_SI_SJ_SK_E_clISD_PtSD_S10_EESH_SX_SI_SJ_SK_EUlSX_E1_NS1_11comp_targetILNS1_3genE5ELNS1_11target_archE942ELNS1_3gpuE9ELNS1_3repE0EEENS1_36merge_oddeven_config_static_selectorELNS0_4arch9wavefront6targetE1EEEvSJ_,comdat
.Lfunc_end941:
	.size	_ZN7rocprim17ROCPRIM_400000_NS6detail17trampoline_kernelINS0_14default_configENS1_38merge_sort_block_merge_config_selectorIttEEZZNS1_27merge_sort_block_merge_implIS3_N6thrust23THRUST_200600_302600_NS6detail15normal_iteratorINS8_10device_ptrItEEEESD_jNS1_19radix_merge_compareILb0ELb1EtNS0_19identity_decomposerEEEEE10hipError_tT0_T1_T2_jT3_P12ihipStream_tbPNSt15iterator_traitsISI_E10value_typeEPNSO_ISJ_E10value_typeEPSK_NS1_7vsmem_tEENKUlT_SI_SJ_SK_E_clISD_PtSD_S10_EESH_SX_SI_SJ_SK_EUlSX_E1_NS1_11comp_targetILNS1_3genE5ELNS1_11target_archE942ELNS1_3gpuE9ELNS1_3repE0EEENS1_36merge_oddeven_config_static_selectorELNS0_4arch9wavefront6targetE1EEEvSJ_, .Lfunc_end941-_ZN7rocprim17ROCPRIM_400000_NS6detail17trampoline_kernelINS0_14default_configENS1_38merge_sort_block_merge_config_selectorIttEEZZNS1_27merge_sort_block_merge_implIS3_N6thrust23THRUST_200600_302600_NS6detail15normal_iteratorINS8_10device_ptrItEEEESD_jNS1_19radix_merge_compareILb0ELb1EtNS0_19identity_decomposerEEEEE10hipError_tT0_T1_T2_jT3_P12ihipStream_tbPNSt15iterator_traitsISI_E10value_typeEPNSO_ISJ_E10value_typeEPSK_NS1_7vsmem_tEENKUlT_SI_SJ_SK_E_clISD_PtSD_S10_EESH_SX_SI_SJ_SK_EUlSX_E1_NS1_11comp_targetILNS1_3genE5ELNS1_11target_archE942ELNS1_3gpuE9ELNS1_3repE0EEENS1_36merge_oddeven_config_static_selectorELNS0_4arch9wavefront6targetE1EEEvSJ_
                                        ; -- End function
	.set _ZN7rocprim17ROCPRIM_400000_NS6detail17trampoline_kernelINS0_14default_configENS1_38merge_sort_block_merge_config_selectorIttEEZZNS1_27merge_sort_block_merge_implIS3_N6thrust23THRUST_200600_302600_NS6detail15normal_iteratorINS8_10device_ptrItEEEESD_jNS1_19radix_merge_compareILb0ELb1EtNS0_19identity_decomposerEEEEE10hipError_tT0_T1_T2_jT3_P12ihipStream_tbPNSt15iterator_traitsISI_E10value_typeEPNSO_ISJ_E10value_typeEPSK_NS1_7vsmem_tEENKUlT_SI_SJ_SK_E_clISD_PtSD_S10_EESH_SX_SI_SJ_SK_EUlSX_E1_NS1_11comp_targetILNS1_3genE5ELNS1_11target_archE942ELNS1_3gpuE9ELNS1_3repE0EEENS1_36merge_oddeven_config_static_selectorELNS0_4arch9wavefront6targetE1EEEvSJ_.num_vgpr, 0
	.set _ZN7rocprim17ROCPRIM_400000_NS6detail17trampoline_kernelINS0_14default_configENS1_38merge_sort_block_merge_config_selectorIttEEZZNS1_27merge_sort_block_merge_implIS3_N6thrust23THRUST_200600_302600_NS6detail15normal_iteratorINS8_10device_ptrItEEEESD_jNS1_19radix_merge_compareILb0ELb1EtNS0_19identity_decomposerEEEEE10hipError_tT0_T1_T2_jT3_P12ihipStream_tbPNSt15iterator_traitsISI_E10value_typeEPNSO_ISJ_E10value_typeEPSK_NS1_7vsmem_tEENKUlT_SI_SJ_SK_E_clISD_PtSD_S10_EESH_SX_SI_SJ_SK_EUlSX_E1_NS1_11comp_targetILNS1_3genE5ELNS1_11target_archE942ELNS1_3gpuE9ELNS1_3repE0EEENS1_36merge_oddeven_config_static_selectorELNS0_4arch9wavefront6targetE1EEEvSJ_.num_agpr, 0
	.set _ZN7rocprim17ROCPRIM_400000_NS6detail17trampoline_kernelINS0_14default_configENS1_38merge_sort_block_merge_config_selectorIttEEZZNS1_27merge_sort_block_merge_implIS3_N6thrust23THRUST_200600_302600_NS6detail15normal_iteratorINS8_10device_ptrItEEEESD_jNS1_19radix_merge_compareILb0ELb1EtNS0_19identity_decomposerEEEEE10hipError_tT0_T1_T2_jT3_P12ihipStream_tbPNSt15iterator_traitsISI_E10value_typeEPNSO_ISJ_E10value_typeEPSK_NS1_7vsmem_tEENKUlT_SI_SJ_SK_E_clISD_PtSD_S10_EESH_SX_SI_SJ_SK_EUlSX_E1_NS1_11comp_targetILNS1_3genE5ELNS1_11target_archE942ELNS1_3gpuE9ELNS1_3repE0EEENS1_36merge_oddeven_config_static_selectorELNS0_4arch9wavefront6targetE1EEEvSJ_.numbered_sgpr, 0
	.set _ZN7rocprim17ROCPRIM_400000_NS6detail17trampoline_kernelINS0_14default_configENS1_38merge_sort_block_merge_config_selectorIttEEZZNS1_27merge_sort_block_merge_implIS3_N6thrust23THRUST_200600_302600_NS6detail15normal_iteratorINS8_10device_ptrItEEEESD_jNS1_19radix_merge_compareILb0ELb1EtNS0_19identity_decomposerEEEEE10hipError_tT0_T1_T2_jT3_P12ihipStream_tbPNSt15iterator_traitsISI_E10value_typeEPNSO_ISJ_E10value_typeEPSK_NS1_7vsmem_tEENKUlT_SI_SJ_SK_E_clISD_PtSD_S10_EESH_SX_SI_SJ_SK_EUlSX_E1_NS1_11comp_targetILNS1_3genE5ELNS1_11target_archE942ELNS1_3gpuE9ELNS1_3repE0EEENS1_36merge_oddeven_config_static_selectorELNS0_4arch9wavefront6targetE1EEEvSJ_.num_named_barrier, 0
	.set _ZN7rocprim17ROCPRIM_400000_NS6detail17trampoline_kernelINS0_14default_configENS1_38merge_sort_block_merge_config_selectorIttEEZZNS1_27merge_sort_block_merge_implIS3_N6thrust23THRUST_200600_302600_NS6detail15normal_iteratorINS8_10device_ptrItEEEESD_jNS1_19radix_merge_compareILb0ELb1EtNS0_19identity_decomposerEEEEE10hipError_tT0_T1_T2_jT3_P12ihipStream_tbPNSt15iterator_traitsISI_E10value_typeEPNSO_ISJ_E10value_typeEPSK_NS1_7vsmem_tEENKUlT_SI_SJ_SK_E_clISD_PtSD_S10_EESH_SX_SI_SJ_SK_EUlSX_E1_NS1_11comp_targetILNS1_3genE5ELNS1_11target_archE942ELNS1_3gpuE9ELNS1_3repE0EEENS1_36merge_oddeven_config_static_selectorELNS0_4arch9wavefront6targetE1EEEvSJ_.private_seg_size, 0
	.set _ZN7rocprim17ROCPRIM_400000_NS6detail17trampoline_kernelINS0_14default_configENS1_38merge_sort_block_merge_config_selectorIttEEZZNS1_27merge_sort_block_merge_implIS3_N6thrust23THRUST_200600_302600_NS6detail15normal_iteratorINS8_10device_ptrItEEEESD_jNS1_19radix_merge_compareILb0ELb1EtNS0_19identity_decomposerEEEEE10hipError_tT0_T1_T2_jT3_P12ihipStream_tbPNSt15iterator_traitsISI_E10value_typeEPNSO_ISJ_E10value_typeEPSK_NS1_7vsmem_tEENKUlT_SI_SJ_SK_E_clISD_PtSD_S10_EESH_SX_SI_SJ_SK_EUlSX_E1_NS1_11comp_targetILNS1_3genE5ELNS1_11target_archE942ELNS1_3gpuE9ELNS1_3repE0EEENS1_36merge_oddeven_config_static_selectorELNS0_4arch9wavefront6targetE1EEEvSJ_.uses_vcc, 0
	.set _ZN7rocprim17ROCPRIM_400000_NS6detail17trampoline_kernelINS0_14default_configENS1_38merge_sort_block_merge_config_selectorIttEEZZNS1_27merge_sort_block_merge_implIS3_N6thrust23THRUST_200600_302600_NS6detail15normal_iteratorINS8_10device_ptrItEEEESD_jNS1_19radix_merge_compareILb0ELb1EtNS0_19identity_decomposerEEEEE10hipError_tT0_T1_T2_jT3_P12ihipStream_tbPNSt15iterator_traitsISI_E10value_typeEPNSO_ISJ_E10value_typeEPSK_NS1_7vsmem_tEENKUlT_SI_SJ_SK_E_clISD_PtSD_S10_EESH_SX_SI_SJ_SK_EUlSX_E1_NS1_11comp_targetILNS1_3genE5ELNS1_11target_archE942ELNS1_3gpuE9ELNS1_3repE0EEENS1_36merge_oddeven_config_static_selectorELNS0_4arch9wavefront6targetE1EEEvSJ_.uses_flat_scratch, 0
	.set _ZN7rocprim17ROCPRIM_400000_NS6detail17trampoline_kernelINS0_14default_configENS1_38merge_sort_block_merge_config_selectorIttEEZZNS1_27merge_sort_block_merge_implIS3_N6thrust23THRUST_200600_302600_NS6detail15normal_iteratorINS8_10device_ptrItEEEESD_jNS1_19radix_merge_compareILb0ELb1EtNS0_19identity_decomposerEEEEE10hipError_tT0_T1_T2_jT3_P12ihipStream_tbPNSt15iterator_traitsISI_E10value_typeEPNSO_ISJ_E10value_typeEPSK_NS1_7vsmem_tEENKUlT_SI_SJ_SK_E_clISD_PtSD_S10_EESH_SX_SI_SJ_SK_EUlSX_E1_NS1_11comp_targetILNS1_3genE5ELNS1_11target_archE942ELNS1_3gpuE9ELNS1_3repE0EEENS1_36merge_oddeven_config_static_selectorELNS0_4arch9wavefront6targetE1EEEvSJ_.has_dyn_sized_stack, 0
	.set _ZN7rocprim17ROCPRIM_400000_NS6detail17trampoline_kernelINS0_14default_configENS1_38merge_sort_block_merge_config_selectorIttEEZZNS1_27merge_sort_block_merge_implIS3_N6thrust23THRUST_200600_302600_NS6detail15normal_iteratorINS8_10device_ptrItEEEESD_jNS1_19radix_merge_compareILb0ELb1EtNS0_19identity_decomposerEEEEE10hipError_tT0_T1_T2_jT3_P12ihipStream_tbPNSt15iterator_traitsISI_E10value_typeEPNSO_ISJ_E10value_typeEPSK_NS1_7vsmem_tEENKUlT_SI_SJ_SK_E_clISD_PtSD_S10_EESH_SX_SI_SJ_SK_EUlSX_E1_NS1_11comp_targetILNS1_3genE5ELNS1_11target_archE942ELNS1_3gpuE9ELNS1_3repE0EEENS1_36merge_oddeven_config_static_selectorELNS0_4arch9wavefront6targetE1EEEvSJ_.has_recursion, 0
	.set _ZN7rocprim17ROCPRIM_400000_NS6detail17trampoline_kernelINS0_14default_configENS1_38merge_sort_block_merge_config_selectorIttEEZZNS1_27merge_sort_block_merge_implIS3_N6thrust23THRUST_200600_302600_NS6detail15normal_iteratorINS8_10device_ptrItEEEESD_jNS1_19radix_merge_compareILb0ELb1EtNS0_19identity_decomposerEEEEE10hipError_tT0_T1_T2_jT3_P12ihipStream_tbPNSt15iterator_traitsISI_E10value_typeEPNSO_ISJ_E10value_typeEPSK_NS1_7vsmem_tEENKUlT_SI_SJ_SK_E_clISD_PtSD_S10_EESH_SX_SI_SJ_SK_EUlSX_E1_NS1_11comp_targetILNS1_3genE5ELNS1_11target_archE942ELNS1_3gpuE9ELNS1_3repE0EEENS1_36merge_oddeven_config_static_selectorELNS0_4arch9wavefront6targetE1EEEvSJ_.has_indirect_call, 0
	.section	.AMDGPU.csdata,"",@progbits
; Kernel info:
; codeLenInByte = 0
; TotalNumSgprs: 6
; NumVgprs: 0
; NumAgprs: 0
; TotalNumVgprs: 0
; ScratchSize: 0
; MemoryBound: 0
; FloatMode: 240
; IeeeMode: 1
; LDSByteSize: 0 bytes/workgroup (compile time only)
; SGPRBlocks: 0
; VGPRBlocks: 0
; NumSGPRsForWavesPerEU: 6
; NumVGPRsForWavesPerEU: 1
; AccumOffset: 4
; Occupancy: 8
; WaveLimiterHint : 0
; COMPUTE_PGM_RSRC2:SCRATCH_EN: 0
; COMPUTE_PGM_RSRC2:USER_SGPR: 2
; COMPUTE_PGM_RSRC2:TRAP_HANDLER: 0
; COMPUTE_PGM_RSRC2:TGID_X_EN: 1
; COMPUTE_PGM_RSRC2:TGID_Y_EN: 0
; COMPUTE_PGM_RSRC2:TGID_Z_EN: 0
; COMPUTE_PGM_RSRC2:TIDIG_COMP_CNT: 0
; COMPUTE_PGM_RSRC3_GFX90A:ACCUM_OFFSET: 0
; COMPUTE_PGM_RSRC3_GFX90A:TG_SPLIT: 0
	.section	.text._ZN7rocprim17ROCPRIM_400000_NS6detail17trampoline_kernelINS0_14default_configENS1_38merge_sort_block_merge_config_selectorIttEEZZNS1_27merge_sort_block_merge_implIS3_N6thrust23THRUST_200600_302600_NS6detail15normal_iteratorINS8_10device_ptrItEEEESD_jNS1_19radix_merge_compareILb0ELb1EtNS0_19identity_decomposerEEEEE10hipError_tT0_T1_T2_jT3_P12ihipStream_tbPNSt15iterator_traitsISI_E10value_typeEPNSO_ISJ_E10value_typeEPSK_NS1_7vsmem_tEENKUlT_SI_SJ_SK_E_clISD_PtSD_S10_EESH_SX_SI_SJ_SK_EUlSX_E1_NS1_11comp_targetILNS1_3genE4ELNS1_11target_archE910ELNS1_3gpuE8ELNS1_3repE0EEENS1_36merge_oddeven_config_static_selectorELNS0_4arch9wavefront6targetE1EEEvSJ_,"axG",@progbits,_ZN7rocprim17ROCPRIM_400000_NS6detail17trampoline_kernelINS0_14default_configENS1_38merge_sort_block_merge_config_selectorIttEEZZNS1_27merge_sort_block_merge_implIS3_N6thrust23THRUST_200600_302600_NS6detail15normal_iteratorINS8_10device_ptrItEEEESD_jNS1_19radix_merge_compareILb0ELb1EtNS0_19identity_decomposerEEEEE10hipError_tT0_T1_T2_jT3_P12ihipStream_tbPNSt15iterator_traitsISI_E10value_typeEPNSO_ISJ_E10value_typeEPSK_NS1_7vsmem_tEENKUlT_SI_SJ_SK_E_clISD_PtSD_S10_EESH_SX_SI_SJ_SK_EUlSX_E1_NS1_11comp_targetILNS1_3genE4ELNS1_11target_archE910ELNS1_3gpuE8ELNS1_3repE0EEENS1_36merge_oddeven_config_static_selectorELNS0_4arch9wavefront6targetE1EEEvSJ_,comdat
	.protected	_ZN7rocprim17ROCPRIM_400000_NS6detail17trampoline_kernelINS0_14default_configENS1_38merge_sort_block_merge_config_selectorIttEEZZNS1_27merge_sort_block_merge_implIS3_N6thrust23THRUST_200600_302600_NS6detail15normal_iteratorINS8_10device_ptrItEEEESD_jNS1_19radix_merge_compareILb0ELb1EtNS0_19identity_decomposerEEEEE10hipError_tT0_T1_T2_jT3_P12ihipStream_tbPNSt15iterator_traitsISI_E10value_typeEPNSO_ISJ_E10value_typeEPSK_NS1_7vsmem_tEENKUlT_SI_SJ_SK_E_clISD_PtSD_S10_EESH_SX_SI_SJ_SK_EUlSX_E1_NS1_11comp_targetILNS1_3genE4ELNS1_11target_archE910ELNS1_3gpuE8ELNS1_3repE0EEENS1_36merge_oddeven_config_static_selectorELNS0_4arch9wavefront6targetE1EEEvSJ_ ; -- Begin function _ZN7rocprim17ROCPRIM_400000_NS6detail17trampoline_kernelINS0_14default_configENS1_38merge_sort_block_merge_config_selectorIttEEZZNS1_27merge_sort_block_merge_implIS3_N6thrust23THRUST_200600_302600_NS6detail15normal_iteratorINS8_10device_ptrItEEEESD_jNS1_19radix_merge_compareILb0ELb1EtNS0_19identity_decomposerEEEEE10hipError_tT0_T1_T2_jT3_P12ihipStream_tbPNSt15iterator_traitsISI_E10value_typeEPNSO_ISJ_E10value_typeEPSK_NS1_7vsmem_tEENKUlT_SI_SJ_SK_E_clISD_PtSD_S10_EESH_SX_SI_SJ_SK_EUlSX_E1_NS1_11comp_targetILNS1_3genE4ELNS1_11target_archE910ELNS1_3gpuE8ELNS1_3repE0EEENS1_36merge_oddeven_config_static_selectorELNS0_4arch9wavefront6targetE1EEEvSJ_
	.globl	_ZN7rocprim17ROCPRIM_400000_NS6detail17trampoline_kernelINS0_14default_configENS1_38merge_sort_block_merge_config_selectorIttEEZZNS1_27merge_sort_block_merge_implIS3_N6thrust23THRUST_200600_302600_NS6detail15normal_iteratorINS8_10device_ptrItEEEESD_jNS1_19radix_merge_compareILb0ELb1EtNS0_19identity_decomposerEEEEE10hipError_tT0_T1_T2_jT3_P12ihipStream_tbPNSt15iterator_traitsISI_E10value_typeEPNSO_ISJ_E10value_typeEPSK_NS1_7vsmem_tEENKUlT_SI_SJ_SK_E_clISD_PtSD_S10_EESH_SX_SI_SJ_SK_EUlSX_E1_NS1_11comp_targetILNS1_3genE4ELNS1_11target_archE910ELNS1_3gpuE8ELNS1_3repE0EEENS1_36merge_oddeven_config_static_selectorELNS0_4arch9wavefront6targetE1EEEvSJ_
	.p2align	8
	.type	_ZN7rocprim17ROCPRIM_400000_NS6detail17trampoline_kernelINS0_14default_configENS1_38merge_sort_block_merge_config_selectorIttEEZZNS1_27merge_sort_block_merge_implIS3_N6thrust23THRUST_200600_302600_NS6detail15normal_iteratorINS8_10device_ptrItEEEESD_jNS1_19radix_merge_compareILb0ELb1EtNS0_19identity_decomposerEEEEE10hipError_tT0_T1_T2_jT3_P12ihipStream_tbPNSt15iterator_traitsISI_E10value_typeEPNSO_ISJ_E10value_typeEPSK_NS1_7vsmem_tEENKUlT_SI_SJ_SK_E_clISD_PtSD_S10_EESH_SX_SI_SJ_SK_EUlSX_E1_NS1_11comp_targetILNS1_3genE4ELNS1_11target_archE910ELNS1_3gpuE8ELNS1_3repE0EEENS1_36merge_oddeven_config_static_selectorELNS0_4arch9wavefront6targetE1EEEvSJ_,@function
_ZN7rocprim17ROCPRIM_400000_NS6detail17trampoline_kernelINS0_14default_configENS1_38merge_sort_block_merge_config_selectorIttEEZZNS1_27merge_sort_block_merge_implIS3_N6thrust23THRUST_200600_302600_NS6detail15normal_iteratorINS8_10device_ptrItEEEESD_jNS1_19radix_merge_compareILb0ELb1EtNS0_19identity_decomposerEEEEE10hipError_tT0_T1_T2_jT3_P12ihipStream_tbPNSt15iterator_traitsISI_E10value_typeEPNSO_ISJ_E10value_typeEPSK_NS1_7vsmem_tEENKUlT_SI_SJ_SK_E_clISD_PtSD_S10_EESH_SX_SI_SJ_SK_EUlSX_E1_NS1_11comp_targetILNS1_3genE4ELNS1_11target_archE910ELNS1_3gpuE8ELNS1_3repE0EEENS1_36merge_oddeven_config_static_selectorELNS0_4arch9wavefront6targetE1EEEvSJ_: ; @_ZN7rocprim17ROCPRIM_400000_NS6detail17trampoline_kernelINS0_14default_configENS1_38merge_sort_block_merge_config_selectorIttEEZZNS1_27merge_sort_block_merge_implIS3_N6thrust23THRUST_200600_302600_NS6detail15normal_iteratorINS8_10device_ptrItEEEESD_jNS1_19radix_merge_compareILb0ELb1EtNS0_19identity_decomposerEEEEE10hipError_tT0_T1_T2_jT3_P12ihipStream_tbPNSt15iterator_traitsISI_E10value_typeEPNSO_ISJ_E10value_typeEPSK_NS1_7vsmem_tEENKUlT_SI_SJ_SK_E_clISD_PtSD_S10_EESH_SX_SI_SJ_SK_EUlSX_E1_NS1_11comp_targetILNS1_3genE4ELNS1_11target_archE910ELNS1_3gpuE8ELNS1_3repE0EEENS1_36merge_oddeven_config_static_selectorELNS0_4arch9wavefront6targetE1EEEvSJ_
; %bb.0:
	.section	.rodata,"a",@progbits
	.p2align	6, 0x0
	.amdhsa_kernel _ZN7rocprim17ROCPRIM_400000_NS6detail17trampoline_kernelINS0_14default_configENS1_38merge_sort_block_merge_config_selectorIttEEZZNS1_27merge_sort_block_merge_implIS3_N6thrust23THRUST_200600_302600_NS6detail15normal_iteratorINS8_10device_ptrItEEEESD_jNS1_19radix_merge_compareILb0ELb1EtNS0_19identity_decomposerEEEEE10hipError_tT0_T1_T2_jT3_P12ihipStream_tbPNSt15iterator_traitsISI_E10value_typeEPNSO_ISJ_E10value_typeEPSK_NS1_7vsmem_tEENKUlT_SI_SJ_SK_E_clISD_PtSD_S10_EESH_SX_SI_SJ_SK_EUlSX_E1_NS1_11comp_targetILNS1_3genE4ELNS1_11target_archE910ELNS1_3gpuE8ELNS1_3repE0EEENS1_36merge_oddeven_config_static_selectorELNS0_4arch9wavefront6targetE1EEEvSJ_
		.amdhsa_group_segment_fixed_size 0
		.amdhsa_private_segment_fixed_size 0
		.amdhsa_kernarg_size 48
		.amdhsa_user_sgpr_count 2
		.amdhsa_user_sgpr_dispatch_ptr 0
		.amdhsa_user_sgpr_queue_ptr 0
		.amdhsa_user_sgpr_kernarg_segment_ptr 1
		.amdhsa_user_sgpr_dispatch_id 0
		.amdhsa_user_sgpr_kernarg_preload_length 0
		.amdhsa_user_sgpr_kernarg_preload_offset 0
		.amdhsa_user_sgpr_private_segment_size 0
		.amdhsa_uses_dynamic_stack 0
		.amdhsa_enable_private_segment 0
		.amdhsa_system_sgpr_workgroup_id_x 1
		.amdhsa_system_sgpr_workgroup_id_y 0
		.amdhsa_system_sgpr_workgroup_id_z 0
		.amdhsa_system_sgpr_workgroup_info 0
		.amdhsa_system_vgpr_workitem_id 0
		.amdhsa_next_free_vgpr 1
		.amdhsa_next_free_sgpr 0
		.amdhsa_accum_offset 4
		.amdhsa_reserve_vcc 0
		.amdhsa_float_round_mode_32 0
		.amdhsa_float_round_mode_16_64 0
		.amdhsa_float_denorm_mode_32 3
		.amdhsa_float_denorm_mode_16_64 3
		.amdhsa_dx10_clamp 1
		.amdhsa_ieee_mode 1
		.amdhsa_fp16_overflow 0
		.amdhsa_tg_split 0
		.amdhsa_exception_fp_ieee_invalid_op 0
		.amdhsa_exception_fp_denorm_src 0
		.amdhsa_exception_fp_ieee_div_zero 0
		.amdhsa_exception_fp_ieee_overflow 0
		.amdhsa_exception_fp_ieee_underflow 0
		.amdhsa_exception_fp_ieee_inexact 0
		.amdhsa_exception_int_div_zero 0
	.end_amdhsa_kernel
	.section	.text._ZN7rocprim17ROCPRIM_400000_NS6detail17trampoline_kernelINS0_14default_configENS1_38merge_sort_block_merge_config_selectorIttEEZZNS1_27merge_sort_block_merge_implIS3_N6thrust23THRUST_200600_302600_NS6detail15normal_iteratorINS8_10device_ptrItEEEESD_jNS1_19radix_merge_compareILb0ELb1EtNS0_19identity_decomposerEEEEE10hipError_tT0_T1_T2_jT3_P12ihipStream_tbPNSt15iterator_traitsISI_E10value_typeEPNSO_ISJ_E10value_typeEPSK_NS1_7vsmem_tEENKUlT_SI_SJ_SK_E_clISD_PtSD_S10_EESH_SX_SI_SJ_SK_EUlSX_E1_NS1_11comp_targetILNS1_3genE4ELNS1_11target_archE910ELNS1_3gpuE8ELNS1_3repE0EEENS1_36merge_oddeven_config_static_selectorELNS0_4arch9wavefront6targetE1EEEvSJ_,"axG",@progbits,_ZN7rocprim17ROCPRIM_400000_NS6detail17trampoline_kernelINS0_14default_configENS1_38merge_sort_block_merge_config_selectorIttEEZZNS1_27merge_sort_block_merge_implIS3_N6thrust23THRUST_200600_302600_NS6detail15normal_iteratorINS8_10device_ptrItEEEESD_jNS1_19radix_merge_compareILb0ELb1EtNS0_19identity_decomposerEEEEE10hipError_tT0_T1_T2_jT3_P12ihipStream_tbPNSt15iterator_traitsISI_E10value_typeEPNSO_ISJ_E10value_typeEPSK_NS1_7vsmem_tEENKUlT_SI_SJ_SK_E_clISD_PtSD_S10_EESH_SX_SI_SJ_SK_EUlSX_E1_NS1_11comp_targetILNS1_3genE4ELNS1_11target_archE910ELNS1_3gpuE8ELNS1_3repE0EEENS1_36merge_oddeven_config_static_selectorELNS0_4arch9wavefront6targetE1EEEvSJ_,comdat
.Lfunc_end942:
	.size	_ZN7rocprim17ROCPRIM_400000_NS6detail17trampoline_kernelINS0_14default_configENS1_38merge_sort_block_merge_config_selectorIttEEZZNS1_27merge_sort_block_merge_implIS3_N6thrust23THRUST_200600_302600_NS6detail15normal_iteratorINS8_10device_ptrItEEEESD_jNS1_19radix_merge_compareILb0ELb1EtNS0_19identity_decomposerEEEEE10hipError_tT0_T1_T2_jT3_P12ihipStream_tbPNSt15iterator_traitsISI_E10value_typeEPNSO_ISJ_E10value_typeEPSK_NS1_7vsmem_tEENKUlT_SI_SJ_SK_E_clISD_PtSD_S10_EESH_SX_SI_SJ_SK_EUlSX_E1_NS1_11comp_targetILNS1_3genE4ELNS1_11target_archE910ELNS1_3gpuE8ELNS1_3repE0EEENS1_36merge_oddeven_config_static_selectorELNS0_4arch9wavefront6targetE1EEEvSJ_, .Lfunc_end942-_ZN7rocprim17ROCPRIM_400000_NS6detail17trampoline_kernelINS0_14default_configENS1_38merge_sort_block_merge_config_selectorIttEEZZNS1_27merge_sort_block_merge_implIS3_N6thrust23THRUST_200600_302600_NS6detail15normal_iteratorINS8_10device_ptrItEEEESD_jNS1_19radix_merge_compareILb0ELb1EtNS0_19identity_decomposerEEEEE10hipError_tT0_T1_T2_jT3_P12ihipStream_tbPNSt15iterator_traitsISI_E10value_typeEPNSO_ISJ_E10value_typeEPSK_NS1_7vsmem_tEENKUlT_SI_SJ_SK_E_clISD_PtSD_S10_EESH_SX_SI_SJ_SK_EUlSX_E1_NS1_11comp_targetILNS1_3genE4ELNS1_11target_archE910ELNS1_3gpuE8ELNS1_3repE0EEENS1_36merge_oddeven_config_static_selectorELNS0_4arch9wavefront6targetE1EEEvSJ_
                                        ; -- End function
	.set _ZN7rocprim17ROCPRIM_400000_NS6detail17trampoline_kernelINS0_14default_configENS1_38merge_sort_block_merge_config_selectorIttEEZZNS1_27merge_sort_block_merge_implIS3_N6thrust23THRUST_200600_302600_NS6detail15normal_iteratorINS8_10device_ptrItEEEESD_jNS1_19radix_merge_compareILb0ELb1EtNS0_19identity_decomposerEEEEE10hipError_tT0_T1_T2_jT3_P12ihipStream_tbPNSt15iterator_traitsISI_E10value_typeEPNSO_ISJ_E10value_typeEPSK_NS1_7vsmem_tEENKUlT_SI_SJ_SK_E_clISD_PtSD_S10_EESH_SX_SI_SJ_SK_EUlSX_E1_NS1_11comp_targetILNS1_3genE4ELNS1_11target_archE910ELNS1_3gpuE8ELNS1_3repE0EEENS1_36merge_oddeven_config_static_selectorELNS0_4arch9wavefront6targetE1EEEvSJ_.num_vgpr, 0
	.set _ZN7rocprim17ROCPRIM_400000_NS6detail17trampoline_kernelINS0_14default_configENS1_38merge_sort_block_merge_config_selectorIttEEZZNS1_27merge_sort_block_merge_implIS3_N6thrust23THRUST_200600_302600_NS6detail15normal_iteratorINS8_10device_ptrItEEEESD_jNS1_19radix_merge_compareILb0ELb1EtNS0_19identity_decomposerEEEEE10hipError_tT0_T1_T2_jT3_P12ihipStream_tbPNSt15iterator_traitsISI_E10value_typeEPNSO_ISJ_E10value_typeEPSK_NS1_7vsmem_tEENKUlT_SI_SJ_SK_E_clISD_PtSD_S10_EESH_SX_SI_SJ_SK_EUlSX_E1_NS1_11comp_targetILNS1_3genE4ELNS1_11target_archE910ELNS1_3gpuE8ELNS1_3repE0EEENS1_36merge_oddeven_config_static_selectorELNS0_4arch9wavefront6targetE1EEEvSJ_.num_agpr, 0
	.set _ZN7rocprim17ROCPRIM_400000_NS6detail17trampoline_kernelINS0_14default_configENS1_38merge_sort_block_merge_config_selectorIttEEZZNS1_27merge_sort_block_merge_implIS3_N6thrust23THRUST_200600_302600_NS6detail15normal_iteratorINS8_10device_ptrItEEEESD_jNS1_19radix_merge_compareILb0ELb1EtNS0_19identity_decomposerEEEEE10hipError_tT0_T1_T2_jT3_P12ihipStream_tbPNSt15iterator_traitsISI_E10value_typeEPNSO_ISJ_E10value_typeEPSK_NS1_7vsmem_tEENKUlT_SI_SJ_SK_E_clISD_PtSD_S10_EESH_SX_SI_SJ_SK_EUlSX_E1_NS1_11comp_targetILNS1_3genE4ELNS1_11target_archE910ELNS1_3gpuE8ELNS1_3repE0EEENS1_36merge_oddeven_config_static_selectorELNS0_4arch9wavefront6targetE1EEEvSJ_.numbered_sgpr, 0
	.set _ZN7rocprim17ROCPRIM_400000_NS6detail17trampoline_kernelINS0_14default_configENS1_38merge_sort_block_merge_config_selectorIttEEZZNS1_27merge_sort_block_merge_implIS3_N6thrust23THRUST_200600_302600_NS6detail15normal_iteratorINS8_10device_ptrItEEEESD_jNS1_19radix_merge_compareILb0ELb1EtNS0_19identity_decomposerEEEEE10hipError_tT0_T1_T2_jT3_P12ihipStream_tbPNSt15iterator_traitsISI_E10value_typeEPNSO_ISJ_E10value_typeEPSK_NS1_7vsmem_tEENKUlT_SI_SJ_SK_E_clISD_PtSD_S10_EESH_SX_SI_SJ_SK_EUlSX_E1_NS1_11comp_targetILNS1_3genE4ELNS1_11target_archE910ELNS1_3gpuE8ELNS1_3repE0EEENS1_36merge_oddeven_config_static_selectorELNS0_4arch9wavefront6targetE1EEEvSJ_.num_named_barrier, 0
	.set _ZN7rocprim17ROCPRIM_400000_NS6detail17trampoline_kernelINS0_14default_configENS1_38merge_sort_block_merge_config_selectorIttEEZZNS1_27merge_sort_block_merge_implIS3_N6thrust23THRUST_200600_302600_NS6detail15normal_iteratorINS8_10device_ptrItEEEESD_jNS1_19radix_merge_compareILb0ELb1EtNS0_19identity_decomposerEEEEE10hipError_tT0_T1_T2_jT3_P12ihipStream_tbPNSt15iterator_traitsISI_E10value_typeEPNSO_ISJ_E10value_typeEPSK_NS1_7vsmem_tEENKUlT_SI_SJ_SK_E_clISD_PtSD_S10_EESH_SX_SI_SJ_SK_EUlSX_E1_NS1_11comp_targetILNS1_3genE4ELNS1_11target_archE910ELNS1_3gpuE8ELNS1_3repE0EEENS1_36merge_oddeven_config_static_selectorELNS0_4arch9wavefront6targetE1EEEvSJ_.private_seg_size, 0
	.set _ZN7rocprim17ROCPRIM_400000_NS6detail17trampoline_kernelINS0_14default_configENS1_38merge_sort_block_merge_config_selectorIttEEZZNS1_27merge_sort_block_merge_implIS3_N6thrust23THRUST_200600_302600_NS6detail15normal_iteratorINS8_10device_ptrItEEEESD_jNS1_19radix_merge_compareILb0ELb1EtNS0_19identity_decomposerEEEEE10hipError_tT0_T1_T2_jT3_P12ihipStream_tbPNSt15iterator_traitsISI_E10value_typeEPNSO_ISJ_E10value_typeEPSK_NS1_7vsmem_tEENKUlT_SI_SJ_SK_E_clISD_PtSD_S10_EESH_SX_SI_SJ_SK_EUlSX_E1_NS1_11comp_targetILNS1_3genE4ELNS1_11target_archE910ELNS1_3gpuE8ELNS1_3repE0EEENS1_36merge_oddeven_config_static_selectorELNS0_4arch9wavefront6targetE1EEEvSJ_.uses_vcc, 0
	.set _ZN7rocprim17ROCPRIM_400000_NS6detail17trampoline_kernelINS0_14default_configENS1_38merge_sort_block_merge_config_selectorIttEEZZNS1_27merge_sort_block_merge_implIS3_N6thrust23THRUST_200600_302600_NS6detail15normal_iteratorINS8_10device_ptrItEEEESD_jNS1_19radix_merge_compareILb0ELb1EtNS0_19identity_decomposerEEEEE10hipError_tT0_T1_T2_jT3_P12ihipStream_tbPNSt15iterator_traitsISI_E10value_typeEPNSO_ISJ_E10value_typeEPSK_NS1_7vsmem_tEENKUlT_SI_SJ_SK_E_clISD_PtSD_S10_EESH_SX_SI_SJ_SK_EUlSX_E1_NS1_11comp_targetILNS1_3genE4ELNS1_11target_archE910ELNS1_3gpuE8ELNS1_3repE0EEENS1_36merge_oddeven_config_static_selectorELNS0_4arch9wavefront6targetE1EEEvSJ_.uses_flat_scratch, 0
	.set _ZN7rocprim17ROCPRIM_400000_NS6detail17trampoline_kernelINS0_14default_configENS1_38merge_sort_block_merge_config_selectorIttEEZZNS1_27merge_sort_block_merge_implIS3_N6thrust23THRUST_200600_302600_NS6detail15normal_iteratorINS8_10device_ptrItEEEESD_jNS1_19radix_merge_compareILb0ELb1EtNS0_19identity_decomposerEEEEE10hipError_tT0_T1_T2_jT3_P12ihipStream_tbPNSt15iterator_traitsISI_E10value_typeEPNSO_ISJ_E10value_typeEPSK_NS1_7vsmem_tEENKUlT_SI_SJ_SK_E_clISD_PtSD_S10_EESH_SX_SI_SJ_SK_EUlSX_E1_NS1_11comp_targetILNS1_3genE4ELNS1_11target_archE910ELNS1_3gpuE8ELNS1_3repE0EEENS1_36merge_oddeven_config_static_selectorELNS0_4arch9wavefront6targetE1EEEvSJ_.has_dyn_sized_stack, 0
	.set _ZN7rocprim17ROCPRIM_400000_NS6detail17trampoline_kernelINS0_14default_configENS1_38merge_sort_block_merge_config_selectorIttEEZZNS1_27merge_sort_block_merge_implIS3_N6thrust23THRUST_200600_302600_NS6detail15normal_iteratorINS8_10device_ptrItEEEESD_jNS1_19radix_merge_compareILb0ELb1EtNS0_19identity_decomposerEEEEE10hipError_tT0_T1_T2_jT3_P12ihipStream_tbPNSt15iterator_traitsISI_E10value_typeEPNSO_ISJ_E10value_typeEPSK_NS1_7vsmem_tEENKUlT_SI_SJ_SK_E_clISD_PtSD_S10_EESH_SX_SI_SJ_SK_EUlSX_E1_NS1_11comp_targetILNS1_3genE4ELNS1_11target_archE910ELNS1_3gpuE8ELNS1_3repE0EEENS1_36merge_oddeven_config_static_selectorELNS0_4arch9wavefront6targetE1EEEvSJ_.has_recursion, 0
	.set _ZN7rocprim17ROCPRIM_400000_NS6detail17trampoline_kernelINS0_14default_configENS1_38merge_sort_block_merge_config_selectorIttEEZZNS1_27merge_sort_block_merge_implIS3_N6thrust23THRUST_200600_302600_NS6detail15normal_iteratorINS8_10device_ptrItEEEESD_jNS1_19radix_merge_compareILb0ELb1EtNS0_19identity_decomposerEEEEE10hipError_tT0_T1_T2_jT3_P12ihipStream_tbPNSt15iterator_traitsISI_E10value_typeEPNSO_ISJ_E10value_typeEPSK_NS1_7vsmem_tEENKUlT_SI_SJ_SK_E_clISD_PtSD_S10_EESH_SX_SI_SJ_SK_EUlSX_E1_NS1_11comp_targetILNS1_3genE4ELNS1_11target_archE910ELNS1_3gpuE8ELNS1_3repE0EEENS1_36merge_oddeven_config_static_selectorELNS0_4arch9wavefront6targetE1EEEvSJ_.has_indirect_call, 0
	.section	.AMDGPU.csdata,"",@progbits
; Kernel info:
; codeLenInByte = 0
; TotalNumSgprs: 6
; NumVgprs: 0
; NumAgprs: 0
; TotalNumVgprs: 0
; ScratchSize: 0
; MemoryBound: 0
; FloatMode: 240
; IeeeMode: 1
; LDSByteSize: 0 bytes/workgroup (compile time only)
; SGPRBlocks: 0
; VGPRBlocks: 0
; NumSGPRsForWavesPerEU: 6
; NumVGPRsForWavesPerEU: 1
; AccumOffset: 4
; Occupancy: 8
; WaveLimiterHint : 0
; COMPUTE_PGM_RSRC2:SCRATCH_EN: 0
; COMPUTE_PGM_RSRC2:USER_SGPR: 2
; COMPUTE_PGM_RSRC2:TRAP_HANDLER: 0
; COMPUTE_PGM_RSRC2:TGID_X_EN: 1
; COMPUTE_PGM_RSRC2:TGID_Y_EN: 0
; COMPUTE_PGM_RSRC2:TGID_Z_EN: 0
; COMPUTE_PGM_RSRC2:TIDIG_COMP_CNT: 0
; COMPUTE_PGM_RSRC3_GFX90A:ACCUM_OFFSET: 0
; COMPUTE_PGM_RSRC3_GFX90A:TG_SPLIT: 0
	.section	.text._ZN7rocprim17ROCPRIM_400000_NS6detail17trampoline_kernelINS0_14default_configENS1_38merge_sort_block_merge_config_selectorIttEEZZNS1_27merge_sort_block_merge_implIS3_N6thrust23THRUST_200600_302600_NS6detail15normal_iteratorINS8_10device_ptrItEEEESD_jNS1_19radix_merge_compareILb0ELb1EtNS0_19identity_decomposerEEEEE10hipError_tT0_T1_T2_jT3_P12ihipStream_tbPNSt15iterator_traitsISI_E10value_typeEPNSO_ISJ_E10value_typeEPSK_NS1_7vsmem_tEENKUlT_SI_SJ_SK_E_clISD_PtSD_S10_EESH_SX_SI_SJ_SK_EUlSX_E1_NS1_11comp_targetILNS1_3genE3ELNS1_11target_archE908ELNS1_3gpuE7ELNS1_3repE0EEENS1_36merge_oddeven_config_static_selectorELNS0_4arch9wavefront6targetE1EEEvSJ_,"axG",@progbits,_ZN7rocprim17ROCPRIM_400000_NS6detail17trampoline_kernelINS0_14default_configENS1_38merge_sort_block_merge_config_selectorIttEEZZNS1_27merge_sort_block_merge_implIS3_N6thrust23THRUST_200600_302600_NS6detail15normal_iteratorINS8_10device_ptrItEEEESD_jNS1_19radix_merge_compareILb0ELb1EtNS0_19identity_decomposerEEEEE10hipError_tT0_T1_T2_jT3_P12ihipStream_tbPNSt15iterator_traitsISI_E10value_typeEPNSO_ISJ_E10value_typeEPSK_NS1_7vsmem_tEENKUlT_SI_SJ_SK_E_clISD_PtSD_S10_EESH_SX_SI_SJ_SK_EUlSX_E1_NS1_11comp_targetILNS1_3genE3ELNS1_11target_archE908ELNS1_3gpuE7ELNS1_3repE0EEENS1_36merge_oddeven_config_static_selectorELNS0_4arch9wavefront6targetE1EEEvSJ_,comdat
	.protected	_ZN7rocprim17ROCPRIM_400000_NS6detail17trampoline_kernelINS0_14default_configENS1_38merge_sort_block_merge_config_selectorIttEEZZNS1_27merge_sort_block_merge_implIS3_N6thrust23THRUST_200600_302600_NS6detail15normal_iteratorINS8_10device_ptrItEEEESD_jNS1_19radix_merge_compareILb0ELb1EtNS0_19identity_decomposerEEEEE10hipError_tT0_T1_T2_jT3_P12ihipStream_tbPNSt15iterator_traitsISI_E10value_typeEPNSO_ISJ_E10value_typeEPSK_NS1_7vsmem_tEENKUlT_SI_SJ_SK_E_clISD_PtSD_S10_EESH_SX_SI_SJ_SK_EUlSX_E1_NS1_11comp_targetILNS1_3genE3ELNS1_11target_archE908ELNS1_3gpuE7ELNS1_3repE0EEENS1_36merge_oddeven_config_static_selectorELNS0_4arch9wavefront6targetE1EEEvSJ_ ; -- Begin function _ZN7rocprim17ROCPRIM_400000_NS6detail17trampoline_kernelINS0_14default_configENS1_38merge_sort_block_merge_config_selectorIttEEZZNS1_27merge_sort_block_merge_implIS3_N6thrust23THRUST_200600_302600_NS6detail15normal_iteratorINS8_10device_ptrItEEEESD_jNS1_19radix_merge_compareILb0ELb1EtNS0_19identity_decomposerEEEEE10hipError_tT0_T1_T2_jT3_P12ihipStream_tbPNSt15iterator_traitsISI_E10value_typeEPNSO_ISJ_E10value_typeEPSK_NS1_7vsmem_tEENKUlT_SI_SJ_SK_E_clISD_PtSD_S10_EESH_SX_SI_SJ_SK_EUlSX_E1_NS1_11comp_targetILNS1_3genE3ELNS1_11target_archE908ELNS1_3gpuE7ELNS1_3repE0EEENS1_36merge_oddeven_config_static_selectorELNS0_4arch9wavefront6targetE1EEEvSJ_
	.globl	_ZN7rocprim17ROCPRIM_400000_NS6detail17trampoline_kernelINS0_14default_configENS1_38merge_sort_block_merge_config_selectorIttEEZZNS1_27merge_sort_block_merge_implIS3_N6thrust23THRUST_200600_302600_NS6detail15normal_iteratorINS8_10device_ptrItEEEESD_jNS1_19radix_merge_compareILb0ELb1EtNS0_19identity_decomposerEEEEE10hipError_tT0_T1_T2_jT3_P12ihipStream_tbPNSt15iterator_traitsISI_E10value_typeEPNSO_ISJ_E10value_typeEPSK_NS1_7vsmem_tEENKUlT_SI_SJ_SK_E_clISD_PtSD_S10_EESH_SX_SI_SJ_SK_EUlSX_E1_NS1_11comp_targetILNS1_3genE3ELNS1_11target_archE908ELNS1_3gpuE7ELNS1_3repE0EEENS1_36merge_oddeven_config_static_selectorELNS0_4arch9wavefront6targetE1EEEvSJ_
	.p2align	8
	.type	_ZN7rocprim17ROCPRIM_400000_NS6detail17trampoline_kernelINS0_14default_configENS1_38merge_sort_block_merge_config_selectorIttEEZZNS1_27merge_sort_block_merge_implIS3_N6thrust23THRUST_200600_302600_NS6detail15normal_iteratorINS8_10device_ptrItEEEESD_jNS1_19radix_merge_compareILb0ELb1EtNS0_19identity_decomposerEEEEE10hipError_tT0_T1_T2_jT3_P12ihipStream_tbPNSt15iterator_traitsISI_E10value_typeEPNSO_ISJ_E10value_typeEPSK_NS1_7vsmem_tEENKUlT_SI_SJ_SK_E_clISD_PtSD_S10_EESH_SX_SI_SJ_SK_EUlSX_E1_NS1_11comp_targetILNS1_3genE3ELNS1_11target_archE908ELNS1_3gpuE7ELNS1_3repE0EEENS1_36merge_oddeven_config_static_selectorELNS0_4arch9wavefront6targetE1EEEvSJ_,@function
_ZN7rocprim17ROCPRIM_400000_NS6detail17trampoline_kernelINS0_14default_configENS1_38merge_sort_block_merge_config_selectorIttEEZZNS1_27merge_sort_block_merge_implIS3_N6thrust23THRUST_200600_302600_NS6detail15normal_iteratorINS8_10device_ptrItEEEESD_jNS1_19radix_merge_compareILb0ELb1EtNS0_19identity_decomposerEEEEE10hipError_tT0_T1_T2_jT3_P12ihipStream_tbPNSt15iterator_traitsISI_E10value_typeEPNSO_ISJ_E10value_typeEPSK_NS1_7vsmem_tEENKUlT_SI_SJ_SK_E_clISD_PtSD_S10_EESH_SX_SI_SJ_SK_EUlSX_E1_NS1_11comp_targetILNS1_3genE3ELNS1_11target_archE908ELNS1_3gpuE7ELNS1_3repE0EEENS1_36merge_oddeven_config_static_selectorELNS0_4arch9wavefront6targetE1EEEvSJ_: ; @_ZN7rocprim17ROCPRIM_400000_NS6detail17trampoline_kernelINS0_14default_configENS1_38merge_sort_block_merge_config_selectorIttEEZZNS1_27merge_sort_block_merge_implIS3_N6thrust23THRUST_200600_302600_NS6detail15normal_iteratorINS8_10device_ptrItEEEESD_jNS1_19radix_merge_compareILb0ELb1EtNS0_19identity_decomposerEEEEE10hipError_tT0_T1_T2_jT3_P12ihipStream_tbPNSt15iterator_traitsISI_E10value_typeEPNSO_ISJ_E10value_typeEPSK_NS1_7vsmem_tEENKUlT_SI_SJ_SK_E_clISD_PtSD_S10_EESH_SX_SI_SJ_SK_EUlSX_E1_NS1_11comp_targetILNS1_3genE3ELNS1_11target_archE908ELNS1_3gpuE7ELNS1_3repE0EEENS1_36merge_oddeven_config_static_selectorELNS0_4arch9wavefront6targetE1EEEvSJ_
; %bb.0:
	.section	.rodata,"a",@progbits
	.p2align	6, 0x0
	.amdhsa_kernel _ZN7rocprim17ROCPRIM_400000_NS6detail17trampoline_kernelINS0_14default_configENS1_38merge_sort_block_merge_config_selectorIttEEZZNS1_27merge_sort_block_merge_implIS3_N6thrust23THRUST_200600_302600_NS6detail15normal_iteratorINS8_10device_ptrItEEEESD_jNS1_19radix_merge_compareILb0ELb1EtNS0_19identity_decomposerEEEEE10hipError_tT0_T1_T2_jT3_P12ihipStream_tbPNSt15iterator_traitsISI_E10value_typeEPNSO_ISJ_E10value_typeEPSK_NS1_7vsmem_tEENKUlT_SI_SJ_SK_E_clISD_PtSD_S10_EESH_SX_SI_SJ_SK_EUlSX_E1_NS1_11comp_targetILNS1_3genE3ELNS1_11target_archE908ELNS1_3gpuE7ELNS1_3repE0EEENS1_36merge_oddeven_config_static_selectorELNS0_4arch9wavefront6targetE1EEEvSJ_
		.amdhsa_group_segment_fixed_size 0
		.amdhsa_private_segment_fixed_size 0
		.amdhsa_kernarg_size 48
		.amdhsa_user_sgpr_count 2
		.amdhsa_user_sgpr_dispatch_ptr 0
		.amdhsa_user_sgpr_queue_ptr 0
		.amdhsa_user_sgpr_kernarg_segment_ptr 1
		.amdhsa_user_sgpr_dispatch_id 0
		.amdhsa_user_sgpr_kernarg_preload_length 0
		.amdhsa_user_sgpr_kernarg_preload_offset 0
		.amdhsa_user_sgpr_private_segment_size 0
		.amdhsa_uses_dynamic_stack 0
		.amdhsa_enable_private_segment 0
		.amdhsa_system_sgpr_workgroup_id_x 1
		.amdhsa_system_sgpr_workgroup_id_y 0
		.amdhsa_system_sgpr_workgroup_id_z 0
		.amdhsa_system_sgpr_workgroup_info 0
		.amdhsa_system_vgpr_workitem_id 0
		.amdhsa_next_free_vgpr 1
		.amdhsa_next_free_sgpr 0
		.amdhsa_accum_offset 4
		.amdhsa_reserve_vcc 0
		.amdhsa_float_round_mode_32 0
		.amdhsa_float_round_mode_16_64 0
		.amdhsa_float_denorm_mode_32 3
		.amdhsa_float_denorm_mode_16_64 3
		.amdhsa_dx10_clamp 1
		.amdhsa_ieee_mode 1
		.amdhsa_fp16_overflow 0
		.amdhsa_tg_split 0
		.amdhsa_exception_fp_ieee_invalid_op 0
		.amdhsa_exception_fp_denorm_src 0
		.amdhsa_exception_fp_ieee_div_zero 0
		.amdhsa_exception_fp_ieee_overflow 0
		.amdhsa_exception_fp_ieee_underflow 0
		.amdhsa_exception_fp_ieee_inexact 0
		.amdhsa_exception_int_div_zero 0
	.end_amdhsa_kernel
	.section	.text._ZN7rocprim17ROCPRIM_400000_NS6detail17trampoline_kernelINS0_14default_configENS1_38merge_sort_block_merge_config_selectorIttEEZZNS1_27merge_sort_block_merge_implIS3_N6thrust23THRUST_200600_302600_NS6detail15normal_iteratorINS8_10device_ptrItEEEESD_jNS1_19radix_merge_compareILb0ELb1EtNS0_19identity_decomposerEEEEE10hipError_tT0_T1_T2_jT3_P12ihipStream_tbPNSt15iterator_traitsISI_E10value_typeEPNSO_ISJ_E10value_typeEPSK_NS1_7vsmem_tEENKUlT_SI_SJ_SK_E_clISD_PtSD_S10_EESH_SX_SI_SJ_SK_EUlSX_E1_NS1_11comp_targetILNS1_3genE3ELNS1_11target_archE908ELNS1_3gpuE7ELNS1_3repE0EEENS1_36merge_oddeven_config_static_selectorELNS0_4arch9wavefront6targetE1EEEvSJ_,"axG",@progbits,_ZN7rocprim17ROCPRIM_400000_NS6detail17trampoline_kernelINS0_14default_configENS1_38merge_sort_block_merge_config_selectorIttEEZZNS1_27merge_sort_block_merge_implIS3_N6thrust23THRUST_200600_302600_NS6detail15normal_iteratorINS8_10device_ptrItEEEESD_jNS1_19radix_merge_compareILb0ELb1EtNS0_19identity_decomposerEEEEE10hipError_tT0_T1_T2_jT3_P12ihipStream_tbPNSt15iterator_traitsISI_E10value_typeEPNSO_ISJ_E10value_typeEPSK_NS1_7vsmem_tEENKUlT_SI_SJ_SK_E_clISD_PtSD_S10_EESH_SX_SI_SJ_SK_EUlSX_E1_NS1_11comp_targetILNS1_3genE3ELNS1_11target_archE908ELNS1_3gpuE7ELNS1_3repE0EEENS1_36merge_oddeven_config_static_selectorELNS0_4arch9wavefront6targetE1EEEvSJ_,comdat
.Lfunc_end943:
	.size	_ZN7rocprim17ROCPRIM_400000_NS6detail17trampoline_kernelINS0_14default_configENS1_38merge_sort_block_merge_config_selectorIttEEZZNS1_27merge_sort_block_merge_implIS3_N6thrust23THRUST_200600_302600_NS6detail15normal_iteratorINS8_10device_ptrItEEEESD_jNS1_19radix_merge_compareILb0ELb1EtNS0_19identity_decomposerEEEEE10hipError_tT0_T1_T2_jT3_P12ihipStream_tbPNSt15iterator_traitsISI_E10value_typeEPNSO_ISJ_E10value_typeEPSK_NS1_7vsmem_tEENKUlT_SI_SJ_SK_E_clISD_PtSD_S10_EESH_SX_SI_SJ_SK_EUlSX_E1_NS1_11comp_targetILNS1_3genE3ELNS1_11target_archE908ELNS1_3gpuE7ELNS1_3repE0EEENS1_36merge_oddeven_config_static_selectorELNS0_4arch9wavefront6targetE1EEEvSJ_, .Lfunc_end943-_ZN7rocprim17ROCPRIM_400000_NS6detail17trampoline_kernelINS0_14default_configENS1_38merge_sort_block_merge_config_selectorIttEEZZNS1_27merge_sort_block_merge_implIS3_N6thrust23THRUST_200600_302600_NS6detail15normal_iteratorINS8_10device_ptrItEEEESD_jNS1_19radix_merge_compareILb0ELb1EtNS0_19identity_decomposerEEEEE10hipError_tT0_T1_T2_jT3_P12ihipStream_tbPNSt15iterator_traitsISI_E10value_typeEPNSO_ISJ_E10value_typeEPSK_NS1_7vsmem_tEENKUlT_SI_SJ_SK_E_clISD_PtSD_S10_EESH_SX_SI_SJ_SK_EUlSX_E1_NS1_11comp_targetILNS1_3genE3ELNS1_11target_archE908ELNS1_3gpuE7ELNS1_3repE0EEENS1_36merge_oddeven_config_static_selectorELNS0_4arch9wavefront6targetE1EEEvSJ_
                                        ; -- End function
	.set _ZN7rocprim17ROCPRIM_400000_NS6detail17trampoline_kernelINS0_14default_configENS1_38merge_sort_block_merge_config_selectorIttEEZZNS1_27merge_sort_block_merge_implIS3_N6thrust23THRUST_200600_302600_NS6detail15normal_iteratorINS8_10device_ptrItEEEESD_jNS1_19radix_merge_compareILb0ELb1EtNS0_19identity_decomposerEEEEE10hipError_tT0_T1_T2_jT3_P12ihipStream_tbPNSt15iterator_traitsISI_E10value_typeEPNSO_ISJ_E10value_typeEPSK_NS1_7vsmem_tEENKUlT_SI_SJ_SK_E_clISD_PtSD_S10_EESH_SX_SI_SJ_SK_EUlSX_E1_NS1_11comp_targetILNS1_3genE3ELNS1_11target_archE908ELNS1_3gpuE7ELNS1_3repE0EEENS1_36merge_oddeven_config_static_selectorELNS0_4arch9wavefront6targetE1EEEvSJ_.num_vgpr, 0
	.set _ZN7rocprim17ROCPRIM_400000_NS6detail17trampoline_kernelINS0_14default_configENS1_38merge_sort_block_merge_config_selectorIttEEZZNS1_27merge_sort_block_merge_implIS3_N6thrust23THRUST_200600_302600_NS6detail15normal_iteratorINS8_10device_ptrItEEEESD_jNS1_19radix_merge_compareILb0ELb1EtNS0_19identity_decomposerEEEEE10hipError_tT0_T1_T2_jT3_P12ihipStream_tbPNSt15iterator_traitsISI_E10value_typeEPNSO_ISJ_E10value_typeEPSK_NS1_7vsmem_tEENKUlT_SI_SJ_SK_E_clISD_PtSD_S10_EESH_SX_SI_SJ_SK_EUlSX_E1_NS1_11comp_targetILNS1_3genE3ELNS1_11target_archE908ELNS1_3gpuE7ELNS1_3repE0EEENS1_36merge_oddeven_config_static_selectorELNS0_4arch9wavefront6targetE1EEEvSJ_.num_agpr, 0
	.set _ZN7rocprim17ROCPRIM_400000_NS6detail17trampoline_kernelINS0_14default_configENS1_38merge_sort_block_merge_config_selectorIttEEZZNS1_27merge_sort_block_merge_implIS3_N6thrust23THRUST_200600_302600_NS6detail15normal_iteratorINS8_10device_ptrItEEEESD_jNS1_19radix_merge_compareILb0ELb1EtNS0_19identity_decomposerEEEEE10hipError_tT0_T1_T2_jT3_P12ihipStream_tbPNSt15iterator_traitsISI_E10value_typeEPNSO_ISJ_E10value_typeEPSK_NS1_7vsmem_tEENKUlT_SI_SJ_SK_E_clISD_PtSD_S10_EESH_SX_SI_SJ_SK_EUlSX_E1_NS1_11comp_targetILNS1_3genE3ELNS1_11target_archE908ELNS1_3gpuE7ELNS1_3repE0EEENS1_36merge_oddeven_config_static_selectorELNS0_4arch9wavefront6targetE1EEEvSJ_.numbered_sgpr, 0
	.set _ZN7rocprim17ROCPRIM_400000_NS6detail17trampoline_kernelINS0_14default_configENS1_38merge_sort_block_merge_config_selectorIttEEZZNS1_27merge_sort_block_merge_implIS3_N6thrust23THRUST_200600_302600_NS6detail15normal_iteratorINS8_10device_ptrItEEEESD_jNS1_19radix_merge_compareILb0ELb1EtNS0_19identity_decomposerEEEEE10hipError_tT0_T1_T2_jT3_P12ihipStream_tbPNSt15iterator_traitsISI_E10value_typeEPNSO_ISJ_E10value_typeEPSK_NS1_7vsmem_tEENKUlT_SI_SJ_SK_E_clISD_PtSD_S10_EESH_SX_SI_SJ_SK_EUlSX_E1_NS1_11comp_targetILNS1_3genE3ELNS1_11target_archE908ELNS1_3gpuE7ELNS1_3repE0EEENS1_36merge_oddeven_config_static_selectorELNS0_4arch9wavefront6targetE1EEEvSJ_.num_named_barrier, 0
	.set _ZN7rocprim17ROCPRIM_400000_NS6detail17trampoline_kernelINS0_14default_configENS1_38merge_sort_block_merge_config_selectorIttEEZZNS1_27merge_sort_block_merge_implIS3_N6thrust23THRUST_200600_302600_NS6detail15normal_iteratorINS8_10device_ptrItEEEESD_jNS1_19radix_merge_compareILb0ELb1EtNS0_19identity_decomposerEEEEE10hipError_tT0_T1_T2_jT3_P12ihipStream_tbPNSt15iterator_traitsISI_E10value_typeEPNSO_ISJ_E10value_typeEPSK_NS1_7vsmem_tEENKUlT_SI_SJ_SK_E_clISD_PtSD_S10_EESH_SX_SI_SJ_SK_EUlSX_E1_NS1_11comp_targetILNS1_3genE3ELNS1_11target_archE908ELNS1_3gpuE7ELNS1_3repE0EEENS1_36merge_oddeven_config_static_selectorELNS0_4arch9wavefront6targetE1EEEvSJ_.private_seg_size, 0
	.set _ZN7rocprim17ROCPRIM_400000_NS6detail17trampoline_kernelINS0_14default_configENS1_38merge_sort_block_merge_config_selectorIttEEZZNS1_27merge_sort_block_merge_implIS3_N6thrust23THRUST_200600_302600_NS6detail15normal_iteratorINS8_10device_ptrItEEEESD_jNS1_19radix_merge_compareILb0ELb1EtNS0_19identity_decomposerEEEEE10hipError_tT0_T1_T2_jT3_P12ihipStream_tbPNSt15iterator_traitsISI_E10value_typeEPNSO_ISJ_E10value_typeEPSK_NS1_7vsmem_tEENKUlT_SI_SJ_SK_E_clISD_PtSD_S10_EESH_SX_SI_SJ_SK_EUlSX_E1_NS1_11comp_targetILNS1_3genE3ELNS1_11target_archE908ELNS1_3gpuE7ELNS1_3repE0EEENS1_36merge_oddeven_config_static_selectorELNS0_4arch9wavefront6targetE1EEEvSJ_.uses_vcc, 0
	.set _ZN7rocprim17ROCPRIM_400000_NS6detail17trampoline_kernelINS0_14default_configENS1_38merge_sort_block_merge_config_selectorIttEEZZNS1_27merge_sort_block_merge_implIS3_N6thrust23THRUST_200600_302600_NS6detail15normal_iteratorINS8_10device_ptrItEEEESD_jNS1_19radix_merge_compareILb0ELb1EtNS0_19identity_decomposerEEEEE10hipError_tT0_T1_T2_jT3_P12ihipStream_tbPNSt15iterator_traitsISI_E10value_typeEPNSO_ISJ_E10value_typeEPSK_NS1_7vsmem_tEENKUlT_SI_SJ_SK_E_clISD_PtSD_S10_EESH_SX_SI_SJ_SK_EUlSX_E1_NS1_11comp_targetILNS1_3genE3ELNS1_11target_archE908ELNS1_3gpuE7ELNS1_3repE0EEENS1_36merge_oddeven_config_static_selectorELNS0_4arch9wavefront6targetE1EEEvSJ_.uses_flat_scratch, 0
	.set _ZN7rocprim17ROCPRIM_400000_NS6detail17trampoline_kernelINS0_14default_configENS1_38merge_sort_block_merge_config_selectorIttEEZZNS1_27merge_sort_block_merge_implIS3_N6thrust23THRUST_200600_302600_NS6detail15normal_iteratorINS8_10device_ptrItEEEESD_jNS1_19radix_merge_compareILb0ELb1EtNS0_19identity_decomposerEEEEE10hipError_tT0_T1_T2_jT3_P12ihipStream_tbPNSt15iterator_traitsISI_E10value_typeEPNSO_ISJ_E10value_typeEPSK_NS1_7vsmem_tEENKUlT_SI_SJ_SK_E_clISD_PtSD_S10_EESH_SX_SI_SJ_SK_EUlSX_E1_NS1_11comp_targetILNS1_3genE3ELNS1_11target_archE908ELNS1_3gpuE7ELNS1_3repE0EEENS1_36merge_oddeven_config_static_selectorELNS0_4arch9wavefront6targetE1EEEvSJ_.has_dyn_sized_stack, 0
	.set _ZN7rocprim17ROCPRIM_400000_NS6detail17trampoline_kernelINS0_14default_configENS1_38merge_sort_block_merge_config_selectorIttEEZZNS1_27merge_sort_block_merge_implIS3_N6thrust23THRUST_200600_302600_NS6detail15normal_iteratorINS8_10device_ptrItEEEESD_jNS1_19radix_merge_compareILb0ELb1EtNS0_19identity_decomposerEEEEE10hipError_tT0_T1_T2_jT3_P12ihipStream_tbPNSt15iterator_traitsISI_E10value_typeEPNSO_ISJ_E10value_typeEPSK_NS1_7vsmem_tEENKUlT_SI_SJ_SK_E_clISD_PtSD_S10_EESH_SX_SI_SJ_SK_EUlSX_E1_NS1_11comp_targetILNS1_3genE3ELNS1_11target_archE908ELNS1_3gpuE7ELNS1_3repE0EEENS1_36merge_oddeven_config_static_selectorELNS0_4arch9wavefront6targetE1EEEvSJ_.has_recursion, 0
	.set _ZN7rocprim17ROCPRIM_400000_NS6detail17trampoline_kernelINS0_14default_configENS1_38merge_sort_block_merge_config_selectorIttEEZZNS1_27merge_sort_block_merge_implIS3_N6thrust23THRUST_200600_302600_NS6detail15normal_iteratorINS8_10device_ptrItEEEESD_jNS1_19radix_merge_compareILb0ELb1EtNS0_19identity_decomposerEEEEE10hipError_tT0_T1_T2_jT3_P12ihipStream_tbPNSt15iterator_traitsISI_E10value_typeEPNSO_ISJ_E10value_typeEPSK_NS1_7vsmem_tEENKUlT_SI_SJ_SK_E_clISD_PtSD_S10_EESH_SX_SI_SJ_SK_EUlSX_E1_NS1_11comp_targetILNS1_3genE3ELNS1_11target_archE908ELNS1_3gpuE7ELNS1_3repE0EEENS1_36merge_oddeven_config_static_selectorELNS0_4arch9wavefront6targetE1EEEvSJ_.has_indirect_call, 0
	.section	.AMDGPU.csdata,"",@progbits
; Kernel info:
; codeLenInByte = 0
; TotalNumSgprs: 6
; NumVgprs: 0
; NumAgprs: 0
; TotalNumVgprs: 0
; ScratchSize: 0
; MemoryBound: 0
; FloatMode: 240
; IeeeMode: 1
; LDSByteSize: 0 bytes/workgroup (compile time only)
; SGPRBlocks: 0
; VGPRBlocks: 0
; NumSGPRsForWavesPerEU: 6
; NumVGPRsForWavesPerEU: 1
; AccumOffset: 4
; Occupancy: 8
; WaveLimiterHint : 0
; COMPUTE_PGM_RSRC2:SCRATCH_EN: 0
; COMPUTE_PGM_RSRC2:USER_SGPR: 2
; COMPUTE_PGM_RSRC2:TRAP_HANDLER: 0
; COMPUTE_PGM_RSRC2:TGID_X_EN: 1
; COMPUTE_PGM_RSRC2:TGID_Y_EN: 0
; COMPUTE_PGM_RSRC2:TGID_Z_EN: 0
; COMPUTE_PGM_RSRC2:TIDIG_COMP_CNT: 0
; COMPUTE_PGM_RSRC3_GFX90A:ACCUM_OFFSET: 0
; COMPUTE_PGM_RSRC3_GFX90A:TG_SPLIT: 0
	.section	.text._ZN7rocprim17ROCPRIM_400000_NS6detail17trampoline_kernelINS0_14default_configENS1_38merge_sort_block_merge_config_selectorIttEEZZNS1_27merge_sort_block_merge_implIS3_N6thrust23THRUST_200600_302600_NS6detail15normal_iteratorINS8_10device_ptrItEEEESD_jNS1_19radix_merge_compareILb0ELb1EtNS0_19identity_decomposerEEEEE10hipError_tT0_T1_T2_jT3_P12ihipStream_tbPNSt15iterator_traitsISI_E10value_typeEPNSO_ISJ_E10value_typeEPSK_NS1_7vsmem_tEENKUlT_SI_SJ_SK_E_clISD_PtSD_S10_EESH_SX_SI_SJ_SK_EUlSX_E1_NS1_11comp_targetILNS1_3genE2ELNS1_11target_archE906ELNS1_3gpuE6ELNS1_3repE0EEENS1_36merge_oddeven_config_static_selectorELNS0_4arch9wavefront6targetE1EEEvSJ_,"axG",@progbits,_ZN7rocprim17ROCPRIM_400000_NS6detail17trampoline_kernelINS0_14default_configENS1_38merge_sort_block_merge_config_selectorIttEEZZNS1_27merge_sort_block_merge_implIS3_N6thrust23THRUST_200600_302600_NS6detail15normal_iteratorINS8_10device_ptrItEEEESD_jNS1_19radix_merge_compareILb0ELb1EtNS0_19identity_decomposerEEEEE10hipError_tT0_T1_T2_jT3_P12ihipStream_tbPNSt15iterator_traitsISI_E10value_typeEPNSO_ISJ_E10value_typeEPSK_NS1_7vsmem_tEENKUlT_SI_SJ_SK_E_clISD_PtSD_S10_EESH_SX_SI_SJ_SK_EUlSX_E1_NS1_11comp_targetILNS1_3genE2ELNS1_11target_archE906ELNS1_3gpuE6ELNS1_3repE0EEENS1_36merge_oddeven_config_static_selectorELNS0_4arch9wavefront6targetE1EEEvSJ_,comdat
	.protected	_ZN7rocprim17ROCPRIM_400000_NS6detail17trampoline_kernelINS0_14default_configENS1_38merge_sort_block_merge_config_selectorIttEEZZNS1_27merge_sort_block_merge_implIS3_N6thrust23THRUST_200600_302600_NS6detail15normal_iteratorINS8_10device_ptrItEEEESD_jNS1_19radix_merge_compareILb0ELb1EtNS0_19identity_decomposerEEEEE10hipError_tT0_T1_T2_jT3_P12ihipStream_tbPNSt15iterator_traitsISI_E10value_typeEPNSO_ISJ_E10value_typeEPSK_NS1_7vsmem_tEENKUlT_SI_SJ_SK_E_clISD_PtSD_S10_EESH_SX_SI_SJ_SK_EUlSX_E1_NS1_11comp_targetILNS1_3genE2ELNS1_11target_archE906ELNS1_3gpuE6ELNS1_3repE0EEENS1_36merge_oddeven_config_static_selectorELNS0_4arch9wavefront6targetE1EEEvSJ_ ; -- Begin function _ZN7rocprim17ROCPRIM_400000_NS6detail17trampoline_kernelINS0_14default_configENS1_38merge_sort_block_merge_config_selectorIttEEZZNS1_27merge_sort_block_merge_implIS3_N6thrust23THRUST_200600_302600_NS6detail15normal_iteratorINS8_10device_ptrItEEEESD_jNS1_19radix_merge_compareILb0ELb1EtNS0_19identity_decomposerEEEEE10hipError_tT0_T1_T2_jT3_P12ihipStream_tbPNSt15iterator_traitsISI_E10value_typeEPNSO_ISJ_E10value_typeEPSK_NS1_7vsmem_tEENKUlT_SI_SJ_SK_E_clISD_PtSD_S10_EESH_SX_SI_SJ_SK_EUlSX_E1_NS1_11comp_targetILNS1_3genE2ELNS1_11target_archE906ELNS1_3gpuE6ELNS1_3repE0EEENS1_36merge_oddeven_config_static_selectorELNS0_4arch9wavefront6targetE1EEEvSJ_
	.globl	_ZN7rocprim17ROCPRIM_400000_NS6detail17trampoline_kernelINS0_14default_configENS1_38merge_sort_block_merge_config_selectorIttEEZZNS1_27merge_sort_block_merge_implIS3_N6thrust23THRUST_200600_302600_NS6detail15normal_iteratorINS8_10device_ptrItEEEESD_jNS1_19radix_merge_compareILb0ELb1EtNS0_19identity_decomposerEEEEE10hipError_tT0_T1_T2_jT3_P12ihipStream_tbPNSt15iterator_traitsISI_E10value_typeEPNSO_ISJ_E10value_typeEPSK_NS1_7vsmem_tEENKUlT_SI_SJ_SK_E_clISD_PtSD_S10_EESH_SX_SI_SJ_SK_EUlSX_E1_NS1_11comp_targetILNS1_3genE2ELNS1_11target_archE906ELNS1_3gpuE6ELNS1_3repE0EEENS1_36merge_oddeven_config_static_selectorELNS0_4arch9wavefront6targetE1EEEvSJ_
	.p2align	8
	.type	_ZN7rocprim17ROCPRIM_400000_NS6detail17trampoline_kernelINS0_14default_configENS1_38merge_sort_block_merge_config_selectorIttEEZZNS1_27merge_sort_block_merge_implIS3_N6thrust23THRUST_200600_302600_NS6detail15normal_iteratorINS8_10device_ptrItEEEESD_jNS1_19radix_merge_compareILb0ELb1EtNS0_19identity_decomposerEEEEE10hipError_tT0_T1_T2_jT3_P12ihipStream_tbPNSt15iterator_traitsISI_E10value_typeEPNSO_ISJ_E10value_typeEPSK_NS1_7vsmem_tEENKUlT_SI_SJ_SK_E_clISD_PtSD_S10_EESH_SX_SI_SJ_SK_EUlSX_E1_NS1_11comp_targetILNS1_3genE2ELNS1_11target_archE906ELNS1_3gpuE6ELNS1_3repE0EEENS1_36merge_oddeven_config_static_selectorELNS0_4arch9wavefront6targetE1EEEvSJ_,@function
_ZN7rocprim17ROCPRIM_400000_NS6detail17trampoline_kernelINS0_14default_configENS1_38merge_sort_block_merge_config_selectorIttEEZZNS1_27merge_sort_block_merge_implIS3_N6thrust23THRUST_200600_302600_NS6detail15normal_iteratorINS8_10device_ptrItEEEESD_jNS1_19radix_merge_compareILb0ELb1EtNS0_19identity_decomposerEEEEE10hipError_tT0_T1_T2_jT3_P12ihipStream_tbPNSt15iterator_traitsISI_E10value_typeEPNSO_ISJ_E10value_typeEPSK_NS1_7vsmem_tEENKUlT_SI_SJ_SK_E_clISD_PtSD_S10_EESH_SX_SI_SJ_SK_EUlSX_E1_NS1_11comp_targetILNS1_3genE2ELNS1_11target_archE906ELNS1_3gpuE6ELNS1_3repE0EEENS1_36merge_oddeven_config_static_selectorELNS0_4arch9wavefront6targetE1EEEvSJ_: ; @_ZN7rocprim17ROCPRIM_400000_NS6detail17trampoline_kernelINS0_14default_configENS1_38merge_sort_block_merge_config_selectorIttEEZZNS1_27merge_sort_block_merge_implIS3_N6thrust23THRUST_200600_302600_NS6detail15normal_iteratorINS8_10device_ptrItEEEESD_jNS1_19radix_merge_compareILb0ELb1EtNS0_19identity_decomposerEEEEE10hipError_tT0_T1_T2_jT3_P12ihipStream_tbPNSt15iterator_traitsISI_E10value_typeEPNSO_ISJ_E10value_typeEPSK_NS1_7vsmem_tEENKUlT_SI_SJ_SK_E_clISD_PtSD_S10_EESH_SX_SI_SJ_SK_EUlSX_E1_NS1_11comp_targetILNS1_3genE2ELNS1_11target_archE906ELNS1_3gpuE6ELNS1_3repE0EEENS1_36merge_oddeven_config_static_selectorELNS0_4arch9wavefront6targetE1EEEvSJ_
; %bb.0:
	.section	.rodata,"a",@progbits
	.p2align	6, 0x0
	.amdhsa_kernel _ZN7rocprim17ROCPRIM_400000_NS6detail17trampoline_kernelINS0_14default_configENS1_38merge_sort_block_merge_config_selectorIttEEZZNS1_27merge_sort_block_merge_implIS3_N6thrust23THRUST_200600_302600_NS6detail15normal_iteratorINS8_10device_ptrItEEEESD_jNS1_19radix_merge_compareILb0ELb1EtNS0_19identity_decomposerEEEEE10hipError_tT0_T1_T2_jT3_P12ihipStream_tbPNSt15iterator_traitsISI_E10value_typeEPNSO_ISJ_E10value_typeEPSK_NS1_7vsmem_tEENKUlT_SI_SJ_SK_E_clISD_PtSD_S10_EESH_SX_SI_SJ_SK_EUlSX_E1_NS1_11comp_targetILNS1_3genE2ELNS1_11target_archE906ELNS1_3gpuE6ELNS1_3repE0EEENS1_36merge_oddeven_config_static_selectorELNS0_4arch9wavefront6targetE1EEEvSJ_
		.amdhsa_group_segment_fixed_size 0
		.amdhsa_private_segment_fixed_size 0
		.amdhsa_kernarg_size 48
		.amdhsa_user_sgpr_count 2
		.amdhsa_user_sgpr_dispatch_ptr 0
		.amdhsa_user_sgpr_queue_ptr 0
		.amdhsa_user_sgpr_kernarg_segment_ptr 1
		.amdhsa_user_sgpr_dispatch_id 0
		.amdhsa_user_sgpr_kernarg_preload_length 0
		.amdhsa_user_sgpr_kernarg_preload_offset 0
		.amdhsa_user_sgpr_private_segment_size 0
		.amdhsa_uses_dynamic_stack 0
		.amdhsa_enable_private_segment 0
		.amdhsa_system_sgpr_workgroup_id_x 1
		.amdhsa_system_sgpr_workgroup_id_y 0
		.amdhsa_system_sgpr_workgroup_id_z 0
		.amdhsa_system_sgpr_workgroup_info 0
		.amdhsa_system_vgpr_workitem_id 0
		.amdhsa_next_free_vgpr 1
		.amdhsa_next_free_sgpr 0
		.amdhsa_accum_offset 4
		.amdhsa_reserve_vcc 0
		.amdhsa_float_round_mode_32 0
		.amdhsa_float_round_mode_16_64 0
		.amdhsa_float_denorm_mode_32 3
		.amdhsa_float_denorm_mode_16_64 3
		.amdhsa_dx10_clamp 1
		.amdhsa_ieee_mode 1
		.amdhsa_fp16_overflow 0
		.amdhsa_tg_split 0
		.amdhsa_exception_fp_ieee_invalid_op 0
		.amdhsa_exception_fp_denorm_src 0
		.amdhsa_exception_fp_ieee_div_zero 0
		.amdhsa_exception_fp_ieee_overflow 0
		.amdhsa_exception_fp_ieee_underflow 0
		.amdhsa_exception_fp_ieee_inexact 0
		.amdhsa_exception_int_div_zero 0
	.end_amdhsa_kernel
	.section	.text._ZN7rocprim17ROCPRIM_400000_NS6detail17trampoline_kernelINS0_14default_configENS1_38merge_sort_block_merge_config_selectorIttEEZZNS1_27merge_sort_block_merge_implIS3_N6thrust23THRUST_200600_302600_NS6detail15normal_iteratorINS8_10device_ptrItEEEESD_jNS1_19radix_merge_compareILb0ELb1EtNS0_19identity_decomposerEEEEE10hipError_tT0_T1_T2_jT3_P12ihipStream_tbPNSt15iterator_traitsISI_E10value_typeEPNSO_ISJ_E10value_typeEPSK_NS1_7vsmem_tEENKUlT_SI_SJ_SK_E_clISD_PtSD_S10_EESH_SX_SI_SJ_SK_EUlSX_E1_NS1_11comp_targetILNS1_3genE2ELNS1_11target_archE906ELNS1_3gpuE6ELNS1_3repE0EEENS1_36merge_oddeven_config_static_selectorELNS0_4arch9wavefront6targetE1EEEvSJ_,"axG",@progbits,_ZN7rocprim17ROCPRIM_400000_NS6detail17trampoline_kernelINS0_14default_configENS1_38merge_sort_block_merge_config_selectorIttEEZZNS1_27merge_sort_block_merge_implIS3_N6thrust23THRUST_200600_302600_NS6detail15normal_iteratorINS8_10device_ptrItEEEESD_jNS1_19radix_merge_compareILb0ELb1EtNS0_19identity_decomposerEEEEE10hipError_tT0_T1_T2_jT3_P12ihipStream_tbPNSt15iterator_traitsISI_E10value_typeEPNSO_ISJ_E10value_typeEPSK_NS1_7vsmem_tEENKUlT_SI_SJ_SK_E_clISD_PtSD_S10_EESH_SX_SI_SJ_SK_EUlSX_E1_NS1_11comp_targetILNS1_3genE2ELNS1_11target_archE906ELNS1_3gpuE6ELNS1_3repE0EEENS1_36merge_oddeven_config_static_selectorELNS0_4arch9wavefront6targetE1EEEvSJ_,comdat
.Lfunc_end944:
	.size	_ZN7rocprim17ROCPRIM_400000_NS6detail17trampoline_kernelINS0_14default_configENS1_38merge_sort_block_merge_config_selectorIttEEZZNS1_27merge_sort_block_merge_implIS3_N6thrust23THRUST_200600_302600_NS6detail15normal_iteratorINS8_10device_ptrItEEEESD_jNS1_19radix_merge_compareILb0ELb1EtNS0_19identity_decomposerEEEEE10hipError_tT0_T1_T2_jT3_P12ihipStream_tbPNSt15iterator_traitsISI_E10value_typeEPNSO_ISJ_E10value_typeEPSK_NS1_7vsmem_tEENKUlT_SI_SJ_SK_E_clISD_PtSD_S10_EESH_SX_SI_SJ_SK_EUlSX_E1_NS1_11comp_targetILNS1_3genE2ELNS1_11target_archE906ELNS1_3gpuE6ELNS1_3repE0EEENS1_36merge_oddeven_config_static_selectorELNS0_4arch9wavefront6targetE1EEEvSJ_, .Lfunc_end944-_ZN7rocprim17ROCPRIM_400000_NS6detail17trampoline_kernelINS0_14default_configENS1_38merge_sort_block_merge_config_selectorIttEEZZNS1_27merge_sort_block_merge_implIS3_N6thrust23THRUST_200600_302600_NS6detail15normal_iteratorINS8_10device_ptrItEEEESD_jNS1_19radix_merge_compareILb0ELb1EtNS0_19identity_decomposerEEEEE10hipError_tT0_T1_T2_jT3_P12ihipStream_tbPNSt15iterator_traitsISI_E10value_typeEPNSO_ISJ_E10value_typeEPSK_NS1_7vsmem_tEENKUlT_SI_SJ_SK_E_clISD_PtSD_S10_EESH_SX_SI_SJ_SK_EUlSX_E1_NS1_11comp_targetILNS1_3genE2ELNS1_11target_archE906ELNS1_3gpuE6ELNS1_3repE0EEENS1_36merge_oddeven_config_static_selectorELNS0_4arch9wavefront6targetE1EEEvSJ_
                                        ; -- End function
	.set _ZN7rocprim17ROCPRIM_400000_NS6detail17trampoline_kernelINS0_14default_configENS1_38merge_sort_block_merge_config_selectorIttEEZZNS1_27merge_sort_block_merge_implIS3_N6thrust23THRUST_200600_302600_NS6detail15normal_iteratorINS8_10device_ptrItEEEESD_jNS1_19radix_merge_compareILb0ELb1EtNS0_19identity_decomposerEEEEE10hipError_tT0_T1_T2_jT3_P12ihipStream_tbPNSt15iterator_traitsISI_E10value_typeEPNSO_ISJ_E10value_typeEPSK_NS1_7vsmem_tEENKUlT_SI_SJ_SK_E_clISD_PtSD_S10_EESH_SX_SI_SJ_SK_EUlSX_E1_NS1_11comp_targetILNS1_3genE2ELNS1_11target_archE906ELNS1_3gpuE6ELNS1_3repE0EEENS1_36merge_oddeven_config_static_selectorELNS0_4arch9wavefront6targetE1EEEvSJ_.num_vgpr, 0
	.set _ZN7rocprim17ROCPRIM_400000_NS6detail17trampoline_kernelINS0_14default_configENS1_38merge_sort_block_merge_config_selectorIttEEZZNS1_27merge_sort_block_merge_implIS3_N6thrust23THRUST_200600_302600_NS6detail15normal_iteratorINS8_10device_ptrItEEEESD_jNS1_19radix_merge_compareILb0ELb1EtNS0_19identity_decomposerEEEEE10hipError_tT0_T1_T2_jT3_P12ihipStream_tbPNSt15iterator_traitsISI_E10value_typeEPNSO_ISJ_E10value_typeEPSK_NS1_7vsmem_tEENKUlT_SI_SJ_SK_E_clISD_PtSD_S10_EESH_SX_SI_SJ_SK_EUlSX_E1_NS1_11comp_targetILNS1_3genE2ELNS1_11target_archE906ELNS1_3gpuE6ELNS1_3repE0EEENS1_36merge_oddeven_config_static_selectorELNS0_4arch9wavefront6targetE1EEEvSJ_.num_agpr, 0
	.set _ZN7rocprim17ROCPRIM_400000_NS6detail17trampoline_kernelINS0_14default_configENS1_38merge_sort_block_merge_config_selectorIttEEZZNS1_27merge_sort_block_merge_implIS3_N6thrust23THRUST_200600_302600_NS6detail15normal_iteratorINS8_10device_ptrItEEEESD_jNS1_19radix_merge_compareILb0ELb1EtNS0_19identity_decomposerEEEEE10hipError_tT0_T1_T2_jT3_P12ihipStream_tbPNSt15iterator_traitsISI_E10value_typeEPNSO_ISJ_E10value_typeEPSK_NS1_7vsmem_tEENKUlT_SI_SJ_SK_E_clISD_PtSD_S10_EESH_SX_SI_SJ_SK_EUlSX_E1_NS1_11comp_targetILNS1_3genE2ELNS1_11target_archE906ELNS1_3gpuE6ELNS1_3repE0EEENS1_36merge_oddeven_config_static_selectorELNS0_4arch9wavefront6targetE1EEEvSJ_.numbered_sgpr, 0
	.set _ZN7rocprim17ROCPRIM_400000_NS6detail17trampoline_kernelINS0_14default_configENS1_38merge_sort_block_merge_config_selectorIttEEZZNS1_27merge_sort_block_merge_implIS3_N6thrust23THRUST_200600_302600_NS6detail15normal_iteratorINS8_10device_ptrItEEEESD_jNS1_19radix_merge_compareILb0ELb1EtNS0_19identity_decomposerEEEEE10hipError_tT0_T1_T2_jT3_P12ihipStream_tbPNSt15iterator_traitsISI_E10value_typeEPNSO_ISJ_E10value_typeEPSK_NS1_7vsmem_tEENKUlT_SI_SJ_SK_E_clISD_PtSD_S10_EESH_SX_SI_SJ_SK_EUlSX_E1_NS1_11comp_targetILNS1_3genE2ELNS1_11target_archE906ELNS1_3gpuE6ELNS1_3repE0EEENS1_36merge_oddeven_config_static_selectorELNS0_4arch9wavefront6targetE1EEEvSJ_.num_named_barrier, 0
	.set _ZN7rocprim17ROCPRIM_400000_NS6detail17trampoline_kernelINS0_14default_configENS1_38merge_sort_block_merge_config_selectorIttEEZZNS1_27merge_sort_block_merge_implIS3_N6thrust23THRUST_200600_302600_NS6detail15normal_iteratorINS8_10device_ptrItEEEESD_jNS1_19radix_merge_compareILb0ELb1EtNS0_19identity_decomposerEEEEE10hipError_tT0_T1_T2_jT3_P12ihipStream_tbPNSt15iterator_traitsISI_E10value_typeEPNSO_ISJ_E10value_typeEPSK_NS1_7vsmem_tEENKUlT_SI_SJ_SK_E_clISD_PtSD_S10_EESH_SX_SI_SJ_SK_EUlSX_E1_NS1_11comp_targetILNS1_3genE2ELNS1_11target_archE906ELNS1_3gpuE6ELNS1_3repE0EEENS1_36merge_oddeven_config_static_selectorELNS0_4arch9wavefront6targetE1EEEvSJ_.private_seg_size, 0
	.set _ZN7rocprim17ROCPRIM_400000_NS6detail17trampoline_kernelINS0_14default_configENS1_38merge_sort_block_merge_config_selectorIttEEZZNS1_27merge_sort_block_merge_implIS3_N6thrust23THRUST_200600_302600_NS6detail15normal_iteratorINS8_10device_ptrItEEEESD_jNS1_19radix_merge_compareILb0ELb1EtNS0_19identity_decomposerEEEEE10hipError_tT0_T1_T2_jT3_P12ihipStream_tbPNSt15iterator_traitsISI_E10value_typeEPNSO_ISJ_E10value_typeEPSK_NS1_7vsmem_tEENKUlT_SI_SJ_SK_E_clISD_PtSD_S10_EESH_SX_SI_SJ_SK_EUlSX_E1_NS1_11comp_targetILNS1_3genE2ELNS1_11target_archE906ELNS1_3gpuE6ELNS1_3repE0EEENS1_36merge_oddeven_config_static_selectorELNS0_4arch9wavefront6targetE1EEEvSJ_.uses_vcc, 0
	.set _ZN7rocprim17ROCPRIM_400000_NS6detail17trampoline_kernelINS0_14default_configENS1_38merge_sort_block_merge_config_selectorIttEEZZNS1_27merge_sort_block_merge_implIS3_N6thrust23THRUST_200600_302600_NS6detail15normal_iteratorINS8_10device_ptrItEEEESD_jNS1_19radix_merge_compareILb0ELb1EtNS0_19identity_decomposerEEEEE10hipError_tT0_T1_T2_jT3_P12ihipStream_tbPNSt15iterator_traitsISI_E10value_typeEPNSO_ISJ_E10value_typeEPSK_NS1_7vsmem_tEENKUlT_SI_SJ_SK_E_clISD_PtSD_S10_EESH_SX_SI_SJ_SK_EUlSX_E1_NS1_11comp_targetILNS1_3genE2ELNS1_11target_archE906ELNS1_3gpuE6ELNS1_3repE0EEENS1_36merge_oddeven_config_static_selectorELNS0_4arch9wavefront6targetE1EEEvSJ_.uses_flat_scratch, 0
	.set _ZN7rocprim17ROCPRIM_400000_NS6detail17trampoline_kernelINS0_14default_configENS1_38merge_sort_block_merge_config_selectorIttEEZZNS1_27merge_sort_block_merge_implIS3_N6thrust23THRUST_200600_302600_NS6detail15normal_iteratorINS8_10device_ptrItEEEESD_jNS1_19radix_merge_compareILb0ELb1EtNS0_19identity_decomposerEEEEE10hipError_tT0_T1_T2_jT3_P12ihipStream_tbPNSt15iterator_traitsISI_E10value_typeEPNSO_ISJ_E10value_typeEPSK_NS1_7vsmem_tEENKUlT_SI_SJ_SK_E_clISD_PtSD_S10_EESH_SX_SI_SJ_SK_EUlSX_E1_NS1_11comp_targetILNS1_3genE2ELNS1_11target_archE906ELNS1_3gpuE6ELNS1_3repE0EEENS1_36merge_oddeven_config_static_selectorELNS0_4arch9wavefront6targetE1EEEvSJ_.has_dyn_sized_stack, 0
	.set _ZN7rocprim17ROCPRIM_400000_NS6detail17trampoline_kernelINS0_14default_configENS1_38merge_sort_block_merge_config_selectorIttEEZZNS1_27merge_sort_block_merge_implIS3_N6thrust23THRUST_200600_302600_NS6detail15normal_iteratorINS8_10device_ptrItEEEESD_jNS1_19radix_merge_compareILb0ELb1EtNS0_19identity_decomposerEEEEE10hipError_tT0_T1_T2_jT3_P12ihipStream_tbPNSt15iterator_traitsISI_E10value_typeEPNSO_ISJ_E10value_typeEPSK_NS1_7vsmem_tEENKUlT_SI_SJ_SK_E_clISD_PtSD_S10_EESH_SX_SI_SJ_SK_EUlSX_E1_NS1_11comp_targetILNS1_3genE2ELNS1_11target_archE906ELNS1_3gpuE6ELNS1_3repE0EEENS1_36merge_oddeven_config_static_selectorELNS0_4arch9wavefront6targetE1EEEvSJ_.has_recursion, 0
	.set _ZN7rocprim17ROCPRIM_400000_NS6detail17trampoline_kernelINS0_14default_configENS1_38merge_sort_block_merge_config_selectorIttEEZZNS1_27merge_sort_block_merge_implIS3_N6thrust23THRUST_200600_302600_NS6detail15normal_iteratorINS8_10device_ptrItEEEESD_jNS1_19radix_merge_compareILb0ELb1EtNS0_19identity_decomposerEEEEE10hipError_tT0_T1_T2_jT3_P12ihipStream_tbPNSt15iterator_traitsISI_E10value_typeEPNSO_ISJ_E10value_typeEPSK_NS1_7vsmem_tEENKUlT_SI_SJ_SK_E_clISD_PtSD_S10_EESH_SX_SI_SJ_SK_EUlSX_E1_NS1_11comp_targetILNS1_3genE2ELNS1_11target_archE906ELNS1_3gpuE6ELNS1_3repE0EEENS1_36merge_oddeven_config_static_selectorELNS0_4arch9wavefront6targetE1EEEvSJ_.has_indirect_call, 0
	.section	.AMDGPU.csdata,"",@progbits
; Kernel info:
; codeLenInByte = 0
; TotalNumSgprs: 6
; NumVgprs: 0
; NumAgprs: 0
; TotalNumVgprs: 0
; ScratchSize: 0
; MemoryBound: 0
; FloatMode: 240
; IeeeMode: 1
; LDSByteSize: 0 bytes/workgroup (compile time only)
; SGPRBlocks: 0
; VGPRBlocks: 0
; NumSGPRsForWavesPerEU: 6
; NumVGPRsForWavesPerEU: 1
; AccumOffset: 4
; Occupancy: 8
; WaveLimiterHint : 0
; COMPUTE_PGM_RSRC2:SCRATCH_EN: 0
; COMPUTE_PGM_RSRC2:USER_SGPR: 2
; COMPUTE_PGM_RSRC2:TRAP_HANDLER: 0
; COMPUTE_PGM_RSRC2:TGID_X_EN: 1
; COMPUTE_PGM_RSRC2:TGID_Y_EN: 0
; COMPUTE_PGM_RSRC2:TGID_Z_EN: 0
; COMPUTE_PGM_RSRC2:TIDIG_COMP_CNT: 0
; COMPUTE_PGM_RSRC3_GFX90A:ACCUM_OFFSET: 0
; COMPUTE_PGM_RSRC3_GFX90A:TG_SPLIT: 0
	.section	.text._ZN7rocprim17ROCPRIM_400000_NS6detail17trampoline_kernelINS0_14default_configENS1_38merge_sort_block_merge_config_selectorIttEEZZNS1_27merge_sort_block_merge_implIS3_N6thrust23THRUST_200600_302600_NS6detail15normal_iteratorINS8_10device_ptrItEEEESD_jNS1_19radix_merge_compareILb0ELb1EtNS0_19identity_decomposerEEEEE10hipError_tT0_T1_T2_jT3_P12ihipStream_tbPNSt15iterator_traitsISI_E10value_typeEPNSO_ISJ_E10value_typeEPSK_NS1_7vsmem_tEENKUlT_SI_SJ_SK_E_clISD_PtSD_S10_EESH_SX_SI_SJ_SK_EUlSX_E1_NS1_11comp_targetILNS1_3genE9ELNS1_11target_archE1100ELNS1_3gpuE3ELNS1_3repE0EEENS1_36merge_oddeven_config_static_selectorELNS0_4arch9wavefront6targetE1EEEvSJ_,"axG",@progbits,_ZN7rocprim17ROCPRIM_400000_NS6detail17trampoline_kernelINS0_14default_configENS1_38merge_sort_block_merge_config_selectorIttEEZZNS1_27merge_sort_block_merge_implIS3_N6thrust23THRUST_200600_302600_NS6detail15normal_iteratorINS8_10device_ptrItEEEESD_jNS1_19radix_merge_compareILb0ELb1EtNS0_19identity_decomposerEEEEE10hipError_tT0_T1_T2_jT3_P12ihipStream_tbPNSt15iterator_traitsISI_E10value_typeEPNSO_ISJ_E10value_typeEPSK_NS1_7vsmem_tEENKUlT_SI_SJ_SK_E_clISD_PtSD_S10_EESH_SX_SI_SJ_SK_EUlSX_E1_NS1_11comp_targetILNS1_3genE9ELNS1_11target_archE1100ELNS1_3gpuE3ELNS1_3repE0EEENS1_36merge_oddeven_config_static_selectorELNS0_4arch9wavefront6targetE1EEEvSJ_,comdat
	.protected	_ZN7rocprim17ROCPRIM_400000_NS6detail17trampoline_kernelINS0_14default_configENS1_38merge_sort_block_merge_config_selectorIttEEZZNS1_27merge_sort_block_merge_implIS3_N6thrust23THRUST_200600_302600_NS6detail15normal_iteratorINS8_10device_ptrItEEEESD_jNS1_19radix_merge_compareILb0ELb1EtNS0_19identity_decomposerEEEEE10hipError_tT0_T1_T2_jT3_P12ihipStream_tbPNSt15iterator_traitsISI_E10value_typeEPNSO_ISJ_E10value_typeEPSK_NS1_7vsmem_tEENKUlT_SI_SJ_SK_E_clISD_PtSD_S10_EESH_SX_SI_SJ_SK_EUlSX_E1_NS1_11comp_targetILNS1_3genE9ELNS1_11target_archE1100ELNS1_3gpuE3ELNS1_3repE0EEENS1_36merge_oddeven_config_static_selectorELNS0_4arch9wavefront6targetE1EEEvSJ_ ; -- Begin function _ZN7rocprim17ROCPRIM_400000_NS6detail17trampoline_kernelINS0_14default_configENS1_38merge_sort_block_merge_config_selectorIttEEZZNS1_27merge_sort_block_merge_implIS3_N6thrust23THRUST_200600_302600_NS6detail15normal_iteratorINS8_10device_ptrItEEEESD_jNS1_19radix_merge_compareILb0ELb1EtNS0_19identity_decomposerEEEEE10hipError_tT0_T1_T2_jT3_P12ihipStream_tbPNSt15iterator_traitsISI_E10value_typeEPNSO_ISJ_E10value_typeEPSK_NS1_7vsmem_tEENKUlT_SI_SJ_SK_E_clISD_PtSD_S10_EESH_SX_SI_SJ_SK_EUlSX_E1_NS1_11comp_targetILNS1_3genE9ELNS1_11target_archE1100ELNS1_3gpuE3ELNS1_3repE0EEENS1_36merge_oddeven_config_static_selectorELNS0_4arch9wavefront6targetE1EEEvSJ_
	.globl	_ZN7rocprim17ROCPRIM_400000_NS6detail17trampoline_kernelINS0_14default_configENS1_38merge_sort_block_merge_config_selectorIttEEZZNS1_27merge_sort_block_merge_implIS3_N6thrust23THRUST_200600_302600_NS6detail15normal_iteratorINS8_10device_ptrItEEEESD_jNS1_19radix_merge_compareILb0ELb1EtNS0_19identity_decomposerEEEEE10hipError_tT0_T1_T2_jT3_P12ihipStream_tbPNSt15iterator_traitsISI_E10value_typeEPNSO_ISJ_E10value_typeEPSK_NS1_7vsmem_tEENKUlT_SI_SJ_SK_E_clISD_PtSD_S10_EESH_SX_SI_SJ_SK_EUlSX_E1_NS1_11comp_targetILNS1_3genE9ELNS1_11target_archE1100ELNS1_3gpuE3ELNS1_3repE0EEENS1_36merge_oddeven_config_static_selectorELNS0_4arch9wavefront6targetE1EEEvSJ_
	.p2align	8
	.type	_ZN7rocprim17ROCPRIM_400000_NS6detail17trampoline_kernelINS0_14default_configENS1_38merge_sort_block_merge_config_selectorIttEEZZNS1_27merge_sort_block_merge_implIS3_N6thrust23THRUST_200600_302600_NS6detail15normal_iteratorINS8_10device_ptrItEEEESD_jNS1_19radix_merge_compareILb0ELb1EtNS0_19identity_decomposerEEEEE10hipError_tT0_T1_T2_jT3_P12ihipStream_tbPNSt15iterator_traitsISI_E10value_typeEPNSO_ISJ_E10value_typeEPSK_NS1_7vsmem_tEENKUlT_SI_SJ_SK_E_clISD_PtSD_S10_EESH_SX_SI_SJ_SK_EUlSX_E1_NS1_11comp_targetILNS1_3genE9ELNS1_11target_archE1100ELNS1_3gpuE3ELNS1_3repE0EEENS1_36merge_oddeven_config_static_selectorELNS0_4arch9wavefront6targetE1EEEvSJ_,@function
_ZN7rocprim17ROCPRIM_400000_NS6detail17trampoline_kernelINS0_14default_configENS1_38merge_sort_block_merge_config_selectorIttEEZZNS1_27merge_sort_block_merge_implIS3_N6thrust23THRUST_200600_302600_NS6detail15normal_iteratorINS8_10device_ptrItEEEESD_jNS1_19radix_merge_compareILb0ELb1EtNS0_19identity_decomposerEEEEE10hipError_tT0_T1_T2_jT3_P12ihipStream_tbPNSt15iterator_traitsISI_E10value_typeEPNSO_ISJ_E10value_typeEPSK_NS1_7vsmem_tEENKUlT_SI_SJ_SK_E_clISD_PtSD_S10_EESH_SX_SI_SJ_SK_EUlSX_E1_NS1_11comp_targetILNS1_3genE9ELNS1_11target_archE1100ELNS1_3gpuE3ELNS1_3repE0EEENS1_36merge_oddeven_config_static_selectorELNS0_4arch9wavefront6targetE1EEEvSJ_: ; @_ZN7rocprim17ROCPRIM_400000_NS6detail17trampoline_kernelINS0_14default_configENS1_38merge_sort_block_merge_config_selectorIttEEZZNS1_27merge_sort_block_merge_implIS3_N6thrust23THRUST_200600_302600_NS6detail15normal_iteratorINS8_10device_ptrItEEEESD_jNS1_19radix_merge_compareILb0ELb1EtNS0_19identity_decomposerEEEEE10hipError_tT0_T1_T2_jT3_P12ihipStream_tbPNSt15iterator_traitsISI_E10value_typeEPNSO_ISJ_E10value_typeEPSK_NS1_7vsmem_tEENKUlT_SI_SJ_SK_E_clISD_PtSD_S10_EESH_SX_SI_SJ_SK_EUlSX_E1_NS1_11comp_targetILNS1_3genE9ELNS1_11target_archE1100ELNS1_3gpuE3ELNS1_3repE0EEENS1_36merge_oddeven_config_static_selectorELNS0_4arch9wavefront6targetE1EEEvSJ_
; %bb.0:
	.section	.rodata,"a",@progbits
	.p2align	6, 0x0
	.amdhsa_kernel _ZN7rocprim17ROCPRIM_400000_NS6detail17trampoline_kernelINS0_14default_configENS1_38merge_sort_block_merge_config_selectorIttEEZZNS1_27merge_sort_block_merge_implIS3_N6thrust23THRUST_200600_302600_NS6detail15normal_iteratorINS8_10device_ptrItEEEESD_jNS1_19radix_merge_compareILb0ELb1EtNS0_19identity_decomposerEEEEE10hipError_tT0_T1_T2_jT3_P12ihipStream_tbPNSt15iterator_traitsISI_E10value_typeEPNSO_ISJ_E10value_typeEPSK_NS1_7vsmem_tEENKUlT_SI_SJ_SK_E_clISD_PtSD_S10_EESH_SX_SI_SJ_SK_EUlSX_E1_NS1_11comp_targetILNS1_3genE9ELNS1_11target_archE1100ELNS1_3gpuE3ELNS1_3repE0EEENS1_36merge_oddeven_config_static_selectorELNS0_4arch9wavefront6targetE1EEEvSJ_
		.amdhsa_group_segment_fixed_size 0
		.amdhsa_private_segment_fixed_size 0
		.amdhsa_kernarg_size 48
		.amdhsa_user_sgpr_count 2
		.amdhsa_user_sgpr_dispatch_ptr 0
		.amdhsa_user_sgpr_queue_ptr 0
		.amdhsa_user_sgpr_kernarg_segment_ptr 1
		.amdhsa_user_sgpr_dispatch_id 0
		.amdhsa_user_sgpr_kernarg_preload_length 0
		.amdhsa_user_sgpr_kernarg_preload_offset 0
		.amdhsa_user_sgpr_private_segment_size 0
		.amdhsa_uses_dynamic_stack 0
		.amdhsa_enable_private_segment 0
		.amdhsa_system_sgpr_workgroup_id_x 1
		.amdhsa_system_sgpr_workgroup_id_y 0
		.amdhsa_system_sgpr_workgroup_id_z 0
		.amdhsa_system_sgpr_workgroup_info 0
		.amdhsa_system_vgpr_workitem_id 0
		.amdhsa_next_free_vgpr 1
		.amdhsa_next_free_sgpr 0
		.amdhsa_accum_offset 4
		.amdhsa_reserve_vcc 0
		.amdhsa_float_round_mode_32 0
		.amdhsa_float_round_mode_16_64 0
		.amdhsa_float_denorm_mode_32 3
		.amdhsa_float_denorm_mode_16_64 3
		.amdhsa_dx10_clamp 1
		.amdhsa_ieee_mode 1
		.amdhsa_fp16_overflow 0
		.amdhsa_tg_split 0
		.amdhsa_exception_fp_ieee_invalid_op 0
		.amdhsa_exception_fp_denorm_src 0
		.amdhsa_exception_fp_ieee_div_zero 0
		.amdhsa_exception_fp_ieee_overflow 0
		.amdhsa_exception_fp_ieee_underflow 0
		.amdhsa_exception_fp_ieee_inexact 0
		.amdhsa_exception_int_div_zero 0
	.end_amdhsa_kernel
	.section	.text._ZN7rocprim17ROCPRIM_400000_NS6detail17trampoline_kernelINS0_14default_configENS1_38merge_sort_block_merge_config_selectorIttEEZZNS1_27merge_sort_block_merge_implIS3_N6thrust23THRUST_200600_302600_NS6detail15normal_iteratorINS8_10device_ptrItEEEESD_jNS1_19radix_merge_compareILb0ELb1EtNS0_19identity_decomposerEEEEE10hipError_tT0_T1_T2_jT3_P12ihipStream_tbPNSt15iterator_traitsISI_E10value_typeEPNSO_ISJ_E10value_typeEPSK_NS1_7vsmem_tEENKUlT_SI_SJ_SK_E_clISD_PtSD_S10_EESH_SX_SI_SJ_SK_EUlSX_E1_NS1_11comp_targetILNS1_3genE9ELNS1_11target_archE1100ELNS1_3gpuE3ELNS1_3repE0EEENS1_36merge_oddeven_config_static_selectorELNS0_4arch9wavefront6targetE1EEEvSJ_,"axG",@progbits,_ZN7rocprim17ROCPRIM_400000_NS6detail17trampoline_kernelINS0_14default_configENS1_38merge_sort_block_merge_config_selectorIttEEZZNS1_27merge_sort_block_merge_implIS3_N6thrust23THRUST_200600_302600_NS6detail15normal_iteratorINS8_10device_ptrItEEEESD_jNS1_19radix_merge_compareILb0ELb1EtNS0_19identity_decomposerEEEEE10hipError_tT0_T1_T2_jT3_P12ihipStream_tbPNSt15iterator_traitsISI_E10value_typeEPNSO_ISJ_E10value_typeEPSK_NS1_7vsmem_tEENKUlT_SI_SJ_SK_E_clISD_PtSD_S10_EESH_SX_SI_SJ_SK_EUlSX_E1_NS1_11comp_targetILNS1_3genE9ELNS1_11target_archE1100ELNS1_3gpuE3ELNS1_3repE0EEENS1_36merge_oddeven_config_static_selectorELNS0_4arch9wavefront6targetE1EEEvSJ_,comdat
.Lfunc_end945:
	.size	_ZN7rocprim17ROCPRIM_400000_NS6detail17trampoline_kernelINS0_14default_configENS1_38merge_sort_block_merge_config_selectorIttEEZZNS1_27merge_sort_block_merge_implIS3_N6thrust23THRUST_200600_302600_NS6detail15normal_iteratorINS8_10device_ptrItEEEESD_jNS1_19radix_merge_compareILb0ELb1EtNS0_19identity_decomposerEEEEE10hipError_tT0_T1_T2_jT3_P12ihipStream_tbPNSt15iterator_traitsISI_E10value_typeEPNSO_ISJ_E10value_typeEPSK_NS1_7vsmem_tEENKUlT_SI_SJ_SK_E_clISD_PtSD_S10_EESH_SX_SI_SJ_SK_EUlSX_E1_NS1_11comp_targetILNS1_3genE9ELNS1_11target_archE1100ELNS1_3gpuE3ELNS1_3repE0EEENS1_36merge_oddeven_config_static_selectorELNS0_4arch9wavefront6targetE1EEEvSJ_, .Lfunc_end945-_ZN7rocprim17ROCPRIM_400000_NS6detail17trampoline_kernelINS0_14default_configENS1_38merge_sort_block_merge_config_selectorIttEEZZNS1_27merge_sort_block_merge_implIS3_N6thrust23THRUST_200600_302600_NS6detail15normal_iteratorINS8_10device_ptrItEEEESD_jNS1_19radix_merge_compareILb0ELb1EtNS0_19identity_decomposerEEEEE10hipError_tT0_T1_T2_jT3_P12ihipStream_tbPNSt15iterator_traitsISI_E10value_typeEPNSO_ISJ_E10value_typeEPSK_NS1_7vsmem_tEENKUlT_SI_SJ_SK_E_clISD_PtSD_S10_EESH_SX_SI_SJ_SK_EUlSX_E1_NS1_11comp_targetILNS1_3genE9ELNS1_11target_archE1100ELNS1_3gpuE3ELNS1_3repE0EEENS1_36merge_oddeven_config_static_selectorELNS0_4arch9wavefront6targetE1EEEvSJ_
                                        ; -- End function
	.set _ZN7rocprim17ROCPRIM_400000_NS6detail17trampoline_kernelINS0_14default_configENS1_38merge_sort_block_merge_config_selectorIttEEZZNS1_27merge_sort_block_merge_implIS3_N6thrust23THRUST_200600_302600_NS6detail15normal_iteratorINS8_10device_ptrItEEEESD_jNS1_19radix_merge_compareILb0ELb1EtNS0_19identity_decomposerEEEEE10hipError_tT0_T1_T2_jT3_P12ihipStream_tbPNSt15iterator_traitsISI_E10value_typeEPNSO_ISJ_E10value_typeEPSK_NS1_7vsmem_tEENKUlT_SI_SJ_SK_E_clISD_PtSD_S10_EESH_SX_SI_SJ_SK_EUlSX_E1_NS1_11comp_targetILNS1_3genE9ELNS1_11target_archE1100ELNS1_3gpuE3ELNS1_3repE0EEENS1_36merge_oddeven_config_static_selectorELNS0_4arch9wavefront6targetE1EEEvSJ_.num_vgpr, 0
	.set _ZN7rocprim17ROCPRIM_400000_NS6detail17trampoline_kernelINS0_14default_configENS1_38merge_sort_block_merge_config_selectorIttEEZZNS1_27merge_sort_block_merge_implIS3_N6thrust23THRUST_200600_302600_NS6detail15normal_iteratorINS8_10device_ptrItEEEESD_jNS1_19radix_merge_compareILb0ELb1EtNS0_19identity_decomposerEEEEE10hipError_tT0_T1_T2_jT3_P12ihipStream_tbPNSt15iterator_traitsISI_E10value_typeEPNSO_ISJ_E10value_typeEPSK_NS1_7vsmem_tEENKUlT_SI_SJ_SK_E_clISD_PtSD_S10_EESH_SX_SI_SJ_SK_EUlSX_E1_NS1_11comp_targetILNS1_3genE9ELNS1_11target_archE1100ELNS1_3gpuE3ELNS1_3repE0EEENS1_36merge_oddeven_config_static_selectorELNS0_4arch9wavefront6targetE1EEEvSJ_.num_agpr, 0
	.set _ZN7rocprim17ROCPRIM_400000_NS6detail17trampoline_kernelINS0_14default_configENS1_38merge_sort_block_merge_config_selectorIttEEZZNS1_27merge_sort_block_merge_implIS3_N6thrust23THRUST_200600_302600_NS6detail15normal_iteratorINS8_10device_ptrItEEEESD_jNS1_19radix_merge_compareILb0ELb1EtNS0_19identity_decomposerEEEEE10hipError_tT0_T1_T2_jT3_P12ihipStream_tbPNSt15iterator_traitsISI_E10value_typeEPNSO_ISJ_E10value_typeEPSK_NS1_7vsmem_tEENKUlT_SI_SJ_SK_E_clISD_PtSD_S10_EESH_SX_SI_SJ_SK_EUlSX_E1_NS1_11comp_targetILNS1_3genE9ELNS1_11target_archE1100ELNS1_3gpuE3ELNS1_3repE0EEENS1_36merge_oddeven_config_static_selectorELNS0_4arch9wavefront6targetE1EEEvSJ_.numbered_sgpr, 0
	.set _ZN7rocprim17ROCPRIM_400000_NS6detail17trampoline_kernelINS0_14default_configENS1_38merge_sort_block_merge_config_selectorIttEEZZNS1_27merge_sort_block_merge_implIS3_N6thrust23THRUST_200600_302600_NS6detail15normal_iteratorINS8_10device_ptrItEEEESD_jNS1_19radix_merge_compareILb0ELb1EtNS0_19identity_decomposerEEEEE10hipError_tT0_T1_T2_jT3_P12ihipStream_tbPNSt15iterator_traitsISI_E10value_typeEPNSO_ISJ_E10value_typeEPSK_NS1_7vsmem_tEENKUlT_SI_SJ_SK_E_clISD_PtSD_S10_EESH_SX_SI_SJ_SK_EUlSX_E1_NS1_11comp_targetILNS1_3genE9ELNS1_11target_archE1100ELNS1_3gpuE3ELNS1_3repE0EEENS1_36merge_oddeven_config_static_selectorELNS0_4arch9wavefront6targetE1EEEvSJ_.num_named_barrier, 0
	.set _ZN7rocprim17ROCPRIM_400000_NS6detail17trampoline_kernelINS0_14default_configENS1_38merge_sort_block_merge_config_selectorIttEEZZNS1_27merge_sort_block_merge_implIS3_N6thrust23THRUST_200600_302600_NS6detail15normal_iteratorINS8_10device_ptrItEEEESD_jNS1_19radix_merge_compareILb0ELb1EtNS0_19identity_decomposerEEEEE10hipError_tT0_T1_T2_jT3_P12ihipStream_tbPNSt15iterator_traitsISI_E10value_typeEPNSO_ISJ_E10value_typeEPSK_NS1_7vsmem_tEENKUlT_SI_SJ_SK_E_clISD_PtSD_S10_EESH_SX_SI_SJ_SK_EUlSX_E1_NS1_11comp_targetILNS1_3genE9ELNS1_11target_archE1100ELNS1_3gpuE3ELNS1_3repE0EEENS1_36merge_oddeven_config_static_selectorELNS0_4arch9wavefront6targetE1EEEvSJ_.private_seg_size, 0
	.set _ZN7rocprim17ROCPRIM_400000_NS6detail17trampoline_kernelINS0_14default_configENS1_38merge_sort_block_merge_config_selectorIttEEZZNS1_27merge_sort_block_merge_implIS3_N6thrust23THRUST_200600_302600_NS6detail15normal_iteratorINS8_10device_ptrItEEEESD_jNS1_19radix_merge_compareILb0ELb1EtNS0_19identity_decomposerEEEEE10hipError_tT0_T1_T2_jT3_P12ihipStream_tbPNSt15iterator_traitsISI_E10value_typeEPNSO_ISJ_E10value_typeEPSK_NS1_7vsmem_tEENKUlT_SI_SJ_SK_E_clISD_PtSD_S10_EESH_SX_SI_SJ_SK_EUlSX_E1_NS1_11comp_targetILNS1_3genE9ELNS1_11target_archE1100ELNS1_3gpuE3ELNS1_3repE0EEENS1_36merge_oddeven_config_static_selectorELNS0_4arch9wavefront6targetE1EEEvSJ_.uses_vcc, 0
	.set _ZN7rocprim17ROCPRIM_400000_NS6detail17trampoline_kernelINS0_14default_configENS1_38merge_sort_block_merge_config_selectorIttEEZZNS1_27merge_sort_block_merge_implIS3_N6thrust23THRUST_200600_302600_NS6detail15normal_iteratorINS8_10device_ptrItEEEESD_jNS1_19radix_merge_compareILb0ELb1EtNS0_19identity_decomposerEEEEE10hipError_tT0_T1_T2_jT3_P12ihipStream_tbPNSt15iterator_traitsISI_E10value_typeEPNSO_ISJ_E10value_typeEPSK_NS1_7vsmem_tEENKUlT_SI_SJ_SK_E_clISD_PtSD_S10_EESH_SX_SI_SJ_SK_EUlSX_E1_NS1_11comp_targetILNS1_3genE9ELNS1_11target_archE1100ELNS1_3gpuE3ELNS1_3repE0EEENS1_36merge_oddeven_config_static_selectorELNS0_4arch9wavefront6targetE1EEEvSJ_.uses_flat_scratch, 0
	.set _ZN7rocprim17ROCPRIM_400000_NS6detail17trampoline_kernelINS0_14default_configENS1_38merge_sort_block_merge_config_selectorIttEEZZNS1_27merge_sort_block_merge_implIS3_N6thrust23THRUST_200600_302600_NS6detail15normal_iteratorINS8_10device_ptrItEEEESD_jNS1_19radix_merge_compareILb0ELb1EtNS0_19identity_decomposerEEEEE10hipError_tT0_T1_T2_jT3_P12ihipStream_tbPNSt15iterator_traitsISI_E10value_typeEPNSO_ISJ_E10value_typeEPSK_NS1_7vsmem_tEENKUlT_SI_SJ_SK_E_clISD_PtSD_S10_EESH_SX_SI_SJ_SK_EUlSX_E1_NS1_11comp_targetILNS1_3genE9ELNS1_11target_archE1100ELNS1_3gpuE3ELNS1_3repE0EEENS1_36merge_oddeven_config_static_selectorELNS0_4arch9wavefront6targetE1EEEvSJ_.has_dyn_sized_stack, 0
	.set _ZN7rocprim17ROCPRIM_400000_NS6detail17trampoline_kernelINS0_14default_configENS1_38merge_sort_block_merge_config_selectorIttEEZZNS1_27merge_sort_block_merge_implIS3_N6thrust23THRUST_200600_302600_NS6detail15normal_iteratorINS8_10device_ptrItEEEESD_jNS1_19radix_merge_compareILb0ELb1EtNS0_19identity_decomposerEEEEE10hipError_tT0_T1_T2_jT3_P12ihipStream_tbPNSt15iterator_traitsISI_E10value_typeEPNSO_ISJ_E10value_typeEPSK_NS1_7vsmem_tEENKUlT_SI_SJ_SK_E_clISD_PtSD_S10_EESH_SX_SI_SJ_SK_EUlSX_E1_NS1_11comp_targetILNS1_3genE9ELNS1_11target_archE1100ELNS1_3gpuE3ELNS1_3repE0EEENS1_36merge_oddeven_config_static_selectorELNS0_4arch9wavefront6targetE1EEEvSJ_.has_recursion, 0
	.set _ZN7rocprim17ROCPRIM_400000_NS6detail17trampoline_kernelINS0_14default_configENS1_38merge_sort_block_merge_config_selectorIttEEZZNS1_27merge_sort_block_merge_implIS3_N6thrust23THRUST_200600_302600_NS6detail15normal_iteratorINS8_10device_ptrItEEEESD_jNS1_19radix_merge_compareILb0ELb1EtNS0_19identity_decomposerEEEEE10hipError_tT0_T1_T2_jT3_P12ihipStream_tbPNSt15iterator_traitsISI_E10value_typeEPNSO_ISJ_E10value_typeEPSK_NS1_7vsmem_tEENKUlT_SI_SJ_SK_E_clISD_PtSD_S10_EESH_SX_SI_SJ_SK_EUlSX_E1_NS1_11comp_targetILNS1_3genE9ELNS1_11target_archE1100ELNS1_3gpuE3ELNS1_3repE0EEENS1_36merge_oddeven_config_static_selectorELNS0_4arch9wavefront6targetE1EEEvSJ_.has_indirect_call, 0
	.section	.AMDGPU.csdata,"",@progbits
; Kernel info:
; codeLenInByte = 0
; TotalNumSgprs: 6
; NumVgprs: 0
; NumAgprs: 0
; TotalNumVgprs: 0
; ScratchSize: 0
; MemoryBound: 0
; FloatMode: 240
; IeeeMode: 1
; LDSByteSize: 0 bytes/workgroup (compile time only)
; SGPRBlocks: 0
; VGPRBlocks: 0
; NumSGPRsForWavesPerEU: 6
; NumVGPRsForWavesPerEU: 1
; AccumOffset: 4
; Occupancy: 8
; WaveLimiterHint : 0
; COMPUTE_PGM_RSRC2:SCRATCH_EN: 0
; COMPUTE_PGM_RSRC2:USER_SGPR: 2
; COMPUTE_PGM_RSRC2:TRAP_HANDLER: 0
; COMPUTE_PGM_RSRC2:TGID_X_EN: 1
; COMPUTE_PGM_RSRC2:TGID_Y_EN: 0
; COMPUTE_PGM_RSRC2:TGID_Z_EN: 0
; COMPUTE_PGM_RSRC2:TIDIG_COMP_CNT: 0
; COMPUTE_PGM_RSRC3_GFX90A:ACCUM_OFFSET: 0
; COMPUTE_PGM_RSRC3_GFX90A:TG_SPLIT: 0
	.section	.text._ZN7rocprim17ROCPRIM_400000_NS6detail17trampoline_kernelINS0_14default_configENS1_38merge_sort_block_merge_config_selectorIttEEZZNS1_27merge_sort_block_merge_implIS3_N6thrust23THRUST_200600_302600_NS6detail15normal_iteratorINS8_10device_ptrItEEEESD_jNS1_19radix_merge_compareILb0ELb1EtNS0_19identity_decomposerEEEEE10hipError_tT0_T1_T2_jT3_P12ihipStream_tbPNSt15iterator_traitsISI_E10value_typeEPNSO_ISJ_E10value_typeEPSK_NS1_7vsmem_tEENKUlT_SI_SJ_SK_E_clISD_PtSD_S10_EESH_SX_SI_SJ_SK_EUlSX_E1_NS1_11comp_targetILNS1_3genE8ELNS1_11target_archE1030ELNS1_3gpuE2ELNS1_3repE0EEENS1_36merge_oddeven_config_static_selectorELNS0_4arch9wavefront6targetE1EEEvSJ_,"axG",@progbits,_ZN7rocprim17ROCPRIM_400000_NS6detail17trampoline_kernelINS0_14default_configENS1_38merge_sort_block_merge_config_selectorIttEEZZNS1_27merge_sort_block_merge_implIS3_N6thrust23THRUST_200600_302600_NS6detail15normal_iteratorINS8_10device_ptrItEEEESD_jNS1_19radix_merge_compareILb0ELb1EtNS0_19identity_decomposerEEEEE10hipError_tT0_T1_T2_jT3_P12ihipStream_tbPNSt15iterator_traitsISI_E10value_typeEPNSO_ISJ_E10value_typeEPSK_NS1_7vsmem_tEENKUlT_SI_SJ_SK_E_clISD_PtSD_S10_EESH_SX_SI_SJ_SK_EUlSX_E1_NS1_11comp_targetILNS1_3genE8ELNS1_11target_archE1030ELNS1_3gpuE2ELNS1_3repE0EEENS1_36merge_oddeven_config_static_selectorELNS0_4arch9wavefront6targetE1EEEvSJ_,comdat
	.protected	_ZN7rocprim17ROCPRIM_400000_NS6detail17trampoline_kernelINS0_14default_configENS1_38merge_sort_block_merge_config_selectorIttEEZZNS1_27merge_sort_block_merge_implIS3_N6thrust23THRUST_200600_302600_NS6detail15normal_iteratorINS8_10device_ptrItEEEESD_jNS1_19radix_merge_compareILb0ELb1EtNS0_19identity_decomposerEEEEE10hipError_tT0_T1_T2_jT3_P12ihipStream_tbPNSt15iterator_traitsISI_E10value_typeEPNSO_ISJ_E10value_typeEPSK_NS1_7vsmem_tEENKUlT_SI_SJ_SK_E_clISD_PtSD_S10_EESH_SX_SI_SJ_SK_EUlSX_E1_NS1_11comp_targetILNS1_3genE8ELNS1_11target_archE1030ELNS1_3gpuE2ELNS1_3repE0EEENS1_36merge_oddeven_config_static_selectorELNS0_4arch9wavefront6targetE1EEEvSJ_ ; -- Begin function _ZN7rocprim17ROCPRIM_400000_NS6detail17trampoline_kernelINS0_14default_configENS1_38merge_sort_block_merge_config_selectorIttEEZZNS1_27merge_sort_block_merge_implIS3_N6thrust23THRUST_200600_302600_NS6detail15normal_iteratorINS8_10device_ptrItEEEESD_jNS1_19radix_merge_compareILb0ELb1EtNS0_19identity_decomposerEEEEE10hipError_tT0_T1_T2_jT3_P12ihipStream_tbPNSt15iterator_traitsISI_E10value_typeEPNSO_ISJ_E10value_typeEPSK_NS1_7vsmem_tEENKUlT_SI_SJ_SK_E_clISD_PtSD_S10_EESH_SX_SI_SJ_SK_EUlSX_E1_NS1_11comp_targetILNS1_3genE8ELNS1_11target_archE1030ELNS1_3gpuE2ELNS1_3repE0EEENS1_36merge_oddeven_config_static_selectorELNS0_4arch9wavefront6targetE1EEEvSJ_
	.globl	_ZN7rocprim17ROCPRIM_400000_NS6detail17trampoline_kernelINS0_14default_configENS1_38merge_sort_block_merge_config_selectorIttEEZZNS1_27merge_sort_block_merge_implIS3_N6thrust23THRUST_200600_302600_NS6detail15normal_iteratorINS8_10device_ptrItEEEESD_jNS1_19radix_merge_compareILb0ELb1EtNS0_19identity_decomposerEEEEE10hipError_tT0_T1_T2_jT3_P12ihipStream_tbPNSt15iterator_traitsISI_E10value_typeEPNSO_ISJ_E10value_typeEPSK_NS1_7vsmem_tEENKUlT_SI_SJ_SK_E_clISD_PtSD_S10_EESH_SX_SI_SJ_SK_EUlSX_E1_NS1_11comp_targetILNS1_3genE8ELNS1_11target_archE1030ELNS1_3gpuE2ELNS1_3repE0EEENS1_36merge_oddeven_config_static_selectorELNS0_4arch9wavefront6targetE1EEEvSJ_
	.p2align	8
	.type	_ZN7rocprim17ROCPRIM_400000_NS6detail17trampoline_kernelINS0_14default_configENS1_38merge_sort_block_merge_config_selectorIttEEZZNS1_27merge_sort_block_merge_implIS3_N6thrust23THRUST_200600_302600_NS6detail15normal_iteratorINS8_10device_ptrItEEEESD_jNS1_19radix_merge_compareILb0ELb1EtNS0_19identity_decomposerEEEEE10hipError_tT0_T1_T2_jT3_P12ihipStream_tbPNSt15iterator_traitsISI_E10value_typeEPNSO_ISJ_E10value_typeEPSK_NS1_7vsmem_tEENKUlT_SI_SJ_SK_E_clISD_PtSD_S10_EESH_SX_SI_SJ_SK_EUlSX_E1_NS1_11comp_targetILNS1_3genE8ELNS1_11target_archE1030ELNS1_3gpuE2ELNS1_3repE0EEENS1_36merge_oddeven_config_static_selectorELNS0_4arch9wavefront6targetE1EEEvSJ_,@function
_ZN7rocprim17ROCPRIM_400000_NS6detail17trampoline_kernelINS0_14default_configENS1_38merge_sort_block_merge_config_selectorIttEEZZNS1_27merge_sort_block_merge_implIS3_N6thrust23THRUST_200600_302600_NS6detail15normal_iteratorINS8_10device_ptrItEEEESD_jNS1_19radix_merge_compareILb0ELb1EtNS0_19identity_decomposerEEEEE10hipError_tT0_T1_T2_jT3_P12ihipStream_tbPNSt15iterator_traitsISI_E10value_typeEPNSO_ISJ_E10value_typeEPSK_NS1_7vsmem_tEENKUlT_SI_SJ_SK_E_clISD_PtSD_S10_EESH_SX_SI_SJ_SK_EUlSX_E1_NS1_11comp_targetILNS1_3genE8ELNS1_11target_archE1030ELNS1_3gpuE2ELNS1_3repE0EEENS1_36merge_oddeven_config_static_selectorELNS0_4arch9wavefront6targetE1EEEvSJ_: ; @_ZN7rocprim17ROCPRIM_400000_NS6detail17trampoline_kernelINS0_14default_configENS1_38merge_sort_block_merge_config_selectorIttEEZZNS1_27merge_sort_block_merge_implIS3_N6thrust23THRUST_200600_302600_NS6detail15normal_iteratorINS8_10device_ptrItEEEESD_jNS1_19radix_merge_compareILb0ELb1EtNS0_19identity_decomposerEEEEE10hipError_tT0_T1_T2_jT3_P12ihipStream_tbPNSt15iterator_traitsISI_E10value_typeEPNSO_ISJ_E10value_typeEPSK_NS1_7vsmem_tEENKUlT_SI_SJ_SK_E_clISD_PtSD_S10_EESH_SX_SI_SJ_SK_EUlSX_E1_NS1_11comp_targetILNS1_3genE8ELNS1_11target_archE1030ELNS1_3gpuE2ELNS1_3repE0EEENS1_36merge_oddeven_config_static_selectorELNS0_4arch9wavefront6targetE1EEEvSJ_
; %bb.0:
	.section	.rodata,"a",@progbits
	.p2align	6, 0x0
	.amdhsa_kernel _ZN7rocprim17ROCPRIM_400000_NS6detail17trampoline_kernelINS0_14default_configENS1_38merge_sort_block_merge_config_selectorIttEEZZNS1_27merge_sort_block_merge_implIS3_N6thrust23THRUST_200600_302600_NS6detail15normal_iteratorINS8_10device_ptrItEEEESD_jNS1_19radix_merge_compareILb0ELb1EtNS0_19identity_decomposerEEEEE10hipError_tT0_T1_T2_jT3_P12ihipStream_tbPNSt15iterator_traitsISI_E10value_typeEPNSO_ISJ_E10value_typeEPSK_NS1_7vsmem_tEENKUlT_SI_SJ_SK_E_clISD_PtSD_S10_EESH_SX_SI_SJ_SK_EUlSX_E1_NS1_11comp_targetILNS1_3genE8ELNS1_11target_archE1030ELNS1_3gpuE2ELNS1_3repE0EEENS1_36merge_oddeven_config_static_selectorELNS0_4arch9wavefront6targetE1EEEvSJ_
		.amdhsa_group_segment_fixed_size 0
		.amdhsa_private_segment_fixed_size 0
		.amdhsa_kernarg_size 48
		.amdhsa_user_sgpr_count 2
		.amdhsa_user_sgpr_dispatch_ptr 0
		.amdhsa_user_sgpr_queue_ptr 0
		.amdhsa_user_sgpr_kernarg_segment_ptr 1
		.amdhsa_user_sgpr_dispatch_id 0
		.amdhsa_user_sgpr_kernarg_preload_length 0
		.amdhsa_user_sgpr_kernarg_preload_offset 0
		.amdhsa_user_sgpr_private_segment_size 0
		.amdhsa_uses_dynamic_stack 0
		.amdhsa_enable_private_segment 0
		.amdhsa_system_sgpr_workgroup_id_x 1
		.amdhsa_system_sgpr_workgroup_id_y 0
		.amdhsa_system_sgpr_workgroup_id_z 0
		.amdhsa_system_sgpr_workgroup_info 0
		.amdhsa_system_vgpr_workitem_id 0
		.amdhsa_next_free_vgpr 1
		.amdhsa_next_free_sgpr 0
		.amdhsa_accum_offset 4
		.amdhsa_reserve_vcc 0
		.amdhsa_float_round_mode_32 0
		.amdhsa_float_round_mode_16_64 0
		.amdhsa_float_denorm_mode_32 3
		.amdhsa_float_denorm_mode_16_64 3
		.amdhsa_dx10_clamp 1
		.amdhsa_ieee_mode 1
		.amdhsa_fp16_overflow 0
		.amdhsa_tg_split 0
		.amdhsa_exception_fp_ieee_invalid_op 0
		.amdhsa_exception_fp_denorm_src 0
		.amdhsa_exception_fp_ieee_div_zero 0
		.amdhsa_exception_fp_ieee_overflow 0
		.amdhsa_exception_fp_ieee_underflow 0
		.amdhsa_exception_fp_ieee_inexact 0
		.amdhsa_exception_int_div_zero 0
	.end_amdhsa_kernel
	.section	.text._ZN7rocprim17ROCPRIM_400000_NS6detail17trampoline_kernelINS0_14default_configENS1_38merge_sort_block_merge_config_selectorIttEEZZNS1_27merge_sort_block_merge_implIS3_N6thrust23THRUST_200600_302600_NS6detail15normal_iteratorINS8_10device_ptrItEEEESD_jNS1_19radix_merge_compareILb0ELb1EtNS0_19identity_decomposerEEEEE10hipError_tT0_T1_T2_jT3_P12ihipStream_tbPNSt15iterator_traitsISI_E10value_typeEPNSO_ISJ_E10value_typeEPSK_NS1_7vsmem_tEENKUlT_SI_SJ_SK_E_clISD_PtSD_S10_EESH_SX_SI_SJ_SK_EUlSX_E1_NS1_11comp_targetILNS1_3genE8ELNS1_11target_archE1030ELNS1_3gpuE2ELNS1_3repE0EEENS1_36merge_oddeven_config_static_selectorELNS0_4arch9wavefront6targetE1EEEvSJ_,"axG",@progbits,_ZN7rocprim17ROCPRIM_400000_NS6detail17trampoline_kernelINS0_14default_configENS1_38merge_sort_block_merge_config_selectorIttEEZZNS1_27merge_sort_block_merge_implIS3_N6thrust23THRUST_200600_302600_NS6detail15normal_iteratorINS8_10device_ptrItEEEESD_jNS1_19radix_merge_compareILb0ELb1EtNS0_19identity_decomposerEEEEE10hipError_tT0_T1_T2_jT3_P12ihipStream_tbPNSt15iterator_traitsISI_E10value_typeEPNSO_ISJ_E10value_typeEPSK_NS1_7vsmem_tEENKUlT_SI_SJ_SK_E_clISD_PtSD_S10_EESH_SX_SI_SJ_SK_EUlSX_E1_NS1_11comp_targetILNS1_3genE8ELNS1_11target_archE1030ELNS1_3gpuE2ELNS1_3repE0EEENS1_36merge_oddeven_config_static_selectorELNS0_4arch9wavefront6targetE1EEEvSJ_,comdat
.Lfunc_end946:
	.size	_ZN7rocprim17ROCPRIM_400000_NS6detail17trampoline_kernelINS0_14default_configENS1_38merge_sort_block_merge_config_selectorIttEEZZNS1_27merge_sort_block_merge_implIS3_N6thrust23THRUST_200600_302600_NS6detail15normal_iteratorINS8_10device_ptrItEEEESD_jNS1_19radix_merge_compareILb0ELb1EtNS0_19identity_decomposerEEEEE10hipError_tT0_T1_T2_jT3_P12ihipStream_tbPNSt15iterator_traitsISI_E10value_typeEPNSO_ISJ_E10value_typeEPSK_NS1_7vsmem_tEENKUlT_SI_SJ_SK_E_clISD_PtSD_S10_EESH_SX_SI_SJ_SK_EUlSX_E1_NS1_11comp_targetILNS1_3genE8ELNS1_11target_archE1030ELNS1_3gpuE2ELNS1_3repE0EEENS1_36merge_oddeven_config_static_selectorELNS0_4arch9wavefront6targetE1EEEvSJ_, .Lfunc_end946-_ZN7rocprim17ROCPRIM_400000_NS6detail17trampoline_kernelINS0_14default_configENS1_38merge_sort_block_merge_config_selectorIttEEZZNS1_27merge_sort_block_merge_implIS3_N6thrust23THRUST_200600_302600_NS6detail15normal_iteratorINS8_10device_ptrItEEEESD_jNS1_19radix_merge_compareILb0ELb1EtNS0_19identity_decomposerEEEEE10hipError_tT0_T1_T2_jT3_P12ihipStream_tbPNSt15iterator_traitsISI_E10value_typeEPNSO_ISJ_E10value_typeEPSK_NS1_7vsmem_tEENKUlT_SI_SJ_SK_E_clISD_PtSD_S10_EESH_SX_SI_SJ_SK_EUlSX_E1_NS1_11comp_targetILNS1_3genE8ELNS1_11target_archE1030ELNS1_3gpuE2ELNS1_3repE0EEENS1_36merge_oddeven_config_static_selectorELNS0_4arch9wavefront6targetE1EEEvSJ_
                                        ; -- End function
	.set _ZN7rocprim17ROCPRIM_400000_NS6detail17trampoline_kernelINS0_14default_configENS1_38merge_sort_block_merge_config_selectorIttEEZZNS1_27merge_sort_block_merge_implIS3_N6thrust23THRUST_200600_302600_NS6detail15normal_iteratorINS8_10device_ptrItEEEESD_jNS1_19radix_merge_compareILb0ELb1EtNS0_19identity_decomposerEEEEE10hipError_tT0_T1_T2_jT3_P12ihipStream_tbPNSt15iterator_traitsISI_E10value_typeEPNSO_ISJ_E10value_typeEPSK_NS1_7vsmem_tEENKUlT_SI_SJ_SK_E_clISD_PtSD_S10_EESH_SX_SI_SJ_SK_EUlSX_E1_NS1_11comp_targetILNS1_3genE8ELNS1_11target_archE1030ELNS1_3gpuE2ELNS1_3repE0EEENS1_36merge_oddeven_config_static_selectorELNS0_4arch9wavefront6targetE1EEEvSJ_.num_vgpr, 0
	.set _ZN7rocprim17ROCPRIM_400000_NS6detail17trampoline_kernelINS0_14default_configENS1_38merge_sort_block_merge_config_selectorIttEEZZNS1_27merge_sort_block_merge_implIS3_N6thrust23THRUST_200600_302600_NS6detail15normal_iteratorINS8_10device_ptrItEEEESD_jNS1_19radix_merge_compareILb0ELb1EtNS0_19identity_decomposerEEEEE10hipError_tT0_T1_T2_jT3_P12ihipStream_tbPNSt15iterator_traitsISI_E10value_typeEPNSO_ISJ_E10value_typeEPSK_NS1_7vsmem_tEENKUlT_SI_SJ_SK_E_clISD_PtSD_S10_EESH_SX_SI_SJ_SK_EUlSX_E1_NS1_11comp_targetILNS1_3genE8ELNS1_11target_archE1030ELNS1_3gpuE2ELNS1_3repE0EEENS1_36merge_oddeven_config_static_selectorELNS0_4arch9wavefront6targetE1EEEvSJ_.num_agpr, 0
	.set _ZN7rocprim17ROCPRIM_400000_NS6detail17trampoline_kernelINS0_14default_configENS1_38merge_sort_block_merge_config_selectorIttEEZZNS1_27merge_sort_block_merge_implIS3_N6thrust23THRUST_200600_302600_NS6detail15normal_iteratorINS8_10device_ptrItEEEESD_jNS1_19radix_merge_compareILb0ELb1EtNS0_19identity_decomposerEEEEE10hipError_tT0_T1_T2_jT3_P12ihipStream_tbPNSt15iterator_traitsISI_E10value_typeEPNSO_ISJ_E10value_typeEPSK_NS1_7vsmem_tEENKUlT_SI_SJ_SK_E_clISD_PtSD_S10_EESH_SX_SI_SJ_SK_EUlSX_E1_NS1_11comp_targetILNS1_3genE8ELNS1_11target_archE1030ELNS1_3gpuE2ELNS1_3repE0EEENS1_36merge_oddeven_config_static_selectorELNS0_4arch9wavefront6targetE1EEEvSJ_.numbered_sgpr, 0
	.set _ZN7rocprim17ROCPRIM_400000_NS6detail17trampoline_kernelINS0_14default_configENS1_38merge_sort_block_merge_config_selectorIttEEZZNS1_27merge_sort_block_merge_implIS3_N6thrust23THRUST_200600_302600_NS6detail15normal_iteratorINS8_10device_ptrItEEEESD_jNS1_19radix_merge_compareILb0ELb1EtNS0_19identity_decomposerEEEEE10hipError_tT0_T1_T2_jT3_P12ihipStream_tbPNSt15iterator_traitsISI_E10value_typeEPNSO_ISJ_E10value_typeEPSK_NS1_7vsmem_tEENKUlT_SI_SJ_SK_E_clISD_PtSD_S10_EESH_SX_SI_SJ_SK_EUlSX_E1_NS1_11comp_targetILNS1_3genE8ELNS1_11target_archE1030ELNS1_3gpuE2ELNS1_3repE0EEENS1_36merge_oddeven_config_static_selectorELNS0_4arch9wavefront6targetE1EEEvSJ_.num_named_barrier, 0
	.set _ZN7rocprim17ROCPRIM_400000_NS6detail17trampoline_kernelINS0_14default_configENS1_38merge_sort_block_merge_config_selectorIttEEZZNS1_27merge_sort_block_merge_implIS3_N6thrust23THRUST_200600_302600_NS6detail15normal_iteratorINS8_10device_ptrItEEEESD_jNS1_19radix_merge_compareILb0ELb1EtNS0_19identity_decomposerEEEEE10hipError_tT0_T1_T2_jT3_P12ihipStream_tbPNSt15iterator_traitsISI_E10value_typeEPNSO_ISJ_E10value_typeEPSK_NS1_7vsmem_tEENKUlT_SI_SJ_SK_E_clISD_PtSD_S10_EESH_SX_SI_SJ_SK_EUlSX_E1_NS1_11comp_targetILNS1_3genE8ELNS1_11target_archE1030ELNS1_3gpuE2ELNS1_3repE0EEENS1_36merge_oddeven_config_static_selectorELNS0_4arch9wavefront6targetE1EEEvSJ_.private_seg_size, 0
	.set _ZN7rocprim17ROCPRIM_400000_NS6detail17trampoline_kernelINS0_14default_configENS1_38merge_sort_block_merge_config_selectorIttEEZZNS1_27merge_sort_block_merge_implIS3_N6thrust23THRUST_200600_302600_NS6detail15normal_iteratorINS8_10device_ptrItEEEESD_jNS1_19radix_merge_compareILb0ELb1EtNS0_19identity_decomposerEEEEE10hipError_tT0_T1_T2_jT3_P12ihipStream_tbPNSt15iterator_traitsISI_E10value_typeEPNSO_ISJ_E10value_typeEPSK_NS1_7vsmem_tEENKUlT_SI_SJ_SK_E_clISD_PtSD_S10_EESH_SX_SI_SJ_SK_EUlSX_E1_NS1_11comp_targetILNS1_3genE8ELNS1_11target_archE1030ELNS1_3gpuE2ELNS1_3repE0EEENS1_36merge_oddeven_config_static_selectorELNS0_4arch9wavefront6targetE1EEEvSJ_.uses_vcc, 0
	.set _ZN7rocprim17ROCPRIM_400000_NS6detail17trampoline_kernelINS0_14default_configENS1_38merge_sort_block_merge_config_selectorIttEEZZNS1_27merge_sort_block_merge_implIS3_N6thrust23THRUST_200600_302600_NS6detail15normal_iteratorINS8_10device_ptrItEEEESD_jNS1_19radix_merge_compareILb0ELb1EtNS0_19identity_decomposerEEEEE10hipError_tT0_T1_T2_jT3_P12ihipStream_tbPNSt15iterator_traitsISI_E10value_typeEPNSO_ISJ_E10value_typeEPSK_NS1_7vsmem_tEENKUlT_SI_SJ_SK_E_clISD_PtSD_S10_EESH_SX_SI_SJ_SK_EUlSX_E1_NS1_11comp_targetILNS1_3genE8ELNS1_11target_archE1030ELNS1_3gpuE2ELNS1_3repE0EEENS1_36merge_oddeven_config_static_selectorELNS0_4arch9wavefront6targetE1EEEvSJ_.uses_flat_scratch, 0
	.set _ZN7rocprim17ROCPRIM_400000_NS6detail17trampoline_kernelINS0_14default_configENS1_38merge_sort_block_merge_config_selectorIttEEZZNS1_27merge_sort_block_merge_implIS3_N6thrust23THRUST_200600_302600_NS6detail15normal_iteratorINS8_10device_ptrItEEEESD_jNS1_19radix_merge_compareILb0ELb1EtNS0_19identity_decomposerEEEEE10hipError_tT0_T1_T2_jT3_P12ihipStream_tbPNSt15iterator_traitsISI_E10value_typeEPNSO_ISJ_E10value_typeEPSK_NS1_7vsmem_tEENKUlT_SI_SJ_SK_E_clISD_PtSD_S10_EESH_SX_SI_SJ_SK_EUlSX_E1_NS1_11comp_targetILNS1_3genE8ELNS1_11target_archE1030ELNS1_3gpuE2ELNS1_3repE0EEENS1_36merge_oddeven_config_static_selectorELNS0_4arch9wavefront6targetE1EEEvSJ_.has_dyn_sized_stack, 0
	.set _ZN7rocprim17ROCPRIM_400000_NS6detail17trampoline_kernelINS0_14default_configENS1_38merge_sort_block_merge_config_selectorIttEEZZNS1_27merge_sort_block_merge_implIS3_N6thrust23THRUST_200600_302600_NS6detail15normal_iteratorINS8_10device_ptrItEEEESD_jNS1_19radix_merge_compareILb0ELb1EtNS0_19identity_decomposerEEEEE10hipError_tT0_T1_T2_jT3_P12ihipStream_tbPNSt15iterator_traitsISI_E10value_typeEPNSO_ISJ_E10value_typeEPSK_NS1_7vsmem_tEENKUlT_SI_SJ_SK_E_clISD_PtSD_S10_EESH_SX_SI_SJ_SK_EUlSX_E1_NS1_11comp_targetILNS1_3genE8ELNS1_11target_archE1030ELNS1_3gpuE2ELNS1_3repE0EEENS1_36merge_oddeven_config_static_selectorELNS0_4arch9wavefront6targetE1EEEvSJ_.has_recursion, 0
	.set _ZN7rocprim17ROCPRIM_400000_NS6detail17trampoline_kernelINS0_14default_configENS1_38merge_sort_block_merge_config_selectorIttEEZZNS1_27merge_sort_block_merge_implIS3_N6thrust23THRUST_200600_302600_NS6detail15normal_iteratorINS8_10device_ptrItEEEESD_jNS1_19radix_merge_compareILb0ELb1EtNS0_19identity_decomposerEEEEE10hipError_tT0_T1_T2_jT3_P12ihipStream_tbPNSt15iterator_traitsISI_E10value_typeEPNSO_ISJ_E10value_typeEPSK_NS1_7vsmem_tEENKUlT_SI_SJ_SK_E_clISD_PtSD_S10_EESH_SX_SI_SJ_SK_EUlSX_E1_NS1_11comp_targetILNS1_3genE8ELNS1_11target_archE1030ELNS1_3gpuE2ELNS1_3repE0EEENS1_36merge_oddeven_config_static_selectorELNS0_4arch9wavefront6targetE1EEEvSJ_.has_indirect_call, 0
	.section	.AMDGPU.csdata,"",@progbits
; Kernel info:
; codeLenInByte = 0
; TotalNumSgprs: 6
; NumVgprs: 0
; NumAgprs: 0
; TotalNumVgprs: 0
; ScratchSize: 0
; MemoryBound: 0
; FloatMode: 240
; IeeeMode: 1
; LDSByteSize: 0 bytes/workgroup (compile time only)
; SGPRBlocks: 0
; VGPRBlocks: 0
; NumSGPRsForWavesPerEU: 6
; NumVGPRsForWavesPerEU: 1
; AccumOffset: 4
; Occupancy: 8
; WaveLimiterHint : 0
; COMPUTE_PGM_RSRC2:SCRATCH_EN: 0
; COMPUTE_PGM_RSRC2:USER_SGPR: 2
; COMPUTE_PGM_RSRC2:TRAP_HANDLER: 0
; COMPUTE_PGM_RSRC2:TGID_X_EN: 1
; COMPUTE_PGM_RSRC2:TGID_Y_EN: 0
; COMPUTE_PGM_RSRC2:TGID_Z_EN: 0
; COMPUTE_PGM_RSRC2:TIDIG_COMP_CNT: 0
; COMPUTE_PGM_RSRC3_GFX90A:ACCUM_OFFSET: 0
; COMPUTE_PGM_RSRC3_GFX90A:TG_SPLIT: 0
	.section	.text._ZN7rocprim17ROCPRIM_400000_NS6detail17trampoline_kernelINS0_14default_configENS1_35radix_sort_onesweep_config_selectorIttEEZNS1_34radix_sort_onesweep_global_offsetsIS3_Lb0EN6thrust23THRUST_200600_302600_NS6detail15normal_iteratorINS8_10device_ptrItEEEESD_jNS0_19identity_decomposerEEE10hipError_tT1_T2_PT3_SI_jT4_jjP12ihipStream_tbEUlT_E_NS1_11comp_targetILNS1_3genE0ELNS1_11target_archE4294967295ELNS1_3gpuE0ELNS1_3repE0EEENS1_52radix_sort_onesweep_histogram_config_static_selectorELNS0_4arch9wavefront6targetE1EEEvSG_,"axG",@progbits,_ZN7rocprim17ROCPRIM_400000_NS6detail17trampoline_kernelINS0_14default_configENS1_35radix_sort_onesweep_config_selectorIttEEZNS1_34radix_sort_onesweep_global_offsetsIS3_Lb0EN6thrust23THRUST_200600_302600_NS6detail15normal_iteratorINS8_10device_ptrItEEEESD_jNS0_19identity_decomposerEEE10hipError_tT1_T2_PT3_SI_jT4_jjP12ihipStream_tbEUlT_E_NS1_11comp_targetILNS1_3genE0ELNS1_11target_archE4294967295ELNS1_3gpuE0ELNS1_3repE0EEENS1_52radix_sort_onesweep_histogram_config_static_selectorELNS0_4arch9wavefront6targetE1EEEvSG_,comdat
	.protected	_ZN7rocprim17ROCPRIM_400000_NS6detail17trampoline_kernelINS0_14default_configENS1_35radix_sort_onesweep_config_selectorIttEEZNS1_34radix_sort_onesweep_global_offsetsIS3_Lb0EN6thrust23THRUST_200600_302600_NS6detail15normal_iteratorINS8_10device_ptrItEEEESD_jNS0_19identity_decomposerEEE10hipError_tT1_T2_PT3_SI_jT4_jjP12ihipStream_tbEUlT_E_NS1_11comp_targetILNS1_3genE0ELNS1_11target_archE4294967295ELNS1_3gpuE0ELNS1_3repE0EEENS1_52radix_sort_onesweep_histogram_config_static_selectorELNS0_4arch9wavefront6targetE1EEEvSG_ ; -- Begin function _ZN7rocprim17ROCPRIM_400000_NS6detail17trampoline_kernelINS0_14default_configENS1_35radix_sort_onesweep_config_selectorIttEEZNS1_34radix_sort_onesweep_global_offsetsIS3_Lb0EN6thrust23THRUST_200600_302600_NS6detail15normal_iteratorINS8_10device_ptrItEEEESD_jNS0_19identity_decomposerEEE10hipError_tT1_T2_PT3_SI_jT4_jjP12ihipStream_tbEUlT_E_NS1_11comp_targetILNS1_3genE0ELNS1_11target_archE4294967295ELNS1_3gpuE0ELNS1_3repE0EEENS1_52radix_sort_onesweep_histogram_config_static_selectorELNS0_4arch9wavefront6targetE1EEEvSG_
	.globl	_ZN7rocprim17ROCPRIM_400000_NS6detail17trampoline_kernelINS0_14default_configENS1_35radix_sort_onesweep_config_selectorIttEEZNS1_34radix_sort_onesweep_global_offsetsIS3_Lb0EN6thrust23THRUST_200600_302600_NS6detail15normal_iteratorINS8_10device_ptrItEEEESD_jNS0_19identity_decomposerEEE10hipError_tT1_T2_PT3_SI_jT4_jjP12ihipStream_tbEUlT_E_NS1_11comp_targetILNS1_3genE0ELNS1_11target_archE4294967295ELNS1_3gpuE0ELNS1_3repE0EEENS1_52radix_sort_onesweep_histogram_config_static_selectorELNS0_4arch9wavefront6targetE1EEEvSG_
	.p2align	8
	.type	_ZN7rocprim17ROCPRIM_400000_NS6detail17trampoline_kernelINS0_14default_configENS1_35radix_sort_onesweep_config_selectorIttEEZNS1_34radix_sort_onesweep_global_offsetsIS3_Lb0EN6thrust23THRUST_200600_302600_NS6detail15normal_iteratorINS8_10device_ptrItEEEESD_jNS0_19identity_decomposerEEE10hipError_tT1_T2_PT3_SI_jT4_jjP12ihipStream_tbEUlT_E_NS1_11comp_targetILNS1_3genE0ELNS1_11target_archE4294967295ELNS1_3gpuE0ELNS1_3repE0EEENS1_52radix_sort_onesweep_histogram_config_static_selectorELNS0_4arch9wavefront6targetE1EEEvSG_,@function
_ZN7rocprim17ROCPRIM_400000_NS6detail17trampoline_kernelINS0_14default_configENS1_35radix_sort_onesweep_config_selectorIttEEZNS1_34radix_sort_onesweep_global_offsetsIS3_Lb0EN6thrust23THRUST_200600_302600_NS6detail15normal_iteratorINS8_10device_ptrItEEEESD_jNS0_19identity_decomposerEEE10hipError_tT1_T2_PT3_SI_jT4_jjP12ihipStream_tbEUlT_E_NS1_11comp_targetILNS1_3genE0ELNS1_11target_archE4294967295ELNS1_3gpuE0ELNS1_3repE0EEENS1_52radix_sort_onesweep_histogram_config_static_selectorELNS0_4arch9wavefront6targetE1EEEvSG_: ; @_ZN7rocprim17ROCPRIM_400000_NS6detail17trampoline_kernelINS0_14default_configENS1_35radix_sort_onesweep_config_selectorIttEEZNS1_34radix_sort_onesweep_global_offsetsIS3_Lb0EN6thrust23THRUST_200600_302600_NS6detail15normal_iteratorINS8_10device_ptrItEEEESD_jNS0_19identity_decomposerEEE10hipError_tT1_T2_PT3_SI_jT4_jjP12ihipStream_tbEUlT_E_NS1_11comp_targetILNS1_3genE0ELNS1_11target_archE4294967295ELNS1_3gpuE0ELNS1_3repE0EEENS1_52radix_sort_onesweep_histogram_config_static_selectorELNS0_4arch9wavefront6targetE1EEEvSG_
; %bb.0:
	.section	.rodata,"a",@progbits
	.p2align	6, 0x0
	.amdhsa_kernel _ZN7rocprim17ROCPRIM_400000_NS6detail17trampoline_kernelINS0_14default_configENS1_35radix_sort_onesweep_config_selectorIttEEZNS1_34radix_sort_onesweep_global_offsetsIS3_Lb0EN6thrust23THRUST_200600_302600_NS6detail15normal_iteratorINS8_10device_ptrItEEEESD_jNS0_19identity_decomposerEEE10hipError_tT1_T2_PT3_SI_jT4_jjP12ihipStream_tbEUlT_E_NS1_11comp_targetILNS1_3genE0ELNS1_11target_archE4294967295ELNS1_3gpuE0ELNS1_3repE0EEENS1_52radix_sort_onesweep_histogram_config_static_selectorELNS0_4arch9wavefront6targetE1EEEvSG_
		.amdhsa_group_segment_fixed_size 0
		.amdhsa_private_segment_fixed_size 0
		.amdhsa_kernarg_size 40
		.amdhsa_user_sgpr_count 2
		.amdhsa_user_sgpr_dispatch_ptr 0
		.amdhsa_user_sgpr_queue_ptr 0
		.amdhsa_user_sgpr_kernarg_segment_ptr 1
		.amdhsa_user_sgpr_dispatch_id 0
		.amdhsa_user_sgpr_kernarg_preload_length 0
		.amdhsa_user_sgpr_kernarg_preload_offset 0
		.amdhsa_user_sgpr_private_segment_size 0
		.amdhsa_uses_dynamic_stack 0
		.amdhsa_enable_private_segment 0
		.amdhsa_system_sgpr_workgroup_id_x 1
		.amdhsa_system_sgpr_workgroup_id_y 0
		.amdhsa_system_sgpr_workgroup_id_z 0
		.amdhsa_system_sgpr_workgroup_info 0
		.amdhsa_system_vgpr_workitem_id 0
		.amdhsa_next_free_vgpr 1
		.amdhsa_next_free_sgpr 0
		.amdhsa_accum_offset 4
		.amdhsa_reserve_vcc 0
		.amdhsa_float_round_mode_32 0
		.amdhsa_float_round_mode_16_64 0
		.amdhsa_float_denorm_mode_32 3
		.amdhsa_float_denorm_mode_16_64 3
		.amdhsa_dx10_clamp 1
		.amdhsa_ieee_mode 1
		.amdhsa_fp16_overflow 0
		.amdhsa_tg_split 0
		.amdhsa_exception_fp_ieee_invalid_op 0
		.amdhsa_exception_fp_denorm_src 0
		.amdhsa_exception_fp_ieee_div_zero 0
		.amdhsa_exception_fp_ieee_overflow 0
		.amdhsa_exception_fp_ieee_underflow 0
		.amdhsa_exception_fp_ieee_inexact 0
		.amdhsa_exception_int_div_zero 0
	.end_amdhsa_kernel
	.section	.text._ZN7rocprim17ROCPRIM_400000_NS6detail17trampoline_kernelINS0_14default_configENS1_35radix_sort_onesweep_config_selectorIttEEZNS1_34radix_sort_onesweep_global_offsetsIS3_Lb0EN6thrust23THRUST_200600_302600_NS6detail15normal_iteratorINS8_10device_ptrItEEEESD_jNS0_19identity_decomposerEEE10hipError_tT1_T2_PT3_SI_jT4_jjP12ihipStream_tbEUlT_E_NS1_11comp_targetILNS1_3genE0ELNS1_11target_archE4294967295ELNS1_3gpuE0ELNS1_3repE0EEENS1_52radix_sort_onesweep_histogram_config_static_selectorELNS0_4arch9wavefront6targetE1EEEvSG_,"axG",@progbits,_ZN7rocprim17ROCPRIM_400000_NS6detail17trampoline_kernelINS0_14default_configENS1_35radix_sort_onesweep_config_selectorIttEEZNS1_34radix_sort_onesweep_global_offsetsIS3_Lb0EN6thrust23THRUST_200600_302600_NS6detail15normal_iteratorINS8_10device_ptrItEEEESD_jNS0_19identity_decomposerEEE10hipError_tT1_T2_PT3_SI_jT4_jjP12ihipStream_tbEUlT_E_NS1_11comp_targetILNS1_3genE0ELNS1_11target_archE4294967295ELNS1_3gpuE0ELNS1_3repE0EEENS1_52radix_sort_onesweep_histogram_config_static_selectorELNS0_4arch9wavefront6targetE1EEEvSG_,comdat
.Lfunc_end947:
	.size	_ZN7rocprim17ROCPRIM_400000_NS6detail17trampoline_kernelINS0_14default_configENS1_35radix_sort_onesweep_config_selectorIttEEZNS1_34radix_sort_onesweep_global_offsetsIS3_Lb0EN6thrust23THRUST_200600_302600_NS6detail15normal_iteratorINS8_10device_ptrItEEEESD_jNS0_19identity_decomposerEEE10hipError_tT1_T2_PT3_SI_jT4_jjP12ihipStream_tbEUlT_E_NS1_11comp_targetILNS1_3genE0ELNS1_11target_archE4294967295ELNS1_3gpuE0ELNS1_3repE0EEENS1_52radix_sort_onesweep_histogram_config_static_selectorELNS0_4arch9wavefront6targetE1EEEvSG_, .Lfunc_end947-_ZN7rocprim17ROCPRIM_400000_NS6detail17trampoline_kernelINS0_14default_configENS1_35radix_sort_onesweep_config_selectorIttEEZNS1_34radix_sort_onesweep_global_offsetsIS3_Lb0EN6thrust23THRUST_200600_302600_NS6detail15normal_iteratorINS8_10device_ptrItEEEESD_jNS0_19identity_decomposerEEE10hipError_tT1_T2_PT3_SI_jT4_jjP12ihipStream_tbEUlT_E_NS1_11comp_targetILNS1_3genE0ELNS1_11target_archE4294967295ELNS1_3gpuE0ELNS1_3repE0EEENS1_52radix_sort_onesweep_histogram_config_static_selectorELNS0_4arch9wavefront6targetE1EEEvSG_
                                        ; -- End function
	.set _ZN7rocprim17ROCPRIM_400000_NS6detail17trampoline_kernelINS0_14default_configENS1_35radix_sort_onesweep_config_selectorIttEEZNS1_34radix_sort_onesweep_global_offsetsIS3_Lb0EN6thrust23THRUST_200600_302600_NS6detail15normal_iteratorINS8_10device_ptrItEEEESD_jNS0_19identity_decomposerEEE10hipError_tT1_T2_PT3_SI_jT4_jjP12ihipStream_tbEUlT_E_NS1_11comp_targetILNS1_3genE0ELNS1_11target_archE4294967295ELNS1_3gpuE0ELNS1_3repE0EEENS1_52radix_sort_onesweep_histogram_config_static_selectorELNS0_4arch9wavefront6targetE1EEEvSG_.num_vgpr, 0
	.set _ZN7rocprim17ROCPRIM_400000_NS6detail17trampoline_kernelINS0_14default_configENS1_35radix_sort_onesweep_config_selectorIttEEZNS1_34radix_sort_onesweep_global_offsetsIS3_Lb0EN6thrust23THRUST_200600_302600_NS6detail15normal_iteratorINS8_10device_ptrItEEEESD_jNS0_19identity_decomposerEEE10hipError_tT1_T2_PT3_SI_jT4_jjP12ihipStream_tbEUlT_E_NS1_11comp_targetILNS1_3genE0ELNS1_11target_archE4294967295ELNS1_3gpuE0ELNS1_3repE0EEENS1_52radix_sort_onesweep_histogram_config_static_selectorELNS0_4arch9wavefront6targetE1EEEvSG_.num_agpr, 0
	.set _ZN7rocprim17ROCPRIM_400000_NS6detail17trampoline_kernelINS0_14default_configENS1_35radix_sort_onesweep_config_selectorIttEEZNS1_34radix_sort_onesweep_global_offsetsIS3_Lb0EN6thrust23THRUST_200600_302600_NS6detail15normal_iteratorINS8_10device_ptrItEEEESD_jNS0_19identity_decomposerEEE10hipError_tT1_T2_PT3_SI_jT4_jjP12ihipStream_tbEUlT_E_NS1_11comp_targetILNS1_3genE0ELNS1_11target_archE4294967295ELNS1_3gpuE0ELNS1_3repE0EEENS1_52radix_sort_onesweep_histogram_config_static_selectorELNS0_4arch9wavefront6targetE1EEEvSG_.numbered_sgpr, 0
	.set _ZN7rocprim17ROCPRIM_400000_NS6detail17trampoline_kernelINS0_14default_configENS1_35radix_sort_onesweep_config_selectorIttEEZNS1_34radix_sort_onesweep_global_offsetsIS3_Lb0EN6thrust23THRUST_200600_302600_NS6detail15normal_iteratorINS8_10device_ptrItEEEESD_jNS0_19identity_decomposerEEE10hipError_tT1_T2_PT3_SI_jT4_jjP12ihipStream_tbEUlT_E_NS1_11comp_targetILNS1_3genE0ELNS1_11target_archE4294967295ELNS1_3gpuE0ELNS1_3repE0EEENS1_52radix_sort_onesweep_histogram_config_static_selectorELNS0_4arch9wavefront6targetE1EEEvSG_.num_named_barrier, 0
	.set _ZN7rocprim17ROCPRIM_400000_NS6detail17trampoline_kernelINS0_14default_configENS1_35radix_sort_onesweep_config_selectorIttEEZNS1_34radix_sort_onesweep_global_offsetsIS3_Lb0EN6thrust23THRUST_200600_302600_NS6detail15normal_iteratorINS8_10device_ptrItEEEESD_jNS0_19identity_decomposerEEE10hipError_tT1_T2_PT3_SI_jT4_jjP12ihipStream_tbEUlT_E_NS1_11comp_targetILNS1_3genE0ELNS1_11target_archE4294967295ELNS1_3gpuE0ELNS1_3repE0EEENS1_52radix_sort_onesweep_histogram_config_static_selectorELNS0_4arch9wavefront6targetE1EEEvSG_.private_seg_size, 0
	.set _ZN7rocprim17ROCPRIM_400000_NS6detail17trampoline_kernelINS0_14default_configENS1_35radix_sort_onesweep_config_selectorIttEEZNS1_34radix_sort_onesweep_global_offsetsIS3_Lb0EN6thrust23THRUST_200600_302600_NS6detail15normal_iteratorINS8_10device_ptrItEEEESD_jNS0_19identity_decomposerEEE10hipError_tT1_T2_PT3_SI_jT4_jjP12ihipStream_tbEUlT_E_NS1_11comp_targetILNS1_3genE0ELNS1_11target_archE4294967295ELNS1_3gpuE0ELNS1_3repE0EEENS1_52radix_sort_onesweep_histogram_config_static_selectorELNS0_4arch9wavefront6targetE1EEEvSG_.uses_vcc, 0
	.set _ZN7rocprim17ROCPRIM_400000_NS6detail17trampoline_kernelINS0_14default_configENS1_35radix_sort_onesweep_config_selectorIttEEZNS1_34radix_sort_onesweep_global_offsetsIS3_Lb0EN6thrust23THRUST_200600_302600_NS6detail15normal_iteratorINS8_10device_ptrItEEEESD_jNS0_19identity_decomposerEEE10hipError_tT1_T2_PT3_SI_jT4_jjP12ihipStream_tbEUlT_E_NS1_11comp_targetILNS1_3genE0ELNS1_11target_archE4294967295ELNS1_3gpuE0ELNS1_3repE0EEENS1_52radix_sort_onesweep_histogram_config_static_selectorELNS0_4arch9wavefront6targetE1EEEvSG_.uses_flat_scratch, 0
	.set _ZN7rocprim17ROCPRIM_400000_NS6detail17trampoline_kernelINS0_14default_configENS1_35radix_sort_onesweep_config_selectorIttEEZNS1_34radix_sort_onesweep_global_offsetsIS3_Lb0EN6thrust23THRUST_200600_302600_NS6detail15normal_iteratorINS8_10device_ptrItEEEESD_jNS0_19identity_decomposerEEE10hipError_tT1_T2_PT3_SI_jT4_jjP12ihipStream_tbEUlT_E_NS1_11comp_targetILNS1_3genE0ELNS1_11target_archE4294967295ELNS1_3gpuE0ELNS1_3repE0EEENS1_52radix_sort_onesweep_histogram_config_static_selectorELNS0_4arch9wavefront6targetE1EEEvSG_.has_dyn_sized_stack, 0
	.set _ZN7rocprim17ROCPRIM_400000_NS6detail17trampoline_kernelINS0_14default_configENS1_35radix_sort_onesweep_config_selectorIttEEZNS1_34radix_sort_onesweep_global_offsetsIS3_Lb0EN6thrust23THRUST_200600_302600_NS6detail15normal_iteratorINS8_10device_ptrItEEEESD_jNS0_19identity_decomposerEEE10hipError_tT1_T2_PT3_SI_jT4_jjP12ihipStream_tbEUlT_E_NS1_11comp_targetILNS1_3genE0ELNS1_11target_archE4294967295ELNS1_3gpuE0ELNS1_3repE0EEENS1_52radix_sort_onesweep_histogram_config_static_selectorELNS0_4arch9wavefront6targetE1EEEvSG_.has_recursion, 0
	.set _ZN7rocprim17ROCPRIM_400000_NS6detail17trampoline_kernelINS0_14default_configENS1_35radix_sort_onesweep_config_selectorIttEEZNS1_34radix_sort_onesweep_global_offsetsIS3_Lb0EN6thrust23THRUST_200600_302600_NS6detail15normal_iteratorINS8_10device_ptrItEEEESD_jNS0_19identity_decomposerEEE10hipError_tT1_T2_PT3_SI_jT4_jjP12ihipStream_tbEUlT_E_NS1_11comp_targetILNS1_3genE0ELNS1_11target_archE4294967295ELNS1_3gpuE0ELNS1_3repE0EEENS1_52radix_sort_onesweep_histogram_config_static_selectorELNS0_4arch9wavefront6targetE1EEEvSG_.has_indirect_call, 0
	.section	.AMDGPU.csdata,"",@progbits
; Kernel info:
; codeLenInByte = 0
; TotalNumSgprs: 6
; NumVgprs: 0
; NumAgprs: 0
; TotalNumVgprs: 0
; ScratchSize: 0
; MemoryBound: 0
; FloatMode: 240
; IeeeMode: 1
; LDSByteSize: 0 bytes/workgroup (compile time only)
; SGPRBlocks: 0
; VGPRBlocks: 0
; NumSGPRsForWavesPerEU: 6
; NumVGPRsForWavesPerEU: 1
; AccumOffset: 4
; Occupancy: 8
; WaveLimiterHint : 0
; COMPUTE_PGM_RSRC2:SCRATCH_EN: 0
; COMPUTE_PGM_RSRC2:USER_SGPR: 2
; COMPUTE_PGM_RSRC2:TRAP_HANDLER: 0
; COMPUTE_PGM_RSRC2:TGID_X_EN: 1
; COMPUTE_PGM_RSRC2:TGID_Y_EN: 0
; COMPUTE_PGM_RSRC2:TGID_Z_EN: 0
; COMPUTE_PGM_RSRC2:TIDIG_COMP_CNT: 0
; COMPUTE_PGM_RSRC3_GFX90A:ACCUM_OFFSET: 0
; COMPUTE_PGM_RSRC3_GFX90A:TG_SPLIT: 0
	.section	.text._ZN7rocprim17ROCPRIM_400000_NS6detail17trampoline_kernelINS0_14default_configENS1_35radix_sort_onesweep_config_selectorIttEEZNS1_34radix_sort_onesweep_global_offsetsIS3_Lb0EN6thrust23THRUST_200600_302600_NS6detail15normal_iteratorINS8_10device_ptrItEEEESD_jNS0_19identity_decomposerEEE10hipError_tT1_T2_PT3_SI_jT4_jjP12ihipStream_tbEUlT_E_NS1_11comp_targetILNS1_3genE6ELNS1_11target_archE950ELNS1_3gpuE13ELNS1_3repE0EEENS1_52radix_sort_onesweep_histogram_config_static_selectorELNS0_4arch9wavefront6targetE1EEEvSG_,"axG",@progbits,_ZN7rocprim17ROCPRIM_400000_NS6detail17trampoline_kernelINS0_14default_configENS1_35radix_sort_onesweep_config_selectorIttEEZNS1_34radix_sort_onesweep_global_offsetsIS3_Lb0EN6thrust23THRUST_200600_302600_NS6detail15normal_iteratorINS8_10device_ptrItEEEESD_jNS0_19identity_decomposerEEE10hipError_tT1_T2_PT3_SI_jT4_jjP12ihipStream_tbEUlT_E_NS1_11comp_targetILNS1_3genE6ELNS1_11target_archE950ELNS1_3gpuE13ELNS1_3repE0EEENS1_52radix_sort_onesweep_histogram_config_static_selectorELNS0_4arch9wavefront6targetE1EEEvSG_,comdat
	.protected	_ZN7rocprim17ROCPRIM_400000_NS6detail17trampoline_kernelINS0_14default_configENS1_35radix_sort_onesweep_config_selectorIttEEZNS1_34radix_sort_onesweep_global_offsetsIS3_Lb0EN6thrust23THRUST_200600_302600_NS6detail15normal_iteratorINS8_10device_ptrItEEEESD_jNS0_19identity_decomposerEEE10hipError_tT1_T2_PT3_SI_jT4_jjP12ihipStream_tbEUlT_E_NS1_11comp_targetILNS1_3genE6ELNS1_11target_archE950ELNS1_3gpuE13ELNS1_3repE0EEENS1_52radix_sort_onesweep_histogram_config_static_selectorELNS0_4arch9wavefront6targetE1EEEvSG_ ; -- Begin function _ZN7rocprim17ROCPRIM_400000_NS6detail17trampoline_kernelINS0_14default_configENS1_35radix_sort_onesweep_config_selectorIttEEZNS1_34radix_sort_onesweep_global_offsetsIS3_Lb0EN6thrust23THRUST_200600_302600_NS6detail15normal_iteratorINS8_10device_ptrItEEEESD_jNS0_19identity_decomposerEEE10hipError_tT1_T2_PT3_SI_jT4_jjP12ihipStream_tbEUlT_E_NS1_11comp_targetILNS1_3genE6ELNS1_11target_archE950ELNS1_3gpuE13ELNS1_3repE0EEENS1_52radix_sort_onesweep_histogram_config_static_selectorELNS0_4arch9wavefront6targetE1EEEvSG_
	.globl	_ZN7rocprim17ROCPRIM_400000_NS6detail17trampoline_kernelINS0_14default_configENS1_35radix_sort_onesweep_config_selectorIttEEZNS1_34radix_sort_onesweep_global_offsetsIS3_Lb0EN6thrust23THRUST_200600_302600_NS6detail15normal_iteratorINS8_10device_ptrItEEEESD_jNS0_19identity_decomposerEEE10hipError_tT1_T2_PT3_SI_jT4_jjP12ihipStream_tbEUlT_E_NS1_11comp_targetILNS1_3genE6ELNS1_11target_archE950ELNS1_3gpuE13ELNS1_3repE0EEENS1_52radix_sort_onesweep_histogram_config_static_selectorELNS0_4arch9wavefront6targetE1EEEvSG_
	.p2align	8
	.type	_ZN7rocprim17ROCPRIM_400000_NS6detail17trampoline_kernelINS0_14default_configENS1_35radix_sort_onesweep_config_selectorIttEEZNS1_34radix_sort_onesweep_global_offsetsIS3_Lb0EN6thrust23THRUST_200600_302600_NS6detail15normal_iteratorINS8_10device_ptrItEEEESD_jNS0_19identity_decomposerEEE10hipError_tT1_T2_PT3_SI_jT4_jjP12ihipStream_tbEUlT_E_NS1_11comp_targetILNS1_3genE6ELNS1_11target_archE950ELNS1_3gpuE13ELNS1_3repE0EEENS1_52radix_sort_onesweep_histogram_config_static_selectorELNS0_4arch9wavefront6targetE1EEEvSG_,@function
_ZN7rocprim17ROCPRIM_400000_NS6detail17trampoline_kernelINS0_14default_configENS1_35radix_sort_onesweep_config_selectorIttEEZNS1_34radix_sort_onesweep_global_offsetsIS3_Lb0EN6thrust23THRUST_200600_302600_NS6detail15normal_iteratorINS8_10device_ptrItEEEESD_jNS0_19identity_decomposerEEE10hipError_tT1_T2_PT3_SI_jT4_jjP12ihipStream_tbEUlT_E_NS1_11comp_targetILNS1_3genE6ELNS1_11target_archE950ELNS1_3gpuE13ELNS1_3repE0EEENS1_52radix_sort_onesweep_histogram_config_static_selectorELNS0_4arch9wavefront6targetE1EEEvSG_: ; @_ZN7rocprim17ROCPRIM_400000_NS6detail17trampoline_kernelINS0_14default_configENS1_35radix_sort_onesweep_config_selectorIttEEZNS1_34radix_sort_onesweep_global_offsetsIS3_Lb0EN6thrust23THRUST_200600_302600_NS6detail15normal_iteratorINS8_10device_ptrItEEEESD_jNS0_19identity_decomposerEEE10hipError_tT1_T2_PT3_SI_jT4_jjP12ihipStream_tbEUlT_E_NS1_11comp_targetILNS1_3genE6ELNS1_11target_archE950ELNS1_3gpuE13ELNS1_3repE0EEENS1_52radix_sort_onesweep_histogram_config_static_selectorELNS0_4arch9wavefront6targetE1EEEvSG_
; %bb.0:
	s_load_dword s11, s[0:1], 0x14
	s_load_dwordx4 s[4:7], s[0:1], 0x0
	s_load_dwordx2 s[8:9], s[0:1], 0x1c
	s_lshl_b32 s10, s2, 14
	s_waitcnt lgkmcnt(0)
	s_cmp_ge_u32 s2, s11
	s_mov_b64 s[2:3], -1
	s_cbranch_scc0 .LBB948_462
; %bb.1:
	s_load_dword s2, s[0:1], 0x10
	s_lshl_b32 s3, s11, 14
	s_mov_b32 s11, 0
	s_lshl_b64 s[0:1], s[10:11], 1
	v_mov_b32_e32 v62, 0
	s_waitcnt lgkmcnt(0)
	s_sub_i32 s11, s2, s3
	s_add_u32 s0, s4, s0
	v_cmp_gt_u32_e32 vcc, s11, v0
	s_addc_u32 s1, s5, s1
	v_mov_b32_e32 v64, 0
	s_and_saveexec_b64 s[2:3], vcc
	s_cbranch_execz .LBB948_3
; %bb.2:
	v_lshlrev_b32_e32 v1, 1, v0
	global_load_ushort v64, v1, s[0:1]
.LBB948_3:
	s_or_b64 exec, exec, s[2:3]
	v_or_b32_e32 v65, 0x200, v0
	v_cmp_gt_u32_e32 vcc, s11, v65
	s_and_saveexec_b64 s[2:3], vcc
	s_cbranch_execz .LBB948_5
; %bb.4:
	v_lshlrev_b32_e32 v1, 1, v0
	global_load_ushort v62, v1, s[0:1] offset:1024
.LBB948_5:
	s_or_b64 exec, exec, s[2:3]
	v_or_b32_e32 v63, 0x400, v0
	v_cmp_gt_u32_e32 vcc, s11, v63
	v_mov_b32_e32 v58, 0
	v_mov_b32_e32 v61, 0
	s_and_saveexec_b64 s[2:3], vcc
	s_cbranch_execz .LBB948_7
; %bb.6:
	v_lshlrev_b32_e32 v1, 1, v0
	global_load_ushort v61, v1, s[0:1] offset:2048
.LBB948_7:
	s_or_b64 exec, exec, s[2:3]
	v_or_b32_e32 v60, 0x600, v0
	v_cmp_gt_u32_e32 vcc, s11, v60
	s_and_saveexec_b64 s[2:3], vcc
	s_cbranch_execz .LBB948_9
; %bb.8:
	v_lshlrev_b32_e32 v1, 1, v0
	global_load_ushort v58, v1, s[0:1] offset:3072
.LBB948_9:
	s_or_b64 exec, exec, s[2:3]
	v_or_b32_e32 v59, 0x800, v0
	v_cmp_gt_u32_e32 vcc, s11, v59
	v_mov_b32_e32 v54, 0
	v_mov_b32_e32 v57, 0
	s_and_saveexec_b64 s[2:3], vcc
	s_cbranch_execz .LBB948_11
; %bb.10:
	v_lshlrev_b32_e32 v1, 1, v59
	global_load_ushort v57, v1, s[0:1]
.LBB948_11:
	s_or_b64 exec, exec, s[2:3]
	v_or_b32_e32 v56, 0xa00, v0
	v_cmp_gt_u32_e32 vcc, s11, v56
	s_and_saveexec_b64 s[2:3], vcc
	s_cbranch_execz .LBB948_13
; %bb.12:
	v_lshlrev_b32_e32 v1, 1, v56
	global_load_ushort v54, v1, s[0:1]
.LBB948_13:
	s_or_b64 exec, exec, s[2:3]
	v_or_b32_e32 v55, 0xc00, v0
	v_cmp_gt_u32_e32 vcc, s11, v55
	v_mov_b32_e32 v50, 0
	v_mov_b32_e32 v53, 0
	s_and_saveexec_b64 s[2:3], vcc
	s_cbranch_execz .LBB948_15
; %bb.14:
	v_lshlrev_b32_e32 v1, 1, v55
	global_load_ushort v53, v1, s[0:1]
.LBB948_15:
	s_or_b64 exec, exec, s[2:3]
	v_or_b32_e32 v52, 0xe00, v0
	v_cmp_gt_u32_e32 vcc, s11, v52
	s_and_saveexec_b64 s[2:3], vcc
	s_cbranch_execz .LBB948_17
; %bb.16:
	v_lshlrev_b32_e32 v1, 1, v52
	global_load_ushort v50, v1, s[0:1]
.LBB948_17:
	;; [unrolled: 20-line block ×14, first 2 shown]
	s_or_b64 exec, exec, s[2:3]
	s_movk_i32 s0, 0x300
	v_cmp_gt_u32_e32 vcc, s0, v0
	s_and_saveexec_b64 s[2:3], vcc
	s_cbranch_execz .LBB948_72
; %bb.66:
	s_movk_i32 s0, 0x100
	v_sub_u32_e64 v1, s0, v0 clamp
	v_add_u32_e32 v1, 0x1ff, v1
	v_lshrrev_b32_e32 v2, 9, v1
	s_mov_b32 s12, 0
	v_mov_b32_e32 v1, v2
	v_lshlrev_b32_e32 v66, 2, v0
	s_mov_b32 s13, 1
	s_mov_b64 s[14:15], 0
	v_mov_b32_e32 v67, 0
	s_mov_b32 s16, s12
	s_branch .LBB948_68
.LBB948_67:                             ;   in Loop: Header=BB948_68 Depth=1
	s_or_b64 exec, exec, s[0:1]
	s_add_i32 s16, s16, 2
	v_cmp_eq_u32_e64 s[0:1], 2, s16
	s_or_b64 s[14:15], s[0:1], s[14:15]
	v_add_u32_e32 v66, 0x1000, v66
	s_andn2_b64 exec, exec, s[14:15]
	s_cbranch_execz .LBB948_72
.LBB948_68:                             ; =>This Inner Loop Header: Depth=1
	s_mov_b32 s17, s16
	s_or_b64 s[0:1], s[16:17], s[12:13]
	v_cmp_le_u32_e32 vcc, s1, v1
	v_cmp_le_u32_e64 s[0:1], s0, v2
	s_and_saveexec_b64 s[18:19], s[0:1]
; %bb.69:                               ;   in Loop: Header=BB948_68 Depth=1
	ds_write_b32 v66, v67
; %bb.70:                               ;   in Loop: Header=BB948_68 Depth=1
	s_or_b64 exec, exec, s[18:19]
	s_and_saveexec_b64 s[0:1], vcc
	s_cbranch_execz .LBB948_67
; %bb.71:                               ;   in Loop: Header=BB948_68 Depth=1
	ds_write_b32 v66, v67 offset:2048
	s_branch .LBB948_67
.LBB948_72:
	s_or_b64 exec, exec, s[2:3]
	s_cmp_ge_u32 s8, s9
	s_cselect_b64 s[2:3], -1, 0
	s_and_b64 s[0:1], s[2:3], exec
	v_cmp_le_u32_e32 vcc, s11, v0
	s_cselect_b32 s18, 8, 10
	v_and_b32_e32 v1, 3, v0
	s_nor_b64 s[12:13], s[2:3], vcc
	v_mov_b32_e32 v2, s18
	s_waitcnt lgkmcnt(0)
	s_barrier
	s_and_saveexec_b64 s[0:1], s[12:13]
	s_cbranch_execz .LBB948_74
; %bb.73:
	s_sub_i32 s12, s9, s8
	s_min_u32 s12, s12, 6
	s_waitcnt vmcnt(0)
	v_lshrrev_b32_e32 v2, s8, v64
	v_bfe_u32 v2, v2, 0, s12
	v_lshlrev_b32_e32 v66, 2, v1
	v_lshl_or_b32 v2, v2, 4, v66
	v_mov_b32_e32 v66, 1
	ds_add_u32 v2, v66
	v_mov_b32_e32 v2, 0
.LBB948_74:
	s_or_b64 exec, exec, s[0:1]
	v_cmp_gt_i32_e64 s[0:1], 10, v2
	s_mov_b64 s[14:15], -1
	s_and_saveexec_b64 s[12:13], s[0:1]
; %bb.75:
	v_cmp_eq_u32_e64 s[0:1], 0, v2
	s_orn2_b64 s[14:15], s[0:1], exec
; %bb.76:
	s_or_b64 exec, exec, s[12:13]
	s_and_saveexec_b64 s[12:13], s[14:15]
	s_cbranch_execz .LBB948_84
; %bb.77:
	s_add_i32 s14, s8, 6
	s_cmp_le_u32 s9, s14
	s_cselect_b64 s[0:1], -1, 0
	s_and_b64 s[16:17], s[0:1], exec
	s_cselect_b32 s15, 8, 10
	s_nor_b64 s[16:17], s[0:1], vcc
	v_mov_b32_e32 v2, s15
	s_and_saveexec_b64 s[0:1], s[16:17]
	s_cbranch_execz .LBB948_79
; %bb.78:
	s_sub_i32 s15, s9, s14
	s_min_u32 s15, s15, 6
	s_waitcnt vmcnt(0)
	v_lshrrev_b32_e32 v2, s14, v64
	v_bfe_u32 v2, v2, 0, s15
	v_lshlrev_b32_e32 v66, 2, v1
	v_lshl_or_b32 v2, v2, 4, v66
	v_mov_b32_e32 v66, 1
	ds_add_u32 v2, v66 offset:1024
	v_mov_b32_e32 v2, 0
.LBB948_79:
	s_or_b64 exec, exec, s[0:1]
	v_cmp_gt_i32_e64 s[0:1], 10, v2
	s_mov_b64 s[14:15], -1
	s_and_saveexec_b64 s[16:17], s[0:1]
; %bb.80:
	v_cmp_eq_u32_e64 s[0:1], 0, v2
	s_orn2_b64 s[14:15], s[0:1], exec
; %bb.81:
	s_or_b64 exec, exec, s[16:17]
	s_and_b64 exec, exec, s[14:15]
	s_cbranch_execz .LBB948_84
; %bb.82:
	s_add_i32 s0, s8, 12
	s_cmp_gt_u32 s9, s0
	s_cselect_b64 s[14:15], -1, 0
	s_xor_b64 s[16:17], vcc, -1
	s_and_b64 s[14:15], s[14:15], s[16:17]
	s_and_b64 exec, exec, s[14:15]
	s_cbranch_execz .LBB948_84
; %bb.83:
	s_sub_i32 s1, s9, s0
	s_min_u32 s1, s1, 6
	s_waitcnt vmcnt(0)
	v_lshrrev_b32_e32 v2, s0, v64
	v_bfe_u32 v2, v2, 0, s1
	v_lshlrev_b32_e32 v64, 2, v1
	v_lshl_or_b32 v2, v2, 4, v64
	v_mov_b32_e32 v64, 1
	ds_add_u32 v2, v64 offset:2048
.LBB948_84:
	s_or_b64 exec, exec, s[12:13]
	v_cmp_le_u32_e32 vcc, s11, v65
	s_nor_b64 s[12:13], s[2:3], vcc
	v_mov_b32_e32 v2, s18
	s_and_saveexec_b64 s[0:1], s[12:13]
	s_cbranch_execz .LBB948_86
; %bb.85:
	s_sub_i32 s12, s9, s8
	s_min_u32 s12, s12, 6
	s_waitcnt vmcnt(0)
	v_lshrrev_b32_e32 v2, s8, v62
	v_bfe_u32 v2, v2, 0, s12
	v_lshlrev_b32_e32 v64, 2, v1
	v_lshl_or_b32 v2, v2, 4, v64
	v_mov_b32_e32 v64, 1
	ds_add_u32 v2, v64
	v_mov_b32_e32 v2, 0
.LBB948_86:
	s_or_b64 exec, exec, s[0:1]
	v_cmp_gt_i32_e64 s[0:1], 10, v2
	s_mov_b64 s[14:15], -1
	s_and_saveexec_b64 s[12:13], s[0:1]
; %bb.87:
	v_cmp_eq_u32_e64 s[0:1], 0, v2
	s_orn2_b64 s[14:15], s[0:1], exec
; %bb.88:
	s_or_b64 exec, exec, s[12:13]
	s_and_saveexec_b64 s[12:13], s[14:15]
	s_cbranch_execz .LBB948_96
; %bb.89:
	s_add_i32 s14, s8, 6
	s_cmp_le_u32 s9, s14
	s_cselect_b64 s[0:1], -1, 0
	s_and_b64 s[16:17], s[0:1], exec
	s_cselect_b32 s15, 8, 10
	s_nor_b64 s[16:17], s[0:1], vcc
	v_mov_b32_e32 v2, s15
	s_and_saveexec_b64 s[0:1], s[16:17]
	s_cbranch_execz .LBB948_91
; %bb.90:
	s_sub_i32 s15, s9, s14
	s_min_u32 s15, s15, 6
	s_waitcnt vmcnt(0)
	v_lshrrev_b32_e32 v2, s14, v62
	v_bfe_u32 v2, v2, 0, s15
	v_lshlrev_b32_e32 v64, 2, v1
	v_lshl_or_b32 v2, v2, 4, v64
	v_mov_b32_e32 v64, 1
	ds_add_u32 v2, v64 offset:1024
	v_mov_b32_e32 v2, 0
.LBB948_91:
	s_or_b64 exec, exec, s[0:1]
	v_cmp_gt_i32_e64 s[0:1], 10, v2
	s_mov_b64 s[14:15], -1
	s_and_saveexec_b64 s[16:17], s[0:1]
; %bb.92:
	v_cmp_eq_u32_e64 s[0:1], 0, v2
	s_orn2_b64 s[14:15], s[0:1], exec
; %bb.93:
	s_or_b64 exec, exec, s[16:17]
	s_and_b64 exec, exec, s[14:15]
	s_cbranch_execz .LBB948_96
; %bb.94:
	s_add_i32 s0, s8, 12
	s_cmp_gt_u32 s9, s0
	s_cselect_b64 s[14:15], -1, 0
	s_xor_b64 s[16:17], vcc, -1
	s_and_b64 s[14:15], s[14:15], s[16:17]
	s_and_b64 exec, exec, s[14:15]
	s_cbranch_execz .LBB948_96
; %bb.95:
	s_sub_i32 s1, s9, s0
	s_min_u32 s1, s1, 6
	s_waitcnt vmcnt(0)
	v_lshrrev_b32_e32 v2, s0, v62
	v_bfe_u32 v2, v2, 0, s1
	v_lshlrev_b32_e32 v62, 2, v1
	v_lshl_or_b32 v2, v2, 4, v62
	v_mov_b32_e32 v62, 1
	ds_add_u32 v2, v62 offset:2048
.LBB948_96:
	s_or_b64 exec, exec, s[12:13]
	v_cmp_le_u32_e32 vcc, s11, v63
	s_nor_b64 s[12:13], s[2:3], vcc
	v_mov_b32_e32 v2, s18
	s_and_saveexec_b64 s[0:1], s[12:13]
	s_cbranch_execz .LBB948_98
; %bb.97:
	s_sub_i32 s12, s9, s8
	s_min_u32 s12, s12, 6
	s_waitcnt vmcnt(0)
	v_lshrrev_b32_e32 v2, s8, v61
	v_bfe_u32 v2, v2, 0, s12
	v_lshlrev_b32_e32 v62, 2, v1
	v_lshl_or_b32 v2, v2, 4, v62
	v_mov_b32_e32 v62, 1
	ds_add_u32 v2, v62
	v_mov_b32_e32 v2, 0
.LBB948_98:
	s_or_b64 exec, exec, s[0:1]
	v_cmp_gt_i32_e64 s[0:1], 10, v2
	s_mov_b64 s[14:15], -1
	s_and_saveexec_b64 s[12:13], s[0:1]
; %bb.99:
	v_cmp_eq_u32_e64 s[0:1], 0, v2
	s_orn2_b64 s[14:15], s[0:1], exec
; %bb.100:
	s_or_b64 exec, exec, s[12:13]
	s_and_saveexec_b64 s[12:13], s[14:15]
	s_cbranch_execz .LBB948_108
; %bb.101:
	s_add_i32 s14, s8, 6
	s_cmp_le_u32 s9, s14
	s_cselect_b64 s[0:1], -1, 0
	s_and_b64 s[16:17], s[0:1], exec
	s_cselect_b32 s15, 8, 10
	s_nor_b64 s[16:17], s[0:1], vcc
	v_mov_b32_e32 v2, s15
	s_and_saveexec_b64 s[0:1], s[16:17]
	s_cbranch_execz .LBB948_103
; %bb.102:
	s_sub_i32 s15, s9, s14
	s_min_u32 s15, s15, 6
	s_waitcnt vmcnt(0)
	v_lshrrev_b32_e32 v2, s14, v61
	v_bfe_u32 v2, v2, 0, s15
	v_lshlrev_b32_e32 v62, 2, v1
	v_lshl_or_b32 v2, v2, 4, v62
	v_mov_b32_e32 v62, 1
	ds_add_u32 v2, v62 offset:1024
	v_mov_b32_e32 v2, 0
.LBB948_103:
	s_or_b64 exec, exec, s[0:1]
	v_cmp_gt_i32_e64 s[0:1], 10, v2
	s_mov_b64 s[14:15], -1
	s_and_saveexec_b64 s[16:17], s[0:1]
; %bb.104:
	v_cmp_eq_u32_e64 s[0:1], 0, v2
	s_orn2_b64 s[14:15], s[0:1], exec
; %bb.105:
	s_or_b64 exec, exec, s[16:17]
	s_and_b64 exec, exec, s[14:15]
	s_cbranch_execz .LBB948_108
; %bb.106:
	s_add_i32 s0, s8, 12
	s_cmp_gt_u32 s9, s0
	s_cselect_b64 s[14:15], -1, 0
	s_xor_b64 s[16:17], vcc, -1
	s_and_b64 s[14:15], s[14:15], s[16:17]
	s_and_b64 exec, exec, s[14:15]
	s_cbranch_execz .LBB948_108
; %bb.107:
	s_sub_i32 s1, s9, s0
	s_min_u32 s1, s1, 6
	s_waitcnt vmcnt(0)
	v_lshrrev_b32_e32 v2, s0, v61
	v_bfe_u32 v2, v2, 0, s1
	v_lshlrev_b32_e32 v61, 2, v1
	v_lshl_or_b32 v2, v2, 4, v61
	v_mov_b32_e32 v61, 1
	ds_add_u32 v2, v61 offset:2048
.LBB948_108:
	s_or_b64 exec, exec, s[12:13]
	v_cmp_le_u32_e32 vcc, s11, v60
	s_nor_b64 s[12:13], s[2:3], vcc
	v_mov_b32_e32 v2, s18
	s_and_saveexec_b64 s[0:1], s[12:13]
	s_cbranch_execz .LBB948_110
; %bb.109:
	s_sub_i32 s12, s9, s8
	s_min_u32 s12, s12, 6
	s_waitcnt vmcnt(0)
	v_lshrrev_b32_e32 v2, s8, v58
	v_bfe_u32 v2, v2, 0, s12
	v_lshlrev_b32_e32 v60, 2, v1
	v_lshl_or_b32 v2, v2, 4, v60
	v_mov_b32_e32 v60, 1
	ds_add_u32 v2, v60
	v_mov_b32_e32 v2, 0
.LBB948_110:
	s_or_b64 exec, exec, s[0:1]
	v_cmp_gt_i32_e64 s[0:1], 10, v2
	s_mov_b64 s[14:15], -1
	s_and_saveexec_b64 s[12:13], s[0:1]
; %bb.111:
	v_cmp_eq_u32_e64 s[0:1], 0, v2
	s_orn2_b64 s[14:15], s[0:1], exec
; %bb.112:
	s_or_b64 exec, exec, s[12:13]
	s_and_saveexec_b64 s[12:13], s[14:15]
	s_cbranch_execz .LBB948_120
; %bb.113:
	s_add_i32 s14, s8, 6
	s_cmp_le_u32 s9, s14
	s_cselect_b64 s[0:1], -1, 0
	s_and_b64 s[16:17], s[0:1], exec
	s_cselect_b32 s15, 8, 10
	s_nor_b64 s[16:17], s[0:1], vcc
	v_mov_b32_e32 v2, s15
	s_and_saveexec_b64 s[0:1], s[16:17]
	s_cbranch_execz .LBB948_115
; %bb.114:
	s_sub_i32 s15, s9, s14
	s_min_u32 s15, s15, 6
	s_waitcnt vmcnt(0)
	v_lshrrev_b32_e32 v2, s14, v58
	v_bfe_u32 v2, v2, 0, s15
	v_lshlrev_b32_e32 v60, 2, v1
	v_lshl_or_b32 v2, v2, 4, v60
	v_mov_b32_e32 v60, 1
	ds_add_u32 v2, v60 offset:1024
	v_mov_b32_e32 v2, 0
.LBB948_115:
	s_or_b64 exec, exec, s[0:1]
	v_cmp_gt_i32_e64 s[0:1], 10, v2
	s_mov_b64 s[14:15], -1
	s_and_saveexec_b64 s[16:17], s[0:1]
; %bb.116:
	v_cmp_eq_u32_e64 s[0:1], 0, v2
	s_orn2_b64 s[14:15], s[0:1], exec
; %bb.117:
	s_or_b64 exec, exec, s[16:17]
	s_and_b64 exec, exec, s[14:15]
	s_cbranch_execz .LBB948_120
; %bb.118:
	s_add_i32 s0, s8, 12
	s_cmp_gt_u32 s9, s0
	s_cselect_b64 s[14:15], -1, 0
	s_xor_b64 s[16:17], vcc, -1
	s_and_b64 s[14:15], s[14:15], s[16:17]
	s_and_b64 exec, exec, s[14:15]
	s_cbranch_execz .LBB948_120
; %bb.119:
	s_sub_i32 s1, s9, s0
	s_min_u32 s1, s1, 6
	s_waitcnt vmcnt(0)
	v_lshrrev_b32_e32 v2, s0, v58
	v_bfe_u32 v2, v2, 0, s1
	v_lshlrev_b32_e32 v58, 2, v1
	v_lshl_or_b32 v2, v2, 4, v58
	v_mov_b32_e32 v58, 1
	ds_add_u32 v2, v58 offset:2048
.LBB948_120:
	s_or_b64 exec, exec, s[12:13]
	v_cmp_le_u32_e32 vcc, s11, v59
	s_nor_b64 s[12:13], s[2:3], vcc
	v_mov_b32_e32 v2, s18
	s_and_saveexec_b64 s[0:1], s[12:13]
	s_cbranch_execz .LBB948_122
; %bb.121:
	s_sub_i32 s12, s9, s8
	s_min_u32 s12, s12, 6
	s_waitcnt vmcnt(0)
	v_lshrrev_b32_e32 v2, s8, v57
	v_bfe_u32 v2, v2, 0, s12
	v_lshlrev_b32_e32 v58, 2, v1
	v_lshl_or_b32 v2, v2, 4, v58
	v_mov_b32_e32 v58, 1
	ds_add_u32 v2, v58
	v_mov_b32_e32 v2, 0
.LBB948_122:
	s_or_b64 exec, exec, s[0:1]
	v_cmp_gt_i32_e64 s[0:1], 10, v2
	s_mov_b64 s[14:15], -1
	s_and_saveexec_b64 s[12:13], s[0:1]
; %bb.123:
	v_cmp_eq_u32_e64 s[0:1], 0, v2
	s_orn2_b64 s[14:15], s[0:1], exec
; %bb.124:
	s_or_b64 exec, exec, s[12:13]
	s_and_saveexec_b64 s[12:13], s[14:15]
	s_cbranch_execz .LBB948_132
; %bb.125:
	s_add_i32 s14, s8, 6
	s_cmp_le_u32 s9, s14
	s_cselect_b64 s[0:1], -1, 0
	s_and_b64 s[16:17], s[0:1], exec
	s_cselect_b32 s15, 8, 10
	s_nor_b64 s[16:17], s[0:1], vcc
	v_mov_b32_e32 v2, s15
	s_and_saveexec_b64 s[0:1], s[16:17]
	s_cbranch_execz .LBB948_127
; %bb.126:
	s_sub_i32 s15, s9, s14
	s_min_u32 s15, s15, 6
	s_waitcnt vmcnt(0)
	v_lshrrev_b32_e32 v2, s14, v57
	v_bfe_u32 v2, v2, 0, s15
	v_lshlrev_b32_e32 v58, 2, v1
	v_lshl_or_b32 v2, v2, 4, v58
	v_mov_b32_e32 v58, 1
	ds_add_u32 v2, v58 offset:1024
	v_mov_b32_e32 v2, 0
.LBB948_127:
	s_or_b64 exec, exec, s[0:1]
	v_cmp_gt_i32_e64 s[0:1], 10, v2
	s_mov_b64 s[14:15], -1
	s_and_saveexec_b64 s[16:17], s[0:1]
; %bb.128:
	v_cmp_eq_u32_e64 s[0:1], 0, v2
	s_orn2_b64 s[14:15], s[0:1], exec
; %bb.129:
	s_or_b64 exec, exec, s[16:17]
	s_and_b64 exec, exec, s[14:15]
	s_cbranch_execz .LBB948_132
; %bb.130:
	s_add_i32 s0, s8, 12
	s_cmp_gt_u32 s9, s0
	s_cselect_b64 s[14:15], -1, 0
	s_xor_b64 s[16:17], vcc, -1
	s_and_b64 s[14:15], s[14:15], s[16:17]
	s_and_b64 exec, exec, s[14:15]
	s_cbranch_execz .LBB948_132
; %bb.131:
	s_sub_i32 s1, s9, s0
	s_min_u32 s1, s1, 6
	s_waitcnt vmcnt(0)
	v_lshrrev_b32_e32 v2, s0, v57
	v_bfe_u32 v2, v2, 0, s1
	v_lshlrev_b32_e32 v57, 2, v1
	v_lshl_or_b32 v2, v2, 4, v57
	v_mov_b32_e32 v57, 1
	ds_add_u32 v2, v57 offset:2048
.LBB948_132:
	s_or_b64 exec, exec, s[12:13]
	v_cmp_le_u32_e32 vcc, s11, v56
	s_nor_b64 s[12:13], s[2:3], vcc
	v_mov_b32_e32 v2, s18
	s_and_saveexec_b64 s[0:1], s[12:13]
	s_cbranch_execz .LBB948_134
; %bb.133:
	s_sub_i32 s12, s9, s8
	s_min_u32 s12, s12, 6
	s_waitcnt vmcnt(0)
	v_lshrrev_b32_e32 v2, s8, v54
	v_bfe_u32 v2, v2, 0, s12
	v_lshlrev_b32_e32 v56, 2, v1
	v_lshl_or_b32 v2, v2, 4, v56
	v_mov_b32_e32 v56, 1
	ds_add_u32 v2, v56
	v_mov_b32_e32 v2, 0
.LBB948_134:
	s_or_b64 exec, exec, s[0:1]
	v_cmp_gt_i32_e64 s[0:1], 10, v2
	s_mov_b64 s[14:15], -1
	s_and_saveexec_b64 s[12:13], s[0:1]
; %bb.135:
	v_cmp_eq_u32_e64 s[0:1], 0, v2
	s_orn2_b64 s[14:15], s[0:1], exec
; %bb.136:
	s_or_b64 exec, exec, s[12:13]
	s_and_saveexec_b64 s[12:13], s[14:15]
	s_cbranch_execz .LBB948_144
; %bb.137:
	s_add_i32 s14, s8, 6
	s_cmp_le_u32 s9, s14
	s_cselect_b64 s[0:1], -1, 0
	s_and_b64 s[16:17], s[0:1], exec
	s_cselect_b32 s15, 8, 10
	s_nor_b64 s[16:17], s[0:1], vcc
	v_mov_b32_e32 v2, s15
	s_and_saveexec_b64 s[0:1], s[16:17]
	s_cbranch_execz .LBB948_139
; %bb.138:
	s_sub_i32 s15, s9, s14
	s_min_u32 s15, s15, 6
	s_waitcnt vmcnt(0)
	v_lshrrev_b32_e32 v2, s14, v54
	v_bfe_u32 v2, v2, 0, s15
	v_lshlrev_b32_e32 v56, 2, v1
	v_lshl_or_b32 v2, v2, 4, v56
	v_mov_b32_e32 v56, 1
	ds_add_u32 v2, v56 offset:1024
	v_mov_b32_e32 v2, 0
.LBB948_139:
	s_or_b64 exec, exec, s[0:1]
	v_cmp_gt_i32_e64 s[0:1], 10, v2
	s_mov_b64 s[14:15], -1
	s_and_saveexec_b64 s[16:17], s[0:1]
; %bb.140:
	v_cmp_eq_u32_e64 s[0:1], 0, v2
	s_orn2_b64 s[14:15], s[0:1], exec
; %bb.141:
	s_or_b64 exec, exec, s[16:17]
	s_and_b64 exec, exec, s[14:15]
	s_cbranch_execz .LBB948_144
; %bb.142:
	s_add_i32 s0, s8, 12
	s_cmp_gt_u32 s9, s0
	s_cselect_b64 s[14:15], -1, 0
	s_xor_b64 s[16:17], vcc, -1
	s_and_b64 s[14:15], s[14:15], s[16:17]
	s_and_b64 exec, exec, s[14:15]
	s_cbranch_execz .LBB948_144
; %bb.143:
	s_sub_i32 s1, s9, s0
	s_min_u32 s1, s1, 6
	s_waitcnt vmcnt(0)
	v_lshrrev_b32_e32 v2, s0, v54
	v_bfe_u32 v2, v2, 0, s1
	v_lshlrev_b32_e32 v54, 2, v1
	v_lshl_or_b32 v2, v2, 4, v54
	v_mov_b32_e32 v54, 1
	ds_add_u32 v2, v54 offset:2048
.LBB948_144:
	s_or_b64 exec, exec, s[12:13]
	v_cmp_le_u32_e32 vcc, s11, v55
	s_nor_b64 s[12:13], s[2:3], vcc
	v_mov_b32_e32 v2, s18
	s_and_saveexec_b64 s[0:1], s[12:13]
	s_cbranch_execz .LBB948_146
; %bb.145:
	s_sub_i32 s12, s9, s8
	s_min_u32 s12, s12, 6
	s_waitcnt vmcnt(0)
	v_lshrrev_b32_e32 v2, s8, v53
	v_bfe_u32 v2, v2, 0, s12
	v_lshlrev_b32_e32 v54, 2, v1
	v_lshl_or_b32 v2, v2, 4, v54
	v_mov_b32_e32 v54, 1
	ds_add_u32 v2, v54
	v_mov_b32_e32 v2, 0
.LBB948_146:
	s_or_b64 exec, exec, s[0:1]
	v_cmp_gt_i32_e64 s[0:1], 10, v2
	s_mov_b64 s[14:15], -1
	s_and_saveexec_b64 s[12:13], s[0:1]
; %bb.147:
	v_cmp_eq_u32_e64 s[0:1], 0, v2
	s_orn2_b64 s[14:15], s[0:1], exec
; %bb.148:
	s_or_b64 exec, exec, s[12:13]
	s_and_saveexec_b64 s[12:13], s[14:15]
	s_cbranch_execz .LBB948_156
; %bb.149:
	s_add_i32 s14, s8, 6
	s_cmp_le_u32 s9, s14
	s_cselect_b64 s[0:1], -1, 0
	s_and_b64 s[16:17], s[0:1], exec
	s_cselect_b32 s15, 8, 10
	s_nor_b64 s[16:17], s[0:1], vcc
	v_mov_b32_e32 v2, s15
	s_and_saveexec_b64 s[0:1], s[16:17]
	s_cbranch_execz .LBB948_151
; %bb.150:
	s_sub_i32 s15, s9, s14
	s_min_u32 s15, s15, 6
	s_waitcnt vmcnt(0)
	v_lshrrev_b32_e32 v2, s14, v53
	v_bfe_u32 v2, v2, 0, s15
	v_lshlrev_b32_e32 v54, 2, v1
	v_lshl_or_b32 v2, v2, 4, v54
	v_mov_b32_e32 v54, 1
	ds_add_u32 v2, v54 offset:1024
	v_mov_b32_e32 v2, 0
.LBB948_151:
	s_or_b64 exec, exec, s[0:1]
	v_cmp_gt_i32_e64 s[0:1], 10, v2
	s_mov_b64 s[14:15], -1
	s_and_saveexec_b64 s[16:17], s[0:1]
; %bb.152:
	v_cmp_eq_u32_e64 s[0:1], 0, v2
	s_orn2_b64 s[14:15], s[0:1], exec
; %bb.153:
	s_or_b64 exec, exec, s[16:17]
	s_and_b64 exec, exec, s[14:15]
	s_cbranch_execz .LBB948_156
; %bb.154:
	s_add_i32 s0, s8, 12
	s_cmp_gt_u32 s9, s0
	s_cselect_b64 s[14:15], -1, 0
	s_xor_b64 s[16:17], vcc, -1
	s_and_b64 s[14:15], s[14:15], s[16:17]
	s_and_b64 exec, exec, s[14:15]
	s_cbranch_execz .LBB948_156
; %bb.155:
	s_sub_i32 s1, s9, s0
	s_min_u32 s1, s1, 6
	s_waitcnt vmcnt(0)
	v_lshrrev_b32_e32 v2, s0, v53
	v_bfe_u32 v2, v2, 0, s1
	v_lshlrev_b32_e32 v53, 2, v1
	v_lshl_or_b32 v2, v2, 4, v53
	v_mov_b32_e32 v53, 1
	ds_add_u32 v2, v53 offset:2048
.LBB948_156:
	s_or_b64 exec, exec, s[12:13]
	v_cmp_le_u32_e32 vcc, s11, v52
	s_nor_b64 s[12:13], s[2:3], vcc
	v_mov_b32_e32 v2, s18
	s_and_saveexec_b64 s[0:1], s[12:13]
	s_cbranch_execz .LBB948_158
; %bb.157:
	s_sub_i32 s12, s9, s8
	s_min_u32 s12, s12, 6
	s_waitcnt vmcnt(0)
	v_lshrrev_b32_e32 v2, s8, v50
	v_bfe_u32 v2, v2, 0, s12
	v_lshlrev_b32_e32 v52, 2, v1
	v_lshl_or_b32 v2, v2, 4, v52
	v_mov_b32_e32 v52, 1
	ds_add_u32 v2, v52
	v_mov_b32_e32 v2, 0
.LBB948_158:
	s_or_b64 exec, exec, s[0:1]
	v_cmp_gt_i32_e64 s[0:1], 10, v2
	s_mov_b64 s[14:15], -1
	s_and_saveexec_b64 s[12:13], s[0:1]
; %bb.159:
	v_cmp_eq_u32_e64 s[0:1], 0, v2
	s_orn2_b64 s[14:15], s[0:1], exec
; %bb.160:
	s_or_b64 exec, exec, s[12:13]
	s_and_saveexec_b64 s[12:13], s[14:15]
	s_cbranch_execz .LBB948_168
; %bb.161:
	s_add_i32 s14, s8, 6
	s_cmp_le_u32 s9, s14
	s_cselect_b64 s[0:1], -1, 0
	s_and_b64 s[16:17], s[0:1], exec
	s_cselect_b32 s15, 8, 10
	s_nor_b64 s[16:17], s[0:1], vcc
	v_mov_b32_e32 v2, s15
	s_and_saveexec_b64 s[0:1], s[16:17]
	s_cbranch_execz .LBB948_163
; %bb.162:
	s_sub_i32 s15, s9, s14
	s_min_u32 s15, s15, 6
	s_waitcnt vmcnt(0)
	v_lshrrev_b32_e32 v2, s14, v50
	v_bfe_u32 v2, v2, 0, s15
	v_lshlrev_b32_e32 v52, 2, v1
	v_lshl_or_b32 v2, v2, 4, v52
	v_mov_b32_e32 v52, 1
	ds_add_u32 v2, v52 offset:1024
	v_mov_b32_e32 v2, 0
.LBB948_163:
	s_or_b64 exec, exec, s[0:1]
	v_cmp_gt_i32_e64 s[0:1], 10, v2
	s_mov_b64 s[14:15], -1
	s_and_saveexec_b64 s[16:17], s[0:1]
; %bb.164:
	v_cmp_eq_u32_e64 s[0:1], 0, v2
	s_orn2_b64 s[14:15], s[0:1], exec
; %bb.165:
	s_or_b64 exec, exec, s[16:17]
	s_and_b64 exec, exec, s[14:15]
	s_cbranch_execz .LBB948_168
; %bb.166:
	s_add_i32 s0, s8, 12
	s_cmp_gt_u32 s9, s0
	s_cselect_b64 s[14:15], -1, 0
	s_xor_b64 s[16:17], vcc, -1
	s_and_b64 s[14:15], s[14:15], s[16:17]
	s_and_b64 exec, exec, s[14:15]
	s_cbranch_execz .LBB948_168
; %bb.167:
	s_sub_i32 s1, s9, s0
	s_min_u32 s1, s1, 6
	s_waitcnt vmcnt(0)
	v_lshrrev_b32_e32 v2, s0, v50
	v_bfe_u32 v2, v2, 0, s1
	v_lshlrev_b32_e32 v50, 2, v1
	v_lshl_or_b32 v2, v2, 4, v50
	v_mov_b32_e32 v50, 1
	ds_add_u32 v2, v50 offset:2048
.LBB948_168:
	s_or_b64 exec, exec, s[12:13]
	v_cmp_le_u32_e32 vcc, s11, v51
	s_nor_b64 s[12:13], s[2:3], vcc
	v_mov_b32_e32 v2, s18
	s_and_saveexec_b64 s[0:1], s[12:13]
	s_cbranch_execz .LBB948_170
; %bb.169:
	s_sub_i32 s12, s9, s8
	s_min_u32 s12, s12, 6
	s_waitcnt vmcnt(0)
	v_lshrrev_b32_e32 v2, s8, v49
	v_bfe_u32 v2, v2, 0, s12
	v_lshlrev_b32_e32 v50, 2, v1
	v_lshl_or_b32 v2, v2, 4, v50
	v_mov_b32_e32 v50, 1
	ds_add_u32 v2, v50
	v_mov_b32_e32 v2, 0
.LBB948_170:
	s_or_b64 exec, exec, s[0:1]
	v_cmp_gt_i32_e64 s[0:1], 10, v2
	s_mov_b64 s[14:15], -1
	s_and_saveexec_b64 s[12:13], s[0:1]
; %bb.171:
	v_cmp_eq_u32_e64 s[0:1], 0, v2
	s_orn2_b64 s[14:15], s[0:1], exec
; %bb.172:
	s_or_b64 exec, exec, s[12:13]
	s_and_saveexec_b64 s[12:13], s[14:15]
	s_cbranch_execz .LBB948_180
; %bb.173:
	s_add_i32 s14, s8, 6
	s_cmp_le_u32 s9, s14
	s_cselect_b64 s[0:1], -1, 0
	s_and_b64 s[16:17], s[0:1], exec
	s_cselect_b32 s15, 8, 10
	s_nor_b64 s[16:17], s[0:1], vcc
	v_mov_b32_e32 v2, s15
	s_and_saveexec_b64 s[0:1], s[16:17]
	s_cbranch_execz .LBB948_175
; %bb.174:
	s_sub_i32 s15, s9, s14
	s_min_u32 s15, s15, 6
	s_waitcnt vmcnt(0)
	v_lshrrev_b32_e32 v2, s14, v49
	v_bfe_u32 v2, v2, 0, s15
	v_lshlrev_b32_e32 v50, 2, v1
	v_lshl_or_b32 v2, v2, 4, v50
	v_mov_b32_e32 v50, 1
	ds_add_u32 v2, v50 offset:1024
	v_mov_b32_e32 v2, 0
.LBB948_175:
	s_or_b64 exec, exec, s[0:1]
	v_cmp_gt_i32_e64 s[0:1], 10, v2
	s_mov_b64 s[14:15], -1
	s_and_saveexec_b64 s[16:17], s[0:1]
; %bb.176:
	v_cmp_eq_u32_e64 s[0:1], 0, v2
	s_orn2_b64 s[14:15], s[0:1], exec
; %bb.177:
	s_or_b64 exec, exec, s[16:17]
	s_and_b64 exec, exec, s[14:15]
	s_cbranch_execz .LBB948_180
; %bb.178:
	s_add_i32 s0, s8, 12
	s_cmp_gt_u32 s9, s0
	s_cselect_b64 s[14:15], -1, 0
	s_xor_b64 s[16:17], vcc, -1
	s_and_b64 s[14:15], s[14:15], s[16:17]
	s_and_b64 exec, exec, s[14:15]
	s_cbranch_execz .LBB948_180
; %bb.179:
	s_sub_i32 s1, s9, s0
	s_min_u32 s1, s1, 6
	s_waitcnt vmcnt(0)
	v_lshrrev_b32_e32 v2, s0, v49
	v_bfe_u32 v2, v2, 0, s1
	v_lshlrev_b32_e32 v49, 2, v1
	v_lshl_or_b32 v2, v2, 4, v49
	v_mov_b32_e32 v49, 1
	ds_add_u32 v2, v49 offset:2048
.LBB948_180:
	s_or_b64 exec, exec, s[12:13]
	v_cmp_le_u32_e32 vcc, s11, v48
	s_nor_b64 s[12:13], s[2:3], vcc
	v_mov_b32_e32 v2, s18
	s_and_saveexec_b64 s[0:1], s[12:13]
	s_cbranch_execz .LBB948_182
; %bb.181:
	s_sub_i32 s12, s9, s8
	s_min_u32 s12, s12, 6
	s_waitcnt vmcnt(0)
	v_lshrrev_b32_e32 v2, s8, v46
	v_bfe_u32 v2, v2, 0, s12
	v_lshlrev_b32_e32 v48, 2, v1
	v_lshl_or_b32 v2, v2, 4, v48
	v_mov_b32_e32 v48, 1
	ds_add_u32 v2, v48
	v_mov_b32_e32 v2, 0
.LBB948_182:
	s_or_b64 exec, exec, s[0:1]
	v_cmp_gt_i32_e64 s[0:1], 10, v2
	s_mov_b64 s[14:15], -1
	s_and_saveexec_b64 s[12:13], s[0:1]
; %bb.183:
	v_cmp_eq_u32_e64 s[0:1], 0, v2
	s_orn2_b64 s[14:15], s[0:1], exec
; %bb.184:
	s_or_b64 exec, exec, s[12:13]
	s_and_saveexec_b64 s[12:13], s[14:15]
	s_cbranch_execz .LBB948_192
; %bb.185:
	s_add_i32 s14, s8, 6
	s_cmp_le_u32 s9, s14
	s_cselect_b64 s[0:1], -1, 0
	s_and_b64 s[16:17], s[0:1], exec
	s_cselect_b32 s15, 8, 10
	s_nor_b64 s[16:17], s[0:1], vcc
	v_mov_b32_e32 v2, s15
	s_and_saveexec_b64 s[0:1], s[16:17]
	s_cbranch_execz .LBB948_187
; %bb.186:
	s_sub_i32 s15, s9, s14
	s_min_u32 s15, s15, 6
	s_waitcnt vmcnt(0)
	v_lshrrev_b32_e32 v2, s14, v46
	v_bfe_u32 v2, v2, 0, s15
	v_lshlrev_b32_e32 v48, 2, v1
	v_lshl_or_b32 v2, v2, 4, v48
	v_mov_b32_e32 v48, 1
	ds_add_u32 v2, v48 offset:1024
	v_mov_b32_e32 v2, 0
.LBB948_187:
	s_or_b64 exec, exec, s[0:1]
	v_cmp_gt_i32_e64 s[0:1], 10, v2
	s_mov_b64 s[14:15], -1
	s_and_saveexec_b64 s[16:17], s[0:1]
; %bb.188:
	v_cmp_eq_u32_e64 s[0:1], 0, v2
	s_orn2_b64 s[14:15], s[0:1], exec
; %bb.189:
	s_or_b64 exec, exec, s[16:17]
	s_and_b64 exec, exec, s[14:15]
	s_cbranch_execz .LBB948_192
; %bb.190:
	s_add_i32 s0, s8, 12
	s_cmp_gt_u32 s9, s0
	s_cselect_b64 s[14:15], -1, 0
	s_xor_b64 s[16:17], vcc, -1
	s_and_b64 s[14:15], s[14:15], s[16:17]
	s_and_b64 exec, exec, s[14:15]
	s_cbranch_execz .LBB948_192
; %bb.191:
	s_sub_i32 s1, s9, s0
	s_min_u32 s1, s1, 6
	s_waitcnt vmcnt(0)
	v_lshrrev_b32_e32 v2, s0, v46
	v_bfe_u32 v2, v2, 0, s1
	v_lshlrev_b32_e32 v46, 2, v1
	v_lshl_or_b32 v2, v2, 4, v46
	v_mov_b32_e32 v46, 1
	ds_add_u32 v2, v46 offset:2048
.LBB948_192:
	s_or_b64 exec, exec, s[12:13]
	v_cmp_le_u32_e32 vcc, s11, v47
	s_nor_b64 s[12:13], s[2:3], vcc
	v_mov_b32_e32 v2, s18
	s_and_saveexec_b64 s[0:1], s[12:13]
	s_cbranch_execz .LBB948_194
; %bb.193:
	s_sub_i32 s12, s9, s8
	s_min_u32 s12, s12, 6
	s_waitcnt vmcnt(0)
	v_lshrrev_b32_e32 v2, s8, v45
	v_bfe_u32 v2, v2, 0, s12
	v_lshlrev_b32_e32 v46, 2, v1
	v_lshl_or_b32 v2, v2, 4, v46
	v_mov_b32_e32 v46, 1
	ds_add_u32 v2, v46
	v_mov_b32_e32 v2, 0
.LBB948_194:
	s_or_b64 exec, exec, s[0:1]
	v_cmp_gt_i32_e64 s[0:1], 10, v2
	s_mov_b64 s[14:15], -1
	s_and_saveexec_b64 s[12:13], s[0:1]
; %bb.195:
	v_cmp_eq_u32_e64 s[0:1], 0, v2
	s_orn2_b64 s[14:15], s[0:1], exec
; %bb.196:
	s_or_b64 exec, exec, s[12:13]
	s_and_saveexec_b64 s[12:13], s[14:15]
	s_cbranch_execz .LBB948_204
; %bb.197:
	s_add_i32 s14, s8, 6
	s_cmp_le_u32 s9, s14
	s_cselect_b64 s[0:1], -1, 0
	s_and_b64 s[16:17], s[0:1], exec
	s_cselect_b32 s15, 8, 10
	s_nor_b64 s[16:17], s[0:1], vcc
	v_mov_b32_e32 v2, s15
	s_and_saveexec_b64 s[0:1], s[16:17]
	s_cbranch_execz .LBB948_199
; %bb.198:
	s_sub_i32 s15, s9, s14
	s_min_u32 s15, s15, 6
	s_waitcnt vmcnt(0)
	v_lshrrev_b32_e32 v2, s14, v45
	v_bfe_u32 v2, v2, 0, s15
	v_lshlrev_b32_e32 v46, 2, v1
	v_lshl_or_b32 v2, v2, 4, v46
	v_mov_b32_e32 v46, 1
	ds_add_u32 v2, v46 offset:1024
	v_mov_b32_e32 v2, 0
.LBB948_199:
	s_or_b64 exec, exec, s[0:1]
	v_cmp_gt_i32_e64 s[0:1], 10, v2
	s_mov_b64 s[14:15], -1
	s_and_saveexec_b64 s[16:17], s[0:1]
; %bb.200:
	v_cmp_eq_u32_e64 s[0:1], 0, v2
	s_orn2_b64 s[14:15], s[0:1], exec
; %bb.201:
	s_or_b64 exec, exec, s[16:17]
	s_and_b64 exec, exec, s[14:15]
	s_cbranch_execz .LBB948_204
; %bb.202:
	s_add_i32 s0, s8, 12
	s_cmp_gt_u32 s9, s0
	s_cselect_b64 s[14:15], -1, 0
	s_xor_b64 s[16:17], vcc, -1
	s_and_b64 s[14:15], s[14:15], s[16:17]
	s_and_b64 exec, exec, s[14:15]
	s_cbranch_execz .LBB948_204
; %bb.203:
	s_sub_i32 s1, s9, s0
	s_min_u32 s1, s1, 6
	s_waitcnt vmcnt(0)
	v_lshrrev_b32_e32 v2, s0, v45
	v_bfe_u32 v2, v2, 0, s1
	v_lshlrev_b32_e32 v45, 2, v1
	v_lshl_or_b32 v2, v2, 4, v45
	v_mov_b32_e32 v45, 1
	ds_add_u32 v2, v45 offset:2048
.LBB948_204:
	s_or_b64 exec, exec, s[12:13]
	v_cmp_le_u32_e32 vcc, s11, v44
	s_nor_b64 s[12:13], s[2:3], vcc
	v_mov_b32_e32 v2, s18
	s_and_saveexec_b64 s[0:1], s[12:13]
	s_cbranch_execz .LBB948_206
; %bb.205:
	s_sub_i32 s12, s9, s8
	s_min_u32 s12, s12, 6
	s_waitcnt vmcnt(0)
	v_lshrrev_b32_e32 v2, s8, v42
	v_bfe_u32 v2, v2, 0, s12
	v_lshlrev_b32_e32 v44, 2, v1
	v_lshl_or_b32 v2, v2, 4, v44
	v_mov_b32_e32 v44, 1
	ds_add_u32 v2, v44
	v_mov_b32_e32 v2, 0
.LBB948_206:
	s_or_b64 exec, exec, s[0:1]
	v_cmp_gt_i32_e64 s[0:1], 10, v2
	s_mov_b64 s[14:15], -1
	s_and_saveexec_b64 s[12:13], s[0:1]
; %bb.207:
	v_cmp_eq_u32_e64 s[0:1], 0, v2
	s_orn2_b64 s[14:15], s[0:1], exec
; %bb.208:
	s_or_b64 exec, exec, s[12:13]
	s_and_saveexec_b64 s[12:13], s[14:15]
	s_cbranch_execz .LBB948_216
; %bb.209:
	s_add_i32 s14, s8, 6
	s_cmp_le_u32 s9, s14
	s_cselect_b64 s[0:1], -1, 0
	s_and_b64 s[16:17], s[0:1], exec
	s_cselect_b32 s15, 8, 10
	s_nor_b64 s[16:17], s[0:1], vcc
	v_mov_b32_e32 v2, s15
	s_and_saveexec_b64 s[0:1], s[16:17]
	s_cbranch_execz .LBB948_211
; %bb.210:
	s_sub_i32 s15, s9, s14
	s_min_u32 s15, s15, 6
	s_waitcnt vmcnt(0)
	v_lshrrev_b32_e32 v2, s14, v42
	v_bfe_u32 v2, v2, 0, s15
	v_lshlrev_b32_e32 v44, 2, v1
	v_lshl_or_b32 v2, v2, 4, v44
	v_mov_b32_e32 v44, 1
	ds_add_u32 v2, v44 offset:1024
	v_mov_b32_e32 v2, 0
.LBB948_211:
	s_or_b64 exec, exec, s[0:1]
	v_cmp_gt_i32_e64 s[0:1], 10, v2
	s_mov_b64 s[14:15], -1
	s_and_saveexec_b64 s[16:17], s[0:1]
; %bb.212:
	v_cmp_eq_u32_e64 s[0:1], 0, v2
	s_orn2_b64 s[14:15], s[0:1], exec
; %bb.213:
	s_or_b64 exec, exec, s[16:17]
	s_and_b64 exec, exec, s[14:15]
	s_cbranch_execz .LBB948_216
; %bb.214:
	s_add_i32 s0, s8, 12
	s_cmp_gt_u32 s9, s0
	s_cselect_b64 s[14:15], -1, 0
	s_xor_b64 s[16:17], vcc, -1
	s_and_b64 s[14:15], s[14:15], s[16:17]
	s_and_b64 exec, exec, s[14:15]
	s_cbranch_execz .LBB948_216
; %bb.215:
	s_sub_i32 s1, s9, s0
	s_min_u32 s1, s1, 6
	s_waitcnt vmcnt(0)
	v_lshrrev_b32_e32 v2, s0, v42
	v_bfe_u32 v2, v2, 0, s1
	v_lshlrev_b32_e32 v42, 2, v1
	v_lshl_or_b32 v2, v2, 4, v42
	v_mov_b32_e32 v42, 1
	ds_add_u32 v2, v42 offset:2048
.LBB948_216:
	s_or_b64 exec, exec, s[12:13]
	v_cmp_le_u32_e32 vcc, s11, v43
	s_nor_b64 s[12:13], s[2:3], vcc
	v_mov_b32_e32 v2, s18
	s_and_saveexec_b64 s[0:1], s[12:13]
	s_cbranch_execz .LBB948_218
; %bb.217:
	s_sub_i32 s12, s9, s8
	s_min_u32 s12, s12, 6
	s_waitcnt vmcnt(0)
	v_lshrrev_b32_e32 v2, s8, v41
	v_bfe_u32 v2, v2, 0, s12
	v_lshlrev_b32_e32 v42, 2, v1
	v_lshl_or_b32 v2, v2, 4, v42
	v_mov_b32_e32 v42, 1
	ds_add_u32 v2, v42
	v_mov_b32_e32 v2, 0
.LBB948_218:
	s_or_b64 exec, exec, s[0:1]
	v_cmp_gt_i32_e64 s[0:1], 10, v2
	s_mov_b64 s[14:15], -1
	s_and_saveexec_b64 s[12:13], s[0:1]
; %bb.219:
	v_cmp_eq_u32_e64 s[0:1], 0, v2
	s_orn2_b64 s[14:15], s[0:1], exec
; %bb.220:
	s_or_b64 exec, exec, s[12:13]
	s_and_saveexec_b64 s[12:13], s[14:15]
	s_cbranch_execz .LBB948_228
; %bb.221:
	s_add_i32 s14, s8, 6
	s_cmp_le_u32 s9, s14
	s_cselect_b64 s[0:1], -1, 0
	s_and_b64 s[16:17], s[0:1], exec
	s_cselect_b32 s15, 8, 10
	s_nor_b64 s[16:17], s[0:1], vcc
	v_mov_b32_e32 v2, s15
	s_and_saveexec_b64 s[0:1], s[16:17]
	s_cbranch_execz .LBB948_223
; %bb.222:
	s_sub_i32 s15, s9, s14
	s_min_u32 s15, s15, 6
	s_waitcnt vmcnt(0)
	v_lshrrev_b32_e32 v2, s14, v41
	v_bfe_u32 v2, v2, 0, s15
	v_lshlrev_b32_e32 v42, 2, v1
	v_lshl_or_b32 v2, v2, 4, v42
	v_mov_b32_e32 v42, 1
	ds_add_u32 v2, v42 offset:1024
	v_mov_b32_e32 v2, 0
.LBB948_223:
	s_or_b64 exec, exec, s[0:1]
	v_cmp_gt_i32_e64 s[0:1], 10, v2
	s_mov_b64 s[14:15], -1
	s_and_saveexec_b64 s[16:17], s[0:1]
; %bb.224:
	v_cmp_eq_u32_e64 s[0:1], 0, v2
	s_orn2_b64 s[14:15], s[0:1], exec
; %bb.225:
	s_or_b64 exec, exec, s[16:17]
	s_and_b64 exec, exec, s[14:15]
	s_cbranch_execz .LBB948_228
; %bb.226:
	s_add_i32 s0, s8, 12
	s_cmp_gt_u32 s9, s0
	s_cselect_b64 s[14:15], -1, 0
	s_xor_b64 s[16:17], vcc, -1
	s_and_b64 s[14:15], s[14:15], s[16:17]
	s_and_b64 exec, exec, s[14:15]
	s_cbranch_execz .LBB948_228
; %bb.227:
	s_sub_i32 s1, s9, s0
	s_min_u32 s1, s1, 6
	s_waitcnt vmcnt(0)
	v_lshrrev_b32_e32 v2, s0, v41
	v_bfe_u32 v2, v2, 0, s1
	v_lshlrev_b32_e32 v41, 2, v1
	v_lshl_or_b32 v2, v2, 4, v41
	v_mov_b32_e32 v41, 1
	ds_add_u32 v2, v41 offset:2048
.LBB948_228:
	s_or_b64 exec, exec, s[12:13]
	v_cmp_le_u32_e32 vcc, s11, v40
	s_nor_b64 s[12:13], s[2:3], vcc
	v_mov_b32_e32 v2, s18
	s_and_saveexec_b64 s[0:1], s[12:13]
	s_cbranch_execz .LBB948_230
; %bb.229:
	s_sub_i32 s12, s9, s8
	s_min_u32 s12, s12, 6
	s_waitcnt vmcnt(0)
	v_lshrrev_b32_e32 v2, s8, v38
	v_bfe_u32 v2, v2, 0, s12
	v_lshlrev_b32_e32 v40, 2, v1
	v_lshl_or_b32 v2, v2, 4, v40
	v_mov_b32_e32 v40, 1
	ds_add_u32 v2, v40
	v_mov_b32_e32 v2, 0
.LBB948_230:
	s_or_b64 exec, exec, s[0:1]
	v_cmp_gt_i32_e64 s[0:1], 10, v2
	s_mov_b64 s[14:15], -1
	s_and_saveexec_b64 s[12:13], s[0:1]
; %bb.231:
	v_cmp_eq_u32_e64 s[0:1], 0, v2
	s_orn2_b64 s[14:15], s[0:1], exec
; %bb.232:
	s_or_b64 exec, exec, s[12:13]
	s_and_saveexec_b64 s[12:13], s[14:15]
	s_cbranch_execz .LBB948_240
; %bb.233:
	s_add_i32 s14, s8, 6
	s_cmp_le_u32 s9, s14
	s_cselect_b64 s[0:1], -1, 0
	s_and_b64 s[16:17], s[0:1], exec
	s_cselect_b32 s15, 8, 10
	s_nor_b64 s[16:17], s[0:1], vcc
	v_mov_b32_e32 v2, s15
	s_and_saveexec_b64 s[0:1], s[16:17]
	s_cbranch_execz .LBB948_235
; %bb.234:
	s_sub_i32 s15, s9, s14
	s_min_u32 s15, s15, 6
	s_waitcnt vmcnt(0)
	v_lshrrev_b32_e32 v2, s14, v38
	v_bfe_u32 v2, v2, 0, s15
	v_lshlrev_b32_e32 v40, 2, v1
	v_lshl_or_b32 v2, v2, 4, v40
	v_mov_b32_e32 v40, 1
	ds_add_u32 v2, v40 offset:1024
	v_mov_b32_e32 v2, 0
.LBB948_235:
	s_or_b64 exec, exec, s[0:1]
	v_cmp_gt_i32_e64 s[0:1], 10, v2
	s_mov_b64 s[14:15], -1
	s_and_saveexec_b64 s[16:17], s[0:1]
; %bb.236:
	v_cmp_eq_u32_e64 s[0:1], 0, v2
	s_orn2_b64 s[14:15], s[0:1], exec
; %bb.237:
	s_or_b64 exec, exec, s[16:17]
	s_and_b64 exec, exec, s[14:15]
	s_cbranch_execz .LBB948_240
; %bb.238:
	s_add_i32 s0, s8, 12
	s_cmp_gt_u32 s9, s0
	s_cselect_b64 s[14:15], -1, 0
	s_xor_b64 s[16:17], vcc, -1
	s_and_b64 s[14:15], s[14:15], s[16:17]
	s_and_b64 exec, exec, s[14:15]
	s_cbranch_execz .LBB948_240
; %bb.239:
	s_sub_i32 s1, s9, s0
	s_min_u32 s1, s1, 6
	s_waitcnt vmcnt(0)
	v_lshrrev_b32_e32 v2, s0, v38
	v_bfe_u32 v2, v2, 0, s1
	v_lshlrev_b32_e32 v38, 2, v1
	v_lshl_or_b32 v2, v2, 4, v38
	v_mov_b32_e32 v38, 1
	ds_add_u32 v2, v38 offset:2048
.LBB948_240:
	s_or_b64 exec, exec, s[12:13]
	v_cmp_le_u32_e32 vcc, s11, v39
	s_nor_b64 s[12:13], s[2:3], vcc
	v_mov_b32_e32 v2, s18
	s_and_saveexec_b64 s[0:1], s[12:13]
	s_cbranch_execz .LBB948_242
; %bb.241:
	s_sub_i32 s12, s9, s8
	s_min_u32 s12, s12, 6
	s_waitcnt vmcnt(0)
	v_lshrrev_b32_e32 v2, s8, v37
	v_bfe_u32 v2, v2, 0, s12
	v_lshlrev_b32_e32 v38, 2, v1
	v_lshl_or_b32 v2, v2, 4, v38
	v_mov_b32_e32 v38, 1
	ds_add_u32 v2, v38
	v_mov_b32_e32 v2, 0
.LBB948_242:
	s_or_b64 exec, exec, s[0:1]
	v_cmp_gt_i32_e64 s[0:1], 10, v2
	s_mov_b64 s[14:15], -1
	s_and_saveexec_b64 s[12:13], s[0:1]
; %bb.243:
	v_cmp_eq_u32_e64 s[0:1], 0, v2
	s_orn2_b64 s[14:15], s[0:1], exec
; %bb.244:
	s_or_b64 exec, exec, s[12:13]
	s_and_saveexec_b64 s[12:13], s[14:15]
	s_cbranch_execz .LBB948_252
; %bb.245:
	s_add_i32 s14, s8, 6
	s_cmp_le_u32 s9, s14
	s_cselect_b64 s[0:1], -1, 0
	s_and_b64 s[16:17], s[0:1], exec
	s_cselect_b32 s15, 8, 10
	s_nor_b64 s[16:17], s[0:1], vcc
	v_mov_b32_e32 v2, s15
	s_and_saveexec_b64 s[0:1], s[16:17]
	s_cbranch_execz .LBB948_247
; %bb.246:
	s_sub_i32 s15, s9, s14
	s_min_u32 s15, s15, 6
	s_waitcnt vmcnt(0)
	v_lshrrev_b32_e32 v2, s14, v37
	v_bfe_u32 v2, v2, 0, s15
	v_lshlrev_b32_e32 v38, 2, v1
	v_lshl_or_b32 v2, v2, 4, v38
	v_mov_b32_e32 v38, 1
	ds_add_u32 v2, v38 offset:1024
	v_mov_b32_e32 v2, 0
.LBB948_247:
	s_or_b64 exec, exec, s[0:1]
	v_cmp_gt_i32_e64 s[0:1], 10, v2
	s_mov_b64 s[14:15], -1
	s_and_saveexec_b64 s[16:17], s[0:1]
; %bb.248:
	v_cmp_eq_u32_e64 s[0:1], 0, v2
	s_orn2_b64 s[14:15], s[0:1], exec
; %bb.249:
	s_or_b64 exec, exec, s[16:17]
	s_and_b64 exec, exec, s[14:15]
	s_cbranch_execz .LBB948_252
; %bb.250:
	s_add_i32 s0, s8, 12
	s_cmp_gt_u32 s9, s0
	s_cselect_b64 s[14:15], -1, 0
	s_xor_b64 s[16:17], vcc, -1
	s_and_b64 s[14:15], s[14:15], s[16:17]
	s_and_b64 exec, exec, s[14:15]
	s_cbranch_execz .LBB948_252
; %bb.251:
	s_sub_i32 s1, s9, s0
	s_min_u32 s1, s1, 6
	s_waitcnt vmcnt(0)
	v_lshrrev_b32_e32 v2, s0, v37
	v_bfe_u32 v2, v2, 0, s1
	v_lshlrev_b32_e32 v37, 2, v1
	v_lshl_or_b32 v2, v2, 4, v37
	v_mov_b32_e32 v37, 1
	ds_add_u32 v2, v37 offset:2048
.LBB948_252:
	s_or_b64 exec, exec, s[12:13]
	v_cmp_le_u32_e32 vcc, s11, v36
	s_nor_b64 s[12:13], s[2:3], vcc
	v_mov_b32_e32 v2, s18
	s_and_saveexec_b64 s[0:1], s[12:13]
	s_cbranch_execz .LBB948_254
; %bb.253:
	s_sub_i32 s12, s9, s8
	s_min_u32 s12, s12, 6
	s_waitcnt vmcnt(0)
	v_lshrrev_b32_e32 v2, s8, v34
	v_bfe_u32 v2, v2, 0, s12
	v_lshlrev_b32_e32 v36, 2, v1
	v_lshl_or_b32 v2, v2, 4, v36
	v_mov_b32_e32 v36, 1
	ds_add_u32 v2, v36
	v_mov_b32_e32 v2, 0
.LBB948_254:
	s_or_b64 exec, exec, s[0:1]
	v_cmp_gt_i32_e64 s[0:1], 10, v2
	s_mov_b64 s[14:15], -1
	s_and_saveexec_b64 s[12:13], s[0:1]
; %bb.255:
	v_cmp_eq_u32_e64 s[0:1], 0, v2
	s_orn2_b64 s[14:15], s[0:1], exec
; %bb.256:
	s_or_b64 exec, exec, s[12:13]
	s_and_saveexec_b64 s[12:13], s[14:15]
	s_cbranch_execz .LBB948_264
; %bb.257:
	s_add_i32 s14, s8, 6
	s_cmp_le_u32 s9, s14
	s_cselect_b64 s[0:1], -1, 0
	s_and_b64 s[16:17], s[0:1], exec
	s_cselect_b32 s15, 8, 10
	s_nor_b64 s[16:17], s[0:1], vcc
	v_mov_b32_e32 v2, s15
	s_and_saveexec_b64 s[0:1], s[16:17]
	s_cbranch_execz .LBB948_259
; %bb.258:
	s_sub_i32 s15, s9, s14
	s_min_u32 s15, s15, 6
	s_waitcnt vmcnt(0)
	v_lshrrev_b32_e32 v2, s14, v34
	v_bfe_u32 v2, v2, 0, s15
	v_lshlrev_b32_e32 v36, 2, v1
	v_lshl_or_b32 v2, v2, 4, v36
	v_mov_b32_e32 v36, 1
	ds_add_u32 v2, v36 offset:1024
	v_mov_b32_e32 v2, 0
.LBB948_259:
	s_or_b64 exec, exec, s[0:1]
	v_cmp_gt_i32_e64 s[0:1], 10, v2
	s_mov_b64 s[14:15], -1
	s_and_saveexec_b64 s[16:17], s[0:1]
; %bb.260:
	v_cmp_eq_u32_e64 s[0:1], 0, v2
	s_orn2_b64 s[14:15], s[0:1], exec
; %bb.261:
	s_or_b64 exec, exec, s[16:17]
	s_and_b64 exec, exec, s[14:15]
	s_cbranch_execz .LBB948_264
; %bb.262:
	s_add_i32 s0, s8, 12
	s_cmp_gt_u32 s9, s0
	s_cselect_b64 s[14:15], -1, 0
	s_xor_b64 s[16:17], vcc, -1
	s_and_b64 s[14:15], s[14:15], s[16:17]
	s_and_b64 exec, exec, s[14:15]
	s_cbranch_execz .LBB948_264
; %bb.263:
	s_sub_i32 s1, s9, s0
	s_min_u32 s1, s1, 6
	s_waitcnt vmcnt(0)
	v_lshrrev_b32_e32 v2, s0, v34
	v_bfe_u32 v2, v2, 0, s1
	v_lshlrev_b32_e32 v34, 2, v1
	v_lshl_or_b32 v2, v2, 4, v34
	v_mov_b32_e32 v34, 1
	ds_add_u32 v2, v34 offset:2048
.LBB948_264:
	s_or_b64 exec, exec, s[12:13]
	v_cmp_le_u32_e32 vcc, s11, v35
	s_nor_b64 s[12:13], s[2:3], vcc
	v_mov_b32_e32 v2, s18
	s_and_saveexec_b64 s[0:1], s[12:13]
	s_cbranch_execz .LBB948_266
; %bb.265:
	s_sub_i32 s12, s9, s8
	s_min_u32 s12, s12, 6
	s_waitcnt vmcnt(0)
	v_lshrrev_b32_e32 v2, s8, v33
	v_bfe_u32 v2, v2, 0, s12
	v_lshlrev_b32_e32 v34, 2, v1
	v_lshl_or_b32 v2, v2, 4, v34
	v_mov_b32_e32 v34, 1
	ds_add_u32 v2, v34
	v_mov_b32_e32 v2, 0
.LBB948_266:
	s_or_b64 exec, exec, s[0:1]
	v_cmp_gt_i32_e64 s[0:1], 10, v2
	s_mov_b64 s[14:15], -1
	s_and_saveexec_b64 s[12:13], s[0:1]
; %bb.267:
	v_cmp_eq_u32_e64 s[0:1], 0, v2
	s_orn2_b64 s[14:15], s[0:1], exec
; %bb.268:
	s_or_b64 exec, exec, s[12:13]
	s_and_saveexec_b64 s[12:13], s[14:15]
	s_cbranch_execz .LBB948_276
; %bb.269:
	s_add_i32 s14, s8, 6
	s_cmp_le_u32 s9, s14
	s_cselect_b64 s[0:1], -1, 0
	s_and_b64 s[16:17], s[0:1], exec
	s_cselect_b32 s15, 8, 10
	s_nor_b64 s[16:17], s[0:1], vcc
	v_mov_b32_e32 v2, s15
	s_and_saveexec_b64 s[0:1], s[16:17]
	s_cbranch_execz .LBB948_271
; %bb.270:
	s_sub_i32 s15, s9, s14
	s_min_u32 s15, s15, 6
	s_waitcnt vmcnt(0)
	v_lshrrev_b32_e32 v2, s14, v33
	v_bfe_u32 v2, v2, 0, s15
	v_lshlrev_b32_e32 v34, 2, v1
	v_lshl_or_b32 v2, v2, 4, v34
	v_mov_b32_e32 v34, 1
	ds_add_u32 v2, v34 offset:1024
	v_mov_b32_e32 v2, 0
.LBB948_271:
	s_or_b64 exec, exec, s[0:1]
	v_cmp_gt_i32_e64 s[0:1], 10, v2
	s_mov_b64 s[14:15], -1
	s_and_saveexec_b64 s[16:17], s[0:1]
; %bb.272:
	v_cmp_eq_u32_e64 s[0:1], 0, v2
	s_orn2_b64 s[14:15], s[0:1], exec
; %bb.273:
	s_or_b64 exec, exec, s[16:17]
	s_and_b64 exec, exec, s[14:15]
	s_cbranch_execz .LBB948_276
; %bb.274:
	s_add_i32 s0, s8, 12
	s_cmp_gt_u32 s9, s0
	s_cselect_b64 s[14:15], -1, 0
	s_xor_b64 s[16:17], vcc, -1
	s_and_b64 s[14:15], s[14:15], s[16:17]
	s_and_b64 exec, exec, s[14:15]
	s_cbranch_execz .LBB948_276
; %bb.275:
	s_sub_i32 s1, s9, s0
	s_min_u32 s1, s1, 6
	s_waitcnt vmcnt(0)
	v_lshrrev_b32_e32 v2, s0, v33
	v_bfe_u32 v2, v2, 0, s1
	v_lshlrev_b32_e32 v33, 2, v1
	v_lshl_or_b32 v2, v2, 4, v33
	v_mov_b32_e32 v33, 1
	ds_add_u32 v2, v33 offset:2048
.LBB948_276:
	s_or_b64 exec, exec, s[12:13]
	v_cmp_le_u32_e32 vcc, s11, v32
	s_nor_b64 s[12:13], s[2:3], vcc
	v_mov_b32_e32 v2, s18
	s_and_saveexec_b64 s[0:1], s[12:13]
	s_cbranch_execz .LBB948_278
; %bb.277:
	s_sub_i32 s12, s9, s8
	s_min_u32 s12, s12, 6
	s_waitcnt vmcnt(0)
	v_lshrrev_b32_e32 v2, s8, v30
	v_bfe_u32 v2, v2, 0, s12
	v_lshlrev_b32_e32 v32, 2, v1
	v_lshl_or_b32 v2, v2, 4, v32
	v_mov_b32_e32 v32, 1
	ds_add_u32 v2, v32
	v_mov_b32_e32 v2, 0
.LBB948_278:
	s_or_b64 exec, exec, s[0:1]
	v_cmp_gt_i32_e64 s[0:1], 10, v2
	s_mov_b64 s[14:15], -1
	s_and_saveexec_b64 s[12:13], s[0:1]
; %bb.279:
	v_cmp_eq_u32_e64 s[0:1], 0, v2
	s_orn2_b64 s[14:15], s[0:1], exec
; %bb.280:
	s_or_b64 exec, exec, s[12:13]
	s_and_saveexec_b64 s[12:13], s[14:15]
	s_cbranch_execz .LBB948_288
; %bb.281:
	s_add_i32 s14, s8, 6
	s_cmp_le_u32 s9, s14
	s_cselect_b64 s[0:1], -1, 0
	s_and_b64 s[16:17], s[0:1], exec
	s_cselect_b32 s15, 8, 10
	s_nor_b64 s[16:17], s[0:1], vcc
	v_mov_b32_e32 v2, s15
	s_and_saveexec_b64 s[0:1], s[16:17]
	s_cbranch_execz .LBB948_283
; %bb.282:
	s_sub_i32 s15, s9, s14
	s_min_u32 s15, s15, 6
	s_waitcnt vmcnt(0)
	v_lshrrev_b32_e32 v2, s14, v30
	v_bfe_u32 v2, v2, 0, s15
	v_lshlrev_b32_e32 v32, 2, v1
	v_lshl_or_b32 v2, v2, 4, v32
	v_mov_b32_e32 v32, 1
	ds_add_u32 v2, v32 offset:1024
	v_mov_b32_e32 v2, 0
.LBB948_283:
	s_or_b64 exec, exec, s[0:1]
	v_cmp_gt_i32_e64 s[0:1], 10, v2
	s_mov_b64 s[14:15], -1
	s_and_saveexec_b64 s[16:17], s[0:1]
; %bb.284:
	v_cmp_eq_u32_e64 s[0:1], 0, v2
	s_orn2_b64 s[14:15], s[0:1], exec
; %bb.285:
	s_or_b64 exec, exec, s[16:17]
	s_and_b64 exec, exec, s[14:15]
	s_cbranch_execz .LBB948_288
; %bb.286:
	s_add_i32 s0, s8, 12
	s_cmp_gt_u32 s9, s0
	s_cselect_b64 s[14:15], -1, 0
	s_xor_b64 s[16:17], vcc, -1
	s_and_b64 s[14:15], s[14:15], s[16:17]
	s_and_b64 exec, exec, s[14:15]
	s_cbranch_execz .LBB948_288
; %bb.287:
	s_sub_i32 s1, s9, s0
	s_min_u32 s1, s1, 6
	s_waitcnt vmcnt(0)
	v_lshrrev_b32_e32 v2, s0, v30
	v_bfe_u32 v2, v2, 0, s1
	v_lshlrev_b32_e32 v30, 2, v1
	v_lshl_or_b32 v2, v2, 4, v30
	v_mov_b32_e32 v30, 1
	ds_add_u32 v2, v30 offset:2048
.LBB948_288:
	s_or_b64 exec, exec, s[12:13]
	v_cmp_le_u32_e32 vcc, s11, v31
	s_nor_b64 s[12:13], s[2:3], vcc
	v_mov_b32_e32 v2, s18
	s_and_saveexec_b64 s[0:1], s[12:13]
	s_cbranch_execz .LBB948_290
; %bb.289:
	s_sub_i32 s12, s9, s8
	s_min_u32 s12, s12, 6
	s_waitcnt vmcnt(0)
	v_lshrrev_b32_e32 v2, s8, v29
	v_bfe_u32 v2, v2, 0, s12
	v_lshlrev_b32_e32 v30, 2, v1
	v_lshl_or_b32 v2, v2, 4, v30
	v_mov_b32_e32 v30, 1
	ds_add_u32 v2, v30
	v_mov_b32_e32 v2, 0
.LBB948_290:
	s_or_b64 exec, exec, s[0:1]
	v_cmp_gt_i32_e64 s[0:1], 10, v2
	s_mov_b64 s[14:15], -1
	s_and_saveexec_b64 s[12:13], s[0:1]
; %bb.291:
	v_cmp_eq_u32_e64 s[0:1], 0, v2
	s_orn2_b64 s[14:15], s[0:1], exec
; %bb.292:
	s_or_b64 exec, exec, s[12:13]
	s_and_saveexec_b64 s[12:13], s[14:15]
	s_cbranch_execz .LBB948_300
; %bb.293:
	s_add_i32 s14, s8, 6
	s_cmp_le_u32 s9, s14
	s_cselect_b64 s[0:1], -1, 0
	s_and_b64 s[16:17], s[0:1], exec
	s_cselect_b32 s15, 8, 10
	s_nor_b64 s[16:17], s[0:1], vcc
	v_mov_b32_e32 v2, s15
	s_and_saveexec_b64 s[0:1], s[16:17]
	s_cbranch_execz .LBB948_295
; %bb.294:
	s_sub_i32 s15, s9, s14
	s_min_u32 s15, s15, 6
	s_waitcnt vmcnt(0)
	v_lshrrev_b32_e32 v2, s14, v29
	v_bfe_u32 v2, v2, 0, s15
	v_lshlrev_b32_e32 v30, 2, v1
	v_lshl_or_b32 v2, v2, 4, v30
	v_mov_b32_e32 v30, 1
	ds_add_u32 v2, v30 offset:1024
	v_mov_b32_e32 v2, 0
.LBB948_295:
	s_or_b64 exec, exec, s[0:1]
	v_cmp_gt_i32_e64 s[0:1], 10, v2
	s_mov_b64 s[14:15], -1
	s_and_saveexec_b64 s[16:17], s[0:1]
; %bb.296:
	v_cmp_eq_u32_e64 s[0:1], 0, v2
	s_orn2_b64 s[14:15], s[0:1], exec
; %bb.297:
	s_or_b64 exec, exec, s[16:17]
	s_and_b64 exec, exec, s[14:15]
	s_cbranch_execz .LBB948_300
; %bb.298:
	s_add_i32 s0, s8, 12
	s_cmp_gt_u32 s9, s0
	s_cselect_b64 s[14:15], -1, 0
	s_xor_b64 s[16:17], vcc, -1
	s_and_b64 s[14:15], s[14:15], s[16:17]
	s_and_b64 exec, exec, s[14:15]
	s_cbranch_execz .LBB948_300
; %bb.299:
	s_sub_i32 s1, s9, s0
	s_min_u32 s1, s1, 6
	s_waitcnt vmcnt(0)
	v_lshrrev_b32_e32 v2, s0, v29
	v_bfe_u32 v2, v2, 0, s1
	v_lshlrev_b32_e32 v29, 2, v1
	v_lshl_or_b32 v2, v2, 4, v29
	v_mov_b32_e32 v29, 1
	ds_add_u32 v2, v29 offset:2048
.LBB948_300:
	s_or_b64 exec, exec, s[12:13]
	v_cmp_le_u32_e32 vcc, s11, v28
	s_nor_b64 s[12:13], s[2:3], vcc
	v_mov_b32_e32 v2, s18
	s_and_saveexec_b64 s[0:1], s[12:13]
	s_cbranch_execz .LBB948_302
; %bb.301:
	s_sub_i32 s12, s9, s8
	s_min_u32 s12, s12, 6
	s_waitcnt vmcnt(0)
	v_lshrrev_b32_e32 v2, s8, v26
	v_bfe_u32 v2, v2, 0, s12
	v_lshlrev_b32_e32 v28, 2, v1
	v_lshl_or_b32 v2, v2, 4, v28
	v_mov_b32_e32 v28, 1
	ds_add_u32 v2, v28
	v_mov_b32_e32 v2, 0
.LBB948_302:
	s_or_b64 exec, exec, s[0:1]
	v_cmp_gt_i32_e64 s[0:1], 10, v2
	s_mov_b64 s[14:15], -1
	s_and_saveexec_b64 s[12:13], s[0:1]
; %bb.303:
	v_cmp_eq_u32_e64 s[0:1], 0, v2
	s_orn2_b64 s[14:15], s[0:1], exec
; %bb.304:
	s_or_b64 exec, exec, s[12:13]
	s_and_saveexec_b64 s[12:13], s[14:15]
	s_cbranch_execz .LBB948_312
; %bb.305:
	s_add_i32 s14, s8, 6
	s_cmp_le_u32 s9, s14
	s_cselect_b64 s[0:1], -1, 0
	s_and_b64 s[16:17], s[0:1], exec
	s_cselect_b32 s15, 8, 10
	s_nor_b64 s[16:17], s[0:1], vcc
	v_mov_b32_e32 v2, s15
	s_and_saveexec_b64 s[0:1], s[16:17]
	s_cbranch_execz .LBB948_307
; %bb.306:
	s_sub_i32 s15, s9, s14
	s_min_u32 s15, s15, 6
	s_waitcnt vmcnt(0)
	v_lshrrev_b32_e32 v2, s14, v26
	v_bfe_u32 v2, v2, 0, s15
	v_lshlrev_b32_e32 v28, 2, v1
	v_lshl_or_b32 v2, v2, 4, v28
	v_mov_b32_e32 v28, 1
	ds_add_u32 v2, v28 offset:1024
	v_mov_b32_e32 v2, 0
.LBB948_307:
	s_or_b64 exec, exec, s[0:1]
	v_cmp_gt_i32_e64 s[0:1], 10, v2
	s_mov_b64 s[14:15], -1
	s_and_saveexec_b64 s[16:17], s[0:1]
; %bb.308:
	v_cmp_eq_u32_e64 s[0:1], 0, v2
	s_orn2_b64 s[14:15], s[0:1], exec
; %bb.309:
	s_or_b64 exec, exec, s[16:17]
	s_and_b64 exec, exec, s[14:15]
	s_cbranch_execz .LBB948_312
; %bb.310:
	s_add_i32 s0, s8, 12
	s_cmp_gt_u32 s9, s0
	s_cselect_b64 s[14:15], -1, 0
	s_xor_b64 s[16:17], vcc, -1
	s_and_b64 s[14:15], s[14:15], s[16:17]
	s_and_b64 exec, exec, s[14:15]
	s_cbranch_execz .LBB948_312
; %bb.311:
	s_sub_i32 s1, s9, s0
	s_min_u32 s1, s1, 6
	s_waitcnt vmcnt(0)
	v_lshrrev_b32_e32 v2, s0, v26
	v_bfe_u32 v2, v2, 0, s1
	v_lshlrev_b32_e32 v26, 2, v1
	v_lshl_or_b32 v2, v2, 4, v26
	v_mov_b32_e32 v26, 1
	ds_add_u32 v2, v26 offset:2048
.LBB948_312:
	s_or_b64 exec, exec, s[12:13]
	v_cmp_le_u32_e32 vcc, s11, v27
	s_nor_b64 s[12:13], s[2:3], vcc
	v_mov_b32_e32 v2, s18
	s_and_saveexec_b64 s[0:1], s[12:13]
	s_cbranch_execz .LBB948_314
; %bb.313:
	s_sub_i32 s12, s9, s8
	s_min_u32 s12, s12, 6
	s_waitcnt vmcnt(0)
	v_lshrrev_b32_e32 v2, s8, v25
	v_bfe_u32 v2, v2, 0, s12
	v_lshlrev_b32_e32 v26, 2, v1
	v_lshl_or_b32 v2, v2, 4, v26
	v_mov_b32_e32 v26, 1
	ds_add_u32 v2, v26
	v_mov_b32_e32 v2, 0
.LBB948_314:
	s_or_b64 exec, exec, s[0:1]
	v_cmp_gt_i32_e64 s[0:1], 10, v2
	s_mov_b64 s[14:15], -1
	s_and_saveexec_b64 s[12:13], s[0:1]
; %bb.315:
	v_cmp_eq_u32_e64 s[0:1], 0, v2
	s_orn2_b64 s[14:15], s[0:1], exec
; %bb.316:
	s_or_b64 exec, exec, s[12:13]
	s_and_saveexec_b64 s[12:13], s[14:15]
	s_cbranch_execz .LBB948_324
; %bb.317:
	s_add_i32 s14, s8, 6
	s_cmp_le_u32 s9, s14
	s_cselect_b64 s[0:1], -1, 0
	s_and_b64 s[16:17], s[0:1], exec
	s_cselect_b32 s15, 8, 10
	s_nor_b64 s[16:17], s[0:1], vcc
	v_mov_b32_e32 v2, s15
	s_and_saveexec_b64 s[0:1], s[16:17]
	s_cbranch_execz .LBB948_319
; %bb.318:
	s_sub_i32 s15, s9, s14
	s_min_u32 s15, s15, 6
	s_waitcnt vmcnt(0)
	v_lshrrev_b32_e32 v2, s14, v25
	v_bfe_u32 v2, v2, 0, s15
	v_lshlrev_b32_e32 v26, 2, v1
	v_lshl_or_b32 v2, v2, 4, v26
	v_mov_b32_e32 v26, 1
	ds_add_u32 v2, v26 offset:1024
	v_mov_b32_e32 v2, 0
.LBB948_319:
	s_or_b64 exec, exec, s[0:1]
	v_cmp_gt_i32_e64 s[0:1], 10, v2
	s_mov_b64 s[14:15], -1
	s_and_saveexec_b64 s[16:17], s[0:1]
; %bb.320:
	v_cmp_eq_u32_e64 s[0:1], 0, v2
	s_orn2_b64 s[14:15], s[0:1], exec
; %bb.321:
	s_or_b64 exec, exec, s[16:17]
	s_and_b64 exec, exec, s[14:15]
	s_cbranch_execz .LBB948_324
; %bb.322:
	s_add_i32 s0, s8, 12
	s_cmp_gt_u32 s9, s0
	s_cselect_b64 s[14:15], -1, 0
	s_xor_b64 s[16:17], vcc, -1
	s_and_b64 s[14:15], s[14:15], s[16:17]
	s_and_b64 exec, exec, s[14:15]
	s_cbranch_execz .LBB948_324
; %bb.323:
	s_sub_i32 s1, s9, s0
	s_min_u32 s1, s1, 6
	s_waitcnt vmcnt(0)
	v_lshrrev_b32_e32 v2, s0, v25
	v_bfe_u32 v2, v2, 0, s1
	v_lshlrev_b32_e32 v25, 2, v1
	v_lshl_or_b32 v2, v2, 4, v25
	v_mov_b32_e32 v25, 1
	ds_add_u32 v2, v25 offset:2048
.LBB948_324:
	s_or_b64 exec, exec, s[12:13]
	v_cmp_le_u32_e32 vcc, s11, v24
	s_nor_b64 s[12:13], s[2:3], vcc
	v_mov_b32_e32 v2, s18
	s_and_saveexec_b64 s[0:1], s[12:13]
	s_cbranch_execz .LBB948_326
; %bb.325:
	s_sub_i32 s12, s9, s8
	s_min_u32 s12, s12, 6
	s_waitcnt vmcnt(0)
	v_lshrrev_b32_e32 v2, s8, v22
	v_bfe_u32 v2, v2, 0, s12
	v_lshlrev_b32_e32 v24, 2, v1
	v_lshl_or_b32 v2, v2, 4, v24
	v_mov_b32_e32 v24, 1
	ds_add_u32 v2, v24
	v_mov_b32_e32 v2, 0
.LBB948_326:
	s_or_b64 exec, exec, s[0:1]
	v_cmp_gt_i32_e64 s[0:1], 10, v2
	s_mov_b64 s[14:15], -1
	s_and_saveexec_b64 s[12:13], s[0:1]
; %bb.327:
	v_cmp_eq_u32_e64 s[0:1], 0, v2
	s_orn2_b64 s[14:15], s[0:1], exec
; %bb.328:
	s_or_b64 exec, exec, s[12:13]
	s_and_saveexec_b64 s[12:13], s[14:15]
	s_cbranch_execz .LBB948_336
; %bb.329:
	s_add_i32 s14, s8, 6
	s_cmp_le_u32 s9, s14
	s_cselect_b64 s[0:1], -1, 0
	s_and_b64 s[16:17], s[0:1], exec
	s_cselect_b32 s15, 8, 10
	s_nor_b64 s[16:17], s[0:1], vcc
	v_mov_b32_e32 v2, s15
	s_and_saveexec_b64 s[0:1], s[16:17]
	s_cbranch_execz .LBB948_331
; %bb.330:
	s_sub_i32 s15, s9, s14
	s_min_u32 s15, s15, 6
	s_waitcnt vmcnt(0)
	v_lshrrev_b32_e32 v2, s14, v22
	v_bfe_u32 v2, v2, 0, s15
	v_lshlrev_b32_e32 v24, 2, v1
	v_lshl_or_b32 v2, v2, 4, v24
	v_mov_b32_e32 v24, 1
	ds_add_u32 v2, v24 offset:1024
	v_mov_b32_e32 v2, 0
.LBB948_331:
	s_or_b64 exec, exec, s[0:1]
	v_cmp_gt_i32_e64 s[0:1], 10, v2
	s_mov_b64 s[14:15], -1
	s_and_saveexec_b64 s[16:17], s[0:1]
; %bb.332:
	v_cmp_eq_u32_e64 s[0:1], 0, v2
	s_orn2_b64 s[14:15], s[0:1], exec
; %bb.333:
	s_or_b64 exec, exec, s[16:17]
	s_and_b64 exec, exec, s[14:15]
	s_cbranch_execz .LBB948_336
; %bb.334:
	s_add_i32 s0, s8, 12
	s_cmp_gt_u32 s9, s0
	s_cselect_b64 s[14:15], -1, 0
	s_xor_b64 s[16:17], vcc, -1
	s_and_b64 s[14:15], s[14:15], s[16:17]
	s_and_b64 exec, exec, s[14:15]
	s_cbranch_execz .LBB948_336
; %bb.335:
	s_sub_i32 s1, s9, s0
	s_min_u32 s1, s1, 6
	s_waitcnt vmcnt(0)
	v_lshrrev_b32_e32 v2, s0, v22
	v_bfe_u32 v2, v2, 0, s1
	v_lshlrev_b32_e32 v22, 2, v1
	v_lshl_or_b32 v2, v2, 4, v22
	v_mov_b32_e32 v22, 1
	ds_add_u32 v2, v22 offset:2048
.LBB948_336:
	s_or_b64 exec, exec, s[12:13]
	v_cmp_le_u32_e32 vcc, s11, v23
	s_nor_b64 s[12:13], s[2:3], vcc
	v_mov_b32_e32 v2, s18
	s_and_saveexec_b64 s[0:1], s[12:13]
	s_cbranch_execz .LBB948_338
; %bb.337:
	s_sub_i32 s12, s9, s8
	s_min_u32 s12, s12, 6
	s_waitcnt vmcnt(0)
	v_lshrrev_b32_e32 v2, s8, v21
	v_bfe_u32 v2, v2, 0, s12
	v_lshlrev_b32_e32 v22, 2, v1
	v_lshl_or_b32 v2, v2, 4, v22
	v_mov_b32_e32 v22, 1
	ds_add_u32 v2, v22
	v_mov_b32_e32 v2, 0
.LBB948_338:
	s_or_b64 exec, exec, s[0:1]
	v_cmp_gt_i32_e64 s[0:1], 10, v2
	s_mov_b64 s[14:15], -1
	s_and_saveexec_b64 s[12:13], s[0:1]
; %bb.339:
	v_cmp_eq_u32_e64 s[0:1], 0, v2
	s_orn2_b64 s[14:15], s[0:1], exec
; %bb.340:
	s_or_b64 exec, exec, s[12:13]
	s_and_saveexec_b64 s[12:13], s[14:15]
	s_cbranch_execz .LBB948_348
; %bb.341:
	s_add_i32 s14, s8, 6
	s_cmp_le_u32 s9, s14
	s_cselect_b64 s[0:1], -1, 0
	s_and_b64 s[16:17], s[0:1], exec
	s_cselect_b32 s15, 8, 10
	s_nor_b64 s[16:17], s[0:1], vcc
	v_mov_b32_e32 v2, s15
	s_and_saveexec_b64 s[0:1], s[16:17]
	s_cbranch_execz .LBB948_343
; %bb.342:
	s_sub_i32 s15, s9, s14
	s_min_u32 s15, s15, 6
	s_waitcnt vmcnt(0)
	v_lshrrev_b32_e32 v2, s14, v21
	v_bfe_u32 v2, v2, 0, s15
	v_lshlrev_b32_e32 v22, 2, v1
	v_lshl_or_b32 v2, v2, 4, v22
	v_mov_b32_e32 v22, 1
	ds_add_u32 v2, v22 offset:1024
	v_mov_b32_e32 v2, 0
.LBB948_343:
	s_or_b64 exec, exec, s[0:1]
	v_cmp_gt_i32_e64 s[0:1], 10, v2
	s_mov_b64 s[14:15], -1
	s_and_saveexec_b64 s[16:17], s[0:1]
; %bb.344:
	v_cmp_eq_u32_e64 s[0:1], 0, v2
	s_orn2_b64 s[14:15], s[0:1], exec
; %bb.345:
	s_or_b64 exec, exec, s[16:17]
	s_and_b64 exec, exec, s[14:15]
	s_cbranch_execz .LBB948_348
; %bb.346:
	s_add_i32 s0, s8, 12
	s_cmp_gt_u32 s9, s0
	s_cselect_b64 s[14:15], -1, 0
	s_xor_b64 s[16:17], vcc, -1
	s_and_b64 s[14:15], s[14:15], s[16:17]
	s_and_b64 exec, exec, s[14:15]
	s_cbranch_execz .LBB948_348
; %bb.347:
	s_sub_i32 s1, s9, s0
	s_min_u32 s1, s1, 6
	s_waitcnt vmcnt(0)
	v_lshrrev_b32_e32 v2, s0, v21
	v_bfe_u32 v2, v2, 0, s1
	v_lshlrev_b32_e32 v21, 2, v1
	v_lshl_or_b32 v2, v2, 4, v21
	v_mov_b32_e32 v21, 1
	ds_add_u32 v2, v21 offset:2048
.LBB948_348:
	s_or_b64 exec, exec, s[12:13]
	v_cmp_le_u32_e32 vcc, s11, v20
	s_nor_b64 s[12:13], s[2:3], vcc
	v_mov_b32_e32 v2, s18
	s_and_saveexec_b64 s[0:1], s[12:13]
	s_cbranch_execz .LBB948_350
; %bb.349:
	s_sub_i32 s12, s9, s8
	s_min_u32 s12, s12, 6
	s_waitcnt vmcnt(0)
	v_lshrrev_b32_e32 v2, s8, v18
	v_bfe_u32 v2, v2, 0, s12
	v_lshlrev_b32_e32 v20, 2, v1
	v_lshl_or_b32 v2, v2, 4, v20
	v_mov_b32_e32 v20, 1
	ds_add_u32 v2, v20
	v_mov_b32_e32 v2, 0
.LBB948_350:
	s_or_b64 exec, exec, s[0:1]
	v_cmp_gt_i32_e64 s[0:1], 10, v2
	s_mov_b64 s[14:15], -1
	s_and_saveexec_b64 s[12:13], s[0:1]
; %bb.351:
	v_cmp_eq_u32_e64 s[0:1], 0, v2
	s_orn2_b64 s[14:15], s[0:1], exec
; %bb.352:
	s_or_b64 exec, exec, s[12:13]
	s_and_saveexec_b64 s[12:13], s[14:15]
	s_cbranch_execz .LBB948_360
; %bb.353:
	s_add_i32 s14, s8, 6
	s_cmp_le_u32 s9, s14
	s_cselect_b64 s[0:1], -1, 0
	s_and_b64 s[16:17], s[0:1], exec
	s_cselect_b32 s15, 8, 10
	s_nor_b64 s[16:17], s[0:1], vcc
	v_mov_b32_e32 v2, s15
	s_and_saveexec_b64 s[0:1], s[16:17]
	s_cbranch_execz .LBB948_355
; %bb.354:
	s_sub_i32 s15, s9, s14
	s_min_u32 s15, s15, 6
	s_waitcnt vmcnt(0)
	v_lshrrev_b32_e32 v2, s14, v18
	v_bfe_u32 v2, v2, 0, s15
	v_lshlrev_b32_e32 v20, 2, v1
	v_lshl_or_b32 v2, v2, 4, v20
	v_mov_b32_e32 v20, 1
	ds_add_u32 v2, v20 offset:1024
	v_mov_b32_e32 v2, 0
.LBB948_355:
	s_or_b64 exec, exec, s[0:1]
	v_cmp_gt_i32_e64 s[0:1], 10, v2
	s_mov_b64 s[14:15], -1
	s_and_saveexec_b64 s[16:17], s[0:1]
; %bb.356:
	v_cmp_eq_u32_e64 s[0:1], 0, v2
	s_orn2_b64 s[14:15], s[0:1], exec
; %bb.357:
	s_or_b64 exec, exec, s[16:17]
	s_and_b64 exec, exec, s[14:15]
	s_cbranch_execz .LBB948_360
; %bb.358:
	s_add_i32 s0, s8, 12
	s_cmp_gt_u32 s9, s0
	s_cselect_b64 s[14:15], -1, 0
	s_xor_b64 s[16:17], vcc, -1
	s_and_b64 s[14:15], s[14:15], s[16:17]
	s_and_b64 exec, exec, s[14:15]
	s_cbranch_execz .LBB948_360
; %bb.359:
	s_sub_i32 s1, s9, s0
	s_min_u32 s1, s1, 6
	s_waitcnt vmcnt(0)
	v_lshrrev_b32_e32 v2, s0, v18
	v_bfe_u32 v2, v2, 0, s1
	v_lshlrev_b32_e32 v18, 2, v1
	v_lshl_or_b32 v2, v2, 4, v18
	v_mov_b32_e32 v18, 1
	ds_add_u32 v2, v18 offset:2048
.LBB948_360:
	s_or_b64 exec, exec, s[12:13]
	v_cmp_le_u32_e32 vcc, s11, v19
	s_nor_b64 s[12:13], s[2:3], vcc
	v_mov_b32_e32 v2, s18
	s_and_saveexec_b64 s[0:1], s[12:13]
	s_cbranch_execz .LBB948_362
; %bb.361:
	s_sub_i32 s12, s9, s8
	s_min_u32 s12, s12, 6
	s_waitcnt vmcnt(0)
	v_lshrrev_b32_e32 v2, s8, v17
	v_bfe_u32 v2, v2, 0, s12
	v_lshlrev_b32_e32 v18, 2, v1
	v_lshl_or_b32 v2, v2, 4, v18
	v_mov_b32_e32 v18, 1
	ds_add_u32 v2, v18
	v_mov_b32_e32 v2, 0
.LBB948_362:
	s_or_b64 exec, exec, s[0:1]
	v_cmp_gt_i32_e64 s[0:1], 10, v2
	s_mov_b64 s[14:15], -1
	s_and_saveexec_b64 s[12:13], s[0:1]
; %bb.363:
	v_cmp_eq_u32_e64 s[0:1], 0, v2
	s_orn2_b64 s[14:15], s[0:1], exec
; %bb.364:
	s_or_b64 exec, exec, s[12:13]
	s_and_saveexec_b64 s[12:13], s[14:15]
	s_cbranch_execz .LBB948_372
; %bb.365:
	s_add_i32 s14, s8, 6
	s_cmp_le_u32 s9, s14
	s_cselect_b64 s[0:1], -1, 0
	s_and_b64 s[16:17], s[0:1], exec
	s_cselect_b32 s15, 8, 10
	s_nor_b64 s[16:17], s[0:1], vcc
	v_mov_b32_e32 v2, s15
	s_and_saveexec_b64 s[0:1], s[16:17]
	s_cbranch_execz .LBB948_367
; %bb.366:
	s_sub_i32 s15, s9, s14
	s_min_u32 s15, s15, 6
	s_waitcnt vmcnt(0)
	v_lshrrev_b32_e32 v2, s14, v17
	v_bfe_u32 v2, v2, 0, s15
	v_lshlrev_b32_e32 v18, 2, v1
	v_lshl_or_b32 v2, v2, 4, v18
	v_mov_b32_e32 v18, 1
	ds_add_u32 v2, v18 offset:1024
	v_mov_b32_e32 v2, 0
.LBB948_367:
	s_or_b64 exec, exec, s[0:1]
	v_cmp_gt_i32_e64 s[0:1], 10, v2
	s_mov_b64 s[14:15], -1
	s_and_saveexec_b64 s[16:17], s[0:1]
; %bb.368:
	v_cmp_eq_u32_e64 s[0:1], 0, v2
	s_orn2_b64 s[14:15], s[0:1], exec
; %bb.369:
	s_or_b64 exec, exec, s[16:17]
	s_and_b64 exec, exec, s[14:15]
	s_cbranch_execz .LBB948_372
; %bb.370:
	s_add_i32 s0, s8, 12
	s_cmp_gt_u32 s9, s0
	s_cselect_b64 s[14:15], -1, 0
	s_xor_b64 s[16:17], vcc, -1
	s_and_b64 s[14:15], s[14:15], s[16:17]
	s_and_b64 exec, exec, s[14:15]
	s_cbranch_execz .LBB948_372
; %bb.371:
	s_sub_i32 s1, s9, s0
	s_min_u32 s1, s1, 6
	s_waitcnt vmcnt(0)
	v_lshrrev_b32_e32 v2, s0, v17
	v_bfe_u32 v2, v2, 0, s1
	v_lshlrev_b32_e32 v17, 2, v1
	v_lshl_or_b32 v2, v2, 4, v17
	v_mov_b32_e32 v17, 1
	ds_add_u32 v2, v17 offset:2048
.LBB948_372:
	s_or_b64 exec, exec, s[12:13]
	v_cmp_le_u32_e32 vcc, s11, v16
	s_nor_b64 s[12:13], s[2:3], vcc
	v_mov_b32_e32 v2, s18
	s_and_saveexec_b64 s[0:1], s[12:13]
	s_cbranch_execz .LBB948_374
; %bb.373:
	s_sub_i32 s12, s9, s8
	s_min_u32 s12, s12, 6
	s_waitcnt vmcnt(0)
	v_lshrrev_b32_e32 v2, s8, v14
	v_bfe_u32 v2, v2, 0, s12
	v_lshlrev_b32_e32 v16, 2, v1
	v_lshl_or_b32 v2, v2, 4, v16
	v_mov_b32_e32 v16, 1
	ds_add_u32 v2, v16
	v_mov_b32_e32 v2, 0
.LBB948_374:
	s_or_b64 exec, exec, s[0:1]
	v_cmp_gt_i32_e64 s[0:1], 10, v2
	s_mov_b64 s[14:15], -1
	s_and_saveexec_b64 s[12:13], s[0:1]
; %bb.375:
	v_cmp_eq_u32_e64 s[0:1], 0, v2
	s_orn2_b64 s[14:15], s[0:1], exec
; %bb.376:
	s_or_b64 exec, exec, s[12:13]
	s_and_saveexec_b64 s[12:13], s[14:15]
	s_cbranch_execz .LBB948_384
; %bb.377:
	s_add_i32 s14, s8, 6
	s_cmp_le_u32 s9, s14
	s_cselect_b64 s[0:1], -1, 0
	s_and_b64 s[16:17], s[0:1], exec
	s_cselect_b32 s15, 8, 10
	s_nor_b64 s[16:17], s[0:1], vcc
	v_mov_b32_e32 v2, s15
	s_and_saveexec_b64 s[0:1], s[16:17]
	s_cbranch_execz .LBB948_379
; %bb.378:
	s_sub_i32 s15, s9, s14
	s_min_u32 s15, s15, 6
	s_waitcnt vmcnt(0)
	v_lshrrev_b32_e32 v2, s14, v14
	v_bfe_u32 v2, v2, 0, s15
	v_lshlrev_b32_e32 v16, 2, v1
	v_lshl_or_b32 v2, v2, 4, v16
	v_mov_b32_e32 v16, 1
	ds_add_u32 v2, v16 offset:1024
	v_mov_b32_e32 v2, 0
.LBB948_379:
	s_or_b64 exec, exec, s[0:1]
	v_cmp_gt_i32_e64 s[0:1], 10, v2
	s_mov_b64 s[14:15], -1
	s_and_saveexec_b64 s[16:17], s[0:1]
; %bb.380:
	v_cmp_eq_u32_e64 s[0:1], 0, v2
	s_orn2_b64 s[14:15], s[0:1], exec
; %bb.381:
	s_or_b64 exec, exec, s[16:17]
	s_and_b64 exec, exec, s[14:15]
	s_cbranch_execz .LBB948_384
; %bb.382:
	s_add_i32 s0, s8, 12
	s_cmp_gt_u32 s9, s0
	s_cselect_b64 s[14:15], -1, 0
	s_xor_b64 s[16:17], vcc, -1
	s_and_b64 s[14:15], s[14:15], s[16:17]
	s_and_b64 exec, exec, s[14:15]
	s_cbranch_execz .LBB948_384
; %bb.383:
	s_sub_i32 s1, s9, s0
	s_min_u32 s1, s1, 6
	s_waitcnt vmcnt(0)
	v_lshrrev_b32_e32 v2, s0, v14
	v_bfe_u32 v2, v2, 0, s1
	v_lshlrev_b32_e32 v14, 2, v1
	v_lshl_or_b32 v2, v2, 4, v14
	v_mov_b32_e32 v14, 1
	ds_add_u32 v2, v14 offset:2048
.LBB948_384:
	s_or_b64 exec, exec, s[12:13]
	v_cmp_le_u32_e32 vcc, s11, v15
	s_nor_b64 s[12:13], s[2:3], vcc
	v_mov_b32_e32 v2, s18
	s_and_saveexec_b64 s[0:1], s[12:13]
	s_cbranch_execz .LBB948_386
; %bb.385:
	s_sub_i32 s12, s9, s8
	s_min_u32 s12, s12, 6
	s_waitcnt vmcnt(0)
	v_lshrrev_b32_e32 v2, s8, v13
	v_bfe_u32 v2, v2, 0, s12
	v_lshlrev_b32_e32 v14, 2, v1
	v_lshl_or_b32 v2, v2, 4, v14
	v_mov_b32_e32 v14, 1
	ds_add_u32 v2, v14
	v_mov_b32_e32 v2, 0
.LBB948_386:
	s_or_b64 exec, exec, s[0:1]
	v_cmp_gt_i32_e64 s[0:1], 10, v2
	s_mov_b64 s[14:15], -1
	s_and_saveexec_b64 s[12:13], s[0:1]
; %bb.387:
	v_cmp_eq_u32_e64 s[0:1], 0, v2
	s_orn2_b64 s[14:15], s[0:1], exec
; %bb.388:
	s_or_b64 exec, exec, s[12:13]
	s_and_saveexec_b64 s[12:13], s[14:15]
	s_cbranch_execz .LBB948_396
; %bb.389:
	s_add_i32 s14, s8, 6
	s_cmp_le_u32 s9, s14
	s_cselect_b64 s[0:1], -1, 0
	s_and_b64 s[16:17], s[0:1], exec
	s_cselect_b32 s15, 8, 10
	s_nor_b64 s[16:17], s[0:1], vcc
	v_mov_b32_e32 v2, s15
	s_and_saveexec_b64 s[0:1], s[16:17]
	s_cbranch_execz .LBB948_391
; %bb.390:
	s_sub_i32 s15, s9, s14
	s_min_u32 s15, s15, 6
	s_waitcnt vmcnt(0)
	v_lshrrev_b32_e32 v2, s14, v13
	v_bfe_u32 v2, v2, 0, s15
	v_lshlrev_b32_e32 v14, 2, v1
	v_lshl_or_b32 v2, v2, 4, v14
	v_mov_b32_e32 v14, 1
	ds_add_u32 v2, v14 offset:1024
	v_mov_b32_e32 v2, 0
.LBB948_391:
	s_or_b64 exec, exec, s[0:1]
	v_cmp_gt_i32_e64 s[0:1], 10, v2
	s_mov_b64 s[14:15], -1
	s_and_saveexec_b64 s[16:17], s[0:1]
; %bb.392:
	v_cmp_eq_u32_e64 s[0:1], 0, v2
	s_orn2_b64 s[14:15], s[0:1], exec
; %bb.393:
	s_or_b64 exec, exec, s[16:17]
	s_and_b64 exec, exec, s[14:15]
	s_cbranch_execz .LBB948_396
; %bb.394:
	s_add_i32 s0, s8, 12
	s_cmp_gt_u32 s9, s0
	s_cselect_b64 s[14:15], -1, 0
	s_xor_b64 s[16:17], vcc, -1
	s_and_b64 s[14:15], s[14:15], s[16:17]
	s_and_b64 exec, exec, s[14:15]
	s_cbranch_execz .LBB948_396
; %bb.395:
	s_sub_i32 s1, s9, s0
	s_min_u32 s1, s1, 6
	s_waitcnt vmcnt(0)
	v_lshrrev_b32_e32 v2, s0, v13
	v_bfe_u32 v2, v2, 0, s1
	v_lshlrev_b32_e32 v13, 2, v1
	v_lshl_or_b32 v2, v2, 4, v13
	v_mov_b32_e32 v13, 1
	ds_add_u32 v2, v13 offset:2048
.LBB948_396:
	s_or_b64 exec, exec, s[12:13]
	v_cmp_le_u32_e32 vcc, s11, v12
	s_nor_b64 s[12:13], s[2:3], vcc
	v_mov_b32_e32 v2, s18
	s_and_saveexec_b64 s[0:1], s[12:13]
	s_cbranch_execz .LBB948_398
; %bb.397:
	s_sub_i32 s12, s9, s8
	s_min_u32 s12, s12, 6
	s_waitcnt vmcnt(0)
	v_lshrrev_b32_e32 v2, s8, v10
	v_bfe_u32 v2, v2, 0, s12
	v_lshlrev_b32_e32 v12, 2, v1
	v_lshl_or_b32 v2, v2, 4, v12
	v_mov_b32_e32 v12, 1
	ds_add_u32 v2, v12
	v_mov_b32_e32 v2, 0
.LBB948_398:
	s_or_b64 exec, exec, s[0:1]
	v_cmp_gt_i32_e64 s[0:1], 10, v2
	s_mov_b64 s[14:15], -1
	s_and_saveexec_b64 s[12:13], s[0:1]
; %bb.399:
	v_cmp_eq_u32_e64 s[0:1], 0, v2
	s_orn2_b64 s[14:15], s[0:1], exec
; %bb.400:
	s_or_b64 exec, exec, s[12:13]
	s_and_saveexec_b64 s[12:13], s[14:15]
	s_cbranch_execz .LBB948_408
; %bb.401:
	s_add_i32 s14, s8, 6
	s_cmp_le_u32 s9, s14
	s_cselect_b64 s[0:1], -1, 0
	s_and_b64 s[16:17], s[0:1], exec
	s_cselect_b32 s15, 8, 10
	s_nor_b64 s[16:17], s[0:1], vcc
	v_mov_b32_e32 v2, s15
	s_and_saveexec_b64 s[0:1], s[16:17]
	s_cbranch_execz .LBB948_403
; %bb.402:
	s_sub_i32 s15, s9, s14
	s_min_u32 s15, s15, 6
	s_waitcnt vmcnt(0)
	v_lshrrev_b32_e32 v2, s14, v10
	v_bfe_u32 v2, v2, 0, s15
	v_lshlrev_b32_e32 v12, 2, v1
	v_lshl_or_b32 v2, v2, 4, v12
	v_mov_b32_e32 v12, 1
	ds_add_u32 v2, v12 offset:1024
	v_mov_b32_e32 v2, 0
.LBB948_403:
	s_or_b64 exec, exec, s[0:1]
	v_cmp_gt_i32_e64 s[0:1], 10, v2
	s_mov_b64 s[14:15], -1
	s_and_saveexec_b64 s[16:17], s[0:1]
; %bb.404:
	v_cmp_eq_u32_e64 s[0:1], 0, v2
	s_orn2_b64 s[14:15], s[0:1], exec
; %bb.405:
	s_or_b64 exec, exec, s[16:17]
	s_and_b64 exec, exec, s[14:15]
	s_cbranch_execz .LBB948_408
; %bb.406:
	s_add_i32 s0, s8, 12
	s_cmp_gt_u32 s9, s0
	s_cselect_b64 s[14:15], -1, 0
	s_xor_b64 s[16:17], vcc, -1
	s_and_b64 s[14:15], s[14:15], s[16:17]
	s_and_b64 exec, exec, s[14:15]
	s_cbranch_execz .LBB948_408
; %bb.407:
	s_sub_i32 s1, s9, s0
	s_min_u32 s1, s1, 6
	s_waitcnt vmcnt(0)
	v_lshrrev_b32_e32 v2, s0, v10
	v_bfe_u32 v2, v2, 0, s1
	v_lshlrev_b32_e32 v10, 2, v1
	v_lshl_or_b32 v2, v2, 4, v10
	v_mov_b32_e32 v10, 1
	ds_add_u32 v2, v10 offset:2048
.LBB948_408:
	s_or_b64 exec, exec, s[12:13]
	v_cmp_le_u32_e32 vcc, s11, v11
	s_nor_b64 s[12:13], s[2:3], vcc
	v_mov_b32_e32 v2, s18
	s_and_saveexec_b64 s[0:1], s[12:13]
	s_cbranch_execz .LBB948_410
; %bb.409:
	s_sub_i32 s12, s9, s8
	s_min_u32 s12, s12, 6
	s_waitcnt vmcnt(0)
	v_lshrrev_b32_e32 v2, s8, v9
	v_bfe_u32 v2, v2, 0, s12
	v_lshlrev_b32_e32 v10, 2, v1
	v_lshl_or_b32 v2, v2, 4, v10
	v_mov_b32_e32 v10, 1
	ds_add_u32 v2, v10
	v_mov_b32_e32 v2, 0
.LBB948_410:
	s_or_b64 exec, exec, s[0:1]
	v_cmp_gt_i32_e64 s[0:1], 10, v2
	s_mov_b64 s[14:15], -1
	s_and_saveexec_b64 s[12:13], s[0:1]
; %bb.411:
	v_cmp_eq_u32_e64 s[0:1], 0, v2
	s_orn2_b64 s[14:15], s[0:1], exec
; %bb.412:
	s_or_b64 exec, exec, s[12:13]
	s_and_saveexec_b64 s[12:13], s[14:15]
	s_cbranch_execz .LBB948_420
; %bb.413:
	s_add_i32 s14, s8, 6
	s_cmp_le_u32 s9, s14
	s_cselect_b64 s[0:1], -1, 0
	s_and_b64 s[16:17], s[0:1], exec
	s_cselect_b32 s15, 8, 10
	s_nor_b64 s[16:17], s[0:1], vcc
	v_mov_b32_e32 v2, s15
	s_and_saveexec_b64 s[0:1], s[16:17]
	s_cbranch_execz .LBB948_415
; %bb.414:
	s_sub_i32 s15, s9, s14
	s_min_u32 s15, s15, 6
	s_waitcnt vmcnt(0)
	v_lshrrev_b32_e32 v2, s14, v9
	v_bfe_u32 v2, v2, 0, s15
	v_lshlrev_b32_e32 v10, 2, v1
	v_lshl_or_b32 v2, v2, 4, v10
	v_mov_b32_e32 v10, 1
	ds_add_u32 v2, v10 offset:1024
	v_mov_b32_e32 v2, 0
.LBB948_415:
	s_or_b64 exec, exec, s[0:1]
	v_cmp_gt_i32_e64 s[0:1], 10, v2
	s_mov_b64 s[14:15], -1
	s_and_saveexec_b64 s[16:17], s[0:1]
; %bb.416:
	v_cmp_eq_u32_e64 s[0:1], 0, v2
	s_orn2_b64 s[14:15], s[0:1], exec
; %bb.417:
	s_or_b64 exec, exec, s[16:17]
	s_and_b64 exec, exec, s[14:15]
	s_cbranch_execz .LBB948_420
; %bb.418:
	s_add_i32 s0, s8, 12
	s_cmp_gt_u32 s9, s0
	s_cselect_b64 s[14:15], -1, 0
	s_xor_b64 s[16:17], vcc, -1
	s_and_b64 s[14:15], s[14:15], s[16:17]
	s_and_b64 exec, exec, s[14:15]
	s_cbranch_execz .LBB948_420
; %bb.419:
	s_sub_i32 s1, s9, s0
	s_min_u32 s1, s1, 6
	s_waitcnt vmcnt(0)
	v_lshrrev_b32_e32 v2, s0, v9
	v_bfe_u32 v2, v2, 0, s1
	v_lshlrev_b32_e32 v9, 2, v1
	v_lshl_or_b32 v2, v2, 4, v9
	v_mov_b32_e32 v9, 1
	ds_add_u32 v2, v9 offset:2048
.LBB948_420:
	s_or_b64 exec, exec, s[12:13]
	v_cmp_le_u32_e32 vcc, s11, v8
	s_nor_b64 s[12:13], s[2:3], vcc
	v_mov_b32_e32 v2, s18
	s_and_saveexec_b64 s[0:1], s[12:13]
	s_cbranch_execz .LBB948_422
; %bb.421:
	s_sub_i32 s12, s9, s8
	s_min_u32 s12, s12, 6
	s_waitcnt vmcnt(0)
	v_lshrrev_b32_e32 v2, s8, v6
	v_bfe_u32 v2, v2, 0, s12
	v_lshlrev_b32_e32 v8, 2, v1
	v_lshl_or_b32 v2, v2, 4, v8
	v_mov_b32_e32 v8, 1
	ds_add_u32 v2, v8
	v_mov_b32_e32 v2, 0
.LBB948_422:
	s_or_b64 exec, exec, s[0:1]
	v_cmp_gt_i32_e64 s[0:1], 10, v2
	s_mov_b64 s[14:15], -1
	s_and_saveexec_b64 s[12:13], s[0:1]
; %bb.423:
	v_cmp_eq_u32_e64 s[0:1], 0, v2
	s_orn2_b64 s[14:15], s[0:1], exec
; %bb.424:
	s_or_b64 exec, exec, s[12:13]
	s_and_saveexec_b64 s[12:13], s[14:15]
	s_cbranch_execz .LBB948_432
; %bb.425:
	s_add_i32 s14, s8, 6
	s_cmp_le_u32 s9, s14
	s_cselect_b64 s[0:1], -1, 0
	s_and_b64 s[16:17], s[0:1], exec
	s_cselect_b32 s15, 8, 10
	s_nor_b64 s[16:17], s[0:1], vcc
	v_mov_b32_e32 v2, s15
	s_and_saveexec_b64 s[0:1], s[16:17]
	s_cbranch_execz .LBB948_427
; %bb.426:
	s_sub_i32 s15, s9, s14
	s_min_u32 s15, s15, 6
	s_waitcnt vmcnt(0)
	v_lshrrev_b32_e32 v2, s14, v6
	v_bfe_u32 v2, v2, 0, s15
	v_lshlrev_b32_e32 v8, 2, v1
	v_lshl_or_b32 v2, v2, 4, v8
	v_mov_b32_e32 v8, 1
	ds_add_u32 v2, v8 offset:1024
	v_mov_b32_e32 v2, 0
.LBB948_427:
	s_or_b64 exec, exec, s[0:1]
	v_cmp_gt_i32_e64 s[0:1], 10, v2
	s_mov_b64 s[14:15], -1
	s_and_saveexec_b64 s[16:17], s[0:1]
; %bb.428:
	v_cmp_eq_u32_e64 s[0:1], 0, v2
	s_orn2_b64 s[14:15], s[0:1], exec
; %bb.429:
	s_or_b64 exec, exec, s[16:17]
	s_and_b64 exec, exec, s[14:15]
	s_cbranch_execz .LBB948_432
; %bb.430:
	s_add_i32 s0, s8, 12
	s_cmp_gt_u32 s9, s0
	s_cselect_b64 s[14:15], -1, 0
	s_xor_b64 s[16:17], vcc, -1
	s_and_b64 s[14:15], s[14:15], s[16:17]
	s_and_b64 exec, exec, s[14:15]
	s_cbranch_execz .LBB948_432
; %bb.431:
	s_sub_i32 s1, s9, s0
	s_min_u32 s1, s1, 6
	s_waitcnt vmcnt(0)
	v_lshrrev_b32_e32 v2, s0, v6
	v_bfe_u32 v2, v2, 0, s1
	v_lshlrev_b32_e32 v6, 2, v1
	v_lshl_or_b32 v2, v2, 4, v6
	v_mov_b32_e32 v6, 1
	ds_add_u32 v2, v6 offset:2048
.LBB948_432:
	s_or_b64 exec, exec, s[12:13]
	v_cmp_le_u32_e32 vcc, s11, v7
	s_nor_b64 s[12:13], s[2:3], vcc
	v_mov_b32_e32 v2, s18
	s_and_saveexec_b64 s[0:1], s[12:13]
	s_cbranch_execz .LBB948_434
; %bb.433:
	s_sub_i32 s12, s9, s8
	s_min_u32 s12, s12, 6
	s_waitcnt vmcnt(0)
	v_lshrrev_b32_e32 v2, s8, v5
	v_bfe_u32 v2, v2, 0, s12
	v_lshlrev_b32_e32 v6, 2, v1
	v_lshl_or_b32 v2, v2, 4, v6
	v_mov_b32_e32 v6, 1
	ds_add_u32 v2, v6
	v_mov_b32_e32 v2, 0
.LBB948_434:
	s_or_b64 exec, exec, s[0:1]
	v_cmp_gt_i32_e64 s[0:1], 10, v2
	s_mov_b64 s[14:15], -1
	s_and_saveexec_b64 s[12:13], s[0:1]
; %bb.435:
	v_cmp_eq_u32_e64 s[0:1], 0, v2
	s_orn2_b64 s[14:15], s[0:1], exec
; %bb.436:
	s_or_b64 exec, exec, s[12:13]
	s_and_saveexec_b64 s[12:13], s[14:15]
	s_cbranch_execz .LBB948_444
; %bb.437:
	s_add_i32 s14, s8, 6
	s_cmp_le_u32 s9, s14
	s_cselect_b64 s[0:1], -1, 0
	s_and_b64 s[16:17], s[0:1], exec
	s_cselect_b32 s15, 8, 10
	s_nor_b64 s[16:17], s[0:1], vcc
	v_mov_b32_e32 v2, s15
	s_and_saveexec_b64 s[0:1], s[16:17]
	s_cbranch_execz .LBB948_439
; %bb.438:
	s_sub_i32 s15, s9, s14
	s_min_u32 s15, s15, 6
	s_waitcnt vmcnt(0)
	v_lshrrev_b32_e32 v2, s14, v5
	v_bfe_u32 v2, v2, 0, s15
	v_lshlrev_b32_e32 v6, 2, v1
	v_lshl_or_b32 v2, v2, 4, v6
	v_mov_b32_e32 v6, 1
	ds_add_u32 v2, v6 offset:1024
	v_mov_b32_e32 v2, 0
.LBB948_439:
	s_or_b64 exec, exec, s[0:1]
	v_cmp_gt_i32_e64 s[0:1], 10, v2
	s_mov_b64 s[14:15], -1
	s_and_saveexec_b64 s[16:17], s[0:1]
; %bb.440:
	v_cmp_eq_u32_e64 s[0:1], 0, v2
	s_orn2_b64 s[14:15], s[0:1], exec
; %bb.441:
	s_or_b64 exec, exec, s[16:17]
	s_and_b64 exec, exec, s[14:15]
	s_cbranch_execz .LBB948_444
; %bb.442:
	s_add_i32 s0, s8, 12
	s_cmp_gt_u32 s9, s0
	s_cselect_b64 s[14:15], -1, 0
	s_xor_b64 s[16:17], vcc, -1
	s_and_b64 s[14:15], s[14:15], s[16:17]
	s_and_b64 exec, exec, s[14:15]
	s_cbranch_execz .LBB948_444
; %bb.443:
	s_sub_i32 s1, s9, s0
	s_min_u32 s1, s1, 6
	s_waitcnt vmcnt(0)
	v_lshrrev_b32_e32 v2, s0, v5
	v_bfe_u32 v2, v2, 0, s1
	v_lshlrev_b32_e32 v5, 2, v1
	v_lshl_or_b32 v2, v2, 4, v5
	v_mov_b32_e32 v5, 1
	ds_add_u32 v2, v5 offset:2048
.LBB948_444:
	s_or_b64 exec, exec, s[12:13]
	v_cmp_le_u32_e32 vcc, s11, v4
	s_nor_b64 s[2:3], s[2:3], vcc
	v_mov_b32_e32 v2, s18
	s_and_saveexec_b64 s[0:1], s[2:3]
	s_cbranch_execz .LBB948_446
; %bb.445:
	s_sub_i32 s2, s9, s8
	s_min_u32 s2, s2, 6
	s_waitcnt vmcnt(0)
	v_lshrrev_b32_e32 v2, s8, v3
	v_bfe_u32 v2, v2, 0, s2
	v_lshlrev_b32_e32 v4, 2, v1
	v_lshl_or_b32 v2, v2, 4, v4
	v_mov_b32_e32 v4, 1
	ds_add_u32 v2, v4
	v_mov_b32_e32 v2, 0
.LBB948_446:
	s_or_b64 exec, exec, s[0:1]
	v_cmp_gt_i32_e64 s[0:1], 10, v2
	s_mov_b64 s[12:13], -1
	s_and_saveexec_b64 s[2:3], s[0:1]
; %bb.447:
	v_cmp_eq_u32_e64 s[0:1], 0, v2
	s_orn2_b64 s[12:13], s[0:1], exec
; %bb.448:
	s_or_b64 exec, exec, s[2:3]
	s_and_saveexec_b64 s[2:3], s[12:13]
	s_cbranch_execz .LBB948_456
; %bb.449:
	s_add_i32 s11, s8, 6
	s_cmp_le_u32 s9, s11
	s_cselect_b64 s[0:1], -1, 0
	s_and_b64 s[12:13], s[0:1], exec
	s_cselect_b32 s14, 8, 10
	s_nor_b64 s[12:13], s[0:1], vcc
	v_mov_b32_e32 v2, s14
	s_and_saveexec_b64 s[0:1], s[12:13]
	s_cbranch_execz .LBB948_451
; %bb.450:
	s_sub_i32 s12, s9, s11
	s_min_u32 s12, s12, 6
	s_waitcnt vmcnt(0)
	v_lshrrev_b32_e32 v2, s11, v3
	v_bfe_u32 v2, v2, 0, s12
	v_lshlrev_b32_e32 v4, 2, v1
	v_lshl_or_b32 v2, v2, 4, v4
	v_mov_b32_e32 v4, 1
	ds_add_u32 v2, v4 offset:1024
	v_mov_b32_e32 v2, 0
.LBB948_451:
	s_or_b64 exec, exec, s[0:1]
	v_cmp_gt_i32_e64 s[0:1], 10, v2
	s_mov_b64 s[12:13], -1
	s_and_saveexec_b64 s[14:15], s[0:1]
; %bb.452:
	v_cmp_eq_u32_e64 s[0:1], 0, v2
	s_orn2_b64 s[12:13], s[0:1], exec
; %bb.453:
	s_or_b64 exec, exec, s[14:15]
	s_and_b64 exec, exec, s[12:13]
	s_cbranch_execz .LBB948_456
; %bb.454:
	s_add_i32 s0, s8, 12
	s_cmp_gt_u32 s9, s0
	s_cselect_b64 s[12:13], -1, 0
	s_xor_b64 s[14:15], vcc, -1
	s_and_b64 s[12:13], s[12:13], s[14:15]
	s_and_b64 exec, exec, s[12:13]
	s_cbranch_execz .LBB948_456
; %bb.455:
	s_sub_i32 s1, s9, s0
	s_min_u32 s1, s1, 6
	s_waitcnt vmcnt(0)
	v_lshrrev_b32_e32 v2, s0, v3
	v_bfe_u32 v2, v2, 0, s1
	v_lshlrev_b32_e32 v1, 2, v1
	v_lshl_or_b32 v1, v2, 4, v1
	v_mov_b32_e32 v2, 1
	ds_add_u32 v1, v2 offset:2048
.LBB948_456:
	s_or_b64 exec, exec, s[2:3]
	s_cmp_lt_u32 s8, s9
	s_waitcnt lgkmcnt(0)
	s_barrier
	s_cbranch_scc0 .LBB948_461
; %bb.457:
	v_cmp_gt_u32_e32 vcc, 64, v0
	v_lshlrev_b32_e32 v1, 4, v0
	s_waitcnt vmcnt(0)
	v_mov_b32_e32 v3, 0
	v_mov_b32_e32 v2, v0
	s_mov_b32 s2, s8
	s_branch .LBB948_459
.LBB948_458:                            ;   in Loop: Header=BB948_459 Depth=1
	s_or_b64 exec, exec, s[0:1]
	s_add_i32 s2, s2, 6
	v_add_u32_e32 v2, 64, v2
	s_cmp_lt_u32 s2, s9
	v_add_u32_e32 v1, 0x400, v1
	s_cbranch_scc0 .LBB948_461
.LBB948_459:                            ; =>This Inner Loop Header: Depth=1
	s_and_saveexec_b64 s[0:1], vcc
	s_cbranch_execz .LBB948_458
; %bb.460:                              ;   in Loop: Header=BB948_459 Depth=1
	ds_read2_b32 v[4:5], v1 offset1:1
	ds_read2_b32 v[6:7], v1 offset0:2 offset1:3
	s_waitcnt lgkmcnt(1)
	v_add_u32_e32 v4, v5, v4
	s_waitcnt lgkmcnt(0)
	v_add3_u32 v6, v4, v6, v7
	v_lshl_add_u64 v[4:5], v[2:3], 2, s[6:7]
	global_atomic_add v[4:5], v6, off
	s_branch .LBB948_458
.LBB948_461:
	s_mov_b64 s[2:3], 0
.LBB948_462:
	s_and_b64 vcc, exec, s[2:3]
	s_cbranch_vccz .LBB948_632
; %bb.463:
	s_cmp_lg_u32 s8, 0
	s_cselect_b64 s[0:1], -1, 0
	s_cmp_lg_u32 s9, 16
	s_mov_b32 s11, 0
	s_cselect_b64 s[2:3], -1, 0
	s_or_b64 s[2:3], s[0:1], s[2:3]
	s_lshl_b64 s[0:1], s[10:11], 1
	s_add_u32 s0, s4, s0
	s_addc_u32 s1, s5, s1
	s_waitcnt vmcnt(0)
	v_mov_b32_e32 v3, 0
	v_lshlrev_b32_e32 v2, 1, v0
	v_lshl_add_u64 v[4:5], s[0:1], 0, v[2:3]
	s_movk_i32 s4, 0x1000
	v_add_co_u32_e32 v6, vcc, s4, v4
	s_movk_i32 s4, 0x2000
	s_nop 0
	v_addc_co_u32_e32 v7, vcc, 0, v5, vcc
	v_add_co_u32_e32 v8, vcc, s4, v4
	s_movk_i32 s4, 0x3000
	s_nop 0
	v_addc_co_u32_e32 v9, vcc, 0, v5, vcc
	v_add_co_u32_e32 v34, vcc, s4, v4
	s_movk_i32 s4, 0x4000
	s_nop 0
	v_addc_co_u32_e32 v35, vcc, 0, v5, vcc
	v_add_co_u32_e32 v36, vcc, s4, v4
	s_movk_i32 s4, 0x5000
	s_nop 0
	v_addc_co_u32_e32 v37, vcc, 0, v5, vcc
	v_add_co_u32_e32 v38, vcc, s4, v4
	s_movk_i32 s4, 0x6000
	s_nop 0
	v_addc_co_u32_e32 v39, vcc, 0, v5, vcc
	v_add_co_u32_e32 v40, vcc, s4, v4
	global_load_ushort v31, v2, s[0:1] offset:3072
	global_load_ushort v29, v[8:9], off offset:-4096
	global_load_ushort v27, v[8:9], off
	global_load_ushort v26, v[8:9], off offset:1024
	global_load_ushort v25, v[8:9], off offset:2048
	;; [unrolled: 1-line block ×3, first 2 shown]
	global_load_ushort v21, v[36:37], off offset:-4096
	global_load_ushort v17, v[36:37], off
	v_addc_co_u32_e32 v41, vcc, 0, v5, vcc
	global_load_ushort v32, v[6:7], off offset:1024
	global_load_ushort v30, v[6:7], off offset:2048
	;; [unrolled: 1-line block ×11, first 2 shown]
	global_load_ushort v15, v[40:41], off offset:-4096
	global_load_ushort v11, v[40:41], off
	global_load_ushort v10, v[40:41], off offset:1024
	global_load_ushort v9, v[40:41], off offset:2048
                                        ; kill: killed $vgpr34 killed $vgpr35
                                        ; kill: killed $vgpr6 killed $vgpr7
                                        ; kill: killed $vgpr36 killed $vgpr37
	global_load_ushort v7, v[40:41], off offset:3072
	v_add_co_u32_e32 v36, vcc, 0x7000, v4
	s_mov_b64 s[4:5], -1
	s_nop 0
	v_addc_co_u32_e32 v37, vcc, 0, v5, vcc
	global_load_ushort v35, v2, s[0:1]
	global_load_ushort v34, v2, s[0:1] offset:1024
	global_load_ushort v33, v2, s[0:1] offset:2048
	global_load_ushort v14, v[38:39], off offset:3072
	global_load_ushort v8, v[36:37], off
	global_load_ushort v6, v[36:37], off offset:1024
	global_load_ushort v5, v[36:37], off offset:2048
	global_load_ushort v4, v[36:37], off offset:3072
	s_movk_i32 s0, 0x300
	v_and_b32_e32 v36, 3, v0
	v_cmp_gt_u32_e64 s[0:1], s0, v0
	s_and_b64 vcc, exec, s[2:3]
	s_cbranch_vccz .LBB948_622
; %bb.464:
	s_and_saveexec_b64 s[4:5], s[0:1]
	s_cbranch_execz .LBB948_471
; %bb.465:
	s_movk_i32 s2, 0x100
	v_sub_u32_e64 v1, s2, v0 clamp
	v_add_u32_e32 v1, 0x1ff, v1
	v_lshrrev_b32_e32 v2, 9, v1
	s_mov_b32 s10, 0
	v_mov_b32_e32 v1, v2
	v_lshlrev_b32_e32 v3, 2, v0
	s_mov_b32 s11, 1
	s_mov_b64 s[12:13], 0
	v_mov_b32_e32 v37, 0
	s_mov_b32 s14, s10
	s_branch .LBB948_467
.LBB948_466:                            ;   in Loop: Header=BB948_467 Depth=1
	s_or_b64 exec, exec, s[2:3]
	s_add_i32 s14, s14, 2
	v_cmp_eq_u32_e64 s[2:3], 2, s14
	s_or_b64 s[12:13], s[2:3], s[12:13]
	v_add_u32_e32 v3, 0x1000, v3
	s_andn2_b64 exec, exec, s[12:13]
	s_cbranch_execz .LBB948_471
.LBB948_467:                            ; =>This Inner Loop Header: Depth=1
	s_mov_b32 s15, s14
	s_or_b64 s[2:3], s[14:15], s[10:11]
	v_cmp_le_u32_e32 vcc, s3, v1
	v_cmp_le_u32_e64 s[2:3], s2, v2
	s_and_saveexec_b64 s[16:17], s[2:3]
; %bb.468:                              ;   in Loop: Header=BB948_467 Depth=1
	ds_write_b32 v3, v37
; %bb.469:                              ;   in Loop: Header=BB948_467 Depth=1
	s_or_b64 exec, exec, s[16:17]
	s_and_saveexec_b64 s[2:3], vcc
	s_cbranch_execz .LBB948_466
; %bb.470:                              ;   in Loop: Header=BB948_467 Depth=1
	ds_write_b32 v3, v37 offset:2048
	s_branch .LBB948_466
.LBB948_471:
	s_or_b64 exec, exec, s[4:5]
	s_cmp_lt_u32 s8, s9
	s_cselect_b64 s[2:3], -1, 0
	s_and_b64 vcc, exec, s[2:3]
	s_waitcnt lgkmcnt(0)
	s_barrier
	s_cbranch_vccz .LBB948_616
; %bb.472:
	s_sub_i32 s4, s9, s8
	s_min_u32 s4, s4, 6
	s_lshl_b32 s4, -1, s4
	s_waitcnt vmcnt(7)
	v_lshrrev_b32_e32 v1, s8, v35
	v_bitop3_b32 v2, v1, s4, v1 bitop3:0x30
	v_lshlrev_b32_e32 v1, 2, v36
	v_lshl_or_b32 v2, v2, 4, v1
	v_mov_b32_e32 v3, 1
	s_not_b32 s14, s4
	ds_add_u32 v2, v3
	s_add_i32 s15, s8, 6
	s_cmp_le_u32 s9, s15
	s_cselect_b64 s[4:5], -1, 0
	s_and_b64 vcc, exec, s[4:5]
	s_waitcnt vmcnt(6)
	v_lshrrev_b32_sdwa v2, s8, v34 dst_sel:DWORD dst_unused:UNUSED_PAD src0_sel:DWORD src1_sel:WORD_0
	s_cbranch_vccz .LBB948_474
; %bb.473:
	v_and_b32_e32 v3, s14, v2
	v_lshlrev_b32_e32 v3, 4, v3
	s_mov_b64 s[10:11], -1
	s_cbranch_execz .LBB948_475
	s_branch .LBB948_479
.LBB948_474:
	s_mov_b64 s[10:11], 0
                                        ; implicit-def: $vgpr3
.LBB948_475:
	s_sub_i32 s12, s9, s15
	s_min_u32 s12, s12, 6
	s_lshl_b32 s12, -1, s12
	v_lshrrev_b32_e32 v3, s15, v35
	v_bitop3_b32 v3, v3, s12, v3 bitop3:0x30
	v_lshl_or_b32 v37, v3, 4, v1
	v_mov_b32_e32 v3, 1
	ds_add_u32 v37, v3 offset:1024
	s_not_b32 s17, s12
	s_add_i32 s16, s8, 12
	s_cmp_gt_u32 s9, s16
	s_cselect_b64 s[12:13], -1, 0
	s_cmp_le_u32 s9, s16
	s_cbranch_scc1 .LBB948_477
; %bb.476:
	s_sub_i32 s18, s9, s16
	s_min_u32 s18, s18, 6
	v_lshrrev_b32_e32 v37, s16, v35
	v_bfe_u32 v37, v37, 0, s18
	v_lshl_or_b32 v37, v37, 4, v1
	ds_add_u32 v37, v3 offset:2048
.LBB948_477:
	v_and_b32_e32 v2, s14, v2
	v_lshl_or_b32 v2, v2, 4, v1
	ds_add_u32 v2, v3
	v_lshrrev_b32_sdwa v2, s15, v34 dst_sel:DWORD dst_unused:UNUSED_PAD src0_sel:DWORD src1_sel:WORD_0
	v_and_b32_e32 v2, s17, v2
	v_lshl_or_b32 v2, v2, 4, v1
	ds_add_u32 v2, v3 offset:1024
	s_andn2_b64 vcc, exec, s[12:13]
                                        ; implicit-def: $vgpr3
	s_cbranch_vccnz .LBB948_479
; %bb.478:
	s_sub_i32 s10, s9, s16
	s_min_u32 s10, s10, 6
	v_lshrrev_b32_sdwa v2, s16, v34 dst_sel:DWORD dst_unused:UNUSED_PAD src0_sel:DWORD src1_sel:WORD_0
	v_bfe_u32 v2, v2, 0, s10
	v_mov_b32_e32 v3, 0x800
	v_lshl_or_b32 v3, v2, 4, v3
	s_mov_b64 s[10:11], -1
.LBB948_479:
	s_and_b64 vcc, exec, s[10:11]
	s_cbranch_vccz .LBB948_481
; %bb.480:
	v_lshl_add_u32 v2, v36, 2, v3
	v_mov_b32_e32 v3, 1
	ds_add_u32 v2, v3
.LBB948_481:
	s_waitcnt vmcnt(5)
	v_lshrrev_b32_e32 v2, s8, v33
	v_and_b32_e32 v2, s14, v2
	v_lshl_or_b32 v2, v2, 4, v1
	v_mov_b32_e32 v3, 1
	ds_add_u32 v2, v3
	s_and_b64 vcc, exec, s[4:5]
	v_lshrrev_b32_sdwa v2, s8, v31 dst_sel:DWORD dst_unused:UNUSED_PAD src0_sel:DWORD src1_sel:WORD_0
	s_cbranch_vccz .LBB948_483
; %bb.482:
	v_and_b32_e32 v3, s14, v2
	v_lshlrev_b32_e32 v3, 4, v3
	s_mov_b64 s[10:11], -1
	s_cbranch_execz .LBB948_484
	s_branch .LBB948_488
.LBB948_483:
	s_mov_b64 s[10:11], 0
                                        ; implicit-def: $vgpr3
.LBB948_484:
	s_sub_i32 s12, s9, s15
	s_min_u32 s12, s12, 6
	s_lshl_b32 s12, -1, s12
	v_lshrrev_b32_e32 v3, s15, v33
	v_bitop3_b32 v3, v3, s12, v3 bitop3:0x30
	v_lshl_or_b32 v37, v3, 4, v1
	v_mov_b32_e32 v3, 1
	ds_add_u32 v37, v3 offset:1024
	s_not_b32 s17, s12
	s_add_i32 s16, s8, 12
	s_cmp_gt_u32 s9, s16
	s_cselect_b64 s[12:13], -1, 0
	s_cmp_le_u32 s9, s16
	s_cbranch_scc1 .LBB948_486
; %bb.485:
	s_sub_i32 s18, s9, s16
	s_min_u32 s18, s18, 6
	v_lshrrev_b32_e32 v37, s16, v33
	v_bfe_u32 v37, v37, 0, s18
	v_lshl_or_b32 v37, v37, 4, v1
	ds_add_u32 v37, v3 offset:2048
.LBB948_486:
	v_and_b32_e32 v2, s14, v2
	v_lshl_or_b32 v2, v2, 4, v1
	ds_add_u32 v2, v3
	v_lshrrev_b32_sdwa v2, s15, v31 dst_sel:DWORD dst_unused:UNUSED_PAD src0_sel:DWORD src1_sel:WORD_0
	v_and_b32_e32 v2, s17, v2
	v_lshl_or_b32 v2, v2, 4, v1
	ds_add_u32 v2, v3 offset:1024
	s_andn2_b64 vcc, exec, s[12:13]
                                        ; implicit-def: $vgpr3
	s_cbranch_vccnz .LBB948_488
; %bb.487:
	s_sub_i32 s10, s9, s16
	s_min_u32 s10, s10, 6
	v_lshrrev_b32_sdwa v2, s16, v31 dst_sel:DWORD dst_unused:UNUSED_PAD src0_sel:DWORD src1_sel:WORD_0
	v_bfe_u32 v2, v2, 0, s10
	v_mov_b32_e32 v3, 0x800
	v_lshl_or_b32 v3, v2, 4, v3
	s_mov_b64 s[10:11], -1
.LBB948_488:
	s_and_b64 vcc, exec, s[10:11]
	s_cbranch_vccz .LBB948_490
; %bb.489:
	v_lshl_add_u32 v2, v36, 2, v3
	v_mov_b32_e32 v3, 1
	ds_add_u32 v2, v3
.LBB948_490:
	v_lshrrev_b32_e32 v2, s8, v29
	v_and_b32_e32 v2, s14, v2
	v_lshl_or_b32 v2, v2, 4, v1
	v_mov_b32_e32 v3, 1
	ds_add_u32 v2, v3
	s_and_b64 vcc, exec, s[4:5]
	v_lshrrev_b32_sdwa v2, s8, v32 dst_sel:DWORD dst_unused:UNUSED_PAD src0_sel:DWORD src1_sel:WORD_0
	s_cbranch_vccz .LBB948_492
; %bb.491:
	v_and_b32_e32 v3, s14, v2
	v_lshlrev_b32_e32 v3, 4, v3
	s_mov_b64 s[10:11], -1
	s_cbranch_execz .LBB948_493
	s_branch .LBB948_497
.LBB948_492:
	s_mov_b64 s[10:11], 0
                                        ; implicit-def: $vgpr3
.LBB948_493:
	s_sub_i32 s12, s9, s15
	s_min_u32 s12, s12, 6
	s_lshl_b32 s12, -1, s12
	v_lshrrev_b32_e32 v3, s15, v29
	v_bitop3_b32 v3, v3, s12, v3 bitop3:0x30
	v_lshl_or_b32 v37, v3, 4, v1
	v_mov_b32_e32 v3, 1
	ds_add_u32 v37, v3 offset:1024
	s_not_b32 s17, s12
	s_add_i32 s16, s8, 12
	s_cmp_gt_u32 s9, s16
	s_cselect_b64 s[12:13], -1, 0
	s_cmp_le_u32 s9, s16
	s_cbranch_scc1 .LBB948_495
; %bb.494:
	s_sub_i32 s18, s9, s16
	s_min_u32 s18, s18, 6
	v_lshrrev_b32_e32 v37, s16, v29
	v_bfe_u32 v37, v37, 0, s18
	v_lshl_or_b32 v37, v37, 4, v1
	ds_add_u32 v37, v3 offset:2048
.LBB948_495:
	v_and_b32_e32 v2, s14, v2
	v_lshl_or_b32 v2, v2, 4, v1
	ds_add_u32 v2, v3
	v_lshrrev_b32_sdwa v2, s15, v32 dst_sel:DWORD dst_unused:UNUSED_PAD src0_sel:DWORD src1_sel:WORD_0
	v_and_b32_e32 v2, s17, v2
	v_lshl_or_b32 v2, v2, 4, v1
	ds_add_u32 v2, v3 offset:1024
	s_andn2_b64 vcc, exec, s[12:13]
                                        ; implicit-def: $vgpr3
	s_cbranch_vccnz .LBB948_497
; %bb.496:
	s_sub_i32 s10, s9, s16
	s_min_u32 s10, s10, 6
	v_lshrrev_b32_sdwa v2, s16, v32 dst_sel:DWORD dst_unused:UNUSED_PAD src0_sel:DWORD src1_sel:WORD_0
	v_bfe_u32 v2, v2, 0, s10
	v_mov_b32_e32 v3, 0x800
	v_lshl_or_b32 v3, v2, 4, v3
	s_mov_b64 s[10:11], -1
.LBB948_497:
	s_and_b64 vcc, exec, s[10:11]
	s_cbranch_vccz .LBB948_499
; %bb.498:
	v_lshl_add_u32 v2, v36, 2, v3
	v_mov_b32_e32 v3, 1
	ds_add_u32 v2, v3
.LBB948_499:
	v_lshrrev_b32_e32 v2, s8, v30
	v_and_b32_e32 v2, s14, v2
	v_lshl_or_b32 v2, v2, 4, v1
	v_mov_b32_e32 v3, 1
	ds_add_u32 v2, v3
	s_and_b64 vcc, exec, s[4:5]
	v_lshrrev_b32_sdwa v2, s8, v28 dst_sel:DWORD dst_unused:UNUSED_PAD src0_sel:DWORD src1_sel:WORD_0
	s_cbranch_vccz .LBB948_501
; %bb.500:
	v_and_b32_e32 v3, s14, v2
	v_lshlrev_b32_e32 v3, 4, v3
	s_mov_b64 s[10:11], -1
	s_cbranch_execz .LBB948_502
	s_branch .LBB948_506
.LBB948_501:
	s_mov_b64 s[10:11], 0
                                        ; implicit-def: $vgpr3
.LBB948_502:
	s_sub_i32 s12, s9, s15
	s_min_u32 s12, s12, 6
	s_lshl_b32 s12, -1, s12
	v_lshrrev_b32_e32 v3, s15, v30
	v_bitop3_b32 v3, v3, s12, v3 bitop3:0x30
	v_lshl_or_b32 v37, v3, 4, v1
	v_mov_b32_e32 v3, 1
	ds_add_u32 v37, v3 offset:1024
	s_not_b32 s17, s12
	s_add_i32 s16, s8, 12
	s_cmp_gt_u32 s9, s16
	s_cselect_b64 s[12:13], -1, 0
	s_cmp_le_u32 s9, s16
	s_cbranch_scc1 .LBB948_504
; %bb.503:
	s_sub_i32 s18, s9, s16
	s_min_u32 s18, s18, 6
	v_lshrrev_b32_e32 v37, s16, v30
	v_bfe_u32 v37, v37, 0, s18
	v_lshl_or_b32 v37, v37, 4, v1
	ds_add_u32 v37, v3 offset:2048
.LBB948_504:
	v_and_b32_e32 v2, s14, v2
	v_lshl_or_b32 v2, v2, 4, v1
	ds_add_u32 v2, v3
	v_lshrrev_b32_sdwa v2, s15, v28 dst_sel:DWORD dst_unused:UNUSED_PAD src0_sel:DWORD src1_sel:WORD_0
	v_and_b32_e32 v2, s17, v2
	v_lshl_or_b32 v2, v2, 4, v1
	ds_add_u32 v2, v3 offset:1024
	s_andn2_b64 vcc, exec, s[12:13]
                                        ; implicit-def: $vgpr3
	s_cbranch_vccnz .LBB948_506
; %bb.505:
	s_sub_i32 s10, s9, s16
	s_min_u32 s10, s10, 6
	v_lshrrev_b32_sdwa v2, s16, v28 dst_sel:DWORD dst_unused:UNUSED_PAD src0_sel:DWORD src1_sel:WORD_0
	v_bfe_u32 v2, v2, 0, s10
	v_mov_b32_e32 v3, 0x800
	v_lshl_or_b32 v3, v2, 4, v3
	s_mov_b64 s[10:11], -1
.LBB948_506:
	s_and_b64 vcc, exec, s[10:11]
	s_cbranch_vccz .LBB948_508
; %bb.507:
	v_lshl_add_u32 v2, v36, 2, v3
	v_mov_b32_e32 v3, 1
	ds_add_u32 v2, v3
.LBB948_508:
	v_lshrrev_b32_e32 v2, s8, v27
	v_and_b32_e32 v2, s14, v2
	v_lshl_or_b32 v2, v2, 4, v1
	v_mov_b32_e32 v3, 1
	ds_add_u32 v2, v3
	s_and_b64 vcc, exec, s[4:5]
	v_lshrrev_b32_sdwa v2, s8, v26 dst_sel:DWORD dst_unused:UNUSED_PAD src0_sel:DWORD src1_sel:WORD_0
	s_cbranch_vccz .LBB948_510
; %bb.509:
	v_and_b32_e32 v3, s14, v2
	v_lshlrev_b32_e32 v3, 4, v3
	s_mov_b64 s[10:11], -1
	s_cbranch_execz .LBB948_511
	s_branch .LBB948_515
.LBB948_510:
	s_mov_b64 s[10:11], 0
                                        ; implicit-def: $vgpr3
.LBB948_511:
	s_sub_i32 s12, s9, s15
	s_min_u32 s12, s12, 6
	s_lshl_b32 s12, -1, s12
	v_lshrrev_b32_e32 v3, s15, v27
	v_bitop3_b32 v3, v3, s12, v3 bitop3:0x30
	v_lshl_or_b32 v37, v3, 4, v1
	v_mov_b32_e32 v3, 1
	ds_add_u32 v37, v3 offset:1024
	s_not_b32 s17, s12
	s_add_i32 s16, s8, 12
	s_cmp_gt_u32 s9, s16
	s_cselect_b64 s[12:13], -1, 0
	s_cmp_le_u32 s9, s16
	s_cbranch_scc1 .LBB948_513
; %bb.512:
	s_sub_i32 s18, s9, s16
	s_min_u32 s18, s18, 6
	v_lshrrev_b32_e32 v37, s16, v27
	v_bfe_u32 v37, v37, 0, s18
	v_lshl_or_b32 v37, v37, 4, v1
	ds_add_u32 v37, v3 offset:2048
.LBB948_513:
	v_and_b32_e32 v2, s14, v2
	v_lshl_or_b32 v2, v2, 4, v1
	ds_add_u32 v2, v3
	v_lshrrev_b32_sdwa v2, s15, v26 dst_sel:DWORD dst_unused:UNUSED_PAD src0_sel:DWORD src1_sel:WORD_0
	v_and_b32_e32 v2, s17, v2
	v_lshl_or_b32 v2, v2, 4, v1
	ds_add_u32 v2, v3 offset:1024
	s_andn2_b64 vcc, exec, s[12:13]
                                        ; implicit-def: $vgpr3
	s_cbranch_vccnz .LBB948_515
; %bb.514:
	s_sub_i32 s10, s9, s16
	s_min_u32 s10, s10, 6
	v_lshrrev_b32_sdwa v2, s16, v26 dst_sel:DWORD dst_unused:UNUSED_PAD src0_sel:DWORD src1_sel:WORD_0
	v_bfe_u32 v2, v2, 0, s10
	v_mov_b32_e32 v3, 0x800
	v_lshl_or_b32 v3, v2, 4, v3
	s_mov_b64 s[10:11], -1
.LBB948_515:
	s_and_b64 vcc, exec, s[10:11]
	s_cbranch_vccz .LBB948_517
; %bb.516:
	v_lshl_add_u32 v2, v36, 2, v3
	v_mov_b32_e32 v3, 1
	ds_add_u32 v2, v3
.LBB948_517:
	v_lshrrev_b32_e32 v2, s8, v25
	v_and_b32_e32 v2, s14, v2
	v_lshl_or_b32 v2, v2, 4, v1
	v_mov_b32_e32 v3, 1
	ds_add_u32 v2, v3
	s_and_b64 vcc, exec, s[4:5]
	v_lshrrev_b32_sdwa v2, s8, v23 dst_sel:DWORD dst_unused:UNUSED_PAD src0_sel:DWORD src1_sel:WORD_0
	s_cbranch_vccz .LBB948_519
; %bb.518:
	v_and_b32_e32 v3, s14, v2
	v_lshlrev_b32_e32 v3, 4, v3
	s_mov_b64 s[10:11], -1
	s_cbranch_execz .LBB948_520
	s_branch .LBB948_524
.LBB948_519:
	s_mov_b64 s[10:11], 0
                                        ; implicit-def: $vgpr3
.LBB948_520:
	s_sub_i32 s12, s9, s15
	s_min_u32 s12, s12, 6
	s_lshl_b32 s12, -1, s12
	v_lshrrev_b32_e32 v3, s15, v25
	v_bitop3_b32 v3, v3, s12, v3 bitop3:0x30
	v_lshl_or_b32 v37, v3, 4, v1
	v_mov_b32_e32 v3, 1
	ds_add_u32 v37, v3 offset:1024
	s_not_b32 s17, s12
	s_add_i32 s16, s8, 12
	s_cmp_gt_u32 s9, s16
	s_cselect_b64 s[12:13], -1, 0
	s_cmp_le_u32 s9, s16
	s_cbranch_scc1 .LBB948_522
; %bb.521:
	s_sub_i32 s18, s9, s16
	s_min_u32 s18, s18, 6
	v_lshrrev_b32_e32 v37, s16, v25
	v_bfe_u32 v37, v37, 0, s18
	v_lshl_or_b32 v37, v37, 4, v1
	ds_add_u32 v37, v3 offset:2048
.LBB948_522:
	v_and_b32_e32 v2, s14, v2
	v_lshl_or_b32 v2, v2, 4, v1
	ds_add_u32 v2, v3
	v_lshrrev_b32_sdwa v2, s15, v23 dst_sel:DWORD dst_unused:UNUSED_PAD src0_sel:DWORD src1_sel:WORD_0
	v_and_b32_e32 v2, s17, v2
	v_lshl_or_b32 v2, v2, 4, v1
	ds_add_u32 v2, v3 offset:1024
	s_andn2_b64 vcc, exec, s[12:13]
                                        ; implicit-def: $vgpr3
	s_cbranch_vccnz .LBB948_524
; %bb.523:
	s_sub_i32 s10, s9, s16
	s_min_u32 s10, s10, 6
	v_lshrrev_b32_sdwa v2, s16, v23 dst_sel:DWORD dst_unused:UNUSED_PAD src0_sel:DWORD src1_sel:WORD_0
	v_bfe_u32 v2, v2, 0, s10
	v_mov_b32_e32 v3, 0x800
	v_lshl_or_b32 v3, v2, 4, v3
	s_mov_b64 s[10:11], -1
.LBB948_524:
	s_and_b64 vcc, exec, s[10:11]
	s_cbranch_vccz .LBB948_526
; %bb.525:
	v_lshl_add_u32 v2, v36, 2, v3
	v_mov_b32_e32 v3, 1
	ds_add_u32 v2, v3
.LBB948_526:
	v_lshrrev_b32_e32 v2, s8, v21
	v_and_b32_e32 v2, s14, v2
	v_lshl_or_b32 v2, v2, 4, v1
	v_mov_b32_e32 v3, 1
	ds_add_u32 v2, v3
	s_and_b64 vcc, exec, s[4:5]
	v_lshrrev_b32_sdwa v2, s8, v24 dst_sel:DWORD dst_unused:UNUSED_PAD src0_sel:DWORD src1_sel:WORD_0
	s_cbranch_vccz .LBB948_528
; %bb.527:
	v_and_b32_e32 v3, s14, v2
	v_lshlrev_b32_e32 v3, 4, v3
	s_mov_b64 s[10:11], -1
	s_cbranch_execz .LBB948_529
	s_branch .LBB948_533
.LBB948_528:
	s_mov_b64 s[10:11], 0
                                        ; implicit-def: $vgpr3
.LBB948_529:
	s_sub_i32 s12, s9, s15
	s_min_u32 s12, s12, 6
	s_lshl_b32 s12, -1, s12
	v_lshrrev_b32_e32 v3, s15, v21
	v_bitop3_b32 v3, v3, s12, v3 bitop3:0x30
	v_lshl_or_b32 v37, v3, 4, v1
	v_mov_b32_e32 v3, 1
	ds_add_u32 v37, v3 offset:1024
	s_not_b32 s17, s12
	s_add_i32 s16, s8, 12
	s_cmp_gt_u32 s9, s16
	s_cselect_b64 s[12:13], -1, 0
	s_cmp_le_u32 s9, s16
	s_cbranch_scc1 .LBB948_531
; %bb.530:
	s_sub_i32 s18, s9, s16
	s_min_u32 s18, s18, 6
	v_lshrrev_b32_e32 v37, s16, v21
	v_bfe_u32 v37, v37, 0, s18
	v_lshl_or_b32 v37, v37, 4, v1
	ds_add_u32 v37, v3 offset:2048
.LBB948_531:
	v_and_b32_e32 v2, s14, v2
	v_lshl_or_b32 v2, v2, 4, v1
	ds_add_u32 v2, v3
	v_lshrrev_b32_sdwa v2, s15, v24 dst_sel:DWORD dst_unused:UNUSED_PAD src0_sel:DWORD src1_sel:WORD_0
	v_and_b32_e32 v2, s17, v2
	v_lshl_or_b32 v2, v2, 4, v1
	ds_add_u32 v2, v3 offset:1024
	s_andn2_b64 vcc, exec, s[12:13]
                                        ; implicit-def: $vgpr3
	s_cbranch_vccnz .LBB948_533
; %bb.532:
	s_sub_i32 s10, s9, s16
	s_min_u32 s10, s10, 6
	v_lshrrev_b32_sdwa v2, s16, v24 dst_sel:DWORD dst_unused:UNUSED_PAD src0_sel:DWORD src1_sel:WORD_0
	v_bfe_u32 v2, v2, 0, s10
	v_mov_b32_e32 v3, 0x800
	v_lshl_or_b32 v3, v2, 4, v3
	s_mov_b64 s[10:11], -1
.LBB948_533:
	s_and_b64 vcc, exec, s[10:11]
	s_cbranch_vccz .LBB948_535
; %bb.534:
	v_lshl_add_u32 v2, v36, 2, v3
	v_mov_b32_e32 v3, 1
	ds_add_u32 v2, v3
.LBB948_535:
	v_lshrrev_b32_e32 v2, s8, v22
	v_and_b32_e32 v2, s14, v2
	v_lshl_or_b32 v2, v2, 4, v1
	v_mov_b32_e32 v3, 1
	ds_add_u32 v2, v3
	s_and_b64 vcc, exec, s[4:5]
	v_lshrrev_b32_sdwa v2, s8, v20 dst_sel:DWORD dst_unused:UNUSED_PAD src0_sel:DWORD src1_sel:WORD_0
	s_cbranch_vccz .LBB948_537
; %bb.536:
	v_and_b32_e32 v3, s14, v2
	v_lshlrev_b32_e32 v3, 4, v3
	s_mov_b64 s[10:11], -1
	s_cbranch_execz .LBB948_538
	s_branch .LBB948_542
.LBB948_537:
	s_mov_b64 s[10:11], 0
                                        ; implicit-def: $vgpr3
.LBB948_538:
	s_sub_i32 s12, s9, s15
	s_min_u32 s12, s12, 6
	s_lshl_b32 s12, -1, s12
	v_lshrrev_b32_e32 v3, s15, v22
	v_bitop3_b32 v3, v3, s12, v3 bitop3:0x30
	v_lshl_or_b32 v37, v3, 4, v1
	v_mov_b32_e32 v3, 1
	ds_add_u32 v37, v3 offset:1024
	s_not_b32 s17, s12
	s_add_i32 s16, s8, 12
	s_cmp_gt_u32 s9, s16
	s_cselect_b64 s[12:13], -1, 0
	s_cmp_le_u32 s9, s16
	s_cbranch_scc1 .LBB948_540
; %bb.539:
	s_sub_i32 s18, s9, s16
	s_min_u32 s18, s18, 6
	v_lshrrev_b32_e32 v37, s16, v22
	v_bfe_u32 v37, v37, 0, s18
	v_lshl_or_b32 v37, v37, 4, v1
	ds_add_u32 v37, v3 offset:2048
.LBB948_540:
	v_and_b32_e32 v2, s14, v2
	v_lshl_or_b32 v2, v2, 4, v1
	ds_add_u32 v2, v3
	v_lshrrev_b32_sdwa v2, s15, v20 dst_sel:DWORD dst_unused:UNUSED_PAD src0_sel:DWORD src1_sel:WORD_0
	v_and_b32_e32 v2, s17, v2
	v_lshl_or_b32 v2, v2, 4, v1
	ds_add_u32 v2, v3 offset:1024
	s_andn2_b64 vcc, exec, s[12:13]
                                        ; implicit-def: $vgpr3
	s_cbranch_vccnz .LBB948_542
; %bb.541:
	s_sub_i32 s10, s9, s16
	s_min_u32 s10, s10, 6
	v_lshrrev_b32_sdwa v2, s16, v20 dst_sel:DWORD dst_unused:UNUSED_PAD src0_sel:DWORD src1_sel:WORD_0
	v_bfe_u32 v2, v2, 0, s10
	v_mov_b32_e32 v3, 0x800
	v_lshl_or_b32 v3, v2, 4, v3
	s_mov_b64 s[10:11], -1
.LBB948_542:
	s_and_b64 vcc, exec, s[10:11]
	s_cbranch_vccz .LBB948_544
; %bb.543:
	v_lshl_add_u32 v2, v36, 2, v3
	v_mov_b32_e32 v3, 1
	ds_add_u32 v2, v3
.LBB948_544:
	v_lshrrev_b32_e32 v2, s8, v17
	v_and_b32_e32 v2, s14, v2
	v_lshl_or_b32 v2, v2, 4, v1
	v_mov_b32_e32 v3, 1
	ds_add_u32 v2, v3
	s_and_b64 vcc, exec, s[4:5]
	v_lshrrev_b32_sdwa v2, s8, v19 dst_sel:DWORD dst_unused:UNUSED_PAD src0_sel:DWORD src1_sel:WORD_0
	s_cbranch_vccz .LBB948_546
; %bb.545:
	v_and_b32_e32 v3, s14, v2
	v_lshlrev_b32_e32 v3, 4, v3
	s_mov_b64 s[10:11], -1
	s_cbranch_execz .LBB948_547
	s_branch .LBB948_551
.LBB948_546:
	s_mov_b64 s[10:11], 0
                                        ; implicit-def: $vgpr3
.LBB948_547:
	s_sub_i32 s12, s9, s15
	s_min_u32 s12, s12, 6
	s_lshl_b32 s12, -1, s12
	v_lshrrev_b32_e32 v3, s15, v17
	v_bitop3_b32 v3, v3, s12, v3 bitop3:0x30
	v_lshl_or_b32 v37, v3, 4, v1
	v_mov_b32_e32 v3, 1
	ds_add_u32 v37, v3 offset:1024
	s_not_b32 s17, s12
	s_add_i32 s16, s8, 12
	s_cmp_gt_u32 s9, s16
	s_cselect_b64 s[12:13], -1, 0
	s_cmp_le_u32 s9, s16
	s_cbranch_scc1 .LBB948_549
; %bb.548:
	s_sub_i32 s18, s9, s16
	s_min_u32 s18, s18, 6
	v_lshrrev_b32_e32 v37, s16, v17
	v_bfe_u32 v37, v37, 0, s18
	v_lshl_or_b32 v37, v37, 4, v1
	ds_add_u32 v37, v3 offset:2048
.LBB948_549:
	v_and_b32_e32 v2, s14, v2
	v_lshl_or_b32 v2, v2, 4, v1
	ds_add_u32 v2, v3
	v_lshrrev_b32_sdwa v2, s15, v19 dst_sel:DWORD dst_unused:UNUSED_PAD src0_sel:DWORD src1_sel:WORD_0
	v_and_b32_e32 v2, s17, v2
	v_lshl_or_b32 v2, v2, 4, v1
	ds_add_u32 v2, v3 offset:1024
	s_andn2_b64 vcc, exec, s[12:13]
                                        ; implicit-def: $vgpr3
	s_cbranch_vccnz .LBB948_551
; %bb.550:
	s_sub_i32 s10, s9, s16
	s_min_u32 s10, s10, 6
	v_lshrrev_b32_sdwa v2, s16, v19 dst_sel:DWORD dst_unused:UNUSED_PAD src0_sel:DWORD src1_sel:WORD_0
	v_bfe_u32 v2, v2, 0, s10
	v_mov_b32_e32 v3, 0x800
	v_lshl_or_b32 v3, v2, 4, v3
	s_mov_b64 s[10:11], -1
.LBB948_551:
	s_and_b64 vcc, exec, s[10:11]
	s_cbranch_vccz .LBB948_553
; %bb.552:
	v_lshl_add_u32 v2, v36, 2, v3
	v_mov_b32_e32 v3, 1
	ds_add_u32 v2, v3
.LBB948_553:
	v_lshrrev_b32_e32 v2, s8, v18
	v_and_b32_e32 v2, s14, v2
	v_lshl_or_b32 v2, v2, 4, v1
	v_mov_b32_e32 v3, 1
	ds_add_u32 v2, v3
	s_and_b64 vcc, exec, s[4:5]
	v_lshrrev_b32_sdwa v2, s8, v16 dst_sel:DWORD dst_unused:UNUSED_PAD src0_sel:DWORD src1_sel:WORD_0
	s_cbranch_vccz .LBB948_555
; %bb.554:
	v_and_b32_e32 v3, s14, v2
	v_lshlrev_b32_e32 v3, 4, v3
	s_mov_b64 s[10:11], -1
	s_cbranch_execz .LBB948_556
	s_branch .LBB948_560
.LBB948_555:
	s_mov_b64 s[10:11], 0
                                        ; implicit-def: $vgpr3
.LBB948_556:
	s_sub_i32 s12, s9, s15
	s_min_u32 s12, s12, 6
	s_lshl_b32 s12, -1, s12
	v_lshrrev_b32_e32 v3, s15, v18
	v_bitop3_b32 v3, v3, s12, v3 bitop3:0x30
	v_lshl_or_b32 v37, v3, 4, v1
	v_mov_b32_e32 v3, 1
	ds_add_u32 v37, v3 offset:1024
	s_not_b32 s17, s12
	s_add_i32 s16, s8, 12
	s_cmp_gt_u32 s9, s16
	s_cselect_b64 s[12:13], -1, 0
	s_cmp_le_u32 s9, s16
	s_cbranch_scc1 .LBB948_558
; %bb.557:
	s_sub_i32 s18, s9, s16
	v_lshrrev_b32_e32 v37, s16, v18
	s_min_u32 s18, s18, 6
	v_bfe_u32 v37, v37, 0, s18
	v_lshl_or_b32 v37, v37, 4, v1
	ds_add_u32 v37, v3 offset:2048
.LBB948_558:
	v_and_b32_e32 v2, s14, v2
	v_lshl_or_b32 v2, v2, 4, v1
	ds_add_u32 v2, v3
	v_lshrrev_b32_sdwa v2, s15, v16 dst_sel:DWORD dst_unused:UNUSED_PAD src0_sel:DWORD src1_sel:WORD_0
	v_and_b32_e32 v2, s17, v2
	v_lshl_or_b32 v2, v2, 4, v1
	ds_add_u32 v2, v3 offset:1024
	s_andn2_b64 vcc, exec, s[12:13]
                                        ; implicit-def: $vgpr3
	s_cbranch_vccnz .LBB948_560
; %bb.559:
	s_sub_i32 s10, s9, s16
	s_min_u32 s10, s10, 6
	v_lshrrev_b32_sdwa v2, s16, v16 dst_sel:DWORD dst_unused:UNUSED_PAD src0_sel:DWORD src1_sel:WORD_0
	v_bfe_u32 v2, v2, 0, s10
	v_mov_b32_e32 v3, 0x800
	v_lshl_or_b32 v3, v2, 4, v3
	s_mov_b64 s[10:11], -1
.LBB948_560:
	s_and_b64 vcc, exec, s[10:11]
	s_cbranch_vccz .LBB948_562
; %bb.561:
	v_lshl_add_u32 v2, v36, 2, v3
	v_mov_b32_e32 v3, 1
	ds_add_u32 v2, v3
.LBB948_562:
	v_lshrrev_b32_e32 v2, s8, v15
	v_and_b32_e32 v2, s14, v2
	v_lshl_or_b32 v2, v2, 4, v1
	v_mov_b32_e32 v3, 1
	ds_add_u32 v2, v3
	s_and_b64 vcc, exec, s[4:5]
	v_lshrrev_b32_sdwa v2, s8, v13 dst_sel:DWORD dst_unused:UNUSED_PAD src0_sel:DWORD src1_sel:WORD_0
	s_cbranch_vccz .LBB948_564
; %bb.563:
	v_and_b32_e32 v3, s14, v2
	v_lshlrev_b32_e32 v3, 4, v3
	s_mov_b64 s[10:11], -1
	s_cbranch_execz .LBB948_565
	s_branch .LBB948_569
.LBB948_564:
	s_mov_b64 s[10:11], 0
                                        ; implicit-def: $vgpr3
.LBB948_565:
	s_sub_i32 s12, s9, s15
	s_min_u32 s12, s12, 6
	s_lshl_b32 s12, -1, s12
	v_lshrrev_b32_e32 v3, s15, v15
	v_bitop3_b32 v3, v3, s12, v3 bitop3:0x30
	v_lshl_or_b32 v37, v3, 4, v1
	v_mov_b32_e32 v3, 1
	ds_add_u32 v37, v3 offset:1024
	s_not_b32 s17, s12
	s_add_i32 s16, s8, 12
	s_cmp_gt_u32 s9, s16
	s_cselect_b64 s[12:13], -1, 0
	s_cmp_le_u32 s9, s16
	s_cbranch_scc1 .LBB948_567
; %bb.566:
	s_sub_i32 s18, s9, s16
	s_min_u32 s18, s18, 6
	v_lshrrev_b32_e32 v37, s16, v15
	v_bfe_u32 v37, v37, 0, s18
	v_lshl_or_b32 v37, v37, 4, v1
	ds_add_u32 v37, v3 offset:2048
.LBB948_567:
	v_and_b32_e32 v2, s14, v2
	v_lshl_or_b32 v2, v2, 4, v1
	ds_add_u32 v2, v3
	v_lshrrev_b32_sdwa v2, s15, v13 dst_sel:DWORD dst_unused:UNUSED_PAD src0_sel:DWORD src1_sel:WORD_0
	v_and_b32_e32 v2, s17, v2
	v_lshl_or_b32 v2, v2, 4, v1
	ds_add_u32 v2, v3 offset:1024
	s_andn2_b64 vcc, exec, s[12:13]
                                        ; implicit-def: $vgpr3
	s_cbranch_vccnz .LBB948_569
; %bb.568:
	s_sub_i32 s10, s9, s16
	s_min_u32 s10, s10, 6
	v_lshrrev_b32_sdwa v2, s16, v13 dst_sel:DWORD dst_unused:UNUSED_PAD src0_sel:DWORD src1_sel:WORD_0
	v_bfe_u32 v2, v2, 0, s10
	v_mov_b32_e32 v3, 0x800
	v_lshl_or_b32 v3, v2, 4, v3
	s_mov_b64 s[10:11], -1
.LBB948_569:
	s_and_b64 vcc, exec, s[10:11]
	s_cbranch_vccz .LBB948_571
; %bb.570:
	v_lshl_add_u32 v2, v36, 2, v3
	v_mov_b32_e32 v3, 1
	ds_add_u32 v2, v3
.LBB948_571:
	v_lshrrev_b32_e32 v2, s8, v12
	v_and_b32_e32 v2, s14, v2
	v_lshl_or_b32 v2, v2, 4, v1
	v_mov_b32_e32 v3, 1
	ds_add_u32 v2, v3
	s_and_b64 vcc, exec, s[4:5]
	s_waitcnt vmcnt(4)
	v_lshrrev_b32_sdwa v2, s8, v14 dst_sel:DWORD dst_unused:UNUSED_PAD src0_sel:DWORD src1_sel:WORD_0
	s_cbranch_vccz .LBB948_573
; %bb.572:
	v_and_b32_e32 v3, s14, v2
	v_lshlrev_b32_e32 v3, 4, v3
	s_mov_b64 s[10:11], -1
	s_cbranch_execz .LBB948_574
	s_branch .LBB948_578
.LBB948_573:
	s_mov_b64 s[10:11], 0
                                        ; implicit-def: $vgpr3
.LBB948_574:
	s_sub_i32 s12, s9, s15
	s_min_u32 s12, s12, 6
	s_lshl_b32 s12, -1, s12
	v_lshrrev_b32_e32 v3, s15, v12
	v_bitop3_b32 v3, v3, s12, v3 bitop3:0x30
	v_lshl_or_b32 v37, v3, 4, v1
	v_mov_b32_e32 v3, 1
	ds_add_u32 v37, v3 offset:1024
	s_not_b32 s17, s12
	s_add_i32 s16, s8, 12
	s_cmp_gt_u32 s9, s16
	s_cselect_b64 s[12:13], -1, 0
	s_cmp_le_u32 s9, s16
	s_cbranch_scc1 .LBB948_576
; %bb.575:
	s_sub_i32 s18, s9, s16
	s_min_u32 s18, s18, 6
	v_lshrrev_b32_e32 v37, s16, v12
	v_bfe_u32 v37, v37, 0, s18
	v_lshl_or_b32 v37, v37, 4, v1
	ds_add_u32 v37, v3 offset:2048
.LBB948_576:
	v_and_b32_e32 v2, s14, v2
	v_lshl_or_b32 v2, v2, 4, v1
	ds_add_u32 v2, v3
	v_lshrrev_b32_sdwa v2, s15, v14 dst_sel:DWORD dst_unused:UNUSED_PAD src0_sel:DWORD src1_sel:WORD_0
	v_and_b32_e32 v2, s17, v2
	v_lshl_or_b32 v2, v2, 4, v1
	ds_add_u32 v2, v3 offset:1024
	s_andn2_b64 vcc, exec, s[12:13]
                                        ; implicit-def: $vgpr3
	s_cbranch_vccnz .LBB948_578
; %bb.577:
	s_sub_i32 s10, s9, s16
	s_min_u32 s10, s10, 6
	v_lshrrev_b32_sdwa v2, s16, v14 dst_sel:DWORD dst_unused:UNUSED_PAD src0_sel:DWORD src1_sel:WORD_0
	v_bfe_u32 v2, v2, 0, s10
	v_mov_b32_e32 v3, 0x800
	v_lshl_or_b32 v3, v2, 4, v3
	s_mov_b64 s[10:11], -1
.LBB948_578:
	s_and_b64 vcc, exec, s[10:11]
	s_cbranch_vccz .LBB948_580
; %bb.579:
	v_lshl_add_u32 v2, v36, 2, v3
	v_mov_b32_e32 v3, 1
	ds_add_u32 v2, v3
.LBB948_580:
	v_lshrrev_b32_e32 v2, s8, v11
	v_and_b32_e32 v2, s14, v2
	v_lshl_or_b32 v2, v2, 4, v1
	v_mov_b32_e32 v3, 1
	ds_add_u32 v2, v3
	s_and_b64 vcc, exec, s[4:5]
	v_lshrrev_b32_sdwa v2, s8, v10 dst_sel:DWORD dst_unused:UNUSED_PAD src0_sel:DWORD src1_sel:WORD_0
	s_cbranch_vccz .LBB948_582
; %bb.581:
	v_and_b32_e32 v3, s14, v2
	v_lshlrev_b32_e32 v3, 4, v3
	s_mov_b64 s[10:11], -1
	s_cbranch_execz .LBB948_583
	s_branch .LBB948_587
.LBB948_582:
	s_mov_b64 s[10:11], 0
                                        ; implicit-def: $vgpr3
.LBB948_583:
	s_sub_i32 s12, s9, s15
	s_min_u32 s12, s12, 6
	s_lshl_b32 s12, -1, s12
	v_lshrrev_b32_e32 v3, s15, v11
	v_bitop3_b32 v3, v3, s12, v3 bitop3:0x30
	v_lshl_or_b32 v37, v3, 4, v1
	v_mov_b32_e32 v3, 1
	ds_add_u32 v37, v3 offset:1024
	s_not_b32 s17, s12
	s_add_i32 s16, s8, 12
	s_cmp_gt_u32 s9, s16
	s_cselect_b64 s[12:13], -1, 0
	s_cmp_le_u32 s9, s16
	s_cbranch_scc1 .LBB948_585
; %bb.584:
	s_sub_i32 s18, s9, s16
	s_min_u32 s18, s18, 6
	v_lshrrev_b32_e32 v37, s16, v11
	v_bfe_u32 v37, v37, 0, s18
	v_lshl_or_b32 v37, v37, 4, v1
	ds_add_u32 v37, v3 offset:2048
.LBB948_585:
	v_and_b32_e32 v2, s14, v2
	v_lshl_or_b32 v2, v2, 4, v1
	ds_add_u32 v2, v3
	v_lshrrev_b32_sdwa v2, s15, v10 dst_sel:DWORD dst_unused:UNUSED_PAD src0_sel:DWORD src1_sel:WORD_0
	v_and_b32_e32 v2, s17, v2
	v_lshl_or_b32 v2, v2, 4, v1
	ds_add_u32 v2, v3 offset:1024
	s_andn2_b64 vcc, exec, s[12:13]
                                        ; implicit-def: $vgpr3
	s_cbranch_vccnz .LBB948_587
; %bb.586:
	s_sub_i32 s10, s9, s16
	s_min_u32 s10, s10, 6
	v_lshrrev_b32_sdwa v2, s16, v10 dst_sel:DWORD dst_unused:UNUSED_PAD src0_sel:DWORD src1_sel:WORD_0
	v_bfe_u32 v2, v2, 0, s10
	v_mov_b32_e32 v3, 0x800
	v_lshl_or_b32 v3, v2, 4, v3
	s_mov_b64 s[10:11], -1
.LBB948_587:
	s_and_b64 vcc, exec, s[10:11]
	s_cbranch_vccz .LBB948_589
; %bb.588:
	v_lshl_add_u32 v2, v36, 2, v3
	v_mov_b32_e32 v3, 1
	ds_add_u32 v2, v3
.LBB948_589:
	v_lshrrev_b32_e32 v2, s8, v9
	v_and_b32_e32 v2, s14, v2
	v_lshl_or_b32 v2, v2, 4, v1
	v_mov_b32_e32 v3, 1
	ds_add_u32 v2, v3
	s_and_b64 vcc, exec, s[4:5]
	v_lshrrev_b32_sdwa v2, s8, v7 dst_sel:DWORD dst_unused:UNUSED_PAD src0_sel:DWORD src1_sel:WORD_0
	s_cbranch_vccz .LBB948_591
; %bb.590:
	v_and_b32_e32 v3, s14, v2
	v_lshlrev_b32_e32 v3, 4, v3
	s_mov_b64 s[10:11], -1
	s_cbranch_execz .LBB948_592
	s_branch .LBB948_596
.LBB948_591:
	s_mov_b64 s[10:11], 0
                                        ; implicit-def: $vgpr3
.LBB948_592:
	s_sub_i32 s12, s9, s15
	s_min_u32 s12, s12, 6
	s_lshl_b32 s12, -1, s12
	v_lshrrev_b32_e32 v3, s15, v9
	v_bitop3_b32 v3, v3, s12, v3 bitop3:0x30
	v_lshl_or_b32 v37, v3, 4, v1
	v_mov_b32_e32 v3, 1
	ds_add_u32 v37, v3 offset:1024
	s_not_b32 s17, s12
	s_add_i32 s16, s8, 12
	s_cmp_gt_u32 s9, s16
	s_cselect_b64 s[12:13], -1, 0
	s_cmp_le_u32 s9, s16
	s_cbranch_scc1 .LBB948_594
; %bb.593:
	s_sub_i32 s18, s9, s16
	s_min_u32 s18, s18, 6
	v_lshrrev_b32_e32 v37, s16, v9
	v_bfe_u32 v37, v37, 0, s18
	v_lshl_or_b32 v37, v37, 4, v1
	ds_add_u32 v37, v3 offset:2048
.LBB948_594:
	v_and_b32_e32 v2, s14, v2
	v_lshl_or_b32 v2, v2, 4, v1
	ds_add_u32 v2, v3
	v_lshrrev_b32_sdwa v2, s15, v7 dst_sel:DWORD dst_unused:UNUSED_PAD src0_sel:DWORD src1_sel:WORD_0
	v_and_b32_e32 v2, s17, v2
	v_lshl_or_b32 v2, v2, 4, v1
	ds_add_u32 v2, v3 offset:1024
	s_andn2_b64 vcc, exec, s[12:13]
                                        ; implicit-def: $vgpr3
	s_cbranch_vccnz .LBB948_596
; %bb.595:
	s_sub_i32 s10, s9, s16
	s_min_u32 s10, s10, 6
	v_lshrrev_b32_sdwa v2, s16, v7 dst_sel:DWORD dst_unused:UNUSED_PAD src0_sel:DWORD src1_sel:WORD_0
	v_bfe_u32 v2, v2, 0, s10
	v_mov_b32_e32 v3, 0x800
	v_lshl_or_b32 v3, v2, 4, v3
	s_mov_b64 s[10:11], -1
.LBB948_596:
	s_and_b64 vcc, exec, s[10:11]
	s_cbranch_vccz .LBB948_598
; %bb.597:
	v_lshl_add_u32 v2, v36, 2, v3
	v_mov_b32_e32 v3, 1
	ds_add_u32 v2, v3
.LBB948_598:
	s_waitcnt vmcnt(3)
	v_lshrrev_b32_e32 v2, s8, v8
	v_and_b32_e32 v2, s14, v2
	v_lshl_or_b32 v2, v2, 4, v1
	v_mov_b32_e32 v3, 1
	ds_add_u32 v2, v3
	s_and_b64 vcc, exec, s[4:5]
	s_waitcnt vmcnt(2)
	v_lshrrev_b32_sdwa v2, s8, v6 dst_sel:DWORD dst_unused:UNUSED_PAD src0_sel:DWORD src1_sel:WORD_0
	s_cbranch_vccz .LBB948_600
; %bb.599:
	v_and_b32_e32 v3, s14, v2
	v_lshlrev_b32_e32 v3, 4, v3
	s_mov_b64 s[10:11], -1
	s_cbranch_execz .LBB948_601
	s_branch .LBB948_605
.LBB948_600:
	s_mov_b64 s[10:11], 0
                                        ; implicit-def: $vgpr3
.LBB948_601:
	s_sub_i32 s12, s9, s15
	s_min_u32 s12, s12, 6
	s_lshl_b32 s12, -1, s12
	v_lshrrev_b32_e32 v3, s15, v8
	v_bitop3_b32 v3, v3, s12, v3 bitop3:0x30
	v_lshl_or_b32 v37, v3, 4, v1
	v_mov_b32_e32 v3, 1
	ds_add_u32 v37, v3 offset:1024
	s_not_b32 s17, s12
	s_add_i32 s16, s8, 12
	s_cmp_gt_u32 s9, s16
	s_cselect_b64 s[12:13], -1, 0
	s_cmp_le_u32 s9, s16
	s_cbranch_scc1 .LBB948_603
; %bb.602:
	s_sub_i32 s18, s9, s16
	s_min_u32 s18, s18, 6
	v_lshrrev_b32_e32 v37, s16, v8
	v_bfe_u32 v37, v37, 0, s18
	v_lshl_or_b32 v37, v37, 4, v1
	ds_add_u32 v37, v3 offset:2048
.LBB948_603:
	v_and_b32_e32 v2, s14, v2
	v_lshl_or_b32 v2, v2, 4, v1
	ds_add_u32 v2, v3
	v_lshrrev_b32_sdwa v2, s15, v6 dst_sel:DWORD dst_unused:UNUSED_PAD src0_sel:DWORD src1_sel:WORD_0
	v_and_b32_e32 v2, s17, v2
	v_lshl_or_b32 v2, v2, 4, v1
	ds_add_u32 v2, v3 offset:1024
	s_andn2_b64 vcc, exec, s[12:13]
                                        ; implicit-def: $vgpr3
	s_cbranch_vccnz .LBB948_605
; %bb.604:
	s_sub_i32 s10, s9, s16
	s_min_u32 s10, s10, 6
	v_lshrrev_b32_sdwa v2, s16, v6 dst_sel:DWORD dst_unused:UNUSED_PAD src0_sel:DWORD src1_sel:WORD_0
	v_bfe_u32 v2, v2, 0, s10
	v_mov_b32_e32 v3, 0x800
	v_lshl_or_b32 v3, v2, 4, v3
	s_mov_b64 s[10:11], -1
.LBB948_605:
	s_and_b64 vcc, exec, s[10:11]
	s_cbranch_vccz .LBB948_607
; %bb.606:
	v_lshl_add_u32 v2, v36, 2, v3
	v_mov_b32_e32 v3, 1
	ds_add_u32 v2, v3
.LBB948_607:
	s_waitcnt vmcnt(1)
	v_lshrrev_b32_e32 v2, s8, v5
	v_and_b32_e32 v2, s14, v2
	v_lshl_or_b32 v2, v2, 4, v1
	v_mov_b32_e32 v3, 1
	ds_add_u32 v2, v3
	s_and_b64 vcc, exec, s[4:5]
	s_waitcnt vmcnt(0)
	v_lshrrev_b32_sdwa v2, s8, v4 dst_sel:DWORD dst_unused:UNUSED_PAD src0_sel:DWORD src1_sel:WORD_0
	s_cbranch_vccz .LBB948_609
; %bb.608:
	v_and_b32_e32 v3, s14, v2
	v_lshlrev_b32_e32 v3, 4, v3
	s_mov_b64 s[4:5], -1
	s_cbranch_execz .LBB948_610
	s_branch .LBB948_614
.LBB948_609:
	s_mov_b64 s[4:5], 0
                                        ; implicit-def: $vgpr3
.LBB948_610:
	s_sub_i32 s10, s9, s15
	s_min_u32 s10, s10, 6
	s_lshl_b32 s10, -1, s10
	v_lshrrev_b32_e32 v3, s15, v5
	v_bitop3_b32 v3, v3, s10, v3 bitop3:0x30
	v_lshl_or_b32 v37, v3, 4, v1
	v_mov_b32_e32 v3, 1
	ds_add_u32 v37, v3 offset:1024
	s_not_b32 s13, s10
	s_add_i32 s12, s8, 12
	s_cmp_gt_u32 s9, s12
	s_cselect_b64 s[10:11], -1, 0
	s_cmp_le_u32 s9, s12
	s_cbranch_scc1 .LBB948_612
; %bb.611:
	s_sub_i32 s16, s9, s12
	v_lshrrev_b32_e32 v37, s12, v5
	s_min_u32 s16, s16, 6
	v_bfe_u32 v37, v37, 0, s16
	v_lshl_or_b32 v37, v37, 4, v1
	ds_add_u32 v37, v3 offset:2048
.LBB948_612:
	v_and_b32_e32 v2, s14, v2
	v_lshl_or_b32 v2, v2, 4, v1
	ds_add_u32 v2, v3
	v_lshrrev_b32_sdwa v2, s15, v4 dst_sel:DWORD dst_unused:UNUSED_PAD src0_sel:DWORD src1_sel:WORD_0
	v_and_b32_e32 v2, s13, v2
	v_lshl_or_b32 v1, v2, 4, v1
	ds_add_u32 v1, v3 offset:1024
	s_andn2_b64 vcc, exec, s[10:11]
                                        ; implicit-def: $vgpr3
	s_cbranch_vccnz .LBB948_614
; %bb.613:
	s_sub_i32 s4, s9, s12
	s_min_u32 s4, s4, 6
	v_lshrrev_b32_sdwa v1, s12, v4 dst_sel:DWORD dst_unused:UNUSED_PAD src0_sel:DWORD src1_sel:WORD_0
	v_bfe_u32 v1, v1, 0, s4
	v_mov_b32_e32 v2, 0x800
	v_lshl_or_b32 v3, v1, 4, v2
	s_mov_b64 s[4:5], -1
.LBB948_614:
	s_and_b64 vcc, exec, s[4:5]
	s_cbranch_vccz .LBB948_616
; %bb.615:
	v_lshl_add_u32 v1, v36, 2, v3
	v_mov_b32_e32 v2, 1
	ds_add_u32 v1, v2
.LBB948_616:
	s_and_b64 vcc, exec, s[2:3]
	s_waitcnt lgkmcnt(0)
	s_barrier
	s_cbranch_vccz .LBB948_621
; %bb.617:
	v_cmp_gt_u32_e32 vcc, 64, v0
	v_lshlrev_b32_e32 v1, 4, v0
	v_mov_b32_e32 v3, 0
	v_mov_b32_e32 v2, v0
	s_branch .LBB948_619
.LBB948_618:                            ;   in Loop: Header=BB948_619 Depth=1
	s_or_b64 exec, exec, s[2:3]
	s_add_i32 s8, s8, 6
	v_add_u32_e32 v2, 64, v2
	s_cmp_ge_u32 s8, s9
	v_add_u32_e32 v1, 0x400, v1
	s_cbranch_scc1 .LBB948_621
.LBB948_619:                            ; =>This Inner Loop Header: Depth=1
	s_and_saveexec_b64 s[2:3], vcc
	s_cbranch_execz .LBB948_618
; %bb.620:                              ;   in Loop: Header=BB948_619 Depth=1
	ds_read2_b32 v[38:39], v1 offset1:1
	ds_read2_b32 v[40:41], v1 offset0:2 offset1:3
	s_waitcnt lgkmcnt(1)
	v_add_u32_e32 v37, v39, v38
	s_waitcnt lgkmcnt(0)
	v_add3_u32 v37, v37, v40, v41
	v_lshl_add_u64 v[38:39], v[2:3], 2, s[6:7]
	global_atomic_add v[38:39], v37, off
	s_branch .LBB948_618
.LBB948_621:
	s_mov_b64 s[4:5], 0
.LBB948_622:
	s_and_b64 vcc, exec, s[4:5]
	s_cbranch_vccz .LBB948_632
; %bb.623:
	v_lshlrev_b32_e32 v3, 2, v0
	s_and_saveexec_b64 s[2:3], s[0:1]
	s_cbranch_execz .LBB948_630
; %bb.624:
	s_movk_i32 s0, 0x100
	v_sub_u32_e64 v1, s0, v0 clamp
	v_add_u32_e32 v1, 0x1ff, v1
	v_lshrrev_b32_e32 v2, 9, v1
	s_mov_b32 s4, 0
	v_mov_b32_e32 v1, v2
	s_mov_b32 s5, 1
	s_mov_b64 s[8:9], 0
	v_mov_b32_e32 v37, 0
	v_mov_b32_e32 v38, v3
	s_mov_b32 s10, s4
	s_branch .LBB948_626
.LBB948_625:                            ;   in Loop: Header=BB948_626 Depth=1
	s_or_b64 exec, exec, s[0:1]
	s_add_i32 s10, s10, 2
	v_cmp_eq_u32_e64 s[0:1], 2, s10
	s_or_b64 s[8:9], s[0:1], s[8:9]
	v_add_u32_e32 v38, 0x1000, v38
	s_andn2_b64 exec, exec, s[8:9]
	s_cbranch_execz .LBB948_630
.LBB948_626:                            ; =>This Inner Loop Header: Depth=1
	s_mov_b32 s11, s10
	s_or_b64 s[0:1], s[10:11], s[4:5]
	v_cmp_le_u32_e32 vcc, s1, v1
	v_cmp_le_u32_e64 s[0:1], s0, v2
	s_and_saveexec_b64 s[12:13], s[0:1]
; %bb.627:                              ;   in Loop: Header=BB948_626 Depth=1
	ds_write_b32 v38, v37
; %bb.628:                              ;   in Loop: Header=BB948_626 Depth=1
	s_or_b64 exec, exec, s[12:13]
	s_and_saveexec_b64 s[0:1], vcc
	s_cbranch_execz .LBB948_625
; %bb.629:                              ;   in Loop: Header=BB948_626 Depth=1
	ds_write_b32 v38, v37 offset:2048
	s_branch .LBB948_625
.LBB948_630:
	s_or_b64 exec, exec, s[2:3]
	s_waitcnt vmcnt(7)
	v_lshlrev_b32_e32 v1, 4, v35
	v_lshlrev_b32_e32 v2, 2, v36
	s_movk_i32 s0, 0x3f0
	v_and_or_b32 v1, v1, s0, v2
	v_mov_b32_e32 v36, 1
	s_waitcnt lgkmcnt(0)
	s_barrier
	ds_add_u32 v1, v36
	v_lshrrev_b32_e32 v1, 2, v35
	v_and_or_b32 v1, v1, s0, v2
	ds_add_u32 v1, v36 offset:1024
	v_lshrrev_b32_e32 v1, 8, v35
	s_movk_i32 s1, 0xf0
	v_and_or_b32 v1, v1, s1, v2
	ds_add_u32 v1, v36 offset:2048
	v_mov_b32_e32 v1, 4
	s_waitcnt vmcnt(6)
	v_lshlrev_b32_sdwa v35, v1, v34 dst_sel:DWORD dst_unused:UNUSED_PAD src0_sel:DWORD src1_sel:WORD_0
	v_and_or_b32 v35, v35, s0, v2
	ds_add_u32 v35, v36
	v_mov_b32_e32 v35, 2
	v_lshrrev_b32_sdwa v37, v35, v34 dst_sel:DWORD dst_unused:UNUSED_PAD src0_sel:DWORD src1_sel:WORD_0
	v_and_or_b32 v37, v37, s0, v2
	ds_add_u32 v37, v36 offset:1024
	v_mov_b32_e32 v37, 8
	v_lshrrev_b32_sdwa v34, v37, v34 dst_sel:DWORD dst_unused:UNUSED_PAD src0_sel:DWORD src1_sel:WORD_0
	v_and_or_b32 v34, v34, s1, v2
	ds_add_u32 v34, v36 offset:2048
	s_waitcnt vmcnt(5)
	v_lshlrev_b32_e32 v34, 4, v33
	v_and_or_b32 v34, v34, s0, v2
	ds_add_u32 v34, v36
	v_lshrrev_b32_e32 v34, 2, v33
	v_and_or_b32 v34, v34, s0, v2
	v_lshrrev_b32_e32 v33, 8, v33
	ds_add_u32 v34, v36 offset:1024
	v_and_or_b32 v33, v33, s1, v2
	ds_add_u32 v33, v36 offset:2048
	v_lshlrev_b32_sdwa v33, v1, v31 dst_sel:DWORD dst_unused:UNUSED_PAD src0_sel:DWORD src1_sel:WORD_0
	v_and_or_b32 v33, v33, s0, v2
	ds_add_u32 v33, v36
	v_lshrrev_b32_sdwa v33, v35, v31 dst_sel:DWORD dst_unused:UNUSED_PAD src0_sel:DWORD src1_sel:WORD_0
	v_and_or_b32 v33, v33, s0, v2
	v_lshrrev_b32_sdwa v31, v37, v31 dst_sel:DWORD dst_unused:UNUSED_PAD src0_sel:DWORD src1_sel:WORD_0
	ds_add_u32 v33, v36 offset:1024
	v_and_or_b32 v31, v31, s1, v2
	ds_add_u32 v31, v36 offset:2048
	v_lshlrev_b32_e32 v31, 4, v29
	v_and_or_b32 v31, v31, s0, v2
	ds_add_u32 v31, v36
	v_lshrrev_b32_e32 v31, 2, v29
	v_and_or_b32 v31, v31, s0, v2
	v_lshrrev_b32_e32 v29, 8, v29
	ds_add_u32 v31, v36 offset:1024
	v_and_or_b32 v29, v29, s1, v2
	ds_add_u32 v29, v36 offset:2048
	v_lshlrev_b32_sdwa v29, v1, v32 dst_sel:DWORD dst_unused:UNUSED_PAD src0_sel:DWORD src1_sel:WORD_0
	v_and_or_b32 v29, v29, s0, v2
	ds_add_u32 v29, v36
	v_lshrrev_b32_sdwa v29, v35, v32 dst_sel:DWORD dst_unused:UNUSED_PAD src0_sel:DWORD src1_sel:WORD_0
	v_and_or_b32 v29, v29, s0, v2
	ds_add_u32 v29, v36 offset:1024
	v_lshrrev_b32_sdwa v29, v37, v32 dst_sel:DWORD dst_unused:UNUSED_PAD src0_sel:DWORD src1_sel:WORD_0
	v_and_or_b32 v29, v29, s1, v2
	ds_add_u32 v29, v36 offset:2048
	v_lshlrev_b32_e32 v29, 4, v30
	v_and_or_b32 v29, v29, s0, v2
	ds_add_u32 v29, v36
	v_lshrrev_b32_e32 v29, 2, v30
	v_and_or_b32 v29, v29, s0, v2
	ds_add_u32 v29, v36 offset:1024
	v_lshrrev_b32_e32 v29, 8, v30
	v_and_or_b32 v29, v29, s1, v2
	ds_add_u32 v29, v36 offset:2048
	v_lshlrev_b32_sdwa v29, v1, v28 dst_sel:DWORD dst_unused:UNUSED_PAD src0_sel:DWORD src1_sel:WORD_0
	v_and_or_b32 v29, v29, s0, v2
	ds_add_u32 v29, v36
	v_lshrrev_b32_sdwa v29, v35, v28 dst_sel:DWORD dst_unused:UNUSED_PAD src0_sel:DWORD src1_sel:WORD_0
	v_and_or_b32 v29, v29, s0, v2
	v_lshrrev_b32_sdwa v28, v37, v28 dst_sel:DWORD dst_unused:UNUSED_PAD src0_sel:DWORD src1_sel:WORD_0
	ds_add_u32 v29, v36 offset:1024
	v_and_or_b32 v28, v28, s1, v2
	ds_add_u32 v28, v36 offset:2048
	v_lshlrev_b32_e32 v28, 4, v27
	v_and_or_b32 v28, v28, s0, v2
	ds_add_u32 v28, v36
	v_lshrrev_b32_e32 v28, 2, v27
	v_and_or_b32 v28, v28, s0, v2
	v_lshrrev_b32_e32 v27, 8, v27
	ds_add_u32 v28, v36 offset:1024
	v_and_or_b32 v27, v27, s1, v2
	ds_add_u32 v27, v36 offset:2048
	v_lshlrev_b32_sdwa v27, v1, v26 dst_sel:DWORD dst_unused:UNUSED_PAD src0_sel:DWORD src1_sel:WORD_0
	v_and_or_b32 v27, v27, s0, v2
	ds_add_u32 v27, v36
	v_lshrrev_b32_sdwa v27, v35, v26 dst_sel:DWORD dst_unused:UNUSED_PAD src0_sel:DWORD src1_sel:WORD_0
	v_and_or_b32 v27, v27, s0, v2
	v_lshrrev_b32_sdwa v26, v37, v26 dst_sel:DWORD dst_unused:UNUSED_PAD src0_sel:DWORD src1_sel:WORD_0
	ds_add_u32 v27, v36 offset:1024
	v_and_or_b32 v26, v26, s1, v2
	ds_add_u32 v26, v36 offset:2048
	v_lshlrev_b32_e32 v26, 4, v25
	v_and_or_b32 v26, v26, s0, v2
	ds_add_u32 v26, v36
	v_lshrrev_b32_e32 v26, 2, v25
	v_and_or_b32 v26, v26, s0, v2
	v_lshrrev_b32_e32 v25, 8, v25
	ds_add_u32 v26, v36 offset:1024
	;; [unrolled: 18-line block ×3, first 2 shown]
	v_and_or_b32 v21, v21, s1, v2
	ds_add_u32 v21, v36 offset:2048
	v_lshlrev_b32_sdwa v21, v1, v24 dst_sel:DWORD dst_unused:UNUSED_PAD src0_sel:DWORD src1_sel:WORD_0
	v_and_or_b32 v21, v21, s0, v2
	ds_add_u32 v21, v36
	v_lshrrev_b32_sdwa v21, v35, v24 dst_sel:DWORD dst_unused:UNUSED_PAD src0_sel:DWORD src1_sel:WORD_0
	v_and_or_b32 v21, v21, s0, v2
	ds_add_u32 v21, v36 offset:1024
	v_lshrrev_b32_sdwa v21, v37, v24 dst_sel:DWORD dst_unused:UNUSED_PAD src0_sel:DWORD src1_sel:WORD_0
	v_and_or_b32 v21, v21, s1, v2
	ds_add_u32 v21, v36 offset:2048
	v_lshlrev_b32_e32 v21, 4, v22
	v_and_or_b32 v21, v21, s0, v2
	ds_add_u32 v21, v36
	v_lshrrev_b32_e32 v21, 2, v22
	v_and_or_b32 v21, v21, s0, v2
	ds_add_u32 v21, v36 offset:1024
	v_lshrrev_b32_e32 v21, 8, v22
	v_and_or_b32 v21, v21, s1, v2
	ds_add_u32 v21, v36 offset:2048
	v_lshlrev_b32_sdwa v21, v1, v20 dst_sel:DWORD dst_unused:UNUSED_PAD src0_sel:DWORD src1_sel:WORD_0
	v_and_or_b32 v21, v21, s0, v2
	ds_add_u32 v21, v36
	v_lshrrev_b32_sdwa v21, v35, v20 dst_sel:DWORD dst_unused:UNUSED_PAD src0_sel:DWORD src1_sel:WORD_0
	v_and_or_b32 v21, v21, s0, v2
	v_lshrrev_b32_sdwa v20, v37, v20 dst_sel:DWORD dst_unused:UNUSED_PAD src0_sel:DWORD src1_sel:WORD_0
	ds_add_u32 v21, v36 offset:1024
	v_and_or_b32 v20, v20, s1, v2
	ds_add_u32 v20, v36 offset:2048
	v_lshlrev_b32_e32 v20, 4, v17
	v_and_or_b32 v20, v20, s0, v2
	ds_add_u32 v20, v36
	v_lshrrev_b32_e32 v20, 2, v17
	v_and_or_b32 v20, v20, s0, v2
	v_lshrrev_b32_e32 v17, 8, v17
	ds_add_u32 v20, v36 offset:1024
	v_and_or_b32 v17, v17, s1, v2
	ds_add_u32 v17, v36 offset:2048
	v_lshlrev_b32_sdwa v17, v1, v19 dst_sel:DWORD dst_unused:UNUSED_PAD src0_sel:DWORD src1_sel:WORD_0
	v_and_or_b32 v17, v17, s0, v2
	ds_add_u32 v17, v36
	v_lshrrev_b32_sdwa v17, v35, v19 dst_sel:DWORD dst_unused:UNUSED_PAD src0_sel:DWORD src1_sel:WORD_0
	v_and_or_b32 v17, v17, s0, v2
	ds_add_u32 v17, v36 offset:1024
	v_lshrrev_b32_sdwa v17, v37, v19 dst_sel:DWORD dst_unused:UNUSED_PAD src0_sel:DWORD src1_sel:WORD_0
	v_and_or_b32 v17, v17, s1, v2
	ds_add_u32 v17, v36 offset:2048
	v_lshlrev_b32_e32 v17, 4, v18
	v_and_or_b32 v17, v17, s0, v2
	ds_add_u32 v17, v36
	v_lshrrev_b32_e32 v17, 2, v18
	v_and_or_b32 v17, v17, s0, v2
	ds_add_u32 v17, v36 offset:1024
	v_lshrrev_b32_e32 v17, 8, v18
	v_and_or_b32 v17, v17, s1, v2
	ds_add_u32 v17, v36 offset:2048
	v_lshlrev_b32_sdwa v17, v1, v16 dst_sel:DWORD dst_unused:UNUSED_PAD src0_sel:DWORD src1_sel:WORD_0
	v_and_or_b32 v17, v17, s0, v2
	ds_add_u32 v17, v36
	v_lshrrev_b32_sdwa v17, v35, v16 dst_sel:DWORD dst_unused:UNUSED_PAD src0_sel:DWORD src1_sel:WORD_0
	v_and_or_b32 v17, v17, s0, v2
	v_lshrrev_b32_sdwa v16, v37, v16 dst_sel:DWORD dst_unused:UNUSED_PAD src0_sel:DWORD src1_sel:WORD_0
	ds_add_u32 v17, v36 offset:1024
	v_and_or_b32 v16, v16, s1, v2
	ds_add_u32 v16, v36 offset:2048
	v_lshlrev_b32_e32 v16, 4, v15
	v_and_or_b32 v16, v16, s0, v2
	ds_add_u32 v16, v36
	v_lshrrev_b32_e32 v16, 2, v15
	v_and_or_b32 v16, v16, s0, v2
	v_lshrrev_b32_e32 v15, 8, v15
	ds_add_u32 v16, v36 offset:1024
	v_and_or_b32 v15, v15, s1, v2
	ds_add_u32 v15, v36 offset:2048
	v_lshlrev_b32_sdwa v15, v1, v13 dst_sel:DWORD dst_unused:UNUSED_PAD src0_sel:DWORD src1_sel:WORD_0
	v_and_or_b32 v15, v15, s0, v2
	ds_add_u32 v15, v36
	v_lshrrev_b32_sdwa v15, v35, v13 dst_sel:DWORD dst_unused:UNUSED_PAD src0_sel:DWORD src1_sel:WORD_0
	v_and_or_b32 v15, v15, s0, v2
	v_lshrrev_b32_sdwa v13, v37, v13 dst_sel:DWORD dst_unused:UNUSED_PAD src0_sel:DWORD src1_sel:WORD_0
	ds_add_u32 v15, v36 offset:1024
	v_and_or_b32 v13, v13, s1, v2
	ds_add_u32 v13, v36 offset:2048
	v_lshlrev_b32_e32 v13, 4, v12
	v_and_or_b32 v13, v13, s0, v2
	ds_add_u32 v13, v36
	v_lshrrev_b32_e32 v13, 2, v12
	v_and_or_b32 v13, v13, s0, v2
	v_lshrrev_b32_e32 v12, 8, v12
	ds_add_u32 v13, v36 offset:1024
	v_and_or_b32 v12, v12, s1, v2
	ds_add_u32 v12, v36 offset:2048
	s_waitcnt vmcnt(4)
	v_lshlrev_b32_sdwa v12, v1, v14 dst_sel:DWORD dst_unused:UNUSED_PAD src0_sel:DWORD src1_sel:WORD_0
	v_and_or_b32 v12, v12, s0, v2
	ds_add_u32 v12, v36
	v_lshrrev_b32_sdwa v12, v35, v14 dst_sel:DWORD dst_unused:UNUSED_PAD src0_sel:DWORD src1_sel:WORD_0
	v_and_or_b32 v12, v12, s0, v2
	ds_add_u32 v12, v36 offset:1024
	v_lshrrev_b32_sdwa v12, v37, v14 dst_sel:DWORD dst_unused:UNUSED_PAD src0_sel:DWORD src1_sel:WORD_0
	v_and_or_b32 v12, v12, s1, v2
	ds_add_u32 v12, v36 offset:2048
	v_lshlrev_b32_e32 v12, 4, v11
	v_and_or_b32 v12, v12, s0, v2
	ds_add_u32 v12, v36
	v_lshrrev_b32_e32 v12, 2, v11
	v_and_or_b32 v12, v12, s0, v2
	v_lshrrev_b32_e32 v11, 8, v11
	ds_add_u32 v12, v36 offset:1024
	v_and_or_b32 v11, v11, s1, v2
	ds_add_u32 v11, v36 offset:2048
	v_lshlrev_b32_sdwa v11, v1, v10 dst_sel:DWORD dst_unused:UNUSED_PAD src0_sel:DWORD src1_sel:WORD_0
	v_and_or_b32 v11, v11, s0, v2
	ds_add_u32 v11, v36
	v_lshrrev_b32_sdwa v11, v35, v10 dst_sel:DWORD dst_unused:UNUSED_PAD src0_sel:DWORD src1_sel:WORD_0
	v_and_or_b32 v11, v11, s0, v2
	v_lshrrev_b32_sdwa v10, v37, v10 dst_sel:DWORD dst_unused:UNUSED_PAD src0_sel:DWORD src1_sel:WORD_0
	ds_add_u32 v11, v36 offset:1024
	v_and_or_b32 v10, v10, s1, v2
	ds_add_u32 v10, v36 offset:2048
	v_lshlrev_b32_e32 v10, 4, v9
	v_and_or_b32 v10, v10, s0, v2
	ds_add_u32 v10, v36
	v_lshrrev_b32_e32 v10, 2, v9
	v_and_or_b32 v10, v10, s0, v2
	v_lshrrev_b32_e32 v9, 8, v9
	ds_add_u32 v10, v36 offset:1024
	v_and_or_b32 v9, v9, s1, v2
	ds_add_u32 v9, v36 offset:2048
	v_lshlrev_b32_sdwa v9, v1, v7 dst_sel:DWORD dst_unused:UNUSED_PAD src0_sel:DWORD src1_sel:WORD_0
	v_and_or_b32 v9, v9, s0, v2
	ds_add_u32 v9, v36
	v_lshrrev_b32_sdwa v9, v35, v7 dst_sel:DWORD dst_unused:UNUSED_PAD src0_sel:DWORD src1_sel:WORD_0
	v_and_or_b32 v9, v9, s0, v2
	v_lshrrev_b32_sdwa v7, v37, v7 dst_sel:DWORD dst_unused:UNUSED_PAD src0_sel:DWORD src1_sel:WORD_0
	ds_add_u32 v9, v36 offset:1024
	v_and_or_b32 v7, v7, s1, v2
	ds_add_u32 v7, v36 offset:2048
	s_waitcnt vmcnt(3)
	v_lshlrev_b32_e32 v7, 4, v8
	v_and_or_b32 v7, v7, s0, v2
	ds_add_u32 v7, v36
	v_lshrrev_b32_e32 v7, 2, v8
	v_and_or_b32 v7, v7, s0, v2
	ds_add_u32 v7, v36 offset:1024
	v_lshrrev_b32_e32 v7, 8, v8
	v_and_or_b32 v7, v7, s1, v2
	ds_add_u32 v7, v36 offset:2048
	s_waitcnt vmcnt(2)
	v_lshlrev_b32_sdwa v7, v1, v6 dst_sel:DWORD dst_unused:UNUSED_PAD src0_sel:DWORD src1_sel:WORD_0
	v_and_or_b32 v7, v7, s0, v2
	ds_add_u32 v7, v36
	v_lshrrev_b32_sdwa v7, v35, v6 dst_sel:DWORD dst_unused:UNUSED_PAD src0_sel:DWORD src1_sel:WORD_0
	v_and_or_b32 v7, v7, s0, v2
	v_lshrrev_b32_sdwa v6, v37, v6 dst_sel:DWORD dst_unused:UNUSED_PAD src0_sel:DWORD src1_sel:WORD_0
	ds_add_u32 v7, v36 offset:1024
	v_and_or_b32 v6, v6, s1, v2
	ds_add_u32 v6, v36 offset:2048
	s_waitcnt vmcnt(1)
	v_lshlrev_b32_e32 v6, 4, v5
	v_and_or_b32 v6, v6, s0, v2
	ds_add_u32 v6, v36
	v_lshrrev_b32_e32 v6, 2, v5
	v_and_or_b32 v6, v6, s0, v2
	v_lshrrev_b32_e32 v5, 8, v5
	ds_add_u32 v6, v36 offset:1024
	v_and_or_b32 v5, v5, s1, v2
	s_waitcnt vmcnt(0)
	v_lshlrev_b32_sdwa v1, v1, v4 dst_sel:DWORD dst_unused:UNUSED_PAD src0_sel:DWORD src1_sel:WORD_0
	ds_add_u32 v5, v36 offset:2048
	v_and_or_b32 v1, v1, s0, v2
	ds_add_u32 v1, v36
	v_lshrrev_b32_sdwa v1, v35, v4 dst_sel:DWORD dst_unused:UNUSED_PAD src0_sel:DWORD src1_sel:WORD_0
	v_and_or_b32 v1, v1, s0, v2
	ds_add_u32 v1, v36 offset:1024
	v_lshrrev_b32_sdwa v1, v37, v4 dst_sel:DWORD dst_unused:UNUSED_PAD src0_sel:DWORD src1_sel:WORD_0
	v_and_or_b32 v1, v1, s1, v2
	ds_add_u32 v1, v36 offset:2048
	v_cmp_gt_u32_e32 vcc, 64, v0
	s_waitcnt lgkmcnt(0)
	s_barrier
	s_and_saveexec_b64 s[0:1], vcc
	s_cbranch_execz .LBB948_632
; %bb.631:
	v_lshlrev_b32_e32 v2, 4, v0
	ds_read2_b32 v[0:1], v2 offset1:1
	ds_read2_b32 v[4:5], v2 offset0:2 offset1:3
	v_add_u32_e32 v6, 0x400, v2
	v_add_u32_e32 v7, 0x408, v2
	s_waitcnt lgkmcnt(1)
	v_add_u32_e32 v0, v1, v0
	s_waitcnt lgkmcnt(0)
	v_add3_u32 v0, v0, v4, v5
	global_atomic_add v3, v0, s[6:7]
	ds_read2_b32 v[0:1], v6 offset1:1
	ds_read2_b32 v[4:5], v7 offset1:1
	v_add_u32_e32 v6, 0x800, v2
	v_add_u32_e32 v2, 0x808, v2
	s_waitcnt lgkmcnt(1)
	v_add_u32_e32 v0, v1, v0
	s_waitcnt lgkmcnt(0)
	v_add3_u32 v0, v0, v4, v5
	global_atomic_add v3, v0, s[6:7] offset:256
	ds_read2_b32 v[0:1], v6 offset1:1
	ds_read2_b32 v[4:5], v2 offset1:1
	s_waitcnt lgkmcnt(1)
	v_add_u32_e32 v0, v1, v0
	s_waitcnt lgkmcnt(0)
	v_add3_u32 v0, v0, v4, v5
	global_atomic_add v3, v0, s[6:7] offset:512
.LBB948_632:
	s_endpgm
	.section	.rodata,"a",@progbits
	.p2align	6, 0x0
	.amdhsa_kernel _ZN7rocprim17ROCPRIM_400000_NS6detail17trampoline_kernelINS0_14default_configENS1_35radix_sort_onesweep_config_selectorIttEEZNS1_34radix_sort_onesweep_global_offsetsIS3_Lb0EN6thrust23THRUST_200600_302600_NS6detail15normal_iteratorINS8_10device_ptrItEEEESD_jNS0_19identity_decomposerEEE10hipError_tT1_T2_PT3_SI_jT4_jjP12ihipStream_tbEUlT_E_NS1_11comp_targetILNS1_3genE6ELNS1_11target_archE950ELNS1_3gpuE13ELNS1_3repE0EEENS1_52radix_sort_onesweep_histogram_config_static_selectorELNS0_4arch9wavefront6targetE1EEEvSG_
		.amdhsa_group_segment_fixed_size 3072
		.amdhsa_private_segment_fixed_size 0
		.amdhsa_kernarg_size 40
		.amdhsa_user_sgpr_count 2
		.amdhsa_user_sgpr_dispatch_ptr 0
		.amdhsa_user_sgpr_queue_ptr 0
		.amdhsa_user_sgpr_kernarg_segment_ptr 1
		.amdhsa_user_sgpr_dispatch_id 0
		.amdhsa_user_sgpr_kernarg_preload_length 0
		.amdhsa_user_sgpr_kernarg_preload_offset 0
		.amdhsa_user_sgpr_private_segment_size 0
		.amdhsa_uses_dynamic_stack 0
		.amdhsa_enable_private_segment 0
		.amdhsa_system_sgpr_workgroup_id_x 1
		.amdhsa_system_sgpr_workgroup_id_y 0
		.amdhsa_system_sgpr_workgroup_id_z 0
		.amdhsa_system_sgpr_workgroup_info 0
		.amdhsa_system_vgpr_workitem_id 0
		.amdhsa_next_free_vgpr 68
		.amdhsa_next_free_sgpr 20
		.amdhsa_accum_offset 68
		.amdhsa_reserve_vcc 1
		.amdhsa_float_round_mode_32 0
		.amdhsa_float_round_mode_16_64 0
		.amdhsa_float_denorm_mode_32 3
		.amdhsa_float_denorm_mode_16_64 3
		.amdhsa_dx10_clamp 1
		.amdhsa_ieee_mode 1
		.amdhsa_fp16_overflow 0
		.amdhsa_tg_split 0
		.amdhsa_exception_fp_ieee_invalid_op 0
		.amdhsa_exception_fp_denorm_src 0
		.amdhsa_exception_fp_ieee_div_zero 0
		.amdhsa_exception_fp_ieee_overflow 0
		.amdhsa_exception_fp_ieee_underflow 0
		.amdhsa_exception_fp_ieee_inexact 0
		.amdhsa_exception_int_div_zero 0
	.end_amdhsa_kernel
	.section	.text._ZN7rocprim17ROCPRIM_400000_NS6detail17trampoline_kernelINS0_14default_configENS1_35radix_sort_onesweep_config_selectorIttEEZNS1_34radix_sort_onesweep_global_offsetsIS3_Lb0EN6thrust23THRUST_200600_302600_NS6detail15normal_iteratorINS8_10device_ptrItEEEESD_jNS0_19identity_decomposerEEE10hipError_tT1_T2_PT3_SI_jT4_jjP12ihipStream_tbEUlT_E_NS1_11comp_targetILNS1_3genE6ELNS1_11target_archE950ELNS1_3gpuE13ELNS1_3repE0EEENS1_52radix_sort_onesweep_histogram_config_static_selectorELNS0_4arch9wavefront6targetE1EEEvSG_,"axG",@progbits,_ZN7rocprim17ROCPRIM_400000_NS6detail17trampoline_kernelINS0_14default_configENS1_35radix_sort_onesweep_config_selectorIttEEZNS1_34radix_sort_onesweep_global_offsetsIS3_Lb0EN6thrust23THRUST_200600_302600_NS6detail15normal_iteratorINS8_10device_ptrItEEEESD_jNS0_19identity_decomposerEEE10hipError_tT1_T2_PT3_SI_jT4_jjP12ihipStream_tbEUlT_E_NS1_11comp_targetILNS1_3genE6ELNS1_11target_archE950ELNS1_3gpuE13ELNS1_3repE0EEENS1_52radix_sort_onesweep_histogram_config_static_selectorELNS0_4arch9wavefront6targetE1EEEvSG_,comdat
.Lfunc_end948:
	.size	_ZN7rocprim17ROCPRIM_400000_NS6detail17trampoline_kernelINS0_14default_configENS1_35radix_sort_onesweep_config_selectorIttEEZNS1_34radix_sort_onesweep_global_offsetsIS3_Lb0EN6thrust23THRUST_200600_302600_NS6detail15normal_iteratorINS8_10device_ptrItEEEESD_jNS0_19identity_decomposerEEE10hipError_tT1_T2_PT3_SI_jT4_jjP12ihipStream_tbEUlT_E_NS1_11comp_targetILNS1_3genE6ELNS1_11target_archE950ELNS1_3gpuE13ELNS1_3repE0EEENS1_52radix_sort_onesweep_histogram_config_static_selectorELNS0_4arch9wavefront6targetE1EEEvSG_, .Lfunc_end948-_ZN7rocprim17ROCPRIM_400000_NS6detail17trampoline_kernelINS0_14default_configENS1_35radix_sort_onesweep_config_selectorIttEEZNS1_34radix_sort_onesweep_global_offsetsIS3_Lb0EN6thrust23THRUST_200600_302600_NS6detail15normal_iteratorINS8_10device_ptrItEEEESD_jNS0_19identity_decomposerEEE10hipError_tT1_T2_PT3_SI_jT4_jjP12ihipStream_tbEUlT_E_NS1_11comp_targetILNS1_3genE6ELNS1_11target_archE950ELNS1_3gpuE13ELNS1_3repE0EEENS1_52radix_sort_onesweep_histogram_config_static_selectorELNS0_4arch9wavefront6targetE1EEEvSG_
                                        ; -- End function
	.set _ZN7rocprim17ROCPRIM_400000_NS6detail17trampoline_kernelINS0_14default_configENS1_35radix_sort_onesweep_config_selectorIttEEZNS1_34radix_sort_onesweep_global_offsetsIS3_Lb0EN6thrust23THRUST_200600_302600_NS6detail15normal_iteratorINS8_10device_ptrItEEEESD_jNS0_19identity_decomposerEEE10hipError_tT1_T2_PT3_SI_jT4_jjP12ihipStream_tbEUlT_E_NS1_11comp_targetILNS1_3genE6ELNS1_11target_archE950ELNS1_3gpuE13ELNS1_3repE0EEENS1_52radix_sort_onesweep_histogram_config_static_selectorELNS0_4arch9wavefront6targetE1EEEvSG_.num_vgpr, 68
	.set _ZN7rocprim17ROCPRIM_400000_NS6detail17trampoline_kernelINS0_14default_configENS1_35radix_sort_onesweep_config_selectorIttEEZNS1_34radix_sort_onesweep_global_offsetsIS3_Lb0EN6thrust23THRUST_200600_302600_NS6detail15normal_iteratorINS8_10device_ptrItEEEESD_jNS0_19identity_decomposerEEE10hipError_tT1_T2_PT3_SI_jT4_jjP12ihipStream_tbEUlT_E_NS1_11comp_targetILNS1_3genE6ELNS1_11target_archE950ELNS1_3gpuE13ELNS1_3repE0EEENS1_52radix_sort_onesweep_histogram_config_static_selectorELNS0_4arch9wavefront6targetE1EEEvSG_.num_agpr, 0
	.set _ZN7rocprim17ROCPRIM_400000_NS6detail17trampoline_kernelINS0_14default_configENS1_35radix_sort_onesweep_config_selectorIttEEZNS1_34radix_sort_onesweep_global_offsetsIS3_Lb0EN6thrust23THRUST_200600_302600_NS6detail15normal_iteratorINS8_10device_ptrItEEEESD_jNS0_19identity_decomposerEEE10hipError_tT1_T2_PT3_SI_jT4_jjP12ihipStream_tbEUlT_E_NS1_11comp_targetILNS1_3genE6ELNS1_11target_archE950ELNS1_3gpuE13ELNS1_3repE0EEENS1_52radix_sort_onesweep_histogram_config_static_selectorELNS0_4arch9wavefront6targetE1EEEvSG_.numbered_sgpr, 20
	.set _ZN7rocprim17ROCPRIM_400000_NS6detail17trampoline_kernelINS0_14default_configENS1_35radix_sort_onesweep_config_selectorIttEEZNS1_34radix_sort_onesweep_global_offsetsIS3_Lb0EN6thrust23THRUST_200600_302600_NS6detail15normal_iteratorINS8_10device_ptrItEEEESD_jNS0_19identity_decomposerEEE10hipError_tT1_T2_PT3_SI_jT4_jjP12ihipStream_tbEUlT_E_NS1_11comp_targetILNS1_3genE6ELNS1_11target_archE950ELNS1_3gpuE13ELNS1_3repE0EEENS1_52radix_sort_onesweep_histogram_config_static_selectorELNS0_4arch9wavefront6targetE1EEEvSG_.num_named_barrier, 0
	.set _ZN7rocprim17ROCPRIM_400000_NS6detail17trampoline_kernelINS0_14default_configENS1_35radix_sort_onesweep_config_selectorIttEEZNS1_34radix_sort_onesweep_global_offsetsIS3_Lb0EN6thrust23THRUST_200600_302600_NS6detail15normal_iteratorINS8_10device_ptrItEEEESD_jNS0_19identity_decomposerEEE10hipError_tT1_T2_PT3_SI_jT4_jjP12ihipStream_tbEUlT_E_NS1_11comp_targetILNS1_3genE6ELNS1_11target_archE950ELNS1_3gpuE13ELNS1_3repE0EEENS1_52radix_sort_onesweep_histogram_config_static_selectorELNS0_4arch9wavefront6targetE1EEEvSG_.private_seg_size, 0
	.set _ZN7rocprim17ROCPRIM_400000_NS6detail17trampoline_kernelINS0_14default_configENS1_35radix_sort_onesweep_config_selectorIttEEZNS1_34radix_sort_onesweep_global_offsetsIS3_Lb0EN6thrust23THRUST_200600_302600_NS6detail15normal_iteratorINS8_10device_ptrItEEEESD_jNS0_19identity_decomposerEEE10hipError_tT1_T2_PT3_SI_jT4_jjP12ihipStream_tbEUlT_E_NS1_11comp_targetILNS1_3genE6ELNS1_11target_archE950ELNS1_3gpuE13ELNS1_3repE0EEENS1_52radix_sort_onesweep_histogram_config_static_selectorELNS0_4arch9wavefront6targetE1EEEvSG_.uses_vcc, 1
	.set _ZN7rocprim17ROCPRIM_400000_NS6detail17trampoline_kernelINS0_14default_configENS1_35radix_sort_onesweep_config_selectorIttEEZNS1_34radix_sort_onesweep_global_offsetsIS3_Lb0EN6thrust23THRUST_200600_302600_NS6detail15normal_iteratorINS8_10device_ptrItEEEESD_jNS0_19identity_decomposerEEE10hipError_tT1_T2_PT3_SI_jT4_jjP12ihipStream_tbEUlT_E_NS1_11comp_targetILNS1_3genE6ELNS1_11target_archE950ELNS1_3gpuE13ELNS1_3repE0EEENS1_52radix_sort_onesweep_histogram_config_static_selectorELNS0_4arch9wavefront6targetE1EEEvSG_.uses_flat_scratch, 0
	.set _ZN7rocprim17ROCPRIM_400000_NS6detail17trampoline_kernelINS0_14default_configENS1_35radix_sort_onesweep_config_selectorIttEEZNS1_34radix_sort_onesweep_global_offsetsIS3_Lb0EN6thrust23THRUST_200600_302600_NS6detail15normal_iteratorINS8_10device_ptrItEEEESD_jNS0_19identity_decomposerEEE10hipError_tT1_T2_PT3_SI_jT4_jjP12ihipStream_tbEUlT_E_NS1_11comp_targetILNS1_3genE6ELNS1_11target_archE950ELNS1_3gpuE13ELNS1_3repE0EEENS1_52radix_sort_onesweep_histogram_config_static_selectorELNS0_4arch9wavefront6targetE1EEEvSG_.has_dyn_sized_stack, 0
	.set _ZN7rocprim17ROCPRIM_400000_NS6detail17trampoline_kernelINS0_14default_configENS1_35radix_sort_onesweep_config_selectorIttEEZNS1_34radix_sort_onesweep_global_offsetsIS3_Lb0EN6thrust23THRUST_200600_302600_NS6detail15normal_iteratorINS8_10device_ptrItEEEESD_jNS0_19identity_decomposerEEE10hipError_tT1_T2_PT3_SI_jT4_jjP12ihipStream_tbEUlT_E_NS1_11comp_targetILNS1_3genE6ELNS1_11target_archE950ELNS1_3gpuE13ELNS1_3repE0EEENS1_52radix_sort_onesweep_histogram_config_static_selectorELNS0_4arch9wavefront6targetE1EEEvSG_.has_recursion, 0
	.set _ZN7rocprim17ROCPRIM_400000_NS6detail17trampoline_kernelINS0_14default_configENS1_35radix_sort_onesweep_config_selectorIttEEZNS1_34radix_sort_onesweep_global_offsetsIS3_Lb0EN6thrust23THRUST_200600_302600_NS6detail15normal_iteratorINS8_10device_ptrItEEEESD_jNS0_19identity_decomposerEEE10hipError_tT1_T2_PT3_SI_jT4_jjP12ihipStream_tbEUlT_E_NS1_11comp_targetILNS1_3genE6ELNS1_11target_archE950ELNS1_3gpuE13ELNS1_3repE0EEENS1_52radix_sort_onesweep_histogram_config_static_selectorELNS0_4arch9wavefront6targetE1EEEvSG_.has_indirect_call, 0
	.section	.AMDGPU.csdata,"",@progbits
; Kernel info:
; codeLenInByte = 20368
; TotalNumSgprs: 26
; NumVgprs: 68
; NumAgprs: 0
; TotalNumVgprs: 68
; ScratchSize: 0
; MemoryBound: 0
; FloatMode: 240
; IeeeMode: 1
; LDSByteSize: 3072 bytes/workgroup (compile time only)
; SGPRBlocks: 3
; VGPRBlocks: 8
; NumSGPRsForWavesPerEU: 26
; NumVGPRsForWavesPerEU: 68
; AccumOffset: 68
; Occupancy: 7
; WaveLimiterHint : 1
; COMPUTE_PGM_RSRC2:SCRATCH_EN: 0
; COMPUTE_PGM_RSRC2:USER_SGPR: 2
; COMPUTE_PGM_RSRC2:TRAP_HANDLER: 0
; COMPUTE_PGM_RSRC2:TGID_X_EN: 1
; COMPUTE_PGM_RSRC2:TGID_Y_EN: 0
; COMPUTE_PGM_RSRC2:TGID_Z_EN: 0
; COMPUTE_PGM_RSRC2:TIDIG_COMP_CNT: 0
; COMPUTE_PGM_RSRC3_GFX90A:ACCUM_OFFSET: 16
; COMPUTE_PGM_RSRC3_GFX90A:TG_SPLIT: 0
	.section	.text._ZN7rocprim17ROCPRIM_400000_NS6detail17trampoline_kernelINS0_14default_configENS1_35radix_sort_onesweep_config_selectorIttEEZNS1_34radix_sort_onesweep_global_offsetsIS3_Lb0EN6thrust23THRUST_200600_302600_NS6detail15normal_iteratorINS8_10device_ptrItEEEESD_jNS0_19identity_decomposerEEE10hipError_tT1_T2_PT3_SI_jT4_jjP12ihipStream_tbEUlT_E_NS1_11comp_targetILNS1_3genE5ELNS1_11target_archE942ELNS1_3gpuE9ELNS1_3repE0EEENS1_52radix_sort_onesweep_histogram_config_static_selectorELNS0_4arch9wavefront6targetE1EEEvSG_,"axG",@progbits,_ZN7rocprim17ROCPRIM_400000_NS6detail17trampoline_kernelINS0_14default_configENS1_35radix_sort_onesweep_config_selectorIttEEZNS1_34radix_sort_onesweep_global_offsetsIS3_Lb0EN6thrust23THRUST_200600_302600_NS6detail15normal_iteratorINS8_10device_ptrItEEEESD_jNS0_19identity_decomposerEEE10hipError_tT1_T2_PT3_SI_jT4_jjP12ihipStream_tbEUlT_E_NS1_11comp_targetILNS1_3genE5ELNS1_11target_archE942ELNS1_3gpuE9ELNS1_3repE0EEENS1_52radix_sort_onesweep_histogram_config_static_selectorELNS0_4arch9wavefront6targetE1EEEvSG_,comdat
	.protected	_ZN7rocprim17ROCPRIM_400000_NS6detail17trampoline_kernelINS0_14default_configENS1_35radix_sort_onesweep_config_selectorIttEEZNS1_34radix_sort_onesweep_global_offsetsIS3_Lb0EN6thrust23THRUST_200600_302600_NS6detail15normal_iteratorINS8_10device_ptrItEEEESD_jNS0_19identity_decomposerEEE10hipError_tT1_T2_PT3_SI_jT4_jjP12ihipStream_tbEUlT_E_NS1_11comp_targetILNS1_3genE5ELNS1_11target_archE942ELNS1_3gpuE9ELNS1_3repE0EEENS1_52radix_sort_onesweep_histogram_config_static_selectorELNS0_4arch9wavefront6targetE1EEEvSG_ ; -- Begin function _ZN7rocprim17ROCPRIM_400000_NS6detail17trampoline_kernelINS0_14default_configENS1_35radix_sort_onesweep_config_selectorIttEEZNS1_34radix_sort_onesweep_global_offsetsIS3_Lb0EN6thrust23THRUST_200600_302600_NS6detail15normal_iteratorINS8_10device_ptrItEEEESD_jNS0_19identity_decomposerEEE10hipError_tT1_T2_PT3_SI_jT4_jjP12ihipStream_tbEUlT_E_NS1_11comp_targetILNS1_3genE5ELNS1_11target_archE942ELNS1_3gpuE9ELNS1_3repE0EEENS1_52radix_sort_onesweep_histogram_config_static_selectorELNS0_4arch9wavefront6targetE1EEEvSG_
	.globl	_ZN7rocprim17ROCPRIM_400000_NS6detail17trampoline_kernelINS0_14default_configENS1_35radix_sort_onesweep_config_selectorIttEEZNS1_34radix_sort_onesweep_global_offsetsIS3_Lb0EN6thrust23THRUST_200600_302600_NS6detail15normal_iteratorINS8_10device_ptrItEEEESD_jNS0_19identity_decomposerEEE10hipError_tT1_T2_PT3_SI_jT4_jjP12ihipStream_tbEUlT_E_NS1_11comp_targetILNS1_3genE5ELNS1_11target_archE942ELNS1_3gpuE9ELNS1_3repE0EEENS1_52radix_sort_onesweep_histogram_config_static_selectorELNS0_4arch9wavefront6targetE1EEEvSG_
	.p2align	8
	.type	_ZN7rocprim17ROCPRIM_400000_NS6detail17trampoline_kernelINS0_14default_configENS1_35radix_sort_onesweep_config_selectorIttEEZNS1_34radix_sort_onesweep_global_offsetsIS3_Lb0EN6thrust23THRUST_200600_302600_NS6detail15normal_iteratorINS8_10device_ptrItEEEESD_jNS0_19identity_decomposerEEE10hipError_tT1_T2_PT3_SI_jT4_jjP12ihipStream_tbEUlT_E_NS1_11comp_targetILNS1_3genE5ELNS1_11target_archE942ELNS1_3gpuE9ELNS1_3repE0EEENS1_52radix_sort_onesweep_histogram_config_static_selectorELNS0_4arch9wavefront6targetE1EEEvSG_,@function
_ZN7rocprim17ROCPRIM_400000_NS6detail17trampoline_kernelINS0_14default_configENS1_35radix_sort_onesweep_config_selectorIttEEZNS1_34radix_sort_onesweep_global_offsetsIS3_Lb0EN6thrust23THRUST_200600_302600_NS6detail15normal_iteratorINS8_10device_ptrItEEEESD_jNS0_19identity_decomposerEEE10hipError_tT1_T2_PT3_SI_jT4_jjP12ihipStream_tbEUlT_E_NS1_11comp_targetILNS1_3genE5ELNS1_11target_archE942ELNS1_3gpuE9ELNS1_3repE0EEENS1_52radix_sort_onesweep_histogram_config_static_selectorELNS0_4arch9wavefront6targetE1EEEvSG_: ; @_ZN7rocprim17ROCPRIM_400000_NS6detail17trampoline_kernelINS0_14default_configENS1_35radix_sort_onesweep_config_selectorIttEEZNS1_34radix_sort_onesweep_global_offsetsIS3_Lb0EN6thrust23THRUST_200600_302600_NS6detail15normal_iteratorINS8_10device_ptrItEEEESD_jNS0_19identity_decomposerEEE10hipError_tT1_T2_PT3_SI_jT4_jjP12ihipStream_tbEUlT_E_NS1_11comp_targetILNS1_3genE5ELNS1_11target_archE942ELNS1_3gpuE9ELNS1_3repE0EEENS1_52radix_sort_onesweep_histogram_config_static_selectorELNS0_4arch9wavefront6targetE1EEEvSG_
; %bb.0:
	.section	.rodata,"a",@progbits
	.p2align	6, 0x0
	.amdhsa_kernel _ZN7rocprim17ROCPRIM_400000_NS6detail17trampoline_kernelINS0_14default_configENS1_35radix_sort_onesweep_config_selectorIttEEZNS1_34radix_sort_onesweep_global_offsetsIS3_Lb0EN6thrust23THRUST_200600_302600_NS6detail15normal_iteratorINS8_10device_ptrItEEEESD_jNS0_19identity_decomposerEEE10hipError_tT1_T2_PT3_SI_jT4_jjP12ihipStream_tbEUlT_E_NS1_11comp_targetILNS1_3genE5ELNS1_11target_archE942ELNS1_3gpuE9ELNS1_3repE0EEENS1_52radix_sort_onesweep_histogram_config_static_selectorELNS0_4arch9wavefront6targetE1EEEvSG_
		.amdhsa_group_segment_fixed_size 0
		.amdhsa_private_segment_fixed_size 0
		.amdhsa_kernarg_size 40
		.amdhsa_user_sgpr_count 2
		.amdhsa_user_sgpr_dispatch_ptr 0
		.amdhsa_user_sgpr_queue_ptr 0
		.amdhsa_user_sgpr_kernarg_segment_ptr 1
		.amdhsa_user_sgpr_dispatch_id 0
		.amdhsa_user_sgpr_kernarg_preload_length 0
		.amdhsa_user_sgpr_kernarg_preload_offset 0
		.amdhsa_user_sgpr_private_segment_size 0
		.amdhsa_uses_dynamic_stack 0
		.amdhsa_enable_private_segment 0
		.amdhsa_system_sgpr_workgroup_id_x 1
		.amdhsa_system_sgpr_workgroup_id_y 0
		.amdhsa_system_sgpr_workgroup_id_z 0
		.amdhsa_system_sgpr_workgroup_info 0
		.amdhsa_system_vgpr_workitem_id 0
		.amdhsa_next_free_vgpr 1
		.amdhsa_next_free_sgpr 0
		.amdhsa_accum_offset 4
		.amdhsa_reserve_vcc 0
		.amdhsa_float_round_mode_32 0
		.amdhsa_float_round_mode_16_64 0
		.amdhsa_float_denorm_mode_32 3
		.amdhsa_float_denorm_mode_16_64 3
		.amdhsa_dx10_clamp 1
		.amdhsa_ieee_mode 1
		.amdhsa_fp16_overflow 0
		.amdhsa_tg_split 0
		.amdhsa_exception_fp_ieee_invalid_op 0
		.amdhsa_exception_fp_denorm_src 0
		.amdhsa_exception_fp_ieee_div_zero 0
		.amdhsa_exception_fp_ieee_overflow 0
		.amdhsa_exception_fp_ieee_underflow 0
		.amdhsa_exception_fp_ieee_inexact 0
		.amdhsa_exception_int_div_zero 0
	.end_amdhsa_kernel
	.section	.text._ZN7rocprim17ROCPRIM_400000_NS6detail17trampoline_kernelINS0_14default_configENS1_35radix_sort_onesweep_config_selectorIttEEZNS1_34radix_sort_onesweep_global_offsetsIS3_Lb0EN6thrust23THRUST_200600_302600_NS6detail15normal_iteratorINS8_10device_ptrItEEEESD_jNS0_19identity_decomposerEEE10hipError_tT1_T2_PT3_SI_jT4_jjP12ihipStream_tbEUlT_E_NS1_11comp_targetILNS1_3genE5ELNS1_11target_archE942ELNS1_3gpuE9ELNS1_3repE0EEENS1_52radix_sort_onesweep_histogram_config_static_selectorELNS0_4arch9wavefront6targetE1EEEvSG_,"axG",@progbits,_ZN7rocprim17ROCPRIM_400000_NS6detail17trampoline_kernelINS0_14default_configENS1_35radix_sort_onesweep_config_selectorIttEEZNS1_34radix_sort_onesweep_global_offsetsIS3_Lb0EN6thrust23THRUST_200600_302600_NS6detail15normal_iteratorINS8_10device_ptrItEEEESD_jNS0_19identity_decomposerEEE10hipError_tT1_T2_PT3_SI_jT4_jjP12ihipStream_tbEUlT_E_NS1_11comp_targetILNS1_3genE5ELNS1_11target_archE942ELNS1_3gpuE9ELNS1_3repE0EEENS1_52radix_sort_onesweep_histogram_config_static_selectorELNS0_4arch9wavefront6targetE1EEEvSG_,comdat
.Lfunc_end949:
	.size	_ZN7rocprim17ROCPRIM_400000_NS6detail17trampoline_kernelINS0_14default_configENS1_35radix_sort_onesweep_config_selectorIttEEZNS1_34radix_sort_onesweep_global_offsetsIS3_Lb0EN6thrust23THRUST_200600_302600_NS6detail15normal_iteratorINS8_10device_ptrItEEEESD_jNS0_19identity_decomposerEEE10hipError_tT1_T2_PT3_SI_jT4_jjP12ihipStream_tbEUlT_E_NS1_11comp_targetILNS1_3genE5ELNS1_11target_archE942ELNS1_3gpuE9ELNS1_3repE0EEENS1_52radix_sort_onesweep_histogram_config_static_selectorELNS0_4arch9wavefront6targetE1EEEvSG_, .Lfunc_end949-_ZN7rocprim17ROCPRIM_400000_NS6detail17trampoline_kernelINS0_14default_configENS1_35radix_sort_onesweep_config_selectorIttEEZNS1_34radix_sort_onesweep_global_offsetsIS3_Lb0EN6thrust23THRUST_200600_302600_NS6detail15normal_iteratorINS8_10device_ptrItEEEESD_jNS0_19identity_decomposerEEE10hipError_tT1_T2_PT3_SI_jT4_jjP12ihipStream_tbEUlT_E_NS1_11comp_targetILNS1_3genE5ELNS1_11target_archE942ELNS1_3gpuE9ELNS1_3repE0EEENS1_52radix_sort_onesweep_histogram_config_static_selectorELNS0_4arch9wavefront6targetE1EEEvSG_
                                        ; -- End function
	.set _ZN7rocprim17ROCPRIM_400000_NS6detail17trampoline_kernelINS0_14default_configENS1_35radix_sort_onesweep_config_selectorIttEEZNS1_34radix_sort_onesweep_global_offsetsIS3_Lb0EN6thrust23THRUST_200600_302600_NS6detail15normal_iteratorINS8_10device_ptrItEEEESD_jNS0_19identity_decomposerEEE10hipError_tT1_T2_PT3_SI_jT4_jjP12ihipStream_tbEUlT_E_NS1_11comp_targetILNS1_3genE5ELNS1_11target_archE942ELNS1_3gpuE9ELNS1_3repE0EEENS1_52radix_sort_onesweep_histogram_config_static_selectorELNS0_4arch9wavefront6targetE1EEEvSG_.num_vgpr, 0
	.set _ZN7rocprim17ROCPRIM_400000_NS6detail17trampoline_kernelINS0_14default_configENS1_35radix_sort_onesweep_config_selectorIttEEZNS1_34radix_sort_onesweep_global_offsetsIS3_Lb0EN6thrust23THRUST_200600_302600_NS6detail15normal_iteratorINS8_10device_ptrItEEEESD_jNS0_19identity_decomposerEEE10hipError_tT1_T2_PT3_SI_jT4_jjP12ihipStream_tbEUlT_E_NS1_11comp_targetILNS1_3genE5ELNS1_11target_archE942ELNS1_3gpuE9ELNS1_3repE0EEENS1_52radix_sort_onesweep_histogram_config_static_selectorELNS0_4arch9wavefront6targetE1EEEvSG_.num_agpr, 0
	.set _ZN7rocprim17ROCPRIM_400000_NS6detail17trampoline_kernelINS0_14default_configENS1_35radix_sort_onesweep_config_selectorIttEEZNS1_34radix_sort_onesweep_global_offsetsIS3_Lb0EN6thrust23THRUST_200600_302600_NS6detail15normal_iteratorINS8_10device_ptrItEEEESD_jNS0_19identity_decomposerEEE10hipError_tT1_T2_PT3_SI_jT4_jjP12ihipStream_tbEUlT_E_NS1_11comp_targetILNS1_3genE5ELNS1_11target_archE942ELNS1_3gpuE9ELNS1_3repE0EEENS1_52radix_sort_onesweep_histogram_config_static_selectorELNS0_4arch9wavefront6targetE1EEEvSG_.numbered_sgpr, 0
	.set _ZN7rocprim17ROCPRIM_400000_NS6detail17trampoline_kernelINS0_14default_configENS1_35radix_sort_onesweep_config_selectorIttEEZNS1_34radix_sort_onesweep_global_offsetsIS3_Lb0EN6thrust23THRUST_200600_302600_NS6detail15normal_iteratorINS8_10device_ptrItEEEESD_jNS0_19identity_decomposerEEE10hipError_tT1_T2_PT3_SI_jT4_jjP12ihipStream_tbEUlT_E_NS1_11comp_targetILNS1_3genE5ELNS1_11target_archE942ELNS1_3gpuE9ELNS1_3repE0EEENS1_52radix_sort_onesweep_histogram_config_static_selectorELNS0_4arch9wavefront6targetE1EEEvSG_.num_named_barrier, 0
	.set _ZN7rocprim17ROCPRIM_400000_NS6detail17trampoline_kernelINS0_14default_configENS1_35radix_sort_onesweep_config_selectorIttEEZNS1_34radix_sort_onesweep_global_offsetsIS3_Lb0EN6thrust23THRUST_200600_302600_NS6detail15normal_iteratorINS8_10device_ptrItEEEESD_jNS0_19identity_decomposerEEE10hipError_tT1_T2_PT3_SI_jT4_jjP12ihipStream_tbEUlT_E_NS1_11comp_targetILNS1_3genE5ELNS1_11target_archE942ELNS1_3gpuE9ELNS1_3repE0EEENS1_52radix_sort_onesweep_histogram_config_static_selectorELNS0_4arch9wavefront6targetE1EEEvSG_.private_seg_size, 0
	.set _ZN7rocprim17ROCPRIM_400000_NS6detail17trampoline_kernelINS0_14default_configENS1_35radix_sort_onesweep_config_selectorIttEEZNS1_34radix_sort_onesweep_global_offsetsIS3_Lb0EN6thrust23THRUST_200600_302600_NS6detail15normal_iteratorINS8_10device_ptrItEEEESD_jNS0_19identity_decomposerEEE10hipError_tT1_T2_PT3_SI_jT4_jjP12ihipStream_tbEUlT_E_NS1_11comp_targetILNS1_3genE5ELNS1_11target_archE942ELNS1_3gpuE9ELNS1_3repE0EEENS1_52radix_sort_onesweep_histogram_config_static_selectorELNS0_4arch9wavefront6targetE1EEEvSG_.uses_vcc, 0
	.set _ZN7rocprim17ROCPRIM_400000_NS6detail17trampoline_kernelINS0_14default_configENS1_35radix_sort_onesweep_config_selectorIttEEZNS1_34radix_sort_onesweep_global_offsetsIS3_Lb0EN6thrust23THRUST_200600_302600_NS6detail15normal_iteratorINS8_10device_ptrItEEEESD_jNS0_19identity_decomposerEEE10hipError_tT1_T2_PT3_SI_jT4_jjP12ihipStream_tbEUlT_E_NS1_11comp_targetILNS1_3genE5ELNS1_11target_archE942ELNS1_3gpuE9ELNS1_3repE0EEENS1_52radix_sort_onesweep_histogram_config_static_selectorELNS0_4arch9wavefront6targetE1EEEvSG_.uses_flat_scratch, 0
	.set _ZN7rocprim17ROCPRIM_400000_NS6detail17trampoline_kernelINS0_14default_configENS1_35radix_sort_onesweep_config_selectorIttEEZNS1_34radix_sort_onesweep_global_offsetsIS3_Lb0EN6thrust23THRUST_200600_302600_NS6detail15normal_iteratorINS8_10device_ptrItEEEESD_jNS0_19identity_decomposerEEE10hipError_tT1_T2_PT3_SI_jT4_jjP12ihipStream_tbEUlT_E_NS1_11comp_targetILNS1_3genE5ELNS1_11target_archE942ELNS1_3gpuE9ELNS1_3repE0EEENS1_52radix_sort_onesweep_histogram_config_static_selectorELNS0_4arch9wavefront6targetE1EEEvSG_.has_dyn_sized_stack, 0
	.set _ZN7rocprim17ROCPRIM_400000_NS6detail17trampoline_kernelINS0_14default_configENS1_35radix_sort_onesweep_config_selectorIttEEZNS1_34radix_sort_onesweep_global_offsetsIS3_Lb0EN6thrust23THRUST_200600_302600_NS6detail15normal_iteratorINS8_10device_ptrItEEEESD_jNS0_19identity_decomposerEEE10hipError_tT1_T2_PT3_SI_jT4_jjP12ihipStream_tbEUlT_E_NS1_11comp_targetILNS1_3genE5ELNS1_11target_archE942ELNS1_3gpuE9ELNS1_3repE0EEENS1_52radix_sort_onesweep_histogram_config_static_selectorELNS0_4arch9wavefront6targetE1EEEvSG_.has_recursion, 0
	.set _ZN7rocprim17ROCPRIM_400000_NS6detail17trampoline_kernelINS0_14default_configENS1_35radix_sort_onesweep_config_selectorIttEEZNS1_34radix_sort_onesweep_global_offsetsIS3_Lb0EN6thrust23THRUST_200600_302600_NS6detail15normal_iteratorINS8_10device_ptrItEEEESD_jNS0_19identity_decomposerEEE10hipError_tT1_T2_PT3_SI_jT4_jjP12ihipStream_tbEUlT_E_NS1_11comp_targetILNS1_3genE5ELNS1_11target_archE942ELNS1_3gpuE9ELNS1_3repE0EEENS1_52radix_sort_onesweep_histogram_config_static_selectorELNS0_4arch9wavefront6targetE1EEEvSG_.has_indirect_call, 0
	.section	.AMDGPU.csdata,"",@progbits
; Kernel info:
; codeLenInByte = 0
; TotalNumSgprs: 6
; NumVgprs: 0
; NumAgprs: 0
; TotalNumVgprs: 0
; ScratchSize: 0
; MemoryBound: 0
; FloatMode: 240
; IeeeMode: 1
; LDSByteSize: 0 bytes/workgroup (compile time only)
; SGPRBlocks: 0
; VGPRBlocks: 0
; NumSGPRsForWavesPerEU: 6
; NumVGPRsForWavesPerEU: 1
; AccumOffset: 4
; Occupancy: 8
; WaveLimiterHint : 0
; COMPUTE_PGM_RSRC2:SCRATCH_EN: 0
; COMPUTE_PGM_RSRC2:USER_SGPR: 2
; COMPUTE_PGM_RSRC2:TRAP_HANDLER: 0
; COMPUTE_PGM_RSRC2:TGID_X_EN: 1
; COMPUTE_PGM_RSRC2:TGID_Y_EN: 0
; COMPUTE_PGM_RSRC2:TGID_Z_EN: 0
; COMPUTE_PGM_RSRC2:TIDIG_COMP_CNT: 0
; COMPUTE_PGM_RSRC3_GFX90A:ACCUM_OFFSET: 0
; COMPUTE_PGM_RSRC3_GFX90A:TG_SPLIT: 0
	.section	.text._ZN7rocprim17ROCPRIM_400000_NS6detail17trampoline_kernelINS0_14default_configENS1_35radix_sort_onesweep_config_selectorIttEEZNS1_34radix_sort_onesweep_global_offsetsIS3_Lb0EN6thrust23THRUST_200600_302600_NS6detail15normal_iteratorINS8_10device_ptrItEEEESD_jNS0_19identity_decomposerEEE10hipError_tT1_T2_PT3_SI_jT4_jjP12ihipStream_tbEUlT_E_NS1_11comp_targetILNS1_3genE2ELNS1_11target_archE906ELNS1_3gpuE6ELNS1_3repE0EEENS1_52radix_sort_onesweep_histogram_config_static_selectorELNS0_4arch9wavefront6targetE1EEEvSG_,"axG",@progbits,_ZN7rocprim17ROCPRIM_400000_NS6detail17trampoline_kernelINS0_14default_configENS1_35radix_sort_onesweep_config_selectorIttEEZNS1_34radix_sort_onesweep_global_offsetsIS3_Lb0EN6thrust23THRUST_200600_302600_NS6detail15normal_iteratorINS8_10device_ptrItEEEESD_jNS0_19identity_decomposerEEE10hipError_tT1_T2_PT3_SI_jT4_jjP12ihipStream_tbEUlT_E_NS1_11comp_targetILNS1_3genE2ELNS1_11target_archE906ELNS1_3gpuE6ELNS1_3repE0EEENS1_52radix_sort_onesweep_histogram_config_static_selectorELNS0_4arch9wavefront6targetE1EEEvSG_,comdat
	.protected	_ZN7rocprim17ROCPRIM_400000_NS6detail17trampoline_kernelINS0_14default_configENS1_35radix_sort_onesweep_config_selectorIttEEZNS1_34radix_sort_onesweep_global_offsetsIS3_Lb0EN6thrust23THRUST_200600_302600_NS6detail15normal_iteratorINS8_10device_ptrItEEEESD_jNS0_19identity_decomposerEEE10hipError_tT1_T2_PT3_SI_jT4_jjP12ihipStream_tbEUlT_E_NS1_11comp_targetILNS1_3genE2ELNS1_11target_archE906ELNS1_3gpuE6ELNS1_3repE0EEENS1_52radix_sort_onesweep_histogram_config_static_selectorELNS0_4arch9wavefront6targetE1EEEvSG_ ; -- Begin function _ZN7rocprim17ROCPRIM_400000_NS6detail17trampoline_kernelINS0_14default_configENS1_35radix_sort_onesweep_config_selectorIttEEZNS1_34radix_sort_onesweep_global_offsetsIS3_Lb0EN6thrust23THRUST_200600_302600_NS6detail15normal_iteratorINS8_10device_ptrItEEEESD_jNS0_19identity_decomposerEEE10hipError_tT1_T2_PT3_SI_jT4_jjP12ihipStream_tbEUlT_E_NS1_11comp_targetILNS1_3genE2ELNS1_11target_archE906ELNS1_3gpuE6ELNS1_3repE0EEENS1_52radix_sort_onesweep_histogram_config_static_selectorELNS0_4arch9wavefront6targetE1EEEvSG_
	.globl	_ZN7rocprim17ROCPRIM_400000_NS6detail17trampoline_kernelINS0_14default_configENS1_35radix_sort_onesweep_config_selectorIttEEZNS1_34radix_sort_onesweep_global_offsetsIS3_Lb0EN6thrust23THRUST_200600_302600_NS6detail15normal_iteratorINS8_10device_ptrItEEEESD_jNS0_19identity_decomposerEEE10hipError_tT1_T2_PT3_SI_jT4_jjP12ihipStream_tbEUlT_E_NS1_11comp_targetILNS1_3genE2ELNS1_11target_archE906ELNS1_3gpuE6ELNS1_3repE0EEENS1_52radix_sort_onesweep_histogram_config_static_selectorELNS0_4arch9wavefront6targetE1EEEvSG_
	.p2align	8
	.type	_ZN7rocprim17ROCPRIM_400000_NS6detail17trampoline_kernelINS0_14default_configENS1_35radix_sort_onesweep_config_selectorIttEEZNS1_34radix_sort_onesweep_global_offsetsIS3_Lb0EN6thrust23THRUST_200600_302600_NS6detail15normal_iteratorINS8_10device_ptrItEEEESD_jNS0_19identity_decomposerEEE10hipError_tT1_T2_PT3_SI_jT4_jjP12ihipStream_tbEUlT_E_NS1_11comp_targetILNS1_3genE2ELNS1_11target_archE906ELNS1_3gpuE6ELNS1_3repE0EEENS1_52radix_sort_onesweep_histogram_config_static_selectorELNS0_4arch9wavefront6targetE1EEEvSG_,@function
_ZN7rocprim17ROCPRIM_400000_NS6detail17trampoline_kernelINS0_14default_configENS1_35radix_sort_onesweep_config_selectorIttEEZNS1_34radix_sort_onesweep_global_offsetsIS3_Lb0EN6thrust23THRUST_200600_302600_NS6detail15normal_iteratorINS8_10device_ptrItEEEESD_jNS0_19identity_decomposerEEE10hipError_tT1_T2_PT3_SI_jT4_jjP12ihipStream_tbEUlT_E_NS1_11comp_targetILNS1_3genE2ELNS1_11target_archE906ELNS1_3gpuE6ELNS1_3repE0EEENS1_52radix_sort_onesweep_histogram_config_static_selectorELNS0_4arch9wavefront6targetE1EEEvSG_: ; @_ZN7rocprim17ROCPRIM_400000_NS6detail17trampoline_kernelINS0_14default_configENS1_35radix_sort_onesweep_config_selectorIttEEZNS1_34radix_sort_onesweep_global_offsetsIS3_Lb0EN6thrust23THRUST_200600_302600_NS6detail15normal_iteratorINS8_10device_ptrItEEEESD_jNS0_19identity_decomposerEEE10hipError_tT1_T2_PT3_SI_jT4_jjP12ihipStream_tbEUlT_E_NS1_11comp_targetILNS1_3genE2ELNS1_11target_archE906ELNS1_3gpuE6ELNS1_3repE0EEENS1_52radix_sort_onesweep_histogram_config_static_selectorELNS0_4arch9wavefront6targetE1EEEvSG_
; %bb.0:
	.section	.rodata,"a",@progbits
	.p2align	6, 0x0
	.amdhsa_kernel _ZN7rocprim17ROCPRIM_400000_NS6detail17trampoline_kernelINS0_14default_configENS1_35radix_sort_onesweep_config_selectorIttEEZNS1_34radix_sort_onesweep_global_offsetsIS3_Lb0EN6thrust23THRUST_200600_302600_NS6detail15normal_iteratorINS8_10device_ptrItEEEESD_jNS0_19identity_decomposerEEE10hipError_tT1_T2_PT3_SI_jT4_jjP12ihipStream_tbEUlT_E_NS1_11comp_targetILNS1_3genE2ELNS1_11target_archE906ELNS1_3gpuE6ELNS1_3repE0EEENS1_52radix_sort_onesweep_histogram_config_static_selectorELNS0_4arch9wavefront6targetE1EEEvSG_
		.amdhsa_group_segment_fixed_size 0
		.amdhsa_private_segment_fixed_size 0
		.amdhsa_kernarg_size 40
		.amdhsa_user_sgpr_count 2
		.amdhsa_user_sgpr_dispatch_ptr 0
		.amdhsa_user_sgpr_queue_ptr 0
		.amdhsa_user_sgpr_kernarg_segment_ptr 1
		.amdhsa_user_sgpr_dispatch_id 0
		.amdhsa_user_sgpr_kernarg_preload_length 0
		.amdhsa_user_sgpr_kernarg_preload_offset 0
		.amdhsa_user_sgpr_private_segment_size 0
		.amdhsa_uses_dynamic_stack 0
		.amdhsa_enable_private_segment 0
		.amdhsa_system_sgpr_workgroup_id_x 1
		.amdhsa_system_sgpr_workgroup_id_y 0
		.amdhsa_system_sgpr_workgroup_id_z 0
		.amdhsa_system_sgpr_workgroup_info 0
		.amdhsa_system_vgpr_workitem_id 0
		.amdhsa_next_free_vgpr 1
		.amdhsa_next_free_sgpr 0
		.amdhsa_accum_offset 4
		.amdhsa_reserve_vcc 0
		.amdhsa_float_round_mode_32 0
		.amdhsa_float_round_mode_16_64 0
		.amdhsa_float_denorm_mode_32 3
		.amdhsa_float_denorm_mode_16_64 3
		.amdhsa_dx10_clamp 1
		.amdhsa_ieee_mode 1
		.amdhsa_fp16_overflow 0
		.amdhsa_tg_split 0
		.amdhsa_exception_fp_ieee_invalid_op 0
		.amdhsa_exception_fp_denorm_src 0
		.amdhsa_exception_fp_ieee_div_zero 0
		.amdhsa_exception_fp_ieee_overflow 0
		.amdhsa_exception_fp_ieee_underflow 0
		.amdhsa_exception_fp_ieee_inexact 0
		.amdhsa_exception_int_div_zero 0
	.end_amdhsa_kernel
	.section	.text._ZN7rocprim17ROCPRIM_400000_NS6detail17trampoline_kernelINS0_14default_configENS1_35radix_sort_onesweep_config_selectorIttEEZNS1_34radix_sort_onesweep_global_offsetsIS3_Lb0EN6thrust23THRUST_200600_302600_NS6detail15normal_iteratorINS8_10device_ptrItEEEESD_jNS0_19identity_decomposerEEE10hipError_tT1_T2_PT3_SI_jT4_jjP12ihipStream_tbEUlT_E_NS1_11comp_targetILNS1_3genE2ELNS1_11target_archE906ELNS1_3gpuE6ELNS1_3repE0EEENS1_52radix_sort_onesweep_histogram_config_static_selectorELNS0_4arch9wavefront6targetE1EEEvSG_,"axG",@progbits,_ZN7rocprim17ROCPRIM_400000_NS6detail17trampoline_kernelINS0_14default_configENS1_35radix_sort_onesweep_config_selectorIttEEZNS1_34radix_sort_onesweep_global_offsetsIS3_Lb0EN6thrust23THRUST_200600_302600_NS6detail15normal_iteratorINS8_10device_ptrItEEEESD_jNS0_19identity_decomposerEEE10hipError_tT1_T2_PT3_SI_jT4_jjP12ihipStream_tbEUlT_E_NS1_11comp_targetILNS1_3genE2ELNS1_11target_archE906ELNS1_3gpuE6ELNS1_3repE0EEENS1_52radix_sort_onesweep_histogram_config_static_selectorELNS0_4arch9wavefront6targetE1EEEvSG_,comdat
.Lfunc_end950:
	.size	_ZN7rocprim17ROCPRIM_400000_NS6detail17trampoline_kernelINS0_14default_configENS1_35radix_sort_onesweep_config_selectorIttEEZNS1_34radix_sort_onesweep_global_offsetsIS3_Lb0EN6thrust23THRUST_200600_302600_NS6detail15normal_iteratorINS8_10device_ptrItEEEESD_jNS0_19identity_decomposerEEE10hipError_tT1_T2_PT3_SI_jT4_jjP12ihipStream_tbEUlT_E_NS1_11comp_targetILNS1_3genE2ELNS1_11target_archE906ELNS1_3gpuE6ELNS1_3repE0EEENS1_52radix_sort_onesweep_histogram_config_static_selectorELNS0_4arch9wavefront6targetE1EEEvSG_, .Lfunc_end950-_ZN7rocprim17ROCPRIM_400000_NS6detail17trampoline_kernelINS0_14default_configENS1_35radix_sort_onesweep_config_selectorIttEEZNS1_34radix_sort_onesweep_global_offsetsIS3_Lb0EN6thrust23THRUST_200600_302600_NS6detail15normal_iteratorINS8_10device_ptrItEEEESD_jNS0_19identity_decomposerEEE10hipError_tT1_T2_PT3_SI_jT4_jjP12ihipStream_tbEUlT_E_NS1_11comp_targetILNS1_3genE2ELNS1_11target_archE906ELNS1_3gpuE6ELNS1_3repE0EEENS1_52radix_sort_onesweep_histogram_config_static_selectorELNS0_4arch9wavefront6targetE1EEEvSG_
                                        ; -- End function
	.set _ZN7rocprim17ROCPRIM_400000_NS6detail17trampoline_kernelINS0_14default_configENS1_35radix_sort_onesweep_config_selectorIttEEZNS1_34radix_sort_onesweep_global_offsetsIS3_Lb0EN6thrust23THRUST_200600_302600_NS6detail15normal_iteratorINS8_10device_ptrItEEEESD_jNS0_19identity_decomposerEEE10hipError_tT1_T2_PT3_SI_jT4_jjP12ihipStream_tbEUlT_E_NS1_11comp_targetILNS1_3genE2ELNS1_11target_archE906ELNS1_3gpuE6ELNS1_3repE0EEENS1_52radix_sort_onesweep_histogram_config_static_selectorELNS0_4arch9wavefront6targetE1EEEvSG_.num_vgpr, 0
	.set _ZN7rocprim17ROCPRIM_400000_NS6detail17trampoline_kernelINS0_14default_configENS1_35radix_sort_onesweep_config_selectorIttEEZNS1_34radix_sort_onesweep_global_offsetsIS3_Lb0EN6thrust23THRUST_200600_302600_NS6detail15normal_iteratorINS8_10device_ptrItEEEESD_jNS0_19identity_decomposerEEE10hipError_tT1_T2_PT3_SI_jT4_jjP12ihipStream_tbEUlT_E_NS1_11comp_targetILNS1_3genE2ELNS1_11target_archE906ELNS1_3gpuE6ELNS1_3repE0EEENS1_52radix_sort_onesweep_histogram_config_static_selectorELNS0_4arch9wavefront6targetE1EEEvSG_.num_agpr, 0
	.set _ZN7rocprim17ROCPRIM_400000_NS6detail17trampoline_kernelINS0_14default_configENS1_35radix_sort_onesweep_config_selectorIttEEZNS1_34radix_sort_onesweep_global_offsetsIS3_Lb0EN6thrust23THRUST_200600_302600_NS6detail15normal_iteratorINS8_10device_ptrItEEEESD_jNS0_19identity_decomposerEEE10hipError_tT1_T2_PT3_SI_jT4_jjP12ihipStream_tbEUlT_E_NS1_11comp_targetILNS1_3genE2ELNS1_11target_archE906ELNS1_3gpuE6ELNS1_3repE0EEENS1_52radix_sort_onesweep_histogram_config_static_selectorELNS0_4arch9wavefront6targetE1EEEvSG_.numbered_sgpr, 0
	.set _ZN7rocprim17ROCPRIM_400000_NS6detail17trampoline_kernelINS0_14default_configENS1_35radix_sort_onesweep_config_selectorIttEEZNS1_34radix_sort_onesweep_global_offsetsIS3_Lb0EN6thrust23THRUST_200600_302600_NS6detail15normal_iteratorINS8_10device_ptrItEEEESD_jNS0_19identity_decomposerEEE10hipError_tT1_T2_PT3_SI_jT4_jjP12ihipStream_tbEUlT_E_NS1_11comp_targetILNS1_3genE2ELNS1_11target_archE906ELNS1_3gpuE6ELNS1_3repE0EEENS1_52radix_sort_onesweep_histogram_config_static_selectorELNS0_4arch9wavefront6targetE1EEEvSG_.num_named_barrier, 0
	.set _ZN7rocprim17ROCPRIM_400000_NS6detail17trampoline_kernelINS0_14default_configENS1_35radix_sort_onesweep_config_selectorIttEEZNS1_34radix_sort_onesweep_global_offsetsIS3_Lb0EN6thrust23THRUST_200600_302600_NS6detail15normal_iteratorINS8_10device_ptrItEEEESD_jNS0_19identity_decomposerEEE10hipError_tT1_T2_PT3_SI_jT4_jjP12ihipStream_tbEUlT_E_NS1_11comp_targetILNS1_3genE2ELNS1_11target_archE906ELNS1_3gpuE6ELNS1_3repE0EEENS1_52radix_sort_onesweep_histogram_config_static_selectorELNS0_4arch9wavefront6targetE1EEEvSG_.private_seg_size, 0
	.set _ZN7rocprim17ROCPRIM_400000_NS6detail17trampoline_kernelINS0_14default_configENS1_35radix_sort_onesweep_config_selectorIttEEZNS1_34radix_sort_onesweep_global_offsetsIS3_Lb0EN6thrust23THRUST_200600_302600_NS6detail15normal_iteratorINS8_10device_ptrItEEEESD_jNS0_19identity_decomposerEEE10hipError_tT1_T2_PT3_SI_jT4_jjP12ihipStream_tbEUlT_E_NS1_11comp_targetILNS1_3genE2ELNS1_11target_archE906ELNS1_3gpuE6ELNS1_3repE0EEENS1_52radix_sort_onesweep_histogram_config_static_selectorELNS0_4arch9wavefront6targetE1EEEvSG_.uses_vcc, 0
	.set _ZN7rocprim17ROCPRIM_400000_NS6detail17trampoline_kernelINS0_14default_configENS1_35radix_sort_onesweep_config_selectorIttEEZNS1_34radix_sort_onesweep_global_offsetsIS3_Lb0EN6thrust23THRUST_200600_302600_NS6detail15normal_iteratorINS8_10device_ptrItEEEESD_jNS0_19identity_decomposerEEE10hipError_tT1_T2_PT3_SI_jT4_jjP12ihipStream_tbEUlT_E_NS1_11comp_targetILNS1_3genE2ELNS1_11target_archE906ELNS1_3gpuE6ELNS1_3repE0EEENS1_52radix_sort_onesweep_histogram_config_static_selectorELNS0_4arch9wavefront6targetE1EEEvSG_.uses_flat_scratch, 0
	.set _ZN7rocprim17ROCPRIM_400000_NS6detail17trampoline_kernelINS0_14default_configENS1_35radix_sort_onesweep_config_selectorIttEEZNS1_34radix_sort_onesweep_global_offsetsIS3_Lb0EN6thrust23THRUST_200600_302600_NS6detail15normal_iteratorINS8_10device_ptrItEEEESD_jNS0_19identity_decomposerEEE10hipError_tT1_T2_PT3_SI_jT4_jjP12ihipStream_tbEUlT_E_NS1_11comp_targetILNS1_3genE2ELNS1_11target_archE906ELNS1_3gpuE6ELNS1_3repE0EEENS1_52radix_sort_onesweep_histogram_config_static_selectorELNS0_4arch9wavefront6targetE1EEEvSG_.has_dyn_sized_stack, 0
	.set _ZN7rocprim17ROCPRIM_400000_NS6detail17trampoline_kernelINS0_14default_configENS1_35radix_sort_onesweep_config_selectorIttEEZNS1_34radix_sort_onesweep_global_offsetsIS3_Lb0EN6thrust23THRUST_200600_302600_NS6detail15normal_iteratorINS8_10device_ptrItEEEESD_jNS0_19identity_decomposerEEE10hipError_tT1_T2_PT3_SI_jT4_jjP12ihipStream_tbEUlT_E_NS1_11comp_targetILNS1_3genE2ELNS1_11target_archE906ELNS1_3gpuE6ELNS1_3repE0EEENS1_52radix_sort_onesweep_histogram_config_static_selectorELNS0_4arch9wavefront6targetE1EEEvSG_.has_recursion, 0
	.set _ZN7rocprim17ROCPRIM_400000_NS6detail17trampoline_kernelINS0_14default_configENS1_35radix_sort_onesweep_config_selectorIttEEZNS1_34radix_sort_onesweep_global_offsetsIS3_Lb0EN6thrust23THRUST_200600_302600_NS6detail15normal_iteratorINS8_10device_ptrItEEEESD_jNS0_19identity_decomposerEEE10hipError_tT1_T2_PT3_SI_jT4_jjP12ihipStream_tbEUlT_E_NS1_11comp_targetILNS1_3genE2ELNS1_11target_archE906ELNS1_3gpuE6ELNS1_3repE0EEENS1_52radix_sort_onesweep_histogram_config_static_selectorELNS0_4arch9wavefront6targetE1EEEvSG_.has_indirect_call, 0
	.section	.AMDGPU.csdata,"",@progbits
; Kernel info:
; codeLenInByte = 0
; TotalNumSgprs: 6
; NumVgprs: 0
; NumAgprs: 0
; TotalNumVgprs: 0
; ScratchSize: 0
; MemoryBound: 0
; FloatMode: 240
; IeeeMode: 1
; LDSByteSize: 0 bytes/workgroup (compile time only)
; SGPRBlocks: 0
; VGPRBlocks: 0
; NumSGPRsForWavesPerEU: 6
; NumVGPRsForWavesPerEU: 1
; AccumOffset: 4
; Occupancy: 8
; WaveLimiterHint : 0
; COMPUTE_PGM_RSRC2:SCRATCH_EN: 0
; COMPUTE_PGM_RSRC2:USER_SGPR: 2
; COMPUTE_PGM_RSRC2:TRAP_HANDLER: 0
; COMPUTE_PGM_RSRC2:TGID_X_EN: 1
; COMPUTE_PGM_RSRC2:TGID_Y_EN: 0
; COMPUTE_PGM_RSRC2:TGID_Z_EN: 0
; COMPUTE_PGM_RSRC2:TIDIG_COMP_CNT: 0
; COMPUTE_PGM_RSRC3_GFX90A:ACCUM_OFFSET: 0
; COMPUTE_PGM_RSRC3_GFX90A:TG_SPLIT: 0
	.section	.text._ZN7rocprim17ROCPRIM_400000_NS6detail17trampoline_kernelINS0_14default_configENS1_35radix_sort_onesweep_config_selectorIttEEZNS1_34radix_sort_onesweep_global_offsetsIS3_Lb0EN6thrust23THRUST_200600_302600_NS6detail15normal_iteratorINS8_10device_ptrItEEEESD_jNS0_19identity_decomposerEEE10hipError_tT1_T2_PT3_SI_jT4_jjP12ihipStream_tbEUlT_E_NS1_11comp_targetILNS1_3genE4ELNS1_11target_archE910ELNS1_3gpuE8ELNS1_3repE0EEENS1_52radix_sort_onesweep_histogram_config_static_selectorELNS0_4arch9wavefront6targetE1EEEvSG_,"axG",@progbits,_ZN7rocprim17ROCPRIM_400000_NS6detail17trampoline_kernelINS0_14default_configENS1_35radix_sort_onesweep_config_selectorIttEEZNS1_34radix_sort_onesweep_global_offsetsIS3_Lb0EN6thrust23THRUST_200600_302600_NS6detail15normal_iteratorINS8_10device_ptrItEEEESD_jNS0_19identity_decomposerEEE10hipError_tT1_T2_PT3_SI_jT4_jjP12ihipStream_tbEUlT_E_NS1_11comp_targetILNS1_3genE4ELNS1_11target_archE910ELNS1_3gpuE8ELNS1_3repE0EEENS1_52radix_sort_onesweep_histogram_config_static_selectorELNS0_4arch9wavefront6targetE1EEEvSG_,comdat
	.protected	_ZN7rocprim17ROCPRIM_400000_NS6detail17trampoline_kernelINS0_14default_configENS1_35radix_sort_onesweep_config_selectorIttEEZNS1_34radix_sort_onesweep_global_offsetsIS3_Lb0EN6thrust23THRUST_200600_302600_NS6detail15normal_iteratorINS8_10device_ptrItEEEESD_jNS0_19identity_decomposerEEE10hipError_tT1_T2_PT3_SI_jT4_jjP12ihipStream_tbEUlT_E_NS1_11comp_targetILNS1_3genE4ELNS1_11target_archE910ELNS1_3gpuE8ELNS1_3repE0EEENS1_52radix_sort_onesweep_histogram_config_static_selectorELNS0_4arch9wavefront6targetE1EEEvSG_ ; -- Begin function _ZN7rocprim17ROCPRIM_400000_NS6detail17trampoline_kernelINS0_14default_configENS1_35radix_sort_onesweep_config_selectorIttEEZNS1_34radix_sort_onesweep_global_offsetsIS3_Lb0EN6thrust23THRUST_200600_302600_NS6detail15normal_iteratorINS8_10device_ptrItEEEESD_jNS0_19identity_decomposerEEE10hipError_tT1_T2_PT3_SI_jT4_jjP12ihipStream_tbEUlT_E_NS1_11comp_targetILNS1_3genE4ELNS1_11target_archE910ELNS1_3gpuE8ELNS1_3repE0EEENS1_52radix_sort_onesweep_histogram_config_static_selectorELNS0_4arch9wavefront6targetE1EEEvSG_
	.globl	_ZN7rocprim17ROCPRIM_400000_NS6detail17trampoline_kernelINS0_14default_configENS1_35radix_sort_onesweep_config_selectorIttEEZNS1_34radix_sort_onesweep_global_offsetsIS3_Lb0EN6thrust23THRUST_200600_302600_NS6detail15normal_iteratorINS8_10device_ptrItEEEESD_jNS0_19identity_decomposerEEE10hipError_tT1_T2_PT3_SI_jT4_jjP12ihipStream_tbEUlT_E_NS1_11comp_targetILNS1_3genE4ELNS1_11target_archE910ELNS1_3gpuE8ELNS1_3repE0EEENS1_52radix_sort_onesweep_histogram_config_static_selectorELNS0_4arch9wavefront6targetE1EEEvSG_
	.p2align	8
	.type	_ZN7rocprim17ROCPRIM_400000_NS6detail17trampoline_kernelINS0_14default_configENS1_35radix_sort_onesweep_config_selectorIttEEZNS1_34radix_sort_onesweep_global_offsetsIS3_Lb0EN6thrust23THRUST_200600_302600_NS6detail15normal_iteratorINS8_10device_ptrItEEEESD_jNS0_19identity_decomposerEEE10hipError_tT1_T2_PT3_SI_jT4_jjP12ihipStream_tbEUlT_E_NS1_11comp_targetILNS1_3genE4ELNS1_11target_archE910ELNS1_3gpuE8ELNS1_3repE0EEENS1_52radix_sort_onesweep_histogram_config_static_selectorELNS0_4arch9wavefront6targetE1EEEvSG_,@function
_ZN7rocprim17ROCPRIM_400000_NS6detail17trampoline_kernelINS0_14default_configENS1_35radix_sort_onesweep_config_selectorIttEEZNS1_34radix_sort_onesweep_global_offsetsIS3_Lb0EN6thrust23THRUST_200600_302600_NS6detail15normal_iteratorINS8_10device_ptrItEEEESD_jNS0_19identity_decomposerEEE10hipError_tT1_T2_PT3_SI_jT4_jjP12ihipStream_tbEUlT_E_NS1_11comp_targetILNS1_3genE4ELNS1_11target_archE910ELNS1_3gpuE8ELNS1_3repE0EEENS1_52radix_sort_onesweep_histogram_config_static_selectorELNS0_4arch9wavefront6targetE1EEEvSG_: ; @_ZN7rocprim17ROCPRIM_400000_NS6detail17trampoline_kernelINS0_14default_configENS1_35radix_sort_onesweep_config_selectorIttEEZNS1_34radix_sort_onesweep_global_offsetsIS3_Lb0EN6thrust23THRUST_200600_302600_NS6detail15normal_iteratorINS8_10device_ptrItEEEESD_jNS0_19identity_decomposerEEE10hipError_tT1_T2_PT3_SI_jT4_jjP12ihipStream_tbEUlT_E_NS1_11comp_targetILNS1_3genE4ELNS1_11target_archE910ELNS1_3gpuE8ELNS1_3repE0EEENS1_52radix_sort_onesweep_histogram_config_static_selectorELNS0_4arch9wavefront6targetE1EEEvSG_
; %bb.0:
	.section	.rodata,"a",@progbits
	.p2align	6, 0x0
	.amdhsa_kernel _ZN7rocprim17ROCPRIM_400000_NS6detail17trampoline_kernelINS0_14default_configENS1_35radix_sort_onesweep_config_selectorIttEEZNS1_34radix_sort_onesweep_global_offsetsIS3_Lb0EN6thrust23THRUST_200600_302600_NS6detail15normal_iteratorINS8_10device_ptrItEEEESD_jNS0_19identity_decomposerEEE10hipError_tT1_T2_PT3_SI_jT4_jjP12ihipStream_tbEUlT_E_NS1_11comp_targetILNS1_3genE4ELNS1_11target_archE910ELNS1_3gpuE8ELNS1_3repE0EEENS1_52radix_sort_onesweep_histogram_config_static_selectorELNS0_4arch9wavefront6targetE1EEEvSG_
		.amdhsa_group_segment_fixed_size 0
		.amdhsa_private_segment_fixed_size 0
		.amdhsa_kernarg_size 40
		.amdhsa_user_sgpr_count 2
		.amdhsa_user_sgpr_dispatch_ptr 0
		.amdhsa_user_sgpr_queue_ptr 0
		.amdhsa_user_sgpr_kernarg_segment_ptr 1
		.amdhsa_user_sgpr_dispatch_id 0
		.amdhsa_user_sgpr_kernarg_preload_length 0
		.amdhsa_user_sgpr_kernarg_preload_offset 0
		.amdhsa_user_sgpr_private_segment_size 0
		.amdhsa_uses_dynamic_stack 0
		.amdhsa_enable_private_segment 0
		.amdhsa_system_sgpr_workgroup_id_x 1
		.amdhsa_system_sgpr_workgroup_id_y 0
		.amdhsa_system_sgpr_workgroup_id_z 0
		.amdhsa_system_sgpr_workgroup_info 0
		.amdhsa_system_vgpr_workitem_id 0
		.amdhsa_next_free_vgpr 1
		.amdhsa_next_free_sgpr 0
		.amdhsa_accum_offset 4
		.amdhsa_reserve_vcc 0
		.amdhsa_float_round_mode_32 0
		.amdhsa_float_round_mode_16_64 0
		.amdhsa_float_denorm_mode_32 3
		.amdhsa_float_denorm_mode_16_64 3
		.amdhsa_dx10_clamp 1
		.amdhsa_ieee_mode 1
		.amdhsa_fp16_overflow 0
		.amdhsa_tg_split 0
		.amdhsa_exception_fp_ieee_invalid_op 0
		.amdhsa_exception_fp_denorm_src 0
		.amdhsa_exception_fp_ieee_div_zero 0
		.amdhsa_exception_fp_ieee_overflow 0
		.amdhsa_exception_fp_ieee_underflow 0
		.amdhsa_exception_fp_ieee_inexact 0
		.amdhsa_exception_int_div_zero 0
	.end_amdhsa_kernel
	.section	.text._ZN7rocprim17ROCPRIM_400000_NS6detail17trampoline_kernelINS0_14default_configENS1_35radix_sort_onesweep_config_selectorIttEEZNS1_34radix_sort_onesweep_global_offsetsIS3_Lb0EN6thrust23THRUST_200600_302600_NS6detail15normal_iteratorINS8_10device_ptrItEEEESD_jNS0_19identity_decomposerEEE10hipError_tT1_T2_PT3_SI_jT4_jjP12ihipStream_tbEUlT_E_NS1_11comp_targetILNS1_3genE4ELNS1_11target_archE910ELNS1_3gpuE8ELNS1_3repE0EEENS1_52radix_sort_onesweep_histogram_config_static_selectorELNS0_4arch9wavefront6targetE1EEEvSG_,"axG",@progbits,_ZN7rocprim17ROCPRIM_400000_NS6detail17trampoline_kernelINS0_14default_configENS1_35radix_sort_onesweep_config_selectorIttEEZNS1_34radix_sort_onesweep_global_offsetsIS3_Lb0EN6thrust23THRUST_200600_302600_NS6detail15normal_iteratorINS8_10device_ptrItEEEESD_jNS0_19identity_decomposerEEE10hipError_tT1_T2_PT3_SI_jT4_jjP12ihipStream_tbEUlT_E_NS1_11comp_targetILNS1_3genE4ELNS1_11target_archE910ELNS1_3gpuE8ELNS1_3repE0EEENS1_52radix_sort_onesweep_histogram_config_static_selectorELNS0_4arch9wavefront6targetE1EEEvSG_,comdat
.Lfunc_end951:
	.size	_ZN7rocprim17ROCPRIM_400000_NS6detail17trampoline_kernelINS0_14default_configENS1_35radix_sort_onesweep_config_selectorIttEEZNS1_34radix_sort_onesweep_global_offsetsIS3_Lb0EN6thrust23THRUST_200600_302600_NS6detail15normal_iteratorINS8_10device_ptrItEEEESD_jNS0_19identity_decomposerEEE10hipError_tT1_T2_PT3_SI_jT4_jjP12ihipStream_tbEUlT_E_NS1_11comp_targetILNS1_3genE4ELNS1_11target_archE910ELNS1_3gpuE8ELNS1_3repE0EEENS1_52radix_sort_onesweep_histogram_config_static_selectorELNS0_4arch9wavefront6targetE1EEEvSG_, .Lfunc_end951-_ZN7rocprim17ROCPRIM_400000_NS6detail17trampoline_kernelINS0_14default_configENS1_35radix_sort_onesweep_config_selectorIttEEZNS1_34radix_sort_onesweep_global_offsetsIS3_Lb0EN6thrust23THRUST_200600_302600_NS6detail15normal_iteratorINS8_10device_ptrItEEEESD_jNS0_19identity_decomposerEEE10hipError_tT1_T2_PT3_SI_jT4_jjP12ihipStream_tbEUlT_E_NS1_11comp_targetILNS1_3genE4ELNS1_11target_archE910ELNS1_3gpuE8ELNS1_3repE0EEENS1_52radix_sort_onesweep_histogram_config_static_selectorELNS0_4arch9wavefront6targetE1EEEvSG_
                                        ; -- End function
	.set _ZN7rocprim17ROCPRIM_400000_NS6detail17trampoline_kernelINS0_14default_configENS1_35radix_sort_onesweep_config_selectorIttEEZNS1_34radix_sort_onesweep_global_offsetsIS3_Lb0EN6thrust23THRUST_200600_302600_NS6detail15normal_iteratorINS8_10device_ptrItEEEESD_jNS0_19identity_decomposerEEE10hipError_tT1_T2_PT3_SI_jT4_jjP12ihipStream_tbEUlT_E_NS1_11comp_targetILNS1_3genE4ELNS1_11target_archE910ELNS1_3gpuE8ELNS1_3repE0EEENS1_52radix_sort_onesweep_histogram_config_static_selectorELNS0_4arch9wavefront6targetE1EEEvSG_.num_vgpr, 0
	.set _ZN7rocprim17ROCPRIM_400000_NS6detail17trampoline_kernelINS0_14default_configENS1_35radix_sort_onesweep_config_selectorIttEEZNS1_34radix_sort_onesweep_global_offsetsIS3_Lb0EN6thrust23THRUST_200600_302600_NS6detail15normal_iteratorINS8_10device_ptrItEEEESD_jNS0_19identity_decomposerEEE10hipError_tT1_T2_PT3_SI_jT4_jjP12ihipStream_tbEUlT_E_NS1_11comp_targetILNS1_3genE4ELNS1_11target_archE910ELNS1_3gpuE8ELNS1_3repE0EEENS1_52radix_sort_onesweep_histogram_config_static_selectorELNS0_4arch9wavefront6targetE1EEEvSG_.num_agpr, 0
	.set _ZN7rocprim17ROCPRIM_400000_NS6detail17trampoline_kernelINS0_14default_configENS1_35radix_sort_onesweep_config_selectorIttEEZNS1_34radix_sort_onesweep_global_offsetsIS3_Lb0EN6thrust23THRUST_200600_302600_NS6detail15normal_iteratorINS8_10device_ptrItEEEESD_jNS0_19identity_decomposerEEE10hipError_tT1_T2_PT3_SI_jT4_jjP12ihipStream_tbEUlT_E_NS1_11comp_targetILNS1_3genE4ELNS1_11target_archE910ELNS1_3gpuE8ELNS1_3repE0EEENS1_52radix_sort_onesweep_histogram_config_static_selectorELNS0_4arch9wavefront6targetE1EEEvSG_.numbered_sgpr, 0
	.set _ZN7rocprim17ROCPRIM_400000_NS6detail17trampoline_kernelINS0_14default_configENS1_35radix_sort_onesweep_config_selectorIttEEZNS1_34radix_sort_onesweep_global_offsetsIS3_Lb0EN6thrust23THRUST_200600_302600_NS6detail15normal_iteratorINS8_10device_ptrItEEEESD_jNS0_19identity_decomposerEEE10hipError_tT1_T2_PT3_SI_jT4_jjP12ihipStream_tbEUlT_E_NS1_11comp_targetILNS1_3genE4ELNS1_11target_archE910ELNS1_3gpuE8ELNS1_3repE0EEENS1_52radix_sort_onesweep_histogram_config_static_selectorELNS0_4arch9wavefront6targetE1EEEvSG_.num_named_barrier, 0
	.set _ZN7rocprim17ROCPRIM_400000_NS6detail17trampoline_kernelINS0_14default_configENS1_35radix_sort_onesweep_config_selectorIttEEZNS1_34radix_sort_onesweep_global_offsetsIS3_Lb0EN6thrust23THRUST_200600_302600_NS6detail15normal_iteratorINS8_10device_ptrItEEEESD_jNS0_19identity_decomposerEEE10hipError_tT1_T2_PT3_SI_jT4_jjP12ihipStream_tbEUlT_E_NS1_11comp_targetILNS1_3genE4ELNS1_11target_archE910ELNS1_3gpuE8ELNS1_3repE0EEENS1_52radix_sort_onesweep_histogram_config_static_selectorELNS0_4arch9wavefront6targetE1EEEvSG_.private_seg_size, 0
	.set _ZN7rocprim17ROCPRIM_400000_NS6detail17trampoline_kernelINS0_14default_configENS1_35radix_sort_onesweep_config_selectorIttEEZNS1_34radix_sort_onesweep_global_offsetsIS3_Lb0EN6thrust23THRUST_200600_302600_NS6detail15normal_iteratorINS8_10device_ptrItEEEESD_jNS0_19identity_decomposerEEE10hipError_tT1_T2_PT3_SI_jT4_jjP12ihipStream_tbEUlT_E_NS1_11comp_targetILNS1_3genE4ELNS1_11target_archE910ELNS1_3gpuE8ELNS1_3repE0EEENS1_52radix_sort_onesweep_histogram_config_static_selectorELNS0_4arch9wavefront6targetE1EEEvSG_.uses_vcc, 0
	.set _ZN7rocprim17ROCPRIM_400000_NS6detail17trampoline_kernelINS0_14default_configENS1_35radix_sort_onesweep_config_selectorIttEEZNS1_34radix_sort_onesweep_global_offsetsIS3_Lb0EN6thrust23THRUST_200600_302600_NS6detail15normal_iteratorINS8_10device_ptrItEEEESD_jNS0_19identity_decomposerEEE10hipError_tT1_T2_PT3_SI_jT4_jjP12ihipStream_tbEUlT_E_NS1_11comp_targetILNS1_3genE4ELNS1_11target_archE910ELNS1_3gpuE8ELNS1_3repE0EEENS1_52radix_sort_onesweep_histogram_config_static_selectorELNS0_4arch9wavefront6targetE1EEEvSG_.uses_flat_scratch, 0
	.set _ZN7rocprim17ROCPRIM_400000_NS6detail17trampoline_kernelINS0_14default_configENS1_35radix_sort_onesweep_config_selectorIttEEZNS1_34radix_sort_onesweep_global_offsetsIS3_Lb0EN6thrust23THRUST_200600_302600_NS6detail15normal_iteratorINS8_10device_ptrItEEEESD_jNS0_19identity_decomposerEEE10hipError_tT1_T2_PT3_SI_jT4_jjP12ihipStream_tbEUlT_E_NS1_11comp_targetILNS1_3genE4ELNS1_11target_archE910ELNS1_3gpuE8ELNS1_3repE0EEENS1_52radix_sort_onesweep_histogram_config_static_selectorELNS0_4arch9wavefront6targetE1EEEvSG_.has_dyn_sized_stack, 0
	.set _ZN7rocprim17ROCPRIM_400000_NS6detail17trampoline_kernelINS0_14default_configENS1_35radix_sort_onesweep_config_selectorIttEEZNS1_34radix_sort_onesweep_global_offsetsIS3_Lb0EN6thrust23THRUST_200600_302600_NS6detail15normal_iteratorINS8_10device_ptrItEEEESD_jNS0_19identity_decomposerEEE10hipError_tT1_T2_PT3_SI_jT4_jjP12ihipStream_tbEUlT_E_NS1_11comp_targetILNS1_3genE4ELNS1_11target_archE910ELNS1_3gpuE8ELNS1_3repE0EEENS1_52radix_sort_onesweep_histogram_config_static_selectorELNS0_4arch9wavefront6targetE1EEEvSG_.has_recursion, 0
	.set _ZN7rocprim17ROCPRIM_400000_NS6detail17trampoline_kernelINS0_14default_configENS1_35radix_sort_onesweep_config_selectorIttEEZNS1_34radix_sort_onesweep_global_offsetsIS3_Lb0EN6thrust23THRUST_200600_302600_NS6detail15normal_iteratorINS8_10device_ptrItEEEESD_jNS0_19identity_decomposerEEE10hipError_tT1_T2_PT3_SI_jT4_jjP12ihipStream_tbEUlT_E_NS1_11comp_targetILNS1_3genE4ELNS1_11target_archE910ELNS1_3gpuE8ELNS1_3repE0EEENS1_52radix_sort_onesweep_histogram_config_static_selectorELNS0_4arch9wavefront6targetE1EEEvSG_.has_indirect_call, 0
	.section	.AMDGPU.csdata,"",@progbits
; Kernel info:
; codeLenInByte = 0
; TotalNumSgprs: 6
; NumVgprs: 0
; NumAgprs: 0
; TotalNumVgprs: 0
; ScratchSize: 0
; MemoryBound: 0
; FloatMode: 240
; IeeeMode: 1
; LDSByteSize: 0 bytes/workgroup (compile time only)
; SGPRBlocks: 0
; VGPRBlocks: 0
; NumSGPRsForWavesPerEU: 6
; NumVGPRsForWavesPerEU: 1
; AccumOffset: 4
; Occupancy: 8
; WaveLimiterHint : 0
; COMPUTE_PGM_RSRC2:SCRATCH_EN: 0
; COMPUTE_PGM_RSRC2:USER_SGPR: 2
; COMPUTE_PGM_RSRC2:TRAP_HANDLER: 0
; COMPUTE_PGM_RSRC2:TGID_X_EN: 1
; COMPUTE_PGM_RSRC2:TGID_Y_EN: 0
; COMPUTE_PGM_RSRC2:TGID_Z_EN: 0
; COMPUTE_PGM_RSRC2:TIDIG_COMP_CNT: 0
; COMPUTE_PGM_RSRC3_GFX90A:ACCUM_OFFSET: 0
; COMPUTE_PGM_RSRC3_GFX90A:TG_SPLIT: 0
	.section	.text._ZN7rocprim17ROCPRIM_400000_NS6detail17trampoline_kernelINS0_14default_configENS1_35radix_sort_onesweep_config_selectorIttEEZNS1_34radix_sort_onesweep_global_offsetsIS3_Lb0EN6thrust23THRUST_200600_302600_NS6detail15normal_iteratorINS8_10device_ptrItEEEESD_jNS0_19identity_decomposerEEE10hipError_tT1_T2_PT3_SI_jT4_jjP12ihipStream_tbEUlT_E_NS1_11comp_targetILNS1_3genE3ELNS1_11target_archE908ELNS1_3gpuE7ELNS1_3repE0EEENS1_52radix_sort_onesweep_histogram_config_static_selectorELNS0_4arch9wavefront6targetE1EEEvSG_,"axG",@progbits,_ZN7rocprim17ROCPRIM_400000_NS6detail17trampoline_kernelINS0_14default_configENS1_35radix_sort_onesweep_config_selectorIttEEZNS1_34radix_sort_onesweep_global_offsetsIS3_Lb0EN6thrust23THRUST_200600_302600_NS6detail15normal_iteratorINS8_10device_ptrItEEEESD_jNS0_19identity_decomposerEEE10hipError_tT1_T2_PT3_SI_jT4_jjP12ihipStream_tbEUlT_E_NS1_11comp_targetILNS1_3genE3ELNS1_11target_archE908ELNS1_3gpuE7ELNS1_3repE0EEENS1_52radix_sort_onesweep_histogram_config_static_selectorELNS0_4arch9wavefront6targetE1EEEvSG_,comdat
	.protected	_ZN7rocprim17ROCPRIM_400000_NS6detail17trampoline_kernelINS0_14default_configENS1_35radix_sort_onesweep_config_selectorIttEEZNS1_34radix_sort_onesweep_global_offsetsIS3_Lb0EN6thrust23THRUST_200600_302600_NS6detail15normal_iteratorINS8_10device_ptrItEEEESD_jNS0_19identity_decomposerEEE10hipError_tT1_T2_PT3_SI_jT4_jjP12ihipStream_tbEUlT_E_NS1_11comp_targetILNS1_3genE3ELNS1_11target_archE908ELNS1_3gpuE7ELNS1_3repE0EEENS1_52radix_sort_onesweep_histogram_config_static_selectorELNS0_4arch9wavefront6targetE1EEEvSG_ ; -- Begin function _ZN7rocprim17ROCPRIM_400000_NS6detail17trampoline_kernelINS0_14default_configENS1_35radix_sort_onesweep_config_selectorIttEEZNS1_34radix_sort_onesweep_global_offsetsIS3_Lb0EN6thrust23THRUST_200600_302600_NS6detail15normal_iteratorINS8_10device_ptrItEEEESD_jNS0_19identity_decomposerEEE10hipError_tT1_T2_PT3_SI_jT4_jjP12ihipStream_tbEUlT_E_NS1_11comp_targetILNS1_3genE3ELNS1_11target_archE908ELNS1_3gpuE7ELNS1_3repE0EEENS1_52radix_sort_onesweep_histogram_config_static_selectorELNS0_4arch9wavefront6targetE1EEEvSG_
	.globl	_ZN7rocprim17ROCPRIM_400000_NS6detail17trampoline_kernelINS0_14default_configENS1_35radix_sort_onesweep_config_selectorIttEEZNS1_34radix_sort_onesweep_global_offsetsIS3_Lb0EN6thrust23THRUST_200600_302600_NS6detail15normal_iteratorINS8_10device_ptrItEEEESD_jNS0_19identity_decomposerEEE10hipError_tT1_T2_PT3_SI_jT4_jjP12ihipStream_tbEUlT_E_NS1_11comp_targetILNS1_3genE3ELNS1_11target_archE908ELNS1_3gpuE7ELNS1_3repE0EEENS1_52radix_sort_onesweep_histogram_config_static_selectorELNS0_4arch9wavefront6targetE1EEEvSG_
	.p2align	8
	.type	_ZN7rocprim17ROCPRIM_400000_NS6detail17trampoline_kernelINS0_14default_configENS1_35radix_sort_onesweep_config_selectorIttEEZNS1_34radix_sort_onesweep_global_offsetsIS3_Lb0EN6thrust23THRUST_200600_302600_NS6detail15normal_iteratorINS8_10device_ptrItEEEESD_jNS0_19identity_decomposerEEE10hipError_tT1_T2_PT3_SI_jT4_jjP12ihipStream_tbEUlT_E_NS1_11comp_targetILNS1_3genE3ELNS1_11target_archE908ELNS1_3gpuE7ELNS1_3repE0EEENS1_52radix_sort_onesweep_histogram_config_static_selectorELNS0_4arch9wavefront6targetE1EEEvSG_,@function
_ZN7rocprim17ROCPRIM_400000_NS6detail17trampoline_kernelINS0_14default_configENS1_35radix_sort_onesweep_config_selectorIttEEZNS1_34radix_sort_onesweep_global_offsetsIS3_Lb0EN6thrust23THRUST_200600_302600_NS6detail15normal_iteratorINS8_10device_ptrItEEEESD_jNS0_19identity_decomposerEEE10hipError_tT1_T2_PT3_SI_jT4_jjP12ihipStream_tbEUlT_E_NS1_11comp_targetILNS1_3genE3ELNS1_11target_archE908ELNS1_3gpuE7ELNS1_3repE0EEENS1_52radix_sort_onesweep_histogram_config_static_selectorELNS0_4arch9wavefront6targetE1EEEvSG_: ; @_ZN7rocprim17ROCPRIM_400000_NS6detail17trampoline_kernelINS0_14default_configENS1_35radix_sort_onesweep_config_selectorIttEEZNS1_34radix_sort_onesweep_global_offsetsIS3_Lb0EN6thrust23THRUST_200600_302600_NS6detail15normal_iteratorINS8_10device_ptrItEEEESD_jNS0_19identity_decomposerEEE10hipError_tT1_T2_PT3_SI_jT4_jjP12ihipStream_tbEUlT_E_NS1_11comp_targetILNS1_3genE3ELNS1_11target_archE908ELNS1_3gpuE7ELNS1_3repE0EEENS1_52radix_sort_onesweep_histogram_config_static_selectorELNS0_4arch9wavefront6targetE1EEEvSG_
; %bb.0:
	.section	.rodata,"a",@progbits
	.p2align	6, 0x0
	.amdhsa_kernel _ZN7rocprim17ROCPRIM_400000_NS6detail17trampoline_kernelINS0_14default_configENS1_35radix_sort_onesweep_config_selectorIttEEZNS1_34radix_sort_onesweep_global_offsetsIS3_Lb0EN6thrust23THRUST_200600_302600_NS6detail15normal_iteratorINS8_10device_ptrItEEEESD_jNS0_19identity_decomposerEEE10hipError_tT1_T2_PT3_SI_jT4_jjP12ihipStream_tbEUlT_E_NS1_11comp_targetILNS1_3genE3ELNS1_11target_archE908ELNS1_3gpuE7ELNS1_3repE0EEENS1_52radix_sort_onesweep_histogram_config_static_selectorELNS0_4arch9wavefront6targetE1EEEvSG_
		.amdhsa_group_segment_fixed_size 0
		.amdhsa_private_segment_fixed_size 0
		.amdhsa_kernarg_size 40
		.amdhsa_user_sgpr_count 2
		.amdhsa_user_sgpr_dispatch_ptr 0
		.amdhsa_user_sgpr_queue_ptr 0
		.amdhsa_user_sgpr_kernarg_segment_ptr 1
		.amdhsa_user_sgpr_dispatch_id 0
		.amdhsa_user_sgpr_kernarg_preload_length 0
		.amdhsa_user_sgpr_kernarg_preload_offset 0
		.amdhsa_user_sgpr_private_segment_size 0
		.amdhsa_uses_dynamic_stack 0
		.amdhsa_enable_private_segment 0
		.amdhsa_system_sgpr_workgroup_id_x 1
		.amdhsa_system_sgpr_workgroup_id_y 0
		.amdhsa_system_sgpr_workgroup_id_z 0
		.amdhsa_system_sgpr_workgroup_info 0
		.amdhsa_system_vgpr_workitem_id 0
		.amdhsa_next_free_vgpr 1
		.amdhsa_next_free_sgpr 0
		.amdhsa_accum_offset 4
		.amdhsa_reserve_vcc 0
		.amdhsa_float_round_mode_32 0
		.amdhsa_float_round_mode_16_64 0
		.amdhsa_float_denorm_mode_32 3
		.amdhsa_float_denorm_mode_16_64 3
		.amdhsa_dx10_clamp 1
		.amdhsa_ieee_mode 1
		.amdhsa_fp16_overflow 0
		.amdhsa_tg_split 0
		.amdhsa_exception_fp_ieee_invalid_op 0
		.amdhsa_exception_fp_denorm_src 0
		.amdhsa_exception_fp_ieee_div_zero 0
		.amdhsa_exception_fp_ieee_overflow 0
		.amdhsa_exception_fp_ieee_underflow 0
		.amdhsa_exception_fp_ieee_inexact 0
		.amdhsa_exception_int_div_zero 0
	.end_amdhsa_kernel
	.section	.text._ZN7rocprim17ROCPRIM_400000_NS6detail17trampoline_kernelINS0_14default_configENS1_35radix_sort_onesweep_config_selectorIttEEZNS1_34radix_sort_onesweep_global_offsetsIS3_Lb0EN6thrust23THRUST_200600_302600_NS6detail15normal_iteratorINS8_10device_ptrItEEEESD_jNS0_19identity_decomposerEEE10hipError_tT1_T2_PT3_SI_jT4_jjP12ihipStream_tbEUlT_E_NS1_11comp_targetILNS1_3genE3ELNS1_11target_archE908ELNS1_3gpuE7ELNS1_3repE0EEENS1_52radix_sort_onesweep_histogram_config_static_selectorELNS0_4arch9wavefront6targetE1EEEvSG_,"axG",@progbits,_ZN7rocprim17ROCPRIM_400000_NS6detail17trampoline_kernelINS0_14default_configENS1_35radix_sort_onesweep_config_selectorIttEEZNS1_34radix_sort_onesweep_global_offsetsIS3_Lb0EN6thrust23THRUST_200600_302600_NS6detail15normal_iteratorINS8_10device_ptrItEEEESD_jNS0_19identity_decomposerEEE10hipError_tT1_T2_PT3_SI_jT4_jjP12ihipStream_tbEUlT_E_NS1_11comp_targetILNS1_3genE3ELNS1_11target_archE908ELNS1_3gpuE7ELNS1_3repE0EEENS1_52radix_sort_onesweep_histogram_config_static_selectorELNS0_4arch9wavefront6targetE1EEEvSG_,comdat
.Lfunc_end952:
	.size	_ZN7rocprim17ROCPRIM_400000_NS6detail17trampoline_kernelINS0_14default_configENS1_35radix_sort_onesweep_config_selectorIttEEZNS1_34radix_sort_onesweep_global_offsetsIS3_Lb0EN6thrust23THRUST_200600_302600_NS6detail15normal_iteratorINS8_10device_ptrItEEEESD_jNS0_19identity_decomposerEEE10hipError_tT1_T2_PT3_SI_jT4_jjP12ihipStream_tbEUlT_E_NS1_11comp_targetILNS1_3genE3ELNS1_11target_archE908ELNS1_3gpuE7ELNS1_3repE0EEENS1_52radix_sort_onesweep_histogram_config_static_selectorELNS0_4arch9wavefront6targetE1EEEvSG_, .Lfunc_end952-_ZN7rocprim17ROCPRIM_400000_NS6detail17trampoline_kernelINS0_14default_configENS1_35radix_sort_onesweep_config_selectorIttEEZNS1_34radix_sort_onesweep_global_offsetsIS3_Lb0EN6thrust23THRUST_200600_302600_NS6detail15normal_iteratorINS8_10device_ptrItEEEESD_jNS0_19identity_decomposerEEE10hipError_tT1_T2_PT3_SI_jT4_jjP12ihipStream_tbEUlT_E_NS1_11comp_targetILNS1_3genE3ELNS1_11target_archE908ELNS1_3gpuE7ELNS1_3repE0EEENS1_52radix_sort_onesweep_histogram_config_static_selectorELNS0_4arch9wavefront6targetE1EEEvSG_
                                        ; -- End function
	.set _ZN7rocprim17ROCPRIM_400000_NS6detail17trampoline_kernelINS0_14default_configENS1_35radix_sort_onesweep_config_selectorIttEEZNS1_34radix_sort_onesweep_global_offsetsIS3_Lb0EN6thrust23THRUST_200600_302600_NS6detail15normal_iteratorINS8_10device_ptrItEEEESD_jNS0_19identity_decomposerEEE10hipError_tT1_T2_PT3_SI_jT4_jjP12ihipStream_tbEUlT_E_NS1_11comp_targetILNS1_3genE3ELNS1_11target_archE908ELNS1_3gpuE7ELNS1_3repE0EEENS1_52radix_sort_onesweep_histogram_config_static_selectorELNS0_4arch9wavefront6targetE1EEEvSG_.num_vgpr, 0
	.set _ZN7rocprim17ROCPRIM_400000_NS6detail17trampoline_kernelINS0_14default_configENS1_35radix_sort_onesweep_config_selectorIttEEZNS1_34radix_sort_onesweep_global_offsetsIS3_Lb0EN6thrust23THRUST_200600_302600_NS6detail15normal_iteratorINS8_10device_ptrItEEEESD_jNS0_19identity_decomposerEEE10hipError_tT1_T2_PT3_SI_jT4_jjP12ihipStream_tbEUlT_E_NS1_11comp_targetILNS1_3genE3ELNS1_11target_archE908ELNS1_3gpuE7ELNS1_3repE0EEENS1_52radix_sort_onesweep_histogram_config_static_selectorELNS0_4arch9wavefront6targetE1EEEvSG_.num_agpr, 0
	.set _ZN7rocprim17ROCPRIM_400000_NS6detail17trampoline_kernelINS0_14default_configENS1_35radix_sort_onesweep_config_selectorIttEEZNS1_34radix_sort_onesweep_global_offsetsIS3_Lb0EN6thrust23THRUST_200600_302600_NS6detail15normal_iteratorINS8_10device_ptrItEEEESD_jNS0_19identity_decomposerEEE10hipError_tT1_T2_PT3_SI_jT4_jjP12ihipStream_tbEUlT_E_NS1_11comp_targetILNS1_3genE3ELNS1_11target_archE908ELNS1_3gpuE7ELNS1_3repE0EEENS1_52radix_sort_onesweep_histogram_config_static_selectorELNS0_4arch9wavefront6targetE1EEEvSG_.numbered_sgpr, 0
	.set _ZN7rocprim17ROCPRIM_400000_NS6detail17trampoline_kernelINS0_14default_configENS1_35radix_sort_onesweep_config_selectorIttEEZNS1_34radix_sort_onesweep_global_offsetsIS3_Lb0EN6thrust23THRUST_200600_302600_NS6detail15normal_iteratorINS8_10device_ptrItEEEESD_jNS0_19identity_decomposerEEE10hipError_tT1_T2_PT3_SI_jT4_jjP12ihipStream_tbEUlT_E_NS1_11comp_targetILNS1_3genE3ELNS1_11target_archE908ELNS1_3gpuE7ELNS1_3repE0EEENS1_52radix_sort_onesweep_histogram_config_static_selectorELNS0_4arch9wavefront6targetE1EEEvSG_.num_named_barrier, 0
	.set _ZN7rocprim17ROCPRIM_400000_NS6detail17trampoline_kernelINS0_14default_configENS1_35radix_sort_onesweep_config_selectorIttEEZNS1_34radix_sort_onesweep_global_offsetsIS3_Lb0EN6thrust23THRUST_200600_302600_NS6detail15normal_iteratorINS8_10device_ptrItEEEESD_jNS0_19identity_decomposerEEE10hipError_tT1_T2_PT3_SI_jT4_jjP12ihipStream_tbEUlT_E_NS1_11comp_targetILNS1_3genE3ELNS1_11target_archE908ELNS1_3gpuE7ELNS1_3repE0EEENS1_52radix_sort_onesweep_histogram_config_static_selectorELNS0_4arch9wavefront6targetE1EEEvSG_.private_seg_size, 0
	.set _ZN7rocprim17ROCPRIM_400000_NS6detail17trampoline_kernelINS0_14default_configENS1_35radix_sort_onesweep_config_selectorIttEEZNS1_34radix_sort_onesweep_global_offsetsIS3_Lb0EN6thrust23THRUST_200600_302600_NS6detail15normal_iteratorINS8_10device_ptrItEEEESD_jNS0_19identity_decomposerEEE10hipError_tT1_T2_PT3_SI_jT4_jjP12ihipStream_tbEUlT_E_NS1_11comp_targetILNS1_3genE3ELNS1_11target_archE908ELNS1_3gpuE7ELNS1_3repE0EEENS1_52radix_sort_onesweep_histogram_config_static_selectorELNS0_4arch9wavefront6targetE1EEEvSG_.uses_vcc, 0
	.set _ZN7rocprim17ROCPRIM_400000_NS6detail17trampoline_kernelINS0_14default_configENS1_35radix_sort_onesweep_config_selectorIttEEZNS1_34radix_sort_onesweep_global_offsetsIS3_Lb0EN6thrust23THRUST_200600_302600_NS6detail15normal_iteratorINS8_10device_ptrItEEEESD_jNS0_19identity_decomposerEEE10hipError_tT1_T2_PT3_SI_jT4_jjP12ihipStream_tbEUlT_E_NS1_11comp_targetILNS1_3genE3ELNS1_11target_archE908ELNS1_3gpuE7ELNS1_3repE0EEENS1_52radix_sort_onesweep_histogram_config_static_selectorELNS0_4arch9wavefront6targetE1EEEvSG_.uses_flat_scratch, 0
	.set _ZN7rocprim17ROCPRIM_400000_NS6detail17trampoline_kernelINS0_14default_configENS1_35radix_sort_onesweep_config_selectorIttEEZNS1_34radix_sort_onesweep_global_offsetsIS3_Lb0EN6thrust23THRUST_200600_302600_NS6detail15normal_iteratorINS8_10device_ptrItEEEESD_jNS0_19identity_decomposerEEE10hipError_tT1_T2_PT3_SI_jT4_jjP12ihipStream_tbEUlT_E_NS1_11comp_targetILNS1_3genE3ELNS1_11target_archE908ELNS1_3gpuE7ELNS1_3repE0EEENS1_52radix_sort_onesweep_histogram_config_static_selectorELNS0_4arch9wavefront6targetE1EEEvSG_.has_dyn_sized_stack, 0
	.set _ZN7rocprim17ROCPRIM_400000_NS6detail17trampoline_kernelINS0_14default_configENS1_35radix_sort_onesweep_config_selectorIttEEZNS1_34radix_sort_onesweep_global_offsetsIS3_Lb0EN6thrust23THRUST_200600_302600_NS6detail15normal_iteratorINS8_10device_ptrItEEEESD_jNS0_19identity_decomposerEEE10hipError_tT1_T2_PT3_SI_jT4_jjP12ihipStream_tbEUlT_E_NS1_11comp_targetILNS1_3genE3ELNS1_11target_archE908ELNS1_3gpuE7ELNS1_3repE0EEENS1_52radix_sort_onesweep_histogram_config_static_selectorELNS0_4arch9wavefront6targetE1EEEvSG_.has_recursion, 0
	.set _ZN7rocprim17ROCPRIM_400000_NS6detail17trampoline_kernelINS0_14default_configENS1_35radix_sort_onesweep_config_selectorIttEEZNS1_34radix_sort_onesweep_global_offsetsIS3_Lb0EN6thrust23THRUST_200600_302600_NS6detail15normal_iteratorINS8_10device_ptrItEEEESD_jNS0_19identity_decomposerEEE10hipError_tT1_T2_PT3_SI_jT4_jjP12ihipStream_tbEUlT_E_NS1_11comp_targetILNS1_3genE3ELNS1_11target_archE908ELNS1_3gpuE7ELNS1_3repE0EEENS1_52radix_sort_onesweep_histogram_config_static_selectorELNS0_4arch9wavefront6targetE1EEEvSG_.has_indirect_call, 0
	.section	.AMDGPU.csdata,"",@progbits
; Kernel info:
; codeLenInByte = 0
; TotalNumSgprs: 6
; NumVgprs: 0
; NumAgprs: 0
; TotalNumVgprs: 0
; ScratchSize: 0
; MemoryBound: 0
; FloatMode: 240
; IeeeMode: 1
; LDSByteSize: 0 bytes/workgroup (compile time only)
; SGPRBlocks: 0
; VGPRBlocks: 0
; NumSGPRsForWavesPerEU: 6
; NumVGPRsForWavesPerEU: 1
; AccumOffset: 4
; Occupancy: 8
; WaveLimiterHint : 0
; COMPUTE_PGM_RSRC2:SCRATCH_EN: 0
; COMPUTE_PGM_RSRC2:USER_SGPR: 2
; COMPUTE_PGM_RSRC2:TRAP_HANDLER: 0
; COMPUTE_PGM_RSRC2:TGID_X_EN: 1
; COMPUTE_PGM_RSRC2:TGID_Y_EN: 0
; COMPUTE_PGM_RSRC2:TGID_Z_EN: 0
; COMPUTE_PGM_RSRC2:TIDIG_COMP_CNT: 0
; COMPUTE_PGM_RSRC3_GFX90A:ACCUM_OFFSET: 0
; COMPUTE_PGM_RSRC3_GFX90A:TG_SPLIT: 0
	.section	.text._ZN7rocprim17ROCPRIM_400000_NS6detail17trampoline_kernelINS0_14default_configENS1_35radix_sort_onesweep_config_selectorIttEEZNS1_34radix_sort_onesweep_global_offsetsIS3_Lb0EN6thrust23THRUST_200600_302600_NS6detail15normal_iteratorINS8_10device_ptrItEEEESD_jNS0_19identity_decomposerEEE10hipError_tT1_T2_PT3_SI_jT4_jjP12ihipStream_tbEUlT_E_NS1_11comp_targetILNS1_3genE10ELNS1_11target_archE1201ELNS1_3gpuE5ELNS1_3repE0EEENS1_52radix_sort_onesweep_histogram_config_static_selectorELNS0_4arch9wavefront6targetE1EEEvSG_,"axG",@progbits,_ZN7rocprim17ROCPRIM_400000_NS6detail17trampoline_kernelINS0_14default_configENS1_35radix_sort_onesweep_config_selectorIttEEZNS1_34radix_sort_onesweep_global_offsetsIS3_Lb0EN6thrust23THRUST_200600_302600_NS6detail15normal_iteratorINS8_10device_ptrItEEEESD_jNS0_19identity_decomposerEEE10hipError_tT1_T2_PT3_SI_jT4_jjP12ihipStream_tbEUlT_E_NS1_11comp_targetILNS1_3genE10ELNS1_11target_archE1201ELNS1_3gpuE5ELNS1_3repE0EEENS1_52radix_sort_onesweep_histogram_config_static_selectorELNS0_4arch9wavefront6targetE1EEEvSG_,comdat
	.protected	_ZN7rocprim17ROCPRIM_400000_NS6detail17trampoline_kernelINS0_14default_configENS1_35radix_sort_onesweep_config_selectorIttEEZNS1_34radix_sort_onesweep_global_offsetsIS3_Lb0EN6thrust23THRUST_200600_302600_NS6detail15normal_iteratorINS8_10device_ptrItEEEESD_jNS0_19identity_decomposerEEE10hipError_tT1_T2_PT3_SI_jT4_jjP12ihipStream_tbEUlT_E_NS1_11comp_targetILNS1_3genE10ELNS1_11target_archE1201ELNS1_3gpuE5ELNS1_3repE0EEENS1_52radix_sort_onesweep_histogram_config_static_selectorELNS0_4arch9wavefront6targetE1EEEvSG_ ; -- Begin function _ZN7rocprim17ROCPRIM_400000_NS6detail17trampoline_kernelINS0_14default_configENS1_35radix_sort_onesweep_config_selectorIttEEZNS1_34radix_sort_onesweep_global_offsetsIS3_Lb0EN6thrust23THRUST_200600_302600_NS6detail15normal_iteratorINS8_10device_ptrItEEEESD_jNS0_19identity_decomposerEEE10hipError_tT1_T2_PT3_SI_jT4_jjP12ihipStream_tbEUlT_E_NS1_11comp_targetILNS1_3genE10ELNS1_11target_archE1201ELNS1_3gpuE5ELNS1_3repE0EEENS1_52radix_sort_onesweep_histogram_config_static_selectorELNS0_4arch9wavefront6targetE1EEEvSG_
	.globl	_ZN7rocprim17ROCPRIM_400000_NS6detail17trampoline_kernelINS0_14default_configENS1_35radix_sort_onesweep_config_selectorIttEEZNS1_34radix_sort_onesweep_global_offsetsIS3_Lb0EN6thrust23THRUST_200600_302600_NS6detail15normal_iteratorINS8_10device_ptrItEEEESD_jNS0_19identity_decomposerEEE10hipError_tT1_T2_PT3_SI_jT4_jjP12ihipStream_tbEUlT_E_NS1_11comp_targetILNS1_3genE10ELNS1_11target_archE1201ELNS1_3gpuE5ELNS1_3repE0EEENS1_52radix_sort_onesweep_histogram_config_static_selectorELNS0_4arch9wavefront6targetE1EEEvSG_
	.p2align	8
	.type	_ZN7rocprim17ROCPRIM_400000_NS6detail17trampoline_kernelINS0_14default_configENS1_35radix_sort_onesweep_config_selectorIttEEZNS1_34radix_sort_onesweep_global_offsetsIS3_Lb0EN6thrust23THRUST_200600_302600_NS6detail15normal_iteratorINS8_10device_ptrItEEEESD_jNS0_19identity_decomposerEEE10hipError_tT1_T2_PT3_SI_jT4_jjP12ihipStream_tbEUlT_E_NS1_11comp_targetILNS1_3genE10ELNS1_11target_archE1201ELNS1_3gpuE5ELNS1_3repE0EEENS1_52radix_sort_onesweep_histogram_config_static_selectorELNS0_4arch9wavefront6targetE1EEEvSG_,@function
_ZN7rocprim17ROCPRIM_400000_NS6detail17trampoline_kernelINS0_14default_configENS1_35radix_sort_onesweep_config_selectorIttEEZNS1_34radix_sort_onesweep_global_offsetsIS3_Lb0EN6thrust23THRUST_200600_302600_NS6detail15normal_iteratorINS8_10device_ptrItEEEESD_jNS0_19identity_decomposerEEE10hipError_tT1_T2_PT3_SI_jT4_jjP12ihipStream_tbEUlT_E_NS1_11comp_targetILNS1_3genE10ELNS1_11target_archE1201ELNS1_3gpuE5ELNS1_3repE0EEENS1_52radix_sort_onesweep_histogram_config_static_selectorELNS0_4arch9wavefront6targetE1EEEvSG_: ; @_ZN7rocprim17ROCPRIM_400000_NS6detail17trampoline_kernelINS0_14default_configENS1_35radix_sort_onesweep_config_selectorIttEEZNS1_34radix_sort_onesweep_global_offsetsIS3_Lb0EN6thrust23THRUST_200600_302600_NS6detail15normal_iteratorINS8_10device_ptrItEEEESD_jNS0_19identity_decomposerEEE10hipError_tT1_T2_PT3_SI_jT4_jjP12ihipStream_tbEUlT_E_NS1_11comp_targetILNS1_3genE10ELNS1_11target_archE1201ELNS1_3gpuE5ELNS1_3repE0EEENS1_52radix_sort_onesweep_histogram_config_static_selectorELNS0_4arch9wavefront6targetE1EEEvSG_
; %bb.0:
	.section	.rodata,"a",@progbits
	.p2align	6, 0x0
	.amdhsa_kernel _ZN7rocprim17ROCPRIM_400000_NS6detail17trampoline_kernelINS0_14default_configENS1_35radix_sort_onesweep_config_selectorIttEEZNS1_34radix_sort_onesweep_global_offsetsIS3_Lb0EN6thrust23THRUST_200600_302600_NS6detail15normal_iteratorINS8_10device_ptrItEEEESD_jNS0_19identity_decomposerEEE10hipError_tT1_T2_PT3_SI_jT4_jjP12ihipStream_tbEUlT_E_NS1_11comp_targetILNS1_3genE10ELNS1_11target_archE1201ELNS1_3gpuE5ELNS1_3repE0EEENS1_52radix_sort_onesweep_histogram_config_static_selectorELNS0_4arch9wavefront6targetE1EEEvSG_
		.amdhsa_group_segment_fixed_size 0
		.amdhsa_private_segment_fixed_size 0
		.amdhsa_kernarg_size 40
		.amdhsa_user_sgpr_count 2
		.amdhsa_user_sgpr_dispatch_ptr 0
		.amdhsa_user_sgpr_queue_ptr 0
		.amdhsa_user_sgpr_kernarg_segment_ptr 1
		.amdhsa_user_sgpr_dispatch_id 0
		.amdhsa_user_sgpr_kernarg_preload_length 0
		.amdhsa_user_sgpr_kernarg_preload_offset 0
		.amdhsa_user_sgpr_private_segment_size 0
		.amdhsa_uses_dynamic_stack 0
		.amdhsa_enable_private_segment 0
		.amdhsa_system_sgpr_workgroup_id_x 1
		.amdhsa_system_sgpr_workgroup_id_y 0
		.amdhsa_system_sgpr_workgroup_id_z 0
		.amdhsa_system_sgpr_workgroup_info 0
		.amdhsa_system_vgpr_workitem_id 0
		.amdhsa_next_free_vgpr 1
		.amdhsa_next_free_sgpr 0
		.amdhsa_accum_offset 4
		.amdhsa_reserve_vcc 0
		.amdhsa_float_round_mode_32 0
		.amdhsa_float_round_mode_16_64 0
		.amdhsa_float_denorm_mode_32 3
		.amdhsa_float_denorm_mode_16_64 3
		.amdhsa_dx10_clamp 1
		.amdhsa_ieee_mode 1
		.amdhsa_fp16_overflow 0
		.amdhsa_tg_split 0
		.amdhsa_exception_fp_ieee_invalid_op 0
		.amdhsa_exception_fp_denorm_src 0
		.amdhsa_exception_fp_ieee_div_zero 0
		.amdhsa_exception_fp_ieee_overflow 0
		.amdhsa_exception_fp_ieee_underflow 0
		.amdhsa_exception_fp_ieee_inexact 0
		.amdhsa_exception_int_div_zero 0
	.end_amdhsa_kernel
	.section	.text._ZN7rocprim17ROCPRIM_400000_NS6detail17trampoline_kernelINS0_14default_configENS1_35radix_sort_onesweep_config_selectorIttEEZNS1_34radix_sort_onesweep_global_offsetsIS3_Lb0EN6thrust23THRUST_200600_302600_NS6detail15normal_iteratorINS8_10device_ptrItEEEESD_jNS0_19identity_decomposerEEE10hipError_tT1_T2_PT3_SI_jT4_jjP12ihipStream_tbEUlT_E_NS1_11comp_targetILNS1_3genE10ELNS1_11target_archE1201ELNS1_3gpuE5ELNS1_3repE0EEENS1_52radix_sort_onesweep_histogram_config_static_selectorELNS0_4arch9wavefront6targetE1EEEvSG_,"axG",@progbits,_ZN7rocprim17ROCPRIM_400000_NS6detail17trampoline_kernelINS0_14default_configENS1_35radix_sort_onesweep_config_selectorIttEEZNS1_34radix_sort_onesweep_global_offsetsIS3_Lb0EN6thrust23THRUST_200600_302600_NS6detail15normal_iteratorINS8_10device_ptrItEEEESD_jNS0_19identity_decomposerEEE10hipError_tT1_T2_PT3_SI_jT4_jjP12ihipStream_tbEUlT_E_NS1_11comp_targetILNS1_3genE10ELNS1_11target_archE1201ELNS1_3gpuE5ELNS1_3repE0EEENS1_52radix_sort_onesweep_histogram_config_static_selectorELNS0_4arch9wavefront6targetE1EEEvSG_,comdat
.Lfunc_end953:
	.size	_ZN7rocprim17ROCPRIM_400000_NS6detail17trampoline_kernelINS0_14default_configENS1_35radix_sort_onesweep_config_selectorIttEEZNS1_34radix_sort_onesweep_global_offsetsIS3_Lb0EN6thrust23THRUST_200600_302600_NS6detail15normal_iteratorINS8_10device_ptrItEEEESD_jNS0_19identity_decomposerEEE10hipError_tT1_T2_PT3_SI_jT4_jjP12ihipStream_tbEUlT_E_NS1_11comp_targetILNS1_3genE10ELNS1_11target_archE1201ELNS1_3gpuE5ELNS1_3repE0EEENS1_52radix_sort_onesweep_histogram_config_static_selectorELNS0_4arch9wavefront6targetE1EEEvSG_, .Lfunc_end953-_ZN7rocprim17ROCPRIM_400000_NS6detail17trampoline_kernelINS0_14default_configENS1_35radix_sort_onesweep_config_selectorIttEEZNS1_34radix_sort_onesweep_global_offsetsIS3_Lb0EN6thrust23THRUST_200600_302600_NS6detail15normal_iteratorINS8_10device_ptrItEEEESD_jNS0_19identity_decomposerEEE10hipError_tT1_T2_PT3_SI_jT4_jjP12ihipStream_tbEUlT_E_NS1_11comp_targetILNS1_3genE10ELNS1_11target_archE1201ELNS1_3gpuE5ELNS1_3repE0EEENS1_52radix_sort_onesweep_histogram_config_static_selectorELNS0_4arch9wavefront6targetE1EEEvSG_
                                        ; -- End function
	.set _ZN7rocprim17ROCPRIM_400000_NS6detail17trampoline_kernelINS0_14default_configENS1_35radix_sort_onesweep_config_selectorIttEEZNS1_34radix_sort_onesweep_global_offsetsIS3_Lb0EN6thrust23THRUST_200600_302600_NS6detail15normal_iteratorINS8_10device_ptrItEEEESD_jNS0_19identity_decomposerEEE10hipError_tT1_T2_PT3_SI_jT4_jjP12ihipStream_tbEUlT_E_NS1_11comp_targetILNS1_3genE10ELNS1_11target_archE1201ELNS1_3gpuE5ELNS1_3repE0EEENS1_52radix_sort_onesweep_histogram_config_static_selectorELNS0_4arch9wavefront6targetE1EEEvSG_.num_vgpr, 0
	.set _ZN7rocprim17ROCPRIM_400000_NS6detail17trampoline_kernelINS0_14default_configENS1_35radix_sort_onesweep_config_selectorIttEEZNS1_34radix_sort_onesweep_global_offsetsIS3_Lb0EN6thrust23THRUST_200600_302600_NS6detail15normal_iteratorINS8_10device_ptrItEEEESD_jNS0_19identity_decomposerEEE10hipError_tT1_T2_PT3_SI_jT4_jjP12ihipStream_tbEUlT_E_NS1_11comp_targetILNS1_3genE10ELNS1_11target_archE1201ELNS1_3gpuE5ELNS1_3repE0EEENS1_52radix_sort_onesweep_histogram_config_static_selectorELNS0_4arch9wavefront6targetE1EEEvSG_.num_agpr, 0
	.set _ZN7rocprim17ROCPRIM_400000_NS6detail17trampoline_kernelINS0_14default_configENS1_35radix_sort_onesweep_config_selectorIttEEZNS1_34radix_sort_onesweep_global_offsetsIS3_Lb0EN6thrust23THRUST_200600_302600_NS6detail15normal_iteratorINS8_10device_ptrItEEEESD_jNS0_19identity_decomposerEEE10hipError_tT1_T2_PT3_SI_jT4_jjP12ihipStream_tbEUlT_E_NS1_11comp_targetILNS1_3genE10ELNS1_11target_archE1201ELNS1_3gpuE5ELNS1_3repE0EEENS1_52radix_sort_onesweep_histogram_config_static_selectorELNS0_4arch9wavefront6targetE1EEEvSG_.numbered_sgpr, 0
	.set _ZN7rocprim17ROCPRIM_400000_NS6detail17trampoline_kernelINS0_14default_configENS1_35radix_sort_onesweep_config_selectorIttEEZNS1_34radix_sort_onesweep_global_offsetsIS3_Lb0EN6thrust23THRUST_200600_302600_NS6detail15normal_iteratorINS8_10device_ptrItEEEESD_jNS0_19identity_decomposerEEE10hipError_tT1_T2_PT3_SI_jT4_jjP12ihipStream_tbEUlT_E_NS1_11comp_targetILNS1_3genE10ELNS1_11target_archE1201ELNS1_3gpuE5ELNS1_3repE0EEENS1_52radix_sort_onesweep_histogram_config_static_selectorELNS0_4arch9wavefront6targetE1EEEvSG_.num_named_barrier, 0
	.set _ZN7rocprim17ROCPRIM_400000_NS6detail17trampoline_kernelINS0_14default_configENS1_35radix_sort_onesweep_config_selectorIttEEZNS1_34radix_sort_onesweep_global_offsetsIS3_Lb0EN6thrust23THRUST_200600_302600_NS6detail15normal_iteratorINS8_10device_ptrItEEEESD_jNS0_19identity_decomposerEEE10hipError_tT1_T2_PT3_SI_jT4_jjP12ihipStream_tbEUlT_E_NS1_11comp_targetILNS1_3genE10ELNS1_11target_archE1201ELNS1_3gpuE5ELNS1_3repE0EEENS1_52radix_sort_onesweep_histogram_config_static_selectorELNS0_4arch9wavefront6targetE1EEEvSG_.private_seg_size, 0
	.set _ZN7rocprim17ROCPRIM_400000_NS6detail17trampoline_kernelINS0_14default_configENS1_35radix_sort_onesweep_config_selectorIttEEZNS1_34radix_sort_onesweep_global_offsetsIS3_Lb0EN6thrust23THRUST_200600_302600_NS6detail15normal_iteratorINS8_10device_ptrItEEEESD_jNS0_19identity_decomposerEEE10hipError_tT1_T2_PT3_SI_jT4_jjP12ihipStream_tbEUlT_E_NS1_11comp_targetILNS1_3genE10ELNS1_11target_archE1201ELNS1_3gpuE5ELNS1_3repE0EEENS1_52radix_sort_onesweep_histogram_config_static_selectorELNS0_4arch9wavefront6targetE1EEEvSG_.uses_vcc, 0
	.set _ZN7rocprim17ROCPRIM_400000_NS6detail17trampoline_kernelINS0_14default_configENS1_35radix_sort_onesweep_config_selectorIttEEZNS1_34radix_sort_onesweep_global_offsetsIS3_Lb0EN6thrust23THRUST_200600_302600_NS6detail15normal_iteratorINS8_10device_ptrItEEEESD_jNS0_19identity_decomposerEEE10hipError_tT1_T2_PT3_SI_jT4_jjP12ihipStream_tbEUlT_E_NS1_11comp_targetILNS1_3genE10ELNS1_11target_archE1201ELNS1_3gpuE5ELNS1_3repE0EEENS1_52radix_sort_onesweep_histogram_config_static_selectorELNS0_4arch9wavefront6targetE1EEEvSG_.uses_flat_scratch, 0
	.set _ZN7rocprim17ROCPRIM_400000_NS6detail17trampoline_kernelINS0_14default_configENS1_35radix_sort_onesweep_config_selectorIttEEZNS1_34radix_sort_onesweep_global_offsetsIS3_Lb0EN6thrust23THRUST_200600_302600_NS6detail15normal_iteratorINS8_10device_ptrItEEEESD_jNS0_19identity_decomposerEEE10hipError_tT1_T2_PT3_SI_jT4_jjP12ihipStream_tbEUlT_E_NS1_11comp_targetILNS1_3genE10ELNS1_11target_archE1201ELNS1_3gpuE5ELNS1_3repE0EEENS1_52radix_sort_onesweep_histogram_config_static_selectorELNS0_4arch9wavefront6targetE1EEEvSG_.has_dyn_sized_stack, 0
	.set _ZN7rocprim17ROCPRIM_400000_NS6detail17trampoline_kernelINS0_14default_configENS1_35radix_sort_onesweep_config_selectorIttEEZNS1_34radix_sort_onesweep_global_offsetsIS3_Lb0EN6thrust23THRUST_200600_302600_NS6detail15normal_iteratorINS8_10device_ptrItEEEESD_jNS0_19identity_decomposerEEE10hipError_tT1_T2_PT3_SI_jT4_jjP12ihipStream_tbEUlT_E_NS1_11comp_targetILNS1_3genE10ELNS1_11target_archE1201ELNS1_3gpuE5ELNS1_3repE0EEENS1_52radix_sort_onesweep_histogram_config_static_selectorELNS0_4arch9wavefront6targetE1EEEvSG_.has_recursion, 0
	.set _ZN7rocprim17ROCPRIM_400000_NS6detail17trampoline_kernelINS0_14default_configENS1_35radix_sort_onesweep_config_selectorIttEEZNS1_34radix_sort_onesweep_global_offsetsIS3_Lb0EN6thrust23THRUST_200600_302600_NS6detail15normal_iteratorINS8_10device_ptrItEEEESD_jNS0_19identity_decomposerEEE10hipError_tT1_T2_PT3_SI_jT4_jjP12ihipStream_tbEUlT_E_NS1_11comp_targetILNS1_3genE10ELNS1_11target_archE1201ELNS1_3gpuE5ELNS1_3repE0EEENS1_52radix_sort_onesweep_histogram_config_static_selectorELNS0_4arch9wavefront6targetE1EEEvSG_.has_indirect_call, 0
	.section	.AMDGPU.csdata,"",@progbits
; Kernel info:
; codeLenInByte = 0
; TotalNumSgprs: 6
; NumVgprs: 0
; NumAgprs: 0
; TotalNumVgprs: 0
; ScratchSize: 0
; MemoryBound: 0
; FloatMode: 240
; IeeeMode: 1
; LDSByteSize: 0 bytes/workgroup (compile time only)
; SGPRBlocks: 0
; VGPRBlocks: 0
; NumSGPRsForWavesPerEU: 6
; NumVGPRsForWavesPerEU: 1
; AccumOffset: 4
; Occupancy: 8
; WaveLimiterHint : 0
; COMPUTE_PGM_RSRC2:SCRATCH_EN: 0
; COMPUTE_PGM_RSRC2:USER_SGPR: 2
; COMPUTE_PGM_RSRC2:TRAP_HANDLER: 0
; COMPUTE_PGM_RSRC2:TGID_X_EN: 1
; COMPUTE_PGM_RSRC2:TGID_Y_EN: 0
; COMPUTE_PGM_RSRC2:TGID_Z_EN: 0
; COMPUTE_PGM_RSRC2:TIDIG_COMP_CNT: 0
; COMPUTE_PGM_RSRC3_GFX90A:ACCUM_OFFSET: 0
; COMPUTE_PGM_RSRC3_GFX90A:TG_SPLIT: 0
	.section	.text._ZN7rocprim17ROCPRIM_400000_NS6detail17trampoline_kernelINS0_14default_configENS1_35radix_sort_onesweep_config_selectorIttEEZNS1_34radix_sort_onesweep_global_offsetsIS3_Lb0EN6thrust23THRUST_200600_302600_NS6detail15normal_iteratorINS8_10device_ptrItEEEESD_jNS0_19identity_decomposerEEE10hipError_tT1_T2_PT3_SI_jT4_jjP12ihipStream_tbEUlT_E_NS1_11comp_targetILNS1_3genE9ELNS1_11target_archE1100ELNS1_3gpuE3ELNS1_3repE0EEENS1_52radix_sort_onesweep_histogram_config_static_selectorELNS0_4arch9wavefront6targetE1EEEvSG_,"axG",@progbits,_ZN7rocprim17ROCPRIM_400000_NS6detail17trampoline_kernelINS0_14default_configENS1_35radix_sort_onesweep_config_selectorIttEEZNS1_34radix_sort_onesweep_global_offsetsIS3_Lb0EN6thrust23THRUST_200600_302600_NS6detail15normal_iteratorINS8_10device_ptrItEEEESD_jNS0_19identity_decomposerEEE10hipError_tT1_T2_PT3_SI_jT4_jjP12ihipStream_tbEUlT_E_NS1_11comp_targetILNS1_3genE9ELNS1_11target_archE1100ELNS1_3gpuE3ELNS1_3repE0EEENS1_52radix_sort_onesweep_histogram_config_static_selectorELNS0_4arch9wavefront6targetE1EEEvSG_,comdat
	.protected	_ZN7rocprim17ROCPRIM_400000_NS6detail17trampoline_kernelINS0_14default_configENS1_35radix_sort_onesweep_config_selectorIttEEZNS1_34radix_sort_onesweep_global_offsetsIS3_Lb0EN6thrust23THRUST_200600_302600_NS6detail15normal_iteratorINS8_10device_ptrItEEEESD_jNS0_19identity_decomposerEEE10hipError_tT1_T2_PT3_SI_jT4_jjP12ihipStream_tbEUlT_E_NS1_11comp_targetILNS1_3genE9ELNS1_11target_archE1100ELNS1_3gpuE3ELNS1_3repE0EEENS1_52radix_sort_onesweep_histogram_config_static_selectorELNS0_4arch9wavefront6targetE1EEEvSG_ ; -- Begin function _ZN7rocprim17ROCPRIM_400000_NS6detail17trampoline_kernelINS0_14default_configENS1_35radix_sort_onesweep_config_selectorIttEEZNS1_34radix_sort_onesweep_global_offsetsIS3_Lb0EN6thrust23THRUST_200600_302600_NS6detail15normal_iteratorINS8_10device_ptrItEEEESD_jNS0_19identity_decomposerEEE10hipError_tT1_T2_PT3_SI_jT4_jjP12ihipStream_tbEUlT_E_NS1_11comp_targetILNS1_3genE9ELNS1_11target_archE1100ELNS1_3gpuE3ELNS1_3repE0EEENS1_52radix_sort_onesweep_histogram_config_static_selectorELNS0_4arch9wavefront6targetE1EEEvSG_
	.globl	_ZN7rocprim17ROCPRIM_400000_NS6detail17trampoline_kernelINS0_14default_configENS1_35radix_sort_onesweep_config_selectorIttEEZNS1_34radix_sort_onesweep_global_offsetsIS3_Lb0EN6thrust23THRUST_200600_302600_NS6detail15normal_iteratorINS8_10device_ptrItEEEESD_jNS0_19identity_decomposerEEE10hipError_tT1_T2_PT3_SI_jT4_jjP12ihipStream_tbEUlT_E_NS1_11comp_targetILNS1_3genE9ELNS1_11target_archE1100ELNS1_3gpuE3ELNS1_3repE0EEENS1_52radix_sort_onesweep_histogram_config_static_selectorELNS0_4arch9wavefront6targetE1EEEvSG_
	.p2align	8
	.type	_ZN7rocprim17ROCPRIM_400000_NS6detail17trampoline_kernelINS0_14default_configENS1_35radix_sort_onesweep_config_selectorIttEEZNS1_34radix_sort_onesweep_global_offsetsIS3_Lb0EN6thrust23THRUST_200600_302600_NS6detail15normal_iteratorINS8_10device_ptrItEEEESD_jNS0_19identity_decomposerEEE10hipError_tT1_T2_PT3_SI_jT4_jjP12ihipStream_tbEUlT_E_NS1_11comp_targetILNS1_3genE9ELNS1_11target_archE1100ELNS1_3gpuE3ELNS1_3repE0EEENS1_52radix_sort_onesweep_histogram_config_static_selectorELNS0_4arch9wavefront6targetE1EEEvSG_,@function
_ZN7rocprim17ROCPRIM_400000_NS6detail17trampoline_kernelINS0_14default_configENS1_35radix_sort_onesweep_config_selectorIttEEZNS1_34radix_sort_onesweep_global_offsetsIS3_Lb0EN6thrust23THRUST_200600_302600_NS6detail15normal_iteratorINS8_10device_ptrItEEEESD_jNS0_19identity_decomposerEEE10hipError_tT1_T2_PT3_SI_jT4_jjP12ihipStream_tbEUlT_E_NS1_11comp_targetILNS1_3genE9ELNS1_11target_archE1100ELNS1_3gpuE3ELNS1_3repE0EEENS1_52radix_sort_onesweep_histogram_config_static_selectorELNS0_4arch9wavefront6targetE1EEEvSG_: ; @_ZN7rocprim17ROCPRIM_400000_NS6detail17trampoline_kernelINS0_14default_configENS1_35radix_sort_onesweep_config_selectorIttEEZNS1_34radix_sort_onesweep_global_offsetsIS3_Lb0EN6thrust23THRUST_200600_302600_NS6detail15normal_iteratorINS8_10device_ptrItEEEESD_jNS0_19identity_decomposerEEE10hipError_tT1_T2_PT3_SI_jT4_jjP12ihipStream_tbEUlT_E_NS1_11comp_targetILNS1_3genE9ELNS1_11target_archE1100ELNS1_3gpuE3ELNS1_3repE0EEENS1_52radix_sort_onesweep_histogram_config_static_selectorELNS0_4arch9wavefront6targetE1EEEvSG_
; %bb.0:
	.section	.rodata,"a",@progbits
	.p2align	6, 0x0
	.amdhsa_kernel _ZN7rocprim17ROCPRIM_400000_NS6detail17trampoline_kernelINS0_14default_configENS1_35radix_sort_onesweep_config_selectorIttEEZNS1_34radix_sort_onesweep_global_offsetsIS3_Lb0EN6thrust23THRUST_200600_302600_NS6detail15normal_iteratorINS8_10device_ptrItEEEESD_jNS0_19identity_decomposerEEE10hipError_tT1_T2_PT3_SI_jT4_jjP12ihipStream_tbEUlT_E_NS1_11comp_targetILNS1_3genE9ELNS1_11target_archE1100ELNS1_3gpuE3ELNS1_3repE0EEENS1_52radix_sort_onesweep_histogram_config_static_selectorELNS0_4arch9wavefront6targetE1EEEvSG_
		.amdhsa_group_segment_fixed_size 0
		.amdhsa_private_segment_fixed_size 0
		.amdhsa_kernarg_size 40
		.amdhsa_user_sgpr_count 2
		.amdhsa_user_sgpr_dispatch_ptr 0
		.amdhsa_user_sgpr_queue_ptr 0
		.amdhsa_user_sgpr_kernarg_segment_ptr 1
		.amdhsa_user_sgpr_dispatch_id 0
		.amdhsa_user_sgpr_kernarg_preload_length 0
		.amdhsa_user_sgpr_kernarg_preload_offset 0
		.amdhsa_user_sgpr_private_segment_size 0
		.amdhsa_uses_dynamic_stack 0
		.amdhsa_enable_private_segment 0
		.amdhsa_system_sgpr_workgroup_id_x 1
		.amdhsa_system_sgpr_workgroup_id_y 0
		.amdhsa_system_sgpr_workgroup_id_z 0
		.amdhsa_system_sgpr_workgroup_info 0
		.amdhsa_system_vgpr_workitem_id 0
		.amdhsa_next_free_vgpr 1
		.amdhsa_next_free_sgpr 0
		.amdhsa_accum_offset 4
		.amdhsa_reserve_vcc 0
		.amdhsa_float_round_mode_32 0
		.amdhsa_float_round_mode_16_64 0
		.amdhsa_float_denorm_mode_32 3
		.amdhsa_float_denorm_mode_16_64 3
		.amdhsa_dx10_clamp 1
		.amdhsa_ieee_mode 1
		.amdhsa_fp16_overflow 0
		.amdhsa_tg_split 0
		.amdhsa_exception_fp_ieee_invalid_op 0
		.amdhsa_exception_fp_denorm_src 0
		.amdhsa_exception_fp_ieee_div_zero 0
		.amdhsa_exception_fp_ieee_overflow 0
		.amdhsa_exception_fp_ieee_underflow 0
		.amdhsa_exception_fp_ieee_inexact 0
		.amdhsa_exception_int_div_zero 0
	.end_amdhsa_kernel
	.section	.text._ZN7rocprim17ROCPRIM_400000_NS6detail17trampoline_kernelINS0_14default_configENS1_35radix_sort_onesweep_config_selectorIttEEZNS1_34radix_sort_onesweep_global_offsetsIS3_Lb0EN6thrust23THRUST_200600_302600_NS6detail15normal_iteratorINS8_10device_ptrItEEEESD_jNS0_19identity_decomposerEEE10hipError_tT1_T2_PT3_SI_jT4_jjP12ihipStream_tbEUlT_E_NS1_11comp_targetILNS1_3genE9ELNS1_11target_archE1100ELNS1_3gpuE3ELNS1_3repE0EEENS1_52radix_sort_onesweep_histogram_config_static_selectorELNS0_4arch9wavefront6targetE1EEEvSG_,"axG",@progbits,_ZN7rocprim17ROCPRIM_400000_NS6detail17trampoline_kernelINS0_14default_configENS1_35radix_sort_onesweep_config_selectorIttEEZNS1_34radix_sort_onesweep_global_offsetsIS3_Lb0EN6thrust23THRUST_200600_302600_NS6detail15normal_iteratorINS8_10device_ptrItEEEESD_jNS0_19identity_decomposerEEE10hipError_tT1_T2_PT3_SI_jT4_jjP12ihipStream_tbEUlT_E_NS1_11comp_targetILNS1_3genE9ELNS1_11target_archE1100ELNS1_3gpuE3ELNS1_3repE0EEENS1_52radix_sort_onesweep_histogram_config_static_selectorELNS0_4arch9wavefront6targetE1EEEvSG_,comdat
.Lfunc_end954:
	.size	_ZN7rocprim17ROCPRIM_400000_NS6detail17trampoline_kernelINS0_14default_configENS1_35radix_sort_onesweep_config_selectorIttEEZNS1_34radix_sort_onesweep_global_offsetsIS3_Lb0EN6thrust23THRUST_200600_302600_NS6detail15normal_iteratorINS8_10device_ptrItEEEESD_jNS0_19identity_decomposerEEE10hipError_tT1_T2_PT3_SI_jT4_jjP12ihipStream_tbEUlT_E_NS1_11comp_targetILNS1_3genE9ELNS1_11target_archE1100ELNS1_3gpuE3ELNS1_3repE0EEENS1_52radix_sort_onesweep_histogram_config_static_selectorELNS0_4arch9wavefront6targetE1EEEvSG_, .Lfunc_end954-_ZN7rocprim17ROCPRIM_400000_NS6detail17trampoline_kernelINS0_14default_configENS1_35radix_sort_onesweep_config_selectorIttEEZNS1_34radix_sort_onesweep_global_offsetsIS3_Lb0EN6thrust23THRUST_200600_302600_NS6detail15normal_iteratorINS8_10device_ptrItEEEESD_jNS0_19identity_decomposerEEE10hipError_tT1_T2_PT3_SI_jT4_jjP12ihipStream_tbEUlT_E_NS1_11comp_targetILNS1_3genE9ELNS1_11target_archE1100ELNS1_3gpuE3ELNS1_3repE0EEENS1_52radix_sort_onesweep_histogram_config_static_selectorELNS0_4arch9wavefront6targetE1EEEvSG_
                                        ; -- End function
	.set _ZN7rocprim17ROCPRIM_400000_NS6detail17trampoline_kernelINS0_14default_configENS1_35radix_sort_onesweep_config_selectorIttEEZNS1_34radix_sort_onesweep_global_offsetsIS3_Lb0EN6thrust23THRUST_200600_302600_NS6detail15normal_iteratorINS8_10device_ptrItEEEESD_jNS0_19identity_decomposerEEE10hipError_tT1_T2_PT3_SI_jT4_jjP12ihipStream_tbEUlT_E_NS1_11comp_targetILNS1_3genE9ELNS1_11target_archE1100ELNS1_3gpuE3ELNS1_3repE0EEENS1_52radix_sort_onesweep_histogram_config_static_selectorELNS0_4arch9wavefront6targetE1EEEvSG_.num_vgpr, 0
	.set _ZN7rocprim17ROCPRIM_400000_NS6detail17trampoline_kernelINS0_14default_configENS1_35radix_sort_onesweep_config_selectorIttEEZNS1_34radix_sort_onesweep_global_offsetsIS3_Lb0EN6thrust23THRUST_200600_302600_NS6detail15normal_iteratorINS8_10device_ptrItEEEESD_jNS0_19identity_decomposerEEE10hipError_tT1_T2_PT3_SI_jT4_jjP12ihipStream_tbEUlT_E_NS1_11comp_targetILNS1_3genE9ELNS1_11target_archE1100ELNS1_3gpuE3ELNS1_3repE0EEENS1_52radix_sort_onesweep_histogram_config_static_selectorELNS0_4arch9wavefront6targetE1EEEvSG_.num_agpr, 0
	.set _ZN7rocprim17ROCPRIM_400000_NS6detail17trampoline_kernelINS0_14default_configENS1_35radix_sort_onesweep_config_selectorIttEEZNS1_34radix_sort_onesweep_global_offsetsIS3_Lb0EN6thrust23THRUST_200600_302600_NS6detail15normal_iteratorINS8_10device_ptrItEEEESD_jNS0_19identity_decomposerEEE10hipError_tT1_T2_PT3_SI_jT4_jjP12ihipStream_tbEUlT_E_NS1_11comp_targetILNS1_3genE9ELNS1_11target_archE1100ELNS1_3gpuE3ELNS1_3repE0EEENS1_52radix_sort_onesweep_histogram_config_static_selectorELNS0_4arch9wavefront6targetE1EEEvSG_.numbered_sgpr, 0
	.set _ZN7rocprim17ROCPRIM_400000_NS6detail17trampoline_kernelINS0_14default_configENS1_35radix_sort_onesweep_config_selectorIttEEZNS1_34radix_sort_onesweep_global_offsetsIS3_Lb0EN6thrust23THRUST_200600_302600_NS6detail15normal_iteratorINS8_10device_ptrItEEEESD_jNS0_19identity_decomposerEEE10hipError_tT1_T2_PT3_SI_jT4_jjP12ihipStream_tbEUlT_E_NS1_11comp_targetILNS1_3genE9ELNS1_11target_archE1100ELNS1_3gpuE3ELNS1_3repE0EEENS1_52radix_sort_onesweep_histogram_config_static_selectorELNS0_4arch9wavefront6targetE1EEEvSG_.num_named_barrier, 0
	.set _ZN7rocprim17ROCPRIM_400000_NS6detail17trampoline_kernelINS0_14default_configENS1_35radix_sort_onesweep_config_selectorIttEEZNS1_34radix_sort_onesweep_global_offsetsIS3_Lb0EN6thrust23THRUST_200600_302600_NS6detail15normal_iteratorINS8_10device_ptrItEEEESD_jNS0_19identity_decomposerEEE10hipError_tT1_T2_PT3_SI_jT4_jjP12ihipStream_tbEUlT_E_NS1_11comp_targetILNS1_3genE9ELNS1_11target_archE1100ELNS1_3gpuE3ELNS1_3repE0EEENS1_52radix_sort_onesweep_histogram_config_static_selectorELNS0_4arch9wavefront6targetE1EEEvSG_.private_seg_size, 0
	.set _ZN7rocprim17ROCPRIM_400000_NS6detail17trampoline_kernelINS0_14default_configENS1_35radix_sort_onesweep_config_selectorIttEEZNS1_34radix_sort_onesweep_global_offsetsIS3_Lb0EN6thrust23THRUST_200600_302600_NS6detail15normal_iteratorINS8_10device_ptrItEEEESD_jNS0_19identity_decomposerEEE10hipError_tT1_T2_PT3_SI_jT4_jjP12ihipStream_tbEUlT_E_NS1_11comp_targetILNS1_3genE9ELNS1_11target_archE1100ELNS1_3gpuE3ELNS1_3repE0EEENS1_52radix_sort_onesweep_histogram_config_static_selectorELNS0_4arch9wavefront6targetE1EEEvSG_.uses_vcc, 0
	.set _ZN7rocprim17ROCPRIM_400000_NS6detail17trampoline_kernelINS0_14default_configENS1_35radix_sort_onesweep_config_selectorIttEEZNS1_34radix_sort_onesweep_global_offsetsIS3_Lb0EN6thrust23THRUST_200600_302600_NS6detail15normal_iteratorINS8_10device_ptrItEEEESD_jNS0_19identity_decomposerEEE10hipError_tT1_T2_PT3_SI_jT4_jjP12ihipStream_tbEUlT_E_NS1_11comp_targetILNS1_3genE9ELNS1_11target_archE1100ELNS1_3gpuE3ELNS1_3repE0EEENS1_52radix_sort_onesweep_histogram_config_static_selectorELNS0_4arch9wavefront6targetE1EEEvSG_.uses_flat_scratch, 0
	.set _ZN7rocprim17ROCPRIM_400000_NS6detail17trampoline_kernelINS0_14default_configENS1_35radix_sort_onesweep_config_selectorIttEEZNS1_34radix_sort_onesweep_global_offsetsIS3_Lb0EN6thrust23THRUST_200600_302600_NS6detail15normal_iteratorINS8_10device_ptrItEEEESD_jNS0_19identity_decomposerEEE10hipError_tT1_T2_PT3_SI_jT4_jjP12ihipStream_tbEUlT_E_NS1_11comp_targetILNS1_3genE9ELNS1_11target_archE1100ELNS1_3gpuE3ELNS1_3repE0EEENS1_52radix_sort_onesweep_histogram_config_static_selectorELNS0_4arch9wavefront6targetE1EEEvSG_.has_dyn_sized_stack, 0
	.set _ZN7rocprim17ROCPRIM_400000_NS6detail17trampoline_kernelINS0_14default_configENS1_35radix_sort_onesweep_config_selectorIttEEZNS1_34radix_sort_onesweep_global_offsetsIS3_Lb0EN6thrust23THRUST_200600_302600_NS6detail15normal_iteratorINS8_10device_ptrItEEEESD_jNS0_19identity_decomposerEEE10hipError_tT1_T2_PT3_SI_jT4_jjP12ihipStream_tbEUlT_E_NS1_11comp_targetILNS1_3genE9ELNS1_11target_archE1100ELNS1_3gpuE3ELNS1_3repE0EEENS1_52radix_sort_onesweep_histogram_config_static_selectorELNS0_4arch9wavefront6targetE1EEEvSG_.has_recursion, 0
	.set _ZN7rocprim17ROCPRIM_400000_NS6detail17trampoline_kernelINS0_14default_configENS1_35radix_sort_onesweep_config_selectorIttEEZNS1_34radix_sort_onesweep_global_offsetsIS3_Lb0EN6thrust23THRUST_200600_302600_NS6detail15normal_iteratorINS8_10device_ptrItEEEESD_jNS0_19identity_decomposerEEE10hipError_tT1_T2_PT3_SI_jT4_jjP12ihipStream_tbEUlT_E_NS1_11comp_targetILNS1_3genE9ELNS1_11target_archE1100ELNS1_3gpuE3ELNS1_3repE0EEENS1_52radix_sort_onesweep_histogram_config_static_selectorELNS0_4arch9wavefront6targetE1EEEvSG_.has_indirect_call, 0
	.section	.AMDGPU.csdata,"",@progbits
; Kernel info:
; codeLenInByte = 0
; TotalNumSgprs: 6
; NumVgprs: 0
; NumAgprs: 0
; TotalNumVgprs: 0
; ScratchSize: 0
; MemoryBound: 0
; FloatMode: 240
; IeeeMode: 1
; LDSByteSize: 0 bytes/workgroup (compile time only)
; SGPRBlocks: 0
; VGPRBlocks: 0
; NumSGPRsForWavesPerEU: 6
; NumVGPRsForWavesPerEU: 1
; AccumOffset: 4
; Occupancy: 8
; WaveLimiterHint : 0
; COMPUTE_PGM_RSRC2:SCRATCH_EN: 0
; COMPUTE_PGM_RSRC2:USER_SGPR: 2
; COMPUTE_PGM_RSRC2:TRAP_HANDLER: 0
; COMPUTE_PGM_RSRC2:TGID_X_EN: 1
; COMPUTE_PGM_RSRC2:TGID_Y_EN: 0
; COMPUTE_PGM_RSRC2:TGID_Z_EN: 0
; COMPUTE_PGM_RSRC2:TIDIG_COMP_CNT: 0
; COMPUTE_PGM_RSRC3_GFX90A:ACCUM_OFFSET: 0
; COMPUTE_PGM_RSRC3_GFX90A:TG_SPLIT: 0
	.section	.text._ZN7rocprim17ROCPRIM_400000_NS6detail17trampoline_kernelINS0_14default_configENS1_35radix_sort_onesweep_config_selectorIttEEZNS1_34radix_sort_onesweep_global_offsetsIS3_Lb0EN6thrust23THRUST_200600_302600_NS6detail15normal_iteratorINS8_10device_ptrItEEEESD_jNS0_19identity_decomposerEEE10hipError_tT1_T2_PT3_SI_jT4_jjP12ihipStream_tbEUlT_E_NS1_11comp_targetILNS1_3genE8ELNS1_11target_archE1030ELNS1_3gpuE2ELNS1_3repE0EEENS1_52radix_sort_onesweep_histogram_config_static_selectorELNS0_4arch9wavefront6targetE1EEEvSG_,"axG",@progbits,_ZN7rocprim17ROCPRIM_400000_NS6detail17trampoline_kernelINS0_14default_configENS1_35radix_sort_onesweep_config_selectorIttEEZNS1_34radix_sort_onesweep_global_offsetsIS3_Lb0EN6thrust23THRUST_200600_302600_NS6detail15normal_iteratorINS8_10device_ptrItEEEESD_jNS0_19identity_decomposerEEE10hipError_tT1_T2_PT3_SI_jT4_jjP12ihipStream_tbEUlT_E_NS1_11comp_targetILNS1_3genE8ELNS1_11target_archE1030ELNS1_3gpuE2ELNS1_3repE0EEENS1_52radix_sort_onesweep_histogram_config_static_selectorELNS0_4arch9wavefront6targetE1EEEvSG_,comdat
	.protected	_ZN7rocprim17ROCPRIM_400000_NS6detail17trampoline_kernelINS0_14default_configENS1_35radix_sort_onesweep_config_selectorIttEEZNS1_34radix_sort_onesweep_global_offsetsIS3_Lb0EN6thrust23THRUST_200600_302600_NS6detail15normal_iteratorINS8_10device_ptrItEEEESD_jNS0_19identity_decomposerEEE10hipError_tT1_T2_PT3_SI_jT4_jjP12ihipStream_tbEUlT_E_NS1_11comp_targetILNS1_3genE8ELNS1_11target_archE1030ELNS1_3gpuE2ELNS1_3repE0EEENS1_52radix_sort_onesweep_histogram_config_static_selectorELNS0_4arch9wavefront6targetE1EEEvSG_ ; -- Begin function _ZN7rocprim17ROCPRIM_400000_NS6detail17trampoline_kernelINS0_14default_configENS1_35radix_sort_onesweep_config_selectorIttEEZNS1_34radix_sort_onesweep_global_offsetsIS3_Lb0EN6thrust23THRUST_200600_302600_NS6detail15normal_iteratorINS8_10device_ptrItEEEESD_jNS0_19identity_decomposerEEE10hipError_tT1_T2_PT3_SI_jT4_jjP12ihipStream_tbEUlT_E_NS1_11comp_targetILNS1_3genE8ELNS1_11target_archE1030ELNS1_3gpuE2ELNS1_3repE0EEENS1_52radix_sort_onesweep_histogram_config_static_selectorELNS0_4arch9wavefront6targetE1EEEvSG_
	.globl	_ZN7rocprim17ROCPRIM_400000_NS6detail17trampoline_kernelINS0_14default_configENS1_35radix_sort_onesweep_config_selectorIttEEZNS1_34radix_sort_onesweep_global_offsetsIS3_Lb0EN6thrust23THRUST_200600_302600_NS6detail15normal_iteratorINS8_10device_ptrItEEEESD_jNS0_19identity_decomposerEEE10hipError_tT1_T2_PT3_SI_jT4_jjP12ihipStream_tbEUlT_E_NS1_11comp_targetILNS1_3genE8ELNS1_11target_archE1030ELNS1_3gpuE2ELNS1_3repE0EEENS1_52radix_sort_onesweep_histogram_config_static_selectorELNS0_4arch9wavefront6targetE1EEEvSG_
	.p2align	8
	.type	_ZN7rocprim17ROCPRIM_400000_NS6detail17trampoline_kernelINS0_14default_configENS1_35radix_sort_onesweep_config_selectorIttEEZNS1_34radix_sort_onesweep_global_offsetsIS3_Lb0EN6thrust23THRUST_200600_302600_NS6detail15normal_iteratorINS8_10device_ptrItEEEESD_jNS0_19identity_decomposerEEE10hipError_tT1_T2_PT3_SI_jT4_jjP12ihipStream_tbEUlT_E_NS1_11comp_targetILNS1_3genE8ELNS1_11target_archE1030ELNS1_3gpuE2ELNS1_3repE0EEENS1_52radix_sort_onesweep_histogram_config_static_selectorELNS0_4arch9wavefront6targetE1EEEvSG_,@function
_ZN7rocprim17ROCPRIM_400000_NS6detail17trampoline_kernelINS0_14default_configENS1_35radix_sort_onesweep_config_selectorIttEEZNS1_34radix_sort_onesweep_global_offsetsIS3_Lb0EN6thrust23THRUST_200600_302600_NS6detail15normal_iteratorINS8_10device_ptrItEEEESD_jNS0_19identity_decomposerEEE10hipError_tT1_T2_PT3_SI_jT4_jjP12ihipStream_tbEUlT_E_NS1_11comp_targetILNS1_3genE8ELNS1_11target_archE1030ELNS1_3gpuE2ELNS1_3repE0EEENS1_52radix_sort_onesweep_histogram_config_static_selectorELNS0_4arch9wavefront6targetE1EEEvSG_: ; @_ZN7rocprim17ROCPRIM_400000_NS6detail17trampoline_kernelINS0_14default_configENS1_35radix_sort_onesweep_config_selectorIttEEZNS1_34radix_sort_onesweep_global_offsetsIS3_Lb0EN6thrust23THRUST_200600_302600_NS6detail15normal_iteratorINS8_10device_ptrItEEEESD_jNS0_19identity_decomposerEEE10hipError_tT1_T2_PT3_SI_jT4_jjP12ihipStream_tbEUlT_E_NS1_11comp_targetILNS1_3genE8ELNS1_11target_archE1030ELNS1_3gpuE2ELNS1_3repE0EEENS1_52radix_sort_onesweep_histogram_config_static_selectorELNS0_4arch9wavefront6targetE1EEEvSG_
; %bb.0:
	.section	.rodata,"a",@progbits
	.p2align	6, 0x0
	.amdhsa_kernel _ZN7rocprim17ROCPRIM_400000_NS6detail17trampoline_kernelINS0_14default_configENS1_35radix_sort_onesweep_config_selectorIttEEZNS1_34radix_sort_onesweep_global_offsetsIS3_Lb0EN6thrust23THRUST_200600_302600_NS6detail15normal_iteratorINS8_10device_ptrItEEEESD_jNS0_19identity_decomposerEEE10hipError_tT1_T2_PT3_SI_jT4_jjP12ihipStream_tbEUlT_E_NS1_11comp_targetILNS1_3genE8ELNS1_11target_archE1030ELNS1_3gpuE2ELNS1_3repE0EEENS1_52radix_sort_onesweep_histogram_config_static_selectorELNS0_4arch9wavefront6targetE1EEEvSG_
		.amdhsa_group_segment_fixed_size 0
		.amdhsa_private_segment_fixed_size 0
		.amdhsa_kernarg_size 40
		.amdhsa_user_sgpr_count 2
		.amdhsa_user_sgpr_dispatch_ptr 0
		.amdhsa_user_sgpr_queue_ptr 0
		.amdhsa_user_sgpr_kernarg_segment_ptr 1
		.amdhsa_user_sgpr_dispatch_id 0
		.amdhsa_user_sgpr_kernarg_preload_length 0
		.amdhsa_user_sgpr_kernarg_preload_offset 0
		.amdhsa_user_sgpr_private_segment_size 0
		.amdhsa_uses_dynamic_stack 0
		.amdhsa_enable_private_segment 0
		.amdhsa_system_sgpr_workgroup_id_x 1
		.amdhsa_system_sgpr_workgroup_id_y 0
		.amdhsa_system_sgpr_workgroup_id_z 0
		.amdhsa_system_sgpr_workgroup_info 0
		.amdhsa_system_vgpr_workitem_id 0
		.amdhsa_next_free_vgpr 1
		.amdhsa_next_free_sgpr 0
		.amdhsa_accum_offset 4
		.amdhsa_reserve_vcc 0
		.amdhsa_float_round_mode_32 0
		.amdhsa_float_round_mode_16_64 0
		.amdhsa_float_denorm_mode_32 3
		.amdhsa_float_denorm_mode_16_64 3
		.amdhsa_dx10_clamp 1
		.amdhsa_ieee_mode 1
		.amdhsa_fp16_overflow 0
		.amdhsa_tg_split 0
		.amdhsa_exception_fp_ieee_invalid_op 0
		.amdhsa_exception_fp_denorm_src 0
		.amdhsa_exception_fp_ieee_div_zero 0
		.amdhsa_exception_fp_ieee_overflow 0
		.amdhsa_exception_fp_ieee_underflow 0
		.amdhsa_exception_fp_ieee_inexact 0
		.amdhsa_exception_int_div_zero 0
	.end_amdhsa_kernel
	.section	.text._ZN7rocprim17ROCPRIM_400000_NS6detail17trampoline_kernelINS0_14default_configENS1_35radix_sort_onesweep_config_selectorIttEEZNS1_34radix_sort_onesweep_global_offsetsIS3_Lb0EN6thrust23THRUST_200600_302600_NS6detail15normal_iteratorINS8_10device_ptrItEEEESD_jNS0_19identity_decomposerEEE10hipError_tT1_T2_PT3_SI_jT4_jjP12ihipStream_tbEUlT_E_NS1_11comp_targetILNS1_3genE8ELNS1_11target_archE1030ELNS1_3gpuE2ELNS1_3repE0EEENS1_52radix_sort_onesweep_histogram_config_static_selectorELNS0_4arch9wavefront6targetE1EEEvSG_,"axG",@progbits,_ZN7rocprim17ROCPRIM_400000_NS6detail17trampoline_kernelINS0_14default_configENS1_35radix_sort_onesweep_config_selectorIttEEZNS1_34radix_sort_onesweep_global_offsetsIS3_Lb0EN6thrust23THRUST_200600_302600_NS6detail15normal_iteratorINS8_10device_ptrItEEEESD_jNS0_19identity_decomposerEEE10hipError_tT1_T2_PT3_SI_jT4_jjP12ihipStream_tbEUlT_E_NS1_11comp_targetILNS1_3genE8ELNS1_11target_archE1030ELNS1_3gpuE2ELNS1_3repE0EEENS1_52radix_sort_onesweep_histogram_config_static_selectorELNS0_4arch9wavefront6targetE1EEEvSG_,comdat
.Lfunc_end955:
	.size	_ZN7rocprim17ROCPRIM_400000_NS6detail17trampoline_kernelINS0_14default_configENS1_35radix_sort_onesweep_config_selectorIttEEZNS1_34radix_sort_onesweep_global_offsetsIS3_Lb0EN6thrust23THRUST_200600_302600_NS6detail15normal_iteratorINS8_10device_ptrItEEEESD_jNS0_19identity_decomposerEEE10hipError_tT1_T2_PT3_SI_jT4_jjP12ihipStream_tbEUlT_E_NS1_11comp_targetILNS1_3genE8ELNS1_11target_archE1030ELNS1_3gpuE2ELNS1_3repE0EEENS1_52radix_sort_onesweep_histogram_config_static_selectorELNS0_4arch9wavefront6targetE1EEEvSG_, .Lfunc_end955-_ZN7rocprim17ROCPRIM_400000_NS6detail17trampoline_kernelINS0_14default_configENS1_35radix_sort_onesweep_config_selectorIttEEZNS1_34radix_sort_onesweep_global_offsetsIS3_Lb0EN6thrust23THRUST_200600_302600_NS6detail15normal_iteratorINS8_10device_ptrItEEEESD_jNS0_19identity_decomposerEEE10hipError_tT1_T2_PT3_SI_jT4_jjP12ihipStream_tbEUlT_E_NS1_11comp_targetILNS1_3genE8ELNS1_11target_archE1030ELNS1_3gpuE2ELNS1_3repE0EEENS1_52radix_sort_onesweep_histogram_config_static_selectorELNS0_4arch9wavefront6targetE1EEEvSG_
                                        ; -- End function
	.set _ZN7rocprim17ROCPRIM_400000_NS6detail17trampoline_kernelINS0_14default_configENS1_35radix_sort_onesweep_config_selectorIttEEZNS1_34radix_sort_onesweep_global_offsetsIS3_Lb0EN6thrust23THRUST_200600_302600_NS6detail15normal_iteratorINS8_10device_ptrItEEEESD_jNS0_19identity_decomposerEEE10hipError_tT1_T2_PT3_SI_jT4_jjP12ihipStream_tbEUlT_E_NS1_11comp_targetILNS1_3genE8ELNS1_11target_archE1030ELNS1_3gpuE2ELNS1_3repE0EEENS1_52radix_sort_onesweep_histogram_config_static_selectorELNS0_4arch9wavefront6targetE1EEEvSG_.num_vgpr, 0
	.set _ZN7rocprim17ROCPRIM_400000_NS6detail17trampoline_kernelINS0_14default_configENS1_35radix_sort_onesweep_config_selectorIttEEZNS1_34radix_sort_onesweep_global_offsetsIS3_Lb0EN6thrust23THRUST_200600_302600_NS6detail15normal_iteratorINS8_10device_ptrItEEEESD_jNS0_19identity_decomposerEEE10hipError_tT1_T2_PT3_SI_jT4_jjP12ihipStream_tbEUlT_E_NS1_11comp_targetILNS1_3genE8ELNS1_11target_archE1030ELNS1_3gpuE2ELNS1_3repE0EEENS1_52radix_sort_onesweep_histogram_config_static_selectorELNS0_4arch9wavefront6targetE1EEEvSG_.num_agpr, 0
	.set _ZN7rocprim17ROCPRIM_400000_NS6detail17trampoline_kernelINS0_14default_configENS1_35radix_sort_onesweep_config_selectorIttEEZNS1_34radix_sort_onesweep_global_offsetsIS3_Lb0EN6thrust23THRUST_200600_302600_NS6detail15normal_iteratorINS8_10device_ptrItEEEESD_jNS0_19identity_decomposerEEE10hipError_tT1_T2_PT3_SI_jT4_jjP12ihipStream_tbEUlT_E_NS1_11comp_targetILNS1_3genE8ELNS1_11target_archE1030ELNS1_3gpuE2ELNS1_3repE0EEENS1_52radix_sort_onesweep_histogram_config_static_selectorELNS0_4arch9wavefront6targetE1EEEvSG_.numbered_sgpr, 0
	.set _ZN7rocprim17ROCPRIM_400000_NS6detail17trampoline_kernelINS0_14default_configENS1_35radix_sort_onesweep_config_selectorIttEEZNS1_34radix_sort_onesweep_global_offsetsIS3_Lb0EN6thrust23THRUST_200600_302600_NS6detail15normal_iteratorINS8_10device_ptrItEEEESD_jNS0_19identity_decomposerEEE10hipError_tT1_T2_PT3_SI_jT4_jjP12ihipStream_tbEUlT_E_NS1_11comp_targetILNS1_3genE8ELNS1_11target_archE1030ELNS1_3gpuE2ELNS1_3repE0EEENS1_52radix_sort_onesweep_histogram_config_static_selectorELNS0_4arch9wavefront6targetE1EEEvSG_.num_named_barrier, 0
	.set _ZN7rocprim17ROCPRIM_400000_NS6detail17trampoline_kernelINS0_14default_configENS1_35radix_sort_onesweep_config_selectorIttEEZNS1_34radix_sort_onesweep_global_offsetsIS3_Lb0EN6thrust23THRUST_200600_302600_NS6detail15normal_iteratorINS8_10device_ptrItEEEESD_jNS0_19identity_decomposerEEE10hipError_tT1_T2_PT3_SI_jT4_jjP12ihipStream_tbEUlT_E_NS1_11comp_targetILNS1_3genE8ELNS1_11target_archE1030ELNS1_3gpuE2ELNS1_3repE0EEENS1_52radix_sort_onesweep_histogram_config_static_selectorELNS0_4arch9wavefront6targetE1EEEvSG_.private_seg_size, 0
	.set _ZN7rocprim17ROCPRIM_400000_NS6detail17trampoline_kernelINS0_14default_configENS1_35radix_sort_onesweep_config_selectorIttEEZNS1_34radix_sort_onesweep_global_offsetsIS3_Lb0EN6thrust23THRUST_200600_302600_NS6detail15normal_iteratorINS8_10device_ptrItEEEESD_jNS0_19identity_decomposerEEE10hipError_tT1_T2_PT3_SI_jT4_jjP12ihipStream_tbEUlT_E_NS1_11comp_targetILNS1_3genE8ELNS1_11target_archE1030ELNS1_3gpuE2ELNS1_3repE0EEENS1_52radix_sort_onesweep_histogram_config_static_selectorELNS0_4arch9wavefront6targetE1EEEvSG_.uses_vcc, 0
	.set _ZN7rocprim17ROCPRIM_400000_NS6detail17trampoline_kernelINS0_14default_configENS1_35radix_sort_onesweep_config_selectorIttEEZNS1_34radix_sort_onesweep_global_offsetsIS3_Lb0EN6thrust23THRUST_200600_302600_NS6detail15normal_iteratorINS8_10device_ptrItEEEESD_jNS0_19identity_decomposerEEE10hipError_tT1_T2_PT3_SI_jT4_jjP12ihipStream_tbEUlT_E_NS1_11comp_targetILNS1_3genE8ELNS1_11target_archE1030ELNS1_3gpuE2ELNS1_3repE0EEENS1_52radix_sort_onesweep_histogram_config_static_selectorELNS0_4arch9wavefront6targetE1EEEvSG_.uses_flat_scratch, 0
	.set _ZN7rocprim17ROCPRIM_400000_NS6detail17trampoline_kernelINS0_14default_configENS1_35radix_sort_onesweep_config_selectorIttEEZNS1_34radix_sort_onesweep_global_offsetsIS3_Lb0EN6thrust23THRUST_200600_302600_NS6detail15normal_iteratorINS8_10device_ptrItEEEESD_jNS0_19identity_decomposerEEE10hipError_tT1_T2_PT3_SI_jT4_jjP12ihipStream_tbEUlT_E_NS1_11comp_targetILNS1_3genE8ELNS1_11target_archE1030ELNS1_3gpuE2ELNS1_3repE0EEENS1_52radix_sort_onesweep_histogram_config_static_selectorELNS0_4arch9wavefront6targetE1EEEvSG_.has_dyn_sized_stack, 0
	.set _ZN7rocprim17ROCPRIM_400000_NS6detail17trampoline_kernelINS0_14default_configENS1_35radix_sort_onesweep_config_selectorIttEEZNS1_34radix_sort_onesweep_global_offsetsIS3_Lb0EN6thrust23THRUST_200600_302600_NS6detail15normal_iteratorINS8_10device_ptrItEEEESD_jNS0_19identity_decomposerEEE10hipError_tT1_T2_PT3_SI_jT4_jjP12ihipStream_tbEUlT_E_NS1_11comp_targetILNS1_3genE8ELNS1_11target_archE1030ELNS1_3gpuE2ELNS1_3repE0EEENS1_52radix_sort_onesweep_histogram_config_static_selectorELNS0_4arch9wavefront6targetE1EEEvSG_.has_recursion, 0
	.set _ZN7rocprim17ROCPRIM_400000_NS6detail17trampoline_kernelINS0_14default_configENS1_35radix_sort_onesweep_config_selectorIttEEZNS1_34radix_sort_onesweep_global_offsetsIS3_Lb0EN6thrust23THRUST_200600_302600_NS6detail15normal_iteratorINS8_10device_ptrItEEEESD_jNS0_19identity_decomposerEEE10hipError_tT1_T2_PT3_SI_jT4_jjP12ihipStream_tbEUlT_E_NS1_11comp_targetILNS1_3genE8ELNS1_11target_archE1030ELNS1_3gpuE2ELNS1_3repE0EEENS1_52radix_sort_onesweep_histogram_config_static_selectorELNS0_4arch9wavefront6targetE1EEEvSG_.has_indirect_call, 0
	.section	.AMDGPU.csdata,"",@progbits
; Kernel info:
; codeLenInByte = 0
; TotalNumSgprs: 6
; NumVgprs: 0
; NumAgprs: 0
; TotalNumVgprs: 0
; ScratchSize: 0
; MemoryBound: 0
; FloatMode: 240
; IeeeMode: 1
; LDSByteSize: 0 bytes/workgroup (compile time only)
; SGPRBlocks: 0
; VGPRBlocks: 0
; NumSGPRsForWavesPerEU: 6
; NumVGPRsForWavesPerEU: 1
; AccumOffset: 4
; Occupancy: 8
; WaveLimiterHint : 0
; COMPUTE_PGM_RSRC2:SCRATCH_EN: 0
; COMPUTE_PGM_RSRC2:USER_SGPR: 2
; COMPUTE_PGM_RSRC2:TRAP_HANDLER: 0
; COMPUTE_PGM_RSRC2:TGID_X_EN: 1
; COMPUTE_PGM_RSRC2:TGID_Y_EN: 0
; COMPUTE_PGM_RSRC2:TGID_Z_EN: 0
; COMPUTE_PGM_RSRC2:TIDIG_COMP_CNT: 0
; COMPUTE_PGM_RSRC3_GFX90A:ACCUM_OFFSET: 0
; COMPUTE_PGM_RSRC3_GFX90A:TG_SPLIT: 0
	.section	.text._ZN7rocprim17ROCPRIM_400000_NS6detail17trampoline_kernelINS0_14default_configENS1_35radix_sort_onesweep_config_selectorIttEEZNS1_34radix_sort_onesweep_global_offsetsIS3_Lb0EN6thrust23THRUST_200600_302600_NS6detail15normal_iteratorINS8_10device_ptrItEEEESD_jNS0_19identity_decomposerEEE10hipError_tT1_T2_PT3_SI_jT4_jjP12ihipStream_tbEUlT_E0_NS1_11comp_targetILNS1_3genE0ELNS1_11target_archE4294967295ELNS1_3gpuE0ELNS1_3repE0EEENS1_52radix_sort_onesweep_histogram_config_static_selectorELNS0_4arch9wavefront6targetE1EEEvSG_,"axG",@progbits,_ZN7rocprim17ROCPRIM_400000_NS6detail17trampoline_kernelINS0_14default_configENS1_35radix_sort_onesweep_config_selectorIttEEZNS1_34radix_sort_onesweep_global_offsetsIS3_Lb0EN6thrust23THRUST_200600_302600_NS6detail15normal_iteratorINS8_10device_ptrItEEEESD_jNS0_19identity_decomposerEEE10hipError_tT1_T2_PT3_SI_jT4_jjP12ihipStream_tbEUlT_E0_NS1_11comp_targetILNS1_3genE0ELNS1_11target_archE4294967295ELNS1_3gpuE0ELNS1_3repE0EEENS1_52radix_sort_onesweep_histogram_config_static_selectorELNS0_4arch9wavefront6targetE1EEEvSG_,comdat
	.protected	_ZN7rocprim17ROCPRIM_400000_NS6detail17trampoline_kernelINS0_14default_configENS1_35radix_sort_onesweep_config_selectorIttEEZNS1_34radix_sort_onesweep_global_offsetsIS3_Lb0EN6thrust23THRUST_200600_302600_NS6detail15normal_iteratorINS8_10device_ptrItEEEESD_jNS0_19identity_decomposerEEE10hipError_tT1_T2_PT3_SI_jT4_jjP12ihipStream_tbEUlT_E0_NS1_11comp_targetILNS1_3genE0ELNS1_11target_archE4294967295ELNS1_3gpuE0ELNS1_3repE0EEENS1_52radix_sort_onesweep_histogram_config_static_selectorELNS0_4arch9wavefront6targetE1EEEvSG_ ; -- Begin function _ZN7rocprim17ROCPRIM_400000_NS6detail17trampoline_kernelINS0_14default_configENS1_35radix_sort_onesweep_config_selectorIttEEZNS1_34radix_sort_onesweep_global_offsetsIS3_Lb0EN6thrust23THRUST_200600_302600_NS6detail15normal_iteratorINS8_10device_ptrItEEEESD_jNS0_19identity_decomposerEEE10hipError_tT1_T2_PT3_SI_jT4_jjP12ihipStream_tbEUlT_E0_NS1_11comp_targetILNS1_3genE0ELNS1_11target_archE4294967295ELNS1_3gpuE0ELNS1_3repE0EEENS1_52radix_sort_onesweep_histogram_config_static_selectorELNS0_4arch9wavefront6targetE1EEEvSG_
	.globl	_ZN7rocprim17ROCPRIM_400000_NS6detail17trampoline_kernelINS0_14default_configENS1_35radix_sort_onesweep_config_selectorIttEEZNS1_34radix_sort_onesweep_global_offsetsIS3_Lb0EN6thrust23THRUST_200600_302600_NS6detail15normal_iteratorINS8_10device_ptrItEEEESD_jNS0_19identity_decomposerEEE10hipError_tT1_T2_PT3_SI_jT4_jjP12ihipStream_tbEUlT_E0_NS1_11comp_targetILNS1_3genE0ELNS1_11target_archE4294967295ELNS1_3gpuE0ELNS1_3repE0EEENS1_52radix_sort_onesweep_histogram_config_static_selectorELNS0_4arch9wavefront6targetE1EEEvSG_
	.p2align	8
	.type	_ZN7rocprim17ROCPRIM_400000_NS6detail17trampoline_kernelINS0_14default_configENS1_35radix_sort_onesweep_config_selectorIttEEZNS1_34radix_sort_onesweep_global_offsetsIS3_Lb0EN6thrust23THRUST_200600_302600_NS6detail15normal_iteratorINS8_10device_ptrItEEEESD_jNS0_19identity_decomposerEEE10hipError_tT1_T2_PT3_SI_jT4_jjP12ihipStream_tbEUlT_E0_NS1_11comp_targetILNS1_3genE0ELNS1_11target_archE4294967295ELNS1_3gpuE0ELNS1_3repE0EEENS1_52radix_sort_onesweep_histogram_config_static_selectorELNS0_4arch9wavefront6targetE1EEEvSG_,@function
_ZN7rocprim17ROCPRIM_400000_NS6detail17trampoline_kernelINS0_14default_configENS1_35radix_sort_onesweep_config_selectorIttEEZNS1_34radix_sort_onesweep_global_offsetsIS3_Lb0EN6thrust23THRUST_200600_302600_NS6detail15normal_iteratorINS8_10device_ptrItEEEESD_jNS0_19identity_decomposerEEE10hipError_tT1_T2_PT3_SI_jT4_jjP12ihipStream_tbEUlT_E0_NS1_11comp_targetILNS1_3genE0ELNS1_11target_archE4294967295ELNS1_3gpuE0ELNS1_3repE0EEENS1_52radix_sort_onesweep_histogram_config_static_selectorELNS0_4arch9wavefront6targetE1EEEvSG_: ; @_ZN7rocprim17ROCPRIM_400000_NS6detail17trampoline_kernelINS0_14default_configENS1_35radix_sort_onesweep_config_selectorIttEEZNS1_34radix_sort_onesweep_global_offsetsIS3_Lb0EN6thrust23THRUST_200600_302600_NS6detail15normal_iteratorINS8_10device_ptrItEEEESD_jNS0_19identity_decomposerEEE10hipError_tT1_T2_PT3_SI_jT4_jjP12ihipStream_tbEUlT_E0_NS1_11comp_targetILNS1_3genE0ELNS1_11target_archE4294967295ELNS1_3gpuE0ELNS1_3repE0EEENS1_52radix_sort_onesweep_histogram_config_static_selectorELNS0_4arch9wavefront6targetE1EEEvSG_
; %bb.0:
	.section	.rodata,"a",@progbits
	.p2align	6, 0x0
	.amdhsa_kernel _ZN7rocprim17ROCPRIM_400000_NS6detail17trampoline_kernelINS0_14default_configENS1_35radix_sort_onesweep_config_selectorIttEEZNS1_34radix_sort_onesweep_global_offsetsIS3_Lb0EN6thrust23THRUST_200600_302600_NS6detail15normal_iteratorINS8_10device_ptrItEEEESD_jNS0_19identity_decomposerEEE10hipError_tT1_T2_PT3_SI_jT4_jjP12ihipStream_tbEUlT_E0_NS1_11comp_targetILNS1_3genE0ELNS1_11target_archE4294967295ELNS1_3gpuE0ELNS1_3repE0EEENS1_52radix_sort_onesweep_histogram_config_static_selectorELNS0_4arch9wavefront6targetE1EEEvSG_
		.amdhsa_group_segment_fixed_size 0
		.amdhsa_private_segment_fixed_size 0
		.amdhsa_kernarg_size 8
		.amdhsa_user_sgpr_count 2
		.amdhsa_user_sgpr_dispatch_ptr 0
		.amdhsa_user_sgpr_queue_ptr 0
		.amdhsa_user_sgpr_kernarg_segment_ptr 1
		.amdhsa_user_sgpr_dispatch_id 0
		.amdhsa_user_sgpr_kernarg_preload_length 0
		.amdhsa_user_sgpr_kernarg_preload_offset 0
		.amdhsa_user_sgpr_private_segment_size 0
		.amdhsa_uses_dynamic_stack 0
		.amdhsa_enable_private_segment 0
		.amdhsa_system_sgpr_workgroup_id_x 1
		.amdhsa_system_sgpr_workgroup_id_y 0
		.amdhsa_system_sgpr_workgroup_id_z 0
		.amdhsa_system_sgpr_workgroup_info 0
		.amdhsa_system_vgpr_workitem_id 0
		.amdhsa_next_free_vgpr 1
		.amdhsa_next_free_sgpr 0
		.amdhsa_accum_offset 4
		.amdhsa_reserve_vcc 0
		.amdhsa_float_round_mode_32 0
		.amdhsa_float_round_mode_16_64 0
		.amdhsa_float_denorm_mode_32 3
		.amdhsa_float_denorm_mode_16_64 3
		.amdhsa_dx10_clamp 1
		.amdhsa_ieee_mode 1
		.amdhsa_fp16_overflow 0
		.amdhsa_tg_split 0
		.amdhsa_exception_fp_ieee_invalid_op 0
		.amdhsa_exception_fp_denorm_src 0
		.amdhsa_exception_fp_ieee_div_zero 0
		.amdhsa_exception_fp_ieee_overflow 0
		.amdhsa_exception_fp_ieee_underflow 0
		.amdhsa_exception_fp_ieee_inexact 0
		.amdhsa_exception_int_div_zero 0
	.end_amdhsa_kernel
	.section	.text._ZN7rocprim17ROCPRIM_400000_NS6detail17trampoline_kernelINS0_14default_configENS1_35radix_sort_onesweep_config_selectorIttEEZNS1_34radix_sort_onesweep_global_offsetsIS3_Lb0EN6thrust23THRUST_200600_302600_NS6detail15normal_iteratorINS8_10device_ptrItEEEESD_jNS0_19identity_decomposerEEE10hipError_tT1_T2_PT3_SI_jT4_jjP12ihipStream_tbEUlT_E0_NS1_11comp_targetILNS1_3genE0ELNS1_11target_archE4294967295ELNS1_3gpuE0ELNS1_3repE0EEENS1_52radix_sort_onesweep_histogram_config_static_selectorELNS0_4arch9wavefront6targetE1EEEvSG_,"axG",@progbits,_ZN7rocprim17ROCPRIM_400000_NS6detail17trampoline_kernelINS0_14default_configENS1_35radix_sort_onesweep_config_selectorIttEEZNS1_34radix_sort_onesweep_global_offsetsIS3_Lb0EN6thrust23THRUST_200600_302600_NS6detail15normal_iteratorINS8_10device_ptrItEEEESD_jNS0_19identity_decomposerEEE10hipError_tT1_T2_PT3_SI_jT4_jjP12ihipStream_tbEUlT_E0_NS1_11comp_targetILNS1_3genE0ELNS1_11target_archE4294967295ELNS1_3gpuE0ELNS1_3repE0EEENS1_52radix_sort_onesweep_histogram_config_static_selectorELNS0_4arch9wavefront6targetE1EEEvSG_,comdat
.Lfunc_end956:
	.size	_ZN7rocprim17ROCPRIM_400000_NS6detail17trampoline_kernelINS0_14default_configENS1_35radix_sort_onesweep_config_selectorIttEEZNS1_34radix_sort_onesweep_global_offsetsIS3_Lb0EN6thrust23THRUST_200600_302600_NS6detail15normal_iteratorINS8_10device_ptrItEEEESD_jNS0_19identity_decomposerEEE10hipError_tT1_T2_PT3_SI_jT4_jjP12ihipStream_tbEUlT_E0_NS1_11comp_targetILNS1_3genE0ELNS1_11target_archE4294967295ELNS1_3gpuE0ELNS1_3repE0EEENS1_52radix_sort_onesweep_histogram_config_static_selectorELNS0_4arch9wavefront6targetE1EEEvSG_, .Lfunc_end956-_ZN7rocprim17ROCPRIM_400000_NS6detail17trampoline_kernelINS0_14default_configENS1_35radix_sort_onesweep_config_selectorIttEEZNS1_34radix_sort_onesweep_global_offsetsIS3_Lb0EN6thrust23THRUST_200600_302600_NS6detail15normal_iteratorINS8_10device_ptrItEEEESD_jNS0_19identity_decomposerEEE10hipError_tT1_T2_PT3_SI_jT4_jjP12ihipStream_tbEUlT_E0_NS1_11comp_targetILNS1_3genE0ELNS1_11target_archE4294967295ELNS1_3gpuE0ELNS1_3repE0EEENS1_52radix_sort_onesweep_histogram_config_static_selectorELNS0_4arch9wavefront6targetE1EEEvSG_
                                        ; -- End function
	.set _ZN7rocprim17ROCPRIM_400000_NS6detail17trampoline_kernelINS0_14default_configENS1_35radix_sort_onesweep_config_selectorIttEEZNS1_34radix_sort_onesweep_global_offsetsIS3_Lb0EN6thrust23THRUST_200600_302600_NS6detail15normal_iteratorINS8_10device_ptrItEEEESD_jNS0_19identity_decomposerEEE10hipError_tT1_T2_PT3_SI_jT4_jjP12ihipStream_tbEUlT_E0_NS1_11comp_targetILNS1_3genE0ELNS1_11target_archE4294967295ELNS1_3gpuE0ELNS1_3repE0EEENS1_52radix_sort_onesweep_histogram_config_static_selectorELNS0_4arch9wavefront6targetE1EEEvSG_.num_vgpr, 0
	.set _ZN7rocprim17ROCPRIM_400000_NS6detail17trampoline_kernelINS0_14default_configENS1_35radix_sort_onesweep_config_selectorIttEEZNS1_34radix_sort_onesweep_global_offsetsIS3_Lb0EN6thrust23THRUST_200600_302600_NS6detail15normal_iteratorINS8_10device_ptrItEEEESD_jNS0_19identity_decomposerEEE10hipError_tT1_T2_PT3_SI_jT4_jjP12ihipStream_tbEUlT_E0_NS1_11comp_targetILNS1_3genE0ELNS1_11target_archE4294967295ELNS1_3gpuE0ELNS1_3repE0EEENS1_52radix_sort_onesweep_histogram_config_static_selectorELNS0_4arch9wavefront6targetE1EEEvSG_.num_agpr, 0
	.set _ZN7rocprim17ROCPRIM_400000_NS6detail17trampoline_kernelINS0_14default_configENS1_35radix_sort_onesweep_config_selectorIttEEZNS1_34radix_sort_onesweep_global_offsetsIS3_Lb0EN6thrust23THRUST_200600_302600_NS6detail15normal_iteratorINS8_10device_ptrItEEEESD_jNS0_19identity_decomposerEEE10hipError_tT1_T2_PT3_SI_jT4_jjP12ihipStream_tbEUlT_E0_NS1_11comp_targetILNS1_3genE0ELNS1_11target_archE4294967295ELNS1_3gpuE0ELNS1_3repE0EEENS1_52radix_sort_onesweep_histogram_config_static_selectorELNS0_4arch9wavefront6targetE1EEEvSG_.numbered_sgpr, 0
	.set _ZN7rocprim17ROCPRIM_400000_NS6detail17trampoline_kernelINS0_14default_configENS1_35radix_sort_onesweep_config_selectorIttEEZNS1_34radix_sort_onesweep_global_offsetsIS3_Lb0EN6thrust23THRUST_200600_302600_NS6detail15normal_iteratorINS8_10device_ptrItEEEESD_jNS0_19identity_decomposerEEE10hipError_tT1_T2_PT3_SI_jT4_jjP12ihipStream_tbEUlT_E0_NS1_11comp_targetILNS1_3genE0ELNS1_11target_archE4294967295ELNS1_3gpuE0ELNS1_3repE0EEENS1_52radix_sort_onesweep_histogram_config_static_selectorELNS0_4arch9wavefront6targetE1EEEvSG_.num_named_barrier, 0
	.set _ZN7rocprim17ROCPRIM_400000_NS6detail17trampoline_kernelINS0_14default_configENS1_35radix_sort_onesweep_config_selectorIttEEZNS1_34radix_sort_onesweep_global_offsetsIS3_Lb0EN6thrust23THRUST_200600_302600_NS6detail15normal_iteratorINS8_10device_ptrItEEEESD_jNS0_19identity_decomposerEEE10hipError_tT1_T2_PT3_SI_jT4_jjP12ihipStream_tbEUlT_E0_NS1_11comp_targetILNS1_3genE0ELNS1_11target_archE4294967295ELNS1_3gpuE0ELNS1_3repE0EEENS1_52radix_sort_onesweep_histogram_config_static_selectorELNS0_4arch9wavefront6targetE1EEEvSG_.private_seg_size, 0
	.set _ZN7rocprim17ROCPRIM_400000_NS6detail17trampoline_kernelINS0_14default_configENS1_35radix_sort_onesweep_config_selectorIttEEZNS1_34radix_sort_onesweep_global_offsetsIS3_Lb0EN6thrust23THRUST_200600_302600_NS6detail15normal_iteratorINS8_10device_ptrItEEEESD_jNS0_19identity_decomposerEEE10hipError_tT1_T2_PT3_SI_jT4_jjP12ihipStream_tbEUlT_E0_NS1_11comp_targetILNS1_3genE0ELNS1_11target_archE4294967295ELNS1_3gpuE0ELNS1_3repE0EEENS1_52radix_sort_onesweep_histogram_config_static_selectorELNS0_4arch9wavefront6targetE1EEEvSG_.uses_vcc, 0
	.set _ZN7rocprim17ROCPRIM_400000_NS6detail17trampoline_kernelINS0_14default_configENS1_35radix_sort_onesweep_config_selectorIttEEZNS1_34radix_sort_onesweep_global_offsetsIS3_Lb0EN6thrust23THRUST_200600_302600_NS6detail15normal_iteratorINS8_10device_ptrItEEEESD_jNS0_19identity_decomposerEEE10hipError_tT1_T2_PT3_SI_jT4_jjP12ihipStream_tbEUlT_E0_NS1_11comp_targetILNS1_3genE0ELNS1_11target_archE4294967295ELNS1_3gpuE0ELNS1_3repE0EEENS1_52radix_sort_onesweep_histogram_config_static_selectorELNS0_4arch9wavefront6targetE1EEEvSG_.uses_flat_scratch, 0
	.set _ZN7rocprim17ROCPRIM_400000_NS6detail17trampoline_kernelINS0_14default_configENS1_35radix_sort_onesweep_config_selectorIttEEZNS1_34radix_sort_onesweep_global_offsetsIS3_Lb0EN6thrust23THRUST_200600_302600_NS6detail15normal_iteratorINS8_10device_ptrItEEEESD_jNS0_19identity_decomposerEEE10hipError_tT1_T2_PT3_SI_jT4_jjP12ihipStream_tbEUlT_E0_NS1_11comp_targetILNS1_3genE0ELNS1_11target_archE4294967295ELNS1_3gpuE0ELNS1_3repE0EEENS1_52radix_sort_onesweep_histogram_config_static_selectorELNS0_4arch9wavefront6targetE1EEEvSG_.has_dyn_sized_stack, 0
	.set _ZN7rocprim17ROCPRIM_400000_NS6detail17trampoline_kernelINS0_14default_configENS1_35radix_sort_onesweep_config_selectorIttEEZNS1_34radix_sort_onesweep_global_offsetsIS3_Lb0EN6thrust23THRUST_200600_302600_NS6detail15normal_iteratorINS8_10device_ptrItEEEESD_jNS0_19identity_decomposerEEE10hipError_tT1_T2_PT3_SI_jT4_jjP12ihipStream_tbEUlT_E0_NS1_11comp_targetILNS1_3genE0ELNS1_11target_archE4294967295ELNS1_3gpuE0ELNS1_3repE0EEENS1_52radix_sort_onesweep_histogram_config_static_selectorELNS0_4arch9wavefront6targetE1EEEvSG_.has_recursion, 0
	.set _ZN7rocprim17ROCPRIM_400000_NS6detail17trampoline_kernelINS0_14default_configENS1_35radix_sort_onesweep_config_selectorIttEEZNS1_34radix_sort_onesweep_global_offsetsIS3_Lb0EN6thrust23THRUST_200600_302600_NS6detail15normal_iteratorINS8_10device_ptrItEEEESD_jNS0_19identity_decomposerEEE10hipError_tT1_T2_PT3_SI_jT4_jjP12ihipStream_tbEUlT_E0_NS1_11comp_targetILNS1_3genE0ELNS1_11target_archE4294967295ELNS1_3gpuE0ELNS1_3repE0EEENS1_52radix_sort_onesweep_histogram_config_static_selectorELNS0_4arch9wavefront6targetE1EEEvSG_.has_indirect_call, 0
	.section	.AMDGPU.csdata,"",@progbits
; Kernel info:
; codeLenInByte = 0
; TotalNumSgprs: 6
; NumVgprs: 0
; NumAgprs: 0
; TotalNumVgprs: 0
; ScratchSize: 0
; MemoryBound: 0
; FloatMode: 240
; IeeeMode: 1
; LDSByteSize: 0 bytes/workgroup (compile time only)
; SGPRBlocks: 0
; VGPRBlocks: 0
; NumSGPRsForWavesPerEU: 6
; NumVGPRsForWavesPerEU: 1
; AccumOffset: 4
; Occupancy: 8
; WaveLimiterHint : 0
; COMPUTE_PGM_RSRC2:SCRATCH_EN: 0
; COMPUTE_PGM_RSRC2:USER_SGPR: 2
; COMPUTE_PGM_RSRC2:TRAP_HANDLER: 0
; COMPUTE_PGM_RSRC2:TGID_X_EN: 1
; COMPUTE_PGM_RSRC2:TGID_Y_EN: 0
; COMPUTE_PGM_RSRC2:TGID_Z_EN: 0
; COMPUTE_PGM_RSRC2:TIDIG_COMP_CNT: 0
; COMPUTE_PGM_RSRC3_GFX90A:ACCUM_OFFSET: 0
; COMPUTE_PGM_RSRC3_GFX90A:TG_SPLIT: 0
	.section	.text._ZN7rocprim17ROCPRIM_400000_NS6detail17trampoline_kernelINS0_14default_configENS1_35radix_sort_onesweep_config_selectorIttEEZNS1_34radix_sort_onesweep_global_offsetsIS3_Lb0EN6thrust23THRUST_200600_302600_NS6detail15normal_iteratorINS8_10device_ptrItEEEESD_jNS0_19identity_decomposerEEE10hipError_tT1_T2_PT3_SI_jT4_jjP12ihipStream_tbEUlT_E0_NS1_11comp_targetILNS1_3genE6ELNS1_11target_archE950ELNS1_3gpuE13ELNS1_3repE0EEENS1_52radix_sort_onesweep_histogram_config_static_selectorELNS0_4arch9wavefront6targetE1EEEvSG_,"axG",@progbits,_ZN7rocprim17ROCPRIM_400000_NS6detail17trampoline_kernelINS0_14default_configENS1_35radix_sort_onesweep_config_selectorIttEEZNS1_34radix_sort_onesweep_global_offsetsIS3_Lb0EN6thrust23THRUST_200600_302600_NS6detail15normal_iteratorINS8_10device_ptrItEEEESD_jNS0_19identity_decomposerEEE10hipError_tT1_T2_PT3_SI_jT4_jjP12ihipStream_tbEUlT_E0_NS1_11comp_targetILNS1_3genE6ELNS1_11target_archE950ELNS1_3gpuE13ELNS1_3repE0EEENS1_52radix_sort_onesweep_histogram_config_static_selectorELNS0_4arch9wavefront6targetE1EEEvSG_,comdat
	.protected	_ZN7rocprim17ROCPRIM_400000_NS6detail17trampoline_kernelINS0_14default_configENS1_35radix_sort_onesweep_config_selectorIttEEZNS1_34radix_sort_onesweep_global_offsetsIS3_Lb0EN6thrust23THRUST_200600_302600_NS6detail15normal_iteratorINS8_10device_ptrItEEEESD_jNS0_19identity_decomposerEEE10hipError_tT1_T2_PT3_SI_jT4_jjP12ihipStream_tbEUlT_E0_NS1_11comp_targetILNS1_3genE6ELNS1_11target_archE950ELNS1_3gpuE13ELNS1_3repE0EEENS1_52radix_sort_onesweep_histogram_config_static_selectorELNS0_4arch9wavefront6targetE1EEEvSG_ ; -- Begin function _ZN7rocprim17ROCPRIM_400000_NS6detail17trampoline_kernelINS0_14default_configENS1_35radix_sort_onesweep_config_selectorIttEEZNS1_34radix_sort_onesweep_global_offsetsIS3_Lb0EN6thrust23THRUST_200600_302600_NS6detail15normal_iteratorINS8_10device_ptrItEEEESD_jNS0_19identity_decomposerEEE10hipError_tT1_T2_PT3_SI_jT4_jjP12ihipStream_tbEUlT_E0_NS1_11comp_targetILNS1_3genE6ELNS1_11target_archE950ELNS1_3gpuE13ELNS1_3repE0EEENS1_52radix_sort_onesweep_histogram_config_static_selectorELNS0_4arch9wavefront6targetE1EEEvSG_
	.globl	_ZN7rocprim17ROCPRIM_400000_NS6detail17trampoline_kernelINS0_14default_configENS1_35radix_sort_onesweep_config_selectorIttEEZNS1_34radix_sort_onesweep_global_offsetsIS3_Lb0EN6thrust23THRUST_200600_302600_NS6detail15normal_iteratorINS8_10device_ptrItEEEESD_jNS0_19identity_decomposerEEE10hipError_tT1_T2_PT3_SI_jT4_jjP12ihipStream_tbEUlT_E0_NS1_11comp_targetILNS1_3genE6ELNS1_11target_archE950ELNS1_3gpuE13ELNS1_3repE0EEENS1_52radix_sort_onesweep_histogram_config_static_selectorELNS0_4arch9wavefront6targetE1EEEvSG_
	.p2align	8
	.type	_ZN7rocprim17ROCPRIM_400000_NS6detail17trampoline_kernelINS0_14default_configENS1_35radix_sort_onesweep_config_selectorIttEEZNS1_34radix_sort_onesweep_global_offsetsIS3_Lb0EN6thrust23THRUST_200600_302600_NS6detail15normal_iteratorINS8_10device_ptrItEEEESD_jNS0_19identity_decomposerEEE10hipError_tT1_T2_PT3_SI_jT4_jjP12ihipStream_tbEUlT_E0_NS1_11comp_targetILNS1_3genE6ELNS1_11target_archE950ELNS1_3gpuE13ELNS1_3repE0EEENS1_52radix_sort_onesweep_histogram_config_static_selectorELNS0_4arch9wavefront6targetE1EEEvSG_,@function
_ZN7rocprim17ROCPRIM_400000_NS6detail17trampoline_kernelINS0_14default_configENS1_35radix_sort_onesweep_config_selectorIttEEZNS1_34radix_sort_onesweep_global_offsetsIS3_Lb0EN6thrust23THRUST_200600_302600_NS6detail15normal_iteratorINS8_10device_ptrItEEEESD_jNS0_19identity_decomposerEEE10hipError_tT1_T2_PT3_SI_jT4_jjP12ihipStream_tbEUlT_E0_NS1_11comp_targetILNS1_3genE6ELNS1_11target_archE950ELNS1_3gpuE13ELNS1_3repE0EEENS1_52radix_sort_onesweep_histogram_config_static_selectorELNS0_4arch9wavefront6targetE1EEEvSG_: ; @_ZN7rocprim17ROCPRIM_400000_NS6detail17trampoline_kernelINS0_14default_configENS1_35radix_sort_onesweep_config_selectorIttEEZNS1_34radix_sort_onesweep_global_offsetsIS3_Lb0EN6thrust23THRUST_200600_302600_NS6detail15normal_iteratorINS8_10device_ptrItEEEESD_jNS0_19identity_decomposerEEE10hipError_tT1_T2_PT3_SI_jT4_jjP12ihipStream_tbEUlT_E0_NS1_11comp_targetILNS1_3genE6ELNS1_11target_archE950ELNS1_3gpuE13ELNS1_3repE0EEENS1_52radix_sort_onesweep_histogram_config_static_selectorELNS0_4arch9wavefront6targetE1EEEvSG_
; %bb.0:
	s_load_dwordx2 s[0:1], s[0:1], 0x0
	s_lshl_b32 s2, s2, 6
	s_mov_b32 s3, 0
	s_lshl_b64 s[2:3], s[2:3], 2
	v_cmp_gt_u32_e32 vcc, 64, v0
	s_waitcnt lgkmcnt(0)
	s_add_u32 s4, s0, s2
	s_addc_u32 s5, s1, s3
	v_cmp_lt_u32_e64 s[0:1], 63, v0
	v_lshlrev_b32_e32 v1, 2, v0
                                        ; implicit-def: $vgpr3
	s_and_saveexec_b64 s[2:3], vcc
	s_cbranch_execz .LBB957_2
; %bb.1:
	global_load_dword v3, v1, s[4:5]
.LBB957_2:
	s_or_b64 exec, exec, s[2:3]
	v_mbcnt_lo_u32_b32 v2, -1, 0
	v_mbcnt_hi_u32_b32 v2, -1, v2
	v_and_b32_e32 v4, 15, v2
	s_waitcnt vmcnt(0)
	v_mov_b32_dpp v5, v3 row_shr:1 row_mask:0xf bank_mask:0xf
	v_cmp_ne_u32_e64 s[2:3], 0, v4
	s_nop 1
	v_cndmask_b32_e64 v5, 0, v5, s[2:3]
	v_add_u32_e32 v3, v5, v3
	v_cmp_lt_u32_e64 s[2:3], 1, v4
	s_nop 0
	v_mov_b32_dpp v5, v3 row_shr:2 row_mask:0xf bank_mask:0xf
	v_cndmask_b32_e64 v5, 0, v5, s[2:3]
	v_add_u32_e32 v3, v3, v5
	v_cmp_lt_u32_e64 s[2:3], 3, v4
	s_nop 0
	v_mov_b32_dpp v5, v3 row_shr:4 row_mask:0xf bank_mask:0xf
	;; [unrolled: 5-line block ×3, first 2 shown]
	v_cndmask_b32_e64 v4, 0, v5, s[2:3]
	v_add_u32_e32 v3, v3, v4
	v_bfe_i32 v5, v2, 4, 1
	v_cmp_lt_u32_e64 s[2:3], 31, v2
	v_mov_b32_dpp v4, v3 row_bcast:15 row_mask:0xf bank_mask:0xf
	v_and_b32_e32 v4, v5, v4
	v_add_u32_e32 v3, v3, v4
	v_or_b32_e32 v5, 63, v0
	s_nop 0
	v_mov_b32_dpp v4, v3 row_bcast:31 row_mask:0xf bank_mask:0xf
	v_cndmask_b32_e64 v4, 0, v4, s[2:3]
	v_add_u32_e32 v3, v3, v4
	v_lshrrev_b32_e32 v4, 6, v0
	v_cmp_eq_u32_e64 s[2:3], v0, v5
	s_and_saveexec_b64 s[6:7], s[2:3]
; %bb.3:
	v_lshlrev_b32_e32 v5, 2, v4
	ds_write_b32 v5, v3
; %bb.4:
	s_or_b64 exec, exec, s[6:7]
	v_cmp_gt_u32_e64 s[2:3], 8, v0
	s_waitcnt lgkmcnt(0)
	s_barrier
	s_and_saveexec_b64 s[6:7], s[2:3]
	s_cbranch_execz .LBB957_6
; %bb.5:
	ds_read_b32 v0, v1
	v_and_b32_e32 v5, 7, v2
	v_cmp_ne_u32_e64 s[2:3], 0, v5
	s_waitcnt lgkmcnt(0)
	v_mov_b32_dpp v6, v0 row_shr:1 row_mask:0xf bank_mask:0xf
	v_cndmask_b32_e64 v6, 0, v6, s[2:3]
	v_add_u32_e32 v0, v6, v0
	v_cmp_lt_u32_e64 s[2:3], 1, v5
	s_nop 0
	v_mov_b32_dpp v6, v0 row_shr:2 row_mask:0xf bank_mask:0xf
	v_cndmask_b32_e64 v6, 0, v6, s[2:3]
	v_add_u32_e32 v0, v0, v6
	v_cmp_lt_u32_e64 s[2:3], 3, v5
	s_nop 0
	v_mov_b32_dpp v6, v0 row_shr:4 row_mask:0xf bank_mask:0xf
	v_cndmask_b32_e64 v5, 0, v6, s[2:3]
	v_add_u32_e32 v0, v0, v5
	ds_write_b32 v1, v0
.LBB957_6:
	s_or_b64 exec, exec, s[6:7]
	v_mov_b32_e32 v0, 0
	s_waitcnt lgkmcnt(0)
	s_barrier
	s_and_saveexec_b64 s[2:3], s[0:1]
; %bb.7:
	v_lshl_add_u32 v0, v4, 2, -4
	ds_read_b32 v0, v0
; %bb.8:
	s_or_b64 exec, exec, s[2:3]
	v_add_u32_e32 v4, -1, v2
	v_and_b32_e32 v5, 64, v2
	v_cmp_lt_i32_e64 s[0:1], v4, v5
	s_waitcnt lgkmcnt(0)
	v_add_u32_e32 v3, v0, v3
	v_cndmask_b32_e64 v4, v4, v2, s[0:1]
	v_lshlrev_b32_e32 v4, 2, v4
	ds_bpermute_b32 v3, v4, v3
	s_and_saveexec_b64 s[0:1], vcc
	s_cbranch_execz .LBB957_10
; %bb.9:
	v_cmp_eq_u32_e32 vcc, 0, v2
	s_waitcnt lgkmcnt(0)
	s_nop 0
	v_cndmask_b32_e32 v0, v3, v0, vcc
	global_store_dword v1, v0, s[4:5]
.LBB957_10:
	s_endpgm
	.section	.rodata,"a",@progbits
	.p2align	6, 0x0
	.amdhsa_kernel _ZN7rocprim17ROCPRIM_400000_NS6detail17trampoline_kernelINS0_14default_configENS1_35radix_sort_onesweep_config_selectorIttEEZNS1_34radix_sort_onesweep_global_offsetsIS3_Lb0EN6thrust23THRUST_200600_302600_NS6detail15normal_iteratorINS8_10device_ptrItEEEESD_jNS0_19identity_decomposerEEE10hipError_tT1_T2_PT3_SI_jT4_jjP12ihipStream_tbEUlT_E0_NS1_11comp_targetILNS1_3genE6ELNS1_11target_archE950ELNS1_3gpuE13ELNS1_3repE0EEENS1_52radix_sort_onesweep_histogram_config_static_selectorELNS0_4arch9wavefront6targetE1EEEvSG_
		.amdhsa_group_segment_fixed_size 32
		.amdhsa_private_segment_fixed_size 0
		.amdhsa_kernarg_size 8
		.amdhsa_user_sgpr_count 2
		.amdhsa_user_sgpr_dispatch_ptr 0
		.amdhsa_user_sgpr_queue_ptr 0
		.amdhsa_user_sgpr_kernarg_segment_ptr 1
		.amdhsa_user_sgpr_dispatch_id 0
		.amdhsa_user_sgpr_kernarg_preload_length 0
		.amdhsa_user_sgpr_kernarg_preload_offset 0
		.amdhsa_user_sgpr_private_segment_size 0
		.amdhsa_uses_dynamic_stack 0
		.amdhsa_enable_private_segment 0
		.amdhsa_system_sgpr_workgroup_id_x 1
		.amdhsa_system_sgpr_workgroup_id_y 0
		.amdhsa_system_sgpr_workgroup_id_z 0
		.amdhsa_system_sgpr_workgroup_info 0
		.amdhsa_system_vgpr_workitem_id 0
		.amdhsa_next_free_vgpr 7
		.amdhsa_next_free_sgpr 8
		.amdhsa_accum_offset 8
		.amdhsa_reserve_vcc 1
		.amdhsa_float_round_mode_32 0
		.amdhsa_float_round_mode_16_64 0
		.amdhsa_float_denorm_mode_32 3
		.amdhsa_float_denorm_mode_16_64 3
		.amdhsa_dx10_clamp 1
		.amdhsa_ieee_mode 1
		.amdhsa_fp16_overflow 0
		.amdhsa_tg_split 0
		.amdhsa_exception_fp_ieee_invalid_op 0
		.amdhsa_exception_fp_denorm_src 0
		.amdhsa_exception_fp_ieee_div_zero 0
		.amdhsa_exception_fp_ieee_overflow 0
		.amdhsa_exception_fp_ieee_underflow 0
		.amdhsa_exception_fp_ieee_inexact 0
		.amdhsa_exception_int_div_zero 0
	.end_amdhsa_kernel
	.section	.text._ZN7rocprim17ROCPRIM_400000_NS6detail17trampoline_kernelINS0_14default_configENS1_35radix_sort_onesweep_config_selectorIttEEZNS1_34radix_sort_onesweep_global_offsetsIS3_Lb0EN6thrust23THRUST_200600_302600_NS6detail15normal_iteratorINS8_10device_ptrItEEEESD_jNS0_19identity_decomposerEEE10hipError_tT1_T2_PT3_SI_jT4_jjP12ihipStream_tbEUlT_E0_NS1_11comp_targetILNS1_3genE6ELNS1_11target_archE950ELNS1_3gpuE13ELNS1_3repE0EEENS1_52radix_sort_onesweep_histogram_config_static_selectorELNS0_4arch9wavefront6targetE1EEEvSG_,"axG",@progbits,_ZN7rocprim17ROCPRIM_400000_NS6detail17trampoline_kernelINS0_14default_configENS1_35radix_sort_onesweep_config_selectorIttEEZNS1_34radix_sort_onesweep_global_offsetsIS3_Lb0EN6thrust23THRUST_200600_302600_NS6detail15normal_iteratorINS8_10device_ptrItEEEESD_jNS0_19identity_decomposerEEE10hipError_tT1_T2_PT3_SI_jT4_jjP12ihipStream_tbEUlT_E0_NS1_11comp_targetILNS1_3genE6ELNS1_11target_archE950ELNS1_3gpuE13ELNS1_3repE0EEENS1_52radix_sort_onesweep_histogram_config_static_selectorELNS0_4arch9wavefront6targetE1EEEvSG_,comdat
.Lfunc_end957:
	.size	_ZN7rocprim17ROCPRIM_400000_NS6detail17trampoline_kernelINS0_14default_configENS1_35radix_sort_onesweep_config_selectorIttEEZNS1_34radix_sort_onesweep_global_offsetsIS3_Lb0EN6thrust23THRUST_200600_302600_NS6detail15normal_iteratorINS8_10device_ptrItEEEESD_jNS0_19identity_decomposerEEE10hipError_tT1_T2_PT3_SI_jT4_jjP12ihipStream_tbEUlT_E0_NS1_11comp_targetILNS1_3genE6ELNS1_11target_archE950ELNS1_3gpuE13ELNS1_3repE0EEENS1_52radix_sort_onesweep_histogram_config_static_selectorELNS0_4arch9wavefront6targetE1EEEvSG_, .Lfunc_end957-_ZN7rocprim17ROCPRIM_400000_NS6detail17trampoline_kernelINS0_14default_configENS1_35radix_sort_onesweep_config_selectorIttEEZNS1_34radix_sort_onesweep_global_offsetsIS3_Lb0EN6thrust23THRUST_200600_302600_NS6detail15normal_iteratorINS8_10device_ptrItEEEESD_jNS0_19identity_decomposerEEE10hipError_tT1_T2_PT3_SI_jT4_jjP12ihipStream_tbEUlT_E0_NS1_11comp_targetILNS1_3genE6ELNS1_11target_archE950ELNS1_3gpuE13ELNS1_3repE0EEENS1_52radix_sort_onesweep_histogram_config_static_selectorELNS0_4arch9wavefront6targetE1EEEvSG_
                                        ; -- End function
	.set _ZN7rocprim17ROCPRIM_400000_NS6detail17trampoline_kernelINS0_14default_configENS1_35radix_sort_onesweep_config_selectorIttEEZNS1_34radix_sort_onesweep_global_offsetsIS3_Lb0EN6thrust23THRUST_200600_302600_NS6detail15normal_iteratorINS8_10device_ptrItEEEESD_jNS0_19identity_decomposerEEE10hipError_tT1_T2_PT3_SI_jT4_jjP12ihipStream_tbEUlT_E0_NS1_11comp_targetILNS1_3genE6ELNS1_11target_archE950ELNS1_3gpuE13ELNS1_3repE0EEENS1_52radix_sort_onesweep_histogram_config_static_selectorELNS0_4arch9wavefront6targetE1EEEvSG_.num_vgpr, 7
	.set _ZN7rocprim17ROCPRIM_400000_NS6detail17trampoline_kernelINS0_14default_configENS1_35radix_sort_onesweep_config_selectorIttEEZNS1_34radix_sort_onesweep_global_offsetsIS3_Lb0EN6thrust23THRUST_200600_302600_NS6detail15normal_iteratorINS8_10device_ptrItEEEESD_jNS0_19identity_decomposerEEE10hipError_tT1_T2_PT3_SI_jT4_jjP12ihipStream_tbEUlT_E0_NS1_11comp_targetILNS1_3genE6ELNS1_11target_archE950ELNS1_3gpuE13ELNS1_3repE0EEENS1_52radix_sort_onesweep_histogram_config_static_selectorELNS0_4arch9wavefront6targetE1EEEvSG_.num_agpr, 0
	.set _ZN7rocprim17ROCPRIM_400000_NS6detail17trampoline_kernelINS0_14default_configENS1_35radix_sort_onesweep_config_selectorIttEEZNS1_34radix_sort_onesweep_global_offsetsIS3_Lb0EN6thrust23THRUST_200600_302600_NS6detail15normal_iteratorINS8_10device_ptrItEEEESD_jNS0_19identity_decomposerEEE10hipError_tT1_T2_PT3_SI_jT4_jjP12ihipStream_tbEUlT_E0_NS1_11comp_targetILNS1_3genE6ELNS1_11target_archE950ELNS1_3gpuE13ELNS1_3repE0EEENS1_52radix_sort_onesweep_histogram_config_static_selectorELNS0_4arch9wavefront6targetE1EEEvSG_.numbered_sgpr, 8
	.set _ZN7rocprim17ROCPRIM_400000_NS6detail17trampoline_kernelINS0_14default_configENS1_35radix_sort_onesweep_config_selectorIttEEZNS1_34radix_sort_onesweep_global_offsetsIS3_Lb0EN6thrust23THRUST_200600_302600_NS6detail15normal_iteratorINS8_10device_ptrItEEEESD_jNS0_19identity_decomposerEEE10hipError_tT1_T2_PT3_SI_jT4_jjP12ihipStream_tbEUlT_E0_NS1_11comp_targetILNS1_3genE6ELNS1_11target_archE950ELNS1_3gpuE13ELNS1_3repE0EEENS1_52radix_sort_onesweep_histogram_config_static_selectorELNS0_4arch9wavefront6targetE1EEEvSG_.num_named_barrier, 0
	.set _ZN7rocprim17ROCPRIM_400000_NS6detail17trampoline_kernelINS0_14default_configENS1_35radix_sort_onesweep_config_selectorIttEEZNS1_34radix_sort_onesweep_global_offsetsIS3_Lb0EN6thrust23THRUST_200600_302600_NS6detail15normal_iteratorINS8_10device_ptrItEEEESD_jNS0_19identity_decomposerEEE10hipError_tT1_T2_PT3_SI_jT4_jjP12ihipStream_tbEUlT_E0_NS1_11comp_targetILNS1_3genE6ELNS1_11target_archE950ELNS1_3gpuE13ELNS1_3repE0EEENS1_52radix_sort_onesweep_histogram_config_static_selectorELNS0_4arch9wavefront6targetE1EEEvSG_.private_seg_size, 0
	.set _ZN7rocprim17ROCPRIM_400000_NS6detail17trampoline_kernelINS0_14default_configENS1_35radix_sort_onesweep_config_selectorIttEEZNS1_34radix_sort_onesweep_global_offsetsIS3_Lb0EN6thrust23THRUST_200600_302600_NS6detail15normal_iteratorINS8_10device_ptrItEEEESD_jNS0_19identity_decomposerEEE10hipError_tT1_T2_PT3_SI_jT4_jjP12ihipStream_tbEUlT_E0_NS1_11comp_targetILNS1_3genE6ELNS1_11target_archE950ELNS1_3gpuE13ELNS1_3repE0EEENS1_52radix_sort_onesweep_histogram_config_static_selectorELNS0_4arch9wavefront6targetE1EEEvSG_.uses_vcc, 1
	.set _ZN7rocprim17ROCPRIM_400000_NS6detail17trampoline_kernelINS0_14default_configENS1_35radix_sort_onesweep_config_selectorIttEEZNS1_34radix_sort_onesweep_global_offsetsIS3_Lb0EN6thrust23THRUST_200600_302600_NS6detail15normal_iteratorINS8_10device_ptrItEEEESD_jNS0_19identity_decomposerEEE10hipError_tT1_T2_PT3_SI_jT4_jjP12ihipStream_tbEUlT_E0_NS1_11comp_targetILNS1_3genE6ELNS1_11target_archE950ELNS1_3gpuE13ELNS1_3repE0EEENS1_52radix_sort_onesweep_histogram_config_static_selectorELNS0_4arch9wavefront6targetE1EEEvSG_.uses_flat_scratch, 0
	.set _ZN7rocprim17ROCPRIM_400000_NS6detail17trampoline_kernelINS0_14default_configENS1_35radix_sort_onesweep_config_selectorIttEEZNS1_34radix_sort_onesweep_global_offsetsIS3_Lb0EN6thrust23THRUST_200600_302600_NS6detail15normal_iteratorINS8_10device_ptrItEEEESD_jNS0_19identity_decomposerEEE10hipError_tT1_T2_PT3_SI_jT4_jjP12ihipStream_tbEUlT_E0_NS1_11comp_targetILNS1_3genE6ELNS1_11target_archE950ELNS1_3gpuE13ELNS1_3repE0EEENS1_52radix_sort_onesweep_histogram_config_static_selectorELNS0_4arch9wavefront6targetE1EEEvSG_.has_dyn_sized_stack, 0
	.set _ZN7rocprim17ROCPRIM_400000_NS6detail17trampoline_kernelINS0_14default_configENS1_35radix_sort_onesweep_config_selectorIttEEZNS1_34radix_sort_onesweep_global_offsetsIS3_Lb0EN6thrust23THRUST_200600_302600_NS6detail15normal_iteratorINS8_10device_ptrItEEEESD_jNS0_19identity_decomposerEEE10hipError_tT1_T2_PT3_SI_jT4_jjP12ihipStream_tbEUlT_E0_NS1_11comp_targetILNS1_3genE6ELNS1_11target_archE950ELNS1_3gpuE13ELNS1_3repE0EEENS1_52radix_sort_onesweep_histogram_config_static_selectorELNS0_4arch9wavefront6targetE1EEEvSG_.has_recursion, 0
	.set _ZN7rocprim17ROCPRIM_400000_NS6detail17trampoline_kernelINS0_14default_configENS1_35radix_sort_onesweep_config_selectorIttEEZNS1_34radix_sort_onesweep_global_offsetsIS3_Lb0EN6thrust23THRUST_200600_302600_NS6detail15normal_iteratorINS8_10device_ptrItEEEESD_jNS0_19identity_decomposerEEE10hipError_tT1_T2_PT3_SI_jT4_jjP12ihipStream_tbEUlT_E0_NS1_11comp_targetILNS1_3genE6ELNS1_11target_archE950ELNS1_3gpuE13ELNS1_3repE0EEENS1_52radix_sort_onesweep_histogram_config_static_selectorELNS0_4arch9wavefront6targetE1EEEvSG_.has_indirect_call, 0
	.section	.AMDGPU.csdata,"",@progbits
; Kernel info:
; codeLenInByte = 572
; TotalNumSgprs: 14
; NumVgprs: 7
; NumAgprs: 0
; TotalNumVgprs: 7
; ScratchSize: 0
; MemoryBound: 0
; FloatMode: 240
; IeeeMode: 1
; LDSByteSize: 32 bytes/workgroup (compile time only)
; SGPRBlocks: 1
; VGPRBlocks: 0
; NumSGPRsForWavesPerEU: 14
; NumVGPRsForWavesPerEU: 7
; AccumOffset: 8
; Occupancy: 8
; WaveLimiterHint : 0
; COMPUTE_PGM_RSRC2:SCRATCH_EN: 0
; COMPUTE_PGM_RSRC2:USER_SGPR: 2
; COMPUTE_PGM_RSRC2:TRAP_HANDLER: 0
; COMPUTE_PGM_RSRC2:TGID_X_EN: 1
; COMPUTE_PGM_RSRC2:TGID_Y_EN: 0
; COMPUTE_PGM_RSRC2:TGID_Z_EN: 0
; COMPUTE_PGM_RSRC2:TIDIG_COMP_CNT: 0
; COMPUTE_PGM_RSRC3_GFX90A:ACCUM_OFFSET: 1
; COMPUTE_PGM_RSRC3_GFX90A:TG_SPLIT: 0
	.section	.text._ZN7rocprim17ROCPRIM_400000_NS6detail17trampoline_kernelINS0_14default_configENS1_35radix_sort_onesweep_config_selectorIttEEZNS1_34radix_sort_onesweep_global_offsetsIS3_Lb0EN6thrust23THRUST_200600_302600_NS6detail15normal_iteratorINS8_10device_ptrItEEEESD_jNS0_19identity_decomposerEEE10hipError_tT1_T2_PT3_SI_jT4_jjP12ihipStream_tbEUlT_E0_NS1_11comp_targetILNS1_3genE5ELNS1_11target_archE942ELNS1_3gpuE9ELNS1_3repE0EEENS1_52radix_sort_onesweep_histogram_config_static_selectorELNS0_4arch9wavefront6targetE1EEEvSG_,"axG",@progbits,_ZN7rocprim17ROCPRIM_400000_NS6detail17trampoline_kernelINS0_14default_configENS1_35radix_sort_onesweep_config_selectorIttEEZNS1_34radix_sort_onesweep_global_offsetsIS3_Lb0EN6thrust23THRUST_200600_302600_NS6detail15normal_iteratorINS8_10device_ptrItEEEESD_jNS0_19identity_decomposerEEE10hipError_tT1_T2_PT3_SI_jT4_jjP12ihipStream_tbEUlT_E0_NS1_11comp_targetILNS1_3genE5ELNS1_11target_archE942ELNS1_3gpuE9ELNS1_3repE0EEENS1_52radix_sort_onesweep_histogram_config_static_selectorELNS0_4arch9wavefront6targetE1EEEvSG_,comdat
	.protected	_ZN7rocprim17ROCPRIM_400000_NS6detail17trampoline_kernelINS0_14default_configENS1_35radix_sort_onesweep_config_selectorIttEEZNS1_34radix_sort_onesweep_global_offsetsIS3_Lb0EN6thrust23THRUST_200600_302600_NS6detail15normal_iteratorINS8_10device_ptrItEEEESD_jNS0_19identity_decomposerEEE10hipError_tT1_T2_PT3_SI_jT4_jjP12ihipStream_tbEUlT_E0_NS1_11comp_targetILNS1_3genE5ELNS1_11target_archE942ELNS1_3gpuE9ELNS1_3repE0EEENS1_52radix_sort_onesweep_histogram_config_static_selectorELNS0_4arch9wavefront6targetE1EEEvSG_ ; -- Begin function _ZN7rocprim17ROCPRIM_400000_NS6detail17trampoline_kernelINS0_14default_configENS1_35radix_sort_onesweep_config_selectorIttEEZNS1_34radix_sort_onesweep_global_offsetsIS3_Lb0EN6thrust23THRUST_200600_302600_NS6detail15normal_iteratorINS8_10device_ptrItEEEESD_jNS0_19identity_decomposerEEE10hipError_tT1_T2_PT3_SI_jT4_jjP12ihipStream_tbEUlT_E0_NS1_11comp_targetILNS1_3genE5ELNS1_11target_archE942ELNS1_3gpuE9ELNS1_3repE0EEENS1_52radix_sort_onesweep_histogram_config_static_selectorELNS0_4arch9wavefront6targetE1EEEvSG_
	.globl	_ZN7rocprim17ROCPRIM_400000_NS6detail17trampoline_kernelINS0_14default_configENS1_35radix_sort_onesweep_config_selectorIttEEZNS1_34radix_sort_onesweep_global_offsetsIS3_Lb0EN6thrust23THRUST_200600_302600_NS6detail15normal_iteratorINS8_10device_ptrItEEEESD_jNS0_19identity_decomposerEEE10hipError_tT1_T2_PT3_SI_jT4_jjP12ihipStream_tbEUlT_E0_NS1_11comp_targetILNS1_3genE5ELNS1_11target_archE942ELNS1_3gpuE9ELNS1_3repE0EEENS1_52radix_sort_onesweep_histogram_config_static_selectorELNS0_4arch9wavefront6targetE1EEEvSG_
	.p2align	8
	.type	_ZN7rocprim17ROCPRIM_400000_NS6detail17trampoline_kernelINS0_14default_configENS1_35radix_sort_onesweep_config_selectorIttEEZNS1_34radix_sort_onesweep_global_offsetsIS3_Lb0EN6thrust23THRUST_200600_302600_NS6detail15normal_iteratorINS8_10device_ptrItEEEESD_jNS0_19identity_decomposerEEE10hipError_tT1_T2_PT3_SI_jT4_jjP12ihipStream_tbEUlT_E0_NS1_11comp_targetILNS1_3genE5ELNS1_11target_archE942ELNS1_3gpuE9ELNS1_3repE0EEENS1_52radix_sort_onesweep_histogram_config_static_selectorELNS0_4arch9wavefront6targetE1EEEvSG_,@function
_ZN7rocprim17ROCPRIM_400000_NS6detail17trampoline_kernelINS0_14default_configENS1_35radix_sort_onesweep_config_selectorIttEEZNS1_34radix_sort_onesweep_global_offsetsIS3_Lb0EN6thrust23THRUST_200600_302600_NS6detail15normal_iteratorINS8_10device_ptrItEEEESD_jNS0_19identity_decomposerEEE10hipError_tT1_T2_PT3_SI_jT4_jjP12ihipStream_tbEUlT_E0_NS1_11comp_targetILNS1_3genE5ELNS1_11target_archE942ELNS1_3gpuE9ELNS1_3repE0EEENS1_52radix_sort_onesweep_histogram_config_static_selectorELNS0_4arch9wavefront6targetE1EEEvSG_: ; @_ZN7rocprim17ROCPRIM_400000_NS6detail17trampoline_kernelINS0_14default_configENS1_35radix_sort_onesweep_config_selectorIttEEZNS1_34radix_sort_onesweep_global_offsetsIS3_Lb0EN6thrust23THRUST_200600_302600_NS6detail15normal_iteratorINS8_10device_ptrItEEEESD_jNS0_19identity_decomposerEEE10hipError_tT1_T2_PT3_SI_jT4_jjP12ihipStream_tbEUlT_E0_NS1_11comp_targetILNS1_3genE5ELNS1_11target_archE942ELNS1_3gpuE9ELNS1_3repE0EEENS1_52radix_sort_onesweep_histogram_config_static_selectorELNS0_4arch9wavefront6targetE1EEEvSG_
; %bb.0:
	.section	.rodata,"a",@progbits
	.p2align	6, 0x0
	.amdhsa_kernel _ZN7rocprim17ROCPRIM_400000_NS6detail17trampoline_kernelINS0_14default_configENS1_35radix_sort_onesweep_config_selectorIttEEZNS1_34radix_sort_onesweep_global_offsetsIS3_Lb0EN6thrust23THRUST_200600_302600_NS6detail15normal_iteratorINS8_10device_ptrItEEEESD_jNS0_19identity_decomposerEEE10hipError_tT1_T2_PT3_SI_jT4_jjP12ihipStream_tbEUlT_E0_NS1_11comp_targetILNS1_3genE5ELNS1_11target_archE942ELNS1_3gpuE9ELNS1_3repE0EEENS1_52radix_sort_onesweep_histogram_config_static_selectorELNS0_4arch9wavefront6targetE1EEEvSG_
		.amdhsa_group_segment_fixed_size 0
		.amdhsa_private_segment_fixed_size 0
		.amdhsa_kernarg_size 8
		.amdhsa_user_sgpr_count 2
		.amdhsa_user_sgpr_dispatch_ptr 0
		.amdhsa_user_sgpr_queue_ptr 0
		.amdhsa_user_sgpr_kernarg_segment_ptr 1
		.amdhsa_user_sgpr_dispatch_id 0
		.amdhsa_user_sgpr_kernarg_preload_length 0
		.amdhsa_user_sgpr_kernarg_preload_offset 0
		.amdhsa_user_sgpr_private_segment_size 0
		.amdhsa_uses_dynamic_stack 0
		.amdhsa_enable_private_segment 0
		.amdhsa_system_sgpr_workgroup_id_x 1
		.amdhsa_system_sgpr_workgroup_id_y 0
		.amdhsa_system_sgpr_workgroup_id_z 0
		.amdhsa_system_sgpr_workgroup_info 0
		.amdhsa_system_vgpr_workitem_id 0
		.amdhsa_next_free_vgpr 1
		.amdhsa_next_free_sgpr 0
		.amdhsa_accum_offset 4
		.amdhsa_reserve_vcc 0
		.amdhsa_float_round_mode_32 0
		.amdhsa_float_round_mode_16_64 0
		.amdhsa_float_denorm_mode_32 3
		.amdhsa_float_denorm_mode_16_64 3
		.amdhsa_dx10_clamp 1
		.amdhsa_ieee_mode 1
		.amdhsa_fp16_overflow 0
		.amdhsa_tg_split 0
		.amdhsa_exception_fp_ieee_invalid_op 0
		.amdhsa_exception_fp_denorm_src 0
		.amdhsa_exception_fp_ieee_div_zero 0
		.amdhsa_exception_fp_ieee_overflow 0
		.amdhsa_exception_fp_ieee_underflow 0
		.amdhsa_exception_fp_ieee_inexact 0
		.amdhsa_exception_int_div_zero 0
	.end_amdhsa_kernel
	.section	.text._ZN7rocprim17ROCPRIM_400000_NS6detail17trampoline_kernelINS0_14default_configENS1_35radix_sort_onesweep_config_selectorIttEEZNS1_34radix_sort_onesweep_global_offsetsIS3_Lb0EN6thrust23THRUST_200600_302600_NS6detail15normal_iteratorINS8_10device_ptrItEEEESD_jNS0_19identity_decomposerEEE10hipError_tT1_T2_PT3_SI_jT4_jjP12ihipStream_tbEUlT_E0_NS1_11comp_targetILNS1_3genE5ELNS1_11target_archE942ELNS1_3gpuE9ELNS1_3repE0EEENS1_52radix_sort_onesweep_histogram_config_static_selectorELNS0_4arch9wavefront6targetE1EEEvSG_,"axG",@progbits,_ZN7rocprim17ROCPRIM_400000_NS6detail17trampoline_kernelINS0_14default_configENS1_35radix_sort_onesweep_config_selectorIttEEZNS1_34radix_sort_onesweep_global_offsetsIS3_Lb0EN6thrust23THRUST_200600_302600_NS6detail15normal_iteratorINS8_10device_ptrItEEEESD_jNS0_19identity_decomposerEEE10hipError_tT1_T2_PT3_SI_jT4_jjP12ihipStream_tbEUlT_E0_NS1_11comp_targetILNS1_3genE5ELNS1_11target_archE942ELNS1_3gpuE9ELNS1_3repE0EEENS1_52radix_sort_onesweep_histogram_config_static_selectorELNS0_4arch9wavefront6targetE1EEEvSG_,comdat
.Lfunc_end958:
	.size	_ZN7rocprim17ROCPRIM_400000_NS6detail17trampoline_kernelINS0_14default_configENS1_35radix_sort_onesweep_config_selectorIttEEZNS1_34radix_sort_onesweep_global_offsetsIS3_Lb0EN6thrust23THRUST_200600_302600_NS6detail15normal_iteratorINS8_10device_ptrItEEEESD_jNS0_19identity_decomposerEEE10hipError_tT1_T2_PT3_SI_jT4_jjP12ihipStream_tbEUlT_E0_NS1_11comp_targetILNS1_3genE5ELNS1_11target_archE942ELNS1_3gpuE9ELNS1_3repE0EEENS1_52radix_sort_onesweep_histogram_config_static_selectorELNS0_4arch9wavefront6targetE1EEEvSG_, .Lfunc_end958-_ZN7rocprim17ROCPRIM_400000_NS6detail17trampoline_kernelINS0_14default_configENS1_35radix_sort_onesweep_config_selectorIttEEZNS1_34radix_sort_onesweep_global_offsetsIS3_Lb0EN6thrust23THRUST_200600_302600_NS6detail15normal_iteratorINS8_10device_ptrItEEEESD_jNS0_19identity_decomposerEEE10hipError_tT1_T2_PT3_SI_jT4_jjP12ihipStream_tbEUlT_E0_NS1_11comp_targetILNS1_3genE5ELNS1_11target_archE942ELNS1_3gpuE9ELNS1_3repE0EEENS1_52radix_sort_onesweep_histogram_config_static_selectorELNS0_4arch9wavefront6targetE1EEEvSG_
                                        ; -- End function
	.set _ZN7rocprim17ROCPRIM_400000_NS6detail17trampoline_kernelINS0_14default_configENS1_35radix_sort_onesweep_config_selectorIttEEZNS1_34radix_sort_onesweep_global_offsetsIS3_Lb0EN6thrust23THRUST_200600_302600_NS6detail15normal_iteratorINS8_10device_ptrItEEEESD_jNS0_19identity_decomposerEEE10hipError_tT1_T2_PT3_SI_jT4_jjP12ihipStream_tbEUlT_E0_NS1_11comp_targetILNS1_3genE5ELNS1_11target_archE942ELNS1_3gpuE9ELNS1_3repE0EEENS1_52radix_sort_onesweep_histogram_config_static_selectorELNS0_4arch9wavefront6targetE1EEEvSG_.num_vgpr, 0
	.set _ZN7rocprim17ROCPRIM_400000_NS6detail17trampoline_kernelINS0_14default_configENS1_35radix_sort_onesweep_config_selectorIttEEZNS1_34radix_sort_onesweep_global_offsetsIS3_Lb0EN6thrust23THRUST_200600_302600_NS6detail15normal_iteratorINS8_10device_ptrItEEEESD_jNS0_19identity_decomposerEEE10hipError_tT1_T2_PT3_SI_jT4_jjP12ihipStream_tbEUlT_E0_NS1_11comp_targetILNS1_3genE5ELNS1_11target_archE942ELNS1_3gpuE9ELNS1_3repE0EEENS1_52radix_sort_onesweep_histogram_config_static_selectorELNS0_4arch9wavefront6targetE1EEEvSG_.num_agpr, 0
	.set _ZN7rocprim17ROCPRIM_400000_NS6detail17trampoline_kernelINS0_14default_configENS1_35radix_sort_onesweep_config_selectorIttEEZNS1_34radix_sort_onesweep_global_offsetsIS3_Lb0EN6thrust23THRUST_200600_302600_NS6detail15normal_iteratorINS8_10device_ptrItEEEESD_jNS0_19identity_decomposerEEE10hipError_tT1_T2_PT3_SI_jT4_jjP12ihipStream_tbEUlT_E0_NS1_11comp_targetILNS1_3genE5ELNS1_11target_archE942ELNS1_3gpuE9ELNS1_3repE0EEENS1_52radix_sort_onesweep_histogram_config_static_selectorELNS0_4arch9wavefront6targetE1EEEvSG_.numbered_sgpr, 0
	.set _ZN7rocprim17ROCPRIM_400000_NS6detail17trampoline_kernelINS0_14default_configENS1_35radix_sort_onesweep_config_selectorIttEEZNS1_34radix_sort_onesweep_global_offsetsIS3_Lb0EN6thrust23THRUST_200600_302600_NS6detail15normal_iteratorINS8_10device_ptrItEEEESD_jNS0_19identity_decomposerEEE10hipError_tT1_T2_PT3_SI_jT4_jjP12ihipStream_tbEUlT_E0_NS1_11comp_targetILNS1_3genE5ELNS1_11target_archE942ELNS1_3gpuE9ELNS1_3repE0EEENS1_52radix_sort_onesweep_histogram_config_static_selectorELNS0_4arch9wavefront6targetE1EEEvSG_.num_named_barrier, 0
	.set _ZN7rocprim17ROCPRIM_400000_NS6detail17trampoline_kernelINS0_14default_configENS1_35radix_sort_onesweep_config_selectorIttEEZNS1_34radix_sort_onesweep_global_offsetsIS3_Lb0EN6thrust23THRUST_200600_302600_NS6detail15normal_iteratorINS8_10device_ptrItEEEESD_jNS0_19identity_decomposerEEE10hipError_tT1_T2_PT3_SI_jT4_jjP12ihipStream_tbEUlT_E0_NS1_11comp_targetILNS1_3genE5ELNS1_11target_archE942ELNS1_3gpuE9ELNS1_3repE0EEENS1_52radix_sort_onesweep_histogram_config_static_selectorELNS0_4arch9wavefront6targetE1EEEvSG_.private_seg_size, 0
	.set _ZN7rocprim17ROCPRIM_400000_NS6detail17trampoline_kernelINS0_14default_configENS1_35radix_sort_onesweep_config_selectorIttEEZNS1_34radix_sort_onesweep_global_offsetsIS3_Lb0EN6thrust23THRUST_200600_302600_NS6detail15normal_iteratorINS8_10device_ptrItEEEESD_jNS0_19identity_decomposerEEE10hipError_tT1_T2_PT3_SI_jT4_jjP12ihipStream_tbEUlT_E0_NS1_11comp_targetILNS1_3genE5ELNS1_11target_archE942ELNS1_3gpuE9ELNS1_3repE0EEENS1_52radix_sort_onesweep_histogram_config_static_selectorELNS0_4arch9wavefront6targetE1EEEvSG_.uses_vcc, 0
	.set _ZN7rocprim17ROCPRIM_400000_NS6detail17trampoline_kernelINS0_14default_configENS1_35radix_sort_onesweep_config_selectorIttEEZNS1_34radix_sort_onesweep_global_offsetsIS3_Lb0EN6thrust23THRUST_200600_302600_NS6detail15normal_iteratorINS8_10device_ptrItEEEESD_jNS0_19identity_decomposerEEE10hipError_tT1_T2_PT3_SI_jT4_jjP12ihipStream_tbEUlT_E0_NS1_11comp_targetILNS1_3genE5ELNS1_11target_archE942ELNS1_3gpuE9ELNS1_3repE0EEENS1_52radix_sort_onesweep_histogram_config_static_selectorELNS0_4arch9wavefront6targetE1EEEvSG_.uses_flat_scratch, 0
	.set _ZN7rocprim17ROCPRIM_400000_NS6detail17trampoline_kernelINS0_14default_configENS1_35radix_sort_onesweep_config_selectorIttEEZNS1_34radix_sort_onesweep_global_offsetsIS3_Lb0EN6thrust23THRUST_200600_302600_NS6detail15normal_iteratorINS8_10device_ptrItEEEESD_jNS0_19identity_decomposerEEE10hipError_tT1_T2_PT3_SI_jT4_jjP12ihipStream_tbEUlT_E0_NS1_11comp_targetILNS1_3genE5ELNS1_11target_archE942ELNS1_3gpuE9ELNS1_3repE0EEENS1_52radix_sort_onesweep_histogram_config_static_selectorELNS0_4arch9wavefront6targetE1EEEvSG_.has_dyn_sized_stack, 0
	.set _ZN7rocprim17ROCPRIM_400000_NS6detail17trampoline_kernelINS0_14default_configENS1_35radix_sort_onesweep_config_selectorIttEEZNS1_34radix_sort_onesweep_global_offsetsIS3_Lb0EN6thrust23THRUST_200600_302600_NS6detail15normal_iteratorINS8_10device_ptrItEEEESD_jNS0_19identity_decomposerEEE10hipError_tT1_T2_PT3_SI_jT4_jjP12ihipStream_tbEUlT_E0_NS1_11comp_targetILNS1_3genE5ELNS1_11target_archE942ELNS1_3gpuE9ELNS1_3repE0EEENS1_52radix_sort_onesweep_histogram_config_static_selectorELNS0_4arch9wavefront6targetE1EEEvSG_.has_recursion, 0
	.set _ZN7rocprim17ROCPRIM_400000_NS6detail17trampoline_kernelINS0_14default_configENS1_35radix_sort_onesweep_config_selectorIttEEZNS1_34radix_sort_onesweep_global_offsetsIS3_Lb0EN6thrust23THRUST_200600_302600_NS6detail15normal_iteratorINS8_10device_ptrItEEEESD_jNS0_19identity_decomposerEEE10hipError_tT1_T2_PT3_SI_jT4_jjP12ihipStream_tbEUlT_E0_NS1_11comp_targetILNS1_3genE5ELNS1_11target_archE942ELNS1_3gpuE9ELNS1_3repE0EEENS1_52radix_sort_onesweep_histogram_config_static_selectorELNS0_4arch9wavefront6targetE1EEEvSG_.has_indirect_call, 0
	.section	.AMDGPU.csdata,"",@progbits
; Kernel info:
; codeLenInByte = 0
; TotalNumSgprs: 6
; NumVgprs: 0
; NumAgprs: 0
; TotalNumVgprs: 0
; ScratchSize: 0
; MemoryBound: 0
; FloatMode: 240
; IeeeMode: 1
; LDSByteSize: 0 bytes/workgroup (compile time only)
; SGPRBlocks: 0
; VGPRBlocks: 0
; NumSGPRsForWavesPerEU: 6
; NumVGPRsForWavesPerEU: 1
; AccumOffset: 4
; Occupancy: 8
; WaveLimiterHint : 0
; COMPUTE_PGM_RSRC2:SCRATCH_EN: 0
; COMPUTE_PGM_RSRC2:USER_SGPR: 2
; COMPUTE_PGM_RSRC2:TRAP_HANDLER: 0
; COMPUTE_PGM_RSRC2:TGID_X_EN: 1
; COMPUTE_PGM_RSRC2:TGID_Y_EN: 0
; COMPUTE_PGM_RSRC2:TGID_Z_EN: 0
; COMPUTE_PGM_RSRC2:TIDIG_COMP_CNT: 0
; COMPUTE_PGM_RSRC3_GFX90A:ACCUM_OFFSET: 0
; COMPUTE_PGM_RSRC3_GFX90A:TG_SPLIT: 0
	.section	.text._ZN7rocprim17ROCPRIM_400000_NS6detail17trampoline_kernelINS0_14default_configENS1_35radix_sort_onesweep_config_selectorIttEEZNS1_34radix_sort_onesweep_global_offsetsIS3_Lb0EN6thrust23THRUST_200600_302600_NS6detail15normal_iteratorINS8_10device_ptrItEEEESD_jNS0_19identity_decomposerEEE10hipError_tT1_T2_PT3_SI_jT4_jjP12ihipStream_tbEUlT_E0_NS1_11comp_targetILNS1_3genE2ELNS1_11target_archE906ELNS1_3gpuE6ELNS1_3repE0EEENS1_52radix_sort_onesweep_histogram_config_static_selectorELNS0_4arch9wavefront6targetE1EEEvSG_,"axG",@progbits,_ZN7rocprim17ROCPRIM_400000_NS6detail17trampoline_kernelINS0_14default_configENS1_35radix_sort_onesweep_config_selectorIttEEZNS1_34radix_sort_onesweep_global_offsetsIS3_Lb0EN6thrust23THRUST_200600_302600_NS6detail15normal_iteratorINS8_10device_ptrItEEEESD_jNS0_19identity_decomposerEEE10hipError_tT1_T2_PT3_SI_jT4_jjP12ihipStream_tbEUlT_E0_NS1_11comp_targetILNS1_3genE2ELNS1_11target_archE906ELNS1_3gpuE6ELNS1_3repE0EEENS1_52radix_sort_onesweep_histogram_config_static_selectorELNS0_4arch9wavefront6targetE1EEEvSG_,comdat
	.protected	_ZN7rocprim17ROCPRIM_400000_NS6detail17trampoline_kernelINS0_14default_configENS1_35radix_sort_onesweep_config_selectorIttEEZNS1_34radix_sort_onesweep_global_offsetsIS3_Lb0EN6thrust23THRUST_200600_302600_NS6detail15normal_iteratorINS8_10device_ptrItEEEESD_jNS0_19identity_decomposerEEE10hipError_tT1_T2_PT3_SI_jT4_jjP12ihipStream_tbEUlT_E0_NS1_11comp_targetILNS1_3genE2ELNS1_11target_archE906ELNS1_3gpuE6ELNS1_3repE0EEENS1_52radix_sort_onesweep_histogram_config_static_selectorELNS0_4arch9wavefront6targetE1EEEvSG_ ; -- Begin function _ZN7rocprim17ROCPRIM_400000_NS6detail17trampoline_kernelINS0_14default_configENS1_35radix_sort_onesweep_config_selectorIttEEZNS1_34radix_sort_onesweep_global_offsetsIS3_Lb0EN6thrust23THRUST_200600_302600_NS6detail15normal_iteratorINS8_10device_ptrItEEEESD_jNS0_19identity_decomposerEEE10hipError_tT1_T2_PT3_SI_jT4_jjP12ihipStream_tbEUlT_E0_NS1_11comp_targetILNS1_3genE2ELNS1_11target_archE906ELNS1_3gpuE6ELNS1_3repE0EEENS1_52radix_sort_onesweep_histogram_config_static_selectorELNS0_4arch9wavefront6targetE1EEEvSG_
	.globl	_ZN7rocprim17ROCPRIM_400000_NS6detail17trampoline_kernelINS0_14default_configENS1_35radix_sort_onesweep_config_selectorIttEEZNS1_34radix_sort_onesweep_global_offsetsIS3_Lb0EN6thrust23THRUST_200600_302600_NS6detail15normal_iteratorINS8_10device_ptrItEEEESD_jNS0_19identity_decomposerEEE10hipError_tT1_T2_PT3_SI_jT4_jjP12ihipStream_tbEUlT_E0_NS1_11comp_targetILNS1_3genE2ELNS1_11target_archE906ELNS1_3gpuE6ELNS1_3repE0EEENS1_52radix_sort_onesweep_histogram_config_static_selectorELNS0_4arch9wavefront6targetE1EEEvSG_
	.p2align	8
	.type	_ZN7rocprim17ROCPRIM_400000_NS6detail17trampoline_kernelINS0_14default_configENS1_35radix_sort_onesweep_config_selectorIttEEZNS1_34radix_sort_onesweep_global_offsetsIS3_Lb0EN6thrust23THRUST_200600_302600_NS6detail15normal_iteratorINS8_10device_ptrItEEEESD_jNS0_19identity_decomposerEEE10hipError_tT1_T2_PT3_SI_jT4_jjP12ihipStream_tbEUlT_E0_NS1_11comp_targetILNS1_3genE2ELNS1_11target_archE906ELNS1_3gpuE6ELNS1_3repE0EEENS1_52radix_sort_onesweep_histogram_config_static_selectorELNS0_4arch9wavefront6targetE1EEEvSG_,@function
_ZN7rocprim17ROCPRIM_400000_NS6detail17trampoline_kernelINS0_14default_configENS1_35radix_sort_onesweep_config_selectorIttEEZNS1_34radix_sort_onesweep_global_offsetsIS3_Lb0EN6thrust23THRUST_200600_302600_NS6detail15normal_iteratorINS8_10device_ptrItEEEESD_jNS0_19identity_decomposerEEE10hipError_tT1_T2_PT3_SI_jT4_jjP12ihipStream_tbEUlT_E0_NS1_11comp_targetILNS1_3genE2ELNS1_11target_archE906ELNS1_3gpuE6ELNS1_3repE0EEENS1_52radix_sort_onesweep_histogram_config_static_selectorELNS0_4arch9wavefront6targetE1EEEvSG_: ; @_ZN7rocprim17ROCPRIM_400000_NS6detail17trampoline_kernelINS0_14default_configENS1_35radix_sort_onesweep_config_selectorIttEEZNS1_34radix_sort_onesweep_global_offsetsIS3_Lb0EN6thrust23THRUST_200600_302600_NS6detail15normal_iteratorINS8_10device_ptrItEEEESD_jNS0_19identity_decomposerEEE10hipError_tT1_T2_PT3_SI_jT4_jjP12ihipStream_tbEUlT_E0_NS1_11comp_targetILNS1_3genE2ELNS1_11target_archE906ELNS1_3gpuE6ELNS1_3repE0EEENS1_52radix_sort_onesweep_histogram_config_static_selectorELNS0_4arch9wavefront6targetE1EEEvSG_
; %bb.0:
	.section	.rodata,"a",@progbits
	.p2align	6, 0x0
	.amdhsa_kernel _ZN7rocprim17ROCPRIM_400000_NS6detail17trampoline_kernelINS0_14default_configENS1_35radix_sort_onesweep_config_selectorIttEEZNS1_34radix_sort_onesweep_global_offsetsIS3_Lb0EN6thrust23THRUST_200600_302600_NS6detail15normal_iteratorINS8_10device_ptrItEEEESD_jNS0_19identity_decomposerEEE10hipError_tT1_T2_PT3_SI_jT4_jjP12ihipStream_tbEUlT_E0_NS1_11comp_targetILNS1_3genE2ELNS1_11target_archE906ELNS1_3gpuE6ELNS1_3repE0EEENS1_52radix_sort_onesweep_histogram_config_static_selectorELNS0_4arch9wavefront6targetE1EEEvSG_
		.amdhsa_group_segment_fixed_size 0
		.amdhsa_private_segment_fixed_size 0
		.amdhsa_kernarg_size 8
		.amdhsa_user_sgpr_count 2
		.amdhsa_user_sgpr_dispatch_ptr 0
		.amdhsa_user_sgpr_queue_ptr 0
		.amdhsa_user_sgpr_kernarg_segment_ptr 1
		.amdhsa_user_sgpr_dispatch_id 0
		.amdhsa_user_sgpr_kernarg_preload_length 0
		.amdhsa_user_sgpr_kernarg_preload_offset 0
		.amdhsa_user_sgpr_private_segment_size 0
		.amdhsa_uses_dynamic_stack 0
		.amdhsa_enable_private_segment 0
		.amdhsa_system_sgpr_workgroup_id_x 1
		.amdhsa_system_sgpr_workgroup_id_y 0
		.amdhsa_system_sgpr_workgroup_id_z 0
		.amdhsa_system_sgpr_workgroup_info 0
		.amdhsa_system_vgpr_workitem_id 0
		.amdhsa_next_free_vgpr 1
		.amdhsa_next_free_sgpr 0
		.amdhsa_accum_offset 4
		.amdhsa_reserve_vcc 0
		.amdhsa_float_round_mode_32 0
		.amdhsa_float_round_mode_16_64 0
		.amdhsa_float_denorm_mode_32 3
		.amdhsa_float_denorm_mode_16_64 3
		.amdhsa_dx10_clamp 1
		.amdhsa_ieee_mode 1
		.amdhsa_fp16_overflow 0
		.amdhsa_tg_split 0
		.amdhsa_exception_fp_ieee_invalid_op 0
		.amdhsa_exception_fp_denorm_src 0
		.amdhsa_exception_fp_ieee_div_zero 0
		.amdhsa_exception_fp_ieee_overflow 0
		.amdhsa_exception_fp_ieee_underflow 0
		.amdhsa_exception_fp_ieee_inexact 0
		.amdhsa_exception_int_div_zero 0
	.end_amdhsa_kernel
	.section	.text._ZN7rocprim17ROCPRIM_400000_NS6detail17trampoline_kernelINS0_14default_configENS1_35radix_sort_onesweep_config_selectorIttEEZNS1_34radix_sort_onesweep_global_offsetsIS3_Lb0EN6thrust23THRUST_200600_302600_NS6detail15normal_iteratorINS8_10device_ptrItEEEESD_jNS0_19identity_decomposerEEE10hipError_tT1_T2_PT3_SI_jT4_jjP12ihipStream_tbEUlT_E0_NS1_11comp_targetILNS1_3genE2ELNS1_11target_archE906ELNS1_3gpuE6ELNS1_3repE0EEENS1_52radix_sort_onesweep_histogram_config_static_selectorELNS0_4arch9wavefront6targetE1EEEvSG_,"axG",@progbits,_ZN7rocprim17ROCPRIM_400000_NS6detail17trampoline_kernelINS0_14default_configENS1_35radix_sort_onesweep_config_selectorIttEEZNS1_34radix_sort_onesweep_global_offsetsIS3_Lb0EN6thrust23THRUST_200600_302600_NS6detail15normal_iteratorINS8_10device_ptrItEEEESD_jNS0_19identity_decomposerEEE10hipError_tT1_T2_PT3_SI_jT4_jjP12ihipStream_tbEUlT_E0_NS1_11comp_targetILNS1_3genE2ELNS1_11target_archE906ELNS1_3gpuE6ELNS1_3repE0EEENS1_52radix_sort_onesweep_histogram_config_static_selectorELNS0_4arch9wavefront6targetE1EEEvSG_,comdat
.Lfunc_end959:
	.size	_ZN7rocprim17ROCPRIM_400000_NS6detail17trampoline_kernelINS0_14default_configENS1_35radix_sort_onesweep_config_selectorIttEEZNS1_34radix_sort_onesweep_global_offsetsIS3_Lb0EN6thrust23THRUST_200600_302600_NS6detail15normal_iteratorINS8_10device_ptrItEEEESD_jNS0_19identity_decomposerEEE10hipError_tT1_T2_PT3_SI_jT4_jjP12ihipStream_tbEUlT_E0_NS1_11comp_targetILNS1_3genE2ELNS1_11target_archE906ELNS1_3gpuE6ELNS1_3repE0EEENS1_52radix_sort_onesweep_histogram_config_static_selectorELNS0_4arch9wavefront6targetE1EEEvSG_, .Lfunc_end959-_ZN7rocprim17ROCPRIM_400000_NS6detail17trampoline_kernelINS0_14default_configENS1_35radix_sort_onesweep_config_selectorIttEEZNS1_34radix_sort_onesweep_global_offsetsIS3_Lb0EN6thrust23THRUST_200600_302600_NS6detail15normal_iteratorINS8_10device_ptrItEEEESD_jNS0_19identity_decomposerEEE10hipError_tT1_T2_PT3_SI_jT4_jjP12ihipStream_tbEUlT_E0_NS1_11comp_targetILNS1_3genE2ELNS1_11target_archE906ELNS1_3gpuE6ELNS1_3repE0EEENS1_52radix_sort_onesweep_histogram_config_static_selectorELNS0_4arch9wavefront6targetE1EEEvSG_
                                        ; -- End function
	.set _ZN7rocprim17ROCPRIM_400000_NS6detail17trampoline_kernelINS0_14default_configENS1_35radix_sort_onesweep_config_selectorIttEEZNS1_34radix_sort_onesweep_global_offsetsIS3_Lb0EN6thrust23THRUST_200600_302600_NS6detail15normal_iteratorINS8_10device_ptrItEEEESD_jNS0_19identity_decomposerEEE10hipError_tT1_T2_PT3_SI_jT4_jjP12ihipStream_tbEUlT_E0_NS1_11comp_targetILNS1_3genE2ELNS1_11target_archE906ELNS1_3gpuE6ELNS1_3repE0EEENS1_52radix_sort_onesweep_histogram_config_static_selectorELNS0_4arch9wavefront6targetE1EEEvSG_.num_vgpr, 0
	.set _ZN7rocprim17ROCPRIM_400000_NS6detail17trampoline_kernelINS0_14default_configENS1_35radix_sort_onesweep_config_selectorIttEEZNS1_34radix_sort_onesweep_global_offsetsIS3_Lb0EN6thrust23THRUST_200600_302600_NS6detail15normal_iteratorINS8_10device_ptrItEEEESD_jNS0_19identity_decomposerEEE10hipError_tT1_T2_PT3_SI_jT4_jjP12ihipStream_tbEUlT_E0_NS1_11comp_targetILNS1_3genE2ELNS1_11target_archE906ELNS1_3gpuE6ELNS1_3repE0EEENS1_52radix_sort_onesweep_histogram_config_static_selectorELNS0_4arch9wavefront6targetE1EEEvSG_.num_agpr, 0
	.set _ZN7rocprim17ROCPRIM_400000_NS6detail17trampoline_kernelINS0_14default_configENS1_35radix_sort_onesweep_config_selectorIttEEZNS1_34radix_sort_onesweep_global_offsetsIS3_Lb0EN6thrust23THRUST_200600_302600_NS6detail15normal_iteratorINS8_10device_ptrItEEEESD_jNS0_19identity_decomposerEEE10hipError_tT1_T2_PT3_SI_jT4_jjP12ihipStream_tbEUlT_E0_NS1_11comp_targetILNS1_3genE2ELNS1_11target_archE906ELNS1_3gpuE6ELNS1_3repE0EEENS1_52radix_sort_onesweep_histogram_config_static_selectorELNS0_4arch9wavefront6targetE1EEEvSG_.numbered_sgpr, 0
	.set _ZN7rocprim17ROCPRIM_400000_NS6detail17trampoline_kernelINS0_14default_configENS1_35radix_sort_onesweep_config_selectorIttEEZNS1_34radix_sort_onesweep_global_offsetsIS3_Lb0EN6thrust23THRUST_200600_302600_NS6detail15normal_iteratorINS8_10device_ptrItEEEESD_jNS0_19identity_decomposerEEE10hipError_tT1_T2_PT3_SI_jT4_jjP12ihipStream_tbEUlT_E0_NS1_11comp_targetILNS1_3genE2ELNS1_11target_archE906ELNS1_3gpuE6ELNS1_3repE0EEENS1_52radix_sort_onesweep_histogram_config_static_selectorELNS0_4arch9wavefront6targetE1EEEvSG_.num_named_barrier, 0
	.set _ZN7rocprim17ROCPRIM_400000_NS6detail17trampoline_kernelINS0_14default_configENS1_35radix_sort_onesweep_config_selectorIttEEZNS1_34radix_sort_onesweep_global_offsetsIS3_Lb0EN6thrust23THRUST_200600_302600_NS6detail15normal_iteratorINS8_10device_ptrItEEEESD_jNS0_19identity_decomposerEEE10hipError_tT1_T2_PT3_SI_jT4_jjP12ihipStream_tbEUlT_E0_NS1_11comp_targetILNS1_3genE2ELNS1_11target_archE906ELNS1_3gpuE6ELNS1_3repE0EEENS1_52radix_sort_onesweep_histogram_config_static_selectorELNS0_4arch9wavefront6targetE1EEEvSG_.private_seg_size, 0
	.set _ZN7rocprim17ROCPRIM_400000_NS6detail17trampoline_kernelINS0_14default_configENS1_35radix_sort_onesweep_config_selectorIttEEZNS1_34radix_sort_onesweep_global_offsetsIS3_Lb0EN6thrust23THRUST_200600_302600_NS6detail15normal_iteratorINS8_10device_ptrItEEEESD_jNS0_19identity_decomposerEEE10hipError_tT1_T2_PT3_SI_jT4_jjP12ihipStream_tbEUlT_E0_NS1_11comp_targetILNS1_3genE2ELNS1_11target_archE906ELNS1_3gpuE6ELNS1_3repE0EEENS1_52radix_sort_onesweep_histogram_config_static_selectorELNS0_4arch9wavefront6targetE1EEEvSG_.uses_vcc, 0
	.set _ZN7rocprim17ROCPRIM_400000_NS6detail17trampoline_kernelINS0_14default_configENS1_35radix_sort_onesweep_config_selectorIttEEZNS1_34radix_sort_onesweep_global_offsetsIS3_Lb0EN6thrust23THRUST_200600_302600_NS6detail15normal_iteratorINS8_10device_ptrItEEEESD_jNS0_19identity_decomposerEEE10hipError_tT1_T2_PT3_SI_jT4_jjP12ihipStream_tbEUlT_E0_NS1_11comp_targetILNS1_3genE2ELNS1_11target_archE906ELNS1_3gpuE6ELNS1_3repE0EEENS1_52radix_sort_onesweep_histogram_config_static_selectorELNS0_4arch9wavefront6targetE1EEEvSG_.uses_flat_scratch, 0
	.set _ZN7rocprim17ROCPRIM_400000_NS6detail17trampoline_kernelINS0_14default_configENS1_35radix_sort_onesweep_config_selectorIttEEZNS1_34radix_sort_onesweep_global_offsetsIS3_Lb0EN6thrust23THRUST_200600_302600_NS6detail15normal_iteratorINS8_10device_ptrItEEEESD_jNS0_19identity_decomposerEEE10hipError_tT1_T2_PT3_SI_jT4_jjP12ihipStream_tbEUlT_E0_NS1_11comp_targetILNS1_3genE2ELNS1_11target_archE906ELNS1_3gpuE6ELNS1_3repE0EEENS1_52radix_sort_onesweep_histogram_config_static_selectorELNS0_4arch9wavefront6targetE1EEEvSG_.has_dyn_sized_stack, 0
	.set _ZN7rocprim17ROCPRIM_400000_NS6detail17trampoline_kernelINS0_14default_configENS1_35radix_sort_onesweep_config_selectorIttEEZNS1_34radix_sort_onesweep_global_offsetsIS3_Lb0EN6thrust23THRUST_200600_302600_NS6detail15normal_iteratorINS8_10device_ptrItEEEESD_jNS0_19identity_decomposerEEE10hipError_tT1_T2_PT3_SI_jT4_jjP12ihipStream_tbEUlT_E0_NS1_11comp_targetILNS1_3genE2ELNS1_11target_archE906ELNS1_3gpuE6ELNS1_3repE0EEENS1_52radix_sort_onesweep_histogram_config_static_selectorELNS0_4arch9wavefront6targetE1EEEvSG_.has_recursion, 0
	.set _ZN7rocprim17ROCPRIM_400000_NS6detail17trampoline_kernelINS0_14default_configENS1_35radix_sort_onesweep_config_selectorIttEEZNS1_34radix_sort_onesweep_global_offsetsIS3_Lb0EN6thrust23THRUST_200600_302600_NS6detail15normal_iteratorINS8_10device_ptrItEEEESD_jNS0_19identity_decomposerEEE10hipError_tT1_T2_PT3_SI_jT4_jjP12ihipStream_tbEUlT_E0_NS1_11comp_targetILNS1_3genE2ELNS1_11target_archE906ELNS1_3gpuE6ELNS1_3repE0EEENS1_52radix_sort_onesweep_histogram_config_static_selectorELNS0_4arch9wavefront6targetE1EEEvSG_.has_indirect_call, 0
	.section	.AMDGPU.csdata,"",@progbits
; Kernel info:
; codeLenInByte = 0
; TotalNumSgprs: 6
; NumVgprs: 0
; NumAgprs: 0
; TotalNumVgprs: 0
; ScratchSize: 0
; MemoryBound: 0
; FloatMode: 240
; IeeeMode: 1
; LDSByteSize: 0 bytes/workgroup (compile time only)
; SGPRBlocks: 0
; VGPRBlocks: 0
; NumSGPRsForWavesPerEU: 6
; NumVGPRsForWavesPerEU: 1
; AccumOffset: 4
; Occupancy: 8
; WaveLimiterHint : 0
; COMPUTE_PGM_RSRC2:SCRATCH_EN: 0
; COMPUTE_PGM_RSRC2:USER_SGPR: 2
; COMPUTE_PGM_RSRC2:TRAP_HANDLER: 0
; COMPUTE_PGM_RSRC2:TGID_X_EN: 1
; COMPUTE_PGM_RSRC2:TGID_Y_EN: 0
; COMPUTE_PGM_RSRC2:TGID_Z_EN: 0
; COMPUTE_PGM_RSRC2:TIDIG_COMP_CNT: 0
; COMPUTE_PGM_RSRC3_GFX90A:ACCUM_OFFSET: 0
; COMPUTE_PGM_RSRC3_GFX90A:TG_SPLIT: 0
	.section	.text._ZN7rocprim17ROCPRIM_400000_NS6detail17trampoline_kernelINS0_14default_configENS1_35radix_sort_onesweep_config_selectorIttEEZNS1_34radix_sort_onesweep_global_offsetsIS3_Lb0EN6thrust23THRUST_200600_302600_NS6detail15normal_iteratorINS8_10device_ptrItEEEESD_jNS0_19identity_decomposerEEE10hipError_tT1_T2_PT3_SI_jT4_jjP12ihipStream_tbEUlT_E0_NS1_11comp_targetILNS1_3genE4ELNS1_11target_archE910ELNS1_3gpuE8ELNS1_3repE0EEENS1_52radix_sort_onesweep_histogram_config_static_selectorELNS0_4arch9wavefront6targetE1EEEvSG_,"axG",@progbits,_ZN7rocprim17ROCPRIM_400000_NS6detail17trampoline_kernelINS0_14default_configENS1_35radix_sort_onesweep_config_selectorIttEEZNS1_34radix_sort_onesweep_global_offsetsIS3_Lb0EN6thrust23THRUST_200600_302600_NS6detail15normal_iteratorINS8_10device_ptrItEEEESD_jNS0_19identity_decomposerEEE10hipError_tT1_T2_PT3_SI_jT4_jjP12ihipStream_tbEUlT_E0_NS1_11comp_targetILNS1_3genE4ELNS1_11target_archE910ELNS1_3gpuE8ELNS1_3repE0EEENS1_52radix_sort_onesweep_histogram_config_static_selectorELNS0_4arch9wavefront6targetE1EEEvSG_,comdat
	.protected	_ZN7rocprim17ROCPRIM_400000_NS6detail17trampoline_kernelINS0_14default_configENS1_35radix_sort_onesweep_config_selectorIttEEZNS1_34radix_sort_onesweep_global_offsetsIS3_Lb0EN6thrust23THRUST_200600_302600_NS6detail15normal_iteratorINS8_10device_ptrItEEEESD_jNS0_19identity_decomposerEEE10hipError_tT1_T2_PT3_SI_jT4_jjP12ihipStream_tbEUlT_E0_NS1_11comp_targetILNS1_3genE4ELNS1_11target_archE910ELNS1_3gpuE8ELNS1_3repE0EEENS1_52radix_sort_onesweep_histogram_config_static_selectorELNS0_4arch9wavefront6targetE1EEEvSG_ ; -- Begin function _ZN7rocprim17ROCPRIM_400000_NS6detail17trampoline_kernelINS0_14default_configENS1_35radix_sort_onesweep_config_selectorIttEEZNS1_34radix_sort_onesweep_global_offsetsIS3_Lb0EN6thrust23THRUST_200600_302600_NS6detail15normal_iteratorINS8_10device_ptrItEEEESD_jNS0_19identity_decomposerEEE10hipError_tT1_T2_PT3_SI_jT4_jjP12ihipStream_tbEUlT_E0_NS1_11comp_targetILNS1_3genE4ELNS1_11target_archE910ELNS1_3gpuE8ELNS1_3repE0EEENS1_52radix_sort_onesweep_histogram_config_static_selectorELNS0_4arch9wavefront6targetE1EEEvSG_
	.globl	_ZN7rocprim17ROCPRIM_400000_NS6detail17trampoline_kernelINS0_14default_configENS1_35radix_sort_onesweep_config_selectorIttEEZNS1_34radix_sort_onesweep_global_offsetsIS3_Lb0EN6thrust23THRUST_200600_302600_NS6detail15normal_iteratorINS8_10device_ptrItEEEESD_jNS0_19identity_decomposerEEE10hipError_tT1_T2_PT3_SI_jT4_jjP12ihipStream_tbEUlT_E0_NS1_11comp_targetILNS1_3genE4ELNS1_11target_archE910ELNS1_3gpuE8ELNS1_3repE0EEENS1_52radix_sort_onesweep_histogram_config_static_selectorELNS0_4arch9wavefront6targetE1EEEvSG_
	.p2align	8
	.type	_ZN7rocprim17ROCPRIM_400000_NS6detail17trampoline_kernelINS0_14default_configENS1_35radix_sort_onesweep_config_selectorIttEEZNS1_34radix_sort_onesweep_global_offsetsIS3_Lb0EN6thrust23THRUST_200600_302600_NS6detail15normal_iteratorINS8_10device_ptrItEEEESD_jNS0_19identity_decomposerEEE10hipError_tT1_T2_PT3_SI_jT4_jjP12ihipStream_tbEUlT_E0_NS1_11comp_targetILNS1_3genE4ELNS1_11target_archE910ELNS1_3gpuE8ELNS1_3repE0EEENS1_52radix_sort_onesweep_histogram_config_static_selectorELNS0_4arch9wavefront6targetE1EEEvSG_,@function
_ZN7rocprim17ROCPRIM_400000_NS6detail17trampoline_kernelINS0_14default_configENS1_35radix_sort_onesweep_config_selectorIttEEZNS1_34radix_sort_onesweep_global_offsetsIS3_Lb0EN6thrust23THRUST_200600_302600_NS6detail15normal_iteratorINS8_10device_ptrItEEEESD_jNS0_19identity_decomposerEEE10hipError_tT1_T2_PT3_SI_jT4_jjP12ihipStream_tbEUlT_E0_NS1_11comp_targetILNS1_3genE4ELNS1_11target_archE910ELNS1_3gpuE8ELNS1_3repE0EEENS1_52radix_sort_onesweep_histogram_config_static_selectorELNS0_4arch9wavefront6targetE1EEEvSG_: ; @_ZN7rocprim17ROCPRIM_400000_NS6detail17trampoline_kernelINS0_14default_configENS1_35radix_sort_onesweep_config_selectorIttEEZNS1_34radix_sort_onesweep_global_offsetsIS3_Lb0EN6thrust23THRUST_200600_302600_NS6detail15normal_iteratorINS8_10device_ptrItEEEESD_jNS0_19identity_decomposerEEE10hipError_tT1_T2_PT3_SI_jT4_jjP12ihipStream_tbEUlT_E0_NS1_11comp_targetILNS1_3genE4ELNS1_11target_archE910ELNS1_3gpuE8ELNS1_3repE0EEENS1_52radix_sort_onesweep_histogram_config_static_selectorELNS0_4arch9wavefront6targetE1EEEvSG_
; %bb.0:
	.section	.rodata,"a",@progbits
	.p2align	6, 0x0
	.amdhsa_kernel _ZN7rocprim17ROCPRIM_400000_NS6detail17trampoline_kernelINS0_14default_configENS1_35radix_sort_onesweep_config_selectorIttEEZNS1_34radix_sort_onesweep_global_offsetsIS3_Lb0EN6thrust23THRUST_200600_302600_NS6detail15normal_iteratorINS8_10device_ptrItEEEESD_jNS0_19identity_decomposerEEE10hipError_tT1_T2_PT3_SI_jT4_jjP12ihipStream_tbEUlT_E0_NS1_11comp_targetILNS1_3genE4ELNS1_11target_archE910ELNS1_3gpuE8ELNS1_3repE0EEENS1_52radix_sort_onesweep_histogram_config_static_selectorELNS0_4arch9wavefront6targetE1EEEvSG_
		.amdhsa_group_segment_fixed_size 0
		.amdhsa_private_segment_fixed_size 0
		.amdhsa_kernarg_size 8
		.amdhsa_user_sgpr_count 2
		.amdhsa_user_sgpr_dispatch_ptr 0
		.amdhsa_user_sgpr_queue_ptr 0
		.amdhsa_user_sgpr_kernarg_segment_ptr 1
		.amdhsa_user_sgpr_dispatch_id 0
		.amdhsa_user_sgpr_kernarg_preload_length 0
		.amdhsa_user_sgpr_kernarg_preload_offset 0
		.amdhsa_user_sgpr_private_segment_size 0
		.amdhsa_uses_dynamic_stack 0
		.amdhsa_enable_private_segment 0
		.amdhsa_system_sgpr_workgroup_id_x 1
		.amdhsa_system_sgpr_workgroup_id_y 0
		.amdhsa_system_sgpr_workgroup_id_z 0
		.amdhsa_system_sgpr_workgroup_info 0
		.amdhsa_system_vgpr_workitem_id 0
		.amdhsa_next_free_vgpr 1
		.amdhsa_next_free_sgpr 0
		.amdhsa_accum_offset 4
		.amdhsa_reserve_vcc 0
		.amdhsa_float_round_mode_32 0
		.amdhsa_float_round_mode_16_64 0
		.amdhsa_float_denorm_mode_32 3
		.amdhsa_float_denorm_mode_16_64 3
		.amdhsa_dx10_clamp 1
		.amdhsa_ieee_mode 1
		.amdhsa_fp16_overflow 0
		.amdhsa_tg_split 0
		.amdhsa_exception_fp_ieee_invalid_op 0
		.amdhsa_exception_fp_denorm_src 0
		.amdhsa_exception_fp_ieee_div_zero 0
		.amdhsa_exception_fp_ieee_overflow 0
		.amdhsa_exception_fp_ieee_underflow 0
		.amdhsa_exception_fp_ieee_inexact 0
		.amdhsa_exception_int_div_zero 0
	.end_amdhsa_kernel
	.section	.text._ZN7rocprim17ROCPRIM_400000_NS6detail17trampoline_kernelINS0_14default_configENS1_35radix_sort_onesweep_config_selectorIttEEZNS1_34radix_sort_onesweep_global_offsetsIS3_Lb0EN6thrust23THRUST_200600_302600_NS6detail15normal_iteratorINS8_10device_ptrItEEEESD_jNS0_19identity_decomposerEEE10hipError_tT1_T2_PT3_SI_jT4_jjP12ihipStream_tbEUlT_E0_NS1_11comp_targetILNS1_3genE4ELNS1_11target_archE910ELNS1_3gpuE8ELNS1_3repE0EEENS1_52radix_sort_onesweep_histogram_config_static_selectorELNS0_4arch9wavefront6targetE1EEEvSG_,"axG",@progbits,_ZN7rocprim17ROCPRIM_400000_NS6detail17trampoline_kernelINS0_14default_configENS1_35radix_sort_onesweep_config_selectorIttEEZNS1_34radix_sort_onesweep_global_offsetsIS3_Lb0EN6thrust23THRUST_200600_302600_NS6detail15normal_iteratorINS8_10device_ptrItEEEESD_jNS0_19identity_decomposerEEE10hipError_tT1_T2_PT3_SI_jT4_jjP12ihipStream_tbEUlT_E0_NS1_11comp_targetILNS1_3genE4ELNS1_11target_archE910ELNS1_3gpuE8ELNS1_3repE0EEENS1_52radix_sort_onesweep_histogram_config_static_selectorELNS0_4arch9wavefront6targetE1EEEvSG_,comdat
.Lfunc_end960:
	.size	_ZN7rocprim17ROCPRIM_400000_NS6detail17trampoline_kernelINS0_14default_configENS1_35radix_sort_onesweep_config_selectorIttEEZNS1_34radix_sort_onesweep_global_offsetsIS3_Lb0EN6thrust23THRUST_200600_302600_NS6detail15normal_iteratorINS8_10device_ptrItEEEESD_jNS0_19identity_decomposerEEE10hipError_tT1_T2_PT3_SI_jT4_jjP12ihipStream_tbEUlT_E0_NS1_11comp_targetILNS1_3genE4ELNS1_11target_archE910ELNS1_3gpuE8ELNS1_3repE0EEENS1_52radix_sort_onesweep_histogram_config_static_selectorELNS0_4arch9wavefront6targetE1EEEvSG_, .Lfunc_end960-_ZN7rocprim17ROCPRIM_400000_NS6detail17trampoline_kernelINS0_14default_configENS1_35radix_sort_onesweep_config_selectorIttEEZNS1_34radix_sort_onesweep_global_offsetsIS3_Lb0EN6thrust23THRUST_200600_302600_NS6detail15normal_iteratorINS8_10device_ptrItEEEESD_jNS0_19identity_decomposerEEE10hipError_tT1_T2_PT3_SI_jT4_jjP12ihipStream_tbEUlT_E0_NS1_11comp_targetILNS1_3genE4ELNS1_11target_archE910ELNS1_3gpuE8ELNS1_3repE0EEENS1_52radix_sort_onesweep_histogram_config_static_selectorELNS0_4arch9wavefront6targetE1EEEvSG_
                                        ; -- End function
	.set _ZN7rocprim17ROCPRIM_400000_NS6detail17trampoline_kernelINS0_14default_configENS1_35radix_sort_onesweep_config_selectorIttEEZNS1_34radix_sort_onesweep_global_offsetsIS3_Lb0EN6thrust23THRUST_200600_302600_NS6detail15normal_iteratorINS8_10device_ptrItEEEESD_jNS0_19identity_decomposerEEE10hipError_tT1_T2_PT3_SI_jT4_jjP12ihipStream_tbEUlT_E0_NS1_11comp_targetILNS1_3genE4ELNS1_11target_archE910ELNS1_3gpuE8ELNS1_3repE0EEENS1_52radix_sort_onesweep_histogram_config_static_selectorELNS0_4arch9wavefront6targetE1EEEvSG_.num_vgpr, 0
	.set _ZN7rocprim17ROCPRIM_400000_NS6detail17trampoline_kernelINS0_14default_configENS1_35radix_sort_onesweep_config_selectorIttEEZNS1_34radix_sort_onesweep_global_offsetsIS3_Lb0EN6thrust23THRUST_200600_302600_NS6detail15normal_iteratorINS8_10device_ptrItEEEESD_jNS0_19identity_decomposerEEE10hipError_tT1_T2_PT3_SI_jT4_jjP12ihipStream_tbEUlT_E0_NS1_11comp_targetILNS1_3genE4ELNS1_11target_archE910ELNS1_3gpuE8ELNS1_3repE0EEENS1_52radix_sort_onesweep_histogram_config_static_selectorELNS0_4arch9wavefront6targetE1EEEvSG_.num_agpr, 0
	.set _ZN7rocprim17ROCPRIM_400000_NS6detail17trampoline_kernelINS0_14default_configENS1_35radix_sort_onesweep_config_selectorIttEEZNS1_34radix_sort_onesweep_global_offsetsIS3_Lb0EN6thrust23THRUST_200600_302600_NS6detail15normal_iteratorINS8_10device_ptrItEEEESD_jNS0_19identity_decomposerEEE10hipError_tT1_T2_PT3_SI_jT4_jjP12ihipStream_tbEUlT_E0_NS1_11comp_targetILNS1_3genE4ELNS1_11target_archE910ELNS1_3gpuE8ELNS1_3repE0EEENS1_52radix_sort_onesweep_histogram_config_static_selectorELNS0_4arch9wavefront6targetE1EEEvSG_.numbered_sgpr, 0
	.set _ZN7rocprim17ROCPRIM_400000_NS6detail17trampoline_kernelINS0_14default_configENS1_35radix_sort_onesweep_config_selectorIttEEZNS1_34radix_sort_onesweep_global_offsetsIS3_Lb0EN6thrust23THRUST_200600_302600_NS6detail15normal_iteratorINS8_10device_ptrItEEEESD_jNS0_19identity_decomposerEEE10hipError_tT1_T2_PT3_SI_jT4_jjP12ihipStream_tbEUlT_E0_NS1_11comp_targetILNS1_3genE4ELNS1_11target_archE910ELNS1_3gpuE8ELNS1_3repE0EEENS1_52radix_sort_onesweep_histogram_config_static_selectorELNS0_4arch9wavefront6targetE1EEEvSG_.num_named_barrier, 0
	.set _ZN7rocprim17ROCPRIM_400000_NS6detail17trampoline_kernelINS0_14default_configENS1_35radix_sort_onesweep_config_selectorIttEEZNS1_34radix_sort_onesweep_global_offsetsIS3_Lb0EN6thrust23THRUST_200600_302600_NS6detail15normal_iteratorINS8_10device_ptrItEEEESD_jNS0_19identity_decomposerEEE10hipError_tT1_T2_PT3_SI_jT4_jjP12ihipStream_tbEUlT_E0_NS1_11comp_targetILNS1_3genE4ELNS1_11target_archE910ELNS1_3gpuE8ELNS1_3repE0EEENS1_52radix_sort_onesweep_histogram_config_static_selectorELNS0_4arch9wavefront6targetE1EEEvSG_.private_seg_size, 0
	.set _ZN7rocprim17ROCPRIM_400000_NS6detail17trampoline_kernelINS0_14default_configENS1_35radix_sort_onesweep_config_selectorIttEEZNS1_34radix_sort_onesweep_global_offsetsIS3_Lb0EN6thrust23THRUST_200600_302600_NS6detail15normal_iteratorINS8_10device_ptrItEEEESD_jNS0_19identity_decomposerEEE10hipError_tT1_T2_PT3_SI_jT4_jjP12ihipStream_tbEUlT_E0_NS1_11comp_targetILNS1_3genE4ELNS1_11target_archE910ELNS1_3gpuE8ELNS1_3repE0EEENS1_52radix_sort_onesweep_histogram_config_static_selectorELNS0_4arch9wavefront6targetE1EEEvSG_.uses_vcc, 0
	.set _ZN7rocprim17ROCPRIM_400000_NS6detail17trampoline_kernelINS0_14default_configENS1_35radix_sort_onesweep_config_selectorIttEEZNS1_34radix_sort_onesweep_global_offsetsIS3_Lb0EN6thrust23THRUST_200600_302600_NS6detail15normal_iteratorINS8_10device_ptrItEEEESD_jNS0_19identity_decomposerEEE10hipError_tT1_T2_PT3_SI_jT4_jjP12ihipStream_tbEUlT_E0_NS1_11comp_targetILNS1_3genE4ELNS1_11target_archE910ELNS1_3gpuE8ELNS1_3repE0EEENS1_52radix_sort_onesweep_histogram_config_static_selectorELNS0_4arch9wavefront6targetE1EEEvSG_.uses_flat_scratch, 0
	.set _ZN7rocprim17ROCPRIM_400000_NS6detail17trampoline_kernelINS0_14default_configENS1_35radix_sort_onesweep_config_selectorIttEEZNS1_34radix_sort_onesweep_global_offsetsIS3_Lb0EN6thrust23THRUST_200600_302600_NS6detail15normal_iteratorINS8_10device_ptrItEEEESD_jNS0_19identity_decomposerEEE10hipError_tT1_T2_PT3_SI_jT4_jjP12ihipStream_tbEUlT_E0_NS1_11comp_targetILNS1_3genE4ELNS1_11target_archE910ELNS1_3gpuE8ELNS1_3repE0EEENS1_52radix_sort_onesweep_histogram_config_static_selectorELNS0_4arch9wavefront6targetE1EEEvSG_.has_dyn_sized_stack, 0
	.set _ZN7rocprim17ROCPRIM_400000_NS6detail17trampoline_kernelINS0_14default_configENS1_35radix_sort_onesweep_config_selectorIttEEZNS1_34radix_sort_onesweep_global_offsetsIS3_Lb0EN6thrust23THRUST_200600_302600_NS6detail15normal_iteratorINS8_10device_ptrItEEEESD_jNS0_19identity_decomposerEEE10hipError_tT1_T2_PT3_SI_jT4_jjP12ihipStream_tbEUlT_E0_NS1_11comp_targetILNS1_3genE4ELNS1_11target_archE910ELNS1_3gpuE8ELNS1_3repE0EEENS1_52radix_sort_onesweep_histogram_config_static_selectorELNS0_4arch9wavefront6targetE1EEEvSG_.has_recursion, 0
	.set _ZN7rocprim17ROCPRIM_400000_NS6detail17trampoline_kernelINS0_14default_configENS1_35radix_sort_onesweep_config_selectorIttEEZNS1_34radix_sort_onesweep_global_offsetsIS3_Lb0EN6thrust23THRUST_200600_302600_NS6detail15normal_iteratorINS8_10device_ptrItEEEESD_jNS0_19identity_decomposerEEE10hipError_tT1_T2_PT3_SI_jT4_jjP12ihipStream_tbEUlT_E0_NS1_11comp_targetILNS1_3genE4ELNS1_11target_archE910ELNS1_3gpuE8ELNS1_3repE0EEENS1_52radix_sort_onesweep_histogram_config_static_selectorELNS0_4arch9wavefront6targetE1EEEvSG_.has_indirect_call, 0
	.section	.AMDGPU.csdata,"",@progbits
; Kernel info:
; codeLenInByte = 0
; TotalNumSgprs: 6
; NumVgprs: 0
; NumAgprs: 0
; TotalNumVgprs: 0
; ScratchSize: 0
; MemoryBound: 0
; FloatMode: 240
; IeeeMode: 1
; LDSByteSize: 0 bytes/workgroup (compile time only)
; SGPRBlocks: 0
; VGPRBlocks: 0
; NumSGPRsForWavesPerEU: 6
; NumVGPRsForWavesPerEU: 1
; AccumOffset: 4
; Occupancy: 8
; WaveLimiterHint : 0
; COMPUTE_PGM_RSRC2:SCRATCH_EN: 0
; COMPUTE_PGM_RSRC2:USER_SGPR: 2
; COMPUTE_PGM_RSRC2:TRAP_HANDLER: 0
; COMPUTE_PGM_RSRC2:TGID_X_EN: 1
; COMPUTE_PGM_RSRC2:TGID_Y_EN: 0
; COMPUTE_PGM_RSRC2:TGID_Z_EN: 0
; COMPUTE_PGM_RSRC2:TIDIG_COMP_CNT: 0
; COMPUTE_PGM_RSRC3_GFX90A:ACCUM_OFFSET: 0
; COMPUTE_PGM_RSRC3_GFX90A:TG_SPLIT: 0
	.section	.text._ZN7rocprim17ROCPRIM_400000_NS6detail17trampoline_kernelINS0_14default_configENS1_35radix_sort_onesweep_config_selectorIttEEZNS1_34radix_sort_onesweep_global_offsetsIS3_Lb0EN6thrust23THRUST_200600_302600_NS6detail15normal_iteratorINS8_10device_ptrItEEEESD_jNS0_19identity_decomposerEEE10hipError_tT1_T2_PT3_SI_jT4_jjP12ihipStream_tbEUlT_E0_NS1_11comp_targetILNS1_3genE3ELNS1_11target_archE908ELNS1_3gpuE7ELNS1_3repE0EEENS1_52radix_sort_onesweep_histogram_config_static_selectorELNS0_4arch9wavefront6targetE1EEEvSG_,"axG",@progbits,_ZN7rocprim17ROCPRIM_400000_NS6detail17trampoline_kernelINS0_14default_configENS1_35radix_sort_onesweep_config_selectorIttEEZNS1_34radix_sort_onesweep_global_offsetsIS3_Lb0EN6thrust23THRUST_200600_302600_NS6detail15normal_iteratorINS8_10device_ptrItEEEESD_jNS0_19identity_decomposerEEE10hipError_tT1_T2_PT3_SI_jT4_jjP12ihipStream_tbEUlT_E0_NS1_11comp_targetILNS1_3genE3ELNS1_11target_archE908ELNS1_3gpuE7ELNS1_3repE0EEENS1_52radix_sort_onesweep_histogram_config_static_selectorELNS0_4arch9wavefront6targetE1EEEvSG_,comdat
	.protected	_ZN7rocprim17ROCPRIM_400000_NS6detail17trampoline_kernelINS0_14default_configENS1_35radix_sort_onesweep_config_selectorIttEEZNS1_34radix_sort_onesweep_global_offsetsIS3_Lb0EN6thrust23THRUST_200600_302600_NS6detail15normal_iteratorINS8_10device_ptrItEEEESD_jNS0_19identity_decomposerEEE10hipError_tT1_T2_PT3_SI_jT4_jjP12ihipStream_tbEUlT_E0_NS1_11comp_targetILNS1_3genE3ELNS1_11target_archE908ELNS1_3gpuE7ELNS1_3repE0EEENS1_52radix_sort_onesweep_histogram_config_static_selectorELNS0_4arch9wavefront6targetE1EEEvSG_ ; -- Begin function _ZN7rocprim17ROCPRIM_400000_NS6detail17trampoline_kernelINS0_14default_configENS1_35radix_sort_onesweep_config_selectorIttEEZNS1_34radix_sort_onesweep_global_offsetsIS3_Lb0EN6thrust23THRUST_200600_302600_NS6detail15normal_iteratorINS8_10device_ptrItEEEESD_jNS0_19identity_decomposerEEE10hipError_tT1_T2_PT3_SI_jT4_jjP12ihipStream_tbEUlT_E0_NS1_11comp_targetILNS1_3genE3ELNS1_11target_archE908ELNS1_3gpuE7ELNS1_3repE0EEENS1_52radix_sort_onesweep_histogram_config_static_selectorELNS0_4arch9wavefront6targetE1EEEvSG_
	.globl	_ZN7rocprim17ROCPRIM_400000_NS6detail17trampoline_kernelINS0_14default_configENS1_35radix_sort_onesweep_config_selectorIttEEZNS1_34radix_sort_onesweep_global_offsetsIS3_Lb0EN6thrust23THRUST_200600_302600_NS6detail15normal_iteratorINS8_10device_ptrItEEEESD_jNS0_19identity_decomposerEEE10hipError_tT1_T2_PT3_SI_jT4_jjP12ihipStream_tbEUlT_E0_NS1_11comp_targetILNS1_3genE3ELNS1_11target_archE908ELNS1_3gpuE7ELNS1_3repE0EEENS1_52radix_sort_onesweep_histogram_config_static_selectorELNS0_4arch9wavefront6targetE1EEEvSG_
	.p2align	8
	.type	_ZN7rocprim17ROCPRIM_400000_NS6detail17trampoline_kernelINS0_14default_configENS1_35radix_sort_onesweep_config_selectorIttEEZNS1_34radix_sort_onesweep_global_offsetsIS3_Lb0EN6thrust23THRUST_200600_302600_NS6detail15normal_iteratorINS8_10device_ptrItEEEESD_jNS0_19identity_decomposerEEE10hipError_tT1_T2_PT3_SI_jT4_jjP12ihipStream_tbEUlT_E0_NS1_11comp_targetILNS1_3genE3ELNS1_11target_archE908ELNS1_3gpuE7ELNS1_3repE0EEENS1_52radix_sort_onesweep_histogram_config_static_selectorELNS0_4arch9wavefront6targetE1EEEvSG_,@function
_ZN7rocprim17ROCPRIM_400000_NS6detail17trampoline_kernelINS0_14default_configENS1_35radix_sort_onesweep_config_selectorIttEEZNS1_34radix_sort_onesweep_global_offsetsIS3_Lb0EN6thrust23THRUST_200600_302600_NS6detail15normal_iteratorINS8_10device_ptrItEEEESD_jNS0_19identity_decomposerEEE10hipError_tT1_T2_PT3_SI_jT4_jjP12ihipStream_tbEUlT_E0_NS1_11comp_targetILNS1_3genE3ELNS1_11target_archE908ELNS1_3gpuE7ELNS1_3repE0EEENS1_52radix_sort_onesweep_histogram_config_static_selectorELNS0_4arch9wavefront6targetE1EEEvSG_: ; @_ZN7rocprim17ROCPRIM_400000_NS6detail17trampoline_kernelINS0_14default_configENS1_35radix_sort_onesweep_config_selectorIttEEZNS1_34radix_sort_onesweep_global_offsetsIS3_Lb0EN6thrust23THRUST_200600_302600_NS6detail15normal_iteratorINS8_10device_ptrItEEEESD_jNS0_19identity_decomposerEEE10hipError_tT1_T2_PT3_SI_jT4_jjP12ihipStream_tbEUlT_E0_NS1_11comp_targetILNS1_3genE3ELNS1_11target_archE908ELNS1_3gpuE7ELNS1_3repE0EEENS1_52radix_sort_onesweep_histogram_config_static_selectorELNS0_4arch9wavefront6targetE1EEEvSG_
; %bb.0:
	.section	.rodata,"a",@progbits
	.p2align	6, 0x0
	.amdhsa_kernel _ZN7rocprim17ROCPRIM_400000_NS6detail17trampoline_kernelINS0_14default_configENS1_35radix_sort_onesweep_config_selectorIttEEZNS1_34radix_sort_onesweep_global_offsetsIS3_Lb0EN6thrust23THRUST_200600_302600_NS6detail15normal_iteratorINS8_10device_ptrItEEEESD_jNS0_19identity_decomposerEEE10hipError_tT1_T2_PT3_SI_jT4_jjP12ihipStream_tbEUlT_E0_NS1_11comp_targetILNS1_3genE3ELNS1_11target_archE908ELNS1_3gpuE7ELNS1_3repE0EEENS1_52radix_sort_onesweep_histogram_config_static_selectorELNS0_4arch9wavefront6targetE1EEEvSG_
		.amdhsa_group_segment_fixed_size 0
		.amdhsa_private_segment_fixed_size 0
		.amdhsa_kernarg_size 8
		.amdhsa_user_sgpr_count 2
		.amdhsa_user_sgpr_dispatch_ptr 0
		.amdhsa_user_sgpr_queue_ptr 0
		.amdhsa_user_sgpr_kernarg_segment_ptr 1
		.amdhsa_user_sgpr_dispatch_id 0
		.amdhsa_user_sgpr_kernarg_preload_length 0
		.amdhsa_user_sgpr_kernarg_preload_offset 0
		.amdhsa_user_sgpr_private_segment_size 0
		.amdhsa_uses_dynamic_stack 0
		.amdhsa_enable_private_segment 0
		.amdhsa_system_sgpr_workgroup_id_x 1
		.amdhsa_system_sgpr_workgroup_id_y 0
		.amdhsa_system_sgpr_workgroup_id_z 0
		.amdhsa_system_sgpr_workgroup_info 0
		.amdhsa_system_vgpr_workitem_id 0
		.amdhsa_next_free_vgpr 1
		.amdhsa_next_free_sgpr 0
		.amdhsa_accum_offset 4
		.amdhsa_reserve_vcc 0
		.amdhsa_float_round_mode_32 0
		.amdhsa_float_round_mode_16_64 0
		.amdhsa_float_denorm_mode_32 3
		.amdhsa_float_denorm_mode_16_64 3
		.amdhsa_dx10_clamp 1
		.amdhsa_ieee_mode 1
		.amdhsa_fp16_overflow 0
		.amdhsa_tg_split 0
		.amdhsa_exception_fp_ieee_invalid_op 0
		.amdhsa_exception_fp_denorm_src 0
		.amdhsa_exception_fp_ieee_div_zero 0
		.amdhsa_exception_fp_ieee_overflow 0
		.amdhsa_exception_fp_ieee_underflow 0
		.amdhsa_exception_fp_ieee_inexact 0
		.amdhsa_exception_int_div_zero 0
	.end_amdhsa_kernel
	.section	.text._ZN7rocprim17ROCPRIM_400000_NS6detail17trampoline_kernelINS0_14default_configENS1_35radix_sort_onesweep_config_selectorIttEEZNS1_34radix_sort_onesweep_global_offsetsIS3_Lb0EN6thrust23THRUST_200600_302600_NS6detail15normal_iteratorINS8_10device_ptrItEEEESD_jNS0_19identity_decomposerEEE10hipError_tT1_T2_PT3_SI_jT4_jjP12ihipStream_tbEUlT_E0_NS1_11comp_targetILNS1_3genE3ELNS1_11target_archE908ELNS1_3gpuE7ELNS1_3repE0EEENS1_52radix_sort_onesweep_histogram_config_static_selectorELNS0_4arch9wavefront6targetE1EEEvSG_,"axG",@progbits,_ZN7rocprim17ROCPRIM_400000_NS6detail17trampoline_kernelINS0_14default_configENS1_35radix_sort_onesweep_config_selectorIttEEZNS1_34radix_sort_onesweep_global_offsetsIS3_Lb0EN6thrust23THRUST_200600_302600_NS6detail15normal_iteratorINS8_10device_ptrItEEEESD_jNS0_19identity_decomposerEEE10hipError_tT1_T2_PT3_SI_jT4_jjP12ihipStream_tbEUlT_E0_NS1_11comp_targetILNS1_3genE3ELNS1_11target_archE908ELNS1_3gpuE7ELNS1_3repE0EEENS1_52radix_sort_onesweep_histogram_config_static_selectorELNS0_4arch9wavefront6targetE1EEEvSG_,comdat
.Lfunc_end961:
	.size	_ZN7rocprim17ROCPRIM_400000_NS6detail17trampoline_kernelINS0_14default_configENS1_35radix_sort_onesweep_config_selectorIttEEZNS1_34radix_sort_onesweep_global_offsetsIS3_Lb0EN6thrust23THRUST_200600_302600_NS6detail15normal_iteratorINS8_10device_ptrItEEEESD_jNS0_19identity_decomposerEEE10hipError_tT1_T2_PT3_SI_jT4_jjP12ihipStream_tbEUlT_E0_NS1_11comp_targetILNS1_3genE3ELNS1_11target_archE908ELNS1_3gpuE7ELNS1_3repE0EEENS1_52radix_sort_onesweep_histogram_config_static_selectorELNS0_4arch9wavefront6targetE1EEEvSG_, .Lfunc_end961-_ZN7rocprim17ROCPRIM_400000_NS6detail17trampoline_kernelINS0_14default_configENS1_35radix_sort_onesweep_config_selectorIttEEZNS1_34radix_sort_onesweep_global_offsetsIS3_Lb0EN6thrust23THRUST_200600_302600_NS6detail15normal_iteratorINS8_10device_ptrItEEEESD_jNS0_19identity_decomposerEEE10hipError_tT1_T2_PT3_SI_jT4_jjP12ihipStream_tbEUlT_E0_NS1_11comp_targetILNS1_3genE3ELNS1_11target_archE908ELNS1_3gpuE7ELNS1_3repE0EEENS1_52radix_sort_onesweep_histogram_config_static_selectorELNS0_4arch9wavefront6targetE1EEEvSG_
                                        ; -- End function
	.set _ZN7rocprim17ROCPRIM_400000_NS6detail17trampoline_kernelINS0_14default_configENS1_35radix_sort_onesweep_config_selectorIttEEZNS1_34radix_sort_onesweep_global_offsetsIS3_Lb0EN6thrust23THRUST_200600_302600_NS6detail15normal_iteratorINS8_10device_ptrItEEEESD_jNS0_19identity_decomposerEEE10hipError_tT1_T2_PT3_SI_jT4_jjP12ihipStream_tbEUlT_E0_NS1_11comp_targetILNS1_3genE3ELNS1_11target_archE908ELNS1_3gpuE7ELNS1_3repE0EEENS1_52radix_sort_onesweep_histogram_config_static_selectorELNS0_4arch9wavefront6targetE1EEEvSG_.num_vgpr, 0
	.set _ZN7rocprim17ROCPRIM_400000_NS6detail17trampoline_kernelINS0_14default_configENS1_35radix_sort_onesweep_config_selectorIttEEZNS1_34radix_sort_onesweep_global_offsetsIS3_Lb0EN6thrust23THRUST_200600_302600_NS6detail15normal_iteratorINS8_10device_ptrItEEEESD_jNS0_19identity_decomposerEEE10hipError_tT1_T2_PT3_SI_jT4_jjP12ihipStream_tbEUlT_E0_NS1_11comp_targetILNS1_3genE3ELNS1_11target_archE908ELNS1_3gpuE7ELNS1_3repE0EEENS1_52radix_sort_onesweep_histogram_config_static_selectorELNS0_4arch9wavefront6targetE1EEEvSG_.num_agpr, 0
	.set _ZN7rocprim17ROCPRIM_400000_NS6detail17trampoline_kernelINS0_14default_configENS1_35radix_sort_onesweep_config_selectorIttEEZNS1_34radix_sort_onesweep_global_offsetsIS3_Lb0EN6thrust23THRUST_200600_302600_NS6detail15normal_iteratorINS8_10device_ptrItEEEESD_jNS0_19identity_decomposerEEE10hipError_tT1_T2_PT3_SI_jT4_jjP12ihipStream_tbEUlT_E0_NS1_11comp_targetILNS1_3genE3ELNS1_11target_archE908ELNS1_3gpuE7ELNS1_3repE0EEENS1_52radix_sort_onesweep_histogram_config_static_selectorELNS0_4arch9wavefront6targetE1EEEvSG_.numbered_sgpr, 0
	.set _ZN7rocprim17ROCPRIM_400000_NS6detail17trampoline_kernelINS0_14default_configENS1_35radix_sort_onesweep_config_selectorIttEEZNS1_34radix_sort_onesweep_global_offsetsIS3_Lb0EN6thrust23THRUST_200600_302600_NS6detail15normal_iteratorINS8_10device_ptrItEEEESD_jNS0_19identity_decomposerEEE10hipError_tT1_T2_PT3_SI_jT4_jjP12ihipStream_tbEUlT_E0_NS1_11comp_targetILNS1_3genE3ELNS1_11target_archE908ELNS1_3gpuE7ELNS1_3repE0EEENS1_52radix_sort_onesweep_histogram_config_static_selectorELNS0_4arch9wavefront6targetE1EEEvSG_.num_named_barrier, 0
	.set _ZN7rocprim17ROCPRIM_400000_NS6detail17trampoline_kernelINS0_14default_configENS1_35radix_sort_onesweep_config_selectorIttEEZNS1_34radix_sort_onesweep_global_offsetsIS3_Lb0EN6thrust23THRUST_200600_302600_NS6detail15normal_iteratorINS8_10device_ptrItEEEESD_jNS0_19identity_decomposerEEE10hipError_tT1_T2_PT3_SI_jT4_jjP12ihipStream_tbEUlT_E0_NS1_11comp_targetILNS1_3genE3ELNS1_11target_archE908ELNS1_3gpuE7ELNS1_3repE0EEENS1_52radix_sort_onesweep_histogram_config_static_selectorELNS0_4arch9wavefront6targetE1EEEvSG_.private_seg_size, 0
	.set _ZN7rocprim17ROCPRIM_400000_NS6detail17trampoline_kernelINS0_14default_configENS1_35radix_sort_onesweep_config_selectorIttEEZNS1_34radix_sort_onesweep_global_offsetsIS3_Lb0EN6thrust23THRUST_200600_302600_NS6detail15normal_iteratorINS8_10device_ptrItEEEESD_jNS0_19identity_decomposerEEE10hipError_tT1_T2_PT3_SI_jT4_jjP12ihipStream_tbEUlT_E0_NS1_11comp_targetILNS1_3genE3ELNS1_11target_archE908ELNS1_3gpuE7ELNS1_3repE0EEENS1_52radix_sort_onesweep_histogram_config_static_selectorELNS0_4arch9wavefront6targetE1EEEvSG_.uses_vcc, 0
	.set _ZN7rocprim17ROCPRIM_400000_NS6detail17trampoline_kernelINS0_14default_configENS1_35radix_sort_onesweep_config_selectorIttEEZNS1_34radix_sort_onesweep_global_offsetsIS3_Lb0EN6thrust23THRUST_200600_302600_NS6detail15normal_iteratorINS8_10device_ptrItEEEESD_jNS0_19identity_decomposerEEE10hipError_tT1_T2_PT3_SI_jT4_jjP12ihipStream_tbEUlT_E0_NS1_11comp_targetILNS1_3genE3ELNS1_11target_archE908ELNS1_3gpuE7ELNS1_3repE0EEENS1_52radix_sort_onesweep_histogram_config_static_selectorELNS0_4arch9wavefront6targetE1EEEvSG_.uses_flat_scratch, 0
	.set _ZN7rocprim17ROCPRIM_400000_NS6detail17trampoline_kernelINS0_14default_configENS1_35radix_sort_onesweep_config_selectorIttEEZNS1_34radix_sort_onesweep_global_offsetsIS3_Lb0EN6thrust23THRUST_200600_302600_NS6detail15normal_iteratorINS8_10device_ptrItEEEESD_jNS0_19identity_decomposerEEE10hipError_tT1_T2_PT3_SI_jT4_jjP12ihipStream_tbEUlT_E0_NS1_11comp_targetILNS1_3genE3ELNS1_11target_archE908ELNS1_3gpuE7ELNS1_3repE0EEENS1_52radix_sort_onesweep_histogram_config_static_selectorELNS0_4arch9wavefront6targetE1EEEvSG_.has_dyn_sized_stack, 0
	.set _ZN7rocprim17ROCPRIM_400000_NS6detail17trampoline_kernelINS0_14default_configENS1_35radix_sort_onesweep_config_selectorIttEEZNS1_34radix_sort_onesweep_global_offsetsIS3_Lb0EN6thrust23THRUST_200600_302600_NS6detail15normal_iteratorINS8_10device_ptrItEEEESD_jNS0_19identity_decomposerEEE10hipError_tT1_T2_PT3_SI_jT4_jjP12ihipStream_tbEUlT_E0_NS1_11comp_targetILNS1_3genE3ELNS1_11target_archE908ELNS1_3gpuE7ELNS1_3repE0EEENS1_52radix_sort_onesweep_histogram_config_static_selectorELNS0_4arch9wavefront6targetE1EEEvSG_.has_recursion, 0
	.set _ZN7rocprim17ROCPRIM_400000_NS6detail17trampoline_kernelINS0_14default_configENS1_35radix_sort_onesweep_config_selectorIttEEZNS1_34radix_sort_onesweep_global_offsetsIS3_Lb0EN6thrust23THRUST_200600_302600_NS6detail15normal_iteratorINS8_10device_ptrItEEEESD_jNS0_19identity_decomposerEEE10hipError_tT1_T2_PT3_SI_jT4_jjP12ihipStream_tbEUlT_E0_NS1_11comp_targetILNS1_3genE3ELNS1_11target_archE908ELNS1_3gpuE7ELNS1_3repE0EEENS1_52radix_sort_onesweep_histogram_config_static_selectorELNS0_4arch9wavefront6targetE1EEEvSG_.has_indirect_call, 0
	.section	.AMDGPU.csdata,"",@progbits
; Kernel info:
; codeLenInByte = 0
; TotalNumSgprs: 6
; NumVgprs: 0
; NumAgprs: 0
; TotalNumVgprs: 0
; ScratchSize: 0
; MemoryBound: 0
; FloatMode: 240
; IeeeMode: 1
; LDSByteSize: 0 bytes/workgroup (compile time only)
; SGPRBlocks: 0
; VGPRBlocks: 0
; NumSGPRsForWavesPerEU: 6
; NumVGPRsForWavesPerEU: 1
; AccumOffset: 4
; Occupancy: 8
; WaveLimiterHint : 0
; COMPUTE_PGM_RSRC2:SCRATCH_EN: 0
; COMPUTE_PGM_RSRC2:USER_SGPR: 2
; COMPUTE_PGM_RSRC2:TRAP_HANDLER: 0
; COMPUTE_PGM_RSRC2:TGID_X_EN: 1
; COMPUTE_PGM_RSRC2:TGID_Y_EN: 0
; COMPUTE_PGM_RSRC2:TGID_Z_EN: 0
; COMPUTE_PGM_RSRC2:TIDIG_COMP_CNT: 0
; COMPUTE_PGM_RSRC3_GFX90A:ACCUM_OFFSET: 0
; COMPUTE_PGM_RSRC3_GFX90A:TG_SPLIT: 0
	.section	.text._ZN7rocprim17ROCPRIM_400000_NS6detail17trampoline_kernelINS0_14default_configENS1_35radix_sort_onesweep_config_selectorIttEEZNS1_34radix_sort_onesweep_global_offsetsIS3_Lb0EN6thrust23THRUST_200600_302600_NS6detail15normal_iteratorINS8_10device_ptrItEEEESD_jNS0_19identity_decomposerEEE10hipError_tT1_T2_PT3_SI_jT4_jjP12ihipStream_tbEUlT_E0_NS1_11comp_targetILNS1_3genE10ELNS1_11target_archE1201ELNS1_3gpuE5ELNS1_3repE0EEENS1_52radix_sort_onesweep_histogram_config_static_selectorELNS0_4arch9wavefront6targetE1EEEvSG_,"axG",@progbits,_ZN7rocprim17ROCPRIM_400000_NS6detail17trampoline_kernelINS0_14default_configENS1_35radix_sort_onesweep_config_selectorIttEEZNS1_34radix_sort_onesweep_global_offsetsIS3_Lb0EN6thrust23THRUST_200600_302600_NS6detail15normal_iteratorINS8_10device_ptrItEEEESD_jNS0_19identity_decomposerEEE10hipError_tT1_T2_PT3_SI_jT4_jjP12ihipStream_tbEUlT_E0_NS1_11comp_targetILNS1_3genE10ELNS1_11target_archE1201ELNS1_3gpuE5ELNS1_3repE0EEENS1_52radix_sort_onesweep_histogram_config_static_selectorELNS0_4arch9wavefront6targetE1EEEvSG_,comdat
	.protected	_ZN7rocprim17ROCPRIM_400000_NS6detail17trampoline_kernelINS0_14default_configENS1_35radix_sort_onesweep_config_selectorIttEEZNS1_34radix_sort_onesweep_global_offsetsIS3_Lb0EN6thrust23THRUST_200600_302600_NS6detail15normal_iteratorINS8_10device_ptrItEEEESD_jNS0_19identity_decomposerEEE10hipError_tT1_T2_PT3_SI_jT4_jjP12ihipStream_tbEUlT_E0_NS1_11comp_targetILNS1_3genE10ELNS1_11target_archE1201ELNS1_3gpuE5ELNS1_3repE0EEENS1_52radix_sort_onesweep_histogram_config_static_selectorELNS0_4arch9wavefront6targetE1EEEvSG_ ; -- Begin function _ZN7rocprim17ROCPRIM_400000_NS6detail17trampoline_kernelINS0_14default_configENS1_35radix_sort_onesweep_config_selectorIttEEZNS1_34radix_sort_onesweep_global_offsetsIS3_Lb0EN6thrust23THRUST_200600_302600_NS6detail15normal_iteratorINS8_10device_ptrItEEEESD_jNS0_19identity_decomposerEEE10hipError_tT1_T2_PT3_SI_jT4_jjP12ihipStream_tbEUlT_E0_NS1_11comp_targetILNS1_3genE10ELNS1_11target_archE1201ELNS1_3gpuE5ELNS1_3repE0EEENS1_52radix_sort_onesweep_histogram_config_static_selectorELNS0_4arch9wavefront6targetE1EEEvSG_
	.globl	_ZN7rocprim17ROCPRIM_400000_NS6detail17trampoline_kernelINS0_14default_configENS1_35radix_sort_onesweep_config_selectorIttEEZNS1_34radix_sort_onesweep_global_offsetsIS3_Lb0EN6thrust23THRUST_200600_302600_NS6detail15normal_iteratorINS8_10device_ptrItEEEESD_jNS0_19identity_decomposerEEE10hipError_tT1_T2_PT3_SI_jT4_jjP12ihipStream_tbEUlT_E0_NS1_11comp_targetILNS1_3genE10ELNS1_11target_archE1201ELNS1_3gpuE5ELNS1_3repE0EEENS1_52radix_sort_onesweep_histogram_config_static_selectorELNS0_4arch9wavefront6targetE1EEEvSG_
	.p2align	8
	.type	_ZN7rocprim17ROCPRIM_400000_NS6detail17trampoline_kernelINS0_14default_configENS1_35radix_sort_onesweep_config_selectorIttEEZNS1_34radix_sort_onesweep_global_offsetsIS3_Lb0EN6thrust23THRUST_200600_302600_NS6detail15normal_iteratorINS8_10device_ptrItEEEESD_jNS0_19identity_decomposerEEE10hipError_tT1_T2_PT3_SI_jT4_jjP12ihipStream_tbEUlT_E0_NS1_11comp_targetILNS1_3genE10ELNS1_11target_archE1201ELNS1_3gpuE5ELNS1_3repE0EEENS1_52radix_sort_onesweep_histogram_config_static_selectorELNS0_4arch9wavefront6targetE1EEEvSG_,@function
_ZN7rocprim17ROCPRIM_400000_NS6detail17trampoline_kernelINS0_14default_configENS1_35radix_sort_onesweep_config_selectorIttEEZNS1_34radix_sort_onesweep_global_offsetsIS3_Lb0EN6thrust23THRUST_200600_302600_NS6detail15normal_iteratorINS8_10device_ptrItEEEESD_jNS0_19identity_decomposerEEE10hipError_tT1_T2_PT3_SI_jT4_jjP12ihipStream_tbEUlT_E0_NS1_11comp_targetILNS1_3genE10ELNS1_11target_archE1201ELNS1_3gpuE5ELNS1_3repE0EEENS1_52radix_sort_onesweep_histogram_config_static_selectorELNS0_4arch9wavefront6targetE1EEEvSG_: ; @_ZN7rocprim17ROCPRIM_400000_NS6detail17trampoline_kernelINS0_14default_configENS1_35radix_sort_onesweep_config_selectorIttEEZNS1_34radix_sort_onesweep_global_offsetsIS3_Lb0EN6thrust23THRUST_200600_302600_NS6detail15normal_iteratorINS8_10device_ptrItEEEESD_jNS0_19identity_decomposerEEE10hipError_tT1_T2_PT3_SI_jT4_jjP12ihipStream_tbEUlT_E0_NS1_11comp_targetILNS1_3genE10ELNS1_11target_archE1201ELNS1_3gpuE5ELNS1_3repE0EEENS1_52radix_sort_onesweep_histogram_config_static_selectorELNS0_4arch9wavefront6targetE1EEEvSG_
; %bb.0:
	.section	.rodata,"a",@progbits
	.p2align	6, 0x0
	.amdhsa_kernel _ZN7rocprim17ROCPRIM_400000_NS6detail17trampoline_kernelINS0_14default_configENS1_35radix_sort_onesweep_config_selectorIttEEZNS1_34radix_sort_onesweep_global_offsetsIS3_Lb0EN6thrust23THRUST_200600_302600_NS6detail15normal_iteratorINS8_10device_ptrItEEEESD_jNS0_19identity_decomposerEEE10hipError_tT1_T2_PT3_SI_jT4_jjP12ihipStream_tbEUlT_E0_NS1_11comp_targetILNS1_3genE10ELNS1_11target_archE1201ELNS1_3gpuE5ELNS1_3repE0EEENS1_52radix_sort_onesweep_histogram_config_static_selectorELNS0_4arch9wavefront6targetE1EEEvSG_
		.amdhsa_group_segment_fixed_size 0
		.amdhsa_private_segment_fixed_size 0
		.amdhsa_kernarg_size 8
		.amdhsa_user_sgpr_count 2
		.amdhsa_user_sgpr_dispatch_ptr 0
		.amdhsa_user_sgpr_queue_ptr 0
		.amdhsa_user_sgpr_kernarg_segment_ptr 1
		.amdhsa_user_sgpr_dispatch_id 0
		.amdhsa_user_sgpr_kernarg_preload_length 0
		.amdhsa_user_sgpr_kernarg_preload_offset 0
		.amdhsa_user_sgpr_private_segment_size 0
		.amdhsa_uses_dynamic_stack 0
		.amdhsa_enable_private_segment 0
		.amdhsa_system_sgpr_workgroup_id_x 1
		.amdhsa_system_sgpr_workgroup_id_y 0
		.amdhsa_system_sgpr_workgroup_id_z 0
		.amdhsa_system_sgpr_workgroup_info 0
		.amdhsa_system_vgpr_workitem_id 0
		.amdhsa_next_free_vgpr 1
		.amdhsa_next_free_sgpr 0
		.amdhsa_accum_offset 4
		.amdhsa_reserve_vcc 0
		.amdhsa_float_round_mode_32 0
		.amdhsa_float_round_mode_16_64 0
		.amdhsa_float_denorm_mode_32 3
		.amdhsa_float_denorm_mode_16_64 3
		.amdhsa_dx10_clamp 1
		.amdhsa_ieee_mode 1
		.amdhsa_fp16_overflow 0
		.amdhsa_tg_split 0
		.amdhsa_exception_fp_ieee_invalid_op 0
		.amdhsa_exception_fp_denorm_src 0
		.amdhsa_exception_fp_ieee_div_zero 0
		.amdhsa_exception_fp_ieee_overflow 0
		.amdhsa_exception_fp_ieee_underflow 0
		.amdhsa_exception_fp_ieee_inexact 0
		.amdhsa_exception_int_div_zero 0
	.end_amdhsa_kernel
	.section	.text._ZN7rocprim17ROCPRIM_400000_NS6detail17trampoline_kernelINS0_14default_configENS1_35radix_sort_onesweep_config_selectorIttEEZNS1_34radix_sort_onesweep_global_offsetsIS3_Lb0EN6thrust23THRUST_200600_302600_NS6detail15normal_iteratorINS8_10device_ptrItEEEESD_jNS0_19identity_decomposerEEE10hipError_tT1_T2_PT3_SI_jT4_jjP12ihipStream_tbEUlT_E0_NS1_11comp_targetILNS1_3genE10ELNS1_11target_archE1201ELNS1_3gpuE5ELNS1_3repE0EEENS1_52radix_sort_onesweep_histogram_config_static_selectorELNS0_4arch9wavefront6targetE1EEEvSG_,"axG",@progbits,_ZN7rocprim17ROCPRIM_400000_NS6detail17trampoline_kernelINS0_14default_configENS1_35radix_sort_onesweep_config_selectorIttEEZNS1_34radix_sort_onesweep_global_offsetsIS3_Lb0EN6thrust23THRUST_200600_302600_NS6detail15normal_iteratorINS8_10device_ptrItEEEESD_jNS0_19identity_decomposerEEE10hipError_tT1_T2_PT3_SI_jT4_jjP12ihipStream_tbEUlT_E0_NS1_11comp_targetILNS1_3genE10ELNS1_11target_archE1201ELNS1_3gpuE5ELNS1_3repE0EEENS1_52radix_sort_onesweep_histogram_config_static_selectorELNS0_4arch9wavefront6targetE1EEEvSG_,comdat
.Lfunc_end962:
	.size	_ZN7rocprim17ROCPRIM_400000_NS6detail17trampoline_kernelINS0_14default_configENS1_35radix_sort_onesweep_config_selectorIttEEZNS1_34radix_sort_onesweep_global_offsetsIS3_Lb0EN6thrust23THRUST_200600_302600_NS6detail15normal_iteratorINS8_10device_ptrItEEEESD_jNS0_19identity_decomposerEEE10hipError_tT1_T2_PT3_SI_jT4_jjP12ihipStream_tbEUlT_E0_NS1_11comp_targetILNS1_3genE10ELNS1_11target_archE1201ELNS1_3gpuE5ELNS1_3repE0EEENS1_52radix_sort_onesweep_histogram_config_static_selectorELNS0_4arch9wavefront6targetE1EEEvSG_, .Lfunc_end962-_ZN7rocprim17ROCPRIM_400000_NS6detail17trampoline_kernelINS0_14default_configENS1_35radix_sort_onesweep_config_selectorIttEEZNS1_34radix_sort_onesweep_global_offsetsIS3_Lb0EN6thrust23THRUST_200600_302600_NS6detail15normal_iteratorINS8_10device_ptrItEEEESD_jNS0_19identity_decomposerEEE10hipError_tT1_T2_PT3_SI_jT4_jjP12ihipStream_tbEUlT_E0_NS1_11comp_targetILNS1_3genE10ELNS1_11target_archE1201ELNS1_3gpuE5ELNS1_3repE0EEENS1_52radix_sort_onesweep_histogram_config_static_selectorELNS0_4arch9wavefront6targetE1EEEvSG_
                                        ; -- End function
	.set _ZN7rocprim17ROCPRIM_400000_NS6detail17trampoline_kernelINS0_14default_configENS1_35radix_sort_onesweep_config_selectorIttEEZNS1_34radix_sort_onesweep_global_offsetsIS3_Lb0EN6thrust23THRUST_200600_302600_NS6detail15normal_iteratorINS8_10device_ptrItEEEESD_jNS0_19identity_decomposerEEE10hipError_tT1_T2_PT3_SI_jT4_jjP12ihipStream_tbEUlT_E0_NS1_11comp_targetILNS1_3genE10ELNS1_11target_archE1201ELNS1_3gpuE5ELNS1_3repE0EEENS1_52radix_sort_onesweep_histogram_config_static_selectorELNS0_4arch9wavefront6targetE1EEEvSG_.num_vgpr, 0
	.set _ZN7rocprim17ROCPRIM_400000_NS6detail17trampoline_kernelINS0_14default_configENS1_35radix_sort_onesweep_config_selectorIttEEZNS1_34radix_sort_onesweep_global_offsetsIS3_Lb0EN6thrust23THRUST_200600_302600_NS6detail15normal_iteratorINS8_10device_ptrItEEEESD_jNS0_19identity_decomposerEEE10hipError_tT1_T2_PT3_SI_jT4_jjP12ihipStream_tbEUlT_E0_NS1_11comp_targetILNS1_3genE10ELNS1_11target_archE1201ELNS1_3gpuE5ELNS1_3repE0EEENS1_52radix_sort_onesweep_histogram_config_static_selectorELNS0_4arch9wavefront6targetE1EEEvSG_.num_agpr, 0
	.set _ZN7rocprim17ROCPRIM_400000_NS6detail17trampoline_kernelINS0_14default_configENS1_35radix_sort_onesweep_config_selectorIttEEZNS1_34radix_sort_onesweep_global_offsetsIS3_Lb0EN6thrust23THRUST_200600_302600_NS6detail15normal_iteratorINS8_10device_ptrItEEEESD_jNS0_19identity_decomposerEEE10hipError_tT1_T2_PT3_SI_jT4_jjP12ihipStream_tbEUlT_E0_NS1_11comp_targetILNS1_3genE10ELNS1_11target_archE1201ELNS1_3gpuE5ELNS1_3repE0EEENS1_52radix_sort_onesweep_histogram_config_static_selectorELNS0_4arch9wavefront6targetE1EEEvSG_.numbered_sgpr, 0
	.set _ZN7rocprim17ROCPRIM_400000_NS6detail17trampoline_kernelINS0_14default_configENS1_35radix_sort_onesweep_config_selectorIttEEZNS1_34radix_sort_onesweep_global_offsetsIS3_Lb0EN6thrust23THRUST_200600_302600_NS6detail15normal_iteratorINS8_10device_ptrItEEEESD_jNS0_19identity_decomposerEEE10hipError_tT1_T2_PT3_SI_jT4_jjP12ihipStream_tbEUlT_E0_NS1_11comp_targetILNS1_3genE10ELNS1_11target_archE1201ELNS1_3gpuE5ELNS1_3repE0EEENS1_52radix_sort_onesweep_histogram_config_static_selectorELNS0_4arch9wavefront6targetE1EEEvSG_.num_named_barrier, 0
	.set _ZN7rocprim17ROCPRIM_400000_NS6detail17trampoline_kernelINS0_14default_configENS1_35radix_sort_onesweep_config_selectorIttEEZNS1_34radix_sort_onesweep_global_offsetsIS3_Lb0EN6thrust23THRUST_200600_302600_NS6detail15normal_iteratorINS8_10device_ptrItEEEESD_jNS0_19identity_decomposerEEE10hipError_tT1_T2_PT3_SI_jT4_jjP12ihipStream_tbEUlT_E0_NS1_11comp_targetILNS1_3genE10ELNS1_11target_archE1201ELNS1_3gpuE5ELNS1_3repE0EEENS1_52radix_sort_onesweep_histogram_config_static_selectorELNS0_4arch9wavefront6targetE1EEEvSG_.private_seg_size, 0
	.set _ZN7rocprim17ROCPRIM_400000_NS6detail17trampoline_kernelINS0_14default_configENS1_35radix_sort_onesweep_config_selectorIttEEZNS1_34radix_sort_onesweep_global_offsetsIS3_Lb0EN6thrust23THRUST_200600_302600_NS6detail15normal_iteratorINS8_10device_ptrItEEEESD_jNS0_19identity_decomposerEEE10hipError_tT1_T2_PT3_SI_jT4_jjP12ihipStream_tbEUlT_E0_NS1_11comp_targetILNS1_3genE10ELNS1_11target_archE1201ELNS1_3gpuE5ELNS1_3repE0EEENS1_52radix_sort_onesweep_histogram_config_static_selectorELNS0_4arch9wavefront6targetE1EEEvSG_.uses_vcc, 0
	.set _ZN7rocprim17ROCPRIM_400000_NS6detail17trampoline_kernelINS0_14default_configENS1_35radix_sort_onesweep_config_selectorIttEEZNS1_34radix_sort_onesweep_global_offsetsIS3_Lb0EN6thrust23THRUST_200600_302600_NS6detail15normal_iteratorINS8_10device_ptrItEEEESD_jNS0_19identity_decomposerEEE10hipError_tT1_T2_PT3_SI_jT4_jjP12ihipStream_tbEUlT_E0_NS1_11comp_targetILNS1_3genE10ELNS1_11target_archE1201ELNS1_3gpuE5ELNS1_3repE0EEENS1_52radix_sort_onesweep_histogram_config_static_selectorELNS0_4arch9wavefront6targetE1EEEvSG_.uses_flat_scratch, 0
	.set _ZN7rocprim17ROCPRIM_400000_NS6detail17trampoline_kernelINS0_14default_configENS1_35radix_sort_onesweep_config_selectorIttEEZNS1_34radix_sort_onesweep_global_offsetsIS3_Lb0EN6thrust23THRUST_200600_302600_NS6detail15normal_iteratorINS8_10device_ptrItEEEESD_jNS0_19identity_decomposerEEE10hipError_tT1_T2_PT3_SI_jT4_jjP12ihipStream_tbEUlT_E0_NS1_11comp_targetILNS1_3genE10ELNS1_11target_archE1201ELNS1_3gpuE5ELNS1_3repE0EEENS1_52radix_sort_onesweep_histogram_config_static_selectorELNS0_4arch9wavefront6targetE1EEEvSG_.has_dyn_sized_stack, 0
	.set _ZN7rocprim17ROCPRIM_400000_NS6detail17trampoline_kernelINS0_14default_configENS1_35radix_sort_onesweep_config_selectorIttEEZNS1_34radix_sort_onesweep_global_offsetsIS3_Lb0EN6thrust23THRUST_200600_302600_NS6detail15normal_iteratorINS8_10device_ptrItEEEESD_jNS0_19identity_decomposerEEE10hipError_tT1_T2_PT3_SI_jT4_jjP12ihipStream_tbEUlT_E0_NS1_11comp_targetILNS1_3genE10ELNS1_11target_archE1201ELNS1_3gpuE5ELNS1_3repE0EEENS1_52radix_sort_onesweep_histogram_config_static_selectorELNS0_4arch9wavefront6targetE1EEEvSG_.has_recursion, 0
	.set _ZN7rocprim17ROCPRIM_400000_NS6detail17trampoline_kernelINS0_14default_configENS1_35radix_sort_onesweep_config_selectorIttEEZNS1_34radix_sort_onesweep_global_offsetsIS3_Lb0EN6thrust23THRUST_200600_302600_NS6detail15normal_iteratorINS8_10device_ptrItEEEESD_jNS0_19identity_decomposerEEE10hipError_tT1_T2_PT3_SI_jT4_jjP12ihipStream_tbEUlT_E0_NS1_11comp_targetILNS1_3genE10ELNS1_11target_archE1201ELNS1_3gpuE5ELNS1_3repE0EEENS1_52radix_sort_onesweep_histogram_config_static_selectorELNS0_4arch9wavefront6targetE1EEEvSG_.has_indirect_call, 0
	.section	.AMDGPU.csdata,"",@progbits
; Kernel info:
; codeLenInByte = 0
; TotalNumSgprs: 6
; NumVgprs: 0
; NumAgprs: 0
; TotalNumVgprs: 0
; ScratchSize: 0
; MemoryBound: 0
; FloatMode: 240
; IeeeMode: 1
; LDSByteSize: 0 bytes/workgroup (compile time only)
; SGPRBlocks: 0
; VGPRBlocks: 0
; NumSGPRsForWavesPerEU: 6
; NumVGPRsForWavesPerEU: 1
; AccumOffset: 4
; Occupancy: 8
; WaveLimiterHint : 0
; COMPUTE_PGM_RSRC2:SCRATCH_EN: 0
; COMPUTE_PGM_RSRC2:USER_SGPR: 2
; COMPUTE_PGM_RSRC2:TRAP_HANDLER: 0
; COMPUTE_PGM_RSRC2:TGID_X_EN: 1
; COMPUTE_PGM_RSRC2:TGID_Y_EN: 0
; COMPUTE_PGM_RSRC2:TGID_Z_EN: 0
; COMPUTE_PGM_RSRC2:TIDIG_COMP_CNT: 0
; COMPUTE_PGM_RSRC3_GFX90A:ACCUM_OFFSET: 0
; COMPUTE_PGM_RSRC3_GFX90A:TG_SPLIT: 0
	.section	.text._ZN7rocprim17ROCPRIM_400000_NS6detail17trampoline_kernelINS0_14default_configENS1_35radix_sort_onesweep_config_selectorIttEEZNS1_34radix_sort_onesweep_global_offsetsIS3_Lb0EN6thrust23THRUST_200600_302600_NS6detail15normal_iteratorINS8_10device_ptrItEEEESD_jNS0_19identity_decomposerEEE10hipError_tT1_T2_PT3_SI_jT4_jjP12ihipStream_tbEUlT_E0_NS1_11comp_targetILNS1_3genE9ELNS1_11target_archE1100ELNS1_3gpuE3ELNS1_3repE0EEENS1_52radix_sort_onesweep_histogram_config_static_selectorELNS0_4arch9wavefront6targetE1EEEvSG_,"axG",@progbits,_ZN7rocprim17ROCPRIM_400000_NS6detail17trampoline_kernelINS0_14default_configENS1_35radix_sort_onesweep_config_selectorIttEEZNS1_34radix_sort_onesweep_global_offsetsIS3_Lb0EN6thrust23THRUST_200600_302600_NS6detail15normal_iteratorINS8_10device_ptrItEEEESD_jNS0_19identity_decomposerEEE10hipError_tT1_T2_PT3_SI_jT4_jjP12ihipStream_tbEUlT_E0_NS1_11comp_targetILNS1_3genE9ELNS1_11target_archE1100ELNS1_3gpuE3ELNS1_3repE0EEENS1_52radix_sort_onesweep_histogram_config_static_selectorELNS0_4arch9wavefront6targetE1EEEvSG_,comdat
	.protected	_ZN7rocprim17ROCPRIM_400000_NS6detail17trampoline_kernelINS0_14default_configENS1_35radix_sort_onesweep_config_selectorIttEEZNS1_34radix_sort_onesweep_global_offsetsIS3_Lb0EN6thrust23THRUST_200600_302600_NS6detail15normal_iteratorINS8_10device_ptrItEEEESD_jNS0_19identity_decomposerEEE10hipError_tT1_T2_PT3_SI_jT4_jjP12ihipStream_tbEUlT_E0_NS1_11comp_targetILNS1_3genE9ELNS1_11target_archE1100ELNS1_3gpuE3ELNS1_3repE0EEENS1_52radix_sort_onesweep_histogram_config_static_selectorELNS0_4arch9wavefront6targetE1EEEvSG_ ; -- Begin function _ZN7rocprim17ROCPRIM_400000_NS6detail17trampoline_kernelINS0_14default_configENS1_35radix_sort_onesweep_config_selectorIttEEZNS1_34radix_sort_onesweep_global_offsetsIS3_Lb0EN6thrust23THRUST_200600_302600_NS6detail15normal_iteratorINS8_10device_ptrItEEEESD_jNS0_19identity_decomposerEEE10hipError_tT1_T2_PT3_SI_jT4_jjP12ihipStream_tbEUlT_E0_NS1_11comp_targetILNS1_3genE9ELNS1_11target_archE1100ELNS1_3gpuE3ELNS1_3repE0EEENS1_52radix_sort_onesweep_histogram_config_static_selectorELNS0_4arch9wavefront6targetE1EEEvSG_
	.globl	_ZN7rocprim17ROCPRIM_400000_NS6detail17trampoline_kernelINS0_14default_configENS1_35radix_sort_onesweep_config_selectorIttEEZNS1_34radix_sort_onesweep_global_offsetsIS3_Lb0EN6thrust23THRUST_200600_302600_NS6detail15normal_iteratorINS8_10device_ptrItEEEESD_jNS0_19identity_decomposerEEE10hipError_tT1_T2_PT3_SI_jT4_jjP12ihipStream_tbEUlT_E0_NS1_11comp_targetILNS1_3genE9ELNS1_11target_archE1100ELNS1_3gpuE3ELNS1_3repE0EEENS1_52radix_sort_onesweep_histogram_config_static_selectorELNS0_4arch9wavefront6targetE1EEEvSG_
	.p2align	8
	.type	_ZN7rocprim17ROCPRIM_400000_NS6detail17trampoline_kernelINS0_14default_configENS1_35radix_sort_onesweep_config_selectorIttEEZNS1_34radix_sort_onesweep_global_offsetsIS3_Lb0EN6thrust23THRUST_200600_302600_NS6detail15normal_iteratorINS8_10device_ptrItEEEESD_jNS0_19identity_decomposerEEE10hipError_tT1_T2_PT3_SI_jT4_jjP12ihipStream_tbEUlT_E0_NS1_11comp_targetILNS1_3genE9ELNS1_11target_archE1100ELNS1_3gpuE3ELNS1_3repE0EEENS1_52radix_sort_onesweep_histogram_config_static_selectorELNS0_4arch9wavefront6targetE1EEEvSG_,@function
_ZN7rocprim17ROCPRIM_400000_NS6detail17trampoline_kernelINS0_14default_configENS1_35radix_sort_onesweep_config_selectorIttEEZNS1_34radix_sort_onesweep_global_offsetsIS3_Lb0EN6thrust23THRUST_200600_302600_NS6detail15normal_iteratorINS8_10device_ptrItEEEESD_jNS0_19identity_decomposerEEE10hipError_tT1_T2_PT3_SI_jT4_jjP12ihipStream_tbEUlT_E0_NS1_11comp_targetILNS1_3genE9ELNS1_11target_archE1100ELNS1_3gpuE3ELNS1_3repE0EEENS1_52radix_sort_onesweep_histogram_config_static_selectorELNS0_4arch9wavefront6targetE1EEEvSG_: ; @_ZN7rocprim17ROCPRIM_400000_NS6detail17trampoline_kernelINS0_14default_configENS1_35radix_sort_onesweep_config_selectorIttEEZNS1_34radix_sort_onesweep_global_offsetsIS3_Lb0EN6thrust23THRUST_200600_302600_NS6detail15normal_iteratorINS8_10device_ptrItEEEESD_jNS0_19identity_decomposerEEE10hipError_tT1_T2_PT3_SI_jT4_jjP12ihipStream_tbEUlT_E0_NS1_11comp_targetILNS1_3genE9ELNS1_11target_archE1100ELNS1_3gpuE3ELNS1_3repE0EEENS1_52radix_sort_onesweep_histogram_config_static_selectorELNS0_4arch9wavefront6targetE1EEEvSG_
; %bb.0:
	.section	.rodata,"a",@progbits
	.p2align	6, 0x0
	.amdhsa_kernel _ZN7rocprim17ROCPRIM_400000_NS6detail17trampoline_kernelINS0_14default_configENS1_35radix_sort_onesweep_config_selectorIttEEZNS1_34radix_sort_onesweep_global_offsetsIS3_Lb0EN6thrust23THRUST_200600_302600_NS6detail15normal_iteratorINS8_10device_ptrItEEEESD_jNS0_19identity_decomposerEEE10hipError_tT1_T2_PT3_SI_jT4_jjP12ihipStream_tbEUlT_E0_NS1_11comp_targetILNS1_3genE9ELNS1_11target_archE1100ELNS1_3gpuE3ELNS1_3repE0EEENS1_52radix_sort_onesweep_histogram_config_static_selectorELNS0_4arch9wavefront6targetE1EEEvSG_
		.amdhsa_group_segment_fixed_size 0
		.amdhsa_private_segment_fixed_size 0
		.amdhsa_kernarg_size 8
		.amdhsa_user_sgpr_count 2
		.amdhsa_user_sgpr_dispatch_ptr 0
		.amdhsa_user_sgpr_queue_ptr 0
		.amdhsa_user_sgpr_kernarg_segment_ptr 1
		.amdhsa_user_sgpr_dispatch_id 0
		.amdhsa_user_sgpr_kernarg_preload_length 0
		.amdhsa_user_sgpr_kernarg_preload_offset 0
		.amdhsa_user_sgpr_private_segment_size 0
		.amdhsa_uses_dynamic_stack 0
		.amdhsa_enable_private_segment 0
		.amdhsa_system_sgpr_workgroup_id_x 1
		.amdhsa_system_sgpr_workgroup_id_y 0
		.amdhsa_system_sgpr_workgroup_id_z 0
		.amdhsa_system_sgpr_workgroup_info 0
		.amdhsa_system_vgpr_workitem_id 0
		.amdhsa_next_free_vgpr 1
		.amdhsa_next_free_sgpr 0
		.amdhsa_accum_offset 4
		.amdhsa_reserve_vcc 0
		.amdhsa_float_round_mode_32 0
		.amdhsa_float_round_mode_16_64 0
		.amdhsa_float_denorm_mode_32 3
		.amdhsa_float_denorm_mode_16_64 3
		.amdhsa_dx10_clamp 1
		.amdhsa_ieee_mode 1
		.amdhsa_fp16_overflow 0
		.amdhsa_tg_split 0
		.amdhsa_exception_fp_ieee_invalid_op 0
		.amdhsa_exception_fp_denorm_src 0
		.amdhsa_exception_fp_ieee_div_zero 0
		.amdhsa_exception_fp_ieee_overflow 0
		.amdhsa_exception_fp_ieee_underflow 0
		.amdhsa_exception_fp_ieee_inexact 0
		.amdhsa_exception_int_div_zero 0
	.end_amdhsa_kernel
	.section	.text._ZN7rocprim17ROCPRIM_400000_NS6detail17trampoline_kernelINS0_14default_configENS1_35radix_sort_onesweep_config_selectorIttEEZNS1_34radix_sort_onesweep_global_offsetsIS3_Lb0EN6thrust23THRUST_200600_302600_NS6detail15normal_iteratorINS8_10device_ptrItEEEESD_jNS0_19identity_decomposerEEE10hipError_tT1_T2_PT3_SI_jT4_jjP12ihipStream_tbEUlT_E0_NS1_11comp_targetILNS1_3genE9ELNS1_11target_archE1100ELNS1_3gpuE3ELNS1_3repE0EEENS1_52radix_sort_onesweep_histogram_config_static_selectorELNS0_4arch9wavefront6targetE1EEEvSG_,"axG",@progbits,_ZN7rocprim17ROCPRIM_400000_NS6detail17trampoline_kernelINS0_14default_configENS1_35radix_sort_onesweep_config_selectorIttEEZNS1_34radix_sort_onesweep_global_offsetsIS3_Lb0EN6thrust23THRUST_200600_302600_NS6detail15normal_iteratorINS8_10device_ptrItEEEESD_jNS0_19identity_decomposerEEE10hipError_tT1_T2_PT3_SI_jT4_jjP12ihipStream_tbEUlT_E0_NS1_11comp_targetILNS1_3genE9ELNS1_11target_archE1100ELNS1_3gpuE3ELNS1_3repE0EEENS1_52radix_sort_onesweep_histogram_config_static_selectorELNS0_4arch9wavefront6targetE1EEEvSG_,comdat
.Lfunc_end963:
	.size	_ZN7rocprim17ROCPRIM_400000_NS6detail17trampoline_kernelINS0_14default_configENS1_35radix_sort_onesweep_config_selectorIttEEZNS1_34radix_sort_onesweep_global_offsetsIS3_Lb0EN6thrust23THRUST_200600_302600_NS6detail15normal_iteratorINS8_10device_ptrItEEEESD_jNS0_19identity_decomposerEEE10hipError_tT1_T2_PT3_SI_jT4_jjP12ihipStream_tbEUlT_E0_NS1_11comp_targetILNS1_3genE9ELNS1_11target_archE1100ELNS1_3gpuE3ELNS1_3repE0EEENS1_52radix_sort_onesweep_histogram_config_static_selectorELNS0_4arch9wavefront6targetE1EEEvSG_, .Lfunc_end963-_ZN7rocprim17ROCPRIM_400000_NS6detail17trampoline_kernelINS0_14default_configENS1_35radix_sort_onesweep_config_selectorIttEEZNS1_34radix_sort_onesweep_global_offsetsIS3_Lb0EN6thrust23THRUST_200600_302600_NS6detail15normal_iteratorINS8_10device_ptrItEEEESD_jNS0_19identity_decomposerEEE10hipError_tT1_T2_PT3_SI_jT4_jjP12ihipStream_tbEUlT_E0_NS1_11comp_targetILNS1_3genE9ELNS1_11target_archE1100ELNS1_3gpuE3ELNS1_3repE0EEENS1_52radix_sort_onesweep_histogram_config_static_selectorELNS0_4arch9wavefront6targetE1EEEvSG_
                                        ; -- End function
	.set _ZN7rocprim17ROCPRIM_400000_NS6detail17trampoline_kernelINS0_14default_configENS1_35radix_sort_onesweep_config_selectorIttEEZNS1_34radix_sort_onesweep_global_offsetsIS3_Lb0EN6thrust23THRUST_200600_302600_NS6detail15normal_iteratorINS8_10device_ptrItEEEESD_jNS0_19identity_decomposerEEE10hipError_tT1_T2_PT3_SI_jT4_jjP12ihipStream_tbEUlT_E0_NS1_11comp_targetILNS1_3genE9ELNS1_11target_archE1100ELNS1_3gpuE3ELNS1_3repE0EEENS1_52radix_sort_onesweep_histogram_config_static_selectorELNS0_4arch9wavefront6targetE1EEEvSG_.num_vgpr, 0
	.set _ZN7rocprim17ROCPRIM_400000_NS6detail17trampoline_kernelINS0_14default_configENS1_35radix_sort_onesweep_config_selectorIttEEZNS1_34radix_sort_onesweep_global_offsetsIS3_Lb0EN6thrust23THRUST_200600_302600_NS6detail15normal_iteratorINS8_10device_ptrItEEEESD_jNS0_19identity_decomposerEEE10hipError_tT1_T2_PT3_SI_jT4_jjP12ihipStream_tbEUlT_E0_NS1_11comp_targetILNS1_3genE9ELNS1_11target_archE1100ELNS1_3gpuE3ELNS1_3repE0EEENS1_52radix_sort_onesweep_histogram_config_static_selectorELNS0_4arch9wavefront6targetE1EEEvSG_.num_agpr, 0
	.set _ZN7rocprim17ROCPRIM_400000_NS6detail17trampoline_kernelINS0_14default_configENS1_35radix_sort_onesweep_config_selectorIttEEZNS1_34radix_sort_onesweep_global_offsetsIS3_Lb0EN6thrust23THRUST_200600_302600_NS6detail15normal_iteratorINS8_10device_ptrItEEEESD_jNS0_19identity_decomposerEEE10hipError_tT1_T2_PT3_SI_jT4_jjP12ihipStream_tbEUlT_E0_NS1_11comp_targetILNS1_3genE9ELNS1_11target_archE1100ELNS1_3gpuE3ELNS1_3repE0EEENS1_52radix_sort_onesweep_histogram_config_static_selectorELNS0_4arch9wavefront6targetE1EEEvSG_.numbered_sgpr, 0
	.set _ZN7rocprim17ROCPRIM_400000_NS6detail17trampoline_kernelINS0_14default_configENS1_35radix_sort_onesweep_config_selectorIttEEZNS1_34radix_sort_onesweep_global_offsetsIS3_Lb0EN6thrust23THRUST_200600_302600_NS6detail15normal_iteratorINS8_10device_ptrItEEEESD_jNS0_19identity_decomposerEEE10hipError_tT1_T2_PT3_SI_jT4_jjP12ihipStream_tbEUlT_E0_NS1_11comp_targetILNS1_3genE9ELNS1_11target_archE1100ELNS1_3gpuE3ELNS1_3repE0EEENS1_52radix_sort_onesweep_histogram_config_static_selectorELNS0_4arch9wavefront6targetE1EEEvSG_.num_named_barrier, 0
	.set _ZN7rocprim17ROCPRIM_400000_NS6detail17trampoline_kernelINS0_14default_configENS1_35radix_sort_onesweep_config_selectorIttEEZNS1_34radix_sort_onesweep_global_offsetsIS3_Lb0EN6thrust23THRUST_200600_302600_NS6detail15normal_iteratorINS8_10device_ptrItEEEESD_jNS0_19identity_decomposerEEE10hipError_tT1_T2_PT3_SI_jT4_jjP12ihipStream_tbEUlT_E0_NS1_11comp_targetILNS1_3genE9ELNS1_11target_archE1100ELNS1_3gpuE3ELNS1_3repE0EEENS1_52radix_sort_onesweep_histogram_config_static_selectorELNS0_4arch9wavefront6targetE1EEEvSG_.private_seg_size, 0
	.set _ZN7rocprim17ROCPRIM_400000_NS6detail17trampoline_kernelINS0_14default_configENS1_35radix_sort_onesweep_config_selectorIttEEZNS1_34radix_sort_onesweep_global_offsetsIS3_Lb0EN6thrust23THRUST_200600_302600_NS6detail15normal_iteratorINS8_10device_ptrItEEEESD_jNS0_19identity_decomposerEEE10hipError_tT1_T2_PT3_SI_jT4_jjP12ihipStream_tbEUlT_E0_NS1_11comp_targetILNS1_3genE9ELNS1_11target_archE1100ELNS1_3gpuE3ELNS1_3repE0EEENS1_52radix_sort_onesweep_histogram_config_static_selectorELNS0_4arch9wavefront6targetE1EEEvSG_.uses_vcc, 0
	.set _ZN7rocprim17ROCPRIM_400000_NS6detail17trampoline_kernelINS0_14default_configENS1_35radix_sort_onesweep_config_selectorIttEEZNS1_34radix_sort_onesweep_global_offsetsIS3_Lb0EN6thrust23THRUST_200600_302600_NS6detail15normal_iteratorINS8_10device_ptrItEEEESD_jNS0_19identity_decomposerEEE10hipError_tT1_T2_PT3_SI_jT4_jjP12ihipStream_tbEUlT_E0_NS1_11comp_targetILNS1_3genE9ELNS1_11target_archE1100ELNS1_3gpuE3ELNS1_3repE0EEENS1_52radix_sort_onesweep_histogram_config_static_selectorELNS0_4arch9wavefront6targetE1EEEvSG_.uses_flat_scratch, 0
	.set _ZN7rocprim17ROCPRIM_400000_NS6detail17trampoline_kernelINS0_14default_configENS1_35radix_sort_onesweep_config_selectorIttEEZNS1_34radix_sort_onesweep_global_offsetsIS3_Lb0EN6thrust23THRUST_200600_302600_NS6detail15normal_iteratorINS8_10device_ptrItEEEESD_jNS0_19identity_decomposerEEE10hipError_tT1_T2_PT3_SI_jT4_jjP12ihipStream_tbEUlT_E0_NS1_11comp_targetILNS1_3genE9ELNS1_11target_archE1100ELNS1_3gpuE3ELNS1_3repE0EEENS1_52radix_sort_onesweep_histogram_config_static_selectorELNS0_4arch9wavefront6targetE1EEEvSG_.has_dyn_sized_stack, 0
	.set _ZN7rocprim17ROCPRIM_400000_NS6detail17trampoline_kernelINS0_14default_configENS1_35radix_sort_onesweep_config_selectorIttEEZNS1_34radix_sort_onesweep_global_offsetsIS3_Lb0EN6thrust23THRUST_200600_302600_NS6detail15normal_iteratorINS8_10device_ptrItEEEESD_jNS0_19identity_decomposerEEE10hipError_tT1_T2_PT3_SI_jT4_jjP12ihipStream_tbEUlT_E0_NS1_11comp_targetILNS1_3genE9ELNS1_11target_archE1100ELNS1_3gpuE3ELNS1_3repE0EEENS1_52radix_sort_onesweep_histogram_config_static_selectorELNS0_4arch9wavefront6targetE1EEEvSG_.has_recursion, 0
	.set _ZN7rocprim17ROCPRIM_400000_NS6detail17trampoline_kernelINS0_14default_configENS1_35radix_sort_onesweep_config_selectorIttEEZNS1_34radix_sort_onesweep_global_offsetsIS3_Lb0EN6thrust23THRUST_200600_302600_NS6detail15normal_iteratorINS8_10device_ptrItEEEESD_jNS0_19identity_decomposerEEE10hipError_tT1_T2_PT3_SI_jT4_jjP12ihipStream_tbEUlT_E0_NS1_11comp_targetILNS1_3genE9ELNS1_11target_archE1100ELNS1_3gpuE3ELNS1_3repE0EEENS1_52radix_sort_onesweep_histogram_config_static_selectorELNS0_4arch9wavefront6targetE1EEEvSG_.has_indirect_call, 0
	.section	.AMDGPU.csdata,"",@progbits
; Kernel info:
; codeLenInByte = 0
; TotalNumSgprs: 6
; NumVgprs: 0
; NumAgprs: 0
; TotalNumVgprs: 0
; ScratchSize: 0
; MemoryBound: 0
; FloatMode: 240
; IeeeMode: 1
; LDSByteSize: 0 bytes/workgroup (compile time only)
; SGPRBlocks: 0
; VGPRBlocks: 0
; NumSGPRsForWavesPerEU: 6
; NumVGPRsForWavesPerEU: 1
; AccumOffset: 4
; Occupancy: 8
; WaveLimiterHint : 0
; COMPUTE_PGM_RSRC2:SCRATCH_EN: 0
; COMPUTE_PGM_RSRC2:USER_SGPR: 2
; COMPUTE_PGM_RSRC2:TRAP_HANDLER: 0
; COMPUTE_PGM_RSRC2:TGID_X_EN: 1
; COMPUTE_PGM_RSRC2:TGID_Y_EN: 0
; COMPUTE_PGM_RSRC2:TGID_Z_EN: 0
; COMPUTE_PGM_RSRC2:TIDIG_COMP_CNT: 0
; COMPUTE_PGM_RSRC3_GFX90A:ACCUM_OFFSET: 0
; COMPUTE_PGM_RSRC3_GFX90A:TG_SPLIT: 0
	.section	.text._ZN7rocprim17ROCPRIM_400000_NS6detail17trampoline_kernelINS0_14default_configENS1_35radix_sort_onesweep_config_selectorIttEEZNS1_34radix_sort_onesweep_global_offsetsIS3_Lb0EN6thrust23THRUST_200600_302600_NS6detail15normal_iteratorINS8_10device_ptrItEEEESD_jNS0_19identity_decomposerEEE10hipError_tT1_T2_PT3_SI_jT4_jjP12ihipStream_tbEUlT_E0_NS1_11comp_targetILNS1_3genE8ELNS1_11target_archE1030ELNS1_3gpuE2ELNS1_3repE0EEENS1_52radix_sort_onesweep_histogram_config_static_selectorELNS0_4arch9wavefront6targetE1EEEvSG_,"axG",@progbits,_ZN7rocprim17ROCPRIM_400000_NS6detail17trampoline_kernelINS0_14default_configENS1_35radix_sort_onesweep_config_selectorIttEEZNS1_34radix_sort_onesweep_global_offsetsIS3_Lb0EN6thrust23THRUST_200600_302600_NS6detail15normal_iteratorINS8_10device_ptrItEEEESD_jNS0_19identity_decomposerEEE10hipError_tT1_T2_PT3_SI_jT4_jjP12ihipStream_tbEUlT_E0_NS1_11comp_targetILNS1_3genE8ELNS1_11target_archE1030ELNS1_3gpuE2ELNS1_3repE0EEENS1_52radix_sort_onesweep_histogram_config_static_selectorELNS0_4arch9wavefront6targetE1EEEvSG_,comdat
	.protected	_ZN7rocprim17ROCPRIM_400000_NS6detail17trampoline_kernelINS0_14default_configENS1_35radix_sort_onesweep_config_selectorIttEEZNS1_34radix_sort_onesweep_global_offsetsIS3_Lb0EN6thrust23THRUST_200600_302600_NS6detail15normal_iteratorINS8_10device_ptrItEEEESD_jNS0_19identity_decomposerEEE10hipError_tT1_T2_PT3_SI_jT4_jjP12ihipStream_tbEUlT_E0_NS1_11comp_targetILNS1_3genE8ELNS1_11target_archE1030ELNS1_3gpuE2ELNS1_3repE0EEENS1_52radix_sort_onesweep_histogram_config_static_selectorELNS0_4arch9wavefront6targetE1EEEvSG_ ; -- Begin function _ZN7rocprim17ROCPRIM_400000_NS6detail17trampoline_kernelINS0_14default_configENS1_35radix_sort_onesweep_config_selectorIttEEZNS1_34radix_sort_onesweep_global_offsetsIS3_Lb0EN6thrust23THRUST_200600_302600_NS6detail15normal_iteratorINS8_10device_ptrItEEEESD_jNS0_19identity_decomposerEEE10hipError_tT1_T2_PT3_SI_jT4_jjP12ihipStream_tbEUlT_E0_NS1_11comp_targetILNS1_3genE8ELNS1_11target_archE1030ELNS1_3gpuE2ELNS1_3repE0EEENS1_52radix_sort_onesweep_histogram_config_static_selectorELNS0_4arch9wavefront6targetE1EEEvSG_
	.globl	_ZN7rocprim17ROCPRIM_400000_NS6detail17trampoline_kernelINS0_14default_configENS1_35radix_sort_onesweep_config_selectorIttEEZNS1_34radix_sort_onesweep_global_offsetsIS3_Lb0EN6thrust23THRUST_200600_302600_NS6detail15normal_iteratorINS8_10device_ptrItEEEESD_jNS0_19identity_decomposerEEE10hipError_tT1_T2_PT3_SI_jT4_jjP12ihipStream_tbEUlT_E0_NS1_11comp_targetILNS1_3genE8ELNS1_11target_archE1030ELNS1_3gpuE2ELNS1_3repE0EEENS1_52radix_sort_onesweep_histogram_config_static_selectorELNS0_4arch9wavefront6targetE1EEEvSG_
	.p2align	8
	.type	_ZN7rocprim17ROCPRIM_400000_NS6detail17trampoline_kernelINS0_14default_configENS1_35radix_sort_onesweep_config_selectorIttEEZNS1_34radix_sort_onesweep_global_offsetsIS3_Lb0EN6thrust23THRUST_200600_302600_NS6detail15normal_iteratorINS8_10device_ptrItEEEESD_jNS0_19identity_decomposerEEE10hipError_tT1_T2_PT3_SI_jT4_jjP12ihipStream_tbEUlT_E0_NS1_11comp_targetILNS1_3genE8ELNS1_11target_archE1030ELNS1_3gpuE2ELNS1_3repE0EEENS1_52radix_sort_onesweep_histogram_config_static_selectorELNS0_4arch9wavefront6targetE1EEEvSG_,@function
_ZN7rocprim17ROCPRIM_400000_NS6detail17trampoline_kernelINS0_14default_configENS1_35radix_sort_onesweep_config_selectorIttEEZNS1_34radix_sort_onesweep_global_offsetsIS3_Lb0EN6thrust23THRUST_200600_302600_NS6detail15normal_iteratorINS8_10device_ptrItEEEESD_jNS0_19identity_decomposerEEE10hipError_tT1_T2_PT3_SI_jT4_jjP12ihipStream_tbEUlT_E0_NS1_11comp_targetILNS1_3genE8ELNS1_11target_archE1030ELNS1_3gpuE2ELNS1_3repE0EEENS1_52radix_sort_onesweep_histogram_config_static_selectorELNS0_4arch9wavefront6targetE1EEEvSG_: ; @_ZN7rocprim17ROCPRIM_400000_NS6detail17trampoline_kernelINS0_14default_configENS1_35radix_sort_onesweep_config_selectorIttEEZNS1_34radix_sort_onesweep_global_offsetsIS3_Lb0EN6thrust23THRUST_200600_302600_NS6detail15normal_iteratorINS8_10device_ptrItEEEESD_jNS0_19identity_decomposerEEE10hipError_tT1_T2_PT3_SI_jT4_jjP12ihipStream_tbEUlT_E0_NS1_11comp_targetILNS1_3genE8ELNS1_11target_archE1030ELNS1_3gpuE2ELNS1_3repE0EEENS1_52radix_sort_onesweep_histogram_config_static_selectorELNS0_4arch9wavefront6targetE1EEEvSG_
; %bb.0:
	.section	.rodata,"a",@progbits
	.p2align	6, 0x0
	.amdhsa_kernel _ZN7rocprim17ROCPRIM_400000_NS6detail17trampoline_kernelINS0_14default_configENS1_35radix_sort_onesweep_config_selectorIttEEZNS1_34radix_sort_onesweep_global_offsetsIS3_Lb0EN6thrust23THRUST_200600_302600_NS6detail15normal_iteratorINS8_10device_ptrItEEEESD_jNS0_19identity_decomposerEEE10hipError_tT1_T2_PT3_SI_jT4_jjP12ihipStream_tbEUlT_E0_NS1_11comp_targetILNS1_3genE8ELNS1_11target_archE1030ELNS1_3gpuE2ELNS1_3repE0EEENS1_52radix_sort_onesweep_histogram_config_static_selectorELNS0_4arch9wavefront6targetE1EEEvSG_
		.amdhsa_group_segment_fixed_size 0
		.amdhsa_private_segment_fixed_size 0
		.amdhsa_kernarg_size 8
		.amdhsa_user_sgpr_count 2
		.amdhsa_user_sgpr_dispatch_ptr 0
		.amdhsa_user_sgpr_queue_ptr 0
		.amdhsa_user_sgpr_kernarg_segment_ptr 1
		.amdhsa_user_sgpr_dispatch_id 0
		.amdhsa_user_sgpr_kernarg_preload_length 0
		.amdhsa_user_sgpr_kernarg_preload_offset 0
		.amdhsa_user_sgpr_private_segment_size 0
		.amdhsa_uses_dynamic_stack 0
		.amdhsa_enable_private_segment 0
		.amdhsa_system_sgpr_workgroup_id_x 1
		.amdhsa_system_sgpr_workgroup_id_y 0
		.amdhsa_system_sgpr_workgroup_id_z 0
		.amdhsa_system_sgpr_workgroup_info 0
		.amdhsa_system_vgpr_workitem_id 0
		.amdhsa_next_free_vgpr 1
		.amdhsa_next_free_sgpr 0
		.amdhsa_accum_offset 4
		.amdhsa_reserve_vcc 0
		.amdhsa_float_round_mode_32 0
		.amdhsa_float_round_mode_16_64 0
		.amdhsa_float_denorm_mode_32 3
		.amdhsa_float_denorm_mode_16_64 3
		.amdhsa_dx10_clamp 1
		.amdhsa_ieee_mode 1
		.amdhsa_fp16_overflow 0
		.amdhsa_tg_split 0
		.amdhsa_exception_fp_ieee_invalid_op 0
		.amdhsa_exception_fp_denorm_src 0
		.amdhsa_exception_fp_ieee_div_zero 0
		.amdhsa_exception_fp_ieee_overflow 0
		.amdhsa_exception_fp_ieee_underflow 0
		.amdhsa_exception_fp_ieee_inexact 0
		.amdhsa_exception_int_div_zero 0
	.end_amdhsa_kernel
	.section	.text._ZN7rocprim17ROCPRIM_400000_NS6detail17trampoline_kernelINS0_14default_configENS1_35radix_sort_onesweep_config_selectorIttEEZNS1_34radix_sort_onesweep_global_offsetsIS3_Lb0EN6thrust23THRUST_200600_302600_NS6detail15normal_iteratorINS8_10device_ptrItEEEESD_jNS0_19identity_decomposerEEE10hipError_tT1_T2_PT3_SI_jT4_jjP12ihipStream_tbEUlT_E0_NS1_11comp_targetILNS1_3genE8ELNS1_11target_archE1030ELNS1_3gpuE2ELNS1_3repE0EEENS1_52radix_sort_onesweep_histogram_config_static_selectorELNS0_4arch9wavefront6targetE1EEEvSG_,"axG",@progbits,_ZN7rocprim17ROCPRIM_400000_NS6detail17trampoline_kernelINS0_14default_configENS1_35radix_sort_onesweep_config_selectorIttEEZNS1_34radix_sort_onesweep_global_offsetsIS3_Lb0EN6thrust23THRUST_200600_302600_NS6detail15normal_iteratorINS8_10device_ptrItEEEESD_jNS0_19identity_decomposerEEE10hipError_tT1_T2_PT3_SI_jT4_jjP12ihipStream_tbEUlT_E0_NS1_11comp_targetILNS1_3genE8ELNS1_11target_archE1030ELNS1_3gpuE2ELNS1_3repE0EEENS1_52radix_sort_onesweep_histogram_config_static_selectorELNS0_4arch9wavefront6targetE1EEEvSG_,comdat
.Lfunc_end964:
	.size	_ZN7rocprim17ROCPRIM_400000_NS6detail17trampoline_kernelINS0_14default_configENS1_35radix_sort_onesweep_config_selectorIttEEZNS1_34radix_sort_onesweep_global_offsetsIS3_Lb0EN6thrust23THRUST_200600_302600_NS6detail15normal_iteratorINS8_10device_ptrItEEEESD_jNS0_19identity_decomposerEEE10hipError_tT1_T2_PT3_SI_jT4_jjP12ihipStream_tbEUlT_E0_NS1_11comp_targetILNS1_3genE8ELNS1_11target_archE1030ELNS1_3gpuE2ELNS1_3repE0EEENS1_52radix_sort_onesweep_histogram_config_static_selectorELNS0_4arch9wavefront6targetE1EEEvSG_, .Lfunc_end964-_ZN7rocprim17ROCPRIM_400000_NS6detail17trampoline_kernelINS0_14default_configENS1_35radix_sort_onesweep_config_selectorIttEEZNS1_34radix_sort_onesweep_global_offsetsIS3_Lb0EN6thrust23THRUST_200600_302600_NS6detail15normal_iteratorINS8_10device_ptrItEEEESD_jNS0_19identity_decomposerEEE10hipError_tT1_T2_PT3_SI_jT4_jjP12ihipStream_tbEUlT_E0_NS1_11comp_targetILNS1_3genE8ELNS1_11target_archE1030ELNS1_3gpuE2ELNS1_3repE0EEENS1_52radix_sort_onesweep_histogram_config_static_selectorELNS0_4arch9wavefront6targetE1EEEvSG_
                                        ; -- End function
	.set _ZN7rocprim17ROCPRIM_400000_NS6detail17trampoline_kernelINS0_14default_configENS1_35radix_sort_onesweep_config_selectorIttEEZNS1_34radix_sort_onesweep_global_offsetsIS3_Lb0EN6thrust23THRUST_200600_302600_NS6detail15normal_iteratorINS8_10device_ptrItEEEESD_jNS0_19identity_decomposerEEE10hipError_tT1_T2_PT3_SI_jT4_jjP12ihipStream_tbEUlT_E0_NS1_11comp_targetILNS1_3genE8ELNS1_11target_archE1030ELNS1_3gpuE2ELNS1_3repE0EEENS1_52radix_sort_onesweep_histogram_config_static_selectorELNS0_4arch9wavefront6targetE1EEEvSG_.num_vgpr, 0
	.set _ZN7rocprim17ROCPRIM_400000_NS6detail17trampoline_kernelINS0_14default_configENS1_35radix_sort_onesweep_config_selectorIttEEZNS1_34radix_sort_onesweep_global_offsetsIS3_Lb0EN6thrust23THRUST_200600_302600_NS6detail15normal_iteratorINS8_10device_ptrItEEEESD_jNS0_19identity_decomposerEEE10hipError_tT1_T2_PT3_SI_jT4_jjP12ihipStream_tbEUlT_E0_NS1_11comp_targetILNS1_3genE8ELNS1_11target_archE1030ELNS1_3gpuE2ELNS1_3repE0EEENS1_52radix_sort_onesweep_histogram_config_static_selectorELNS0_4arch9wavefront6targetE1EEEvSG_.num_agpr, 0
	.set _ZN7rocprim17ROCPRIM_400000_NS6detail17trampoline_kernelINS0_14default_configENS1_35radix_sort_onesweep_config_selectorIttEEZNS1_34radix_sort_onesweep_global_offsetsIS3_Lb0EN6thrust23THRUST_200600_302600_NS6detail15normal_iteratorINS8_10device_ptrItEEEESD_jNS0_19identity_decomposerEEE10hipError_tT1_T2_PT3_SI_jT4_jjP12ihipStream_tbEUlT_E0_NS1_11comp_targetILNS1_3genE8ELNS1_11target_archE1030ELNS1_3gpuE2ELNS1_3repE0EEENS1_52radix_sort_onesweep_histogram_config_static_selectorELNS0_4arch9wavefront6targetE1EEEvSG_.numbered_sgpr, 0
	.set _ZN7rocprim17ROCPRIM_400000_NS6detail17trampoline_kernelINS0_14default_configENS1_35radix_sort_onesweep_config_selectorIttEEZNS1_34radix_sort_onesweep_global_offsetsIS3_Lb0EN6thrust23THRUST_200600_302600_NS6detail15normal_iteratorINS8_10device_ptrItEEEESD_jNS0_19identity_decomposerEEE10hipError_tT1_T2_PT3_SI_jT4_jjP12ihipStream_tbEUlT_E0_NS1_11comp_targetILNS1_3genE8ELNS1_11target_archE1030ELNS1_3gpuE2ELNS1_3repE0EEENS1_52radix_sort_onesweep_histogram_config_static_selectorELNS0_4arch9wavefront6targetE1EEEvSG_.num_named_barrier, 0
	.set _ZN7rocprim17ROCPRIM_400000_NS6detail17trampoline_kernelINS0_14default_configENS1_35radix_sort_onesweep_config_selectorIttEEZNS1_34radix_sort_onesweep_global_offsetsIS3_Lb0EN6thrust23THRUST_200600_302600_NS6detail15normal_iteratorINS8_10device_ptrItEEEESD_jNS0_19identity_decomposerEEE10hipError_tT1_T2_PT3_SI_jT4_jjP12ihipStream_tbEUlT_E0_NS1_11comp_targetILNS1_3genE8ELNS1_11target_archE1030ELNS1_3gpuE2ELNS1_3repE0EEENS1_52radix_sort_onesweep_histogram_config_static_selectorELNS0_4arch9wavefront6targetE1EEEvSG_.private_seg_size, 0
	.set _ZN7rocprim17ROCPRIM_400000_NS6detail17trampoline_kernelINS0_14default_configENS1_35radix_sort_onesweep_config_selectorIttEEZNS1_34radix_sort_onesweep_global_offsetsIS3_Lb0EN6thrust23THRUST_200600_302600_NS6detail15normal_iteratorINS8_10device_ptrItEEEESD_jNS0_19identity_decomposerEEE10hipError_tT1_T2_PT3_SI_jT4_jjP12ihipStream_tbEUlT_E0_NS1_11comp_targetILNS1_3genE8ELNS1_11target_archE1030ELNS1_3gpuE2ELNS1_3repE0EEENS1_52radix_sort_onesweep_histogram_config_static_selectorELNS0_4arch9wavefront6targetE1EEEvSG_.uses_vcc, 0
	.set _ZN7rocprim17ROCPRIM_400000_NS6detail17trampoline_kernelINS0_14default_configENS1_35radix_sort_onesweep_config_selectorIttEEZNS1_34radix_sort_onesweep_global_offsetsIS3_Lb0EN6thrust23THRUST_200600_302600_NS6detail15normal_iteratorINS8_10device_ptrItEEEESD_jNS0_19identity_decomposerEEE10hipError_tT1_T2_PT3_SI_jT4_jjP12ihipStream_tbEUlT_E0_NS1_11comp_targetILNS1_3genE8ELNS1_11target_archE1030ELNS1_3gpuE2ELNS1_3repE0EEENS1_52radix_sort_onesweep_histogram_config_static_selectorELNS0_4arch9wavefront6targetE1EEEvSG_.uses_flat_scratch, 0
	.set _ZN7rocprim17ROCPRIM_400000_NS6detail17trampoline_kernelINS0_14default_configENS1_35radix_sort_onesweep_config_selectorIttEEZNS1_34radix_sort_onesweep_global_offsetsIS3_Lb0EN6thrust23THRUST_200600_302600_NS6detail15normal_iteratorINS8_10device_ptrItEEEESD_jNS0_19identity_decomposerEEE10hipError_tT1_T2_PT3_SI_jT4_jjP12ihipStream_tbEUlT_E0_NS1_11comp_targetILNS1_3genE8ELNS1_11target_archE1030ELNS1_3gpuE2ELNS1_3repE0EEENS1_52radix_sort_onesweep_histogram_config_static_selectorELNS0_4arch9wavefront6targetE1EEEvSG_.has_dyn_sized_stack, 0
	.set _ZN7rocprim17ROCPRIM_400000_NS6detail17trampoline_kernelINS0_14default_configENS1_35radix_sort_onesweep_config_selectorIttEEZNS1_34radix_sort_onesweep_global_offsetsIS3_Lb0EN6thrust23THRUST_200600_302600_NS6detail15normal_iteratorINS8_10device_ptrItEEEESD_jNS0_19identity_decomposerEEE10hipError_tT1_T2_PT3_SI_jT4_jjP12ihipStream_tbEUlT_E0_NS1_11comp_targetILNS1_3genE8ELNS1_11target_archE1030ELNS1_3gpuE2ELNS1_3repE0EEENS1_52radix_sort_onesweep_histogram_config_static_selectorELNS0_4arch9wavefront6targetE1EEEvSG_.has_recursion, 0
	.set _ZN7rocprim17ROCPRIM_400000_NS6detail17trampoline_kernelINS0_14default_configENS1_35radix_sort_onesweep_config_selectorIttEEZNS1_34radix_sort_onesweep_global_offsetsIS3_Lb0EN6thrust23THRUST_200600_302600_NS6detail15normal_iteratorINS8_10device_ptrItEEEESD_jNS0_19identity_decomposerEEE10hipError_tT1_T2_PT3_SI_jT4_jjP12ihipStream_tbEUlT_E0_NS1_11comp_targetILNS1_3genE8ELNS1_11target_archE1030ELNS1_3gpuE2ELNS1_3repE0EEENS1_52radix_sort_onesweep_histogram_config_static_selectorELNS0_4arch9wavefront6targetE1EEEvSG_.has_indirect_call, 0
	.section	.AMDGPU.csdata,"",@progbits
; Kernel info:
; codeLenInByte = 0
; TotalNumSgprs: 6
; NumVgprs: 0
; NumAgprs: 0
; TotalNumVgprs: 0
; ScratchSize: 0
; MemoryBound: 0
; FloatMode: 240
; IeeeMode: 1
; LDSByteSize: 0 bytes/workgroup (compile time only)
; SGPRBlocks: 0
; VGPRBlocks: 0
; NumSGPRsForWavesPerEU: 6
; NumVGPRsForWavesPerEU: 1
; AccumOffset: 4
; Occupancy: 8
; WaveLimiterHint : 0
; COMPUTE_PGM_RSRC2:SCRATCH_EN: 0
; COMPUTE_PGM_RSRC2:USER_SGPR: 2
; COMPUTE_PGM_RSRC2:TRAP_HANDLER: 0
; COMPUTE_PGM_RSRC2:TGID_X_EN: 1
; COMPUTE_PGM_RSRC2:TGID_Y_EN: 0
; COMPUTE_PGM_RSRC2:TGID_Z_EN: 0
; COMPUTE_PGM_RSRC2:TIDIG_COMP_CNT: 0
; COMPUTE_PGM_RSRC3_GFX90A:ACCUM_OFFSET: 0
; COMPUTE_PGM_RSRC3_GFX90A:TG_SPLIT: 0
	.section	.text._ZN7rocprim17ROCPRIM_400000_NS6detail17trampoline_kernelINS0_14default_configENS1_25transform_config_selectorItLb0EEEZNS1_14transform_implILb0ES3_S5_N6thrust23THRUST_200600_302600_NS6detail15normal_iteratorINS8_10device_ptrItEEEEPtNS0_8identityItEEEE10hipError_tT2_T3_mT4_P12ihipStream_tbEUlT_E_NS1_11comp_targetILNS1_3genE0ELNS1_11target_archE4294967295ELNS1_3gpuE0ELNS1_3repE0EEENS1_30default_config_static_selectorELNS0_4arch9wavefront6targetE1EEEvT1_,"axG",@progbits,_ZN7rocprim17ROCPRIM_400000_NS6detail17trampoline_kernelINS0_14default_configENS1_25transform_config_selectorItLb0EEEZNS1_14transform_implILb0ES3_S5_N6thrust23THRUST_200600_302600_NS6detail15normal_iteratorINS8_10device_ptrItEEEEPtNS0_8identityItEEEE10hipError_tT2_T3_mT4_P12ihipStream_tbEUlT_E_NS1_11comp_targetILNS1_3genE0ELNS1_11target_archE4294967295ELNS1_3gpuE0ELNS1_3repE0EEENS1_30default_config_static_selectorELNS0_4arch9wavefront6targetE1EEEvT1_,comdat
	.protected	_ZN7rocprim17ROCPRIM_400000_NS6detail17trampoline_kernelINS0_14default_configENS1_25transform_config_selectorItLb0EEEZNS1_14transform_implILb0ES3_S5_N6thrust23THRUST_200600_302600_NS6detail15normal_iteratorINS8_10device_ptrItEEEEPtNS0_8identityItEEEE10hipError_tT2_T3_mT4_P12ihipStream_tbEUlT_E_NS1_11comp_targetILNS1_3genE0ELNS1_11target_archE4294967295ELNS1_3gpuE0ELNS1_3repE0EEENS1_30default_config_static_selectorELNS0_4arch9wavefront6targetE1EEEvT1_ ; -- Begin function _ZN7rocprim17ROCPRIM_400000_NS6detail17trampoline_kernelINS0_14default_configENS1_25transform_config_selectorItLb0EEEZNS1_14transform_implILb0ES3_S5_N6thrust23THRUST_200600_302600_NS6detail15normal_iteratorINS8_10device_ptrItEEEEPtNS0_8identityItEEEE10hipError_tT2_T3_mT4_P12ihipStream_tbEUlT_E_NS1_11comp_targetILNS1_3genE0ELNS1_11target_archE4294967295ELNS1_3gpuE0ELNS1_3repE0EEENS1_30default_config_static_selectorELNS0_4arch9wavefront6targetE1EEEvT1_
	.globl	_ZN7rocprim17ROCPRIM_400000_NS6detail17trampoline_kernelINS0_14default_configENS1_25transform_config_selectorItLb0EEEZNS1_14transform_implILb0ES3_S5_N6thrust23THRUST_200600_302600_NS6detail15normal_iteratorINS8_10device_ptrItEEEEPtNS0_8identityItEEEE10hipError_tT2_T3_mT4_P12ihipStream_tbEUlT_E_NS1_11comp_targetILNS1_3genE0ELNS1_11target_archE4294967295ELNS1_3gpuE0ELNS1_3repE0EEENS1_30default_config_static_selectorELNS0_4arch9wavefront6targetE1EEEvT1_
	.p2align	8
	.type	_ZN7rocprim17ROCPRIM_400000_NS6detail17trampoline_kernelINS0_14default_configENS1_25transform_config_selectorItLb0EEEZNS1_14transform_implILb0ES3_S5_N6thrust23THRUST_200600_302600_NS6detail15normal_iteratorINS8_10device_ptrItEEEEPtNS0_8identityItEEEE10hipError_tT2_T3_mT4_P12ihipStream_tbEUlT_E_NS1_11comp_targetILNS1_3genE0ELNS1_11target_archE4294967295ELNS1_3gpuE0ELNS1_3repE0EEENS1_30default_config_static_selectorELNS0_4arch9wavefront6targetE1EEEvT1_,@function
_ZN7rocprim17ROCPRIM_400000_NS6detail17trampoline_kernelINS0_14default_configENS1_25transform_config_selectorItLb0EEEZNS1_14transform_implILb0ES3_S5_N6thrust23THRUST_200600_302600_NS6detail15normal_iteratorINS8_10device_ptrItEEEEPtNS0_8identityItEEEE10hipError_tT2_T3_mT4_P12ihipStream_tbEUlT_E_NS1_11comp_targetILNS1_3genE0ELNS1_11target_archE4294967295ELNS1_3gpuE0ELNS1_3repE0EEENS1_30default_config_static_selectorELNS0_4arch9wavefront6targetE1EEEvT1_: ; @_ZN7rocprim17ROCPRIM_400000_NS6detail17trampoline_kernelINS0_14default_configENS1_25transform_config_selectorItLb0EEEZNS1_14transform_implILb0ES3_S5_N6thrust23THRUST_200600_302600_NS6detail15normal_iteratorINS8_10device_ptrItEEEEPtNS0_8identityItEEEE10hipError_tT2_T3_mT4_P12ihipStream_tbEUlT_E_NS1_11comp_targetILNS1_3genE0ELNS1_11target_archE4294967295ELNS1_3gpuE0ELNS1_3repE0EEENS1_30default_config_static_selectorELNS0_4arch9wavefront6targetE1EEEvT1_
; %bb.0:
	s_load_dwordx8 s[4:11], s[0:1], 0x0
	s_load_dword s3, s[0:1], 0x28
	v_lshlrev_b32_e32 v4, 1, v0
	s_waitcnt lgkmcnt(0)
	s_lshl_b64 s[0:1], s[6:7], 1
	s_add_u32 s4, s4, s0
	s_addc_u32 s5, s5, s1
	s_add_u32 s9, s10, s0
	s_addc_u32 s16, s11, s1
	s_lshl_b32 s0, s2, 9
	s_mov_b32 s1, 0
	s_add_i32 s3, s3, -1
	s_lshl_b64 s[12:13], s[0:1], 1
	s_add_u32 s14, s4, s12
	s_addc_u32 s15, s5, s13
	s_cmp_lg_u32 s2, s3
	s_cbranch_scc0 .LBB965_2
; %bb.1:
	v_mov_b32_e32 v5, 0
	v_lshl_add_u64 v[2:3], s[14:15], 0, v[4:5]
	flat_load_ushort v8, v[2:3]
	flat_load_ushort v9, v[2:3] offset:256
	flat_load_ushort v10, v[2:3] offset:512
	;; [unrolled: 1-line block ×3, first 2 shown]
	s_add_u32 s4, s9, s12
	s_addc_u32 s5, s16, s13
	v_lshl_add_u64 v[6:7], s[4:5], 0, v[4:5]
	s_mov_b64 s[10:11], -1
	s_waitcnt vmcnt(0) lgkmcnt(0)
	global_store_short v4, v8, s[4:5]
	global_store_short v4, v9, s[4:5] offset:256
	global_store_short v4, v10, s[4:5] offset:512
	s_cbranch_execz .LBB965_3
	s_branch .LBB965_17
.LBB965_2:
	s_mov_b64 s[10:11], 0
                                        ; implicit-def: $vgpr1
                                        ; implicit-def: $vgpr6_vgpr7
.LBB965_3:
	s_sub_i32 s6, s8, s0
	v_mov_b32_e32 v2, 0
	v_cmp_gt_u32_e32 vcc, s6, v0
	v_mov_b32_e32 v3, v2
	s_and_saveexec_b64 s[0:1], vcc
	s_cbranch_execz .LBB965_5
; %bb.4:
	v_mov_b32_e32 v5, v2
	v_lshl_add_u64 v[6:7], s[14:15], 0, v[4:5]
	flat_load_ushort v1, v[6:7]
	v_mov_b32_e32 v7, v2
	s_waitcnt vmcnt(0) lgkmcnt(0)
	v_and_b32_e32 v6, 0xffff, v1
	v_mov_b64_e32 v[2:3], v[6:7]
.LBB965_5:
	s_or_b64 exec, exec, s[0:1]
	v_or_b32_e32 v1, 0x80, v0
	v_cmp_gt_u32_e64 s[0:1], s6, v1
	s_and_saveexec_b64 s[2:3], s[0:1]
	s_cbranch_execz .LBB965_7
; %bb.6:
	v_mov_b32_e32 v5, 0
	v_lshl_add_u64 v[6:7], s[14:15], 0, v[4:5]
	flat_load_ushort v1, v[6:7] offset:256
	s_mov_b32 s4, 0x5040100
	s_waitcnt vmcnt(0) lgkmcnt(0)
	v_perm_b32 v2, v1, v2, s4
.LBB965_7:
	s_or_b64 exec, exec, s[2:3]
	v_or_b32_e32 v1, 0x100, v0
	v_cmp_gt_u32_e64 s[2:3], s6, v1
	s_and_saveexec_b64 s[4:5], s[2:3]
	s_cbranch_execz .LBB965_9
; %bb.8:
	v_mov_b32_e32 v5, 0
	v_lshl_add_u64 v[4:5], s[14:15], 0, v[4:5]
	flat_load_ushort v1, v[4:5] offset:512
	s_mov_b32 s7, 0xffff
	s_waitcnt vmcnt(0) lgkmcnt(0)
	v_bfi_b32 v3, s7, v1, v3
.LBB965_9:
	s_or_b64 exec, exec, s[4:5]
	v_or_b32_e32 v1, 0x180, v0
	v_cmp_gt_u32_e64 s[4:5], s6, v1
	v_cmp_le_u32_e64 s[6:7], s6, v1
	s_and_saveexec_b64 s[18:19], s[6:7]
	s_xor_b64 s[6:7], exec, s[18:19]
	s_andn2_saveexec_b64 s[6:7], s[6:7]
	s_cbranch_execz .LBB965_11
; %bb.10:
	v_lshlrev_b32_e32 v4, 1, v0
	v_mov_b32_e32 v5, 0
	v_lshl_add_u64 v[4:5], s[14:15], 0, v[4:5]
	flat_load_ushort v1, v[4:5] offset:768
	s_mov_b32 s8, 0x5040100
	s_waitcnt vmcnt(0) lgkmcnt(0)
	v_perm_b32 v3, v1, v3, s8
.LBB965_11:
	s_or_b64 exec, exec, s[6:7]
	s_add_u32 s6, s9, s12
	v_mov_b32_e32 v5, 0
	s_addc_u32 s7, s16, s13
	v_lshlrev_b32_e32 v4, 1, v0
	v_cndmask_b32_sdwa v1, v5, v2, vcc dst_sel:DWORD dst_unused:UNUSED_PAD src0_sel:DWORD src1_sel:WORD_0
	v_lshl_add_u64 v[6:7], s[6:7], 0, v[4:5]
	s_and_saveexec_b64 s[6:7], vcc
	s_cbranch_execnz .LBB965_20
; %bb.12:
	s_or_b64 exec, exec, s[6:7]
	v_cndmask_b32_e64 v0, v1, v2, s[0:1]
	s_and_saveexec_b64 s[6:7], s[0:1]
	s_cbranch_execnz .LBB965_21
.LBB965_13:
	s_or_b64 exec, exec, s[6:7]
	s_and_saveexec_b64 s[0:1], s[2:3]
	s_cbranch_execnz .LBB965_22
.LBB965_14:
	s_or_b64 exec, exec, s[0:1]
                                        ; implicit-def: $vgpr1
	s_and_saveexec_b64 s[0:1], s[4:5]
.LBB965_15:
	v_cndmask_b32_e64 v0, 0, v3, s[4:5]
	v_lshrrev_b32_e32 v1, 16, v0
	s_or_b64 s[10:11], s[10:11], exec
.LBB965_16:
	s_or_b64 exec, exec, s[0:1]
.LBB965_17:
	s_and_saveexec_b64 s[0:1], s[10:11]
	s_cbranch_execnz .LBB965_19
; %bb.18:
	s_endpgm
.LBB965_19:
	global_store_short v[6:7], v1, off offset:768
	s_endpgm
.LBB965_20:
	global_store_short v[6:7], v1, off
	s_or_b64 exec, exec, s[6:7]
	v_cndmask_b32_e64 v0, v1, v2, s[0:1]
	s_and_saveexec_b64 s[6:7], s[0:1]
	s_cbranch_execz .LBB965_13
.LBB965_21:
	global_store_short_d16_hi v[6:7], v0, off offset:256
	s_or_b64 exec, exec, s[6:7]
	s_and_saveexec_b64 s[0:1], s[2:3]
	s_cbranch_execz .LBB965_14
.LBB965_22:
	v_cndmask_b32_e64 v0, 0, v3, s[2:3]
	global_store_short v[6:7], v0, off offset:512
	s_or_b64 exec, exec, s[0:1]
                                        ; implicit-def: $vgpr1
	s_and_saveexec_b64 s[0:1], s[4:5]
	s_cbranch_execnz .LBB965_15
	s_branch .LBB965_16
	.section	.rodata,"a",@progbits
	.p2align	6, 0x0
	.amdhsa_kernel _ZN7rocprim17ROCPRIM_400000_NS6detail17trampoline_kernelINS0_14default_configENS1_25transform_config_selectorItLb0EEEZNS1_14transform_implILb0ES3_S5_N6thrust23THRUST_200600_302600_NS6detail15normal_iteratorINS8_10device_ptrItEEEEPtNS0_8identityItEEEE10hipError_tT2_T3_mT4_P12ihipStream_tbEUlT_E_NS1_11comp_targetILNS1_3genE0ELNS1_11target_archE4294967295ELNS1_3gpuE0ELNS1_3repE0EEENS1_30default_config_static_selectorELNS0_4arch9wavefront6targetE1EEEvT1_
		.amdhsa_group_segment_fixed_size 0
		.amdhsa_private_segment_fixed_size 0
		.amdhsa_kernarg_size 296
		.amdhsa_user_sgpr_count 2
		.amdhsa_user_sgpr_dispatch_ptr 0
		.amdhsa_user_sgpr_queue_ptr 0
		.amdhsa_user_sgpr_kernarg_segment_ptr 1
		.amdhsa_user_sgpr_dispatch_id 0
		.amdhsa_user_sgpr_kernarg_preload_length 0
		.amdhsa_user_sgpr_kernarg_preload_offset 0
		.amdhsa_user_sgpr_private_segment_size 0
		.amdhsa_uses_dynamic_stack 0
		.amdhsa_enable_private_segment 0
		.amdhsa_system_sgpr_workgroup_id_x 1
		.amdhsa_system_sgpr_workgroup_id_y 0
		.amdhsa_system_sgpr_workgroup_id_z 0
		.amdhsa_system_sgpr_workgroup_info 0
		.amdhsa_system_vgpr_workitem_id 0
		.amdhsa_next_free_vgpr 11
		.amdhsa_next_free_sgpr 20
		.amdhsa_accum_offset 12
		.amdhsa_reserve_vcc 1
		.amdhsa_float_round_mode_32 0
		.amdhsa_float_round_mode_16_64 0
		.amdhsa_float_denorm_mode_32 3
		.amdhsa_float_denorm_mode_16_64 3
		.amdhsa_dx10_clamp 1
		.amdhsa_ieee_mode 1
		.amdhsa_fp16_overflow 0
		.amdhsa_tg_split 0
		.amdhsa_exception_fp_ieee_invalid_op 0
		.amdhsa_exception_fp_denorm_src 0
		.amdhsa_exception_fp_ieee_div_zero 0
		.amdhsa_exception_fp_ieee_overflow 0
		.amdhsa_exception_fp_ieee_underflow 0
		.amdhsa_exception_fp_ieee_inexact 0
		.amdhsa_exception_int_div_zero 0
	.end_amdhsa_kernel
	.section	.text._ZN7rocprim17ROCPRIM_400000_NS6detail17trampoline_kernelINS0_14default_configENS1_25transform_config_selectorItLb0EEEZNS1_14transform_implILb0ES3_S5_N6thrust23THRUST_200600_302600_NS6detail15normal_iteratorINS8_10device_ptrItEEEEPtNS0_8identityItEEEE10hipError_tT2_T3_mT4_P12ihipStream_tbEUlT_E_NS1_11comp_targetILNS1_3genE0ELNS1_11target_archE4294967295ELNS1_3gpuE0ELNS1_3repE0EEENS1_30default_config_static_selectorELNS0_4arch9wavefront6targetE1EEEvT1_,"axG",@progbits,_ZN7rocprim17ROCPRIM_400000_NS6detail17trampoline_kernelINS0_14default_configENS1_25transform_config_selectorItLb0EEEZNS1_14transform_implILb0ES3_S5_N6thrust23THRUST_200600_302600_NS6detail15normal_iteratorINS8_10device_ptrItEEEEPtNS0_8identityItEEEE10hipError_tT2_T3_mT4_P12ihipStream_tbEUlT_E_NS1_11comp_targetILNS1_3genE0ELNS1_11target_archE4294967295ELNS1_3gpuE0ELNS1_3repE0EEENS1_30default_config_static_selectorELNS0_4arch9wavefront6targetE1EEEvT1_,comdat
.Lfunc_end965:
	.size	_ZN7rocprim17ROCPRIM_400000_NS6detail17trampoline_kernelINS0_14default_configENS1_25transform_config_selectorItLb0EEEZNS1_14transform_implILb0ES3_S5_N6thrust23THRUST_200600_302600_NS6detail15normal_iteratorINS8_10device_ptrItEEEEPtNS0_8identityItEEEE10hipError_tT2_T3_mT4_P12ihipStream_tbEUlT_E_NS1_11comp_targetILNS1_3genE0ELNS1_11target_archE4294967295ELNS1_3gpuE0ELNS1_3repE0EEENS1_30default_config_static_selectorELNS0_4arch9wavefront6targetE1EEEvT1_, .Lfunc_end965-_ZN7rocprim17ROCPRIM_400000_NS6detail17trampoline_kernelINS0_14default_configENS1_25transform_config_selectorItLb0EEEZNS1_14transform_implILb0ES3_S5_N6thrust23THRUST_200600_302600_NS6detail15normal_iteratorINS8_10device_ptrItEEEEPtNS0_8identityItEEEE10hipError_tT2_T3_mT4_P12ihipStream_tbEUlT_E_NS1_11comp_targetILNS1_3genE0ELNS1_11target_archE4294967295ELNS1_3gpuE0ELNS1_3repE0EEENS1_30default_config_static_selectorELNS0_4arch9wavefront6targetE1EEEvT1_
                                        ; -- End function
	.set _ZN7rocprim17ROCPRIM_400000_NS6detail17trampoline_kernelINS0_14default_configENS1_25transform_config_selectorItLb0EEEZNS1_14transform_implILb0ES3_S5_N6thrust23THRUST_200600_302600_NS6detail15normal_iteratorINS8_10device_ptrItEEEEPtNS0_8identityItEEEE10hipError_tT2_T3_mT4_P12ihipStream_tbEUlT_E_NS1_11comp_targetILNS1_3genE0ELNS1_11target_archE4294967295ELNS1_3gpuE0ELNS1_3repE0EEENS1_30default_config_static_selectorELNS0_4arch9wavefront6targetE1EEEvT1_.num_vgpr, 11
	.set _ZN7rocprim17ROCPRIM_400000_NS6detail17trampoline_kernelINS0_14default_configENS1_25transform_config_selectorItLb0EEEZNS1_14transform_implILb0ES3_S5_N6thrust23THRUST_200600_302600_NS6detail15normal_iteratorINS8_10device_ptrItEEEEPtNS0_8identityItEEEE10hipError_tT2_T3_mT4_P12ihipStream_tbEUlT_E_NS1_11comp_targetILNS1_3genE0ELNS1_11target_archE4294967295ELNS1_3gpuE0ELNS1_3repE0EEENS1_30default_config_static_selectorELNS0_4arch9wavefront6targetE1EEEvT1_.num_agpr, 0
	.set _ZN7rocprim17ROCPRIM_400000_NS6detail17trampoline_kernelINS0_14default_configENS1_25transform_config_selectorItLb0EEEZNS1_14transform_implILb0ES3_S5_N6thrust23THRUST_200600_302600_NS6detail15normal_iteratorINS8_10device_ptrItEEEEPtNS0_8identityItEEEE10hipError_tT2_T3_mT4_P12ihipStream_tbEUlT_E_NS1_11comp_targetILNS1_3genE0ELNS1_11target_archE4294967295ELNS1_3gpuE0ELNS1_3repE0EEENS1_30default_config_static_selectorELNS0_4arch9wavefront6targetE1EEEvT1_.numbered_sgpr, 20
	.set _ZN7rocprim17ROCPRIM_400000_NS6detail17trampoline_kernelINS0_14default_configENS1_25transform_config_selectorItLb0EEEZNS1_14transform_implILb0ES3_S5_N6thrust23THRUST_200600_302600_NS6detail15normal_iteratorINS8_10device_ptrItEEEEPtNS0_8identityItEEEE10hipError_tT2_T3_mT4_P12ihipStream_tbEUlT_E_NS1_11comp_targetILNS1_3genE0ELNS1_11target_archE4294967295ELNS1_3gpuE0ELNS1_3repE0EEENS1_30default_config_static_selectorELNS0_4arch9wavefront6targetE1EEEvT1_.num_named_barrier, 0
	.set _ZN7rocprim17ROCPRIM_400000_NS6detail17trampoline_kernelINS0_14default_configENS1_25transform_config_selectorItLb0EEEZNS1_14transform_implILb0ES3_S5_N6thrust23THRUST_200600_302600_NS6detail15normal_iteratorINS8_10device_ptrItEEEEPtNS0_8identityItEEEE10hipError_tT2_T3_mT4_P12ihipStream_tbEUlT_E_NS1_11comp_targetILNS1_3genE0ELNS1_11target_archE4294967295ELNS1_3gpuE0ELNS1_3repE0EEENS1_30default_config_static_selectorELNS0_4arch9wavefront6targetE1EEEvT1_.private_seg_size, 0
	.set _ZN7rocprim17ROCPRIM_400000_NS6detail17trampoline_kernelINS0_14default_configENS1_25transform_config_selectorItLb0EEEZNS1_14transform_implILb0ES3_S5_N6thrust23THRUST_200600_302600_NS6detail15normal_iteratorINS8_10device_ptrItEEEEPtNS0_8identityItEEEE10hipError_tT2_T3_mT4_P12ihipStream_tbEUlT_E_NS1_11comp_targetILNS1_3genE0ELNS1_11target_archE4294967295ELNS1_3gpuE0ELNS1_3repE0EEENS1_30default_config_static_selectorELNS0_4arch9wavefront6targetE1EEEvT1_.uses_vcc, 1
	.set _ZN7rocprim17ROCPRIM_400000_NS6detail17trampoline_kernelINS0_14default_configENS1_25transform_config_selectorItLb0EEEZNS1_14transform_implILb0ES3_S5_N6thrust23THRUST_200600_302600_NS6detail15normal_iteratorINS8_10device_ptrItEEEEPtNS0_8identityItEEEE10hipError_tT2_T3_mT4_P12ihipStream_tbEUlT_E_NS1_11comp_targetILNS1_3genE0ELNS1_11target_archE4294967295ELNS1_3gpuE0ELNS1_3repE0EEENS1_30default_config_static_selectorELNS0_4arch9wavefront6targetE1EEEvT1_.uses_flat_scratch, 0
	.set _ZN7rocprim17ROCPRIM_400000_NS6detail17trampoline_kernelINS0_14default_configENS1_25transform_config_selectorItLb0EEEZNS1_14transform_implILb0ES3_S5_N6thrust23THRUST_200600_302600_NS6detail15normal_iteratorINS8_10device_ptrItEEEEPtNS0_8identityItEEEE10hipError_tT2_T3_mT4_P12ihipStream_tbEUlT_E_NS1_11comp_targetILNS1_3genE0ELNS1_11target_archE4294967295ELNS1_3gpuE0ELNS1_3repE0EEENS1_30default_config_static_selectorELNS0_4arch9wavefront6targetE1EEEvT1_.has_dyn_sized_stack, 0
	.set _ZN7rocprim17ROCPRIM_400000_NS6detail17trampoline_kernelINS0_14default_configENS1_25transform_config_selectorItLb0EEEZNS1_14transform_implILb0ES3_S5_N6thrust23THRUST_200600_302600_NS6detail15normal_iteratorINS8_10device_ptrItEEEEPtNS0_8identityItEEEE10hipError_tT2_T3_mT4_P12ihipStream_tbEUlT_E_NS1_11comp_targetILNS1_3genE0ELNS1_11target_archE4294967295ELNS1_3gpuE0ELNS1_3repE0EEENS1_30default_config_static_selectorELNS0_4arch9wavefront6targetE1EEEvT1_.has_recursion, 0
	.set _ZN7rocprim17ROCPRIM_400000_NS6detail17trampoline_kernelINS0_14default_configENS1_25transform_config_selectorItLb0EEEZNS1_14transform_implILb0ES3_S5_N6thrust23THRUST_200600_302600_NS6detail15normal_iteratorINS8_10device_ptrItEEEEPtNS0_8identityItEEEE10hipError_tT2_T3_mT4_P12ihipStream_tbEUlT_E_NS1_11comp_targetILNS1_3genE0ELNS1_11target_archE4294967295ELNS1_3gpuE0ELNS1_3repE0EEENS1_30default_config_static_selectorELNS0_4arch9wavefront6targetE1EEEvT1_.has_indirect_call, 0
	.section	.AMDGPU.csdata,"",@progbits
; Kernel info:
; codeLenInByte = 676
; TotalNumSgprs: 26
; NumVgprs: 11
; NumAgprs: 0
; TotalNumVgprs: 11
; ScratchSize: 0
; MemoryBound: 0
; FloatMode: 240
; IeeeMode: 1
; LDSByteSize: 0 bytes/workgroup (compile time only)
; SGPRBlocks: 3
; VGPRBlocks: 1
; NumSGPRsForWavesPerEU: 26
; NumVGPRsForWavesPerEU: 11
; AccumOffset: 12
; Occupancy: 8
; WaveLimiterHint : 1
; COMPUTE_PGM_RSRC2:SCRATCH_EN: 0
; COMPUTE_PGM_RSRC2:USER_SGPR: 2
; COMPUTE_PGM_RSRC2:TRAP_HANDLER: 0
; COMPUTE_PGM_RSRC2:TGID_X_EN: 1
; COMPUTE_PGM_RSRC2:TGID_Y_EN: 0
; COMPUTE_PGM_RSRC2:TGID_Z_EN: 0
; COMPUTE_PGM_RSRC2:TIDIG_COMP_CNT: 0
; COMPUTE_PGM_RSRC3_GFX90A:ACCUM_OFFSET: 2
; COMPUTE_PGM_RSRC3_GFX90A:TG_SPLIT: 0
	.section	.text._ZN7rocprim17ROCPRIM_400000_NS6detail17trampoline_kernelINS0_14default_configENS1_25transform_config_selectorItLb0EEEZNS1_14transform_implILb0ES3_S5_N6thrust23THRUST_200600_302600_NS6detail15normal_iteratorINS8_10device_ptrItEEEEPtNS0_8identityItEEEE10hipError_tT2_T3_mT4_P12ihipStream_tbEUlT_E_NS1_11comp_targetILNS1_3genE5ELNS1_11target_archE942ELNS1_3gpuE9ELNS1_3repE0EEENS1_30default_config_static_selectorELNS0_4arch9wavefront6targetE1EEEvT1_,"axG",@progbits,_ZN7rocprim17ROCPRIM_400000_NS6detail17trampoline_kernelINS0_14default_configENS1_25transform_config_selectorItLb0EEEZNS1_14transform_implILb0ES3_S5_N6thrust23THRUST_200600_302600_NS6detail15normal_iteratorINS8_10device_ptrItEEEEPtNS0_8identityItEEEE10hipError_tT2_T3_mT4_P12ihipStream_tbEUlT_E_NS1_11comp_targetILNS1_3genE5ELNS1_11target_archE942ELNS1_3gpuE9ELNS1_3repE0EEENS1_30default_config_static_selectorELNS0_4arch9wavefront6targetE1EEEvT1_,comdat
	.protected	_ZN7rocprim17ROCPRIM_400000_NS6detail17trampoline_kernelINS0_14default_configENS1_25transform_config_selectorItLb0EEEZNS1_14transform_implILb0ES3_S5_N6thrust23THRUST_200600_302600_NS6detail15normal_iteratorINS8_10device_ptrItEEEEPtNS0_8identityItEEEE10hipError_tT2_T3_mT4_P12ihipStream_tbEUlT_E_NS1_11comp_targetILNS1_3genE5ELNS1_11target_archE942ELNS1_3gpuE9ELNS1_3repE0EEENS1_30default_config_static_selectorELNS0_4arch9wavefront6targetE1EEEvT1_ ; -- Begin function _ZN7rocprim17ROCPRIM_400000_NS6detail17trampoline_kernelINS0_14default_configENS1_25transform_config_selectorItLb0EEEZNS1_14transform_implILb0ES3_S5_N6thrust23THRUST_200600_302600_NS6detail15normal_iteratorINS8_10device_ptrItEEEEPtNS0_8identityItEEEE10hipError_tT2_T3_mT4_P12ihipStream_tbEUlT_E_NS1_11comp_targetILNS1_3genE5ELNS1_11target_archE942ELNS1_3gpuE9ELNS1_3repE0EEENS1_30default_config_static_selectorELNS0_4arch9wavefront6targetE1EEEvT1_
	.globl	_ZN7rocprim17ROCPRIM_400000_NS6detail17trampoline_kernelINS0_14default_configENS1_25transform_config_selectorItLb0EEEZNS1_14transform_implILb0ES3_S5_N6thrust23THRUST_200600_302600_NS6detail15normal_iteratorINS8_10device_ptrItEEEEPtNS0_8identityItEEEE10hipError_tT2_T3_mT4_P12ihipStream_tbEUlT_E_NS1_11comp_targetILNS1_3genE5ELNS1_11target_archE942ELNS1_3gpuE9ELNS1_3repE0EEENS1_30default_config_static_selectorELNS0_4arch9wavefront6targetE1EEEvT1_
	.p2align	8
	.type	_ZN7rocprim17ROCPRIM_400000_NS6detail17trampoline_kernelINS0_14default_configENS1_25transform_config_selectorItLb0EEEZNS1_14transform_implILb0ES3_S5_N6thrust23THRUST_200600_302600_NS6detail15normal_iteratorINS8_10device_ptrItEEEEPtNS0_8identityItEEEE10hipError_tT2_T3_mT4_P12ihipStream_tbEUlT_E_NS1_11comp_targetILNS1_3genE5ELNS1_11target_archE942ELNS1_3gpuE9ELNS1_3repE0EEENS1_30default_config_static_selectorELNS0_4arch9wavefront6targetE1EEEvT1_,@function
_ZN7rocprim17ROCPRIM_400000_NS6detail17trampoline_kernelINS0_14default_configENS1_25transform_config_selectorItLb0EEEZNS1_14transform_implILb0ES3_S5_N6thrust23THRUST_200600_302600_NS6detail15normal_iteratorINS8_10device_ptrItEEEEPtNS0_8identityItEEEE10hipError_tT2_T3_mT4_P12ihipStream_tbEUlT_E_NS1_11comp_targetILNS1_3genE5ELNS1_11target_archE942ELNS1_3gpuE9ELNS1_3repE0EEENS1_30default_config_static_selectorELNS0_4arch9wavefront6targetE1EEEvT1_: ; @_ZN7rocprim17ROCPRIM_400000_NS6detail17trampoline_kernelINS0_14default_configENS1_25transform_config_selectorItLb0EEEZNS1_14transform_implILb0ES3_S5_N6thrust23THRUST_200600_302600_NS6detail15normal_iteratorINS8_10device_ptrItEEEEPtNS0_8identityItEEEE10hipError_tT2_T3_mT4_P12ihipStream_tbEUlT_E_NS1_11comp_targetILNS1_3genE5ELNS1_11target_archE942ELNS1_3gpuE9ELNS1_3repE0EEENS1_30default_config_static_selectorELNS0_4arch9wavefront6targetE1EEEvT1_
; %bb.0:
	.section	.rodata,"a",@progbits
	.p2align	6, 0x0
	.amdhsa_kernel _ZN7rocprim17ROCPRIM_400000_NS6detail17trampoline_kernelINS0_14default_configENS1_25transform_config_selectorItLb0EEEZNS1_14transform_implILb0ES3_S5_N6thrust23THRUST_200600_302600_NS6detail15normal_iteratorINS8_10device_ptrItEEEEPtNS0_8identityItEEEE10hipError_tT2_T3_mT4_P12ihipStream_tbEUlT_E_NS1_11comp_targetILNS1_3genE5ELNS1_11target_archE942ELNS1_3gpuE9ELNS1_3repE0EEENS1_30default_config_static_selectorELNS0_4arch9wavefront6targetE1EEEvT1_
		.amdhsa_group_segment_fixed_size 0
		.amdhsa_private_segment_fixed_size 0
		.amdhsa_kernarg_size 40
		.amdhsa_user_sgpr_count 2
		.amdhsa_user_sgpr_dispatch_ptr 0
		.amdhsa_user_sgpr_queue_ptr 0
		.amdhsa_user_sgpr_kernarg_segment_ptr 1
		.amdhsa_user_sgpr_dispatch_id 0
		.amdhsa_user_sgpr_kernarg_preload_length 0
		.amdhsa_user_sgpr_kernarg_preload_offset 0
		.amdhsa_user_sgpr_private_segment_size 0
		.amdhsa_uses_dynamic_stack 0
		.amdhsa_enable_private_segment 0
		.amdhsa_system_sgpr_workgroup_id_x 1
		.amdhsa_system_sgpr_workgroup_id_y 0
		.amdhsa_system_sgpr_workgroup_id_z 0
		.amdhsa_system_sgpr_workgroup_info 0
		.amdhsa_system_vgpr_workitem_id 0
		.amdhsa_next_free_vgpr 1
		.amdhsa_next_free_sgpr 0
		.amdhsa_accum_offset 4
		.amdhsa_reserve_vcc 0
		.amdhsa_float_round_mode_32 0
		.amdhsa_float_round_mode_16_64 0
		.amdhsa_float_denorm_mode_32 3
		.amdhsa_float_denorm_mode_16_64 3
		.amdhsa_dx10_clamp 1
		.amdhsa_ieee_mode 1
		.amdhsa_fp16_overflow 0
		.amdhsa_tg_split 0
		.amdhsa_exception_fp_ieee_invalid_op 0
		.amdhsa_exception_fp_denorm_src 0
		.amdhsa_exception_fp_ieee_div_zero 0
		.amdhsa_exception_fp_ieee_overflow 0
		.amdhsa_exception_fp_ieee_underflow 0
		.amdhsa_exception_fp_ieee_inexact 0
		.amdhsa_exception_int_div_zero 0
	.end_amdhsa_kernel
	.section	.text._ZN7rocprim17ROCPRIM_400000_NS6detail17trampoline_kernelINS0_14default_configENS1_25transform_config_selectorItLb0EEEZNS1_14transform_implILb0ES3_S5_N6thrust23THRUST_200600_302600_NS6detail15normal_iteratorINS8_10device_ptrItEEEEPtNS0_8identityItEEEE10hipError_tT2_T3_mT4_P12ihipStream_tbEUlT_E_NS1_11comp_targetILNS1_3genE5ELNS1_11target_archE942ELNS1_3gpuE9ELNS1_3repE0EEENS1_30default_config_static_selectorELNS0_4arch9wavefront6targetE1EEEvT1_,"axG",@progbits,_ZN7rocprim17ROCPRIM_400000_NS6detail17trampoline_kernelINS0_14default_configENS1_25transform_config_selectorItLb0EEEZNS1_14transform_implILb0ES3_S5_N6thrust23THRUST_200600_302600_NS6detail15normal_iteratorINS8_10device_ptrItEEEEPtNS0_8identityItEEEE10hipError_tT2_T3_mT4_P12ihipStream_tbEUlT_E_NS1_11comp_targetILNS1_3genE5ELNS1_11target_archE942ELNS1_3gpuE9ELNS1_3repE0EEENS1_30default_config_static_selectorELNS0_4arch9wavefront6targetE1EEEvT1_,comdat
.Lfunc_end966:
	.size	_ZN7rocprim17ROCPRIM_400000_NS6detail17trampoline_kernelINS0_14default_configENS1_25transform_config_selectorItLb0EEEZNS1_14transform_implILb0ES3_S5_N6thrust23THRUST_200600_302600_NS6detail15normal_iteratorINS8_10device_ptrItEEEEPtNS0_8identityItEEEE10hipError_tT2_T3_mT4_P12ihipStream_tbEUlT_E_NS1_11comp_targetILNS1_3genE5ELNS1_11target_archE942ELNS1_3gpuE9ELNS1_3repE0EEENS1_30default_config_static_selectorELNS0_4arch9wavefront6targetE1EEEvT1_, .Lfunc_end966-_ZN7rocprim17ROCPRIM_400000_NS6detail17trampoline_kernelINS0_14default_configENS1_25transform_config_selectorItLb0EEEZNS1_14transform_implILb0ES3_S5_N6thrust23THRUST_200600_302600_NS6detail15normal_iteratorINS8_10device_ptrItEEEEPtNS0_8identityItEEEE10hipError_tT2_T3_mT4_P12ihipStream_tbEUlT_E_NS1_11comp_targetILNS1_3genE5ELNS1_11target_archE942ELNS1_3gpuE9ELNS1_3repE0EEENS1_30default_config_static_selectorELNS0_4arch9wavefront6targetE1EEEvT1_
                                        ; -- End function
	.set _ZN7rocprim17ROCPRIM_400000_NS6detail17trampoline_kernelINS0_14default_configENS1_25transform_config_selectorItLb0EEEZNS1_14transform_implILb0ES3_S5_N6thrust23THRUST_200600_302600_NS6detail15normal_iteratorINS8_10device_ptrItEEEEPtNS0_8identityItEEEE10hipError_tT2_T3_mT4_P12ihipStream_tbEUlT_E_NS1_11comp_targetILNS1_3genE5ELNS1_11target_archE942ELNS1_3gpuE9ELNS1_3repE0EEENS1_30default_config_static_selectorELNS0_4arch9wavefront6targetE1EEEvT1_.num_vgpr, 0
	.set _ZN7rocprim17ROCPRIM_400000_NS6detail17trampoline_kernelINS0_14default_configENS1_25transform_config_selectorItLb0EEEZNS1_14transform_implILb0ES3_S5_N6thrust23THRUST_200600_302600_NS6detail15normal_iteratorINS8_10device_ptrItEEEEPtNS0_8identityItEEEE10hipError_tT2_T3_mT4_P12ihipStream_tbEUlT_E_NS1_11comp_targetILNS1_3genE5ELNS1_11target_archE942ELNS1_3gpuE9ELNS1_3repE0EEENS1_30default_config_static_selectorELNS0_4arch9wavefront6targetE1EEEvT1_.num_agpr, 0
	.set _ZN7rocprim17ROCPRIM_400000_NS6detail17trampoline_kernelINS0_14default_configENS1_25transform_config_selectorItLb0EEEZNS1_14transform_implILb0ES3_S5_N6thrust23THRUST_200600_302600_NS6detail15normal_iteratorINS8_10device_ptrItEEEEPtNS0_8identityItEEEE10hipError_tT2_T3_mT4_P12ihipStream_tbEUlT_E_NS1_11comp_targetILNS1_3genE5ELNS1_11target_archE942ELNS1_3gpuE9ELNS1_3repE0EEENS1_30default_config_static_selectorELNS0_4arch9wavefront6targetE1EEEvT1_.numbered_sgpr, 0
	.set _ZN7rocprim17ROCPRIM_400000_NS6detail17trampoline_kernelINS0_14default_configENS1_25transform_config_selectorItLb0EEEZNS1_14transform_implILb0ES3_S5_N6thrust23THRUST_200600_302600_NS6detail15normal_iteratorINS8_10device_ptrItEEEEPtNS0_8identityItEEEE10hipError_tT2_T3_mT4_P12ihipStream_tbEUlT_E_NS1_11comp_targetILNS1_3genE5ELNS1_11target_archE942ELNS1_3gpuE9ELNS1_3repE0EEENS1_30default_config_static_selectorELNS0_4arch9wavefront6targetE1EEEvT1_.num_named_barrier, 0
	.set _ZN7rocprim17ROCPRIM_400000_NS6detail17trampoline_kernelINS0_14default_configENS1_25transform_config_selectorItLb0EEEZNS1_14transform_implILb0ES3_S5_N6thrust23THRUST_200600_302600_NS6detail15normal_iteratorINS8_10device_ptrItEEEEPtNS0_8identityItEEEE10hipError_tT2_T3_mT4_P12ihipStream_tbEUlT_E_NS1_11comp_targetILNS1_3genE5ELNS1_11target_archE942ELNS1_3gpuE9ELNS1_3repE0EEENS1_30default_config_static_selectorELNS0_4arch9wavefront6targetE1EEEvT1_.private_seg_size, 0
	.set _ZN7rocprim17ROCPRIM_400000_NS6detail17trampoline_kernelINS0_14default_configENS1_25transform_config_selectorItLb0EEEZNS1_14transform_implILb0ES3_S5_N6thrust23THRUST_200600_302600_NS6detail15normal_iteratorINS8_10device_ptrItEEEEPtNS0_8identityItEEEE10hipError_tT2_T3_mT4_P12ihipStream_tbEUlT_E_NS1_11comp_targetILNS1_3genE5ELNS1_11target_archE942ELNS1_3gpuE9ELNS1_3repE0EEENS1_30default_config_static_selectorELNS0_4arch9wavefront6targetE1EEEvT1_.uses_vcc, 0
	.set _ZN7rocprim17ROCPRIM_400000_NS6detail17trampoline_kernelINS0_14default_configENS1_25transform_config_selectorItLb0EEEZNS1_14transform_implILb0ES3_S5_N6thrust23THRUST_200600_302600_NS6detail15normal_iteratorINS8_10device_ptrItEEEEPtNS0_8identityItEEEE10hipError_tT2_T3_mT4_P12ihipStream_tbEUlT_E_NS1_11comp_targetILNS1_3genE5ELNS1_11target_archE942ELNS1_3gpuE9ELNS1_3repE0EEENS1_30default_config_static_selectorELNS0_4arch9wavefront6targetE1EEEvT1_.uses_flat_scratch, 0
	.set _ZN7rocprim17ROCPRIM_400000_NS6detail17trampoline_kernelINS0_14default_configENS1_25transform_config_selectorItLb0EEEZNS1_14transform_implILb0ES3_S5_N6thrust23THRUST_200600_302600_NS6detail15normal_iteratorINS8_10device_ptrItEEEEPtNS0_8identityItEEEE10hipError_tT2_T3_mT4_P12ihipStream_tbEUlT_E_NS1_11comp_targetILNS1_3genE5ELNS1_11target_archE942ELNS1_3gpuE9ELNS1_3repE0EEENS1_30default_config_static_selectorELNS0_4arch9wavefront6targetE1EEEvT1_.has_dyn_sized_stack, 0
	.set _ZN7rocprim17ROCPRIM_400000_NS6detail17trampoline_kernelINS0_14default_configENS1_25transform_config_selectorItLb0EEEZNS1_14transform_implILb0ES3_S5_N6thrust23THRUST_200600_302600_NS6detail15normal_iteratorINS8_10device_ptrItEEEEPtNS0_8identityItEEEE10hipError_tT2_T3_mT4_P12ihipStream_tbEUlT_E_NS1_11comp_targetILNS1_3genE5ELNS1_11target_archE942ELNS1_3gpuE9ELNS1_3repE0EEENS1_30default_config_static_selectorELNS0_4arch9wavefront6targetE1EEEvT1_.has_recursion, 0
	.set _ZN7rocprim17ROCPRIM_400000_NS6detail17trampoline_kernelINS0_14default_configENS1_25transform_config_selectorItLb0EEEZNS1_14transform_implILb0ES3_S5_N6thrust23THRUST_200600_302600_NS6detail15normal_iteratorINS8_10device_ptrItEEEEPtNS0_8identityItEEEE10hipError_tT2_T3_mT4_P12ihipStream_tbEUlT_E_NS1_11comp_targetILNS1_3genE5ELNS1_11target_archE942ELNS1_3gpuE9ELNS1_3repE0EEENS1_30default_config_static_selectorELNS0_4arch9wavefront6targetE1EEEvT1_.has_indirect_call, 0
	.section	.AMDGPU.csdata,"",@progbits
; Kernel info:
; codeLenInByte = 0
; TotalNumSgprs: 6
; NumVgprs: 0
; NumAgprs: 0
; TotalNumVgprs: 0
; ScratchSize: 0
; MemoryBound: 0
; FloatMode: 240
; IeeeMode: 1
; LDSByteSize: 0 bytes/workgroup (compile time only)
; SGPRBlocks: 0
; VGPRBlocks: 0
; NumSGPRsForWavesPerEU: 6
; NumVGPRsForWavesPerEU: 1
; AccumOffset: 4
; Occupancy: 8
; WaveLimiterHint : 0
; COMPUTE_PGM_RSRC2:SCRATCH_EN: 0
; COMPUTE_PGM_RSRC2:USER_SGPR: 2
; COMPUTE_PGM_RSRC2:TRAP_HANDLER: 0
; COMPUTE_PGM_RSRC2:TGID_X_EN: 1
; COMPUTE_PGM_RSRC2:TGID_Y_EN: 0
; COMPUTE_PGM_RSRC2:TGID_Z_EN: 0
; COMPUTE_PGM_RSRC2:TIDIG_COMP_CNT: 0
; COMPUTE_PGM_RSRC3_GFX90A:ACCUM_OFFSET: 0
; COMPUTE_PGM_RSRC3_GFX90A:TG_SPLIT: 0
	.section	.text._ZN7rocprim17ROCPRIM_400000_NS6detail17trampoline_kernelINS0_14default_configENS1_25transform_config_selectorItLb0EEEZNS1_14transform_implILb0ES3_S5_N6thrust23THRUST_200600_302600_NS6detail15normal_iteratorINS8_10device_ptrItEEEEPtNS0_8identityItEEEE10hipError_tT2_T3_mT4_P12ihipStream_tbEUlT_E_NS1_11comp_targetILNS1_3genE4ELNS1_11target_archE910ELNS1_3gpuE8ELNS1_3repE0EEENS1_30default_config_static_selectorELNS0_4arch9wavefront6targetE1EEEvT1_,"axG",@progbits,_ZN7rocprim17ROCPRIM_400000_NS6detail17trampoline_kernelINS0_14default_configENS1_25transform_config_selectorItLb0EEEZNS1_14transform_implILb0ES3_S5_N6thrust23THRUST_200600_302600_NS6detail15normal_iteratorINS8_10device_ptrItEEEEPtNS0_8identityItEEEE10hipError_tT2_T3_mT4_P12ihipStream_tbEUlT_E_NS1_11comp_targetILNS1_3genE4ELNS1_11target_archE910ELNS1_3gpuE8ELNS1_3repE0EEENS1_30default_config_static_selectorELNS0_4arch9wavefront6targetE1EEEvT1_,comdat
	.protected	_ZN7rocprim17ROCPRIM_400000_NS6detail17trampoline_kernelINS0_14default_configENS1_25transform_config_selectorItLb0EEEZNS1_14transform_implILb0ES3_S5_N6thrust23THRUST_200600_302600_NS6detail15normal_iteratorINS8_10device_ptrItEEEEPtNS0_8identityItEEEE10hipError_tT2_T3_mT4_P12ihipStream_tbEUlT_E_NS1_11comp_targetILNS1_3genE4ELNS1_11target_archE910ELNS1_3gpuE8ELNS1_3repE0EEENS1_30default_config_static_selectorELNS0_4arch9wavefront6targetE1EEEvT1_ ; -- Begin function _ZN7rocprim17ROCPRIM_400000_NS6detail17trampoline_kernelINS0_14default_configENS1_25transform_config_selectorItLb0EEEZNS1_14transform_implILb0ES3_S5_N6thrust23THRUST_200600_302600_NS6detail15normal_iteratorINS8_10device_ptrItEEEEPtNS0_8identityItEEEE10hipError_tT2_T3_mT4_P12ihipStream_tbEUlT_E_NS1_11comp_targetILNS1_3genE4ELNS1_11target_archE910ELNS1_3gpuE8ELNS1_3repE0EEENS1_30default_config_static_selectorELNS0_4arch9wavefront6targetE1EEEvT1_
	.globl	_ZN7rocprim17ROCPRIM_400000_NS6detail17trampoline_kernelINS0_14default_configENS1_25transform_config_selectorItLb0EEEZNS1_14transform_implILb0ES3_S5_N6thrust23THRUST_200600_302600_NS6detail15normal_iteratorINS8_10device_ptrItEEEEPtNS0_8identityItEEEE10hipError_tT2_T3_mT4_P12ihipStream_tbEUlT_E_NS1_11comp_targetILNS1_3genE4ELNS1_11target_archE910ELNS1_3gpuE8ELNS1_3repE0EEENS1_30default_config_static_selectorELNS0_4arch9wavefront6targetE1EEEvT1_
	.p2align	8
	.type	_ZN7rocprim17ROCPRIM_400000_NS6detail17trampoline_kernelINS0_14default_configENS1_25transform_config_selectorItLb0EEEZNS1_14transform_implILb0ES3_S5_N6thrust23THRUST_200600_302600_NS6detail15normal_iteratorINS8_10device_ptrItEEEEPtNS0_8identityItEEEE10hipError_tT2_T3_mT4_P12ihipStream_tbEUlT_E_NS1_11comp_targetILNS1_3genE4ELNS1_11target_archE910ELNS1_3gpuE8ELNS1_3repE0EEENS1_30default_config_static_selectorELNS0_4arch9wavefront6targetE1EEEvT1_,@function
_ZN7rocprim17ROCPRIM_400000_NS6detail17trampoline_kernelINS0_14default_configENS1_25transform_config_selectorItLb0EEEZNS1_14transform_implILb0ES3_S5_N6thrust23THRUST_200600_302600_NS6detail15normal_iteratorINS8_10device_ptrItEEEEPtNS0_8identityItEEEE10hipError_tT2_T3_mT4_P12ihipStream_tbEUlT_E_NS1_11comp_targetILNS1_3genE4ELNS1_11target_archE910ELNS1_3gpuE8ELNS1_3repE0EEENS1_30default_config_static_selectorELNS0_4arch9wavefront6targetE1EEEvT1_: ; @_ZN7rocprim17ROCPRIM_400000_NS6detail17trampoline_kernelINS0_14default_configENS1_25transform_config_selectorItLb0EEEZNS1_14transform_implILb0ES3_S5_N6thrust23THRUST_200600_302600_NS6detail15normal_iteratorINS8_10device_ptrItEEEEPtNS0_8identityItEEEE10hipError_tT2_T3_mT4_P12ihipStream_tbEUlT_E_NS1_11comp_targetILNS1_3genE4ELNS1_11target_archE910ELNS1_3gpuE8ELNS1_3repE0EEENS1_30default_config_static_selectorELNS0_4arch9wavefront6targetE1EEEvT1_
; %bb.0:
	.section	.rodata,"a",@progbits
	.p2align	6, 0x0
	.amdhsa_kernel _ZN7rocprim17ROCPRIM_400000_NS6detail17trampoline_kernelINS0_14default_configENS1_25transform_config_selectorItLb0EEEZNS1_14transform_implILb0ES3_S5_N6thrust23THRUST_200600_302600_NS6detail15normal_iteratorINS8_10device_ptrItEEEEPtNS0_8identityItEEEE10hipError_tT2_T3_mT4_P12ihipStream_tbEUlT_E_NS1_11comp_targetILNS1_3genE4ELNS1_11target_archE910ELNS1_3gpuE8ELNS1_3repE0EEENS1_30default_config_static_selectorELNS0_4arch9wavefront6targetE1EEEvT1_
		.amdhsa_group_segment_fixed_size 0
		.amdhsa_private_segment_fixed_size 0
		.amdhsa_kernarg_size 40
		.amdhsa_user_sgpr_count 2
		.amdhsa_user_sgpr_dispatch_ptr 0
		.amdhsa_user_sgpr_queue_ptr 0
		.amdhsa_user_sgpr_kernarg_segment_ptr 1
		.amdhsa_user_sgpr_dispatch_id 0
		.amdhsa_user_sgpr_kernarg_preload_length 0
		.amdhsa_user_sgpr_kernarg_preload_offset 0
		.amdhsa_user_sgpr_private_segment_size 0
		.amdhsa_uses_dynamic_stack 0
		.amdhsa_enable_private_segment 0
		.amdhsa_system_sgpr_workgroup_id_x 1
		.amdhsa_system_sgpr_workgroup_id_y 0
		.amdhsa_system_sgpr_workgroup_id_z 0
		.amdhsa_system_sgpr_workgroup_info 0
		.amdhsa_system_vgpr_workitem_id 0
		.amdhsa_next_free_vgpr 1
		.amdhsa_next_free_sgpr 0
		.amdhsa_accum_offset 4
		.amdhsa_reserve_vcc 0
		.amdhsa_float_round_mode_32 0
		.amdhsa_float_round_mode_16_64 0
		.amdhsa_float_denorm_mode_32 3
		.amdhsa_float_denorm_mode_16_64 3
		.amdhsa_dx10_clamp 1
		.amdhsa_ieee_mode 1
		.amdhsa_fp16_overflow 0
		.amdhsa_tg_split 0
		.amdhsa_exception_fp_ieee_invalid_op 0
		.amdhsa_exception_fp_denorm_src 0
		.amdhsa_exception_fp_ieee_div_zero 0
		.amdhsa_exception_fp_ieee_overflow 0
		.amdhsa_exception_fp_ieee_underflow 0
		.amdhsa_exception_fp_ieee_inexact 0
		.amdhsa_exception_int_div_zero 0
	.end_amdhsa_kernel
	.section	.text._ZN7rocprim17ROCPRIM_400000_NS6detail17trampoline_kernelINS0_14default_configENS1_25transform_config_selectorItLb0EEEZNS1_14transform_implILb0ES3_S5_N6thrust23THRUST_200600_302600_NS6detail15normal_iteratorINS8_10device_ptrItEEEEPtNS0_8identityItEEEE10hipError_tT2_T3_mT4_P12ihipStream_tbEUlT_E_NS1_11comp_targetILNS1_3genE4ELNS1_11target_archE910ELNS1_3gpuE8ELNS1_3repE0EEENS1_30default_config_static_selectorELNS0_4arch9wavefront6targetE1EEEvT1_,"axG",@progbits,_ZN7rocprim17ROCPRIM_400000_NS6detail17trampoline_kernelINS0_14default_configENS1_25transform_config_selectorItLb0EEEZNS1_14transform_implILb0ES3_S5_N6thrust23THRUST_200600_302600_NS6detail15normal_iteratorINS8_10device_ptrItEEEEPtNS0_8identityItEEEE10hipError_tT2_T3_mT4_P12ihipStream_tbEUlT_E_NS1_11comp_targetILNS1_3genE4ELNS1_11target_archE910ELNS1_3gpuE8ELNS1_3repE0EEENS1_30default_config_static_selectorELNS0_4arch9wavefront6targetE1EEEvT1_,comdat
.Lfunc_end967:
	.size	_ZN7rocprim17ROCPRIM_400000_NS6detail17trampoline_kernelINS0_14default_configENS1_25transform_config_selectorItLb0EEEZNS1_14transform_implILb0ES3_S5_N6thrust23THRUST_200600_302600_NS6detail15normal_iteratorINS8_10device_ptrItEEEEPtNS0_8identityItEEEE10hipError_tT2_T3_mT4_P12ihipStream_tbEUlT_E_NS1_11comp_targetILNS1_3genE4ELNS1_11target_archE910ELNS1_3gpuE8ELNS1_3repE0EEENS1_30default_config_static_selectorELNS0_4arch9wavefront6targetE1EEEvT1_, .Lfunc_end967-_ZN7rocprim17ROCPRIM_400000_NS6detail17trampoline_kernelINS0_14default_configENS1_25transform_config_selectorItLb0EEEZNS1_14transform_implILb0ES3_S5_N6thrust23THRUST_200600_302600_NS6detail15normal_iteratorINS8_10device_ptrItEEEEPtNS0_8identityItEEEE10hipError_tT2_T3_mT4_P12ihipStream_tbEUlT_E_NS1_11comp_targetILNS1_3genE4ELNS1_11target_archE910ELNS1_3gpuE8ELNS1_3repE0EEENS1_30default_config_static_selectorELNS0_4arch9wavefront6targetE1EEEvT1_
                                        ; -- End function
	.set _ZN7rocprim17ROCPRIM_400000_NS6detail17trampoline_kernelINS0_14default_configENS1_25transform_config_selectorItLb0EEEZNS1_14transform_implILb0ES3_S5_N6thrust23THRUST_200600_302600_NS6detail15normal_iteratorINS8_10device_ptrItEEEEPtNS0_8identityItEEEE10hipError_tT2_T3_mT4_P12ihipStream_tbEUlT_E_NS1_11comp_targetILNS1_3genE4ELNS1_11target_archE910ELNS1_3gpuE8ELNS1_3repE0EEENS1_30default_config_static_selectorELNS0_4arch9wavefront6targetE1EEEvT1_.num_vgpr, 0
	.set _ZN7rocprim17ROCPRIM_400000_NS6detail17trampoline_kernelINS0_14default_configENS1_25transform_config_selectorItLb0EEEZNS1_14transform_implILb0ES3_S5_N6thrust23THRUST_200600_302600_NS6detail15normal_iteratorINS8_10device_ptrItEEEEPtNS0_8identityItEEEE10hipError_tT2_T3_mT4_P12ihipStream_tbEUlT_E_NS1_11comp_targetILNS1_3genE4ELNS1_11target_archE910ELNS1_3gpuE8ELNS1_3repE0EEENS1_30default_config_static_selectorELNS0_4arch9wavefront6targetE1EEEvT1_.num_agpr, 0
	.set _ZN7rocprim17ROCPRIM_400000_NS6detail17trampoline_kernelINS0_14default_configENS1_25transform_config_selectorItLb0EEEZNS1_14transform_implILb0ES3_S5_N6thrust23THRUST_200600_302600_NS6detail15normal_iteratorINS8_10device_ptrItEEEEPtNS0_8identityItEEEE10hipError_tT2_T3_mT4_P12ihipStream_tbEUlT_E_NS1_11comp_targetILNS1_3genE4ELNS1_11target_archE910ELNS1_3gpuE8ELNS1_3repE0EEENS1_30default_config_static_selectorELNS0_4arch9wavefront6targetE1EEEvT1_.numbered_sgpr, 0
	.set _ZN7rocprim17ROCPRIM_400000_NS6detail17trampoline_kernelINS0_14default_configENS1_25transform_config_selectorItLb0EEEZNS1_14transform_implILb0ES3_S5_N6thrust23THRUST_200600_302600_NS6detail15normal_iteratorINS8_10device_ptrItEEEEPtNS0_8identityItEEEE10hipError_tT2_T3_mT4_P12ihipStream_tbEUlT_E_NS1_11comp_targetILNS1_3genE4ELNS1_11target_archE910ELNS1_3gpuE8ELNS1_3repE0EEENS1_30default_config_static_selectorELNS0_4arch9wavefront6targetE1EEEvT1_.num_named_barrier, 0
	.set _ZN7rocprim17ROCPRIM_400000_NS6detail17trampoline_kernelINS0_14default_configENS1_25transform_config_selectorItLb0EEEZNS1_14transform_implILb0ES3_S5_N6thrust23THRUST_200600_302600_NS6detail15normal_iteratorINS8_10device_ptrItEEEEPtNS0_8identityItEEEE10hipError_tT2_T3_mT4_P12ihipStream_tbEUlT_E_NS1_11comp_targetILNS1_3genE4ELNS1_11target_archE910ELNS1_3gpuE8ELNS1_3repE0EEENS1_30default_config_static_selectorELNS0_4arch9wavefront6targetE1EEEvT1_.private_seg_size, 0
	.set _ZN7rocprim17ROCPRIM_400000_NS6detail17trampoline_kernelINS0_14default_configENS1_25transform_config_selectorItLb0EEEZNS1_14transform_implILb0ES3_S5_N6thrust23THRUST_200600_302600_NS6detail15normal_iteratorINS8_10device_ptrItEEEEPtNS0_8identityItEEEE10hipError_tT2_T3_mT4_P12ihipStream_tbEUlT_E_NS1_11comp_targetILNS1_3genE4ELNS1_11target_archE910ELNS1_3gpuE8ELNS1_3repE0EEENS1_30default_config_static_selectorELNS0_4arch9wavefront6targetE1EEEvT1_.uses_vcc, 0
	.set _ZN7rocprim17ROCPRIM_400000_NS6detail17trampoline_kernelINS0_14default_configENS1_25transform_config_selectorItLb0EEEZNS1_14transform_implILb0ES3_S5_N6thrust23THRUST_200600_302600_NS6detail15normal_iteratorINS8_10device_ptrItEEEEPtNS0_8identityItEEEE10hipError_tT2_T3_mT4_P12ihipStream_tbEUlT_E_NS1_11comp_targetILNS1_3genE4ELNS1_11target_archE910ELNS1_3gpuE8ELNS1_3repE0EEENS1_30default_config_static_selectorELNS0_4arch9wavefront6targetE1EEEvT1_.uses_flat_scratch, 0
	.set _ZN7rocprim17ROCPRIM_400000_NS6detail17trampoline_kernelINS0_14default_configENS1_25transform_config_selectorItLb0EEEZNS1_14transform_implILb0ES3_S5_N6thrust23THRUST_200600_302600_NS6detail15normal_iteratorINS8_10device_ptrItEEEEPtNS0_8identityItEEEE10hipError_tT2_T3_mT4_P12ihipStream_tbEUlT_E_NS1_11comp_targetILNS1_3genE4ELNS1_11target_archE910ELNS1_3gpuE8ELNS1_3repE0EEENS1_30default_config_static_selectorELNS0_4arch9wavefront6targetE1EEEvT1_.has_dyn_sized_stack, 0
	.set _ZN7rocprim17ROCPRIM_400000_NS6detail17trampoline_kernelINS0_14default_configENS1_25transform_config_selectorItLb0EEEZNS1_14transform_implILb0ES3_S5_N6thrust23THRUST_200600_302600_NS6detail15normal_iteratorINS8_10device_ptrItEEEEPtNS0_8identityItEEEE10hipError_tT2_T3_mT4_P12ihipStream_tbEUlT_E_NS1_11comp_targetILNS1_3genE4ELNS1_11target_archE910ELNS1_3gpuE8ELNS1_3repE0EEENS1_30default_config_static_selectorELNS0_4arch9wavefront6targetE1EEEvT1_.has_recursion, 0
	.set _ZN7rocprim17ROCPRIM_400000_NS6detail17trampoline_kernelINS0_14default_configENS1_25transform_config_selectorItLb0EEEZNS1_14transform_implILb0ES3_S5_N6thrust23THRUST_200600_302600_NS6detail15normal_iteratorINS8_10device_ptrItEEEEPtNS0_8identityItEEEE10hipError_tT2_T3_mT4_P12ihipStream_tbEUlT_E_NS1_11comp_targetILNS1_3genE4ELNS1_11target_archE910ELNS1_3gpuE8ELNS1_3repE0EEENS1_30default_config_static_selectorELNS0_4arch9wavefront6targetE1EEEvT1_.has_indirect_call, 0
	.section	.AMDGPU.csdata,"",@progbits
; Kernel info:
; codeLenInByte = 0
; TotalNumSgprs: 6
; NumVgprs: 0
; NumAgprs: 0
; TotalNumVgprs: 0
; ScratchSize: 0
; MemoryBound: 0
; FloatMode: 240
; IeeeMode: 1
; LDSByteSize: 0 bytes/workgroup (compile time only)
; SGPRBlocks: 0
; VGPRBlocks: 0
; NumSGPRsForWavesPerEU: 6
; NumVGPRsForWavesPerEU: 1
; AccumOffset: 4
; Occupancy: 8
; WaveLimiterHint : 0
; COMPUTE_PGM_RSRC2:SCRATCH_EN: 0
; COMPUTE_PGM_RSRC2:USER_SGPR: 2
; COMPUTE_PGM_RSRC2:TRAP_HANDLER: 0
; COMPUTE_PGM_RSRC2:TGID_X_EN: 1
; COMPUTE_PGM_RSRC2:TGID_Y_EN: 0
; COMPUTE_PGM_RSRC2:TGID_Z_EN: 0
; COMPUTE_PGM_RSRC2:TIDIG_COMP_CNT: 0
; COMPUTE_PGM_RSRC3_GFX90A:ACCUM_OFFSET: 0
; COMPUTE_PGM_RSRC3_GFX90A:TG_SPLIT: 0
	.section	.text._ZN7rocprim17ROCPRIM_400000_NS6detail17trampoline_kernelINS0_14default_configENS1_25transform_config_selectorItLb0EEEZNS1_14transform_implILb0ES3_S5_N6thrust23THRUST_200600_302600_NS6detail15normal_iteratorINS8_10device_ptrItEEEEPtNS0_8identityItEEEE10hipError_tT2_T3_mT4_P12ihipStream_tbEUlT_E_NS1_11comp_targetILNS1_3genE3ELNS1_11target_archE908ELNS1_3gpuE7ELNS1_3repE0EEENS1_30default_config_static_selectorELNS0_4arch9wavefront6targetE1EEEvT1_,"axG",@progbits,_ZN7rocprim17ROCPRIM_400000_NS6detail17trampoline_kernelINS0_14default_configENS1_25transform_config_selectorItLb0EEEZNS1_14transform_implILb0ES3_S5_N6thrust23THRUST_200600_302600_NS6detail15normal_iteratorINS8_10device_ptrItEEEEPtNS0_8identityItEEEE10hipError_tT2_T3_mT4_P12ihipStream_tbEUlT_E_NS1_11comp_targetILNS1_3genE3ELNS1_11target_archE908ELNS1_3gpuE7ELNS1_3repE0EEENS1_30default_config_static_selectorELNS0_4arch9wavefront6targetE1EEEvT1_,comdat
	.protected	_ZN7rocprim17ROCPRIM_400000_NS6detail17trampoline_kernelINS0_14default_configENS1_25transform_config_selectorItLb0EEEZNS1_14transform_implILb0ES3_S5_N6thrust23THRUST_200600_302600_NS6detail15normal_iteratorINS8_10device_ptrItEEEEPtNS0_8identityItEEEE10hipError_tT2_T3_mT4_P12ihipStream_tbEUlT_E_NS1_11comp_targetILNS1_3genE3ELNS1_11target_archE908ELNS1_3gpuE7ELNS1_3repE0EEENS1_30default_config_static_selectorELNS0_4arch9wavefront6targetE1EEEvT1_ ; -- Begin function _ZN7rocprim17ROCPRIM_400000_NS6detail17trampoline_kernelINS0_14default_configENS1_25transform_config_selectorItLb0EEEZNS1_14transform_implILb0ES3_S5_N6thrust23THRUST_200600_302600_NS6detail15normal_iteratorINS8_10device_ptrItEEEEPtNS0_8identityItEEEE10hipError_tT2_T3_mT4_P12ihipStream_tbEUlT_E_NS1_11comp_targetILNS1_3genE3ELNS1_11target_archE908ELNS1_3gpuE7ELNS1_3repE0EEENS1_30default_config_static_selectorELNS0_4arch9wavefront6targetE1EEEvT1_
	.globl	_ZN7rocprim17ROCPRIM_400000_NS6detail17trampoline_kernelINS0_14default_configENS1_25transform_config_selectorItLb0EEEZNS1_14transform_implILb0ES3_S5_N6thrust23THRUST_200600_302600_NS6detail15normal_iteratorINS8_10device_ptrItEEEEPtNS0_8identityItEEEE10hipError_tT2_T3_mT4_P12ihipStream_tbEUlT_E_NS1_11comp_targetILNS1_3genE3ELNS1_11target_archE908ELNS1_3gpuE7ELNS1_3repE0EEENS1_30default_config_static_selectorELNS0_4arch9wavefront6targetE1EEEvT1_
	.p2align	8
	.type	_ZN7rocprim17ROCPRIM_400000_NS6detail17trampoline_kernelINS0_14default_configENS1_25transform_config_selectorItLb0EEEZNS1_14transform_implILb0ES3_S5_N6thrust23THRUST_200600_302600_NS6detail15normal_iteratorINS8_10device_ptrItEEEEPtNS0_8identityItEEEE10hipError_tT2_T3_mT4_P12ihipStream_tbEUlT_E_NS1_11comp_targetILNS1_3genE3ELNS1_11target_archE908ELNS1_3gpuE7ELNS1_3repE0EEENS1_30default_config_static_selectorELNS0_4arch9wavefront6targetE1EEEvT1_,@function
_ZN7rocprim17ROCPRIM_400000_NS6detail17trampoline_kernelINS0_14default_configENS1_25transform_config_selectorItLb0EEEZNS1_14transform_implILb0ES3_S5_N6thrust23THRUST_200600_302600_NS6detail15normal_iteratorINS8_10device_ptrItEEEEPtNS0_8identityItEEEE10hipError_tT2_T3_mT4_P12ihipStream_tbEUlT_E_NS1_11comp_targetILNS1_3genE3ELNS1_11target_archE908ELNS1_3gpuE7ELNS1_3repE0EEENS1_30default_config_static_selectorELNS0_4arch9wavefront6targetE1EEEvT1_: ; @_ZN7rocprim17ROCPRIM_400000_NS6detail17trampoline_kernelINS0_14default_configENS1_25transform_config_selectorItLb0EEEZNS1_14transform_implILb0ES3_S5_N6thrust23THRUST_200600_302600_NS6detail15normal_iteratorINS8_10device_ptrItEEEEPtNS0_8identityItEEEE10hipError_tT2_T3_mT4_P12ihipStream_tbEUlT_E_NS1_11comp_targetILNS1_3genE3ELNS1_11target_archE908ELNS1_3gpuE7ELNS1_3repE0EEENS1_30default_config_static_selectorELNS0_4arch9wavefront6targetE1EEEvT1_
; %bb.0:
	.section	.rodata,"a",@progbits
	.p2align	6, 0x0
	.amdhsa_kernel _ZN7rocprim17ROCPRIM_400000_NS6detail17trampoline_kernelINS0_14default_configENS1_25transform_config_selectorItLb0EEEZNS1_14transform_implILb0ES3_S5_N6thrust23THRUST_200600_302600_NS6detail15normal_iteratorINS8_10device_ptrItEEEEPtNS0_8identityItEEEE10hipError_tT2_T3_mT4_P12ihipStream_tbEUlT_E_NS1_11comp_targetILNS1_3genE3ELNS1_11target_archE908ELNS1_3gpuE7ELNS1_3repE0EEENS1_30default_config_static_selectorELNS0_4arch9wavefront6targetE1EEEvT1_
		.amdhsa_group_segment_fixed_size 0
		.amdhsa_private_segment_fixed_size 0
		.amdhsa_kernarg_size 40
		.amdhsa_user_sgpr_count 2
		.amdhsa_user_sgpr_dispatch_ptr 0
		.amdhsa_user_sgpr_queue_ptr 0
		.amdhsa_user_sgpr_kernarg_segment_ptr 1
		.amdhsa_user_sgpr_dispatch_id 0
		.amdhsa_user_sgpr_kernarg_preload_length 0
		.amdhsa_user_sgpr_kernarg_preload_offset 0
		.amdhsa_user_sgpr_private_segment_size 0
		.amdhsa_uses_dynamic_stack 0
		.amdhsa_enable_private_segment 0
		.amdhsa_system_sgpr_workgroup_id_x 1
		.amdhsa_system_sgpr_workgroup_id_y 0
		.amdhsa_system_sgpr_workgroup_id_z 0
		.amdhsa_system_sgpr_workgroup_info 0
		.amdhsa_system_vgpr_workitem_id 0
		.amdhsa_next_free_vgpr 1
		.amdhsa_next_free_sgpr 0
		.amdhsa_accum_offset 4
		.amdhsa_reserve_vcc 0
		.amdhsa_float_round_mode_32 0
		.amdhsa_float_round_mode_16_64 0
		.amdhsa_float_denorm_mode_32 3
		.amdhsa_float_denorm_mode_16_64 3
		.amdhsa_dx10_clamp 1
		.amdhsa_ieee_mode 1
		.amdhsa_fp16_overflow 0
		.amdhsa_tg_split 0
		.amdhsa_exception_fp_ieee_invalid_op 0
		.amdhsa_exception_fp_denorm_src 0
		.amdhsa_exception_fp_ieee_div_zero 0
		.amdhsa_exception_fp_ieee_overflow 0
		.amdhsa_exception_fp_ieee_underflow 0
		.amdhsa_exception_fp_ieee_inexact 0
		.amdhsa_exception_int_div_zero 0
	.end_amdhsa_kernel
	.section	.text._ZN7rocprim17ROCPRIM_400000_NS6detail17trampoline_kernelINS0_14default_configENS1_25transform_config_selectorItLb0EEEZNS1_14transform_implILb0ES3_S5_N6thrust23THRUST_200600_302600_NS6detail15normal_iteratorINS8_10device_ptrItEEEEPtNS0_8identityItEEEE10hipError_tT2_T3_mT4_P12ihipStream_tbEUlT_E_NS1_11comp_targetILNS1_3genE3ELNS1_11target_archE908ELNS1_3gpuE7ELNS1_3repE0EEENS1_30default_config_static_selectorELNS0_4arch9wavefront6targetE1EEEvT1_,"axG",@progbits,_ZN7rocprim17ROCPRIM_400000_NS6detail17trampoline_kernelINS0_14default_configENS1_25transform_config_selectorItLb0EEEZNS1_14transform_implILb0ES3_S5_N6thrust23THRUST_200600_302600_NS6detail15normal_iteratorINS8_10device_ptrItEEEEPtNS0_8identityItEEEE10hipError_tT2_T3_mT4_P12ihipStream_tbEUlT_E_NS1_11comp_targetILNS1_3genE3ELNS1_11target_archE908ELNS1_3gpuE7ELNS1_3repE0EEENS1_30default_config_static_selectorELNS0_4arch9wavefront6targetE1EEEvT1_,comdat
.Lfunc_end968:
	.size	_ZN7rocprim17ROCPRIM_400000_NS6detail17trampoline_kernelINS0_14default_configENS1_25transform_config_selectorItLb0EEEZNS1_14transform_implILb0ES3_S5_N6thrust23THRUST_200600_302600_NS6detail15normal_iteratorINS8_10device_ptrItEEEEPtNS0_8identityItEEEE10hipError_tT2_T3_mT4_P12ihipStream_tbEUlT_E_NS1_11comp_targetILNS1_3genE3ELNS1_11target_archE908ELNS1_3gpuE7ELNS1_3repE0EEENS1_30default_config_static_selectorELNS0_4arch9wavefront6targetE1EEEvT1_, .Lfunc_end968-_ZN7rocprim17ROCPRIM_400000_NS6detail17trampoline_kernelINS0_14default_configENS1_25transform_config_selectorItLb0EEEZNS1_14transform_implILb0ES3_S5_N6thrust23THRUST_200600_302600_NS6detail15normal_iteratorINS8_10device_ptrItEEEEPtNS0_8identityItEEEE10hipError_tT2_T3_mT4_P12ihipStream_tbEUlT_E_NS1_11comp_targetILNS1_3genE3ELNS1_11target_archE908ELNS1_3gpuE7ELNS1_3repE0EEENS1_30default_config_static_selectorELNS0_4arch9wavefront6targetE1EEEvT1_
                                        ; -- End function
	.set _ZN7rocprim17ROCPRIM_400000_NS6detail17trampoline_kernelINS0_14default_configENS1_25transform_config_selectorItLb0EEEZNS1_14transform_implILb0ES3_S5_N6thrust23THRUST_200600_302600_NS6detail15normal_iteratorINS8_10device_ptrItEEEEPtNS0_8identityItEEEE10hipError_tT2_T3_mT4_P12ihipStream_tbEUlT_E_NS1_11comp_targetILNS1_3genE3ELNS1_11target_archE908ELNS1_3gpuE7ELNS1_3repE0EEENS1_30default_config_static_selectorELNS0_4arch9wavefront6targetE1EEEvT1_.num_vgpr, 0
	.set _ZN7rocprim17ROCPRIM_400000_NS6detail17trampoline_kernelINS0_14default_configENS1_25transform_config_selectorItLb0EEEZNS1_14transform_implILb0ES3_S5_N6thrust23THRUST_200600_302600_NS6detail15normal_iteratorINS8_10device_ptrItEEEEPtNS0_8identityItEEEE10hipError_tT2_T3_mT4_P12ihipStream_tbEUlT_E_NS1_11comp_targetILNS1_3genE3ELNS1_11target_archE908ELNS1_3gpuE7ELNS1_3repE0EEENS1_30default_config_static_selectorELNS0_4arch9wavefront6targetE1EEEvT1_.num_agpr, 0
	.set _ZN7rocprim17ROCPRIM_400000_NS6detail17trampoline_kernelINS0_14default_configENS1_25transform_config_selectorItLb0EEEZNS1_14transform_implILb0ES3_S5_N6thrust23THRUST_200600_302600_NS6detail15normal_iteratorINS8_10device_ptrItEEEEPtNS0_8identityItEEEE10hipError_tT2_T3_mT4_P12ihipStream_tbEUlT_E_NS1_11comp_targetILNS1_3genE3ELNS1_11target_archE908ELNS1_3gpuE7ELNS1_3repE0EEENS1_30default_config_static_selectorELNS0_4arch9wavefront6targetE1EEEvT1_.numbered_sgpr, 0
	.set _ZN7rocprim17ROCPRIM_400000_NS6detail17trampoline_kernelINS0_14default_configENS1_25transform_config_selectorItLb0EEEZNS1_14transform_implILb0ES3_S5_N6thrust23THRUST_200600_302600_NS6detail15normal_iteratorINS8_10device_ptrItEEEEPtNS0_8identityItEEEE10hipError_tT2_T3_mT4_P12ihipStream_tbEUlT_E_NS1_11comp_targetILNS1_3genE3ELNS1_11target_archE908ELNS1_3gpuE7ELNS1_3repE0EEENS1_30default_config_static_selectorELNS0_4arch9wavefront6targetE1EEEvT1_.num_named_barrier, 0
	.set _ZN7rocprim17ROCPRIM_400000_NS6detail17trampoline_kernelINS0_14default_configENS1_25transform_config_selectorItLb0EEEZNS1_14transform_implILb0ES3_S5_N6thrust23THRUST_200600_302600_NS6detail15normal_iteratorINS8_10device_ptrItEEEEPtNS0_8identityItEEEE10hipError_tT2_T3_mT4_P12ihipStream_tbEUlT_E_NS1_11comp_targetILNS1_3genE3ELNS1_11target_archE908ELNS1_3gpuE7ELNS1_3repE0EEENS1_30default_config_static_selectorELNS0_4arch9wavefront6targetE1EEEvT1_.private_seg_size, 0
	.set _ZN7rocprim17ROCPRIM_400000_NS6detail17trampoline_kernelINS0_14default_configENS1_25transform_config_selectorItLb0EEEZNS1_14transform_implILb0ES3_S5_N6thrust23THRUST_200600_302600_NS6detail15normal_iteratorINS8_10device_ptrItEEEEPtNS0_8identityItEEEE10hipError_tT2_T3_mT4_P12ihipStream_tbEUlT_E_NS1_11comp_targetILNS1_3genE3ELNS1_11target_archE908ELNS1_3gpuE7ELNS1_3repE0EEENS1_30default_config_static_selectorELNS0_4arch9wavefront6targetE1EEEvT1_.uses_vcc, 0
	.set _ZN7rocprim17ROCPRIM_400000_NS6detail17trampoline_kernelINS0_14default_configENS1_25transform_config_selectorItLb0EEEZNS1_14transform_implILb0ES3_S5_N6thrust23THRUST_200600_302600_NS6detail15normal_iteratorINS8_10device_ptrItEEEEPtNS0_8identityItEEEE10hipError_tT2_T3_mT4_P12ihipStream_tbEUlT_E_NS1_11comp_targetILNS1_3genE3ELNS1_11target_archE908ELNS1_3gpuE7ELNS1_3repE0EEENS1_30default_config_static_selectorELNS0_4arch9wavefront6targetE1EEEvT1_.uses_flat_scratch, 0
	.set _ZN7rocprim17ROCPRIM_400000_NS6detail17trampoline_kernelINS0_14default_configENS1_25transform_config_selectorItLb0EEEZNS1_14transform_implILb0ES3_S5_N6thrust23THRUST_200600_302600_NS6detail15normal_iteratorINS8_10device_ptrItEEEEPtNS0_8identityItEEEE10hipError_tT2_T3_mT4_P12ihipStream_tbEUlT_E_NS1_11comp_targetILNS1_3genE3ELNS1_11target_archE908ELNS1_3gpuE7ELNS1_3repE0EEENS1_30default_config_static_selectorELNS0_4arch9wavefront6targetE1EEEvT1_.has_dyn_sized_stack, 0
	.set _ZN7rocprim17ROCPRIM_400000_NS6detail17trampoline_kernelINS0_14default_configENS1_25transform_config_selectorItLb0EEEZNS1_14transform_implILb0ES3_S5_N6thrust23THRUST_200600_302600_NS6detail15normal_iteratorINS8_10device_ptrItEEEEPtNS0_8identityItEEEE10hipError_tT2_T3_mT4_P12ihipStream_tbEUlT_E_NS1_11comp_targetILNS1_3genE3ELNS1_11target_archE908ELNS1_3gpuE7ELNS1_3repE0EEENS1_30default_config_static_selectorELNS0_4arch9wavefront6targetE1EEEvT1_.has_recursion, 0
	.set _ZN7rocprim17ROCPRIM_400000_NS6detail17trampoline_kernelINS0_14default_configENS1_25transform_config_selectorItLb0EEEZNS1_14transform_implILb0ES3_S5_N6thrust23THRUST_200600_302600_NS6detail15normal_iteratorINS8_10device_ptrItEEEEPtNS0_8identityItEEEE10hipError_tT2_T3_mT4_P12ihipStream_tbEUlT_E_NS1_11comp_targetILNS1_3genE3ELNS1_11target_archE908ELNS1_3gpuE7ELNS1_3repE0EEENS1_30default_config_static_selectorELNS0_4arch9wavefront6targetE1EEEvT1_.has_indirect_call, 0
	.section	.AMDGPU.csdata,"",@progbits
; Kernel info:
; codeLenInByte = 0
; TotalNumSgprs: 6
; NumVgprs: 0
; NumAgprs: 0
; TotalNumVgprs: 0
; ScratchSize: 0
; MemoryBound: 0
; FloatMode: 240
; IeeeMode: 1
; LDSByteSize: 0 bytes/workgroup (compile time only)
; SGPRBlocks: 0
; VGPRBlocks: 0
; NumSGPRsForWavesPerEU: 6
; NumVGPRsForWavesPerEU: 1
; AccumOffset: 4
; Occupancy: 8
; WaveLimiterHint : 0
; COMPUTE_PGM_RSRC2:SCRATCH_EN: 0
; COMPUTE_PGM_RSRC2:USER_SGPR: 2
; COMPUTE_PGM_RSRC2:TRAP_HANDLER: 0
; COMPUTE_PGM_RSRC2:TGID_X_EN: 1
; COMPUTE_PGM_RSRC2:TGID_Y_EN: 0
; COMPUTE_PGM_RSRC2:TGID_Z_EN: 0
; COMPUTE_PGM_RSRC2:TIDIG_COMP_CNT: 0
; COMPUTE_PGM_RSRC3_GFX90A:ACCUM_OFFSET: 0
; COMPUTE_PGM_RSRC3_GFX90A:TG_SPLIT: 0
	.section	.text._ZN7rocprim17ROCPRIM_400000_NS6detail17trampoline_kernelINS0_14default_configENS1_25transform_config_selectorItLb0EEEZNS1_14transform_implILb0ES3_S5_N6thrust23THRUST_200600_302600_NS6detail15normal_iteratorINS8_10device_ptrItEEEEPtNS0_8identityItEEEE10hipError_tT2_T3_mT4_P12ihipStream_tbEUlT_E_NS1_11comp_targetILNS1_3genE2ELNS1_11target_archE906ELNS1_3gpuE6ELNS1_3repE0EEENS1_30default_config_static_selectorELNS0_4arch9wavefront6targetE1EEEvT1_,"axG",@progbits,_ZN7rocprim17ROCPRIM_400000_NS6detail17trampoline_kernelINS0_14default_configENS1_25transform_config_selectorItLb0EEEZNS1_14transform_implILb0ES3_S5_N6thrust23THRUST_200600_302600_NS6detail15normal_iteratorINS8_10device_ptrItEEEEPtNS0_8identityItEEEE10hipError_tT2_T3_mT4_P12ihipStream_tbEUlT_E_NS1_11comp_targetILNS1_3genE2ELNS1_11target_archE906ELNS1_3gpuE6ELNS1_3repE0EEENS1_30default_config_static_selectorELNS0_4arch9wavefront6targetE1EEEvT1_,comdat
	.protected	_ZN7rocprim17ROCPRIM_400000_NS6detail17trampoline_kernelINS0_14default_configENS1_25transform_config_selectorItLb0EEEZNS1_14transform_implILb0ES3_S5_N6thrust23THRUST_200600_302600_NS6detail15normal_iteratorINS8_10device_ptrItEEEEPtNS0_8identityItEEEE10hipError_tT2_T3_mT4_P12ihipStream_tbEUlT_E_NS1_11comp_targetILNS1_3genE2ELNS1_11target_archE906ELNS1_3gpuE6ELNS1_3repE0EEENS1_30default_config_static_selectorELNS0_4arch9wavefront6targetE1EEEvT1_ ; -- Begin function _ZN7rocprim17ROCPRIM_400000_NS6detail17trampoline_kernelINS0_14default_configENS1_25transform_config_selectorItLb0EEEZNS1_14transform_implILb0ES3_S5_N6thrust23THRUST_200600_302600_NS6detail15normal_iteratorINS8_10device_ptrItEEEEPtNS0_8identityItEEEE10hipError_tT2_T3_mT4_P12ihipStream_tbEUlT_E_NS1_11comp_targetILNS1_3genE2ELNS1_11target_archE906ELNS1_3gpuE6ELNS1_3repE0EEENS1_30default_config_static_selectorELNS0_4arch9wavefront6targetE1EEEvT1_
	.globl	_ZN7rocprim17ROCPRIM_400000_NS6detail17trampoline_kernelINS0_14default_configENS1_25transform_config_selectorItLb0EEEZNS1_14transform_implILb0ES3_S5_N6thrust23THRUST_200600_302600_NS6detail15normal_iteratorINS8_10device_ptrItEEEEPtNS0_8identityItEEEE10hipError_tT2_T3_mT4_P12ihipStream_tbEUlT_E_NS1_11comp_targetILNS1_3genE2ELNS1_11target_archE906ELNS1_3gpuE6ELNS1_3repE0EEENS1_30default_config_static_selectorELNS0_4arch9wavefront6targetE1EEEvT1_
	.p2align	8
	.type	_ZN7rocprim17ROCPRIM_400000_NS6detail17trampoline_kernelINS0_14default_configENS1_25transform_config_selectorItLb0EEEZNS1_14transform_implILb0ES3_S5_N6thrust23THRUST_200600_302600_NS6detail15normal_iteratorINS8_10device_ptrItEEEEPtNS0_8identityItEEEE10hipError_tT2_T3_mT4_P12ihipStream_tbEUlT_E_NS1_11comp_targetILNS1_3genE2ELNS1_11target_archE906ELNS1_3gpuE6ELNS1_3repE0EEENS1_30default_config_static_selectorELNS0_4arch9wavefront6targetE1EEEvT1_,@function
_ZN7rocprim17ROCPRIM_400000_NS6detail17trampoline_kernelINS0_14default_configENS1_25transform_config_selectorItLb0EEEZNS1_14transform_implILb0ES3_S5_N6thrust23THRUST_200600_302600_NS6detail15normal_iteratorINS8_10device_ptrItEEEEPtNS0_8identityItEEEE10hipError_tT2_T3_mT4_P12ihipStream_tbEUlT_E_NS1_11comp_targetILNS1_3genE2ELNS1_11target_archE906ELNS1_3gpuE6ELNS1_3repE0EEENS1_30default_config_static_selectorELNS0_4arch9wavefront6targetE1EEEvT1_: ; @_ZN7rocprim17ROCPRIM_400000_NS6detail17trampoline_kernelINS0_14default_configENS1_25transform_config_selectorItLb0EEEZNS1_14transform_implILb0ES3_S5_N6thrust23THRUST_200600_302600_NS6detail15normal_iteratorINS8_10device_ptrItEEEEPtNS0_8identityItEEEE10hipError_tT2_T3_mT4_P12ihipStream_tbEUlT_E_NS1_11comp_targetILNS1_3genE2ELNS1_11target_archE906ELNS1_3gpuE6ELNS1_3repE0EEENS1_30default_config_static_selectorELNS0_4arch9wavefront6targetE1EEEvT1_
; %bb.0:
	.section	.rodata,"a",@progbits
	.p2align	6, 0x0
	.amdhsa_kernel _ZN7rocprim17ROCPRIM_400000_NS6detail17trampoline_kernelINS0_14default_configENS1_25transform_config_selectorItLb0EEEZNS1_14transform_implILb0ES3_S5_N6thrust23THRUST_200600_302600_NS6detail15normal_iteratorINS8_10device_ptrItEEEEPtNS0_8identityItEEEE10hipError_tT2_T3_mT4_P12ihipStream_tbEUlT_E_NS1_11comp_targetILNS1_3genE2ELNS1_11target_archE906ELNS1_3gpuE6ELNS1_3repE0EEENS1_30default_config_static_selectorELNS0_4arch9wavefront6targetE1EEEvT1_
		.amdhsa_group_segment_fixed_size 0
		.amdhsa_private_segment_fixed_size 0
		.amdhsa_kernarg_size 40
		.amdhsa_user_sgpr_count 2
		.amdhsa_user_sgpr_dispatch_ptr 0
		.amdhsa_user_sgpr_queue_ptr 0
		.amdhsa_user_sgpr_kernarg_segment_ptr 1
		.amdhsa_user_sgpr_dispatch_id 0
		.amdhsa_user_sgpr_kernarg_preload_length 0
		.amdhsa_user_sgpr_kernarg_preload_offset 0
		.amdhsa_user_sgpr_private_segment_size 0
		.amdhsa_uses_dynamic_stack 0
		.amdhsa_enable_private_segment 0
		.amdhsa_system_sgpr_workgroup_id_x 1
		.amdhsa_system_sgpr_workgroup_id_y 0
		.amdhsa_system_sgpr_workgroup_id_z 0
		.amdhsa_system_sgpr_workgroup_info 0
		.amdhsa_system_vgpr_workitem_id 0
		.amdhsa_next_free_vgpr 1
		.amdhsa_next_free_sgpr 0
		.amdhsa_accum_offset 4
		.amdhsa_reserve_vcc 0
		.amdhsa_float_round_mode_32 0
		.amdhsa_float_round_mode_16_64 0
		.amdhsa_float_denorm_mode_32 3
		.amdhsa_float_denorm_mode_16_64 3
		.amdhsa_dx10_clamp 1
		.amdhsa_ieee_mode 1
		.amdhsa_fp16_overflow 0
		.amdhsa_tg_split 0
		.amdhsa_exception_fp_ieee_invalid_op 0
		.amdhsa_exception_fp_denorm_src 0
		.amdhsa_exception_fp_ieee_div_zero 0
		.amdhsa_exception_fp_ieee_overflow 0
		.amdhsa_exception_fp_ieee_underflow 0
		.amdhsa_exception_fp_ieee_inexact 0
		.amdhsa_exception_int_div_zero 0
	.end_amdhsa_kernel
	.section	.text._ZN7rocprim17ROCPRIM_400000_NS6detail17trampoline_kernelINS0_14default_configENS1_25transform_config_selectorItLb0EEEZNS1_14transform_implILb0ES3_S5_N6thrust23THRUST_200600_302600_NS6detail15normal_iteratorINS8_10device_ptrItEEEEPtNS0_8identityItEEEE10hipError_tT2_T3_mT4_P12ihipStream_tbEUlT_E_NS1_11comp_targetILNS1_3genE2ELNS1_11target_archE906ELNS1_3gpuE6ELNS1_3repE0EEENS1_30default_config_static_selectorELNS0_4arch9wavefront6targetE1EEEvT1_,"axG",@progbits,_ZN7rocprim17ROCPRIM_400000_NS6detail17trampoline_kernelINS0_14default_configENS1_25transform_config_selectorItLb0EEEZNS1_14transform_implILb0ES3_S5_N6thrust23THRUST_200600_302600_NS6detail15normal_iteratorINS8_10device_ptrItEEEEPtNS0_8identityItEEEE10hipError_tT2_T3_mT4_P12ihipStream_tbEUlT_E_NS1_11comp_targetILNS1_3genE2ELNS1_11target_archE906ELNS1_3gpuE6ELNS1_3repE0EEENS1_30default_config_static_selectorELNS0_4arch9wavefront6targetE1EEEvT1_,comdat
.Lfunc_end969:
	.size	_ZN7rocprim17ROCPRIM_400000_NS6detail17trampoline_kernelINS0_14default_configENS1_25transform_config_selectorItLb0EEEZNS1_14transform_implILb0ES3_S5_N6thrust23THRUST_200600_302600_NS6detail15normal_iteratorINS8_10device_ptrItEEEEPtNS0_8identityItEEEE10hipError_tT2_T3_mT4_P12ihipStream_tbEUlT_E_NS1_11comp_targetILNS1_3genE2ELNS1_11target_archE906ELNS1_3gpuE6ELNS1_3repE0EEENS1_30default_config_static_selectorELNS0_4arch9wavefront6targetE1EEEvT1_, .Lfunc_end969-_ZN7rocprim17ROCPRIM_400000_NS6detail17trampoline_kernelINS0_14default_configENS1_25transform_config_selectorItLb0EEEZNS1_14transform_implILb0ES3_S5_N6thrust23THRUST_200600_302600_NS6detail15normal_iteratorINS8_10device_ptrItEEEEPtNS0_8identityItEEEE10hipError_tT2_T3_mT4_P12ihipStream_tbEUlT_E_NS1_11comp_targetILNS1_3genE2ELNS1_11target_archE906ELNS1_3gpuE6ELNS1_3repE0EEENS1_30default_config_static_selectorELNS0_4arch9wavefront6targetE1EEEvT1_
                                        ; -- End function
	.set _ZN7rocprim17ROCPRIM_400000_NS6detail17trampoline_kernelINS0_14default_configENS1_25transform_config_selectorItLb0EEEZNS1_14transform_implILb0ES3_S5_N6thrust23THRUST_200600_302600_NS6detail15normal_iteratorINS8_10device_ptrItEEEEPtNS0_8identityItEEEE10hipError_tT2_T3_mT4_P12ihipStream_tbEUlT_E_NS1_11comp_targetILNS1_3genE2ELNS1_11target_archE906ELNS1_3gpuE6ELNS1_3repE0EEENS1_30default_config_static_selectorELNS0_4arch9wavefront6targetE1EEEvT1_.num_vgpr, 0
	.set _ZN7rocprim17ROCPRIM_400000_NS6detail17trampoline_kernelINS0_14default_configENS1_25transform_config_selectorItLb0EEEZNS1_14transform_implILb0ES3_S5_N6thrust23THRUST_200600_302600_NS6detail15normal_iteratorINS8_10device_ptrItEEEEPtNS0_8identityItEEEE10hipError_tT2_T3_mT4_P12ihipStream_tbEUlT_E_NS1_11comp_targetILNS1_3genE2ELNS1_11target_archE906ELNS1_3gpuE6ELNS1_3repE0EEENS1_30default_config_static_selectorELNS0_4arch9wavefront6targetE1EEEvT1_.num_agpr, 0
	.set _ZN7rocprim17ROCPRIM_400000_NS6detail17trampoline_kernelINS0_14default_configENS1_25transform_config_selectorItLb0EEEZNS1_14transform_implILb0ES3_S5_N6thrust23THRUST_200600_302600_NS6detail15normal_iteratorINS8_10device_ptrItEEEEPtNS0_8identityItEEEE10hipError_tT2_T3_mT4_P12ihipStream_tbEUlT_E_NS1_11comp_targetILNS1_3genE2ELNS1_11target_archE906ELNS1_3gpuE6ELNS1_3repE0EEENS1_30default_config_static_selectorELNS0_4arch9wavefront6targetE1EEEvT1_.numbered_sgpr, 0
	.set _ZN7rocprim17ROCPRIM_400000_NS6detail17trampoline_kernelINS0_14default_configENS1_25transform_config_selectorItLb0EEEZNS1_14transform_implILb0ES3_S5_N6thrust23THRUST_200600_302600_NS6detail15normal_iteratorINS8_10device_ptrItEEEEPtNS0_8identityItEEEE10hipError_tT2_T3_mT4_P12ihipStream_tbEUlT_E_NS1_11comp_targetILNS1_3genE2ELNS1_11target_archE906ELNS1_3gpuE6ELNS1_3repE0EEENS1_30default_config_static_selectorELNS0_4arch9wavefront6targetE1EEEvT1_.num_named_barrier, 0
	.set _ZN7rocprim17ROCPRIM_400000_NS6detail17trampoline_kernelINS0_14default_configENS1_25transform_config_selectorItLb0EEEZNS1_14transform_implILb0ES3_S5_N6thrust23THRUST_200600_302600_NS6detail15normal_iteratorINS8_10device_ptrItEEEEPtNS0_8identityItEEEE10hipError_tT2_T3_mT4_P12ihipStream_tbEUlT_E_NS1_11comp_targetILNS1_3genE2ELNS1_11target_archE906ELNS1_3gpuE6ELNS1_3repE0EEENS1_30default_config_static_selectorELNS0_4arch9wavefront6targetE1EEEvT1_.private_seg_size, 0
	.set _ZN7rocprim17ROCPRIM_400000_NS6detail17trampoline_kernelINS0_14default_configENS1_25transform_config_selectorItLb0EEEZNS1_14transform_implILb0ES3_S5_N6thrust23THRUST_200600_302600_NS6detail15normal_iteratorINS8_10device_ptrItEEEEPtNS0_8identityItEEEE10hipError_tT2_T3_mT4_P12ihipStream_tbEUlT_E_NS1_11comp_targetILNS1_3genE2ELNS1_11target_archE906ELNS1_3gpuE6ELNS1_3repE0EEENS1_30default_config_static_selectorELNS0_4arch9wavefront6targetE1EEEvT1_.uses_vcc, 0
	.set _ZN7rocprim17ROCPRIM_400000_NS6detail17trampoline_kernelINS0_14default_configENS1_25transform_config_selectorItLb0EEEZNS1_14transform_implILb0ES3_S5_N6thrust23THRUST_200600_302600_NS6detail15normal_iteratorINS8_10device_ptrItEEEEPtNS0_8identityItEEEE10hipError_tT2_T3_mT4_P12ihipStream_tbEUlT_E_NS1_11comp_targetILNS1_3genE2ELNS1_11target_archE906ELNS1_3gpuE6ELNS1_3repE0EEENS1_30default_config_static_selectorELNS0_4arch9wavefront6targetE1EEEvT1_.uses_flat_scratch, 0
	.set _ZN7rocprim17ROCPRIM_400000_NS6detail17trampoline_kernelINS0_14default_configENS1_25transform_config_selectorItLb0EEEZNS1_14transform_implILb0ES3_S5_N6thrust23THRUST_200600_302600_NS6detail15normal_iteratorINS8_10device_ptrItEEEEPtNS0_8identityItEEEE10hipError_tT2_T3_mT4_P12ihipStream_tbEUlT_E_NS1_11comp_targetILNS1_3genE2ELNS1_11target_archE906ELNS1_3gpuE6ELNS1_3repE0EEENS1_30default_config_static_selectorELNS0_4arch9wavefront6targetE1EEEvT1_.has_dyn_sized_stack, 0
	.set _ZN7rocprim17ROCPRIM_400000_NS6detail17trampoline_kernelINS0_14default_configENS1_25transform_config_selectorItLb0EEEZNS1_14transform_implILb0ES3_S5_N6thrust23THRUST_200600_302600_NS6detail15normal_iteratorINS8_10device_ptrItEEEEPtNS0_8identityItEEEE10hipError_tT2_T3_mT4_P12ihipStream_tbEUlT_E_NS1_11comp_targetILNS1_3genE2ELNS1_11target_archE906ELNS1_3gpuE6ELNS1_3repE0EEENS1_30default_config_static_selectorELNS0_4arch9wavefront6targetE1EEEvT1_.has_recursion, 0
	.set _ZN7rocprim17ROCPRIM_400000_NS6detail17trampoline_kernelINS0_14default_configENS1_25transform_config_selectorItLb0EEEZNS1_14transform_implILb0ES3_S5_N6thrust23THRUST_200600_302600_NS6detail15normal_iteratorINS8_10device_ptrItEEEEPtNS0_8identityItEEEE10hipError_tT2_T3_mT4_P12ihipStream_tbEUlT_E_NS1_11comp_targetILNS1_3genE2ELNS1_11target_archE906ELNS1_3gpuE6ELNS1_3repE0EEENS1_30default_config_static_selectorELNS0_4arch9wavefront6targetE1EEEvT1_.has_indirect_call, 0
	.section	.AMDGPU.csdata,"",@progbits
; Kernel info:
; codeLenInByte = 0
; TotalNumSgprs: 6
; NumVgprs: 0
; NumAgprs: 0
; TotalNumVgprs: 0
; ScratchSize: 0
; MemoryBound: 0
; FloatMode: 240
; IeeeMode: 1
; LDSByteSize: 0 bytes/workgroup (compile time only)
; SGPRBlocks: 0
; VGPRBlocks: 0
; NumSGPRsForWavesPerEU: 6
; NumVGPRsForWavesPerEU: 1
; AccumOffset: 4
; Occupancy: 8
; WaveLimiterHint : 0
; COMPUTE_PGM_RSRC2:SCRATCH_EN: 0
; COMPUTE_PGM_RSRC2:USER_SGPR: 2
; COMPUTE_PGM_RSRC2:TRAP_HANDLER: 0
; COMPUTE_PGM_RSRC2:TGID_X_EN: 1
; COMPUTE_PGM_RSRC2:TGID_Y_EN: 0
; COMPUTE_PGM_RSRC2:TGID_Z_EN: 0
; COMPUTE_PGM_RSRC2:TIDIG_COMP_CNT: 0
; COMPUTE_PGM_RSRC3_GFX90A:ACCUM_OFFSET: 0
; COMPUTE_PGM_RSRC3_GFX90A:TG_SPLIT: 0
	.section	.text._ZN7rocprim17ROCPRIM_400000_NS6detail17trampoline_kernelINS0_14default_configENS1_25transform_config_selectorItLb0EEEZNS1_14transform_implILb0ES3_S5_N6thrust23THRUST_200600_302600_NS6detail15normal_iteratorINS8_10device_ptrItEEEEPtNS0_8identityItEEEE10hipError_tT2_T3_mT4_P12ihipStream_tbEUlT_E_NS1_11comp_targetILNS1_3genE10ELNS1_11target_archE1201ELNS1_3gpuE5ELNS1_3repE0EEENS1_30default_config_static_selectorELNS0_4arch9wavefront6targetE1EEEvT1_,"axG",@progbits,_ZN7rocprim17ROCPRIM_400000_NS6detail17trampoline_kernelINS0_14default_configENS1_25transform_config_selectorItLb0EEEZNS1_14transform_implILb0ES3_S5_N6thrust23THRUST_200600_302600_NS6detail15normal_iteratorINS8_10device_ptrItEEEEPtNS0_8identityItEEEE10hipError_tT2_T3_mT4_P12ihipStream_tbEUlT_E_NS1_11comp_targetILNS1_3genE10ELNS1_11target_archE1201ELNS1_3gpuE5ELNS1_3repE0EEENS1_30default_config_static_selectorELNS0_4arch9wavefront6targetE1EEEvT1_,comdat
	.protected	_ZN7rocprim17ROCPRIM_400000_NS6detail17trampoline_kernelINS0_14default_configENS1_25transform_config_selectorItLb0EEEZNS1_14transform_implILb0ES3_S5_N6thrust23THRUST_200600_302600_NS6detail15normal_iteratorINS8_10device_ptrItEEEEPtNS0_8identityItEEEE10hipError_tT2_T3_mT4_P12ihipStream_tbEUlT_E_NS1_11comp_targetILNS1_3genE10ELNS1_11target_archE1201ELNS1_3gpuE5ELNS1_3repE0EEENS1_30default_config_static_selectorELNS0_4arch9wavefront6targetE1EEEvT1_ ; -- Begin function _ZN7rocprim17ROCPRIM_400000_NS6detail17trampoline_kernelINS0_14default_configENS1_25transform_config_selectorItLb0EEEZNS1_14transform_implILb0ES3_S5_N6thrust23THRUST_200600_302600_NS6detail15normal_iteratorINS8_10device_ptrItEEEEPtNS0_8identityItEEEE10hipError_tT2_T3_mT4_P12ihipStream_tbEUlT_E_NS1_11comp_targetILNS1_3genE10ELNS1_11target_archE1201ELNS1_3gpuE5ELNS1_3repE0EEENS1_30default_config_static_selectorELNS0_4arch9wavefront6targetE1EEEvT1_
	.globl	_ZN7rocprim17ROCPRIM_400000_NS6detail17trampoline_kernelINS0_14default_configENS1_25transform_config_selectorItLb0EEEZNS1_14transform_implILb0ES3_S5_N6thrust23THRUST_200600_302600_NS6detail15normal_iteratorINS8_10device_ptrItEEEEPtNS0_8identityItEEEE10hipError_tT2_T3_mT4_P12ihipStream_tbEUlT_E_NS1_11comp_targetILNS1_3genE10ELNS1_11target_archE1201ELNS1_3gpuE5ELNS1_3repE0EEENS1_30default_config_static_selectorELNS0_4arch9wavefront6targetE1EEEvT1_
	.p2align	8
	.type	_ZN7rocprim17ROCPRIM_400000_NS6detail17trampoline_kernelINS0_14default_configENS1_25transform_config_selectorItLb0EEEZNS1_14transform_implILb0ES3_S5_N6thrust23THRUST_200600_302600_NS6detail15normal_iteratorINS8_10device_ptrItEEEEPtNS0_8identityItEEEE10hipError_tT2_T3_mT4_P12ihipStream_tbEUlT_E_NS1_11comp_targetILNS1_3genE10ELNS1_11target_archE1201ELNS1_3gpuE5ELNS1_3repE0EEENS1_30default_config_static_selectorELNS0_4arch9wavefront6targetE1EEEvT1_,@function
_ZN7rocprim17ROCPRIM_400000_NS6detail17trampoline_kernelINS0_14default_configENS1_25transform_config_selectorItLb0EEEZNS1_14transform_implILb0ES3_S5_N6thrust23THRUST_200600_302600_NS6detail15normal_iteratorINS8_10device_ptrItEEEEPtNS0_8identityItEEEE10hipError_tT2_T3_mT4_P12ihipStream_tbEUlT_E_NS1_11comp_targetILNS1_3genE10ELNS1_11target_archE1201ELNS1_3gpuE5ELNS1_3repE0EEENS1_30default_config_static_selectorELNS0_4arch9wavefront6targetE1EEEvT1_: ; @_ZN7rocprim17ROCPRIM_400000_NS6detail17trampoline_kernelINS0_14default_configENS1_25transform_config_selectorItLb0EEEZNS1_14transform_implILb0ES3_S5_N6thrust23THRUST_200600_302600_NS6detail15normal_iteratorINS8_10device_ptrItEEEEPtNS0_8identityItEEEE10hipError_tT2_T3_mT4_P12ihipStream_tbEUlT_E_NS1_11comp_targetILNS1_3genE10ELNS1_11target_archE1201ELNS1_3gpuE5ELNS1_3repE0EEENS1_30default_config_static_selectorELNS0_4arch9wavefront6targetE1EEEvT1_
; %bb.0:
	.section	.rodata,"a",@progbits
	.p2align	6, 0x0
	.amdhsa_kernel _ZN7rocprim17ROCPRIM_400000_NS6detail17trampoline_kernelINS0_14default_configENS1_25transform_config_selectorItLb0EEEZNS1_14transform_implILb0ES3_S5_N6thrust23THRUST_200600_302600_NS6detail15normal_iteratorINS8_10device_ptrItEEEEPtNS0_8identityItEEEE10hipError_tT2_T3_mT4_P12ihipStream_tbEUlT_E_NS1_11comp_targetILNS1_3genE10ELNS1_11target_archE1201ELNS1_3gpuE5ELNS1_3repE0EEENS1_30default_config_static_selectorELNS0_4arch9wavefront6targetE1EEEvT1_
		.amdhsa_group_segment_fixed_size 0
		.amdhsa_private_segment_fixed_size 0
		.amdhsa_kernarg_size 40
		.amdhsa_user_sgpr_count 2
		.amdhsa_user_sgpr_dispatch_ptr 0
		.amdhsa_user_sgpr_queue_ptr 0
		.amdhsa_user_sgpr_kernarg_segment_ptr 1
		.amdhsa_user_sgpr_dispatch_id 0
		.amdhsa_user_sgpr_kernarg_preload_length 0
		.amdhsa_user_sgpr_kernarg_preload_offset 0
		.amdhsa_user_sgpr_private_segment_size 0
		.amdhsa_uses_dynamic_stack 0
		.amdhsa_enable_private_segment 0
		.amdhsa_system_sgpr_workgroup_id_x 1
		.amdhsa_system_sgpr_workgroup_id_y 0
		.amdhsa_system_sgpr_workgroup_id_z 0
		.amdhsa_system_sgpr_workgroup_info 0
		.amdhsa_system_vgpr_workitem_id 0
		.amdhsa_next_free_vgpr 1
		.amdhsa_next_free_sgpr 0
		.amdhsa_accum_offset 4
		.amdhsa_reserve_vcc 0
		.amdhsa_float_round_mode_32 0
		.amdhsa_float_round_mode_16_64 0
		.amdhsa_float_denorm_mode_32 3
		.amdhsa_float_denorm_mode_16_64 3
		.amdhsa_dx10_clamp 1
		.amdhsa_ieee_mode 1
		.amdhsa_fp16_overflow 0
		.amdhsa_tg_split 0
		.amdhsa_exception_fp_ieee_invalid_op 0
		.amdhsa_exception_fp_denorm_src 0
		.amdhsa_exception_fp_ieee_div_zero 0
		.amdhsa_exception_fp_ieee_overflow 0
		.amdhsa_exception_fp_ieee_underflow 0
		.amdhsa_exception_fp_ieee_inexact 0
		.amdhsa_exception_int_div_zero 0
	.end_amdhsa_kernel
	.section	.text._ZN7rocprim17ROCPRIM_400000_NS6detail17trampoline_kernelINS0_14default_configENS1_25transform_config_selectorItLb0EEEZNS1_14transform_implILb0ES3_S5_N6thrust23THRUST_200600_302600_NS6detail15normal_iteratorINS8_10device_ptrItEEEEPtNS0_8identityItEEEE10hipError_tT2_T3_mT4_P12ihipStream_tbEUlT_E_NS1_11comp_targetILNS1_3genE10ELNS1_11target_archE1201ELNS1_3gpuE5ELNS1_3repE0EEENS1_30default_config_static_selectorELNS0_4arch9wavefront6targetE1EEEvT1_,"axG",@progbits,_ZN7rocprim17ROCPRIM_400000_NS6detail17trampoline_kernelINS0_14default_configENS1_25transform_config_selectorItLb0EEEZNS1_14transform_implILb0ES3_S5_N6thrust23THRUST_200600_302600_NS6detail15normal_iteratorINS8_10device_ptrItEEEEPtNS0_8identityItEEEE10hipError_tT2_T3_mT4_P12ihipStream_tbEUlT_E_NS1_11comp_targetILNS1_3genE10ELNS1_11target_archE1201ELNS1_3gpuE5ELNS1_3repE0EEENS1_30default_config_static_selectorELNS0_4arch9wavefront6targetE1EEEvT1_,comdat
.Lfunc_end970:
	.size	_ZN7rocprim17ROCPRIM_400000_NS6detail17trampoline_kernelINS0_14default_configENS1_25transform_config_selectorItLb0EEEZNS1_14transform_implILb0ES3_S5_N6thrust23THRUST_200600_302600_NS6detail15normal_iteratorINS8_10device_ptrItEEEEPtNS0_8identityItEEEE10hipError_tT2_T3_mT4_P12ihipStream_tbEUlT_E_NS1_11comp_targetILNS1_3genE10ELNS1_11target_archE1201ELNS1_3gpuE5ELNS1_3repE0EEENS1_30default_config_static_selectorELNS0_4arch9wavefront6targetE1EEEvT1_, .Lfunc_end970-_ZN7rocprim17ROCPRIM_400000_NS6detail17trampoline_kernelINS0_14default_configENS1_25transform_config_selectorItLb0EEEZNS1_14transform_implILb0ES3_S5_N6thrust23THRUST_200600_302600_NS6detail15normal_iteratorINS8_10device_ptrItEEEEPtNS0_8identityItEEEE10hipError_tT2_T3_mT4_P12ihipStream_tbEUlT_E_NS1_11comp_targetILNS1_3genE10ELNS1_11target_archE1201ELNS1_3gpuE5ELNS1_3repE0EEENS1_30default_config_static_selectorELNS0_4arch9wavefront6targetE1EEEvT1_
                                        ; -- End function
	.set _ZN7rocprim17ROCPRIM_400000_NS6detail17trampoline_kernelINS0_14default_configENS1_25transform_config_selectorItLb0EEEZNS1_14transform_implILb0ES3_S5_N6thrust23THRUST_200600_302600_NS6detail15normal_iteratorINS8_10device_ptrItEEEEPtNS0_8identityItEEEE10hipError_tT2_T3_mT4_P12ihipStream_tbEUlT_E_NS1_11comp_targetILNS1_3genE10ELNS1_11target_archE1201ELNS1_3gpuE5ELNS1_3repE0EEENS1_30default_config_static_selectorELNS0_4arch9wavefront6targetE1EEEvT1_.num_vgpr, 0
	.set _ZN7rocprim17ROCPRIM_400000_NS6detail17trampoline_kernelINS0_14default_configENS1_25transform_config_selectorItLb0EEEZNS1_14transform_implILb0ES3_S5_N6thrust23THRUST_200600_302600_NS6detail15normal_iteratorINS8_10device_ptrItEEEEPtNS0_8identityItEEEE10hipError_tT2_T3_mT4_P12ihipStream_tbEUlT_E_NS1_11comp_targetILNS1_3genE10ELNS1_11target_archE1201ELNS1_3gpuE5ELNS1_3repE0EEENS1_30default_config_static_selectorELNS0_4arch9wavefront6targetE1EEEvT1_.num_agpr, 0
	.set _ZN7rocprim17ROCPRIM_400000_NS6detail17trampoline_kernelINS0_14default_configENS1_25transform_config_selectorItLb0EEEZNS1_14transform_implILb0ES3_S5_N6thrust23THRUST_200600_302600_NS6detail15normal_iteratorINS8_10device_ptrItEEEEPtNS0_8identityItEEEE10hipError_tT2_T3_mT4_P12ihipStream_tbEUlT_E_NS1_11comp_targetILNS1_3genE10ELNS1_11target_archE1201ELNS1_3gpuE5ELNS1_3repE0EEENS1_30default_config_static_selectorELNS0_4arch9wavefront6targetE1EEEvT1_.numbered_sgpr, 0
	.set _ZN7rocprim17ROCPRIM_400000_NS6detail17trampoline_kernelINS0_14default_configENS1_25transform_config_selectorItLb0EEEZNS1_14transform_implILb0ES3_S5_N6thrust23THRUST_200600_302600_NS6detail15normal_iteratorINS8_10device_ptrItEEEEPtNS0_8identityItEEEE10hipError_tT2_T3_mT4_P12ihipStream_tbEUlT_E_NS1_11comp_targetILNS1_3genE10ELNS1_11target_archE1201ELNS1_3gpuE5ELNS1_3repE0EEENS1_30default_config_static_selectorELNS0_4arch9wavefront6targetE1EEEvT1_.num_named_barrier, 0
	.set _ZN7rocprim17ROCPRIM_400000_NS6detail17trampoline_kernelINS0_14default_configENS1_25transform_config_selectorItLb0EEEZNS1_14transform_implILb0ES3_S5_N6thrust23THRUST_200600_302600_NS6detail15normal_iteratorINS8_10device_ptrItEEEEPtNS0_8identityItEEEE10hipError_tT2_T3_mT4_P12ihipStream_tbEUlT_E_NS1_11comp_targetILNS1_3genE10ELNS1_11target_archE1201ELNS1_3gpuE5ELNS1_3repE0EEENS1_30default_config_static_selectorELNS0_4arch9wavefront6targetE1EEEvT1_.private_seg_size, 0
	.set _ZN7rocprim17ROCPRIM_400000_NS6detail17trampoline_kernelINS0_14default_configENS1_25transform_config_selectorItLb0EEEZNS1_14transform_implILb0ES3_S5_N6thrust23THRUST_200600_302600_NS6detail15normal_iteratorINS8_10device_ptrItEEEEPtNS0_8identityItEEEE10hipError_tT2_T3_mT4_P12ihipStream_tbEUlT_E_NS1_11comp_targetILNS1_3genE10ELNS1_11target_archE1201ELNS1_3gpuE5ELNS1_3repE0EEENS1_30default_config_static_selectorELNS0_4arch9wavefront6targetE1EEEvT1_.uses_vcc, 0
	.set _ZN7rocprim17ROCPRIM_400000_NS6detail17trampoline_kernelINS0_14default_configENS1_25transform_config_selectorItLb0EEEZNS1_14transform_implILb0ES3_S5_N6thrust23THRUST_200600_302600_NS6detail15normal_iteratorINS8_10device_ptrItEEEEPtNS0_8identityItEEEE10hipError_tT2_T3_mT4_P12ihipStream_tbEUlT_E_NS1_11comp_targetILNS1_3genE10ELNS1_11target_archE1201ELNS1_3gpuE5ELNS1_3repE0EEENS1_30default_config_static_selectorELNS0_4arch9wavefront6targetE1EEEvT1_.uses_flat_scratch, 0
	.set _ZN7rocprim17ROCPRIM_400000_NS6detail17trampoline_kernelINS0_14default_configENS1_25transform_config_selectorItLb0EEEZNS1_14transform_implILb0ES3_S5_N6thrust23THRUST_200600_302600_NS6detail15normal_iteratorINS8_10device_ptrItEEEEPtNS0_8identityItEEEE10hipError_tT2_T3_mT4_P12ihipStream_tbEUlT_E_NS1_11comp_targetILNS1_3genE10ELNS1_11target_archE1201ELNS1_3gpuE5ELNS1_3repE0EEENS1_30default_config_static_selectorELNS0_4arch9wavefront6targetE1EEEvT1_.has_dyn_sized_stack, 0
	.set _ZN7rocprim17ROCPRIM_400000_NS6detail17trampoline_kernelINS0_14default_configENS1_25transform_config_selectorItLb0EEEZNS1_14transform_implILb0ES3_S5_N6thrust23THRUST_200600_302600_NS6detail15normal_iteratorINS8_10device_ptrItEEEEPtNS0_8identityItEEEE10hipError_tT2_T3_mT4_P12ihipStream_tbEUlT_E_NS1_11comp_targetILNS1_3genE10ELNS1_11target_archE1201ELNS1_3gpuE5ELNS1_3repE0EEENS1_30default_config_static_selectorELNS0_4arch9wavefront6targetE1EEEvT1_.has_recursion, 0
	.set _ZN7rocprim17ROCPRIM_400000_NS6detail17trampoline_kernelINS0_14default_configENS1_25transform_config_selectorItLb0EEEZNS1_14transform_implILb0ES3_S5_N6thrust23THRUST_200600_302600_NS6detail15normal_iteratorINS8_10device_ptrItEEEEPtNS0_8identityItEEEE10hipError_tT2_T3_mT4_P12ihipStream_tbEUlT_E_NS1_11comp_targetILNS1_3genE10ELNS1_11target_archE1201ELNS1_3gpuE5ELNS1_3repE0EEENS1_30default_config_static_selectorELNS0_4arch9wavefront6targetE1EEEvT1_.has_indirect_call, 0
	.section	.AMDGPU.csdata,"",@progbits
; Kernel info:
; codeLenInByte = 0
; TotalNumSgprs: 6
; NumVgprs: 0
; NumAgprs: 0
; TotalNumVgprs: 0
; ScratchSize: 0
; MemoryBound: 0
; FloatMode: 240
; IeeeMode: 1
; LDSByteSize: 0 bytes/workgroup (compile time only)
; SGPRBlocks: 0
; VGPRBlocks: 0
; NumSGPRsForWavesPerEU: 6
; NumVGPRsForWavesPerEU: 1
; AccumOffset: 4
; Occupancy: 8
; WaveLimiterHint : 0
; COMPUTE_PGM_RSRC2:SCRATCH_EN: 0
; COMPUTE_PGM_RSRC2:USER_SGPR: 2
; COMPUTE_PGM_RSRC2:TRAP_HANDLER: 0
; COMPUTE_PGM_RSRC2:TGID_X_EN: 1
; COMPUTE_PGM_RSRC2:TGID_Y_EN: 0
; COMPUTE_PGM_RSRC2:TGID_Z_EN: 0
; COMPUTE_PGM_RSRC2:TIDIG_COMP_CNT: 0
; COMPUTE_PGM_RSRC3_GFX90A:ACCUM_OFFSET: 0
; COMPUTE_PGM_RSRC3_GFX90A:TG_SPLIT: 0
	.section	.text._ZN7rocprim17ROCPRIM_400000_NS6detail17trampoline_kernelINS0_14default_configENS1_25transform_config_selectorItLb0EEEZNS1_14transform_implILb0ES3_S5_N6thrust23THRUST_200600_302600_NS6detail15normal_iteratorINS8_10device_ptrItEEEEPtNS0_8identityItEEEE10hipError_tT2_T3_mT4_P12ihipStream_tbEUlT_E_NS1_11comp_targetILNS1_3genE10ELNS1_11target_archE1200ELNS1_3gpuE4ELNS1_3repE0EEENS1_30default_config_static_selectorELNS0_4arch9wavefront6targetE1EEEvT1_,"axG",@progbits,_ZN7rocprim17ROCPRIM_400000_NS6detail17trampoline_kernelINS0_14default_configENS1_25transform_config_selectorItLb0EEEZNS1_14transform_implILb0ES3_S5_N6thrust23THRUST_200600_302600_NS6detail15normal_iteratorINS8_10device_ptrItEEEEPtNS0_8identityItEEEE10hipError_tT2_T3_mT4_P12ihipStream_tbEUlT_E_NS1_11comp_targetILNS1_3genE10ELNS1_11target_archE1200ELNS1_3gpuE4ELNS1_3repE0EEENS1_30default_config_static_selectorELNS0_4arch9wavefront6targetE1EEEvT1_,comdat
	.protected	_ZN7rocprim17ROCPRIM_400000_NS6detail17trampoline_kernelINS0_14default_configENS1_25transform_config_selectorItLb0EEEZNS1_14transform_implILb0ES3_S5_N6thrust23THRUST_200600_302600_NS6detail15normal_iteratorINS8_10device_ptrItEEEEPtNS0_8identityItEEEE10hipError_tT2_T3_mT4_P12ihipStream_tbEUlT_E_NS1_11comp_targetILNS1_3genE10ELNS1_11target_archE1200ELNS1_3gpuE4ELNS1_3repE0EEENS1_30default_config_static_selectorELNS0_4arch9wavefront6targetE1EEEvT1_ ; -- Begin function _ZN7rocprim17ROCPRIM_400000_NS6detail17trampoline_kernelINS0_14default_configENS1_25transform_config_selectorItLb0EEEZNS1_14transform_implILb0ES3_S5_N6thrust23THRUST_200600_302600_NS6detail15normal_iteratorINS8_10device_ptrItEEEEPtNS0_8identityItEEEE10hipError_tT2_T3_mT4_P12ihipStream_tbEUlT_E_NS1_11comp_targetILNS1_3genE10ELNS1_11target_archE1200ELNS1_3gpuE4ELNS1_3repE0EEENS1_30default_config_static_selectorELNS0_4arch9wavefront6targetE1EEEvT1_
	.globl	_ZN7rocprim17ROCPRIM_400000_NS6detail17trampoline_kernelINS0_14default_configENS1_25transform_config_selectorItLb0EEEZNS1_14transform_implILb0ES3_S5_N6thrust23THRUST_200600_302600_NS6detail15normal_iteratorINS8_10device_ptrItEEEEPtNS0_8identityItEEEE10hipError_tT2_T3_mT4_P12ihipStream_tbEUlT_E_NS1_11comp_targetILNS1_3genE10ELNS1_11target_archE1200ELNS1_3gpuE4ELNS1_3repE0EEENS1_30default_config_static_selectorELNS0_4arch9wavefront6targetE1EEEvT1_
	.p2align	8
	.type	_ZN7rocprim17ROCPRIM_400000_NS6detail17trampoline_kernelINS0_14default_configENS1_25transform_config_selectorItLb0EEEZNS1_14transform_implILb0ES3_S5_N6thrust23THRUST_200600_302600_NS6detail15normal_iteratorINS8_10device_ptrItEEEEPtNS0_8identityItEEEE10hipError_tT2_T3_mT4_P12ihipStream_tbEUlT_E_NS1_11comp_targetILNS1_3genE10ELNS1_11target_archE1200ELNS1_3gpuE4ELNS1_3repE0EEENS1_30default_config_static_selectorELNS0_4arch9wavefront6targetE1EEEvT1_,@function
_ZN7rocprim17ROCPRIM_400000_NS6detail17trampoline_kernelINS0_14default_configENS1_25transform_config_selectorItLb0EEEZNS1_14transform_implILb0ES3_S5_N6thrust23THRUST_200600_302600_NS6detail15normal_iteratorINS8_10device_ptrItEEEEPtNS0_8identityItEEEE10hipError_tT2_T3_mT4_P12ihipStream_tbEUlT_E_NS1_11comp_targetILNS1_3genE10ELNS1_11target_archE1200ELNS1_3gpuE4ELNS1_3repE0EEENS1_30default_config_static_selectorELNS0_4arch9wavefront6targetE1EEEvT1_: ; @_ZN7rocprim17ROCPRIM_400000_NS6detail17trampoline_kernelINS0_14default_configENS1_25transform_config_selectorItLb0EEEZNS1_14transform_implILb0ES3_S5_N6thrust23THRUST_200600_302600_NS6detail15normal_iteratorINS8_10device_ptrItEEEEPtNS0_8identityItEEEE10hipError_tT2_T3_mT4_P12ihipStream_tbEUlT_E_NS1_11comp_targetILNS1_3genE10ELNS1_11target_archE1200ELNS1_3gpuE4ELNS1_3repE0EEENS1_30default_config_static_selectorELNS0_4arch9wavefront6targetE1EEEvT1_
; %bb.0:
	.section	.rodata,"a",@progbits
	.p2align	6, 0x0
	.amdhsa_kernel _ZN7rocprim17ROCPRIM_400000_NS6detail17trampoline_kernelINS0_14default_configENS1_25transform_config_selectorItLb0EEEZNS1_14transform_implILb0ES3_S5_N6thrust23THRUST_200600_302600_NS6detail15normal_iteratorINS8_10device_ptrItEEEEPtNS0_8identityItEEEE10hipError_tT2_T3_mT4_P12ihipStream_tbEUlT_E_NS1_11comp_targetILNS1_3genE10ELNS1_11target_archE1200ELNS1_3gpuE4ELNS1_3repE0EEENS1_30default_config_static_selectorELNS0_4arch9wavefront6targetE1EEEvT1_
		.amdhsa_group_segment_fixed_size 0
		.amdhsa_private_segment_fixed_size 0
		.amdhsa_kernarg_size 40
		.amdhsa_user_sgpr_count 2
		.amdhsa_user_sgpr_dispatch_ptr 0
		.amdhsa_user_sgpr_queue_ptr 0
		.amdhsa_user_sgpr_kernarg_segment_ptr 1
		.amdhsa_user_sgpr_dispatch_id 0
		.amdhsa_user_sgpr_kernarg_preload_length 0
		.amdhsa_user_sgpr_kernarg_preload_offset 0
		.amdhsa_user_sgpr_private_segment_size 0
		.amdhsa_uses_dynamic_stack 0
		.amdhsa_enable_private_segment 0
		.amdhsa_system_sgpr_workgroup_id_x 1
		.amdhsa_system_sgpr_workgroup_id_y 0
		.amdhsa_system_sgpr_workgroup_id_z 0
		.amdhsa_system_sgpr_workgroup_info 0
		.amdhsa_system_vgpr_workitem_id 0
		.amdhsa_next_free_vgpr 1
		.amdhsa_next_free_sgpr 0
		.amdhsa_accum_offset 4
		.amdhsa_reserve_vcc 0
		.amdhsa_float_round_mode_32 0
		.amdhsa_float_round_mode_16_64 0
		.amdhsa_float_denorm_mode_32 3
		.amdhsa_float_denorm_mode_16_64 3
		.amdhsa_dx10_clamp 1
		.amdhsa_ieee_mode 1
		.amdhsa_fp16_overflow 0
		.amdhsa_tg_split 0
		.amdhsa_exception_fp_ieee_invalid_op 0
		.amdhsa_exception_fp_denorm_src 0
		.amdhsa_exception_fp_ieee_div_zero 0
		.amdhsa_exception_fp_ieee_overflow 0
		.amdhsa_exception_fp_ieee_underflow 0
		.amdhsa_exception_fp_ieee_inexact 0
		.amdhsa_exception_int_div_zero 0
	.end_amdhsa_kernel
	.section	.text._ZN7rocprim17ROCPRIM_400000_NS6detail17trampoline_kernelINS0_14default_configENS1_25transform_config_selectorItLb0EEEZNS1_14transform_implILb0ES3_S5_N6thrust23THRUST_200600_302600_NS6detail15normal_iteratorINS8_10device_ptrItEEEEPtNS0_8identityItEEEE10hipError_tT2_T3_mT4_P12ihipStream_tbEUlT_E_NS1_11comp_targetILNS1_3genE10ELNS1_11target_archE1200ELNS1_3gpuE4ELNS1_3repE0EEENS1_30default_config_static_selectorELNS0_4arch9wavefront6targetE1EEEvT1_,"axG",@progbits,_ZN7rocprim17ROCPRIM_400000_NS6detail17trampoline_kernelINS0_14default_configENS1_25transform_config_selectorItLb0EEEZNS1_14transform_implILb0ES3_S5_N6thrust23THRUST_200600_302600_NS6detail15normal_iteratorINS8_10device_ptrItEEEEPtNS0_8identityItEEEE10hipError_tT2_T3_mT4_P12ihipStream_tbEUlT_E_NS1_11comp_targetILNS1_3genE10ELNS1_11target_archE1200ELNS1_3gpuE4ELNS1_3repE0EEENS1_30default_config_static_selectorELNS0_4arch9wavefront6targetE1EEEvT1_,comdat
.Lfunc_end971:
	.size	_ZN7rocprim17ROCPRIM_400000_NS6detail17trampoline_kernelINS0_14default_configENS1_25transform_config_selectorItLb0EEEZNS1_14transform_implILb0ES3_S5_N6thrust23THRUST_200600_302600_NS6detail15normal_iteratorINS8_10device_ptrItEEEEPtNS0_8identityItEEEE10hipError_tT2_T3_mT4_P12ihipStream_tbEUlT_E_NS1_11comp_targetILNS1_3genE10ELNS1_11target_archE1200ELNS1_3gpuE4ELNS1_3repE0EEENS1_30default_config_static_selectorELNS0_4arch9wavefront6targetE1EEEvT1_, .Lfunc_end971-_ZN7rocprim17ROCPRIM_400000_NS6detail17trampoline_kernelINS0_14default_configENS1_25transform_config_selectorItLb0EEEZNS1_14transform_implILb0ES3_S5_N6thrust23THRUST_200600_302600_NS6detail15normal_iteratorINS8_10device_ptrItEEEEPtNS0_8identityItEEEE10hipError_tT2_T3_mT4_P12ihipStream_tbEUlT_E_NS1_11comp_targetILNS1_3genE10ELNS1_11target_archE1200ELNS1_3gpuE4ELNS1_3repE0EEENS1_30default_config_static_selectorELNS0_4arch9wavefront6targetE1EEEvT1_
                                        ; -- End function
	.set _ZN7rocprim17ROCPRIM_400000_NS6detail17trampoline_kernelINS0_14default_configENS1_25transform_config_selectorItLb0EEEZNS1_14transform_implILb0ES3_S5_N6thrust23THRUST_200600_302600_NS6detail15normal_iteratorINS8_10device_ptrItEEEEPtNS0_8identityItEEEE10hipError_tT2_T3_mT4_P12ihipStream_tbEUlT_E_NS1_11comp_targetILNS1_3genE10ELNS1_11target_archE1200ELNS1_3gpuE4ELNS1_3repE0EEENS1_30default_config_static_selectorELNS0_4arch9wavefront6targetE1EEEvT1_.num_vgpr, 0
	.set _ZN7rocprim17ROCPRIM_400000_NS6detail17trampoline_kernelINS0_14default_configENS1_25transform_config_selectorItLb0EEEZNS1_14transform_implILb0ES3_S5_N6thrust23THRUST_200600_302600_NS6detail15normal_iteratorINS8_10device_ptrItEEEEPtNS0_8identityItEEEE10hipError_tT2_T3_mT4_P12ihipStream_tbEUlT_E_NS1_11comp_targetILNS1_3genE10ELNS1_11target_archE1200ELNS1_3gpuE4ELNS1_3repE0EEENS1_30default_config_static_selectorELNS0_4arch9wavefront6targetE1EEEvT1_.num_agpr, 0
	.set _ZN7rocprim17ROCPRIM_400000_NS6detail17trampoline_kernelINS0_14default_configENS1_25transform_config_selectorItLb0EEEZNS1_14transform_implILb0ES3_S5_N6thrust23THRUST_200600_302600_NS6detail15normal_iteratorINS8_10device_ptrItEEEEPtNS0_8identityItEEEE10hipError_tT2_T3_mT4_P12ihipStream_tbEUlT_E_NS1_11comp_targetILNS1_3genE10ELNS1_11target_archE1200ELNS1_3gpuE4ELNS1_3repE0EEENS1_30default_config_static_selectorELNS0_4arch9wavefront6targetE1EEEvT1_.numbered_sgpr, 0
	.set _ZN7rocprim17ROCPRIM_400000_NS6detail17trampoline_kernelINS0_14default_configENS1_25transform_config_selectorItLb0EEEZNS1_14transform_implILb0ES3_S5_N6thrust23THRUST_200600_302600_NS6detail15normal_iteratorINS8_10device_ptrItEEEEPtNS0_8identityItEEEE10hipError_tT2_T3_mT4_P12ihipStream_tbEUlT_E_NS1_11comp_targetILNS1_3genE10ELNS1_11target_archE1200ELNS1_3gpuE4ELNS1_3repE0EEENS1_30default_config_static_selectorELNS0_4arch9wavefront6targetE1EEEvT1_.num_named_barrier, 0
	.set _ZN7rocprim17ROCPRIM_400000_NS6detail17trampoline_kernelINS0_14default_configENS1_25transform_config_selectorItLb0EEEZNS1_14transform_implILb0ES3_S5_N6thrust23THRUST_200600_302600_NS6detail15normal_iteratorINS8_10device_ptrItEEEEPtNS0_8identityItEEEE10hipError_tT2_T3_mT4_P12ihipStream_tbEUlT_E_NS1_11comp_targetILNS1_3genE10ELNS1_11target_archE1200ELNS1_3gpuE4ELNS1_3repE0EEENS1_30default_config_static_selectorELNS0_4arch9wavefront6targetE1EEEvT1_.private_seg_size, 0
	.set _ZN7rocprim17ROCPRIM_400000_NS6detail17trampoline_kernelINS0_14default_configENS1_25transform_config_selectorItLb0EEEZNS1_14transform_implILb0ES3_S5_N6thrust23THRUST_200600_302600_NS6detail15normal_iteratorINS8_10device_ptrItEEEEPtNS0_8identityItEEEE10hipError_tT2_T3_mT4_P12ihipStream_tbEUlT_E_NS1_11comp_targetILNS1_3genE10ELNS1_11target_archE1200ELNS1_3gpuE4ELNS1_3repE0EEENS1_30default_config_static_selectorELNS0_4arch9wavefront6targetE1EEEvT1_.uses_vcc, 0
	.set _ZN7rocprim17ROCPRIM_400000_NS6detail17trampoline_kernelINS0_14default_configENS1_25transform_config_selectorItLb0EEEZNS1_14transform_implILb0ES3_S5_N6thrust23THRUST_200600_302600_NS6detail15normal_iteratorINS8_10device_ptrItEEEEPtNS0_8identityItEEEE10hipError_tT2_T3_mT4_P12ihipStream_tbEUlT_E_NS1_11comp_targetILNS1_3genE10ELNS1_11target_archE1200ELNS1_3gpuE4ELNS1_3repE0EEENS1_30default_config_static_selectorELNS0_4arch9wavefront6targetE1EEEvT1_.uses_flat_scratch, 0
	.set _ZN7rocprim17ROCPRIM_400000_NS6detail17trampoline_kernelINS0_14default_configENS1_25transform_config_selectorItLb0EEEZNS1_14transform_implILb0ES3_S5_N6thrust23THRUST_200600_302600_NS6detail15normal_iteratorINS8_10device_ptrItEEEEPtNS0_8identityItEEEE10hipError_tT2_T3_mT4_P12ihipStream_tbEUlT_E_NS1_11comp_targetILNS1_3genE10ELNS1_11target_archE1200ELNS1_3gpuE4ELNS1_3repE0EEENS1_30default_config_static_selectorELNS0_4arch9wavefront6targetE1EEEvT1_.has_dyn_sized_stack, 0
	.set _ZN7rocprim17ROCPRIM_400000_NS6detail17trampoline_kernelINS0_14default_configENS1_25transform_config_selectorItLb0EEEZNS1_14transform_implILb0ES3_S5_N6thrust23THRUST_200600_302600_NS6detail15normal_iteratorINS8_10device_ptrItEEEEPtNS0_8identityItEEEE10hipError_tT2_T3_mT4_P12ihipStream_tbEUlT_E_NS1_11comp_targetILNS1_3genE10ELNS1_11target_archE1200ELNS1_3gpuE4ELNS1_3repE0EEENS1_30default_config_static_selectorELNS0_4arch9wavefront6targetE1EEEvT1_.has_recursion, 0
	.set _ZN7rocprim17ROCPRIM_400000_NS6detail17trampoline_kernelINS0_14default_configENS1_25transform_config_selectorItLb0EEEZNS1_14transform_implILb0ES3_S5_N6thrust23THRUST_200600_302600_NS6detail15normal_iteratorINS8_10device_ptrItEEEEPtNS0_8identityItEEEE10hipError_tT2_T3_mT4_P12ihipStream_tbEUlT_E_NS1_11comp_targetILNS1_3genE10ELNS1_11target_archE1200ELNS1_3gpuE4ELNS1_3repE0EEENS1_30default_config_static_selectorELNS0_4arch9wavefront6targetE1EEEvT1_.has_indirect_call, 0
	.section	.AMDGPU.csdata,"",@progbits
; Kernel info:
; codeLenInByte = 0
; TotalNumSgprs: 6
; NumVgprs: 0
; NumAgprs: 0
; TotalNumVgprs: 0
; ScratchSize: 0
; MemoryBound: 0
; FloatMode: 240
; IeeeMode: 1
; LDSByteSize: 0 bytes/workgroup (compile time only)
; SGPRBlocks: 0
; VGPRBlocks: 0
; NumSGPRsForWavesPerEU: 6
; NumVGPRsForWavesPerEU: 1
; AccumOffset: 4
; Occupancy: 8
; WaveLimiterHint : 0
; COMPUTE_PGM_RSRC2:SCRATCH_EN: 0
; COMPUTE_PGM_RSRC2:USER_SGPR: 2
; COMPUTE_PGM_RSRC2:TRAP_HANDLER: 0
; COMPUTE_PGM_RSRC2:TGID_X_EN: 1
; COMPUTE_PGM_RSRC2:TGID_Y_EN: 0
; COMPUTE_PGM_RSRC2:TGID_Z_EN: 0
; COMPUTE_PGM_RSRC2:TIDIG_COMP_CNT: 0
; COMPUTE_PGM_RSRC3_GFX90A:ACCUM_OFFSET: 0
; COMPUTE_PGM_RSRC3_GFX90A:TG_SPLIT: 0
	.section	.text._ZN7rocprim17ROCPRIM_400000_NS6detail17trampoline_kernelINS0_14default_configENS1_25transform_config_selectorItLb0EEEZNS1_14transform_implILb0ES3_S5_N6thrust23THRUST_200600_302600_NS6detail15normal_iteratorINS8_10device_ptrItEEEEPtNS0_8identityItEEEE10hipError_tT2_T3_mT4_P12ihipStream_tbEUlT_E_NS1_11comp_targetILNS1_3genE9ELNS1_11target_archE1100ELNS1_3gpuE3ELNS1_3repE0EEENS1_30default_config_static_selectorELNS0_4arch9wavefront6targetE1EEEvT1_,"axG",@progbits,_ZN7rocprim17ROCPRIM_400000_NS6detail17trampoline_kernelINS0_14default_configENS1_25transform_config_selectorItLb0EEEZNS1_14transform_implILb0ES3_S5_N6thrust23THRUST_200600_302600_NS6detail15normal_iteratorINS8_10device_ptrItEEEEPtNS0_8identityItEEEE10hipError_tT2_T3_mT4_P12ihipStream_tbEUlT_E_NS1_11comp_targetILNS1_3genE9ELNS1_11target_archE1100ELNS1_3gpuE3ELNS1_3repE0EEENS1_30default_config_static_selectorELNS0_4arch9wavefront6targetE1EEEvT1_,comdat
	.protected	_ZN7rocprim17ROCPRIM_400000_NS6detail17trampoline_kernelINS0_14default_configENS1_25transform_config_selectorItLb0EEEZNS1_14transform_implILb0ES3_S5_N6thrust23THRUST_200600_302600_NS6detail15normal_iteratorINS8_10device_ptrItEEEEPtNS0_8identityItEEEE10hipError_tT2_T3_mT4_P12ihipStream_tbEUlT_E_NS1_11comp_targetILNS1_3genE9ELNS1_11target_archE1100ELNS1_3gpuE3ELNS1_3repE0EEENS1_30default_config_static_selectorELNS0_4arch9wavefront6targetE1EEEvT1_ ; -- Begin function _ZN7rocprim17ROCPRIM_400000_NS6detail17trampoline_kernelINS0_14default_configENS1_25transform_config_selectorItLb0EEEZNS1_14transform_implILb0ES3_S5_N6thrust23THRUST_200600_302600_NS6detail15normal_iteratorINS8_10device_ptrItEEEEPtNS0_8identityItEEEE10hipError_tT2_T3_mT4_P12ihipStream_tbEUlT_E_NS1_11comp_targetILNS1_3genE9ELNS1_11target_archE1100ELNS1_3gpuE3ELNS1_3repE0EEENS1_30default_config_static_selectorELNS0_4arch9wavefront6targetE1EEEvT1_
	.globl	_ZN7rocprim17ROCPRIM_400000_NS6detail17trampoline_kernelINS0_14default_configENS1_25transform_config_selectorItLb0EEEZNS1_14transform_implILb0ES3_S5_N6thrust23THRUST_200600_302600_NS6detail15normal_iteratorINS8_10device_ptrItEEEEPtNS0_8identityItEEEE10hipError_tT2_T3_mT4_P12ihipStream_tbEUlT_E_NS1_11comp_targetILNS1_3genE9ELNS1_11target_archE1100ELNS1_3gpuE3ELNS1_3repE0EEENS1_30default_config_static_selectorELNS0_4arch9wavefront6targetE1EEEvT1_
	.p2align	8
	.type	_ZN7rocprim17ROCPRIM_400000_NS6detail17trampoline_kernelINS0_14default_configENS1_25transform_config_selectorItLb0EEEZNS1_14transform_implILb0ES3_S5_N6thrust23THRUST_200600_302600_NS6detail15normal_iteratorINS8_10device_ptrItEEEEPtNS0_8identityItEEEE10hipError_tT2_T3_mT4_P12ihipStream_tbEUlT_E_NS1_11comp_targetILNS1_3genE9ELNS1_11target_archE1100ELNS1_3gpuE3ELNS1_3repE0EEENS1_30default_config_static_selectorELNS0_4arch9wavefront6targetE1EEEvT1_,@function
_ZN7rocprim17ROCPRIM_400000_NS6detail17trampoline_kernelINS0_14default_configENS1_25transform_config_selectorItLb0EEEZNS1_14transform_implILb0ES3_S5_N6thrust23THRUST_200600_302600_NS6detail15normal_iteratorINS8_10device_ptrItEEEEPtNS0_8identityItEEEE10hipError_tT2_T3_mT4_P12ihipStream_tbEUlT_E_NS1_11comp_targetILNS1_3genE9ELNS1_11target_archE1100ELNS1_3gpuE3ELNS1_3repE0EEENS1_30default_config_static_selectorELNS0_4arch9wavefront6targetE1EEEvT1_: ; @_ZN7rocprim17ROCPRIM_400000_NS6detail17trampoline_kernelINS0_14default_configENS1_25transform_config_selectorItLb0EEEZNS1_14transform_implILb0ES3_S5_N6thrust23THRUST_200600_302600_NS6detail15normal_iteratorINS8_10device_ptrItEEEEPtNS0_8identityItEEEE10hipError_tT2_T3_mT4_P12ihipStream_tbEUlT_E_NS1_11comp_targetILNS1_3genE9ELNS1_11target_archE1100ELNS1_3gpuE3ELNS1_3repE0EEENS1_30default_config_static_selectorELNS0_4arch9wavefront6targetE1EEEvT1_
; %bb.0:
	.section	.rodata,"a",@progbits
	.p2align	6, 0x0
	.amdhsa_kernel _ZN7rocprim17ROCPRIM_400000_NS6detail17trampoline_kernelINS0_14default_configENS1_25transform_config_selectorItLb0EEEZNS1_14transform_implILb0ES3_S5_N6thrust23THRUST_200600_302600_NS6detail15normal_iteratorINS8_10device_ptrItEEEEPtNS0_8identityItEEEE10hipError_tT2_T3_mT4_P12ihipStream_tbEUlT_E_NS1_11comp_targetILNS1_3genE9ELNS1_11target_archE1100ELNS1_3gpuE3ELNS1_3repE0EEENS1_30default_config_static_selectorELNS0_4arch9wavefront6targetE1EEEvT1_
		.amdhsa_group_segment_fixed_size 0
		.amdhsa_private_segment_fixed_size 0
		.amdhsa_kernarg_size 40
		.amdhsa_user_sgpr_count 2
		.amdhsa_user_sgpr_dispatch_ptr 0
		.amdhsa_user_sgpr_queue_ptr 0
		.amdhsa_user_sgpr_kernarg_segment_ptr 1
		.amdhsa_user_sgpr_dispatch_id 0
		.amdhsa_user_sgpr_kernarg_preload_length 0
		.amdhsa_user_sgpr_kernarg_preload_offset 0
		.amdhsa_user_sgpr_private_segment_size 0
		.amdhsa_uses_dynamic_stack 0
		.amdhsa_enable_private_segment 0
		.amdhsa_system_sgpr_workgroup_id_x 1
		.amdhsa_system_sgpr_workgroup_id_y 0
		.amdhsa_system_sgpr_workgroup_id_z 0
		.amdhsa_system_sgpr_workgroup_info 0
		.amdhsa_system_vgpr_workitem_id 0
		.amdhsa_next_free_vgpr 1
		.amdhsa_next_free_sgpr 0
		.amdhsa_accum_offset 4
		.amdhsa_reserve_vcc 0
		.amdhsa_float_round_mode_32 0
		.amdhsa_float_round_mode_16_64 0
		.amdhsa_float_denorm_mode_32 3
		.amdhsa_float_denorm_mode_16_64 3
		.amdhsa_dx10_clamp 1
		.amdhsa_ieee_mode 1
		.amdhsa_fp16_overflow 0
		.amdhsa_tg_split 0
		.amdhsa_exception_fp_ieee_invalid_op 0
		.amdhsa_exception_fp_denorm_src 0
		.amdhsa_exception_fp_ieee_div_zero 0
		.amdhsa_exception_fp_ieee_overflow 0
		.amdhsa_exception_fp_ieee_underflow 0
		.amdhsa_exception_fp_ieee_inexact 0
		.amdhsa_exception_int_div_zero 0
	.end_amdhsa_kernel
	.section	.text._ZN7rocprim17ROCPRIM_400000_NS6detail17trampoline_kernelINS0_14default_configENS1_25transform_config_selectorItLb0EEEZNS1_14transform_implILb0ES3_S5_N6thrust23THRUST_200600_302600_NS6detail15normal_iteratorINS8_10device_ptrItEEEEPtNS0_8identityItEEEE10hipError_tT2_T3_mT4_P12ihipStream_tbEUlT_E_NS1_11comp_targetILNS1_3genE9ELNS1_11target_archE1100ELNS1_3gpuE3ELNS1_3repE0EEENS1_30default_config_static_selectorELNS0_4arch9wavefront6targetE1EEEvT1_,"axG",@progbits,_ZN7rocprim17ROCPRIM_400000_NS6detail17trampoline_kernelINS0_14default_configENS1_25transform_config_selectorItLb0EEEZNS1_14transform_implILb0ES3_S5_N6thrust23THRUST_200600_302600_NS6detail15normal_iteratorINS8_10device_ptrItEEEEPtNS0_8identityItEEEE10hipError_tT2_T3_mT4_P12ihipStream_tbEUlT_E_NS1_11comp_targetILNS1_3genE9ELNS1_11target_archE1100ELNS1_3gpuE3ELNS1_3repE0EEENS1_30default_config_static_selectorELNS0_4arch9wavefront6targetE1EEEvT1_,comdat
.Lfunc_end972:
	.size	_ZN7rocprim17ROCPRIM_400000_NS6detail17trampoline_kernelINS0_14default_configENS1_25transform_config_selectorItLb0EEEZNS1_14transform_implILb0ES3_S5_N6thrust23THRUST_200600_302600_NS6detail15normal_iteratorINS8_10device_ptrItEEEEPtNS0_8identityItEEEE10hipError_tT2_T3_mT4_P12ihipStream_tbEUlT_E_NS1_11comp_targetILNS1_3genE9ELNS1_11target_archE1100ELNS1_3gpuE3ELNS1_3repE0EEENS1_30default_config_static_selectorELNS0_4arch9wavefront6targetE1EEEvT1_, .Lfunc_end972-_ZN7rocprim17ROCPRIM_400000_NS6detail17trampoline_kernelINS0_14default_configENS1_25transform_config_selectorItLb0EEEZNS1_14transform_implILb0ES3_S5_N6thrust23THRUST_200600_302600_NS6detail15normal_iteratorINS8_10device_ptrItEEEEPtNS0_8identityItEEEE10hipError_tT2_T3_mT4_P12ihipStream_tbEUlT_E_NS1_11comp_targetILNS1_3genE9ELNS1_11target_archE1100ELNS1_3gpuE3ELNS1_3repE0EEENS1_30default_config_static_selectorELNS0_4arch9wavefront6targetE1EEEvT1_
                                        ; -- End function
	.set _ZN7rocprim17ROCPRIM_400000_NS6detail17trampoline_kernelINS0_14default_configENS1_25transform_config_selectorItLb0EEEZNS1_14transform_implILb0ES3_S5_N6thrust23THRUST_200600_302600_NS6detail15normal_iteratorINS8_10device_ptrItEEEEPtNS0_8identityItEEEE10hipError_tT2_T3_mT4_P12ihipStream_tbEUlT_E_NS1_11comp_targetILNS1_3genE9ELNS1_11target_archE1100ELNS1_3gpuE3ELNS1_3repE0EEENS1_30default_config_static_selectorELNS0_4arch9wavefront6targetE1EEEvT1_.num_vgpr, 0
	.set _ZN7rocprim17ROCPRIM_400000_NS6detail17trampoline_kernelINS0_14default_configENS1_25transform_config_selectorItLb0EEEZNS1_14transform_implILb0ES3_S5_N6thrust23THRUST_200600_302600_NS6detail15normal_iteratorINS8_10device_ptrItEEEEPtNS0_8identityItEEEE10hipError_tT2_T3_mT4_P12ihipStream_tbEUlT_E_NS1_11comp_targetILNS1_3genE9ELNS1_11target_archE1100ELNS1_3gpuE3ELNS1_3repE0EEENS1_30default_config_static_selectorELNS0_4arch9wavefront6targetE1EEEvT1_.num_agpr, 0
	.set _ZN7rocprim17ROCPRIM_400000_NS6detail17trampoline_kernelINS0_14default_configENS1_25transform_config_selectorItLb0EEEZNS1_14transform_implILb0ES3_S5_N6thrust23THRUST_200600_302600_NS6detail15normal_iteratorINS8_10device_ptrItEEEEPtNS0_8identityItEEEE10hipError_tT2_T3_mT4_P12ihipStream_tbEUlT_E_NS1_11comp_targetILNS1_3genE9ELNS1_11target_archE1100ELNS1_3gpuE3ELNS1_3repE0EEENS1_30default_config_static_selectorELNS0_4arch9wavefront6targetE1EEEvT1_.numbered_sgpr, 0
	.set _ZN7rocprim17ROCPRIM_400000_NS6detail17trampoline_kernelINS0_14default_configENS1_25transform_config_selectorItLb0EEEZNS1_14transform_implILb0ES3_S5_N6thrust23THRUST_200600_302600_NS6detail15normal_iteratorINS8_10device_ptrItEEEEPtNS0_8identityItEEEE10hipError_tT2_T3_mT4_P12ihipStream_tbEUlT_E_NS1_11comp_targetILNS1_3genE9ELNS1_11target_archE1100ELNS1_3gpuE3ELNS1_3repE0EEENS1_30default_config_static_selectorELNS0_4arch9wavefront6targetE1EEEvT1_.num_named_barrier, 0
	.set _ZN7rocprim17ROCPRIM_400000_NS6detail17trampoline_kernelINS0_14default_configENS1_25transform_config_selectorItLb0EEEZNS1_14transform_implILb0ES3_S5_N6thrust23THRUST_200600_302600_NS6detail15normal_iteratorINS8_10device_ptrItEEEEPtNS0_8identityItEEEE10hipError_tT2_T3_mT4_P12ihipStream_tbEUlT_E_NS1_11comp_targetILNS1_3genE9ELNS1_11target_archE1100ELNS1_3gpuE3ELNS1_3repE0EEENS1_30default_config_static_selectorELNS0_4arch9wavefront6targetE1EEEvT1_.private_seg_size, 0
	.set _ZN7rocprim17ROCPRIM_400000_NS6detail17trampoline_kernelINS0_14default_configENS1_25transform_config_selectorItLb0EEEZNS1_14transform_implILb0ES3_S5_N6thrust23THRUST_200600_302600_NS6detail15normal_iteratorINS8_10device_ptrItEEEEPtNS0_8identityItEEEE10hipError_tT2_T3_mT4_P12ihipStream_tbEUlT_E_NS1_11comp_targetILNS1_3genE9ELNS1_11target_archE1100ELNS1_3gpuE3ELNS1_3repE0EEENS1_30default_config_static_selectorELNS0_4arch9wavefront6targetE1EEEvT1_.uses_vcc, 0
	.set _ZN7rocprim17ROCPRIM_400000_NS6detail17trampoline_kernelINS0_14default_configENS1_25transform_config_selectorItLb0EEEZNS1_14transform_implILb0ES3_S5_N6thrust23THRUST_200600_302600_NS6detail15normal_iteratorINS8_10device_ptrItEEEEPtNS0_8identityItEEEE10hipError_tT2_T3_mT4_P12ihipStream_tbEUlT_E_NS1_11comp_targetILNS1_3genE9ELNS1_11target_archE1100ELNS1_3gpuE3ELNS1_3repE0EEENS1_30default_config_static_selectorELNS0_4arch9wavefront6targetE1EEEvT1_.uses_flat_scratch, 0
	.set _ZN7rocprim17ROCPRIM_400000_NS6detail17trampoline_kernelINS0_14default_configENS1_25transform_config_selectorItLb0EEEZNS1_14transform_implILb0ES3_S5_N6thrust23THRUST_200600_302600_NS6detail15normal_iteratorINS8_10device_ptrItEEEEPtNS0_8identityItEEEE10hipError_tT2_T3_mT4_P12ihipStream_tbEUlT_E_NS1_11comp_targetILNS1_3genE9ELNS1_11target_archE1100ELNS1_3gpuE3ELNS1_3repE0EEENS1_30default_config_static_selectorELNS0_4arch9wavefront6targetE1EEEvT1_.has_dyn_sized_stack, 0
	.set _ZN7rocprim17ROCPRIM_400000_NS6detail17trampoline_kernelINS0_14default_configENS1_25transform_config_selectorItLb0EEEZNS1_14transform_implILb0ES3_S5_N6thrust23THRUST_200600_302600_NS6detail15normal_iteratorINS8_10device_ptrItEEEEPtNS0_8identityItEEEE10hipError_tT2_T3_mT4_P12ihipStream_tbEUlT_E_NS1_11comp_targetILNS1_3genE9ELNS1_11target_archE1100ELNS1_3gpuE3ELNS1_3repE0EEENS1_30default_config_static_selectorELNS0_4arch9wavefront6targetE1EEEvT1_.has_recursion, 0
	.set _ZN7rocprim17ROCPRIM_400000_NS6detail17trampoline_kernelINS0_14default_configENS1_25transform_config_selectorItLb0EEEZNS1_14transform_implILb0ES3_S5_N6thrust23THRUST_200600_302600_NS6detail15normal_iteratorINS8_10device_ptrItEEEEPtNS0_8identityItEEEE10hipError_tT2_T3_mT4_P12ihipStream_tbEUlT_E_NS1_11comp_targetILNS1_3genE9ELNS1_11target_archE1100ELNS1_3gpuE3ELNS1_3repE0EEENS1_30default_config_static_selectorELNS0_4arch9wavefront6targetE1EEEvT1_.has_indirect_call, 0
	.section	.AMDGPU.csdata,"",@progbits
; Kernel info:
; codeLenInByte = 0
; TotalNumSgprs: 6
; NumVgprs: 0
; NumAgprs: 0
; TotalNumVgprs: 0
; ScratchSize: 0
; MemoryBound: 0
; FloatMode: 240
; IeeeMode: 1
; LDSByteSize: 0 bytes/workgroup (compile time only)
; SGPRBlocks: 0
; VGPRBlocks: 0
; NumSGPRsForWavesPerEU: 6
; NumVGPRsForWavesPerEU: 1
; AccumOffset: 4
; Occupancy: 8
; WaveLimiterHint : 0
; COMPUTE_PGM_RSRC2:SCRATCH_EN: 0
; COMPUTE_PGM_RSRC2:USER_SGPR: 2
; COMPUTE_PGM_RSRC2:TRAP_HANDLER: 0
; COMPUTE_PGM_RSRC2:TGID_X_EN: 1
; COMPUTE_PGM_RSRC2:TGID_Y_EN: 0
; COMPUTE_PGM_RSRC2:TGID_Z_EN: 0
; COMPUTE_PGM_RSRC2:TIDIG_COMP_CNT: 0
; COMPUTE_PGM_RSRC3_GFX90A:ACCUM_OFFSET: 0
; COMPUTE_PGM_RSRC3_GFX90A:TG_SPLIT: 0
	.section	.text._ZN7rocprim17ROCPRIM_400000_NS6detail17trampoline_kernelINS0_14default_configENS1_25transform_config_selectorItLb0EEEZNS1_14transform_implILb0ES3_S5_N6thrust23THRUST_200600_302600_NS6detail15normal_iteratorINS8_10device_ptrItEEEEPtNS0_8identityItEEEE10hipError_tT2_T3_mT4_P12ihipStream_tbEUlT_E_NS1_11comp_targetILNS1_3genE8ELNS1_11target_archE1030ELNS1_3gpuE2ELNS1_3repE0EEENS1_30default_config_static_selectorELNS0_4arch9wavefront6targetE1EEEvT1_,"axG",@progbits,_ZN7rocprim17ROCPRIM_400000_NS6detail17trampoline_kernelINS0_14default_configENS1_25transform_config_selectorItLb0EEEZNS1_14transform_implILb0ES3_S5_N6thrust23THRUST_200600_302600_NS6detail15normal_iteratorINS8_10device_ptrItEEEEPtNS0_8identityItEEEE10hipError_tT2_T3_mT4_P12ihipStream_tbEUlT_E_NS1_11comp_targetILNS1_3genE8ELNS1_11target_archE1030ELNS1_3gpuE2ELNS1_3repE0EEENS1_30default_config_static_selectorELNS0_4arch9wavefront6targetE1EEEvT1_,comdat
	.protected	_ZN7rocprim17ROCPRIM_400000_NS6detail17trampoline_kernelINS0_14default_configENS1_25transform_config_selectorItLb0EEEZNS1_14transform_implILb0ES3_S5_N6thrust23THRUST_200600_302600_NS6detail15normal_iteratorINS8_10device_ptrItEEEEPtNS0_8identityItEEEE10hipError_tT2_T3_mT4_P12ihipStream_tbEUlT_E_NS1_11comp_targetILNS1_3genE8ELNS1_11target_archE1030ELNS1_3gpuE2ELNS1_3repE0EEENS1_30default_config_static_selectorELNS0_4arch9wavefront6targetE1EEEvT1_ ; -- Begin function _ZN7rocprim17ROCPRIM_400000_NS6detail17trampoline_kernelINS0_14default_configENS1_25transform_config_selectorItLb0EEEZNS1_14transform_implILb0ES3_S5_N6thrust23THRUST_200600_302600_NS6detail15normal_iteratorINS8_10device_ptrItEEEEPtNS0_8identityItEEEE10hipError_tT2_T3_mT4_P12ihipStream_tbEUlT_E_NS1_11comp_targetILNS1_3genE8ELNS1_11target_archE1030ELNS1_3gpuE2ELNS1_3repE0EEENS1_30default_config_static_selectorELNS0_4arch9wavefront6targetE1EEEvT1_
	.globl	_ZN7rocprim17ROCPRIM_400000_NS6detail17trampoline_kernelINS0_14default_configENS1_25transform_config_selectorItLb0EEEZNS1_14transform_implILb0ES3_S5_N6thrust23THRUST_200600_302600_NS6detail15normal_iteratorINS8_10device_ptrItEEEEPtNS0_8identityItEEEE10hipError_tT2_T3_mT4_P12ihipStream_tbEUlT_E_NS1_11comp_targetILNS1_3genE8ELNS1_11target_archE1030ELNS1_3gpuE2ELNS1_3repE0EEENS1_30default_config_static_selectorELNS0_4arch9wavefront6targetE1EEEvT1_
	.p2align	8
	.type	_ZN7rocprim17ROCPRIM_400000_NS6detail17trampoline_kernelINS0_14default_configENS1_25transform_config_selectorItLb0EEEZNS1_14transform_implILb0ES3_S5_N6thrust23THRUST_200600_302600_NS6detail15normal_iteratorINS8_10device_ptrItEEEEPtNS0_8identityItEEEE10hipError_tT2_T3_mT4_P12ihipStream_tbEUlT_E_NS1_11comp_targetILNS1_3genE8ELNS1_11target_archE1030ELNS1_3gpuE2ELNS1_3repE0EEENS1_30default_config_static_selectorELNS0_4arch9wavefront6targetE1EEEvT1_,@function
_ZN7rocprim17ROCPRIM_400000_NS6detail17trampoline_kernelINS0_14default_configENS1_25transform_config_selectorItLb0EEEZNS1_14transform_implILb0ES3_S5_N6thrust23THRUST_200600_302600_NS6detail15normal_iteratorINS8_10device_ptrItEEEEPtNS0_8identityItEEEE10hipError_tT2_T3_mT4_P12ihipStream_tbEUlT_E_NS1_11comp_targetILNS1_3genE8ELNS1_11target_archE1030ELNS1_3gpuE2ELNS1_3repE0EEENS1_30default_config_static_selectorELNS0_4arch9wavefront6targetE1EEEvT1_: ; @_ZN7rocprim17ROCPRIM_400000_NS6detail17trampoline_kernelINS0_14default_configENS1_25transform_config_selectorItLb0EEEZNS1_14transform_implILb0ES3_S5_N6thrust23THRUST_200600_302600_NS6detail15normal_iteratorINS8_10device_ptrItEEEEPtNS0_8identityItEEEE10hipError_tT2_T3_mT4_P12ihipStream_tbEUlT_E_NS1_11comp_targetILNS1_3genE8ELNS1_11target_archE1030ELNS1_3gpuE2ELNS1_3repE0EEENS1_30default_config_static_selectorELNS0_4arch9wavefront6targetE1EEEvT1_
; %bb.0:
	.section	.rodata,"a",@progbits
	.p2align	6, 0x0
	.amdhsa_kernel _ZN7rocprim17ROCPRIM_400000_NS6detail17trampoline_kernelINS0_14default_configENS1_25transform_config_selectorItLb0EEEZNS1_14transform_implILb0ES3_S5_N6thrust23THRUST_200600_302600_NS6detail15normal_iteratorINS8_10device_ptrItEEEEPtNS0_8identityItEEEE10hipError_tT2_T3_mT4_P12ihipStream_tbEUlT_E_NS1_11comp_targetILNS1_3genE8ELNS1_11target_archE1030ELNS1_3gpuE2ELNS1_3repE0EEENS1_30default_config_static_selectorELNS0_4arch9wavefront6targetE1EEEvT1_
		.amdhsa_group_segment_fixed_size 0
		.amdhsa_private_segment_fixed_size 0
		.amdhsa_kernarg_size 40
		.amdhsa_user_sgpr_count 2
		.amdhsa_user_sgpr_dispatch_ptr 0
		.amdhsa_user_sgpr_queue_ptr 0
		.amdhsa_user_sgpr_kernarg_segment_ptr 1
		.amdhsa_user_sgpr_dispatch_id 0
		.amdhsa_user_sgpr_kernarg_preload_length 0
		.amdhsa_user_sgpr_kernarg_preload_offset 0
		.amdhsa_user_sgpr_private_segment_size 0
		.amdhsa_uses_dynamic_stack 0
		.amdhsa_enable_private_segment 0
		.amdhsa_system_sgpr_workgroup_id_x 1
		.amdhsa_system_sgpr_workgroup_id_y 0
		.amdhsa_system_sgpr_workgroup_id_z 0
		.amdhsa_system_sgpr_workgroup_info 0
		.amdhsa_system_vgpr_workitem_id 0
		.amdhsa_next_free_vgpr 1
		.amdhsa_next_free_sgpr 0
		.amdhsa_accum_offset 4
		.amdhsa_reserve_vcc 0
		.amdhsa_float_round_mode_32 0
		.amdhsa_float_round_mode_16_64 0
		.amdhsa_float_denorm_mode_32 3
		.amdhsa_float_denorm_mode_16_64 3
		.amdhsa_dx10_clamp 1
		.amdhsa_ieee_mode 1
		.amdhsa_fp16_overflow 0
		.amdhsa_tg_split 0
		.amdhsa_exception_fp_ieee_invalid_op 0
		.amdhsa_exception_fp_denorm_src 0
		.amdhsa_exception_fp_ieee_div_zero 0
		.amdhsa_exception_fp_ieee_overflow 0
		.amdhsa_exception_fp_ieee_underflow 0
		.amdhsa_exception_fp_ieee_inexact 0
		.amdhsa_exception_int_div_zero 0
	.end_amdhsa_kernel
	.section	.text._ZN7rocprim17ROCPRIM_400000_NS6detail17trampoline_kernelINS0_14default_configENS1_25transform_config_selectorItLb0EEEZNS1_14transform_implILb0ES3_S5_N6thrust23THRUST_200600_302600_NS6detail15normal_iteratorINS8_10device_ptrItEEEEPtNS0_8identityItEEEE10hipError_tT2_T3_mT4_P12ihipStream_tbEUlT_E_NS1_11comp_targetILNS1_3genE8ELNS1_11target_archE1030ELNS1_3gpuE2ELNS1_3repE0EEENS1_30default_config_static_selectorELNS0_4arch9wavefront6targetE1EEEvT1_,"axG",@progbits,_ZN7rocprim17ROCPRIM_400000_NS6detail17trampoline_kernelINS0_14default_configENS1_25transform_config_selectorItLb0EEEZNS1_14transform_implILb0ES3_S5_N6thrust23THRUST_200600_302600_NS6detail15normal_iteratorINS8_10device_ptrItEEEEPtNS0_8identityItEEEE10hipError_tT2_T3_mT4_P12ihipStream_tbEUlT_E_NS1_11comp_targetILNS1_3genE8ELNS1_11target_archE1030ELNS1_3gpuE2ELNS1_3repE0EEENS1_30default_config_static_selectorELNS0_4arch9wavefront6targetE1EEEvT1_,comdat
.Lfunc_end973:
	.size	_ZN7rocprim17ROCPRIM_400000_NS6detail17trampoline_kernelINS0_14default_configENS1_25transform_config_selectorItLb0EEEZNS1_14transform_implILb0ES3_S5_N6thrust23THRUST_200600_302600_NS6detail15normal_iteratorINS8_10device_ptrItEEEEPtNS0_8identityItEEEE10hipError_tT2_T3_mT4_P12ihipStream_tbEUlT_E_NS1_11comp_targetILNS1_3genE8ELNS1_11target_archE1030ELNS1_3gpuE2ELNS1_3repE0EEENS1_30default_config_static_selectorELNS0_4arch9wavefront6targetE1EEEvT1_, .Lfunc_end973-_ZN7rocprim17ROCPRIM_400000_NS6detail17trampoline_kernelINS0_14default_configENS1_25transform_config_selectorItLb0EEEZNS1_14transform_implILb0ES3_S5_N6thrust23THRUST_200600_302600_NS6detail15normal_iteratorINS8_10device_ptrItEEEEPtNS0_8identityItEEEE10hipError_tT2_T3_mT4_P12ihipStream_tbEUlT_E_NS1_11comp_targetILNS1_3genE8ELNS1_11target_archE1030ELNS1_3gpuE2ELNS1_3repE0EEENS1_30default_config_static_selectorELNS0_4arch9wavefront6targetE1EEEvT1_
                                        ; -- End function
	.set _ZN7rocprim17ROCPRIM_400000_NS6detail17trampoline_kernelINS0_14default_configENS1_25transform_config_selectorItLb0EEEZNS1_14transform_implILb0ES3_S5_N6thrust23THRUST_200600_302600_NS6detail15normal_iteratorINS8_10device_ptrItEEEEPtNS0_8identityItEEEE10hipError_tT2_T3_mT4_P12ihipStream_tbEUlT_E_NS1_11comp_targetILNS1_3genE8ELNS1_11target_archE1030ELNS1_3gpuE2ELNS1_3repE0EEENS1_30default_config_static_selectorELNS0_4arch9wavefront6targetE1EEEvT1_.num_vgpr, 0
	.set _ZN7rocprim17ROCPRIM_400000_NS6detail17trampoline_kernelINS0_14default_configENS1_25transform_config_selectorItLb0EEEZNS1_14transform_implILb0ES3_S5_N6thrust23THRUST_200600_302600_NS6detail15normal_iteratorINS8_10device_ptrItEEEEPtNS0_8identityItEEEE10hipError_tT2_T3_mT4_P12ihipStream_tbEUlT_E_NS1_11comp_targetILNS1_3genE8ELNS1_11target_archE1030ELNS1_3gpuE2ELNS1_3repE0EEENS1_30default_config_static_selectorELNS0_4arch9wavefront6targetE1EEEvT1_.num_agpr, 0
	.set _ZN7rocprim17ROCPRIM_400000_NS6detail17trampoline_kernelINS0_14default_configENS1_25transform_config_selectorItLb0EEEZNS1_14transform_implILb0ES3_S5_N6thrust23THRUST_200600_302600_NS6detail15normal_iteratorINS8_10device_ptrItEEEEPtNS0_8identityItEEEE10hipError_tT2_T3_mT4_P12ihipStream_tbEUlT_E_NS1_11comp_targetILNS1_3genE8ELNS1_11target_archE1030ELNS1_3gpuE2ELNS1_3repE0EEENS1_30default_config_static_selectorELNS0_4arch9wavefront6targetE1EEEvT1_.numbered_sgpr, 0
	.set _ZN7rocprim17ROCPRIM_400000_NS6detail17trampoline_kernelINS0_14default_configENS1_25transform_config_selectorItLb0EEEZNS1_14transform_implILb0ES3_S5_N6thrust23THRUST_200600_302600_NS6detail15normal_iteratorINS8_10device_ptrItEEEEPtNS0_8identityItEEEE10hipError_tT2_T3_mT4_P12ihipStream_tbEUlT_E_NS1_11comp_targetILNS1_3genE8ELNS1_11target_archE1030ELNS1_3gpuE2ELNS1_3repE0EEENS1_30default_config_static_selectorELNS0_4arch9wavefront6targetE1EEEvT1_.num_named_barrier, 0
	.set _ZN7rocprim17ROCPRIM_400000_NS6detail17trampoline_kernelINS0_14default_configENS1_25transform_config_selectorItLb0EEEZNS1_14transform_implILb0ES3_S5_N6thrust23THRUST_200600_302600_NS6detail15normal_iteratorINS8_10device_ptrItEEEEPtNS0_8identityItEEEE10hipError_tT2_T3_mT4_P12ihipStream_tbEUlT_E_NS1_11comp_targetILNS1_3genE8ELNS1_11target_archE1030ELNS1_3gpuE2ELNS1_3repE0EEENS1_30default_config_static_selectorELNS0_4arch9wavefront6targetE1EEEvT1_.private_seg_size, 0
	.set _ZN7rocprim17ROCPRIM_400000_NS6detail17trampoline_kernelINS0_14default_configENS1_25transform_config_selectorItLb0EEEZNS1_14transform_implILb0ES3_S5_N6thrust23THRUST_200600_302600_NS6detail15normal_iteratorINS8_10device_ptrItEEEEPtNS0_8identityItEEEE10hipError_tT2_T3_mT4_P12ihipStream_tbEUlT_E_NS1_11comp_targetILNS1_3genE8ELNS1_11target_archE1030ELNS1_3gpuE2ELNS1_3repE0EEENS1_30default_config_static_selectorELNS0_4arch9wavefront6targetE1EEEvT1_.uses_vcc, 0
	.set _ZN7rocprim17ROCPRIM_400000_NS6detail17trampoline_kernelINS0_14default_configENS1_25transform_config_selectorItLb0EEEZNS1_14transform_implILb0ES3_S5_N6thrust23THRUST_200600_302600_NS6detail15normal_iteratorINS8_10device_ptrItEEEEPtNS0_8identityItEEEE10hipError_tT2_T3_mT4_P12ihipStream_tbEUlT_E_NS1_11comp_targetILNS1_3genE8ELNS1_11target_archE1030ELNS1_3gpuE2ELNS1_3repE0EEENS1_30default_config_static_selectorELNS0_4arch9wavefront6targetE1EEEvT1_.uses_flat_scratch, 0
	.set _ZN7rocprim17ROCPRIM_400000_NS6detail17trampoline_kernelINS0_14default_configENS1_25transform_config_selectorItLb0EEEZNS1_14transform_implILb0ES3_S5_N6thrust23THRUST_200600_302600_NS6detail15normal_iteratorINS8_10device_ptrItEEEEPtNS0_8identityItEEEE10hipError_tT2_T3_mT4_P12ihipStream_tbEUlT_E_NS1_11comp_targetILNS1_3genE8ELNS1_11target_archE1030ELNS1_3gpuE2ELNS1_3repE0EEENS1_30default_config_static_selectorELNS0_4arch9wavefront6targetE1EEEvT1_.has_dyn_sized_stack, 0
	.set _ZN7rocprim17ROCPRIM_400000_NS6detail17trampoline_kernelINS0_14default_configENS1_25transform_config_selectorItLb0EEEZNS1_14transform_implILb0ES3_S5_N6thrust23THRUST_200600_302600_NS6detail15normal_iteratorINS8_10device_ptrItEEEEPtNS0_8identityItEEEE10hipError_tT2_T3_mT4_P12ihipStream_tbEUlT_E_NS1_11comp_targetILNS1_3genE8ELNS1_11target_archE1030ELNS1_3gpuE2ELNS1_3repE0EEENS1_30default_config_static_selectorELNS0_4arch9wavefront6targetE1EEEvT1_.has_recursion, 0
	.set _ZN7rocprim17ROCPRIM_400000_NS6detail17trampoline_kernelINS0_14default_configENS1_25transform_config_selectorItLb0EEEZNS1_14transform_implILb0ES3_S5_N6thrust23THRUST_200600_302600_NS6detail15normal_iteratorINS8_10device_ptrItEEEEPtNS0_8identityItEEEE10hipError_tT2_T3_mT4_P12ihipStream_tbEUlT_E_NS1_11comp_targetILNS1_3genE8ELNS1_11target_archE1030ELNS1_3gpuE2ELNS1_3repE0EEENS1_30default_config_static_selectorELNS0_4arch9wavefront6targetE1EEEvT1_.has_indirect_call, 0
	.section	.AMDGPU.csdata,"",@progbits
; Kernel info:
; codeLenInByte = 0
; TotalNumSgprs: 6
; NumVgprs: 0
; NumAgprs: 0
; TotalNumVgprs: 0
; ScratchSize: 0
; MemoryBound: 0
; FloatMode: 240
; IeeeMode: 1
; LDSByteSize: 0 bytes/workgroup (compile time only)
; SGPRBlocks: 0
; VGPRBlocks: 0
; NumSGPRsForWavesPerEU: 6
; NumVGPRsForWavesPerEU: 1
; AccumOffset: 4
; Occupancy: 8
; WaveLimiterHint : 0
; COMPUTE_PGM_RSRC2:SCRATCH_EN: 0
; COMPUTE_PGM_RSRC2:USER_SGPR: 2
; COMPUTE_PGM_RSRC2:TRAP_HANDLER: 0
; COMPUTE_PGM_RSRC2:TGID_X_EN: 1
; COMPUTE_PGM_RSRC2:TGID_Y_EN: 0
; COMPUTE_PGM_RSRC2:TGID_Z_EN: 0
; COMPUTE_PGM_RSRC2:TIDIG_COMP_CNT: 0
; COMPUTE_PGM_RSRC3_GFX90A:ACCUM_OFFSET: 0
; COMPUTE_PGM_RSRC3_GFX90A:TG_SPLIT: 0
	.section	.text._ZN7rocprim17ROCPRIM_400000_NS6detail17trampoline_kernelINS0_14default_configENS1_35radix_sort_onesweep_config_selectorIttEEZZNS1_29radix_sort_onesweep_iterationIS3_Lb0EN6thrust23THRUST_200600_302600_NS6detail15normal_iteratorINS8_10device_ptrItEEEESD_SD_SD_jNS0_19identity_decomposerENS1_16block_id_wrapperIjLb1EEEEE10hipError_tT1_PNSt15iterator_traitsISI_E10value_typeET2_T3_PNSJ_ISO_E10value_typeET4_T5_PST_SU_PNS1_23onesweep_lookback_stateEbbT6_jjT7_P12ihipStream_tbENKUlT_T0_SI_SN_E_clISD_SD_SD_SD_EEDaS11_S12_SI_SN_EUlS11_E_NS1_11comp_targetILNS1_3genE0ELNS1_11target_archE4294967295ELNS1_3gpuE0ELNS1_3repE0EEENS1_47radix_sort_onesweep_sort_config_static_selectorELNS0_4arch9wavefront6targetE1EEEvSI_,"axG",@progbits,_ZN7rocprim17ROCPRIM_400000_NS6detail17trampoline_kernelINS0_14default_configENS1_35radix_sort_onesweep_config_selectorIttEEZZNS1_29radix_sort_onesweep_iterationIS3_Lb0EN6thrust23THRUST_200600_302600_NS6detail15normal_iteratorINS8_10device_ptrItEEEESD_SD_SD_jNS0_19identity_decomposerENS1_16block_id_wrapperIjLb1EEEEE10hipError_tT1_PNSt15iterator_traitsISI_E10value_typeET2_T3_PNSJ_ISO_E10value_typeET4_T5_PST_SU_PNS1_23onesweep_lookback_stateEbbT6_jjT7_P12ihipStream_tbENKUlT_T0_SI_SN_E_clISD_SD_SD_SD_EEDaS11_S12_SI_SN_EUlS11_E_NS1_11comp_targetILNS1_3genE0ELNS1_11target_archE4294967295ELNS1_3gpuE0ELNS1_3repE0EEENS1_47radix_sort_onesweep_sort_config_static_selectorELNS0_4arch9wavefront6targetE1EEEvSI_,comdat
	.protected	_ZN7rocprim17ROCPRIM_400000_NS6detail17trampoline_kernelINS0_14default_configENS1_35radix_sort_onesweep_config_selectorIttEEZZNS1_29radix_sort_onesweep_iterationIS3_Lb0EN6thrust23THRUST_200600_302600_NS6detail15normal_iteratorINS8_10device_ptrItEEEESD_SD_SD_jNS0_19identity_decomposerENS1_16block_id_wrapperIjLb1EEEEE10hipError_tT1_PNSt15iterator_traitsISI_E10value_typeET2_T3_PNSJ_ISO_E10value_typeET4_T5_PST_SU_PNS1_23onesweep_lookback_stateEbbT6_jjT7_P12ihipStream_tbENKUlT_T0_SI_SN_E_clISD_SD_SD_SD_EEDaS11_S12_SI_SN_EUlS11_E_NS1_11comp_targetILNS1_3genE0ELNS1_11target_archE4294967295ELNS1_3gpuE0ELNS1_3repE0EEENS1_47radix_sort_onesweep_sort_config_static_selectorELNS0_4arch9wavefront6targetE1EEEvSI_ ; -- Begin function _ZN7rocprim17ROCPRIM_400000_NS6detail17trampoline_kernelINS0_14default_configENS1_35radix_sort_onesweep_config_selectorIttEEZZNS1_29radix_sort_onesweep_iterationIS3_Lb0EN6thrust23THRUST_200600_302600_NS6detail15normal_iteratorINS8_10device_ptrItEEEESD_SD_SD_jNS0_19identity_decomposerENS1_16block_id_wrapperIjLb1EEEEE10hipError_tT1_PNSt15iterator_traitsISI_E10value_typeET2_T3_PNSJ_ISO_E10value_typeET4_T5_PST_SU_PNS1_23onesweep_lookback_stateEbbT6_jjT7_P12ihipStream_tbENKUlT_T0_SI_SN_E_clISD_SD_SD_SD_EEDaS11_S12_SI_SN_EUlS11_E_NS1_11comp_targetILNS1_3genE0ELNS1_11target_archE4294967295ELNS1_3gpuE0ELNS1_3repE0EEENS1_47radix_sort_onesweep_sort_config_static_selectorELNS0_4arch9wavefront6targetE1EEEvSI_
	.globl	_ZN7rocprim17ROCPRIM_400000_NS6detail17trampoline_kernelINS0_14default_configENS1_35radix_sort_onesweep_config_selectorIttEEZZNS1_29radix_sort_onesweep_iterationIS3_Lb0EN6thrust23THRUST_200600_302600_NS6detail15normal_iteratorINS8_10device_ptrItEEEESD_SD_SD_jNS0_19identity_decomposerENS1_16block_id_wrapperIjLb1EEEEE10hipError_tT1_PNSt15iterator_traitsISI_E10value_typeET2_T3_PNSJ_ISO_E10value_typeET4_T5_PST_SU_PNS1_23onesweep_lookback_stateEbbT6_jjT7_P12ihipStream_tbENKUlT_T0_SI_SN_E_clISD_SD_SD_SD_EEDaS11_S12_SI_SN_EUlS11_E_NS1_11comp_targetILNS1_3genE0ELNS1_11target_archE4294967295ELNS1_3gpuE0ELNS1_3repE0EEENS1_47radix_sort_onesweep_sort_config_static_selectorELNS0_4arch9wavefront6targetE1EEEvSI_
	.p2align	8
	.type	_ZN7rocprim17ROCPRIM_400000_NS6detail17trampoline_kernelINS0_14default_configENS1_35radix_sort_onesweep_config_selectorIttEEZZNS1_29radix_sort_onesweep_iterationIS3_Lb0EN6thrust23THRUST_200600_302600_NS6detail15normal_iteratorINS8_10device_ptrItEEEESD_SD_SD_jNS0_19identity_decomposerENS1_16block_id_wrapperIjLb1EEEEE10hipError_tT1_PNSt15iterator_traitsISI_E10value_typeET2_T3_PNSJ_ISO_E10value_typeET4_T5_PST_SU_PNS1_23onesweep_lookback_stateEbbT6_jjT7_P12ihipStream_tbENKUlT_T0_SI_SN_E_clISD_SD_SD_SD_EEDaS11_S12_SI_SN_EUlS11_E_NS1_11comp_targetILNS1_3genE0ELNS1_11target_archE4294967295ELNS1_3gpuE0ELNS1_3repE0EEENS1_47radix_sort_onesweep_sort_config_static_selectorELNS0_4arch9wavefront6targetE1EEEvSI_,@function
_ZN7rocprim17ROCPRIM_400000_NS6detail17trampoline_kernelINS0_14default_configENS1_35radix_sort_onesweep_config_selectorIttEEZZNS1_29radix_sort_onesweep_iterationIS3_Lb0EN6thrust23THRUST_200600_302600_NS6detail15normal_iteratorINS8_10device_ptrItEEEESD_SD_SD_jNS0_19identity_decomposerENS1_16block_id_wrapperIjLb1EEEEE10hipError_tT1_PNSt15iterator_traitsISI_E10value_typeET2_T3_PNSJ_ISO_E10value_typeET4_T5_PST_SU_PNS1_23onesweep_lookback_stateEbbT6_jjT7_P12ihipStream_tbENKUlT_T0_SI_SN_E_clISD_SD_SD_SD_EEDaS11_S12_SI_SN_EUlS11_E_NS1_11comp_targetILNS1_3genE0ELNS1_11target_archE4294967295ELNS1_3gpuE0ELNS1_3repE0EEENS1_47radix_sort_onesweep_sort_config_static_selectorELNS0_4arch9wavefront6targetE1EEEvSI_: ; @_ZN7rocprim17ROCPRIM_400000_NS6detail17trampoline_kernelINS0_14default_configENS1_35radix_sort_onesweep_config_selectorIttEEZZNS1_29radix_sort_onesweep_iterationIS3_Lb0EN6thrust23THRUST_200600_302600_NS6detail15normal_iteratorINS8_10device_ptrItEEEESD_SD_SD_jNS0_19identity_decomposerENS1_16block_id_wrapperIjLb1EEEEE10hipError_tT1_PNSt15iterator_traitsISI_E10value_typeET2_T3_PNSJ_ISO_E10value_typeET4_T5_PST_SU_PNS1_23onesweep_lookback_stateEbbT6_jjT7_P12ihipStream_tbENKUlT_T0_SI_SN_E_clISD_SD_SD_SD_EEDaS11_S12_SI_SN_EUlS11_E_NS1_11comp_targetILNS1_3genE0ELNS1_11target_archE4294967295ELNS1_3gpuE0ELNS1_3repE0EEENS1_47radix_sort_onesweep_sort_config_static_selectorELNS0_4arch9wavefront6targetE1EEEvSI_
; %bb.0:
	.section	.rodata,"a",@progbits
	.p2align	6, 0x0
	.amdhsa_kernel _ZN7rocprim17ROCPRIM_400000_NS6detail17trampoline_kernelINS0_14default_configENS1_35radix_sort_onesweep_config_selectorIttEEZZNS1_29radix_sort_onesweep_iterationIS3_Lb0EN6thrust23THRUST_200600_302600_NS6detail15normal_iteratorINS8_10device_ptrItEEEESD_SD_SD_jNS0_19identity_decomposerENS1_16block_id_wrapperIjLb1EEEEE10hipError_tT1_PNSt15iterator_traitsISI_E10value_typeET2_T3_PNSJ_ISO_E10value_typeET4_T5_PST_SU_PNS1_23onesweep_lookback_stateEbbT6_jjT7_P12ihipStream_tbENKUlT_T0_SI_SN_E_clISD_SD_SD_SD_EEDaS11_S12_SI_SN_EUlS11_E_NS1_11comp_targetILNS1_3genE0ELNS1_11target_archE4294967295ELNS1_3gpuE0ELNS1_3repE0EEENS1_47radix_sort_onesweep_sort_config_static_selectorELNS0_4arch9wavefront6targetE1EEEvSI_
		.amdhsa_group_segment_fixed_size 0
		.amdhsa_private_segment_fixed_size 0
		.amdhsa_kernarg_size 88
		.amdhsa_user_sgpr_count 2
		.amdhsa_user_sgpr_dispatch_ptr 0
		.amdhsa_user_sgpr_queue_ptr 0
		.amdhsa_user_sgpr_kernarg_segment_ptr 1
		.amdhsa_user_sgpr_dispatch_id 0
		.amdhsa_user_sgpr_kernarg_preload_length 0
		.amdhsa_user_sgpr_kernarg_preload_offset 0
		.amdhsa_user_sgpr_private_segment_size 0
		.amdhsa_uses_dynamic_stack 0
		.amdhsa_enable_private_segment 0
		.amdhsa_system_sgpr_workgroup_id_x 1
		.amdhsa_system_sgpr_workgroup_id_y 0
		.amdhsa_system_sgpr_workgroup_id_z 0
		.amdhsa_system_sgpr_workgroup_info 0
		.amdhsa_system_vgpr_workitem_id 0
		.amdhsa_next_free_vgpr 1
		.amdhsa_next_free_sgpr 0
		.amdhsa_accum_offset 4
		.amdhsa_reserve_vcc 0
		.amdhsa_float_round_mode_32 0
		.amdhsa_float_round_mode_16_64 0
		.amdhsa_float_denorm_mode_32 3
		.amdhsa_float_denorm_mode_16_64 3
		.amdhsa_dx10_clamp 1
		.amdhsa_ieee_mode 1
		.amdhsa_fp16_overflow 0
		.amdhsa_tg_split 0
		.amdhsa_exception_fp_ieee_invalid_op 0
		.amdhsa_exception_fp_denorm_src 0
		.amdhsa_exception_fp_ieee_div_zero 0
		.amdhsa_exception_fp_ieee_overflow 0
		.amdhsa_exception_fp_ieee_underflow 0
		.amdhsa_exception_fp_ieee_inexact 0
		.amdhsa_exception_int_div_zero 0
	.end_amdhsa_kernel
	.section	.text._ZN7rocprim17ROCPRIM_400000_NS6detail17trampoline_kernelINS0_14default_configENS1_35radix_sort_onesweep_config_selectorIttEEZZNS1_29radix_sort_onesweep_iterationIS3_Lb0EN6thrust23THRUST_200600_302600_NS6detail15normal_iteratorINS8_10device_ptrItEEEESD_SD_SD_jNS0_19identity_decomposerENS1_16block_id_wrapperIjLb1EEEEE10hipError_tT1_PNSt15iterator_traitsISI_E10value_typeET2_T3_PNSJ_ISO_E10value_typeET4_T5_PST_SU_PNS1_23onesweep_lookback_stateEbbT6_jjT7_P12ihipStream_tbENKUlT_T0_SI_SN_E_clISD_SD_SD_SD_EEDaS11_S12_SI_SN_EUlS11_E_NS1_11comp_targetILNS1_3genE0ELNS1_11target_archE4294967295ELNS1_3gpuE0ELNS1_3repE0EEENS1_47radix_sort_onesweep_sort_config_static_selectorELNS0_4arch9wavefront6targetE1EEEvSI_,"axG",@progbits,_ZN7rocprim17ROCPRIM_400000_NS6detail17trampoline_kernelINS0_14default_configENS1_35radix_sort_onesweep_config_selectorIttEEZZNS1_29radix_sort_onesweep_iterationIS3_Lb0EN6thrust23THRUST_200600_302600_NS6detail15normal_iteratorINS8_10device_ptrItEEEESD_SD_SD_jNS0_19identity_decomposerENS1_16block_id_wrapperIjLb1EEEEE10hipError_tT1_PNSt15iterator_traitsISI_E10value_typeET2_T3_PNSJ_ISO_E10value_typeET4_T5_PST_SU_PNS1_23onesweep_lookback_stateEbbT6_jjT7_P12ihipStream_tbENKUlT_T0_SI_SN_E_clISD_SD_SD_SD_EEDaS11_S12_SI_SN_EUlS11_E_NS1_11comp_targetILNS1_3genE0ELNS1_11target_archE4294967295ELNS1_3gpuE0ELNS1_3repE0EEENS1_47radix_sort_onesweep_sort_config_static_selectorELNS0_4arch9wavefront6targetE1EEEvSI_,comdat
.Lfunc_end974:
	.size	_ZN7rocprim17ROCPRIM_400000_NS6detail17trampoline_kernelINS0_14default_configENS1_35radix_sort_onesweep_config_selectorIttEEZZNS1_29radix_sort_onesweep_iterationIS3_Lb0EN6thrust23THRUST_200600_302600_NS6detail15normal_iteratorINS8_10device_ptrItEEEESD_SD_SD_jNS0_19identity_decomposerENS1_16block_id_wrapperIjLb1EEEEE10hipError_tT1_PNSt15iterator_traitsISI_E10value_typeET2_T3_PNSJ_ISO_E10value_typeET4_T5_PST_SU_PNS1_23onesweep_lookback_stateEbbT6_jjT7_P12ihipStream_tbENKUlT_T0_SI_SN_E_clISD_SD_SD_SD_EEDaS11_S12_SI_SN_EUlS11_E_NS1_11comp_targetILNS1_3genE0ELNS1_11target_archE4294967295ELNS1_3gpuE0ELNS1_3repE0EEENS1_47radix_sort_onesweep_sort_config_static_selectorELNS0_4arch9wavefront6targetE1EEEvSI_, .Lfunc_end974-_ZN7rocprim17ROCPRIM_400000_NS6detail17trampoline_kernelINS0_14default_configENS1_35radix_sort_onesweep_config_selectorIttEEZZNS1_29radix_sort_onesweep_iterationIS3_Lb0EN6thrust23THRUST_200600_302600_NS6detail15normal_iteratorINS8_10device_ptrItEEEESD_SD_SD_jNS0_19identity_decomposerENS1_16block_id_wrapperIjLb1EEEEE10hipError_tT1_PNSt15iterator_traitsISI_E10value_typeET2_T3_PNSJ_ISO_E10value_typeET4_T5_PST_SU_PNS1_23onesweep_lookback_stateEbbT6_jjT7_P12ihipStream_tbENKUlT_T0_SI_SN_E_clISD_SD_SD_SD_EEDaS11_S12_SI_SN_EUlS11_E_NS1_11comp_targetILNS1_3genE0ELNS1_11target_archE4294967295ELNS1_3gpuE0ELNS1_3repE0EEENS1_47radix_sort_onesweep_sort_config_static_selectorELNS0_4arch9wavefront6targetE1EEEvSI_
                                        ; -- End function
	.set _ZN7rocprim17ROCPRIM_400000_NS6detail17trampoline_kernelINS0_14default_configENS1_35radix_sort_onesweep_config_selectorIttEEZZNS1_29radix_sort_onesweep_iterationIS3_Lb0EN6thrust23THRUST_200600_302600_NS6detail15normal_iteratorINS8_10device_ptrItEEEESD_SD_SD_jNS0_19identity_decomposerENS1_16block_id_wrapperIjLb1EEEEE10hipError_tT1_PNSt15iterator_traitsISI_E10value_typeET2_T3_PNSJ_ISO_E10value_typeET4_T5_PST_SU_PNS1_23onesweep_lookback_stateEbbT6_jjT7_P12ihipStream_tbENKUlT_T0_SI_SN_E_clISD_SD_SD_SD_EEDaS11_S12_SI_SN_EUlS11_E_NS1_11comp_targetILNS1_3genE0ELNS1_11target_archE4294967295ELNS1_3gpuE0ELNS1_3repE0EEENS1_47radix_sort_onesweep_sort_config_static_selectorELNS0_4arch9wavefront6targetE1EEEvSI_.num_vgpr, 0
	.set _ZN7rocprim17ROCPRIM_400000_NS6detail17trampoline_kernelINS0_14default_configENS1_35radix_sort_onesweep_config_selectorIttEEZZNS1_29radix_sort_onesweep_iterationIS3_Lb0EN6thrust23THRUST_200600_302600_NS6detail15normal_iteratorINS8_10device_ptrItEEEESD_SD_SD_jNS0_19identity_decomposerENS1_16block_id_wrapperIjLb1EEEEE10hipError_tT1_PNSt15iterator_traitsISI_E10value_typeET2_T3_PNSJ_ISO_E10value_typeET4_T5_PST_SU_PNS1_23onesweep_lookback_stateEbbT6_jjT7_P12ihipStream_tbENKUlT_T0_SI_SN_E_clISD_SD_SD_SD_EEDaS11_S12_SI_SN_EUlS11_E_NS1_11comp_targetILNS1_3genE0ELNS1_11target_archE4294967295ELNS1_3gpuE0ELNS1_3repE0EEENS1_47radix_sort_onesweep_sort_config_static_selectorELNS0_4arch9wavefront6targetE1EEEvSI_.num_agpr, 0
	.set _ZN7rocprim17ROCPRIM_400000_NS6detail17trampoline_kernelINS0_14default_configENS1_35radix_sort_onesweep_config_selectorIttEEZZNS1_29radix_sort_onesweep_iterationIS3_Lb0EN6thrust23THRUST_200600_302600_NS6detail15normal_iteratorINS8_10device_ptrItEEEESD_SD_SD_jNS0_19identity_decomposerENS1_16block_id_wrapperIjLb1EEEEE10hipError_tT1_PNSt15iterator_traitsISI_E10value_typeET2_T3_PNSJ_ISO_E10value_typeET4_T5_PST_SU_PNS1_23onesweep_lookback_stateEbbT6_jjT7_P12ihipStream_tbENKUlT_T0_SI_SN_E_clISD_SD_SD_SD_EEDaS11_S12_SI_SN_EUlS11_E_NS1_11comp_targetILNS1_3genE0ELNS1_11target_archE4294967295ELNS1_3gpuE0ELNS1_3repE0EEENS1_47radix_sort_onesweep_sort_config_static_selectorELNS0_4arch9wavefront6targetE1EEEvSI_.numbered_sgpr, 0
	.set _ZN7rocprim17ROCPRIM_400000_NS6detail17trampoline_kernelINS0_14default_configENS1_35radix_sort_onesweep_config_selectorIttEEZZNS1_29radix_sort_onesweep_iterationIS3_Lb0EN6thrust23THRUST_200600_302600_NS6detail15normal_iteratorINS8_10device_ptrItEEEESD_SD_SD_jNS0_19identity_decomposerENS1_16block_id_wrapperIjLb1EEEEE10hipError_tT1_PNSt15iterator_traitsISI_E10value_typeET2_T3_PNSJ_ISO_E10value_typeET4_T5_PST_SU_PNS1_23onesweep_lookback_stateEbbT6_jjT7_P12ihipStream_tbENKUlT_T0_SI_SN_E_clISD_SD_SD_SD_EEDaS11_S12_SI_SN_EUlS11_E_NS1_11comp_targetILNS1_3genE0ELNS1_11target_archE4294967295ELNS1_3gpuE0ELNS1_3repE0EEENS1_47radix_sort_onesweep_sort_config_static_selectorELNS0_4arch9wavefront6targetE1EEEvSI_.num_named_barrier, 0
	.set _ZN7rocprim17ROCPRIM_400000_NS6detail17trampoline_kernelINS0_14default_configENS1_35radix_sort_onesweep_config_selectorIttEEZZNS1_29radix_sort_onesweep_iterationIS3_Lb0EN6thrust23THRUST_200600_302600_NS6detail15normal_iteratorINS8_10device_ptrItEEEESD_SD_SD_jNS0_19identity_decomposerENS1_16block_id_wrapperIjLb1EEEEE10hipError_tT1_PNSt15iterator_traitsISI_E10value_typeET2_T3_PNSJ_ISO_E10value_typeET4_T5_PST_SU_PNS1_23onesweep_lookback_stateEbbT6_jjT7_P12ihipStream_tbENKUlT_T0_SI_SN_E_clISD_SD_SD_SD_EEDaS11_S12_SI_SN_EUlS11_E_NS1_11comp_targetILNS1_3genE0ELNS1_11target_archE4294967295ELNS1_3gpuE0ELNS1_3repE0EEENS1_47radix_sort_onesweep_sort_config_static_selectorELNS0_4arch9wavefront6targetE1EEEvSI_.private_seg_size, 0
	.set _ZN7rocprim17ROCPRIM_400000_NS6detail17trampoline_kernelINS0_14default_configENS1_35radix_sort_onesweep_config_selectorIttEEZZNS1_29radix_sort_onesweep_iterationIS3_Lb0EN6thrust23THRUST_200600_302600_NS6detail15normal_iteratorINS8_10device_ptrItEEEESD_SD_SD_jNS0_19identity_decomposerENS1_16block_id_wrapperIjLb1EEEEE10hipError_tT1_PNSt15iterator_traitsISI_E10value_typeET2_T3_PNSJ_ISO_E10value_typeET4_T5_PST_SU_PNS1_23onesweep_lookback_stateEbbT6_jjT7_P12ihipStream_tbENKUlT_T0_SI_SN_E_clISD_SD_SD_SD_EEDaS11_S12_SI_SN_EUlS11_E_NS1_11comp_targetILNS1_3genE0ELNS1_11target_archE4294967295ELNS1_3gpuE0ELNS1_3repE0EEENS1_47radix_sort_onesweep_sort_config_static_selectorELNS0_4arch9wavefront6targetE1EEEvSI_.uses_vcc, 0
	.set _ZN7rocprim17ROCPRIM_400000_NS6detail17trampoline_kernelINS0_14default_configENS1_35radix_sort_onesweep_config_selectorIttEEZZNS1_29radix_sort_onesweep_iterationIS3_Lb0EN6thrust23THRUST_200600_302600_NS6detail15normal_iteratorINS8_10device_ptrItEEEESD_SD_SD_jNS0_19identity_decomposerENS1_16block_id_wrapperIjLb1EEEEE10hipError_tT1_PNSt15iterator_traitsISI_E10value_typeET2_T3_PNSJ_ISO_E10value_typeET4_T5_PST_SU_PNS1_23onesweep_lookback_stateEbbT6_jjT7_P12ihipStream_tbENKUlT_T0_SI_SN_E_clISD_SD_SD_SD_EEDaS11_S12_SI_SN_EUlS11_E_NS1_11comp_targetILNS1_3genE0ELNS1_11target_archE4294967295ELNS1_3gpuE0ELNS1_3repE0EEENS1_47radix_sort_onesweep_sort_config_static_selectorELNS0_4arch9wavefront6targetE1EEEvSI_.uses_flat_scratch, 0
	.set _ZN7rocprim17ROCPRIM_400000_NS6detail17trampoline_kernelINS0_14default_configENS1_35radix_sort_onesweep_config_selectorIttEEZZNS1_29radix_sort_onesweep_iterationIS3_Lb0EN6thrust23THRUST_200600_302600_NS6detail15normal_iteratorINS8_10device_ptrItEEEESD_SD_SD_jNS0_19identity_decomposerENS1_16block_id_wrapperIjLb1EEEEE10hipError_tT1_PNSt15iterator_traitsISI_E10value_typeET2_T3_PNSJ_ISO_E10value_typeET4_T5_PST_SU_PNS1_23onesweep_lookback_stateEbbT6_jjT7_P12ihipStream_tbENKUlT_T0_SI_SN_E_clISD_SD_SD_SD_EEDaS11_S12_SI_SN_EUlS11_E_NS1_11comp_targetILNS1_3genE0ELNS1_11target_archE4294967295ELNS1_3gpuE0ELNS1_3repE0EEENS1_47radix_sort_onesweep_sort_config_static_selectorELNS0_4arch9wavefront6targetE1EEEvSI_.has_dyn_sized_stack, 0
	.set _ZN7rocprim17ROCPRIM_400000_NS6detail17trampoline_kernelINS0_14default_configENS1_35radix_sort_onesweep_config_selectorIttEEZZNS1_29radix_sort_onesweep_iterationIS3_Lb0EN6thrust23THRUST_200600_302600_NS6detail15normal_iteratorINS8_10device_ptrItEEEESD_SD_SD_jNS0_19identity_decomposerENS1_16block_id_wrapperIjLb1EEEEE10hipError_tT1_PNSt15iterator_traitsISI_E10value_typeET2_T3_PNSJ_ISO_E10value_typeET4_T5_PST_SU_PNS1_23onesweep_lookback_stateEbbT6_jjT7_P12ihipStream_tbENKUlT_T0_SI_SN_E_clISD_SD_SD_SD_EEDaS11_S12_SI_SN_EUlS11_E_NS1_11comp_targetILNS1_3genE0ELNS1_11target_archE4294967295ELNS1_3gpuE0ELNS1_3repE0EEENS1_47radix_sort_onesweep_sort_config_static_selectorELNS0_4arch9wavefront6targetE1EEEvSI_.has_recursion, 0
	.set _ZN7rocprim17ROCPRIM_400000_NS6detail17trampoline_kernelINS0_14default_configENS1_35radix_sort_onesweep_config_selectorIttEEZZNS1_29radix_sort_onesweep_iterationIS3_Lb0EN6thrust23THRUST_200600_302600_NS6detail15normal_iteratorINS8_10device_ptrItEEEESD_SD_SD_jNS0_19identity_decomposerENS1_16block_id_wrapperIjLb1EEEEE10hipError_tT1_PNSt15iterator_traitsISI_E10value_typeET2_T3_PNSJ_ISO_E10value_typeET4_T5_PST_SU_PNS1_23onesweep_lookback_stateEbbT6_jjT7_P12ihipStream_tbENKUlT_T0_SI_SN_E_clISD_SD_SD_SD_EEDaS11_S12_SI_SN_EUlS11_E_NS1_11comp_targetILNS1_3genE0ELNS1_11target_archE4294967295ELNS1_3gpuE0ELNS1_3repE0EEENS1_47radix_sort_onesweep_sort_config_static_selectorELNS0_4arch9wavefront6targetE1EEEvSI_.has_indirect_call, 0
	.section	.AMDGPU.csdata,"",@progbits
; Kernel info:
; codeLenInByte = 0
; TotalNumSgprs: 6
; NumVgprs: 0
; NumAgprs: 0
; TotalNumVgprs: 0
; ScratchSize: 0
; MemoryBound: 0
; FloatMode: 240
; IeeeMode: 1
; LDSByteSize: 0 bytes/workgroup (compile time only)
; SGPRBlocks: 0
; VGPRBlocks: 0
; NumSGPRsForWavesPerEU: 6
; NumVGPRsForWavesPerEU: 1
; AccumOffset: 4
; Occupancy: 8
; WaveLimiterHint : 0
; COMPUTE_PGM_RSRC2:SCRATCH_EN: 0
; COMPUTE_PGM_RSRC2:USER_SGPR: 2
; COMPUTE_PGM_RSRC2:TRAP_HANDLER: 0
; COMPUTE_PGM_RSRC2:TGID_X_EN: 1
; COMPUTE_PGM_RSRC2:TGID_Y_EN: 0
; COMPUTE_PGM_RSRC2:TGID_Z_EN: 0
; COMPUTE_PGM_RSRC2:TIDIG_COMP_CNT: 0
; COMPUTE_PGM_RSRC3_GFX90A:ACCUM_OFFSET: 0
; COMPUTE_PGM_RSRC3_GFX90A:TG_SPLIT: 0
	.section	.text._ZN7rocprim17ROCPRIM_400000_NS6detail17trampoline_kernelINS0_14default_configENS1_35radix_sort_onesweep_config_selectorIttEEZZNS1_29radix_sort_onesweep_iterationIS3_Lb0EN6thrust23THRUST_200600_302600_NS6detail15normal_iteratorINS8_10device_ptrItEEEESD_SD_SD_jNS0_19identity_decomposerENS1_16block_id_wrapperIjLb1EEEEE10hipError_tT1_PNSt15iterator_traitsISI_E10value_typeET2_T3_PNSJ_ISO_E10value_typeET4_T5_PST_SU_PNS1_23onesweep_lookback_stateEbbT6_jjT7_P12ihipStream_tbENKUlT_T0_SI_SN_E_clISD_SD_SD_SD_EEDaS11_S12_SI_SN_EUlS11_E_NS1_11comp_targetILNS1_3genE6ELNS1_11target_archE950ELNS1_3gpuE13ELNS1_3repE0EEENS1_47radix_sort_onesweep_sort_config_static_selectorELNS0_4arch9wavefront6targetE1EEEvSI_,"axG",@progbits,_ZN7rocprim17ROCPRIM_400000_NS6detail17trampoline_kernelINS0_14default_configENS1_35radix_sort_onesweep_config_selectorIttEEZZNS1_29radix_sort_onesweep_iterationIS3_Lb0EN6thrust23THRUST_200600_302600_NS6detail15normal_iteratorINS8_10device_ptrItEEEESD_SD_SD_jNS0_19identity_decomposerENS1_16block_id_wrapperIjLb1EEEEE10hipError_tT1_PNSt15iterator_traitsISI_E10value_typeET2_T3_PNSJ_ISO_E10value_typeET4_T5_PST_SU_PNS1_23onesweep_lookback_stateEbbT6_jjT7_P12ihipStream_tbENKUlT_T0_SI_SN_E_clISD_SD_SD_SD_EEDaS11_S12_SI_SN_EUlS11_E_NS1_11comp_targetILNS1_3genE6ELNS1_11target_archE950ELNS1_3gpuE13ELNS1_3repE0EEENS1_47radix_sort_onesweep_sort_config_static_selectorELNS0_4arch9wavefront6targetE1EEEvSI_,comdat
	.protected	_ZN7rocprim17ROCPRIM_400000_NS6detail17trampoline_kernelINS0_14default_configENS1_35radix_sort_onesweep_config_selectorIttEEZZNS1_29radix_sort_onesweep_iterationIS3_Lb0EN6thrust23THRUST_200600_302600_NS6detail15normal_iteratorINS8_10device_ptrItEEEESD_SD_SD_jNS0_19identity_decomposerENS1_16block_id_wrapperIjLb1EEEEE10hipError_tT1_PNSt15iterator_traitsISI_E10value_typeET2_T3_PNSJ_ISO_E10value_typeET4_T5_PST_SU_PNS1_23onesweep_lookback_stateEbbT6_jjT7_P12ihipStream_tbENKUlT_T0_SI_SN_E_clISD_SD_SD_SD_EEDaS11_S12_SI_SN_EUlS11_E_NS1_11comp_targetILNS1_3genE6ELNS1_11target_archE950ELNS1_3gpuE13ELNS1_3repE0EEENS1_47radix_sort_onesweep_sort_config_static_selectorELNS0_4arch9wavefront6targetE1EEEvSI_ ; -- Begin function _ZN7rocprim17ROCPRIM_400000_NS6detail17trampoline_kernelINS0_14default_configENS1_35radix_sort_onesweep_config_selectorIttEEZZNS1_29radix_sort_onesweep_iterationIS3_Lb0EN6thrust23THRUST_200600_302600_NS6detail15normal_iteratorINS8_10device_ptrItEEEESD_SD_SD_jNS0_19identity_decomposerENS1_16block_id_wrapperIjLb1EEEEE10hipError_tT1_PNSt15iterator_traitsISI_E10value_typeET2_T3_PNSJ_ISO_E10value_typeET4_T5_PST_SU_PNS1_23onesweep_lookback_stateEbbT6_jjT7_P12ihipStream_tbENKUlT_T0_SI_SN_E_clISD_SD_SD_SD_EEDaS11_S12_SI_SN_EUlS11_E_NS1_11comp_targetILNS1_3genE6ELNS1_11target_archE950ELNS1_3gpuE13ELNS1_3repE0EEENS1_47radix_sort_onesweep_sort_config_static_selectorELNS0_4arch9wavefront6targetE1EEEvSI_
	.globl	_ZN7rocprim17ROCPRIM_400000_NS6detail17trampoline_kernelINS0_14default_configENS1_35radix_sort_onesweep_config_selectorIttEEZZNS1_29radix_sort_onesweep_iterationIS3_Lb0EN6thrust23THRUST_200600_302600_NS6detail15normal_iteratorINS8_10device_ptrItEEEESD_SD_SD_jNS0_19identity_decomposerENS1_16block_id_wrapperIjLb1EEEEE10hipError_tT1_PNSt15iterator_traitsISI_E10value_typeET2_T3_PNSJ_ISO_E10value_typeET4_T5_PST_SU_PNS1_23onesweep_lookback_stateEbbT6_jjT7_P12ihipStream_tbENKUlT_T0_SI_SN_E_clISD_SD_SD_SD_EEDaS11_S12_SI_SN_EUlS11_E_NS1_11comp_targetILNS1_3genE6ELNS1_11target_archE950ELNS1_3gpuE13ELNS1_3repE0EEENS1_47radix_sort_onesweep_sort_config_static_selectorELNS0_4arch9wavefront6targetE1EEEvSI_
	.p2align	8
	.type	_ZN7rocprim17ROCPRIM_400000_NS6detail17trampoline_kernelINS0_14default_configENS1_35radix_sort_onesweep_config_selectorIttEEZZNS1_29radix_sort_onesweep_iterationIS3_Lb0EN6thrust23THRUST_200600_302600_NS6detail15normal_iteratorINS8_10device_ptrItEEEESD_SD_SD_jNS0_19identity_decomposerENS1_16block_id_wrapperIjLb1EEEEE10hipError_tT1_PNSt15iterator_traitsISI_E10value_typeET2_T3_PNSJ_ISO_E10value_typeET4_T5_PST_SU_PNS1_23onesweep_lookback_stateEbbT6_jjT7_P12ihipStream_tbENKUlT_T0_SI_SN_E_clISD_SD_SD_SD_EEDaS11_S12_SI_SN_EUlS11_E_NS1_11comp_targetILNS1_3genE6ELNS1_11target_archE950ELNS1_3gpuE13ELNS1_3repE0EEENS1_47radix_sort_onesweep_sort_config_static_selectorELNS0_4arch9wavefront6targetE1EEEvSI_,@function
_ZN7rocprim17ROCPRIM_400000_NS6detail17trampoline_kernelINS0_14default_configENS1_35radix_sort_onesweep_config_selectorIttEEZZNS1_29radix_sort_onesweep_iterationIS3_Lb0EN6thrust23THRUST_200600_302600_NS6detail15normal_iteratorINS8_10device_ptrItEEEESD_SD_SD_jNS0_19identity_decomposerENS1_16block_id_wrapperIjLb1EEEEE10hipError_tT1_PNSt15iterator_traitsISI_E10value_typeET2_T3_PNSJ_ISO_E10value_typeET4_T5_PST_SU_PNS1_23onesweep_lookback_stateEbbT6_jjT7_P12ihipStream_tbENKUlT_T0_SI_SN_E_clISD_SD_SD_SD_EEDaS11_S12_SI_SN_EUlS11_E_NS1_11comp_targetILNS1_3genE6ELNS1_11target_archE950ELNS1_3gpuE13ELNS1_3repE0EEENS1_47radix_sort_onesweep_sort_config_static_selectorELNS0_4arch9wavefront6targetE1EEEvSI_: ; @_ZN7rocprim17ROCPRIM_400000_NS6detail17trampoline_kernelINS0_14default_configENS1_35radix_sort_onesweep_config_selectorIttEEZZNS1_29radix_sort_onesweep_iterationIS3_Lb0EN6thrust23THRUST_200600_302600_NS6detail15normal_iteratorINS8_10device_ptrItEEEESD_SD_SD_jNS0_19identity_decomposerENS1_16block_id_wrapperIjLb1EEEEE10hipError_tT1_PNSt15iterator_traitsISI_E10value_typeET2_T3_PNSJ_ISO_E10value_typeET4_T5_PST_SU_PNS1_23onesweep_lookback_stateEbbT6_jjT7_P12ihipStream_tbENKUlT_T0_SI_SN_E_clISD_SD_SD_SD_EEDaS11_S12_SI_SN_EUlS11_E_NS1_11comp_targetILNS1_3genE6ELNS1_11target_archE950ELNS1_3gpuE13ELNS1_3repE0EEENS1_47radix_sort_onesweep_sort_config_static_selectorELNS0_4arch9wavefront6targetE1EEEvSI_
; %bb.0:
	s_load_dwordx4 s[4:7], s[0:1], 0x28
                                        ; implicit-def: $vgpr117 : SGPR spill to VGPR lane
	v_and_b32_e32 v2, 0x3ff, v0
	v_cmp_eq_u32_e64 s[94:95], 0, v2
	s_waitcnt lgkmcnt(0)
	v_writelane_b32 v117, s4, 0
	s_nop 1
	v_writelane_b32 v117, s5, 1
	v_writelane_b32 v117, s6, 2
	;; [unrolled: 1-line block ×3, first 2 shown]
	s_load_dwordx2 s[6:7], s[0:1], 0x38
	s_load_dwordx4 s[96:99], s[0:1], 0x44
	s_and_saveexec_b64 s[4:5], s[94:95]
	s_cbranch_execz .LBB975_4
; %bb.1:
	s_mov_b64 s[10:11], exec
	v_mbcnt_lo_u32_b32 v1, s10, 0
	v_mbcnt_hi_u32_b32 v1, s11, v1
	v_cmp_eq_u32_e32 vcc, 0, v1
                                        ; implicit-def: $vgpr3
	s_and_saveexec_b64 s[8:9], vcc
	s_cbranch_execz .LBB975_3
; %bb.2:
	s_load_dwordx2 s[12:13], s[0:1], 0x50
	s_bcnt1_i32_b64 s3, s[10:11]
	v_mov_b32_e32 v3, 0
	v_mov_b32_e32 v4, s3
	s_waitcnt lgkmcnt(0)
	global_atomic_add v3, v3, v4, s[12:13] sc0
.LBB975_3:
	s_or_b64 exec, exec, s[8:9]
	s_waitcnt vmcnt(0)
	v_readfirstlane_b32 s3, v3
	v_mov_b32_e32 v3, 0
	s_nop 0
	v_add_u32_e32 v1, s3, v1
	ds_write_b32 v3, v1 offset:22784
.LBB975_4:
	s_or_b64 exec, exec, s[4:5]
	v_mov_b32_e32 v5, 0
	s_load_dwordx8 s[8:15], s[0:1], 0x0
	s_load_dword s3, s[0:1], 0x20
	s_waitcnt lgkmcnt(0)
	s_barrier
	ds_read_b32 v1, v5 offset:22784
	s_mov_b64 s[16:17], -1
	s_waitcnt lgkmcnt(0)
	s_barrier
	v_readfirstlane_b32 s33, v1
	v_cmp_le_u32_e32 vcc, s98, v1
	s_mul_i32 s4, s33, 0x2c00
	v_mbcnt_lo_u32_b32 v1, -1, 0
	s_cbranch_vccz .LBB975_292
; %bb.5:
	s_mul_i32 s5, s98, 0xffffd400
	s_add_i32 s3, s5, s3
	s_mov_b32 s5, 0
	s_lshl_b64 s[98:99], s[4:5], 1
	v_mbcnt_hi_u32_b32 v15, -1, v1
	s_add_u32 s16, s8, s98
	v_and_b32_e32 v3, 63, v15
	v_and_b32_e32 v18, 0x3c0, v2
	s_addc_u32 s17, s9, s99
	v_mul_u32_u24_e32 v10, 22, v18
	v_lshlrev_b32_e32 v4, 1, v3
	v_lshl_add_u64 v[8:9], s[16:17], 0, v[4:5]
	v_lshlrev_b32_e32 v6, 1, v10
	v_mov_b32_e32 v7, v5
	v_lshl_add_u64 v[8:9], v[8:9], 0, v[6:7]
	v_or_b32_e32 v11, v3, v10
	v_mov_b32_e32 v35, 0xffff
	v_mov_b32_e32 v3, -1
	v_mov_b32_e32 v5, -1
	v_mov_b32_e32 v10, 0xffff
	v_cmp_gt_u32_e64 s[18:19], s3, v11
	s_mov_b64 s[16:17], exec
	s_nop 0
	v_writelane_b32 v117, s18, 4
	s_nop 1
	v_writelane_b32 v117, s19, 5
	s_and_b64 s[18:19], s[16:17], s[18:19]
	s_mov_b64 exec, s[18:19]
	s_cbranch_execz .LBB975_7
; %bb.6:
	global_load_ushort v5, v[8:9], off
	s_waitcnt vmcnt(0)
	v_and_b32_e32 v10, 0xffff, v5
.LBB975_7:
	s_or_b64 exec, exec, s[16:17]
	v_or_b32_e32 v7, 64, v11
	v_cmp_gt_u32_e64 s[18:19], s3, v7
	s_mov_b64 s[16:17], exec
	s_nop 0
	v_writelane_b32 v117, s18, 6
	s_nop 1
	v_writelane_b32 v117, s19, 7
	s_and_b64 s[18:19], s[16:17], s[18:19]
	s_mov_b64 exec, s[18:19]
	s_cbranch_execz .LBB975_9
; %bb.8:
	global_load_ushort v3, v[8:9], off offset:128
	s_waitcnt vmcnt(0)
	v_and_b32_e32 v35, 0xffff, v3
.LBB975_9:
	s_or_b64 exec, exec, s[16:17]
	v_add_u32_e32 v7, 0x80, v11
	v_cmp_gt_u32_e64 s[18:19], s3, v7
	v_mov_b32_e32 v45, 0xffff
	v_mov_b32_e32 v7, -1
	v_mov_b32_e32 v12, -1
	v_mov_b32_e32 v39, 0xffff
	s_mov_b64 s[16:17], exec
	v_writelane_b32 v117, s18, 8
	s_nop 1
	v_writelane_b32 v117, s19, 9
	s_and_b64 s[18:19], s[16:17], s[18:19]
	s_mov_b64 exec, s[18:19]
	s_cbranch_execz .LBB975_11
; %bb.10:
	global_load_ushort v12, v[8:9], off offset:256
	s_waitcnt vmcnt(0)
	v_and_b32_e32 v39, 0xffff, v12
.LBB975_11:
	s_or_b64 exec, exec, s[16:17]
	v_add_u32_e32 v13, 0xc0, v11
	v_cmp_gt_u32_e64 s[18:19], s3, v13
	s_mov_b64 s[16:17], exec
	s_nop 0
	v_writelane_b32 v117, s18, 10
	s_nop 1
	v_writelane_b32 v117, s19, 11
	s_and_b64 s[18:19], s[16:17], s[18:19]
	s_mov_b64 exec, s[18:19]
	s_cbranch_execz .LBB975_13
; %bb.12:
	global_load_ushort v7, v[8:9], off offset:384
	s_waitcnt vmcnt(0)
	v_and_b32_e32 v45, 0xffff, v7
.LBB975_13:
	s_or_b64 exec, exec, s[16:17]
	v_add_u32_e32 v13, 0x100, v11
	v_cmp_gt_u32_e64 s[18:19], s3, v13
	v_mov_b32_e32 v53, 0xffff
	v_mov_b32_e32 v13, -1
	v_mov_b32_e32 v14, -1
	v_mov_b32_e32 v48, 0xffff
	s_mov_b64 s[16:17], exec
	v_writelane_b32 v117, s18, 12
	s_nop 1
	v_writelane_b32 v117, s19, 13
	s_and_b64 s[18:19], s[16:17], s[18:19]
	s_mov_b64 exec, s[18:19]
	s_cbranch_execz .LBB975_15
; %bb.14:
	global_load_ushort v14, v[8:9], off offset:512
	s_waitcnt vmcnt(0)
	v_and_b32_e32 v48, 0xffff, v14
.LBB975_15:
	s_or_b64 exec, exec, s[16:17]
	v_add_u32_e32 v16, 0x140, v11
	v_cmp_gt_u32_e64 s[18:19], s3, v16
	s_mov_b64 s[16:17], exec
	s_nop 0
	v_writelane_b32 v117, s18, 14
	s_nop 1
	v_writelane_b32 v117, s19, 15
	s_and_b64 s[18:19], s[16:17], s[18:19]
	s_mov_b64 exec, s[18:19]
	s_cbranch_execz .LBB975_17
; %bb.16:
	global_load_ushort v13, v[8:9], off offset:640
	s_waitcnt vmcnt(0)
	v_and_b32_e32 v53, 0xffff, v13
.LBB975_17:
	s_or_b64 exec, exec, s[16:17]
	v_add_u32_e32 v16, 0x180, v11
	v_cmp_gt_u32_e64 s[18:19], s3, v16
	v_mov_b32_e32 v61, 0xffff
	v_mov_b32_e32 v16, -1
	v_mov_b32_e32 v17, -1
	v_mov_b32_e32 v57, 0xffff
	s_mov_b64 s[16:17], exec
	v_writelane_b32 v117, s18, 16
	s_nop 1
	v_writelane_b32 v117, s19, 17
	s_and_b64 s[18:19], s[16:17], s[18:19]
	s_mov_b64 exec, s[18:19]
	s_cbranch_execz .LBB975_19
; %bb.18:
	global_load_ushort v17, v[8:9], off offset:768
	s_waitcnt vmcnt(0)
	v_and_b32_e32 v57, 0xffff, v17
.LBB975_19:
	s_or_b64 exec, exec, s[16:17]
	v_add_u32_e32 v19, 0x1c0, v11
	v_cmp_gt_u32_e64 s[18:19], s3, v19
	s_mov_b64 s[16:17], exec
	s_nop 0
	v_writelane_b32 v117, s18, 18
	s_nop 1
	v_writelane_b32 v117, s19, 19
	s_and_b64 s[18:19], s[16:17], s[18:19]
	s_mov_b64 exec, s[18:19]
	s_cbranch_execz .LBB975_21
; %bb.20:
	global_load_ushort v16, v[8:9], off offset:896
	s_waitcnt vmcnt(0)
	v_and_b32_e32 v61, 0xffff, v16
.LBB975_21:
	s_or_b64 exec, exec, s[16:17]
	v_add_u32_e32 v19, 0x200, v11
	v_cmp_gt_u32_e32 vcc, s3, v19
	v_mov_b32_e32 v70, 0xffff
	v_mov_b32_e32 v19, -1
	v_mov_b32_e32 v20, -1
	v_mov_b32_e32 v66, 0xffff
	s_and_saveexec_b64 s[16:17], vcc
	s_cbranch_execz .LBB975_23
; %bb.22:
	global_load_ushort v20, v[8:9], off offset:1024
	s_waitcnt vmcnt(0)
	v_and_b32_e32 v66, 0xffff, v20
.LBB975_23:
	s_or_b64 exec, exec, s[16:17]
	v_add_u32_e32 v21, 0x240, v11
	v_cmp_gt_u32_e64 s[20:21], s3, v21
	s_and_saveexec_b64 s[16:17], s[20:21]
	s_cbranch_execz .LBB975_25
; %bb.24:
	global_load_ushort v19, v[8:9], off offset:1152
	s_waitcnt vmcnt(0)
	v_and_b32_e32 v70, 0xffff, v19
.LBB975_25:
	s_or_b64 exec, exec, s[16:17]
	v_add_u32_e32 v21, 0x280, v11
	v_cmp_gt_u32_e64 s[22:23], s3, v21
	v_mov_b32_e32 v71, 0xffff
	v_mov_b32_e32 v21, -1
	v_mov_b32_e32 v22, -1
	v_mov_b32_e32 v74, 0xffff
	s_and_saveexec_b64 s[16:17], s[22:23]
	s_cbranch_execz .LBB975_27
; %bb.26:
	global_load_ushort v22, v[8:9], off offset:1280
	s_waitcnt vmcnt(0)
	v_and_b32_e32 v74, 0xffff, v22
.LBB975_27:
	s_or_b64 exec, exec, s[16:17]
	v_add_u32_e32 v23, 0x2c0, v11
	v_cmp_gt_u32_e64 s[24:25], s3, v23
	s_and_saveexec_b64 s[16:17], s[24:25]
	s_cbranch_execz .LBB975_29
; %bb.28:
	global_load_ushort v21, v[8:9], off offset:1408
	s_waitcnt vmcnt(0)
	v_and_b32_e32 v71, 0xffff, v21
.LBB975_29:
	s_or_b64 exec, exec, s[16:17]
	v_add_u32_e32 v23, 0x300, v11
	v_cmp_gt_u32_e64 s[26:27], s3, v23
	v_mov_b32_e32 v65, 0xffff
	v_mov_b32_e32 v23, -1
	v_mov_b32_e32 v24, -1
	v_mov_b32_e32 v69, 0xffff
	s_and_saveexec_b64 s[16:17], s[26:27]
	;; [unrolled: 24-line block ×6, first 2 shown]
	s_cbranch_execz .LBB975_47
; %bb.46:
	global_load_ushort v32, v[8:9], off offset:2560
	s_waitcnt vmcnt(0)
	v_and_b32_e32 v40, 0xffff, v32
.LBB975_47:
	s_or_b64 exec, exec, s[16:17]
	v_add_u32_e32 v11, 0x540, v11
	v_cmp_gt_u32_e64 s[46:47], s3, v11
	s_and_saveexec_b64 s[16:17], s[46:47]
	s_cbranch_execz .LBB975_49
; %bb.48:
	global_load_ushort v31, v[8:9], off offset:2688
	s_waitcnt vmcnt(0)
	v_and_b32_e32 v36, 0xffff, v31
.LBB975_49:
	s_or_b64 exec, exec, s[16:17]
	s_load_dword s5, s[0:1], 0x64
	s_load_dword s18, s[0:1], 0x58
	s_add_u32 s16, s0, 0x58
	s_addc_u32 s17, s1, 0
	v_mov_b32_e32 v8, 0
	s_waitcnt lgkmcnt(0)
	s_lshr_b32 s5, s5, 16
	s_cmp_lt_u32 s2, s18
	s_cselect_b32 s18, 12, 18
	s_add_u32 s16, s16, s18
	s_addc_u32 s17, s17, 0
	global_load_ushort v37, v8, s[16:17]
	v_bfe_u32 v34, v0, 10, 10
	v_bfe_u32 v38, v0, 20, 10
	v_lshrrev_b32_e32 v10, s96, v10
	s_lshl_b32 s16, -1, s97
	v_lshlrev_b32_e32 v33, 3, v2
	v_mov_b32_e32 v9, v8
	v_mad_u32_u24 v38, v38, s5, v34
	v_bitop3_b32 v34, v10, s16, v10 bitop3:0x30
	v_mov_b32_e32 v11, v8
	ds_write_b64 v33, v[8:9] offset:32
	v_and_b32_e32 v10, 1, v34
	v_lshlrev_b32_e32 v9, 30, v34
	v_lshl_add_u64 v[42:43], v[10:11], 0, -1
	v_cmp_ne_u32_e64 s[48:49], 0, v10
	v_cmp_gt_i64_e64 s[50:51], 0, v[8:9]
	v_not_b32_e32 v10, v9
	v_lshlrev_b32_e32 v9, 29, v34
	v_xor_b32_e32 v11, s49, v43
	v_xor_b32_e32 v42, s48, v42
	v_ashrrev_i32_e32 v10, 31, v10
	v_cmp_gt_i64_e64 s[48:49], 0, v[8:9]
	v_not_b32_e32 v43, v9
	v_lshlrev_b32_e32 v9, 28, v34
	v_and_b32_e32 v11, exec_hi, v11
	v_and_b32_e32 v42, exec_lo, v42
	v_xor_b32_e32 v46, s51, v10
	v_xor_b32_e32 v10, s50, v10
	v_ashrrev_i32_e32 v43, 31, v43
	v_cmp_gt_i64_e64 s[50:51], 0, v[8:9]
	v_not_b32_e32 v47, v9
	v_lshlrev_b32_e32 v9, 27, v34
	v_and_b32_e32 v11, v11, v46
	v_and_b32_e32 v10, v42, v10
	v_xor_b32_e32 v42, s49, v43
	v_xor_b32_e32 v43, s48, v43
	v_ashrrev_i32_e32 v46, 31, v47
	v_cmp_gt_i64_e64 s[48:49], 0, v[8:9]
	v_not_b32_e32 v47, v9
	v_lshlrev_b32_e32 v9, 26, v34
	v_mul_u32_u24_e32 v41, 36, v34
	v_and_b32_e32 v11, v11, v42
	v_and_b32_e32 v10, v10, v43
	v_xor_b32_e32 v34, s51, v46
	v_xor_b32_e32 v42, s50, v46
	v_ashrrev_i32_e32 v43, 31, v47
	v_cmp_gt_i64_e64 s[50:51], 0, v[8:9]
	v_not_b32_e32 v9, v9
	v_and_b32_e32 v11, v11, v34
	v_and_b32_e32 v10, v10, v42
	v_xor_b32_e32 v34, s49, v43
	v_xor_b32_e32 v42, s48, v43
	v_ashrrev_i32_e32 v9, 31, v9
	v_and_b32_e32 v11, v11, v34
	v_and_b32_e32 v10, v10, v42
	v_xor_b32_e32 v34, s51, v9
	v_xor_b32_e32 v9, s50, v9
	v_and_b32_e32 v10, v10, v9
	s_not_b32 s5, s16
	v_and_b32_e32 v11, v11, v34
	v_mbcnt_lo_u32_b32 v9, v10, 0
	v_mbcnt_hi_u32_b32 v34, v11, v9
	v_cmp_ne_u64_e64 s[48:49], 0, v[10:11]
	v_cmp_eq_u32_e64 s[50:51], 0, v34
	s_and_b64 s[48:49], s[48:49], s[50:51]
	s_waitcnt lgkmcnt(0)
	s_barrier
	s_waitcnt vmcnt(0)
	; wave barrier
	v_mad_u64_u32 v[42:43], s[16:17], v38, v37, v[2:3]
	v_lshrrev_b32_e32 v9, 4, v42
	v_and_b32_e32 v43, 0xffffffc, v9
	v_add_u32_e32 v37, v43, v41
	s_and_saveexec_b64 s[16:17], s[48:49]
; %bb.50:
	v_bcnt_u32_b32 v9, v10, 0
	v_bcnt_u32_b32 v9, v11, v9
	ds_write_b32 v37, v9 offset:32
; %bb.51:
	s_or_b64 exec, exec, s[16:17]
	v_lshrrev_b32_e32 v9, s96, v35
	v_and_b32_e32 v38, s5, v9
	v_and_b32_e32 v10, 1, v38
	v_mov_b32_e32 v11, v8
	v_mad_u32_u24 v9, v38, 36, v43
	v_lshl_add_u64 v[46:47], v[10:11], 0, -1
	v_cmp_ne_u32_e64 s[48:49], 0, v10
	; wave barrier
	ds_read_b32 v35, v9 offset:32
	s_nop 0
	v_xor_b32_e32 v9, s49, v47
	v_and_b32_e32 v11, exec_hi, v9
	v_lshlrev_b32_e32 v9, 30, v38
	v_xor_b32_e32 v10, s48, v46
	v_cmp_gt_i64_e64 s[48:49], 0, v[8:9]
	v_not_b32_e32 v9, v9
	v_ashrrev_i32_e32 v9, 31, v9
	v_and_b32_e32 v10, exec_lo, v10
	v_xor_b32_e32 v42, s49, v9
	v_xor_b32_e32 v9, s48, v9
	v_and_b32_e32 v10, v10, v9
	v_lshlrev_b32_e32 v9, 29, v38
	v_cmp_gt_i64_e64 s[48:49], 0, v[8:9]
	v_not_b32_e32 v9, v9
	v_ashrrev_i32_e32 v9, 31, v9
	v_and_b32_e32 v11, v11, v42
	v_xor_b32_e32 v42, s49, v9
	v_xor_b32_e32 v9, s48, v9
	v_and_b32_e32 v10, v10, v9
	v_lshlrev_b32_e32 v9, 28, v38
	v_cmp_gt_i64_e64 s[48:49], 0, v[8:9]
	v_not_b32_e32 v9, v9
	v_ashrrev_i32_e32 v9, 31, v9
	v_and_b32_e32 v11, v11, v42
	;; [unrolled: 8-line block ×3, first 2 shown]
	v_xor_b32_e32 v42, s49, v9
	v_xor_b32_e32 v9, s48, v9
	v_and_b32_e32 v10, v10, v9
	v_lshlrev_b32_e32 v9, 26, v38
	v_cmp_gt_i64_e64 s[48:49], 0, v[8:9]
	v_not_b32_e32 v8, v9
	v_ashrrev_i32_e32 v8, 31, v8
	v_xor_b32_e32 v9, s49, v8
	v_xor_b32_e32 v8, s48, v8
	v_and_b32_e32 v11, v11, v42
	v_and_b32_e32 v8, v10, v8
	;; [unrolled: 1-line block ×3, first 2 shown]
	v_mbcnt_lo_u32_b32 v10, v8, 0
	v_mul_u32_u24_e32 v41, 36, v38
	v_mbcnt_hi_u32_b32 v38, v9, v10
	v_cmp_eq_u32_e64 s[48:49], 0, v38
	v_cmp_ne_u64_e64 s[50:51], 0, v[8:9]
	s_and_b64 s[48:49], s[50:51], s[48:49]
	v_add_u32_e32 v41, v43, v41
	; wave barrier
	s_and_saveexec_b64 s[16:17], s[48:49]
	s_cbranch_execz .LBB975_53
; %bb.52:
	v_bcnt_u32_b32 v8, v8, 0
	v_bcnt_u32_b32 v8, v9, v8
	s_waitcnt lgkmcnt(0)
	v_add_u32_e32 v8, v35, v8
	ds_write_b32 v41, v8 offset:32
.LBB975_53:
	s_or_b64 exec, exec, s[16:17]
	v_lshrrev_b32_e32 v8, s96, v39
	v_and_b32_e32 v42, s5, v8
	v_mad_u32_u24 v8, v42, 36, v43
	; wave barrier
	ds_read_b32 v39, v8 offset:32
	v_and_b32_e32 v8, 1, v42
	v_mov_b32_e32 v9, 0
	v_lshl_add_u64 v[10:11], v[8:9], 0, -1
	v_cmp_ne_u32_e64 s[48:49], 0, v8
	v_mul_u32_u24_e32 v46, 36, v42
	v_add_u32_e32 v46, v43, v46
	v_xor_b32_e32 v10, s48, v10
	v_xor_b32_e32 v8, s49, v11
	v_and_b32_e32 v47, exec_lo, v10
	v_lshlrev_b32_e32 v11, 30, v42
	v_mov_b32_e32 v10, v9
	v_cmp_gt_i64_e64 s[48:49], 0, v[10:11]
	v_not_b32_e32 v10, v11
	v_ashrrev_i32_e32 v10, 31, v10
	v_and_b32_e32 v8, exec_hi, v8
	v_xor_b32_e32 v11, s49, v10
	v_xor_b32_e32 v10, s48, v10
	v_and_b32_e32 v8, v8, v11
	v_and_b32_e32 v47, v47, v10
	v_lshlrev_b32_e32 v11, 29, v42
	v_mov_b32_e32 v10, v9
	v_cmp_gt_i64_e64 s[48:49], 0, v[10:11]
	v_not_b32_e32 v10, v11
	v_ashrrev_i32_e32 v10, 31, v10
	v_xor_b32_e32 v11, s49, v10
	v_xor_b32_e32 v10, s48, v10
	v_and_b32_e32 v8, v8, v11
	v_and_b32_e32 v47, v47, v10
	v_lshlrev_b32_e32 v11, 28, v42
	v_mov_b32_e32 v10, v9
	v_cmp_gt_i64_e64 s[48:49], 0, v[10:11]
	v_not_b32_e32 v10, v11
	v_ashrrev_i32_e32 v10, 31, v10
	;; [unrolled: 9-line block ×4, first 2 shown]
	v_xor_b32_e32 v11, s49, v10
	v_xor_b32_e32 v10, s48, v10
	v_and_b32_e32 v10, v47, v10
	v_and_b32_e32 v11, v8, v11
	v_mbcnt_lo_u32_b32 v8, v10, 0
	v_mbcnt_hi_u32_b32 v42, v11, v8
	v_cmp_eq_u32_e64 s[48:49], 0, v42
	v_cmp_ne_u64_e64 s[50:51], 0, v[10:11]
	s_and_b64 s[48:49], s[50:51], s[48:49]
	; wave barrier
	s_and_saveexec_b64 s[16:17], s[48:49]
	s_cbranch_execz .LBB975_55
; %bb.54:
	v_bcnt_u32_b32 v8, v10, 0
	v_bcnt_u32_b32 v8, v11, v8
	s_waitcnt lgkmcnt(0)
	v_add_u32_e32 v8, v39, v8
	ds_write_b32 v46, v8 offset:32
.LBB975_55:
	s_or_b64 exec, exec, s[16:17]
	v_lshrrev_b32_e32 v8, s96, v45
	v_and_b32_e32 v47, s5, v8
	v_mad_u32_u24 v8, v47, 36, v43
	; wave barrier
	ds_read_b32 v45, v8 offset:32
	v_and_b32_e32 v8, 1, v47
	v_lshl_add_u64 v[10:11], v[8:9], 0, -1
	v_cmp_ne_u32_e64 s[48:49], 0, v8
	v_mul_u32_u24_e32 v50, 36, v47
	v_add_u32_e32 v50, v43, v50
	v_xor_b32_e32 v10, s48, v10
	v_xor_b32_e32 v8, s49, v11
	v_and_b32_e32 v52, exec_lo, v10
	v_lshlrev_b32_e32 v11, 30, v47
	v_mov_b32_e32 v10, v9
	v_cmp_gt_i64_e64 s[48:49], 0, v[10:11]
	v_not_b32_e32 v10, v11
	v_ashrrev_i32_e32 v10, 31, v10
	v_and_b32_e32 v8, exec_hi, v8
	v_xor_b32_e32 v11, s49, v10
	v_xor_b32_e32 v10, s48, v10
	v_and_b32_e32 v8, v8, v11
	v_and_b32_e32 v52, v52, v10
	v_lshlrev_b32_e32 v11, 29, v47
	v_mov_b32_e32 v10, v9
	v_cmp_gt_i64_e64 s[48:49], 0, v[10:11]
	v_not_b32_e32 v10, v11
	v_ashrrev_i32_e32 v10, 31, v10
	v_xor_b32_e32 v11, s49, v10
	v_xor_b32_e32 v10, s48, v10
	v_and_b32_e32 v8, v8, v11
	v_and_b32_e32 v52, v52, v10
	v_lshlrev_b32_e32 v11, 28, v47
	v_mov_b32_e32 v10, v9
	v_cmp_gt_i64_e64 s[48:49], 0, v[10:11]
	v_not_b32_e32 v10, v11
	v_ashrrev_i32_e32 v10, 31, v10
	v_xor_b32_e32 v11, s49, v10
	v_xor_b32_e32 v10, s48, v10
	v_and_b32_e32 v8, v8, v11
	v_and_b32_e32 v52, v52, v10
	v_lshlrev_b32_e32 v11, 27, v47
	v_mov_b32_e32 v10, v9
	v_cmp_gt_i64_e64 s[48:49], 0, v[10:11]
	v_not_b32_e32 v10, v11
	v_ashrrev_i32_e32 v10, 31, v10
	v_xor_b32_e32 v11, s49, v10
	v_xor_b32_e32 v10, s48, v10
	v_and_b32_e32 v8, v8, v11
	v_lshlrev_b32_e32 v11, 26, v47
	v_and_b32_e32 v52, v52, v10
	v_mov_b32_e32 v10, v9
	v_not_b32_e32 v9, v11
	v_cmp_gt_i64_e64 s[48:49], 0, v[10:11]
	v_ashrrev_i32_e32 v9, 31, v9
	s_nop 0
	v_xor_b32_e32 v10, s49, v9
	v_xor_b32_e32 v11, s48, v9
	v_and_b32_e32 v9, v8, v10
	v_and_b32_e32 v8, v52, v11
	v_mbcnt_lo_u32_b32 v10, v8, 0
	v_mbcnt_hi_u32_b32 v47, v9, v10
	v_cmp_eq_u32_e64 s[48:49], 0, v47
	v_cmp_ne_u64_e64 s[50:51], 0, v[8:9]
	s_and_b64 s[48:49], s[50:51], s[48:49]
	; wave barrier
	s_and_saveexec_b64 s[16:17], s[48:49]
	s_cbranch_execz .LBB975_57
; %bb.56:
	v_bcnt_u32_b32 v8, v8, 0
	v_bcnt_u32_b32 v8, v9, v8
	s_waitcnt lgkmcnt(0)
	v_add_u32_e32 v8, v45, v8
	ds_write_b32 v50, v8 offset:32
.LBB975_57:
	s_or_b64 exec, exec, s[16:17]
	v_lshrrev_b32_e32 v8, s96, v48
	v_and_b32_e32 v52, s5, v8
	v_mad_u32_u24 v8, v52, 36, v43
	; wave barrier
	ds_read_b32 v48, v8 offset:32
	v_and_b32_e32 v8, 1, v52
	v_mov_b32_e32 v9, 0
	v_lshl_add_u64 v[10:11], v[8:9], 0, -1
	v_cmp_ne_u32_e64 s[48:49], 0, v8
	v_mul_u32_u24_e32 v54, 36, v52
	v_add_u32_e32 v54, v43, v54
	v_xor_b32_e32 v10, s48, v10
	v_xor_b32_e32 v8, s49, v11
	v_and_b32_e32 v56, exec_lo, v10
	v_lshlrev_b32_e32 v11, 30, v52
	v_mov_b32_e32 v10, v9
	v_cmp_gt_i64_e64 s[48:49], 0, v[10:11]
	v_not_b32_e32 v10, v11
	v_ashrrev_i32_e32 v10, 31, v10
	v_and_b32_e32 v8, exec_hi, v8
	v_xor_b32_e32 v11, s49, v10
	v_xor_b32_e32 v10, s48, v10
	v_and_b32_e32 v8, v8, v11
	v_and_b32_e32 v56, v56, v10
	v_lshlrev_b32_e32 v11, 29, v52
	v_mov_b32_e32 v10, v9
	v_cmp_gt_i64_e64 s[48:49], 0, v[10:11]
	v_not_b32_e32 v10, v11
	v_ashrrev_i32_e32 v10, 31, v10
	v_xor_b32_e32 v11, s49, v10
	v_xor_b32_e32 v10, s48, v10
	v_and_b32_e32 v8, v8, v11
	v_and_b32_e32 v56, v56, v10
	v_lshlrev_b32_e32 v11, 28, v52
	v_mov_b32_e32 v10, v9
	v_cmp_gt_i64_e64 s[48:49], 0, v[10:11]
	v_not_b32_e32 v10, v11
	v_ashrrev_i32_e32 v10, 31, v10
	;; [unrolled: 9-line block ×4, first 2 shown]
	v_xor_b32_e32 v11, s49, v10
	v_xor_b32_e32 v10, s48, v10
	v_and_b32_e32 v10, v56, v10
	v_and_b32_e32 v11, v8, v11
	v_mbcnt_lo_u32_b32 v8, v10, 0
	v_mbcnt_hi_u32_b32 v52, v11, v8
	v_cmp_eq_u32_e64 s[48:49], 0, v52
	v_cmp_ne_u64_e64 s[50:51], 0, v[10:11]
	s_and_b64 s[48:49], s[50:51], s[48:49]
	; wave barrier
	s_and_saveexec_b64 s[16:17], s[48:49]
	s_cbranch_execz .LBB975_59
; %bb.58:
	v_bcnt_u32_b32 v8, v10, 0
	v_bcnt_u32_b32 v8, v11, v8
	s_waitcnt lgkmcnt(0)
	v_add_u32_e32 v8, v48, v8
	ds_write_b32 v54, v8 offset:32
.LBB975_59:
	s_or_b64 exec, exec, s[16:17]
	v_lshrrev_b32_e32 v8, s96, v53
	v_and_b32_e32 v56, s5, v8
	v_mad_u32_u24 v8, v56, 36, v43
	; wave barrier
	ds_read_b32 v53, v8 offset:32
	v_and_b32_e32 v8, 1, v56
	v_lshl_add_u64 v[10:11], v[8:9], 0, -1
	v_cmp_ne_u32_e64 s[48:49], 0, v8
	v_mul_u32_u24_e32 v59, 36, v56
	v_add_u32_e32 v59, v43, v59
	v_xor_b32_e32 v10, s48, v10
	v_xor_b32_e32 v8, s49, v11
	v_and_b32_e32 v60, exec_lo, v10
	v_lshlrev_b32_e32 v11, 30, v56
	v_mov_b32_e32 v10, v9
	v_cmp_gt_i64_e64 s[48:49], 0, v[10:11]
	v_not_b32_e32 v10, v11
	v_ashrrev_i32_e32 v10, 31, v10
	v_and_b32_e32 v8, exec_hi, v8
	v_xor_b32_e32 v11, s49, v10
	v_xor_b32_e32 v10, s48, v10
	v_and_b32_e32 v8, v8, v11
	v_and_b32_e32 v60, v60, v10
	v_lshlrev_b32_e32 v11, 29, v56
	v_mov_b32_e32 v10, v9
	v_cmp_gt_i64_e64 s[48:49], 0, v[10:11]
	v_not_b32_e32 v10, v11
	v_ashrrev_i32_e32 v10, 31, v10
	v_xor_b32_e32 v11, s49, v10
	v_xor_b32_e32 v10, s48, v10
	v_and_b32_e32 v8, v8, v11
	v_and_b32_e32 v60, v60, v10
	v_lshlrev_b32_e32 v11, 28, v56
	v_mov_b32_e32 v10, v9
	v_cmp_gt_i64_e64 s[48:49], 0, v[10:11]
	v_not_b32_e32 v10, v11
	v_ashrrev_i32_e32 v10, 31, v10
	v_xor_b32_e32 v11, s49, v10
	v_xor_b32_e32 v10, s48, v10
	v_and_b32_e32 v8, v8, v11
	v_and_b32_e32 v60, v60, v10
	v_lshlrev_b32_e32 v11, 27, v56
	v_mov_b32_e32 v10, v9
	v_cmp_gt_i64_e64 s[48:49], 0, v[10:11]
	v_not_b32_e32 v10, v11
	v_ashrrev_i32_e32 v10, 31, v10
	v_xor_b32_e32 v11, s49, v10
	v_xor_b32_e32 v10, s48, v10
	v_and_b32_e32 v8, v8, v11
	v_lshlrev_b32_e32 v11, 26, v56
	v_and_b32_e32 v60, v60, v10
	v_mov_b32_e32 v10, v9
	v_not_b32_e32 v9, v11
	v_cmp_gt_i64_e64 s[48:49], 0, v[10:11]
	v_ashrrev_i32_e32 v9, 31, v9
	s_nop 0
	v_xor_b32_e32 v10, s49, v9
	v_xor_b32_e32 v11, s48, v9
	v_and_b32_e32 v9, v8, v10
	v_and_b32_e32 v8, v60, v11
	v_mbcnt_lo_u32_b32 v10, v8, 0
	v_mbcnt_hi_u32_b32 v56, v9, v10
	v_cmp_eq_u32_e64 s[48:49], 0, v56
	v_cmp_ne_u64_e64 s[50:51], 0, v[8:9]
	s_and_b64 s[48:49], s[50:51], s[48:49]
	; wave barrier
	s_and_saveexec_b64 s[16:17], s[48:49]
	s_cbranch_execz .LBB975_61
; %bb.60:
	v_bcnt_u32_b32 v8, v8, 0
	v_bcnt_u32_b32 v8, v9, v8
	s_waitcnt lgkmcnt(0)
	v_add_u32_e32 v8, v53, v8
	ds_write_b32 v59, v8 offset:32
.LBB975_61:
	s_or_b64 exec, exec, s[16:17]
	v_lshrrev_b32_e32 v8, s96, v57
	v_and_b32_e32 v60, s5, v8
	v_mad_u32_u24 v8, v60, 36, v43
	; wave barrier
	ds_read_b32 v57, v8 offset:32
	v_and_b32_e32 v8, 1, v60
	v_mov_b32_e32 v9, 0
	v_lshl_add_u64 v[10:11], v[8:9], 0, -1
	v_cmp_ne_u32_e64 s[48:49], 0, v8
	v_mul_u32_u24_e32 v63, 36, v60
	v_add_u32_e32 v63, v43, v63
	v_xor_b32_e32 v10, s48, v10
	v_xor_b32_e32 v8, s49, v11
	v_and_b32_e32 v64, exec_lo, v10
	v_lshlrev_b32_e32 v11, 30, v60
	v_mov_b32_e32 v10, v9
	v_cmp_gt_i64_e64 s[48:49], 0, v[10:11]
	v_not_b32_e32 v10, v11
	v_ashrrev_i32_e32 v10, 31, v10
	v_and_b32_e32 v8, exec_hi, v8
	v_xor_b32_e32 v11, s49, v10
	v_xor_b32_e32 v10, s48, v10
	v_and_b32_e32 v8, v8, v11
	v_and_b32_e32 v64, v64, v10
	v_lshlrev_b32_e32 v11, 29, v60
	v_mov_b32_e32 v10, v9
	v_cmp_gt_i64_e64 s[48:49], 0, v[10:11]
	v_not_b32_e32 v10, v11
	v_ashrrev_i32_e32 v10, 31, v10
	v_xor_b32_e32 v11, s49, v10
	v_xor_b32_e32 v10, s48, v10
	v_and_b32_e32 v8, v8, v11
	v_and_b32_e32 v64, v64, v10
	v_lshlrev_b32_e32 v11, 28, v60
	v_mov_b32_e32 v10, v9
	v_cmp_gt_i64_e64 s[48:49], 0, v[10:11]
	v_not_b32_e32 v10, v11
	v_ashrrev_i32_e32 v10, 31, v10
	;; [unrolled: 9-line block ×4, first 2 shown]
	v_xor_b32_e32 v11, s49, v10
	v_xor_b32_e32 v10, s48, v10
	v_and_b32_e32 v10, v64, v10
	v_and_b32_e32 v11, v8, v11
	v_mbcnt_lo_u32_b32 v8, v10, 0
	v_mbcnt_hi_u32_b32 v60, v11, v8
	v_cmp_eq_u32_e64 s[48:49], 0, v60
	v_cmp_ne_u64_e64 s[50:51], 0, v[10:11]
	s_and_b64 s[48:49], s[50:51], s[48:49]
	; wave barrier
	s_and_saveexec_b64 s[16:17], s[48:49]
	s_cbranch_execz .LBB975_63
; %bb.62:
	v_bcnt_u32_b32 v8, v10, 0
	v_bcnt_u32_b32 v8, v11, v8
	s_waitcnt lgkmcnt(0)
	v_add_u32_e32 v8, v57, v8
	ds_write_b32 v63, v8 offset:32
.LBB975_63:
	s_or_b64 exec, exec, s[16:17]
	v_lshrrev_b32_e32 v8, s96, v61
	v_and_b32_e32 v64, s5, v8
	v_mad_u32_u24 v8, v64, 36, v43
	; wave barrier
	ds_read_b32 v61, v8 offset:32
	v_and_b32_e32 v8, 1, v64
	v_lshl_add_u64 v[10:11], v[8:9], 0, -1
	v_cmp_ne_u32_e64 s[48:49], 0, v8
	v_mul_u32_u24_e32 v67, 36, v64
	v_add_u32_e32 v67, v43, v67
	v_xor_b32_e32 v10, s48, v10
	v_xor_b32_e32 v8, s49, v11
	v_and_b32_e32 v68, exec_lo, v10
	v_lshlrev_b32_e32 v11, 30, v64
	v_mov_b32_e32 v10, v9
	v_cmp_gt_i64_e64 s[48:49], 0, v[10:11]
	v_not_b32_e32 v10, v11
	v_ashrrev_i32_e32 v10, 31, v10
	v_and_b32_e32 v8, exec_hi, v8
	v_xor_b32_e32 v11, s49, v10
	v_xor_b32_e32 v10, s48, v10
	v_and_b32_e32 v8, v8, v11
	v_and_b32_e32 v68, v68, v10
	v_lshlrev_b32_e32 v11, 29, v64
	v_mov_b32_e32 v10, v9
	v_cmp_gt_i64_e64 s[48:49], 0, v[10:11]
	v_not_b32_e32 v10, v11
	v_ashrrev_i32_e32 v10, 31, v10
	v_xor_b32_e32 v11, s49, v10
	v_xor_b32_e32 v10, s48, v10
	v_and_b32_e32 v8, v8, v11
	v_and_b32_e32 v68, v68, v10
	v_lshlrev_b32_e32 v11, 28, v64
	v_mov_b32_e32 v10, v9
	v_cmp_gt_i64_e64 s[48:49], 0, v[10:11]
	v_not_b32_e32 v10, v11
	v_ashrrev_i32_e32 v10, 31, v10
	;; [unrolled: 9-line block ×3, first 2 shown]
	v_xor_b32_e32 v11, s49, v10
	v_xor_b32_e32 v10, s48, v10
	v_and_b32_e32 v8, v8, v11
	v_lshlrev_b32_e32 v11, 26, v64
	v_and_b32_e32 v68, v68, v10
	v_mov_b32_e32 v10, v9
	v_not_b32_e32 v9, v11
	v_cmp_gt_i64_e64 s[48:49], 0, v[10:11]
	v_ashrrev_i32_e32 v9, 31, v9
	s_nop 0
	v_xor_b32_e32 v10, s49, v9
	v_xor_b32_e32 v11, s48, v9
	v_and_b32_e32 v9, v8, v10
	v_and_b32_e32 v8, v68, v11
	v_mbcnt_lo_u32_b32 v10, v8, 0
	v_mbcnt_hi_u32_b32 v64, v9, v10
	v_cmp_eq_u32_e64 s[48:49], 0, v64
	v_cmp_ne_u64_e64 s[50:51], 0, v[8:9]
	s_and_b64 s[48:49], s[50:51], s[48:49]
	; wave barrier
	s_and_saveexec_b64 s[16:17], s[48:49]
	s_cbranch_execz .LBB975_65
; %bb.64:
	v_bcnt_u32_b32 v8, v8, 0
	v_bcnt_u32_b32 v8, v9, v8
	s_waitcnt lgkmcnt(0)
	v_add_u32_e32 v8, v61, v8
	ds_write_b32 v67, v8 offset:32
.LBB975_65:
	s_or_b64 exec, exec, s[16:17]
	v_lshrrev_b32_e32 v8, s96, v66
	v_and_b32_e32 v68, s5, v8
	v_mad_u32_u24 v8, v68, 36, v43
	; wave barrier
	ds_read_b32 v66, v8 offset:32
	v_and_b32_e32 v8, 1, v68
	v_mov_b32_e32 v9, 0
	v_lshl_add_u64 v[10:11], v[8:9], 0, -1
	v_cmp_ne_u32_e64 s[48:49], 0, v8
	v_mul_u32_u24_e32 v72, 36, v68
	v_add_u32_e32 v72, v43, v72
	v_xor_b32_e32 v10, s48, v10
	v_xor_b32_e32 v8, s49, v11
	v_and_b32_e32 v73, exec_lo, v10
	v_lshlrev_b32_e32 v11, 30, v68
	v_mov_b32_e32 v10, v9
	v_cmp_gt_i64_e64 s[48:49], 0, v[10:11]
	v_not_b32_e32 v10, v11
	v_ashrrev_i32_e32 v10, 31, v10
	v_and_b32_e32 v8, exec_hi, v8
	v_xor_b32_e32 v11, s49, v10
	v_xor_b32_e32 v10, s48, v10
	v_and_b32_e32 v8, v8, v11
	v_and_b32_e32 v73, v73, v10
	v_lshlrev_b32_e32 v11, 29, v68
	v_mov_b32_e32 v10, v9
	v_cmp_gt_i64_e64 s[48:49], 0, v[10:11]
	v_not_b32_e32 v10, v11
	v_ashrrev_i32_e32 v10, 31, v10
	v_xor_b32_e32 v11, s49, v10
	v_xor_b32_e32 v10, s48, v10
	v_and_b32_e32 v8, v8, v11
	v_and_b32_e32 v73, v73, v10
	v_lshlrev_b32_e32 v11, 28, v68
	v_mov_b32_e32 v10, v9
	v_cmp_gt_i64_e64 s[48:49], 0, v[10:11]
	v_not_b32_e32 v10, v11
	v_ashrrev_i32_e32 v10, 31, v10
	;; [unrolled: 9-line block ×4, first 2 shown]
	v_xor_b32_e32 v11, s49, v10
	v_xor_b32_e32 v10, s48, v10
	v_and_b32_e32 v10, v73, v10
	v_and_b32_e32 v11, v8, v11
	v_mbcnt_lo_u32_b32 v8, v10, 0
	v_mbcnt_hi_u32_b32 v68, v11, v8
	v_cmp_eq_u32_e64 s[48:49], 0, v68
	v_cmp_ne_u64_e64 s[50:51], 0, v[10:11]
	s_and_b64 s[48:49], s[50:51], s[48:49]
	; wave barrier
	s_and_saveexec_b64 s[16:17], s[48:49]
	s_cbranch_execz .LBB975_67
; %bb.66:
	v_bcnt_u32_b32 v8, v10, 0
	v_bcnt_u32_b32 v8, v11, v8
	s_waitcnt lgkmcnt(0)
	v_add_u32_e32 v8, v66, v8
	ds_write_b32 v72, v8 offset:32
.LBB975_67:
	s_or_b64 exec, exec, s[16:17]
	v_lshrrev_b32_e32 v8, s96, v70
	v_and_b32_e32 v73, s5, v8
	v_mad_u32_u24 v8, v73, 36, v43
	; wave barrier
	ds_read_b32 v70, v8 offset:32
	v_and_b32_e32 v8, 1, v73
	v_lshl_add_u64 v[10:11], v[8:9], 0, -1
	v_cmp_ne_u32_e64 s[48:49], 0, v8
	v_mul_u32_u24_e32 v75, 36, v73
	v_add_u32_e32 v75, v43, v75
	v_xor_b32_e32 v10, s48, v10
	v_xor_b32_e32 v8, s49, v11
	v_and_b32_e32 v76, exec_lo, v10
	v_lshlrev_b32_e32 v11, 30, v73
	v_mov_b32_e32 v10, v9
	v_cmp_gt_i64_e64 s[48:49], 0, v[10:11]
	v_not_b32_e32 v10, v11
	v_ashrrev_i32_e32 v10, 31, v10
	v_and_b32_e32 v8, exec_hi, v8
	v_xor_b32_e32 v11, s49, v10
	v_xor_b32_e32 v10, s48, v10
	v_and_b32_e32 v8, v8, v11
	v_and_b32_e32 v76, v76, v10
	v_lshlrev_b32_e32 v11, 29, v73
	v_mov_b32_e32 v10, v9
	v_cmp_gt_i64_e64 s[48:49], 0, v[10:11]
	v_not_b32_e32 v10, v11
	v_ashrrev_i32_e32 v10, 31, v10
	v_xor_b32_e32 v11, s49, v10
	v_xor_b32_e32 v10, s48, v10
	v_and_b32_e32 v8, v8, v11
	v_and_b32_e32 v76, v76, v10
	v_lshlrev_b32_e32 v11, 28, v73
	v_mov_b32_e32 v10, v9
	v_cmp_gt_i64_e64 s[48:49], 0, v[10:11]
	v_not_b32_e32 v10, v11
	v_ashrrev_i32_e32 v10, 31, v10
	;; [unrolled: 9-line block ×3, first 2 shown]
	v_xor_b32_e32 v11, s49, v10
	v_xor_b32_e32 v10, s48, v10
	v_and_b32_e32 v8, v8, v11
	v_lshlrev_b32_e32 v11, 26, v73
	v_and_b32_e32 v76, v76, v10
	v_mov_b32_e32 v10, v9
	v_not_b32_e32 v9, v11
	v_cmp_gt_i64_e64 s[48:49], 0, v[10:11]
	v_ashrrev_i32_e32 v9, 31, v9
	s_nop 0
	v_xor_b32_e32 v10, s49, v9
	v_xor_b32_e32 v11, s48, v9
	v_and_b32_e32 v9, v8, v10
	v_and_b32_e32 v8, v76, v11
	v_mbcnt_lo_u32_b32 v10, v8, 0
	v_mbcnt_hi_u32_b32 v73, v9, v10
	v_cmp_eq_u32_e64 s[48:49], 0, v73
	v_cmp_ne_u64_e64 s[50:51], 0, v[8:9]
	s_and_b64 s[48:49], s[50:51], s[48:49]
	; wave barrier
	s_and_saveexec_b64 s[16:17], s[48:49]
	s_cbranch_execz .LBB975_69
; %bb.68:
	v_bcnt_u32_b32 v8, v8, 0
	v_bcnt_u32_b32 v8, v9, v8
	s_waitcnt lgkmcnt(0)
	v_add_u32_e32 v8, v70, v8
	ds_write_b32 v75, v8 offset:32
.LBB975_69:
	s_or_b64 exec, exec, s[16:17]
	v_lshrrev_b32_e32 v8, s96, v74
	v_and_b32_e32 v76, s5, v8
	v_mad_u32_u24 v8, v76, 36, v43
	; wave barrier
	ds_read_b32 v74, v8 offset:32
	v_and_b32_e32 v8, 1, v76
	v_mov_b32_e32 v9, 0
	v_lshl_add_u64 v[10:11], v[8:9], 0, -1
	v_cmp_ne_u32_e64 s[48:49], 0, v8
	v_mul_u32_u24_e32 v77, 36, v76
	v_add_u32_e32 v77, v43, v77
	v_xor_b32_e32 v10, s48, v10
	v_xor_b32_e32 v8, s49, v11
	v_and_b32_e32 v78, exec_lo, v10
	v_lshlrev_b32_e32 v11, 30, v76
	v_mov_b32_e32 v10, v9
	v_cmp_gt_i64_e64 s[48:49], 0, v[10:11]
	v_not_b32_e32 v10, v11
	v_ashrrev_i32_e32 v10, 31, v10
	v_and_b32_e32 v8, exec_hi, v8
	v_xor_b32_e32 v11, s49, v10
	v_xor_b32_e32 v10, s48, v10
	v_and_b32_e32 v8, v8, v11
	v_and_b32_e32 v78, v78, v10
	v_lshlrev_b32_e32 v11, 29, v76
	v_mov_b32_e32 v10, v9
	v_cmp_gt_i64_e64 s[48:49], 0, v[10:11]
	v_not_b32_e32 v10, v11
	v_ashrrev_i32_e32 v10, 31, v10
	v_xor_b32_e32 v11, s49, v10
	v_xor_b32_e32 v10, s48, v10
	v_and_b32_e32 v8, v8, v11
	v_and_b32_e32 v78, v78, v10
	v_lshlrev_b32_e32 v11, 28, v76
	v_mov_b32_e32 v10, v9
	v_cmp_gt_i64_e64 s[48:49], 0, v[10:11]
	v_not_b32_e32 v10, v11
	v_ashrrev_i32_e32 v10, 31, v10
	;; [unrolled: 9-line block ×4, first 2 shown]
	v_xor_b32_e32 v11, s49, v10
	v_xor_b32_e32 v10, s48, v10
	v_and_b32_e32 v10, v78, v10
	v_and_b32_e32 v11, v8, v11
	v_mbcnt_lo_u32_b32 v8, v10, 0
	v_mbcnt_hi_u32_b32 v76, v11, v8
	v_cmp_eq_u32_e64 s[48:49], 0, v76
	v_cmp_ne_u64_e64 s[50:51], 0, v[10:11]
	s_and_b64 s[48:49], s[50:51], s[48:49]
	; wave barrier
	s_and_saveexec_b64 s[16:17], s[48:49]
	s_cbranch_execz .LBB975_71
; %bb.70:
	v_bcnt_u32_b32 v8, v10, 0
	v_bcnt_u32_b32 v8, v11, v8
	s_waitcnt lgkmcnt(0)
	v_add_u32_e32 v8, v74, v8
	ds_write_b32 v77, v8 offset:32
.LBB975_71:
	s_or_b64 exec, exec, s[16:17]
	v_lshrrev_b32_e32 v8, s96, v71
	v_and_b32_e32 v78, s5, v8
	v_mad_u32_u24 v8, v78, 36, v43
	; wave barrier
	ds_read_b32 v71, v8 offset:32
	v_and_b32_e32 v8, 1, v78
	v_lshl_add_u64 v[10:11], v[8:9], 0, -1
	v_cmp_ne_u32_e64 s[48:49], 0, v8
	v_mul_u32_u24_e32 v79, 36, v78
	v_add_u32_e32 v79, v43, v79
	v_xor_b32_e32 v10, s48, v10
	v_xor_b32_e32 v8, s49, v11
	v_and_b32_e32 v80, exec_lo, v10
	v_lshlrev_b32_e32 v11, 30, v78
	v_mov_b32_e32 v10, v9
	v_cmp_gt_i64_e64 s[48:49], 0, v[10:11]
	v_not_b32_e32 v10, v11
	v_ashrrev_i32_e32 v10, 31, v10
	v_and_b32_e32 v8, exec_hi, v8
	v_xor_b32_e32 v11, s49, v10
	v_xor_b32_e32 v10, s48, v10
	v_and_b32_e32 v8, v8, v11
	v_and_b32_e32 v80, v80, v10
	v_lshlrev_b32_e32 v11, 29, v78
	v_mov_b32_e32 v10, v9
	v_cmp_gt_i64_e64 s[48:49], 0, v[10:11]
	v_not_b32_e32 v10, v11
	v_ashrrev_i32_e32 v10, 31, v10
	v_xor_b32_e32 v11, s49, v10
	v_xor_b32_e32 v10, s48, v10
	v_and_b32_e32 v8, v8, v11
	v_and_b32_e32 v80, v80, v10
	v_lshlrev_b32_e32 v11, 28, v78
	v_mov_b32_e32 v10, v9
	v_cmp_gt_i64_e64 s[48:49], 0, v[10:11]
	v_not_b32_e32 v10, v11
	v_ashrrev_i32_e32 v10, 31, v10
	;; [unrolled: 9-line block ×3, first 2 shown]
	v_xor_b32_e32 v11, s49, v10
	v_xor_b32_e32 v10, s48, v10
	v_and_b32_e32 v8, v8, v11
	v_lshlrev_b32_e32 v11, 26, v78
	v_and_b32_e32 v80, v80, v10
	v_mov_b32_e32 v10, v9
	v_not_b32_e32 v9, v11
	v_cmp_gt_i64_e64 s[48:49], 0, v[10:11]
	v_ashrrev_i32_e32 v9, 31, v9
	s_nop 0
	v_xor_b32_e32 v10, s49, v9
	v_xor_b32_e32 v11, s48, v9
	v_and_b32_e32 v9, v8, v10
	v_and_b32_e32 v8, v80, v11
	v_mbcnt_lo_u32_b32 v10, v8, 0
	v_mbcnt_hi_u32_b32 v78, v9, v10
	v_cmp_eq_u32_e64 s[48:49], 0, v78
	v_cmp_ne_u64_e64 s[50:51], 0, v[8:9]
	s_and_b64 s[48:49], s[50:51], s[48:49]
	; wave barrier
	s_and_saveexec_b64 s[16:17], s[48:49]
	s_cbranch_execz .LBB975_73
; %bb.72:
	v_bcnt_u32_b32 v8, v8, 0
	v_bcnt_u32_b32 v8, v9, v8
	s_waitcnt lgkmcnt(0)
	v_add_u32_e32 v8, v71, v8
	ds_write_b32 v79, v8 offset:32
.LBB975_73:
	s_or_b64 exec, exec, s[16:17]
	v_lshrrev_b32_e32 v8, s96, v69
	v_and_b32_e32 v80, s5, v8
	v_mad_u32_u24 v8, v80, 36, v43
	; wave barrier
	ds_read_b32 v69, v8 offset:32
	v_and_b32_e32 v8, 1, v80
	v_mov_b32_e32 v9, 0
	v_lshl_add_u64 v[10:11], v[8:9], 0, -1
	v_cmp_ne_u32_e64 s[48:49], 0, v8
	v_mul_u32_u24_e32 v81, 36, v80
	v_add_u32_e32 v81, v43, v81
	v_xor_b32_e32 v10, s48, v10
	v_xor_b32_e32 v8, s49, v11
	v_and_b32_e32 v82, exec_lo, v10
	v_lshlrev_b32_e32 v11, 30, v80
	v_mov_b32_e32 v10, v9
	v_cmp_gt_i64_e64 s[48:49], 0, v[10:11]
	v_not_b32_e32 v10, v11
	v_ashrrev_i32_e32 v10, 31, v10
	v_and_b32_e32 v8, exec_hi, v8
	v_xor_b32_e32 v11, s49, v10
	v_xor_b32_e32 v10, s48, v10
	v_and_b32_e32 v8, v8, v11
	v_and_b32_e32 v82, v82, v10
	v_lshlrev_b32_e32 v11, 29, v80
	v_mov_b32_e32 v10, v9
	v_cmp_gt_i64_e64 s[48:49], 0, v[10:11]
	v_not_b32_e32 v10, v11
	v_ashrrev_i32_e32 v10, 31, v10
	v_xor_b32_e32 v11, s49, v10
	v_xor_b32_e32 v10, s48, v10
	v_and_b32_e32 v8, v8, v11
	v_and_b32_e32 v82, v82, v10
	v_lshlrev_b32_e32 v11, 28, v80
	v_mov_b32_e32 v10, v9
	v_cmp_gt_i64_e64 s[48:49], 0, v[10:11]
	v_not_b32_e32 v10, v11
	v_ashrrev_i32_e32 v10, 31, v10
	;; [unrolled: 9-line block ×4, first 2 shown]
	v_xor_b32_e32 v11, s49, v10
	v_xor_b32_e32 v10, s48, v10
	v_and_b32_e32 v10, v82, v10
	v_and_b32_e32 v11, v8, v11
	v_mbcnt_lo_u32_b32 v8, v10, 0
	v_mbcnt_hi_u32_b32 v80, v11, v8
	v_cmp_eq_u32_e64 s[48:49], 0, v80
	v_cmp_ne_u64_e64 s[50:51], 0, v[10:11]
	s_and_b64 s[48:49], s[50:51], s[48:49]
	; wave barrier
	s_and_saveexec_b64 s[16:17], s[48:49]
	s_cbranch_execz .LBB975_75
; %bb.74:
	v_bcnt_u32_b32 v8, v10, 0
	v_bcnt_u32_b32 v8, v11, v8
	s_waitcnt lgkmcnt(0)
	v_add_u32_e32 v8, v69, v8
	ds_write_b32 v81, v8 offset:32
.LBB975_75:
	s_or_b64 exec, exec, s[16:17]
	v_lshrrev_b32_e32 v8, s96, v65
	v_and_b32_e32 v82, s5, v8
	v_mad_u32_u24 v8, v82, 36, v43
	; wave barrier
	ds_read_b32 v65, v8 offset:32
	v_and_b32_e32 v8, 1, v82
	v_lshl_add_u64 v[10:11], v[8:9], 0, -1
	v_cmp_ne_u32_e64 s[48:49], 0, v8
	v_mul_u32_u24_e32 v83, 36, v82
	s_nop 0
	v_xor_b32_e32 v10, s48, v10
	v_xor_b32_e32 v8, s49, v11
	v_and_b32_e32 v84, exec_lo, v10
	v_lshlrev_b32_e32 v11, 30, v82
	v_mov_b32_e32 v10, v9
	v_cmp_gt_i64_e64 s[48:49], 0, v[10:11]
	v_not_b32_e32 v10, v11
	v_ashrrev_i32_e32 v10, 31, v10
	v_and_b32_e32 v8, exec_hi, v8
	v_xor_b32_e32 v11, s49, v10
	v_xor_b32_e32 v10, s48, v10
	v_and_b32_e32 v8, v8, v11
	v_and_b32_e32 v84, v84, v10
	v_lshlrev_b32_e32 v11, 29, v82
	v_mov_b32_e32 v10, v9
	v_cmp_gt_i64_e64 s[48:49], 0, v[10:11]
	v_not_b32_e32 v10, v11
	v_ashrrev_i32_e32 v10, 31, v10
	v_xor_b32_e32 v11, s49, v10
	v_xor_b32_e32 v10, s48, v10
	v_and_b32_e32 v8, v8, v11
	v_and_b32_e32 v84, v84, v10
	v_lshlrev_b32_e32 v11, 28, v82
	v_mov_b32_e32 v10, v9
	v_cmp_gt_i64_e64 s[48:49], 0, v[10:11]
	v_not_b32_e32 v10, v11
	v_ashrrev_i32_e32 v10, 31, v10
	;; [unrolled: 9-line block ×3, first 2 shown]
	v_xor_b32_e32 v11, s49, v10
	v_xor_b32_e32 v10, s48, v10
	v_and_b32_e32 v8, v8, v11
	v_lshlrev_b32_e32 v11, 26, v82
	v_and_b32_e32 v84, v84, v10
	v_mov_b32_e32 v10, v9
	v_not_b32_e32 v9, v11
	v_cmp_gt_i64_e64 s[48:49], 0, v[10:11]
	v_ashrrev_i32_e32 v9, 31, v9
	; wave barrier
	s_nop 0
	v_xor_b32_e32 v10, s49, v9
	v_xor_b32_e32 v11, s48, v9
	v_and_b32_e32 v9, v8, v10
	v_and_b32_e32 v8, v84, v11
	v_mbcnt_lo_u32_b32 v10, v8, 0
	v_mbcnt_hi_u32_b32 v82, v9, v10
	v_cmp_eq_u32_e64 s[48:49], 0, v82
	v_cmp_ne_u64_e64 s[50:51], 0, v[8:9]
	s_and_b64 s[48:49], s[50:51], s[48:49]
	v_add_u32_e32 v84, v43, v83
	s_and_saveexec_b64 s[16:17], s[48:49]
	s_cbranch_execz .LBB975_77
; %bb.76:
	v_bcnt_u32_b32 v8, v8, 0
	v_bcnt_u32_b32 v8, v9, v8
	s_waitcnt lgkmcnt(0)
	v_add_u32_e32 v8, v65, v8
	ds_write_b32 v84, v8 offset:32
.LBB975_77:
	s_or_b64 exec, exec, s[16:17]
	v_lshrrev_b32_e32 v8, s96, v62
	v_and_b32_e32 v62, s5, v8
	v_mad_u32_u24 v8, v62, 36, v43
	; wave barrier
	ds_read_b32 v83, v8 offset:32
	v_and_b32_e32 v8, 1, v62
	v_mov_b32_e32 v9, 0
	v_lshl_add_u64 v[10:11], v[8:9], 0, -1
	v_cmp_ne_u32_e64 s[48:49], 0, v8
	v_mul_u32_u24_e32 v86, 36, v62
	s_nop 0
	v_xor_b32_e32 v10, s48, v10
	v_xor_b32_e32 v8, s49, v11
	v_and_b32_e32 v85, exec_lo, v10
	v_lshlrev_b32_e32 v11, 30, v62
	v_mov_b32_e32 v10, v9
	v_cmp_gt_i64_e64 s[48:49], 0, v[10:11]
	v_not_b32_e32 v10, v11
	v_ashrrev_i32_e32 v10, 31, v10
	v_and_b32_e32 v8, exec_hi, v8
	v_xor_b32_e32 v11, s49, v10
	v_xor_b32_e32 v10, s48, v10
	v_and_b32_e32 v8, v8, v11
	v_and_b32_e32 v85, v85, v10
	v_lshlrev_b32_e32 v11, 29, v62
	v_mov_b32_e32 v10, v9
	v_cmp_gt_i64_e64 s[48:49], 0, v[10:11]
	v_not_b32_e32 v10, v11
	v_ashrrev_i32_e32 v10, 31, v10
	v_xor_b32_e32 v11, s49, v10
	v_xor_b32_e32 v10, s48, v10
	v_and_b32_e32 v8, v8, v11
	v_and_b32_e32 v85, v85, v10
	v_lshlrev_b32_e32 v11, 28, v62
	v_mov_b32_e32 v10, v9
	v_cmp_gt_i64_e64 s[48:49], 0, v[10:11]
	v_not_b32_e32 v10, v11
	v_ashrrev_i32_e32 v10, 31, v10
	;; [unrolled: 9-line block ×4, first 2 shown]
	v_xor_b32_e32 v11, s49, v10
	v_xor_b32_e32 v10, s48, v10
	v_and_b32_e32 v10, v85, v10
	v_and_b32_e32 v11, v8, v11
	v_mbcnt_lo_u32_b32 v8, v10, 0
	v_mbcnt_hi_u32_b32 v85, v11, v8
	v_cmp_eq_u32_e64 s[48:49], 0, v85
	v_cmp_ne_u64_e64 s[50:51], 0, v[10:11]
	s_and_b64 s[48:49], s[50:51], s[48:49]
	v_add_u32_e32 v62, v43, v86
	; wave barrier
	s_and_saveexec_b64 s[16:17], s[48:49]
	s_cbranch_execz .LBB975_79
; %bb.78:
	v_bcnt_u32_b32 v8, v10, 0
	v_bcnt_u32_b32 v8, v11, v8
	s_waitcnt lgkmcnt(0)
	v_add_u32_e32 v8, v83, v8
	ds_write_b32 v62, v8 offset:32
.LBB975_79:
	s_or_b64 exec, exec, s[16:17]
	v_lshrrev_b32_e32 v8, s96, v58
	v_and_b32_e32 v58, s5, v8
	v_mad_u32_u24 v8, v58, 36, v43
	; wave barrier
	ds_read_b32 v86, v8 offset:32
	v_and_b32_e32 v8, 1, v58
	v_lshl_add_u64 v[10:11], v[8:9], 0, -1
	v_cmp_ne_u32_e64 s[48:49], 0, v8
	v_mul_u32_u24_e32 v88, 36, v58
	s_nop 0
	v_xor_b32_e32 v10, s48, v10
	v_xor_b32_e32 v8, s49, v11
	v_and_b32_e32 v87, exec_lo, v10
	v_lshlrev_b32_e32 v11, 30, v58
	v_mov_b32_e32 v10, v9
	v_cmp_gt_i64_e64 s[48:49], 0, v[10:11]
	v_not_b32_e32 v10, v11
	v_ashrrev_i32_e32 v10, 31, v10
	v_and_b32_e32 v8, exec_hi, v8
	v_xor_b32_e32 v11, s49, v10
	v_xor_b32_e32 v10, s48, v10
	v_and_b32_e32 v8, v8, v11
	v_and_b32_e32 v87, v87, v10
	v_lshlrev_b32_e32 v11, 29, v58
	v_mov_b32_e32 v10, v9
	v_cmp_gt_i64_e64 s[48:49], 0, v[10:11]
	v_not_b32_e32 v10, v11
	v_ashrrev_i32_e32 v10, 31, v10
	v_xor_b32_e32 v11, s49, v10
	v_xor_b32_e32 v10, s48, v10
	v_and_b32_e32 v8, v8, v11
	v_and_b32_e32 v87, v87, v10
	v_lshlrev_b32_e32 v11, 28, v58
	v_mov_b32_e32 v10, v9
	v_cmp_gt_i64_e64 s[48:49], 0, v[10:11]
	v_not_b32_e32 v10, v11
	v_ashrrev_i32_e32 v10, 31, v10
	;; [unrolled: 9-line block ×3, first 2 shown]
	v_xor_b32_e32 v11, s49, v10
	v_xor_b32_e32 v10, s48, v10
	v_and_b32_e32 v8, v8, v11
	v_lshlrev_b32_e32 v11, 26, v58
	v_and_b32_e32 v87, v87, v10
	v_mov_b32_e32 v10, v9
	v_not_b32_e32 v9, v11
	v_cmp_gt_i64_e64 s[48:49], 0, v[10:11]
	v_ashrrev_i32_e32 v9, 31, v9
	v_add_u32_e32 v58, v43, v88
	v_xor_b32_e32 v10, s49, v9
	v_xor_b32_e32 v11, s48, v9
	v_and_b32_e32 v9, v8, v10
	v_and_b32_e32 v8, v87, v11
	v_mbcnt_lo_u32_b32 v10, v8, 0
	v_mbcnt_hi_u32_b32 v87, v9, v10
	v_cmp_eq_u32_e64 s[48:49], 0, v87
	v_cmp_ne_u64_e64 s[50:51], 0, v[8:9]
	s_and_b64 s[48:49], s[50:51], s[48:49]
	; wave barrier
	s_and_saveexec_b64 s[16:17], s[48:49]
	s_cbranch_execz .LBB975_81
; %bb.80:
	v_bcnt_u32_b32 v8, v8, 0
	v_bcnt_u32_b32 v8, v9, v8
	s_waitcnt lgkmcnt(0)
	v_add_u32_e32 v8, v86, v8
	ds_write_b32 v58, v8 offset:32
.LBB975_81:
	s_or_b64 exec, exec, s[16:17]
	v_lshrrev_b32_e32 v8, s96, v55
	v_and_b32_e32 v88, s5, v8
	v_mad_u32_u24 v8, v88, 36, v43
	; wave barrier
	ds_read_b32 v55, v8 offset:32
	v_and_b32_e32 v8, 1, v88
	v_mov_b32_e32 v9, 0
	v_lshl_add_u64 v[10:11], v[8:9], 0, -1
	v_cmp_ne_u32_e64 s[48:49], 0, v8
	v_mul_u32_u24_e32 v89, 36, v88
	v_add_u32_e32 v89, v43, v89
	v_xor_b32_e32 v10, s48, v10
	v_xor_b32_e32 v8, s49, v11
	v_and_b32_e32 v90, exec_lo, v10
	v_lshlrev_b32_e32 v11, 30, v88
	v_mov_b32_e32 v10, v9
	v_cmp_gt_i64_e64 s[48:49], 0, v[10:11]
	v_not_b32_e32 v10, v11
	v_ashrrev_i32_e32 v10, 31, v10
	v_and_b32_e32 v8, exec_hi, v8
	v_xor_b32_e32 v11, s49, v10
	v_xor_b32_e32 v10, s48, v10
	v_and_b32_e32 v8, v8, v11
	v_and_b32_e32 v90, v90, v10
	v_lshlrev_b32_e32 v11, 29, v88
	v_mov_b32_e32 v10, v9
	v_cmp_gt_i64_e64 s[48:49], 0, v[10:11]
	v_not_b32_e32 v10, v11
	v_ashrrev_i32_e32 v10, 31, v10
	v_xor_b32_e32 v11, s49, v10
	v_xor_b32_e32 v10, s48, v10
	v_and_b32_e32 v8, v8, v11
	v_and_b32_e32 v90, v90, v10
	v_lshlrev_b32_e32 v11, 28, v88
	v_mov_b32_e32 v10, v9
	v_cmp_gt_i64_e64 s[48:49], 0, v[10:11]
	v_not_b32_e32 v10, v11
	v_ashrrev_i32_e32 v10, 31, v10
	;; [unrolled: 9-line block ×4, first 2 shown]
	v_xor_b32_e32 v11, s49, v10
	v_xor_b32_e32 v10, s48, v10
	v_and_b32_e32 v10, v90, v10
	v_and_b32_e32 v11, v8, v11
	v_mbcnt_lo_u32_b32 v8, v10, 0
	v_mbcnt_hi_u32_b32 v88, v11, v8
	v_cmp_eq_u32_e64 s[48:49], 0, v88
	v_cmp_ne_u64_e64 s[50:51], 0, v[10:11]
	s_and_b64 s[48:49], s[50:51], s[48:49]
	; wave barrier
	s_and_saveexec_b64 s[16:17], s[48:49]
	s_cbranch_execz .LBB975_83
; %bb.82:
	v_bcnt_u32_b32 v8, v10, 0
	v_bcnt_u32_b32 v8, v11, v8
	s_waitcnt lgkmcnt(0)
	v_add_u32_e32 v8, v55, v8
	ds_write_b32 v89, v8 offset:32
.LBB975_83:
	s_or_b64 exec, exec, s[16:17]
	v_lshrrev_b32_e32 v8, s96, v51
	v_and_b32_e32 v90, s5, v8
	v_mad_u32_u24 v8, v90, 36, v43
	; wave barrier
	ds_read_b32 v51, v8 offset:32
	v_and_b32_e32 v8, 1, v90
	v_lshl_add_u64 v[10:11], v[8:9], 0, -1
	v_cmp_ne_u32_e64 s[48:49], 0, v8
	v_mul_u32_u24_e32 v91, 36, v90
	v_add_u32_e32 v91, v43, v91
	v_xor_b32_e32 v10, s48, v10
	v_xor_b32_e32 v8, s49, v11
	v_and_b32_e32 v92, exec_lo, v10
	v_lshlrev_b32_e32 v11, 30, v90
	v_mov_b32_e32 v10, v9
	v_cmp_gt_i64_e64 s[48:49], 0, v[10:11]
	v_not_b32_e32 v10, v11
	v_ashrrev_i32_e32 v10, 31, v10
	v_and_b32_e32 v8, exec_hi, v8
	v_xor_b32_e32 v11, s49, v10
	v_xor_b32_e32 v10, s48, v10
	v_and_b32_e32 v8, v8, v11
	v_and_b32_e32 v92, v92, v10
	v_lshlrev_b32_e32 v11, 29, v90
	v_mov_b32_e32 v10, v9
	v_cmp_gt_i64_e64 s[48:49], 0, v[10:11]
	v_not_b32_e32 v10, v11
	v_ashrrev_i32_e32 v10, 31, v10
	v_xor_b32_e32 v11, s49, v10
	v_xor_b32_e32 v10, s48, v10
	v_and_b32_e32 v8, v8, v11
	v_and_b32_e32 v92, v92, v10
	v_lshlrev_b32_e32 v11, 28, v90
	v_mov_b32_e32 v10, v9
	v_cmp_gt_i64_e64 s[48:49], 0, v[10:11]
	v_not_b32_e32 v10, v11
	v_ashrrev_i32_e32 v10, 31, v10
	;; [unrolled: 9-line block ×3, first 2 shown]
	v_xor_b32_e32 v11, s49, v10
	v_xor_b32_e32 v10, s48, v10
	v_and_b32_e32 v8, v8, v11
	v_lshlrev_b32_e32 v11, 26, v90
	v_and_b32_e32 v92, v92, v10
	v_mov_b32_e32 v10, v9
	v_not_b32_e32 v9, v11
	v_cmp_gt_i64_e64 s[48:49], 0, v[10:11]
	v_ashrrev_i32_e32 v9, 31, v9
	s_nop 0
	v_xor_b32_e32 v10, s49, v9
	v_xor_b32_e32 v11, s48, v9
	v_and_b32_e32 v9, v8, v10
	v_and_b32_e32 v8, v92, v11
	v_mbcnt_lo_u32_b32 v10, v8, 0
	v_mbcnt_hi_u32_b32 v90, v9, v10
	v_cmp_eq_u32_e64 s[48:49], 0, v90
	v_cmp_ne_u64_e64 s[50:51], 0, v[8:9]
	s_and_b64 s[48:49], s[50:51], s[48:49]
	; wave barrier
	s_and_saveexec_b64 s[16:17], s[48:49]
	s_cbranch_execz .LBB975_85
; %bb.84:
	v_bcnt_u32_b32 v8, v8, 0
	v_bcnt_u32_b32 v8, v9, v8
	s_waitcnt lgkmcnt(0)
	v_add_u32_e32 v8, v51, v8
	ds_write_b32 v91, v8 offset:32
.LBB975_85:
	s_or_b64 exec, exec, s[16:17]
	v_lshrrev_b32_e32 v8, s96, v49
	v_and_b32_e32 v92, s5, v8
	v_mad_u32_u24 v8, v92, 36, v43
	; wave barrier
	ds_read_b32 v49, v8 offset:32
	v_and_b32_e32 v8, 1, v92
	v_mov_b32_e32 v9, 0
	v_lshl_add_u64 v[10:11], v[8:9], 0, -1
	v_cmp_ne_u32_e64 s[48:49], 0, v8
	v_mul_u32_u24_e32 v93, 36, v92
	s_nop 0
	v_xor_b32_e32 v10, s48, v10
	v_xor_b32_e32 v8, s49, v11
	v_and_b32_e32 v94, exec_lo, v10
	v_lshlrev_b32_e32 v11, 30, v92
	v_mov_b32_e32 v10, v9
	v_cmp_gt_i64_e64 s[48:49], 0, v[10:11]
	v_not_b32_e32 v10, v11
	v_ashrrev_i32_e32 v10, 31, v10
	v_and_b32_e32 v8, exec_hi, v8
	v_xor_b32_e32 v11, s49, v10
	v_xor_b32_e32 v10, s48, v10
	v_and_b32_e32 v8, v8, v11
	v_and_b32_e32 v94, v94, v10
	v_lshlrev_b32_e32 v11, 29, v92
	v_mov_b32_e32 v10, v9
	v_cmp_gt_i64_e64 s[48:49], 0, v[10:11]
	v_not_b32_e32 v10, v11
	v_ashrrev_i32_e32 v10, 31, v10
	v_xor_b32_e32 v11, s49, v10
	v_xor_b32_e32 v10, s48, v10
	v_and_b32_e32 v8, v8, v11
	v_and_b32_e32 v94, v94, v10
	v_lshlrev_b32_e32 v11, 28, v92
	v_mov_b32_e32 v10, v9
	v_cmp_gt_i64_e64 s[48:49], 0, v[10:11]
	v_not_b32_e32 v10, v11
	v_ashrrev_i32_e32 v10, 31, v10
	;; [unrolled: 9-line block ×4, first 2 shown]
	v_xor_b32_e32 v11, s49, v10
	v_xor_b32_e32 v10, s48, v10
	v_and_b32_e32 v10, v94, v10
	v_and_b32_e32 v11, v8, v11
	v_mbcnt_lo_u32_b32 v8, v10, 0
	v_mbcnt_hi_u32_b32 v92, v11, v8
	v_cmp_eq_u32_e64 s[48:49], 0, v92
	v_cmp_ne_u64_e64 s[50:51], 0, v[10:11]
	s_and_b64 s[48:49], s[50:51], s[48:49]
	v_add_u32_e32 v94, v43, v93
	; wave barrier
	s_and_saveexec_b64 s[16:17], s[48:49]
	s_cbranch_execz .LBB975_87
; %bb.86:
	v_bcnt_u32_b32 v8, v10, 0
	v_bcnt_u32_b32 v8, v11, v8
	s_waitcnt lgkmcnt(0)
	v_add_u32_e32 v8, v49, v8
	ds_write_b32 v94, v8 offset:32
.LBB975_87:
	s_or_b64 exec, exec, s[16:17]
	v_lshrrev_b32_e32 v8, s96, v44
	v_and_b32_e32 v44, s5, v8
	v_mad_u32_u24 v8, v44, 36, v43
	; wave barrier
	ds_read_b32 v93, v8 offset:32
	v_and_b32_e32 v8, 1, v44
	v_lshl_add_u64 v[10:11], v[8:9], 0, -1
	v_cmp_ne_u32_e64 s[48:49], 0, v8
	v_mul_u32_u24_e32 v96, 36, v44
	s_nop 0
	v_xor_b32_e32 v10, s48, v10
	v_xor_b32_e32 v8, s49, v11
	v_and_b32_e32 v95, exec_lo, v10
	v_lshlrev_b32_e32 v11, 30, v44
	v_mov_b32_e32 v10, v9
	v_cmp_gt_i64_e64 s[48:49], 0, v[10:11]
	v_not_b32_e32 v10, v11
	v_ashrrev_i32_e32 v10, 31, v10
	v_and_b32_e32 v8, exec_hi, v8
	v_xor_b32_e32 v11, s49, v10
	v_xor_b32_e32 v10, s48, v10
	v_and_b32_e32 v8, v8, v11
	v_and_b32_e32 v95, v95, v10
	v_lshlrev_b32_e32 v11, 29, v44
	v_mov_b32_e32 v10, v9
	v_cmp_gt_i64_e64 s[48:49], 0, v[10:11]
	v_not_b32_e32 v10, v11
	v_ashrrev_i32_e32 v10, 31, v10
	v_xor_b32_e32 v11, s49, v10
	v_xor_b32_e32 v10, s48, v10
	v_and_b32_e32 v8, v8, v11
	v_and_b32_e32 v95, v95, v10
	v_lshlrev_b32_e32 v11, 28, v44
	v_mov_b32_e32 v10, v9
	v_cmp_gt_i64_e64 s[48:49], 0, v[10:11]
	v_not_b32_e32 v10, v11
	v_ashrrev_i32_e32 v10, 31, v10
	;; [unrolled: 9-line block ×3, first 2 shown]
	v_xor_b32_e32 v11, s49, v10
	v_xor_b32_e32 v10, s48, v10
	v_and_b32_e32 v8, v8, v11
	v_lshlrev_b32_e32 v11, 26, v44
	v_and_b32_e32 v95, v95, v10
	v_mov_b32_e32 v10, v9
	v_not_b32_e32 v9, v11
	v_cmp_gt_i64_e64 s[48:49], 0, v[10:11]
	v_ashrrev_i32_e32 v9, 31, v9
	v_add_u32_e32 v44, v43, v96
	v_xor_b32_e32 v10, s49, v9
	v_xor_b32_e32 v11, s48, v9
	v_and_b32_e32 v9, v8, v10
	v_and_b32_e32 v8, v95, v11
	v_mbcnt_lo_u32_b32 v10, v8, 0
	v_mbcnt_hi_u32_b32 v95, v9, v10
	v_cmp_eq_u32_e64 s[48:49], 0, v95
	v_cmp_ne_u64_e64 s[50:51], 0, v[8:9]
	s_and_b64 s[48:49], s[50:51], s[48:49]
	; wave barrier
	s_and_saveexec_b64 s[16:17], s[48:49]
	s_cbranch_execz .LBB975_89
; %bb.88:
	v_bcnt_u32_b32 v8, v8, 0
	v_bcnt_u32_b32 v8, v9, v8
	s_waitcnt lgkmcnt(0)
	v_add_u32_e32 v8, v93, v8
	ds_write_b32 v44, v8 offset:32
.LBB975_89:
	s_or_b64 exec, exec, s[16:17]
	v_lshrrev_b32_e32 v8, s96, v40
	v_and_b32_e32 v40, s5, v8
	v_mad_u32_u24 v8, v40, 36, v43
	; wave barrier
	ds_read_b32 v96, v8 offset:32
	v_and_b32_e32 v8, 1, v40
	v_mov_b32_e32 v9, 0
	v_lshl_add_u64 v[10:11], v[8:9], 0, -1
	v_cmp_ne_u32_e64 s[48:49], 0, v8
	v_mul_u32_u24_e32 v98, 36, v40
	s_nop 0
	v_xor_b32_e32 v10, s48, v10
	v_xor_b32_e32 v8, s49, v11
	v_and_b32_e32 v97, exec_lo, v10
	v_lshlrev_b32_e32 v11, 30, v40
	v_mov_b32_e32 v10, v9
	v_cmp_gt_i64_e64 s[48:49], 0, v[10:11]
	v_not_b32_e32 v10, v11
	v_ashrrev_i32_e32 v10, 31, v10
	v_and_b32_e32 v8, exec_hi, v8
	v_xor_b32_e32 v11, s49, v10
	v_xor_b32_e32 v10, s48, v10
	v_and_b32_e32 v8, v8, v11
	v_and_b32_e32 v97, v97, v10
	v_lshlrev_b32_e32 v11, 29, v40
	v_mov_b32_e32 v10, v9
	v_cmp_gt_i64_e64 s[48:49], 0, v[10:11]
	v_not_b32_e32 v10, v11
	v_ashrrev_i32_e32 v10, 31, v10
	v_xor_b32_e32 v11, s49, v10
	v_xor_b32_e32 v10, s48, v10
	v_and_b32_e32 v8, v8, v11
	v_and_b32_e32 v97, v97, v10
	v_lshlrev_b32_e32 v11, 28, v40
	v_mov_b32_e32 v10, v9
	v_cmp_gt_i64_e64 s[48:49], 0, v[10:11]
	v_not_b32_e32 v10, v11
	v_ashrrev_i32_e32 v10, 31, v10
	;; [unrolled: 9-line block ×4, first 2 shown]
	v_xor_b32_e32 v11, s49, v10
	v_xor_b32_e32 v10, s48, v10
	v_and_b32_e32 v10, v97, v10
	v_and_b32_e32 v11, v8, v11
	v_mbcnt_lo_u32_b32 v8, v10, 0
	v_mbcnt_hi_u32_b32 v97, v11, v8
	v_cmp_eq_u32_e64 s[48:49], 0, v97
	v_cmp_ne_u64_e64 s[50:51], 0, v[10:11]
	s_and_b64 s[48:49], s[50:51], s[48:49]
	v_add_u32_e32 v40, v43, v98
	; wave barrier
	s_and_saveexec_b64 s[16:17], s[48:49]
	s_cbranch_execz .LBB975_91
; %bb.90:
	v_bcnt_u32_b32 v8, v10, 0
	v_bcnt_u32_b32 v8, v11, v8
	s_waitcnt lgkmcnt(0)
	v_add_u32_e32 v8, v96, v8
	ds_write_b32 v40, v8 offset:32
.LBB975_91:
	s_or_b64 exec, exec, s[16:17]
	v_lshrrev_b32_e32 v8, s96, v36
	v_and_b32_e32 v11, s5, v8
	v_mad_u32_u24 v8, v11, 36, v43
	; wave barrier
	ds_read_b32 v10, v8 offset:32
	v_and_b32_e32 v8, 1, v11
	v_lshl_add_u64 v[98:99], v[8:9], 0, -1
	v_cmp_ne_u32_e64 s[48:49], 0, v8
	v_mul_u32_u24_e32 v36, 36, v11
	v_add_u32_e32 v36, v43, v36
	v_xor_b32_e32 v98, s48, v98
	v_xor_b32_e32 v8, s49, v99
	v_and_b32_e32 v100, exec_lo, v98
	v_lshlrev_b32_e32 v99, 30, v11
	v_mov_b32_e32 v98, v9
	v_cmp_gt_i64_e64 s[48:49], 0, v[98:99]
	v_not_b32_e32 v98, v99
	v_ashrrev_i32_e32 v98, 31, v98
	v_and_b32_e32 v8, exec_hi, v8
	v_xor_b32_e32 v99, s49, v98
	v_xor_b32_e32 v98, s48, v98
	v_and_b32_e32 v8, v8, v99
	v_and_b32_e32 v100, v100, v98
	v_lshlrev_b32_e32 v99, 29, v11
	v_mov_b32_e32 v98, v9
	v_cmp_gt_i64_e64 s[48:49], 0, v[98:99]
	v_not_b32_e32 v98, v99
	v_ashrrev_i32_e32 v98, 31, v98
	v_xor_b32_e32 v99, s49, v98
	v_xor_b32_e32 v98, s48, v98
	v_and_b32_e32 v8, v8, v99
	v_and_b32_e32 v100, v100, v98
	v_lshlrev_b32_e32 v99, 28, v11
	v_mov_b32_e32 v98, v9
	v_cmp_gt_i64_e64 s[48:49], 0, v[98:99]
	v_not_b32_e32 v98, v99
	v_ashrrev_i32_e32 v98, 31, v98
	v_xor_b32_e32 v99, s49, v98
	v_xor_b32_e32 v98, s48, v98
	v_and_b32_e32 v8, v8, v99
	v_and_b32_e32 v100, v100, v98
	v_lshlrev_b32_e32 v99, 27, v11
	v_mov_b32_e32 v98, v9
	v_cmp_gt_i64_e64 s[48:49], 0, v[98:99]
	v_not_b32_e32 v98, v99
	v_ashrrev_i32_e32 v98, 31, v98
	v_xor_b32_e32 v99, s49, v98
	v_xor_b32_e32 v98, s48, v98
	v_and_b32_e32 v8, v8, v99
	v_lshlrev_b32_e32 v99, 26, v11
	v_and_b32_e32 v100, v100, v98
	v_mov_b32_e32 v98, v9
	v_not_b32_e32 v9, v99
	v_cmp_gt_i64_e64 s[48:49], 0, v[98:99]
	v_ashrrev_i32_e32 v9, 31, v9
	s_nop 0
	v_xor_b32_e32 v11, s49, v9
	v_xor_b32_e32 v98, s48, v9
	v_and_b32_e32 v9, v8, v11
	v_and_b32_e32 v8, v100, v98
	v_mbcnt_lo_u32_b32 v11, v8, 0
	v_mbcnt_hi_u32_b32 v11, v9, v11
	v_cmp_eq_u32_e64 s[48:49], 0, v11
	v_cmp_ne_u64_e64 s[50:51], 0, v[8:9]
	s_and_b64 s[48:49], s[50:51], s[48:49]
	; wave barrier
	s_and_saveexec_b64 s[16:17], s[48:49]
	s_cbranch_execz .LBB975_93
; %bb.92:
	v_bcnt_u32_b32 v8, v8, 0
	v_bcnt_u32_b32 v8, v9, v8
	s_waitcnt lgkmcnt(0)
	v_add_u32_e32 v8, v10, v8
	ds_write_b32 v36, v8 offset:32
.LBB975_93:
	s_or_b64 exec, exec, s[16:17]
	; wave barrier
	s_waitcnt lgkmcnt(0)
	s_barrier
	ds_read_b64 v[8:9], v33 offset:32
	v_and_b32_e32 v43, 15, v15
	v_cmp_ne_u32_e64 s[48:49], 0, v43
	v_min_u32_e32 v18, 0x1c0, v18
	v_or_b32_e32 v18, 63, v18
	s_waitcnt lgkmcnt(0)
	v_add_u32_e32 v9, v9, v8
	s_nop 1
	v_mov_b32_dpp v98, v9 row_shr:1 row_mask:0xf bank_mask:0xf
	v_cndmask_b32_e64 v98, 0, v98, s[48:49]
	v_add_u32_e32 v9, v98, v9
	v_cmp_lt_u32_e64 s[48:49], 1, v43
	s_nop 0
	v_mov_b32_dpp v98, v9 row_shr:2 row_mask:0xf bank_mask:0xf
	v_cndmask_b32_e64 v98, 0, v98, s[48:49]
	v_add_u32_e32 v9, v9, v98
	v_cmp_lt_u32_e64 s[48:49], 3, v43
	;; [unrolled: 5-line block ×3, first 2 shown]
	s_nop 0
	v_mov_b32_dpp v98, v9 row_shr:8 row_mask:0xf bank_mask:0xf
	v_cndmask_b32_e64 v43, 0, v98, s[48:49]
	v_add_u32_e32 v9, v9, v43
	v_bfe_i32 v98, v15, 4, 1
	v_cmp_lt_u32_e64 s[48:49], 31, v15
	v_mov_b32_dpp v43, v9 row_bcast:15 row_mask:0xf bank_mask:0xf
	v_and_b32_e32 v43, v98, v43
	v_add_u32_e32 v9, v9, v43
	s_nop 1
	v_mov_b32_dpp v43, v9 row_bcast:31 row_mask:0xf bank_mask:0xf
	v_cndmask_b32_e64 v43, 0, v43, s[48:49]
	v_add_u32_e32 v9, v9, v43
	v_lshrrev_b32_e32 v43, 6, v2
	v_cmp_eq_u32_e64 s[48:49], v2, v18
	s_and_saveexec_b64 s[16:17], s[48:49]
; %bb.94:
	v_lshlrev_b32_e32 v18, 2, v43
	ds_write_b32 v18, v9
; %bb.95:
	s_or_b64 exec, exec, s[16:17]
	v_cmp_gt_u32_e64 s[48:49], 8, v2
	s_waitcnt lgkmcnt(0)
	s_barrier
	s_and_saveexec_b64 s[50:51], s[48:49]
	s_cbranch_execz .LBB975_97
; %bb.96:
	v_lshlrev_b32_e32 v18, 2, v2
	ds_read_b32 v98, v18
	v_and_b32_e32 v99, 7, v15
	v_cmp_ne_u32_e64 s[48:49], 0, v99
	s_waitcnt lgkmcnt(0)
	v_mov_b32_dpp v100, v98 row_shr:1 row_mask:0xf bank_mask:0xf
	v_cndmask_b32_e64 v100, 0, v100, s[48:49]
	v_add_u32_e32 v98, v100, v98
	v_cmp_lt_u32_e64 s[48:49], 1, v99
	s_nop 0
	v_mov_b32_dpp v100, v98 row_shr:2 row_mask:0xf bank_mask:0xf
	v_cndmask_b32_e64 v100, 0, v100, s[48:49]
	v_add_u32_e32 v98, v98, v100
	v_cmp_lt_u32_e64 s[48:49], 3, v99
	s_nop 0
	v_mov_b32_dpp v100, v98 row_shr:4 row_mask:0xf bank_mask:0xf
	v_cndmask_b32_e64 v99, 0, v100, s[48:49]
	v_add_u32_e32 v98, v98, v99
	ds_write_b32 v18, v98
.LBB975_97:
	s_or_b64 exec, exec, s[50:51]
	v_cmp_gt_u32_e64 s[50:51], 64, v2
	v_cmp_lt_u32_e64 s[48:49], 63, v2
	v_mov_b32_e32 v18, 0
	s_waitcnt lgkmcnt(0)
	s_barrier
	s_and_saveexec_b64 s[16:17], s[48:49]
; %bb.98:
	v_lshl_add_u32 v18, v43, 2, -4
	ds_read_b32 v18, v18
; %bb.99:
	s_or_b64 exec, exec, s[16:17]
	v_subrev_co_u32_e64 v43, s[52:53], 1, v15
	v_and_b32_e32 v98, 64, v15
	v_cmp_lt_i32_e64 s[54:55], v43, v98
	s_waitcnt lgkmcnt(0)
	v_add_u32_e32 v9, v18, v9
	v_cndmask_b32_e64 v15, v43, v15, s[54:55]
	v_lshlrev_b32_e32 v15, 2, v15
	ds_bpermute_b32 v9, v15, v9
                                        ; implicit-def: $vgpr15
	s_waitcnt lgkmcnt(0)
	v_cndmask_b32_e64 v9, v9, v18, s[52:53]
	v_cndmask_b32_e64 v98, v9, 0, s[94:95]
	v_add_u32_e32 v99, v98, v8
	ds_write_b64 v33, v[98:99] offset:32
	s_waitcnt lgkmcnt(0)
	s_barrier
	ds_read_b32 v8, v37 offset:32
	ds_read_b32 v9, v41 offset:32
	;; [unrolled: 1-line block ×22, first 2 shown]
                                        ; implicit-def: $vgpr18
	s_and_saveexec_b64 s[54:55], s[50:51]
	s_cbranch_execz .LBB975_103
; %bb.100:
	v_mul_u32_u24_e32 v15, 36, v2
	ds_read_b32 v15, v15 offset:32
	v_add_u32_e32 v36, 1, v2
	v_cmp_ne_u32_e64 s[52:53], 64, v36
	v_mov_b32_e32 v18, 0x2c00
	s_and_saveexec_b64 s[16:17], s[52:53]
; %bb.101:
	v_mul_u32_u24_e32 v18, 36, v36
	ds_read_b32 v18, v18 offset:32
; %bb.102:
	s_or_b64 exec, exec, s[16:17]
	s_waitcnt lgkmcnt(0)
	v_sub_u32_e32 v18, v18, v15
.LBB975_103:
	s_or_b64 exec, exec, s[54:55]
	s_waitcnt lgkmcnt(14)
	v_add_u32_e32 v75, v8, v34
	v_add3_u32 v67, v38, v35, v9
	v_add3_u32 v62, v42, v39, v33
	;; [unrolled: 1-line block ×7, first 2 shown]
	s_waitcnt lgkmcnt(13)
	v_add3_u32 v47, v68, v66, v63
	s_waitcnt lgkmcnt(12)
	v_add3_u32 v45, v73, v70, v72
	;; [unrolled: 2-line block ×10, first 2 shown]
	v_lshlrev_b32_e32 v83, 1, v75
	v_lshlrev_b32_e32 v78, 1, v67
	;; [unrolled: 1-line block ×13, first 2 shown]
	v_add3_u32 v39, v87, v86, v99
	s_waitcnt lgkmcnt(2)
	v_add3_u32 v35, v95, v93, v100
	s_waitcnt lgkmcnt(1)
	;; [unrolled: 2-line block ×3, first 2 shown]
	v_add3_u32 v33, v11, v10, v102
	s_barrier
	ds_write_b16 v83, v5 offset:256
	ds_write_b16 v78, v3 offset:256
	;; [unrolled: 1-line block ×13, first 2 shown]
	v_lshlrev_b32_e32 v24, 1, v41
	ds_write_b16 v24, v23 offset:256
	v_lshlrev_b32_e32 v23, 1, v40
	v_lshlrev_b32_e32 v22, 1, v39
	;; [unrolled: 1-line block ×8, first 2 shown]
	v_mov_b32_e32 v9, 0
	v_lshlrev_b32_e32 v3, 2, v2
	ds_write_b16 v23, v26 offset:256
	ds_write_b16 v22, v25 offset:256
	;; [unrolled: 1-line block ×8, first 2 shown]
	s_and_saveexec_b64 s[52:53], s[50:51]
	s_cbranch_execz .LBB975_113
; %bb.104:
	v_lshl_add_u32 v8, s33, 6, v2
	v_lshl_add_u64 v[10:11], v[8:9], 2, s[6:7]
	v_or_b32_e32 v5, 2.0, v18
	global_store_dword v[10:11], v5, off sc1
	s_mov_b64 s[54:55], 0
	s_brev_b32 s58, -4
	s_mov_b32 s59, s33
	v_mov_b32_e32 v5, 0
                                        ; implicit-def: $sgpr50_sgpr51
	s_branch .LBB975_107
.LBB975_105:                            ;   in Loop: Header=BB975_107 Depth=1
	s_or_b64 exec, exec, s[16:17]
.LBB975_106:                            ;   in Loop: Header=BB975_107 Depth=1
	s_or_b64 exec, exec, s[56:57]
	v_and_b32_e32 v8, 0x3fffffff, v7
	v_add_u32_e32 v5, v8, v5
	v_cmp_gt_i32_e64 s[50:51], -2.0, v7
	s_and_b64 s[16:17], exec, s[50:51]
	s_or_b64 s[54:55], s[16:17], s[54:55]
	s_andn2_b64 exec, exec, s[54:55]
	s_cbranch_execz .LBB975_112
.LBB975_107:                            ; =>This Loop Header: Depth=1
                                        ;     Child Loop BB975_110 Depth 2
	s_or_b64 s[50:51], s[50:51], exec
	s_cmp_eq_u32 s59, 0
	s_cbranch_scc1 .LBB975_111
; %bb.108:                              ;   in Loop: Header=BB975_107 Depth=1
	s_add_i32 s59, s59, -1
	v_lshl_or_b32 v8, s59, 6, v2
	v_lshl_add_u64 v[12:13], v[8:9], 2, s[6:7]
	global_load_dword v7, v[12:13], off sc1
	s_waitcnt vmcnt(0)
	v_cmp_gt_u32_e64 s[50:51], 2.0, v7
	s_and_saveexec_b64 s[56:57], s[50:51]
	s_cbranch_execz .LBB975_106
; %bb.109:                              ;   in Loop: Header=BB975_107 Depth=1
	s_mov_b64 s[16:17], 0
.LBB975_110:                            ;   Parent Loop BB975_107 Depth=1
                                        ; =>  This Inner Loop Header: Depth=2
	global_load_dword v7, v[12:13], off sc1
	s_waitcnt vmcnt(0)
	v_cmp_lt_u32_e64 s[50:51], s58, v7
	s_or_b64 s[16:17], s[50:51], s[16:17]
	s_andn2_b64 exec, exec, s[16:17]
	s_cbranch_execnz .LBB975_110
	s_branch .LBB975_105
.LBB975_111:                            ;   in Loop: Header=BB975_107 Depth=1
                                        ; implicit-def: $sgpr59
	s_and_b64 s[16:17], exec, s[50:51]
	s_or_b64 s[54:55], s[16:17], s[54:55]
	s_andn2_b64 exec, exec, s[54:55]
	s_cbranch_execnz .LBB975_107
.LBB975_112:
	s_or_b64 exec, exec, s[54:55]
	s_load_dwordx4 s[16:19], s[0:1], 0x28
	v_add_u32_e32 v7, v5, v18
	v_or_b32_e32 v7, 0x80000000, v7
	global_store_dword v[10:11], v7, off sc1
	v_sub_u32_e32 v5, v5, v15
	s_waitcnt lgkmcnt(0)
	global_load_dword v7, v3, s[16:17]
	s_waitcnt vmcnt(0)
	v_add_u32_e32 v5, v5, v7
	ds_write_b32 v3, v5
.LBB975_113:
	s_or_b64 exec, exec, s[52:53]
	v_cmp_gt_u32_e64 s[50:51], s3, v2
	v_mov_b32_e32 v8, 0
	v_mov_b32_e32 v11, 0
	s_waitcnt lgkmcnt(0)
	s_barrier
	s_and_saveexec_b64 s[52:53], s[50:51]
	s_cbranch_execz .LBB975_115
; %bb.114:
	v_lshlrev_b32_e32 v5, 1, v2
	v_sub_u32_e32 v5, v3, v5
	ds_read_u16 v5, v5 offset:256
	v_mov_b32_e32 v13, 0
	s_waitcnt lgkmcnt(0)
	v_lshrrev_b32_sdwa v7, s96, v5 dst_sel:DWORD dst_unused:UNUSED_PAD src0_sel:DWORD src1_sel:WORD_0
	v_and_b32_e32 v11, s5, v7
	v_lshlrev_b32_e32 v7, 2, v11
	ds_read_b32 v7, v7
	s_waitcnt lgkmcnt(0)
	v_add_u32_e32 v12, v7, v2
	v_lshl_add_u64 v[12:13], v[12:13], 1, s[10:11]
	global_store_short v[12:13], v5, off
.LBB975_115:
	s_or_b64 exec, exec, s[52:53]
	v_add_u32_e32 v10, 0x200, v2
	v_cmp_gt_u32_e64 s[52:53], s3, v10
	s_and_saveexec_b64 s[54:55], s[52:53]
	s_cbranch_execz .LBB975_117
; %bb.116:
	v_lshlrev_b32_e32 v5, 1, v2
	v_sub_u32_e32 v5, v3, v5
	ds_read_u16 v5, v5 offset:1280
	v_mov_b32_e32 v13, 0
	s_waitcnt lgkmcnt(0)
	v_lshrrev_b32_sdwa v7, s96, v5 dst_sel:DWORD dst_unused:UNUSED_PAD src0_sel:DWORD src1_sel:WORD_0
	v_and_b32_e32 v8, s5, v7
	v_lshlrev_b32_e32 v7, 2, v8
	ds_read_b32 v7, v7
	s_waitcnt lgkmcnt(0)
	v_add_u32_e32 v12, v7, v10
	v_lshl_add_u64 v[12:13], v[12:13], 1, s[10:11]
	global_store_short v[12:13], v5, off
.LBB975_117:
	s_or_b64 exec, exec, s[54:55]
	v_or_b32_e32 v12, 0x400, v2
	v_cmp_gt_u32_e64 s[54:55], s3, v12
	v_mov_b32_e32 v9, 0
	v_mov_b32_e32 v26, 0
	s_and_saveexec_b64 s[56:57], s[54:55]
	s_cbranch_execz .LBB975_119
; %bb.118:
	v_lshlrev_b32_e32 v5, 1, v2
	v_sub_u32_e32 v5, v3, v5
	ds_read_u16 v5, v5 offset:2304
	v_mov_b32_e32 v29, 0
	s_waitcnt lgkmcnt(0)
	v_lshrrev_b32_sdwa v7, s96, v5 dst_sel:DWORD dst_unused:UNUSED_PAD src0_sel:DWORD src1_sel:WORD_0
	v_and_b32_e32 v26, s5, v7
	v_lshlrev_b32_e32 v7, 2, v26
	ds_read_b32 v7, v7
	s_waitcnt lgkmcnt(0)
	v_add_u32_e32 v28, v7, v12
	v_lshl_add_u64 v[28:29], v[28:29], 1, s[10:11]
	global_store_short v[28:29], v5, off
.LBB975_119:
	s_or_b64 exec, exec, s[56:57]
	v_add_u32_e32 v25, 0x600, v2
	v_cmp_gt_u32_e64 s[56:57], s3, v25
	s_and_saveexec_b64 s[58:59], s[56:57]
	s_cbranch_execz .LBB975_121
; %bb.120:
	v_lshlrev_b32_e32 v5, 1, v2
	v_sub_u32_e32 v5, v3, v5
	ds_read_u16 v5, v5 offset:3328
	v_mov_b32_e32 v29, 0
	s_waitcnt lgkmcnt(0)
	v_lshrrev_b32_sdwa v7, s96, v5 dst_sel:DWORD dst_unused:UNUSED_PAD src0_sel:DWORD src1_sel:WORD_0
	v_and_b32_e32 v9, s5, v7
	v_lshlrev_b32_e32 v7, 2, v9
	ds_read_b32 v7, v7
	s_waitcnt lgkmcnt(0)
	v_add_u32_e32 v28, v7, v25
	v_lshl_add_u64 v[28:29], v[28:29], 1, s[10:11]
	global_store_short v[28:29], v5, off
.LBB975_121:
	s_or_b64 exec, exec, s[58:59]
	v_or_b32_e32 v27, 0x800, v2
	v_cmp_gt_u32_e64 s[58:59], s3, v27
	v_mov_b32_e32 v13, 0
	v_mov_b32_e32 v30, 0
	;; [unrolled: 42-line block ×3, first 2 shown]
	s_and_saveexec_b64 s[64:65], s[62:63]
	s_cbranch_execz .LBB975_127
; %bb.126:
	v_lshlrev_b32_e32 v5, 1, v2
	v_sub_u32_e32 v5, v3, v5
	ds_read_u16 v5, v5 offset:6400
	v_mov_b32_e32 v61, 0
	s_waitcnt lgkmcnt(0)
	v_lshrrev_b32_sdwa v7, s96, v5 dst_sel:DWORD dst_unused:UNUSED_PAD src0_sel:DWORD src1_sel:WORD_0
	v_and_b32_e32 v63, s5, v7
	v_lshlrev_b32_e32 v7, 2, v63
	ds_read_b32 v7, v7
	s_waitcnt lgkmcnt(0)
	v_add_u32_e32 v60, v7, v31
	v_lshl_add_u64 v[60:61], v[60:61], 1, s[10:11]
	global_store_short v[60:61], v5, off
.LBB975_127:
	s_or_b64 exec, exec, s[64:65]
	v_add_u32_e32 v60, 0xe00, v2
	v_cmp_gt_u32_e64 s[64:65], s3, v60
	s_and_saveexec_b64 s[66:67], s[64:65]
	s_cbranch_execz .LBB975_129
; %bb.128:
	v_lshlrev_b32_e32 v5, 1, v2
	ds_read_u16 v5, v5 offset:7424
	v_mov_b32_e32 v71, 0
	s_waitcnt lgkmcnt(0)
	v_lshrrev_b32_sdwa v7, s96, v5 dst_sel:DWORD dst_unused:UNUSED_PAD src0_sel:DWORD src1_sel:WORD_0
	v_and_b32_e32 v28, s5, v7
	v_lshlrev_b32_e32 v7, 2, v28
	ds_read_b32 v7, v7
	s_waitcnt lgkmcnt(0)
	v_add_u32_e32 v70, v7, v60
	v_lshl_add_u64 v[70:71], v[70:71], 1, s[10:11]
	global_store_short v[70:71], v5, off
.LBB975_129:
	s_or_b64 exec, exec, s[66:67]
	v_or_b32_e32 v61, 0x1000, v2
	v_cmp_gt_u32_e64 s[66:67], s3, v61
	v_mov_b32_e32 v32, 0
	v_mov_b32_e32 v70, 0
	s_and_saveexec_b64 s[68:69], s[66:67]
	s_cbranch_execz .LBB975_131
; %bb.130:
	v_lshlrev_b32_e32 v5, 1, v2
	ds_read_u16 v5, v5 offset:8448
	v_mov_b32_e32 v77, 0
	s_waitcnt lgkmcnt(0)
	v_lshrrev_b32_sdwa v7, s96, v5 dst_sel:DWORD dst_unused:UNUSED_PAD src0_sel:DWORD src1_sel:WORD_0
	v_and_b32_e32 v70, s5, v7
	v_lshlrev_b32_e32 v7, 2, v70
	ds_read_b32 v7, v7
	s_waitcnt lgkmcnt(0)
	v_add_u32_e32 v76, v7, v61
	v_lshl_add_u64 v[76:77], v[76:77], 1, s[10:11]
	global_store_short v[76:77], v5, off
.LBB975_131:
	s_or_b64 exec, exec, s[68:69]
	v_add_u32_e32 v66, 0x1200, v2
	v_cmp_gt_u32_e64 s[68:69], s3, v66
	s_and_saveexec_b64 s[70:71], s[68:69]
	s_cbranch_execz .LBB975_133
; %bb.132:
	v_lshlrev_b32_e32 v5, 1, v2
	ds_read_u16 v5, v5 offset:9472
	v_mov_b32_e32 v77, 0
	s_waitcnt lgkmcnt(0)
	v_lshrrev_b32_sdwa v7, s96, v5 dst_sel:DWORD dst_unused:UNUSED_PAD src0_sel:DWORD src1_sel:WORD_0
	v_and_b32_e32 v32, s5, v7
	v_lshlrev_b32_e32 v7, 2, v32
	ds_read_b32 v7, v7
	s_waitcnt lgkmcnt(0)
	v_add_u32_e32 v76, v7, v66
	v_lshl_add_u64 v[76:77], v[76:77], 1, s[10:11]
	global_store_short v[76:77], v5, off
.LBB975_133:
	s_or_b64 exec, exec, s[70:71]
	v_or_b32_e32 v69, 0x1400, v2
	v_cmp_gt_u32_e64 s[70:71], s3, v69
	v_mov_b32_e32 v64, 0
	v_mov_b32_e32 v76, 0
	s_and_saveexec_b64 s[72:73], s[70:71]
	s_cbranch_execz .LBB975_135
; %bb.134:
	v_lshlrev_b32_e32 v5, 1, v2
	ds_read_u16 v5, v5 offset:10496
	v_mov_b32_e32 v81, 0
	s_waitcnt lgkmcnt(0)
	v_lshrrev_b32_sdwa v7, s96, v5 dst_sel:DWORD dst_unused:UNUSED_PAD src0_sel:DWORD src1_sel:WORD_0
	v_and_b32_e32 v76, s5, v7
	v_lshlrev_b32_e32 v7, 2, v76
	ds_read_b32 v7, v7
	s_waitcnt lgkmcnt(0)
	v_add_u32_e32 v80, v7, v69
	v_lshl_add_u64 v[80:81], v[80:81], 1, s[10:11]
	global_store_short v[80:81], v5, off
.LBB975_135:
	;; [unrolled: 40-line block ×7, first 2 shown]
	s_or_b64 exec, exec, s[92:93]
	v_add_u32_e32 v95, 0x2a00, v2
	v_cmp_gt_u32_e64 s[92:93], s3, v95
	s_and_saveexec_b64 s[16:17], s[92:93]
	s_cbranch_execz .LBB975_157
; %bb.156:
	v_lshlrev_b32_e32 v5, 1, v2
	ds_read_u16 v5, v5 offset:21760
	v_mov_b32_e32 v99, 0
	s_waitcnt lgkmcnt(0)
	v_lshrrev_b32_sdwa v7, s96, v5 dst_sel:DWORD dst_unused:UNUSED_PAD src0_sel:DWORD src1_sel:WORD_0
	v_and_b32_e32 v91, s5, v7
	v_lshlrev_b32_e32 v7, 2, v91
	ds_read_b32 v7, v7
	s_waitcnt lgkmcnt(0)
	v_add_u32_e32 v98, v7, v95
	v_lshl_add_u64 v[98:99], v[98:99], 1, s[10:11]
	global_store_short v[98:99], v5, off
.LBB975_157:
	s_or_b64 exec, exec, s[16:17]
	s_add_u32 s16, s12, s98
	s_addc_u32 s17, s13, s99
	v_mov_b32_e32 v5, 0
	v_lshl_add_u64 v[98:99], s[16:17], 0, v[4:5]
	v_mov_b32_e32 v7, v5
	v_lshl_add_u64 v[4:5], v[98:99], 0, v[6:7]
                                        ; implicit-def: $vgpr6
	s_mov_b64 s[16:17], exec
	v_readlane_b32 s18, v117, 4
	v_readlane_b32 s19, v117, 5
	s_and_b64 s[18:19], s[16:17], s[18:19]
	s_xor_b64 s[16:17], s[18:19], s[16:17]
	s_mov_b64 exec, s[18:19]
	s_cbranch_execz .LBB975_159
; %bb.158:
	global_load_ushort v6, v[4:5], off
.LBB975_159:
	s_or_b64 exec, exec, s[16:17]
	v_readlane_b32 s18, v117, 6
	v_readlane_b32 s19, v117, 7
                                        ; implicit-def: $vgpr7
	s_and_saveexec_b64 s[16:17], s[18:19]
	s_cbranch_execz .LBB975_161
; %bb.160:
	global_load_ushort v7, v[4:5], off offset:128
.LBB975_161:
	s_or_b64 exec, exec, s[16:17]
	v_readlane_b32 s18, v117, 8
	v_readlane_b32 s19, v117, 9
                                        ; implicit-def: $vgpr97
	s_and_saveexec_b64 s[16:17], s[18:19]
	s_cbranch_execz .LBB975_163
; %bb.162:
	global_load_ushort v97, v[4:5], off offset:256
.LBB975_163:
	s_or_b64 exec, exec, s[16:17]
	v_readlane_b32 s18, v117, 10
	v_readlane_b32 s19, v117, 11
                                        ; implicit-def: $vgpr98
	s_and_saveexec_b64 s[16:17], s[18:19]
	s_cbranch_execz .LBB975_165
; %bb.164:
	global_load_ushort v98, v[4:5], off offset:384
.LBB975_165:
	s_or_b64 exec, exec, s[16:17]
	v_readlane_b32 s18, v117, 12
	v_readlane_b32 s19, v117, 13
                                        ; implicit-def: $vgpr99
	s_and_saveexec_b64 s[16:17], s[18:19]
	s_cbranch_execz .LBB975_167
; %bb.166:
	global_load_ushort v99, v[4:5], off offset:512
.LBB975_167:
	s_or_b64 exec, exec, s[16:17]
	v_readlane_b32 s18, v117, 14
	v_readlane_b32 s19, v117, 15
                                        ; implicit-def: $vgpr100
	s_and_saveexec_b64 s[16:17], s[18:19]
	s_cbranch_execz .LBB975_169
; %bb.168:
	global_load_ushort v100, v[4:5], off offset:640
.LBB975_169:
	s_or_b64 exec, exec, s[16:17]
	v_readlane_b32 s18, v117, 16
	v_readlane_b32 s19, v117, 17
                                        ; implicit-def: $vgpr101
	s_and_saveexec_b64 s[16:17], s[18:19]
	s_cbranch_execz .LBB975_171
; %bb.170:
	global_load_ushort v101, v[4:5], off offset:768
.LBB975_171:
	s_or_b64 exec, exec, s[16:17]
	v_readlane_b32 s18, v117, 18
	v_readlane_b32 s19, v117, 19
                                        ; implicit-def: $vgpr102
	s_and_saveexec_b64 s[16:17], s[18:19]
	s_cbranch_execz .LBB975_209
; %bb.172:
	global_load_ushort v102, v[4:5], off offset:896
	s_or_b64 exec, exec, s[16:17]
                                        ; implicit-def: $vgpr103
	s_and_saveexec_b64 s[16:17], vcc
	s_cbranch_execnz .LBB975_210
.LBB975_173:
	s_or_b64 exec, exec, s[16:17]
                                        ; implicit-def: $vgpr104
	s_and_saveexec_b64 s[16:17], s[20:21]
	s_cbranch_execz .LBB975_211
.LBB975_174:
	global_load_ushort v104, v[4:5], off offset:1152
	s_or_b64 exec, exec, s[16:17]
                                        ; implicit-def: $vgpr105
	s_and_saveexec_b64 s[16:17], s[22:23]
	s_cbranch_execnz .LBB975_212
.LBB975_175:
	s_or_b64 exec, exec, s[16:17]
                                        ; implicit-def: $vgpr106
	s_and_saveexec_b64 s[16:17], s[24:25]
	s_cbranch_execz .LBB975_213
.LBB975_176:
	global_load_ushort v106, v[4:5], off offset:1408
	s_or_b64 exec, exec, s[16:17]
                                        ; implicit-def: $vgpr107
	s_and_saveexec_b64 s[16:17], s[26:27]
	s_cbranch_execnz .LBB975_214
.LBB975_177:
	s_or_b64 exec, exec, s[16:17]
                                        ; implicit-def: $vgpr108
	s_and_saveexec_b64 s[16:17], s[28:29]
	s_cbranch_execz .LBB975_215
.LBB975_178:
	global_load_ushort v108, v[4:5], off offset:1664
	s_or_b64 exec, exec, s[16:17]
                                        ; implicit-def: $vgpr109
	s_and_saveexec_b64 s[16:17], s[30:31]
	s_cbranch_execnz .LBB975_216
.LBB975_179:
	s_or_b64 exec, exec, s[16:17]
                                        ; implicit-def: $vgpr110
	s_and_saveexec_b64 s[16:17], s[34:35]
	s_cbranch_execz .LBB975_217
.LBB975_180:
	global_load_ushort v110, v[4:5], off offset:1920
	s_or_b64 exec, exec, s[16:17]
                                        ; implicit-def: $vgpr111
	s_and_saveexec_b64 s[16:17], s[36:37]
	s_cbranch_execnz .LBB975_218
.LBB975_181:
	s_or_b64 exec, exec, s[16:17]
                                        ; implicit-def: $vgpr112
	s_and_saveexec_b64 s[16:17], s[38:39]
	s_cbranch_execz .LBB975_219
.LBB975_182:
	global_load_ushort v112, v[4:5], off offset:2176
	s_or_b64 exec, exec, s[16:17]
                                        ; implicit-def: $vgpr113
	s_and_saveexec_b64 s[16:17], s[40:41]
	s_cbranch_execnz .LBB975_220
.LBB975_183:
	s_or_b64 exec, exec, s[16:17]
                                        ; implicit-def: $vgpr114
	s_and_saveexec_b64 s[16:17], s[42:43]
	s_cbranch_execz .LBB975_221
.LBB975_184:
	global_load_ushort v114, v[4:5], off offset:2432
	s_or_b64 exec, exec, s[16:17]
                                        ; implicit-def: $vgpr115
	s_and_saveexec_b64 s[16:17], s[44:45]
	s_cbranch_execnz .LBB975_222
.LBB975_185:
	s_or_b64 exec, exec, s[16:17]
                                        ; implicit-def: $vgpr116
	s_and_saveexec_b64 s[16:17], s[46:47]
	s_cbranch_execz .LBB975_187
.LBB975_186:
	global_load_ushort v116, v[4:5], off offset:2688
.LBB975_187:
	s_or_b64 exec, exec, s[16:17]
	s_movk_i32 s3, 0x2c00
	v_cmp_gt_u32_e32 vcc, s3, v75
	s_barrier
	s_and_saveexec_b64 s[16:17], vcc
	s_cbranch_execz .LBB975_223
; %bb.188:
	s_waitcnt vmcnt(0)
	ds_write_b16 v83, v6 offset:256
	s_or_b64 exec, exec, s[16:17]
	v_cmp_gt_u32_e32 vcc, s3, v67
	s_and_saveexec_b64 s[16:17], vcc
	s_cbranch_execnz .LBB975_224
.LBB975_189:
	s_or_b64 exec, exec, s[16:17]
	v_cmp_gt_u32_e32 vcc, s3, v62
	s_and_saveexec_b64 s[16:17], vcc
	s_cbranch_execz .LBB975_225
.LBB975_190:
	s_waitcnt vmcnt(0)
	ds_write_b16 v73, v97 offset:256
	s_or_b64 exec, exec, s[16:17]
	v_cmp_gt_u32_e32 vcc, s3, v59
	s_and_saveexec_b64 s[16:17], vcc
	s_cbranch_execnz .LBB975_226
.LBB975_191:
	s_or_b64 exec, exec, s[16:17]
	v_cmp_gt_u32_e32 vcc, s3, v58
	s_and_saveexec_b64 s[16:17], vcc
	s_cbranch_execz .LBB975_227
.LBB975_192:
	s_waitcnt vmcnt(0)
	ds_write_b16 v65, v99 offset:256
	s_or_b64 exec, exec, s[16:17]
	v_cmp_gt_u32_e32 vcc, s3, v54
	s_and_saveexec_b64 s[16:17], vcc
	s_cbranch_execnz .LBB975_228
.LBB975_193:
	s_or_b64 exec, exec, s[16:17]
	v_cmp_gt_u32_e32 vcc, s3, v52
	s_and_saveexec_b64 s[16:17], vcc
	s_cbranch_execz .LBB975_229
.LBB975_194:
	s_waitcnt vmcnt(0)
	ds_write_b16 v56, v101 offset:256
	s_or_b64 exec, exec, s[16:17]
	v_cmp_gt_u32_e32 vcc, s3, v50
	s_and_saveexec_b64 s[16:17], vcc
	s_cbranch_execnz .LBB975_230
.LBB975_195:
	s_or_b64 exec, exec, s[16:17]
	v_cmp_gt_u32_e32 vcc, s3, v47
	s_and_saveexec_b64 s[16:17], vcc
	s_cbranch_execz .LBB975_231
.LBB975_196:
	s_waitcnt vmcnt(0)
	ds_write_b16 v53, v103 offset:256
	s_or_b64 exec, exec, s[16:17]
	v_cmp_gt_u32_e32 vcc, s3, v45
	s_and_saveexec_b64 s[16:17], vcc
	s_cbranch_execnz .LBB975_232
.LBB975_197:
	s_or_b64 exec, exec, s[16:17]
	v_cmp_gt_u32_e32 vcc, s3, v44
	s_and_saveexec_b64 s[16:17], vcc
	s_cbranch_execz .LBB975_233
.LBB975_198:
	s_waitcnt vmcnt(0)
	ds_write_b16 v49, v105 offset:256
	s_or_b64 exec, exec, s[16:17]
	v_cmp_gt_u32_e32 vcc, s3, v43
	s_and_saveexec_b64 s[16:17], vcc
	s_cbranch_execnz .LBB975_234
.LBB975_199:
	s_or_b64 exec, exec, s[16:17]
	v_cmp_gt_u32_e32 vcc, s3, v42
	s_and_saveexec_b64 s[16:17], vcc
	s_cbranch_execz .LBB975_235
.LBB975_200:
	s_waitcnt vmcnt(0)
	ds_write_b16 v46, v107 offset:256
	s_or_b64 exec, exec, s[16:17]
	v_cmp_gt_u32_e32 vcc, s3, v41
	s_and_saveexec_b64 s[16:17], vcc
	s_cbranch_execnz .LBB975_236
.LBB975_201:
	s_or_b64 exec, exec, s[16:17]
	v_cmp_gt_u32_e32 vcc, s3, v40
	s_and_saveexec_b64 s[16:17], vcc
	s_cbranch_execz .LBB975_237
.LBB975_202:
	s_waitcnt vmcnt(0)
	ds_write_b16 v23, v109 offset:256
	s_or_b64 exec, exec, s[16:17]
	v_cmp_gt_u32_e32 vcc, s3, v39
	s_and_saveexec_b64 s[16:17], vcc
	s_cbranch_execnz .LBB975_238
.LBB975_203:
	s_or_b64 exec, exec, s[16:17]
	v_cmp_gt_u32_e32 vcc, s3, v38
	s_and_saveexec_b64 s[16:17], vcc
	s_cbranch_execz .LBB975_239
.LBB975_204:
	s_waitcnt vmcnt(0)
	ds_write_b16 v21, v111 offset:256
	s_or_b64 exec, exec, s[16:17]
	v_cmp_gt_u32_e32 vcc, s3, v37
	s_and_saveexec_b64 s[16:17], vcc
	s_cbranch_execnz .LBB975_240
.LBB975_205:
	s_or_b64 exec, exec, s[16:17]
	v_cmp_gt_u32_e32 vcc, s3, v36
	s_and_saveexec_b64 s[16:17], vcc
	s_cbranch_execz .LBB975_241
.LBB975_206:
	s_waitcnt vmcnt(0)
	ds_write_b16 v19, v113 offset:256
	s_or_b64 exec, exec, s[16:17]
	v_cmp_gt_u32_e32 vcc, s3, v35
	s_and_saveexec_b64 s[16:17], vcc
	s_cbranch_execnz .LBB975_242
.LBB975_207:
	s_or_b64 exec, exec, s[16:17]
	v_cmp_gt_u32_e32 vcc, s3, v34
	s_and_saveexec_b64 s[16:17], vcc
	s_cbranch_execz .LBB975_243
.LBB975_208:
	s_waitcnt vmcnt(0)
	ds_write_b16 v16, v115 offset:256
	s_or_b64 exec, exec, s[16:17]
	v_cmp_gt_u32_e32 vcc, s3, v33
	s_and_saveexec_b64 s[16:17], vcc
	s_cbranch_execnz .LBB975_244
	s_branch .LBB975_245
.LBB975_209:
	s_or_b64 exec, exec, s[16:17]
                                        ; implicit-def: $vgpr103
	s_and_saveexec_b64 s[16:17], vcc
	s_cbranch_execz .LBB975_173
.LBB975_210:
	global_load_ushort v103, v[4:5], off offset:1024
	s_or_b64 exec, exec, s[16:17]
                                        ; implicit-def: $vgpr104
	s_and_saveexec_b64 s[16:17], s[20:21]
	s_cbranch_execnz .LBB975_174
.LBB975_211:
	s_or_b64 exec, exec, s[16:17]
                                        ; implicit-def: $vgpr105
	s_and_saveexec_b64 s[16:17], s[22:23]
	s_cbranch_execz .LBB975_175
.LBB975_212:
	global_load_ushort v105, v[4:5], off offset:1280
	s_or_b64 exec, exec, s[16:17]
                                        ; implicit-def: $vgpr106
	s_and_saveexec_b64 s[16:17], s[24:25]
	s_cbranch_execnz .LBB975_176
.LBB975_213:
	s_or_b64 exec, exec, s[16:17]
                                        ; implicit-def: $vgpr107
	s_and_saveexec_b64 s[16:17], s[26:27]
	s_cbranch_execz .LBB975_177
.LBB975_214:
	global_load_ushort v107, v[4:5], off offset:1536
	s_or_b64 exec, exec, s[16:17]
                                        ; implicit-def: $vgpr108
	s_and_saveexec_b64 s[16:17], s[28:29]
	s_cbranch_execnz .LBB975_178
.LBB975_215:
	s_or_b64 exec, exec, s[16:17]
                                        ; implicit-def: $vgpr109
	s_and_saveexec_b64 s[16:17], s[30:31]
	s_cbranch_execz .LBB975_179
.LBB975_216:
	global_load_ushort v109, v[4:5], off offset:1792
	s_or_b64 exec, exec, s[16:17]
                                        ; implicit-def: $vgpr110
	s_and_saveexec_b64 s[16:17], s[34:35]
	s_cbranch_execnz .LBB975_180
.LBB975_217:
	s_or_b64 exec, exec, s[16:17]
                                        ; implicit-def: $vgpr111
	s_and_saveexec_b64 s[16:17], s[36:37]
	s_cbranch_execz .LBB975_181
.LBB975_218:
	global_load_ushort v111, v[4:5], off offset:2048
	s_or_b64 exec, exec, s[16:17]
                                        ; implicit-def: $vgpr112
	s_and_saveexec_b64 s[16:17], s[38:39]
	s_cbranch_execnz .LBB975_182
.LBB975_219:
	s_or_b64 exec, exec, s[16:17]
                                        ; implicit-def: $vgpr113
	s_and_saveexec_b64 s[16:17], s[40:41]
	s_cbranch_execz .LBB975_183
.LBB975_220:
	global_load_ushort v113, v[4:5], off offset:2304
	s_or_b64 exec, exec, s[16:17]
                                        ; implicit-def: $vgpr114
	s_and_saveexec_b64 s[16:17], s[42:43]
	s_cbranch_execnz .LBB975_184
.LBB975_221:
	s_or_b64 exec, exec, s[16:17]
                                        ; implicit-def: $vgpr115
	s_and_saveexec_b64 s[16:17], s[44:45]
	s_cbranch_execz .LBB975_185
.LBB975_222:
	global_load_ushort v115, v[4:5], off offset:2560
	s_or_b64 exec, exec, s[16:17]
                                        ; implicit-def: $vgpr116
	s_and_saveexec_b64 s[16:17], s[46:47]
	s_cbranch_execnz .LBB975_186
	s_branch .LBB975_187
.LBB975_223:
	s_or_b64 exec, exec, s[16:17]
	v_cmp_gt_u32_e32 vcc, s3, v67
	s_and_saveexec_b64 s[16:17], vcc
	s_cbranch_execz .LBB975_189
.LBB975_224:
	s_waitcnt vmcnt(0)
	ds_write_b16 v78, v7 offset:256
	s_or_b64 exec, exec, s[16:17]
	v_cmp_gt_u32_e32 vcc, s3, v62
	s_and_saveexec_b64 s[16:17], vcc
	s_cbranch_execnz .LBB975_190
.LBB975_225:
	s_or_b64 exec, exec, s[16:17]
	v_cmp_gt_u32_e32 vcc, s3, v59
	s_and_saveexec_b64 s[16:17], vcc
	s_cbranch_execz .LBB975_191
.LBB975_226:
	s_waitcnt vmcnt(0)
	ds_write_b16 v68, v98 offset:256
	s_or_b64 exec, exec, s[16:17]
	v_cmp_gt_u32_e32 vcc, s3, v58
	s_and_saveexec_b64 s[16:17], vcc
	s_cbranch_execnz .LBB975_192
.LBB975_227:
	s_or_b64 exec, exec, s[16:17]
	v_cmp_gt_u32_e32 vcc, s3, v54
	s_and_saveexec_b64 s[16:17], vcc
	s_cbranch_execz .LBB975_193
.LBB975_228:
	s_waitcnt vmcnt(0)
	ds_write_b16 v57, v100 offset:256
	s_or_b64 exec, exec, s[16:17]
	v_cmp_gt_u32_e32 vcc, s3, v52
	s_and_saveexec_b64 s[16:17], vcc
	s_cbranch_execnz .LBB975_194
.LBB975_229:
	s_or_b64 exec, exec, s[16:17]
	v_cmp_gt_u32_e32 vcc, s3, v50
	s_and_saveexec_b64 s[16:17], vcc
	s_cbranch_execz .LBB975_195
.LBB975_230:
	s_waitcnt vmcnt(0)
	ds_write_b16 v55, v102 offset:256
	s_or_b64 exec, exec, s[16:17]
	v_cmp_gt_u32_e32 vcc, s3, v47
	s_and_saveexec_b64 s[16:17], vcc
	s_cbranch_execnz .LBB975_196
.LBB975_231:
	s_or_b64 exec, exec, s[16:17]
	v_cmp_gt_u32_e32 vcc, s3, v45
	s_and_saveexec_b64 s[16:17], vcc
	s_cbranch_execz .LBB975_197
.LBB975_232:
	s_waitcnt vmcnt(0)
	ds_write_b16 v51, v104 offset:256
	s_or_b64 exec, exec, s[16:17]
	v_cmp_gt_u32_e32 vcc, s3, v44
	s_and_saveexec_b64 s[16:17], vcc
	s_cbranch_execnz .LBB975_198
.LBB975_233:
	s_or_b64 exec, exec, s[16:17]
	v_cmp_gt_u32_e32 vcc, s3, v43
	s_and_saveexec_b64 s[16:17], vcc
	s_cbranch_execz .LBB975_199
.LBB975_234:
	s_waitcnt vmcnt(0)
	ds_write_b16 v48, v106 offset:256
	s_or_b64 exec, exec, s[16:17]
	v_cmp_gt_u32_e32 vcc, s3, v42
	s_and_saveexec_b64 s[16:17], vcc
	s_cbranch_execnz .LBB975_200
.LBB975_235:
	s_or_b64 exec, exec, s[16:17]
	v_cmp_gt_u32_e32 vcc, s3, v41
	s_and_saveexec_b64 s[16:17], vcc
	s_cbranch_execz .LBB975_201
.LBB975_236:
	s_waitcnt vmcnt(0)
	ds_write_b16 v24, v108 offset:256
	s_or_b64 exec, exec, s[16:17]
	v_cmp_gt_u32_e32 vcc, s3, v40
	s_and_saveexec_b64 s[16:17], vcc
	s_cbranch_execnz .LBB975_202
.LBB975_237:
	s_or_b64 exec, exec, s[16:17]
	v_cmp_gt_u32_e32 vcc, s3, v39
	s_and_saveexec_b64 s[16:17], vcc
	s_cbranch_execz .LBB975_203
.LBB975_238:
	s_waitcnt vmcnt(0)
	ds_write_b16 v22, v110 offset:256
	s_or_b64 exec, exec, s[16:17]
	v_cmp_gt_u32_e32 vcc, s3, v38
	s_and_saveexec_b64 s[16:17], vcc
	s_cbranch_execnz .LBB975_204
.LBB975_239:
	s_or_b64 exec, exec, s[16:17]
	v_cmp_gt_u32_e32 vcc, s3, v37
	s_and_saveexec_b64 s[16:17], vcc
	s_cbranch_execz .LBB975_205
.LBB975_240:
	s_waitcnt vmcnt(0)
	ds_write_b16 v20, v112 offset:256
	s_or_b64 exec, exec, s[16:17]
	v_cmp_gt_u32_e32 vcc, s3, v36
	s_and_saveexec_b64 s[16:17], vcc
	s_cbranch_execnz .LBB975_206
.LBB975_241:
	s_or_b64 exec, exec, s[16:17]
	v_cmp_gt_u32_e32 vcc, s3, v35
	s_and_saveexec_b64 s[16:17], vcc
	s_cbranch_execz .LBB975_207
.LBB975_242:
	s_waitcnt vmcnt(0)
	ds_write_b16 v17, v114 offset:256
	s_or_b64 exec, exec, s[16:17]
	v_cmp_gt_u32_e32 vcc, s3, v34
	s_and_saveexec_b64 s[16:17], vcc
	s_cbranch_execnz .LBB975_208
.LBB975_243:
	s_or_b64 exec, exec, s[16:17]
	v_cmp_gt_u32_e32 vcc, s3, v33
	s_and_saveexec_b64 s[16:17], vcc
	s_cbranch_execz .LBB975_245
.LBB975_244:
	s_waitcnt vmcnt(0)
	ds_write_b16 v14, v116 offset:256
.LBB975_245:
	s_or_b64 exec, exec, s[16:17]
	s_waitcnt lgkmcnt(0)
	s_barrier
	s_and_saveexec_b64 s[16:17], s[50:51]
	s_cbranch_execz .LBB975_267
; %bb.246:
	v_lshlrev_b32_e32 v4, 2, v11
	ds_read_b32 v4, v4
	v_lshlrev_b32_e32 v5, 1, v2
	s_waitcnt vmcnt(0)
	ds_read_u16 v6, v5 offset:256
	v_mov_b32_e32 v5, 0
	s_waitcnt lgkmcnt(1)
	v_add_u32_e32 v4, v4, v2
	v_lshl_add_u64 v[4:5], v[4:5], 1, s[14:15]
	s_waitcnt lgkmcnt(0)
	global_store_short v[4:5], v6, off
	s_or_b64 exec, exec, s[16:17]
	s_and_saveexec_b64 s[16:17], s[52:53]
	s_cbranch_execnz .LBB975_268
.LBB975_247:
	s_or_b64 exec, exec, s[16:17]
	s_and_saveexec_b64 s[16:17], s[54:55]
	s_cbranch_execz .LBB975_269
.LBB975_248:
	v_lshlrev_b32_e32 v4, 2, v26
	ds_read_b32 v4, v4
	v_lshlrev_b32_e32 v5, 1, v2
	s_waitcnt vmcnt(0)
	ds_read_u16 v6, v5 offset:2304
	v_mov_b32_e32 v5, 0
	s_waitcnt lgkmcnt(1)
	v_add_u32_e32 v4, v4, v12
	v_lshl_add_u64 v[4:5], v[4:5], 1, s[14:15]
	s_waitcnt lgkmcnt(0)
	global_store_short v[4:5], v6, off
	s_or_b64 exec, exec, s[16:17]
	s_and_saveexec_b64 s[16:17], s[56:57]
	s_cbranch_execnz .LBB975_270
.LBB975_249:
	s_or_b64 exec, exec, s[16:17]
	s_and_saveexec_b64 s[16:17], s[58:59]
	s_cbranch_execz .LBB975_271
.LBB975_250:
	v_lshlrev_b32_e32 v4, 2, v30
	ds_read_b32 v4, v4
	v_lshlrev_b32_e32 v5, 1, v2
	s_waitcnt vmcnt(0)
	ds_read_u16 v6, v5 offset:4352
	v_mov_b32_e32 v5, 0
	s_waitcnt lgkmcnt(1)
	v_add_u32_e32 v4, v4, v27
	v_lshl_add_u64 v[4:5], v[4:5], 1, s[14:15]
	s_waitcnt lgkmcnt(0)
	global_store_short v[4:5], v6, off
	s_or_b64 exec, exec, s[16:17]
	s_and_saveexec_b64 s[16:17], s[60:61]
	s_cbranch_execnz .LBB975_272
.LBB975_251:
	s_or_b64 exec, exec, s[16:17]
	s_and_saveexec_b64 s[16:17], s[62:63]
	s_cbranch_execz .LBB975_273
.LBB975_252:
	v_lshlrev_b32_e32 v4, 2, v63
	ds_read_b32 v4, v4
	v_lshlrev_b32_e32 v5, 1, v2
	s_waitcnt vmcnt(0)
	ds_read_u16 v6, v5 offset:6400
	v_mov_b32_e32 v5, 0
	s_waitcnt lgkmcnt(1)
	v_add_u32_e32 v4, v4, v31
	v_lshl_add_u64 v[4:5], v[4:5], 1, s[14:15]
	s_waitcnt lgkmcnt(0)
	global_store_short v[4:5], v6, off
	s_or_b64 exec, exec, s[16:17]
	s_and_saveexec_b64 s[16:17], s[64:65]
	s_cbranch_execnz .LBB975_274
.LBB975_253:
	s_or_b64 exec, exec, s[16:17]
	s_and_saveexec_b64 s[16:17], s[66:67]
	s_cbranch_execz .LBB975_275
.LBB975_254:
	v_lshlrev_b32_e32 v4, 2, v70
	ds_read_b32 v4, v4
	v_lshlrev_b32_e32 v5, 1, v2
	s_waitcnt vmcnt(0)
	ds_read_u16 v6, v5 offset:8448
	v_mov_b32_e32 v5, 0
	s_waitcnt lgkmcnt(1)
	v_add_u32_e32 v4, v4, v61
	v_lshl_add_u64 v[4:5], v[4:5], 1, s[14:15]
	s_waitcnt lgkmcnt(0)
	global_store_short v[4:5], v6, off
	s_or_b64 exec, exec, s[16:17]
	s_and_saveexec_b64 s[16:17], s[68:69]
	s_cbranch_execnz .LBB975_276
.LBB975_255:
	s_or_b64 exec, exec, s[16:17]
	s_and_saveexec_b64 s[16:17], s[70:71]
	s_cbranch_execz .LBB975_277
.LBB975_256:
	v_lshlrev_b32_e32 v4, 2, v76
	ds_read_b32 v4, v4
	v_lshlrev_b32_e32 v5, 1, v2
	s_waitcnt vmcnt(0)
	ds_read_u16 v6, v5 offset:10496
	v_mov_b32_e32 v5, 0
	s_waitcnt lgkmcnt(1)
	v_add_u32_e32 v4, v4, v69
	v_lshl_add_u64 v[4:5], v[4:5], 1, s[14:15]
	s_waitcnt lgkmcnt(0)
	global_store_short v[4:5], v6, off
	s_or_b64 exec, exec, s[16:17]
	s_and_saveexec_b64 s[16:17], s[72:73]
	s_cbranch_execnz .LBB975_278
.LBB975_257:
	s_or_b64 exec, exec, s[16:17]
	s_and_saveexec_b64 s[16:17], s[74:75]
	s_cbranch_execz .LBB975_279
.LBB975_258:
	v_lshlrev_b32_e32 v4, 2, v81
	ds_read_b32 v4, v4
	v_lshlrev_b32_e32 v5, 1, v2
	s_waitcnt vmcnt(0)
	ds_read_u16 v6, v5 offset:12544
	v_mov_b32_e32 v5, 0
	s_waitcnt lgkmcnt(1)
	v_add_u32_e32 v4, v4, v74
	v_lshl_add_u64 v[4:5], v[4:5], 1, s[14:15]
	s_waitcnt lgkmcnt(0)
	global_store_short v[4:5], v6, off
	s_or_b64 exec, exec, s[16:17]
	s_and_saveexec_b64 s[16:17], s[76:77]
	s_cbranch_execnz .LBB975_280
.LBB975_259:
	s_or_b64 exec, exec, s[16:17]
	s_and_saveexec_b64 s[16:17], s[78:79]
	s_cbranch_execz .LBB975_281
.LBB975_260:
	v_lshlrev_b32_e32 v4, 2, v86
	ds_read_b32 v4, v4
	v_lshlrev_b32_e32 v5, 1, v2
	s_waitcnt vmcnt(0)
	ds_read_u16 v6, v5 offset:14592
	v_mov_b32_e32 v5, 0
	s_waitcnt lgkmcnt(1)
	v_add_u32_e32 v4, v4, v80
	v_lshl_add_u64 v[4:5], v[4:5], 1, s[14:15]
	s_waitcnt lgkmcnt(0)
	global_store_short v[4:5], v6, off
	s_or_b64 exec, exec, s[16:17]
	s_and_saveexec_b64 s[16:17], s[80:81]
	s_cbranch_execnz .LBB975_282
.LBB975_261:
	s_or_b64 exec, exec, s[16:17]
	s_and_saveexec_b64 s[16:17], s[82:83]
	s_cbranch_execz .LBB975_283
.LBB975_262:
	v_lshlrev_b32_e32 v4, 2, v90
	ds_read_b32 v4, v4
	v_lshlrev_b32_e32 v5, 1, v2
	s_waitcnt vmcnt(0)
	ds_read_u16 v6, v5 offset:16640
	v_mov_b32_e32 v5, 0
	s_waitcnt lgkmcnt(1)
	v_add_u32_e32 v4, v4, v85
	v_lshl_add_u64 v[4:5], v[4:5], 1, s[14:15]
	s_waitcnt lgkmcnt(0)
	global_store_short v[4:5], v6, off
	s_or_b64 exec, exec, s[16:17]
	s_and_saveexec_b64 s[16:17], s[84:85]
	s_cbranch_execnz .LBB975_284
.LBB975_263:
	s_or_b64 exec, exec, s[16:17]
	s_and_saveexec_b64 s[16:17], s[86:87]
	s_cbranch_execz .LBB975_285
.LBB975_264:
	v_lshlrev_b32_e32 v4, 2, v94
	ds_read_b32 v4, v4
	v_lshlrev_b32_e32 v5, 1, v2
	s_waitcnt vmcnt(0)
	ds_read_u16 v6, v5 offset:18688
	v_mov_b32_e32 v5, 0
	s_waitcnt lgkmcnt(1)
	v_add_u32_e32 v4, v4, v89
	v_lshl_add_u64 v[4:5], v[4:5], 1, s[14:15]
	s_waitcnt lgkmcnt(0)
	global_store_short v[4:5], v6, off
	s_or_b64 exec, exec, s[16:17]
	s_and_saveexec_b64 s[16:17], s[88:89]
	s_cbranch_execnz .LBB975_286
.LBB975_265:
	s_or_b64 exec, exec, s[16:17]
	s_and_saveexec_b64 s[16:17], s[90:91]
	s_cbranch_execz .LBB975_287
.LBB975_266:
	v_lshlrev_b32_e32 v4, 2, v96
	ds_read_b32 v4, v4
	v_lshlrev_b32_e32 v5, 1, v2
	s_waitcnt vmcnt(0)
	ds_read_u16 v6, v5 offset:20736
	v_mov_b32_e32 v5, 0
	s_waitcnt lgkmcnt(1)
	v_add_u32_e32 v4, v4, v93
	v_lshl_add_u64 v[4:5], v[4:5], 1, s[14:15]
	s_waitcnt lgkmcnt(0)
	global_store_short v[4:5], v6, off
	s_or_b64 exec, exec, s[16:17]
	s_and_saveexec_b64 s[16:17], s[92:93]
	s_cbranch_execnz .LBB975_288
	s_branch .LBB975_289
.LBB975_267:
	s_or_b64 exec, exec, s[16:17]
	s_and_saveexec_b64 s[16:17], s[52:53]
	s_cbranch_execz .LBB975_247
.LBB975_268:
	v_lshlrev_b32_e32 v4, 2, v8
	ds_read_b32 v4, v4
	v_lshlrev_b32_e32 v5, 1, v2
	s_waitcnt vmcnt(0)
	ds_read_u16 v6, v5 offset:1280
	v_mov_b32_e32 v5, 0
	s_waitcnt lgkmcnt(1)
	v_add_u32_e32 v4, v4, v10
	v_lshl_add_u64 v[4:5], v[4:5], 1, s[14:15]
	s_waitcnt lgkmcnt(0)
	global_store_short v[4:5], v6, off
	s_or_b64 exec, exec, s[16:17]
	s_and_saveexec_b64 s[16:17], s[54:55]
	s_cbranch_execnz .LBB975_248
.LBB975_269:
	s_or_b64 exec, exec, s[16:17]
	s_and_saveexec_b64 s[16:17], s[56:57]
	s_cbranch_execz .LBB975_249
.LBB975_270:
	v_lshlrev_b32_e32 v4, 2, v9
	ds_read_b32 v4, v4
	v_lshlrev_b32_e32 v5, 1, v2
	s_waitcnt vmcnt(0)
	ds_read_u16 v6, v5 offset:3328
	v_mov_b32_e32 v5, 0
	s_waitcnt lgkmcnt(1)
	v_add_u32_e32 v4, v4, v25
	v_lshl_add_u64 v[4:5], v[4:5], 1, s[14:15]
	s_waitcnt lgkmcnt(0)
	global_store_short v[4:5], v6, off
	s_or_b64 exec, exec, s[16:17]
	s_and_saveexec_b64 s[16:17], s[58:59]
	s_cbranch_execnz .LBB975_250
.LBB975_271:
	s_or_b64 exec, exec, s[16:17]
	s_and_saveexec_b64 s[16:17], s[60:61]
	s_cbranch_execz .LBB975_251
.LBB975_272:
	v_lshlrev_b32_e32 v4, 2, v13
	ds_read_b32 v4, v4
	v_lshlrev_b32_e32 v5, 1, v2
	s_waitcnt vmcnt(0)
	ds_read_u16 v6, v5 offset:5376
	v_mov_b32_e32 v5, 0
	s_waitcnt lgkmcnt(1)
	v_add_u32_e32 v4, v4, v29
	v_lshl_add_u64 v[4:5], v[4:5], 1, s[14:15]
	s_waitcnt lgkmcnt(0)
	global_store_short v[4:5], v6, off
	s_or_b64 exec, exec, s[16:17]
	s_and_saveexec_b64 s[16:17], s[62:63]
	s_cbranch_execnz .LBB975_252
.LBB975_273:
	s_or_b64 exec, exec, s[16:17]
	s_and_saveexec_b64 s[16:17], s[64:65]
	s_cbranch_execz .LBB975_253
.LBB975_274:
	v_lshlrev_b32_e32 v4, 2, v28
	ds_read_b32 v4, v4
	v_lshlrev_b32_e32 v5, 1, v2
	s_waitcnt vmcnt(0)
	ds_read_u16 v6, v5 offset:7424
	v_mov_b32_e32 v5, 0
	s_waitcnt lgkmcnt(1)
	v_add_u32_e32 v4, v4, v60
	v_lshl_add_u64 v[4:5], v[4:5], 1, s[14:15]
	s_waitcnt lgkmcnt(0)
	global_store_short v[4:5], v6, off
	s_or_b64 exec, exec, s[16:17]
	s_and_saveexec_b64 s[16:17], s[66:67]
	s_cbranch_execnz .LBB975_254
.LBB975_275:
	s_or_b64 exec, exec, s[16:17]
	s_and_saveexec_b64 s[16:17], s[68:69]
	s_cbranch_execz .LBB975_255
.LBB975_276:
	v_lshlrev_b32_e32 v4, 2, v32
	ds_read_b32 v4, v4
	v_lshlrev_b32_e32 v5, 1, v2
	s_waitcnt vmcnt(0)
	ds_read_u16 v6, v5 offset:9472
	v_mov_b32_e32 v5, 0
	s_waitcnt lgkmcnt(1)
	v_add_u32_e32 v4, v4, v66
	v_lshl_add_u64 v[4:5], v[4:5], 1, s[14:15]
	s_waitcnt lgkmcnt(0)
	global_store_short v[4:5], v6, off
	s_or_b64 exec, exec, s[16:17]
	s_and_saveexec_b64 s[16:17], s[70:71]
	s_cbranch_execnz .LBB975_256
.LBB975_277:
	s_or_b64 exec, exec, s[16:17]
	s_and_saveexec_b64 s[16:17], s[72:73]
	s_cbranch_execz .LBB975_257
.LBB975_278:
	v_lshlrev_b32_e32 v4, 2, v64
	ds_read_b32 v4, v4
	v_lshlrev_b32_e32 v5, 1, v2
	s_waitcnt vmcnt(0)
	ds_read_u16 v6, v5 offset:11520
	v_mov_b32_e32 v5, 0
	s_waitcnt lgkmcnt(1)
	v_add_u32_e32 v4, v4, v72
	v_lshl_add_u64 v[4:5], v[4:5], 1, s[14:15]
	s_waitcnt lgkmcnt(0)
	global_store_short v[4:5], v6, off
	s_or_b64 exec, exec, s[16:17]
	s_and_saveexec_b64 s[16:17], s[74:75]
	s_cbranch_execnz .LBB975_258
.LBB975_279:
	s_or_b64 exec, exec, s[16:17]
	s_and_saveexec_b64 s[16:17], s[76:77]
	s_cbranch_execz .LBB975_259
.LBB975_280:
	v_lshlrev_b32_e32 v4, 2, v71
	ds_read_b32 v4, v4
	v_lshlrev_b32_e32 v5, 1, v2
	s_waitcnt vmcnt(0)
	ds_read_u16 v6, v5 offset:13568
	v_mov_b32_e32 v5, 0
	s_waitcnt lgkmcnt(1)
	v_add_u32_e32 v4, v4, v79
	v_lshl_add_u64 v[4:5], v[4:5], 1, s[14:15]
	s_waitcnt lgkmcnt(0)
	global_store_short v[4:5], v6, off
	s_or_b64 exec, exec, s[16:17]
	s_and_saveexec_b64 s[16:17], s[78:79]
	s_cbranch_execnz .LBB975_260
.LBB975_281:
	s_or_b64 exec, exec, s[16:17]
	s_and_saveexec_b64 s[16:17], s[80:81]
	s_cbranch_execz .LBB975_261
.LBB975_282:
	v_lshlrev_b32_e32 v4, 2, v77
	ds_read_b32 v4, v4
	v_lshlrev_b32_e32 v5, 1, v2
	s_waitcnt vmcnt(0)
	ds_read_u16 v6, v5 offset:15616
	v_mov_b32_e32 v5, 0
	s_waitcnt lgkmcnt(1)
	v_add_u32_e32 v4, v4, v84
	v_lshl_add_u64 v[4:5], v[4:5], 1, s[14:15]
	s_waitcnt lgkmcnt(0)
	global_store_short v[4:5], v6, off
	s_or_b64 exec, exec, s[16:17]
	s_and_saveexec_b64 s[16:17], s[82:83]
	s_cbranch_execnz .LBB975_262
.LBB975_283:
	s_or_b64 exec, exec, s[16:17]
	s_and_saveexec_b64 s[16:17], s[84:85]
	s_cbranch_execz .LBB975_263
.LBB975_284:
	v_lshlrev_b32_e32 v4, 2, v82
	ds_read_b32 v4, v4
	v_lshlrev_b32_e32 v5, 1, v2
	s_waitcnt vmcnt(0)
	ds_read_u16 v6, v5 offset:17664
	v_mov_b32_e32 v5, 0
	s_waitcnt lgkmcnt(1)
	v_add_u32_e32 v4, v4, v88
	v_lshl_add_u64 v[4:5], v[4:5], 1, s[14:15]
	s_waitcnt lgkmcnt(0)
	global_store_short v[4:5], v6, off
	s_or_b64 exec, exec, s[16:17]
	s_and_saveexec_b64 s[16:17], s[86:87]
	s_cbranch_execnz .LBB975_264
.LBB975_285:
	s_or_b64 exec, exec, s[16:17]
	s_and_saveexec_b64 s[16:17], s[88:89]
	s_cbranch_execz .LBB975_265
.LBB975_286:
	v_lshlrev_b32_e32 v4, 2, v87
	ds_read_b32 v4, v4
	v_lshlrev_b32_e32 v5, 1, v2
	s_waitcnt vmcnt(0)
	ds_read_u16 v6, v5 offset:19712
	v_mov_b32_e32 v5, 0
	s_waitcnt lgkmcnt(1)
	v_add_u32_e32 v4, v4, v92
	v_lshl_add_u64 v[4:5], v[4:5], 1, s[14:15]
	s_waitcnt lgkmcnt(0)
	global_store_short v[4:5], v6, off
	s_or_b64 exec, exec, s[16:17]
	s_and_saveexec_b64 s[16:17], s[90:91]
	s_cbranch_execnz .LBB975_266
.LBB975_287:
	s_or_b64 exec, exec, s[16:17]
	s_and_saveexec_b64 s[16:17], s[92:93]
	s_cbranch_execz .LBB975_289
.LBB975_288:
	v_lshlrev_b32_e32 v4, 2, v91
	ds_read_b32 v4, v4
	v_lshlrev_b32_e32 v5, 1, v2
	s_waitcnt vmcnt(0)
	ds_read_u16 v6, v5 offset:21760
	v_mov_b32_e32 v5, 0
	s_waitcnt lgkmcnt(1)
	v_add_u32_e32 v4, v4, v95
	v_lshl_add_u64 v[4:5], v[4:5], 1, s[14:15]
	s_waitcnt lgkmcnt(0)
	global_store_short v[4:5], v6, off
.LBB975_289:
	s_or_b64 exec, exec, s[16:17]
	s_load_dword s3, s[0:1], 0x58
	s_waitcnt lgkmcnt(0)
	s_add_i32 s3, s3, -1
	s_cmp_eq_u32 s33, s3
	s_cselect_b64 s[16:17], -1, 0
	s_xor_b64 s[18:19], s[48:49], -1
	s_and_b64 s[18:19], s[18:19], s[16:17]
	s_and_saveexec_b64 s[16:17], s[18:19]
	s_cbranch_execz .LBB975_291
; %bb.290:
	ds_read_b32 v4, v3
	s_load_dwordx4 s[20:23], s[0:1], 0x28
	s_waitcnt lgkmcnt(0)
	v_add3_u32 v4, v15, v18, v4
	global_store_dword v3, v4, s[22:23]
.LBB975_291:
	s_or_b64 exec, exec, s[16:17]
	s_mov_b64 s[16:17], 0
.LBB975_292:
	s_and_b64 vcc, exec, s[16:17]
	s_cbranch_vccz .LBB975_383
; %bb.293:
	s_mov_b32 s5, 0
	s_lshl_b64 s[16:17], s[4:5], 1
	v_mbcnt_hi_u32_b32 v29, -1, v1
	s_add_u32 s4, s8, s16
	v_and_b32_e32 v3, 63, v29
	v_and_b32_e32 v30, 0x3c0, v2
	v_mov_b32_e32 v1, 0
	s_addc_u32 s5, s9, s17
	s_waitcnt vmcnt(0)
	v_mul_u32_u24_e32 v6, 22, v30
	v_lshlrev_b32_e32 v4, 1, v3
	v_mov_b32_e32 v5, v1
	v_lshl_add_u64 v[8:9], s[4:5], 0, v[4:5]
	v_lshlrev_b32_e32 v6, 1, v6
	v_mov_b32_e32 v7, v1
	v_lshl_add_u64 v[8:9], v[8:9], 0, v[6:7]
	global_load_ushort v3, v[8:9], off
	s_load_dword s3, s[0:1], 0x64
	s_load_dword s20, s[0:1], 0x58
	s_add_u32 s0, s0, 0x58
	s_addc_u32 s1, s1, 0
	v_bfe_u32 v33, v0, 20, 10
	s_waitcnt lgkmcnt(0)
	s_lshr_b32 s3, s3, 16
	s_cmp_lt_u32 s2, s20
	s_cselect_b32 s2, 12, 18
	s_add_u32 s0, s0, s2
	s_addc_u32 s1, s1, 0
	global_load_ushort v38, v1, s[0:1]
	global_load_ushort v28, v[8:9], off offset:128
	global_load_ushort v27, v[8:9], off offset:256
	;; [unrolled: 1-line block ×14, first 2 shown]
                                        ; kill: killed $sgpr0 killed $sgpr1
	global_load_ushort v15, v[8:9], off offset:1920
	global_load_ushort v13, v[8:9], off offset:2048
	;; [unrolled: 1-line block ×7, first 2 shown]
	v_bfe_u32 v9, v0, 10, 10
	v_lshlrev_b32_e32 v31, 3, v2
	v_mov_b32_e32 v0, v1
	ds_write_b64 v31, v[0:1] offset:32
	s_lshl_b32 s0, -1, s97
	v_mov_b32_e32 v8, v1
	v_mad_u32_u24 v39, v33, s3, v9
	v_mov_b32_e32 v32, v1
	v_mov_b32_e32 v34, v1
	s_not_b32 s21, s0
	s_waitcnt lgkmcnt(0)
	s_barrier
	s_waitcnt vmcnt(22)
	; wave barrier
	v_lshrrev_b32_sdwa v0, s96, v3 dst_sel:DWORD dst_unused:UNUSED_PAD src0_sel:DWORD src1_sel:WORD_0
	v_bitop3_b32 v40, v0, s0, v0 bitop3:0x30
	v_and_b32_e32 v0, 1, v40
	v_lshlrev_b32_e32 v9, 30, v40
	v_lshlrev_b32_e32 v33, 29, v40
	;; [unrolled: 1-line block ×3, first 2 shown]
	v_lshl_add_u64 v[36:37], v[0:1], 0, -1
	v_cmp_ne_u32_e32 vcc, 0, v0
	v_cmp_gt_i64_e64 s[0:1], 0, v[8:9]
	v_not_b32_e32 v0, v9
	s_waitcnt vmcnt(21)
	v_mad_u64_u32 v[8:9], s[8:9], v39, v38, v[2:3]
	v_cmp_gt_i64_e64 s[2:3], 0, v[32:33]
	v_not_b32_e32 v32, v33
	v_cmp_gt_i64_e64 s[4:5], 0, v[34:35]
	v_xor_b32_e32 v9, vcc_hi, v37
	v_xor_b32_e32 v34, vcc_lo, v36
	v_ashrrev_i32_e32 v0, 31, v0
	v_not_b32_e32 v33, v35
	v_ashrrev_i32_e32 v32, 31, v32
	v_lshrrev_b32_e32 v8, 4, v8
	v_and_b32_e32 v9, exec_hi, v9
	v_and_b32_e32 v34, exec_lo, v34
	v_xor_b32_e32 v35, s1, v0
	v_xor_b32_e32 v0, s0, v0
	;; [unrolled: 1-line block ×4, first 2 shown]
	v_and_b32_e32 v37, 0xffffffc, v8
	v_and_b32_e32 v8, v9, v35
	;; [unrolled: 1-line block ×3, first 2 shown]
	v_ashrrev_i32_e32 v9, 31, v33
	v_and_b32_e32 v8, v8, v36
	v_and_b32_e32 v0, v0, v32
	v_xor_b32_e32 v32, s5, v9
	v_xor_b32_e32 v9, s4, v9
	v_and_b32_e32 v32, v8, v32
	v_and_b32_e32 v0, v0, v9
	v_lshlrev_b32_e32 v9, 27, v40
	v_mov_b32_e32 v8, v1
	v_cmp_gt_i64_e32 vcc, 0, v[8:9]
	v_not_b32_e32 v8, v9
	v_ashrrev_i32_e32 v8, 31, v8
	v_xor_b32_e32 v9, vcc_hi, v8
	v_xor_b32_e32 v8, vcc_lo, v8
	v_and_b32_e32 v32, v32, v9
	v_and_b32_e32 v0, v0, v8
	v_lshlrev_b32_e32 v9, 26, v40
	v_mov_b32_e32 v8, v1
	v_cmp_gt_i64_e32 vcc, 0, v[8:9]
	v_not_b32_e32 v8, v9
	v_ashrrev_i32_e32 v8, 31, v8
	v_xor_b32_e32 v9, vcc_hi, v8
	v_xor_b32_e32 v8, vcc_lo, v8
	v_and_b32_e32 v8, v0, v8
	v_and_b32_e32 v9, v32, v9
	v_mbcnt_lo_u32_b32 v0, v8, 0
	v_mbcnt_hi_u32_b32 v32, v9, v0
	v_mul_u32_u24_e32 v41, 36, v40
	v_cmp_eq_u32_e32 vcc, 0, v32
	v_cmp_ne_u64_e64 s[0:1], 0, v[8:9]
	s_and_b64 s[2:3], s[0:1], vcc
	v_add_u32_e32 v34, v37, v41
	s_and_saveexec_b64 s[0:1], s[2:3]
; %bb.294:
	v_bcnt_u32_b32 v0, v8, 0
	v_bcnt_u32_b32 v0, v9, v0
	ds_write_b32 v34, v0 offset:32
; %bb.295:
	s_or_b64 exec, exec, s[0:1]
	s_waitcnt vmcnt(20)
	v_lshrrev_b32_sdwa v0, s96, v28 dst_sel:DWORD dst_unused:UNUSED_PAD src0_sel:DWORD src1_sel:WORD_0
	v_and_b32_e32 v35, s21, v0
	v_mad_u32_u24 v0, v35, 36, v37
	; wave barrier
	ds_read_b32 v33, v0 offset:32
	v_and_b32_e32 v0, 1, v35
	v_lshl_add_u64 v[8:9], v[0:1], 0, -1
	v_cmp_ne_u32_e32 vcc, 0, v0
	v_mul_u32_u24_e32 v36, 36, v35
	s_nop 0
	v_xor_b32_e32 v8, vcc_lo, v8
	v_xor_b32_e32 v0, vcc_hi, v9
	v_and_b32_e32 v38, exec_lo, v8
	v_lshlrev_b32_e32 v9, 30, v35
	v_mov_b32_e32 v8, v1
	v_cmp_gt_i64_e32 vcc, 0, v[8:9]
	v_not_b32_e32 v8, v9
	v_ashrrev_i32_e32 v8, 31, v8
	v_and_b32_e32 v0, exec_hi, v0
	v_xor_b32_e32 v9, vcc_hi, v8
	v_xor_b32_e32 v8, vcc_lo, v8
	v_and_b32_e32 v0, v0, v9
	v_and_b32_e32 v38, v38, v8
	v_lshlrev_b32_e32 v9, 29, v35
	v_mov_b32_e32 v8, v1
	v_cmp_gt_i64_e32 vcc, 0, v[8:9]
	v_not_b32_e32 v8, v9
	v_ashrrev_i32_e32 v8, 31, v8
	v_xor_b32_e32 v9, vcc_hi, v8
	v_xor_b32_e32 v8, vcc_lo, v8
	v_and_b32_e32 v0, v0, v9
	v_and_b32_e32 v38, v38, v8
	v_lshlrev_b32_e32 v9, 28, v35
	v_mov_b32_e32 v8, v1
	v_cmp_gt_i64_e32 vcc, 0, v[8:9]
	v_not_b32_e32 v8, v9
	v_ashrrev_i32_e32 v8, 31, v8
	;; [unrolled: 9-line block ×3, first 2 shown]
	v_xor_b32_e32 v9, vcc_hi, v8
	v_xor_b32_e32 v8, vcc_lo, v8
	v_and_b32_e32 v0, v0, v9
	v_lshlrev_b32_e32 v9, 26, v35
	v_and_b32_e32 v38, v38, v8
	v_mov_b32_e32 v8, v1
	v_not_b32_e32 v1, v9
	v_cmp_gt_i64_e32 vcc, 0, v[8:9]
	v_ashrrev_i32_e32 v1, 31, v1
	; wave barrier
	s_nop 0
	v_xor_b32_e32 v8, vcc_hi, v1
	v_xor_b32_e32 v9, vcc_lo, v1
	v_and_b32_e32 v1, v0, v8
	v_and_b32_e32 v0, v38, v9
	v_mbcnt_lo_u32_b32 v8, v0, 0
	v_mbcnt_hi_u32_b32 v35, v1, v8
	v_cmp_eq_u32_e32 vcc, 0, v35
	v_cmp_ne_u64_e64 s[0:1], 0, v[0:1]
	s_and_b64 s[2:3], s[0:1], vcc
	v_add_u32_e32 v38, v37, v36
	s_and_saveexec_b64 s[0:1], s[2:3]
	s_cbranch_execz .LBB975_297
; %bb.296:
	v_bcnt_u32_b32 v0, v0, 0
	v_bcnt_u32_b32 v0, v1, v0
	s_waitcnt lgkmcnt(0)
	v_add_u32_e32 v0, v33, v0
	ds_write_b32 v38, v0 offset:32
.LBB975_297:
	s_or_b64 exec, exec, s[0:1]
	s_waitcnt vmcnt(19)
	v_lshrrev_b32_sdwa v0, s96, v27 dst_sel:DWORD dst_unused:UNUSED_PAD src0_sel:DWORD src1_sel:WORD_0
	v_and_b32_e32 v39, s21, v0
	v_mad_u32_u24 v0, v39, 36, v37
	; wave barrier
	ds_read_b32 v36, v0 offset:32
	v_and_b32_e32 v0, 1, v39
	v_mov_b32_e32 v1, 0
	v_lshl_add_u64 v[8:9], v[0:1], 0, -1
	v_cmp_ne_u32_e32 vcc, 0, v0
	v_mul_u32_u24_e32 v40, 36, v39
	s_nop 0
	v_xor_b32_e32 v8, vcc_lo, v8
	v_xor_b32_e32 v0, vcc_hi, v9
	v_and_b32_e32 v41, exec_lo, v8
	v_lshlrev_b32_e32 v9, 30, v39
	v_mov_b32_e32 v8, v1
	v_cmp_gt_i64_e32 vcc, 0, v[8:9]
	v_not_b32_e32 v8, v9
	v_ashrrev_i32_e32 v8, 31, v8
	v_and_b32_e32 v0, exec_hi, v0
	v_xor_b32_e32 v9, vcc_hi, v8
	v_xor_b32_e32 v8, vcc_lo, v8
	v_and_b32_e32 v0, v0, v9
	v_and_b32_e32 v41, v41, v8
	v_lshlrev_b32_e32 v9, 29, v39
	v_mov_b32_e32 v8, v1
	v_cmp_gt_i64_e32 vcc, 0, v[8:9]
	v_not_b32_e32 v8, v9
	v_ashrrev_i32_e32 v8, 31, v8
	v_xor_b32_e32 v9, vcc_hi, v8
	v_xor_b32_e32 v8, vcc_lo, v8
	v_and_b32_e32 v0, v0, v9
	v_and_b32_e32 v41, v41, v8
	v_lshlrev_b32_e32 v9, 28, v39
	v_mov_b32_e32 v8, v1
	v_cmp_gt_i64_e32 vcc, 0, v[8:9]
	v_not_b32_e32 v8, v9
	v_ashrrev_i32_e32 v8, 31, v8
	;; [unrolled: 9-line block ×4, first 2 shown]
	v_xor_b32_e32 v9, vcc_hi, v8
	v_xor_b32_e32 v8, vcc_lo, v8
	v_and_b32_e32 v8, v41, v8
	v_and_b32_e32 v9, v0, v9
	v_mbcnt_lo_u32_b32 v0, v8, 0
	v_mbcnt_hi_u32_b32 v39, v9, v0
	v_cmp_eq_u32_e32 vcc, 0, v39
	v_cmp_ne_u64_e64 s[0:1], 0, v[8:9]
	s_and_b64 s[2:3], s[0:1], vcc
	v_add_u32_e32 v41, v37, v40
	; wave barrier
	s_and_saveexec_b64 s[0:1], s[2:3]
	s_cbranch_execz .LBB975_299
; %bb.298:
	v_bcnt_u32_b32 v0, v8, 0
	v_bcnt_u32_b32 v0, v9, v0
	s_waitcnt lgkmcnt(0)
	v_add_u32_e32 v0, v36, v0
	ds_write_b32 v41, v0 offset:32
.LBB975_299:
	s_or_b64 exec, exec, s[0:1]
	s_waitcnt vmcnt(18)
	v_lshrrev_b32_sdwa v0, s96, v26 dst_sel:DWORD dst_unused:UNUSED_PAD src0_sel:DWORD src1_sel:WORD_0
	v_and_b32_e32 v42, s21, v0
	v_mad_u32_u24 v0, v42, 36, v37
	; wave barrier
	ds_read_b32 v40, v0 offset:32
	v_and_b32_e32 v0, 1, v42
	v_lshl_add_u64 v[8:9], v[0:1], 0, -1
	v_cmp_ne_u32_e32 vcc, 0, v0
	v_mul_u32_u24_e32 v43, 36, v42
	s_nop 0
	v_xor_b32_e32 v8, vcc_lo, v8
	v_xor_b32_e32 v0, vcc_hi, v9
	v_and_b32_e32 v44, exec_lo, v8
	v_lshlrev_b32_e32 v9, 30, v42
	v_mov_b32_e32 v8, v1
	v_cmp_gt_i64_e32 vcc, 0, v[8:9]
	v_not_b32_e32 v8, v9
	v_ashrrev_i32_e32 v8, 31, v8
	v_and_b32_e32 v0, exec_hi, v0
	v_xor_b32_e32 v9, vcc_hi, v8
	v_xor_b32_e32 v8, vcc_lo, v8
	v_and_b32_e32 v0, v0, v9
	v_and_b32_e32 v44, v44, v8
	v_lshlrev_b32_e32 v9, 29, v42
	v_mov_b32_e32 v8, v1
	v_cmp_gt_i64_e32 vcc, 0, v[8:9]
	v_not_b32_e32 v8, v9
	v_ashrrev_i32_e32 v8, 31, v8
	v_xor_b32_e32 v9, vcc_hi, v8
	v_xor_b32_e32 v8, vcc_lo, v8
	v_and_b32_e32 v0, v0, v9
	v_and_b32_e32 v44, v44, v8
	v_lshlrev_b32_e32 v9, 28, v42
	v_mov_b32_e32 v8, v1
	v_cmp_gt_i64_e32 vcc, 0, v[8:9]
	v_not_b32_e32 v8, v9
	v_ashrrev_i32_e32 v8, 31, v8
	;; [unrolled: 9-line block ×3, first 2 shown]
	v_xor_b32_e32 v9, vcc_hi, v8
	v_xor_b32_e32 v8, vcc_lo, v8
	v_and_b32_e32 v0, v0, v9
	v_lshlrev_b32_e32 v9, 26, v42
	v_and_b32_e32 v44, v44, v8
	v_mov_b32_e32 v8, v1
	v_not_b32_e32 v1, v9
	v_cmp_gt_i64_e32 vcc, 0, v[8:9]
	v_ashrrev_i32_e32 v1, 31, v1
	; wave barrier
	s_nop 0
	v_xor_b32_e32 v8, vcc_hi, v1
	v_xor_b32_e32 v9, vcc_lo, v1
	v_and_b32_e32 v1, v0, v8
	v_and_b32_e32 v0, v44, v9
	v_mbcnt_lo_u32_b32 v8, v0, 0
	v_mbcnt_hi_u32_b32 v42, v1, v8
	v_cmp_eq_u32_e32 vcc, 0, v42
	v_cmp_ne_u64_e64 s[0:1], 0, v[0:1]
	s_and_b64 s[2:3], s[0:1], vcc
	v_add_u32_e32 v44, v37, v43
	s_and_saveexec_b64 s[0:1], s[2:3]
	s_cbranch_execz .LBB975_301
; %bb.300:
	v_bcnt_u32_b32 v0, v0, 0
	v_bcnt_u32_b32 v0, v1, v0
	s_waitcnt lgkmcnt(0)
	v_add_u32_e32 v0, v40, v0
	ds_write_b32 v44, v0 offset:32
.LBB975_301:
	s_or_b64 exec, exec, s[0:1]
	s_waitcnt vmcnt(17)
	v_lshrrev_b32_sdwa v0, s96, v25 dst_sel:DWORD dst_unused:UNUSED_PAD src0_sel:DWORD src1_sel:WORD_0
	v_and_b32_e32 v45, s21, v0
	v_mad_u32_u24 v0, v45, 36, v37
	; wave barrier
	ds_read_b32 v43, v0 offset:32
	v_and_b32_e32 v0, 1, v45
	v_mov_b32_e32 v1, 0
	v_lshl_add_u64 v[8:9], v[0:1], 0, -1
	v_cmp_ne_u32_e32 vcc, 0, v0
	v_mul_u32_u24_e32 v46, 36, v45
	s_nop 0
	v_xor_b32_e32 v8, vcc_lo, v8
	v_xor_b32_e32 v0, vcc_hi, v9
	v_and_b32_e32 v47, exec_lo, v8
	v_lshlrev_b32_e32 v9, 30, v45
	v_mov_b32_e32 v8, v1
	v_cmp_gt_i64_e32 vcc, 0, v[8:9]
	v_not_b32_e32 v8, v9
	v_ashrrev_i32_e32 v8, 31, v8
	v_and_b32_e32 v0, exec_hi, v0
	v_xor_b32_e32 v9, vcc_hi, v8
	v_xor_b32_e32 v8, vcc_lo, v8
	v_and_b32_e32 v0, v0, v9
	v_and_b32_e32 v47, v47, v8
	v_lshlrev_b32_e32 v9, 29, v45
	v_mov_b32_e32 v8, v1
	v_cmp_gt_i64_e32 vcc, 0, v[8:9]
	v_not_b32_e32 v8, v9
	v_ashrrev_i32_e32 v8, 31, v8
	v_xor_b32_e32 v9, vcc_hi, v8
	v_xor_b32_e32 v8, vcc_lo, v8
	v_and_b32_e32 v0, v0, v9
	v_and_b32_e32 v47, v47, v8
	v_lshlrev_b32_e32 v9, 28, v45
	v_mov_b32_e32 v8, v1
	v_cmp_gt_i64_e32 vcc, 0, v[8:9]
	v_not_b32_e32 v8, v9
	v_ashrrev_i32_e32 v8, 31, v8
	;; [unrolled: 9-line block ×4, first 2 shown]
	v_xor_b32_e32 v9, vcc_hi, v8
	v_xor_b32_e32 v8, vcc_lo, v8
	v_and_b32_e32 v8, v47, v8
	v_and_b32_e32 v9, v0, v9
	v_mbcnt_lo_u32_b32 v0, v8, 0
	v_mbcnt_hi_u32_b32 v45, v9, v0
	v_cmp_eq_u32_e32 vcc, 0, v45
	v_cmp_ne_u64_e64 s[0:1], 0, v[8:9]
	s_and_b64 s[2:3], s[0:1], vcc
	v_add_u32_e32 v47, v37, v46
	; wave barrier
	s_and_saveexec_b64 s[0:1], s[2:3]
	s_cbranch_execz .LBB975_303
; %bb.302:
	v_bcnt_u32_b32 v0, v8, 0
	v_bcnt_u32_b32 v0, v9, v0
	s_waitcnt lgkmcnt(0)
	v_add_u32_e32 v0, v43, v0
	ds_write_b32 v47, v0 offset:32
.LBB975_303:
	s_or_b64 exec, exec, s[0:1]
	s_waitcnt vmcnt(16)
	v_lshrrev_b32_sdwa v0, s96, v24 dst_sel:DWORD dst_unused:UNUSED_PAD src0_sel:DWORD src1_sel:WORD_0
	v_and_b32_e32 v48, s21, v0
	v_mad_u32_u24 v0, v48, 36, v37
	; wave barrier
	ds_read_b32 v46, v0 offset:32
	v_and_b32_e32 v0, 1, v48
	v_lshl_add_u64 v[8:9], v[0:1], 0, -1
	v_cmp_ne_u32_e32 vcc, 0, v0
	v_mul_u32_u24_e32 v49, 36, v48
	s_nop 0
	v_xor_b32_e32 v8, vcc_lo, v8
	v_xor_b32_e32 v0, vcc_hi, v9
	v_and_b32_e32 v50, exec_lo, v8
	v_lshlrev_b32_e32 v9, 30, v48
	v_mov_b32_e32 v8, v1
	v_cmp_gt_i64_e32 vcc, 0, v[8:9]
	v_not_b32_e32 v8, v9
	v_ashrrev_i32_e32 v8, 31, v8
	v_and_b32_e32 v0, exec_hi, v0
	v_xor_b32_e32 v9, vcc_hi, v8
	v_xor_b32_e32 v8, vcc_lo, v8
	v_and_b32_e32 v0, v0, v9
	v_and_b32_e32 v50, v50, v8
	v_lshlrev_b32_e32 v9, 29, v48
	v_mov_b32_e32 v8, v1
	v_cmp_gt_i64_e32 vcc, 0, v[8:9]
	v_not_b32_e32 v8, v9
	v_ashrrev_i32_e32 v8, 31, v8
	v_xor_b32_e32 v9, vcc_hi, v8
	v_xor_b32_e32 v8, vcc_lo, v8
	v_and_b32_e32 v0, v0, v9
	v_and_b32_e32 v50, v50, v8
	v_lshlrev_b32_e32 v9, 28, v48
	v_mov_b32_e32 v8, v1
	v_cmp_gt_i64_e32 vcc, 0, v[8:9]
	v_not_b32_e32 v8, v9
	v_ashrrev_i32_e32 v8, 31, v8
	;; [unrolled: 9-line block ×3, first 2 shown]
	v_xor_b32_e32 v9, vcc_hi, v8
	v_xor_b32_e32 v8, vcc_lo, v8
	v_and_b32_e32 v0, v0, v9
	v_lshlrev_b32_e32 v9, 26, v48
	v_and_b32_e32 v50, v50, v8
	v_mov_b32_e32 v8, v1
	v_not_b32_e32 v1, v9
	v_cmp_gt_i64_e32 vcc, 0, v[8:9]
	v_ashrrev_i32_e32 v1, 31, v1
	; wave barrier
	s_nop 0
	v_xor_b32_e32 v8, vcc_hi, v1
	v_xor_b32_e32 v9, vcc_lo, v1
	v_and_b32_e32 v1, v0, v8
	v_and_b32_e32 v0, v50, v9
	v_mbcnt_lo_u32_b32 v8, v0, 0
	v_mbcnt_hi_u32_b32 v48, v1, v8
	v_cmp_eq_u32_e32 vcc, 0, v48
	v_cmp_ne_u64_e64 s[0:1], 0, v[0:1]
	s_and_b64 s[2:3], s[0:1], vcc
	v_add_u32_e32 v50, v37, v49
	s_and_saveexec_b64 s[0:1], s[2:3]
	s_cbranch_execz .LBB975_305
; %bb.304:
	v_bcnt_u32_b32 v0, v0, 0
	v_bcnt_u32_b32 v0, v1, v0
	s_waitcnt lgkmcnt(0)
	v_add_u32_e32 v0, v46, v0
	ds_write_b32 v50, v0 offset:32
.LBB975_305:
	s_or_b64 exec, exec, s[0:1]
	s_waitcnt vmcnt(15)
	v_lshrrev_b32_sdwa v0, s96, v23 dst_sel:DWORD dst_unused:UNUSED_PAD src0_sel:DWORD src1_sel:WORD_0
	v_and_b32_e32 v51, s21, v0
	v_mad_u32_u24 v0, v51, 36, v37
	; wave barrier
	ds_read_b32 v49, v0 offset:32
	v_and_b32_e32 v0, 1, v51
	v_mov_b32_e32 v1, 0
	v_lshl_add_u64 v[8:9], v[0:1], 0, -1
	v_cmp_ne_u32_e32 vcc, 0, v0
	v_mul_u32_u24_e32 v52, 36, v51
	s_nop 0
	v_xor_b32_e32 v8, vcc_lo, v8
	v_xor_b32_e32 v0, vcc_hi, v9
	v_and_b32_e32 v53, exec_lo, v8
	v_lshlrev_b32_e32 v9, 30, v51
	v_mov_b32_e32 v8, v1
	v_cmp_gt_i64_e32 vcc, 0, v[8:9]
	v_not_b32_e32 v8, v9
	v_ashrrev_i32_e32 v8, 31, v8
	v_and_b32_e32 v0, exec_hi, v0
	v_xor_b32_e32 v9, vcc_hi, v8
	v_xor_b32_e32 v8, vcc_lo, v8
	v_and_b32_e32 v0, v0, v9
	v_and_b32_e32 v53, v53, v8
	v_lshlrev_b32_e32 v9, 29, v51
	v_mov_b32_e32 v8, v1
	v_cmp_gt_i64_e32 vcc, 0, v[8:9]
	v_not_b32_e32 v8, v9
	v_ashrrev_i32_e32 v8, 31, v8
	v_xor_b32_e32 v9, vcc_hi, v8
	v_xor_b32_e32 v8, vcc_lo, v8
	v_and_b32_e32 v0, v0, v9
	v_and_b32_e32 v53, v53, v8
	v_lshlrev_b32_e32 v9, 28, v51
	v_mov_b32_e32 v8, v1
	v_cmp_gt_i64_e32 vcc, 0, v[8:9]
	v_not_b32_e32 v8, v9
	v_ashrrev_i32_e32 v8, 31, v8
	;; [unrolled: 9-line block ×4, first 2 shown]
	v_xor_b32_e32 v9, vcc_hi, v8
	v_xor_b32_e32 v8, vcc_lo, v8
	v_and_b32_e32 v8, v53, v8
	v_and_b32_e32 v9, v0, v9
	v_mbcnt_lo_u32_b32 v0, v8, 0
	v_mbcnt_hi_u32_b32 v51, v9, v0
	v_cmp_eq_u32_e32 vcc, 0, v51
	v_cmp_ne_u64_e64 s[0:1], 0, v[8:9]
	s_and_b64 s[2:3], s[0:1], vcc
	v_add_u32_e32 v53, v37, v52
	; wave barrier
	s_and_saveexec_b64 s[0:1], s[2:3]
	s_cbranch_execz .LBB975_307
; %bb.306:
	v_bcnt_u32_b32 v0, v8, 0
	v_bcnt_u32_b32 v0, v9, v0
	s_waitcnt lgkmcnt(0)
	v_add_u32_e32 v0, v49, v0
	ds_write_b32 v53, v0 offset:32
.LBB975_307:
	s_or_b64 exec, exec, s[0:1]
	s_waitcnt vmcnt(14)
	v_lshrrev_b32_sdwa v0, s96, v22 dst_sel:DWORD dst_unused:UNUSED_PAD src0_sel:DWORD src1_sel:WORD_0
	v_and_b32_e32 v54, s21, v0
	v_mad_u32_u24 v0, v54, 36, v37
	; wave barrier
	ds_read_b32 v52, v0 offset:32
	v_and_b32_e32 v0, 1, v54
	v_lshl_add_u64 v[8:9], v[0:1], 0, -1
	v_cmp_ne_u32_e32 vcc, 0, v0
	v_mul_u32_u24_e32 v55, 36, v54
	s_nop 0
	v_xor_b32_e32 v8, vcc_lo, v8
	v_xor_b32_e32 v0, vcc_hi, v9
	v_and_b32_e32 v56, exec_lo, v8
	v_lshlrev_b32_e32 v9, 30, v54
	v_mov_b32_e32 v8, v1
	v_cmp_gt_i64_e32 vcc, 0, v[8:9]
	v_not_b32_e32 v8, v9
	v_ashrrev_i32_e32 v8, 31, v8
	v_and_b32_e32 v0, exec_hi, v0
	v_xor_b32_e32 v9, vcc_hi, v8
	v_xor_b32_e32 v8, vcc_lo, v8
	v_and_b32_e32 v0, v0, v9
	v_and_b32_e32 v56, v56, v8
	v_lshlrev_b32_e32 v9, 29, v54
	v_mov_b32_e32 v8, v1
	v_cmp_gt_i64_e32 vcc, 0, v[8:9]
	v_not_b32_e32 v8, v9
	v_ashrrev_i32_e32 v8, 31, v8
	v_xor_b32_e32 v9, vcc_hi, v8
	v_xor_b32_e32 v8, vcc_lo, v8
	v_and_b32_e32 v0, v0, v9
	v_and_b32_e32 v56, v56, v8
	v_lshlrev_b32_e32 v9, 28, v54
	v_mov_b32_e32 v8, v1
	v_cmp_gt_i64_e32 vcc, 0, v[8:9]
	v_not_b32_e32 v8, v9
	v_ashrrev_i32_e32 v8, 31, v8
	;; [unrolled: 9-line block ×3, first 2 shown]
	v_xor_b32_e32 v9, vcc_hi, v8
	v_xor_b32_e32 v8, vcc_lo, v8
	v_and_b32_e32 v0, v0, v9
	v_lshlrev_b32_e32 v9, 26, v54
	v_and_b32_e32 v56, v56, v8
	v_mov_b32_e32 v8, v1
	v_not_b32_e32 v1, v9
	v_cmp_gt_i64_e32 vcc, 0, v[8:9]
	v_ashrrev_i32_e32 v1, 31, v1
	; wave barrier
	s_nop 0
	v_xor_b32_e32 v8, vcc_hi, v1
	v_xor_b32_e32 v9, vcc_lo, v1
	v_and_b32_e32 v1, v0, v8
	v_and_b32_e32 v0, v56, v9
	v_mbcnt_lo_u32_b32 v8, v0, 0
	v_mbcnt_hi_u32_b32 v54, v1, v8
	v_cmp_eq_u32_e32 vcc, 0, v54
	v_cmp_ne_u64_e64 s[0:1], 0, v[0:1]
	s_and_b64 s[2:3], s[0:1], vcc
	v_add_u32_e32 v56, v37, v55
	s_and_saveexec_b64 s[0:1], s[2:3]
	s_cbranch_execz .LBB975_309
; %bb.308:
	v_bcnt_u32_b32 v0, v0, 0
	v_bcnt_u32_b32 v0, v1, v0
	s_waitcnt lgkmcnt(0)
	v_add_u32_e32 v0, v52, v0
	ds_write_b32 v56, v0 offset:32
.LBB975_309:
	s_or_b64 exec, exec, s[0:1]
	s_waitcnt vmcnt(13)
	v_lshrrev_b32_sdwa v0, s96, v21 dst_sel:DWORD dst_unused:UNUSED_PAD src0_sel:DWORD src1_sel:WORD_0
	v_and_b32_e32 v57, s21, v0
	v_mad_u32_u24 v0, v57, 36, v37
	; wave barrier
	ds_read_b32 v55, v0 offset:32
	v_and_b32_e32 v0, 1, v57
	v_mov_b32_e32 v1, 0
	v_lshl_add_u64 v[8:9], v[0:1], 0, -1
	v_cmp_ne_u32_e32 vcc, 0, v0
	v_mul_u32_u24_e32 v58, 36, v57
	s_nop 0
	v_xor_b32_e32 v8, vcc_lo, v8
	v_xor_b32_e32 v0, vcc_hi, v9
	v_and_b32_e32 v59, exec_lo, v8
	v_lshlrev_b32_e32 v9, 30, v57
	v_mov_b32_e32 v8, v1
	v_cmp_gt_i64_e32 vcc, 0, v[8:9]
	v_not_b32_e32 v8, v9
	v_ashrrev_i32_e32 v8, 31, v8
	v_and_b32_e32 v0, exec_hi, v0
	v_xor_b32_e32 v9, vcc_hi, v8
	v_xor_b32_e32 v8, vcc_lo, v8
	v_and_b32_e32 v0, v0, v9
	v_and_b32_e32 v59, v59, v8
	v_lshlrev_b32_e32 v9, 29, v57
	v_mov_b32_e32 v8, v1
	v_cmp_gt_i64_e32 vcc, 0, v[8:9]
	v_not_b32_e32 v8, v9
	v_ashrrev_i32_e32 v8, 31, v8
	v_xor_b32_e32 v9, vcc_hi, v8
	v_xor_b32_e32 v8, vcc_lo, v8
	v_and_b32_e32 v0, v0, v9
	v_and_b32_e32 v59, v59, v8
	v_lshlrev_b32_e32 v9, 28, v57
	v_mov_b32_e32 v8, v1
	v_cmp_gt_i64_e32 vcc, 0, v[8:9]
	v_not_b32_e32 v8, v9
	v_ashrrev_i32_e32 v8, 31, v8
	;; [unrolled: 9-line block ×4, first 2 shown]
	v_xor_b32_e32 v9, vcc_hi, v8
	v_xor_b32_e32 v8, vcc_lo, v8
	v_and_b32_e32 v8, v59, v8
	v_and_b32_e32 v9, v0, v9
	v_mbcnt_lo_u32_b32 v0, v8, 0
	v_mbcnt_hi_u32_b32 v57, v9, v0
	v_cmp_eq_u32_e32 vcc, 0, v57
	v_cmp_ne_u64_e64 s[0:1], 0, v[8:9]
	s_and_b64 s[2:3], s[0:1], vcc
	v_add_u32_e32 v59, v37, v58
	; wave barrier
	s_and_saveexec_b64 s[0:1], s[2:3]
	s_cbranch_execz .LBB975_311
; %bb.310:
	v_bcnt_u32_b32 v0, v8, 0
	v_bcnt_u32_b32 v0, v9, v0
	s_waitcnt lgkmcnt(0)
	v_add_u32_e32 v0, v55, v0
	ds_write_b32 v59, v0 offset:32
.LBB975_311:
	s_or_b64 exec, exec, s[0:1]
	s_waitcnt vmcnt(12)
	v_lshrrev_b32_sdwa v0, s96, v20 dst_sel:DWORD dst_unused:UNUSED_PAD src0_sel:DWORD src1_sel:WORD_0
	v_and_b32_e32 v60, s21, v0
	v_mad_u32_u24 v0, v60, 36, v37
	; wave barrier
	ds_read_b32 v58, v0 offset:32
	v_and_b32_e32 v0, 1, v60
	v_lshl_add_u64 v[8:9], v[0:1], 0, -1
	v_cmp_ne_u32_e32 vcc, 0, v0
	v_mul_u32_u24_e32 v61, 36, v60
	s_nop 0
	v_xor_b32_e32 v8, vcc_lo, v8
	v_xor_b32_e32 v0, vcc_hi, v9
	v_and_b32_e32 v62, exec_lo, v8
	v_lshlrev_b32_e32 v9, 30, v60
	v_mov_b32_e32 v8, v1
	v_cmp_gt_i64_e32 vcc, 0, v[8:9]
	v_not_b32_e32 v8, v9
	v_ashrrev_i32_e32 v8, 31, v8
	v_and_b32_e32 v0, exec_hi, v0
	v_xor_b32_e32 v9, vcc_hi, v8
	v_xor_b32_e32 v8, vcc_lo, v8
	v_and_b32_e32 v0, v0, v9
	v_and_b32_e32 v62, v62, v8
	v_lshlrev_b32_e32 v9, 29, v60
	v_mov_b32_e32 v8, v1
	v_cmp_gt_i64_e32 vcc, 0, v[8:9]
	v_not_b32_e32 v8, v9
	v_ashrrev_i32_e32 v8, 31, v8
	v_xor_b32_e32 v9, vcc_hi, v8
	v_xor_b32_e32 v8, vcc_lo, v8
	v_and_b32_e32 v0, v0, v9
	v_and_b32_e32 v62, v62, v8
	v_lshlrev_b32_e32 v9, 28, v60
	v_mov_b32_e32 v8, v1
	v_cmp_gt_i64_e32 vcc, 0, v[8:9]
	v_not_b32_e32 v8, v9
	v_ashrrev_i32_e32 v8, 31, v8
	;; [unrolled: 9-line block ×3, first 2 shown]
	v_xor_b32_e32 v9, vcc_hi, v8
	v_xor_b32_e32 v8, vcc_lo, v8
	v_and_b32_e32 v0, v0, v9
	v_lshlrev_b32_e32 v9, 26, v60
	v_and_b32_e32 v62, v62, v8
	v_mov_b32_e32 v8, v1
	v_not_b32_e32 v1, v9
	v_cmp_gt_i64_e32 vcc, 0, v[8:9]
	v_ashrrev_i32_e32 v1, 31, v1
	; wave barrier
	s_nop 0
	v_xor_b32_e32 v8, vcc_hi, v1
	v_xor_b32_e32 v9, vcc_lo, v1
	v_and_b32_e32 v1, v0, v8
	v_and_b32_e32 v0, v62, v9
	v_mbcnt_lo_u32_b32 v8, v0, 0
	v_mbcnt_hi_u32_b32 v60, v1, v8
	v_cmp_eq_u32_e32 vcc, 0, v60
	v_cmp_ne_u64_e64 s[0:1], 0, v[0:1]
	s_and_b64 s[2:3], s[0:1], vcc
	v_add_u32_e32 v62, v37, v61
	s_and_saveexec_b64 s[0:1], s[2:3]
	s_cbranch_execz .LBB975_313
; %bb.312:
	v_bcnt_u32_b32 v0, v0, 0
	v_bcnt_u32_b32 v0, v1, v0
	s_waitcnt lgkmcnt(0)
	v_add_u32_e32 v0, v58, v0
	ds_write_b32 v62, v0 offset:32
.LBB975_313:
	s_or_b64 exec, exec, s[0:1]
	s_waitcnt vmcnt(11)
	v_lshrrev_b32_sdwa v0, s96, v19 dst_sel:DWORD dst_unused:UNUSED_PAD src0_sel:DWORD src1_sel:WORD_0
	v_and_b32_e32 v63, s21, v0
	v_mad_u32_u24 v0, v63, 36, v37
	; wave barrier
	ds_read_b32 v61, v0 offset:32
	v_and_b32_e32 v0, 1, v63
	v_mov_b32_e32 v1, 0
	v_lshl_add_u64 v[8:9], v[0:1], 0, -1
	v_cmp_ne_u32_e32 vcc, 0, v0
	v_mul_u32_u24_e32 v64, 36, v63
	s_nop 0
	v_xor_b32_e32 v8, vcc_lo, v8
	v_xor_b32_e32 v0, vcc_hi, v9
	v_and_b32_e32 v65, exec_lo, v8
	v_lshlrev_b32_e32 v9, 30, v63
	v_mov_b32_e32 v8, v1
	v_cmp_gt_i64_e32 vcc, 0, v[8:9]
	v_not_b32_e32 v8, v9
	v_ashrrev_i32_e32 v8, 31, v8
	v_and_b32_e32 v0, exec_hi, v0
	v_xor_b32_e32 v9, vcc_hi, v8
	v_xor_b32_e32 v8, vcc_lo, v8
	v_and_b32_e32 v0, v0, v9
	v_and_b32_e32 v65, v65, v8
	v_lshlrev_b32_e32 v9, 29, v63
	v_mov_b32_e32 v8, v1
	v_cmp_gt_i64_e32 vcc, 0, v[8:9]
	v_not_b32_e32 v8, v9
	v_ashrrev_i32_e32 v8, 31, v8
	v_xor_b32_e32 v9, vcc_hi, v8
	v_xor_b32_e32 v8, vcc_lo, v8
	v_and_b32_e32 v0, v0, v9
	v_and_b32_e32 v65, v65, v8
	v_lshlrev_b32_e32 v9, 28, v63
	v_mov_b32_e32 v8, v1
	v_cmp_gt_i64_e32 vcc, 0, v[8:9]
	v_not_b32_e32 v8, v9
	v_ashrrev_i32_e32 v8, 31, v8
	;; [unrolled: 9-line block ×4, first 2 shown]
	v_xor_b32_e32 v9, vcc_hi, v8
	v_xor_b32_e32 v8, vcc_lo, v8
	v_and_b32_e32 v8, v65, v8
	v_and_b32_e32 v9, v0, v9
	v_mbcnt_lo_u32_b32 v0, v8, 0
	v_mbcnt_hi_u32_b32 v63, v9, v0
	v_cmp_eq_u32_e32 vcc, 0, v63
	v_cmp_ne_u64_e64 s[0:1], 0, v[8:9]
	s_and_b64 s[2:3], s[0:1], vcc
	v_add_u32_e32 v65, v37, v64
	; wave barrier
	s_and_saveexec_b64 s[0:1], s[2:3]
	s_cbranch_execz .LBB975_315
; %bb.314:
	v_bcnt_u32_b32 v0, v8, 0
	v_bcnt_u32_b32 v0, v9, v0
	s_waitcnt lgkmcnt(0)
	v_add_u32_e32 v0, v61, v0
	ds_write_b32 v65, v0 offset:32
.LBB975_315:
	s_or_b64 exec, exec, s[0:1]
	s_waitcnt vmcnt(10)
	v_lshrrev_b32_sdwa v0, s96, v18 dst_sel:DWORD dst_unused:UNUSED_PAD src0_sel:DWORD src1_sel:WORD_0
	v_and_b32_e32 v66, s21, v0
	v_mad_u32_u24 v0, v66, 36, v37
	; wave barrier
	ds_read_b32 v64, v0 offset:32
	v_and_b32_e32 v0, 1, v66
	v_lshl_add_u64 v[8:9], v[0:1], 0, -1
	v_cmp_ne_u32_e32 vcc, 0, v0
	v_mul_u32_u24_e32 v67, 36, v66
	s_nop 0
	v_xor_b32_e32 v8, vcc_lo, v8
	v_xor_b32_e32 v0, vcc_hi, v9
	v_and_b32_e32 v68, exec_lo, v8
	v_lshlrev_b32_e32 v9, 30, v66
	v_mov_b32_e32 v8, v1
	v_cmp_gt_i64_e32 vcc, 0, v[8:9]
	v_not_b32_e32 v8, v9
	v_ashrrev_i32_e32 v8, 31, v8
	v_and_b32_e32 v0, exec_hi, v0
	v_xor_b32_e32 v9, vcc_hi, v8
	v_xor_b32_e32 v8, vcc_lo, v8
	v_and_b32_e32 v0, v0, v9
	v_and_b32_e32 v68, v68, v8
	v_lshlrev_b32_e32 v9, 29, v66
	v_mov_b32_e32 v8, v1
	v_cmp_gt_i64_e32 vcc, 0, v[8:9]
	v_not_b32_e32 v8, v9
	v_ashrrev_i32_e32 v8, 31, v8
	v_xor_b32_e32 v9, vcc_hi, v8
	v_xor_b32_e32 v8, vcc_lo, v8
	v_and_b32_e32 v0, v0, v9
	v_and_b32_e32 v68, v68, v8
	v_lshlrev_b32_e32 v9, 28, v66
	v_mov_b32_e32 v8, v1
	v_cmp_gt_i64_e32 vcc, 0, v[8:9]
	v_not_b32_e32 v8, v9
	v_ashrrev_i32_e32 v8, 31, v8
	v_xor_b32_e32 v9, vcc_hi, v8
	v_xor_b32_e32 v8, vcc_lo, v8
	v_and_b32_e32 v0, v0, v9
	v_and_b32_e32 v68, v68, v8
	v_lshlrev_b32_e32 v9, 27, v66
	v_mov_b32_e32 v8, v1
	v_cmp_gt_i64_e32 vcc, 0, v[8:9]
	v_not_b32_e32 v8, v9
	v_ashrrev_i32_e32 v8, 31, v8
	v_xor_b32_e32 v9, vcc_hi, v8
	v_xor_b32_e32 v8, vcc_lo, v8
	v_and_b32_e32 v0, v0, v9
	v_lshlrev_b32_e32 v9, 26, v66
	v_and_b32_e32 v68, v68, v8
	v_mov_b32_e32 v8, v1
	v_not_b32_e32 v1, v9
	v_cmp_gt_i64_e32 vcc, 0, v[8:9]
	v_ashrrev_i32_e32 v1, 31, v1
	; wave barrier
	s_nop 0
	v_xor_b32_e32 v8, vcc_hi, v1
	v_xor_b32_e32 v9, vcc_lo, v1
	v_and_b32_e32 v1, v0, v8
	v_and_b32_e32 v0, v68, v9
	v_mbcnt_lo_u32_b32 v8, v0, 0
	v_mbcnt_hi_u32_b32 v66, v1, v8
	v_cmp_eq_u32_e32 vcc, 0, v66
	v_cmp_ne_u64_e64 s[0:1], 0, v[0:1]
	s_and_b64 s[2:3], s[0:1], vcc
	v_add_u32_e32 v68, v37, v67
	s_and_saveexec_b64 s[0:1], s[2:3]
	s_cbranch_execz .LBB975_317
; %bb.316:
	v_bcnt_u32_b32 v0, v0, 0
	v_bcnt_u32_b32 v0, v1, v0
	s_waitcnt lgkmcnt(0)
	v_add_u32_e32 v0, v64, v0
	ds_write_b32 v68, v0 offset:32
.LBB975_317:
	s_or_b64 exec, exec, s[0:1]
	s_waitcnt vmcnt(9)
	v_lshrrev_b32_sdwa v0, s96, v17 dst_sel:DWORD dst_unused:UNUSED_PAD src0_sel:DWORD src1_sel:WORD_0
	v_and_b32_e32 v69, s21, v0
	v_mad_u32_u24 v0, v69, 36, v37
	; wave barrier
	ds_read_b32 v67, v0 offset:32
	v_and_b32_e32 v0, 1, v69
	v_mov_b32_e32 v1, 0
	v_lshl_add_u64 v[8:9], v[0:1], 0, -1
	v_cmp_ne_u32_e32 vcc, 0, v0
	v_mul_u32_u24_e32 v70, 36, v69
	s_nop 0
	v_xor_b32_e32 v8, vcc_lo, v8
	v_xor_b32_e32 v0, vcc_hi, v9
	v_and_b32_e32 v71, exec_lo, v8
	v_lshlrev_b32_e32 v9, 30, v69
	v_mov_b32_e32 v8, v1
	v_cmp_gt_i64_e32 vcc, 0, v[8:9]
	v_not_b32_e32 v8, v9
	v_ashrrev_i32_e32 v8, 31, v8
	v_and_b32_e32 v0, exec_hi, v0
	v_xor_b32_e32 v9, vcc_hi, v8
	v_xor_b32_e32 v8, vcc_lo, v8
	v_and_b32_e32 v0, v0, v9
	v_and_b32_e32 v71, v71, v8
	v_lshlrev_b32_e32 v9, 29, v69
	v_mov_b32_e32 v8, v1
	v_cmp_gt_i64_e32 vcc, 0, v[8:9]
	v_not_b32_e32 v8, v9
	v_ashrrev_i32_e32 v8, 31, v8
	v_xor_b32_e32 v9, vcc_hi, v8
	v_xor_b32_e32 v8, vcc_lo, v8
	v_and_b32_e32 v0, v0, v9
	v_and_b32_e32 v71, v71, v8
	v_lshlrev_b32_e32 v9, 28, v69
	v_mov_b32_e32 v8, v1
	v_cmp_gt_i64_e32 vcc, 0, v[8:9]
	v_not_b32_e32 v8, v9
	v_ashrrev_i32_e32 v8, 31, v8
	;; [unrolled: 9-line block ×4, first 2 shown]
	v_xor_b32_e32 v9, vcc_hi, v8
	v_xor_b32_e32 v8, vcc_lo, v8
	v_and_b32_e32 v8, v71, v8
	v_and_b32_e32 v9, v0, v9
	v_mbcnt_lo_u32_b32 v0, v8, 0
	v_mbcnt_hi_u32_b32 v69, v9, v0
	v_cmp_eq_u32_e32 vcc, 0, v69
	v_cmp_ne_u64_e64 s[0:1], 0, v[8:9]
	s_and_b64 s[2:3], s[0:1], vcc
	v_add_u32_e32 v71, v37, v70
	; wave barrier
	s_and_saveexec_b64 s[0:1], s[2:3]
	s_cbranch_execz .LBB975_319
; %bb.318:
	v_bcnt_u32_b32 v0, v8, 0
	v_bcnt_u32_b32 v0, v9, v0
	s_waitcnt lgkmcnt(0)
	v_add_u32_e32 v0, v67, v0
	ds_write_b32 v71, v0 offset:32
.LBB975_319:
	s_or_b64 exec, exec, s[0:1]
	s_waitcnt vmcnt(8)
	v_lshrrev_b32_sdwa v0, s96, v16 dst_sel:DWORD dst_unused:UNUSED_PAD src0_sel:DWORD src1_sel:WORD_0
	v_and_b32_e32 v72, s21, v0
	v_mad_u32_u24 v0, v72, 36, v37
	; wave barrier
	ds_read_b32 v70, v0 offset:32
	v_and_b32_e32 v0, 1, v72
	v_lshl_add_u64 v[8:9], v[0:1], 0, -1
	v_cmp_ne_u32_e32 vcc, 0, v0
	v_mul_u32_u24_e32 v73, 36, v72
	s_nop 0
	v_xor_b32_e32 v8, vcc_lo, v8
	v_xor_b32_e32 v0, vcc_hi, v9
	v_and_b32_e32 v74, exec_lo, v8
	v_lshlrev_b32_e32 v9, 30, v72
	v_mov_b32_e32 v8, v1
	v_cmp_gt_i64_e32 vcc, 0, v[8:9]
	v_not_b32_e32 v8, v9
	v_ashrrev_i32_e32 v8, 31, v8
	v_and_b32_e32 v0, exec_hi, v0
	v_xor_b32_e32 v9, vcc_hi, v8
	v_xor_b32_e32 v8, vcc_lo, v8
	v_and_b32_e32 v0, v0, v9
	v_and_b32_e32 v74, v74, v8
	v_lshlrev_b32_e32 v9, 29, v72
	v_mov_b32_e32 v8, v1
	v_cmp_gt_i64_e32 vcc, 0, v[8:9]
	v_not_b32_e32 v8, v9
	v_ashrrev_i32_e32 v8, 31, v8
	v_xor_b32_e32 v9, vcc_hi, v8
	v_xor_b32_e32 v8, vcc_lo, v8
	v_and_b32_e32 v0, v0, v9
	v_and_b32_e32 v74, v74, v8
	v_lshlrev_b32_e32 v9, 28, v72
	v_mov_b32_e32 v8, v1
	v_cmp_gt_i64_e32 vcc, 0, v[8:9]
	v_not_b32_e32 v8, v9
	v_ashrrev_i32_e32 v8, 31, v8
	;; [unrolled: 9-line block ×3, first 2 shown]
	v_xor_b32_e32 v9, vcc_hi, v8
	v_xor_b32_e32 v8, vcc_lo, v8
	v_and_b32_e32 v0, v0, v9
	v_lshlrev_b32_e32 v9, 26, v72
	v_and_b32_e32 v74, v74, v8
	v_mov_b32_e32 v8, v1
	v_not_b32_e32 v1, v9
	v_cmp_gt_i64_e32 vcc, 0, v[8:9]
	v_ashrrev_i32_e32 v1, 31, v1
	; wave barrier
	s_nop 0
	v_xor_b32_e32 v8, vcc_hi, v1
	v_xor_b32_e32 v9, vcc_lo, v1
	v_and_b32_e32 v1, v0, v8
	v_and_b32_e32 v0, v74, v9
	v_mbcnt_lo_u32_b32 v8, v0, 0
	v_mbcnt_hi_u32_b32 v72, v1, v8
	v_cmp_eq_u32_e32 vcc, 0, v72
	v_cmp_ne_u64_e64 s[0:1], 0, v[0:1]
	s_and_b64 s[2:3], s[0:1], vcc
	v_add_u32_e32 v74, v37, v73
	s_and_saveexec_b64 s[0:1], s[2:3]
	s_cbranch_execz .LBB975_321
; %bb.320:
	v_bcnt_u32_b32 v0, v0, 0
	v_bcnt_u32_b32 v0, v1, v0
	s_waitcnt lgkmcnt(0)
	v_add_u32_e32 v0, v70, v0
	ds_write_b32 v74, v0 offset:32
.LBB975_321:
	s_or_b64 exec, exec, s[0:1]
	s_waitcnt vmcnt(7)
	v_lshrrev_b32_sdwa v0, s96, v14 dst_sel:DWORD dst_unused:UNUSED_PAD src0_sel:DWORD src1_sel:WORD_0
	v_and_b32_e32 v75, s21, v0
	v_mad_u32_u24 v0, v75, 36, v37
	; wave barrier
	ds_read_b32 v73, v0 offset:32
	v_and_b32_e32 v0, 1, v75
	v_mov_b32_e32 v1, 0
	v_lshl_add_u64 v[8:9], v[0:1], 0, -1
	v_cmp_ne_u32_e32 vcc, 0, v0
	v_mul_u32_u24_e32 v76, 36, v75
	s_nop 0
	v_xor_b32_e32 v8, vcc_lo, v8
	v_xor_b32_e32 v0, vcc_hi, v9
	v_and_b32_e32 v77, exec_lo, v8
	v_lshlrev_b32_e32 v9, 30, v75
	v_mov_b32_e32 v8, v1
	v_cmp_gt_i64_e32 vcc, 0, v[8:9]
	v_not_b32_e32 v8, v9
	v_ashrrev_i32_e32 v8, 31, v8
	v_and_b32_e32 v0, exec_hi, v0
	v_xor_b32_e32 v9, vcc_hi, v8
	v_xor_b32_e32 v8, vcc_lo, v8
	v_and_b32_e32 v0, v0, v9
	v_and_b32_e32 v77, v77, v8
	v_lshlrev_b32_e32 v9, 29, v75
	v_mov_b32_e32 v8, v1
	v_cmp_gt_i64_e32 vcc, 0, v[8:9]
	v_not_b32_e32 v8, v9
	v_ashrrev_i32_e32 v8, 31, v8
	v_xor_b32_e32 v9, vcc_hi, v8
	v_xor_b32_e32 v8, vcc_lo, v8
	v_and_b32_e32 v0, v0, v9
	v_and_b32_e32 v77, v77, v8
	v_lshlrev_b32_e32 v9, 28, v75
	v_mov_b32_e32 v8, v1
	v_cmp_gt_i64_e32 vcc, 0, v[8:9]
	v_not_b32_e32 v8, v9
	v_ashrrev_i32_e32 v8, 31, v8
	;; [unrolled: 9-line block ×4, first 2 shown]
	v_xor_b32_e32 v9, vcc_hi, v8
	v_xor_b32_e32 v8, vcc_lo, v8
	v_and_b32_e32 v8, v77, v8
	v_and_b32_e32 v9, v0, v9
	v_mbcnt_lo_u32_b32 v0, v8, 0
	v_mbcnt_hi_u32_b32 v75, v9, v0
	v_cmp_eq_u32_e32 vcc, 0, v75
	v_cmp_ne_u64_e64 s[0:1], 0, v[8:9]
	s_and_b64 s[2:3], s[0:1], vcc
	v_add_u32_e32 v77, v37, v76
	; wave barrier
	s_and_saveexec_b64 s[0:1], s[2:3]
	s_cbranch_execz .LBB975_323
; %bb.322:
	v_bcnt_u32_b32 v0, v8, 0
	v_bcnt_u32_b32 v0, v9, v0
	s_waitcnt lgkmcnt(0)
	v_add_u32_e32 v0, v73, v0
	ds_write_b32 v77, v0 offset:32
.LBB975_323:
	s_or_b64 exec, exec, s[0:1]
	s_waitcnt vmcnt(6)
	v_lshrrev_b32_sdwa v0, s96, v15 dst_sel:DWORD dst_unused:UNUSED_PAD src0_sel:DWORD src1_sel:WORD_0
	v_and_b32_e32 v78, s21, v0
	v_mad_u32_u24 v0, v78, 36, v37
	; wave barrier
	ds_read_b32 v76, v0 offset:32
	v_and_b32_e32 v0, 1, v78
	v_lshl_add_u64 v[8:9], v[0:1], 0, -1
	v_cmp_ne_u32_e32 vcc, 0, v0
	v_mul_u32_u24_e32 v79, 36, v78
	s_nop 0
	v_xor_b32_e32 v8, vcc_lo, v8
	v_xor_b32_e32 v0, vcc_hi, v9
	v_and_b32_e32 v80, exec_lo, v8
	v_lshlrev_b32_e32 v9, 30, v78
	v_mov_b32_e32 v8, v1
	v_cmp_gt_i64_e32 vcc, 0, v[8:9]
	v_not_b32_e32 v8, v9
	v_ashrrev_i32_e32 v8, 31, v8
	v_and_b32_e32 v0, exec_hi, v0
	v_xor_b32_e32 v9, vcc_hi, v8
	v_xor_b32_e32 v8, vcc_lo, v8
	v_and_b32_e32 v0, v0, v9
	v_and_b32_e32 v80, v80, v8
	v_lshlrev_b32_e32 v9, 29, v78
	v_mov_b32_e32 v8, v1
	v_cmp_gt_i64_e32 vcc, 0, v[8:9]
	v_not_b32_e32 v8, v9
	v_ashrrev_i32_e32 v8, 31, v8
	v_xor_b32_e32 v9, vcc_hi, v8
	v_xor_b32_e32 v8, vcc_lo, v8
	v_and_b32_e32 v0, v0, v9
	v_and_b32_e32 v80, v80, v8
	v_lshlrev_b32_e32 v9, 28, v78
	v_mov_b32_e32 v8, v1
	v_cmp_gt_i64_e32 vcc, 0, v[8:9]
	v_not_b32_e32 v8, v9
	v_ashrrev_i32_e32 v8, 31, v8
	;; [unrolled: 9-line block ×3, first 2 shown]
	v_xor_b32_e32 v9, vcc_hi, v8
	v_xor_b32_e32 v8, vcc_lo, v8
	v_and_b32_e32 v0, v0, v9
	v_lshlrev_b32_e32 v9, 26, v78
	v_and_b32_e32 v80, v80, v8
	v_mov_b32_e32 v8, v1
	v_not_b32_e32 v1, v9
	v_cmp_gt_i64_e32 vcc, 0, v[8:9]
	v_ashrrev_i32_e32 v1, 31, v1
	; wave barrier
	s_nop 0
	v_xor_b32_e32 v8, vcc_hi, v1
	v_xor_b32_e32 v9, vcc_lo, v1
	v_and_b32_e32 v1, v0, v8
	v_and_b32_e32 v0, v80, v9
	v_mbcnt_lo_u32_b32 v8, v0, 0
	v_mbcnt_hi_u32_b32 v78, v1, v8
	v_cmp_eq_u32_e32 vcc, 0, v78
	v_cmp_ne_u64_e64 s[0:1], 0, v[0:1]
	s_and_b64 s[2:3], s[0:1], vcc
	v_add_u32_e32 v80, v37, v79
	s_and_saveexec_b64 s[0:1], s[2:3]
	s_cbranch_execz .LBB975_325
; %bb.324:
	v_bcnt_u32_b32 v0, v0, 0
	v_bcnt_u32_b32 v0, v1, v0
	s_waitcnt lgkmcnt(0)
	v_add_u32_e32 v0, v76, v0
	ds_write_b32 v80, v0 offset:32
.LBB975_325:
	s_or_b64 exec, exec, s[0:1]
	s_waitcnt vmcnt(5)
	v_lshrrev_b32_sdwa v0, s96, v13 dst_sel:DWORD dst_unused:UNUSED_PAD src0_sel:DWORD src1_sel:WORD_0
	v_and_b32_e32 v81, s21, v0
	v_mad_u32_u24 v0, v81, 36, v37
	; wave barrier
	ds_read_b32 v79, v0 offset:32
	v_and_b32_e32 v0, 1, v81
	v_mov_b32_e32 v1, 0
	v_lshl_add_u64 v[8:9], v[0:1], 0, -1
	v_cmp_ne_u32_e32 vcc, 0, v0
	v_mul_u32_u24_e32 v82, 36, v81
	s_nop 0
	v_xor_b32_e32 v8, vcc_lo, v8
	v_xor_b32_e32 v0, vcc_hi, v9
	v_and_b32_e32 v83, exec_lo, v8
	v_lshlrev_b32_e32 v9, 30, v81
	v_mov_b32_e32 v8, v1
	v_cmp_gt_i64_e32 vcc, 0, v[8:9]
	v_not_b32_e32 v8, v9
	v_ashrrev_i32_e32 v8, 31, v8
	v_and_b32_e32 v0, exec_hi, v0
	v_xor_b32_e32 v9, vcc_hi, v8
	v_xor_b32_e32 v8, vcc_lo, v8
	v_and_b32_e32 v0, v0, v9
	v_and_b32_e32 v83, v83, v8
	v_lshlrev_b32_e32 v9, 29, v81
	v_mov_b32_e32 v8, v1
	v_cmp_gt_i64_e32 vcc, 0, v[8:9]
	v_not_b32_e32 v8, v9
	v_ashrrev_i32_e32 v8, 31, v8
	v_xor_b32_e32 v9, vcc_hi, v8
	v_xor_b32_e32 v8, vcc_lo, v8
	v_and_b32_e32 v0, v0, v9
	v_and_b32_e32 v83, v83, v8
	v_lshlrev_b32_e32 v9, 28, v81
	v_mov_b32_e32 v8, v1
	v_cmp_gt_i64_e32 vcc, 0, v[8:9]
	v_not_b32_e32 v8, v9
	v_ashrrev_i32_e32 v8, 31, v8
	;; [unrolled: 9-line block ×4, first 2 shown]
	v_xor_b32_e32 v9, vcc_hi, v8
	v_xor_b32_e32 v8, vcc_lo, v8
	v_and_b32_e32 v8, v83, v8
	v_and_b32_e32 v9, v0, v9
	v_mbcnt_lo_u32_b32 v0, v8, 0
	v_mbcnt_hi_u32_b32 v81, v9, v0
	v_cmp_eq_u32_e32 vcc, 0, v81
	v_cmp_ne_u64_e64 s[0:1], 0, v[8:9]
	s_and_b64 s[2:3], s[0:1], vcc
	v_add_u32_e32 v83, v37, v82
	; wave barrier
	s_and_saveexec_b64 s[0:1], s[2:3]
	s_cbranch_execz .LBB975_327
; %bb.326:
	v_bcnt_u32_b32 v0, v8, 0
	v_bcnt_u32_b32 v0, v9, v0
	s_waitcnt lgkmcnt(0)
	v_add_u32_e32 v0, v79, v0
	ds_write_b32 v83, v0 offset:32
.LBB975_327:
	s_or_b64 exec, exec, s[0:1]
	s_waitcnt vmcnt(4)
	v_lshrrev_b32_sdwa v0, s96, v12 dst_sel:DWORD dst_unused:UNUSED_PAD src0_sel:DWORD src1_sel:WORD_0
	v_and_b32_e32 v84, s21, v0
	v_mad_u32_u24 v0, v84, 36, v37
	; wave barrier
	ds_read_b32 v82, v0 offset:32
	v_and_b32_e32 v0, 1, v84
	v_lshl_add_u64 v[8:9], v[0:1], 0, -1
	v_cmp_ne_u32_e32 vcc, 0, v0
	v_mul_u32_u24_e32 v85, 36, v84
	s_nop 0
	v_xor_b32_e32 v8, vcc_lo, v8
	v_xor_b32_e32 v0, vcc_hi, v9
	v_and_b32_e32 v86, exec_lo, v8
	v_lshlrev_b32_e32 v9, 30, v84
	v_mov_b32_e32 v8, v1
	v_cmp_gt_i64_e32 vcc, 0, v[8:9]
	v_not_b32_e32 v8, v9
	v_ashrrev_i32_e32 v8, 31, v8
	v_and_b32_e32 v0, exec_hi, v0
	v_xor_b32_e32 v9, vcc_hi, v8
	v_xor_b32_e32 v8, vcc_lo, v8
	v_and_b32_e32 v0, v0, v9
	v_and_b32_e32 v86, v86, v8
	v_lshlrev_b32_e32 v9, 29, v84
	v_mov_b32_e32 v8, v1
	v_cmp_gt_i64_e32 vcc, 0, v[8:9]
	v_not_b32_e32 v8, v9
	v_ashrrev_i32_e32 v8, 31, v8
	v_xor_b32_e32 v9, vcc_hi, v8
	v_xor_b32_e32 v8, vcc_lo, v8
	v_and_b32_e32 v0, v0, v9
	v_and_b32_e32 v86, v86, v8
	v_lshlrev_b32_e32 v9, 28, v84
	v_mov_b32_e32 v8, v1
	v_cmp_gt_i64_e32 vcc, 0, v[8:9]
	v_not_b32_e32 v8, v9
	v_ashrrev_i32_e32 v8, 31, v8
	;; [unrolled: 9-line block ×3, first 2 shown]
	v_xor_b32_e32 v9, vcc_hi, v8
	v_xor_b32_e32 v8, vcc_lo, v8
	v_and_b32_e32 v0, v0, v9
	v_lshlrev_b32_e32 v9, 26, v84
	v_and_b32_e32 v86, v86, v8
	v_mov_b32_e32 v8, v1
	v_not_b32_e32 v1, v9
	v_cmp_gt_i64_e32 vcc, 0, v[8:9]
	v_ashrrev_i32_e32 v1, 31, v1
	; wave barrier
	s_nop 0
	v_xor_b32_e32 v8, vcc_hi, v1
	v_xor_b32_e32 v9, vcc_lo, v1
	v_and_b32_e32 v1, v0, v8
	v_and_b32_e32 v0, v86, v9
	v_mbcnt_lo_u32_b32 v8, v0, 0
	v_mbcnt_hi_u32_b32 v84, v1, v8
	v_cmp_eq_u32_e32 vcc, 0, v84
	v_cmp_ne_u64_e64 s[0:1], 0, v[0:1]
	s_and_b64 s[2:3], s[0:1], vcc
	v_add_u32_e32 v86, v37, v85
	s_and_saveexec_b64 s[0:1], s[2:3]
	s_cbranch_execz .LBB975_329
; %bb.328:
	v_bcnt_u32_b32 v0, v0, 0
	v_bcnt_u32_b32 v0, v1, v0
	s_waitcnt lgkmcnt(0)
	v_add_u32_e32 v0, v82, v0
	ds_write_b32 v86, v0 offset:32
.LBB975_329:
	s_or_b64 exec, exec, s[0:1]
	s_waitcnt vmcnt(3)
	v_lshrrev_b32_sdwa v0, s96, v11 dst_sel:DWORD dst_unused:UNUSED_PAD src0_sel:DWORD src1_sel:WORD_0
	v_and_b32_e32 v87, s21, v0
	v_mad_u32_u24 v0, v87, 36, v37
	; wave barrier
	ds_read_b32 v85, v0 offset:32
	v_and_b32_e32 v0, 1, v87
	v_mov_b32_e32 v1, 0
	v_lshl_add_u64 v[8:9], v[0:1], 0, -1
	v_cmp_ne_u32_e32 vcc, 0, v0
	v_mul_u32_u24_e32 v88, 36, v87
	s_nop 0
	v_xor_b32_e32 v8, vcc_lo, v8
	v_xor_b32_e32 v0, vcc_hi, v9
	v_and_b32_e32 v89, exec_lo, v8
	v_lshlrev_b32_e32 v9, 30, v87
	v_mov_b32_e32 v8, v1
	v_cmp_gt_i64_e32 vcc, 0, v[8:9]
	v_not_b32_e32 v8, v9
	v_ashrrev_i32_e32 v8, 31, v8
	v_and_b32_e32 v0, exec_hi, v0
	v_xor_b32_e32 v9, vcc_hi, v8
	v_xor_b32_e32 v8, vcc_lo, v8
	v_and_b32_e32 v0, v0, v9
	v_and_b32_e32 v89, v89, v8
	v_lshlrev_b32_e32 v9, 29, v87
	v_mov_b32_e32 v8, v1
	v_cmp_gt_i64_e32 vcc, 0, v[8:9]
	v_not_b32_e32 v8, v9
	v_ashrrev_i32_e32 v8, 31, v8
	v_xor_b32_e32 v9, vcc_hi, v8
	v_xor_b32_e32 v8, vcc_lo, v8
	v_and_b32_e32 v0, v0, v9
	v_and_b32_e32 v89, v89, v8
	v_lshlrev_b32_e32 v9, 28, v87
	v_mov_b32_e32 v8, v1
	v_cmp_gt_i64_e32 vcc, 0, v[8:9]
	v_not_b32_e32 v8, v9
	v_ashrrev_i32_e32 v8, 31, v8
	;; [unrolled: 9-line block ×4, first 2 shown]
	v_xor_b32_e32 v9, vcc_hi, v8
	v_xor_b32_e32 v8, vcc_lo, v8
	v_and_b32_e32 v8, v89, v8
	v_and_b32_e32 v9, v0, v9
	v_mbcnt_lo_u32_b32 v0, v8, 0
	v_mbcnt_hi_u32_b32 v87, v9, v0
	v_cmp_eq_u32_e32 vcc, 0, v87
	v_cmp_ne_u64_e64 s[0:1], 0, v[8:9]
	s_and_b64 s[2:3], s[0:1], vcc
	v_add_u32_e32 v89, v37, v88
	; wave barrier
	s_and_saveexec_b64 s[0:1], s[2:3]
	s_cbranch_execz .LBB975_331
; %bb.330:
	v_bcnt_u32_b32 v0, v8, 0
	v_bcnt_u32_b32 v0, v9, v0
	s_waitcnt lgkmcnt(0)
	v_add_u32_e32 v0, v85, v0
	ds_write_b32 v89, v0 offset:32
.LBB975_331:
	s_or_b64 exec, exec, s[0:1]
	s_waitcnt vmcnt(2)
	v_lshrrev_b32_sdwa v0, s96, v10 dst_sel:DWORD dst_unused:UNUSED_PAD src0_sel:DWORD src1_sel:WORD_0
	v_and_b32_e32 v90, s21, v0
	v_mad_u32_u24 v0, v90, 36, v37
	; wave barrier
	ds_read_b32 v88, v0 offset:32
	v_and_b32_e32 v0, 1, v90
	v_lshl_add_u64 v[8:9], v[0:1], 0, -1
	v_cmp_ne_u32_e32 vcc, 0, v0
	v_mul_u32_u24_e32 v91, 36, v90
	s_nop 0
	v_xor_b32_e32 v8, vcc_lo, v8
	v_xor_b32_e32 v0, vcc_hi, v9
	v_and_b32_e32 v92, exec_lo, v8
	v_lshlrev_b32_e32 v9, 30, v90
	v_mov_b32_e32 v8, v1
	v_cmp_gt_i64_e32 vcc, 0, v[8:9]
	v_not_b32_e32 v8, v9
	v_ashrrev_i32_e32 v8, 31, v8
	v_and_b32_e32 v0, exec_hi, v0
	v_xor_b32_e32 v9, vcc_hi, v8
	v_xor_b32_e32 v8, vcc_lo, v8
	v_and_b32_e32 v0, v0, v9
	v_and_b32_e32 v92, v92, v8
	v_lshlrev_b32_e32 v9, 29, v90
	v_mov_b32_e32 v8, v1
	v_cmp_gt_i64_e32 vcc, 0, v[8:9]
	v_not_b32_e32 v8, v9
	v_ashrrev_i32_e32 v8, 31, v8
	v_xor_b32_e32 v9, vcc_hi, v8
	v_xor_b32_e32 v8, vcc_lo, v8
	v_and_b32_e32 v0, v0, v9
	v_and_b32_e32 v92, v92, v8
	v_lshlrev_b32_e32 v9, 28, v90
	v_mov_b32_e32 v8, v1
	v_cmp_gt_i64_e32 vcc, 0, v[8:9]
	v_not_b32_e32 v8, v9
	v_ashrrev_i32_e32 v8, 31, v8
	;; [unrolled: 9-line block ×3, first 2 shown]
	v_xor_b32_e32 v9, vcc_hi, v8
	v_xor_b32_e32 v8, vcc_lo, v8
	v_and_b32_e32 v0, v0, v9
	v_lshlrev_b32_e32 v9, 26, v90
	v_and_b32_e32 v92, v92, v8
	v_mov_b32_e32 v8, v1
	v_not_b32_e32 v1, v9
	v_cmp_gt_i64_e32 vcc, 0, v[8:9]
	v_ashrrev_i32_e32 v1, 31, v1
	; wave barrier
	s_nop 0
	v_xor_b32_e32 v8, vcc_hi, v1
	v_xor_b32_e32 v9, vcc_lo, v1
	v_and_b32_e32 v1, v0, v8
	v_and_b32_e32 v0, v92, v9
	v_mbcnt_lo_u32_b32 v8, v0, 0
	v_mbcnt_hi_u32_b32 v90, v1, v8
	v_cmp_eq_u32_e32 vcc, 0, v90
	v_cmp_ne_u64_e64 s[0:1], 0, v[0:1]
	s_and_b64 s[2:3], s[0:1], vcc
	v_add_u32_e32 v92, v37, v91
	s_and_saveexec_b64 s[0:1], s[2:3]
	s_cbranch_execz .LBB975_333
; %bb.332:
	v_bcnt_u32_b32 v0, v0, 0
	v_bcnt_u32_b32 v0, v1, v0
	s_waitcnt lgkmcnt(0)
	v_add_u32_e32 v0, v88, v0
	ds_write_b32 v92, v0 offset:32
.LBB975_333:
	s_or_b64 exec, exec, s[0:1]
	s_waitcnt vmcnt(1)
	v_lshrrev_b32_sdwa v0, s96, v7 dst_sel:DWORD dst_unused:UNUSED_PAD src0_sel:DWORD src1_sel:WORD_0
	v_and_b32_e32 v93, s21, v0
	v_mad_u32_u24 v0, v93, 36, v37
	; wave barrier
	ds_read_b32 v91, v0 offset:32
	v_and_b32_e32 v0, 1, v93
	v_mov_b32_e32 v1, 0
	v_lshl_add_u64 v[8:9], v[0:1], 0, -1
	v_cmp_ne_u32_e32 vcc, 0, v0
	v_mul_u32_u24_e32 v94, 36, v93
	v_add_u32_e32 v94, v37, v94
	v_xor_b32_e32 v8, vcc_lo, v8
	v_xor_b32_e32 v0, vcc_hi, v9
	v_and_b32_e32 v95, exec_lo, v8
	v_lshlrev_b32_e32 v9, 30, v93
	v_mov_b32_e32 v8, v1
	v_cmp_gt_i64_e32 vcc, 0, v[8:9]
	v_not_b32_e32 v8, v9
	v_ashrrev_i32_e32 v8, 31, v8
	v_and_b32_e32 v0, exec_hi, v0
	v_xor_b32_e32 v9, vcc_hi, v8
	v_xor_b32_e32 v8, vcc_lo, v8
	v_and_b32_e32 v0, v0, v9
	v_and_b32_e32 v95, v95, v8
	v_lshlrev_b32_e32 v9, 29, v93
	v_mov_b32_e32 v8, v1
	v_cmp_gt_i64_e32 vcc, 0, v[8:9]
	v_not_b32_e32 v8, v9
	v_ashrrev_i32_e32 v8, 31, v8
	v_xor_b32_e32 v9, vcc_hi, v8
	v_xor_b32_e32 v8, vcc_lo, v8
	v_and_b32_e32 v0, v0, v9
	v_and_b32_e32 v95, v95, v8
	v_lshlrev_b32_e32 v9, 28, v93
	v_mov_b32_e32 v8, v1
	v_cmp_gt_i64_e32 vcc, 0, v[8:9]
	v_not_b32_e32 v8, v9
	v_ashrrev_i32_e32 v8, 31, v8
	;; [unrolled: 9-line block ×4, first 2 shown]
	v_xor_b32_e32 v9, vcc_hi, v8
	v_xor_b32_e32 v8, vcc_lo, v8
	v_and_b32_e32 v8, v95, v8
	v_and_b32_e32 v9, v0, v9
	v_mbcnt_lo_u32_b32 v0, v8, 0
	v_mbcnt_hi_u32_b32 v93, v9, v0
	v_cmp_eq_u32_e32 vcc, 0, v93
	v_cmp_ne_u64_e64 s[0:1], 0, v[8:9]
	s_and_b64 s[2:3], s[0:1], vcc
	; wave barrier
	s_and_saveexec_b64 s[0:1], s[2:3]
	s_cbranch_execz .LBB975_335
; %bb.334:
	v_bcnt_u32_b32 v0, v8, 0
	v_bcnt_u32_b32 v0, v9, v0
	s_waitcnt lgkmcnt(0)
	v_add_u32_e32 v0, v91, v0
	ds_write_b32 v94, v0 offset:32
.LBB975_335:
	s_or_b64 exec, exec, s[0:1]
	s_waitcnt vmcnt(0)
	v_lshrrev_b32_sdwa v0, s96, v5 dst_sel:DWORD dst_unused:UNUSED_PAD src0_sel:DWORD src1_sel:WORD_0
	v_and_b32_e32 v9, s21, v0
	v_mad_u32_u24 v0, v9, 36, v37
	; wave barrier
	ds_read_b32 v8, v0 offset:32
	v_and_b32_e32 v0, 1, v9
	v_lshl_add_u64 v[96:97], v[0:1], 0, -1
	v_cmp_ne_u32_e32 vcc, 0, v0
	v_mul_u32_u24_e32 v95, 36, v9
	v_add_u32_e32 v37, v37, v95
	v_xor_b32_e32 v96, vcc_lo, v96
	v_xor_b32_e32 v0, vcc_hi, v97
	v_and_b32_e32 v98, exec_lo, v96
	v_lshlrev_b32_e32 v97, 30, v9
	v_mov_b32_e32 v96, v1
	v_cmp_gt_i64_e32 vcc, 0, v[96:97]
	v_not_b32_e32 v96, v97
	v_ashrrev_i32_e32 v96, 31, v96
	v_and_b32_e32 v0, exec_hi, v0
	v_xor_b32_e32 v97, vcc_hi, v96
	v_xor_b32_e32 v96, vcc_lo, v96
	v_and_b32_e32 v0, v0, v97
	v_and_b32_e32 v98, v98, v96
	v_lshlrev_b32_e32 v97, 29, v9
	v_mov_b32_e32 v96, v1
	v_cmp_gt_i64_e32 vcc, 0, v[96:97]
	v_not_b32_e32 v96, v97
	v_ashrrev_i32_e32 v96, 31, v96
	v_xor_b32_e32 v97, vcc_hi, v96
	v_xor_b32_e32 v96, vcc_lo, v96
	v_and_b32_e32 v0, v0, v97
	v_and_b32_e32 v98, v98, v96
	v_lshlrev_b32_e32 v97, 28, v9
	v_mov_b32_e32 v96, v1
	v_cmp_gt_i64_e32 vcc, 0, v[96:97]
	v_not_b32_e32 v96, v97
	v_ashrrev_i32_e32 v96, 31, v96
	;; [unrolled: 9-line block ×3, first 2 shown]
	v_xor_b32_e32 v97, vcc_hi, v96
	v_xor_b32_e32 v96, vcc_lo, v96
	v_and_b32_e32 v0, v0, v97
	v_lshlrev_b32_e32 v97, 26, v9
	v_and_b32_e32 v98, v98, v96
	v_mov_b32_e32 v96, v1
	v_not_b32_e32 v1, v97
	v_cmp_gt_i64_e32 vcc, 0, v[96:97]
	v_ashrrev_i32_e32 v1, 31, v1
	s_nop 0
	v_xor_b32_e32 v9, vcc_hi, v1
	v_xor_b32_e32 v96, vcc_lo, v1
	v_and_b32_e32 v1, v0, v9
	v_and_b32_e32 v0, v98, v96
	v_mbcnt_lo_u32_b32 v9, v0, 0
	v_mbcnt_hi_u32_b32 v9, v1, v9
	v_cmp_eq_u32_e32 vcc, 0, v9
	v_cmp_ne_u64_e64 s[0:1], 0, v[0:1]
	s_and_b64 s[2:3], s[0:1], vcc
	; wave barrier
	s_and_saveexec_b64 s[0:1], s[2:3]
	s_cbranch_execz .LBB975_337
; %bb.336:
	v_bcnt_u32_b32 v0, v0, 0
	v_bcnt_u32_b32 v0, v1, v0
	s_waitcnt lgkmcnt(0)
	v_add_u32_e32 v0, v8, v0
	ds_write_b32 v37, v0 offset:32
.LBB975_337:
	s_or_b64 exec, exec, s[0:1]
	; wave barrier
	s_waitcnt lgkmcnt(0)
	s_barrier
	ds_read_b64 v[0:1], v31 offset:32
	v_and_b32_e32 v95, 15, v29
	v_cmp_ne_u32_e32 vcc, 0, v95
	v_min_u32_e32 v30, 0x1c0, v30
	v_or_b32_e32 v30, 63, v30
	s_waitcnt lgkmcnt(0)
	v_add_u32_e32 v1, v1, v0
	s_nop 1
	v_mov_b32_dpp v96, v1 row_shr:1 row_mask:0xf bank_mask:0xf
	v_cndmask_b32_e32 v96, 0, v96, vcc
	v_add_u32_e32 v1, v96, v1
	v_cmp_lt_u32_e32 vcc, 1, v95
	s_nop 0
	v_mov_b32_dpp v96, v1 row_shr:2 row_mask:0xf bank_mask:0xf
	v_cndmask_b32_e32 v96, 0, v96, vcc
	v_add_u32_e32 v1, v1, v96
	v_cmp_lt_u32_e32 vcc, 3, v95
	;; [unrolled: 5-line block ×3, first 2 shown]
	s_nop 0
	v_mov_b32_dpp v96, v1 row_shr:8 row_mask:0xf bank_mask:0xf
	v_cndmask_b32_e32 v95, 0, v96, vcc
	v_add_u32_e32 v1, v1, v95
	v_bfe_i32 v96, v29, 4, 1
	v_cmp_lt_u32_e32 vcc, 31, v29
	v_mov_b32_dpp v95, v1 row_bcast:15 row_mask:0xf bank_mask:0xf
	v_and_b32_e32 v95, v96, v95
	v_add_u32_e32 v1, v1, v95
	s_nop 1
	v_mov_b32_dpp v95, v1 row_bcast:31 row_mask:0xf bank_mask:0xf
	v_cndmask_b32_e32 v95, 0, v95, vcc
	v_add_u32_e32 v1, v1, v95
	v_lshrrev_b32_e32 v95, 6, v2
	v_cmp_eq_u32_e32 vcc, v2, v30
	s_and_saveexec_b64 s[0:1], vcc
; %bb.338:
	v_lshlrev_b32_e32 v30, 2, v95
	ds_write_b32 v30, v1
; %bb.339:
	s_or_b64 exec, exec, s[0:1]
	v_cmp_gt_u32_e32 vcc, 8, v2
	v_lshlrev_b32_e32 v30, 2, v2
	s_waitcnt lgkmcnt(0)
	s_barrier
	s_and_saveexec_b64 s[0:1], vcc
	s_cbranch_execz .LBB975_341
; %bb.340:
	ds_read_b32 v96, v30
	v_and_b32_e32 v97, 7, v29
	v_cmp_ne_u32_e32 vcc, 0, v97
	s_waitcnt lgkmcnt(0)
	v_mov_b32_dpp v98, v96 row_shr:1 row_mask:0xf bank_mask:0xf
	v_cndmask_b32_e32 v98, 0, v98, vcc
	v_add_u32_e32 v96, v98, v96
	v_cmp_lt_u32_e32 vcc, 1, v97
	s_nop 0
	v_mov_b32_dpp v98, v96 row_shr:2 row_mask:0xf bank_mask:0xf
	v_cndmask_b32_e32 v98, 0, v98, vcc
	v_add_u32_e32 v96, v96, v98
	v_cmp_lt_u32_e32 vcc, 3, v97
	s_nop 0
	v_mov_b32_dpp v98, v96 row_shr:4 row_mask:0xf bank_mask:0xf
	v_cndmask_b32_e32 v97, 0, v98, vcc
	v_add_u32_e32 v96, v96, v97
	ds_write_b32 v30, v96
.LBB975_341:
	s_or_b64 exec, exec, s[0:1]
	v_cmp_gt_u32_e64 s[0:1], 64, v2
	v_cmp_lt_u32_e32 vcc, 63, v2
	v_mov_b32_e32 v96, 0
	s_waitcnt lgkmcnt(0)
	s_barrier
	s_and_saveexec_b64 s[2:3], vcc
; %bb.342:
	v_lshl_add_u32 v95, v95, 2, -4
	ds_read_b32 v96, v95
; %bb.343:
	s_or_b64 exec, exec, s[2:3]
	v_subrev_co_u32_e64 v95, s[2:3], 1, v29
	v_and_b32_e32 v97, 64, v29
	v_cmp_lt_i32_e64 s[4:5], v95, v97
	s_waitcnt lgkmcnt(0)
	v_add_u32_e32 v1, v96, v1
	v_cndmask_b32_e64 v29, v95, v29, s[4:5]
	v_lshlrev_b32_e32 v29, 2, v29
	ds_bpermute_b32 v1, v29, v1
                                        ; implicit-def: $vgpr29
	s_waitcnt lgkmcnt(0)
	v_cndmask_b32_e64 v1, v1, v96, s[2:3]
	v_cndmask_b32_e64 v96, v1, 0, s[94:95]
	v_add_u32_e32 v97, v96, v0
	ds_write_b64 v31, v[96:97] offset:32
	s_waitcnt lgkmcnt(0)
	s_barrier
	ds_read_b32 v0, v34 offset:32
	ds_read_b32 v1, v38 offset:32
	;; [unrolled: 1-line block ×22, first 2 shown]
                                        ; implicit-def: $vgpr31
	s_and_saveexec_b64 s[4:5], s[0:1]
	s_cbranch_execz .LBB975_347
; %bb.344:
	v_mul_u32_u24_e32 v29, 36, v2
	ds_read_b32 v29, v29 offset:32
	v_add_u32_e32 v37, 1, v2
	v_cmp_ne_u32_e64 s[2:3], 64, v37
	v_mov_b32_e32 v31, 0x2c00
	s_and_saveexec_b64 s[8:9], s[2:3]
; %bb.345:
	v_mul_u32_u24_e32 v31, 36, v37
	ds_read_b32 v31, v31 offset:32
; %bb.346:
	s_or_b64 exec, exec, s[8:9]
	s_waitcnt lgkmcnt(0)
	v_sub_u32_e32 v31, v31, v29
.LBB975_347:
	s_or_b64 exec, exec, s[4:5]
	s_waitcnt lgkmcnt(14)
	v_add_u32_e32 v62, v0, v32
	v_add3_u32 v59, v35, v33, v1
	v_add3_u32 v56, v39, v36, v34
	;; [unrolled: 1-line block ×7, first 2 shown]
	v_lshlrev_b32_e32 v54, 1, v62
	v_lshlrev_b32_e32 v52, 1, v59
	;; [unrolled: 1-line block ×4, first 2 shown]
	s_waitcnt lgkmcnt(13)
	v_add3_u32 v45, v57, v55, v96
	s_waitcnt lgkmcnt(12)
	v_add3_u32 v44, v60, v58, v97
	s_waitcnt lgkmcnt(0)
	s_barrier
	ds_write_b16 v54, v3 offset:256
	ds_write_b16 v52, v28 offset:256
	;; [unrolled: 1-line block ×4, first 2 shown]
	v_lshlrev_b32_e32 v28, 1, v50
	v_lshlrev_b32_e32 v27, 1, v48
	;; [unrolled: 1-line block ×3, first 2 shown]
	v_add3_u32 v43, v63, v61, v65
	v_add3_u32 v42, v66, v64, v68
	;; [unrolled: 1-line block ×3, first 2 shown]
	ds_write_b16 v28, v25 offset:256
	ds_write_b16 v27, v24 offset:256
	ds_write_b16 v26, v23 offset:256
	v_lshlrev_b32_e32 v25, 1, v46
	v_lshlrev_b32_e32 v24, 1, v45
	;; [unrolled: 1-line block ×3, first 2 shown]
	v_add3_u32 v40, v72, v70, v74
	v_add3_u32 v39, v75, v73, v77
	;; [unrolled: 1-line block ×3, first 2 shown]
	ds_write_b16 v25, v22 offset:256
	ds_write_b16 v24, v21 offset:256
	;; [unrolled: 1-line block ×3, first 2 shown]
	v_lshlrev_b32_e32 v22, 1, v43
	v_lshlrev_b32_e32 v21, 1, v42
	;; [unrolled: 1-line block ×3, first 2 shown]
	v_add3_u32 v37, v81, v79, v83
	v_add3_u32 v36, v84, v82, v86
	ds_write_b16 v22, v19 offset:256
	ds_write_b16 v21, v18 offset:256
	ds_write_b16 v20, v17 offset:256
	v_lshlrev_b32_e32 v19, 1, v40
	v_lshlrev_b32_e32 v18, 1, v39
	v_lshlrev_b32_e32 v17, 1, v38
	v_add3_u32 v35, v87, v85, v89
	v_add3_u32 v34, v90, v88, v92
	v_add3_u32 v33, v93, v91, v94
	v_add3_u32 v32, v9, v8, v98
	ds_write_b16 v19, v16 offset:256
	ds_write_b16 v18, v14 offset:256
	;; [unrolled: 1-line block ×3, first 2 shown]
	v_lshlrev_b32_e32 v16, 1, v37
	v_lshlrev_b32_e32 v15, 1, v36
	ds_write_b16 v16, v13 offset:256
	ds_write_b16 v15, v12 offset:256
	v_lshlrev_b32_e32 v14, 1, v35
	v_lshlrev_b32_e32 v13, 1, v34
	;; [unrolled: 1-line block ×4, first 2 shown]
	v_mov_b32_e32 v1, 0
	ds_write_b16 v14, v11 offset:256
	ds_write_b16 v13, v10 offset:256
	;; [unrolled: 1-line block ×4, first 2 shown]
	s_and_saveexec_b64 s[2:3], s[0:1]
	s_cbranch_execz .LBB975_357
; %bb.348:
	v_lshl_add_u32 v0, s33, 6, v2
	v_lshl_add_u64 v[8:9], v[0:1], 2, s[6:7]
	v_or_b32_e32 v0, 2.0, v31
	s_mov_b64 s[4:5], 0
	s_brev_b32 s22, -4
	s_mov_b32 s23, s33
	v_mov_b32_e32 v5, 0
	global_store_dword v[8:9], v0, off sc1
                                        ; implicit-def: $sgpr0_sgpr1
	s_branch .LBB975_351
.LBB975_349:                            ;   in Loop: Header=BB975_351 Depth=1
	s_or_b64 exec, exec, s[18:19]
.LBB975_350:                            ;   in Loop: Header=BB975_351 Depth=1
	s_or_b64 exec, exec, s[8:9]
	v_and_b32_e32 v7, 0x3fffffff, v0
	v_add_u32_e32 v5, v7, v5
	v_cmp_gt_i32_e64 s[0:1], -2.0, v0
	s_and_b64 s[8:9], exec, s[0:1]
	s_or_b64 s[4:5], s[8:9], s[4:5]
	s_andn2_b64 exec, exec, s[4:5]
	s_cbranch_execz .LBB975_356
.LBB975_351:                            ; =>This Loop Header: Depth=1
                                        ;     Child Loop BB975_354 Depth 2
	s_or_b64 s[0:1], s[0:1], exec
	s_cmp_eq_u32 s23, 0
	s_cbranch_scc1 .LBB975_355
; %bb.352:                              ;   in Loop: Header=BB975_351 Depth=1
	s_add_i32 s23, s23, -1
	v_lshl_or_b32 v0, s23, 6, v2
	v_lshl_add_u64 v[10:11], v[0:1], 2, s[6:7]
	global_load_dword v0, v[10:11], off sc1
	s_waitcnt vmcnt(0)
	v_cmp_gt_u32_e64 s[0:1], 2.0, v0
	s_and_saveexec_b64 s[8:9], s[0:1]
	s_cbranch_execz .LBB975_350
; %bb.353:                              ;   in Loop: Header=BB975_351 Depth=1
	s_mov_b64 s[18:19], 0
.LBB975_354:                            ;   Parent Loop BB975_351 Depth=1
                                        ; =>  This Inner Loop Header: Depth=2
	global_load_dword v0, v[10:11], off sc1
	s_waitcnt vmcnt(0)
	v_cmp_lt_u32_e64 s[0:1], s22, v0
	s_or_b64 s[18:19], s[0:1], s[18:19]
	s_andn2_b64 exec, exec, s[18:19]
	s_cbranch_execnz .LBB975_354
	s_branch .LBB975_349
.LBB975_355:                            ;   in Loop: Header=BB975_351 Depth=1
                                        ; implicit-def: $sgpr23
	s_and_b64 s[8:9], exec, s[0:1]
	s_or_b64 s[4:5], s[8:9], s[4:5]
	s_andn2_b64 exec, exec, s[4:5]
	s_cbranch_execnz .LBB975_351
.LBB975_356:
	s_or_b64 exec, exec, s[4:5]
	v_add_u32_e32 v0, v5, v31
	v_or_b32_e32 v0, 0x80000000, v0
	v_readlane_b32 s4, v117, 0
	global_store_dword v[8:9], v0, off sc1
	v_readlane_b32 s5, v117, 1
	v_sub_u32_e32 v1, v5, v29
	v_readlane_b32 s6, v117, 2
	v_readlane_b32 s7, v117, 3
	s_nop 1
	global_load_dword v0, v30, s[4:5]
	s_waitcnt vmcnt(0)
	v_add_u32_e32 v0, v1, v0
	ds_write_b32 v30, v0
.LBB975_357:
	s_or_b64 exec, exec, s[2:3]
	v_lshlrev_b32_e32 v0, 1, v2
	v_sub_u32_e32 v5, v30, v0
	s_waitcnt lgkmcnt(0)
	s_barrier
	ds_read_u16 v7, v5 offset:10496
	ds_read_u16 v78, v5 offset:11520
	;; [unrolled: 1-line block ×12, first 2 shown]
	s_waitcnt lgkmcnt(8)
	v_lshrrev_b32_sdwa v1, s96, v82 dst_sel:DWORD dst_unused:UNUSED_PAD src0_sel:DWORD src1_sel:WORD_0
	s_waitcnt lgkmcnt(5)
	v_lshrrev_b32_sdwa v8, s96, v86 dst_sel:DWORD dst_unused:UNUSED_PAD src0_sel:DWORD src1_sel:WORD_0
	v_and_b32_e32 v1, s21, v1
	s_waitcnt lgkmcnt(3)
	v_lshrrev_b32_sdwa v9, s96, v100 dst_sel:DWORD dst_unused:UNUSED_PAD src0_sel:DWORD src1_sel:WORD_0
	v_and_b32_e32 v9, s21, v9
	v_lshlrev_b32_e32 v55, 2, v9
	s_waitcnt lgkmcnt(2)
	v_lshrrev_b32_sdwa v9, s96, v101 dst_sel:DWORD dst_unused:UNUSED_PAD src0_sel:DWORD src1_sel:WORD_0
	v_and_b32_e32 v9, s21, v9
	v_lshlrev_b32_e32 v11, 2, v9
	;; [unrolled: 4-line block ×3, first 2 shown]
	s_waitcnt lgkmcnt(0)
	v_lshrrev_b32_sdwa v9, s96, v103 dst_sel:DWORD dst_unused:UNUSED_PAD src0_sel:DWORD src1_sel:WORD_0
	v_and_b32_e32 v8, s21, v8
	v_and_b32_e32 v9, s21, v9
	v_lshlrev_b32_e32 v1, 2, v1
	v_lshlrev_b32_e32 v8, 2, v8
	;; [unrolled: 1-line block ×3, first 2 shown]
	ds_read_u16 v57, v5 offset:256
	ds_read_u16 v58, v5 offset:1280
	ds_read_b32 v98, v1
	ds_read_b32 v99, v8
	;; [unrolled: 1-line block ×6, first 2 shown]
	s_waitcnt lgkmcnt(7)
	v_lshrrev_b32_sdwa v60, s96, v57 dst_sel:DWORD dst_unused:UNUSED_PAD src0_sel:DWORD src1_sel:WORD_0
	v_and_b32_e32 v60, s21, v60
	v_lshlrev_b32_e32 v95, 2, v60
	s_waitcnt lgkmcnt(6)
	v_lshrrev_b32_sdwa v60, s96, v58 dst_sel:DWORD dst_unused:UNUSED_PAD src0_sel:DWORD src1_sel:WORD_0
	v_and_b32_e32 v60, s21, v60
	v_lshlrev_b32_e32 v92, 2, v60
	ds_read_u16 v63, v5 offset:2304
	ds_read_u16 v64, v5 offset:3328
	;; [unrolled: 1-line block ×8, first 2 shown]
	s_waitcnt lgkmcnt(7)
	v_lshrrev_b32_sdwa v60, s96, v63 dst_sel:DWORD dst_unused:UNUSED_PAD src0_sel:DWORD src1_sel:WORD_0
	v_and_b32_e32 v60, s21, v60
	v_lshlrev_b32_e32 v94, 2, v60
	s_waitcnt lgkmcnt(6)
	v_lshrrev_b32_sdwa v60, s96, v64 dst_sel:DWORD dst_unused:UNUSED_PAD src0_sel:DWORD src1_sel:WORD_0
	v_and_b32_e32 v60, s21, v60
	v_lshlrev_b32_e32 v93, 2, v60
	s_waitcnt lgkmcnt(5)
	v_lshrrev_b32_sdwa v60, s96, v67 dst_sel:DWORD dst_unused:UNUSED_PAD src0_sel:DWORD src1_sel:WORD_0
	v_and_b32_e32 v60, s21, v60
	v_lshlrev_b32_e32 v91, 2, v60
	s_waitcnt lgkmcnt(4)
	v_lshrrev_b32_sdwa v60, s96, v70 dst_sel:DWORD dst_unused:UNUSED_PAD src0_sel:DWORD src1_sel:WORD_0
	v_and_b32_e32 v60, s21, v60
	v_lshlrev_b32_e32 v90, 2, v60
	s_waitcnt lgkmcnt(3)
	v_lshrrev_b32_sdwa v60, s96, v71 dst_sel:DWORD dst_unused:UNUSED_PAD src0_sel:DWORD src1_sel:WORD_0
	v_and_b32_e32 v60, s21, v60
	v_lshlrev_b32_e32 v89, 2, v60
	s_waitcnt lgkmcnt(2)
	v_lshrrev_b32_sdwa v60, s96, v72 dst_sel:DWORD dst_unused:UNUSED_PAD src0_sel:DWORD src1_sel:WORD_0
	v_and_b32_e32 v60, s21, v60
	v_lshlrev_b32_e32 v88, 2, v60
	ds_read_b32 v60, v95
	ds_read_b32 v66, v92
	;; [unrolled: 1-line block ×8, first 2 shown]
	s_waitcnt lgkmcnt(7)
	v_add_u32_e32 v96, v60, v2
	v_mov_b32_e32 v97, 0
	v_add_u32_e32 v65, 0x200, v2
	v_lshl_add_u64 v[60:61], v[96:97], 1, s[10:11]
	s_waitcnt lgkmcnt(6)
	v_add_u32_e32 v96, v66, v65
	global_store_short v[60:61], v57, off
	v_lshl_add_u64 v[60:61], v[96:97], 1, s[10:11]
	v_or_b32_e32 v66, 0x400, v2
	global_store_short v[60:61], v58, off
	s_waitcnt lgkmcnt(5)
	v_add_u32_e32 v96, v68, v66
	v_add_u32_e32 v58, 0x600, v2
	v_lshl_add_u64 v[60:61], v[96:97], 1, s[10:11]
	s_waitcnt lgkmcnt(4)
	v_add_u32_e32 v96, v69, v58
	global_store_short v[60:61], v63, off
	v_lshl_add_u64 v[60:61], v[96:97], 1, s[10:11]
	global_store_short v[60:61], v64, off
	v_or_b32_e32 v60, 0x800, v2
	s_waitcnt lgkmcnt(3)
	v_add_u32_e32 v96, v73, v60
	v_add_u32_e32 v61, 0xa00, v2
	v_lshl_add_u64 v[68:69], v[96:97], 1, s[10:11]
	s_waitcnt lgkmcnt(2)
	v_add_u32_e32 v96, v74, v61
	v_or_b32_e32 v63, 0xc00, v2
	global_store_short v[68:69], v67, off
	v_lshl_add_u64 v[68:69], v[96:97], 1, s[10:11]
	s_waitcnt lgkmcnt(1)
	v_add_u32_e32 v96, v76, v63
	v_add_u32_e32 v64, 0xe00, v2
	global_store_short v[68:69], v70, off
	v_lshl_add_u64 v[68:69], v[96:97], 1, s[10:11]
	s_waitcnt lgkmcnt(0)
	v_add_u32_e32 v96, v77, v64
	global_store_short v[68:69], v71, off
	v_lshl_add_u64 v[68:69], v[96:97], 1, s[10:11]
	v_lshrrev_b32_sdwa v67, s96, v75 dst_sel:DWORD dst_unused:UNUSED_PAD src0_sel:DWORD src1_sel:WORD_0
	global_store_short v[68:69], v72, off
	v_and_b32_e32 v67, s21, v67
	v_lshrrev_b32_sdwa v68, s96, v5 dst_sel:DWORD dst_unused:UNUSED_PAD src0_sel:DWORD src1_sel:WORD_0
	v_lshrrev_b32_sdwa v69, s96, v7 dst_sel:DWORD dst_unused:UNUSED_PAD src0_sel:DWORD src1_sel:WORD_0
	;; [unrolled: 1-line block ×7, first 2 shown]
	v_or_b32_e32 v57, 0x1000, v2
	v_lshlrev_b32_e32 v67, 2, v67
	v_and_b32_e32 v68, s21, v68
	v_and_b32_e32 v69, s21, v69
	;; [unrolled: 1-line block ×7, first 2 shown]
	v_lshlrev_b32_e32 v68, 2, v68
	v_lshlrev_b32_e32 v69, 2, v69
	;; [unrolled: 1-line block ×7, first 2 shown]
	ds_read_b32 v76, v67
	ds_read_b32 v79, v68
	;; [unrolled: 1-line block ×8, first 2 shown]
	s_waitcnt lgkmcnt(7)
	v_add_u32_e32 v96, v76, v57
	v_add_u32_e32 v83, 0x1200, v2
	v_lshl_add_u64 v[76:77], v[96:97], 1, s[10:11]
	s_waitcnt lgkmcnt(6)
	v_add_u32_e32 v96, v79, v83
	v_or_b32_e32 v87, 0x1400, v2
	global_store_short v[76:77], v75, off
	v_lshl_add_u64 v[76:77], v[96:97], 1, s[10:11]
	s_waitcnt lgkmcnt(5)
	v_add_u32_e32 v96, v108, v87
	v_add_u32_e32 v75, 0x1600, v2
	global_store_short v[76:77], v5, off
	v_lshl_add_u64 v[76:77], v[96:97], 1, s[10:11]
	s_waitcnt lgkmcnt(4)
	v_add_u32_e32 v96, v109, v75
	global_store_short v[76:77], v7, off
	v_lshl_add_u64 v[76:77], v[96:97], 1, s[10:11]
	global_store_short v[76:77], v78, off
	v_or_b32_e32 v76, 0x1800, v2
	s_waitcnt lgkmcnt(3)
	v_add_u32_e32 v96, v110, v76
	v_add_u32_e32 v77, 0x1a00, v2
	v_lshl_add_u64 v[78:79], v[96:97], 1, s[10:11]
	s_waitcnt lgkmcnt(2)
	v_add_u32_e32 v96, v111, v77
	global_store_short v[78:79], v80, off
	v_lshl_add_u64 v[78:79], v[96:97], 1, s[10:11]
	global_store_short v[78:79], v81, off
	v_or_b32_e32 v78, 0x1c00, v2
	s_waitcnt lgkmcnt(1)
	v_add_u32_e32 v96, v112, v78
	v_add_u32_e32 v79, 0x1e00, v2
	v_lshl_add_u64 v[80:81], v[96:97], 1, s[10:11]
	s_waitcnt lgkmcnt(0)
	v_add_u32_e32 v96, v113, v79
	global_store_short v[80:81], v84, off
	v_lshl_add_u64 v[80:81], v[96:97], 1, s[10:11]
	global_store_short v[80:81], v85, off
	v_or_b32_e32 v81, 0x2000, v2
	v_add_u32_e32 v96, v98, v81
	v_lshl_add_u64 v[84:85], v[96:97], 1, s[10:11]
	global_store_short v[84:85], v82, off
	v_add_u32_e32 v84, 0x2200, v2
	v_add_u32_e32 v96, v99, v84
	v_or_b32_e32 v85, 0x2400, v2
	v_lshl_add_u64 v[98:99], v[96:97], 1, s[10:11]
	v_add_u32_e32 v96, v104, v85
	v_add_u32_e32 v80, 0x2600, v2
	global_store_short v[98:99], v86, off
	v_lshl_add_u64 v[98:99], v[96:97], 1, s[10:11]
	v_add_u32_e32 v96, v105, v80
	v_or_b32_e32 v82, 0x2800, v2
	global_store_short v[98:99], v100, off
	v_lshl_add_u64 v[98:99], v[96:97], 1, s[10:11]
	v_add_u32_e32 v96, v106, v82
	v_add_u32_e32 v86, 0x2a00, v2
	s_add_u32 s0, s12, s16
	global_store_short v[98:99], v101, off
	v_lshl_add_u64 v[98:99], v[96:97], 1, s[10:11]
	v_add_u32_e32 v96, v107, v86
	s_addc_u32 s1, s13, s17
	v_mov_b32_e32 v5, v97
	global_store_short v[98:99], v102, off
	v_lshl_add_u64 v[98:99], v[96:97], 1, s[10:11]
	v_lshl_add_u64 v[4:5], s[0:1], 0, v[4:5]
	v_mov_b32_e32 v7, v97
	global_store_short v[98:99], v103, off
	v_lshl_add_u64 v[114:115], v[4:5], 0, v[6:7]
	global_load_ushort v113, v[114:115], off
	global_load_ushort v112, v[114:115], off offset:128
	global_load_ushort v111, v[114:115], off offset:256
	;; [unrolled: 1-line block ×21, first 2 shown]
	s_movk_i32 s4, 0x2c00
	v_cmp_gt_u32_e64 s[0:1], s4, v62
	s_barrier
	s_and_saveexec_b64 s[2:3], s[0:1]
	s_cbranch_execz .LBB975_384
; %bb.358:
	s_waitcnt vmcnt(21)
	ds_write_b16 v54, v113 offset:256
	s_or_b64 exec, exec, s[2:3]
	v_cmp_gt_u32_e64 s[0:1], s4, v59
	s_and_saveexec_b64 s[2:3], s[0:1]
	s_cbranch_execnz .LBB975_385
.LBB975_359:
	s_or_b64 exec, exec, s[2:3]
	v_cmp_gt_u32_e64 s[0:1], s4, v56
	s_and_saveexec_b64 s[2:3], s[0:1]
	s_cbranch_execz .LBB975_386
.LBB975_360:
	s_waitcnt vmcnt(19)
	ds_write_b16 v51, v111 offset:256
	s_or_b64 exec, exec, s[2:3]
	v_cmp_gt_u32_e64 s[0:1], s4, v53
	s_and_saveexec_b64 s[2:3], s[0:1]
	s_cbranch_execnz .LBB975_387
.LBB975_361:
	s_or_b64 exec, exec, s[2:3]
	v_cmp_gt_u32_e64 s[0:1], s4, v50
	s_and_saveexec_b64 s[2:3], s[0:1]
	s_cbranch_execz .LBB975_388
.LBB975_362:
	s_waitcnt vmcnt(17)
	ds_write_b16 v28, v109 offset:256
	s_or_b64 exec, exec, s[2:3]
	v_cmp_gt_u32_e64 s[0:1], s4, v48
	s_and_saveexec_b64 s[2:3], s[0:1]
	s_cbranch_execnz .LBB975_389
.LBB975_363:
	s_or_b64 exec, exec, s[2:3]
	v_cmp_gt_u32_e64 s[0:1], s4, v47
	s_and_saveexec_b64 s[2:3], s[0:1]
	s_cbranch_execz .LBB975_390
.LBB975_364:
	s_waitcnt vmcnt(15)
	ds_write_b16 v26, v107 offset:256
	s_or_b64 exec, exec, s[2:3]
	v_cmp_gt_u32_e64 s[0:1], s4, v46
	s_and_saveexec_b64 s[2:3], s[0:1]
	s_cbranch_execnz .LBB975_391
.LBB975_365:
	s_or_b64 exec, exec, s[2:3]
	v_cmp_gt_u32_e64 s[0:1], s4, v45
	s_and_saveexec_b64 s[2:3], s[0:1]
	s_cbranch_execz .LBB975_392
.LBB975_366:
	s_waitcnt vmcnt(13)
	ds_write_b16 v24, v105 offset:256
	s_or_b64 exec, exec, s[2:3]
	v_cmp_gt_u32_e64 s[0:1], s4, v44
	s_and_saveexec_b64 s[2:3], s[0:1]
	s_cbranch_execnz .LBB975_393
.LBB975_367:
	s_or_b64 exec, exec, s[2:3]
	v_cmp_gt_u32_e64 s[0:1], s4, v43
	s_and_saveexec_b64 s[2:3], s[0:1]
	s_cbranch_execz .LBB975_394
.LBB975_368:
	s_waitcnt vmcnt(11)
	ds_write_b16 v22, v103 offset:256
	s_or_b64 exec, exec, s[2:3]
	v_cmp_gt_u32_e64 s[0:1], s4, v42
	s_and_saveexec_b64 s[2:3], s[0:1]
	s_cbranch_execnz .LBB975_395
.LBB975_369:
	s_or_b64 exec, exec, s[2:3]
	v_cmp_gt_u32_e64 s[0:1], s4, v41
	s_and_saveexec_b64 s[2:3], s[0:1]
	s_cbranch_execz .LBB975_396
.LBB975_370:
	s_waitcnt vmcnt(9)
	ds_write_b16 v20, v101 offset:256
	s_or_b64 exec, exec, s[2:3]
	v_cmp_gt_u32_e64 s[0:1], s4, v40
	s_and_saveexec_b64 s[2:3], s[0:1]
	s_cbranch_execnz .LBB975_397
.LBB975_371:
	s_or_b64 exec, exec, s[2:3]
	v_cmp_gt_u32_e64 s[0:1], s4, v39
	s_and_saveexec_b64 s[2:3], s[0:1]
	s_cbranch_execz .LBB975_398
.LBB975_372:
	s_waitcnt vmcnt(7)
	ds_write_b16 v18, v99 offset:256
	s_or_b64 exec, exec, s[2:3]
	v_cmp_gt_u32_e64 s[0:1], s4, v38
	s_and_saveexec_b64 s[2:3], s[0:1]
	s_cbranch_execnz .LBB975_399
.LBB975_373:
	s_or_b64 exec, exec, s[2:3]
	v_cmp_gt_u32_e64 s[0:1], s4, v37
	s_and_saveexec_b64 s[2:3], s[0:1]
	s_cbranch_execz .LBB975_400
.LBB975_374:
	s_waitcnt vmcnt(5)
	ds_write_b16 v16, v97 offset:256
	s_or_b64 exec, exec, s[2:3]
	v_cmp_gt_u32_e64 s[0:1], s4, v36
	s_and_saveexec_b64 s[2:3], s[0:1]
	s_cbranch_execnz .LBB975_401
.LBB975_375:
	s_or_b64 exec, exec, s[2:3]
	v_cmp_gt_u32_e64 s[0:1], s4, v35
	s_and_saveexec_b64 s[2:3], s[0:1]
	s_cbranch_execz .LBB975_402
.LBB975_376:
	s_waitcnt vmcnt(3)
	ds_write_b16 v14, v7 offset:256
	s_or_b64 exec, exec, s[2:3]
	v_cmp_gt_u32_e64 s[0:1], s4, v34
	s_and_saveexec_b64 s[2:3], s[0:1]
	s_cbranch_execnz .LBB975_403
.LBB975_377:
	s_or_b64 exec, exec, s[2:3]
	v_cmp_gt_u32_e64 s[0:1], s4, v33
	s_and_saveexec_b64 s[2:3], s[0:1]
	s_cbranch_execz .LBB975_379
.LBB975_378:
	s_waitcnt vmcnt(1)
	ds_write_b16 v12, v5 offset:256
.LBB975_379:
	s_or_b64 exec, exec, s[2:3]
	v_sub_u32_e32 v0, 0, v0
	v_cmp_gt_u32_e64 s[0:1], s4, v32
	s_and_saveexec_b64 s[2:3], s[0:1]
	s_cbranch_execz .LBB975_381
; %bb.380:
	s_waitcnt vmcnt(0)
	ds_write_b16 v3, v4 offset:256
.LBB975_381:
	s_or_b64 exec, exec, s[2:3]
	s_waitcnt lgkmcnt(0)
	s_barrier
	s_waitcnt vmcnt(2)
	v_add_u32_e32 v6, v30, v0
	ds_read_b32 v0, v95
	ds_read_b32 v7, v92
	;; [unrolled: 1-line block ×8, first 2 shown]
	s_waitcnt lgkmcnt(7)
	v_add_u32_e32 v2, v0, v2
	v_mov_b32_e32 v3, 0
	s_waitcnt vmcnt(0)
	v_lshl_add_u64 v[4:5], v[2:3], 1, s[14:15]
	ds_read_u16 v0, v6 offset:256
	ds_read_u16 v18, v6 offset:1280
	ds_read_b32 v19, v1
	ds_read_b32 v8, v8
	;; [unrolled: 1-line block ×6, first 2 shown]
	s_waitcnt lgkmcnt(14)
	v_add_u32_e32 v2, v7, v65
	s_waitcnt lgkmcnt(7)
	global_store_short v[4:5], v0, off
	v_lshl_add_u64 v[0:1], v[2:3], 1, s[14:15]
	s_waitcnt lgkmcnt(6)
	global_store_short v[0:1], v18, off
	v_add_u32_e32 v2, v12, v66
	v_lshl_add_u64 v[0:1], v[2:3], 1, s[14:15]
	ds_read_u16 v2, v6 offset:2304
	ds_read_u16 v4, v6 offset:3328
	;; [unrolled: 1-line block ×8, first 2 shown]
	s_waitcnt lgkmcnt(7)
	global_store_short v[0:1], v2, off
	v_add_u32_e32 v2, v13, v58
	v_lshl_add_u64 v[0:1], v[2:3], 1, s[14:15]
	v_add_u32_e32 v2, v14, v60
	s_waitcnt lgkmcnt(6)
	global_store_short v[0:1], v4, off
	v_lshl_add_u64 v[0:1], v[2:3], 1, s[14:15]
	v_add_u32_e32 v2, v15, v61
	s_waitcnt lgkmcnt(5)
	global_store_short v[0:1], v5, off
	;; [unrolled: 4-line block ×4, first 2 shown]
	v_lshl_add_u64 v[0:1], v[2:3], 1, s[14:15]
	s_waitcnt lgkmcnt(2)
	global_store_short v[0:1], v18, off
	ds_read_b32 v0, v67
	ds_read_b32 v4, v68
	;; [unrolled: 1-line block ×8, first 2 shown]
	s_waitcnt lgkmcnt(7)
	v_add_u32_e32 v2, v0, v57
	v_lshl_add_u64 v[0:1], v[2:3], 1, s[14:15]
	s_waitcnt lgkmcnt(6)
	v_add_u32_e32 v2, v4, v83
	global_store_short v[0:1], v21, off
	v_lshl_add_u64 v[0:1], v[2:3], 1, s[14:15]
	global_store_short v[0:1], v22, off
	s_waitcnt lgkmcnt(5)
	v_add_u32_e32 v2, v5, v87
	v_lshl_add_u64 v[0:1], v[2:3], 1, s[14:15]
	ds_read_u16 v2, v6 offset:10496
	ds_read_u16 v4, v6 offset:11520
	;; [unrolled: 1-line block ×8, first 2 shown]
	s_waitcnt lgkmcnt(7)
	global_store_short v[0:1], v2, off
	v_add_u32_e32 v2, v7, v75
	v_lshl_add_u64 v[0:1], v[2:3], 1, s[14:15]
	v_add_u32_e32 v2, v12, v76
	s_waitcnt lgkmcnt(6)
	global_store_short v[0:1], v4, off
	v_lshl_add_u64 v[0:1], v[2:3], 1, s[14:15]
	v_add_u32_e32 v2, v13, v77
	s_waitcnt lgkmcnt(5)
	global_store_short v[0:1], v5, off
	;; [unrolled: 4-line block ×5, first 2 shown]
	v_lshl_add_u64 v[0:1], v[2:3], 1, s[14:15]
	v_add_u32_e32 v2, v8, v84
	ds_read_u16 v4, v6 offset:18688
	s_waitcnt lgkmcnt(2)
	global_store_short v[0:1], v21, off
	v_lshl_add_u64 v[0:1], v[2:3], 1, s[14:15]
	s_waitcnt lgkmcnt(1)
	global_store_short v[0:1], v22, off
	v_add_u32_e32 v2, v20, v85
	ds_read_u16 v5, v6 offset:19712
	ds_read_u16 v7, v6 offset:20736
	;; [unrolled: 1-line block ×3, first 2 shown]
	v_lshl_add_u64 v[0:1], v[2:3], 1, s[14:15]
	v_add_u32_e32 v2, v11, v80
	s_add_i32 s20, s20, -1
	s_waitcnt lgkmcnt(3)
	global_store_short v[0:1], v4, off
	v_lshl_add_u64 v[0:1], v[2:3], 1, s[14:15]
	v_add_u32_e32 v2, v10, v82
	s_cmp_eq_u32 s33, s20
	s_waitcnt lgkmcnt(2)
	global_store_short v[0:1], v5, off
	v_lshl_add_u64 v[0:1], v[2:3], 1, s[14:15]
	v_add_u32_e32 v2, v9, v86
	s_cselect_b64 s[0:1], -1, 0
	s_xor_b64 s[2:3], vcc, -1
	s_waitcnt lgkmcnt(1)
	global_store_short v[0:1], v7, off
	v_lshl_add_u64 v[0:1], v[2:3], 1, s[14:15]
	s_and_b64 s[0:1], s[2:3], s[0:1]
	s_waitcnt lgkmcnt(0)
	global_store_short v[0:1], v6, off
	s_and_saveexec_b64 s[2:3], s[0:1]
	s_cbranch_execz .LBB975_383
; %bb.382:
	ds_read_b32 v0, v30
	v_readlane_b32 s0, v117, 0
	v_readlane_b32 s2, v117, 2
	;; [unrolled: 1-line block ×4, first 2 shown]
	s_waitcnt lgkmcnt(0)
	v_add3_u32 v0, v29, v31, v0
	s_nop 1
	global_store_dword v30, v0, s[2:3]
.LBB975_383:
	s_endpgm
.LBB975_384:
	s_or_b64 exec, exec, s[2:3]
	v_cmp_gt_u32_e64 s[0:1], s4, v59
	s_and_saveexec_b64 s[2:3], s[0:1]
	s_cbranch_execz .LBB975_359
.LBB975_385:
	s_waitcnt vmcnt(20)
	ds_write_b16 v52, v112 offset:256
	s_or_b64 exec, exec, s[2:3]
	v_cmp_gt_u32_e64 s[0:1], s4, v56
	s_and_saveexec_b64 s[2:3], s[0:1]
	s_cbranch_execnz .LBB975_360
.LBB975_386:
	s_or_b64 exec, exec, s[2:3]
	v_cmp_gt_u32_e64 s[0:1], s4, v53
	s_and_saveexec_b64 s[2:3], s[0:1]
	s_cbranch_execz .LBB975_361
.LBB975_387:
	s_waitcnt vmcnt(18)
	ds_write_b16 v49, v110 offset:256
	s_or_b64 exec, exec, s[2:3]
	v_cmp_gt_u32_e64 s[0:1], s4, v50
	s_and_saveexec_b64 s[2:3], s[0:1]
	s_cbranch_execnz .LBB975_362
.LBB975_388:
	s_or_b64 exec, exec, s[2:3]
	v_cmp_gt_u32_e64 s[0:1], s4, v48
	s_and_saveexec_b64 s[2:3], s[0:1]
	s_cbranch_execz .LBB975_363
.LBB975_389:
	s_waitcnt vmcnt(16)
	ds_write_b16 v27, v108 offset:256
	s_or_b64 exec, exec, s[2:3]
	v_cmp_gt_u32_e64 s[0:1], s4, v47
	s_and_saveexec_b64 s[2:3], s[0:1]
	s_cbranch_execnz .LBB975_364
.LBB975_390:
	s_or_b64 exec, exec, s[2:3]
	v_cmp_gt_u32_e64 s[0:1], s4, v46
	s_and_saveexec_b64 s[2:3], s[0:1]
	s_cbranch_execz .LBB975_365
.LBB975_391:
	s_waitcnt vmcnt(14)
	ds_write_b16 v25, v106 offset:256
	s_or_b64 exec, exec, s[2:3]
	v_cmp_gt_u32_e64 s[0:1], s4, v45
	s_and_saveexec_b64 s[2:3], s[0:1]
	s_cbranch_execnz .LBB975_366
.LBB975_392:
	s_or_b64 exec, exec, s[2:3]
	v_cmp_gt_u32_e64 s[0:1], s4, v44
	s_and_saveexec_b64 s[2:3], s[0:1]
	s_cbranch_execz .LBB975_367
.LBB975_393:
	s_waitcnt vmcnt(12)
	ds_write_b16 v23, v104 offset:256
	s_or_b64 exec, exec, s[2:3]
	v_cmp_gt_u32_e64 s[0:1], s4, v43
	s_and_saveexec_b64 s[2:3], s[0:1]
	s_cbranch_execnz .LBB975_368
.LBB975_394:
	s_or_b64 exec, exec, s[2:3]
	v_cmp_gt_u32_e64 s[0:1], s4, v42
	s_and_saveexec_b64 s[2:3], s[0:1]
	s_cbranch_execz .LBB975_369
.LBB975_395:
	s_waitcnt vmcnt(10)
	ds_write_b16 v21, v102 offset:256
	s_or_b64 exec, exec, s[2:3]
	v_cmp_gt_u32_e64 s[0:1], s4, v41
	s_and_saveexec_b64 s[2:3], s[0:1]
	s_cbranch_execnz .LBB975_370
.LBB975_396:
	s_or_b64 exec, exec, s[2:3]
	v_cmp_gt_u32_e64 s[0:1], s4, v40
	s_and_saveexec_b64 s[2:3], s[0:1]
	s_cbranch_execz .LBB975_371
.LBB975_397:
	s_waitcnt vmcnt(8)
	ds_write_b16 v19, v100 offset:256
	s_or_b64 exec, exec, s[2:3]
	v_cmp_gt_u32_e64 s[0:1], s4, v39
	s_and_saveexec_b64 s[2:3], s[0:1]
	s_cbranch_execnz .LBB975_372
.LBB975_398:
	s_or_b64 exec, exec, s[2:3]
	v_cmp_gt_u32_e64 s[0:1], s4, v38
	s_and_saveexec_b64 s[2:3], s[0:1]
	s_cbranch_execz .LBB975_373
.LBB975_399:
	s_waitcnt vmcnt(6)
	ds_write_b16 v17, v98 offset:256
	s_or_b64 exec, exec, s[2:3]
	v_cmp_gt_u32_e64 s[0:1], s4, v37
	s_and_saveexec_b64 s[2:3], s[0:1]
	s_cbranch_execnz .LBB975_374
.LBB975_400:
	s_or_b64 exec, exec, s[2:3]
	v_cmp_gt_u32_e64 s[0:1], s4, v36
	s_and_saveexec_b64 s[2:3], s[0:1]
	s_cbranch_execz .LBB975_375
.LBB975_401:
	s_waitcnt vmcnt(4)
	ds_write_b16 v15, v96 offset:256
	s_or_b64 exec, exec, s[2:3]
	v_cmp_gt_u32_e64 s[0:1], s4, v35
	s_and_saveexec_b64 s[2:3], s[0:1]
	s_cbranch_execnz .LBB975_376
.LBB975_402:
	s_or_b64 exec, exec, s[2:3]
	v_cmp_gt_u32_e64 s[0:1], s4, v34
	s_and_saveexec_b64 s[2:3], s[0:1]
	s_cbranch_execz .LBB975_377
.LBB975_403:
	s_waitcnt vmcnt(2)
	ds_write_b16 v13, v6 offset:256
	s_or_b64 exec, exec, s[2:3]
	v_cmp_gt_u32_e64 s[0:1], s4, v33
	s_and_saveexec_b64 s[2:3], s[0:1]
	s_cbranch_execnz .LBB975_378
	s_branch .LBB975_379
	.section	.rodata,"a",@progbits
	.p2align	6, 0x0
	.amdhsa_kernel _ZN7rocprim17ROCPRIM_400000_NS6detail17trampoline_kernelINS0_14default_configENS1_35radix_sort_onesweep_config_selectorIttEEZZNS1_29radix_sort_onesweep_iterationIS3_Lb0EN6thrust23THRUST_200600_302600_NS6detail15normal_iteratorINS8_10device_ptrItEEEESD_SD_SD_jNS0_19identity_decomposerENS1_16block_id_wrapperIjLb1EEEEE10hipError_tT1_PNSt15iterator_traitsISI_E10value_typeET2_T3_PNSJ_ISO_E10value_typeET4_T5_PST_SU_PNS1_23onesweep_lookback_stateEbbT6_jjT7_P12ihipStream_tbENKUlT_T0_SI_SN_E_clISD_SD_SD_SD_EEDaS11_S12_SI_SN_EUlS11_E_NS1_11comp_targetILNS1_3genE6ELNS1_11target_archE950ELNS1_3gpuE13ELNS1_3repE0EEENS1_47radix_sort_onesweep_sort_config_static_selectorELNS0_4arch9wavefront6targetE1EEEvSI_
		.amdhsa_group_segment_fixed_size 22792
		.amdhsa_private_segment_fixed_size 0
		.amdhsa_kernarg_size 344
		.amdhsa_user_sgpr_count 2
		.amdhsa_user_sgpr_dispatch_ptr 0
		.amdhsa_user_sgpr_queue_ptr 0
		.amdhsa_user_sgpr_kernarg_segment_ptr 1
		.amdhsa_user_sgpr_dispatch_id 0
		.amdhsa_user_sgpr_kernarg_preload_length 0
		.amdhsa_user_sgpr_kernarg_preload_offset 0
		.amdhsa_user_sgpr_private_segment_size 0
		.amdhsa_uses_dynamic_stack 0
		.amdhsa_enable_private_segment 0
		.amdhsa_system_sgpr_workgroup_id_x 1
		.amdhsa_system_sgpr_workgroup_id_y 0
		.amdhsa_system_sgpr_workgroup_id_z 0
		.amdhsa_system_sgpr_workgroup_info 0
		.amdhsa_system_vgpr_workitem_id 2
		.amdhsa_next_free_vgpr 118
		.amdhsa_next_free_sgpr 100
		.amdhsa_accum_offset 120
		.amdhsa_reserve_vcc 1
		.amdhsa_float_round_mode_32 0
		.amdhsa_float_round_mode_16_64 0
		.amdhsa_float_denorm_mode_32 3
		.amdhsa_float_denorm_mode_16_64 3
		.amdhsa_dx10_clamp 1
		.amdhsa_ieee_mode 1
		.amdhsa_fp16_overflow 0
		.amdhsa_tg_split 0
		.amdhsa_exception_fp_ieee_invalid_op 0
		.amdhsa_exception_fp_denorm_src 0
		.amdhsa_exception_fp_ieee_div_zero 0
		.amdhsa_exception_fp_ieee_overflow 0
		.amdhsa_exception_fp_ieee_underflow 0
		.amdhsa_exception_fp_ieee_inexact 0
		.amdhsa_exception_int_div_zero 0
	.end_amdhsa_kernel
	.section	.text._ZN7rocprim17ROCPRIM_400000_NS6detail17trampoline_kernelINS0_14default_configENS1_35radix_sort_onesweep_config_selectorIttEEZZNS1_29radix_sort_onesweep_iterationIS3_Lb0EN6thrust23THRUST_200600_302600_NS6detail15normal_iteratorINS8_10device_ptrItEEEESD_SD_SD_jNS0_19identity_decomposerENS1_16block_id_wrapperIjLb1EEEEE10hipError_tT1_PNSt15iterator_traitsISI_E10value_typeET2_T3_PNSJ_ISO_E10value_typeET4_T5_PST_SU_PNS1_23onesweep_lookback_stateEbbT6_jjT7_P12ihipStream_tbENKUlT_T0_SI_SN_E_clISD_SD_SD_SD_EEDaS11_S12_SI_SN_EUlS11_E_NS1_11comp_targetILNS1_3genE6ELNS1_11target_archE950ELNS1_3gpuE13ELNS1_3repE0EEENS1_47radix_sort_onesweep_sort_config_static_selectorELNS0_4arch9wavefront6targetE1EEEvSI_,"axG",@progbits,_ZN7rocprim17ROCPRIM_400000_NS6detail17trampoline_kernelINS0_14default_configENS1_35radix_sort_onesweep_config_selectorIttEEZZNS1_29radix_sort_onesweep_iterationIS3_Lb0EN6thrust23THRUST_200600_302600_NS6detail15normal_iteratorINS8_10device_ptrItEEEESD_SD_SD_jNS0_19identity_decomposerENS1_16block_id_wrapperIjLb1EEEEE10hipError_tT1_PNSt15iterator_traitsISI_E10value_typeET2_T3_PNSJ_ISO_E10value_typeET4_T5_PST_SU_PNS1_23onesweep_lookback_stateEbbT6_jjT7_P12ihipStream_tbENKUlT_T0_SI_SN_E_clISD_SD_SD_SD_EEDaS11_S12_SI_SN_EUlS11_E_NS1_11comp_targetILNS1_3genE6ELNS1_11target_archE950ELNS1_3gpuE13ELNS1_3repE0EEENS1_47radix_sort_onesweep_sort_config_static_selectorELNS0_4arch9wavefront6targetE1EEEvSI_,comdat
.Lfunc_end975:
	.size	_ZN7rocprim17ROCPRIM_400000_NS6detail17trampoline_kernelINS0_14default_configENS1_35radix_sort_onesweep_config_selectorIttEEZZNS1_29radix_sort_onesweep_iterationIS3_Lb0EN6thrust23THRUST_200600_302600_NS6detail15normal_iteratorINS8_10device_ptrItEEEESD_SD_SD_jNS0_19identity_decomposerENS1_16block_id_wrapperIjLb1EEEEE10hipError_tT1_PNSt15iterator_traitsISI_E10value_typeET2_T3_PNSJ_ISO_E10value_typeET4_T5_PST_SU_PNS1_23onesweep_lookback_stateEbbT6_jjT7_P12ihipStream_tbENKUlT_T0_SI_SN_E_clISD_SD_SD_SD_EEDaS11_S12_SI_SN_EUlS11_E_NS1_11comp_targetILNS1_3genE6ELNS1_11target_archE950ELNS1_3gpuE13ELNS1_3repE0EEENS1_47radix_sort_onesweep_sort_config_static_selectorELNS0_4arch9wavefront6targetE1EEEvSI_, .Lfunc_end975-_ZN7rocprim17ROCPRIM_400000_NS6detail17trampoline_kernelINS0_14default_configENS1_35radix_sort_onesweep_config_selectorIttEEZZNS1_29radix_sort_onesweep_iterationIS3_Lb0EN6thrust23THRUST_200600_302600_NS6detail15normal_iteratorINS8_10device_ptrItEEEESD_SD_SD_jNS0_19identity_decomposerENS1_16block_id_wrapperIjLb1EEEEE10hipError_tT1_PNSt15iterator_traitsISI_E10value_typeET2_T3_PNSJ_ISO_E10value_typeET4_T5_PST_SU_PNS1_23onesweep_lookback_stateEbbT6_jjT7_P12ihipStream_tbENKUlT_T0_SI_SN_E_clISD_SD_SD_SD_EEDaS11_S12_SI_SN_EUlS11_E_NS1_11comp_targetILNS1_3genE6ELNS1_11target_archE950ELNS1_3gpuE13ELNS1_3repE0EEENS1_47radix_sort_onesweep_sort_config_static_selectorELNS0_4arch9wavefront6targetE1EEEvSI_
                                        ; -- End function
	.set _ZN7rocprim17ROCPRIM_400000_NS6detail17trampoline_kernelINS0_14default_configENS1_35radix_sort_onesweep_config_selectorIttEEZZNS1_29radix_sort_onesweep_iterationIS3_Lb0EN6thrust23THRUST_200600_302600_NS6detail15normal_iteratorINS8_10device_ptrItEEEESD_SD_SD_jNS0_19identity_decomposerENS1_16block_id_wrapperIjLb1EEEEE10hipError_tT1_PNSt15iterator_traitsISI_E10value_typeET2_T3_PNSJ_ISO_E10value_typeET4_T5_PST_SU_PNS1_23onesweep_lookback_stateEbbT6_jjT7_P12ihipStream_tbENKUlT_T0_SI_SN_E_clISD_SD_SD_SD_EEDaS11_S12_SI_SN_EUlS11_E_NS1_11comp_targetILNS1_3genE6ELNS1_11target_archE950ELNS1_3gpuE13ELNS1_3repE0EEENS1_47radix_sort_onesweep_sort_config_static_selectorELNS0_4arch9wavefront6targetE1EEEvSI_.num_vgpr, 118
	.set _ZN7rocprim17ROCPRIM_400000_NS6detail17trampoline_kernelINS0_14default_configENS1_35radix_sort_onesweep_config_selectorIttEEZZNS1_29radix_sort_onesweep_iterationIS3_Lb0EN6thrust23THRUST_200600_302600_NS6detail15normal_iteratorINS8_10device_ptrItEEEESD_SD_SD_jNS0_19identity_decomposerENS1_16block_id_wrapperIjLb1EEEEE10hipError_tT1_PNSt15iterator_traitsISI_E10value_typeET2_T3_PNSJ_ISO_E10value_typeET4_T5_PST_SU_PNS1_23onesweep_lookback_stateEbbT6_jjT7_P12ihipStream_tbENKUlT_T0_SI_SN_E_clISD_SD_SD_SD_EEDaS11_S12_SI_SN_EUlS11_E_NS1_11comp_targetILNS1_3genE6ELNS1_11target_archE950ELNS1_3gpuE13ELNS1_3repE0EEENS1_47radix_sort_onesweep_sort_config_static_selectorELNS0_4arch9wavefront6targetE1EEEvSI_.num_agpr, 0
	.set _ZN7rocprim17ROCPRIM_400000_NS6detail17trampoline_kernelINS0_14default_configENS1_35radix_sort_onesweep_config_selectorIttEEZZNS1_29radix_sort_onesweep_iterationIS3_Lb0EN6thrust23THRUST_200600_302600_NS6detail15normal_iteratorINS8_10device_ptrItEEEESD_SD_SD_jNS0_19identity_decomposerENS1_16block_id_wrapperIjLb1EEEEE10hipError_tT1_PNSt15iterator_traitsISI_E10value_typeET2_T3_PNSJ_ISO_E10value_typeET4_T5_PST_SU_PNS1_23onesweep_lookback_stateEbbT6_jjT7_P12ihipStream_tbENKUlT_T0_SI_SN_E_clISD_SD_SD_SD_EEDaS11_S12_SI_SN_EUlS11_E_NS1_11comp_targetILNS1_3genE6ELNS1_11target_archE950ELNS1_3gpuE13ELNS1_3repE0EEENS1_47radix_sort_onesweep_sort_config_static_selectorELNS0_4arch9wavefront6targetE1EEEvSI_.numbered_sgpr, 100
	.set _ZN7rocprim17ROCPRIM_400000_NS6detail17trampoline_kernelINS0_14default_configENS1_35radix_sort_onesweep_config_selectorIttEEZZNS1_29radix_sort_onesweep_iterationIS3_Lb0EN6thrust23THRUST_200600_302600_NS6detail15normal_iteratorINS8_10device_ptrItEEEESD_SD_SD_jNS0_19identity_decomposerENS1_16block_id_wrapperIjLb1EEEEE10hipError_tT1_PNSt15iterator_traitsISI_E10value_typeET2_T3_PNSJ_ISO_E10value_typeET4_T5_PST_SU_PNS1_23onesweep_lookback_stateEbbT6_jjT7_P12ihipStream_tbENKUlT_T0_SI_SN_E_clISD_SD_SD_SD_EEDaS11_S12_SI_SN_EUlS11_E_NS1_11comp_targetILNS1_3genE6ELNS1_11target_archE950ELNS1_3gpuE13ELNS1_3repE0EEENS1_47radix_sort_onesweep_sort_config_static_selectorELNS0_4arch9wavefront6targetE1EEEvSI_.num_named_barrier, 0
	.set _ZN7rocprim17ROCPRIM_400000_NS6detail17trampoline_kernelINS0_14default_configENS1_35radix_sort_onesweep_config_selectorIttEEZZNS1_29radix_sort_onesweep_iterationIS3_Lb0EN6thrust23THRUST_200600_302600_NS6detail15normal_iteratorINS8_10device_ptrItEEEESD_SD_SD_jNS0_19identity_decomposerENS1_16block_id_wrapperIjLb1EEEEE10hipError_tT1_PNSt15iterator_traitsISI_E10value_typeET2_T3_PNSJ_ISO_E10value_typeET4_T5_PST_SU_PNS1_23onesweep_lookback_stateEbbT6_jjT7_P12ihipStream_tbENKUlT_T0_SI_SN_E_clISD_SD_SD_SD_EEDaS11_S12_SI_SN_EUlS11_E_NS1_11comp_targetILNS1_3genE6ELNS1_11target_archE950ELNS1_3gpuE13ELNS1_3repE0EEENS1_47radix_sort_onesweep_sort_config_static_selectorELNS0_4arch9wavefront6targetE1EEEvSI_.private_seg_size, 0
	.set _ZN7rocprim17ROCPRIM_400000_NS6detail17trampoline_kernelINS0_14default_configENS1_35radix_sort_onesweep_config_selectorIttEEZZNS1_29radix_sort_onesweep_iterationIS3_Lb0EN6thrust23THRUST_200600_302600_NS6detail15normal_iteratorINS8_10device_ptrItEEEESD_SD_SD_jNS0_19identity_decomposerENS1_16block_id_wrapperIjLb1EEEEE10hipError_tT1_PNSt15iterator_traitsISI_E10value_typeET2_T3_PNSJ_ISO_E10value_typeET4_T5_PST_SU_PNS1_23onesweep_lookback_stateEbbT6_jjT7_P12ihipStream_tbENKUlT_T0_SI_SN_E_clISD_SD_SD_SD_EEDaS11_S12_SI_SN_EUlS11_E_NS1_11comp_targetILNS1_3genE6ELNS1_11target_archE950ELNS1_3gpuE13ELNS1_3repE0EEENS1_47radix_sort_onesweep_sort_config_static_selectorELNS0_4arch9wavefront6targetE1EEEvSI_.uses_vcc, 1
	.set _ZN7rocprim17ROCPRIM_400000_NS6detail17trampoline_kernelINS0_14default_configENS1_35radix_sort_onesweep_config_selectorIttEEZZNS1_29radix_sort_onesweep_iterationIS3_Lb0EN6thrust23THRUST_200600_302600_NS6detail15normal_iteratorINS8_10device_ptrItEEEESD_SD_SD_jNS0_19identity_decomposerENS1_16block_id_wrapperIjLb1EEEEE10hipError_tT1_PNSt15iterator_traitsISI_E10value_typeET2_T3_PNSJ_ISO_E10value_typeET4_T5_PST_SU_PNS1_23onesweep_lookback_stateEbbT6_jjT7_P12ihipStream_tbENKUlT_T0_SI_SN_E_clISD_SD_SD_SD_EEDaS11_S12_SI_SN_EUlS11_E_NS1_11comp_targetILNS1_3genE6ELNS1_11target_archE950ELNS1_3gpuE13ELNS1_3repE0EEENS1_47radix_sort_onesweep_sort_config_static_selectorELNS0_4arch9wavefront6targetE1EEEvSI_.uses_flat_scratch, 0
	.set _ZN7rocprim17ROCPRIM_400000_NS6detail17trampoline_kernelINS0_14default_configENS1_35radix_sort_onesweep_config_selectorIttEEZZNS1_29radix_sort_onesweep_iterationIS3_Lb0EN6thrust23THRUST_200600_302600_NS6detail15normal_iteratorINS8_10device_ptrItEEEESD_SD_SD_jNS0_19identity_decomposerENS1_16block_id_wrapperIjLb1EEEEE10hipError_tT1_PNSt15iterator_traitsISI_E10value_typeET2_T3_PNSJ_ISO_E10value_typeET4_T5_PST_SU_PNS1_23onesweep_lookback_stateEbbT6_jjT7_P12ihipStream_tbENKUlT_T0_SI_SN_E_clISD_SD_SD_SD_EEDaS11_S12_SI_SN_EUlS11_E_NS1_11comp_targetILNS1_3genE6ELNS1_11target_archE950ELNS1_3gpuE13ELNS1_3repE0EEENS1_47radix_sort_onesweep_sort_config_static_selectorELNS0_4arch9wavefront6targetE1EEEvSI_.has_dyn_sized_stack, 0
	.set _ZN7rocprim17ROCPRIM_400000_NS6detail17trampoline_kernelINS0_14default_configENS1_35radix_sort_onesweep_config_selectorIttEEZZNS1_29radix_sort_onesweep_iterationIS3_Lb0EN6thrust23THRUST_200600_302600_NS6detail15normal_iteratorINS8_10device_ptrItEEEESD_SD_SD_jNS0_19identity_decomposerENS1_16block_id_wrapperIjLb1EEEEE10hipError_tT1_PNSt15iterator_traitsISI_E10value_typeET2_T3_PNSJ_ISO_E10value_typeET4_T5_PST_SU_PNS1_23onesweep_lookback_stateEbbT6_jjT7_P12ihipStream_tbENKUlT_T0_SI_SN_E_clISD_SD_SD_SD_EEDaS11_S12_SI_SN_EUlS11_E_NS1_11comp_targetILNS1_3genE6ELNS1_11target_archE950ELNS1_3gpuE13ELNS1_3repE0EEENS1_47radix_sort_onesweep_sort_config_static_selectorELNS0_4arch9wavefront6targetE1EEEvSI_.has_recursion, 0
	.set _ZN7rocprim17ROCPRIM_400000_NS6detail17trampoline_kernelINS0_14default_configENS1_35radix_sort_onesweep_config_selectorIttEEZZNS1_29radix_sort_onesweep_iterationIS3_Lb0EN6thrust23THRUST_200600_302600_NS6detail15normal_iteratorINS8_10device_ptrItEEEESD_SD_SD_jNS0_19identity_decomposerENS1_16block_id_wrapperIjLb1EEEEE10hipError_tT1_PNSt15iterator_traitsISI_E10value_typeET2_T3_PNSJ_ISO_E10value_typeET4_T5_PST_SU_PNS1_23onesweep_lookback_stateEbbT6_jjT7_P12ihipStream_tbENKUlT_T0_SI_SN_E_clISD_SD_SD_SD_EEDaS11_S12_SI_SN_EUlS11_E_NS1_11comp_targetILNS1_3genE6ELNS1_11target_archE950ELNS1_3gpuE13ELNS1_3repE0EEENS1_47radix_sort_onesweep_sort_config_static_selectorELNS0_4arch9wavefront6targetE1EEEvSI_.has_indirect_call, 0
	.section	.AMDGPU.csdata,"",@progbits
; Kernel info:
; codeLenInByte = 30272
; TotalNumSgprs: 106
; NumVgprs: 118
; NumAgprs: 0
; TotalNumVgprs: 118
; ScratchSize: 0
; MemoryBound: 0
; FloatMode: 240
; IeeeMode: 1
; LDSByteSize: 22792 bytes/workgroup (compile time only)
; SGPRBlocks: 13
; VGPRBlocks: 14
; NumSGPRsForWavesPerEU: 106
; NumVGPRsForWavesPerEU: 118
; AccumOffset: 120
; Occupancy: 4
; WaveLimiterHint : 1
; COMPUTE_PGM_RSRC2:SCRATCH_EN: 0
; COMPUTE_PGM_RSRC2:USER_SGPR: 2
; COMPUTE_PGM_RSRC2:TRAP_HANDLER: 0
; COMPUTE_PGM_RSRC2:TGID_X_EN: 1
; COMPUTE_PGM_RSRC2:TGID_Y_EN: 0
; COMPUTE_PGM_RSRC2:TGID_Z_EN: 0
; COMPUTE_PGM_RSRC2:TIDIG_COMP_CNT: 2
; COMPUTE_PGM_RSRC3_GFX90A:ACCUM_OFFSET: 29
; COMPUTE_PGM_RSRC3_GFX90A:TG_SPLIT: 0
	.section	.text._ZN7rocprim17ROCPRIM_400000_NS6detail17trampoline_kernelINS0_14default_configENS1_35radix_sort_onesweep_config_selectorIttEEZZNS1_29radix_sort_onesweep_iterationIS3_Lb0EN6thrust23THRUST_200600_302600_NS6detail15normal_iteratorINS8_10device_ptrItEEEESD_SD_SD_jNS0_19identity_decomposerENS1_16block_id_wrapperIjLb1EEEEE10hipError_tT1_PNSt15iterator_traitsISI_E10value_typeET2_T3_PNSJ_ISO_E10value_typeET4_T5_PST_SU_PNS1_23onesweep_lookback_stateEbbT6_jjT7_P12ihipStream_tbENKUlT_T0_SI_SN_E_clISD_SD_SD_SD_EEDaS11_S12_SI_SN_EUlS11_E_NS1_11comp_targetILNS1_3genE5ELNS1_11target_archE942ELNS1_3gpuE9ELNS1_3repE0EEENS1_47radix_sort_onesweep_sort_config_static_selectorELNS0_4arch9wavefront6targetE1EEEvSI_,"axG",@progbits,_ZN7rocprim17ROCPRIM_400000_NS6detail17trampoline_kernelINS0_14default_configENS1_35radix_sort_onesweep_config_selectorIttEEZZNS1_29radix_sort_onesweep_iterationIS3_Lb0EN6thrust23THRUST_200600_302600_NS6detail15normal_iteratorINS8_10device_ptrItEEEESD_SD_SD_jNS0_19identity_decomposerENS1_16block_id_wrapperIjLb1EEEEE10hipError_tT1_PNSt15iterator_traitsISI_E10value_typeET2_T3_PNSJ_ISO_E10value_typeET4_T5_PST_SU_PNS1_23onesweep_lookback_stateEbbT6_jjT7_P12ihipStream_tbENKUlT_T0_SI_SN_E_clISD_SD_SD_SD_EEDaS11_S12_SI_SN_EUlS11_E_NS1_11comp_targetILNS1_3genE5ELNS1_11target_archE942ELNS1_3gpuE9ELNS1_3repE0EEENS1_47radix_sort_onesweep_sort_config_static_selectorELNS0_4arch9wavefront6targetE1EEEvSI_,comdat
	.protected	_ZN7rocprim17ROCPRIM_400000_NS6detail17trampoline_kernelINS0_14default_configENS1_35radix_sort_onesweep_config_selectorIttEEZZNS1_29radix_sort_onesweep_iterationIS3_Lb0EN6thrust23THRUST_200600_302600_NS6detail15normal_iteratorINS8_10device_ptrItEEEESD_SD_SD_jNS0_19identity_decomposerENS1_16block_id_wrapperIjLb1EEEEE10hipError_tT1_PNSt15iterator_traitsISI_E10value_typeET2_T3_PNSJ_ISO_E10value_typeET4_T5_PST_SU_PNS1_23onesweep_lookback_stateEbbT6_jjT7_P12ihipStream_tbENKUlT_T0_SI_SN_E_clISD_SD_SD_SD_EEDaS11_S12_SI_SN_EUlS11_E_NS1_11comp_targetILNS1_3genE5ELNS1_11target_archE942ELNS1_3gpuE9ELNS1_3repE0EEENS1_47radix_sort_onesweep_sort_config_static_selectorELNS0_4arch9wavefront6targetE1EEEvSI_ ; -- Begin function _ZN7rocprim17ROCPRIM_400000_NS6detail17trampoline_kernelINS0_14default_configENS1_35radix_sort_onesweep_config_selectorIttEEZZNS1_29radix_sort_onesweep_iterationIS3_Lb0EN6thrust23THRUST_200600_302600_NS6detail15normal_iteratorINS8_10device_ptrItEEEESD_SD_SD_jNS0_19identity_decomposerENS1_16block_id_wrapperIjLb1EEEEE10hipError_tT1_PNSt15iterator_traitsISI_E10value_typeET2_T3_PNSJ_ISO_E10value_typeET4_T5_PST_SU_PNS1_23onesweep_lookback_stateEbbT6_jjT7_P12ihipStream_tbENKUlT_T0_SI_SN_E_clISD_SD_SD_SD_EEDaS11_S12_SI_SN_EUlS11_E_NS1_11comp_targetILNS1_3genE5ELNS1_11target_archE942ELNS1_3gpuE9ELNS1_3repE0EEENS1_47radix_sort_onesweep_sort_config_static_selectorELNS0_4arch9wavefront6targetE1EEEvSI_
	.globl	_ZN7rocprim17ROCPRIM_400000_NS6detail17trampoline_kernelINS0_14default_configENS1_35radix_sort_onesweep_config_selectorIttEEZZNS1_29radix_sort_onesweep_iterationIS3_Lb0EN6thrust23THRUST_200600_302600_NS6detail15normal_iteratorINS8_10device_ptrItEEEESD_SD_SD_jNS0_19identity_decomposerENS1_16block_id_wrapperIjLb1EEEEE10hipError_tT1_PNSt15iterator_traitsISI_E10value_typeET2_T3_PNSJ_ISO_E10value_typeET4_T5_PST_SU_PNS1_23onesweep_lookback_stateEbbT6_jjT7_P12ihipStream_tbENKUlT_T0_SI_SN_E_clISD_SD_SD_SD_EEDaS11_S12_SI_SN_EUlS11_E_NS1_11comp_targetILNS1_3genE5ELNS1_11target_archE942ELNS1_3gpuE9ELNS1_3repE0EEENS1_47radix_sort_onesweep_sort_config_static_selectorELNS0_4arch9wavefront6targetE1EEEvSI_
	.p2align	8
	.type	_ZN7rocprim17ROCPRIM_400000_NS6detail17trampoline_kernelINS0_14default_configENS1_35radix_sort_onesweep_config_selectorIttEEZZNS1_29radix_sort_onesweep_iterationIS3_Lb0EN6thrust23THRUST_200600_302600_NS6detail15normal_iteratorINS8_10device_ptrItEEEESD_SD_SD_jNS0_19identity_decomposerENS1_16block_id_wrapperIjLb1EEEEE10hipError_tT1_PNSt15iterator_traitsISI_E10value_typeET2_T3_PNSJ_ISO_E10value_typeET4_T5_PST_SU_PNS1_23onesweep_lookback_stateEbbT6_jjT7_P12ihipStream_tbENKUlT_T0_SI_SN_E_clISD_SD_SD_SD_EEDaS11_S12_SI_SN_EUlS11_E_NS1_11comp_targetILNS1_3genE5ELNS1_11target_archE942ELNS1_3gpuE9ELNS1_3repE0EEENS1_47radix_sort_onesweep_sort_config_static_selectorELNS0_4arch9wavefront6targetE1EEEvSI_,@function
_ZN7rocprim17ROCPRIM_400000_NS6detail17trampoline_kernelINS0_14default_configENS1_35radix_sort_onesweep_config_selectorIttEEZZNS1_29radix_sort_onesweep_iterationIS3_Lb0EN6thrust23THRUST_200600_302600_NS6detail15normal_iteratorINS8_10device_ptrItEEEESD_SD_SD_jNS0_19identity_decomposerENS1_16block_id_wrapperIjLb1EEEEE10hipError_tT1_PNSt15iterator_traitsISI_E10value_typeET2_T3_PNSJ_ISO_E10value_typeET4_T5_PST_SU_PNS1_23onesweep_lookback_stateEbbT6_jjT7_P12ihipStream_tbENKUlT_T0_SI_SN_E_clISD_SD_SD_SD_EEDaS11_S12_SI_SN_EUlS11_E_NS1_11comp_targetILNS1_3genE5ELNS1_11target_archE942ELNS1_3gpuE9ELNS1_3repE0EEENS1_47radix_sort_onesweep_sort_config_static_selectorELNS0_4arch9wavefront6targetE1EEEvSI_: ; @_ZN7rocprim17ROCPRIM_400000_NS6detail17trampoline_kernelINS0_14default_configENS1_35radix_sort_onesweep_config_selectorIttEEZZNS1_29radix_sort_onesweep_iterationIS3_Lb0EN6thrust23THRUST_200600_302600_NS6detail15normal_iteratorINS8_10device_ptrItEEEESD_SD_SD_jNS0_19identity_decomposerENS1_16block_id_wrapperIjLb1EEEEE10hipError_tT1_PNSt15iterator_traitsISI_E10value_typeET2_T3_PNSJ_ISO_E10value_typeET4_T5_PST_SU_PNS1_23onesweep_lookback_stateEbbT6_jjT7_P12ihipStream_tbENKUlT_T0_SI_SN_E_clISD_SD_SD_SD_EEDaS11_S12_SI_SN_EUlS11_E_NS1_11comp_targetILNS1_3genE5ELNS1_11target_archE942ELNS1_3gpuE9ELNS1_3repE0EEENS1_47radix_sort_onesweep_sort_config_static_selectorELNS0_4arch9wavefront6targetE1EEEvSI_
; %bb.0:
	.section	.rodata,"a",@progbits
	.p2align	6, 0x0
	.amdhsa_kernel _ZN7rocprim17ROCPRIM_400000_NS6detail17trampoline_kernelINS0_14default_configENS1_35radix_sort_onesweep_config_selectorIttEEZZNS1_29radix_sort_onesweep_iterationIS3_Lb0EN6thrust23THRUST_200600_302600_NS6detail15normal_iteratorINS8_10device_ptrItEEEESD_SD_SD_jNS0_19identity_decomposerENS1_16block_id_wrapperIjLb1EEEEE10hipError_tT1_PNSt15iterator_traitsISI_E10value_typeET2_T3_PNSJ_ISO_E10value_typeET4_T5_PST_SU_PNS1_23onesweep_lookback_stateEbbT6_jjT7_P12ihipStream_tbENKUlT_T0_SI_SN_E_clISD_SD_SD_SD_EEDaS11_S12_SI_SN_EUlS11_E_NS1_11comp_targetILNS1_3genE5ELNS1_11target_archE942ELNS1_3gpuE9ELNS1_3repE0EEENS1_47radix_sort_onesweep_sort_config_static_selectorELNS0_4arch9wavefront6targetE1EEEvSI_
		.amdhsa_group_segment_fixed_size 0
		.amdhsa_private_segment_fixed_size 0
		.amdhsa_kernarg_size 88
		.amdhsa_user_sgpr_count 2
		.amdhsa_user_sgpr_dispatch_ptr 0
		.amdhsa_user_sgpr_queue_ptr 0
		.amdhsa_user_sgpr_kernarg_segment_ptr 1
		.amdhsa_user_sgpr_dispatch_id 0
		.amdhsa_user_sgpr_kernarg_preload_length 0
		.amdhsa_user_sgpr_kernarg_preload_offset 0
		.amdhsa_user_sgpr_private_segment_size 0
		.amdhsa_uses_dynamic_stack 0
		.amdhsa_enable_private_segment 0
		.amdhsa_system_sgpr_workgroup_id_x 1
		.amdhsa_system_sgpr_workgroup_id_y 0
		.amdhsa_system_sgpr_workgroup_id_z 0
		.amdhsa_system_sgpr_workgroup_info 0
		.amdhsa_system_vgpr_workitem_id 0
		.amdhsa_next_free_vgpr 1
		.amdhsa_next_free_sgpr 0
		.amdhsa_accum_offset 4
		.amdhsa_reserve_vcc 0
		.amdhsa_float_round_mode_32 0
		.amdhsa_float_round_mode_16_64 0
		.amdhsa_float_denorm_mode_32 3
		.amdhsa_float_denorm_mode_16_64 3
		.amdhsa_dx10_clamp 1
		.amdhsa_ieee_mode 1
		.amdhsa_fp16_overflow 0
		.amdhsa_tg_split 0
		.amdhsa_exception_fp_ieee_invalid_op 0
		.amdhsa_exception_fp_denorm_src 0
		.amdhsa_exception_fp_ieee_div_zero 0
		.amdhsa_exception_fp_ieee_overflow 0
		.amdhsa_exception_fp_ieee_underflow 0
		.amdhsa_exception_fp_ieee_inexact 0
		.amdhsa_exception_int_div_zero 0
	.end_amdhsa_kernel
	.section	.text._ZN7rocprim17ROCPRIM_400000_NS6detail17trampoline_kernelINS0_14default_configENS1_35radix_sort_onesweep_config_selectorIttEEZZNS1_29radix_sort_onesweep_iterationIS3_Lb0EN6thrust23THRUST_200600_302600_NS6detail15normal_iteratorINS8_10device_ptrItEEEESD_SD_SD_jNS0_19identity_decomposerENS1_16block_id_wrapperIjLb1EEEEE10hipError_tT1_PNSt15iterator_traitsISI_E10value_typeET2_T3_PNSJ_ISO_E10value_typeET4_T5_PST_SU_PNS1_23onesweep_lookback_stateEbbT6_jjT7_P12ihipStream_tbENKUlT_T0_SI_SN_E_clISD_SD_SD_SD_EEDaS11_S12_SI_SN_EUlS11_E_NS1_11comp_targetILNS1_3genE5ELNS1_11target_archE942ELNS1_3gpuE9ELNS1_3repE0EEENS1_47radix_sort_onesweep_sort_config_static_selectorELNS0_4arch9wavefront6targetE1EEEvSI_,"axG",@progbits,_ZN7rocprim17ROCPRIM_400000_NS6detail17trampoline_kernelINS0_14default_configENS1_35radix_sort_onesweep_config_selectorIttEEZZNS1_29radix_sort_onesweep_iterationIS3_Lb0EN6thrust23THRUST_200600_302600_NS6detail15normal_iteratorINS8_10device_ptrItEEEESD_SD_SD_jNS0_19identity_decomposerENS1_16block_id_wrapperIjLb1EEEEE10hipError_tT1_PNSt15iterator_traitsISI_E10value_typeET2_T3_PNSJ_ISO_E10value_typeET4_T5_PST_SU_PNS1_23onesweep_lookback_stateEbbT6_jjT7_P12ihipStream_tbENKUlT_T0_SI_SN_E_clISD_SD_SD_SD_EEDaS11_S12_SI_SN_EUlS11_E_NS1_11comp_targetILNS1_3genE5ELNS1_11target_archE942ELNS1_3gpuE9ELNS1_3repE0EEENS1_47radix_sort_onesweep_sort_config_static_selectorELNS0_4arch9wavefront6targetE1EEEvSI_,comdat
.Lfunc_end976:
	.size	_ZN7rocprim17ROCPRIM_400000_NS6detail17trampoline_kernelINS0_14default_configENS1_35radix_sort_onesweep_config_selectorIttEEZZNS1_29radix_sort_onesweep_iterationIS3_Lb0EN6thrust23THRUST_200600_302600_NS6detail15normal_iteratorINS8_10device_ptrItEEEESD_SD_SD_jNS0_19identity_decomposerENS1_16block_id_wrapperIjLb1EEEEE10hipError_tT1_PNSt15iterator_traitsISI_E10value_typeET2_T3_PNSJ_ISO_E10value_typeET4_T5_PST_SU_PNS1_23onesweep_lookback_stateEbbT6_jjT7_P12ihipStream_tbENKUlT_T0_SI_SN_E_clISD_SD_SD_SD_EEDaS11_S12_SI_SN_EUlS11_E_NS1_11comp_targetILNS1_3genE5ELNS1_11target_archE942ELNS1_3gpuE9ELNS1_3repE0EEENS1_47radix_sort_onesweep_sort_config_static_selectorELNS0_4arch9wavefront6targetE1EEEvSI_, .Lfunc_end976-_ZN7rocprim17ROCPRIM_400000_NS6detail17trampoline_kernelINS0_14default_configENS1_35radix_sort_onesweep_config_selectorIttEEZZNS1_29radix_sort_onesweep_iterationIS3_Lb0EN6thrust23THRUST_200600_302600_NS6detail15normal_iteratorINS8_10device_ptrItEEEESD_SD_SD_jNS0_19identity_decomposerENS1_16block_id_wrapperIjLb1EEEEE10hipError_tT1_PNSt15iterator_traitsISI_E10value_typeET2_T3_PNSJ_ISO_E10value_typeET4_T5_PST_SU_PNS1_23onesweep_lookback_stateEbbT6_jjT7_P12ihipStream_tbENKUlT_T0_SI_SN_E_clISD_SD_SD_SD_EEDaS11_S12_SI_SN_EUlS11_E_NS1_11comp_targetILNS1_3genE5ELNS1_11target_archE942ELNS1_3gpuE9ELNS1_3repE0EEENS1_47radix_sort_onesweep_sort_config_static_selectorELNS0_4arch9wavefront6targetE1EEEvSI_
                                        ; -- End function
	.set _ZN7rocprim17ROCPRIM_400000_NS6detail17trampoline_kernelINS0_14default_configENS1_35radix_sort_onesweep_config_selectorIttEEZZNS1_29radix_sort_onesweep_iterationIS3_Lb0EN6thrust23THRUST_200600_302600_NS6detail15normal_iteratorINS8_10device_ptrItEEEESD_SD_SD_jNS0_19identity_decomposerENS1_16block_id_wrapperIjLb1EEEEE10hipError_tT1_PNSt15iterator_traitsISI_E10value_typeET2_T3_PNSJ_ISO_E10value_typeET4_T5_PST_SU_PNS1_23onesweep_lookback_stateEbbT6_jjT7_P12ihipStream_tbENKUlT_T0_SI_SN_E_clISD_SD_SD_SD_EEDaS11_S12_SI_SN_EUlS11_E_NS1_11comp_targetILNS1_3genE5ELNS1_11target_archE942ELNS1_3gpuE9ELNS1_3repE0EEENS1_47radix_sort_onesweep_sort_config_static_selectorELNS0_4arch9wavefront6targetE1EEEvSI_.num_vgpr, 0
	.set _ZN7rocprim17ROCPRIM_400000_NS6detail17trampoline_kernelINS0_14default_configENS1_35radix_sort_onesweep_config_selectorIttEEZZNS1_29radix_sort_onesweep_iterationIS3_Lb0EN6thrust23THRUST_200600_302600_NS6detail15normal_iteratorINS8_10device_ptrItEEEESD_SD_SD_jNS0_19identity_decomposerENS1_16block_id_wrapperIjLb1EEEEE10hipError_tT1_PNSt15iterator_traitsISI_E10value_typeET2_T3_PNSJ_ISO_E10value_typeET4_T5_PST_SU_PNS1_23onesweep_lookback_stateEbbT6_jjT7_P12ihipStream_tbENKUlT_T0_SI_SN_E_clISD_SD_SD_SD_EEDaS11_S12_SI_SN_EUlS11_E_NS1_11comp_targetILNS1_3genE5ELNS1_11target_archE942ELNS1_3gpuE9ELNS1_3repE0EEENS1_47radix_sort_onesweep_sort_config_static_selectorELNS0_4arch9wavefront6targetE1EEEvSI_.num_agpr, 0
	.set _ZN7rocprim17ROCPRIM_400000_NS6detail17trampoline_kernelINS0_14default_configENS1_35radix_sort_onesweep_config_selectorIttEEZZNS1_29radix_sort_onesweep_iterationIS3_Lb0EN6thrust23THRUST_200600_302600_NS6detail15normal_iteratorINS8_10device_ptrItEEEESD_SD_SD_jNS0_19identity_decomposerENS1_16block_id_wrapperIjLb1EEEEE10hipError_tT1_PNSt15iterator_traitsISI_E10value_typeET2_T3_PNSJ_ISO_E10value_typeET4_T5_PST_SU_PNS1_23onesweep_lookback_stateEbbT6_jjT7_P12ihipStream_tbENKUlT_T0_SI_SN_E_clISD_SD_SD_SD_EEDaS11_S12_SI_SN_EUlS11_E_NS1_11comp_targetILNS1_3genE5ELNS1_11target_archE942ELNS1_3gpuE9ELNS1_3repE0EEENS1_47radix_sort_onesweep_sort_config_static_selectorELNS0_4arch9wavefront6targetE1EEEvSI_.numbered_sgpr, 0
	.set _ZN7rocprim17ROCPRIM_400000_NS6detail17trampoline_kernelINS0_14default_configENS1_35radix_sort_onesweep_config_selectorIttEEZZNS1_29radix_sort_onesweep_iterationIS3_Lb0EN6thrust23THRUST_200600_302600_NS6detail15normal_iteratorINS8_10device_ptrItEEEESD_SD_SD_jNS0_19identity_decomposerENS1_16block_id_wrapperIjLb1EEEEE10hipError_tT1_PNSt15iterator_traitsISI_E10value_typeET2_T3_PNSJ_ISO_E10value_typeET4_T5_PST_SU_PNS1_23onesweep_lookback_stateEbbT6_jjT7_P12ihipStream_tbENKUlT_T0_SI_SN_E_clISD_SD_SD_SD_EEDaS11_S12_SI_SN_EUlS11_E_NS1_11comp_targetILNS1_3genE5ELNS1_11target_archE942ELNS1_3gpuE9ELNS1_3repE0EEENS1_47radix_sort_onesweep_sort_config_static_selectorELNS0_4arch9wavefront6targetE1EEEvSI_.num_named_barrier, 0
	.set _ZN7rocprim17ROCPRIM_400000_NS6detail17trampoline_kernelINS0_14default_configENS1_35radix_sort_onesweep_config_selectorIttEEZZNS1_29radix_sort_onesweep_iterationIS3_Lb0EN6thrust23THRUST_200600_302600_NS6detail15normal_iteratorINS8_10device_ptrItEEEESD_SD_SD_jNS0_19identity_decomposerENS1_16block_id_wrapperIjLb1EEEEE10hipError_tT1_PNSt15iterator_traitsISI_E10value_typeET2_T3_PNSJ_ISO_E10value_typeET4_T5_PST_SU_PNS1_23onesweep_lookback_stateEbbT6_jjT7_P12ihipStream_tbENKUlT_T0_SI_SN_E_clISD_SD_SD_SD_EEDaS11_S12_SI_SN_EUlS11_E_NS1_11comp_targetILNS1_3genE5ELNS1_11target_archE942ELNS1_3gpuE9ELNS1_3repE0EEENS1_47radix_sort_onesweep_sort_config_static_selectorELNS0_4arch9wavefront6targetE1EEEvSI_.private_seg_size, 0
	.set _ZN7rocprim17ROCPRIM_400000_NS6detail17trampoline_kernelINS0_14default_configENS1_35radix_sort_onesweep_config_selectorIttEEZZNS1_29radix_sort_onesweep_iterationIS3_Lb0EN6thrust23THRUST_200600_302600_NS6detail15normal_iteratorINS8_10device_ptrItEEEESD_SD_SD_jNS0_19identity_decomposerENS1_16block_id_wrapperIjLb1EEEEE10hipError_tT1_PNSt15iterator_traitsISI_E10value_typeET2_T3_PNSJ_ISO_E10value_typeET4_T5_PST_SU_PNS1_23onesweep_lookback_stateEbbT6_jjT7_P12ihipStream_tbENKUlT_T0_SI_SN_E_clISD_SD_SD_SD_EEDaS11_S12_SI_SN_EUlS11_E_NS1_11comp_targetILNS1_3genE5ELNS1_11target_archE942ELNS1_3gpuE9ELNS1_3repE0EEENS1_47radix_sort_onesweep_sort_config_static_selectorELNS0_4arch9wavefront6targetE1EEEvSI_.uses_vcc, 0
	.set _ZN7rocprim17ROCPRIM_400000_NS6detail17trampoline_kernelINS0_14default_configENS1_35radix_sort_onesweep_config_selectorIttEEZZNS1_29radix_sort_onesweep_iterationIS3_Lb0EN6thrust23THRUST_200600_302600_NS6detail15normal_iteratorINS8_10device_ptrItEEEESD_SD_SD_jNS0_19identity_decomposerENS1_16block_id_wrapperIjLb1EEEEE10hipError_tT1_PNSt15iterator_traitsISI_E10value_typeET2_T3_PNSJ_ISO_E10value_typeET4_T5_PST_SU_PNS1_23onesweep_lookback_stateEbbT6_jjT7_P12ihipStream_tbENKUlT_T0_SI_SN_E_clISD_SD_SD_SD_EEDaS11_S12_SI_SN_EUlS11_E_NS1_11comp_targetILNS1_3genE5ELNS1_11target_archE942ELNS1_3gpuE9ELNS1_3repE0EEENS1_47radix_sort_onesweep_sort_config_static_selectorELNS0_4arch9wavefront6targetE1EEEvSI_.uses_flat_scratch, 0
	.set _ZN7rocprim17ROCPRIM_400000_NS6detail17trampoline_kernelINS0_14default_configENS1_35radix_sort_onesweep_config_selectorIttEEZZNS1_29radix_sort_onesweep_iterationIS3_Lb0EN6thrust23THRUST_200600_302600_NS6detail15normal_iteratorINS8_10device_ptrItEEEESD_SD_SD_jNS0_19identity_decomposerENS1_16block_id_wrapperIjLb1EEEEE10hipError_tT1_PNSt15iterator_traitsISI_E10value_typeET2_T3_PNSJ_ISO_E10value_typeET4_T5_PST_SU_PNS1_23onesweep_lookback_stateEbbT6_jjT7_P12ihipStream_tbENKUlT_T0_SI_SN_E_clISD_SD_SD_SD_EEDaS11_S12_SI_SN_EUlS11_E_NS1_11comp_targetILNS1_3genE5ELNS1_11target_archE942ELNS1_3gpuE9ELNS1_3repE0EEENS1_47radix_sort_onesweep_sort_config_static_selectorELNS0_4arch9wavefront6targetE1EEEvSI_.has_dyn_sized_stack, 0
	.set _ZN7rocprim17ROCPRIM_400000_NS6detail17trampoline_kernelINS0_14default_configENS1_35radix_sort_onesweep_config_selectorIttEEZZNS1_29radix_sort_onesweep_iterationIS3_Lb0EN6thrust23THRUST_200600_302600_NS6detail15normal_iteratorINS8_10device_ptrItEEEESD_SD_SD_jNS0_19identity_decomposerENS1_16block_id_wrapperIjLb1EEEEE10hipError_tT1_PNSt15iterator_traitsISI_E10value_typeET2_T3_PNSJ_ISO_E10value_typeET4_T5_PST_SU_PNS1_23onesweep_lookback_stateEbbT6_jjT7_P12ihipStream_tbENKUlT_T0_SI_SN_E_clISD_SD_SD_SD_EEDaS11_S12_SI_SN_EUlS11_E_NS1_11comp_targetILNS1_3genE5ELNS1_11target_archE942ELNS1_3gpuE9ELNS1_3repE0EEENS1_47radix_sort_onesweep_sort_config_static_selectorELNS0_4arch9wavefront6targetE1EEEvSI_.has_recursion, 0
	.set _ZN7rocprim17ROCPRIM_400000_NS6detail17trampoline_kernelINS0_14default_configENS1_35radix_sort_onesweep_config_selectorIttEEZZNS1_29radix_sort_onesweep_iterationIS3_Lb0EN6thrust23THRUST_200600_302600_NS6detail15normal_iteratorINS8_10device_ptrItEEEESD_SD_SD_jNS0_19identity_decomposerENS1_16block_id_wrapperIjLb1EEEEE10hipError_tT1_PNSt15iterator_traitsISI_E10value_typeET2_T3_PNSJ_ISO_E10value_typeET4_T5_PST_SU_PNS1_23onesweep_lookback_stateEbbT6_jjT7_P12ihipStream_tbENKUlT_T0_SI_SN_E_clISD_SD_SD_SD_EEDaS11_S12_SI_SN_EUlS11_E_NS1_11comp_targetILNS1_3genE5ELNS1_11target_archE942ELNS1_3gpuE9ELNS1_3repE0EEENS1_47radix_sort_onesweep_sort_config_static_selectorELNS0_4arch9wavefront6targetE1EEEvSI_.has_indirect_call, 0
	.section	.AMDGPU.csdata,"",@progbits
; Kernel info:
; codeLenInByte = 0
; TotalNumSgprs: 6
; NumVgprs: 0
; NumAgprs: 0
; TotalNumVgprs: 0
; ScratchSize: 0
; MemoryBound: 0
; FloatMode: 240
; IeeeMode: 1
; LDSByteSize: 0 bytes/workgroup (compile time only)
; SGPRBlocks: 0
; VGPRBlocks: 0
; NumSGPRsForWavesPerEU: 6
; NumVGPRsForWavesPerEU: 1
; AccumOffset: 4
; Occupancy: 8
; WaveLimiterHint : 0
; COMPUTE_PGM_RSRC2:SCRATCH_EN: 0
; COMPUTE_PGM_RSRC2:USER_SGPR: 2
; COMPUTE_PGM_RSRC2:TRAP_HANDLER: 0
; COMPUTE_PGM_RSRC2:TGID_X_EN: 1
; COMPUTE_PGM_RSRC2:TGID_Y_EN: 0
; COMPUTE_PGM_RSRC2:TGID_Z_EN: 0
; COMPUTE_PGM_RSRC2:TIDIG_COMP_CNT: 0
; COMPUTE_PGM_RSRC3_GFX90A:ACCUM_OFFSET: 0
; COMPUTE_PGM_RSRC3_GFX90A:TG_SPLIT: 0
	.section	.text._ZN7rocprim17ROCPRIM_400000_NS6detail17trampoline_kernelINS0_14default_configENS1_35radix_sort_onesweep_config_selectorIttEEZZNS1_29radix_sort_onesweep_iterationIS3_Lb0EN6thrust23THRUST_200600_302600_NS6detail15normal_iteratorINS8_10device_ptrItEEEESD_SD_SD_jNS0_19identity_decomposerENS1_16block_id_wrapperIjLb1EEEEE10hipError_tT1_PNSt15iterator_traitsISI_E10value_typeET2_T3_PNSJ_ISO_E10value_typeET4_T5_PST_SU_PNS1_23onesweep_lookback_stateEbbT6_jjT7_P12ihipStream_tbENKUlT_T0_SI_SN_E_clISD_SD_SD_SD_EEDaS11_S12_SI_SN_EUlS11_E_NS1_11comp_targetILNS1_3genE2ELNS1_11target_archE906ELNS1_3gpuE6ELNS1_3repE0EEENS1_47radix_sort_onesweep_sort_config_static_selectorELNS0_4arch9wavefront6targetE1EEEvSI_,"axG",@progbits,_ZN7rocprim17ROCPRIM_400000_NS6detail17trampoline_kernelINS0_14default_configENS1_35radix_sort_onesweep_config_selectorIttEEZZNS1_29radix_sort_onesweep_iterationIS3_Lb0EN6thrust23THRUST_200600_302600_NS6detail15normal_iteratorINS8_10device_ptrItEEEESD_SD_SD_jNS0_19identity_decomposerENS1_16block_id_wrapperIjLb1EEEEE10hipError_tT1_PNSt15iterator_traitsISI_E10value_typeET2_T3_PNSJ_ISO_E10value_typeET4_T5_PST_SU_PNS1_23onesweep_lookback_stateEbbT6_jjT7_P12ihipStream_tbENKUlT_T0_SI_SN_E_clISD_SD_SD_SD_EEDaS11_S12_SI_SN_EUlS11_E_NS1_11comp_targetILNS1_3genE2ELNS1_11target_archE906ELNS1_3gpuE6ELNS1_3repE0EEENS1_47radix_sort_onesweep_sort_config_static_selectorELNS0_4arch9wavefront6targetE1EEEvSI_,comdat
	.protected	_ZN7rocprim17ROCPRIM_400000_NS6detail17trampoline_kernelINS0_14default_configENS1_35radix_sort_onesweep_config_selectorIttEEZZNS1_29radix_sort_onesweep_iterationIS3_Lb0EN6thrust23THRUST_200600_302600_NS6detail15normal_iteratorINS8_10device_ptrItEEEESD_SD_SD_jNS0_19identity_decomposerENS1_16block_id_wrapperIjLb1EEEEE10hipError_tT1_PNSt15iterator_traitsISI_E10value_typeET2_T3_PNSJ_ISO_E10value_typeET4_T5_PST_SU_PNS1_23onesweep_lookback_stateEbbT6_jjT7_P12ihipStream_tbENKUlT_T0_SI_SN_E_clISD_SD_SD_SD_EEDaS11_S12_SI_SN_EUlS11_E_NS1_11comp_targetILNS1_3genE2ELNS1_11target_archE906ELNS1_3gpuE6ELNS1_3repE0EEENS1_47radix_sort_onesweep_sort_config_static_selectorELNS0_4arch9wavefront6targetE1EEEvSI_ ; -- Begin function _ZN7rocprim17ROCPRIM_400000_NS6detail17trampoline_kernelINS0_14default_configENS1_35radix_sort_onesweep_config_selectorIttEEZZNS1_29radix_sort_onesweep_iterationIS3_Lb0EN6thrust23THRUST_200600_302600_NS6detail15normal_iteratorINS8_10device_ptrItEEEESD_SD_SD_jNS0_19identity_decomposerENS1_16block_id_wrapperIjLb1EEEEE10hipError_tT1_PNSt15iterator_traitsISI_E10value_typeET2_T3_PNSJ_ISO_E10value_typeET4_T5_PST_SU_PNS1_23onesweep_lookback_stateEbbT6_jjT7_P12ihipStream_tbENKUlT_T0_SI_SN_E_clISD_SD_SD_SD_EEDaS11_S12_SI_SN_EUlS11_E_NS1_11comp_targetILNS1_3genE2ELNS1_11target_archE906ELNS1_3gpuE6ELNS1_3repE0EEENS1_47radix_sort_onesweep_sort_config_static_selectorELNS0_4arch9wavefront6targetE1EEEvSI_
	.globl	_ZN7rocprim17ROCPRIM_400000_NS6detail17trampoline_kernelINS0_14default_configENS1_35radix_sort_onesweep_config_selectorIttEEZZNS1_29radix_sort_onesweep_iterationIS3_Lb0EN6thrust23THRUST_200600_302600_NS6detail15normal_iteratorINS8_10device_ptrItEEEESD_SD_SD_jNS0_19identity_decomposerENS1_16block_id_wrapperIjLb1EEEEE10hipError_tT1_PNSt15iterator_traitsISI_E10value_typeET2_T3_PNSJ_ISO_E10value_typeET4_T5_PST_SU_PNS1_23onesweep_lookback_stateEbbT6_jjT7_P12ihipStream_tbENKUlT_T0_SI_SN_E_clISD_SD_SD_SD_EEDaS11_S12_SI_SN_EUlS11_E_NS1_11comp_targetILNS1_3genE2ELNS1_11target_archE906ELNS1_3gpuE6ELNS1_3repE0EEENS1_47radix_sort_onesweep_sort_config_static_selectorELNS0_4arch9wavefront6targetE1EEEvSI_
	.p2align	8
	.type	_ZN7rocprim17ROCPRIM_400000_NS6detail17trampoline_kernelINS0_14default_configENS1_35radix_sort_onesweep_config_selectorIttEEZZNS1_29radix_sort_onesweep_iterationIS3_Lb0EN6thrust23THRUST_200600_302600_NS6detail15normal_iteratorINS8_10device_ptrItEEEESD_SD_SD_jNS0_19identity_decomposerENS1_16block_id_wrapperIjLb1EEEEE10hipError_tT1_PNSt15iterator_traitsISI_E10value_typeET2_T3_PNSJ_ISO_E10value_typeET4_T5_PST_SU_PNS1_23onesweep_lookback_stateEbbT6_jjT7_P12ihipStream_tbENKUlT_T0_SI_SN_E_clISD_SD_SD_SD_EEDaS11_S12_SI_SN_EUlS11_E_NS1_11comp_targetILNS1_3genE2ELNS1_11target_archE906ELNS1_3gpuE6ELNS1_3repE0EEENS1_47radix_sort_onesweep_sort_config_static_selectorELNS0_4arch9wavefront6targetE1EEEvSI_,@function
_ZN7rocprim17ROCPRIM_400000_NS6detail17trampoline_kernelINS0_14default_configENS1_35radix_sort_onesweep_config_selectorIttEEZZNS1_29radix_sort_onesweep_iterationIS3_Lb0EN6thrust23THRUST_200600_302600_NS6detail15normal_iteratorINS8_10device_ptrItEEEESD_SD_SD_jNS0_19identity_decomposerENS1_16block_id_wrapperIjLb1EEEEE10hipError_tT1_PNSt15iterator_traitsISI_E10value_typeET2_T3_PNSJ_ISO_E10value_typeET4_T5_PST_SU_PNS1_23onesweep_lookback_stateEbbT6_jjT7_P12ihipStream_tbENKUlT_T0_SI_SN_E_clISD_SD_SD_SD_EEDaS11_S12_SI_SN_EUlS11_E_NS1_11comp_targetILNS1_3genE2ELNS1_11target_archE906ELNS1_3gpuE6ELNS1_3repE0EEENS1_47radix_sort_onesweep_sort_config_static_selectorELNS0_4arch9wavefront6targetE1EEEvSI_: ; @_ZN7rocprim17ROCPRIM_400000_NS6detail17trampoline_kernelINS0_14default_configENS1_35radix_sort_onesweep_config_selectorIttEEZZNS1_29radix_sort_onesweep_iterationIS3_Lb0EN6thrust23THRUST_200600_302600_NS6detail15normal_iteratorINS8_10device_ptrItEEEESD_SD_SD_jNS0_19identity_decomposerENS1_16block_id_wrapperIjLb1EEEEE10hipError_tT1_PNSt15iterator_traitsISI_E10value_typeET2_T3_PNSJ_ISO_E10value_typeET4_T5_PST_SU_PNS1_23onesweep_lookback_stateEbbT6_jjT7_P12ihipStream_tbENKUlT_T0_SI_SN_E_clISD_SD_SD_SD_EEDaS11_S12_SI_SN_EUlS11_E_NS1_11comp_targetILNS1_3genE2ELNS1_11target_archE906ELNS1_3gpuE6ELNS1_3repE0EEENS1_47radix_sort_onesweep_sort_config_static_selectorELNS0_4arch9wavefront6targetE1EEEvSI_
; %bb.0:
	.section	.rodata,"a",@progbits
	.p2align	6, 0x0
	.amdhsa_kernel _ZN7rocprim17ROCPRIM_400000_NS6detail17trampoline_kernelINS0_14default_configENS1_35radix_sort_onesweep_config_selectorIttEEZZNS1_29radix_sort_onesweep_iterationIS3_Lb0EN6thrust23THRUST_200600_302600_NS6detail15normal_iteratorINS8_10device_ptrItEEEESD_SD_SD_jNS0_19identity_decomposerENS1_16block_id_wrapperIjLb1EEEEE10hipError_tT1_PNSt15iterator_traitsISI_E10value_typeET2_T3_PNSJ_ISO_E10value_typeET4_T5_PST_SU_PNS1_23onesweep_lookback_stateEbbT6_jjT7_P12ihipStream_tbENKUlT_T0_SI_SN_E_clISD_SD_SD_SD_EEDaS11_S12_SI_SN_EUlS11_E_NS1_11comp_targetILNS1_3genE2ELNS1_11target_archE906ELNS1_3gpuE6ELNS1_3repE0EEENS1_47radix_sort_onesweep_sort_config_static_selectorELNS0_4arch9wavefront6targetE1EEEvSI_
		.amdhsa_group_segment_fixed_size 0
		.amdhsa_private_segment_fixed_size 0
		.amdhsa_kernarg_size 88
		.amdhsa_user_sgpr_count 2
		.amdhsa_user_sgpr_dispatch_ptr 0
		.amdhsa_user_sgpr_queue_ptr 0
		.amdhsa_user_sgpr_kernarg_segment_ptr 1
		.amdhsa_user_sgpr_dispatch_id 0
		.amdhsa_user_sgpr_kernarg_preload_length 0
		.amdhsa_user_sgpr_kernarg_preload_offset 0
		.amdhsa_user_sgpr_private_segment_size 0
		.amdhsa_uses_dynamic_stack 0
		.amdhsa_enable_private_segment 0
		.amdhsa_system_sgpr_workgroup_id_x 1
		.amdhsa_system_sgpr_workgroup_id_y 0
		.amdhsa_system_sgpr_workgroup_id_z 0
		.amdhsa_system_sgpr_workgroup_info 0
		.amdhsa_system_vgpr_workitem_id 0
		.amdhsa_next_free_vgpr 1
		.amdhsa_next_free_sgpr 0
		.amdhsa_accum_offset 4
		.amdhsa_reserve_vcc 0
		.amdhsa_float_round_mode_32 0
		.amdhsa_float_round_mode_16_64 0
		.amdhsa_float_denorm_mode_32 3
		.amdhsa_float_denorm_mode_16_64 3
		.amdhsa_dx10_clamp 1
		.amdhsa_ieee_mode 1
		.amdhsa_fp16_overflow 0
		.amdhsa_tg_split 0
		.amdhsa_exception_fp_ieee_invalid_op 0
		.amdhsa_exception_fp_denorm_src 0
		.amdhsa_exception_fp_ieee_div_zero 0
		.amdhsa_exception_fp_ieee_overflow 0
		.amdhsa_exception_fp_ieee_underflow 0
		.amdhsa_exception_fp_ieee_inexact 0
		.amdhsa_exception_int_div_zero 0
	.end_amdhsa_kernel
	.section	.text._ZN7rocprim17ROCPRIM_400000_NS6detail17trampoline_kernelINS0_14default_configENS1_35radix_sort_onesweep_config_selectorIttEEZZNS1_29radix_sort_onesweep_iterationIS3_Lb0EN6thrust23THRUST_200600_302600_NS6detail15normal_iteratorINS8_10device_ptrItEEEESD_SD_SD_jNS0_19identity_decomposerENS1_16block_id_wrapperIjLb1EEEEE10hipError_tT1_PNSt15iterator_traitsISI_E10value_typeET2_T3_PNSJ_ISO_E10value_typeET4_T5_PST_SU_PNS1_23onesweep_lookback_stateEbbT6_jjT7_P12ihipStream_tbENKUlT_T0_SI_SN_E_clISD_SD_SD_SD_EEDaS11_S12_SI_SN_EUlS11_E_NS1_11comp_targetILNS1_3genE2ELNS1_11target_archE906ELNS1_3gpuE6ELNS1_3repE0EEENS1_47radix_sort_onesweep_sort_config_static_selectorELNS0_4arch9wavefront6targetE1EEEvSI_,"axG",@progbits,_ZN7rocprim17ROCPRIM_400000_NS6detail17trampoline_kernelINS0_14default_configENS1_35radix_sort_onesweep_config_selectorIttEEZZNS1_29radix_sort_onesweep_iterationIS3_Lb0EN6thrust23THRUST_200600_302600_NS6detail15normal_iteratorINS8_10device_ptrItEEEESD_SD_SD_jNS0_19identity_decomposerENS1_16block_id_wrapperIjLb1EEEEE10hipError_tT1_PNSt15iterator_traitsISI_E10value_typeET2_T3_PNSJ_ISO_E10value_typeET4_T5_PST_SU_PNS1_23onesweep_lookback_stateEbbT6_jjT7_P12ihipStream_tbENKUlT_T0_SI_SN_E_clISD_SD_SD_SD_EEDaS11_S12_SI_SN_EUlS11_E_NS1_11comp_targetILNS1_3genE2ELNS1_11target_archE906ELNS1_3gpuE6ELNS1_3repE0EEENS1_47radix_sort_onesweep_sort_config_static_selectorELNS0_4arch9wavefront6targetE1EEEvSI_,comdat
.Lfunc_end977:
	.size	_ZN7rocprim17ROCPRIM_400000_NS6detail17trampoline_kernelINS0_14default_configENS1_35radix_sort_onesweep_config_selectorIttEEZZNS1_29radix_sort_onesweep_iterationIS3_Lb0EN6thrust23THRUST_200600_302600_NS6detail15normal_iteratorINS8_10device_ptrItEEEESD_SD_SD_jNS0_19identity_decomposerENS1_16block_id_wrapperIjLb1EEEEE10hipError_tT1_PNSt15iterator_traitsISI_E10value_typeET2_T3_PNSJ_ISO_E10value_typeET4_T5_PST_SU_PNS1_23onesweep_lookback_stateEbbT6_jjT7_P12ihipStream_tbENKUlT_T0_SI_SN_E_clISD_SD_SD_SD_EEDaS11_S12_SI_SN_EUlS11_E_NS1_11comp_targetILNS1_3genE2ELNS1_11target_archE906ELNS1_3gpuE6ELNS1_3repE0EEENS1_47radix_sort_onesweep_sort_config_static_selectorELNS0_4arch9wavefront6targetE1EEEvSI_, .Lfunc_end977-_ZN7rocprim17ROCPRIM_400000_NS6detail17trampoline_kernelINS0_14default_configENS1_35radix_sort_onesweep_config_selectorIttEEZZNS1_29radix_sort_onesweep_iterationIS3_Lb0EN6thrust23THRUST_200600_302600_NS6detail15normal_iteratorINS8_10device_ptrItEEEESD_SD_SD_jNS0_19identity_decomposerENS1_16block_id_wrapperIjLb1EEEEE10hipError_tT1_PNSt15iterator_traitsISI_E10value_typeET2_T3_PNSJ_ISO_E10value_typeET4_T5_PST_SU_PNS1_23onesweep_lookback_stateEbbT6_jjT7_P12ihipStream_tbENKUlT_T0_SI_SN_E_clISD_SD_SD_SD_EEDaS11_S12_SI_SN_EUlS11_E_NS1_11comp_targetILNS1_3genE2ELNS1_11target_archE906ELNS1_3gpuE6ELNS1_3repE0EEENS1_47radix_sort_onesweep_sort_config_static_selectorELNS0_4arch9wavefront6targetE1EEEvSI_
                                        ; -- End function
	.set _ZN7rocprim17ROCPRIM_400000_NS6detail17trampoline_kernelINS0_14default_configENS1_35radix_sort_onesweep_config_selectorIttEEZZNS1_29radix_sort_onesweep_iterationIS3_Lb0EN6thrust23THRUST_200600_302600_NS6detail15normal_iteratorINS8_10device_ptrItEEEESD_SD_SD_jNS0_19identity_decomposerENS1_16block_id_wrapperIjLb1EEEEE10hipError_tT1_PNSt15iterator_traitsISI_E10value_typeET2_T3_PNSJ_ISO_E10value_typeET4_T5_PST_SU_PNS1_23onesweep_lookback_stateEbbT6_jjT7_P12ihipStream_tbENKUlT_T0_SI_SN_E_clISD_SD_SD_SD_EEDaS11_S12_SI_SN_EUlS11_E_NS1_11comp_targetILNS1_3genE2ELNS1_11target_archE906ELNS1_3gpuE6ELNS1_3repE0EEENS1_47radix_sort_onesweep_sort_config_static_selectorELNS0_4arch9wavefront6targetE1EEEvSI_.num_vgpr, 0
	.set _ZN7rocprim17ROCPRIM_400000_NS6detail17trampoline_kernelINS0_14default_configENS1_35radix_sort_onesweep_config_selectorIttEEZZNS1_29radix_sort_onesweep_iterationIS3_Lb0EN6thrust23THRUST_200600_302600_NS6detail15normal_iteratorINS8_10device_ptrItEEEESD_SD_SD_jNS0_19identity_decomposerENS1_16block_id_wrapperIjLb1EEEEE10hipError_tT1_PNSt15iterator_traitsISI_E10value_typeET2_T3_PNSJ_ISO_E10value_typeET4_T5_PST_SU_PNS1_23onesweep_lookback_stateEbbT6_jjT7_P12ihipStream_tbENKUlT_T0_SI_SN_E_clISD_SD_SD_SD_EEDaS11_S12_SI_SN_EUlS11_E_NS1_11comp_targetILNS1_3genE2ELNS1_11target_archE906ELNS1_3gpuE6ELNS1_3repE0EEENS1_47radix_sort_onesweep_sort_config_static_selectorELNS0_4arch9wavefront6targetE1EEEvSI_.num_agpr, 0
	.set _ZN7rocprim17ROCPRIM_400000_NS6detail17trampoline_kernelINS0_14default_configENS1_35radix_sort_onesweep_config_selectorIttEEZZNS1_29radix_sort_onesweep_iterationIS3_Lb0EN6thrust23THRUST_200600_302600_NS6detail15normal_iteratorINS8_10device_ptrItEEEESD_SD_SD_jNS0_19identity_decomposerENS1_16block_id_wrapperIjLb1EEEEE10hipError_tT1_PNSt15iterator_traitsISI_E10value_typeET2_T3_PNSJ_ISO_E10value_typeET4_T5_PST_SU_PNS1_23onesweep_lookback_stateEbbT6_jjT7_P12ihipStream_tbENKUlT_T0_SI_SN_E_clISD_SD_SD_SD_EEDaS11_S12_SI_SN_EUlS11_E_NS1_11comp_targetILNS1_3genE2ELNS1_11target_archE906ELNS1_3gpuE6ELNS1_3repE0EEENS1_47radix_sort_onesweep_sort_config_static_selectorELNS0_4arch9wavefront6targetE1EEEvSI_.numbered_sgpr, 0
	.set _ZN7rocprim17ROCPRIM_400000_NS6detail17trampoline_kernelINS0_14default_configENS1_35radix_sort_onesweep_config_selectorIttEEZZNS1_29radix_sort_onesweep_iterationIS3_Lb0EN6thrust23THRUST_200600_302600_NS6detail15normal_iteratorINS8_10device_ptrItEEEESD_SD_SD_jNS0_19identity_decomposerENS1_16block_id_wrapperIjLb1EEEEE10hipError_tT1_PNSt15iterator_traitsISI_E10value_typeET2_T3_PNSJ_ISO_E10value_typeET4_T5_PST_SU_PNS1_23onesweep_lookback_stateEbbT6_jjT7_P12ihipStream_tbENKUlT_T0_SI_SN_E_clISD_SD_SD_SD_EEDaS11_S12_SI_SN_EUlS11_E_NS1_11comp_targetILNS1_3genE2ELNS1_11target_archE906ELNS1_3gpuE6ELNS1_3repE0EEENS1_47radix_sort_onesweep_sort_config_static_selectorELNS0_4arch9wavefront6targetE1EEEvSI_.num_named_barrier, 0
	.set _ZN7rocprim17ROCPRIM_400000_NS6detail17trampoline_kernelINS0_14default_configENS1_35radix_sort_onesweep_config_selectorIttEEZZNS1_29radix_sort_onesweep_iterationIS3_Lb0EN6thrust23THRUST_200600_302600_NS6detail15normal_iteratorINS8_10device_ptrItEEEESD_SD_SD_jNS0_19identity_decomposerENS1_16block_id_wrapperIjLb1EEEEE10hipError_tT1_PNSt15iterator_traitsISI_E10value_typeET2_T3_PNSJ_ISO_E10value_typeET4_T5_PST_SU_PNS1_23onesweep_lookback_stateEbbT6_jjT7_P12ihipStream_tbENKUlT_T0_SI_SN_E_clISD_SD_SD_SD_EEDaS11_S12_SI_SN_EUlS11_E_NS1_11comp_targetILNS1_3genE2ELNS1_11target_archE906ELNS1_3gpuE6ELNS1_3repE0EEENS1_47radix_sort_onesweep_sort_config_static_selectorELNS0_4arch9wavefront6targetE1EEEvSI_.private_seg_size, 0
	.set _ZN7rocprim17ROCPRIM_400000_NS6detail17trampoline_kernelINS0_14default_configENS1_35radix_sort_onesweep_config_selectorIttEEZZNS1_29radix_sort_onesweep_iterationIS3_Lb0EN6thrust23THRUST_200600_302600_NS6detail15normal_iteratorINS8_10device_ptrItEEEESD_SD_SD_jNS0_19identity_decomposerENS1_16block_id_wrapperIjLb1EEEEE10hipError_tT1_PNSt15iterator_traitsISI_E10value_typeET2_T3_PNSJ_ISO_E10value_typeET4_T5_PST_SU_PNS1_23onesweep_lookback_stateEbbT6_jjT7_P12ihipStream_tbENKUlT_T0_SI_SN_E_clISD_SD_SD_SD_EEDaS11_S12_SI_SN_EUlS11_E_NS1_11comp_targetILNS1_3genE2ELNS1_11target_archE906ELNS1_3gpuE6ELNS1_3repE0EEENS1_47radix_sort_onesweep_sort_config_static_selectorELNS0_4arch9wavefront6targetE1EEEvSI_.uses_vcc, 0
	.set _ZN7rocprim17ROCPRIM_400000_NS6detail17trampoline_kernelINS0_14default_configENS1_35radix_sort_onesweep_config_selectorIttEEZZNS1_29radix_sort_onesweep_iterationIS3_Lb0EN6thrust23THRUST_200600_302600_NS6detail15normal_iteratorINS8_10device_ptrItEEEESD_SD_SD_jNS0_19identity_decomposerENS1_16block_id_wrapperIjLb1EEEEE10hipError_tT1_PNSt15iterator_traitsISI_E10value_typeET2_T3_PNSJ_ISO_E10value_typeET4_T5_PST_SU_PNS1_23onesweep_lookback_stateEbbT6_jjT7_P12ihipStream_tbENKUlT_T0_SI_SN_E_clISD_SD_SD_SD_EEDaS11_S12_SI_SN_EUlS11_E_NS1_11comp_targetILNS1_3genE2ELNS1_11target_archE906ELNS1_3gpuE6ELNS1_3repE0EEENS1_47radix_sort_onesweep_sort_config_static_selectorELNS0_4arch9wavefront6targetE1EEEvSI_.uses_flat_scratch, 0
	.set _ZN7rocprim17ROCPRIM_400000_NS6detail17trampoline_kernelINS0_14default_configENS1_35radix_sort_onesweep_config_selectorIttEEZZNS1_29radix_sort_onesweep_iterationIS3_Lb0EN6thrust23THRUST_200600_302600_NS6detail15normal_iteratorINS8_10device_ptrItEEEESD_SD_SD_jNS0_19identity_decomposerENS1_16block_id_wrapperIjLb1EEEEE10hipError_tT1_PNSt15iterator_traitsISI_E10value_typeET2_T3_PNSJ_ISO_E10value_typeET4_T5_PST_SU_PNS1_23onesweep_lookback_stateEbbT6_jjT7_P12ihipStream_tbENKUlT_T0_SI_SN_E_clISD_SD_SD_SD_EEDaS11_S12_SI_SN_EUlS11_E_NS1_11comp_targetILNS1_3genE2ELNS1_11target_archE906ELNS1_3gpuE6ELNS1_3repE0EEENS1_47radix_sort_onesweep_sort_config_static_selectorELNS0_4arch9wavefront6targetE1EEEvSI_.has_dyn_sized_stack, 0
	.set _ZN7rocprim17ROCPRIM_400000_NS6detail17trampoline_kernelINS0_14default_configENS1_35radix_sort_onesweep_config_selectorIttEEZZNS1_29radix_sort_onesweep_iterationIS3_Lb0EN6thrust23THRUST_200600_302600_NS6detail15normal_iteratorINS8_10device_ptrItEEEESD_SD_SD_jNS0_19identity_decomposerENS1_16block_id_wrapperIjLb1EEEEE10hipError_tT1_PNSt15iterator_traitsISI_E10value_typeET2_T3_PNSJ_ISO_E10value_typeET4_T5_PST_SU_PNS1_23onesweep_lookback_stateEbbT6_jjT7_P12ihipStream_tbENKUlT_T0_SI_SN_E_clISD_SD_SD_SD_EEDaS11_S12_SI_SN_EUlS11_E_NS1_11comp_targetILNS1_3genE2ELNS1_11target_archE906ELNS1_3gpuE6ELNS1_3repE0EEENS1_47radix_sort_onesweep_sort_config_static_selectorELNS0_4arch9wavefront6targetE1EEEvSI_.has_recursion, 0
	.set _ZN7rocprim17ROCPRIM_400000_NS6detail17trampoline_kernelINS0_14default_configENS1_35radix_sort_onesweep_config_selectorIttEEZZNS1_29radix_sort_onesweep_iterationIS3_Lb0EN6thrust23THRUST_200600_302600_NS6detail15normal_iteratorINS8_10device_ptrItEEEESD_SD_SD_jNS0_19identity_decomposerENS1_16block_id_wrapperIjLb1EEEEE10hipError_tT1_PNSt15iterator_traitsISI_E10value_typeET2_T3_PNSJ_ISO_E10value_typeET4_T5_PST_SU_PNS1_23onesweep_lookback_stateEbbT6_jjT7_P12ihipStream_tbENKUlT_T0_SI_SN_E_clISD_SD_SD_SD_EEDaS11_S12_SI_SN_EUlS11_E_NS1_11comp_targetILNS1_3genE2ELNS1_11target_archE906ELNS1_3gpuE6ELNS1_3repE0EEENS1_47radix_sort_onesweep_sort_config_static_selectorELNS0_4arch9wavefront6targetE1EEEvSI_.has_indirect_call, 0
	.section	.AMDGPU.csdata,"",@progbits
; Kernel info:
; codeLenInByte = 0
; TotalNumSgprs: 6
; NumVgprs: 0
; NumAgprs: 0
; TotalNumVgprs: 0
; ScratchSize: 0
; MemoryBound: 0
; FloatMode: 240
; IeeeMode: 1
; LDSByteSize: 0 bytes/workgroup (compile time only)
; SGPRBlocks: 0
; VGPRBlocks: 0
; NumSGPRsForWavesPerEU: 6
; NumVGPRsForWavesPerEU: 1
; AccumOffset: 4
; Occupancy: 8
; WaveLimiterHint : 0
; COMPUTE_PGM_RSRC2:SCRATCH_EN: 0
; COMPUTE_PGM_RSRC2:USER_SGPR: 2
; COMPUTE_PGM_RSRC2:TRAP_HANDLER: 0
; COMPUTE_PGM_RSRC2:TGID_X_EN: 1
; COMPUTE_PGM_RSRC2:TGID_Y_EN: 0
; COMPUTE_PGM_RSRC2:TGID_Z_EN: 0
; COMPUTE_PGM_RSRC2:TIDIG_COMP_CNT: 0
; COMPUTE_PGM_RSRC3_GFX90A:ACCUM_OFFSET: 0
; COMPUTE_PGM_RSRC3_GFX90A:TG_SPLIT: 0
	.section	.text._ZN7rocprim17ROCPRIM_400000_NS6detail17trampoline_kernelINS0_14default_configENS1_35radix_sort_onesweep_config_selectorIttEEZZNS1_29radix_sort_onesweep_iterationIS3_Lb0EN6thrust23THRUST_200600_302600_NS6detail15normal_iteratorINS8_10device_ptrItEEEESD_SD_SD_jNS0_19identity_decomposerENS1_16block_id_wrapperIjLb1EEEEE10hipError_tT1_PNSt15iterator_traitsISI_E10value_typeET2_T3_PNSJ_ISO_E10value_typeET4_T5_PST_SU_PNS1_23onesweep_lookback_stateEbbT6_jjT7_P12ihipStream_tbENKUlT_T0_SI_SN_E_clISD_SD_SD_SD_EEDaS11_S12_SI_SN_EUlS11_E_NS1_11comp_targetILNS1_3genE4ELNS1_11target_archE910ELNS1_3gpuE8ELNS1_3repE0EEENS1_47radix_sort_onesweep_sort_config_static_selectorELNS0_4arch9wavefront6targetE1EEEvSI_,"axG",@progbits,_ZN7rocprim17ROCPRIM_400000_NS6detail17trampoline_kernelINS0_14default_configENS1_35radix_sort_onesweep_config_selectorIttEEZZNS1_29radix_sort_onesweep_iterationIS3_Lb0EN6thrust23THRUST_200600_302600_NS6detail15normal_iteratorINS8_10device_ptrItEEEESD_SD_SD_jNS0_19identity_decomposerENS1_16block_id_wrapperIjLb1EEEEE10hipError_tT1_PNSt15iterator_traitsISI_E10value_typeET2_T3_PNSJ_ISO_E10value_typeET4_T5_PST_SU_PNS1_23onesweep_lookback_stateEbbT6_jjT7_P12ihipStream_tbENKUlT_T0_SI_SN_E_clISD_SD_SD_SD_EEDaS11_S12_SI_SN_EUlS11_E_NS1_11comp_targetILNS1_3genE4ELNS1_11target_archE910ELNS1_3gpuE8ELNS1_3repE0EEENS1_47radix_sort_onesweep_sort_config_static_selectorELNS0_4arch9wavefront6targetE1EEEvSI_,comdat
	.protected	_ZN7rocprim17ROCPRIM_400000_NS6detail17trampoline_kernelINS0_14default_configENS1_35radix_sort_onesweep_config_selectorIttEEZZNS1_29radix_sort_onesweep_iterationIS3_Lb0EN6thrust23THRUST_200600_302600_NS6detail15normal_iteratorINS8_10device_ptrItEEEESD_SD_SD_jNS0_19identity_decomposerENS1_16block_id_wrapperIjLb1EEEEE10hipError_tT1_PNSt15iterator_traitsISI_E10value_typeET2_T3_PNSJ_ISO_E10value_typeET4_T5_PST_SU_PNS1_23onesweep_lookback_stateEbbT6_jjT7_P12ihipStream_tbENKUlT_T0_SI_SN_E_clISD_SD_SD_SD_EEDaS11_S12_SI_SN_EUlS11_E_NS1_11comp_targetILNS1_3genE4ELNS1_11target_archE910ELNS1_3gpuE8ELNS1_3repE0EEENS1_47radix_sort_onesweep_sort_config_static_selectorELNS0_4arch9wavefront6targetE1EEEvSI_ ; -- Begin function _ZN7rocprim17ROCPRIM_400000_NS6detail17trampoline_kernelINS0_14default_configENS1_35radix_sort_onesweep_config_selectorIttEEZZNS1_29radix_sort_onesweep_iterationIS3_Lb0EN6thrust23THRUST_200600_302600_NS6detail15normal_iteratorINS8_10device_ptrItEEEESD_SD_SD_jNS0_19identity_decomposerENS1_16block_id_wrapperIjLb1EEEEE10hipError_tT1_PNSt15iterator_traitsISI_E10value_typeET2_T3_PNSJ_ISO_E10value_typeET4_T5_PST_SU_PNS1_23onesweep_lookback_stateEbbT6_jjT7_P12ihipStream_tbENKUlT_T0_SI_SN_E_clISD_SD_SD_SD_EEDaS11_S12_SI_SN_EUlS11_E_NS1_11comp_targetILNS1_3genE4ELNS1_11target_archE910ELNS1_3gpuE8ELNS1_3repE0EEENS1_47radix_sort_onesweep_sort_config_static_selectorELNS0_4arch9wavefront6targetE1EEEvSI_
	.globl	_ZN7rocprim17ROCPRIM_400000_NS6detail17trampoline_kernelINS0_14default_configENS1_35radix_sort_onesweep_config_selectorIttEEZZNS1_29radix_sort_onesweep_iterationIS3_Lb0EN6thrust23THRUST_200600_302600_NS6detail15normal_iteratorINS8_10device_ptrItEEEESD_SD_SD_jNS0_19identity_decomposerENS1_16block_id_wrapperIjLb1EEEEE10hipError_tT1_PNSt15iterator_traitsISI_E10value_typeET2_T3_PNSJ_ISO_E10value_typeET4_T5_PST_SU_PNS1_23onesweep_lookback_stateEbbT6_jjT7_P12ihipStream_tbENKUlT_T0_SI_SN_E_clISD_SD_SD_SD_EEDaS11_S12_SI_SN_EUlS11_E_NS1_11comp_targetILNS1_3genE4ELNS1_11target_archE910ELNS1_3gpuE8ELNS1_3repE0EEENS1_47radix_sort_onesweep_sort_config_static_selectorELNS0_4arch9wavefront6targetE1EEEvSI_
	.p2align	8
	.type	_ZN7rocprim17ROCPRIM_400000_NS6detail17trampoline_kernelINS0_14default_configENS1_35radix_sort_onesweep_config_selectorIttEEZZNS1_29radix_sort_onesweep_iterationIS3_Lb0EN6thrust23THRUST_200600_302600_NS6detail15normal_iteratorINS8_10device_ptrItEEEESD_SD_SD_jNS0_19identity_decomposerENS1_16block_id_wrapperIjLb1EEEEE10hipError_tT1_PNSt15iterator_traitsISI_E10value_typeET2_T3_PNSJ_ISO_E10value_typeET4_T5_PST_SU_PNS1_23onesweep_lookback_stateEbbT6_jjT7_P12ihipStream_tbENKUlT_T0_SI_SN_E_clISD_SD_SD_SD_EEDaS11_S12_SI_SN_EUlS11_E_NS1_11comp_targetILNS1_3genE4ELNS1_11target_archE910ELNS1_3gpuE8ELNS1_3repE0EEENS1_47radix_sort_onesweep_sort_config_static_selectorELNS0_4arch9wavefront6targetE1EEEvSI_,@function
_ZN7rocprim17ROCPRIM_400000_NS6detail17trampoline_kernelINS0_14default_configENS1_35radix_sort_onesweep_config_selectorIttEEZZNS1_29radix_sort_onesweep_iterationIS3_Lb0EN6thrust23THRUST_200600_302600_NS6detail15normal_iteratorINS8_10device_ptrItEEEESD_SD_SD_jNS0_19identity_decomposerENS1_16block_id_wrapperIjLb1EEEEE10hipError_tT1_PNSt15iterator_traitsISI_E10value_typeET2_T3_PNSJ_ISO_E10value_typeET4_T5_PST_SU_PNS1_23onesweep_lookback_stateEbbT6_jjT7_P12ihipStream_tbENKUlT_T0_SI_SN_E_clISD_SD_SD_SD_EEDaS11_S12_SI_SN_EUlS11_E_NS1_11comp_targetILNS1_3genE4ELNS1_11target_archE910ELNS1_3gpuE8ELNS1_3repE0EEENS1_47radix_sort_onesweep_sort_config_static_selectorELNS0_4arch9wavefront6targetE1EEEvSI_: ; @_ZN7rocprim17ROCPRIM_400000_NS6detail17trampoline_kernelINS0_14default_configENS1_35radix_sort_onesweep_config_selectorIttEEZZNS1_29radix_sort_onesweep_iterationIS3_Lb0EN6thrust23THRUST_200600_302600_NS6detail15normal_iteratorINS8_10device_ptrItEEEESD_SD_SD_jNS0_19identity_decomposerENS1_16block_id_wrapperIjLb1EEEEE10hipError_tT1_PNSt15iterator_traitsISI_E10value_typeET2_T3_PNSJ_ISO_E10value_typeET4_T5_PST_SU_PNS1_23onesweep_lookback_stateEbbT6_jjT7_P12ihipStream_tbENKUlT_T0_SI_SN_E_clISD_SD_SD_SD_EEDaS11_S12_SI_SN_EUlS11_E_NS1_11comp_targetILNS1_3genE4ELNS1_11target_archE910ELNS1_3gpuE8ELNS1_3repE0EEENS1_47radix_sort_onesweep_sort_config_static_selectorELNS0_4arch9wavefront6targetE1EEEvSI_
; %bb.0:
	.section	.rodata,"a",@progbits
	.p2align	6, 0x0
	.amdhsa_kernel _ZN7rocprim17ROCPRIM_400000_NS6detail17trampoline_kernelINS0_14default_configENS1_35radix_sort_onesweep_config_selectorIttEEZZNS1_29radix_sort_onesweep_iterationIS3_Lb0EN6thrust23THRUST_200600_302600_NS6detail15normal_iteratorINS8_10device_ptrItEEEESD_SD_SD_jNS0_19identity_decomposerENS1_16block_id_wrapperIjLb1EEEEE10hipError_tT1_PNSt15iterator_traitsISI_E10value_typeET2_T3_PNSJ_ISO_E10value_typeET4_T5_PST_SU_PNS1_23onesweep_lookback_stateEbbT6_jjT7_P12ihipStream_tbENKUlT_T0_SI_SN_E_clISD_SD_SD_SD_EEDaS11_S12_SI_SN_EUlS11_E_NS1_11comp_targetILNS1_3genE4ELNS1_11target_archE910ELNS1_3gpuE8ELNS1_3repE0EEENS1_47radix_sort_onesweep_sort_config_static_selectorELNS0_4arch9wavefront6targetE1EEEvSI_
		.amdhsa_group_segment_fixed_size 0
		.amdhsa_private_segment_fixed_size 0
		.amdhsa_kernarg_size 88
		.amdhsa_user_sgpr_count 2
		.amdhsa_user_sgpr_dispatch_ptr 0
		.amdhsa_user_sgpr_queue_ptr 0
		.amdhsa_user_sgpr_kernarg_segment_ptr 1
		.amdhsa_user_sgpr_dispatch_id 0
		.amdhsa_user_sgpr_kernarg_preload_length 0
		.amdhsa_user_sgpr_kernarg_preload_offset 0
		.amdhsa_user_sgpr_private_segment_size 0
		.amdhsa_uses_dynamic_stack 0
		.amdhsa_enable_private_segment 0
		.amdhsa_system_sgpr_workgroup_id_x 1
		.amdhsa_system_sgpr_workgroup_id_y 0
		.amdhsa_system_sgpr_workgroup_id_z 0
		.amdhsa_system_sgpr_workgroup_info 0
		.amdhsa_system_vgpr_workitem_id 0
		.amdhsa_next_free_vgpr 1
		.amdhsa_next_free_sgpr 0
		.amdhsa_accum_offset 4
		.amdhsa_reserve_vcc 0
		.amdhsa_float_round_mode_32 0
		.amdhsa_float_round_mode_16_64 0
		.amdhsa_float_denorm_mode_32 3
		.amdhsa_float_denorm_mode_16_64 3
		.amdhsa_dx10_clamp 1
		.amdhsa_ieee_mode 1
		.amdhsa_fp16_overflow 0
		.amdhsa_tg_split 0
		.amdhsa_exception_fp_ieee_invalid_op 0
		.amdhsa_exception_fp_denorm_src 0
		.amdhsa_exception_fp_ieee_div_zero 0
		.amdhsa_exception_fp_ieee_overflow 0
		.amdhsa_exception_fp_ieee_underflow 0
		.amdhsa_exception_fp_ieee_inexact 0
		.amdhsa_exception_int_div_zero 0
	.end_amdhsa_kernel
	.section	.text._ZN7rocprim17ROCPRIM_400000_NS6detail17trampoline_kernelINS0_14default_configENS1_35radix_sort_onesweep_config_selectorIttEEZZNS1_29radix_sort_onesweep_iterationIS3_Lb0EN6thrust23THRUST_200600_302600_NS6detail15normal_iteratorINS8_10device_ptrItEEEESD_SD_SD_jNS0_19identity_decomposerENS1_16block_id_wrapperIjLb1EEEEE10hipError_tT1_PNSt15iterator_traitsISI_E10value_typeET2_T3_PNSJ_ISO_E10value_typeET4_T5_PST_SU_PNS1_23onesweep_lookback_stateEbbT6_jjT7_P12ihipStream_tbENKUlT_T0_SI_SN_E_clISD_SD_SD_SD_EEDaS11_S12_SI_SN_EUlS11_E_NS1_11comp_targetILNS1_3genE4ELNS1_11target_archE910ELNS1_3gpuE8ELNS1_3repE0EEENS1_47radix_sort_onesweep_sort_config_static_selectorELNS0_4arch9wavefront6targetE1EEEvSI_,"axG",@progbits,_ZN7rocprim17ROCPRIM_400000_NS6detail17trampoline_kernelINS0_14default_configENS1_35radix_sort_onesweep_config_selectorIttEEZZNS1_29radix_sort_onesweep_iterationIS3_Lb0EN6thrust23THRUST_200600_302600_NS6detail15normal_iteratorINS8_10device_ptrItEEEESD_SD_SD_jNS0_19identity_decomposerENS1_16block_id_wrapperIjLb1EEEEE10hipError_tT1_PNSt15iterator_traitsISI_E10value_typeET2_T3_PNSJ_ISO_E10value_typeET4_T5_PST_SU_PNS1_23onesweep_lookback_stateEbbT6_jjT7_P12ihipStream_tbENKUlT_T0_SI_SN_E_clISD_SD_SD_SD_EEDaS11_S12_SI_SN_EUlS11_E_NS1_11comp_targetILNS1_3genE4ELNS1_11target_archE910ELNS1_3gpuE8ELNS1_3repE0EEENS1_47radix_sort_onesweep_sort_config_static_selectorELNS0_4arch9wavefront6targetE1EEEvSI_,comdat
.Lfunc_end978:
	.size	_ZN7rocprim17ROCPRIM_400000_NS6detail17trampoline_kernelINS0_14default_configENS1_35radix_sort_onesweep_config_selectorIttEEZZNS1_29radix_sort_onesweep_iterationIS3_Lb0EN6thrust23THRUST_200600_302600_NS6detail15normal_iteratorINS8_10device_ptrItEEEESD_SD_SD_jNS0_19identity_decomposerENS1_16block_id_wrapperIjLb1EEEEE10hipError_tT1_PNSt15iterator_traitsISI_E10value_typeET2_T3_PNSJ_ISO_E10value_typeET4_T5_PST_SU_PNS1_23onesweep_lookback_stateEbbT6_jjT7_P12ihipStream_tbENKUlT_T0_SI_SN_E_clISD_SD_SD_SD_EEDaS11_S12_SI_SN_EUlS11_E_NS1_11comp_targetILNS1_3genE4ELNS1_11target_archE910ELNS1_3gpuE8ELNS1_3repE0EEENS1_47radix_sort_onesweep_sort_config_static_selectorELNS0_4arch9wavefront6targetE1EEEvSI_, .Lfunc_end978-_ZN7rocprim17ROCPRIM_400000_NS6detail17trampoline_kernelINS0_14default_configENS1_35radix_sort_onesweep_config_selectorIttEEZZNS1_29radix_sort_onesweep_iterationIS3_Lb0EN6thrust23THRUST_200600_302600_NS6detail15normal_iteratorINS8_10device_ptrItEEEESD_SD_SD_jNS0_19identity_decomposerENS1_16block_id_wrapperIjLb1EEEEE10hipError_tT1_PNSt15iterator_traitsISI_E10value_typeET2_T3_PNSJ_ISO_E10value_typeET4_T5_PST_SU_PNS1_23onesweep_lookback_stateEbbT6_jjT7_P12ihipStream_tbENKUlT_T0_SI_SN_E_clISD_SD_SD_SD_EEDaS11_S12_SI_SN_EUlS11_E_NS1_11comp_targetILNS1_3genE4ELNS1_11target_archE910ELNS1_3gpuE8ELNS1_3repE0EEENS1_47radix_sort_onesweep_sort_config_static_selectorELNS0_4arch9wavefront6targetE1EEEvSI_
                                        ; -- End function
	.set _ZN7rocprim17ROCPRIM_400000_NS6detail17trampoline_kernelINS0_14default_configENS1_35radix_sort_onesweep_config_selectorIttEEZZNS1_29radix_sort_onesweep_iterationIS3_Lb0EN6thrust23THRUST_200600_302600_NS6detail15normal_iteratorINS8_10device_ptrItEEEESD_SD_SD_jNS0_19identity_decomposerENS1_16block_id_wrapperIjLb1EEEEE10hipError_tT1_PNSt15iterator_traitsISI_E10value_typeET2_T3_PNSJ_ISO_E10value_typeET4_T5_PST_SU_PNS1_23onesweep_lookback_stateEbbT6_jjT7_P12ihipStream_tbENKUlT_T0_SI_SN_E_clISD_SD_SD_SD_EEDaS11_S12_SI_SN_EUlS11_E_NS1_11comp_targetILNS1_3genE4ELNS1_11target_archE910ELNS1_3gpuE8ELNS1_3repE0EEENS1_47radix_sort_onesweep_sort_config_static_selectorELNS0_4arch9wavefront6targetE1EEEvSI_.num_vgpr, 0
	.set _ZN7rocprim17ROCPRIM_400000_NS6detail17trampoline_kernelINS0_14default_configENS1_35radix_sort_onesweep_config_selectorIttEEZZNS1_29radix_sort_onesweep_iterationIS3_Lb0EN6thrust23THRUST_200600_302600_NS6detail15normal_iteratorINS8_10device_ptrItEEEESD_SD_SD_jNS0_19identity_decomposerENS1_16block_id_wrapperIjLb1EEEEE10hipError_tT1_PNSt15iterator_traitsISI_E10value_typeET2_T3_PNSJ_ISO_E10value_typeET4_T5_PST_SU_PNS1_23onesweep_lookback_stateEbbT6_jjT7_P12ihipStream_tbENKUlT_T0_SI_SN_E_clISD_SD_SD_SD_EEDaS11_S12_SI_SN_EUlS11_E_NS1_11comp_targetILNS1_3genE4ELNS1_11target_archE910ELNS1_3gpuE8ELNS1_3repE0EEENS1_47radix_sort_onesweep_sort_config_static_selectorELNS0_4arch9wavefront6targetE1EEEvSI_.num_agpr, 0
	.set _ZN7rocprim17ROCPRIM_400000_NS6detail17trampoline_kernelINS0_14default_configENS1_35radix_sort_onesweep_config_selectorIttEEZZNS1_29radix_sort_onesweep_iterationIS3_Lb0EN6thrust23THRUST_200600_302600_NS6detail15normal_iteratorINS8_10device_ptrItEEEESD_SD_SD_jNS0_19identity_decomposerENS1_16block_id_wrapperIjLb1EEEEE10hipError_tT1_PNSt15iterator_traitsISI_E10value_typeET2_T3_PNSJ_ISO_E10value_typeET4_T5_PST_SU_PNS1_23onesweep_lookback_stateEbbT6_jjT7_P12ihipStream_tbENKUlT_T0_SI_SN_E_clISD_SD_SD_SD_EEDaS11_S12_SI_SN_EUlS11_E_NS1_11comp_targetILNS1_3genE4ELNS1_11target_archE910ELNS1_3gpuE8ELNS1_3repE0EEENS1_47radix_sort_onesweep_sort_config_static_selectorELNS0_4arch9wavefront6targetE1EEEvSI_.numbered_sgpr, 0
	.set _ZN7rocprim17ROCPRIM_400000_NS6detail17trampoline_kernelINS0_14default_configENS1_35radix_sort_onesweep_config_selectorIttEEZZNS1_29radix_sort_onesweep_iterationIS3_Lb0EN6thrust23THRUST_200600_302600_NS6detail15normal_iteratorINS8_10device_ptrItEEEESD_SD_SD_jNS0_19identity_decomposerENS1_16block_id_wrapperIjLb1EEEEE10hipError_tT1_PNSt15iterator_traitsISI_E10value_typeET2_T3_PNSJ_ISO_E10value_typeET4_T5_PST_SU_PNS1_23onesweep_lookback_stateEbbT6_jjT7_P12ihipStream_tbENKUlT_T0_SI_SN_E_clISD_SD_SD_SD_EEDaS11_S12_SI_SN_EUlS11_E_NS1_11comp_targetILNS1_3genE4ELNS1_11target_archE910ELNS1_3gpuE8ELNS1_3repE0EEENS1_47radix_sort_onesweep_sort_config_static_selectorELNS0_4arch9wavefront6targetE1EEEvSI_.num_named_barrier, 0
	.set _ZN7rocprim17ROCPRIM_400000_NS6detail17trampoline_kernelINS0_14default_configENS1_35radix_sort_onesweep_config_selectorIttEEZZNS1_29radix_sort_onesweep_iterationIS3_Lb0EN6thrust23THRUST_200600_302600_NS6detail15normal_iteratorINS8_10device_ptrItEEEESD_SD_SD_jNS0_19identity_decomposerENS1_16block_id_wrapperIjLb1EEEEE10hipError_tT1_PNSt15iterator_traitsISI_E10value_typeET2_T3_PNSJ_ISO_E10value_typeET4_T5_PST_SU_PNS1_23onesweep_lookback_stateEbbT6_jjT7_P12ihipStream_tbENKUlT_T0_SI_SN_E_clISD_SD_SD_SD_EEDaS11_S12_SI_SN_EUlS11_E_NS1_11comp_targetILNS1_3genE4ELNS1_11target_archE910ELNS1_3gpuE8ELNS1_3repE0EEENS1_47radix_sort_onesweep_sort_config_static_selectorELNS0_4arch9wavefront6targetE1EEEvSI_.private_seg_size, 0
	.set _ZN7rocprim17ROCPRIM_400000_NS6detail17trampoline_kernelINS0_14default_configENS1_35radix_sort_onesweep_config_selectorIttEEZZNS1_29radix_sort_onesweep_iterationIS3_Lb0EN6thrust23THRUST_200600_302600_NS6detail15normal_iteratorINS8_10device_ptrItEEEESD_SD_SD_jNS0_19identity_decomposerENS1_16block_id_wrapperIjLb1EEEEE10hipError_tT1_PNSt15iterator_traitsISI_E10value_typeET2_T3_PNSJ_ISO_E10value_typeET4_T5_PST_SU_PNS1_23onesweep_lookback_stateEbbT6_jjT7_P12ihipStream_tbENKUlT_T0_SI_SN_E_clISD_SD_SD_SD_EEDaS11_S12_SI_SN_EUlS11_E_NS1_11comp_targetILNS1_3genE4ELNS1_11target_archE910ELNS1_3gpuE8ELNS1_3repE0EEENS1_47radix_sort_onesweep_sort_config_static_selectorELNS0_4arch9wavefront6targetE1EEEvSI_.uses_vcc, 0
	.set _ZN7rocprim17ROCPRIM_400000_NS6detail17trampoline_kernelINS0_14default_configENS1_35radix_sort_onesweep_config_selectorIttEEZZNS1_29radix_sort_onesweep_iterationIS3_Lb0EN6thrust23THRUST_200600_302600_NS6detail15normal_iteratorINS8_10device_ptrItEEEESD_SD_SD_jNS0_19identity_decomposerENS1_16block_id_wrapperIjLb1EEEEE10hipError_tT1_PNSt15iterator_traitsISI_E10value_typeET2_T3_PNSJ_ISO_E10value_typeET4_T5_PST_SU_PNS1_23onesweep_lookback_stateEbbT6_jjT7_P12ihipStream_tbENKUlT_T0_SI_SN_E_clISD_SD_SD_SD_EEDaS11_S12_SI_SN_EUlS11_E_NS1_11comp_targetILNS1_3genE4ELNS1_11target_archE910ELNS1_3gpuE8ELNS1_3repE0EEENS1_47radix_sort_onesweep_sort_config_static_selectorELNS0_4arch9wavefront6targetE1EEEvSI_.uses_flat_scratch, 0
	.set _ZN7rocprim17ROCPRIM_400000_NS6detail17trampoline_kernelINS0_14default_configENS1_35radix_sort_onesweep_config_selectorIttEEZZNS1_29radix_sort_onesweep_iterationIS3_Lb0EN6thrust23THRUST_200600_302600_NS6detail15normal_iteratorINS8_10device_ptrItEEEESD_SD_SD_jNS0_19identity_decomposerENS1_16block_id_wrapperIjLb1EEEEE10hipError_tT1_PNSt15iterator_traitsISI_E10value_typeET2_T3_PNSJ_ISO_E10value_typeET4_T5_PST_SU_PNS1_23onesweep_lookback_stateEbbT6_jjT7_P12ihipStream_tbENKUlT_T0_SI_SN_E_clISD_SD_SD_SD_EEDaS11_S12_SI_SN_EUlS11_E_NS1_11comp_targetILNS1_3genE4ELNS1_11target_archE910ELNS1_3gpuE8ELNS1_3repE0EEENS1_47radix_sort_onesweep_sort_config_static_selectorELNS0_4arch9wavefront6targetE1EEEvSI_.has_dyn_sized_stack, 0
	.set _ZN7rocprim17ROCPRIM_400000_NS6detail17trampoline_kernelINS0_14default_configENS1_35radix_sort_onesweep_config_selectorIttEEZZNS1_29radix_sort_onesweep_iterationIS3_Lb0EN6thrust23THRUST_200600_302600_NS6detail15normal_iteratorINS8_10device_ptrItEEEESD_SD_SD_jNS0_19identity_decomposerENS1_16block_id_wrapperIjLb1EEEEE10hipError_tT1_PNSt15iterator_traitsISI_E10value_typeET2_T3_PNSJ_ISO_E10value_typeET4_T5_PST_SU_PNS1_23onesweep_lookback_stateEbbT6_jjT7_P12ihipStream_tbENKUlT_T0_SI_SN_E_clISD_SD_SD_SD_EEDaS11_S12_SI_SN_EUlS11_E_NS1_11comp_targetILNS1_3genE4ELNS1_11target_archE910ELNS1_3gpuE8ELNS1_3repE0EEENS1_47radix_sort_onesweep_sort_config_static_selectorELNS0_4arch9wavefront6targetE1EEEvSI_.has_recursion, 0
	.set _ZN7rocprim17ROCPRIM_400000_NS6detail17trampoline_kernelINS0_14default_configENS1_35radix_sort_onesweep_config_selectorIttEEZZNS1_29radix_sort_onesweep_iterationIS3_Lb0EN6thrust23THRUST_200600_302600_NS6detail15normal_iteratorINS8_10device_ptrItEEEESD_SD_SD_jNS0_19identity_decomposerENS1_16block_id_wrapperIjLb1EEEEE10hipError_tT1_PNSt15iterator_traitsISI_E10value_typeET2_T3_PNSJ_ISO_E10value_typeET4_T5_PST_SU_PNS1_23onesweep_lookback_stateEbbT6_jjT7_P12ihipStream_tbENKUlT_T0_SI_SN_E_clISD_SD_SD_SD_EEDaS11_S12_SI_SN_EUlS11_E_NS1_11comp_targetILNS1_3genE4ELNS1_11target_archE910ELNS1_3gpuE8ELNS1_3repE0EEENS1_47radix_sort_onesweep_sort_config_static_selectorELNS0_4arch9wavefront6targetE1EEEvSI_.has_indirect_call, 0
	.section	.AMDGPU.csdata,"",@progbits
; Kernel info:
; codeLenInByte = 0
; TotalNumSgprs: 6
; NumVgprs: 0
; NumAgprs: 0
; TotalNumVgprs: 0
; ScratchSize: 0
; MemoryBound: 0
; FloatMode: 240
; IeeeMode: 1
; LDSByteSize: 0 bytes/workgroup (compile time only)
; SGPRBlocks: 0
; VGPRBlocks: 0
; NumSGPRsForWavesPerEU: 6
; NumVGPRsForWavesPerEU: 1
; AccumOffset: 4
; Occupancy: 8
; WaveLimiterHint : 0
; COMPUTE_PGM_RSRC2:SCRATCH_EN: 0
; COMPUTE_PGM_RSRC2:USER_SGPR: 2
; COMPUTE_PGM_RSRC2:TRAP_HANDLER: 0
; COMPUTE_PGM_RSRC2:TGID_X_EN: 1
; COMPUTE_PGM_RSRC2:TGID_Y_EN: 0
; COMPUTE_PGM_RSRC2:TGID_Z_EN: 0
; COMPUTE_PGM_RSRC2:TIDIG_COMP_CNT: 0
; COMPUTE_PGM_RSRC3_GFX90A:ACCUM_OFFSET: 0
; COMPUTE_PGM_RSRC3_GFX90A:TG_SPLIT: 0
	.section	.text._ZN7rocprim17ROCPRIM_400000_NS6detail17trampoline_kernelINS0_14default_configENS1_35radix_sort_onesweep_config_selectorIttEEZZNS1_29radix_sort_onesweep_iterationIS3_Lb0EN6thrust23THRUST_200600_302600_NS6detail15normal_iteratorINS8_10device_ptrItEEEESD_SD_SD_jNS0_19identity_decomposerENS1_16block_id_wrapperIjLb1EEEEE10hipError_tT1_PNSt15iterator_traitsISI_E10value_typeET2_T3_PNSJ_ISO_E10value_typeET4_T5_PST_SU_PNS1_23onesweep_lookback_stateEbbT6_jjT7_P12ihipStream_tbENKUlT_T0_SI_SN_E_clISD_SD_SD_SD_EEDaS11_S12_SI_SN_EUlS11_E_NS1_11comp_targetILNS1_3genE3ELNS1_11target_archE908ELNS1_3gpuE7ELNS1_3repE0EEENS1_47radix_sort_onesweep_sort_config_static_selectorELNS0_4arch9wavefront6targetE1EEEvSI_,"axG",@progbits,_ZN7rocprim17ROCPRIM_400000_NS6detail17trampoline_kernelINS0_14default_configENS1_35radix_sort_onesweep_config_selectorIttEEZZNS1_29radix_sort_onesweep_iterationIS3_Lb0EN6thrust23THRUST_200600_302600_NS6detail15normal_iteratorINS8_10device_ptrItEEEESD_SD_SD_jNS0_19identity_decomposerENS1_16block_id_wrapperIjLb1EEEEE10hipError_tT1_PNSt15iterator_traitsISI_E10value_typeET2_T3_PNSJ_ISO_E10value_typeET4_T5_PST_SU_PNS1_23onesweep_lookback_stateEbbT6_jjT7_P12ihipStream_tbENKUlT_T0_SI_SN_E_clISD_SD_SD_SD_EEDaS11_S12_SI_SN_EUlS11_E_NS1_11comp_targetILNS1_3genE3ELNS1_11target_archE908ELNS1_3gpuE7ELNS1_3repE0EEENS1_47radix_sort_onesweep_sort_config_static_selectorELNS0_4arch9wavefront6targetE1EEEvSI_,comdat
	.protected	_ZN7rocprim17ROCPRIM_400000_NS6detail17trampoline_kernelINS0_14default_configENS1_35radix_sort_onesweep_config_selectorIttEEZZNS1_29radix_sort_onesweep_iterationIS3_Lb0EN6thrust23THRUST_200600_302600_NS6detail15normal_iteratorINS8_10device_ptrItEEEESD_SD_SD_jNS0_19identity_decomposerENS1_16block_id_wrapperIjLb1EEEEE10hipError_tT1_PNSt15iterator_traitsISI_E10value_typeET2_T3_PNSJ_ISO_E10value_typeET4_T5_PST_SU_PNS1_23onesweep_lookback_stateEbbT6_jjT7_P12ihipStream_tbENKUlT_T0_SI_SN_E_clISD_SD_SD_SD_EEDaS11_S12_SI_SN_EUlS11_E_NS1_11comp_targetILNS1_3genE3ELNS1_11target_archE908ELNS1_3gpuE7ELNS1_3repE0EEENS1_47radix_sort_onesweep_sort_config_static_selectorELNS0_4arch9wavefront6targetE1EEEvSI_ ; -- Begin function _ZN7rocprim17ROCPRIM_400000_NS6detail17trampoline_kernelINS0_14default_configENS1_35radix_sort_onesweep_config_selectorIttEEZZNS1_29radix_sort_onesweep_iterationIS3_Lb0EN6thrust23THRUST_200600_302600_NS6detail15normal_iteratorINS8_10device_ptrItEEEESD_SD_SD_jNS0_19identity_decomposerENS1_16block_id_wrapperIjLb1EEEEE10hipError_tT1_PNSt15iterator_traitsISI_E10value_typeET2_T3_PNSJ_ISO_E10value_typeET4_T5_PST_SU_PNS1_23onesweep_lookback_stateEbbT6_jjT7_P12ihipStream_tbENKUlT_T0_SI_SN_E_clISD_SD_SD_SD_EEDaS11_S12_SI_SN_EUlS11_E_NS1_11comp_targetILNS1_3genE3ELNS1_11target_archE908ELNS1_3gpuE7ELNS1_3repE0EEENS1_47radix_sort_onesweep_sort_config_static_selectorELNS0_4arch9wavefront6targetE1EEEvSI_
	.globl	_ZN7rocprim17ROCPRIM_400000_NS6detail17trampoline_kernelINS0_14default_configENS1_35radix_sort_onesweep_config_selectorIttEEZZNS1_29radix_sort_onesweep_iterationIS3_Lb0EN6thrust23THRUST_200600_302600_NS6detail15normal_iteratorINS8_10device_ptrItEEEESD_SD_SD_jNS0_19identity_decomposerENS1_16block_id_wrapperIjLb1EEEEE10hipError_tT1_PNSt15iterator_traitsISI_E10value_typeET2_T3_PNSJ_ISO_E10value_typeET4_T5_PST_SU_PNS1_23onesweep_lookback_stateEbbT6_jjT7_P12ihipStream_tbENKUlT_T0_SI_SN_E_clISD_SD_SD_SD_EEDaS11_S12_SI_SN_EUlS11_E_NS1_11comp_targetILNS1_3genE3ELNS1_11target_archE908ELNS1_3gpuE7ELNS1_3repE0EEENS1_47radix_sort_onesweep_sort_config_static_selectorELNS0_4arch9wavefront6targetE1EEEvSI_
	.p2align	8
	.type	_ZN7rocprim17ROCPRIM_400000_NS6detail17trampoline_kernelINS0_14default_configENS1_35radix_sort_onesweep_config_selectorIttEEZZNS1_29radix_sort_onesweep_iterationIS3_Lb0EN6thrust23THRUST_200600_302600_NS6detail15normal_iteratorINS8_10device_ptrItEEEESD_SD_SD_jNS0_19identity_decomposerENS1_16block_id_wrapperIjLb1EEEEE10hipError_tT1_PNSt15iterator_traitsISI_E10value_typeET2_T3_PNSJ_ISO_E10value_typeET4_T5_PST_SU_PNS1_23onesweep_lookback_stateEbbT6_jjT7_P12ihipStream_tbENKUlT_T0_SI_SN_E_clISD_SD_SD_SD_EEDaS11_S12_SI_SN_EUlS11_E_NS1_11comp_targetILNS1_3genE3ELNS1_11target_archE908ELNS1_3gpuE7ELNS1_3repE0EEENS1_47radix_sort_onesweep_sort_config_static_selectorELNS0_4arch9wavefront6targetE1EEEvSI_,@function
_ZN7rocprim17ROCPRIM_400000_NS6detail17trampoline_kernelINS0_14default_configENS1_35radix_sort_onesweep_config_selectorIttEEZZNS1_29radix_sort_onesweep_iterationIS3_Lb0EN6thrust23THRUST_200600_302600_NS6detail15normal_iteratorINS8_10device_ptrItEEEESD_SD_SD_jNS0_19identity_decomposerENS1_16block_id_wrapperIjLb1EEEEE10hipError_tT1_PNSt15iterator_traitsISI_E10value_typeET2_T3_PNSJ_ISO_E10value_typeET4_T5_PST_SU_PNS1_23onesweep_lookback_stateEbbT6_jjT7_P12ihipStream_tbENKUlT_T0_SI_SN_E_clISD_SD_SD_SD_EEDaS11_S12_SI_SN_EUlS11_E_NS1_11comp_targetILNS1_3genE3ELNS1_11target_archE908ELNS1_3gpuE7ELNS1_3repE0EEENS1_47radix_sort_onesweep_sort_config_static_selectorELNS0_4arch9wavefront6targetE1EEEvSI_: ; @_ZN7rocprim17ROCPRIM_400000_NS6detail17trampoline_kernelINS0_14default_configENS1_35radix_sort_onesweep_config_selectorIttEEZZNS1_29radix_sort_onesweep_iterationIS3_Lb0EN6thrust23THRUST_200600_302600_NS6detail15normal_iteratorINS8_10device_ptrItEEEESD_SD_SD_jNS0_19identity_decomposerENS1_16block_id_wrapperIjLb1EEEEE10hipError_tT1_PNSt15iterator_traitsISI_E10value_typeET2_T3_PNSJ_ISO_E10value_typeET4_T5_PST_SU_PNS1_23onesweep_lookback_stateEbbT6_jjT7_P12ihipStream_tbENKUlT_T0_SI_SN_E_clISD_SD_SD_SD_EEDaS11_S12_SI_SN_EUlS11_E_NS1_11comp_targetILNS1_3genE3ELNS1_11target_archE908ELNS1_3gpuE7ELNS1_3repE0EEENS1_47radix_sort_onesweep_sort_config_static_selectorELNS0_4arch9wavefront6targetE1EEEvSI_
; %bb.0:
	.section	.rodata,"a",@progbits
	.p2align	6, 0x0
	.amdhsa_kernel _ZN7rocprim17ROCPRIM_400000_NS6detail17trampoline_kernelINS0_14default_configENS1_35radix_sort_onesweep_config_selectorIttEEZZNS1_29radix_sort_onesweep_iterationIS3_Lb0EN6thrust23THRUST_200600_302600_NS6detail15normal_iteratorINS8_10device_ptrItEEEESD_SD_SD_jNS0_19identity_decomposerENS1_16block_id_wrapperIjLb1EEEEE10hipError_tT1_PNSt15iterator_traitsISI_E10value_typeET2_T3_PNSJ_ISO_E10value_typeET4_T5_PST_SU_PNS1_23onesweep_lookback_stateEbbT6_jjT7_P12ihipStream_tbENKUlT_T0_SI_SN_E_clISD_SD_SD_SD_EEDaS11_S12_SI_SN_EUlS11_E_NS1_11comp_targetILNS1_3genE3ELNS1_11target_archE908ELNS1_3gpuE7ELNS1_3repE0EEENS1_47radix_sort_onesweep_sort_config_static_selectorELNS0_4arch9wavefront6targetE1EEEvSI_
		.amdhsa_group_segment_fixed_size 0
		.amdhsa_private_segment_fixed_size 0
		.amdhsa_kernarg_size 88
		.amdhsa_user_sgpr_count 2
		.amdhsa_user_sgpr_dispatch_ptr 0
		.amdhsa_user_sgpr_queue_ptr 0
		.amdhsa_user_sgpr_kernarg_segment_ptr 1
		.amdhsa_user_sgpr_dispatch_id 0
		.amdhsa_user_sgpr_kernarg_preload_length 0
		.amdhsa_user_sgpr_kernarg_preload_offset 0
		.amdhsa_user_sgpr_private_segment_size 0
		.amdhsa_uses_dynamic_stack 0
		.amdhsa_enable_private_segment 0
		.amdhsa_system_sgpr_workgroup_id_x 1
		.amdhsa_system_sgpr_workgroup_id_y 0
		.amdhsa_system_sgpr_workgroup_id_z 0
		.amdhsa_system_sgpr_workgroup_info 0
		.amdhsa_system_vgpr_workitem_id 0
		.amdhsa_next_free_vgpr 1
		.amdhsa_next_free_sgpr 0
		.amdhsa_accum_offset 4
		.amdhsa_reserve_vcc 0
		.amdhsa_float_round_mode_32 0
		.amdhsa_float_round_mode_16_64 0
		.amdhsa_float_denorm_mode_32 3
		.amdhsa_float_denorm_mode_16_64 3
		.amdhsa_dx10_clamp 1
		.amdhsa_ieee_mode 1
		.amdhsa_fp16_overflow 0
		.amdhsa_tg_split 0
		.amdhsa_exception_fp_ieee_invalid_op 0
		.amdhsa_exception_fp_denorm_src 0
		.amdhsa_exception_fp_ieee_div_zero 0
		.amdhsa_exception_fp_ieee_overflow 0
		.amdhsa_exception_fp_ieee_underflow 0
		.amdhsa_exception_fp_ieee_inexact 0
		.amdhsa_exception_int_div_zero 0
	.end_amdhsa_kernel
	.section	.text._ZN7rocprim17ROCPRIM_400000_NS6detail17trampoline_kernelINS0_14default_configENS1_35radix_sort_onesweep_config_selectorIttEEZZNS1_29radix_sort_onesweep_iterationIS3_Lb0EN6thrust23THRUST_200600_302600_NS6detail15normal_iteratorINS8_10device_ptrItEEEESD_SD_SD_jNS0_19identity_decomposerENS1_16block_id_wrapperIjLb1EEEEE10hipError_tT1_PNSt15iterator_traitsISI_E10value_typeET2_T3_PNSJ_ISO_E10value_typeET4_T5_PST_SU_PNS1_23onesweep_lookback_stateEbbT6_jjT7_P12ihipStream_tbENKUlT_T0_SI_SN_E_clISD_SD_SD_SD_EEDaS11_S12_SI_SN_EUlS11_E_NS1_11comp_targetILNS1_3genE3ELNS1_11target_archE908ELNS1_3gpuE7ELNS1_3repE0EEENS1_47radix_sort_onesweep_sort_config_static_selectorELNS0_4arch9wavefront6targetE1EEEvSI_,"axG",@progbits,_ZN7rocprim17ROCPRIM_400000_NS6detail17trampoline_kernelINS0_14default_configENS1_35radix_sort_onesweep_config_selectorIttEEZZNS1_29radix_sort_onesweep_iterationIS3_Lb0EN6thrust23THRUST_200600_302600_NS6detail15normal_iteratorINS8_10device_ptrItEEEESD_SD_SD_jNS0_19identity_decomposerENS1_16block_id_wrapperIjLb1EEEEE10hipError_tT1_PNSt15iterator_traitsISI_E10value_typeET2_T3_PNSJ_ISO_E10value_typeET4_T5_PST_SU_PNS1_23onesweep_lookback_stateEbbT6_jjT7_P12ihipStream_tbENKUlT_T0_SI_SN_E_clISD_SD_SD_SD_EEDaS11_S12_SI_SN_EUlS11_E_NS1_11comp_targetILNS1_3genE3ELNS1_11target_archE908ELNS1_3gpuE7ELNS1_3repE0EEENS1_47radix_sort_onesweep_sort_config_static_selectorELNS0_4arch9wavefront6targetE1EEEvSI_,comdat
.Lfunc_end979:
	.size	_ZN7rocprim17ROCPRIM_400000_NS6detail17trampoline_kernelINS0_14default_configENS1_35radix_sort_onesweep_config_selectorIttEEZZNS1_29radix_sort_onesweep_iterationIS3_Lb0EN6thrust23THRUST_200600_302600_NS6detail15normal_iteratorINS8_10device_ptrItEEEESD_SD_SD_jNS0_19identity_decomposerENS1_16block_id_wrapperIjLb1EEEEE10hipError_tT1_PNSt15iterator_traitsISI_E10value_typeET2_T3_PNSJ_ISO_E10value_typeET4_T5_PST_SU_PNS1_23onesweep_lookback_stateEbbT6_jjT7_P12ihipStream_tbENKUlT_T0_SI_SN_E_clISD_SD_SD_SD_EEDaS11_S12_SI_SN_EUlS11_E_NS1_11comp_targetILNS1_3genE3ELNS1_11target_archE908ELNS1_3gpuE7ELNS1_3repE0EEENS1_47radix_sort_onesweep_sort_config_static_selectorELNS0_4arch9wavefront6targetE1EEEvSI_, .Lfunc_end979-_ZN7rocprim17ROCPRIM_400000_NS6detail17trampoline_kernelINS0_14default_configENS1_35radix_sort_onesweep_config_selectorIttEEZZNS1_29radix_sort_onesweep_iterationIS3_Lb0EN6thrust23THRUST_200600_302600_NS6detail15normal_iteratorINS8_10device_ptrItEEEESD_SD_SD_jNS0_19identity_decomposerENS1_16block_id_wrapperIjLb1EEEEE10hipError_tT1_PNSt15iterator_traitsISI_E10value_typeET2_T3_PNSJ_ISO_E10value_typeET4_T5_PST_SU_PNS1_23onesweep_lookback_stateEbbT6_jjT7_P12ihipStream_tbENKUlT_T0_SI_SN_E_clISD_SD_SD_SD_EEDaS11_S12_SI_SN_EUlS11_E_NS1_11comp_targetILNS1_3genE3ELNS1_11target_archE908ELNS1_3gpuE7ELNS1_3repE0EEENS1_47radix_sort_onesweep_sort_config_static_selectorELNS0_4arch9wavefront6targetE1EEEvSI_
                                        ; -- End function
	.set _ZN7rocprim17ROCPRIM_400000_NS6detail17trampoline_kernelINS0_14default_configENS1_35radix_sort_onesweep_config_selectorIttEEZZNS1_29radix_sort_onesweep_iterationIS3_Lb0EN6thrust23THRUST_200600_302600_NS6detail15normal_iteratorINS8_10device_ptrItEEEESD_SD_SD_jNS0_19identity_decomposerENS1_16block_id_wrapperIjLb1EEEEE10hipError_tT1_PNSt15iterator_traitsISI_E10value_typeET2_T3_PNSJ_ISO_E10value_typeET4_T5_PST_SU_PNS1_23onesweep_lookback_stateEbbT6_jjT7_P12ihipStream_tbENKUlT_T0_SI_SN_E_clISD_SD_SD_SD_EEDaS11_S12_SI_SN_EUlS11_E_NS1_11comp_targetILNS1_3genE3ELNS1_11target_archE908ELNS1_3gpuE7ELNS1_3repE0EEENS1_47radix_sort_onesweep_sort_config_static_selectorELNS0_4arch9wavefront6targetE1EEEvSI_.num_vgpr, 0
	.set _ZN7rocprim17ROCPRIM_400000_NS6detail17trampoline_kernelINS0_14default_configENS1_35radix_sort_onesweep_config_selectorIttEEZZNS1_29radix_sort_onesweep_iterationIS3_Lb0EN6thrust23THRUST_200600_302600_NS6detail15normal_iteratorINS8_10device_ptrItEEEESD_SD_SD_jNS0_19identity_decomposerENS1_16block_id_wrapperIjLb1EEEEE10hipError_tT1_PNSt15iterator_traitsISI_E10value_typeET2_T3_PNSJ_ISO_E10value_typeET4_T5_PST_SU_PNS1_23onesweep_lookback_stateEbbT6_jjT7_P12ihipStream_tbENKUlT_T0_SI_SN_E_clISD_SD_SD_SD_EEDaS11_S12_SI_SN_EUlS11_E_NS1_11comp_targetILNS1_3genE3ELNS1_11target_archE908ELNS1_3gpuE7ELNS1_3repE0EEENS1_47radix_sort_onesweep_sort_config_static_selectorELNS0_4arch9wavefront6targetE1EEEvSI_.num_agpr, 0
	.set _ZN7rocprim17ROCPRIM_400000_NS6detail17trampoline_kernelINS0_14default_configENS1_35radix_sort_onesweep_config_selectorIttEEZZNS1_29radix_sort_onesweep_iterationIS3_Lb0EN6thrust23THRUST_200600_302600_NS6detail15normal_iteratorINS8_10device_ptrItEEEESD_SD_SD_jNS0_19identity_decomposerENS1_16block_id_wrapperIjLb1EEEEE10hipError_tT1_PNSt15iterator_traitsISI_E10value_typeET2_T3_PNSJ_ISO_E10value_typeET4_T5_PST_SU_PNS1_23onesweep_lookback_stateEbbT6_jjT7_P12ihipStream_tbENKUlT_T0_SI_SN_E_clISD_SD_SD_SD_EEDaS11_S12_SI_SN_EUlS11_E_NS1_11comp_targetILNS1_3genE3ELNS1_11target_archE908ELNS1_3gpuE7ELNS1_3repE0EEENS1_47radix_sort_onesweep_sort_config_static_selectorELNS0_4arch9wavefront6targetE1EEEvSI_.numbered_sgpr, 0
	.set _ZN7rocprim17ROCPRIM_400000_NS6detail17trampoline_kernelINS0_14default_configENS1_35radix_sort_onesweep_config_selectorIttEEZZNS1_29radix_sort_onesweep_iterationIS3_Lb0EN6thrust23THRUST_200600_302600_NS6detail15normal_iteratorINS8_10device_ptrItEEEESD_SD_SD_jNS0_19identity_decomposerENS1_16block_id_wrapperIjLb1EEEEE10hipError_tT1_PNSt15iterator_traitsISI_E10value_typeET2_T3_PNSJ_ISO_E10value_typeET4_T5_PST_SU_PNS1_23onesweep_lookback_stateEbbT6_jjT7_P12ihipStream_tbENKUlT_T0_SI_SN_E_clISD_SD_SD_SD_EEDaS11_S12_SI_SN_EUlS11_E_NS1_11comp_targetILNS1_3genE3ELNS1_11target_archE908ELNS1_3gpuE7ELNS1_3repE0EEENS1_47radix_sort_onesweep_sort_config_static_selectorELNS0_4arch9wavefront6targetE1EEEvSI_.num_named_barrier, 0
	.set _ZN7rocprim17ROCPRIM_400000_NS6detail17trampoline_kernelINS0_14default_configENS1_35radix_sort_onesweep_config_selectorIttEEZZNS1_29radix_sort_onesweep_iterationIS3_Lb0EN6thrust23THRUST_200600_302600_NS6detail15normal_iteratorINS8_10device_ptrItEEEESD_SD_SD_jNS0_19identity_decomposerENS1_16block_id_wrapperIjLb1EEEEE10hipError_tT1_PNSt15iterator_traitsISI_E10value_typeET2_T3_PNSJ_ISO_E10value_typeET4_T5_PST_SU_PNS1_23onesweep_lookback_stateEbbT6_jjT7_P12ihipStream_tbENKUlT_T0_SI_SN_E_clISD_SD_SD_SD_EEDaS11_S12_SI_SN_EUlS11_E_NS1_11comp_targetILNS1_3genE3ELNS1_11target_archE908ELNS1_3gpuE7ELNS1_3repE0EEENS1_47radix_sort_onesweep_sort_config_static_selectorELNS0_4arch9wavefront6targetE1EEEvSI_.private_seg_size, 0
	.set _ZN7rocprim17ROCPRIM_400000_NS6detail17trampoline_kernelINS0_14default_configENS1_35radix_sort_onesweep_config_selectorIttEEZZNS1_29radix_sort_onesweep_iterationIS3_Lb0EN6thrust23THRUST_200600_302600_NS6detail15normal_iteratorINS8_10device_ptrItEEEESD_SD_SD_jNS0_19identity_decomposerENS1_16block_id_wrapperIjLb1EEEEE10hipError_tT1_PNSt15iterator_traitsISI_E10value_typeET2_T3_PNSJ_ISO_E10value_typeET4_T5_PST_SU_PNS1_23onesweep_lookback_stateEbbT6_jjT7_P12ihipStream_tbENKUlT_T0_SI_SN_E_clISD_SD_SD_SD_EEDaS11_S12_SI_SN_EUlS11_E_NS1_11comp_targetILNS1_3genE3ELNS1_11target_archE908ELNS1_3gpuE7ELNS1_3repE0EEENS1_47radix_sort_onesweep_sort_config_static_selectorELNS0_4arch9wavefront6targetE1EEEvSI_.uses_vcc, 0
	.set _ZN7rocprim17ROCPRIM_400000_NS6detail17trampoline_kernelINS0_14default_configENS1_35radix_sort_onesweep_config_selectorIttEEZZNS1_29radix_sort_onesweep_iterationIS3_Lb0EN6thrust23THRUST_200600_302600_NS6detail15normal_iteratorINS8_10device_ptrItEEEESD_SD_SD_jNS0_19identity_decomposerENS1_16block_id_wrapperIjLb1EEEEE10hipError_tT1_PNSt15iterator_traitsISI_E10value_typeET2_T3_PNSJ_ISO_E10value_typeET4_T5_PST_SU_PNS1_23onesweep_lookback_stateEbbT6_jjT7_P12ihipStream_tbENKUlT_T0_SI_SN_E_clISD_SD_SD_SD_EEDaS11_S12_SI_SN_EUlS11_E_NS1_11comp_targetILNS1_3genE3ELNS1_11target_archE908ELNS1_3gpuE7ELNS1_3repE0EEENS1_47radix_sort_onesweep_sort_config_static_selectorELNS0_4arch9wavefront6targetE1EEEvSI_.uses_flat_scratch, 0
	.set _ZN7rocprim17ROCPRIM_400000_NS6detail17trampoline_kernelINS0_14default_configENS1_35radix_sort_onesweep_config_selectorIttEEZZNS1_29radix_sort_onesweep_iterationIS3_Lb0EN6thrust23THRUST_200600_302600_NS6detail15normal_iteratorINS8_10device_ptrItEEEESD_SD_SD_jNS0_19identity_decomposerENS1_16block_id_wrapperIjLb1EEEEE10hipError_tT1_PNSt15iterator_traitsISI_E10value_typeET2_T3_PNSJ_ISO_E10value_typeET4_T5_PST_SU_PNS1_23onesweep_lookback_stateEbbT6_jjT7_P12ihipStream_tbENKUlT_T0_SI_SN_E_clISD_SD_SD_SD_EEDaS11_S12_SI_SN_EUlS11_E_NS1_11comp_targetILNS1_3genE3ELNS1_11target_archE908ELNS1_3gpuE7ELNS1_3repE0EEENS1_47radix_sort_onesweep_sort_config_static_selectorELNS0_4arch9wavefront6targetE1EEEvSI_.has_dyn_sized_stack, 0
	.set _ZN7rocprim17ROCPRIM_400000_NS6detail17trampoline_kernelINS0_14default_configENS1_35radix_sort_onesweep_config_selectorIttEEZZNS1_29radix_sort_onesweep_iterationIS3_Lb0EN6thrust23THRUST_200600_302600_NS6detail15normal_iteratorINS8_10device_ptrItEEEESD_SD_SD_jNS0_19identity_decomposerENS1_16block_id_wrapperIjLb1EEEEE10hipError_tT1_PNSt15iterator_traitsISI_E10value_typeET2_T3_PNSJ_ISO_E10value_typeET4_T5_PST_SU_PNS1_23onesweep_lookback_stateEbbT6_jjT7_P12ihipStream_tbENKUlT_T0_SI_SN_E_clISD_SD_SD_SD_EEDaS11_S12_SI_SN_EUlS11_E_NS1_11comp_targetILNS1_3genE3ELNS1_11target_archE908ELNS1_3gpuE7ELNS1_3repE0EEENS1_47radix_sort_onesweep_sort_config_static_selectorELNS0_4arch9wavefront6targetE1EEEvSI_.has_recursion, 0
	.set _ZN7rocprim17ROCPRIM_400000_NS6detail17trampoline_kernelINS0_14default_configENS1_35radix_sort_onesweep_config_selectorIttEEZZNS1_29radix_sort_onesweep_iterationIS3_Lb0EN6thrust23THRUST_200600_302600_NS6detail15normal_iteratorINS8_10device_ptrItEEEESD_SD_SD_jNS0_19identity_decomposerENS1_16block_id_wrapperIjLb1EEEEE10hipError_tT1_PNSt15iterator_traitsISI_E10value_typeET2_T3_PNSJ_ISO_E10value_typeET4_T5_PST_SU_PNS1_23onesweep_lookback_stateEbbT6_jjT7_P12ihipStream_tbENKUlT_T0_SI_SN_E_clISD_SD_SD_SD_EEDaS11_S12_SI_SN_EUlS11_E_NS1_11comp_targetILNS1_3genE3ELNS1_11target_archE908ELNS1_3gpuE7ELNS1_3repE0EEENS1_47radix_sort_onesweep_sort_config_static_selectorELNS0_4arch9wavefront6targetE1EEEvSI_.has_indirect_call, 0
	.section	.AMDGPU.csdata,"",@progbits
; Kernel info:
; codeLenInByte = 0
; TotalNumSgprs: 6
; NumVgprs: 0
; NumAgprs: 0
; TotalNumVgprs: 0
; ScratchSize: 0
; MemoryBound: 0
; FloatMode: 240
; IeeeMode: 1
; LDSByteSize: 0 bytes/workgroup (compile time only)
; SGPRBlocks: 0
; VGPRBlocks: 0
; NumSGPRsForWavesPerEU: 6
; NumVGPRsForWavesPerEU: 1
; AccumOffset: 4
; Occupancy: 8
; WaveLimiterHint : 0
; COMPUTE_PGM_RSRC2:SCRATCH_EN: 0
; COMPUTE_PGM_RSRC2:USER_SGPR: 2
; COMPUTE_PGM_RSRC2:TRAP_HANDLER: 0
; COMPUTE_PGM_RSRC2:TGID_X_EN: 1
; COMPUTE_PGM_RSRC2:TGID_Y_EN: 0
; COMPUTE_PGM_RSRC2:TGID_Z_EN: 0
; COMPUTE_PGM_RSRC2:TIDIG_COMP_CNT: 0
; COMPUTE_PGM_RSRC3_GFX90A:ACCUM_OFFSET: 0
; COMPUTE_PGM_RSRC3_GFX90A:TG_SPLIT: 0
	.section	.text._ZN7rocprim17ROCPRIM_400000_NS6detail17trampoline_kernelINS0_14default_configENS1_35radix_sort_onesweep_config_selectorIttEEZZNS1_29radix_sort_onesweep_iterationIS3_Lb0EN6thrust23THRUST_200600_302600_NS6detail15normal_iteratorINS8_10device_ptrItEEEESD_SD_SD_jNS0_19identity_decomposerENS1_16block_id_wrapperIjLb1EEEEE10hipError_tT1_PNSt15iterator_traitsISI_E10value_typeET2_T3_PNSJ_ISO_E10value_typeET4_T5_PST_SU_PNS1_23onesweep_lookback_stateEbbT6_jjT7_P12ihipStream_tbENKUlT_T0_SI_SN_E_clISD_SD_SD_SD_EEDaS11_S12_SI_SN_EUlS11_E_NS1_11comp_targetILNS1_3genE10ELNS1_11target_archE1201ELNS1_3gpuE5ELNS1_3repE0EEENS1_47radix_sort_onesweep_sort_config_static_selectorELNS0_4arch9wavefront6targetE1EEEvSI_,"axG",@progbits,_ZN7rocprim17ROCPRIM_400000_NS6detail17trampoline_kernelINS0_14default_configENS1_35radix_sort_onesweep_config_selectorIttEEZZNS1_29radix_sort_onesweep_iterationIS3_Lb0EN6thrust23THRUST_200600_302600_NS6detail15normal_iteratorINS8_10device_ptrItEEEESD_SD_SD_jNS0_19identity_decomposerENS1_16block_id_wrapperIjLb1EEEEE10hipError_tT1_PNSt15iterator_traitsISI_E10value_typeET2_T3_PNSJ_ISO_E10value_typeET4_T5_PST_SU_PNS1_23onesweep_lookback_stateEbbT6_jjT7_P12ihipStream_tbENKUlT_T0_SI_SN_E_clISD_SD_SD_SD_EEDaS11_S12_SI_SN_EUlS11_E_NS1_11comp_targetILNS1_3genE10ELNS1_11target_archE1201ELNS1_3gpuE5ELNS1_3repE0EEENS1_47radix_sort_onesweep_sort_config_static_selectorELNS0_4arch9wavefront6targetE1EEEvSI_,comdat
	.protected	_ZN7rocprim17ROCPRIM_400000_NS6detail17trampoline_kernelINS0_14default_configENS1_35radix_sort_onesweep_config_selectorIttEEZZNS1_29radix_sort_onesweep_iterationIS3_Lb0EN6thrust23THRUST_200600_302600_NS6detail15normal_iteratorINS8_10device_ptrItEEEESD_SD_SD_jNS0_19identity_decomposerENS1_16block_id_wrapperIjLb1EEEEE10hipError_tT1_PNSt15iterator_traitsISI_E10value_typeET2_T3_PNSJ_ISO_E10value_typeET4_T5_PST_SU_PNS1_23onesweep_lookback_stateEbbT6_jjT7_P12ihipStream_tbENKUlT_T0_SI_SN_E_clISD_SD_SD_SD_EEDaS11_S12_SI_SN_EUlS11_E_NS1_11comp_targetILNS1_3genE10ELNS1_11target_archE1201ELNS1_3gpuE5ELNS1_3repE0EEENS1_47radix_sort_onesweep_sort_config_static_selectorELNS0_4arch9wavefront6targetE1EEEvSI_ ; -- Begin function _ZN7rocprim17ROCPRIM_400000_NS6detail17trampoline_kernelINS0_14default_configENS1_35radix_sort_onesweep_config_selectorIttEEZZNS1_29radix_sort_onesweep_iterationIS3_Lb0EN6thrust23THRUST_200600_302600_NS6detail15normal_iteratorINS8_10device_ptrItEEEESD_SD_SD_jNS0_19identity_decomposerENS1_16block_id_wrapperIjLb1EEEEE10hipError_tT1_PNSt15iterator_traitsISI_E10value_typeET2_T3_PNSJ_ISO_E10value_typeET4_T5_PST_SU_PNS1_23onesweep_lookback_stateEbbT6_jjT7_P12ihipStream_tbENKUlT_T0_SI_SN_E_clISD_SD_SD_SD_EEDaS11_S12_SI_SN_EUlS11_E_NS1_11comp_targetILNS1_3genE10ELNS1_11target_archE1201ELNS1_3gpuE5ELNS1_3repE0EEENS1_47radix_sort_onesweep_sort_config_static_selectorELNS0_4arch9wavefront6targetE1EEEvSI_
	.globl	_ZN7rocprim17ROCPRIM_400000_NS6detail17trampoline_kernelINS0_14default_configENS1_35radix_sort_onesweep_config_selectorIttEEZZNS1_29radix_sort_onesweep_iterationIS3_Lb0EN6thrust23THRUST_200600_302600_NS6detail15normal_iteratorINS8_10device_ptrItEEEESD_SD_SD_jNS0_19identity_decomposerENS1_16block_id_wrapperIjLb1EEEEE10hipError_tT1_PNSt15iterator_traitsISI_E10value_typeET2_T3_PNSJ_ISO_E10value_typeET4_T5_PST_SU_PNS1_23onesweep_lookback_stateEbbT6_jjT7_P12ihipStream_tbENKUlT_T0_SI_SN_E_clISD_SD_SD_SD_EEDaS11_S12_SI_SN_EUlS11_E_NS1_11comp_targetILNS1_3genE10ELNS1_11target_archE1201ELNS1_3gpuE5ELNS1_3repE0EEENS1_47radix_sort_onesweep_sort_config_static_selectorELNS0_4arch9wavefront6targetE1EEEvSI_
	.p2align	8
	.type	_ZN7rocprim17ROCPRIM_400000_NS6detail17trampoline_kernelINS0_14default_configENS1_35radix_sort_onesweep_config_selectorIttEEZZNS1_29radix_sort_onesweep_iterationIS3_Lb0EN6thrust23THRUST_200600_302600_NS6detail15normal_iteratorINS8_10device_ptrItEEEESD_SD_SD_jNS0_19identity_decomposerENS1_16block_id_wrapperIjLb1EEEEE10hipError_tT1_PNSt15iterator_traitsISI_E10value_typeET2_T3_PNSJ_ISO_E10value_typeET4_T5_PST_SU_PNS1_23onesweep_lookback_stateEbbT6_jjT7_P12ihipStream_tbENKUlT_T0_SI_SN_E_clISD_SD_SD_SD_EEDaS11_S12_SI_SN_EUlS11_E_NS1_11comp_targetILNS1_3genE10ELNS1_11target_archE1201ELNS1_3gpuE5ELNS1_3repE0EEENS1_47radix_sort_onesweep_sort_config_static_selectorELNS0_4arch9wavefront6targetE1EEEvSI_,@function
_ZN7rocprim17ROCPRIM_400000_NS6detail17trampoline_kernelINS0_14default_configENS1_35radix_sort_onesweep_config_selectorIttEEZZNS1_29radix_sort_onesweep_iterationIS3_Lb0EN6thrust23THRUST_200600_302600_NS6detail15normal_iteratorINS8_10device_ptrItEEEESD_SD_SD_jNS0_19identity_decomposerENS1_16block_id_wrapperIjLb1EEEEE10hipError_tT1_PNSt15iterator_traitsISI_E10value_typeET2_T3_PNSJ_ISO_E10value_typeET4_T5_PST_SU_PNS1_23onesweep_lookback_stateEbbT6_jjT7_P12ihipStream_tbENKUlT_T0_SI_SN_E_clISD_SD_SD_SD_EEDaS11_S12_SI_SN_EUlS11_E_NS1_11comp_targetILNS1_3genE10ELNS1_11target_archE1201ELNS1_3gpuE5ELNS1_3repE0EEENS1_47radix_sort_onesweep_sort_config_static_selectorELNS0_4arch9wavefront6targetE1EEEvSI_: ; @_ZN7rocprim17ROCPRIM_400000_NS6detail17trampoline_kernelINS0_14default_configENS1_35radix_sort_onesweep_config_selectorIttEEZZNS1_29radix_sort_onesweep_iterationIS3_Lb0EN6thrust23THRUST_200600_302600_NS6detail15normal_iteratorINS8_10device_ptrItEEEESD_SD_SD_jNS0_19identity_decomposerENS1_16block_id_wrapperIjLb1EEEEE10hipError_tT1_PNSt15iterator_traitsISI_E10value_typeET2_T3_PNSJ_ISO_E10value_typeET4_T5_PST_SU_PNS1_23onesweep_lookback_stateEbbT6_jjT7_P12ihipStream_tbENKUlT_T0_SI_SN_E_clISD_SD_SD_SD_EEDaS11_S12_SI_SN_EUlS11_E_NS1_11comp_targetILNS1_3genE10ELNS1_11target_archE1201ELNS1_3gpuE5ELNS1_3repE0EEENS1_47radix_sort_onesweep_sort_config_static_selectorELNS0_4arch9wavefront6targetE1EEEvSI_
; %bb.0:
	.section	.rodata,"a",@progbits
	.p2align	6, 0x0
	.amdhsa_kernel _ZN7rocprim17ROCPRIM_400000_NS6detail17trampoline_kernelINS0_14default_configENS1_35radix_sort_onesweep_config_selectorIttEEZZNS1_29radix_sort_onesweep_iterationIS3_Lb0EN6thrust23THRUST_200600_302600_NS6detail15normal_iteratorINS8_10device_ptrItEEEESD_SD_SD_jNS0_19identity_decomposerENS1_16block_id_wrapperIjLb1EEEEE10hipError_tT1_PNSt15iterator_traitsISI_E10value_typeET2_T3_PNSJ_ISO_E10value_typeET4_T5_PST_SU_PNS1_23onesweep_lookback_stateEbbT6_jjT7_P12ihipStream_tbENKUlT_T0_SI_SN_E_clISD_SD_SD_SD_EEDaS11_S12_SI_SN_EUlS11_E_NS1_11comp_targetILNS1_3genE10ELNS1_11target_archE1201ELNS1_3gpuE5ELNS1_3repE0EEENS1_47radix_sort_onesweep_sort_config_static_selectorELNS0_4arch9wavefront6targetE1EEEvSI_
		.amdhsa_group_segment_fixed_size 0
		.amdhsa_private_segment_fixed_size 0
		.amdhsa_kernarg_size 88
		.amdhsa_user_sgpr_count 2
		.amdhsa_user_sgpr_dispatch_ptr 0
		.amdhsa_user_sgpr_queue_ptr 0
		.amdhsa_user_sgpr_kernarg_segment_ptr 1
		.amdhsa_user_sgpr_dispatch_id 0
		.amdhsa_user_sgpr_kernarg_preload_length 0
		.amdhsa_user_sgpr_kernarg_preload_offset 0
		.amdhsa_user_sgpr_private_segment_size 0
		.amdhsa_uses_dynamic_stack 0
		.amdhsa_enable_private_segment 0
		.amdhsa_system_sgpr_workgroup_id_x 1
		.amdhsa_system_sgpr_workgroup_id_y 0
		.amdhsa_system_sgpr_workgroup_id_z 0
		.amdhsa_system_sgpr_workgroup_info 0
		.amdhsa_system_vgpr_workitem_id 0
		.amdhsa_next_free_vgpr 1
		.amdhsa_next_free_sgpr 0
		.amdhsa_accum_offset 4
		.amdhsa_reserve_vcc 0
		.amdhsa_float_round_mode_32 0
		.amdhsa_float_round_mode_16_64 0
		.amdhsa_float_denorm_mode_32 3
		.amdhsa_float_denorm_mode_16_64 3
		.amdhsa_dx10_clamp 1
		.amdhsa_ieee_mode 1
		.amdhsa_fp16_overflow 0
		.amdhsa_tg_split 0
		.amdhsa_exception_fp_ieee_invalid_op 0
		.amdhsa_exception_fp_denorm_src 0
		.amdhsa_exception_fp_ieee_div_zero 0
		.amdhsa_exception_fp_ieee_overflow 0
		.amdhsa_exception_fp_ieee_underflow 0
		.amdhsa_exception_fp_ieee_inexact 0
		.amdhsa_exception_int_div_zero 0
	.end_amdhsa_kernel
	.section	.text._ZN7rocprim17ROCPRIM_400000_NS6detail17trampoline_kernelINS0_14default_configENS1_35radix_sort_onesweep_config_selectorIttEEZZNS1_29radix_sort_onesweep_iterationIS3_Lb0EN6thrust23THRUST_200600_302600_NS6detail15normal_iteratorINS8_10device_ptrItEEEESD_SD_SD_jNS0_19identity_decomposerENS1_16block_id_wrapperIjLb1EEEEE10hipError_tT1_PNSt15iterator_traitsISI_E10value_typeET2_T3_PNSJ_ISO_E10value_typeET4_T5_PST_SU_PNS1_23onesweep_lookback_stateEbbT6_jjT7_P12ihipStream_tbENKUlT_T0_SI_SN_E_clISD_SD_SD_SD_EEDaS11_S12_SI_SN_EUlS11_E_NS1_11comp_targetILNS1_3genE10ELNS1_11target_archE1201ELNS1_3gpuE5ELNS1_3repE0EEENS1_47radix_sort_onesweep_sort_config_static_selectorELNS0_4arch9wavefront6targetE1EEEvSI_,"axG",@progbits,_ZN7rocprim17ROCPRIM_400000_NS6detail17trampoline_kernelINS0_14default_configENS1_35radix_sort_onesweep_config_selectorIttEEZZNS1_29radix_sort_onesweep_iterationIS3_Lb0EN6thrust23THRUST_200600_302600_NS6detail15normal_iteratorINS8_10device_ptrItEEEESD_SD_SD_jNS0_19identity_decomposerENS1_16block_id_wrapperIjLb1EEEEE10hipError_tT1_PNSt15iterator_traitsISI_E10value_typeET2_T3_PNSJ_ISO_E10value_typeET4_T5_PST_SU_PNS1_23onesweep_lookback_stateEbbT6_jjT7_P12ihipStream_tbENKUlT_T0_SI_SN_E_clISD_SD_SD_SD_EEDaS11_S12_SI_SN_EUlS11_E_NS1_11comp_targetILNS1_3genE10ELNS1_11target_archE1201ELNS1_3gpuE5ELNS1_3repE0EEENS1_47radix_sort_onesweep_sort_config_static_selectorELNS0_4arch9wavefront6targetE1EEEvSI_,comdat
.Lfunc_end980:
	.size	_ZN7rocprim17ROCPRIM_400000_NS6detail17trampoline_kernelINS0_14default_configENS1_35radix_sort_onesweep_config_selectorIttEEZZNS1_29radix_sort_onesweep_iterationIS3_Lb0EN6thrust23THRUST_200600_302600_NS6detail15normal_iteratorINS8_10device_ptrItEEEESD_SD_SD_jNS0_19identity_decomposerENS1_16block_id_wrapperIjLb1EEEEE10hipError_tT1_PNSt15iterator_traitsISI_E10value_typeET2_T3_PNSJ_ISO_E10value_typeET4_T5_PST_SU_PNS1_23onesweep_lookback_stateEbbT6_jjT7_P12ihipStream_tbENKUlT_T0_SI_SN_E_clISD_SD_SD_SD_EEDaS11_S12_SI_SN_EUlS11_E_NS1_11comp_targetILNS1_3genE10ELNS1_11target_archE1201ELNS1_3gpuE5ELNS1_3repE0EEENS1_47radix_sort_onesweep_sort_config_static_selectorELNS0_4arch9wavefront6targetE1EEEvSI_, .Lfunc_end980-_ZN7rocprim17ROCPRIM_400000_NS6detail17trampoline_kernelINS0_14default_configENS1_35radix_sort_onesweep_config_selectorIttEEZZNS1_29radix_sort_onesweep_iterationIS3_Lb0EN6thrust23THRUST_200600_302600_NS6detail15normal_iteratorINS8_10device_ptrItEEEESD_SD_SD_jNS0_19identity_decomposerENS1_16block_id_wrapperIjLb1EEEEE10hipError_tT1_PNSt15iterator_traitsISI_E10value_typeET2_T3_PNSJ_ISO_E10value_typeET4_T5_PST_SU_PNS1_23onesweep_lookback_stateEbbT6_jjT7_P12ihipStream_tbENKUlT_T0_SI_SN_E_clISD_SD_SD_SD_EEDaS11_S12_SI_SN_EUlS11_E_NS1_11comp_targetILNS1_3genE10ELNS1_11target_archE1201ELNS1_3gpuE5ELNS1_3repE0EEENS1_47radix_sort_onesweep_sort_config_static_selectorELNS0_4arch9wavefront6targetE1EEEvSI_
                                        ; -- End function
	.set _ZN7rocprim17ROCPRIM_400000_NS6detail17trampoline_kernelINS0_14default_configENS1_35radix_sort_onesweep_config_selectorIttEEZZNS1_29radix_sort_onesweep_iterationIS3_Lb0EN6thrust23THRUST_200600_302600_NS6detail15normal_iteratorINS8_10device_ptrItEEEESD_SD_SD_jNS0_19identity_decomposerENS1_16block_id_wrapperIjLb1EEEEE10hipError_tT1_PNSt15iterator_traitsISI_E10value_typeET2_T3_PNSJ_ISO_E10value_typeET4_T5_PST_SU_PNS1_23onesweep_lookback_stateEbbT6_jjT7_P12ihipStream_tbENKUlT_T0_SI_SN_E_clISD_SD_SD_SD_EEDaS11_S12_SI_SN_EUlS11_E_NS1_11comp_targetILNS1_3genE10ELNS1_11target_archE1201ELNS1_3gpuE5ELNS1_3repE0EEENS1_47radix_sort_onesweep_sort_config_static_selectorELNS0_4arch9wavefront6targetE1EEEvSI_.num_vgpr, 0
	.set _ZN7rocprim17ROCPRIM_400000_NS6detail17trampoline_kernelINS0_14default_configENS1_35radix_sort_onesweep_config_selectorIttEEZZNS1_29radix_sort_onesweep_iterationIS3_Lb0EN6thrust23THRUST_200600_302600_NS6detail15normal_iteratorINS8_10device_ptrItEEEESD_SD_SD_jNS0_19identity_decomposerENS1_16block_id_wrapperIjLb1EEEEE10hipError_tT1_PNSt15iterator_traitsISI_E10value_typeET2_T3_PNSJ_ISO_E10value_typeET4_T5_PST_SU_PNS1_23onesweep_lookback_stateEbbT6_jjT7_P12ihipStream_tbENKUlT_T0_SI_SN_E_clISD_SD_SD_SD_EEDaS11_S12_SI_SN_EUlS11_E_NS1_11comp_targetILNS1_3genE10ELNS1_11target_archE1201ELNS1_3gpuE5ELNS1_3repE0EEENS1_47radix_sort_onesweep_sort_config_static_selectorELNS0_4arch9wavefront6targetE1EEEvSI_.num_agpr, 0
	.set _ZN7rocprim17ROCPRIM_400000_NS6detail17trampoline_kernelINS0_14default_configENS1_35radix_sort_onesweep_config_selectorIttEEZZNS1_29radix_sort_onesweep_iterationIS3_Lb0EN6thrust23THRUST_200600_302600_NS6detail15normal_iteratorINS8_10device_ptrItEEEESD_SD_SD_jNS0_19identity_decomposerENS1_16block_id_wrapperIjLb1EEEEE10hipError_tT1_PNSt15iterator_traitsISI_E10value_typeET2_T3_PNSJ_ISO_E10value_typeET4_T5_PST_SU_PNS1_23onesweep_lookback_stateEbbT6_jjT7_P12ihipStream_tbENKUlT_T0_SI_SN_E_clISD_SD_SD_SD_EEDaS11_S12_SI_SN_EUlS11_E_NS1_11comp_targetILNS1_3genE10ELNS1_11target_archE1201ELNS1_3gpuE5ELNS1_3repE0EEENS1_47radix_sort_onesweep_sort_config_static_selectorELNS0_4arch9wavefront6targetE1EEEvSI_.numbered_sgpr, 0
	.set _ZN7rocprim17ROCPRIM_400000_NS6detail17trampoline_kernelINS0_14default_configENS1_35radix_sort_onesweep_config_selectorIttEEZZNS1_29radix_sort_onesweep_iterationIS3_Lb0EN6thrust23THRUST_200600_302600_NS6detail15normal_iteratorINS8_10device_ptrItEEEESD_SD_SD_jNS0_19identity_decomposerENS1_16block_id_wrapperIjLb1EEEEE10hipError_tT1_PNSt15iterator_traitsISI_E10value_typeET2_T3_PNSJ_ISO_E10value_typeET4_T5_PST_SU_PNS1_23onesweep_lookback_stateEbbT6_jjT7_P12ihipStream_tbENKUlT_T0_SI_SN_E_clISD_SD_SD_SD_EEDaS11_S12_SI_SN_EUlS11_E_NS1_11comp_targetILNS1_3genE10ELNS1_11target_archE1201ELNS1_3gpuE5ELNS1_3repE0EEENS1_47radix_sort_onesweep_sort_config_static_selectorELNS0_4arch9wavefront6targetE1EEEvSI_.num_named_barrier, 0
	.set _ZN7rocprim17ROCPRIM_400000_NS6detail17trampoline_kernelINS0_14default_configENS1_35radix_sort_onesweep_config_selectorIttEEZZNS1_29radix_sort_onesweep_iterationIS3_Lb0EN6thrust23THRUST_200600_302600_NS6detail15normal_iteratorINS8_10device_ptrItEEEESD_SD_SD_jNS0_19identity_decomposerENS1_16block_id_wrapperIjLb1EEEEE10hipError_tT1_PNSt15iterator_traitsISI_E10value_typeET2_T3_PNSJ_ISO_E10value_typeET4_T5_PST_SU_PNS1_23onesweep_lookback_stateEbbT6_jjT7_P12ihipStream_tbENKUlT_T0_SI_SN_E_clISD_SD_SD_SD_EEDaS11_S12_SI_SN_EUlS11_E_NS1_11comp_targetILNS1_3genE10ELNS1_11target_archE1201ELNS1_3gpuE5ELNS1_3repE0EEENS1_47radix_sort_onesweep_sort_config_static_selectorELNS0_4arch9wavefront6targetE1EEEvSI_.private_seg_size, 0
	.set _ZN7rocprim17ROCPRIM_400000_NS6detail17trampoline_kernelINS0_14default_configENS1_35radix_sort_onesweep_config_selectorIttEEZZNS1_29radix_sort_onesweep_iterationIS3_Lb0EN6thrust23THRUST_200600_302600_NS6detail15normal_iteratorINS8_10device_ptrItEEEESD_SD_SD_jNS0_19identity_decomposerENS1_16block_id_wrapperIjLb1EEEEE10hipError_tT1_PNSt15iterator_traitsISI_E10value_typeET2_T3_PNSJ_ISO_E10value_typeET4_T5_PST_SU_PNS1_23onesweep_lookback_stateEbbT6_jjT7_P12ihipStream_tbENKUlT_T0_SI_SN_E_clISD_SD_SD_SD_EEDaS11_S12_SI_SN_EUlS11_E_NS1_11comp_targetILNS1_3genE10ELNS1_11target_archE1201ELNS1_3gpuE5ELNS1_3repE0EEENS1_47radix_sort_onesweep_sort_config_static_selectorELNS0_4arch9wavefront6targetE1EEEvSI_.uses_vcc, 0
	.set _ZN7rocprim17ROCPRIM_400000_NS6detail17trampoline_kernelINS0_14default_configENS1_35radix_sort_onesweep_config_selectorIttEEZZNS1_29radix_sort_onesweep_iterationIS3_Lb0EN6thrust23THRUST_200600_302600_NS6detail15normal_iteratorINS8_10device_ptrItEEEESD_SD_SD_jNS0_19identity_decomposerENS1_16block_id_wrapperIjLb1EEEEE10hipError_tT1_PNSt15iterator_traitsISI_E10value_typeET2_T3_PNSJ_ISO_E10value_typeET4_T5_PST_SU_PNS1_23onesweep_lookback_stateEbbT6_jjT7_P12ihipStream_tbENKUlT_T0_SI_SN_E_clISD_SD_SD_SD_EEDaS11_S12_SI_SN_EUlS11_E_NS1_11comp_targetILNS1_3genE10ELNS1_11target_archE1201ELNS1_3gpuE5ELNS1_3repE0EEENS1_47radix_sort_onesweep_sort_config_static_selectorELNS0_4arch9wavefront6targetE1EEEvSI_.uses_flat_scratch, 0
	.set _ZN7rocprim17ROCPRIM_400000_NS6detail17trampoline_kernelINS0_14default_configENS1_35radix_sort_onesweep_config_selectorIttEEZZNS1_29radix_sort_onesweep_iterationIS3_Lb0EN6thrust23THRUST_200600_302600_NS6detail15normal_iteratorINS8_10device_ptrItEEEESD_SD_SD_jNS0_19identity_decomposerENS1_16block_id_wrapperIjLb1EEEEE10hipError_tT1_PNSt15iterator_traitsISI_E10value_typeET2_T3_PNSJ_ISO_E10value_typeET4_T5_PST_SU_PNS1_23onesweep_lookback_stateEbbT6_jjT7_P12ihipStream_tbENKUlT_T0_SI_SN_E_clISD_SD_SD_SD_EEDaS11_S12_SI_SN_EUlS11_E_NS1_11comp_targetILNS1_3genE10ELNS1_11target_archE1201ELNS1_3gpuE5ELNS1_3repE0EEENS1_47radix_sort_onesweep_sort_config_static_selectorELNS0_4arch9wavefront6targetE1EEEvSI_.has_dyn_sized_stack, 0
	.set _ZN7rocprim17ROCPRIM_400000_NS6detail17trampoline_kernelINS0_14default_configENS1_35radix_sort_onesweep_config_selectorIttEEZZNS1_29radix_sort_onesweep_iterationIS3_Lb0EN6thrust23THRUST_200600_302600_NS6detail15normal_iteratorINS8_10device_ptrItEEEESD_SD_SD_jNS0_19identity_decomposerENS1_16block_id_wrapperIjLb1EEEEE10hipError_tT1_PNSt15iterator_traitsISI_E10value_typeET2_T3_PNSJ_ISO_E10value_typeET4_T5_PST_SU_PNS1_23onesweep_lookback_stateEbbT6_jjT7_P12ihipStream_tbENKUlT_T0_SI_SN_E_clISD_SD_SD_SD_EEDaS11_S12_SI_SN_EUlS11_E_NS1_11comp_targetILNS1_3genE10ELNS1_11target_archE1201ELNS1_3gpuE5ELNS1_3repE0EEENS1_47radix_sort_onesweep_sort_config_static_selectorELNS0_4arch9wavefront6targetE1EEEvSI_.has_recursion, 0
	.set _ZN7rocprim17ROCPRIM_400000_NS6detail17trampoline_kernelINS0_14default_configENS1_35radix_sort_onesweep_config_selectorIttEEZZNS1_29radix_sort_onesweep_iterationIS3_Lb0EN6thrust23THRUST_200600_302600_NS6detail15normal_iteratorINS8_10device_ptrItEEEESD_SD_SD_jNS0_19identity_decomposerENS1_16block_id_wrapperIjLb1EEEEE10hipError_tT1_PNSt15iterator_traitsISI_E10value_typeET2_T3_PNSJ_ISO_E10value_typeET4_T5_PST_SU_PNS1_23onesweep_lookback_stateEbbT6_jjT7_P12ihipStream_tbENKUlT_T0_SI_SN_E_clISD_SD_SD_SD_EEDaS11_S12_SI_SN_EUlS11_E_NS1_11comp_targetILNS1_3genE10ELNS1_11target_archE1201ELNS1_3gpuE5ELNS1_3repE0EEENS1_47radix_sort_onesweep_sort_config_static_selectorELNS0_4arch9wavefront6targetE1EEEvSI_.has_indirect_call, 0
	.section	.AMDGPU.csdata,"",@progbits
; Kernel info:
; codeLenInByte = 0
; TotalNumSgprs: 6
; NumVgprs: 0
; NumAgprs: 0
; TotalNumVgprs: 0
; ScratchSize: 0
; MemoryBound: 0
; FloatMode: 240
; IeeeMode: 1
; LDSByteSize: 0 bytes/workgroup (compile time only)
; SGPRBlocks: 0
; VGPRBlocks: 0
; NumSGPRsForWavesPerEU: 6
; NumVGPRsForWavesPerEU: 1
; AccumOffset: 4
; Occupancy: 8
; WaveLimiterHint : 0
; COMPUTE_PGM_RSRC2:SCRATCH_EN: 0
; COMPUTE_PGM_RSRC2:USER_SGPR: 2
; COMPUTE_PGM_RSRC2:TRAP_HANDLER: 0
; COMPUTE_PGM_RSRC2:TGID_X_EN: 1
; COMPUTE_PGM_RSRC2:TGID_Y_EN: 0
; COMPUTE_PGM_RSRC2:TGID_Z_EN: 0
; COMPUTE_PGM_RSRC2:TIDIG_COMP_CNT: 0
; COMPUTE_PGM_RSRC3_GFX90A:ACCUM_OFFSET: 0
; COMPUTE_PGM_RSRC3_GFX90A:TG_SPLIT: 0
	.section	.text._ZN7rocprim17ROCPRIM_400000_NS6detail17trampoline_kernelINS0_14default_configENS1_35radix_sort_onesweep_config_selectorIttEEZZNS1_29radix_sort_onesweep_iterationIS3_Lb0EN6thrust23THRUST_200600_302600_NS6detail15normal_iteratorINS8_10device_ptrItEEEESD_SD_SD_jNS0_19identity_decomposerENS1_16block_id_wrapperIjLb1EEEEE10hipError_tT1_PNSt15iterator_traitsISI_E10value_typeET2_T3_PNSJ_ISO_E10value_typeET4_T5_PST_SU_PNS1_23onesweep_lookback_stateEbbT6_jjT7_P12ihipStream_tbENKUlT_T0_SI_SN_E_clISD_SD_SD_SD_EEDaS11_S12_SI_SN_EUlS11_E_NS1_11comp_targetILNS1_3genE9ELNS1_11target_archE1100ELNS1_3gpuE3ELNS1_3repE0EEENS1_47radix_sort_onesweep_sort_config_static_selectorELNS0_4arch9wavefront6targetE1EEEvSI_,"axG",@progbits,_ZN7rocprim17ROCPRIM_400000_NS6detail17trampoline_kernelINS0_14default_configENS1_35radix_sort_onesweep_config_selectorIttEEZZNS1_29radix_sort_onesweep_iterationIS3_Lb0EN6thrust23THRUST_200600_302600_NS6detail15normal_iteratorINS8_10device_ptrItEEEESD_SD_SD_jNS0_19identity_decomposerENS1_16block_id_wrapperIjLb1EEEEE10hipError_tT1_PNSt15iterator_traitsISI_E10value_typeET2_T3_PNSJ_ISO_E10value_typeET4_T5_PST_SU_PNS1_23onesweep_lookback_stateEbbT6_jjT7_P12ihipStream_tbENKUlT_T0_SI_SN_E_clISD_SD_SD_SD_EEDaS11_S12_SI_SN_EUlS11_E_NS1_11comp_targetILNS1_3genE9ELNS1_11target_archE1100ELNS1_3gpuE3ELNS1_3repE0EEENS1_47radix_sort_onesweep_sort_config_static_selectorELNS0_4arch9wavefront6targetE1EEEvSI_,comdat
	.protected	_ZN7rocprim17ROCPRIM_400000_NS6detail17trampoline_kernelINS0_14default_configENS1_35radix_sort_onesweep_config_selectorIttEEZZNS1_29radix_sort_onesweep_iterationIS3_Lb0EN6thrust23THRUST_200600_302600_NS6detail15normal_iteratorINS8_10device_ptrItEEEESD_SD_SD_jNS0_19identity_decomposerENS1_16block_id_wrapperIjLb1EEEEE10hipError_tT1_PNSt15iterator_traitsISI_E10value_typeET2_T3_PNSJ_ISO_E10value_typeET4_T5_PST_SU_PNS1_23onesweep_lookback_stateEbbT6_jjT7_P12ihipStream_tbENKUlT_T0_SI_SN_E_clISD_SD_SD_SD_EEDaS11_S12_SI_SN_EUlS11_E_NS1_11comp_targetILNS1_3genE9ELNS1_11target_archE1100ELNS1_3gpuE3ELNS1_3repE0EEENS1_47radix_sort_onesweep_sort_config_static_selectorELNS0_4arch9wavefront6targetE1EEEvSI_ ; -- Begin function _ZN7rocprim17ROCPRIM_400000_NS6detail17trampoline_kernelINS0_14default_configENS1_35radix_sort_onesweep_config_selectorIttEEZZNS1_29radix_sort_onesweep_iterationIS3_Lb0EN6thrust23THRUST_200600_302600_NS6detail15normal_iteratorINS8_10device_ptrItEEEESD_SD_SD_jNS0_19identity_decomposerENS1_16block_id_wrapperIjLb1EEEEE10hipError_tT1_PNSt15iterator_traitsISI_E10value_typeET2_T3_PNSJ_ISO_E10value_typeET4_T5_PST_SU_PNS1_23onesweep_lookback_stateEbbT6_jjT7_P12ihipStream_tbENKUlT_T0_SI_SN_E_clISD_SD_SD_SD_EEDaS11_S12_SI_SN_EUlS11_E_NS1_11comp_targetILNS1_3genE9ELNS1_11target_archE1100ELNS1_3gpuE3ELNS1_3repE0EEENS1_47radix_sort_onesweep_sort_config_static_selectorELNS0_4arch9wavefront6targetE1EEEvSI_
	.globl	_ZN7rocprim17ROCPRIM_400000_NS6detail17trampoline_kernelINS0_14default_configENS1_35radix_sort_onesweep_config_selectorIttEEZZNS1_29radix_sort_onesweep_iterationIS3_Lb0EN6thrust23THRUST_200600_302600_NS6detail15normal_iteratorINS8_10device_ptrItEEEESD_SD_SD_jNS0_19identity_decomposerENS1_16block_id_wrapperIjLb1EEEEE10hipError_tT1_PNSt15iterator_traitsISI_E10value_typeET2_T3_PNSJ_ISO_E10value_typeET4_T5_PST_SU_PNS1_23onesweep_lookback_stateEbbT6_jjT7_P12ihipStream_tbENKUlT_T0_SI_SN_E_clISD_SD_SD_SD_EEDaS11_S12_SI_SN_EUlS11_E_NS1_11comp_targetILNS1_3genE9ELNS1_11target_archE1100ELNS1_3gpuE3ELNS1_3repE0EEENS1_47radix_sort_onesweep_sort_config_static_selectorELNS0_4arch9wavefront6targetE1EEEvSI_
	.p2align	8
	.type	_ZN7rocprim17ROCPRIM_400000_NS6detail17trampoline_kernelINS0_14default_configENS1_35radix_sort_onesweep_config_selectorIttEEZZNS1_29radix_sort_onesweep_iterationIS3_Lb0EN6thrust23THRUST_200600_302600_NS6detail15normal_iteratorINS8_10device_ptrItEEEESD_SD_SD_jNS0_19identity_decomposerENS1_16block_id_wrapperIjLb1EEEEE10hipError_tT1_PNSt15iterator_traitsISI_E10value_typeET2_T3_PNSJ_ISO_E10value_typeET4_T5_PST_SU_PNS1_23onesweep_lookback_stateEbbT6_jjT7_P12ihipStream_tbENKUlT_T0_SI_SN_E_clISD_SD_SD_SD_EEDaS11_S12_SI_SN_EUlS11_E_NS1_11comp_targetILNS1_3genE9ELNS1_11target_archE1100ELNS1_3gpuE3ELNS1_3repE0EEENS1_47radix_sort_onesweep_sort_config_static_selectorELNS0_4arch9wavefront6targetE1EEEvSI_,@function
_ZN7rocprim17ROCPRIM_400000_NS6detail17trampoline_kernelINS0_14default_configENS1_35radix_sort_onesweep_config_selectorIttEEZZNS1_29radix_sort_onesweep_iterationIS3_Lb0EN6thrust23THRUST_200600_302600_NS6detail15normal_iteratorINS8_10device_ptrItEEEESD_SD_SD_jNS0_19identity_decomposerENS1_16block_id_wrapperIjLb1EEEEE10hipError_tT1_PNSt15iterator_traitsISI_E10value_typeET2_T3_PNSJ_ISO_E10value_typeET4_T5_PST_SU_PNS1_23onesweep_lookback_stateEbbT6_jjT7_P12ihipStream_tbENKUlT_T0_SI_SN_E_clISD_SD_SD_SD_EEDaS11_S12_SI_SN_EUlS11_E_NS1_11comp_targetILNS1_3genE9ELNS1_11target_archE1100ELNS1_3gpuE3ELNS1_3repE0EEENS1_47radix_sort_onesweep_sort_config_static_selectorELNS0_4arch9wavefront6targetE1EEEvSI_: ; @_ZN7rocprim17ROCPRIM_400000_NS6detail17trampoline_kernelINS0_14default_configENS1_35radix_sort_onesweep_config_selectorIttEEZZNS1_29radix_sort_onesweep_iterationIS3_Lb0EN6thrust23THRUST_200600_302600_NS6detail15normal_iteratorINS8_10device_ptrItEEEESD_SD_SD_jNS0_19identity_decomposerENS1_16block_id_wrapperIjLb1EEEEE10hipError_tT1_PNSt15iterator_traitsISI_E10value_typeET2_T3_PNSJ_ISO_E10value_typeET4_T5_PST_SU_PNS1_23onesweep_lookback_stateEbbT6_jjT7_P12ihipStream_tbENKUlT_T0_SI_SN_E_clISD_SD_SD_SD_EEDaS11_S12_SI_SN_EUlS11_E_NS1_11comp_targetILNS1_3genE9ELNS1_11target_archE1100ELNS1_3gpuE3ELNS1_3repE0EEENS1_47radix_sort_onesweep_sort_config_static_selectorELNS0_4arch9wavefront6targetE1EEEvSI_
; %bb.0:
	.section	.rodata,"a",@progbits
	.p2align	6, 0x0
	.amdhsa_kernel _ZN7rocprim17ROCPRIM_400000_NS6detail17trampoline_kernelINS0_14default_configENS1_35radix_sort_onesweep_config_selectorIttEEZZNS1_29radix_sort_onesweep_iterationIS3_Lb0EN6thrust23THRUST_200600_302600_NS6detail15normal_iteratorINS8_10device_ptrItEEEESD_SD_SD_jNS0_19identity_decomposerENS1_16block_id_wrapperIjLb1EEEEE10hipError_tT1_PNSt15iterator_traitsISI_E10value_typeET2_T3_PNSJ_ISO_E10value_typeET4_T5_PST_SU_PNS1_23onesweep_lookback_stateEbbT6_jjT7_P12ihipStream_tbENKUlT_T0_SI_SN_E_clISD_SD_SD_SD_EEDaS11_S12_SI_SN_EUlS11_E_NS1_11comp_targetILNS1_3genE9ELNS1_11target_archE1100ELNS1_3gpuE3ELNS1_3repE0EEENS1_47radix_sort_onesweep_sort_config_static_selectorELNS0_4arch9wavefront6targetE1EEEvSI_
		.amdhsa_group_segment_fixed_size 0
		.amdhsa_private_segment_fixed_size 0
		.amdhsa_kernarg_size 88
		.amdhsa_user_sgpr_count 2
		.amdhsa_user_sgpr_dispatch_ptr 0
		.amdhsa_user_sgpr_queue_ptr 0
		.amdhsa_user_sgpr_kernarg_segment_ptr 1
		.amdhsa_user_sgpr_dispatch_id 0
		.amdhsa_user_sgpr_kernarg_preload_length 0
		.amdhsa_user_sgpr_kernarg_preload_offset 0
		.amdhsa_user_sgpr_private_segment_size 0
		.amdhsa_uses_dynamic_stack 0
		.amdhsa_enable_private_segment 0
		.amdhsa_system_sgpr_workgroup_id_x 1
		.amdhsa_system_sgpr_workgroup_id_y 0
		.amdhsa_system_sgpr_workgroup_id_z 0
		.amdhsa_system_sgpr_workgroup_info 0
		.amdhsa_system_vgpr_workitem_id 0
		.amdhsa_next_free_vgpr 1
		.amdhsa_next_free_sgpr 0
		.amdhsa_accum_offset 4
		.amdhsa_reserve_vcc 0
		.amdhsa_float_round_mode_32 0
		.amdhsa_float_round_mode_16_64 0
		.amdhsa_float_denorm_mode_32 3
		.amdhsa_float_denorm_mode_16_64 3
		.amdhsa_dx10_clamp 1
		.amdhsa_ieee_mode 1
		.amdhsa_fp16_overflow 0
		.amdhsa_tg_split 0
		.amdhsa_exception_fp_ieee_invalid_op 0
		.amdhsa_exception_fp_denorm_src 0
		.amdhsa_exception_fp_ieee_div_zero 0
		.amdhsa_exception_fp_ieee_overflow 0
		.amdhsa_exception_fp_ieee_underflow 0
		.amdhsa_exception_fp_ieee_inexact 0
		.amdhsa_exception_int_div_zero 0
	.end_amdhsa_kernel
	.section	.text._ZN7rocprim17ROCPRIM_400000_NS6detail17trampoline_kernelINS0_14default_configENS1_35radix_sort_onesweep_config_selectorIttEEZZNS1_29radix_sort_onesweep_iterationIS3_Lb0EN6thrust23THRUST_200600_302600_NS6detail15normal_iteratorINS8_10device_ptrItEEEESD_SD_SD_jNS0_19identity_decomposerENS1_16block_id_wrapperIjLb1EEEEE10hipError_tT1_PNSt15iterator_traitsISI_E10value_typeET2_T3_PNSJ_ISO_E10value_typeET4_T5_PST_SU_PNS1_23onesweep_lookback_stateEbbT6_jjT7_P12ihipStream_tbENKUlT_T0_SI_SN_E_clISD_SD_SD_SD_EEDaS11_S12_SI_SN_EUlS11_E_NS1_11comp_targetILNS1_3genE9ELNS1_11target_archE1100ELNS1_3gpuE3ELNS1_3repE0EEENS1_47radix_sort_onesweep_sort_config_static_selectorELNS0_4arch9wavefront6targetE1EEEvSI_,"axG",@progbits,_ZN7rocprim17ROCPRIM_400000_NS6detail17trampoline_kernelINS0_14default_configENS1_35radix_sort_onesweep_config_selectorIttEEZZNS1_29radix_sort_onesweep_iterationIS3_Lb0EN6thrust23THRUST_200600_302600_NS6detail15normal_iteratorINS8_10device_ptrItEEEESD_SD_SD_jNS0_19identity_decomposerENS1_16block_id_wrapperIjLb1EEEEE10hipError_tT1_PNSt15iterator_traitsISI_E10value_typeET2_T3_PNSJ_ISO_E10value_typeET4_T5_PST_SU_PNS1_23onesweep_lookback_stateEbbT6_jjT7_P12ihipStream_tbENKUlT_T0_SI_SN_E_clISD_SD_SD_SD_EEDaS11_S12_SI_SN_EUlS11_E_NS1_11comp_targetILNS1_3genE9ELNS1_11target_archE1100ELNS1_3gpuE3ELNS1_3repE0EEENS1_47radix_sort_onesweep_sort_config_static_selectorELNS0_4arch9wavefront6targetE1EEEvSI_,comdat
.Lfunc_end981:
	.size	_ZN7rocprim17ROCPRIM_400000_NS6detail17trampoline_kernelINS0_14default_configENS1_35radix_sort_onesweep_config_selectorIttEEZZNS1_29radix_sort_onesweep_iterationIS3_Lb0EN6thrust23THRUST_200600_302600_NS6detail15normal_iteratorINS8_10device_ptrItEEEESD_SD_SD_jNS0_19identity_decomposerENS1_16block_id_wrapperIjLb1EEEEE10hipError_tT1_PNSt15iterator_traitsISI_E10value_typeET2_T3_PNSJ_ISO_E10value_typeET4_T5_PST_SU_PNS1_23onesweep_lookback_stateEbbT6_jjT7_P12ihipStream_tbENKUlT_T0_SI_SN_E_clISD_SD_SD_SD_EEDaS11_S12_SI_SN_EUlS11_E_NS1_11comp_targetILNS1_3genE9ELNS1_11target_archE1100ELNS1_3gpuE3ELNS1_3repE0EEENS1_47radix_sort_onesweep_sort_config_static_selectorELNS0_4arch9wavefront6targetE1EEEvSI_, .Lfunc_end981-_ZN7rocprim17ROCPRIM_400000_NS6detail17trampoline_kernelINS0_14default_configENS1_35radix_sort_onesweep_config_selectorIttEEZZNS1_29radix_sort_onesweep_iterationIS3_Lb0EN6thrust23THRUST_200600_302600_NS6detail15normal_iteratorINS8_10device_ptrItEEEESD_SD_SD_jNS0_19identity_decomposerENS1_16block_id_wrapperIjLb1EEEEE10hipError_tT1_PNSt15iterator_traitsISI_E10value_typeET2_T3_PNSJ_ISO_E10value_typeET4_T5_PST_SU_PNS1_23onesweep_lookback_stateEbbT6_jjT7_P12ihipStream_tbENKUlT_T0_SI_SN_E_clISD_SD_SD_SD_EEDaS11_S12_SI_SN_EUlS11_E_NS1_11comp_targetILNS1_3genE9ELNS1_11target_archE1100ELNS1_3gpuE3ELNS1_3repE0EEENS1_47radix_sort_onesweep_sort_config_static_selectorELNS0_4arch9wavefront6targetE1EEEvSI_
                                        ; -- End function
	.set _ZN7rocprim17ROCPRIM_400000_NS6detail17trampoline_kernelINS0_14default_configENS1_35radix_sort_onesweep_config_selectorIttEEZZNS1_29radix_sort_onesweep_iterationIS3_Lb0EN6thrust23THRUST_200600_302600_NS6detail15normal_iteratorINS8_10device_ptrItEEEESD_SD_SD_jNS0_19identity_decomposerENS1_16block_id_wrapperIjLb1EEEEE10hipError_tT1_PNSt15iterator_traitsISI_E10value_typeET2_T3_PNSJ_ISO_E10value_typeET4_T5_PST_SU_PNS1_23onesweep_lookback_stateEbbT6_jjT7_P12ihipStream_tbENKUlT_T0_SI_SN_E_clISD_SD_SD_SD_EEDaS11_S12_SI_SN_EUlS11_E_NS1_11comp_targetILNS1_3genE9ELNS1_11target_archE1100ELNS1_3gpuE3ELNS1_3repE0EEENS1_47radix_sort_onesweep_sort_config_static_selectorELNS0_4arch9wavefront6targetE1EEEvSI_.num_vgpr, 0
	.set _ZN7rocprim17ROCPRIM_400000_NS6detail17trampoline_kernelINS0_14default_configENS1_35radix_sort_onesweep_config_selectorIttEEZZNS1_29radix_sort_onesweep_iterationIS3_Lb0EN6thrust23THRUST_200600_302600_NS6detail15normal_iteratorINS8_10device_ptrItEEEESD_SD_SD_jNS0_19identity_decomposerENS1_16block_id_wrapperIjLb1EEEEE10hipError_tT1_PNSt15iterator_traitsISI_E10value_typeET2_T3_PNSJ_ISO_E10value_typeET4_T5_PST_SU_PNS1_23onesweep_lookback_stateEbbT6_jjT7_P12ihipStream_tbENKUlT_T0_SI_SN_E_clISD_SD_SD_SD_EEDaS11_S12_SI_SN_EUlS11_E_NS1_11comp_targetILNS1_3genE9ELNS1_11target_archE1100ELNS1_3gpuE3ELNS1_3repE0EEENS1_47radix_sort_onesweep_sort_config_static_selectorELNS0_4arch9wavefront6targetE1EEEvSI_.num_agpr, 0
	.set _ZN7rocprim17ROCPRIM_400000_NS6detail17trampoline_kernelINS0_14default_configENS1_35radix_sort_onesweep_config_selectorIttEEZZNS1_29radix_sort_onesweep_iterationIS3_Lb0EN6thrust23THRUST_200600_302600_NS6detail15normal_iteratorINS8_10device_ptrItEEEESD_SD_SD_jNS0_19identity_decomposerENS1_16block_id_wrapperIjLb1EEEEE10hipError_tT1_PNSt15iterator_traitsISI_E10value_typeET2_T3_PNSJ_ISO_E10value_typeET4_T5_PST_SU_PNS1_23onesweep_lookback_stateEbbT6_jjT7_P12ihipStream_tbENKUlT_T0_SI_SN_E_clISD_SD_SD_SD_EEDaS11_S12_SI_SN_EUlS11_E_NS1_11comp_targetILNS1_3genE9ELNS1_11target_archE1100ELNS1_3gpuE3ELNS1_3repE0EEENS1_47radix_sort_onesweep_sort_config_static_selectorELNS0_4arch9wavefront6targetE1EEEvSI_.numbered_sgpr, 0
	.set _ZN7rocprim17ROCPRIM_400000_NS6detail17trampoline_kernelINS0_14default_configENS1_35radix_sort_onesweep_config_selectorIttEEZZNS1_29radix_sort_onesweep_iterationIS3_Lb0EN6thrust23THRUST_200600_302600_NS6detail15normal_iteratorINS8_10device_ptrItEEEESD_SD_SD_jNS0_19identity_decomposerENS1_16block_id_wrapperIjLb1EEEEE10hipError_tT1_PNSt15iterator_traitsISI_E10value_typeET2_T3_PNSJ_ISO_E10value_typeET4_T5_PST_SU_PNS1_23onesweep_lookback_stateEbbT6_jjT7_P12ihipStream_tbENKUlT_T0_SI_SN_E_clISD_SD_SD_SD_EEDaS11_S12_SI_SN_EUlS11_E_NS1_11comp_targetILNS1_3genE9ELNS1_11target_archE1100ELNS1_3gpuE3ELNS1_3repE0EEENS1_47radix_sort_onesweep_sort_config_static_selectorELNS0_4arch9wavefront6targetE1EEEvSI_.num_named_barrier, 0
	.set _ZN7rocprim17ROCPRIM_400000_NS6detail17trampoline_kernelINS0_14default_configENS1_35radix_sort_onesweep_config_selectorIttEEZZNS1_29radix_sort_onesweep_iterationIS3_Lb0EN6thrust23THRUST_200600_302600_NS6detail15normal_iteratorINS8_10device_ptrItEEEESD_SD_SD_jNS0_19identity_decomposerENS1_16block_id_wrapperIjLb1EEEEE10hipError_tT1_PNSt15iterator_traitsISI_E10value_typeET2_T3_PNSJ_ISO_E10value_typeET4_T5_PST_SU_PNS1_23onesweep_lookback_stateEbbT6_jjT7_P12ihipStream_tbENKUlT_T0_SI_SN_E_clISD_SD_SD_SD_EEDaS11_S12_SI_SN_EUlS11_E_NS1_11comp_targetILNS1_3genE9ELNS1_11target_archE1100ELNS1_3gpuE3ELNS1_3repE0EEENS1_47radix_sort_onesweep_sort_config_static_selectorELNS0_4arch9wavefront6targetE1EEEvSI_.private_seg_size, 0
	.set _ZN7rocprim17ROCPRIM_400000_NS6detail17trampoline_kernelINS0_14default_configENS1_35radix_sort_onesweep_config_selectorIttEEZZNS1_29radix_sort_onesweep_iterationIS3_Lb0EN6thrust23THRUST_200600_302600_NS6detail15normal_iteratorINS8_10device_ptrItEEEESD_SD_SD_jNS0_19identity_decomposerENS1_16block_id_wrapperIjLb1EEEEE10hipError_tT1_PNSt15iterator_traitsISI_E10value_typeET2_T3_PNSJ_ISO_E10value_typeET4_T5_PST_SU_PNS1_23onesweep_lookback_stateEbbT6_jjT7_P12ihipStream_tbENKUlT_T0_SI_SN_E_clISD_SD_SD_SD_EEDaS11_S12_SI_SN_EUlS11_E_NS1_11comp_targetILNS1_3genE9ELNS1_11target_archE1100ELNS1_3gpuE3ELNS1_3repE0EEENS1_47radix_sort_onesweep_sort_config_static_selectorELNS0_4arch9wavefront6targetE1EEEvSI_.uses_vcc, 0
	.set _ZN7rocprim17ROCPRIM_400000_NS6detail17trampoline_kernelINS0_14default_configENS1_35radix_sort_onesweep_config_selectorIttEEZZNS1_29radix_sort_onesweep_iterationIS3_Lb0EN6thrust23THRUST_200600_302600_NS6detail15normal_iteratorINS8_10device_ptrItEEEESD_SD_SD_jNS0_19identity_decomposerENS1_16block_id_wrapperIjLb1EEEEE10hipError_tT1_PNSt15iterator_traitsISI_E10value_typeET2_T3_PNSJ_ISO_E10value_typeET4_T5_PST_SU_PNS1_23onesweep_lookback_stateEbbT6_jjT7_P12ihipStream_tbENKUlT_T0_SI_SN_E_clISD_SD_SD_SD_EEDaS11_S12_SI_SN_EUlS11_E_NS1_11comp_targetILNS1_3genE9ELNS1_11target_archE1100ELNS1_3gpuE3ELNS1_3repE0EEENS1_47radix_sort_onesweep_sort_config_static_selectorELNS0_4arch9wavefront6targetE1EEEvSI_.uses_flat_scratch, 0
	.set _ZN7rocprim17ROCPRIM_400000_NS6detail17trampoline_kernelINS0_14default_configENS1_35radix_sort_onesweep_config_selectorIttEEZZNS1_29radix_sort_onesweep_iterationIS3_Lb0EN6thrust23THRUST_200600_302600_NS6detail15normal_iteratorINS8_10device_ptrItEEEESD_SD_SD_jNS0_19identity_decomposerENS1_16block_id_wrapperIjLb1EEEEE10hipError_tT1_PNSt15iterator_traitsISI_E10value_typeET2_T3_PNSJ_ISO_E10value_typeET4_T5_PST_SU_PNS1_23onesweep_lookback_stateEbbT6_jjT7_P12ihipStream_tbENKUlT_T0_SI_SN_E_clISD_SD_SD_SD_EEDaS11_S12_SI_SN_EUlS11_E_NS1_11comp_targetILNS1_3genE9ELNS1_11target_archE1100ELNS1_3gpuE3ELNS1_3repE0EEENS1_47radix_sort_onesweep_sort_config_static_selectorELNS0_4arch9wavefront6targetE1EEEvSI_.has_dyn_sized_stack, 0
	.set _ZN7rocprim17ROCPRIM_400000_NS6detail17trampoline_kernelINS0_14default_configENS1_35radix_sort_onesweep_config_selectorIttEEZZNS1_29radix_sort_onesweep_iterationIS3_Lb0EN6thrust23THRUST_200600_302600_NS6detail15normal_iteratorINS8_10device_ptrItEEEESD_SD_SD_jNS0_19identity_decomposerENS1_16block_id_wrapperIjLb1EEEEE10hipError_tT1_PNSt15iterator_traitsISI_E10value_typeET2_T3_PNSJ_ISO_E10value_typeET4_T5_PST_SU_PNS1_23onesweep_lookback_stateEbbT6_jjT7_P12ihipStream_tbENKUlT_T0_SI_SN_E_clISD_SD_SD_SD_EEDaS11_S12_SI_SN_EUlS11_E_NS1_11comp_targetILNS1_3genE9ELNS1_11target_archE1100ELNS1_3gpuE3ELNS1_3repE0EEENS1_47radix_sort_onesweep_sort_config_static_selectorELNS0_4arch9wavefront6targetE1EEEvSI_.has_recursion, 0
	.set _ZN7rocprim17ROCPRIM_400000_NS6detail17trampoline_kernelINS0_14default_configENS1_35radix_sort_onesweep_config_selectorIttEEZZNS1_29radix_sort_onesweep_iterationIS3_Lb0EN6thrust23THRUST_200600_302600_NS6detail15normal_iteratorINS8_10device_ptrItEEEESD_SD_SD_jNS0_19identity_decomposerENS1_16block_id_wrapperIjLb1EEEEE10hipError_tT1_PNSt15iterator_traitsISI_E10value_typeET2_T3_PNSJ_ISO_E10value_typeET4_T5_PST_SU_PNS1_23onesweep_lookback_stateEbbT6_jjT7_P12ihipStream_tbENKUlT_T0_SI_SN_E_clISD_SD_SD_SD_EEDaS11_S12_SI_SN_EUlS11_E_NS1_11comp_targetILNS1_3genE9ELNS1_11target_archE1100ELNS1_3gpuE3ELNS1_3repE0EEENS1_47radix_sort_onesweep_sort_config_static_selectorELNS0_4arch9wavefront6targetE1EEEvSI_.has_indirect_call, 0
	.section	.AMDGPU.csdata,"",@progbits
; Kernel info:
; codeLenInByte = 0
; TotalNumSgprs: 6
; NumVgprs: 0
; NumAgprs: 0
; TotalNumVgprs: 0
; ScratchSize: 0
; MemoryBound: 0
; FloatMode: 240
; IeeeMode: 1
; LDSByteSize: 0 bytes/workgroup (compile time only)
; SGPRBlocks: 0
; VGPRBlocks: 0
; NumSGPRsForWavesPerEU: 6
; NumVGPRsForWavesPerEU: 1
; AccumOffset: 4
; Occupancy: 8
; WaveLimiterHint : 0
; COMPUTE_PGM_RSRC2:SCRATCH_EN: 0
; COMPUTE_PGM_RSRC2:USER_SGPR: 2
; COMPUTE_PGM_RSRC2:TRAP_HANDLER: 0
; COMPUTE_PGM_RSRC2:TGID_X_EN: 1
; COMPUTE_PGM_RSRC2:TGID_Y_EN: 0
; COMPUTE_PGM_RSRC2:TGID_Z_EN: 0
; COMPUTE_PGM_RSRC2:TIDIG_COMP_CNT: 0
; COMPUTE_PGM_RSRC3_GFX90A:ACCUM_OFFSET: 0
; COMPUTE_PGM_RSRC3_GFX90A:TG_SPLIT: 0
	.section	.text._ZN7rocprim17ROCPRIM_400000_NS6detail17trampoline_kernelINS0_14default_configENS1_35radix_sort_onesweep_config_selectorIttEEZZNS1_29radix_sort_onesweep_iterationIS3_Lb0EN6thrust23THRUST_200600_302600_NS6detail15normal_iteratorINS8_10device_ptrItEEEESD_SD_SD_jNS0_19identity_decomposerENS1_16block_id_wrapperIjLb1EEEEE10hipError_tT1_PNSt15iterator_traitsISI_E10value_typeET2_T3_PNSJ_ISO_E10value_typeET4_T5_PST_SU_PNS1_23onesweep_lookback_stateEbbT6_jjT7_P12ihipStream_tbENKUlT_T0_SI_SN_E_clISD_SD_SD_SD_EEDaS11_S12_SI_SN_EUlS11_E_NS1_11comp_targetILNS1_3genE8ELNS1_11target_archE1030ELNS1_3gpuE2ELNS1_3repE0EEENS1_47radix_sort_onesweep_sort_config_static_selectorELNS0_4arch9wavefront6targetE1EEEvSI_,"axG",@progbits,_ZN7rocprim17ROCPRIM_400000_NS6detail17trampoline_kernelINS0_14default_configENS1_35radix_sort_onesweep_config_selectorIttEEZZNS1_29radix_sort_onesweep_iterationIS3_Lb0EN6thrust23THRUST_200600_302600_NS6detail15normal_iteratorINS8_10device_ptrItEEEESD_SD_SD_jNS0_19identity_decomposerENS1_16block_id_wrapperIjLb1EEEEE10hipError_tT1_PNSt15iterator_traitsISI_E10value_typeET2_T3_PNSJ_ISO_E10value_typeET4_T5_PST_SU_PNS1_23onesweep_lookback_stateEbbT6_jjT7_P12ihipStream_tbENKUlT_T0_SI_SN_E_clISD_SD_SD_SD_EEDaS11_S12_SI_SN_EUlS11_E_NS1_11comp_targetILNS1_3genE8ELNS1_11target_archE1030ELNS1_3gpuE2ELNS1_3repE0EEENS1_47radix_sort_onesweep_sort_config_static_selectorELNS0_4arch9wavefront6targetE1EEEvSI_,comdat
	.protected	_ZN7rocprim17ROCPRIM_400000_NS6detail17trampoline_kernelINS0_14default_configENS1_35radix_sort_onesweep_config_selectorIttEEZZNS1_29radix_sort_onesweep_iterationIS3_Lb0EN6thrust23THRUST_200600_302600_NS6detail15normal_iteratorINS8_10device_ptrItEEEESD_SD_SD_jNS0_19identity_decomposerENS1_16block_id_wrapperIjLb1EEEEE10hipError_tT1_PNSt15iterator_traitsISI_E10value_typeET2_T3_PNSJ_ISO_E10value_typeET4_T5_PST_SU_PNS1_23onesweep_lookback_stateEbbT6_jjT7_P12ihipStream_tbENKUlT_T0_SI_SN_E_clISD_SD_SD_SD_EEDaS11_S12_SI_SN_EUlS11_E_NS1_11comp_targetILNS1_3genE8ELNS1_11target_archE1030ELNS1_3gpuE2ELNS1_3repE0EEENS1_47radix_sort_onesweep_sort_config_static_selectorELNS0_4arch9wavefront6targetE1EEEvSI_ ; -- Begin function _ZN7rocprim17ROCPRIM_400000_NS6detail17trampoline_kernelINS0_14default_configENS1_35radix_sort_onesweep_config_selectorIttEEZZNS1_29radix_sort_onesweep_iterationIS3_Lb0EN6thrust23THRUST_200600_302600_NS6detail15normal_iteratorINS8_10device_ptrItEEEESD_SD_SD_jNS0_19identity_decomposerENS1_16block_id_wrapperIjLb1EEEEE10hipError_tT1_PNSt15iterator_traitsISI_E10value_typeET2_T3_PNSJ_ISO_E10value_typeET4_T5_PST_SU_PNS1_23onesweep_lookback_stateEbbT6_jjT7_P12ihipStream_tbENKUlT_T0_SI_SN_E_clISD_SD_SD_SD_EEDaS11_S12_SI_SN_EUlS11_E_NS1_11comp_targetILNS1_3genE8ELNS1_11target_archE1030ELNS1_3gpuE2ELNS1_3repE0EEENS1_47radix_sort_onesweep_sort_config_static_selectorELNS0_4arch9wavefront6targetE1EEEvSI_
	.globl	_ZN7rocprim17ROCPRIM_400000_NS6detail17trampoline_kernelINS0_14default_configENS1_35radix_sort_onesweep_config_selectorIttEEZZNS1_29radix_sort_onesweep_iterationIS3_Lb0EN6thrust23THRUST_200600_302600_NS6detail15normal_iteratorINS8_10device_ptrItEEEESD_SD_SD_jNS0_19identity_decomposerENS1_16block_id_wrapperIjLb1EEEEE10hipError_tT1_PNSt15iterator_traitsISI_E10value_typeET2_T3_PNSJ_ISO_E10value_typeET4_T5_PST_SU_PNS1_23onesweep_lookback_stateEbbT6_jjT7_P12ihipStream_tbENKUlT_T0_SI_SN_E_clISD_SD_SD_SD_EEDaS11_S12_SI_SN_EUlS11_E_NS1_11comp_targetILNS1_3genE8ELNS1_11target_archE1030ELNS1_3gpuE2ELNS1_3repE0EEENS1_47radix_sort_onesweep_sort_config_static_selectorELNS0_4arch9wavefront6targetE1EEEvSI_
	.p2align	8
	.type	_ZN7rocprim17ROCPRIM_400000_NS6detail17trampoline_kernelINS0_14default_configENS1_35radix_sort_onesweep_config_selectorIttEEZZNS1_29radix_sort_onesweep_iterationIS3_Lb0EN6thrust23THRUST_200600_302600_NS6detail15normal_iteratorINS8_10device_ptrItEEEESD_SD_SD_jNS0_19identity_decomposerENS1_16block_id_wrapperIjLb1EEEEE10hipError_tT1_PNSt15iterator_traitsISI_E10value_typeET2_T3_PNSJ_ISO_E10value_typeET4_T5_PST_SU_PNS1_23onesweep_lookback_stateEbbT6_jjT7_P12ihipStream_tbENKUlT_T0_SI_SN_E_clISD_SD_SD_SD_EEDaS11_S12_SI_SN_EUlS11_E_NS1_11comp_targetILNS1_3genE8ELNS1_11target_archE1030ELNS1_3gpuE2ELNS1_3repE0EEENS1_47radix_sort_onesweep_sort_config_static_selectorELNS0_4arch9wavefront6targetE1EEEvSI_,@function
_ZN7rocprim17ROCPRIM_400000_NS6detail17trampoline_kernelINS0_14default_configENS1_35radix_sort_onesweep_config_selectorIttEEZZNS1_29radix_sort_onesweep_iterationIS3_Lb0EN6thrust23THRUST_200600_302600_NS6detail15normal_iteratorINS8_10device_ptrItEEEESD_SD_SD_jNS0_19identity_decomposerENS1_16block_id_wrapperIjLb1EEEEE10hipError_tT1_PNSt15iterator_traitsISI_E10value_typeET2_T3_PNSJ_ISO_E10value_typeET4_T5_PST_SU_PNS1_23onesweep_lookback_stateEbbT6_jjT7_P12ihipStream_tbENKUlT_T0_SI_SN_E_clISD_SD_SD_SD_EEDaS11_S12_SI_SN_EUlS11_E_NS1_11comp_targetILNS1_3genE8ELNS1_11target_archE1030ELNS1_3gpuE2ELNS1_3repE0EEENS1_47radix_sort_onesweep_sort_config_static_selectorELNS0_4arch9wavefront6targetE1EEEvSI_: ; @_ZN7rocprim17ROCPRIM_400000_NS6detail17trampoline_kernelINS0_14default_configENS1_35radix_sort_onesweep_config_selectorIttEEZZNS1_29radix_sort_onesweep_iterationIS3_Lb0EN6thrust23THRUST_200600_302600_NS6detail15normal_iteratorINS8_10device_ptrItEEEESD_SD_SD_jNS0_19identity_decomposerENS1_16block_id_wrapperIjLb1EEEEE10hipError_tT1_PNSt15iterator_traitsISI_E10value_typeET2_T3_PNSJ_ISO_E10value_typeET4_T5_PST_SU_PNS1_23onesweep_lookback_stateEbbT6_jjT7_P12ihipStream_tbENKUlT_T0_SI_SN_E_clISD_SD_SD_SD_EEDaS11_S12_SI_SN_EUlS11_E_NS1_11comp_targetILNS1_3genE8ELNS1_11target_archE1030ELNS1_3gpuE2ELNS1_3repE0EEENS1_47radix_sort_onesweep_sort_config_static_selectorELNS0_4arch9wavefront6targetE1EEEvSI_
; %bb.0:
	.section	.rodata,"a",@progbits
	.p2align	6, 0x0
	.amdhsa_kernel _ZN7rocprim17ROCPRIM_400000_NS6detail17trampoline_kernelINS0_14default_configENS1_35radix_sort_onesweep_config_selectorIttEEZZNS1_29radix_sort_onesweep_iterationIS3_Lb0EN6thrust23THRUST_200600_302600_NS6detail15normal_iteratorINS8_10device_ptrItEEEESD_SD_SD_jNS0_19identity_decomposerENS1_16block_id_wrapperIjLb1EEEEE10hipError_tT1_PNSt15iterator_traitsISI_E10value_typeET2_T3_PNSJ_ISO_E10value_typeET4_T5_PST_SU_PNS1_23onesweep_lookback_stateEbbT6_jjT7_P12ihipStream_tbENKUlT_T0_SI_SN_E_clISD_SD_SD_SD_EEDaS11_S12_SI_SN_EUlS11_E_NS1_11comp_targetILNS1_3genE8ELNS1_11target_archE1030ELNS1_3gpuE2ELNS1_3repE0EEENS1_47radix_sort_onesweep_sort_config_static_selectorELNS0_4arch9wavefront6targetE1EEEvSI_
		.amdhsa_group_segment_fixed_size 0
		.amdhsa_private_segment_fixed_size 0
		.amdhsa_kernarg_size 88
		.amdhsa_user_sgpr_count 2
		.amdhsa_user_sgpr_dispatch_ptr 0
		.amdhsa_user_sgpr_queue_ptr 0
		.amdhsa_user_sgpr_kernarg_segment_ptr 1
		.amdhsa_user_sgpr_dispatch_id 0
		.amdhsa_user_sgpr_kernarg_preload_length 0
		.amdhsa_user_sgpr_kernarg_preload_offset 0
		.amdhsa_user_sgpr_private_segment_size 0
		.amdhsa_uses_dynamic_stack 0
		.amdhsa_enable_private_segment 0
		.amdhsa_system_sgpr_workgroup_id_x 1
		.amdhsa_system_sgpr_workgroup_id_y 0
		.amdhsa_system_sgpr_workgroup_id_z 0
		.amdhsa_system_sgpr_workgroup_info 0
		.amdhsa_system_vgpr_workitem_id 0
		.amdhsa_next_free_vgpr 1
		.amdhsa_next_free_sgpr 0
		.amdhsa_accum_offset 4
		.amdhsa_reserve_vcc 0
		.amdhsa_float_round_mode_32 0
		.amdhsa_float_round_mode_16_64 0
		.amdhsa_float_denorm_mode_32 3
		.amdhsa_float_denorm_mode_16_64 3
		.amdhsa_dx10_clamp 1
		.amdhsa_ieee_mode 1
		.amdhsa_fp16_overflow 0
		.amdhsa_tg_split 0
		.amdhsa_exception_fp_ieee_invalid_op 0
		.amdhsa_exception_fp_denorm_src 0
		.amdhsa_exception_fp_ieee_div_zero 0
		.amdhsa_exception_fp_ieee_overflow 0
		.amdhsa_exception_fp_ieee_underflow 0
		.amdhsa_exception_fp_ieee_inexact 0
		.amdhsa_exception_int_div_zero 0
	.end_amdhsa_kernel
	.section	.text._ZN7rocprim17ROCPRIM_400000_NS6detail17trampoline_kernelINS0_14default_configENS1_35radix_sort_onesweep_config_selectorIttEEZZNS1_29radix_sort_onesweep_iterationIS3_Lb0EN6thrust23THRUST_200600_302600_NS6detail15normal_iteratorINS8_10device_ptrItEEEESD_SD_SD_jNS0_19identity_decomposerENS1_16block_id_wrapperIjLb1EEEEE10hipError_tT1_PNSt15iterator_traitsISI_E10value_typeET2_T3_PNSJ_ISO_E10value_typeET4_T5_PST_SU_PNS1_23onesweep_lookback_stateEbbT6_jjT7_P12ihipStream_tbENKUlT_T0_SI_SN_E_clISD_SD_SD_SD_EEDaS11_S12_SI_SN_EUlS11_E_NS1_11comp_targetILNS1_3genE8ELNS1_11target_archE1030ELNS1_3gpuE2ELNS1_3repE0EEENS1_47radix_sort_onesweep_sort_config_static_selectorELNS0_4arch9wavefront6targetE1EEEvSI_,"axG",@progbits,_ZN7rocprim17ROCPRIM_400000_NS6detail17trampoline_kernelINS0_14default_configENS1_35radix_sort_onesweep_config_selectorIttEEZZNS1_29radix_sort_onesweep_iterationIS3_Lb0EN6thrust23THRUST_200600_302600_NS6detail15normal_iteratorINS8_10device_ptrItEEEESD_SD_SD_jNS0_19identity_decomposerENS1_16block_id_wrapperIjLb1EEEEE10hipError_tT1_PNSt15iterator_traitsISI_E10value_typeET2_T3_PNSJ_ISO_E10value_typeET4_T5_PST_SU_PNS1_23onesweep_lookback_stateEbbT6_jjT7_P12ihipStream_tbENKUlT_T0_SI_SN_E_clISD_SD_SD_SD_EEDaS11_S12_SI_SN_EUlS11_E_NS1_11comp_targetILNS1_3genE8ELNS1_11target_archE1030ELNS1_3gpuE2ELNS1_3repE0EEENS1_47radix_sort_onesweep_sort_config_static_selectorELNS0_4arch9wavefront6targetE1EEEvSI_,comdat
.Lfunc_end982:
	.size	_ZN7rocprim17ROCPRIM_400000_NS6detail17trampoline_kernelINS0_14default_configENS1_35radix_sort_onesweep_config_selectorIttEEZZNS1_29radix_sort_onesweep_iterationIS3_Lb0EN6thrust23THRUST_200600_302600_NS6detail15normal_iteratorINS8_10device_ptrItEEEESD_SD_SD_jNS0_19identity_decomposerENS1_16block_id_wrapperIjLb1EEEEE10hipError_tT1_PNSt15iterator_traitsISI_E10value_typeET2_T3_PNSJ_ISO_E10value_typeET4_T5_PST_SU_PNS1_23onesweep_lookback_stateEbbT6_jjT7_P12ihipStream_tbENKUlT_T0_SI_SN_E_clISD_SD_SD_SD_EEDaS11_S12_SI_SN_EUlS11_E_NS1_11comp_targetILNS1_3genE8ELNS1_11target_archE1030ELNS1_3gpuE2ELNS1_3repE0EEENS1_47radix_sort_onesweep_sort_config_static_selectorELNS0_4arch9wavefront6targetE1EEEvSI_, .Lfunc_end982-_ZN7rocprim17ROCPRIM_400000_NS6detail17trampoline_kernelINS0_14default_configENS1_35radix_sort_onesweep_config_selectorIttEEZZNS1_29radix_sort_onesweep_iterationIS3_Lb0EN6thrust23THRUST_200600_302600_NS6detail15normal_iteratorINS8_10device_ptrItEEEESD_SD_SD_jNS0_19identity_decomposerENS1_16block_id_wrapperIjLb1EEEEE10hipError_tT1_PNSt15iterator_traitsISI_E10value_typeET2_T3_PNSJ_ISO_E10value_typeET4_T5_PST_SU_PNS1_23onesweep_lookback_stateEbbT6_jjT7_P12ihipStream_tbENKUlT_T0_SI_SN_E_clISD_SD_SD_SD_EEDaS11_S12_SI_SN_EUlS11_E_NS1_11comp_targetILNS1_3genE8ELNS1_11target_archE1030ELNS1_3gpuE2ELNS1_3repE0EEENS1_47radix_sort_onesweep_sort_config_static_selectorELNS0_4arch9wavefront6targetE1EEEvSI_
                                        ; -- End function
	.set _ZN7rocprim17ROCPRIM_400000_NS6detail17trampoline_kernelINS0_14default_configENS1_35radix_sort_onesweep_config_selectorIttEEZZNS1_29radix_sort_onesweep_iterationIS3_Lb0EN6thrust23THRUST_200600_302600_NS6detail15normal_iteratorINS8_10device_ptrItEEEESD_SD_SD_jNS0_19identity_decomposerENS1_16block_id_wrapperIjLb1EEEEE10hipError_tT1_PNSt15iterator_traitsISI_E10value_typeET2_T3_PNSJ_ISO_E10value_typeET4_T5_PST_SU_PNS1_23onesweep_lookback_stateEbbT6_jjT7_P12ihipStream_tbENKUlT_T0_SI_SN_E_clISD_SD_SD_SD_EEDaS11_S12_SI_SN_EUlS11_E_NS1_11comp_targetILNS1_3genE8ELNS1_11target_archE1030ELNS1_3gpuE2ELNS1_3repE0EEENS1_47radix_sort_onesweep_sort_config_static_selectorELNS0_4arch9wavefront6targetE1EEEvSI_.num_vgpr, 0
	.set _ZN7rocprim17ROCPRIM_400000_NS6detail17trampoline_kernelINS0_14default_configENS1_35radix_sort_onesweep_config_selectorIttEEZZNS1_29radix_sort_onesweep_iterationIS3_Lb0EN6thrust23THRUST_200600_302600_NS6detail15normal_iteratorINS8_10device_ptrItEEEESD_SD_SD_jNS0_19identity_decomposerENS1_16block_id_wrapperIjLb1EEEEE10hipError_tT1_PNSt15iterator_traitsISI_E10value_typeET2_T3_PNSJ_ISO_E10value_typeET4_T5_PST_SU_PNS1_23onesweep_lookback_stateEbbT6_jjT7_P12ihipStream_tbENKUlT_T0_SI_SN_E_clISD_SD_SD_SD_EEDaS11_S12_SI_SN_EUlS11_E_NS1_11comp_targetILNS1_3genE8ELNS1_11target_archE1030ELNS1_3gpuE2ELNS1_3repE0EEENS1_47radix_sort_onesweep_sort_config_static_selectorELNS0_4arch9wavefront6targetE1EEEvSI_.num_agpr, 0
	.set _ZN7rocprim17ROCPRIM_400000_NS6detail17trampoline_kernelINS0_14default_configENS1_35radix_sort_onesweep_config_selectorIttEEZZNS1_29radix_sort_onesweep_iterationIS3_Lb0EN6thrust23THRUST_200600_302600_NS6detail15normal_iteratorINS8_10device_ptrItEEEESD_SD_SD_jNS0_19identity_decomposerENS1_16block_id_wrapperIjLb1EEEEE10hipError_tT1_PNSt15iterator_traitsISI_E10value_typeET2_T3_PNSJ_ISO_E10value_typeET4_T5_PST_SU_PNS1_23onesweep_lookback_stateEbbT6_jjT7_P12ihipStream_tbENKUlT_T0_SI_SN_E_clISD_SD_SD_SD_EEDaS11_S12_SI_SN_EUlS11_E_NS1_11comp_targetILNS1_3genE8ELNS1_11target_archE1030ELNS1_3gpuE2ELNS1_3repE0EEENS1_47radix_sort_onesweep_sort_config_static_selectorELNS0_4arch9wavefront6targetE1EEEvSI_.numbered_sgpr, 0
	.set _ZN7rocprim17ROCPRIM_400000_NS6detail17trampoline_kernelINS0_14default_configENS1_35radix_sort_onesweep_config_selectorIttEEZZNS1_29radix_sort_onesweep_iterationIS3_Lb0EN6thrust23THRUST_200600_302600_NS6detail15normal_iteratorINS8_10device_ptrItEEEESD_SD_SD_jNS0_19identity_decomposerENS1_16block_id_wrapperIjLb1EEEEE10hipError_tT1_PNSt15iterator_traitsISI_E10value_typeET2_T3_PNSJ_ISO_E10value_typeET4_T5_PST_SU_PNS1_23onesweep_lookback_stateEbbT6_jjT7_P12ihipStream_tbENKUlT_T0_SI_SN_E_clISD_SD_SD_SD_EEDaS11_S12_SI_SN_EUlS11_E_NS1_11comp_targetILNS1_3genE8ELNS1_11target_archE1030ELNS1_3gpuE2ELNS1_3repE0EEENS1_47radix_sort_onesweep_sort_config_static_selectorELNS0_4arch9wavefront6targetE1EEEvSI_.num_named_barrier, 0
	.set _ZN7rocprim17ROCPRIM_400000_NS6detail17trampoline_kernelINS0_14default_configENS1_35radix_sort_onesweep_config_selectorIttEEZZNS1_29radix_sort_onesweep_iterationIS3_Lb0EN6thrust23THRUST_200600_302600_NS6detail15normal_iteratorINS8_10device_ptrItEEEESD_SD_SD_jNS0_19identity_decomposerENS1_16block_id_wrapperIjLb1EEEEE10hipError_tT1_PNSt15iterator_traitsISI_E10value_typeET2_T3_PNSJ_ISO_E10value_typeET4_T5_PST_SU_PNS1_23onesweep_lookback_stateEbbT6_jjT7_P12ihipStream_tbENKUlT_T0_SI_SN_E_clISD_SD_SD_SD_EEDaS11_S12_SI_SN_EUlS11_E_NS1_11comp_targetILNS1_3genE8ELNS1_11target_archE1030ELNS1_3gpuE2ELNS1_3repE0EEENS1_47radix_sort_onesweep_sort_config_static_selectorELNS0_4arch9wavefront6targetE1EEEvSI_.private_seg_size, 0
	.set _ZN7rocprim17ROCPRIM_400000_NS6detail17trampoline_kernelINS0_14default_configENS1_35radix_sort_onesweep_config_selectorIttEEZZNS1_29radix_sort_onesweep_iterationIS3_Lb0EN6thrust23THRUST_200600_302600_NS6detail15normal_iteratorINS8_10device_ptrItEEEESD_SD_SD_jNS0_19identity_decomposerENS1_16block_id_wrapperIjLb1EEEEE10hipError_tT1_PNSt15iterator_traitsISI_E10value_typeET2_T3_PNSJ_ISO_E10value_typeET4_T5_PST_SU_PNS1_23onesweep_lookback_stateEbbT6_jjT7_P12ihipStream_tbENKUlT_T0_SI_SN_E_clISD_SD_SD_SD_EEDaS11_S12_SI_SN_EUlS11_E_NS1_11comp_targetILNS1_3genE8ELNS1_11target_archE1030ELNS1_3gpuE2ELNS1_3repE0EEENS1_47radix_sort_onesweep_sort_config_static_selectorELNS0_4arch9wavefront6targetE1EEEvSI_.uses_vcc, 0
	.set _ZN7rocprim17ROCPRIM_400000_NS6detail17trampoline_kernelINS0_14default_configENS1_35radix_sort_onesweep_config_selectorIttEEZZNS1_29radix_sort_onesweep_iterationIS3_Lb0EN6thrust23THRUST_200600_302600_NS6detail15normal_iteratorINS8_10device_ptrItEEEESD_SD_SD_jNS0_19identity_decomposerENS1_16block_id_wrapperIjLb1EEEEE10hipError_tT1_PNSt15iterator_traitsISI_E10value_typeET2_T3_PNSJ_ISO_E10value_typeET4_T5_PST_SU_PNS1_23onesweep_lookback_stateEbbT6_jjT7_P12ihipStream_tbENKUlT_T0_SI_SN_E_clISD_SD_SD_SD_EEDaS11_S12_SI_SN_EUlS11_E_NS1_11comp_targetILNS1_3genE8ELNS1_11target_archE1030ELNS1_3gpuE2ELNS1_3repE0EEENS1_47radix_sort_onesweep_sort_config_static_selectorELNS0_4arch9wavefront6targetE1EEEvSI_.uses_flat_scratch, 0
	.set _ZN7rocprim17ROCPRIM_400000_NS6detail17trampoline_kernelINS0_14default_configENS1_35radix_sort_onesweep_config_selectorIttEEZZNS1_29radix_sort_onesweep_iterationIS3_Lb0EN6thrust23THRUST_200600_302600_NS6detail15normal_iteratorINS8_10device_ptrItEEEESD_SD_SD_jNS0_19identity_decomposerENS1_16block_id_wrapperIjLb1EEEEE10hipError_tT1_PNSt15iterator_traitsISI_E10value_typeET2_T3_PNSJ_ISO_E10value_typeET4_T5_PST_SU_PNS1_23onesweep_lookback_stateEbbT6_jjT7_P12ihipStream_tbENKUlT_T0_SI_SN_E_clISD_SD_SD_SD_EEDaS11_S12_SI_SN_EUlS11_E_NS1_11comp_targetILNS1_3genE8ELNS1_11target_archE1030ELNS1_3gpuE2ELNS1_3repE0EEENS1_47radix_sort_onesweep_sort_config_static_selectorELNS0_4arch9wavefront6targetE1EEEvSI_.has_dyn_sized_stack, 0
	.set _ZN7rocprim17ROCPRIM_400000_NS6detail17trampoline_kernelINS0_14default_configENS1_35radix_sort_onesweep_config_selectorIttEEZZNS1_29radix_sort_onesweep_iterationIS3_Lb0EN6thrust23THRUST_200600_302600_NS6detail15normal_iteratorINS8_10device_ptrItEEEESD_SD_SD_jNS0_19identity_decomposerENS1_16block_id_wrapperIjLb1EEEEE10hipError_tT1_PNSt15iterator_traitsISI_E10value_typeET2_T3_PNSJ_ISO_E10value_typeET4_T5_PST_SU_PNS1_23onesweep_lookback_stateEbbT6_jjT7_P12ihipStream_tbENKUlT_T0_SI_SN_E_clISD_SD_SD_SD_EEDaS11_S12_SI_SN_EUlS11_E_NS1_11comp_targetILNS1_3genE8ELNS1_11target_archE1030ELNS1_3gpuE2ELNS1_3repE0EEENS1_47radix_sort_onesweep_sort_config_static_selectorELNS0_4arch9wavefront6targetE1EEEvSI_.has_recursion, 0
	.set _ZN7rocprim17ROCPRIM_400000_NS6detail17trampoline_kernelINS0_14default_configENS1_35radix_sort_onesweep_config_selectorIttEEZZNS1_29radix_sort_onesweep_iterationIS3_Lb0EN6thrust23THRUST_200600_302600_NS6detail15normal_iteratorINS8_10device_ptrItEEEESD_SD_SD_jNS0_19identity_decomposerENS1_16block_id_wrapperIjLb1EEEEE10hipError_tT1_PNSt15iterator_traitsISI_E10value_typeET2_T3_PNSJ_ISO_E10value_typeET4_T5_PST_SU_PNS1_23onesweep_lookback_stateEbbT6_jjT7_P12ihipStream_tbENKUlT_T0_SI_SN_E_clISD_SD_SD_SD_EEDaS11_S12_SI_SN_EUlS11_E_NS1_11comp_targetILNS1_3genE8ELNS1_11target_archE1030ELNS1_3gpuE2ELNS1_3repE0EEENS1_47radix_sort_onesweep_sort_config_static_selectorELNS0_4arch9wavefront6targetE1EEEvSI_.has_indirect_call, 0
	.section	.AMDGPU.csdata,"",@progbits
; Kernel info:
; codeLenInByte = 0
; TotalNumSgprs: 6
; NumVgprs: 0
; NumAgprs: 0
; TotalNumVgprs: 0
; ScratchSize: 0
; MemoryBound: 0
; FloatMode: 240
; IeeeMode: 1
; LDSByteSize: 0 bytes/workgroup (compile time only)
; SGPRBlocks: 0
; VGPRBlocks: 0
; NumSGPRsForWavesPerEU: 6
; NumVGPRsForWavesPerEU: 1
; AccumOffset: 4
; Occupancy: 8
; WaveLimiterHint : 0
; COMPUTE_PGM_RSRC2:SCRATCH_EN: 0
; COMPUTE_PGM_RSRC2:USER_SGPR: 2
; COMPUTE_PGM_RSRC2:TRAP_HANDLER: 0
; COMPUTE_PGM_RSRC2:TGID_X_EN: 1
; COMPUTE_PGM_RSRC2:TGID_Y_EN: 0
; COMPUTE_PGM_RSRC2:TGID_Z_EN: 0
; COMPUTE_PGM_RSRC2:TIDIG_COMP_CNT: 0
; COMPUTE_PGM_RSRC3_GFX90A:ACCUM_OFFSET: 0
; COMPUTE_PGM_RSRC3_GFX90A:TG_SPLIT: 0
	.section	.text._ZN7rocprim17ROCPRIM_400000_NS6detail17trampoline_kernelINS0_14default_configENS1_35radix_sort_onesweep_config_selectorIttEEZZNS1_29radix_sort_onesweep_iterationIS3_Lb0EN6thrust23THRUST_200600_302600_NS6detail15normal_iteratorINS8_10device_ptrItEEEESD_SD_SD_jNS0_19identity_decomposerENS1_16block_id_wrapperIjLb1EEEEE10hipError_tT1_PNSt15iterator_traitsISI_E10value_typeET2_T3_PNSJ_ISO_E10value_typeET4_T5_PST_SU_PNS1_23onesweep_lookback_stateEbbT6_jjT7_P12ihipStream_tbENKUlT_T0_SI_SN_E_clISD_PtSD_S15_EEDaS11_S12_SI_SN_EUlS11_E_NS1_11comp_targetILNS1_3genE0ELNS1_11target_archE4294967295ELNS1_3gpuE0ELNS1_3repE0EEENS1_47radix_sort_onesweep_sort_config_static_selectorELNS0_4arch9wavefront6targetE1EEEvSI_,"axG",@progbits,_ZN7rocprim17ROCPRIM_400000_NS6detail17trampoline_kernelINS0_14default_configENS1_35radix_sort_onesweep_config_selectorIttEEZZNS1_29radix_sort_onesweep_iterationIS3_Lb0EN6thrust23THRUST_200600_302600_NS6detail15normal_iteratorINS8_10device_ptrItEEEESD_SD_SD_jNS0_19identity_decomposerENS1_16block_id_wrapperIjLb1EEEEE10hipError_tT1_PNSt15iterator_traitsISI_E10value_typeET2_T3_PNSJ_ISO_E10value_typeET4_T5_PST_SU_PNS1_23onesweep_lookback_stateEbbT6_jjT7_P12ihipStream_tbENKUlT_T0_SI_SN_E_clISD_PtSD_S15_EEDaS11_S12_SI_SN_EUlS11_E_NS1_11comp_targetILNS1_3genE0ELNS1_11target_archE4294967295ELNS1_3gpuE0ELNS1_3repE0EEENS1_47radix_sort_onesweep_sort_config_static_selectorELNS0_4arch9wavefront6targetE1EEEvSI_,comdat
	.protected	_ZN7rocprim17ROCPRIM_400000_NS6detail17trampoline_kernelINS0_14default_configENS1_35radix_sort_onesweep_config_selectorIttEEZZNS1_29radix_sort_onesweep_iterationIS3_Lb0EN6thrust23THRUST_200600_302600_NS6detail15normal_iteratorINS8_10device_ptrItEEEESD_SD_SD_jNS0_19identity_decomposerENS1_16block_id_wrapperIjLb1EEEEE10hipError_tT1_PNSt15iterator_traitsISI_E10value_typeET2_T3_PNSJ_ISO_E10value_typeET4_T5_PST_SU_PNS1_23onesweep_lookback_stateEbbT6_jjT7_P12ihipStream_tbENKUlT_T0_SI_SN_E_clISD_PtSD_S15_EEDaS11_S12_SI_SN_EUlS11_E_NS1_11comp_targetILNS1_3genE0ELNS1_11target_archE4294967295ELNS1_3gpuE0ELNS1_3repE0EEENS1_47radix_sort_onesweep_sort_config_static_selectorELNS0_4arch9wavefront6targetE1EEEvSI_ ; -- Begin function _ZN7rocprim17ROCPRIM_400000_NS6detail17trampoline_kernelINS0_14default_configENS1_35radix_sort_onesweep_config_selectorIttEEZZNS1_29radix_sort_onesweep_iterationIS3_Lb0EN6thrust23THRUST_200600_302600_NS6detail15normal_iteratorINS8_10device_ptrItEEEESD_SD_SD_jNS0_19identity_decomposerENS1_16block_id_wrapperIjLb1EEEEE10hipError_tT1_PNSt15iterator_traitsISI_E10value_typeET2_T3_PNSJ_ISO_E10value_typeET4_T5_PST_SU_PNS1_23onesweep_lookback_stateEbbT6_jjT7_P12ihipStream_tbENKUlT_T0_SI_SN_E_clISD_PtSD_S15_EEDaS11_S12_SI_SN_EUlS11_E_NS1_11comp_targetILNS1_3genE0ELNS1_11target_archE4294967295ELNS1_3gpuE0ELNS1_3repE0EEENS1_47radix_sort_onesweep_sort_config_static_selectorELNS0_4arch9wavefront6targetE1EEEvSI_
	.globl	_ZN7rocprim17ROCPRIM_400000_NS6detail17trampoline_kernelINS0_14default_configENS1_35radix_sort_onesweep_config_selectorIttEEZZNS1_29radix_sort_onesweep_iterationIS3_Lb0EN6thrust23THRUST_200600_302600_NS6detail15normal_iteratorINS8_10device_ptrItEEEESD_SD_SD_jNS0_19identity_decomposerENS1_16block_id_wrapperIjLb1EEEEE10hipError_tT1_PNSt15iterator_traitsISI_E10value_typeET2_T3_PNSJ_ISO_E10value_typeET4_T5_PST_SU_PNS1_23onesweep_lookback_stateEbbT6_jjT7_P12ihipStream_tbENKUlT_T0_SI_SN_E_clISD_PtSD_S15_EEDaS11_S12_SI_SN_EUlS11_E_NS1_11comp_targetILNS1_3genE0ELNS1_11target_archE4294967295ELNS1_3gpuE0ELNS1_3repE0EEENS1_47radix_sort_onesweep_sort_config_static_selectorELNS0_4arch9wavefront6targetE1EEEvSI_
	.p2align	8
	.type	_ZN7rocprim17ROCPRIM_400000_NS6detail17trampoline_kernelINS0_14default_configENS1_35radix_sort_onesweep_config_selectorIttEEZZNS1_29radix_sort_onesweep_iterationIS3_Lb0EN6thrust23THRUST_200600_302600_NS6detail15normal_iteratorINS8_10device_ptrItEEEESD_SD_SD_jNS0_19identity_decomposerENS1_16block_id_wrapperIjLb1EEEEE10hipError_tT1_PNSt15iterator_traitsISI_E10value_typeET2_T3_PNSJ_ISO_E10value_typeET4_T5_PST_SU_PNS1_23onesweep_lookback_stateEbbT6_jjT7_P12ihipStream_tbENKUlT_T0_SI_SN_E_clISD_PtSD_S15_EEDaS11_S12_SI_SN_EUlS11_E_NS1_11comp_targetILNS1_3genE0ELNS1_11target_archE4294967295ELNS1_3gpuE0ELNS1_3repE0EEENS1_47radix_sort_onesweep_sort_config_static_selectorELNS0_4arch9wavefront6targetE1EEEvSI_,@function
_ZN7rocprim17ROCPRIM_400000_NS6detail17trampoline_kernelINS0_14default_configENS1_35radix_sort_onesweep_config_selectorIttEEZZNS1_29radix_sort_onesweep_iterationIS3_Lb0EN6thrust23THRUST_200600_302600_NS6detail15normal_iteratorINS8_10device_ptrItEEEESD_SD_SD_jNS0_19identity_decomposerENS1_16block_id_wrapperIjLb1EEEEE10hipError_tT1_PNSt15iterator_traitsISI_E10value_typeET2_T3_PNSJ_ISO_E10value_typeET4_T5_PST_SU_PNS1_23onesweep_lookback_stateEbbT6_jjT7_P12ihipStream_tbENKUlT_T0_SI_SN_E_clISD_PtSD_S15_EEDaS11_S12_SI_SN_EUlS11_E_NS1_11comp_targetILNS1_3genE0ELNS1_11target_archE4294967295ELNS1_3gpuE0ELNS1_3repE0EEENS1_47radix_sort_onesweep_sort_config_static_selectorELNS0_4arch9wavefront6targetE1EEEvSI_: ; @_ZN7rocprim17ROCPRIM_400000_NS6detail17trampoline_kernelINS0_14default_configENS1_35radix_sort_onesweep_config_selectorIttEEZZNS1_29radix_sort_onesweep_iterationIS3_Lb0EN6thrust23THRUST_200600_302600_NS6detail15normal_iteratorINS8_10device_ptrItEEEESD_SD_SD_jNS0_19identity_decomposerENS1_16block_id_wrapperIjLb1EEEEE10hipError_tT1_PNSt15iterator_traitsISI_E10value_typeET2_T3_PNSJ_ISO_E10value_typeET4_T5_PST_SU_PNS1_23onesweep_lookback_stateEbbT6_jjT7_P12ihipStream_tbENKUlT_T0_SI_SN_E_clISD_PtSD_S15_EEDaS11_S12_SI_SN_EUlS11_E_NS1_11comp_targetILNS1_3genE0ELNS1_11target_archE4294967295ELNS1_3gpuE0ELNS1_3repE0EEENS1_47radix_sort_onesweep_sort_config_static_selectorELNS0_4arch9wavefront6targetE1EEEvSI_
; %bb.0:
	.section	.rodata,"a",@progbits
	.p2align	6, 0x0
	.amdhsa_kernel _ZN7rocprim17ROCPRIM_400000_NS6detail17trampoline_kernelINS0_14default_configENS1_35radix_sort_onesweep_config_selectorIttEEZZNS1_29radix_sort_onesweep_iterationIS3_Lb0EN6thrust23THRUST_200600_302600_NS6detail15normal_iteratorINS8_10device_ptrItEEEESD_SD_SD_jNS0_19identity_decomposerENS1_16block_id_wrapperIjLb1EEEEE10hipError_tT1_PNSt15iterator_traitsISI_E10value_typeET2_T3_PNSJ_ISO_E10value_typeET4_T5_PST_SU_PNS1_23onesweep_lookback_stateEbbT6_jjT7_P12ihipStream_tbENKUlT_T0_SI_SN_E_clISD_PtSD_S15_EEDaS11_S12_SI_SN_EUlS11_E_NS1_11comp_targetILNS1_3genE0ELNS1_11target_archE4294967295ELNS1_3gpuE0ELNS1_3repE0EEENS1_47radix_sort_onesweep_sort_config_static_selectorELNS0_4arch9wavefront6targetE1EEEvSI_
		.amdhsa_group_segment_fixed_size 0
		.amdhsa_private_segment_fixed_size 0
		.amdhsa_kernarg_size 88
		.amdhsa_user_sgpr_count 2
		.amdhsa_user_sgpr_dispatch_ptr 0
		.amdhsa_user_sgpr_queue_ptr 0
		.amdhsa_user_sgpr_kernarg_segment_ptr 1
		.amdhsa_user_sgpr_dispatch_id 0
		.amdhsa_user_sgpr_kernarg_preload_length 0
		.amdhsa_user_sgpr_kernarg_preload_offset 0
		.amdhsa_user_sgpr_private_segment_size 0
		.amdhsa_uses_dynamic_stack 0
		.amdhsa_enable_private_segment 0
		.amdhsa_system_sgpr_workgroup_id_x 1
		.amdhsa_system_sgpr_workgroup_id_y 0
		.amdhsa_system_sgpr_workgroup_id_z 0
		.amdhsa_system_sgpr_workgroup_info 0
		.amdhsa_system_vgpr_workitem_id 0
		.amdhsa_next_free_vgpr 1
		.amdhsa_next_free_sgpr 0
		.amdhsa_accum_offset 4
		.amdhsa_reserve_vcc 0
		.amdhsa_float_round_mode_32 0
		.amdhsa_float_round_mode_16_64 0
		.amdhsa_float_denorm_mode_32 3
		.amdhsa_float_denorm_mode_16_64 3
		.amdhsa_dx10_clamp 1
		.amdhsa_ieee_mode 1
		.amdhsa_fp16_overflow 0
		.amdhsa_tg_split 0
		.amdhsa_exception_fp_ieee_invalid_op 0
		.amdhsa_exception_fp_denorm_src 0
		.amdhsa_exception_fp_ieee_div_zero 0
		.amdhsa_exception_fp_ieee_overflow 0
		.amdhsa_exception_fp_ieee_underflow 0
		.amdhsa_exception_fp_ieee_inexact 0
		.amdhsa_exception_int_div_zero 0
	.end_amdhsa_kernel
	.section	.text._ZN7rocprim17ROCPRIM_400000_NS6detail17trampoline_kernelINS0_14default_configENS1_35radix_sort_onesweep_config_selectorIttEEZZNS1_29radix_sort_onesweep_iterationIS3_Lb0EN6thrust23THRUST_200600_302600_NS6detail15normal_iteratorINS8_10device_ptrItEEEESD_SD_SD_jNS0_19identity_decomposerENS1_16block_id_wrapperIjLb1EEEEE10hipError_tT1_PNSt15iterator_traitsISI_E10value_typeET2_T3_PNSJ_ISO_E10value_typeET4_T5_PST_SU_PNS1_23onesweep_lookback_stateEbbT6_jjT7_P12ihipStream_tbENKUlT_T0_SI_SN_E_clISD_PtSD_S15_EEDaS11_S12_SI_SN_EUlS11_E_NS1_11comp_targetILNS1_3genE0ELNS1_11target_archE4294967295ELNS1_3gpuE0ELNS1_3repE0EEENS1_47radix_sort_onesweep_sort_config_static_selectorELNS0_4arch9wavefront6targetE1EEEvSI_,"axG",@progbits,_ZN7rocprim17ROCPRIM_400000_NS6detail17trampoline_kernelINS0_14default_configENS1_35radix_sort_onesweep_config_selectorIttEEZZNS1_29radix_sort_onesweep_iterationIS3_Lb0EN6thrust23THRUST_200600_302600_NS6detail15normal_iteratorINS8_10device_ptrItEEEESD_SD_SD_jNS0_19identity_decomposerENS1_16block_id_wrapperIjLb1EEEEE10hipError_tT1_PNSt15iterator_traitsISI_E10value_typeET2_T3_PNSJ_ISO_E10value_typeET4_T5_PST_SU_PNS1_23onesweep_lookback_stateEbbT6_jjT7_P12ihipStream_tbENKUlT_T0_SI_SN_E_clISD_PtSD_S15_EEDaS11_S12_SI_SN_EUlS11_E_NS1_11comp_targetILNS1_3genE0ELNS1_11target_archE4294967295ELNS1_3gpuE0ELNS1_3repE0EEENS1_47radix_sort_onesweep_sort_config_static_selectorELNS0_4arch9wavefront6targetE1EEEvSI_,comdat
.Lfunc_end983:
	.size	_ZN7rocprim17ROCPRIM_400000_NS6detail17trampoline_kernelINS0_14default_configENS1_35radix_sort_onesweep_config_selectorIttEEZZNS1_29radix_sort_onesweep_iterationIS3_Lb0EN6thrust23THRUST_200600_302600_NS6detail15normal_iteratorINS8_10device_ptrItEEEESD_SD_SD_jNS0_19identity_decomposerENS1_16block_id_wrapperIjLb1EEEEE10hipError_tT1_PNSt15iterator_traitsISI_E10value_typeET2_T3_PNSJ_ISO_E10value_typeET4_T5_PST_SU_PNS1_23onesweep_lookback_stateEbbT6_jjT7_P12ihipStream_tbENKUlT_T0_SI_SN_E_clISD_PtSD_S15_EEDaS11_S12_SI_SN_EUlS11_E_NS1_11comp_targetILNS1_3genE0ELNS1_11target_archE4294967295ELNS1_3gpuE0ELNS1_3repE0EEENS1_47radix_sort_onesweep_sort_config_static_selectorELNS0_4arch9wavefront6targetE1EEEvSI_, .Lfunc_end983-_ZN7rocprim17ROCPRIM_400000_NS6detail17trampoline_kernelINS0_14default_configENS1_35radix_sort_onesweep_config_selectorIttEEZZNS1_29radix_sort_onesweep_iterationIS3_Lb0EN6thrust23THRUST_200600_302600_NS6detail15normal_iteratorINS8_10device_ptrItEEEESD_SD_SD_jNS0_19identity_decomposerENS1_16block_id_wrapperIjLb1EEEEE10hipError_tT1_PNSt15iterator_traitsISI_E10value_typeET2_T3_PNSJ_ISO_E10value_typeET4_T5_PST_SU_PNS1_23onesweep_lookback_stateEbbT6_jjT7_P12ihipStream_tbENKUlT_T0_SI_SN_E_clISD_PtSD_S15_EEDaS11_S12_SI_SN_EUlS11_E_NS1_11comp_targetILNS1_3genE0ELNS1_11target_archE4294967295ELNS1_3gpuE0ELNS1_3repE0EEENS1_47radix_sort_onesweep_sort_config_static_selectorELNS0_4arch9wavefront6targetE1EEEvSI_
                                        ; -- End function
	.set _ZN7rocprim17ROCPRIM_400000_NS6detail17trampoline_kernelINS0_14default_configENS1_35radix_sort_onesweep_config_selectorIttEEZZNS1_29radix_sort_onesweep_iterationIS3_Lb0EN6thrust23THRUST_200600_302600_NS6detail15normal_iteratorINS8_10device_ptrItEEEESD_SD_SD_jNS0_19identity_decomposerENS1_16block_id_wrapperIjLb1EEEEE10hipError_tT1_PNSt15iterator_traitsISI_E10value_typeET2_T3_PNSJ_ISO_E10value_typeET4_T5_PST_SU_PNS1_23onesweep_lookback_stateEbbT6_jjT7_P12ihipStream_tbENKUlT_T0_SI_SN_E_clISD_PtSD_S15_EEDaS11_S12_SI_SN_EUlS11_E_NS1_11comp_targetILNS1_3genE0ELNS1_11target_archE4294967295ELNS1_3gpuE0ELNS1_3repE0EEENS1_47radix_sort_onesweep_sort_config_static_selectorELNS0_4arch9wavefront6targetE1EEEvSI_.num_vgpr, 0
	.set _ZN7rocprim17ROCPRIM_400000_NS6detail17trampoline_kernelINS0_14default_configENS1_35radix_sort_onesweep_config_selectorIttEEZZNS1_29radix_sort_onesweep_iterationIS3_Lb0EN6thrust23THRUST_200600_302600_NS6detail15normal_iteratorINS8_10device_ptrItEEEESD_SD_SD_jNS0_19identity_decomposerENS1_16block_id_wrapperIjLb1EEEEE10hipError_tT1_PNSt15iterator_traitsISI_E10value_typeET2_T3_PNSJ_ISO_E10value_typeET4_T5_PST_SU_PNS1_23onesweep_lookback_stateEbbT6_jjT7_P12ihipStream_tbENKUlT_T0_SI_SN_E_clISD_PtSD_S15_EEDaS11_S12_SI_SN_EUlS11_E_NS1_11comp_targetILNS1_3genE0ELNS1_11target_archE4294967295ELNS1_3gpuE0ELNS1_3repE0EEENS1_47radix_sort_onesweep_sort_config_static_selectorELNS0_4arch9wavefront6targetE1EEEvSI_.num_agpr, 0
	.set _ZN7rocprim17ROCPRIM_400000_NS6detail17trampoline_kernelINS0_14default_configENS1_35radix_sort_onesweep_config_selectorIttEEZZNS1_29radix_sort_onesweep_iterationIS3_Lb0EN6thrust23THRUST_200600_302600_NS6detail15normal_iteratorINS8_10device_ptrItEEEESD_SD_SD_jNS0_19identity_decomposerENS1_16block_id_wrapperIjLb1EEEEE10hipError_tT1_PNSt15iterator_traitsISI_E10value_typeET2_T3_PNSJ_ISO_E10value_typeET4_T5_PST_SU_PNS1_23onesweep_lookback_stateEbbT6_jjT7_P12ihipStream_tbENKUlT_T0_SI_SN_E_clISD_PtSD_S15_EEDaS11_S12_SI_SN_EUlS11_E_NS1_11comp_targetILNS1_3genE0ELNS1_11target_archE4294967295ELNS1_3gpuE0ELNS1_3repE0EEENS1_47radix_sort_onesweep_sort_config_static_selectorELNS0_4arch9wavefront6targetE1EEEvSI_.numbered_sgpr, 0
	.set _ZN7rocprim17ROCPRIM_400000_NS6detail17trampoline_kernelINS0_14default_configENS1_35radix_sort_onesweep_config_selectorIttEEZZNS1_29radix_sort_onesweep_iterationIS3_Lb0EN6thrust23THRUST_200600_302600_NS6detail15normal_iteratorINS8_10device_ptrItEEEESD_SD_SD_jNS0_19identity_decomposerENS1_16block_id_wrapperIjLb1EEEEE10hipError_tT1_PNSt15iterator_traitsISI_E10value_typeET2_T3_PNSJ_ISO_E10value_typeET4_T5_PST_SU_PNS1_23onesweep_lookback_stateEbbT6_jjT7_P12ihipStream_tbENKUlT_T0_SI_SN_E_clISD_PtSD_S15_EEDaS11_S12_SI_SN_EUlS11_E_NS1_11comp_targetILNS1_3genE0ELNS1_11target_archE4294967295ELNS1_3gpuE0ELNS1_3repE0EEENS1_47radix_sort_onesweep_sort_config_static_selectorELNS0_4arch9wavefront6targetE1EEEvSI_.num_named_barrier, 0
	.set _ZN7rocprim17ROCPRIM_400000_NS6detail17trampoline_kernelINS0_14default_configENS1_35radix_sort_onesweep_config_selectorIttEEZZNS1_29radix_sort_onesweep_iterationIS3_Lb0EN6thrust23THRUST_200600_302600_NS6detail15normal_iteratorINS8_10device_ptrItEEEESD_SD_SD_jNS0_19identity_decomposerENS1_16block_id_wrapperIjLb1EEEEE10hipError_tT1_PNSt15iterator_traitsISI_E10value_typeET2_T3_PNSJ_ISO_E10value_typeET4_T5_PST_SU_PNS1_23onesweep_lookback_stateEbbT6_jjT7_P12ihipStream_tbENKUlT_T0_SI_SN_E_clISD_PtSD_S15_EEDaS11_S12_SI_SN_EUlS11_E_NS1_11comp_targetILNS1_3genE0ELNS1_11target_archE4294967295ELNS1_3gpuE0ELNS1_3repE0EEENS1_47radix_sort_onesweep_sort_config_static_selectorELNS0_4arch9wavefront6targetE1EEEvSI_.private_seg_size, 0
	.set _ZN7rocprim17ROCPRIM_400000_NS6detail17trampoline_kernelINS0_14default_configENS1_35radix_sort_onesweep_config_selectorIttEEZZNS1_29radix_sort_onesweep_iterationIS3_Lb0EN6thrust23THRUST_200600_302600_NS6detail15normal_iteratorINS8_10device_ptrItEEEESD_SD_SD_jNS0_19identity_decomposerENS1_16block_id_wrapperIjLb1EEEEE10hipError_tT1_PNSt15iterator_traitsISI_E10value_typeET2_T3_PNSJ_ISO_E10value_typeET4_T5_PST_SU_PNS1_23onesweep_lookback_stateEbbT6_jjT7_P12ihipStream_tbENKUlT_T0_SI_SN_E_clISD_PtSD_S15_EEDaS11_S12_SI_SN_EUlS11_E_NS1_11comp_targetILNS1_3genE0ELNS1_11target_archE4294967295ELNS1_3gpuE0ELNS1_3repE0EEENS1_47radix_sort_onesweep_sort_config_static_selectorELNS0_4arch9wavefront6targetE1EEEvSI_.uses_vcc, 0
	.set _ZN7rocprim17ROCPRIM_400000_NS6detail17trampoline_kernelINS0_14default_configENS1_35radix_sort_onesweep_config_selectorIttEEZZNS1_29radix_sort_onesweep_iterationIS3_Lb0EN6thrust23THRUST_200600_302600_NS6detail15normal_iteratorINS8_10device_ptrItEEEESD_SD_SD_jNS0_19identity_decomposerENS1_16block_id_wrapperIjLb1EEEEE10hipError_tT1_PNSt15iterator_traitsISI_E10value_typeET2_T3_PNSJ_ISO_E10value_typeET4_T5_PST_SU_PNS1_23onesweep_lookback_stateEbbT6_jjT7_P12ihipStream_tbENKUlT_T0_SI_SN_E_clISD_PtSD_S15_EEDaS11_S12_SI_SN_EUlS11_E_NS1_11comp_targetILNS1_3genE0ELNS1_11target_archE4294967295ELNS1_3gpuE0ELNS1_3repE0EEENS1_47radix_sort_onesweep_sort_config_static_selectorELNS0_4arch9wavefront6targetE1EEEvSI_.uses_flat_scratch, 0
	.set _ZN7rocprim17ROCPRIM_400000_NS6detail17trampoline_kernelINS0_14default_configENS1_35radix_sort_onesweep_config_selectorIttEEZZNS1_29radix_sort_onesweep_iterationIS3_Lb0EN6thrust23THRUST_200600_302600_NS6detail15normal_iteratorINS8_10device_ptrItEEEESD_SD_SD_jNS0_19identity_decomposerENS1_16block_id_wrapperIjLb1EEEEE10hipError_tT1_PNSt15iterator_traitsISI_E10value_typeET2_T3_PNSJ_ISO_E10value_typeET4_T5_PST_SU_PNS1_23onesweep_lookback_stateEbbT6_jjT7_P12ihipStream_tbENKUlT_T0_SI_SN_E_clISD_PtSD_S15_EEDaS11_S12_SI_SN_EUlS11_E_NS1_11comp_targetILNS1_3genE0ELNS1_11target_archE4294967295ELNS1_3gpuE0ELNS1_3repE0EEENS1_47radix_sort_onesweep_sort_config_static_selectorELNS0_4arch9wavefront6targetE1EEEvSI_.has_dyn_sized_stack, 0
	.set _ZN7rocprim17ROCPRIM_400000_NS6detail17trampoline_kernelINS0_14default_configENS1_35radix_sort_onesweep_config_selectorIttEEZZNS1_29radix_sort_onesweep_iterationIS3_Lb0EN6thrust23THRUST_200600_302600_NS6detail15normal_iteratorINS8_10device_ptrItEEEESD_SD_SD_jNS0_19identity_decomposerENS1_16block_id_wrapperIjLb1EEEEE10hipError_tT1_PNSt15iterator_traitsISI_E10value_typeET2_T3_PNSJ_ISO_E10value_typeET4_T5_PST_SU_PNS1_23onesweep_lookback_stateEbbT6_jjT7_P12ihipStream_tbENKUlT_T0_SI_SN_E_clISD_PtSD_S15_EEDaS11_S12_SI_SN_EUlS11_E_NS1_11comp_targetILNS1_3genE0ELNS1_11target_archE4294967295ELNS1_3gpuE0ELNS1_3repE0EEENS1_47radix_sort_onesweep_sort_config_static_selectorELNS0_4arch9wavefront6targetE1EEEvSI_.has_recursion, 0
	.set _ZN7rocprim17ROCPRIM_400000_NS6detail17trampoline_kernelINS0_14default_configENS1_35radix_sort_onesweep_config_selectorIttEEZZNS1_29radix_sort_onesweep_iterationIS3_Lb0EN6thrust23THRUST_200600_302600_NS6detail15normal_iteratorINS8_10device_ptrItEEEESD_SD_SD_jNS0_19identity_decomposerENS1_16block_id_wrapperIjLb1EEEEE10hipError_tT1_PNSt15iterator_traitsISI_E10value_typeET2_T3_PNSJ_ISO_E10value_typeET4_T5_PST_SU_PNS1_23onesweep_lookback_stateEbbT6_jjT7_P12ihipStream_tbENKUlT_T0_SI_SN_E_clISD_PtSD_S15_EEDaS11_S12_SI_SN_EUlS11_E_NS1_11comp_targetILNS1_3genE0ELNS1_11target_archE4294967295ELNS1_3gpuE0ELNS1_3repE0EEENS1_47radix_sort_onesweep_sort_config_static_selectorELNS0_4arch9wavefront6targetE1EEEvSI_.has_indirect_call, 0
	.section	.AMDGPU.csdata,"",@progbits
; Kernel info:
; codeLenInByte = 0
; TotalNumSgprs: 6
; NumVgprs: 0
; NumAgprs: 0
; TotalNumVgprs: 0
; ScratchSize: 0
; MemoryBound: 0
; FloatMode: 240
; IeeeMode: 1
; LDSByteSize: 0 bytes/workgroup (compile time only)
; SGPRBlocks: 0
; VGPRBlocks: 0
; NumSGPRsForWavesPerEU: 6
; NumVGPRsForWavesPerEU: 1
; AccumOffset: 4
; Occupancy: 8
; WaveLimiterHint : 0
; COMPUTE_PGM_RSRC2:SCRATCH_EN: 0
; COMPUTE_PGM_RSRC2:USER_SGPR: 2
; COMPUTE_PGM_RSRC2:TRAP_HANDLER: 0
; COMPUTE_PGM_RSRC2:TGID_X_EN: 1
; COMPUTE_PGM_RSRC2:TGID_Y_EN: 0
; COMPUTE_PGM_RSRC2:TGID_Z_EN: 0
; COMPUTE_PGM_RSRC2:TIDIG_COMP_CNT: 0
; COMPUTE_PGM_RSRC3_GFX90A:ACCUM_OFFSET: 0
; COMPUTE_PGM_RSRC3_GFX90A:TG_SPLIT: 0
	.section	.text._ZN7rocprim17ROCPRIM_400000_NS6detail17trampoline_kernelINS0_14default_configENS1_35radix_sort_onesweep_config_selectorIttEEZZNS1_29radix_sort_onesweep_iterationIS3_Lb0EN6thrust23THRUST_200600_302600_NS6detail15normal_iteratorINS8_10device_ptrItEEEESD_SD_SD_jNS0_19identity_decomposerENS1_16block_id_wrapperIjLb1EEEEE10hipError_tT1_PNSt15iterator_traitsISI_E10value_typeET2_T3_PNSJ_ISO_E10value_typeET4_T5_PST_SU_PNS1_23onesweep_lookback_stateEbbT6_jjT7_P12ihipStream_tbENKUlT_T0_SI_SN_E_clISD_PtSD_S15_EEDaS11_S12_SI_SN_EUlS11_E_NS1_11comp_targetILNS1_3genE6ELNS1_11target_archE950ELNS1_3gpuE13ELNS1_3repE0EEENS1_47radix_sort_onesweep_sort_config_static_selectorELNS0_4arch9wavefront6targetE1EEEvSI_,"axG",@progbits,_ZN7rocprim17ROCPRIM_400000_NS6detail17trampoline_kernelINS0_14default_configENS1_35radix_sort_onesweep_config_selectorIttEEZZNS1_29radix_sort_onesweep_iterationIS3_Lb0EN6thrust23THRUST_200600_302600_NS6detail15normal_iteratorINS8_10device_ptrItEEEESD_SD_SD_jNS0_19identity_decomposerENS1_16block_id_wrapperIjLb1EEEEE10hipError_tT1_PNSt15iterator_traitsISI_E10value_typeET2_T3_PNSJ_ISO_E10value_typeET4_T5_PST_SU_PNS1_23onesweep_lookback_stateEbbT6_jjT7_P12ihipStream_tbENKUlT_T0_SI_SN_E_clISD_PtSD_S15_EEDaS11_S12_SI_SN_EUlS11_E_NS1_11comp_targetILNS1_3genE6ELNS1_11target_archE950ELNS1_3gpuE13ELNS1_3repE0EEENS1_47radix_sort_onesweep_sort_config_static_selectorELNS0_4arch9wavefront6targetE1EEEvSI_,comdat
	.protected	_ZN7rocprim17ROCPRIM_400000_NS6detail17trampoline_kernelINS0_14default_configENS1_35radix_sort_onesweep_config_selectorIttEEZZNS1_29radix_sort_onesweep_iterationIS3_Lb0EN6thrust23THRUST_200600_302600_NS6detail15normal_iteratorINS8_10device_ptrItEEEESD_SD_SD_jNS0_19identity_decomposerENS1_16block_id_wrapperIjLb1EEEEE10hipError_tT1_PNSt15iterator_traitsISI_E10value_typeET2_T3_PNSJ_ISO_E10value_typeET4_T5_PST_SU_PNS1_23onesweep_lookback_stateEbbT6_jjT7_P12ihipStream_tbENKUlT_T0_SI_SN_E_clISD_PtSD_S15_EEDaS11_S12_SI_SN_EUlS11_E_NS1_11comp_targetILNS1_3genE6ELNS1_11target_archE950ELNS1_3gpuE13ELNS1_3repE0EEENS1_47radix_sort_onesweep_sort_config_static_selectorELNS0_4arch9wavefront6targetE1EEEvSI_ ; -- Begin function _ZN7rocprim17ROCPRIM_400000_NS6detail17trampoline_kernelINS0_14default_configENS1_35radix_sort_onesweep_config_selectorIttEEZZNS1_29radix_sort_onesweep_iterationIS3_Lb0EN6thrust23THRUST_200600_302600_NS6detail15normal_iteratorINS8_10device_ptrItEEEESD_SD_SD_jNS0_19identity_decomposerENS1_16block_id_wrapperIjLb1EEEEE10hipError_tT1_PNSt15iterator_traitsISI_E10value_typeET2_T3_PNSJ_ISO_E10value_typeET4_T5_PST_SU_PNS1_23onesweep_lookback_stateEbbT6_jjT7_P12ihipStream_tbENKUlT_T0_SI_SN_E_clISD_PtSD_S15_EEDaS11_S12_SI_SN_EUlS11_E_NS1_11comp_targetILNS1_3genE6ELNS1_11target_archE950ELNS1_3gpuE13ELNS1_3repE0EEENS1_47radix_sort_onesweep_sort_config_static_selectorELNS0_4arch9wavefront6targetE1EEEvSI_
	.globl	_ZN7rocprim17ROCPRIM_400000_NS6detail17trampoline_kernelINS0_14default_configENS1_35radix_sort_onesweep_config_selectorIttEEZZNS1_29radix_sort_onesweep_iterationIS3_Lb0EN6thrust23THRUST_200600_302600_NS6detail15normal_iteratorINS8_10device_ptrItEEEESD_SD_SD_jNS0_19identity_decomposerENS1_16block_id_wrapperIjLb1EEEEE10hipError_tT1_PNSt15iterator_traitsISI_E10value_typeET2_T3_PNSJ_ISO_E10value_typeET4_T5_PST_SU_PNS1_23onesweep_lookback_stateEbbT6_jjT7_P12ihipStream_tbENKUlT_T0_SI_SN_E_clISD_PtSD_S15_EEDaS11_S12_SI_SN_EUlS11_E_NS1_11comp_targetILNS1_3genE6ELNS1_11target_archE950ELNS1_3gpuE13ELNS1_3repE0EEENS1_47radix_sort_onesweep_sort_config_static_selectorELNS0_4arch9wavefront6targetE1EEEvSI_
	.p2align	8
	.type	_ZN7rocprim17ROCPRIM_400000_NS6detail17trampoline_kernelINS0_14default_configENS1_35radix_sort_onesweep_config_selectorIttEEZZNS1_29radix_sort_onesweep_iterationIS3_Lb0EN6thrust23THRUST_200600_302600_NS6detail15normal_iteratorINS8_10device_ptrItEEEESD_SD_SD_jNS0_19identity_decomposerENS1_16block_id_wrapperIjLb1EEEEE10hipError_tT1_PNSt15iterator_traitsISI_E10value_typeET2_T3_PNSJ_ISO_E10value_typeET4_T5_PST_SU_PNS1_23onesweep_lookback_stateEbbT6_jjT7_P12ihipStream_tbENKUlT_T0_SI_SN_E_clISD_PtSD_S15_EEDaS11_S12_SI_SN_EUlS11_E_NS1_11comp_targetILNS1_3genE6ELNS1_11target_archE950ELNS1_3gpuE13ELNS1_3repE0EEENS1_47radix_sort_onesweep_sort_config_static_selectorELNS0_4arch9wavefront6targetE1EEEvSI_,@function
_ZN7rocprim17ROCPRIM_400000_NS6detail17trampoline_kernelINS0_14default_configENS1_35radix_sort_onesweep_config_selectorIttEEZZNS1_29radix_sort_onesweep_iterationIS3_Lb0EN6thrust23THRUST_200600_302600_NS6detail15normal_iteratorINS8_10device_ptrItEEEESD_SD_SD_jNS0_19identity_decomposerENS1_16block_id_wrapperIjLb1EEEEE10hipError_tT1_PNSt15iterator_traitsISI_E10value_typeET2_T3_PNSJ_ISO_E10value_typeET4_T5_PST_SU_PNS1_23onesweep_lookback_stateEbbT6_jjT7_P12ihipStream_tbENKUlT_T0_SI_SN_E_clISD_PtSD_S15_EEDaS11_S12_SI_SN_EUlS11_E_NS1_11comp_targetILNS1_3genE6ELNS1_11target_archE950ELNS1_3gpuE13ELNS1_3repE0EEENS1_47radix_sort_onesweep_sort_config_static_selectorELNS0_4arch9wavefront6targetE1EEEvSI_: ; @_ZN7rocprim17ROCPRIM_400000_NS6detail17trampoline_kernelINS0_14default_configENS1_35radix_sort_onesweep_config_selectorIttEEZZNS1_29radix_sort_onesweep_iterationIS3_Lb0EN6thrust23THRUST_200600_302600_NS6detail15normal_iteratorINS8_10device_ptrItEEEESD_SD_SD_jNS0_19identity_decomposerENS1_16block_id_wrapperIjLb1EEEEE10hipError_tT1_PNSt15iterator_traitsISI_E10value_typeET2_T3_PNSJ_ISO_E10value_typeET4_T5_PST_SU_PNS1_23onesweep_lookback_stateEbbT6_jjT7_P12ihipStream_tbENKUlT_T0_SI_SN_E_clISD_PtSD_S15_EEDaS11_S12_SI_SN_EUlS11_E_NS1_11comp_targetILNS1_3genE6ELNS1_11target_archE950ELNS1_3gpuE13ELNS1_3repE0EEENS1_47radix_sort_onesweep_sort_config_static_selectorELNS0_4arch9wavefront6targetE1EEEvSI_
; %bb.0:
	s_load_dwordx4 s[4:7], s[0:1], 0x28
                                        ; implicit-def: $vgpr117 : SGPR spill to VGPR lane
	v_and_b32_e32 v2, 0x3ff, v0
	v_cmp_eq_u32_e64 s[94:95], 0, v2
	s_waitcnt lgkmcnt(0)
	v_writelane_b32 v117, s4, 0
	s_nop 1
	v_writelane_b32 v117, s5, 1
	v_writelane_b32 v117, s6, 2
	;; [unrolled: 1-line block ×3, first 2 shown]
	s_load_dwordx2 s[6:7], s[0:1], 0x38
	s_load_dwordx4 s[96:99], s[0:1], 0x44
	s_and_saveexec_b64 s[4:5], s[94:95]
	s_cbranch_execz .LBB984_4
; %bb.1:
	s_mov_b64 s[10:11], exec
	v_mbcnt_lo_u32_b32 v1, s10, 0
	v_mbcnt_hi_u32_b32 v1, s11, v1
	v_cmp_eq_u32_e32 vcc, 0, v1
                                        ; implicit-def: $vgpr3
	s_and_saveexec_b64 s[8:9], vcc
	s_cbranch_execz .LBB984_3
; %bb.2:
	s_load_dwordx2 s[12:13], s[0:1], 0x50
	s_bcnt1_i32_b64 s3, s[10:11]
	v_mov_b32_e32 v3, 0
	v_mov_b32_e32 v4, s3
	s_waitcnt lgkmcnt(0)
	global_atomic_add v3, v3, v4, s[12:13] sc0
.LBB984_3:
	s_or_b64 exec, exec, s[8:9]
	s_waitcnt vmcnt(0)
	v_readfirstlane_b32 s3, v3
	v_mov_b32_e32 v3, 0
	s_nop 0
	v_add_u32_e32 v1, s3, v1
	ds_write_b32 v3, v1 offset:22784
.LBB984_4:
	s_or_b64 exec, exec, s[4:5]
	v_mov_b32_e32 v5, 0
	s_load_dwordx8 s[8:15], s[0:1], 0x0
	s_load_dword s3, s[0:1], 0x20
	s_waitcnt lgkmcnt(0)
	s_barrier
	ds_read_b32 v1, v5 offset:22784
	s_mov_b64 s[16:17], -1
	s_waitcnt lgkmcnt(0)
	s_barrier
	v_readfirstlane_b32 s33, v1
	v_cmp_le_u32_e32 vcc, s98, v1
	s_mul_i32 s4, s33, 0x2c00
	v_mbcnt_lo_u32_b32 v1, -1, 0
	s_cbranch_vccz .LBB984_292
; %bb.5:
	s_mul_i32 s5, s98, 0xffffd400
	s_add_i32 s3, s5, s3
	s_mov_b32 s5, 0
	s_lshl_b64 s[98:99], s[4:5], 1
	v_mbcnt_hi_u32_b32 v15, -1, v1
	s_add_u32 s16, s8, s98
	v_and_b32_e32 v3, 63, v15
	v_and_b32_e32 v18, 0x3c0, v2
	s_addc_u32 s17, s9, s99
	v_mul_u32_u24_e32 v10, 22, v18
	v_lshlrev_b32_e32 v4, 1, v3
	v_lshl_add_u64 v[8:9], s[16:17], 0, v[4:5]
	v_lshlrev_b32_e32 v6, 1, v10
	v_mov_b32_e32 v7, v5
	v_lshl_add_u64 v[8:9], v[8:9], 0, v[6:7]
	v_or_b32_e32 v11, v3, v10
	v_mov_b32_e32 v35, 0xffff
	v_mov_b32_e32 v3, -1
	v_mov_b32_e32 v5, -1
	v_mov_b32_e32 v10, 0xffff
	v_cmp_gt_u32_e64 s[18:19], s3, v11
	s_mov_b64 s[16:17], exec
	s_nop 0
	v_writelane_b32 v117, s18, 4
	s_nop 1
	v_writelane_b32 v117, s19, 5
	s_and_b64 s[18:19], s[16:17], s[18:19]
	s_mov_b64 exec, s[18:19]
	s_cbranch_execz .LBB984_7
; %bb.6:
	global_load_ushort v5, v[8:9], off
	s_waitcnt vmcnt(0)
	v_and_b32_e32 v10, 0xffff, v5
.LBB984_7:
	s_or_b64 exec, exec, s[16:17]
	v_or_b32_e32 v7, 64, v11
	v_cmp_gt_u32_e64 s[18:19], s3, v7
	s_mov_b64 s[16:17], exec
	s_nop 0
	v_writelane_b32 v117, s18, 6
	s_nop 1
	v_writelane_b32 v117, s19, 7
	s_and_b64 s[18:19], s[16:17], s[18:19]
	s_mov_b64 exec, s[18:19]
	s_cbranch_execz .LBB984_9
; %bb.8:
	global_load_ushort v3, v[8:9], off offset:128
	s_waitcnt vmcnt(0)
	v_and_b32_e32 v35, 0xffff, v3
.LBB984_9:
	s_or_b64 exec, exec, s[16:17]
	v_add_u32_e32 v7, 0x80, v11
	v_cmp_gt_u32_e64 s[18:19], s3, v7
	v_mov_b32_e32 v45, 0xffff
	v_mov_b32_e32 v7, -1
	v_mov_b32_e32 v12, -1
	v_mov_b32_e32 v39, 0xffff
	s_mov_b64 s[16:17], exec
	v_writelane_b32 v117, s18, 8
	s_nop 1
	v_writelane_b32 v117, s19, 9
	s_and_b64 s[18:19], s[16:17], s[18:19]
	s_mov_b64 exec, s[18:19]
	s_cbranch_execz .LBB984_11
; %bb.10:
	global_load_ushort v12, v[8:9], off offset:256
	s_waitcnt vmcnt(0)
	v_and_b32_e32 v39, 0xffff, v12
.LBB984_11:
	s_or_b64 exec, exec, s[16:17]
	v_add_u32_e32 v13, 0xc0, v11
	v_cmp_gt_u32_e64 s[18:19], s3, v13
	s_mov_b64 s[16:17], exec
	s_nop 0
	v_writelane_b32 v117, s18, 10
	s_nop 1
	v_writelane_b32 v117, s19, 11
	s_and_b64 s[18:19], s[16:17], s[18:19]
	s_mov_b64 exec, s[18:19]
	s_cbranch_execz .LBB984_13
; %bb.12:
	global_load_ushort v7, v[8:9], off offset:384
	s_waitcnt vmcnt(0)
	v_and_b32_e32 v45, 0xffff, v7
.LBB984_13:
	s_or_b64 exec, exec, s[16:17]
	v_add_u32_e32 v13, 0x100, v11
	v_cmp_gt_u32_e64 s[18:19], s3, v13
	v_mov_b32_e32 v53, 0xffff
	v_mov_b32_e32 v13, -1
	v_mov_b32_e32 v14, -1
	v_mov_b32_e32 v48, 0xffff
	s_mov_b64 s[16:17], exec
	v_writelane_b32 v117, s18, 12
	s_nop 1
	v_writelane_b32 v117, s19, 13
	s_and_b64 s[18:19], s[16:17], s[18:19]
	s_mov_b64 exec, s[18:19]
	s_cbranch_execz .LBB984_15
; %bb.14:
	global_load_ushort v14, v[8:9], off offset:512
	s_waitcnt vmcnt(0)
	v_and_b32_e32 v48, 0xffff, v14
.LBB984_15:
	s_or_b64 exec, exec, s[16:17]
	v_add_u32_e32 v16, 0x140, v11
	;; [unrolled: 35-line block ×3, first 2 shown]
	v_cmp_gt_u32_e64 s[18:19], s3, v19
	s_mov_b64 s[16:17], exec
	s_nop 0
	v_writelane_b32 v117, s18, 18
	s_nop 1
	v_writelane_b32 v117, s19, 19
	s_and_b64 s[18:19], s[16:17], s[18:19]
	s_mov_b64 exec, s[18:19]
	s_cbranch_execz .LBB984_21
; %bb.20:
	global_load_ushort v16, v[8:9], off offset:896
	s_waitcnt vmcnt(0)
	v_and_b32_e32 v61, 0xffff, v16
.LBB984_21:
	s_or_b64 exec, exec, s[16:17]
	v_add_u32_e32 v19, 0x200, v11
	v_cmp_gt_u32_e32 vcc, s3, v19
	v_mov_b32_e32 v70, 0xffff
	v_mov_b32_e32 v19, -1
	v_mov_b32_e32 v20, -1
	v_mov_b32_e32 v66, 0xffff
	s_and_saveexec_b64 s[16:17], vcc
	s_cbranch_execz .LBB984_23
; %bb.22:
	global_load_ushort v20, v[8:9], off offset:1024
	s_waitcnt vmcnt(0)
	v_and_b32_e32 v66, 0xffff, v20
.LBB984_23:
	s_or_b64 exec, exec, s[16:17]
	v_add_u32_e32 v21, 0x240, v11
	v_cmp_gt_u32_e64 s[20:21], s3, v21
	s_and_saveexec_b64 s[16:17], s[20:21]
	s_cbranch_execz .LBB984_25
; %bb.24:
	global_load_ushort v19, v[8:9], off offset:1152
	s_waitcnt vmcnt(0)
	v_and_b32_e32 v70, 0xffff, v19
.LBB984_25:
	s_or_b64 exec, exec, s[16:17]
	v_add_u32_e32 v21, 0x280, v11
	v_cmp_gt_u32_e64 s[22:23], s3, v21
	v_mov_b32_e32 v71, 0xffff
	v_mov_b32_e32 v21, -1
	v_mov_b32_e32 v22, -1
	v_mov_b32_e32 v74, 0xffff
	s_and_saveexec_b64 s[16:17], s[22:23]
	s_cbranch_execz .LBB984_27
; %bb.26:
	global_load_ushort v22, v[8:9], off offset:1280
	s_waitcnt vmcnt(0)
	v_and_b32_e32 v74, 0xffff, v22
.LBB984_27:
	s_or_b64 exec, exec, s[16:17]
	v_add_u32_e32 v23, 0x2c0, v11
	v_cmp_gt_u32_e64 s[24:25], s3, v23
	s_and_saveexec_b64 s[16:17], s[24:25]
	s_cbranch_execz .LBB984_29
; %bb.28:
	global_load_ushort v21, v[8:9], off offset:1408
	s_waitcnt vmcnt(0)
	v_and_b32_e32 v71, 0xffff, v21
.LBB984_29:
	s_or_b64 exec, exec, s[16:17]
	v_add_u32_e32 v23, 0x300, v11
	v_cmp_gt_u32_e64 s[26:27], s3, v23
	v_mov_b32_e32 v65, 0xffff
	v_mov_b32_e32 v23, -1
	v_mov_b32_e32 v24, -1
	v_mov_b32_e32 v69, 0xffff
	s_and_saveexec_b64 s[16:17], s[26:27]
	s_cbranch_execz .LBB984_31
; %bb.30:
	global_load_ushort v24, v[8:9], off offset:1536
	s_waitcnt vmcnt(0)
	v_and_b32_e32 v69, 0xffff, v24
.LBB984_31:
	s_or_b64 exec, exec, s[16:17]
	v_add_u32_e32 v25, 0x340, v11
	v_cmp_gt_u32_e64 s[28:29], s3, v25
	s_and_saveexec_b64 s[16:17], s[28:29]
	s_cbranch_execz .LBB984_33
; %bb.32:
	global_load_ushort v23, v[8:9], off offset:1664
	s_waitcnt vmcnt(0)
	v_and_b32_e32 v65, 0xffff, v23
.LBB984_33:
	s_or_b64 exec, exec, s[16:17]
	v_add_u32_e32 v25, 0x380, v11
	v_cmp_gt_u32_e64 s[30:31], s3, v25
	v_mov_b32_e32 v58, 0xffff
	v_mov_b32_e32 v25, -1
	v_mov_b32_e32 v26, -1
	v_mov_b32_e32 v62, 0xffff
	s_and_saveexec_b64 s[16:17], s[30:31]
	s_cbranch_execz .LBB984_35
; %bb.34:
	global_load_ushort v26, v[8:9], off offset:1792
	s_waitcnt vmcnt(0)
	v_and_b32_e32 v62, 0xffff, v26
.LBB984_35:
	s_or_b64 exec, exec, s[16:17]
	v_add_u32_e32 v27, 0x3c0, v11
	v_cmp_gt_u32_e64 s[34:35], s3, v27
	s_and_saveexec_b64 s[16:17], s[34:35]
	s_cbranch_execz .LBB984_37
; %bb.36:
	global_load_ushort v25, v[8:9], off offset:1920
	s_waitcnt vmcnt(0)
	v_and_b32_e32 v58, 0xffff, v25
.LBB984_37:
	s_or_b64 exec, exec, s[16:17]
	v_add_u32_e32 v27, 0x400, v11
	v_cmp_gt_u32_e64 s[36:37], s3, v27
	v_mov_b32_e32 v51, 0xffff
	v_mov_b32_e32 v27, -1
	v_mov_b32_e32 v28, -1
	v_mov_b32_e32 v55, 0xffff
	s_and_saveexec_b64 s[16:17], s[36:37]
	s_cbranch_execz .LBB984_39
; %bb.38:
	global_load_ushort v28, v[8:9], off offset:2048
	s_waitcnt vmcnt(0)
	v_and_b32_e32 v55, 0xffff, v28
.LBB984_39:
	s_or_b64 exec, exec, s[16:17]
	v_add_u32_e32 v29, 0x440, v11
	v_cmp_gt_u32_e64 s[38:39], s3, v29
	s_and_saveexec_b64 s[16:17], s[38:39]
	s_cbranch_execz .LBB984_41
; %bb.40:
	global_load_ushort v27, v[8:9], off offset:2176
	s_waitcnt vmcnt(0)
	v_and_b32_e32 v51, 0xffff, v27
.LBB984_41:
	s_or_b64 exec, exec, s[16:17]
	v_add_u32_e32 v29, 0x480, v11
	v_cmp_gt_u32_e64 s[40:41], s3, v29
	v_mov_b32_e32 v44, 0xffff
	v_mov_b32_e32 v29, -1
	v_mov_b32_e32 v30, -1
	v_mov_b32_e32 v49, 0xffff
	s_and_saveexec_b64 s[16:17], s[40:41]
	s_cbranch_execz .LBB984_43
; %bb.42:
	global_load_ushort v30, v[8:9], off offset:2304
	s_waitcnt vmcnt(0)
	v_and_b32_e32 v49, 0xffff, v30
.LBB984_43:
	s_or_b64 exec, exec, s[16:17]
	v_add_u32_e32 v31, 0x4c0, v11
	v_cmp_gt_u32_e64 s[42:43], s3, v31
	s_and_saveexec_b64 s[16:17], s[42:43]
	s_cbranch_execz .LBB984_45
; %bb.44:
	global_load_ushort v29, v[8:9], off offset:2432
	s_waitcnt vmcnt(0)
	v_and_b32_e32 v44, 0xffff, v29
.LBB984_45:
	s_or_b64 exec, exec, s[16:17]
	v_add_u32_e32 v31, 0x500, v11
	v_cmp_gt_u32_e64 s[44:45], s3, v31
	v_mov_b32_e32 v36, 0xffff
	v_mov_b32_e32 v31, -1
	v_mov_b32_e32 v32, -1
	v_mov_b32_e32 v40, 0xffff
	s_and_saveexec_b64 s[16:17], s[44:45]
	s_cbranch_execz .LBB984_47
; %bb.46:
	global_load_ushort v32, v[8:9], off offset:2560
	s_waitcnt vmcnt(0)
	v_and_b32_e32 v40, 0xffff, v32
.LBB984_47:
	s_or_b64 exec, exec, s[16:17]
	v_add_u32_e32 v11, 0x540, v11
	v_cmp_gt_u32_e64 s[46:47], s3, v11
	s_and_saveexec_b64 s[16:17], s[46:47]
	s_cbranch_execz .LBB984_49
; %bb.48:
	global_load_ushort v31, v[8:9], off offset:2688
	s_waitcnt vmcnt(0)
	v_and_b32_e32 v36, 0xffff, v31
.LBB984_49:
	s_or_b64 exec, exec, s[16:17]
	s_load_dword s5, s[0:1], 0x64
	s_load_dword s18, s[0:1], 0x58
	s_add_u32 s16, s0, 0x58
	s_addc_u32 s17, s1, 0
	v_mov_b32_e32 v8, 0
	s_waitcnt lgkmcnt(0)
	s_lshr_b32 s5, s5, 16
	s_cmp_lt_u32 s2, s18
	s_cselect_b32 s18, 12, 18
	s_add_u32 s16, s16, s18
	s_addc_u32 s17, s17, 0
	global_load_ushort v37, v8, s[16:17]
	v_bfe_u32 v34, v0, 10, 10
	v_bfe_u32 v38, v0, 20, 10
	v_lshrrev_b32_e32 v10, s96, v10
	s_lshl_b32 s16, -1, s97
	v_lshlrev_b32_e32 v33, 3, v2
	v_mov_b32_e32 v9, v8
	v_mad_u32_u24 v38, v38, s5, v34
	v_bitop3_b32 v34, v10, s16, v10 bitop3:0x30
	v_mov_b32_e32 v11, v8
	ds_write_b64 v33, v[8:9] offset:32
	v_and_b32_e32 v10, 1, v34
	v_lshlrev_b32_e32 v9, 30, v34
	v_lshl_add_u64 v[42:43], v[10:11], 0, -1
	v_cmp_ne_u32_e64 s[48:49], 0, v10
	v_cmp_gt_i64_e64 s[50:51], 0, v[8:9]
	v_not_b32_e32 v10, v9
	v_lshlrev_b32_e32 v9, 29, v34
	v_xor_b32_e32 v11, s49, v43
	v_xor_b32_e32 v42, s48, v42
	v_ashrrev_i32_e32 v10, 31, v10
	v_cmp_gt_i64_e64 s[48:49], 0, v[8:9]
	v_not_b32_e32 v43, v9
	v_lshlrev_b32_e32 v9, 28, v34
	v_and_b32_e32 v11, exec_hi, v11
	v_and_b32_e32 v42, exec_lo, v42
	v_xor_b32_e32 v46, s51, v10
	v_xor_b32_e32 v10, s50, v10
	v_ashrrev_i32_e32 v43, 31, v43
	v_cmp_gt_i64_e64 s[50:51], 0, v[8:9]
	v_not_b32_e32 v47, v9
	v_lshlrev_b32_e32 v9, 27, v34
	v_and_b32_e32 v11, v11, v46
	v_and_b32_e32 v10, v42, v10
	v_xor_b32_e32 v42, s49, v43
	v_xor_b32_e32 v43, s48, v43
	v_ashrrev_i32_e32 v46, 31, v47
	v_cmp_gt_i64_e64 s[48:49], 0, v[8:9]
	v_not_b32_e32 v47, v9
	v_lshlrev_b32_e32 v9, 26, v34
	v_mul_u32_u24_e32 v41, 36, v34
	v_and_b32_e32 v11, v11, v42
	v_and_b32_e32 v10, v10, v43
	v_xor_b32_e32 v34, s51, v46
	v_xor_b32_e32 v42, s50, v46
	v_ashrrev_i32_e32 v43, 31, v47
	v_cmp_gt_i64_e64 s[50:51], 0, v[8:9]
	v_not_b32_e32 v9, v9
	v_and_b32_e32 v11, v11, v34
	v_and_b32_e32 v10, v10, v42
	v_xor_b32_e32 v34, s49, v43
	v_xor_b32_e32 v42, s48, v43
	v_ashrrev_i32_e32 v9, 31, v9
	v_and_b32_e32 v11, v11, v34
	v_and_b32_e32 v10, v10, v42
	v_xor_b32_e32 v34, s51, v9
	v_xor_b32_e32 v9, s50, v9
	v_and_b32_e32 v10, v10, v9
	s_not_b32 s5, s16
	v_and_b32_e32 v11, v11, v34
	v_mbcnt_lo_u32_b32 v9, v10, 0
	v_mbcnt_hi_u32_b32 v34, v11, v9
	v_cmp_ne_u64_e64 s[48:49], 0, v[10:11]
	v_cmp_eq_u32_e64 s[50:51], 0, v34
	s_and_b64 s[48:49], s[48:49], s[50:51]
	s_waitcnt lgkmcnt(0)
	s_barrier
	s_waitcnt vmcnt(0)
	; wave barrier
	v_mad_u64_u32 v[42:43], s[16:17], v38, v37, v[2:3]
	v_lshrrev_b32_e32 v9, 4, v42
	v_and_b32_e32 v43, 0xffffffc, v9
	v_add_u32_e32 v37, v43, v41
	s_and_saveexec_b64 s[16:17], s[48:49]
; %bb.50:
	v_bcnt_u32_b32 v9, v10, 0
	v_bcnt_u32_b32 v9, v11, v9
	ds_write_b32 v37, v9 offset:32
; %bb.51:
	s_or_b64 exec, exec, s[16:17]
	v_lshrrev_b32_e32 v9, s96, v35
	v_and_b32_e32 v38, s5, v9
	v_and_b32_e32 v10, 1, v38
	v_mov_b32_e32 v11, v8
	v_mad_u32_u24 v9, v38, 36, v43
	v_lshl_add_u64 v[46:47], v[10:11], 0, -1
	v_cmp_ne_u32_e64 s[48:49], 0, v10
	; wave barrier
	ds_read_b32 v35, v9 offset:32
	s_nop 0
	v_xor_b32_e32 v9, s49, v47
	v_and_b32_e32 v11, exec_hi, v9
	v_lshlrev_b32_e32 v9, 30, v38
	v_xor_b32_e32 v10, s48, v46
	v_cmp_gt_i64_e64 s[48:49], 0, v[8:9]
	v_not_b32_e32 v9, v9
	v_ashrrev_i32_e32 v9, 31, v9
	v_and_b32_e32 v10, exec_lo, v10
	v_xor_b32_e32 v42, s49, v9
	v_xor_b32_e32 v9, s48, v9
	v_and_b32_e32 v10, v10, v9
	v_lshlrev_b32_e32 v9, 29, v38
	v_cmp_gt_i64_e64 s[48:49], 0, v[8:9]
	v_not_b32_e32 v9, v9
	v_ashrrev_i32_e32 v9, 31, v9
	v_and_b32_e32 v11, v11, v42
	v_xor_b32_e32 v42, s49, v9
	v_xor_b32_e32 v9, s48, v9
	v_and_b32_e32 v10, v10, v9
	v_lshlrev_b32_e32 v9, 28, v38
	v_cmp_gt_i64_e64 s[48:49], 0, v[8:9]
	v_not_b32_e32 v9, v9
	v_ashrrev_i32_e32 v9, 31, v9
	v_and_b32_e32 v11, v11, v42
	;; [unrolled: 8-line block ×3, first 2 shown]
	v_xor_b32_e32 v42, s49, v9
	v_xor_b32_e32 v9, s48, v9
	v_and_b32_e32 v10, v10, v9
	v_lshlrev_b32_e32 v9, 26, v38
	v_cmp_gt_i64_e64 s[48:49], 0, v[8:9]
	v_not_b32_e32 v8, v9
	v_ashrrev_i32_e32 v8, 31, v8
	v_xor_b32_e32 v9, s49, v8
	v_xor_b32_e32 v8, s48, v8
	v_and_b32_e32 v11, v11, v42
	v_and_b32_e32 v8, v10, v8
	;; [unrolled: 1-line block ×3, first 2 shown]
	v_mbcnt_lo_u32_b32 v10, v8, 0
	v_mul_u32_u24_e32 v41, 36, v38
	v_mbcnt_hi_u32_b32 v38, v9, v10
	v_cmp_eq_u32_e64 s[48:49], 0, v38
	v_cmp_ne_u64_e64 s[50:51], 0, v[8:9]
	s_and_b64 s[48:49], s[50:51], s[48:49]
	v_add_u32_e32 v41, v43, v41
	; wave barrier
	s_and_saveexec_b64 s[16:17], s[48:49]
	s_cbranch_execz .LBB984_53
; %bb.52:
	v_bcnt_u32_b32 v8, v8, 0
	v_bcnt_u32_b32 v8, v9, v8
	s_waitcnt lgkmcnt(0)
	v_add_u32_e32 v8, v35, v8
	ds_write_b32 v41, v8 offset:32
.LBB984_53:
	s_or_b64 exec, exec, s[16:17]
	v_lshrrev_b32_e32 v8, s96, v39
	v_and_b32_e32 v42, s5, v8
	v_mad_u32_u24 v8, v42, 36, v43
	; wave barrier
	ds_read_b32 v39, v8 offset:32
	v_and_b32_e32 v8, 1, v42
	v_mov_b32_e32 v9, 0
	v_lshl_add_u64 v[10:11], v[8:9], 0, -1
	v_cmp_ne_u32_e64 s[48:49], 0, v8
	v_mul_u32_u24_e32 v46, 36, v42
	v_add_u32_e32 v46, v43, v46
	v_xor_b32_e32 v10, s48, v10
	v_xor_b32_e32 v8, s49, v11
	v_and_b32_e32 v47, exec_lo, v10
	v_lshlrev_b32_e32 v11, 30, v42
	v_mov_b32_e32 v10, v9
	v_cmp_gt_i64_e64 s[48:49], 0, v[10:11]
	v_not_b32_e32 v10, v11
	v_ashrrev_i32_e32 v10, 31, v10
	v_and_b32_e32 v8, exec_hi, v8
	v_xor_b32_e32 v11, s49, v10
	v_xor_b32_e32 v10, s48, v10
	v_and_b32_e32 v8, v8, v11
	v_and_b32_e32 v47, v47, v10
	v_lshlrev_b32_e32 v11, 29, v42
	v_mov_b32_e32 v10, v9
	v_cmp_gt_i64_e64 s[48:49], 0, v[10:11]
	v_not_b32_e32 v10, v11
	v_ashrrev_i32_e32 v10, 31, v10
	v_xor_b32_e32 v11, s49, v10
	v_xor_b32_e32 v10, s48, v10
	v_and_b32_e32 v8, v8, v11
	v_and_b32_e32 v47, v47, v10
	v_lshlrev_b32_e32 v11, 28, v42
	v_mov_b32_e32 v10, v9
	v_cmp_gt_i64_e64 s[48:49], 0, v[10:11]
	v_not_b32_e32 v10, v11
	v_ashrrev_i32_e32 v10, 31, v10
	;; [unrolled: 9-line block ×4, first 2 shown]
	v_xor_b32_e32 v11, s49, v10
	v_xor_b32_e32 v10, s48, v10
	v_and_b32_e32 v10, v47, v10
	v_and_b32_e32 v11, v8, v11
	v_mbcnt_lo_u32_b32 v8, v10, 0
	v_mbcnt_hi_u32_b32 v42, v11, v8
	v_cmp_eq_u32_e64 s[48:49], 0, v42
	v_cmp_ne_u64_e64 s[50:51], 0, v[10:11]
	s_and_b64 s[48:49], s[50:51], s[48:49]
	; wave barrier
	s_and_saveexec_b64 s[16:17], s[48:49]
	s_cbranch_execz .LBB984_55
; %bb.54:
	v_bcnt_u32_b32 v8, v10, 0
	v_bcnt_u32_b32 v8, v11, v8
	s_waitcnt lgkmcnt(0)
	v_add_u32_e32 v8, v39, v8
	ds_write_b32 v46, v8 offset:32
.LBB984_55:
	s_or_b64 exec, exec, s[16:17]
	v_lshrrev_b32_e32 v8, s96, v45
	v_and_b32_e32 v47, s5, v8
	v_mad_u32_u24 v8, v47, 36, v43
	; wave barrier
	ds_read_b32 v45, v8 offset:32
	v_and_b32_e32 v8, 1, v47
	v_lshl_add_u64 v[10:11], v[8:9], 0, -1
	v_cmp_ne_u32_e64 s[48:49], 0, v8
	v_mul_u32_u24_e32 v50, 36, v47
	v_add_u32_e32 v50, v43, v50
	v_xor_b32_e32 v10, s48, v10
	v_xor_b32_e32 v8, s49, v11
	v_and_b32_e32 v52, exec_lo, v10
	v_lshlrev_b32_e32 v11, 30, v47
	v_mov_b32_e32 v10, v9
	v_cmp_gt_i64_e64 s[48:49], 0, v[10:11]
	v_not_b32_e32 v10, v11
	v_ashrrev_i32_e32 v10, 31, v10
	v_and_b32_e32 v8, exec_hi, v8
	v_xor_b32_e32 v11, s49, v10
	v_xor_b32_e32 v10, s48, v10
	v_and_b32_e32 v8, v8, v11
	v_and_b32_e32 v52, v52, v10
	v_lshlrev_b32_e32 v11, 29, v47
	v_mov_b32_e32 v10, v9
	v_cmp_gt_i64_e64 s[48:49], 0, v[10:11]
	v_not_b32_e32 v10, v11
	v_ashrrev_i32_e32 v10, 31, v10
	v_xor_b32_e32 v11, s49, v10
	v_xor_b32_e32 v10, s48, v10
	v_and_b32_e32 v8, v8, v11
	v_and_b32_e32 v52, v52, v10
	v_lshlrev_b32_e32 v11, 28, v47
	v_mov_b32_e32 v10, v9
	v_cmp_gt_i64_e64 s[48:49], 0, v[10:11]
	v_not_b32_e32 v10, v11
	v_ashrrev_i32_e32 v10, 31, v10
	;; [unrolled: 9-line block ×3, first 2 shown]
	v_xor_b32_e32 v11, s49, v10
	v_xor_b32_e32 v10, s48, v10
	v_and_b32_e32 v8, v8, v11
	v_lshlrev_b32_e32 v11, 26, v47
	v_and_b32_e32 v52, v52, v10
	v_mov_b32_e32 v10, v9
	v_not_b32_e32 v9, v11
	v_cmp_gt_i64_e64 s[48:49], 0, v[10:11]
	v_ashrrev_i32_e32 v9, 31, v9
	s_nop 0
	v_xor_b32_e32 v10, s49, v9
	v_xor_b32_e32 v11, s48, v9
	v_and_b32_e32 v9, v8, v10
	v_and_b32_e32 v8, v52, v11
	v_mbcnt_lo_u32_b32 v10, v8, 0
	v_mbcnt_hi_u32_b32 v47, v9, v10
	v_cmp_eq_u32_e64 s[48:49], 0, v47
	v_cmp_ne_u64_e64 s[50:51], 0, v[8:9]
	s_and_b64 s[48:49], s[50:51], s[48:49]
	; wave barrier
	s_and_saveexec_b64 s[16:17], s[48:49]
	s_cbranch_execz .LBB984_57
; %bb.56:
	v_bcnt_u32_b32 v8, v8, 0
	v_bcnt_u32_b32 v8, v9, v8
	s_waitcnt lgkmcnt(0)
	v_add_u32_e32 v8, v45, v8
	ds_write_b32 v50, v8 offset:32
.LBB984_57:
	s_or_b64 exec, exec, s[16:17]
	v_lshrrev_b32_e32 v8, s96, v48
	v_and_b32_e32 v52, s5, v8
	v_mad_u32_u24 v8, v52, 36, v43
	; wave barrier
	ds_read_b32 v48, v8 offset:32
	v_and_b32_e32 v8, 1, v52
	v_mov_b32_e32 v9, 0
	v_lshl_add_u64 v[10:11], v[8:9], 0, -1
	v_cmp_ne_u32_e64 s[48:49], 0, v8
	v_mul_u32_u24_e32 v54, 36, v52
	v_add_u32_e32 v54, v43, v54
	v_xor_b32_e32 v10, s48, v10
	v_xor_b32_e32 v8, s49, v11
	v_and_b32_e32 v56, exec_lo, v10
	v_lshlrev_b32_e32 v11, 30, v52
	v_mov_b32_e32 v10, v9
	v_cmp_gt_i64_e64 s[48:49], 0, v[10:11]
	v_not_b32_e32 v10, v11
	v_ashrrev_i32_e32 v10, 31, v10
	v_and_b32_e32 v8, exec_hi, v8
	v_xor_b32_e32 v11, s49, v10
	v_xor_b32_e32 v10, s48, v10
	v_and_b32_e32 v8, v8, v11
	v_and_b32_e32 v56, v56, v10
	v_lshlrev_b32_e32 v11, 29, v52
	v_mov_b32_e32 v10, v9
	v_cmp_gt_i64_e64 s[48:49], 0, v[10:11]
	v_not_b32_e32 v10, v11
	v_ashrrev_i32_e32 v10, 31, v10
	v_xor_b32_e32 v11, s49, v10
	v_xor_b32_e32 v10, s48, v10
	v_and_b32_e32 v8, v8, v11
	v_and_b32_e32 v56, v56, v10
	v_lshlrev_b32_e32 v11, 28, v52
	v_mov_b32_e32 v10, v9
	v_cmp_gt_i64_e64 s[48:49], 0, v[10:11]
	v_not_b32_e32 v10, v11
	v_ashrrev_i32_e32 v10, 31, v10
	;; [unrolled: 9-line block ×4, first 2 shown]
	v_xor_b32_e32 v11, s49, v10
	v_xor_b32_e32 v10, s48, v10
	v_and_b32_e32 v10, v56, v10
	v_and_b32_e32 v11, v8, v11
	v_mbcnt_lo_u32_b32 v8, v10, 0
	v_mbcnt_hi_u32_b32 v52, v11, v8
	v_cmp_eq_u32_e64 s[48:49], 0, v52
	v_cmp_ne_u64_e64 s[50:51], 0, v[10:11]
	s_and_b64 s[48:49], s[50:51], s[48:49]
	; wave barrier
	s_and_saveexec_b64 s[16:17], s[48:49]
	s_cbranch_execz .LBB984_59
; %bb.58:
	v_bcnt_u32_b32 v8, v10, 0
	v_bcnt_u32_b32 v8, v11, v8
	s_waitcnt lgkmcnt(0)
	v_add_u32_e32 v8, v48, v8
	ds_write_b32 v54, v8 offset:32
.LBB984_59:
	s_or_b64 exec, exec, s[16:17]
	v_lshrrev_b32_e32 v8, s96, v53
	v_and_b32_e32 v56, s5, v8
	v_mad_u32_u24 v8, v56, 36, v43
	; wave barrier
	ds_read_b32 v53, v8 offset:32
	v_and_b32_e32 v8, 1, v56
	v_lshl_add_u64 v[10:11], v[8:9], 0, -1
	v_cmp_ne_u32_e64 s[48:49], 0, v8
	v_mul_u32_u24_e32 v59, 36, v56
	v_add_u32_e32 v59, v43, v59
	v_xor_b32_e32 v10, s48, v10
	v_xor_b32_e32 v8, s49, v11
	v_and_b32_e32 v60, exec_lo, v10
	v_lshlrev_b32_e32 v11, 30, v56
	v_mov_b32_e32 v10, v9
	v_cmp_gt_i64_e64 s[48:49], 0, v[10:11]
	v_not_b32_e32 v10, v11
	v_ashrrev_i32_e32 v10, 31, v10
	v_and_b32_e32 v8, exec_hi, v8
	v_xor_b32_e32 v11, s49, v10
	v_xor_b32_e32 v10, s48, v10
	v_and_b32_e32 v8, v8, v11
	v_and_b32_e32 v60, v60, v10
	v_lshlrev_b32_e32 v11, 29, v56
	v_mov_b32_e32 v10, v9
	v_cmp_gt_i64_e64 s[48:49], 0, v[10:11]
	v_not_b32_e32 v10, v11
	v_ashrrev_i32_e32 v10, 31, v10
	v_xor_b32_e32 v11, s49, v10
	v_xor_b32_e32 v10, s48, v10
	v_and_b32_e32 v8, v8, v11
	v_and_b32_e32 v60, v60, v10
	v_lshlrev_b32_e32 v11, 28, v56
	v_mov_b32_e32 v10, v9
	v_cmp_gt_i64_e64 s[48:49], 0, v[10:11]
	v_not_b32_e32 v10, v11
	v_ashrrev_i32_e32 v10, 31, v10
	;; [unrolled: 9-line block ×3, first 2 shown]
	v_xor_b32_e32 v11, s49, v10
	v_xor_b32_e32 v10, s48, v10
	v_and_b32_e32 v8, v8, v11
	v_lshlrev_b32_e32 v11, 26, v56
	v_and_b32_e32 v60, v60, v10
	v_mov_b32_e32 v10, v9
	v_not_b32_e32 v9, v11
	v_cmp_gt_i64_e64 s[48:49], 0, v[10:11]
	v_ashrrev_i32_e32 v9, 31, v9
	s_nop 0
	v_xor_b32_e32 v10, s49, v9
	v_xor_b32_e32 v11, s48, v9
	v_and_b32_e32 v9, v8, v10
	v_and_b32_e32 v8, v60, v11
	v_mbcnt_lo_u32_b32 v10, v8, 0
	v_mbcnt_hi_u32_b32 v56, v9, v10
	v_cmp_eq_u32_e64 s[48:49], 0, v56
	v_cmp_ne_u64_e64 s[50:51], 0, v[8:9]
	s_and_b64 s[48:49], s[50:51], s[48:49]
	; wave barrier
	s_and_saveexec_b64 s[16:17], s[48:49]
	s_cbranch_execz .LBB984_61
; %bb.60:
	v_bcnt_u32_b32 v8, v8, 0
	v_bcnt_u32_b32 v8, v9, v8
	s_waitcnt lgkmcnt(0)
	v_add_u32_e32 v8, v53, v8
	ds_write_b32 v59, v8 offset:32
.LBB984_61:
	s_or_b64 exec, exec, s[16:17]
	v_lshrrev_b32_e32 v8, s96, v57
	v_and_b32_e32 v60, s5, v8
	v_mad_u32_u24 v8, v60, 36, v43
	; wave barrier
	ds_read_b32 v57, v8 offset:32
	v_and_b32_e32 v8, 1, v60
	v_mov_b32_e32 v9, 0
	v_lshl_add_u64 v[10:11], v[8:9], 0, -1
	v_cmp_ne_u32_e64 s[48:49], 0, v8
	v_mul_u32_u24_e32 v63, 36, v60
	v_add_u32_e32 v63, v43, v63
	v_xor_b32_e32 v10, s48, v10
	v_xor_b32_e32 v8, s49, v11
	v_and_b32_e32 v64, exec_lo, v10
	v_lshlrev_b32_e32 v11, 30, v60
	v_mov_b32_e32 v10, v9
	v_cmp_gt_i64_e64 s[48:49], 0, v[10:11]
	v_not_b32_e32 v10, v11
	v_ashrrev_i32_e32 v10, 31, v10
	v_and_b32_e32 v8, exec_hi, v8
	v_xor_b32_e32 v11, s49, v10
	v_xor_b32_e32 v10, s48, v10
	v_and_b32_e32 v8, v8, v11
	v_and_b32_e32 v64, v64, v10
	v_lshlrev_b32_e32 v11, 29, v60
	v_mov_b32_e32 v10, v9
	v_cmp_gt_i64_e64 s[48:49], 0, v[10:11]
	v_not_b32_e32 v10, v11
	v_ashrrev_i32_e32 v10, 31, v10
	v_xor_b32_e32 v11, s49, v10
	v_xor_b32_e32 v10, s48, v10
	v_and_b32_e32 v8, v8, v11
	v_and_b32_e32 v64, v64, v10
	v_lshlrev_b32_e32 v11, 28, v60
	v_mov_b32_e32 v10, v9
	v_cmp_gt_i64_e64 s[48:49], 0, v[10:11]
	v_not_b32_e32 v10, v11
	v_ashrrev_i32_e32 v10, 31, v10
	;; [unrolled: 9-line block ×4, first 2 shown]
	v_xor_b32_e32 v11, s49, v10
	v_xor_b32_e32 v10, s48, v10
	v_and_b32_e32 v10, v64, v10
	v_and_b32_e32 v11, v8, v11
	v_mbcnt_lo_u32_b32 v8, v10, 0
	v_mbcnt_hi_u32_b32 v60, v11, v8
	v_cmp_eq_u32_e64 s[48:49], 0, v60
	v_cmp_ne_u64_e64 s[50:51], 0, v[10:11]
	s_and_b64 s[48:49], s[50:51], s[48:49]
	; wave barrier
	s_and_saveexec_b64 s[16:17], s[48:49]
	s_cbranch_execz .LBB984_63
; %bb.62:
	v_bcnt_u32_b32 v8, v10, 0
	v_bcnt_u32_b32 v8, v11, v8
	s_waitcnt lgkmcnt(0)
	v_add_u32_e32 v8, v57, v8
	ds_write_b32 v63, v8 offset:32
.LBB984_63:
	s_or_b64 exec, exec, s[16:17]
	v_lshrrev_b32_e32 v8, s96, v61
	v_and_b32_e32 v64, s5, v8
	v_mad_u32_u24 v8, v64, 36, v43
	; wave barrier
	ds_read_b32 v61, v8 offset:32
	v_and_b32_e32 v8, 1, v64
	v_lshl_add_u64 v[10:11], v[8:9], 0, -1
	v_cmp_ne_u32_e64 s[48:49], 0, v8
	v_mul_u32_u24_e32 v67, 36, v64
	v_add_u32_e32 v67, v43, v67
	v_xor_b32_e32 v10, s48, v10
	v_xor_b32_e32 v8, s49, v11
	v_and_b32_e32 v68, exec_lo, v10
	v_lshlrev_b32_e32 v11, 30, v64
	v_mov_b32_e32 v10, v9
	v_cmp_gt_i64_e64 s[48:49], 0, v[10:11]
	v_not_b32_e32 v10, v11
	v_ashrrev_i32_e32 v10, 31, v10
	v_and_b32_e32 v8, exec_hi, v8
	v_xor_b32_e32 v11, s49, v10
	v_xor_b32_e32 v10, s48, v10
	v_and_b32_e32 v8, v8, v11
	v_and_b32_e32 v68, v68, v10
	v_lshlrev_b32_e32 v11, 29, v64
	v_mov_b32_e32 v10, v9
	v_cmp_gt_i64_e64 s[48:49], 0, v[10:11]
	v_not_b32_e32 v10, v11
	v_ashrrev_i32_e32 v10, 31, v10
	v_xor_b32_e32 v11, s49, v10
	v_xor_b32_e32 v10, s48, v10
	v_and_b32_e32 v8, v8, v11
	v_and_b32_e32 v68, v68, v10
	v_lshlrev_b32_e32 v11, 28, v64
	v_mov_b32_e32 v10, v9
	v_cmp_gt_i64_e64 s[48:49], 0, v[10:11]
	v_not_b32_e32 v10, v11
	v_ashrrev_i32_e32 v10, 31, v10
	;; [unrolled: 9-line block ×3, first 2 shown]
	v_xor_b32_e32 v11, s49, v10
	v_xor_b32_e32 v10, s48, v10
	v_and_b32_e32 v8, v8, v11
	v_lshlrev_b32_e32 v11, 26, v64
	v_and_b32_e32 v68, v68, v10
	v_mov_b32_e32 v10, v9
	v_not_b32_e32 v9, v11
	v_cmp_gt_i64_e64 s[48:49], 0, v[10:11]
	v_ashrrev_i32_e32 v9, 31, v9
	s_nop 0
	v_xor_b32_e32 v10, s49, v9
	v_xor_b32_e32 v11, s48, v9
	v_and_b32_e32 v9, v8, v10
	v_and_b32_e32 v8, v68, v11
	v_mbcnt_lo_u32_b32 v10, v8, 0
	v_mbcnt_hi_u32_b32 v64, v9, v10
	v_cmp_eq_u32_e64 s[48:49], 0, v64
	v_cmp_ne_u64_e64 s[50:51], 0, v[8:9]
	s_and_b64 s[48:49], s[50:51], s[48:49]
	; wave barrier
	s_and_saveexec_b64 s[16:17], s[48:49]
	s_cbranch_execz .LBB984_65
; %bb.64:
	v_bcnt_u32_b32 v8, v8, 0
	v_bcnt_u32_b32 v8, v9, v8
	s_waitcnt lgkmcnt(0)
	v_add_u32_e32 v8, v61, v8
	ds_write_b32 v67, v8 offset:32
.LBB984_65:
	s_or_b64 exec, exec, s[16:17]
	v_lshrrev_b32_e32 v8, s96, v66
	v_and_b32_e32 v68, s5, v8
	v_mad_u32_u24 v8, v68, 36, v43
	; wave barrier
	ds_read_b32 v66, v8 offset:32
	v_and_b32_e32 v8, 1, v68
	v_mov_b32_e32 v9, 0
	v_lshl_add_u64 v[10:11], v[8:9], 0, -1
	v_cmp_ne_u32_e64 s[48:49], 0, v8
	v_mul_u32_u24_e32 v72, 36, v68
	v_add_u32_e32 v72, v43, v72
	v_xor_b32_e32 v10, s48, v10
	v_xor_b32_e32 v8, s49, v11
	v_and_b32_e32 v73, exec_lo, v10
	v_lshlrev_b32_e32 v11, 30, v68
	v_mov_b32_e32 v10, v9
	v_cmp_gt_i64_e64 s[48:49], 0, v[10:11]
	v_not_b32_e32 v10, v11
	v_ashrrev_i32_e32 v10, 31, v10
	v_and_b32_e32 v8, exec_hi, v8
	v_xor_b32_e32 v11, s49, v10
	v_xor_b32_e32 v10, s48, v10
	v_and_b32_e32 v8, v8, v11
	v_and_b32_e32 v73, v73, v10
	v_lshlrev_b32_e32 v11, 29, v68
	v_mov_b32_e32 v10, v9
	v_cmp_gt_i64_e64 s[48:49], 0, v[10:11]
	v_not_b32_e32 v10, v11
	v_ashrrev_i32_e32 v10, 31, v10
	v_xor_b32_e32 v11, s49, v10
	v_xor_b32_e32 v10, s48, v10
	v_and_b32_e32 v8, v8, v11
	v_and_b32_e32 v73, v73, v10
	v_lshlrev_b32_e32 v11, 28, v68
	v_mov_b32_e32 v10, v9
	v_cmp_gt_i64_e64 s[48:49], 0, v[10:11]
	v_not_b32_e32 v10, v11
	v_ashrrev_i32_e32 v10, 31, v10
	;; [unrolled: 9-line block ×4, first 2 shown]
	v_xor_b32_e32 v11, s49, v10
	v_xor_b32_e32 v10, s48, v10
	v_and_b32_e32 v10, v73, v10
	v_and_b32_e32 v11, v8, v11
	v_mbcnt_lo_u32_b32 v8, v10, 0
	v_mbcnt_hi_u32_b32 v68, v11, v8
	v_cmp_eq_u32_e64 s[48:49], 0, v68
	v_cmp_ne_u64_e64 s[50:51], 0, v[10:11]
	s_and_b64 s[48:49], s[50:51], s[48:49]
	; wave barrier
	s_and_saveexec_b64 s[16:17], s[48:49]
	s_cbranch_execz .LBB984_67
; %bb.66:
	v_bcnt_u32_b32 v8, v10, 0
	v_bcnt_u32_b32 v8, v11, v8
	s_waitcnt lgkmcnt(0)
	v_add_u32_e32 v8, v66, v8
	ds_write_b32 v72, v8 offset:32
.LBB984_67:
	s_or_b64 exec, exec, s[16:17]
	v_lshrrev_b32_e32 v8, s96, v70
	v_and_b32_e32 v73, s5, v8
	v_mad_u32_u24 v8, v73, 36, v43
	; wave barrier
	ds_read_b32 v70, v8 offset:32
	v_and_b32_e32 v8, 1, v73
	v_lshl_add_u64 v[10:11], v[8:9], 0, -1
	v_cmp_ne_u32_e64 s[48:49], 0, v8
	v_mul_u32_u24_e32 v75, 36, v73
	v_add_u32_e32 v75, v43, v75
	v_xor_b32_e32 v10, s48, v10
	v_xor_b32_e32 v8, s49, v11
	v_and_b32_e32 v76, exec_lo, v10
	v_lshlrev_b32_e32 v11, 30, v73
	v_mov_b32_e32 v10, v9
	v_cmp_gt_i64_e64 s[48:49], 0, v[10:11]
	v_not_b32_e32 v10, v11
	v_ashrrev_i32_e32 v10, 31, v10
	v_and_b32_e32 v8, exec_hi, v8
	v_xor_b32_e32 v11, s49, v10
	v_xor_b32_e32 v10, s48, v10
	v_and_b32_e32 v8, v8, v11
	v_and_b32_e32 v76, v76, v10
	v_lshlrev_b32_e32 v11, 29, v73
	v_mov_b32_e32 v10, v9
	v_cmp_gt_i64_e64 s[48:49], 0, v[10:11]
	v_not_b32_e32 v10, v11
	v_ashrrev_i32_e32 v10, 31, v10
	v_xor_b32_e32 v11, s49, v10
	v_xor_b32_e32 v10, s48, v10
	v_and_b32_e32 v8, v8, v11
	v_and_b32_e32 v76, v76, v10
	v_lshlrev_b32_e32 v11, 28, v73
	v_mov_b32_e32 v10, v9
	v_cmp_gt_i64_e64 s[48:49], 0, v[10:11]
	v_not_b32_e32 v10, v11
	v_ashrrev_i32_e32 v10, 31, v10
	;; [unrolled: 9-line block ×3, first 2 shown]
	v_xor_b32_e32 v11, s49, v10
	v_xor_b32_e32 v10, s48, v10
	v_and_b32_e32 v8, v8, v11
	v_lshlrev_b32_e32 v11, 26, v73
	v_and_b32_e32 v76, v76, v10
	v_mov_b32_e32 v10, v9
	v_not_b32_e32 v9, v11
	v_cmp_gt_i64_e64 s[48:49], 0, v[10:11]
	v_ashrrev_i32_e32 v9, 31, v9
	s_nop 0
	v_xor_b32_e32 v10, s49, v9
	v_xor_b32_e32 v11, s48, v9
	v_and_b32_e32 v9, v8, v10
	v_and_b32_e32 v8, v76, v11
	v_mbcnt_lo_u32_b32 v10, v8, 0
	v_mbcnt_hi_u32_b32 v73, v9, v10
	v_cmp_eq_u32_e64 s[48:49], 0, v73
	v_cmp_ne_u64_e64 s[50:51], 0, v[8:9]
	s_and_b64 s[48:49], s[50:51], s[48:49]
	; wave barrier
	s_and_saveexec_b64 s[16:17], s[48:49]
	s_cbranch_execz .LBB984_69
; %bb.68:
	v_bcnt_u32_b32 v8, v8, 0
	v_bcnt_u32_b32 v8, v9, v8
	s_waitcnt lgkmcnt(0)
	v_add_u32_e32 v8, v70, v8
	ds_write_b32 v75, v8 offset:32
.LBB984_69:
	s_or_b64 exec, exec, s[16:17]
	v_lshrrev_b32_e32 v8, s96, v74
	v_and_b32_e32 v76, s5, v8
	v_mad_u32_u24 v8, v76, 36, v43
	; wave barrier
	ds_read_b32 v74, v8 offset:32
	v_and_b32_e32 v8, 1, v76
	v_mov_b32_e32 v9, 0
	v_lshl_add_u64 v[10:11], v[8:9], 0, -1
	v_cmp_ne_u32_e64 s[48:49], 0, v8
	v_mul_u32_u24_e32 v77, 36, v76
	v_add_u32_e32 v77, v43, v77
	v_xor_b32_e32 v10, s48, v10
	v_xor_b32_e32 v8, s49, v11
	v_and_b32_e32 v78, exec_lo, v10
	v_lshlrev_b32_e32 v11, 30, v76
	v_mov_b32_e32 v10, v9
	v_cmp_gt_i64_e64 s[48:49], 0, v[10:11]
	v_not_b32_e32 v10, v11
	v_ashrrev_i32_e32 v10, 31, v10
	v_and_b32_e32 v8, exec_hi, v8
	v_xor_b32_e32 v11, s49, v10
	v_xor_b32_e32 v10, s48, v10
	v_and_b32_e32 v8, v8, v11
	v_and_b32_e32 v78, v78, v10
	v_lshlrev_b32_e32 v11, 29, v76
	v_mov_b32_e32 v10, v9
	v_cmp_gt_i64_e64 s[48:49], 0, v[10:11]
	v_not_b32_e32 v10, v11
	v_ashrrev_i32_e32 v10, 31, v10
	v_xor_b32_e32 v11, s49, v10
	v_xor_b32_e32 v10, s48, v10
	v_and_b32_e32 v8, v8, v11
	v_and_b32_e32 v78, v78, v10
	v_lshlrev_b32_e32 v11, 28, v76
	v_mov_b32_e32 v10, v9
	v_cmp_gt_i64_e64 s[48:49], 0, v[10:11]
	v_not_b32_e32 v10, v11
	v_ashrrev_i32_e32 v10, 31, v10
	;; [unrolled: 9-line block ×4, first 2 shown]
	v_xor_b32_e32 v11, s49, v10
	v_xor_b32_e32 v10, s48, v10
	v_and_b32_e32 v10, v78, v10
	v_and_b32_e32 v11, v8, v11
	v_mbcnt_lo_u32_b32 v8, v10, 0
	v_mbcnt_hi_u32_b32 v76, v11, v8
	v_cmp_eq_u32_e64 s[48:49], 0, v76
	v_cmp_ne_u64_e64 s[50:51], 0, v[10:11]
	s_and_b64 s[48:49], s[50:51], s[48:49]
	; wave barrier
	s_and_saveexec_b64 s[16:17], s[48:49]
	s_cbranch_execz .LBB984_71
; %bb.70:
	v_bcnt_u32_b32 v8, v10, 0
	v_bcnt_u32_b32 v8, v11, v8
	s_waitcnt lgkmcnt(0)
	v_add_u32_e32 v8, v74, v8
	ds_write_b32 v77, v8 offset:32
.LBB984_71:
	s_or_b64 exec, exec, s[16:17]
	v_lshrrev_b32_e32 v8, s96, v71
	v_and_b32_e32 v78, s5, v8
	v_mad_u32_u24 v8, v78, 36, v43
	; wave barrier
	ds_read_b32 v71, v8 offset:32
	v_and_b32_e32 v8, 1, v78
	v_lshl_add_u64 v[10:11], v[8:9], 0, -1
	v_cmp_ne_u32_e64 s[48:49], 0, v8
	v_mul_u32_u24_e32 v79, 36, v78
	v_add_u32_e32 v79, v43, v79
	v_xor_b32_e32 v10, s48, v10
	v_xor_b32_e32 v8, s49, v11
	v_and_b32_e32 v80, exec_lo, v10
	v_lshlrev_b32_e32 v11, 30, v78
	v_mov_b32_e32 v10, v9
	v_cmp_gt_i64_e64 s[48:49], 0, v[10:11]
	v_not_b32_e32 v10, v11
	v_ashrrev_i32_e32 v10, 31, v10
	v_and_b32_e32 v8, exec_hi, v8
	v_xor_b32_e32 v11, s49, v10
	v_xor_b32_e32 v10, s48, v10
	v_and_b32_e32 v8, v8, v11
	v_and_b32_e32 v80, v80, v10
	v_lshlrev_b32_e32 v11, 29, v78
	v_mov_b32_e32 v10, v9
	v_cmp_gt_i64_e64 s[48:49], 0, v[10:11]
	v_not_b32_e32 v10, v11
	v_ashrrev_i32_e32 v10, 31, v10
	v_xor_b32_e32 v11, s49, v10
	v_xor_b32_e32 v10, s48, v10
	v_and_b32_e32 v8, v8, v11
	v_and_b32_e32 v80, v80, v10
	v_lshlrev_b32_e32 v11, 28, v78
	v_mov_b32_e32 v10, v9
	v_cmp_gt_i64_e64 s[48:49], 0, v[10:11]
	v_not_b32_e32 v10, v11
	v_ashrrev_i32_e32 v10, 31, v10
	v_xor_b32_e32 v11, s49, v10
	v_xor_b32_e32 v10, s48, v10
	v_and_b32_e32 v8, v8, v11
	v_and_b32_e32 v80, v80, v10
	v_lshlrev_b32_e32 v11, 27, v78
	v_mov_b32_e32 v10, v9
	v_cmp_gt_i64_e64 s[48:49], 0, v[10:11]
	v_not_b32_e32 v10, v11
	v_ashrrev_i32_e32 v10, 31, v10
	v_xor_b32_e32 v11, s49, v10
	v_xor_b32_e32 v10, s48, v10
	v_and_b32_e32 v8, v8, v11
	v_lshlrev_b32_e32 v11, 26, v78
	v_and_b32_e32 v80, v80, v10
	v_mov_b32_e32 v10, v9
	v_not_b32_e32 v9, v11
	v_cmp_gt_i64_e64 s[48:49], 0, v[10:11]
	v_ashrrev_i32_e32 v9, 31, v9
	s_nop 0
	v_xor_b32_e32 v10, s49, v9
	v_xor_b32_e32 v11, s48, v9
	v_and_b32_e32 v9, v8, v10
	v_and_b32_e32 v8, v80, v11
	v_mbcnt_lo_u32_b32 v10, v8, 0
	v_mbcnt_hi_u32_b32 v78, v9, v10
	v_cmp_eq_u32_e64 s[48:49], 0, v78
	v_cmp_ne_u64_e64 s[50:51], 0, v[8:9]
	s_and_b64 s[48:49], s[50:51], s[48:49]
	; wave barrier
	s_and_saveexec_b64 s[16:17], s[48:49]
	s_cbranch_execz .LBB984_73
; %bb.72:
	v_bcnt_u32_b32 v8, v8, 0
	v_bcnt_u32_b32 v8, v9, v8
	s_waitcnt lgkmcnt(0)
	v_add_u32_e32 v8, v71, v8
	ds_write_b32 v79, v8 offset:32
.LBB984_73:
	s_or_b64 exec, exec, s[16:17]
	v_lshrrev_b32_e32 v8, s96, v69
	v_and_b32_e32 v80, s5, v8
	v_mad_u32_u24 v8, v80, 36, v43
	; wave barrier
	ds_read_b32 v69, v8 offset:32
	v_and_b32_e32 v8, 1, v80
	v_mov_b32_e32 v9, 0
	v_lshl_add_u64 v[10:11], v[8:9], 0, -1
	v_cmp_ne_u32_e64 s[48:49], 0, v8
	v_mul_u32_u24_e32 v81, 36, v80
	v_add_u32_e32 v81, v43, v81
	v_xor_b32_e32 v10, s48, v10
	v_xor_b32_e32 v8, s49, v11
	v_and_b32_e32 v82, exec_lo, v10
	v_lshlrev_b32_e32 v11, 30, v80
	v_mov_b32_e32 v10, v9
	v_cmp_gt_i64_e64 s[48:49], 0, v[10:11]
	v_not_b32_e32 v10, v11
	v_ashrrev_i32_e32 v10, 31, v10
	v_and_b32_e32 v8, exec_hi, v8
	v_xor_b32_e32 v11, s49, v10
	v_xor_b32_e32 v10, s48, v10
	v_and_b32_e32 v8, v8, v11
	v_and_b32_e32 v82, v82, v10
	v_lshlrev_b32_e32 v11, 29, v80
	v_mov_b32_e32 v10, v9
	v_cmp_gt_i64_e64 s[48:49], 0, v[10:11]
	v_not_b32_e32 v10, v11
	v_ashrrev_i32_e32 v10, 31, v10
	v_xor_b32_e32 v11, s49, v10
	v_xor_b32_e32 v10, s48, v10
	v_and_b32_e32 v8, v8, v11
	v_and_b32_e32 v82, v82, v10
	v_lshlrev_b32_e32 v11, 28, v80
	v_mov_b32_e32 v10, v9
	v_cmp_gt_i64_e64 s[48:49], 0, v[10:11]
	v_not_b32_e32 v10, v11
	v_ashrrev_i32_e32 v10, 31, v10
	;; [unrolled: 9-line block ×4, first 2 shown]
	v_xor_b32_e32 v11, s49, v10
	v_xor_b32_e32 v10, s48, v10
	v_and_b32_e32 v10, v82, v10
	v_and_b32_e32 v11, v8, v11
	v_mbcnt_lo_u32_b32 v8, v10, 0
	v_mbcnt_hi_u32_b32 v80, v11, v8
	v_cmp_eq_u32_e64 s[48:49], 0, v80
	v_cmp_ne_u64_e64 s[50:51], 0, v[10:11]
	s_and_b64 s[48:49], s[50:51], s[48:49]
	; wave barrier
	s_and_saveexec_b64 s[16:17], s[48:49]
	s_cbranch_execz .LBB984_75
; %bb.74:
	v_bcnt_u32_b32 v8, v10, 0
	v_bcnt_u32_b32 v8, v11, v8
	s_waitcnt lgkmcnt(0)
	v_add_u32_e32 v8, v69, v8
	ds_write_b32 v81, v8 offset:32
.LBB984_75:
	s_or_b64 exec, exec, s[16:17]
	v_lshrrev_b32_e32 v8, s96, v65
	v_and_b32_e32 v82, s5, v8
	v_mad_u32_u24 v8, v82, 36, v43
	; wave barrier
	ds_read_b32 v65, v8 offset:32
	v_and_b32_e32 v8, 1, v82
	v_lshl_add_u64 v[10:11], v[8:9], 0, -1
	v_cmp_ne_u32_e64 s[48:49], 0, v8
	v_mul_u32_u24_e32 v83, 36, v82
	s_nop 0
	v_xor_b32_e32 v10, s48, v10
	v_xor_b32_e32 v8, s49, v11
	v_and_b32_e32 v84, exec_lo, v10
	v_lshlrev_b32_e32 v11, 30, v82
	v_mov_b32_e32 v10, v9
	v_cmp_gt_i64_e64 s[48:49], 0, v[10:11]
	v_not_b32_e32 v10, v11
	v_ashrrev_i32_e32 v10, 31, v10
	v_and_b32_e32 v8, exec_hi, v8
	v_xor_b32_e32 v11, s49, v10
	v_xor_b32_e32 v10, s48, v10
	v_and_b32_e32 v8, v8, v11
	v_and_b32_e32 v84, v84, v10
	v_lshlrev_b32_e32 v11, 29, v82
	v_mov_b32_e32 v10, v9
	v_cmp_gt_i64_e64 s[48:49], 0, v[10:11]
	v_not_b32_e32 v10, v11
	v_ashrrev_i32_e32 v10, 31, v10
	v_xor_b32_e32 v11, s49, v10
	v_xor_b32_e32 v10, s48, v10
	v_and_b32_e32 v8, v8, v11
	v_and_b32_e32 v84, v84, v10
	v_lshlrev_b32_e32 v11, 28, v82
	v_mov_b32_e32 v10, v9
	v_cmp_gt_i64_e64 s[48:49], 0, v[10:11]
	v_not_b32_e32 v10, v11
	v_ashrrev_i32_e32 v10, 31, v10
	;; [unrolled: 9-line block ×3, first 2 shown]
	v_xor_b32_e32 v11, s49, v10
	v_xor_b32_e32 v10, s48, v10
	v_and_b32_e32 v8, v8, v11
	v_lshlrev_b32_e32 v11, 26, v82
	v_and_b32_e32 v84, v84, v10
	v_mov_b32_e32 v10, v9
	v_not_b32_e32 v9, v11
	v_cmp_gt_i64_e64 s[48:49], 0, v[10:11]
	v_ashrrev_i32_e32 v9, 31, v9
	; wave barrier
	s_nop 0
	v_xor_b32_e32 v10, s49, v9
	v_xor_b32_e32 v11, s48, v9
	v_and_b32_e32 v9, v8, v10
	v_and_b32_e32 v8, v84, v11
	v_mbcnt_lo_u32_b32 v10, v8, 0
	v_mbcnt_hi_u32_b32 v82, v9, v10
	v_cmp_eq_u32_e64 s[48:49], 0, v82
	v_cmp_ne_u64_e64 s[50:51], 0, v[8:9]
	s_and_b64 s[48:49], s[50:51], s[48:49]
	v_add_u32_e32 v84, v43, v83
	s_and_saveexec_b64 s[16:17], s[48:49]
	s_cbranch_execz .LBB984_77
; %bb.76:
	v_bcnt_u32_b32 v8, v8, 0
	v_bcnt_u32_b32 v8, v9, v8
	s_waitcnt lgkmcnt(0)
	v_add_u32_e32 v8, v65, v8
	ds_write_b32 v84, v8 offset:32
.LBB984_77:
	s_or_b64 exec, exec, s[16:17]
	v_lshrrev_b32_e32 v8, s96, v62
	v_and_b32_e32 v62, s5, v8
	v_mad_u32_u24 v8, v62, 36, v43
	; wave barrier
	ds_read_b32 v83, v8 offset:32
	v_and_b32_e32 v8, 1, v62
	v_mov_b32_e32 v9, 0
	v_lshl_add_u64 v[10:11], v[8:9], 0, -1
	v_cmp_ne_u32_e64 s[48:49], 0, v8
	v_mul_u32_u24_e32 v86, 36, v62
	s_nop 0
	v_xor_b32_e32 v10, s48, v10
	v_xor_b32_e32 v8, s49, v11
	v_and_b32_e32 v85, exec_lo, v10
	v_lshlrev_b32_e32 v11, 30, v62
	v_mov_b32_e32 v10, v9
	v_cmp_gt_i64_e64 s[48:49], 0, v[10:11]
	v_not_b32_e32 v10, v11
	v_ashrrev_i32_e32 v10, 31, v10
	v_and_b32_e32 v8, exec_hi, v8
	v_xor_b32_e32 v11, s49, v10
	v_xor_b32_e32 v10, s48, v10
	v_and_b32_e32 v8, v8, v11
	v_and_b32_e32 v85, v85, v10
	v_lshlrev_b32_e32 v11, 29, v62
	v_mov_b32_e32 v10, v9
	v_cmp_gt_i64_e64 s[48:49], 0, v[10:11]
	v_not_b32_e32 v10, v11
	v_ashrrev_i32_e32 v10, 31, v10
	v_xor_b32_e32 v11, s49, v10
	v_xor_b32_e32 v10, s48, v10
	v_and_b32_e32 v8, v8, v11
	v_and_b32_e32 v85, v85, v10
	v_lshlrev_b32_e32 v11, 28, v62
	v_mov_b32_e32 v10, v9
	v_cmp_gt_i64_e64 s[48:49], 0, v[10:11]
	v_not_b32_e32 v10, v11
	v_ashrrev_i32_e32 v10, 31, v10
	;; [unrolled: 9-line block ×4, first 2 shown]
	v_xor_b32_e32 v11, s49, v10
	v_xor_b32_e32 v10, s48, v10
	v_and_b32_e32 v10, v85, v10
	v_and_b32_e32 v11, v8, v11
	v_mbcnt_lo_u32_b32 v8, v10, 0
	v_mbcnt_hi_u32_b32 v85, v11, v8
	v_cmp_eq_u32_e64 s[48:49], 0, v85
	v_cmp_ne_u64_e64 s[50:51], 0, v[10:11]
	s_and_b64 s[48:49], s[50:51], s[48:49]
	v_add_u32_e32 v62, v43, v86
	; wave barrier
	s_and_saveexec_b64 s[16:17], s[48:49]
	s_cbranch_execz .LBB984_79
; %bb.78:
	v_bcnt_u32_b32 v8, v10, 0
	v_bcnt_u32_b32 v8, v11, v8
	s_waitcnt lgkmcnt(0)
	v_add_u32_e32 v8, v83, v8
	ds_write_b32 v62, v8 offset:32
.LBB984_79:
	s_or_b64 exec, exec, s[16:17]
	v_lshrrev_b32_e32 v8, s96, v58
	v_and_b32_e32 v58, s5, v8
	v_mad_u32_u24 v8, v58, 36, v43
	; wave barrier
	ds_read_b32 v86, v8 offset:32
	v_and_b32_e32 v8, 1, v58
	v_lshl_add_u64 v[10:11], v[8:9], 0, -1
	v_cmp_ne_u32_e64 s[48:49], 0, v8
	v_mul_u32_u24_e32 v88, 36, v58
	s_nop 0
	v_xor_b32_e32 v10, s48, v10
	v_xor_b32_e32 v8, s49, v11
	v_and_b32_e32 v87, exec_lo, v10
	v_lshlrev_b32_e32 v11, 30, v58
	v_mov_b32_e32 v10, v9
	v_cmp_gt_i64_e64 s[48:49], 0, v[10:11]
	v_not_b32_e32 v10, v11
	v_ashrrev_i32_e32 v10, 31, v10
	v_and_b32_e32 v8, exec_hi, v8
	v_xor_b32_e32 v11, s49, v10
	v_xor_b32_e32 v10, s48, v10
	v_and_b32_e32 v8, v8, v11
	v_and_b32_e32 v87, v87, v10
	v_lshlrev_b32_e32 v11, 29, v58
	v_mov_b32_e32 v10, v9
	v_cmp_gt_i64_e64 s[48:49], 0, v[10:11]
	v_not_b32_e32 v10, v11
	v_ashrrev_i32_e32 v10, 31, v10
	v_xor_b32_e32 v11, s49, v10
	v_xor_b32_e32 v10, s48, v10
	v_and_b32_e32 v8, v8, v11
	v_and_b32_e32 v87, v87, v10
	v_lshlrev_b32_e32 v11, 28, v58
	v_mov_b32_e32 v10, v9
	v_cmp_gt_i64_e64 s[48:49], 0, v[10:11]
	v_not_b32_e32 v10, v11
	v_ashrrev_i32_e32 v10, 31, v10
	;; [unrolled: 9-line block ×3, first 2 shown]
	v_xor_b32_e32 v11, s49, v10
	v_xor_b32_e32 v10, s48, v10
	v_and_b32_e32 v8, v8, v11
	v_lshlrev_b32_e32 v11, 26, v58
	v_and_b32_e32 v87, v87, v10
	v_mov_b32_e32 v10, v9
	v_not_b32_e32 v9, v11
	v_cmp_gt_i64_e64 s[48:49], 0, v[10:11]
	v_ashrrev_i32_e32 v9, 31, v9
	v_add_u32_e32 v58, v43, v88
	v_xor_b32_e32 v10, s49, v9
	v_xor_b32_e32 v11, s48, v9
	v_and_b32_e32 v9, v8, v10
	v_and_b32_e32 v8, v87, v11
	v_mbcnt_lo_u32_b32 v10, v8, 0
	v_mbcnt_hi_u32_b32 v87, v9, v10
	v_cmp_eq_u32_e64 s[48:49], 0, v87
	v_cmp_ne_u64_e64 s[50:51], 0, v[8:9]
	s_and_b64 s[48:49], s[50:51], s[48:49]
	; wave barrier
	s_and_saveexec_b64 s[16:17], s[48:49]
	s_cbranch_execz .LBB984_81
; %bb.80:
	v_bcnt_u32_b32 v8, v8, 0
	v_bcnt_u32_b32 v8, v9, v8
	s_waitcnt lgkmcnt(0)
	v_add_u32_e32 v8, v86, v8
	ds_write_b32 v58, v8 offset:32
.LBB984_81:
	s_or_b64 exec, exec, s[16:17]
	v_lshrrev_b32_e32 v8, s96, v55
	v_and_b32_e32 v88, s5, v8
	v_mad_u32_u24 v8, v88, 36, v43
	; wave barrier
	ds_read_b32 v55, v8 offset:32
	v_and_b32_e32 v8, 1, v88
	v_mov_b32_e32 v9, 0
	v_lshl_add_u64 v[10:11], v[8:9], 0, -1
	v_cmp_ne_u32_e64 s[48:49], 0, v8
	v_mul_u32_u24_e32 v89, 36, v88
	v_add_u32_e32 v89, v43, v89
	v_xor_b32_e32 v10, s48, v10
	v_xor_b32_e32 v8, s49, v11
	v_and_b32_e32 v90, exec_lo, v10
	v_lshlrev_b32_e32 v11, 30, v88
	v_mov_b32_e32 v10, v9
	v_cmp_gt_i64_e64 s[48:49], 0, v[10:11]
	v_not_b32_e32 v10, v11
	v_ashrrev_i32_e32 v10, 31, v10
	v_and_b32_e32 v8, exec_hi, v8
	v_xor_b32_e32 v11, s49, v10
	v_xor_b32_e32 v10, s48, v10
	v_and_b32_e32 v8, v8, v11
	v_and_b32_e32 v90, v90, v10
	v_lshlrev_b32_e32 v11, 29, v88
	v_mov_b32_e32 v10, v9
	v_cmp_gt_i64_e64 s[48:49], 0, v[10:11]
	v_not_b32_e32 v10, v11
	v_ashrrev_i32_e32 v10, 31, v10
	v_xor_b32_e32 v11, s49, v10
	v_xor_b32_e32 v10, s48, v10
	v_and_b32_e32 v8, v8, v11
	v_and_b32_e32 v90, v90, v10
	v_lshlrev_b32_e32 v11, 28, v88
	v_mov_b32_e32 v10, v9
	v_cmp_gt_i64_e64 s[48:49], 0, v[10:11]
	v_not_b32_e32 v10, v11
	v_ashrrev_i32_e32 v10, 31, v10
	;; [unrolled: 9-line block ×4, first 2 shown]
	v_xor_b32_e32 v11, s49, v10
	v_xor_b32_e32 v10, s48, v10
	v_and_b32_e32 v10, v90, v10
	v_and_b32_e32 v11, v8, v11
	v_mbcnt_lo_u32_b32 v8, v10, 0
	v_mbcnt_hi_u32_b32 v88, v11, v8
	v_cmp_eq_u32_e64 s[48:49], 0, v88
	v_cmp_ne_u64_e64 s[50:51], 0, v[10:11]
	s_and_b64 s[48:49], s[50:51], s[48:49]
	; wave barrier
	s_and_saveexec_b64 s[16:17], s[48:49]
	s_cbranch_execz .LBB984_83
; %bb.82:
	v_bcnt_u32_b32 v8, v10, 0
	v_bcnt_u32_b32 v8, v11, v8
	s_waitcnt lgkmcnt(0)
	v_add_u32_e32 v8, v55, v8
	ds_write_b32 v89, v8 offset:32
.LBB984_83:
	s_or_b64 exec, exec, s[16:17]
	v_lshrrev_b32_e32 v8, s96, v51
	v_and_b32_e32 v90, s5, v8
	v_mad_u32_u24 v8, v90, 36, v43
	; wave barrier
	ds_read_b32 v51, v8 offset:32
	v_and_b32_e32 v8, 1, v90
	v_lshl_add_u64 v[10:11], v[8:9], 0, -1
	v_cmp_ne_u32_e64 s[48:49], 0, v8
	v_mul_u32_u24_e32 v91, 36, v90
	v_add_u32_e32 v91, v43, v91
	v_xor_b32_e32 v10, s48, v10
	v_xor_b32_e32 v8, s49, v11
	v_and_b32_e32 v92, exec_lo, v10
	v_lshlrev_b32_e32 v11, 30, v90
	v_mov_b32_e32 v10, v9
	v_cmp_gt_i64_e64 s[48:49], 0, v[10:11]
	v_not_b32_e32 v10, v11
	v_ashrrev_i32_e32 v10, 31, v10
	v_and_b32_e32 v8, exec_hi, v8
	v_xor_b32_e32 v11, s49, v10
	v_xor_b32_e32 v10, s48, v10
	v_and_b32_e32 v8, v8, v11
	v_and_b32_e32 v92, v92, v10
	v_lshlrev_b32_e32 v11, 29, v90
	v_mov_b32_e32 v10, v9
	v_cmp_gt_i64_e64 s[48:49], 0, v[10:11]
	v_not_b32_e32 v10, v11
	v_ashrrev_i32_e32 v10, 31, v10
	v_xor_b32_e32 v11, s49, v10
	v_xor_b32_e32 v10, s48, v10
	v_and_b32_e32 v8, v8, v11
	v_and_b32_e32 v92, v92, v10
	v_lshlrev_b32_e32 v11, 28, v90
	v_mov_b32_e32 v10, v9
	v_cmp_gt_i64_e64 s[48:49], 0, v[10:11]
	v_not_b32_e32 v10, v11
	v_ashrrev_i32_e32 v10, 31, v10
	;; [unrolled: 9-line block ×3, first 2 shown]
	v_xor_b32_e32 v11, s49, v10
	v_xor_b32_e32 v10, s48, v10
	v_and_b32_e32 v8, v8, v11
	v_lshlrev_b32_e32 v11, 26, v90
	v_and_b32_e32 v92, v92, v10
	v_mov_b32_e32 v10, v9
	v_not_b32_e32 v9, v11
	v_cmp_gt_i64_e64 s[48:49], 0, v[10:11]
	v_ashrrev_i32_e32 v9, 31, v9
	s_nop 0
	v_xor_b32_e32 v10, s49, v9
	v_xor_b32_e32 v11, s48, v9
	v_and_b32_e32 v9, v8, v10
	v_and_b32_e32 v8, v92, v11
	v_mbcnt_lo_u32_b32 v10, v8, 0
	v_mbcnt_hi_u32_b32 v90, v9, v10
	v_cmp_eq_u32_e64 s[48:49], 0, v90
	v_cmp_ne_u64_e64 s[50:51], 0, v[8:9]
	s_and_b64 s[48:49], s[50:51], s[48:49]
	; wave barrier
	s_and_saveexec_b64 s[16:17], s[48:49]
	s_cbranch_execz .LBB984_85
; %bb.84:
	v_bcnt_u32_b32 v8, v8, 0
	v_bcnt_u32_b32 v8, v9, v8
	s_waitcnt lgkmcnt(0)
	v_add_u32_e32 v8, v51, v8
	ds_write_b32 v91, v8 offset:32
.LBB984_85:
	s_or_b64 exec, exec, s[16:17]
	v_lshrrev_b32_e32 v8, s96, v49
	v_and_b32_e32 v92, s5, v8
	v_mad_u32_u24 v8, v92, 36, v43
	; wave barrier
	ds_read_b32 v49, v8 offset:32
	v_and_b32_e32 v8, 1, v92
	v_mov_b32_e32 v9, 0
	v_lshl_add_u64 v[10:11], v[8:9], 0, -1
	v_cmp_ne_u32_e64 s[48:49], 0, v8
	v_mul_u32_u24_e32 v93, 36, v92
	s_nop 0
	v_xor_b32_e32 v10, s48, v10
	v_xor_b32_e32 v8, s49, v11
	v_and_b32_e32 v94, exec_lo, v10
	v_lshlrev_b32_e32 v11, 30, v92
	v_mov_b32_e32 v10, v9
	v_cmp_gt_i64_e64 s[48:49], 0, v[10:11]
	v_not_b32_e32 v10, v11
	v_ashrrev_i32_e32 v10, 31, v10
	v_and_b32_e32 v8, exec_hi, v8
	v_xor_b32_e32 v11, s49, v10
	v_xor_b32_e32 v10, s48, v10
	v_and_b32_e32 v8, v8, v11
	v_and_b32_e32 v94, v94, v10
	v_lshlrev_b32_e32 v11, 29, v92
	v_mov_b32_e32 v10, v9
	v_cmp_gt_i64_e64 s[48:49], 0, v[10:11]
	v_not_b32_e32 v10, v11
	v_ashrrev_i32_e32 v10, 31, v10
	v_xor_b32_e32 v11, s49, v10
	v_xor_b32_e32 v10, s48, v10
	v_and_b32_e32 v8, v8, v11
	v_and_b32_e32 v94, v94, v10
	v_lshlrev_b32_e32 v11, 28, v92
	v_mov_b32_e32 v10, v9
	v_cmp_gt_i64_e64 s[48:49], 0, v[10:11]
	v_not_b32_e32 v10, v11
	v_ashrrev_i32_e32 v10, 31, v10
	v_xor_b32_e32 v11, s49, v10
	v_xor_b32_e32 v10, s48, v10
	v_and_b32_e32 v8, v8, v11
	v_and_b32_e32 v94, v94, v10
	v_lshlrev_b32_e32 v11, 27, v92
	v_mov_b32_e32 v10, v9
	v_cmp_gt_i64_e64 s[48:49], 0, v[10:11]
	v_not_b32_e32 v10, v11
	v_ashrrev_i32_e32 v10, 31, v10
	v_xor_b32_e32 v11, s49, v10
	v_xor_b32_e32 v10, s48, v10
	v_and_b32_e32 v8, v8, v11
	v_and_b32_e32 v94, v94, v10
	v_lshlrev_b32_e32 v11, 26, v92
	v_mov_b32_e32 v10, v9
	v_cmp_gt_i64_e64 s[48:49], 0, v[10:11]
	v_not_b32_e32 v10, v11
	v_ashrrev_i32_e32 v10, 31, v10
	v_xor_b32_e32 v11, s49, v10
	v_xor_b32_e32 v10, s48, v10
	v_and_b32_e32 v10, v94, v10
	v_and_b32_e32 v11, v8, v11
	v_mbcnt_lo_u32_b32 v8, v10, 0
	v_mbcnt_hi_u32_b32 v92, v11, v8
	v_cmp_eq_u32_e64 s[48:49], 0, v92
	v_cmp_ne_u64_e64 s[50:51], 0, v[10:11]
	s_and_b64 s[48:49], s[50:51], s[48:49]
	v_add_u32_e32 v94, v43, v93
	; wave barrier
	s_and_saveexec_b64 s[16:17], s[48:49]
	s_cbranch_execz .LBB984_87
; %bb.86:
	v_bcnt_u32_b32 v8, v10, 0
	v_bcnt_u32_b32 v8, v11, v8
	s_waitcnt lgkmcnt(0)
	v_add_u32_e32 v8, v49, v8
	ds_write_b32 v94, v8 offset:32
.LBB984_87:
	s_or_b64 exec, exec, s[16:17]
	v_lshrrev_b32_e32 v8, s96, v44
	v_and_b32_e32 v44, s5, v8
	v_mad_u32_u24 v8, v44, 36, v43
	; wave barrier
	ds_read_b32 v93, v8 offset:32
	v_and_b32_e32 v8, 1, v44
	v_lshl_add_u64 v[10:11], v[8:9], 0, -1
	v_cmp_ne_u32_e64 s[48:49], 0, v8
	v_mul_u32_u24_e32 v96, 36, v44
	s_nop 0
	v_xor_b32_e32 v10, s48, v10
	v_xor_b32_e32 v8, s49, v11
	v_and_b32_e32 v95, exec_lo, v10
	v_lshlrev_b32_e32 v11, 30, v44
	v_mov_b32_e32 v10, v9
	v_cmp_gt_i64_e64 s[48:49], 0, v[10:11]
	v_not_b32_e32 v10, v11
	v_ashrrev_i32_e32 v10, 31, v10
	v_and_b32_e32 v8, exec_hi, v8
	v_xor_b32_e32 v11, s49, v10
	v_xor_b32_e32 v10, s48, v10
	v_and_b32_e32 v8, v8, v11
	v_and_b32_e32 v95, v95, v10
	v_lshlrev_b32_e32 v11, 29, v44
	v_mov_b32_e32 v10, v9
	v_cmp_gt_i64_e64 s[48:49], 0, v[10:11]
	v_not_b32_e32 v10, v11
	v_ashrrev_i32_e32 v10, 31, v10
	v_xor_b32_e32 v11, s49, v10
	v_xor_b32_e32 v10, s48, v10
	v_and_b32_e32 v8, v8, v11
	v_and_b32_e32 v95, v95, v10
	v_lshlrev_b32_e32 v11, 28, v44
	v_mov_b32_e32 v10, v9
	v_cmp_gt_i64_e64 s[48:49], 0, v[10:11]
	v_not_b32_e32 v10, v11
	v_ashrrev_i32_e32 v10, 31, v10
	;; [unrolled: 9-line block ×3, first 2 shown]
	v_xor_b32_e32 v11, s49, v10
	v_xor_b32_e32 v10, s48, v10
	v_and_b32_e32 v8, v8, v11
	v_lshlrev_b32_e32 v11, 26, v44
	v_and_b32_e32 v95, v95, v10
	v_mov_b32_e32 v10, v9
	v_not_b32_e32 v9, v11
	v_cmp_gt_i64_e64 s[48:49], 0, v[10:11]
	v_ashrrev_i32_e32 v9, 31, v9
	v_add_u32_e32 v44, v43, v96
	v_xor_b32_e32 v10, s49, v9
	v_xor_b32_e32 v11, s48, v9
	v_and_b32_e32 v9, v8, v10
	v_and_b32_e32 v8, v95, v11
	v_mbcnt_lo_u32_b32 v10, v8, 0
	v_mbcnt_hi_u32_b32 v95, v9, v10
	v_cmp_eq_u32_e64 s[48:49], 0, v95
	v_cmp_ne_u64_e64 s[50:51], 0, v[8:9]
	s_and_b64 s[48:49], s[50:51], s[48:49]
	; wave barrier
	s_and_saveexec_b64 s[16:17], s[48:49]
	s_cbranch_execz .LBB984_89
; %bb.88:
	v_bcnt_u32_b32 v8, v8, 0
	v_bcnt_u32_b32 v8, v9, v8
	s_waitcnt lgkmcnt(0)
	v_add_u32_e32 v8, v93, v8
	ds_write_b32 v44, v8 offset:32
.LBB984_89:
	s_or_b64 exec, exec, s[16:17]
	v_lshrrev_b32_e32 v8, s96, v40
	v_and_b32_e32 v40, s5, v8
	v_mad_u32_u24 v8, v40, 36, v43
	; wave barrier
	ds_read_b32 v96, v8 offset:32
	v_and_b32_e32 v8, 1, v40
	v_mov_b32_e32 v9, 0
	v_lshl_add_u64 v[10:11], v[8:9], 0, -1
	v_cmp_ne_u32_e64 s[48:49], 0, v8
	v_mul_u32_u24_e32 v98, 36, v40
	s_nop 0
	v_xor_b32_e32 v10, s48, v10
	v_xor_b32_e32 v8, s49, v11
	v_and_b32_e32 v97, exec_lo, v10
	v_lshlrev_b32_e32 v11, 30, v40
	v_mov_b32_e32 v10, v9
	v_cmp_gt_i64_e64 s[48:49], 0, v[10:11]
	v_not_b32_e32 v10, v11
	v_ashrrev_i32_e32 v10, 31, v10
	v_and_b32_e32 v8, exec_hi, v8
	v_xor_b32_e32 v11, s49, v10
	v_xor_b32_e32 v10, s48, v10
	v_and_b32_e32 v8, v8, v11
	v_and_b32_e32 v97, v97, v10
	v_lshlrev_b32_e32 v11, 29, v40
	v_mov_b32_e32 v10, v9
	v_cmp_gt_i64_e64 s[48:49], 0, v[10:11]
	v_not_b32_e32 v10, v11
	v_ashrrev_i32_e32 v10, 31, v10
	v_xor_b32_e32 v11, s49, v10
	v_xor_b32_e32 v10, s48, v10
	v_and_b32_e32 v8, v8, v11
	v_and_b32_e32 v97, v97, v10
	v_lshlrev_b32_e32 v11, 28, v40
	v_mov_b32_e32 v10, v9
	v_cmp_gt_i64_e64 s[48:49], 0, v[10:11]
	v_not_b32_e32 v10, v11
	v_ashrrev_i32_e32 v10, 31, v10
	;; [unrolled: 9-line block ×4, first 2 shown]
	v_xor_b32_e32 v11, s49, v10
	v_xor_b32_e32 v10, s48, v10
	v_and_b32_e32 v10, v97, v10
	v_and_b32_e32 v11, v8, v11
	v_mbcnt_lo_u32_b32 v8, v10, 0
	v_mbcnt_hi_u32_b32 v97, v11, v8
	v_cmp_eq_u32_e64 s[48:49], 0, v97
	v_cmp_ne_u64_e64 s[50:51], 0, v[10:11]
	s_and_b64 s[48:49], s[50:51], s[48:49]
	v_add_u32_e32 v40, v43, v98
	; wave barrier
	s_and_saveexec_b64 s[16:17], s[48:49]
	s_cbranch_execz .LBB984_91
; %bb.90:
	v_bcnt_u32_b32 v8, v10, 0
	v_bcnt_u32_b32 v8, v11, v8
	s_waitcnt lgkmcnt(0)
	v_add_u32_e32 v8, v96, v8
	ds_write_b32 v40, v8 offset:32
.LBB984_91:
	s_or_b64 exec, exec, s[16:17]
	v_lshrrev_b32_e32 v8, s96, v36
	v_and_b32_e32 v11, s5, v8
	v_mad_u32_u24 v8, v11, 36, v43
	; wave barrier
	ds_read_b32 v10, v8 offset:32
	v_and_b32_e32 v8, 1, v11
	v_lshl_add_u64 v[98:99], v[8:9], 0, -1
	v_cmp_ne_u32_e64 s[48:49], 0, v8
	v_mul_u32_u24_e32 v36, 36, v11
	v_add_u32_e32 v36, v43, v36
	v_xor_b32_e32 v98, s48, v98
	v_xor_b32_e32 v8, s49, v99
	v_and_b32_e32 v100, exec_lo, v98
	v_lshlrev_b32_e32 v99, 30, v11
	v_mov_b32_e32 v98, v9
	v_cmp_gt_i64_e64 s[48:49], 0, v[98:99]
	v_not_b32_e32 v98, v99
	v_ashrrev_i32_e32 v98, 31, v98
	v_and_b32_e32 v8, exec_hi, v8
	v_xor_b32_e32 v99, s49, v98
	v_xor_b32_e32 v98, s48, v98
	v_and_b32_e32 v8, v8, v99
	v_and_b32_e32 v100, v100, v98
	v_lshlrev_b32_e32 v99, 29, v11
	v_mov_b32_e32 v98, v9
	v_cmp_gt_i64_e64 s[48:49], 0, v[98:99]
	v_not_b32_e32 v98, v99
	v_ashrrev_i32_e32 v98, 31, v98
	v_xor_b32_e32 v99, s49, v98
	v_xor_b32_e32 v98, s48, v98
	v_and_b32_e32 v8, v8, v99
	v_and_b32_e32 v100, v100, v98
	v_lshlrev_b32_e32 v99, 28, v11
	v_mov_b32_e32 v98, v9
	v_cmp_gt_i64_e64 s[48:49], 0, v[98:99]
	v_not_b32_e32 v98, v99
	v_ashrrev_i32_e32 v98, 31, v98
	;; [unrolled: 9-line block ×3, first 2 shown]
	v_xor_b32_e32 v99, s49, v98
	v_xor_b32_e32 v98, s48, v98
	v_and_b32_e32 v8, v8, v99
	v_lshlrev_b32_e32 v99, 26, v11
	v_and_b32_e32 v100, v100, v98
	v_mov_b32_e32 v98, v9
	v_not_b32_e32 v9, v99
	v_cmp_gt_i64_e64 s[48:49], 0, v[98:99]
	v_ashrrev_i32_e32 v9, 31, v9
	s_nop 0
	v_xor_b32_e32 v11, s49, v9
	v_xor_b32_e32 v98, s48, v9
	v_and_b32_e32 v9, v8, v11
	v_and_b32_e32 v8, v100, v98
	v_mbcnt_lo_u32_b32 v11, v8, 0
	v_mbcnt_hi_u32_b32 v11, v9, v11
	v_cmp_eq_u32_e64 s[48:49], 0, v11
	v_cmp_ne_u64_e64 s[50:51], 0, v[8:9]
	s_and_b64 s[48:49], s[50:51], s[48:49]
	; wave barrier
	s_and_saveexec_b64 s[16:17], s[48:49]
	s_cbranch_execz .LBB984_93
; %bb.92:
	v_bcnt_u32_b32 v8, v8, 0
	v_bcnt_u32_b32 v8, v9, v8
	s_waitcnt lgkmcnt(0)
	v_add_u32_e32 v8, v10, v8
	ds_write_b32 v36, v8 offset:32
.LBB984_93:
	s_or_b64 exec, exec, s[16:17]
	; wave barrier
	s_waitcnt lgkmcnt(0)
	s_barrier
	ds_read_b64 v[8:9], v33 offset:32
	v_and_b32_e32 v43, 15, v15
	v_cmp_ne_u32_e64 s[48:49], 0, v43
	v_min_u32_e32 v18, 0x1c0, v18
	v_or_b32_e32 v18, 63, v18
	s_waitcnt lgkmcnt(0)
	v_add_u32_e32 v9, v9, v8
	s_nop 1
	v_mov_b32_dpp v98, v9 row_shr:1 row_mask:0xf bank_mask:0xf
	v_cndmask_b32_e64 v98, 0, v98, s[48:49]
	v_add_u32_e32 v9, v98, v9
	v_cmp_lt_u32_e64 s[48:49], 1, v43
	s_nop 0
	v_mov_b32_dpp v98, v9 row_shr:2 row_mask:0xf bank_mask:0xf
	v_cndmask_b32_e64 v98, 0, v98, s[48:49]
	v_add_u32_e32 v9, v9, v98
	v_cmp_lt_u32_e64 s[48:49], 3, v43
	s_nop 0
	v_mov_b32_dpp v98, v9 row_shr:4 row_mask:0xf bank_mask:0xf
	v_cndmask_b32_e64 v98, 0, v98, s[48:49]
	v_add_u32_e32 v9, v9, v98
	v_cmp_lt_u32_e64 s[48:49], 7, v43
	s_nop 0
	v_mov_b32_dpp v98, v9 row_shr:8 row_mask:0xf bank_mask:0xf
	v_cndmask_b32_e64 v43, 0, v98, s[48:49]
	v_add_u32_e32 v9, v9, v43
	v_bfe_i32 v98, v15, 4, 1
	v_cmp_lt_u32_e64 s[48:49], 31, v15
	v_mov_b32_dpp v43, v9 row_bcast:15 row_mask:0xf bank_mask:0xf
	v_and_b32_e32 v43, v98, v43
	v_add_u32_e32 v9, v9, v43
	s_nop 1
	v_mov_b32_dpp v43, v9 row_bcast:31 row_mask:0xf bank_mask:0xf
	v_cndmask_b32_e64 v43, 0, v43, s[48:49]
	v_add_u32_e32 v9, v9, v43
	v_lshrrev_b32_e32 v43, 6, v2
	v_cmp_eq_u32_e64 s[48:49], v2, v18
	s_and_saveexec_b64 s[16:17], s[48:49]
; %bb.94:
	v_lshlrev_b32_e32 v18, 2, v43
	ds_write_b32 v18, v9
; %bb.95:
	s_or_b64 exec, exec, s[16:17]
	v_cmp_gt_u32_e64 s[48:49], 8, v2
	s_waitcnt lgkmcnt(0)
	s_barrier
	s_and_saveexec_b64 s[50:51], s[48:49]
	s_cbranch_execz .LBB984_97
; %bb.96:
	v_lshlrev_b32_e32 v18, 2, v2
	ds_read_b32 v98, v18
	v_and_b32_e32 v99, 7, v15
	v_cmp_ne_u32_e64 s[48:49], 0, v99
	s_waitcnt lgkmcnt(0)
	v_mov_b32_dpp v100, v98 row_shr:1 row_mask:0xf bank_mask:0xf
	v_cndmask_b32_e64 v100, 0, v100, s[48:49]
	v_add_u32_e32 v98, v100, v98
	v_cmp_lt_u32_e64 s[48:49], 1, v99
	s_nop 0
	v_mov_b32_dpp v100, v98 row_shr:2 row_mask:0xf bank_mask:0xf
	v_cndmask_b32_e64 v100, 0, v100, s[48:49]
	v_add_u32_e32 v98, v98, v100
	v_cmp_lt_u32_e64 s[48:49], 3, v99
	s_nop 0
	v_mov_b32_dpp v100, v98 row_shr:4 row_mask:0xf bank_mask:0xf
	v_cndmask_b32_e64 v99, 0, v100, s[48:49]
	v_add_u32_e32 v98, v98, v99
	ds_write_b32 v18, v98
.LBB984_97:
	s_or_b64 exec, exec, s[50:51]
	v_cmp_gt_u32_e64 s[50:51], 64, v2
	v_cmp_lt_u32_e64 s[48:49], 63, v2
	v_mov_b32_e32 v18, 0
	s_waitcnt lgkmcnt(0)
	s_barrier
	s_and_saveexec_b64 s[16:17], s[48:49]
; %bb.98:
	v_lshl_add_u32 v18, v43, 2, -4
	ds_read_b32 v18, v18
; %bb.99:
	s_or_b64 exec, exec, s[16:17]
	v_subrev_co_u32_e64 v43, s[52:53], 1, v15
	v_and_b32_e32 v98, 64, v15
	v_cmp_lt_i32_e64 s[54:55], v43, v98
	s_waitcnt lgkmcnt(0)
	v_add_u32_e32 v9, v18, v9
	v_cndmask_b32_e64 v15, v43, v15, s[54:55]
	v_lshlrev_b32_e32 v15, 2, v15
	ds_bpermute_b32 v9, v15, v9
                                        ; implicit-def: $vgpr15
	s_waitcnt lgkmcnt(0)
	v_cndmask_b32_e64 v9, v9, v18, s[52:53]
	v_cndmask_b32_e64 v98, v9, 0, s[94:95]
	v_add_u32_e32 v99, v98, v8
	ds_write_b64 v33, v[98:99] offset:32
	s_waitcnt lgkmcnt(0)
	s_barrier
	ds_read_b32 v8, v37 offset:32
	ds_read_b32 v9, v41 offset:32
	;; [unrolled: 1-line block ×22, first 2 shown]
                                        ; implicit-def: $vgpr18
	s_and_saveexec_b64 s[54:55], s[50:51]
	s_cbranch_execz .LBB984_103
; %bb.100:
	v_mul_u32_u24_e32 v15, 36, v2
	ds_read_b32 v15, v15 offset:32
	v_add_u32_e32 v36, 1, v2
	v_cmp_ne_u32_e64 s[52:53], 64, v36
	v_mov_b32_e32 v18, 0x2c00
	s_and_saveexec_b64 s[16:17], s[52:53]
; %bb.101:
	v_mul_u32_u24_e32 v18, 36, v36
	ds_read_b32 v18, v18 offset:32
; %bb.102:
	s_or_b64 exec, exec, s[16:17]
	s_waitcnt lgkmcnt(0)
	v_sub_u32_e32 v18, v18, v15
.LBB984_103:
	s_or_b64 exec, exec, s[54:55]
	s_waitcnt lgkmcnt(14)
	v_add_u32_e32 v75, v8, v34
	v_add3_u32 v67, v38, v35, v9
	v_add3_u32 v62, v42, v39, v33
	;; [unrolled: 1-line block ×7, first 2 shown]
	s_waitcnt lgkmcnt(13)
	v_add3_u32 v47, v68, v66, v63
	s_waitcnt lgkmcnt(12)
	v_add3_u32 v45, v73, v70, v72
	;; [unrolled: 2-line block ×10, first 2 shown]
	v_lshlrev_b32_e32 v83, 1, v75
	v_lshlrev_b32_e32 v78, 1, v67
	;; [unrolled: 1-line block ×13, first 2 shown]
	v_add3_u32 v39, v87, v86, v99
	s_waitcnt lgkmcnt(2)
	v_add3_u32 v35, v95, v93, v100
	s_waitcnt lgkmcnt(1)
	;; [unrolled: 2-line block ×3, first 2 shown]
	v_add3_u32 v33, v11, v10, v102
	s_barrier
	ds_write_b16 v83, v5 offset:256
	ds_write_b16 v78, v3 offset:256
	;; [unrolled: 1-line block ×13, first 2 shown]
	v_lshlrev_b32_e32 v24, 1, v41
	ds_write_b16 v24, v23 offset:256
	v_lshlrev_b32_e32 v23, 1, v40
	v_lshlrev_b32_e32 v22, 1, v39
	;; [unrolled: 1-line block ×8, first 2 shown]
	v_mov_b32_e32 v9, 0
	v_lshlrev_b32_e32 v3, 2, v2
	ds_write_b16 v23, v26 offset:256
	ds_write_b16 v22, v25 offset:256
	;; [unrolled: 1-line block ×8, first 2 shown]
	s_and_saveexec_b64 s[52:53], s[50:51]
	s_cbranch_execz .LBB984_113
; %bb.104:
	v_lshl_add_u32 v8, s33, 6, v2
	v_lshl_add_u64 v[10:11], v[8:9], 2, s[6:7]
	v_or_b32_e32 v5, 2.0, v18
	global_store_dword v[10:11], v5, off sc1
	s_mov_b64 s[54:55], 0
	s_brev_b32 s58, -4
	s_mov_b32 s59, s33
	v_mov_b32_e32 v5, 0
                                        ; implicit-def: $sgpr50_sgpr51
	s_branch .LBB984_107
.LBB984_105:                            ;   in Loop: Header=BB984_107 Depth=1
	s_or_b64 exec, exec, s[16:17]
.LBB984_106:                            ;   in Loop: Header=BB984_107 Depth=1
	s_or_b64 exec, exec, s[56:57]
	v_and_b32_e32 v8, 0x3fffffff, v7
	v_add_u32_e32 v5, v8, v5
	v_cmp_gt_i32_e64 s[50:51], -2.0, v7
	s_and_b64 s[16:17], exec, s[50:51]
	s_or_b64 s[54:55], s[16:17], s[54:55]
	s_andn2_b64 exec, exec, s[54:55]
	s_cbranch_execz .LBB984_112
.LBB984_107:                            ; =>This Loop Header: Depth=1
                                        ;     Child Loop BB984_110 Depth 2
	s_or_b64 s[50:51], s[50:51], exec
	s_cmp_eq_u32 s59, 0
	s_cbranch_scc1 .LBB984_111
; %bb.108:                              ;   in Loop: Header=BB984_107 Depth=1
	s_add_i32 s59, s59, -1
	v_lshl_or_b32 v8, s59, 6, v2
	v_lshl_add_u64 v[12:13], v[8:9], 2, s[6:7]
	global_load_dword v7, v[12:13], off sc1
	s_waitcnt vmcnt(0)
	v_cmp_gt_u32_e64 s[50:51], 2.0, v7
	s_and_saveexec_b64 s[56:57], s[50:51]
	s_cbranch_execz .LBB984_106
; %bb.109:                              ;   in Loop: Header=BB984_107 Depth=1
	s_mov_b64 s[16:17], 0
.LBB984_110:                            ;   Parent Loop BB984_107 Depth=1
                                        ; =>  This Inner Loop Header: Depth=2
	global_load_dword v7, v[12:13], off sc1
	s_waitcnt vmcnt(0)
	v_cmp_lt_u32_e64 s[50:51], s58, v7
	s_or_b64 s[16:17], s[50:51], s[16:17]
	s_andn2_b64 exec, exec, s[16:17]
	s_cbranch_execnz .LBB984_110
	s_branch .LBB984_105
.LBB984_111:                            ;   in Loop: Header=BB984_107 Depth=1
                                        ; implicit-def: $sgpr59
	s_and_b64 s[16:17], exec, s[50:51]
	s_or_b64 s[54:55], s[16:17], s[54:55]
	s_andn2_b64 exec, exec, s[54:55]
	s_cbranch_execnz .LBB984_107
.LBB984_112:
	s_or_b64 exec, exec, s[54:55]
	s_load_dwordx4 s[16:19], s[0:1], 0x28
	v_add_u32_e32 v7, v5, v18
	v_or_b32_e32 v7, 0x80000000, v7
	global_store_dword v[10:11], v7, off sc1
	v_sub_u32_e32 v5, v5, v15
	s_waitcnt lgkmcnt(0)
	global_load_dword v7, v3, s[16:17]
	s_waitcnt vmcnt(0)
	v_add_u32_e32 v5, v5, v7
	ds_write_b32 v3, v5
.LBB984_113:
	s_or_b64 exec, exec, s[52:53]
	v_cmp_gt_u32_e64 s[50:51], s3, v2
	v_mov_b32_e32 v8, 0
	v_mov_b32_e32 v11, 0
	s_waitcnt lgkmcnt(0)
	s_barrier
	s_and_saveexec_b64 s[52:53], s[50:51]
	s_cbranch_execz .LBB984_115
; %bb.114:
	v_lshlrev_b32_e32 v5, 1, v2
	v_sub_u32_e32 v5, v3, v5
	ds_read_u16 v5, v5 offset:256
	v_mov_b32_e32 v13, 0
	s_waitcnt lgkmcnt(0)
	v_lshrrev_b32_sdwa v7, s96, v5 dst_sel:DWORD dst_unused:UNUSED_PAD src0_sel:DWORD src1_sel:WORD_0
	v_and_b32_e32 v11, s5, v7
	v_lshlrev_b32_e32 v7, 2, v11
	ds_read_b32 v7, v7
	s_waitcnt lgkmcnt(0)
	v_add_u32_e32 v12, v7, v2
	v_lshl_add_u64 v[12:13], v[12:13], 1, s[10:11]
	global_store_short v[12:13], v5, off
.LBB984_115:
	s_or_b64 exec, exec, s[52:53]
	v_add_u32_e32 v10, 0x200, v2
	v_cmp_gt_u32_e64 s[52:53], s3, v10
	s_and_saveexec_b64 s[54:55], s[52:53]
	s_cbranch_execz .LBB984_117
; %bb.116:
	v_lshlrev_b32_e32 v5, 1, v2
	v_sub_u32_e32 v5, v3, v5
	ds_read_u16 v5, v5 offset:1280
	v_mov_b32_e32 v13, 0
	s_waitcnt lgkmcnt(0)
	v_lshrrev_b32_sdwa v7, s96, v5 dst_sel:DWORD dst_unused:UNUSED_PAD src0_sel:DWORD src1_sel:WORD_0
	v_and_b32_e32 v8, s5, v7
	v_lshlrev_b32_e32 v7, 2, v8
	ds_read_b32 v7, v7
	s_waitcnt lgkmcnt(0)
	v_add_u32_e32 v12, v7, v10
	v_lshl_add_u64 v[12:13], v[12:13], 1, s[10:11]
	global_store_short v[12:13], v5, off
.LBB984_117:
	s_or_b64 exec, exec, s[54:55]
	v_or_b32_e32 v12, 0x400, v2
	v_cmp_gt_u32_e64 s[54:55], s3, v12
	v_mov_b32_e32 v9, 0
	v_mov_b32_e32 v26, 0
	s_and_saveexec_b64 s[56:57], s[54:55]
	s_cbranch_execz .LBB984_119
; %bb.118:
	v_lshlrev_b32_e32 v5, 1, v2
	v_sub_u32_e32 v5, v3, v5
	ds_read_u16 v5, v5 offset:2304
	v_mov_b32_e32 v29, 0
	s_waitcnt lgkmcnt(0)
	v_lshrrev_b32_sdwa v7, s96, v5 dst_sel:DWORD dst_unused:UNUSED_PAD src0_sel:DWORD src1_sel:WORD_0
	v_and_b32_e32 v26, s5, v7
	v_lshlrev_b32_e32 v7, 2, v26
	ds_read_b32 v7, v7
	s_waitcnt lgkmcnt(0)
	v_add_u32_e32 v28, v7, v12
	v_lshl_add_u64 v[28:29], v[28:29], 1, s[10:11]
	global_store_short v[28:29], v5, off
.LBB984_119:
	s_or_b64 exec, exec, s[56:57]
	v_add_u32_e32 v25, 0x600, v2
	v_cmp_gt_u32_e64 s[56:57], s3, v25
	s_and_saveexec_b64 s[58:59], s[56:57]
	s_cbranch_execz .LBB984_121
; %bb.120:
	v_lshlrev_b32_e32 v5, 1, v2
	v_sub_u32_e32 v5, v3, v5
	ds_read_u16 v5, v5 offset:3328
	v_mov_b32_e32 v29, 0
	s_waitcnt lgkmcnt(0)
	v_lshrrev_b32_sdwa v7, s96, v5 dst_sel:DWORD dst_unused:UNUSED_PAD src0_sel:DWORD src1_sel:WORD_0
	v_and_b32_e32 v9, s5, v7
	v_lshlrev_b32_e32 v7, 2, v9
	ds_read_b32 v7, v7
	s_waitcnt lgkmcnt(0)
	v_add_u32_e32 v28, v7, v25
	v_lshl_add_u64 v[28:29], v[28:29], 1, s[10:11]
	global_store_short v[28:29], v5, off
.LBB984_121:
	s_or_b64 exec, exec, s[58:59]
	v_or_b32_e32 v27, 0x800, v2
	v_cmp_gt_u32_e64 s[58:59], s3, v27
	v_mov_b32_e32 v13, 0
	v_mov_b32_e32 v30, 0
	;; [unrolled: 42-line block ×3, first 2 shown]
	s_and_saveexec_b64 s[64:65], s[62:63]
	s_cbranch_execz .LBB984_127
; %bb.126:
	v_lshlrev_b32_e32 v5, 1, v2
	v_sub_u32_e32 v5, v3, v5
	ds_read_u16 v5, v5 offset:6400
	v_mov_b32_e32 v61, 0
	s_waitcnt lgkmcnt(0)
	v_lshrrev_b32_sdwa v7, s96, v5 dst_sel:DWORD dst_unused:UNUSED_PAD src0_sel:DWORD src1_sel:WORD_0
	v_and_b32_e32 v63, s5, v7
	v_lshlrev_b32_e32 v7, 2, v63
	ds_read_b32 v7, v7
	s_waitcnt lgkmcnt(0)
	v_add_u32_e32 v60, v7, v31
	v_lshl_add_u64 v[60:61], v[60:61], 1, s[10:11]
	global_store_short v[60:61], v5, off
.LBB984_127:
	s_or_b64 exec, exec, s[64:65]
	v_add_u32_e32 v60, 0xe00, v2
	v_cmp_gt_u32_e64 s[64:65], s3, v60
	s_and_saveexec_b64 s[66:67], s[64:65]
	s_cbranch_execz .LBB984_129
; %bb.128:
	v_lshlrev_b32_e32 v5, 1, v2
	ds_read_u16 v5, v5 offset:7424
	v_mov_b32_e32 v71, 0
	s_waitcnt lgkmcnt(0)
	v_lshrrev_b32_sdwa v7, s96, v5 dst_sel:DWORD dst_unused:UNUSED_PAD src0_sel:DWORD src1_sel:WORD_0
	v_and_b32_e32 v28, s5, v7
	v_lshlrev_b32_e32 v7, 2, v28
	ds_read_b32 v7, v7
	s_waitcnt lgkmcnt(0)
	v_add_u32_e32 v70, v7, v60
	v_lshl_add_u64 v[70:71], v[70:71], 1, s[10:11]
	global_store_short v[70:71], v5, off
.LBB984_129:
	s_or_b64 exec, exec, s[66:67]
	v_or_b32_e32 v61, 0x1000, v2
	v_cmp_gt_u32_e64 s[66:67], s3, v61
	v_mov_b32_e32 v32, 0
	v_mov_b32_e32 v70, 0
	s_and_saveexec_b64 s[68:69], s[66:67]
	s_cbranch_execz .LBB984_131
; %bb.130:
	v_lshlrev_b32_e32 v5, 1, v2
	ds_read_u16 v5, v5 offset:8448
	v_mov_b32_e32 v77, 0
	s_waitcnt lgkmcnt(0)
	v_lshrrev_b32_sdwa v7, s96, v5 dst_sel:DWORD dst_unused:UNUSED_PAD src0_sel:DWORD src1_sel:WORD_0
	v_and_b32_e32 v70, s5, v7
	v_lshlrev_b32_e32 v7, 2, v70
	ds_read_b32 v7, v7
	s_waitcnt lgkmcnt(0)
	v_add_u32_e32 v76, v7, v61
	v_lshl_add_u64 v[76:77], v[76:77], 1, s[10:11]
	global_store_short v[76:77], v5, off
.LBB984_131:
	s_or_b64 exec, exec, s[68:69]
	v_add_u32_e32 v66, 0x1200, v2
	v_cmp_gt_u32_e64 s[68:69], s3, v66
	s_and_saveexec_b64 s[70:71], s[68:69]
	s_cbranch_execz .LBB984_133
; %bb.132:
	v_lshlrev_b32_e32 v5, 1, v2
	ds_read_u16 v5, v5 offset:9472
	v_mov_b32_e32 v77, 0
	s_waitcnt lgkmcnt(0)
	v_lshrrev_b32_sdwa v7, s96, v5 dst_sel:DWORD dst_unused:UNUSED_PAD src0_sel:DWORD src1_sel:WORD_0
	v_and_b32_e32 v32, s5, v7
	v_lshlrev_b32_e32 v7, 2, v32
	ds_read_b32 v7, v7
	s_waitcnt lgkmcnt(0)
	v_add_u32_e32 v76, v7, v66
	v_lshl_add_u64 v[76:77], v[76:77], 1, s[10:11]
	global_store_short v[76:77], v5, off
.LBB984_133:
	s_or_b64 exec, exec, s[70:71]
	v_or_b32_e32 v69, 0x1400, v2
	v_cmp_gt_u32_e64 s[70:71], s3, v69
	v_mov_b32_e32 v64, 0
	v_mov_b32_e32 v76, 0
	s_and_saveexec_b64 s[72:73], s[70:71]
	s_cbranch_execz .LBB984_135
; %bb.134:
	v_lshlrev_b32_e32 v5, 1, v2
	ds_read_u16 v5, v5 offset:10496
	v_mov_b32_e32 v81, 0
	s_waitcnt lgkmcnt(0)
	v_lshrrev_b32_sdwa v7, s96, v5 dst_sel:DWORD dst_unused:UNUSED_PAD src0_sel:DWORD src1_sel:WORD_0
	v_and_b32_e32 v76, s5, v7
	v_lshlrev_b32_e32 v7, 2, v76
	ds_read_b32 v7, v7
	s_waitcnt lgkmcnt(0)
	v_add_u32_e32 v80, v7, v69
	v_lshl_add_u64 v[80:81], v[80:81], 1, s[10:11]
	global_store_short v[80:81], v5, off
.LBB984_135:
	;; [unrolled: 40-line block ×7, first 2 shown]
	s_or_b64 exec, exec, s[92:93]
	v_add_u32_e32 v95, 0x2a00, v2
	v_cmp_gt_u32_e64 s[92:93], s3, v95
	s_and_saveexec_b64 s[16:17], s[92:93]
	s_cbranch_execz .LBB984_157
; %bb.156:
	v_lshlrev_b32_e32 v5, 1, v2
	ds_read_u16 v5, v5 offset:21760
	v_mov_b32_e32 v99, 0
	s_waitcnt lgkmcnt(0)
	v_lshrrev_b32_sdwa v7, s96, v5 dst_sel:DWORD dst_unused:UNUSED_PAD src0_sel:DWORD src1_sel:WORD_0
	v_and_b32_e32 v91, s5, v7
	v_lshlrev_b32_e32 v7, 2, v91
	ds_read_b32 v7, v7
	s_waitcnt lgkmcnt(0)
	v_add_u32_e32 v98, v7, v95
	v_lshl_add_u64 v[98:99], v[98:99], 1, s[10:11]
	global_store_short v[98:99], v5, off
.LBB984_157:
	s_or_b64 exec, exec, s[16:17]
	s_add_u32 s16, s12, s98
	s_addc_u32 s17, s13, s99
	v_mov_b32_e32 v5, 0
	v_lshl_add_u64 v[98:99], s[16:17], 0, v[4:5]
	v_mov_b32_e32 v7, v5
	v_lshl_add_u64 v[4:5], v[98:99], 0, v[6:7]
                                        ; implicit-def: $vgpr6
	s_mov_b64 s[16:17], exec
	v_readlane_b32 s18, v117, 4
	v_readlane_b32 s19, v117, 5
	s_and_b64 s[18:19], s[16:17], s[18:19]
	s_xor_b64 s[16:17], s[18:19], s[16:17]
	s_mov_b64 exec, s[18:19]
	s_cbranch_execz .LBB984_159
; %bb.158:
	global_load_ushort v6, v[4:5], off
.LBB984_159:
	s_or_b64 exec, exec, s[16:17]
	v_readlane_b32 s18, v117, 6
	v_readlane_b32 s19, v117, 7
                                        ; implicit-def: $vgpr7
	s_and_saveexec_b64 s[16:17], s[18:19]
	s_cbranch_execz .LBB984_161
; %bb.160:
	global_load_ushort v7, v[4:5], off offset:128
.LBB984_161:
	s_or_b64 exec, exec, s[16:17]
	v_readlane_b32 s18, v117, 8
	v_readlane_b32 s19, v117, 9
                                        ; implicit-def: $vgpr97
	s_and_saveexec_b64 s[16:17], s[18:19]
	s_cbranch_execz .LBB984_163
; %bb.162:
	global_load_ushort v97, v[4:5], off offset:256
.LBB984_163:
	s_or_b64 exec, exec, s[16:17]
	v_readlane_b32 s18, v117, 10
	v_readlane_b32 s19, v117, 11
                                        ; implicit-def: $vgpr98
	s_and_saveexec_b64 s[16:17], s[18:19]
	s_cbranch_execz .LBB984_165
; %bb.164:
	global_load_ushort v98, v[4:5], off offset:384
.LBB984_165:
	s_or_b64 exec, exec, s[16:17]
	v_readlane_b32 s18, v117, 12
	v_readlane_b32 s19, v117, 13
                                        ; implicit-def: $vgpr99
	s_and_saveexec_b64 s[16:17], s[18:19]
	s_cbranch_execz .LBB984_167
; %bb.166:
	global_load_ushort v99, v[4:5], off offset:512
.LBB984_167:
	s_or_b64 exec, exec, s[16:17]
	v_readlane_b32 s18, v117, 14
	v_readlane_b32 s19, v117, 15
                                        ; implicit-def: $vgpr100
	s_and_saveexec_b64 s[16:17], s[18:19]
	s_cbranch_execz .LBB984_169
; %bb.168:
	global_load_ushort v100, v[4:5], off offset:640
.LBB984_169:
	s_or_b64 exec, exec, s[16:17]
	v_readlane_b32 s18, v117, 16
	v_readlane_b32 s19, v117, 17
                                        ; implicit-def: $vgpr101
	s_and_saveexec_b64 s[16:17], s[18:19]
	s_cbranch_execz .LBB984_171
; %bb.170:
	global_load_ushort v101, v[4:5], off offset:768
.LBB984_171:
	s_or_b64 exec, exec, s[16:17]
	v_readlane_b32 s18, v117, 18
	v_readlane_b32 s19, v117, 19
                                        ; implicit-def: $vgpr102
	s_and_saveexec_b64 s[16:17], s[18:19]
	s_cbranch_execz .LBB984_209
; %bb.172:
	global_load_ushort v102, v[4:5], off offset:896
	s_or_b64 exec, exec, s[16:17]
                                        ; implicit-def: $vgpr103
	s_and_saveexec_b64 s[16:17], vcc
	s_cbranch_execnz .LBB984_210
.LBB984_173:
	s_or_b64 exec, exec, s[16:17]
                                        ; implicit-def: $vgpr104
	s_and_saveexec_b64 s[16:17], s[20:21]
	s_cbranch_execz .LBB984_211
.LBB984_174:
	global_load_ushort v104, v[4:5], off offset:1152
	s_or_b64 exec, exec, s[16:17]
                                        ; implicit-def: $vgpr105
	s_and_saveexec_b64 s[16:17], s[22:23]
	s_cbranch_execnz .LBB984_212
.LBB984_175:
	s_or_b64 exec, exec, s[16:17]
                                        ; implicit-def: $vgpr106
	s_and_saveexec_b64 s[16:17], s[24:25]
	s_cbranch_execz .LBB984_213
.LBB984_176:
	global_load_ushort v106, v[4:5], off offset:1408
	s_or_b64 exec, exec, s[16:17]
                                        ; implicit-def: $vgpr107
	s_and_saveexec_b64 s[16:17], s[26:27]
	s_cbranch_execnz .LBB984_214
.LBB984_177:
	s_or_b64 exec, exec, s[16:17]
                                        ; implicit-def: $vgpr108
	s_and_saveexec_b64 s[16:17], s[28:29]
	s_cbranch_execz .LBB984_215
.LBB984_178:
	global_load_ushort v108, v[4:5], off offset:1664
	s_or_b64 exec, exec, s[16:17]
                                        ; implicit-def: $vgpr109
	s_and_saveexec_b64 s[16:17], s[30:31]
	s_cbranch_execnz .LBB984_216
.LBB984_179:
	s_or_b64 exec, exec, s[16:17]
                                        ; implicit-def: $vgpr110
	s_and_saveexec_b64 s[16:17], s[34:35]
	s_cbranch_execz .LBB984_217
.LBB984_180:
	global_load_ushort v110, v[4:5], off offset:1920
	s_or_b64 exec, exec, s[16:17]
                                        ; implicit-def: $vgpr111
	s_and_saveexec_b64 s[16:17], s[36:37]
	s_cbranch_execnz .LBB984_218
.LBB984_181:
	s_or_b64 exec, exec, s[16:17]
                                        ; implicit-def: $vgpr112
	s_and_saveexec_b64 s[16:17], s[38:39]
	s_cbranch_execz .LBB984_219
.LBB984_182:
	global_load_ushort v112, v[4:5], off offset:2176
	s_or_b64 exec, exec, s[16:17]
                                        ; implicit-def: $vgpr113
	s_and_saveexec_b64 s[16:17], s[40:41]
	s_cbranch_execnz .LBB984_220
.LBB984_183:
	s_or_b64 exec, exec, s[16:17]
                                        ; implicit-def: $vgpr114
	s_and_saveexec_b64 s[16:17], s[42:43]
	s_cbranch_execz .LBB984_221
.LBB984_184:
	global_load_ushort v114, v[4:5], off offset:2432
	s_or_b64 exec, exec, s[16:17]
                                        ; implicit-def: $vgpr115
	s_and_saveexec_b64 s[16:17], s[44:45]
	s_cbranch_execnz .LBB984_222
.LBB984_185:
	s_or_b64 exec, exec, s[16:17]
                                        ; implicit-def: $vgpr116
	s_and_saveexec_b64 s[16:17], s[46:47]
	s_cbranch_execz .LBB984_187
.LBB984_186:
	global_load_ushort v116, v[4:5], off offset:2688
.LBB984_187:
	s_or_b64 exec, exec, s[16:17]
	s_movk_i32 s3, 0x2c00
	v_cmp_gt_u32_e32 vcc, s3, v75
	s_barrier
	s_and_saveexec_b64 s[16:17], vcc
	s_cbranch_execz .LBB984_223
; %bb.188:
	s_waitcnt vmcnt(0)
	ds_write_b16 v83, v6 offset:256
	s_or_b64 exec, exec, s[16:17]
	v_cmp_gt_u32_e32 vcc, s3, v67
	s_and_saveexec_b64 s[16:17], vcc
	s_cbranch_execnz .LBB984_224
.LBB984_189:
	s_or_b64 exec, exec, s[16:17]
	v_cmp_gt_u32_e32 vcc, s3, v62
	s_and_saveexec_b64 s[16:17], vcc
	s_cbranch_execz .LBB984_225
.LBB984_190:
	s_waitcnt vmcnt(0)
	ds_write_b16 v73, v97 offset:256
	s_or_b64 exec, exec, s[16:17]
	v_cmp_gt_u32_e32 vcc, s3, v59
	s_and_saveexec_b64 s[16:17], vcc
	s_cbranch_execnz .LBB984_226
.LBB984_191:
	s_or_b64 exec, exec, s[16:17]
	v_cmp_gt_u32_e32 vcc, s3, v58
	s_and_saveexec_b64 s[16:17], vcc
	s_cbranch_execz .LBB984_227
.LBB984_192:
	s_waitcnt vmcnt(0)
	ds_write_b16 v65, v99 offset:256
	s_or_b64 exec, exec, s[16:17]
	v_cmp_gt_u32_e32 vcc, s3, v54
	s_and_saveexec_b64 s[16:17], vcc
	s_cbranch_execnz .LBB984_228
.LBB984_193:
	s_or_b64 exec, exec, s[16:17]
	v_cmp_gt_u32_e32 vcc, s3, v52
	s_and_saveexec_b64 s[16:17], vcc
	s_cbranch_execz .LBB984_229
.LBB984_194:
	s_waitcnt vmcnt(0)
	ds_write_b16 v56, v101 offset:256
	s_or_b64 exec, exec, s[16:17]
	v_cmp_gt_u32_e32 vcc, s3, v50
	s_and_saveexec_b64 s[16:17], vcc
	s_cbranch_execnz .LBB984_230
.LBB984_195:
	s_or_b64 exec, exec, s[16:17]
	v_cmp_gt_u32_e32 vcc, s3, v47
	s_and_saveexec_b64 s[16:17], vcc
	s_cbranch_execz .LBB984_231
.LBB984_196:
	s_waitcnt vmcnt(0)
	ds_write_b16 v53, v103 offset:256
	s_or_b64 exec, exec, s[16:17]
	v_cmp_gt_u32_e32 vcc, s3, v45
	s_and_saveexec_b64 s[16:17], vcc
	s_cbranch_execnz .LBB984_232
.LBB984_197:
	s_or_b64 exec, exec, s[16:17]
	v_cmp_gt_u32_e32 vcc, s3, v44
	s_and_saveexec_b64 s[16:17], vcc
	s_cbranch_execz .LBB984_233
.LBB984_198:
	s_waitcnt vmcnt(0)
	ds_write_b16 v49, v105 offset:256
	s_or_b64 exec, exec, s[16:17]
	v_cmp_gt_u32_e32 vcc, s3, v43
	s_and_saveexec_b64 s[16:17], vcc
	s_cbranch_execnz .LBB984_234
.LBB984_199:
	s_or_b64 exec, exec, s[16:17]
	v_cmp_gt_u32_e32 vcc, s3, v42
	s_and_saveexec_b64 s[16:17], vcc
	s_cbranch_execz .LBB984_235
.LBB984_200:
	s_waitcnt vmcnt(0)
	ds_write_b16 v46, v107 offset:256
	s_or_b64 exec, exec, s[16:17]
	v_cmp_gt_u32_e32 vcc, s3, v41
	s_and_saveexec_b64 s[16:17], vcc
	s_cbranch_execnz .LBB984_236
.LBB984_201:
	s_or_b64 exec, exec, s[16:17]
	v_cmp_gt_u32_e32 vcc, s3, v40
	s_and_saveexec_b64 s[16:17], vcc
	s_cbranch_execz .LBB984_237
.LBB984_202:
	s_waitcnt vmcnt(0)
	ds_write_b16 v23, v109 offset:256
	s_or_b64 exec, exec, s[16:17]
	v_cmp_gt_u32_e32 vcc, s3, v39
	s_and_saveexec_b64 s[16:17], vcc
	s_cbranch_execnz .LBB984_238
.LBB984_203:
	s_or_b64 exec, exec, s[16:17]
	v_cmp_gt_u32_e32 vcc, s3, v38
	s_and_saveexec_b64 s[16:17], vcc
	s_cbranch_execz .LBB984_239
.LBB984_204:
	s_waitcnt vmcnt(0)
	ds_write_b16 v21, v111 offset:256
	s_or_b64 exec, exec, s[16:17]
	v_cmp_gt_u32_e32 vcc, s3, v37
	s_and_saveexec_b64 s[16:17], vcc
	s_cbranch_execnz .LBB984_240
.LBB984_205:
	s_or_b64 exec, exec, s[16:17]
	v_cmp_gt_u32_e32 vcc, s3, v36
	s_and_saveexec_b64 s[16:17], vcc
	s_cbranch_execz .LBB984_241
.LBB984_206:
	s_waitcnt vmcnt(0)
	ds_write_b16 v19, v113 offset:256
	s_or_b64 exec, exec, s[16:17]
	v_cmp_gt_u32_e32 vcc, s3, v35
	s_and_saveexec_b64 s[16:17], vcc
	s_cbranch_execnz .LBB984_242
.LBB984_207:
	s_or_b64 exec, exec, s[16:17]
	v_cmp_gt_u32_e32 vcc, s3, v34
	s_and_saveexec_b64 s[16:17], vcc
	s_cbranch_execz .LBB984_243
.LBB984_208:
	s_waitcnt vmcnt(0)
	ds_write_b16 v16, v115 offset:256
	s_or_b64 exec, exec, s[16:17]
	v_cmp_gt_u32_e32 vcc, s3, v33
	s_and_saveexec_b64 s[16:17], vcc
	s_cbranch_execnz .LBB984_244
	s_branch .LBB984_245
.LBB984_209:
	s_or_b64 exec, exec, s[16:17]
                                        ; implicit-def: $vgpr103
	s_and_saveexec_b64 s[16:17], vcc
	s_cbranch_execz .LBB984_173
.LBB984_210:
	global_load_ushort v103, v[4:5], off offset:1024
	s_or_b64 exec, exec, s[16:17]
                                        ; implicit-def: $vgpr104
	s_and_saveexec_b64 s[16:17], s[20:21]
	s_cbranch_execnz .LBB984_174
.LBB984_211:
	s_or_b64 exec, exec, s[16:17]
                                        ; implicit-def: $vgpr105
	s_and_saveexec_b64 s[16:17], s[22:23]
	s_cbranch_execz .LBB984_175
.LBB984_212:
	global_load_ushort v105, v[4:5], off offset:1280
	s_or_b64 exec, exec, s[16:17]
                                        ; implicit-def: $vgpr106
	s_and_saveexec_b64 s[16:17], s[24:25]
	s_cbranch_execnz .LBB984_176
.LBB984_213:
	s_or_b64 exec, exec, s[16:17]
                                        ; implicit-def: $vgpr107
	s_and_saveexec_b64 s[16:17], s[26:27]
	s_cbranch_execz .LBB984_177
.LBB984_214:
	global_load_ushort v107, v[4:5], off offset:1536
	s_or_b64 exec, exec, s[16:17]
                                        ; implicit-def: $vgpr108
	s_and_saveexec_b64 s[16:17], s[28:29]
	s_cbranch_execnz .LBB984_178
.LBB984_215:
	s_or_b64 exec, exec, s[16:17]
                                        ; implicit-def: $vgpr109
	s_and_saveexec_b64 s[16:17], s[30:31]
	s_cbranch_execz .LBB984_179
.LBB984_216:
	global_load_ushort v109, v[4:5], off offset:1792
	s_or_b64 exec, exec, s[16:17]
                                        ; implicit-def: $vgpr110
	s_and_saveexec_b64 s[16:17], s[34:35]
	s_cbranch_execnz .LBB984_180
.LBB984_217:
	s_or_b64 exec, exec, s[16:17]
                                        ; implicit-def: $vgpr111
	s_and_saveexec_b64 s[16:17], s[36:37]
	s_cbranch_execz .LBB984_181
.LBB984_218:
	global_load_ushort v111, v[4:5], off offset:2048
	s_or_b64 exec, exec, s[16:17]
                                        ; implicit-def: $vgpr112
	s_and_saveexec_b64 s[16:17], s[38:39]
	s_cbranch_execnz .LBB984_182
.LBB984_219:
	s_or_b64 exec, exec, s[16:17]
                                        ; implicit-def: $vgpr113
	s_and_saveexec_b64 s[16:17], s[40:41]
	s_cbranch_execz .LBB984_183
.LBB984_220:
	global_load_ushort v113, v[4:5], off offset:2304
	s_or_b64 exec, exec, s[16:17]
                                        ; implicit-def: $vgpr114
	s_and_saveexec_b64 s[16:17], s[42:43]
	s_cbranch_execnz .LBB984_184
.LBB984_221:
	s_or_b64 exec, exec, s[16:17]
                                        ; implicit-def: $vgpr115
	s_and_saveexec_b64 s[16:17], s[44:45]
	s_cbranch_execz .LBB984_185
.LBB984_222:
	global_load_ushort v115, v[4:5], off offset:2560
	s_or_b64 exec, exec, s[16:17]
                                        ; implicit-def: $vgpr116
	s_and_saveexec_b64 s[16:17], s[46:47]
	s_cbranch_execnz .LBB984_186
	s_branch .LBB984_187
.LBB984_223:
	s_or_b64 exec, exec, s[16:17]
	v_cmp_gt_u32_e32 vcc, s3, v67
	s_and_saveexec_b64 s[16:17], vcc
	s_cbranch_execz .LBB984_189
.LBB984_224:
	s_waitcnt vmcnt(0)
	ds_write_b16 v78, v7 offset:256
	s_or_b64 exec, exec, s[16:17]
	v_cmp_gt_u32_e32 vcc, s3, v62
	s_and_saveexec_b64 s[16:17], vcc
	s_cbranch_execnz .LBB984_190
.LBB984_225:
	s_or_b64 exec, exec, s[16:17]
	v_cmp_gt_u32_e32 vcc, s3, v59
	s_and_saveexec_b64 s[16:17], vcc
	s_cbranch_execz .LBB984_191
.LBB984_226:
	s_waitcnt vmcnt(0)
	ds_write_b16 v68, v98 offset:256
	s_or_b64 exec, exec, s[16:17]
	v_cmp_gt_u32_e32 vcc, s3, v58
	s_and_saveexec_b64 s[16:17], vcc
	s_cbranch_execnz .LBB984_192
.LBB984_227:
	s_or_b64 exec, exec, s[16:17]
	v_cmp_gt_u32_e32 vcc, s3, v54
	s_and_saveexec_b64 s[16:17], vcc
	s_cbranch_execz .LBB984_193
.LBB984_228:
	s_waitcnt vmcnt(0)
	ds_write_b16 v57, v100 offset:256
	s_or_b64 exec, exec, s[16:17]
	v_cmp_gt_u32_e32 vcc, s3, v52
	s_and_saveexec_b64 s[16:17], vcc
	s_cbranch_execnz .LBB984_194
.LBB984_229:
	s_or_b64 exec, exec, s[16:17]
	v_cmp_gt_u32_e32 vcc, s3, v50
	s_and_saveexec_b64 s[16:17], vcc
	s_cbranch_execz .LBB984_195
.LBB984_230:
	s_waitcnt vmcnt(0)
	ds_write_b16 v55, v102 offset:256
	s_or_b64 exec, exec, s[16:17]
	v_cmp_gt_u32_e32 vcc, s3, v47
	s_and_saveexec_b64 s[16:17], vcc
	s_cbranch_execnz .LBB984_196
.LBB984_231:
	s_or_b64 exec, exec, s[16:17]
	v_cmp_gt_u32_e32 vcc, s3, v45
	s_and_saveexec_b64 s[16:17], vcc
	s_cbranch_execz .LBB984_197
.LBB984_232:
	s_waitcnt vmcnt(0)
	ds_write_b16 v51, v104 offset:256
	s_or_b64 exec, exec, s[16:17]
	v_cmp_gt_u32_e32 vcc, s3, v44
	s_and_saveexec_b64 s[16:17], vcc
	s_cbranch_execnz .LBB984_198
.LBB984_233:
	s_or_b64 exec, exec, s[16:17]
	v_cmp_gt_u32_e32 vcc, s3, v43
	s_and_saveexec_b64 s[16:17], vcc
	s_cbranch_execz .LBB984_199
.LBB984_234:
	s_waitcnt vmcnt(0)
	ds_write_b16 v48, v106 offset:256
	s_or_b64 exec, exec, s[16:17]
	v_cmp_gt_u32_e32 vcc, s3, v42
	s_and_saveexec_b64 s[16:17], vcc
	s_cbranch_execnz .LBB984_200
.LBB984_235:
	s_or_b64 exec, exec, s[16:17]
	v_cmp_gt_u32_e32 vcc, s3, v41
	s_and_saveexec_b64 s[16:17], vcc
	s_cbranch_execz .LBB984_201
.LBB984_236:
	s_waitcnt vmcnt(0)
	ds_write_b16 v24, v108 offset:256
	s_or_b64 exec, exec, s[16:17]
	v_cmp_gt_u32_e32 vcc, s3, v40
	s_and_saveexec_b64 s[16:17], vcc
	s_cbranch_execnz .LBB984_202
.LBB984_237:
	s_or_b64 exec, exec, s[16:17]
	v_cmp_gt_u32_e32 vcc, s3, v39
	s_and_saveexec_b64 s[16:17], vcc
	s_cbranch_execz .LBB984_203
.LBB984_238:
	s_waitcnt vmcnt(0)
	ds_write_b16 v22, v110 offset:256
	s_or_b64 exec, exec, s[16:17]
	v_cmp_gt_u32_e32 vcc, s3, v38
	s_and_saveexec_b64 s[16:17], vcc
	s_cbranch_execnz .LBB984_204
.LBB984_239:
	s_or_b64 exec, exec, s[16:17]
	v_cmp_gt_u32_e32 vcc, s3, v37
	s_and_saveexec_b64 s[16:17], vcc
	s_cbranch_execz .LBB984_205
.LBB984_240:
	s_waitcnt vmcnt(0)
	ds_write_b16 v20, v112 offset:256
	s_or_b64 exec, exec, s[16:17]
	v_cmp_gt_u32_e32 vcc, s3, v36
	s_and_saveexec_b64 s[16:17], vcc
	s_cbranch_execnz .LBB984_206
.LBB984_241:
	s_or_b64 exec, exec, s[16:17]
	v_cmp_gt_u32_e32 vcc, s3, v35
	s_and_saveexec_b64 s[16:17], vcc
	s_cbranch_execz .LBB984_207
.LBB984_242:
	s_waitcnt vmcnt(0)
	ds_write_b16 v17, v114 offset:256
	s_or_b64 exec, exec, s[16:17]
	v_cmp_gt_u32_e32 vcc, s3, v34
	s_and_saveexec_b64 s[16:17], vcc
	s_cbranch_execnz .LBB984_208
.LBB984_243:
	s_or_b64 exec, exec, s[16:17]
	v_cmp_gt_u32_e32 vcc, s3, v33
	s_and_saveexec_b64 s[16:17], vcc
	s_cbranch_execz .LBB984_245
.LBB984_244:
	s_waitcnt vmcnt(0)
	ds_write_b16 v14, v116 offset:256
.LBB984_245:
	s_or_b64 exec, exec, s[16:17]
	s_waitcnt lgkmcnt(0)
	s_barrier
	s_and_saveexec_b64 s[16:17], s[50:51]
	s_cbranch_execz .LBB984_267
; %bb.246:
	v_lshlrev_b32_e32 v4, 2, v11
	ds_read_b32 v4, v4
	v_lshlrev_b32_e32 v5, 1, v2
	s_waitcnt vmcnt(0)
	ds_read_u16 v6, v5 offset:256
	v_mov_b32_e32 v5, 0
	s_waitcnt lgkmcnt(1)
	v_add_u32_e32 v4, v4, v2
	v_lshl_add_u64 v[4:5], v[4:5], 1, s[14:15]
	s_waitcnt lgkmcnt(0)
	global_store_short v[4:5], v6, off
	s_or_b64 exec, exec, s[16:17]
	s_and_saveexec_b64 s[16:17], s[52:53]
	s_cbranch_execnz .LBB984_268
.LBB984_247:
	s_or_b64 exec, exec, s[16:17]
	s_and_saveexec_b64 s[16:17], s[54:55]
	s_cbranch_execz .LBB984_269
.LBB984_248:
	v_lshlrev_b32_e32 v4, 2, v26
	ds_read_b32 v4, v4
	v_lshlrev_b32_e32 v5, 1, v2
	s_waitcnt vmcnt(0)
	ds_read_u16 v6, v5 offset:2304
	v_mov_b32_e32 v5, 0
	s_waitcnt lgkmcnt(1)
	v_add_u32_e32 v4, v4, v12
	v_lshl_add_u64 v[4:5], v[4:5], 1, s[14:15]
	s_waitcnt lgkmcnt(0)
	global_store_short v[4:5], v6, off
	s_or_b64 exec, exec, s[16:17]
	s_and_saveexec_b64 s[16:17], s[56:57]
	s_cbranch_execnz .LBB984_270
.LBB984_249:
	s_or_b64 exec, exec, s[16:17]
	s_and_saveexec_b64 s[16:17], s[58:59]
	s_cbranch_execz .LBB984_271
.LBB984_250:
	v_lshlrev_b32_e32 v4, 2, v30
	ds_read_b32 v4, v4
	v_lshlrev_b32_e32 v5, 1, v2
	s_waitcnt vmcnt(0)
	ds_read_u16 v6, v5 offset:4352
	v_mov_b32_e32 v5, 0
	s_waitcnt lgkmcnt(1)
	v_add_u32_e32 v4, v4, v27
	v_lshl_add_u64 v[4:5], v[4:5], 1, s[14:15]
	s_waitcnt lgkmcnt(0)
	global_store_short v[4:5], v6, off
	s_or_b64 exec, exec, s[16:17]
	s_and_saveexec_b64 s[16:17], s[60:61]
	s_cbranch_execnz .LBB984_272
.LBB984_251:
	s_or_b64 exec, exec, s[16:17]
	s_and_saveexec_b64 s[16:17], s[62:63]
	s_cbranch_execz .LBB984_273
.LBB984_252:
	v_lshlrev_b32_e32 v4, 2, v63
	ds_read_b32 v4, v4
	v_lshlrev_b32_e32 v5, 1, v2
	s_waitcnt vmcnt(0)
	ds_read_u16 v6, v5 offset:6400
	v_mov_b32_e32 v5, 0
	s_waitcnt lgkmcnt(1)
	v_add_u32_e32 v4, v4, v31
	v_lshl_add_u64 v[4:5], v[4:5], 1, s[14:15]
	s_waitcnt lgkmcnt(0)
	global_store_short v[4:5], v6, off
	s_or_b64 exec, exec, s[16:17]
	s_and_saveexec_b64 s[16:17], s[64:65]
	s_cbranch_execnz .LBB984_274
.LBB984_253:
	s_or_b64 exec, exec, s[16:17]
	s_and_saveexec_b64 s[16:17], s[66:67]
	s_cbranch_execz .LBB984_275
.LBB984_254:
	v_lshlrev_b32_e32 v4, 2, v70
	ds_read_b32 v4, v4
	v_lshlrev_b32_e32 v5, 1, v2
	s_waitcnt vmcnt(0)
	ds_read_u16 v6, v5 offset:8448
	v_mov_b32_e32 v5, 0
	s_waitcnt lgkmcnt(1)
	v_add_u32_e32 v4, v4, v61
	v_lshl_add_u64 v[4:5], v[4:5], 1, s[14:15]
	s_waitcnt lgkmcnt(0)
	global_store_short v[4:5], v6, off
	s_or_b64 exec, exec, s[16:17]
	s_and_saveexec_b64 s[16:17], s[68:69]
	s_cbranch_execnz .LBB984_276
.LBB984_255:
	s_or_b64 exec, exec, s[16:17]
	s_and_saveexec_b64 s[16:17], s[70:71]
	s_cbranch_execz .LBB984_277
.LBB984_256:
	v_lshlrev_b32_e32 v4, 2, v76
	ds_read_b32 v4, v4
	v_lshlrev_b32_e32 v5, 1, v2
	s_waitcnt vmcnt(0)
	ds_read_u16 v6, v5 offset:10496
	v_mov_b32_e32 v5, 0
	s_waitcnt lgkmcnt(1)
	v_add_u32_e32 v4, v4, v69
	v_lshl_add_u64 v[4:5], v[4:5], 1, s[14:15]
	s_waitcnt lgkmcnt(0)
	global_store_short v[4:5], v6, off
	s_or_b64 exec, exec, s[16:17]
	s_and_saveexec_b64 s[16:17], s[72:73]
	s_cbranch_execnz .LBB984_278
.LBB984_257:
	s_or_b64 exec, exec, s[16:17]
	s_and_saveexec_b64 s[16:17], s[74:75]
	s_cbranch_execz .LBB984_279
.LBB984_258:
	v_lshlrev_b32_e32 v4, 2, v81
	ds_read_b32 v4, v4
	v_lshlrev_b32_e32 v5, 1, v2
	s_waitcnt vmcnt(0)
	ds_read_u16 v6, v5 offset:12544
	v_mov_b32_e32 v5, 0
	s_waitcnt lgkmcnt(1)
	v_add_u32_e32 v4, v4, v74
	v_lshl_add_u64 v[4:5], v[4:5], 1, s[14:15]
	s_waitcnt lgkmcnt(0)
	global_store_short v[4:5], v6, off
	s_or_b64 exec, exec, s[16:17]
	s_and_saveexec_b64 s[16:17], s[76:77]
	s_cbranch_execnz .LBB984_280
.LBB984_259:
	s_or_b64 exec, exec, s[16:17]
	s_and_saveexec_b64 s[16:17], s[78:79]
	s_cbranch_execz .LBB984_281
.LBB984_260:
	v_lshlrev_b32_e32 v4, 2, v86
	ds_read_b32 v4, v4
	v_lshlrev_b32_e32 v5, 1, v2
	s_waitcnt vmcnt(0)
	ds_read_u16 v6, v5 offset:14592
	v_mov_b32_e32 v5, 0
	s_waitcnt lgkmcnt(1)
	v_add_u32_e32 v4, v4, v80
	v_lshl_add_u64 v[4:5], v[4:5], 1, s[14:15]
	s_waitcnt lgkmcnt(0)
	global_store_short v[4:5], v6, off
	s_or_b64 exec, exec, s[16:17]
	s_and_saveexec_b64 s[16:17], s[80:81]
	s_cbranch_execnz .LBB984_282
.LBB984_261:
	s_or_b64 exec, exec, s[16:17]
	s_and_saveexec_b64 s[16:17], s[82:83]
	s_cbranch_execz .LBB984_283
.LBB984_262:
	v_lshlrev_b32_e32 v4, 2, v90
	ds_read_b32 v4, v4
	v_lshlrev_b32_e32 v5, 1, v2
	s_waitcnt vmcnt(0)
	ds_read_u16 v6, v5 offset:16640
	v_mov_b32_e32 v5, 0
	s_waitcnt lgkmcnt(1)
	v_add_u32_e32 v4, v4, v85
	v_lshl_add_u64 v[4:5], v[4:5], 1, s[14:15]
	s_waitcnt lgkmcnt(0)
	global_store_short v[4:5], v6, off
	s_or_b64 exec, exec, s[16:17]
	s_and_saveexec_b64 s[16:17], s[84:85]
	s_cbranch_execnz .LBB984_284
.LBB984_263:
	s_or_b64 exec, exec, s[16:17]
	s_and_saveexec_b64 s[16:17], s[86:87]
	s_cbranch_execz .LBB984_285
.LBB984_264:
	v_lshlrev_b32_e32 v4, 2, v94
	ds_read_b32 v4, v4
	v_lshlrev_b32_e32 v5, 1, v2
	s_waitcnt vmcnt(0)
	ds_read_u16 v6, v5 offset:18688
	v_mov_b32_e32 v5, 0
	s_waitcnt lgkmcnt(1)
	v_add_u32_e32 v4, v4, v89
	v_lshl_add_u64 v[4:5], v[4:5], 1, s[14:15]
	s_waitcnt lgkmcnt(0)
	global_store_short v[4:5], v6, off
	s_or_b64 exec, exec, s[16:17]
	s_and_saveexec_b64 s[16:17], s[88:89]
	s_cbranch_execnz .LBB984_286
.LBB984_265:
	s_or_b64 exec, exec, s[16:17]
	s_and_saveexec_b64 s[16:17], s[90:91]
	s_cbranch_execz .LBB984_287
.LBB984_266:
	v_lshlrev_b32_e32 v4, 2, v96
	ds_read_b32 v4, v4
	v_lshlrev_b32_e32 v5, 1, v2
	s_waitcnt vmcnt(0)
	ds_read_u16 v6, v5 offset:20736
	v_mov_b32_e32 v5, 0
	s_waitcnt lgkmcnt(1)
	v_add_u32_e32 v4, v4, v93
	v_lshl_add_u64 v[4:5], v[4:5], 1, s[14:15]
	s_waitcnt lgkmcnt(0)
	global_store_short v[4:5], v6, off
	s_or_b64 exec, exec, s[16:17]
	s_and_saveexec_b64 s[16:17], s[92:93]
	s_cbranch_execnz .LBB984_288
	s_branch .LBB984_289
.LBB984_267:
	s_or_b64 exec, exec, s[16:17]
	s_and_saveexec_b64 s[16:17], s[52:53]
	s_cbranch_execz .LBB984_247
.LBB984_268:
	v_lshlrev_b32_e32 v4, 2, v8
	ds_read_b32 v4, v4
	v_lshlrev_b32_e32 v5, 1, v2
	s_waitcnt vmcnt(0)
	ds_read_u16 v6, v5 offset:1280
	v_mov_b32_e32 v5, 0
	s_waitcnt lgkmcnt(1)
	v_add_u32_e32 v4, v4, v10
	v_lshl_add_u64 v[4:5], v[4:5], 1, s[14:15]
	s_waitcnt lgkmcnt(0)
	global_store_short v[4:5], v6, off
	s_or_b64 exec, exec, s[16:17]
	s_and_saveexec_b64 s[16:17], s[54:55]
	s_cbranch_execnz .LBB984_248
.LBB984_269:
	s_or_b64 exec, exec, s[16:17]
	s_and_saveexec_b64 s[16:17], s[56:57]
	s_cbranch_execz .LBB984_249
.LBB984_270:
	v_lshlrev_b32_e32 v4, 2, v9
	ds_read_b32 v4, v4
	v_lshlrev_b32_e32 v5, 1, v2
	s_waitcnt vmcnt(0)
	ds_read_u16 v6, v5 offset:3328
	v_mov_b32_e32 v5, 0
	s_waitcnt lgkmcnt(1)
	v_add_u32_e32 v4, v4, v25
	v_lshl_add_u64 v[4:5], v[4:5], 1, s[14:15]
	s_waitcnt lgkmcnt(0)
	global_store_short v[4:5], v6, off
	s_or_b64 exec, exec, s[16:17]
	s_and_saveexec_b64 s[16:17], s[58:59]
	s_cbranch_execnz .LBB984_250
.LBB984_271:
	s_or_b64 exec, exec, s[16:17]
	s_and_saveexec_b64 s[16:17], s[60:61]
	s_cbranch_execz .LBB984_251
.LBB984_272:
	v_lshlrev_b32_e32 v4, 2, v13
	ds_read_b32 v4, v4
	v_lshlrev_b32_e32 v5, 1, v2
	s_waitcnt vmcnt(0)
	ds_read_u16 v6, v5 offset:5376
	v_mov_b32_e32 v5, 0
	s_waitcnt lgkmcnt(1)
	v_add_u32_e32 v4, v4, v29
	v_lshl_add_u64 v[4:5], v[4:5], 1, s[14:15]
	s_waitcnt lgkmcnt(0)
	global_store_short v[4:5], v6, off
	s_or_b64 exec, exec, s[16:17]
	s_and_saveexec_b64 s[16:17], s[62:63]
	s_cbranch_execnz .LBB984_252
.LBB984_273:
	s_or_b64 exec, exec, s[16:17]
	s_and_saveexec_b64 s[16:17], s[64:65]
	s_cbranch_execz .LBB984_253
.LBB984_274:
	v_lshlrev_b32_e32 v4, 2, v28
	ds_read_b32 v4, v4
	v_lshlrev_b32_e32 v5, 1, v2
	s_waitcnt vmcnt(0)
	ds_read_u16 v6, v5 offset:7424
	v_mov_b32_e32 v5, 0
	s_waitcnt lgkmcnt(1)
	v_add_u32_e32 v4, v4, v60
	v_lshl_add_u64 v[4:5], v[4:5], 1, s[14:15]
	s_waitcnt lgkmcnt(0)
	global_store_short v[4:5], v6, off
	s_or_b64 exec, exec, s[16:17]
	s_and_saveexec_b64 s[16:17], s[66:67]
	s_cbranch_execnz .LBB984_254
.LBB984_275:
	s_or_b64 exec, exec, s[16:17]
	s_and_saveexec_b64 s[16:17], s[68:69]
	s_cbranch_execz .LBB984_255
.LBB984_276:
	v_lshlrev_b32_e32 v4, 2, v32
	ds_read_b32 v4, v4
	v_lshlrev_b32_e32 v5, 1, v2
	s_waitcnt vmcnt(0)
	ds_read_u16 v6, v5 offset:9472
	v_mov_b32_e32 v5, 0
	s_waitcnt lgkmcnt(1)
	v_add_u32_e32 v4, v4, v66
	v_lshl_add_u64 v[4:5], v[4:5], 1, s[14:15]
	s_waitcnt lgkmcnt(0)
	global_store_short v[4:5], v6, off
	s_or_b64 exec, exec, s[16:17]
	s_and_saveexec_b64 s[16:17], s[70:71]
	s_cbranch_execnz .LBB984_256
.LBB984_277:
	s_or_b64 exec, exec, s[16:17]
	s_and_saveexec_b64 s[16:17], s[72:73]
	s_cbranch_execz .LBB984_257
.LBB984_278:
	v_lshlrev_b32_e32 v4, 2, v64
	ds_read_b32 v4, v4
	v_lshlrev_b32_e32 v5, 1, v2
	s_waitcnt vmcnt(0)
	ds_read_u16 v6, v5 offset:11520
	v_mov_b32_e32 v5, 0
	s_waitcnt lgkmcnt(1)
	v_add_u32_e32 v4, v4, v72
	v_lshl_add_u64 v[4:5], v[4:5], 1, s[14:15]
	s_waitcnt lgkmcnt(0)
	global_store_short v[4:5], v6, off
	s_or_b64 exec, exec, s[16:17]
	s_and_saveexec_b64 s[16:17], s[74:75]
	s_cbranch_execnz .LBB984_258
.LBB984_279:
	s_or_b64 exec, exec, s[16:17]
	s_and_saveexec_b64 s[16:17], s[76:77]
	s_cbranch_execz .LBB984_259
.LBB984_280:
	v_lshlrev_b32_e32 v4, 2, v71
	ds_read_b32 v4, v4
	v_lshlrev_b32_e32 v5, 1, v2
	s_waitcnt vmcnt(0)
	ds_read_u16 v6, v5 offset:13568
	v_mov_b32_e32 v5, 0
	s_waitcnt lgkmcnt(1)
	v_add_u32_e32 v4, v4, v79
	v_lshl_add_u64 v[4:5], v[4:5], 1, s[14:15]
	s_waitcnt lgkmcnt(0)
	global_store_short v[4:5], v6, off
	s_or_b64 exec, exec, s[16:17]
	s_and_saveexec_b64 s[16:17], s[78:79]
	s_cbranch_execnz .LBB984_260
.LBB984_281:
	s_or_b64 exec, exec, s[16:17]
	s_and_saveexec_b64 s[16:17], s[80:81]
	s_cbranch_execz .LBB984_261
.LBB984_282:
	v_lshlrev_b32_e32 v4, 2, v77
	ds_read_b32 v4, v4
	v_lshlrev_b32_e32 v5, 1, v2
	s_waitcnt vmcnt(0)
	ds_read_u16 v6, v5 offset:15616
	v_mov_b32_e32 v5, 0
	s_waitcnt lgkmcnt(1)
	v_add_u32_e32 v4, v4, v84
	v_lshl_add_u64 v[4:5], v[4:5], 1, s[14:15]
	s_waitcnt lgkmcnt(0)
	global_store_short v[4:5], v6, off
	s_or_b64 exec, exec, s[16:17]
	s_and_saveexec_b64 s[16:17], s[82:83]
	s_cbranch_execnz .LBB984_262
.LBB984_283:
	s_or_b64 exec, exec, s[16:17]
	s_and_saveexec_b64 s[16:17], s[84:85]
	s_cbranch_execz .LBB984_263
.LBB984_284:
	v_lshlrev_b32_e32 v4, 2, v82
	ds_read_b32 v4, v4
	v_lshlrev_b32_e32 v5, 1, v2
	s_waitcnt vmcnt(0)
	ds_read_u16 v6, v5 offset:17664
	v_mov_b32_e32 v5, 0
	s_waitcnt lgkmcnt(1)
	v_add_u32_e32 v4, v4, v88
	v_lshl_add_u64 v[4:5], v[4:5], 1, s[14:15]
	s_waitcnt lgkmcnt(0)
	global_store_short v[4:5], v6, off
	s_or_b64 exec, exec, s[16:17]
	s_and_saveexec_b64 s[16:17], s[86:87]
	s_cbranch_execnz .LBB984_264
.LBB984_285:
	s_or_b64 exec, exec, s[16:17]
	s_and_saveexec_b64 s[16:17], s[88:89]
	s_cbranch_execz .LBB984_265
.LBB984_286:
	v_lshlrev_b32_e32 v4, 2, v87
	ds_read_b32 v4, v4
	v_lshlrev_b32_e32 v5, 1, v2
	s_waitcnt vmcnt(0)
	ds_read_u16 v6, v5 offset:19712
	v_mov_b32_e32 v5, 0
	s_waitcnt lgkmcnt(1)
	v_add_u32_e32 v4, v4, v92
	v_lshl_add_u64 v[4:5], v[4:5], 1, s[14:15]
	s_waitcnt lgkmcnt(0)
	global_store_short v[4:5], v6, off
	s_or_b64 exec, exec, s[16:17]
	s_and_saveexec_b64 s[16:17], s[90:91]
	s_cbranch_execnz .LBB984_266
.LBB984_287:
	s_or_b64 exec, exec, s[16:17]
	s_and_saveexec_b64 s[16:17], s[92:93]
	s_cbranch_execz .LBB984_289
.LBB984_288:
	v_lshlrev_b32_e32 v4, 2, v91
	ds_read_b32 v4, v4
	v_lshlrev_b32_e32 v5, 1, v2
	s_waitcnt vmcnt(0)
	ds_read_u16 v6, v5 offset:21760
	v_mov_b32_e32 v5, 0
	s_waitcnt lgkmcnt(1)
	v_add_u32_e32 v4, v4, v95
	v_lshl_add_u64 v[4:5], v[4:5], 1, s[14:15]
	s_waitcnt lgkmcnt(0)
	global_store_short v[4:5], v6, off
.LBB984_289:
	s_or_b64 exec, exec, s[16:17]
	s_load_dword s3, s[0:1], 0x58
	s_waitcnt lgkmcnt(0)
	s_add_i32 s3, s3, -1
	s_cmp_eq_u32 s33, s3
	s_cselect_b64 s[16:17], -1, 0
	s_xor_b64 s[18:19], s[48:49], -1
	s_and_b64 s[18:19], s[18:19], s[16:17]
	s_and_saveexec_b64 s[16:17], s[18:19]
	s_cbranch_execz .LBB984_291
; %bb.290:
	ds_read_b32 v4, v3
	s_load_dwordx4 s[20:23], s[0:1], 0x28
	s_waitcnt lgkmcnt(0)
	v_add3_u32 v4, v15, v18, v4
	global_store_dword v3, v4, s[22:23]
.LBB984_291:
	s_or_b64 exec, exec, s[16:17]
	s_mov_b64 s[16:17], 0
.LBB984_292:
	s_and_b64 vcc, exec, s[16:17]
	s_cbranch_vccz .LBB984_383
; %bb.293:
	s_mov_b32 s5, 0
	s_lshl_b64 s[16:17], s[4:5], 1
	v_mbcnt_hi_u32_b32 v29, -1, v1
	s_add_u32 s4, s8, s16
	v_and_b32_e32 v3, 63, v29
	v_and_b32_e32 v30, 0x3c0, v2
	v_mov_b32_e32 v1, 0
	s_addc_u32 s5, s9, s17
	s_waitcnt vmcnt(0)
	v_mul_u32_u24_e32 v6, 22, v30
	v_lshlrev_b32_e32 v4, 1, v3
	v_mov_b32_e32 v5, v1
	v_lshl_add_u64 v[8:9], s[4:5], 0, v[4:5]
	v_lshlrev_b32_e32 v6, 1, v6
	v_mov_b32_e32 v7, v1
	v_lshl_add_u64 v[8:9], v[8:9], 0, v[6:7]
	global_load_ushort v3, v[8:9], off
	s_load_dword s3, s[0:1], 0x64
	s_load_dword s20, s[0:1], 0x58
	s_add_u32 s0, s0, 0x58
	s_addc_u32 s1, s1, 0
	v_bfe_u32 v33, v0, 20, 10
	s_waitcnt lgkmcnt(0)
	s_lshr_b32 s3, s3, 16
	s_cmp_lt_u32 s2, s20
	s_cselect_b32 s2, 12, 18
	s_add_u32 s0, s0, s2
	s_addc_u32 s1, s1, 0
	global_load_ushort v38, v1, s[0:1]
	global_load_ushort v28, v[8:9], off offset:128
	global_load_ushort v27, v[8:9], off offset:256
	;; [unrolled: 1-line block ×14, first 2 shown]
                                        ; kill: killed $sgpr0 killed $sgpr1
	global_load_ushort v15, v[8:9], off offset:1920
	global_load_ushort v13, v[8:9], off offset:2048
	;; [unrolled: 1-line block ×7, first 2 shown]
	v_bfe_u32 v9, v0, 10, 10
	v_lshlrev_b32_e32 v31, 3, v2
	v_mov_b32_e32 v0, v1
	ds_write_b64 v31, v[0:1] offset:32
	s_lshl_b32 s0, -1, s97
	v_mov_b32_e32 v8, v1
	v_mad_u32_u24 v39, v33, s3, v9
	v_mov_b32_e32 v32, v1
	v_mov_b32_e32 v34, v1
	s_not_b32 s21, s0
	s_waitcnt lgkmcnt(0)
	s_barrier
	s_waitcnt vmcnt(22)
	; wave barrier
	v_lshrrev_b32_sdwa v0, s96, v3 dst_sel:DWORD dst_unused:UNUSED_PAD src0_sel:DWORD src1_sel:WORD_0
	v_bitop3_b32 v40, v0, s0, v0 bitop3:0x30
	v_and_b32_e32 v0, 1, v40
	v_lshlrev_b32_e32 v9, 30, v40
	v_lshlrev_b32_e32 v33, 29, v40
	;; [unrolled: 1-line block ×3, first 2 shown]
	v_lshl_add_u64 v[36:37], v[0:1], 0, -1
	v_cmp_ne_u32_e32 vcc, 0, v0
	v_cmp_gt_i64_e64 s[0:1], 0, v[8:9]
	v_not_b32_e32 v0, v9
	s_waitcnt vmcnt(21)
	v_mad_u64_u32 v[8:9], s[8:9], v39, v38, v[2:3]
	v_cmp_gt_i64_e64 s[2:3], 0, v[32:33]
	v_not_b32_e32 v32, v33
	v_cmp_gt_i64_e64 s[4:5], 0, v[34:35]
	v_xor_b32_e32 v9, vcc_hi, v37
	v_xor_b32_e32 v34, vcc_lo, v36
	v_ashrrev_i32_e32 v0, 31, v0
	v_not_b32_e32 v33, v35
	v_ashrrev_i32_e32 v32, 31, v32
	v_lshrrev_b32_e32 v8, 4, v8
	v_and_b32_e32 v9, exec_hi, v9
	v_and_b32_e32 v34, exec_lo, v34
	v_xor_b32_e32 v35, s1, v0
	v_xor_b32_e32 v0, s0, v0
	v_xor_b32_e32 v36, s3, v32
	v_xor_b32_e32 v32, s2, v32
	v_and_b32_e32 v37, 0xffffffc, v8
	v_and_b32_e32 v8, v9, v35
	;; [unrolled: 1-line block ×3, first 2 shown]
	v_ashrrev_i32_e32 v9, 31, v33
	v_and_b32_e32 v8, v8, v36
	v_and_b32_e32 v0, v0, v32
	v_xor_b32_e32 v32, s5, v9
	v_xor_b32_e32 v9, s4, v9
	v_and_b32_e32 v32, v8, v32
	v_and_b32_e32 v0, v0, v9
	v_lshlrev_b32_e32 v9, 27, v40
	v_mov_b32_e32 v8, v1
	v_cmp_gt_i64_e32 vcc, 0, v[8:9]
	v_not_b32_e32 v8, v9
	v_ashrrev_i32_e32 v8, 31, v8
	v_xor_b32_e32 v9, vcc_hi, v8
	v_xor_b32_e32 v8, vcc_lo, v8
	v_and_b32_e32 v32, v32, v9
	v_and_b32_e32 v0, v0, v8
	v_lshlrev_b32_e32 v9, 26, v40
	v_mov_b32_e32 v8, v1
	v_cmp_gt_i64_e32 vcc, 0, v[8:9]
	v_not_b32_e32 v8, v9
	v_ashrrev_i32_e32 v8, 31, v8
	v_xor_b32_e32 v9, vcc_hi, v8
	v_xor_b32_e32 v8, vcc_lo, v8
	v_and_b32_e32 v8, v0, v8
	v_and_b32_e32 v9, v32, v9
	v_mbcnt_lo_u32_b32 v0, v8, 0
	v_mbcnt_hi_u32_b32 v32, v9, v0
	v_mul_u32_u24_e32 v41, 36, v40
	v_cmp_eq_u32_e32 vcc, 0, v32
	v_cmp_ne_u64_e64 s[0:1], 0, v[8:9]
	s_and_b64 s[2:3], s[0:1], vcc
	v_add_u32_e32 v34, v37, v41
	s_and_saveexec_b64 s[0:1], s[2:3]
; %bb.294:
	v_bcnt_u32_b32 v0, v8, 0
	v_bcnt_u32_b32 v0, v9, v0
	ds_write_b32 v34, v0 offset:32
; %bb.295:
	s_or_b64 exec, exec, s[0:1]
	s_waitcnt vmcnt(20)
	v_lshrrev_b32_sdwa v0, s96, v28 dst_sel:DWORD dst_unused:UNUSED_PAD src0_sel:DWORD src1_sel:WORD_0
	v_and_b32_e32 v35, s21, v0
	v_mad_u32_u24 v0, v35, 36, v37
	; wave barrier
	ds_read_b32 v33, v0 offset:32
	v_and_b32_e32 v0, 1, v35
	v_lshl_add_u64 v[8:9], v[0:1], 0, -1
	v_cmp_ne_u32_e32 vcc, 0, v0
	v_mul_u32_u24_e32 v36, 36, v35
	s_nop 0
	v_xor_b32_e32 v8, vcc_lo, v8
	v_xor_b32_e32 v0, vcc_hi, v9
	v_and_b32_e32 v38, exec_lo, v8
	v_lshlrev_b32_e32 v9, 30, v35
	v_mov_b32_e32 v8, v1
	v_cmp_gt_i64_e32 vcc, 0, v[8:9]
	v_not_b32_e32 v8, v9
	v_ashrrev_i32_e32 v8, 31, v8
	v_and_b32_e32 v0, exec_hi, v0
	v_xor_b32_e32 v9, vcc_hi, v8
	v_xor_b32_e32 v8, vcc_lo, v8
	v_and_b32_e32 v0, v0, v9
	v_and_b32_e32 v38, v38, v8
	v_lshlrev_b32_e32 v9, 29, v35
	v_mov_b32_e32 v8, v1
	v_cmp_gt_i64_e32 vcc, 0, v[8:9]
	v_not_b32_e32 v8, v9
	v_ashrrev_i32_e32 v8, 31, v8
	v_xor_b32_e32 v9, vcc_hi, v8
	v_xor_b32_e32 v8, vcc_lo, v8
	v_and_b32_e32 v0, v0, v9
	v_and_b32_e32 v38, v38, v8
	v_lshlrev_b32_e32 v9, 28, v35
	v_mov_b32_e32 v8, v1
	v_cmp_gt_i64_e32 vcc, 0, v[8:9]
	v_not_b32_e32 v8, v9
	v_ashrrev_i32_e32 v8, 31, v8
	;; [unrolled: 9-line block ×3, first 2 shown]
	v_xor_b32_e32 v9, vcc_hi, v8
	v_xor_b32_e32 v8, vcc_lo, v8
	v_and_b32_e32 v0, v0, v9
	v_lshlrev_b32_e32 v9, 26, v35
	v_and_b32_e32 v38, v38, v8
	v_mov_b32_e32 v8, v1
	v_not_b32_e32 v1, v9
	v_cmp_gt_i64_e32 vcc, 0, v[8:9]
	v_ashrrev_i32_e32 v1, 31, v1
	; wave barrier
	s_nop 0
	v_xor_b32_e32 v8, vcc_hi, v1
	v_xor_b32_e32 v9, vcc_lo, v1
	v_and_b32_e32 v1, v0, v8
	v_and_b32_e32 v0, v38, v9
	v_mbcnt_lo_u32_b32 v8, v0, 0
	v_mbcnt_hi_u32_b32 v35, v1, v8
	v_cmp_eq_u32_e32 vcc, 0, v35
	v_cmp_ne_u64_e64 s[0:1], 0, v[0:1]
	s_and_b64 s[2:3], s[0:1], vcc
	v_add_u32_e32 v38, v37, v36
	s_and_saveexec_b64 s[0:1], s[2:3]
	s_cbranch_execz .LBB984_297
; %bb.296:
	v_bcnt_u32_b32 v0, v0, 0
	v_bcnt_u32_b32 v0, v1, v0
	s_waitcnt lgkmcnt(0)
	v_add_u32_e32 v0, v33, v0
	ds_write_b32 v38, v0 offset:32
.LBB984_297:
	s_or_b64 exec, exec, s[0:1]
	s_waitcnt vmcnt(19)
	v_lshrrev_b32_sdwa v0, s96, v27 dst_sel:DWORD dst_unused:UNUSED_PAD src0_sel:DWORD src1_sel:WORD_0
	v_and_b32_e32 v39, s21, v0
	v_mad_u32_u24 v0, v39, 36, v37
	; wave barrier
	ds_read_b32 v36, v0 offset:32
	v_and_b32_e32 v0, 1, v39
	v_mov_b32_e32 v1, 0
	v_lshl_add_u64 v[8:9], v[0:1], 0, -1
	v_cmp_ne_u32_e32 vcc, 0, v0
	v_mul_u32_u24_e32 v40, 36, v39
	s_nop 0
	v_xor_b32_e32 v8, vcc_lo, v8
	v_xor_b32_e32 v0, vcc_hi, v9
	v_and_b32_e32 v41, exec_lo, v8
	v_lshlrev_b32_e32 v9, 30, v39
	v_mov_b32_e32 v8, v1
	v_cmp_gt_i64_e32 vcc, 0, v[8:9]
	v_not_b32_e32 v8, v9
	v_ashrrev_i32_e32 v8, 31, v8
	v_and_b32_e32 v0, exec_hi, v0
	v_xor_b32_e32 v9, vcc_hi, v8
	v_xor_b32_e32 v8, vcc_lo, v8
	v_and_b32_e32 v0, v0, v9
	v_and_b32_e32 v41, v41, v8
	v_lshlrev_b32_e32 v9, 29, v39
	v_mov_b32_e32 v8, v1
	v_cmp_gt_i64_e32 vcc, 0, v[8:9]
	v_not_b32_e32 v8, v9
	v_ashrrev_i32_e32 v8, 31, v8
	v_xor_b32_e32 v9, vcc_hi, v8
	v_xor_b32_e32 v8, vcc_lo, v8
	v_and_b32_e32 v0, v0, v9
	v_and_b32_e32 v41, v41, v8
	v_lshlrev_b32_e32 v9, 28, v39
	v_mov_b32_e32 v8, v1
	v_cmp_gt_i64_e32 vcc, 0, v[8:9]
	v_not_b32_e32 v8, v9
	v_ashrrev_i32_e32 v8, 31, v8
	;; [unrolled: 9-line block ×4, first 2 shown]
	v_xor_b32_e32 v9, vcc_hi, v8
	v_xor_b32_e32 v8, vcc_lo, v8
	v_and_b32_e32 v8, v41, v8
	v_and_b32_e32 v9, v0, v9
	v_mbcnt_lo_u32_b32 v0, v8, 0
	v_mbcnt_hi_u32_b32 v39, v9, v0
	v_cmp_eq_u32_e32 vcc, 0, v39
	v_cmp_ne_u64_e64 s[0:1], 0, v[8:9]
	s_and_b64 s[2:3], s[0:1], vcc
	v_add_u32_e32 v41, v37, v40
	; wave barrier
	s_and_saveexec_b64 s[0:1], s[2:3]
	s_cbranch_execz .LBB984_299
; %bb.298:
	v_bcnt_u32_b32 v0, v8, 0
	v_bcnt_u32_b32 v0, v9, v0
	s_waitcnt lgkmcnt(0)
	v_add_u32_e32 v0, v36, v0
	ds_write_b32 v41, v0 offset:32
.LBB984_299:
	s_or_b64 exec, exec, s[0:1]
	s_waitcnt vmcnt(18)
	v_lshrrev_b32_sdwa v0, s96, v26 dst_sel:DWORD dst_unused:UNUSED_PAD src0_sel:DWORD src1_sel:WORD_0
	v_and_b32_e32 v42, s21, v0
	v_mad_u32_u24 v0, v42, 36, v37
	; wave barrier
	ds_read_b32 v40, v0 offset:32
	v_and_b32_e32 v0, 1, v42
	v_lshl_add_u64 v[8:9], v[0:1], 0, -1
	v_cmp_ne_u32_e32 vcc, 0, v0
	v_mul_u32_u24_e32 v43, 36, v42
	s_nop 0
	v_xor_b32_e32 v8, vcc_lo, v8
	v_xor_b32_e32 v0, vcc_hi, v9
	v_and_b32_e32 v44, exec_lo, v8
	v_lshlrev_b32_e32 v9, 30, v42
	v_mov_b32_e32 v8, v1
	v_cmp_gt_i64_e32 vcc, 0, v[8:9]
	v_not_b32_e32 v8, v9
	v_ashrrev_i32_e32 v8, 31, v8
	v_and_b32_e32 v0, exec_hi, v0
	v_xor_b32_e32 v9, vcc_hi, v8
	v_xor_b32_e32 v8, vcc_lo, v8
	v_and_b32_e32 v0, v0, v9
	v_and_b32_e32 v44, v44, v8
	v_lshlrev_b32_e32 v9, 29, v42
	v_mov_b32_e32 v8, v1
	v_cmp_gt_i64_e32 vcc, 0, v[8:9]
	v_not_b32_e32 v8, v9
	v_ashrrev_i32_e32 v8, 31, v8
	v_xor_b32_e32 v9, vcc_hi, v8
	v_xor_b32_e32 v8, vcc_lo, v8
	v_and_b32_e32 v0, v0, v9
	v_and_b32_e32 v44, v44, v8
	v_lshlrev_b32_e32 v9, 28, v42
	v_mov_b32_e32 v8, v1
	v_cmp_gt_i64_e32 vcc, 0, v[8:9]
	v_not_b32_e32 v8, v9
	v_ashrrev_i32_e32 v8, 31, v8
	;; [unrolled: 9-line block ×3, first 2 shown]
	v_xor_b32_e32 v9, vcc_hi, v8
	v_xor_b32_e32 v8, vcc_lo, v8
	v_and_b32_e32 v0, v0, v9
	v_lshlrev_b32_e32 v9, 26, v42
	v_and_b32_e32 v44, v44, v8
	v_mov_b32_e32 v8, v1
	v_not_b32_e32 v1, v9
	v_cmp_gt_i64_e32 vcc, 0, v[8:9]
	v_ashrrev_i32_e32 v1, 31, v1
	; wave barrier
	s_nop 0
	v_xor_b32_e32 v8, vcc_hi, v1
	v_xor_b32_e32 v9, vcc_lo, v1
	v_and_b32_e32 v1, v0, v8
	v_and_b32_e32 v0, v44, v9
	v_mbcnt_lo_u32_b32 v8, v0, 0
	v_mbcnt_hi_u32_b32 v42, v1, v8
	v_cmp_eq_u32_e32 vcc, 0, v42
	v_cmp_ne_u64_e64 s[0:1], 0, v[0:1]
	s_and_b64 s[2:3], s[0:1], vcc
	v_add_u32_e32 v44, v37, v43
	s_and_saveexec_b64 s[0:1], s[2:3]
	s_cbranch_execz .LBB984_301
; %bb.300:
	v_bcnt_u32_b32 v0, v0, 0
	v_bcnt_u32_b32 v0, v1, v0
	s_waitcnt lgkmcnt(0)
	v_add_u32_e32 v0, v40, v0
	ds_write_b32 v44, v0 offset:32
.LBB984_301:
	s_or_b64 exec, exec, s[0:1]
	s_waitcnt vmcnt(17)
	v_lshrrev_b32_sdwa v0, s96, v25 dst_sel:DWORD dst_unused:UNUSED_PAD src0_sel:DWORD src1_sel:WORD_0
	v_and_b32_e32 v45, s21, v0
	v_mad_u32_u24 v0, v45, 36, v37
	; wave barrier
	ds_read_b32 v43, v0 offset:32
	v_and_b32_e32 v0, 1, v45
	v_mov_b32_e32 v1, 0
	v_lshl_add_u64 v[8:9], v[0:1], 0, -1
	v_cmp_ne_u32_e32 vcc, 0, v0
	v_mul_u32_u24_e32 v46, 36, v45
	s_nop 0
	v_xor_b32_e32 v8, vcc_lo, v8
	v_xor_b32_e32 v0, vcc_hi, v9
	v_and_b32_e32 v47, exec_lo, v8
	v_lshlrev_b32_e32 v9, 30, v45
	v_mov_b32_e32 v8, v1
	v_cmp_gt_i64_e32 vcc, 0, v[8:9]
	v_not_b32_e32 v8, v9
	v_ashrrev_i32_e32 v8, 31, v8
	v_and_b32_e32 v0, exec_hi, v0
	v_xor_b32_e32 v9, vcc_hi, v8
	v_xor_b32_e32 v8, vcc_lo, v8
	v_and_b32_e32 v0, v0, v9
	v_and_b32_e32 v47, v47, v8
	v_lshlrev_b32_e32 v9, 29, v45
	v_mov_b32_e32 v8, v1
	v_cmp_gt_i64_e32 vcc, 0, v[8:9]
	v_not_b32_e32 v8, v9
	v_ashrrev_i32_e32 v8, 31, v8
	v_xor_b32_e32 v9, vcc_hi, v8
	v_xor_b32_e32 v8, vcc_lo, v8
	v_and_b32_e32 v0, v0, v9
	v_and_b32_e32 v47, v47, v8
	v_lshlrev_b32_e32 v9, 28, v45
	v_mov_b32_e32 v8, v1
	v_cmp_gt_i64_e32 vcc, 0, v[8:9]
	v_not_b32_e32 v8, v9
	v_ashrrev_i32_e32 v8, 31, v8
	;; [unrolled: 9-line block ×4, first 2 shown]
	v_xor_b32_e32 v9, vcc_hi, v8
	v_xor_b32_e32 v8, vcc_lo, v8
	v_and_b32_e32 v8, v47, v8
	v_and_b32_e32 v9, v0, v9
	v_mbcnt_lo_u32_b32 v0, v8, 0
	v_mbcnt_hi_u32_b32 v45, v9, v0
	v_cmp_eq_u32_e32 vcc, 0, v45
	v_cmp_ne_u64_e64 s[0:1], 0, v[8:9]
	s_and_b64 s[2:3], s[0:1], vcc
	v_add_u32_e32 v47, v37, v46
	; wave barrier
	s_and_saveexec_b64 s[0:1], s[2:3]
	s_cbranch_execz .LBB984_303
; %bb.302:
	v_bcnt_u32_b32 v0, v8, 0
	v_bcnt_u32_b32 v0, v9, v0
	s_waitcnt lgkmcnt(0)
	v_add_u32_e32 v0, v43, v0
	ds_write_b32 v47, v0 offset:32
.LBB984_303:
	s_or_b64 exec, exec, s[0:1]
	s_waitcnt vmcnt(16)
	v_lshrrev_b32_sdwa v0, s96, v24 dst_sel:DWORD dst_unused:UNUSED_PAD src0_sel:DWORD src1_sel:WORD_0
	v_and_b32_e32 v48, s21, v0
	v_mad_u32_u24 v0, v48, 36, v37
	; wave barrier
	ds_read_b32 v46, v0 offset:32
	v_and_b32_e32 v0, 1, v48
	v_lshl_add_u64 v[8:9], v[0:1], 0, -1
	v_cmp_ne_u32_e32 vcc, 0, v0
	v_mul_u32_u24_e32 v49, 36, v48
	s_nop 0
	v_xor_b32_e32 v8, vcc_lo, v8
	v_xor_b32_e32 v0, vcc_hi, v9
	v_and_b32_e32 v50, exec_lo, v8
	v_lshlrev_b32_e32 v9, 30, v48
	v_mov_b32_e32 v8, v1
	v_cmp_gt_i64_e32 vcc, 0, v[8:9]
	v_not_b32_e32 v8, v9
	v_ashrrev_i32_e32 v8, 31, v8
	v_and_b32_e32 v0, exec_hi, v0
	v_xor_b32_e32 v9, vcc_hi, v8
	v_xor_b32_e32 v8, vcc_lo, v8
	v_and_b32_e32 v0, v0, v9
	v_and_b32_e32 v50, v50, v8
	v_lshlrev_b32_e32 v9, 29, v48
	v_mov_b32_e32 v8, v1
	v_cmp_gt_i64_e32 vcc, 0, v[8:9]
	v_not_b32_e32 v8, v9
	v_ashrrev_i32_e32 v8, 31, v8
	v_xor_b32_e32 v9, vcc_hi, v8
	v_xor_b32_e32 v8, vcc_lo, v8
	v_and_b32_e32 v0, v0, v9
	v_and_b32_e32 v50, v50, v8
	v_lshlrev_b32_e32 v9, 28, v48
	v_mov_b32_e32 v8, v1
	v_cmp_gt_i64_e32 vcc, 0, v[8:9]
	v_not_b32_e32 v8, v9
	v_ashrrev_i32_e32 v8, 31, v8
	;; [unrolled: 9-line block ×3, first 2 shown]
	v_xor_b32_e32 v9, vcc_hi, v8
	v_xor_b32_e32 v8, vcc_lo, v8
	v_and_b32_e32 v0, v0, v9
	v_lshlrev_b32_e32 v9, 26, v48
	v_and_b32_e32 v50, v50, v8
	v_mov_b32_e32 v8, v1
	v_not_b32_e32 v1, v9
	v_cmp_gt_i64_e32 vcc, 0, v[8:9]
	v_ashrrev_i32_e32 v1, 31, v1
	; wave barrier
	s_nop 0
	v_xor_b32_e32 v8, vcc_hi, v1
	v_xor_b32_e32 v9, vcc_lo, v1
	v_and_b32_e32 v1, v0, v8
	v_and_b32_e32 v0, v50, v9
	v_mbcnt_lo_u32_b32 v8, v0, 0
	v_mbcnt_hi_u32_b32 v48, v1, v8
	v_cmp_eq_u32_e32 vcc, 0, v48
	v_cmp_ne_u64_e64 s[0:1], 0, v[0:1]
	s_and_b64 s[2:3], s[0:1], vcc
	v_add_u32_e32 v50, v37, v49
	s_and_saveexec_b64 s[0:1], s[2:3]
	s_cbranch_execz .LBB984_305
; %bb.304:
	v_bcnt_u32_b32 v0, v0, 0
	v_bcnt_u32_b32 v0, v1, v0
	s_waitcnt lgkmcnt(0)
	v_add_u32_e32 v0, v46, v0
	ds_write_b32 v50, v0 offset:32
.LBB984_305:
	s_or_b64 exec, exec, s[0:1]
	s_waitcnt vmcnt(15)
	v_lshrrev_b32_sdwa v0, s96, v23 dst_sel:DWORD dst_unused:UNUSED_PAD src0_sel:DWORD src1_sel:WORD_0
	v_and_b32_e32 v51, s21, v0
	v_mad_u32_u24 v0, v51, 36, v37
	; wave barrier
	ds_read_b32 v49, v0 offset:32
	v_and_b32_e32 v0, 1, v51
	v_mov_b32_e32 v1, 0
	v_lshl_add_u64 v[8:9], v[0:1], 0, -1
	v_cmp_ne_u32_e32 vcc, 0, v0
	v_mul_u32_u24_e32 v52, 36, v51
	s_nop 0
	v_xor_b32_e32 v8, vcc_lo, v8
	v_xor_b32_e32 v0, vcc_hi, v9
	v_and_b32_e32 v53, exec_lo, v8
	v_lshlrev_b32_e32 v9, 30, v51
	v_mov_b32_e32 v8, v1
	v_cmp_gt_i64_e32 vcc, 0, v[8:9]
	v_not_b32_e32 v8, v9
	v_ashrrev_i32_e32 v8, 31, v8
	v_and_b32_e32 v0, exec_hi, v0
	v_xor_b32_e32 v9, vcc_hi, v8
	v_xor_b32_e32 v8, vcc_lo, v8
	v_and_b32_e32 v0, v0, v9
	v_and_b32_e32 v53, v53, v8
	v_lshlrev_b32_e32 v9, 29, v51
	v_mov_b32_e32 v8, v1
	v_cmp_gt_i64_e32 vcc, 0, v[8:9]
	v_not_b32_e32 v8, v9
	v_ashrrev_i32_e32 v8, 31, v8
	v_xor_b32_e32 v9, vcc_hi, v8
	v_xor_b32_e32 v8, vcc_lo, v8
	v_and_b32_e32 v0, v0, v9
	v_and_b32_e32 v53, v53, v8
	v_lshlrev_b32_e32 v9, 28, v51
	v_mov_b32_e32 v8, v1
	v_cmp_gt_i64_e32 vcc, 0, v[8:9]
	v_not_b32_e32 v8, v9
	v_ashrrev_i32_e32 v8, 31, v8
	;; [unrolled: 9-line block ×4, first 2 shown]
	v_xor_b32_e32 v9, vcc_hi, v8
	v_xor_b32_e32 v8, vcc_lo, v8
	v_and_b32_e32 v8, v53, v8
	v_and_b32_e32 v9, v0, v9
	v_mbcnt_lo_u32_b32 v0, v8, 0
	v_mbcnt_hi_u32_b32 v51, v9, v0
	v_cmp_eq_u32_e32 vcc, 0, v51
	v_cmp_ne_u64_e64 s[0:1], 0, v[8:9]
	s_and_b64 s[2:3], s[0:1], vcc
	v_add_u32_e32 v53, v37, v52
	; wave barrier
	s_and_saveexec_b64 s[0:1], s[2:3]
	s_cbranch_execz .LBB984_307
; %bb.306:
	v_bcnt_u32_b32 v0, v8, 0
	v_bcnt_u32_b32 v0, v9, v0
	s_waitcnt lgkmcnt(0)
	v_add_u32_e32 v0, v49, v0
	ds_write_b32 v53, v0 offset:32
.LBB984_307:
	s_or_b64 exec, exec, s[0:1]
	s_waitcnt vmcnt(14)
	v_lshrrev_b32_sdwa v0, s96, v22 dst_sel:DWORD dst_unused:UNUSED_PAD src0_sel:DWORD src1_sel:WORD_0
	v_and_b32_e32 v54, s21, v0
	v_mad_u32_u24 v0, v54, 36, v37
	; wave barrier
	ds_read_b32 v52, v0 offset:32
	v_and_b32_e32 v0, 1, v54
	v_lshl_add_u64 v[8:9], v[0:1], 0, -1
	v_cmp_ne_u32_e32 vcc, 0, v0
	v_mul_u32_u24_e32 v55, 36, v54
	s_nop 0
	v_xor_b32_e32 v8, vcc_lo, v8
	v_xor_b32_e32 v0, vcc_hi, v9
	v_and_b32_e32 v56, exec_lo, v8
	v_lshlrev_b32_e32 v9, 30, v54
	v_mov_b32_e32 v8, v1
	v_cmp_gt_i64_e32 vcc, 0, v[8:9]
	v_not_b32_e32 v8, v9
	v_ashrrev_i32_e32 v8, 31, v8
	v_and_b32_e32 v0, exec_hi, v0
	v_xor_b32_e32 v9, vcc_hi, v8
	v_xor_b32_e32 v8, vcc_lo, v8
	v_and_b32_e32 v0, v0, v9
	v_and_b32_e32 v56, v56, v8
	v_lshlrev_b32_e32 v9, 29, v54
	v_mov_b32_e32 v8, v1
	v_cmp_gt_i64_e32 vcc, 0, v[8:9]
	v_not_b32_e32 v8, v9
	v_ashrrev_i32_e32 v8, 31, v8
	v_xor_b32_e32 v9, vcc_hi, v8
	v_xor_b32_e32 v8, vcc_lo, v8
	v_and_b32_e32 v0, v0, v9
	v_and_b32_e32 v56, v56, v8
	v_lshlrev_b32_e32 v9, 28, v54
	v_mov_b32_e32 v8, v1
	v_cmp_gt_i64_e32 vcc, 0, v[8:9]
	v_not_b32_e32 v8, v9
	v_ashrrev_i32_e32 v8, 31, v8
	;; [unrolled: 9-line block ×3, first 2 shown]
	v_xor_b32_e32 v9, vcc_hi, v8
	v_xor_b32_e32 v8, vcc_lo, v8
	v_and_b32_e32 v0, v0, v9
	v_lshlrev_b32_e32 v9, 26, v54
	v_and_b32_e32 v56, v56, v8
	v_mov_b32_e32 v8, v1
	v_not_b32_e32 v1, v9
	v_cmp_gt_i64_e32 vcc, 0, v[8:9]
	v_ashrrev_i32_e32 v1, 31, v1
	; wave barrier
	s_nop 0
	v_xor_b32_e32 v8, vcc_hi, v1
	v_xor_b32_e32 v9, vcc_lo, v1
	v_and_b32_e32 v1, v0, v8
	v_and_b32_e32 v0, v56, v9
	v_mbcnt_lo_u32_b32 v8, v0, 0
	v_mbcnt_hi_u32_b32 v54, v1, v8
	v_cmp_eq_u32_e32 vcc, 0, v54
	v_cmp_ne_u64_e64 s[0:1], 0, v[0:1]
	s_and_b64 s[2:3], s[0:1], vcc
	v_add_u32_e32 v56, v37, v55
	s_and_saveexec_b64 s[0:1], s[2:3]
	s_cbranch_execz .LBB984_309
; %bb.308:
	v_bcnt_u32_b32 v0, v0, 0
	v_bcnt_u32_b32 v0, v1, v0
	s_waitcnt lgkmcnt(0)
	v_add_u32_e32 v0, v52, v0
	ds_write_b32 v56, v0 offset:32
.LBB984_309:
	s_or_b64 exec, exec, s[0:1]
	s_waitcnt vmcnt(13)
	v_lshrrev_b32_sdwa v0, s96, v21 dst_sel:DWORD dst_unused:UNUSED_PAD src0_sel:DWORD src1_sel:WORD_0
	v_and_b32_e32 v57, s21, v0
	v_mad_u32_u24 v0, v57, 36, v37
	; wave barrier
	ds_read_b32 v55, v0 offset:32
	v_and_b32_e32 v0, 1, v57
	v_mov_b32_e32 v1, 0
	v_lshl_add_u64 v[8:9], v[0:1], 0, -1
	v_cmp_ne_u32_e32 vcc, 0, v0
	v_mul_u32_u24_e32 v58, 36, v57
	s_nop 0
	v_xor_b32_e32 v8, vcc_lo, v8
	v_xor_b32_e32 v0, vcc_hi, v9
	v_and_b32_e32 v59, exec_lo, v8
	v_lshlrev_b32_e32 v9, 30, v57
	v_mov_b32_e32 v8, v1
	v_cmp_gt_i64_e32 vcc, 0, v[8:9]
	v_not_b32_e32 v8, v9
	v_ashrrev_i32_e32 v8, 31, v8
	v_and_b32_e32 v0, exec_hi, v0
	v_xor_b32_e32 v9, vcc_hi, v8
	v_xor_b32_e32 v8, vcc_lo, v8
	v_and_b32_e32 v0, v0, v9
	v_and_b32_e32 v59, v59, v8
	v_lshlrev_b32_e32 v9, 29, v57
	v_mov_b32_e32 v8, v1
	v_cmp_gt_i64_e32 vcc, 0, v[8:9]
	v_not_b32_e32 v8, v9
	v_ashrrev_i32_e32 v8, 31, v8
	v_xor_b32_e32 v9, vcc_hi, v8
	v_xor_b32_e32 v8, vcc_lo, v8
	v_and_b32_e32 v0, v0, v9
	v_and_b32_e32 v59, v59, v8
	v_lshlrev_b32_e32 v9, 28, v57
	v_mov_b32_e32 v8, v1
	v_cmp_gt_i64_e32 vcc, 0, v[8:9]
	v_not_b32_e32 v8, v9
	v_ashrrev_i32_e32 v8, 31, v8
	v_xor_b32_e32 v9, vcc_hi, v8
	v_xor_b32_e32 v8, vcc_lo, v8
	v_and_b32_e32 v0, v0, v9
	v_and_b32_e32 v59, v59, v8
	v_lshlrev_b32_e32 v9, 27, v57
	v_mov_b32_e32 v8, v1
	v_cmp_gt_i64_e32 vcc, 0, v[8:9]
	v_not_b32_e32 v8, v9
	v_ashrrev_i32_e32 v8, 31, v8
	v_xor_b32_e32 v9, vcc_hi, v8
	v_xor_b32_e32 v8, vcc_lo, v8
	v_and_b32_e32 v0, v0, v9
	v_and_b32_e32 v59, v59, v8
	v_lshlrev_b32_e32 v9, 26, v57
	v_mov_b32_e32 v8, v1
	v_cmp_gt_i64_e32 vcc, 0, v[8:9]
	v_not_b32_e32 v8, v9
	v_ashrrev_i32_e32 v8, 31, v8
	v_xor_b32_e32 v9, vcc_hi, v8
	v_xor_b32_e32 v8, vcc_lo, v8
	v_and_b32_e32 v8, v59, v8
	v_and_b32_e32 v9, v0, v9
	v_mbcnt_lo_u32_b32 v0, v8, 0
	v_mbcnt_hi_u32_b32 v57, v9, v0
	v_cmp_eq_u32_e32 vcc, 0, v57
	v_cmp_ne_u64_e64 s[0:1], 0, v[8:9]
	s_and_b64 s[2:3], s[0:1], vcc
	v_add_u32_e32 v59, v37, v58
	; wave barrier
	s_and_saveexec_b64 s[0:1], s[2:3]
	s_cbranch_execz .LBB984_311
; %bb.310:
	v_bcnt_u32_b32 v0, v8, 0
	v_bcnt_u32_b32 v0, v9, v0
	s_waitcnt lgkmcnt(0)
	v_add_u32_e32 v0, v55, v0
	ds_write_b32 v59, v0 offset:32
.LBB984_311:
	s_or_b64 exec, exec, s[0:1]
	s_waitcnt vmcnt(12)
	v_lshrrev_b32_sdwa v0, s96, v20 dst_sel:DWORD dst_unused:UNUSED_PAD src0_sel:DWORD src1_sel:WORD_0
	v_and_b32_e32 v60, s21, v0
	v_mad_u32_u24 v0, v60, 36, v37
	; wave barrier
	ds_read_b32 v58, v0 offset:32
	v_and_b32_e32 v0, 1, v60
	v_lshl_add_u64 v[8:9], v[0:1], 0, -1
	v_cmp_ne_u32_e32 vcc, 0, v0
	v_mul_u32_u24_e32 v61, 36, v60
	s_nop 0
	v_xor_b32_e32 v8, vcc_lo, v8
	v_xor_b32_e32 v0, vcc_hi, v9
	v_and_b32_e32 v62, exec_lo, v8
	v_lshlrev_b32_e32 v9, 30, v60
	v_mov_b32_e32 v8, v1
	v_cmp_gt_i64_e32 vcc, 0, v[8:9]
	v_not_b32_e32 v8, v9
	v_ashrrev_i32_e32 v8, 31, v8
	v_and_b32_e32 v0, exec_hi, v0
	v_xor_b32_e32 v9, vcc_hi, v8
	v_xor_b32_e32 v8, vcc_lo, v8
	v_and_b32_e32 v0, v0, v9
	v_and_b32_e32 v62, v62, v8
	v_lshlrev_b32_e32 v9, 29, v60
	v_mov_b32_e32 v8, v1
	v_cmp_gt_i64_e32 vcc, 0, v[8:9]
	v_not_b32_e32 v8, v9
	v_ashrrev_i32_e32 v8, 31, v8
	v_xor_b32_e32 v9, vcc_hi, v8
	v_xor_b32_e32 v8, vcc_lo, v8
	v_and_b32_e32 v0, v0, v9
	v_and_b32_e32 v62, v62, v8
	v_lshlrev_b32_e32 v9, 28, v60
	v_mov_b32_e32 v8, v1
	v_cmp_gt_i64_e32 vcc, 0, v[8:9]
	v_not_b32_e32 v8, v9
	v_ashrrev_i32_e32 v8, 31, v8
	;; [unrolled: 9-line block ×3, first 2 shown]
	v_xor_b32_e32 v9, vcc_hi, v8
	v_xor_b32_e32 v8, vcc_lo, v8
	v_and_b32_e32 v0, v0, v9
	v_lshlrev_b32_e32 v9, 26, v60
	v_and_b32_e32 v62, v62, v8
	v_mov_b32_e32 v8, v1
	v_not_b32_e32 v1, v9
	v_cmp_gt_i64_e32 vcc, 0, v[8:9]
	v_ashrrev_i32_e32 v1, 31, v1
	; wave barrier
	s_nop 0
	v_xor_b32_e32 v8, vcc_hi, v1
	v_xor_b32_e32 v9, vcc_lo, v1
	v_and_b32_e32 v1, v0, v8
	v_and_b32_e32 v0, v62, v9
	v_mbcnt_lo_u32_b32 v8, v0, 0
	v_mbcnt_hi_u32_b32 v60, v1, v8
	v_cmp_eq_u32_e32 vcc, 0, v60
	v_cmp_ne_u64_e64 s[0:1], 0, v[0:1]
	s_and_b64 s[2:3], s[0:1], vcc
	v_add_u32_e32 v62, v37, v61
	s_and_saveexec_b64 s[0:1], s[2:3]
	s_cbranch_execz .LBB984_313
; %bb.312:
	v_bcnt_u32_b32 v0, v0, 0
	v_bcnt_u32_b32 v0, v1, v0
	s_waitcnt lgkmcnt(0)
	v_add_u32_e32 v0, v58, v0
	ds_write_b32 v62, v0 offset:32
.LBB984_313:
	s_or_b64 exec, exec, s[0:1]
	s_waitcnt vmcnt(11)
	v_lshrrev_b32_sdwa v0, s96, v19 dst_sel:DWORD dst_unused:UNUSED_PAD src0_sel:DWORD src1_sel:WORD_0
	v_and_b32_e32 v63, s21, v0
	v_mad_u32_u24 v0, v63, 36, v37
	; wave barrier
	ds_read_b32 v61, v0 offset:32
	v_and_b32_e32 v0, 1, v63
	v_mov_b32_e32 v1, 0
	v_lshl_add_u64 v[8:9], v[0:1], 0, -1
	v_cmp_ne_u32_e32 vcc, 0, v0
	v_mul_u32_u24_e32 v64, 36, v63
	s_nop 0
	v_xor_b32_e32 v8, vcc_lo, v8
	v_xor_b32_e32 v0, vcc_hi, v9
	v_and_b32_e32 v65, exec_lo, v8
	v_lshlrev_b32_e32 v9, 30, v63
	v_mov_b32_e32 v8, v1
	v_cmp_gt_i64_e32 vcc, 0, v[8:9]
	v_not_b32_e32 v8, v9
	v_ashrrev_i32_e32 v8, 31, v8
	v_and_b32_e32 v0, exec_hi, v0
	v_xor_b32_e32 v9, vcc_hi, v8
	v_xor_b32_e32 v8, vcc_lo, v8
	v_and_b32_e32 v0, v0, v9
	v_and_b32_e32 v65, v65, v8
	v_lshlrev_b32_e32 v9, 29, v63
	v_mov_b32_e32 v8, v1
	v_cmp_gt_i64_e32 vcc, 0, v[8:9]
	v_not_b32_e32 v8, v9
	v_ashrrev_i32_e32 v8, 31, v8
	v_xor_b32_e32 v9, vcc_hi, v8
	v_xor_b32_e32 v8, vcc_lo, v8
	v_and_b32_e32 v0, v0, v9
	v_and_b32_e32 v65, v65, v8
	v_lshlrev_b32_e32 v9, 28, v63
	v_mov_b32_e32 v8, v1
	v_cmp_gt_i64_e32 vcc, 0, v[8:9]
	v_not_b32_e32 v8, v9
	v_ashrrev_i32_e32 v8, 31, v8
	;; [unrolled: 9-line block ×4, first 2 shown]
	v_xor_b32_e32 v9, vcc_hi, v8
	v_xor_b32_e32 v8, vcc_lo, v8
	v_and_b32_e32 v8, v65, v8
	v_and_b32_e32 v9, v0, v9
	v_mbcnt_lo_u32_b32 v0, v8, 0
	v_mbcnt_hi_u32_b32 v63, v9, v0
	v_cmp_eq_u32_e32 vcc, 0, v63
	v_cmp_ne_u64_e64 s[0:1], 0, v[8:9]
	s_and_b64 s[2:3], s[0:1], vcc
	v_add_u32_e32 v65, v37, v64
	; wave barrier
	s_and_saveexec_b64 s[0:1], s[2:3]
	s_cbranch_execz .LBB984_315
; %bb.314:
	v_bcnt_u32_b32 v0, v8, 0
	v_bcnt_u32_b32 v0, v9, v0
	s_waitcnt lgkmcnt(0)
	v_add_u32_e32 v0, v61, v0
	ds_write_b32 v65, v0 offset:32
.LBB984_315:
	s_or_b64 exec, exec, s[0:1]
	s_waitcnt vmcnt(10)
	v_lshrrev_b32_sdwa v0, s96, v18 dst_sel:DWORD dst_unused:UNUSED_PAD src0_sel:DWORD src1_sel:WORD_0
	v_and_b32_e32 v66, s21, v0
	v_mad_u32_u24 v0, v66, 36, v37
	; wave barrier
	ds_read_b32 v64, v0 offset:32
	v_and_b32_e32 v0, 1, v66
	v_lshl_add_u64 v[8:9], v[0:1], 0, -1
	v_cmp_ne_u32_e32 vcc, 0, v0
	v_mul_u32_u24_e32 v67, 36, v66
	s_nop 0
	v_xor_b32_e32 v8, vcc_lo, v8
	v_xor_b32_e32 v0, vcc_hi, v9
	v_and_b32_e32 v68, exec_lo, v8
	v_lshlrev_b32_e32 v9, 30, v66
	v_mov_b32_e32 v8, v1
	v_cmp_gt_i64_e32 vcc, 0, v[8:9]
	v_not_b32_e32 v8, v9
	v_ashrrev_i32_e32 v8, 31, v8
	v_and_b32_e32 v0, exec_hi, v0
	v_xor_b32_e32 v9, vcc_hi, v8
	v_xor_b32_e32 v8, vcc_lo, v8
	v_and_b32_e32 v0, v0, v9
	v_and_b32_e32 v68, v68, v8
	v_lshlrev_b32_e32 v9, 29, v66
	v_mov_b32_e32 v8, v1
	v_cmp_gt_i64_e32 vcc, 0, v[8:9]
	v_not_b32_e32 v8, v9
	v_ashrrev_i32_e32 v8, 31, v8
	v_xor_b32_e32 v9, vcc_hi, v8
	v_xor_b32_e32 v8, vcc_lo, v8
	v_and_b32_e32 v0, v0, v9
	v_and_b32_e32 v68, v68, v8
	v_lshlrev_b32_e32 v9, 28, v66
	v_mov_b32_e32 v8, v1
	v_cmp_gt_i64_e32 vcc, 0, v[8:9]
	v_not_b32_e32 v8, v9
	v_ashrrev_i32_e32 v8, 31, v8
	;; [unrolled: 9-line block ×3, first 2 shown]
	v_xor_b32_e32 v9, vcc_hi, v8
	v_xor_b32_e32 v8, vcc_lo, v8
	v_and_b32_e32 v0, v0, v9
	v_lshlrev_b32_e32 v9, 26, v66
	v_and_b32_e32 v68, v68, v8
	v_mov_b32_e32 v8, v1
	v_not_b32_e32 v1, v9
	v_cmp_gt_i64_e32 vcc, 0, v[8:9]
	v_ashrrev_i32_e32 v1, 31, v1
	; wave barrier
	s_nop 0
	v_xor_b32_e32 v8, vcc_hi, v1
	v_xor_b32_e32 v9, vcc_lo, v1
	v_and_b32_e32 v1, v0, v8
	v_and_b32_e32 v0, v68, v9
	v_mbcnt_lo_u32_b32 v8, v0, 0
	v_mbcnt_hi_u32_b32 v66, v1, v8
	v_cmp_eq_u32_e32 vcc, 0, v66
	v_cmp_ne_u64_e64 s[0:1], 0, v[0:1]
	s_and_b64 s[2:3], s[0:1], vcc
	v_add_u32_e32 v68, v37, v67
	s_and_saveexec_b64 s[0:1], s[2:3]
	s_cbranch_execz .LBB984_317
; %bb.316:
	v_bcnt_u32_b32 v0, v0, 0
	v_bcnt_u32_b32 v0, v1, v0
	s_waitcnt lgkmcnt(0)
	v_add_u32_e32 v0, v64, v0
	ds_write_b32 v68, v0 offset:32
.LBB984_317:
	s_or_b64 exec, exec, s[0:1]
	s_waitcnt vmcnt(9)
	v_lshrrev_b32_sdwa v0, s96, v17 dst_sel:DWORD dst_unused:UNUSED_PAD src0_sel:DWORD src1_sel:WORD_0
	v_and_b32_e32 v69, s21, v0
	v_mad_u32_u24 v0, v69, 36, v37
	; wave barrier
	ds_read_b32 v67, v0 offset:32
	v_and_b32_e32 v0, 1, v69
	v_mov_b32_e32 v1, 0
	v_lshl_add_u64 v[8:9], v[0:1], 0, -1
	v_cmp_ne_u32_e32 vcc, 0, v0
	v_mul_u32_u24_e32 v70, 36, v69
	s_nop 0
	v_xor_b32_e32 v8, vcc_lo, v8
	v_xor_b32_e32 v0, vcc_hi, v9
	v_and_b32_e32 v71, exec_lo, v8
	v_lshlrev_b32_e32 v9, 30, v69
	v_mov_b32_e32 v8, v1
	v_cmp_gt_i64_e32 vcc, 0, v[8:9]
	v_not_b32_e32 v8, v9
	v_ashrrev_i32_e32 v8, 31, v8
	v_and_b32_e32 v0, exec_hi, v0
	v_xor_b32_e32 v9, vcc_hi, v8
	v_xor_b32_e32 v8, vcc_lo, v8
	v_and_b32_e32 v0, v0, v9
	v_and_b32_e32 v71, v71, v8
	v_lshlrev_b32_e32 v9, 29, v69
	v_mov_b32_e32 v8, v1
	v_cmp_gt_i64_e32 vcc, 0, v[8:9]
	v_not_b32_e32 v8, v9
	v_ashrrev_i32_e32 v8, 31, v8
	v_xor_b32_e32 v9, vcc_hi, v8
	v_xor_b32_e32 v8, vcc_lo, v8
	v_and_b32_e32 v0, v0, v9
	v_and_b32_e32 v71, v71, v8
	v_lshlrev_b32_e32 v9, 28, v69
	v_mov_b32_e32 v8, v1
	v_cmp_gt_i64_e32 vcc, 0, v[8:9]
	v_not_b32_e32 v8, v9
	v_ashrrev_i32_e32 v8, 31, v8
	;; [unrolled: 9-line block ×4, first 2 shown]
	v_xor_b32_e32 v9, vcc_hi, v8
	v_xor_b32_e32 v8, vcc_lo, v8
	v_and_b32_e32 v8, v71, v8
	v_and_b32_e32 v9, v0, v9
	v_mbcnt_lo_u32_b32 v0, v8, 0
	v_mbcnt_hi_u32_b32 v69, v9, v0
	v_cmp_eq_u32_e32 vcc, 0, v69
	v_cmp_ne_u64_e64 s[0:1], 0, v[8:9]
	s_and_b64 s[2:3], s[0:1], vcc
	v_add_u32_e32 v71, v37, v70
	; wave barrier
	s_and_saveexec_b64 s[0:1], s[2:3]
	s_cbranch_execz .LBB984_319
; %bb.318:
	v_bcnt_u32_b32 v0, v8, 0
	v_bcnt_u32_b32 v0, v9, v0
	s_waitcnt lgkmcnt(0)
	v_add_u32_e32 v0, v67, v0
	ds_write_b32 v71, v0 offset:32
.LBB984_319:
	s_or_b64 exec, exec, s[0:1]
	s_waitcnt vmcnt(8)
	v_lshrrev_b32_sdwa v0, s96, v16 dst_sel:DWORD dst_unused:UNUSED_PAD src0_sel:DWORD src1_sel:WORD_0
	v_and_b32_e32 v72, s21, v0
	v_mad_u32_u24 v0, v72, 36, v37
	; wave barrier
	ds_read_b32 v70, v0 offset:32
	v_and_b32_e32 v0, 1, v72
	v_lshl_add_u64 v[8:9], v[0:1], 0, -1
	v_cmp_ne_u32_e32 vcc, 0, v0
	v_mul_u32_u24_e32 v73, 36, v72
	s_nop 0
	v_xor_b32_e32 v8, vcc_lo, v8
	v_xor_b32_e32 v0, vcc_hi, v9
	v_and_b32_e32 v74, exec_lo, v8
	v_lshlrev_b32_e32 v9, 30, v72
	v_mov_b32_e32 v8, v1
	v_cmp_gt_i64_e32 vcc, 0, v[8:9]
	v_not_b32_e32 v8, v9
	v_ashrrev_i32_e32 v8, 31, v8
	v_and_b32_e32 v0, exec_hi, v0
	v_xor_b32_e32 v9, vcc_hi, v8
	v_xor_b32_e32 v8, vcc_lo, v8
	v_and_b32_e32 v0, v0, v9
	v_and_b32_e32 v74, v74, v8
	v_lshlrev_b32_e32 v9, 29, v72
	v_mov_b32_e32 v8, v1
	v_cmp_gt_i64_e32 vcc, 0, v[8:9]
	v_not_b32_e32 v8, v9
	v_ashrrev_i32_e32 v8, 31, v8
	v_xor_b32_e32 v9, vcc_hi, v8
	v_xor_b32_e32 v8, vcc_lo, v8
	v_and_b32_e32 v0, v0, v9
	v_and_b32_e32 v74, v74, v8
	v_lshlrev_b32_e32 v9, 28, v72
	v_mov_b32_e32 v8, v1
	v_cmp_gt_i64_e32 vcc, 0, v[8:9]
	v_not_b32_e32 v8, v9
	v_ashrrev_i32_e32 v8, 31, v8
	;; [unrolled: 9-line block ×3, first 2 shown]
	v_xor_b32_e32 v9, vcc_hi, v8
	v_xor_b32_e32 v8, vcc_lo, v8
	v_and_b32_e32 v0, v0, v9
	v_lshlrev_b32_e32 v9, 26, v72
	v_and_b32_e32 v74, v74, v8
	v_mov_b32_e32 v8, v1
	v_not_b32_e32 v1, v9
	v_cmp_gt_i64_e32 vcc, 0, v[8:9]
	v_ashrrev_i32_e32 v1, 31, v1
	; wave barrier
	s_nop 0
	v_xor_b32_e32 v8, vcc_hi, v1
	v_xor_b32_e32 v9, vcc_lo, v1
	v_and_b32_e32 v1, v0, v8
	v_and_b32_e32 v0, v74, v9
	v_mbcnt_lo_u32_b32 v8, v0, 0
	v_mbcnt_hi_u32_b32 v72, v1, v8
	v_cmp_eq_u32_e32 vcc, 0, v72
	v_cmp_ne_u64_e64 s[0:1], 0, v[0:1]
	s_and_b64 s[2:3], s[0:1], vcc
	v_add_u32_e32 v74, v37, v73
	s_and_saveexec_b64 s[0:1], s[2:3]
	s_cbranch_execz .LBB984_321
; %bb.320:
	v_bcnt_u32_b32 v0, v0, 0
	v_bcnt_u32_b32 v0, v1, v0
	s_waitcnt lgkmcnt(0)
	v_add_u32_e32 v0, v70, v0
	ds_write_b32 v74, v0 offset:32
.LBB984_321:
	s_or_b64 exec, exec, s[0:1]
	s_waitcnt vmcnt(7)
	v_lshrrev_b32_sdwa v0, s96, v14 dst_sel:DWORD dst_unused:UNUSED_PAD src0_sel:DWORD src1_sel:WORD_0
	v_and_b32_e32 v75, s21, v0
	v_mad_u32_u24 v0, v75, 36, v37
	; wave barrier
	ds_read_b32 v73, v0 offset:32
	v_and_b32_e32 v0, 1, v75
	v_mov_b32_e32 v1, 0
	v_lshl_add_u64 v[8:9], v[0:1], 0, -1
	v_cmp_ne_u32_e32 vcc, 0, v0
	v_mul_u32_u24_e32 v76, 36, v75
	s_nop 0
	v_xor_b32_e32 v8, vcc_lo, v8
	v_xor_b32_e32 v0, vcc_hi, v9
	v_and_b32_e32 v77, exec_lo, v8
	v_lshlrev_b32_e32 v9, 30, v75
	v_mov_b32_e32 v8, v1
	v_cmp_gt_i64_e32 vcc, 0, v[8:9]
	v_not_b32_e32 v8, v9
	v_ashrrev_i32_e32 v8, 31, v8
	v_and_b32_e32 v0, exec_hi, v0
	v_xor_b32_e32 v9, vcc_hi, v8
	v_xor_b32_e32 v8, vcc_lo, v8
	v_and_b32_e32 v0, v0, v9
	v_and_b32_e32 v77, v77, v8
	v_lshlrev_b32_e32 v9, 29, v75
	v_mov_b32_e32 v8, v1
	v_cmp_gt_i64_e32 vcc, 0, v[8:9]
	v_not_b32_e32 v8, v9
	v_ashrrev_i32_e32 v8, 31, v8
	v_xor_b32_e32 v9, vcc_hi, v8
	v_xor_b32_e32 v8, vcc_lo, v8
	v_and_b32_e32 v0, v0, v9
	v_and_b32_e32 v77, v77, v8
	v_lshlrev_b32_e32 v9, 28, v75
	v_mov_b32_e32 v8, v1
	v_cmp_gt_i64_e32 vcc, 0, v[8:9]
	v_not_b32_e32 v8, v9
	v_ashrrev_i32_e32 v8, 31, v8
	;; [unrolled: 9-line block ×4, first 2 shown]
	v_xor_b32_e32 v9, vcc_hi, v8
	v_xor_b32_e32 v8, vcc_lo, v8
	v_and_b32_e32 v8, v77, v8
	v_and_b32_e32 v9, v0, v9
	v_mbcnt_lo_u32_b32 v0, v8, 0
	v_mbcnt_hi_u32_b32 v75, v9, v0
	v_cmp_eq_u32_e32 vcc, 0, v75
	v_cmp_ne_u64_e64 s[0:1], 0, v[8:9]
	s_and_b64 s[2:3], s[0:1], vcc
	v_add_u32_e32 v77, v37, v76
	; wave barrier
	s_and_saveexec_b64 s[0:1], s[2:3]
	s_cbranch_execz .LBB984_323
; %bb.322:
	v_bcnt_u32_b32 v0, v8, 0
	v_bcnt_u32_b32 v0, v9, v0
	s_waitcnt lgkmcnt(0)
	v_add_u32_e32 v0, v73, v0
	ds_write_b32 v77, v0 offset:32
.LBB984_323:
	s_or_b64 exec, exec, s[0:1]
	s_waitcnt vmcnt(6)
	v_lshrrev_b32_sdwa v0, s96, v15 dst_sel:DWORD dst_unused:UNUSED_PAD src0_sel:DWORD src1_sel:WORD_0
	v_and_b32_e32 v78, s21, v0
	v_mad_u32_u24 v0, v78, 36, v37
	; wave barrier
	ds_read_b32 v76, v0 offset:32
	v_and_b32_e32 v0, 1, v78
	v_lshl_add_u64 v[8:9], v[0:1], 0, -1
	v_cmp_ne_u32_e32 vcc, 0, v0
	v_mul_u32_u24_e32 v79, 36, v78
	s_nop 0
	v_xor_b32_e32 v8, vcc_lo, v8
	v_xor_b32_e32 v0, vcc_hi, v9
	v_and_b32_e32 v80, exec_lo, v8
	v_lshlrev_b32_e32 v9, 30, v78
	v_mov_b32_e32 v8, v1
	v_cmp_gt_i64_e32 vcc, 0, v[8:9]
	v_not_b32_e32 v8, v9
	v_ashrrev_i32_e32 v8, 31, v8
	v_and_b32_e32 v0, exec_hi, v0
	v_xor_b32_e32 v9, vcc_hi, v8
	v_xor_b32_e32 v8, vcc_lo, v8
	v_and_b32_e32 v0, v0, v9
	v_and_b32_e32 v80, v80, v8
	v_lshlrev_b32_e32 v9, 29, v78
	v_mov_b32_e32 v8, v1
	v_cmp_gt_i64_e32 vcc, 0, v[8:9]
	v_not_b32_e32 v8, v9
	v_ashrrev_i32_e32 v8, 31, v8
	v_xor_b32_e32 v9, vcc_hi, v8
	v_xor_b32_e32 v8, vcc_lo, v8
	v_and_b32_e32 v0, v0, v9
	v_and_b32_e32 v80, v80, v8
	v_lshlrev_b32_e32 v9, 28, v78
	v_mov_b32_e32 v8, v1
	v_cmp_gt_i64_e32 vcc, 0, v[8:9]
	v_not_b32_e32 v8, v9
	v_ashrrev_i32_e32 v8, 31, v8
	;; [unrolled: 9-line block ×3, first 2 shown]
	v_xor_b32_e32 v9, vcc_hi, v8
	v_xor_b32_e32 v8, vcc_lo, v8
	v_and_b32_e32 v0, v0, v9
	v_lshlrev_b32_e32 v9, 26, v78
	v_and_b32_e32 v80, v80, v8
	v_mov_b32_e32 v8, v1
	v_not_b32_e32 v1, v9
	v_cmp_gt_i64_e32 vcc, 0, v[8:9]
	v_ashrrev_i32_e32 v1, 31, v1
	; wave barrier
	s_nop 0
	v_xor_b32_e32 v8, vcc_hi, v1
	v_xor_b32_e32 v9, vcc_lo, v1
	v_and_b32_e32 v1, v0, v8
	v_and_b32_e32 v0, v80, v9
	v_mbcnt_lo_u32_b32 v8, v0, 0
	v_mbcnt_hi_u32_b32 v78, v1, v8
	v_cmp_eq_u32_e32 vcc, 0, v78
	v_cmp_ne_u64_e64 s[0:1], 0, v[0:1]
	s_and_b64 s[2:3], s[0:1], vcc
	v_add_u32_e32 v80, v37, v79
	s_and_saveexec_b64 s[0:1], s[2:3]
	s_cbranch_execz .LBB984_325
; %bb.324:
	v_bcnt_u32_b32 v0, v0, 0
	v_bcnt_u32_b32 v0, v1, v0
	s_waitcnt lgkmcnt(0)
	v_add_u32_e32 v0, v76, v0
	ds_write_b32 v80, v0 offset:32
.LBB984_325:
	s_or_b64 exec, exec, s[0:1]
	s_waitcnt vmcnt(5)
	v_lshrrev_b32_sdwa v0, s96, v13 dst_sel:DWORD dst_unused:UNUSED_PAD src0_sel:DWORD src1_sel:WORD_0
	v_and_b32_e32 v81, s21, v0
	v_mad_u32_u24 v0, v81, 36, v37
	; wave barrier
	ds_read_b32 v79, v0 offset:32
	v_and_b32_e32 v0, 1, v81
	v_mov_b32_e32 v1, 0
	v_lshl_add_u64 v[8:9], v[0:1], 0, -1
	v_cmp_ne_u32_e32 vcc, 0, v0
	v_mul_u32_u24_e32 v82, 36, v81
	s_nop 0
	v_xor_b32_e32 v8, vcc_lo, v8
	v_xor_b32_e32 v0, vcc_hi, v9
	v_and_b32_e32 v83, exec_lo, v8
	v_lshlrev_b32_e32 v9, 30, v81
	v_mov_b32_e32 v8, v1
	v_cmp_gt_i64_e32 vcc, 0, v[8:9]
	v_not_b32_e32 v8, v9
	v_ashrrev_i32_e32 v8, 31, v8
	v_and_b32_e32 v0, exec_hi, v0
	v_xor_b32_e32 v9, vcc_hi, v8
	v_xor_b32_e32 v8, vcc_lo, v8
	v_and_b32_e32 v0, v0, v9
	v_and_b32_e32 v83, v83, v8
	v_lshlrev_b32_e32 v9, 29, v81
	v_mov_b32_e32 v8, v1
	v_cmp_gt_i64_e32 vcc, 0, v[8:9]
	v_not_b32_e32 v8, v9
	v_ashrrev_i32_e32 v8, 31, v8
	v_xor_b32_e32 v9, vcc_hi, v8
	v_xor_b32_e32 v8, vcc_lo, v8
	v_and_b32_e32 v0, v0, v9
	v_and_b32_e32 v83, v83, v8
	v_lshlrev_b32_e32 v9, 28, v81
	v_mov_b32_e32 v8, v1
	v_cmp_gt_i64_e32 vcc, 0, v[8:9]
	v_not_b32_e32 v8, v9
	v_ashrrev_i32_e32 v8, 31, v8
	;; [unrolled: 9-line block ×4, first 2 shown]
	v_xor_b32_e32 v9, vcc_hi, v8
	v_xor_b32_e32 v8, vcc_lo, v8
	v_and_b32_e32 v8, v83, v8
	v_and_b32_e32 v9, v0, v9
	v_mbcnt_lo_u32_b32 v0, v8, 0
	v_mbcnt_hi_u32_b32 v81, v9, v0
	v_cmp_eq_u32_e32 vcc, 0, v81
	v_cmp_ne_u64_e64 s[0:1], 0, v[8:9]
	s_and_b64 s[2:3], s[0:1], vcc
	v_add_u32_e32 v83, v37, v82
	; wave barrier
	s_and_saveexec_b64 s[0:1], s[2:3]
	s_cbranch_execz .LBB984_327
; %bb.326:
	v_bcnt_u32_b32 v0, v8, 0
	v_bcnt_u32_b32 v0, v9, v0
	s_waitcnt lgkmcnt(0)
	v_add_u32_e32 v0, v79, v0
	ds_write_b32 v83, v0 offset:32
.LBB984_327:
	s_or_b64 exec, exec, s[0:1]
	s_waitcnt vmcnt(4)
	v_lshrrev_b32_sdwa v0, s96, v12 dst_sel:DWORD dst_unused:UNUSED_PAD src0_sel:DWORD src1_sel:WORD_0
	v_and_b32_e32 v84, s21, v0
	v_mad_u32_u24 v0, v84, 36, v37
	; wave barrier
	ds_read_b32 v82, v0 offset:32
	v_and_b32_e32 v0, 1, v84
	v_lshl_add_u64 v[8:9], v[0:1], 0, -1
	v_cmp_ne_u32_e32 vcc, 0, v0
	v_mul_u32_u24_e32 v85, 36, v84
	s_nop 0
	v_xor_b32_e32 v8, vcc_lo, v8
	v_xor_b32_e32 v0, vcc_hi, v9
	v_and_b32_e32 v86, exec_lo, v8
	v_lshlrev_b32_e32 v9, 30, v84
	v_mov_b32_e32 v8, v1
	v_cmp_gt_i64_e32 vcc, 0, v[8:9]
	v_not_b32_e32 v8, v9
	v_ashrrev_i32_e32 v8, 31, v8
	v_and_b32_e32 v0, exec_hi, v0
	v_xor_b32_e32 v9, vcc_hi, v8
	v_xor_b32_e32 v8, vcc_lo, v8
	v_and_b32_e32 v0, v0, v9
	v_and_b32_e32 v86, v86, v8
	v_lshlrev_b32_e32 v9, 29, v84
	v_mov_b32_e32 v8, v1
	v_cmp_gt_i64_e32 vcc, 0, v[8:9]
	v_not_b32_e32 v8, v9
	v_ashrrev_i32_e32 v8, 31, v8
	v_xor_b32_e32 v9, vcc_hi, v8
	v_xor_b32_e32 v8, vcc_lo, v8
	v_and_b32_e32 v0, v0, v9
	v_and_b32_e32 v86, v86, v8
	v_lshlrev_b32_e32 v9, 28, v84
	v_mov_b32_e32 v8, v1
	v_cmp_gt_i64_e32 vcc, 0, v[8:9]
	v_not_b32_e32 v8, v9
	v_ashrrev_i32_e32 v8, 31, v8
	v_xor_b32_e32 v9, vcc_hi, v8
	v_xor_b32_e32 v8, vcc_lo, v8
	v_and_b32_e32 v0, v0, v9
	v_and_b32_e32 v86, v86, v8
	v_lshlrev_b32_e32 v9, 27, v84
	v_mov_b32_e32 v8, v1
	v_cmp_gt_i64_e32 vcc, 0, v[8:9]
	v_not_b32_e32 v8, v9
	v_ashrrev_i32_e32 v8, 31, v8
	v_xor_b32_e32 v9, vcc_hi, v8
	v_xor_b32_e32 v8, vcc_lo, v8
	v_and_b32_e32 v0, v0, v9
	v_lshlrev_b32_e32 v9, 26, v84
	v_and_b32_e32 v86, v86, v8
	v_mov_b32_e32 v8, v1
	v_not_b32_e32 v1, v9
	v_cmp_gt_i64_e32 vcc, 0, v[8:9]
	v_ashrrev_i32_e32 v1, 31, v1
	; wave barrier
	s_nop 0
	v_xor_b32_e32 v8, vcc_hi, v1
	v_xor_b32_e32 v9, vcc_lo, v1
	v_and_b32_e32 v1, v0, v8
	v_and_b32_e32 v0, v86, v9
	v_mbcnt_lo_u32_b32 v8, v0, 0
	v_mbcnt_hi_u32_b32 v84, v1, v8
	v_cmp_eq_u32_e32 vcc, 0, v84
	v_cmp_ne_u64_e64 s[0:1], 0, v[0:1]
	s_and_b64 s[2:3], s[0:1], vcc
	v_add_u32_e32 v86, v37, v85
	s_and_saveexec_b64 s[0:1], s[2:3]
	s_cbranch_execz .LBB984_329
; %bb.328:
	v_bcnt_u32_b32 v0, v0, 0
	v_bcnt_u32_b32 v0, v1, v0
	s_waitcnt lgkmcnt(0)
	v_add_u32_e32 v0, v82, v0
	ds_write_b32 v86, v0 offset:32
.LBB984_329:
	s_or_b64 exec, exec, s[0:1]
	s_waitcnt vmcnt(3)
	v_lshrrev_b32_sdwa v0, s96, v11 dst_sel:DWORD dst_unused:UNUSED_PAD src0_sel:DWORD src1_sel:WORD_0
	v_and_b32_e32 v87, s21, v0
	v_mad_u32_u24 v0, v87, 36, v37
	; wave barrier
	ds_read_b32 v85, v0 offset:32
	v_and_b32_e32 v0, 1, v87
	v_mov_b32_e32 v1, 0
	v_lshl_add_u64 v[8:9], v[0:1], 0, -1
	v_cmp_ne_u32_e32 vcc, 0, v0
	v_mul_u32_u24_e32 v88, 36, v87
	s_nop 0
	v_xor_b32_e32 v8, vcc_lo, v8
	v_xor_b32_e32 v0, vcc_hi, v9
	v_and_b32_e32 v89, exec_lo, v8
	v_lshlrev_b32_e32 v9, 30, v87
	v_mov_b32_e32 v8, v1
	v_cmp_gt_i64_e32 vcc, 0, v[8:9]
	v_not_b32_e32 v8, v9
	v_ashrrev_i32_e32 v8, 31, v8
	v_and_b32_e32 v0, exec_hi, v0
	v_xor_b32_e32 v9, vcc_hi, v8
	v_xor_b32_e32 v8, vcc_lo, v8
	v_and_b32_e32 v0, v0, v9
	v_and_b32_e32 v89, v89, v8
	v_lshlrev_b32_e32 v9, 29, v87
	v_mov_b32_e32 v8, v1
	v_cmp_gt_i64_e32 vcc, 0, v[8:9]
	v_not_b32_e32 v8, v9
	v_ashrrev_i32_e32 v8, 31, v8
	v_xor_b32_e32 v9, vcc_hi, v8
	v_xor_b32_e32 v8, vcc_lo, v8
	v_and_b32_e32 v0, v0, v9
	v_and_b32_e32 v89, v89, v8
	v_lshlrev_b32_e32 v9, 28, v87
	v_mov_b32_e32 v8, v1
	v_cmp_gt_i64_e32 vcc, 0, v[8:9]
	v_not_b32_e32 v8, v9
	v_ashrrev_i32_e32 v8, 31, v8
	;; [unrolled: 9-line block ×4, first 2 shown]
	v_xor_b32_e32 v9, vcc_hi, v8
	v_xor_b32_e32 v8, vcc_lo, v8
	v_and_b32_e32 v8, v89, v8
	v_and_b32_e32 v9, v0, v9
	v_mbcnt_lo_u32_b32 v0, v8, 0
	v_mbcnt_hi_u32_b32 v87, v9, v0
	v_cmp_eq_u32_e32 vcc, 0, v87
	v_cmp_ne_u64_e64 s[0:1], 0, v[8:9]
	s_and_b64 s[2:3], s[0:1], vcc
	v_add_u32_e32 v89, v37, v88
	; wave barrier
	s_and_saveexec_b64 s[0:1], s[2:3]
	s_cbranch_execz .LBB984_331
; %bb.330:
	v_bcnt_u32_b32 v0, v8, 0
	v_bcnt_u32_b32 v0, v9, v0
	s_waitcnt lgkmcnt(0)
	v_add_u32_e32 v0, v85, v0
	ds_write_b32 v89, v0 offset:32
.LBB984_331:
	s_or_b64 exec, exec, s[0:1]
	s_waitcnt vmcnt(2)
	v_lshrrev_b32_sdwa v0, s96, v10 dst_sel:DWORD dst_unused:UNUSED_PAD src0_sel:DWORD src1_sel:WORD_0
	v_and_b32_e32 v90, s21, v0
	v_mad_u32_u24 v0, v90, 36, v37
	; wave barrier
	ds_read_b32 v88, v0 offset:32
	v_and_b32_e32 v0, 1, v90
	v_lshl_add_u64 v[8:9], v[0:1], 0, -1
	v_cmp_ne_u32_e32 vcc, 0, v0
	v_mul_u32_u24_e32 v91, 36, v90
	s_nop 0
	v_xor_b32_e32 v8, vcc_lo, v8
	v_xor_b32_e32 v0, vcc_hi, v9
	v_and_b32_e32 v92, exec_lo, v8
	v_lshlrev_b32_e32 v9, 30, v90
	v_mov_b32_e32 v8, v1
	v_cmp_gt_i64_e32 vcc, 0, v[8:9]
	v_not_b32_e32 v8, v9
	v_ashrrev_i32_e32 v8, 31, v8
	v_and_b32_e32 v0, exec_hi, v0
	v_xor_b32_e32 v9, vcc_hi, v8
	v_xor_b32_e32 v8, vcc_lo, v8
	v_and_b32_e32 v0, v0, v9
	v_and_b32_e32 v92, v92, v8
	v_lshlrev_b32_e32 v9, 29, v90
	v_mov_b32_e32 v8, v1
	v_cmp_gt_i64_e32 vcc, 0, v[8:9]
	v_not_b32_e32 v8, v9
	v_ashrrev_i32_e32 v8, 31, v8
	v_xor_b32_e32 v9, vcc_hi, v8
	v_xor_b32_e32 v8, vcc_lo, v8
	v_and_b32_e32 v0, v0, v9
	v_and_b32_e32 v92, v92, v8
	v_lshlrev_b32_e32 v9, 28, v90
	v_mov_b32_e32 v8, v1
	v_cmp_gt_i64_e32 vcc, 0, v[8:9]
	v_not_b32_e32 v8, v9
	v_ashrrev_i32_e32 v8, 31, v8
	;; [unrolled: 9-line block ×3, first 2 shown]
	v_xor_b32_e32 v9, vcc_hi, v8
	v_xor_b32_e32 v8, vcc_lo, v8
	v_and_b32_e32 v0, v0, v9
	v_lshlrev_b32_e32 v9, 26, v90
	v_and_b32_e32 v92, v92, v8
	v_mov_b32_e32 v8, v1
	v_not_b32_e32 v1, v9
	v_cmp_gt_i64_e32 vcc, 0, v[8:9]
	v_ashrrev_i32_e32 v1, 31, v1
	; wave barrier
	s_nop 0
	v_xor_b32_e32 v8, vcc_hi, v1
	v_xor_b32_e32 v9, vcc_lo, v1
	v_and_b32_e32 v1, v0, v8
	v_and_b32_e32 v0, v92, v9
	v_mbcnt_lo_u32_b32 v8, v0, 0
	v_mbcnt_hi_u32_b32 v90, v1, v8
	v_cmp_eq_u32_e32 vcc, 0, v90
	v_cmp_ne_u64_e64 s[0:1], 0, v[0:1]
	s_and_b64 s[2:3], s[0:1], vcc
	v_add_u32_e32 v92, v37, v91
	s_and_saveexec_b64 s[0:1], s[2:3]
	s_cbranch_execz .LBB984_333
; %bb.332:
	v_bcnt_u32_b32 v0, v0, 0
	v_bcnt_u32_b32 v0, v1, v0
	s_waitcnt lgkmcnt(0)
	v_add_u32_e32 v0, v88, v0
	ds_write_b32 v92, v0 offset:32
.LBB984_333:
	s_or_b64 exec, exec, s[0:1]
	s_waitcnt vmcnt(1)
	v_lshrrev_b32_sdwa v0, s96, v7 dst_sel:DWORD dst_unused:UNUSED_PAD src0_sel:DWORD src1_sel:WORD_0
	v_and_b32_e32 v93, s21, v0
	v_mad_u32_u24 v0, v93, 36, v37
	; wave barrier
	ds_read_b32 v91, v0 offset:32
	v_and_b32_e32 v0, 1, v93
	v_mov_b32_e32 v1, 0
	v_lshl_add_u64 v[8:9], v[0:1], 0, -1
	v_cmp_ne_u32_e32 vcc, 0, v0
	v_mul_u32_u24_e32 v94, 36, v93
	v_add_u32_e32 v94, v37, v94
	v_xor_b32_e32 v8, vcc_lo, v8
	v_xor_b32_e32 v0, vcc_hi, v9
	v_and_b32_e32 v95, exec_lo, v8
	v_lshlrev_b32_e32 v9, 30, v93
	v_mov_b32_e32 v8, v1
	v_cmp_gt_i64_e32 vcc, 0, v[8:9]
	v_not_b32_e32 v8, v9
	v_ashrrev_i32_e32 v8, 31, v8
	v_and_b32_e32 v0, exec_hi, v0
	v_xor_b32_e32 v9, vcc_hi, v8
	v_xor_b32_e32 v8, vcc_lo, v8
	v_and_b32_e32 v0, v0, v9
	v_and_b32_e32 v95, v95, v8
	v_lshlrev_b32_e32 v9, 29, v93
	v_mov_b32_e32 v8, v1
	v_cmp_gt_i64_e32 vcc, 0, v[8:9]
	v_not_b32_e32 v8, v9
	v_ashrrev_i32_e32 v8, 31, v8
	v_xor_b32_e32 v9, vcc_hi, v8
	v_xor_b32_e32 v8, vcc_lo, v8
	v_and_b32_e32 v0, v0, v9
	v_and_b32_e32 v95, v95, v8
	v_lshlrev_b32_e32 v9, 28, v93
	v_mov_b32_e32 v8, v1
	v_cmp_gt_i64_e32 vcc, 0, v[8:9]
	v_not_b32_e32 v8, v9
	v_ashrrev_i32_e32 v8, 31, v8
	;; [unrolled: 9-line block ×4, first 2 shown]
	v_xor_b32_e32 v9, vcc_hi, v8
	v_xor_b32_e32 v8, vcc_lo, v8
	v_and_b32_e32 v8, v95, v8
	v_and_b32_e32 v9, v0, v9
	v_mbcnt_lo_u32_b32 v0, v8, 0
	v_mbcnt_hi_u32_b32 v93, v9, v0
	v_cmp_eq_u32_e32 vcc, 0, v93
	v_cmp_ne_u64_e64 s[0:1], 0, v[8:9]
	s_and_b64 s[2:3], s[0:1], vcc
	; wave barrier
	s_and_saveexec_b64 s[0:1], s[2:3]
	s_cbranch_execz .LBB984_335
; %bb.334:
	v_bcnt_u32_b32 v0, v8, 0
	v_bcnt_u32_b32 v0, v9, v0
	s_waitcnt lgkmcnt(0)
	v_add_u32_e32 v0, v91, v0
	ds_write_b32 v94, v0 offset:32
.LBB984_335:
	s_or_b64 exec, exec, s[0:1]
	s_waitcnt vmcnt(0)
	v_lshrrev_b32_sdwa v0, s96, v5 dst_sel:DWORD dst_unused:UNUSED_PAD src0_sel:DWORD src1_sel:WORD_0
	v_and_b32_e32 v9, s21, v0
	v_mad_u32_u24 v0, v9, 36, v37
	; wave barrier
	ds_read_b32 v8, v0 offset:32
	v_and_b32_e32 v0, 1, v9
	v_lshl_add_u64 v[96:97], v[0:1], 0, -1
	v_cmp_ne_u32_e32 vcc, 0, v0
	v_mul_u32_u24_e32 v95, 36, v9
	v_add_u32_e32 v37, v37, v95
	v_xor_b32_e32 v96, vcc_lo, v96
	v_xor_b32_e32 v0, vcc_hi, v97
	v_and_b32_e32 v98, exec_lo, v96
	v_lshlrev_b32_e32 v97, 30, v9
	v_mov_b32_e32 v96, v1
	v_cmp_gt_i64_e32 vcc, 0, v[96:97]
	v_not_b32_e32 v96, v97
	v_ashrrev_i32_e32 v96, 31, v96
	v_and_b32_e32 v0, exec_hi, v0
	v_xor_b32_e32 v97, vcc_hi, v96
	v_xor_b32_e32 v96, vcc_lo, v96
	v_and_b32_e32 v0, v0, v97
	v_and_b32_e32 v98, v98, v96
	v_lshlrev_b32_e32 v97, 29, v9
	v_mov_b32_e32 v96, v1
	v_cmp_gt_i64_e32 vcc, 0, v[96:97]
	v_not_b32_e32 v96, v97
	v_ashrrev_i32_e32 v96, 31, v96
	v_xor_b32_e32 v97, vcc_hi, v96
	v_xor_b32_e32 v96, vcc_lo, v96
	v_and_b32_e32 v0, v0, v97
	v_and_b32_e32 v98, v98, v96
	v_lshlrev_b32_e32 v97, 28, v9
	v_mov_b32_e32 v96, v1
	v_cmp_gt_i64_e32 vcc, 0, v[96:97]
	v_not_b32_e32 v96, v97
	v_ashrrev_i32_e32 v96, 31, v96
	;; [unrolled: 9-line block ×3, first 2 shown]
	v_xor_b32_e32 v97, vcc_hi, v96
	v_xor_b32_e32 v96, vcc_lo, v96
	v_and_b32_e32 v0, v0, v97
	v_lshlrev_b32_e32 v97, 26, v9
	v_and_b32_e32 v98, v98, v96
	v_mov_b32_e32 v96, v1
	v_not_b32_e32 v1, v97
	v_cmp_gt_i64_e32 vcc, 0, v[96:97]
	v_ashrrev_i32_e32 v1, 31, v1
	s_nop 0
	v_xor_b32_e32 v9, vcc_hi, v1
	v_xor_b32_e32 v96, vcc_lo, v1
	v_and_b32_e32 v1, v0, v9
	v_and_b32_e32 v0, v98, v96
	v_mbcnt_lo_u32_b32 v9, v0, 0
	v_mbcnt_hi_u32_b32 v9, v1, v9
	v_cmp_eq_u32_e32 vcc, 0, v9
	v_cmp_ne_u64_e64 s[0:1], 0, v[0:1]
	s_and_b64 s[2:3], s[0:1], vcc
	; wave barrier
	s_and_saveexec_b64 s[0:1], s[2:3]
	s_cbranch_execz .LBB984_337
; %bb.336:
	v_bcnt_u32_b32 v0, v0, 0
	v_bcnt_u32_b32 v0, v1, v0
	s_waitcnt lgkmcnt(0)
	v_add_u32_e32 v0, v8, v0
	ds_write_b32 v37, v0 offset:32
.LBB984_337:
	s_or_b64 exec, exec, s[0:1]
	; wave barrier
	s_waitcnt lgkmcnt(0)
	s_barrier
	ds_read_b64 v[0:1], v31 offset:32
	v_and_b32_e32 v95, 15, v29
	v_cmp_ne_u32_e32 vcc, 0, v95
	v_min_u32_e32 v30, 0x1c0, v30
	v_or_b32_e32 v30, 63, v30
	s_waitcnt lgkmcnt(0)
	v_add_u32_e32 v1, v1, v0
	s_nop 1
	v_mov_b32_dpp v96, v1 row_shr:1 row_mask:0xf bank_mask:0xf
	v_cndmask_b32_e32 v96, 0, v96, vcc
	v_add_u32_e32 v1, v96, v1
	v_cmp_lt_u32_e32 vcc, 1, v95
	s_nop 0
	v_mov_b32_dpp v96, v1 row_shr:2 row_mask:0xf bank_mask:0xf
	v_cndmask_b32_e32 v96, 0, v96, vcc
	v_add_u32_e32 v1, v1, v96
	v_cmp_lt_u32_e32 vcc, 3, v95
	;; [unrolled: 5-line block ×3, first 2 shown]
	s_nop 0
	v_mov_b32_dpp v96, v1 row_shr:8 row_mask:0xf bank_mask:0xf
	v_cndmask_b32_e32 v95, 0, v96, vcc
	v_add_u32_e32 v1, v1, v95
	v_bfe_i32 v96, v29, 4, 1
	v_cmp_lt_u32_e32 vcc, 31, v29
	v_mov_b32_dpp v95, v1 row_bcast:15 row_mask:0xf bank_mask:0xf
	v_and_b32_e32 v95, v96, v95
	v_add_u32_e32 v1, v1, v95
	s_nop 1
	v_mov_b32_dpp v95, v1 row_bcast:31 row_mask:0xf bank_mask:0xf
	v_cndmask_b32_e32 v95, 0, v95, vcc
	v_add_u32_e32 v1, v1, v95
	v_lshrrev_b32_e32 v95, 6, v2
	v_cmp_eq_u32_e32 vcc, v2, v30
	s_and_saveexec_b64 s[0:1], vcc
; %bb.338:
	v_lshlrev_b32_e32 v30, 2, v95
	ds_write_b32 v30, v1
; %bb.339:
	s_or_b64 exec, exec, s[0:1]
	v_cmp_gt_u32_e32 vcc, 8, v2
	v_lshlrev_b32_e32 v30, 2, v2
	s_waitcnt lgkmcnt(0)
	s_barrier
	s_and_saveexec_b64 s[0:1], vcc
	s_cbranch_execz .LBB984_341
; %bb.340:
	ds_read_b32 v96, v30
	v_and_b32_e32 v97, 7, v29
	v_cmp_ne_u32_e32 vcc, 0, v97
	s_waitcnt lgkmcnt(0)
	v_mov_b32_dpp v98, v96 row_shr:1 row_mask:0xf bank_mask:0xf
	v_cndmask_b32_e32 v98, 0, v98, vcc
	v_add_u32_e32 v96, v98, v96
	v_cmp_lt_u32_e32 vcc, 1, v97
	s_nop 0
	v_mov_b32_dpp v98, v96 row_shr:2 row_mask:0xf bank_mask:0xf
	v_cndmask_b32_e32 v98, 0, v98, vcc
	v_add_u32_e32 v96, v96, v98
	v_cmp_lt_u32_e32 vcc, 3, v97
	s_nop 0
	v_mov_b32_dpp v98, v96 row_shr:4 row_mask:0xf bank_mask:0xf
	v_cndmask_b32_e32 v97, 0, v98, vcc
	v_add_u32_e32 v96, v96, v97
	ds_write_b32 v30, v96
.LBB984_341:
	s_or_b64 exec, exec, s[0:1]
	v_cmp_gt_u32_e64 s[0:1], 64, v2
	v_cmp_lt_u32_e32 vcc, 63, v2
	v_mov_b32_e32 v96, 0
	s_waitcnt lgkmcnt(0)
	s_barrier
	s_and_saveexec_b64 s[2:3], vcc
; %bb.342:
	v_lshl_add_u32 v95, v95, 2, -4
	ds_read_b32 v96, v95
; %bb.343:
	s_or_b64 exec, exec, s[2:3]
	v_subrev_co_u32_e64 v95, s[2:3], 1, v29
	v_and_b32_e32 v97, 64, v29
	v_cmp_lt_i32_e64 s[4:5], v95, v97
	s_waitcnt lgkmcnt(0)
	v_add_u32_e32 v1, v96, v1
	v_cndmask_b32_e64 v29, v95, v29, s[4:5]
	v_lshlrev_b32_e32 v29, 2, v29
	ds_bpermute_b32 v1, v29, v1
                                        ; implicit-def: $vgpr29
	s_waitcnt lgkmcnt(0)
	v_cndmask_b32_e64 v1, v1, v96, s[2:3]
	v_cndmask_b32_e64 v96, v1, 0, s[94:95]
	v_add_u32_e32 v97, v96, v0
	ds_write_b64 v31, v[96:97] offset:32
	s_waitcnt lgkmcnt(0)
	s_barrier
	ds_read_b32 v0, v34 offset:32
	ds_read_b32 v1, v38 offset:32
	;; [unrolled: 1-line block ×22, first 2 shown]
                                        ; implicit-def: $vgpr31
	s_and_saveexec_b64 s[4:5], s[0:1]
	s_cbranch_execz .LBB984_347
; %bb.344:
	v_mul_u32_u24_e32 v29, 36, v2
	ds_read_b32 v29, v29 offset:32
	v_add_u32_e32 v37, 1, v2
	v_cmp_ne_u32_e64 s[2:3], 64, v37
	v_mov_b32_e32 v31, 0x2c00
	s_and_saveexec_b64 s[8:9], s[2:3]
; %bb.345:
	v_mul_u32_u24_e32 v31, 36, v37
	ds_read_b32 v31, v31 offset:32
; %bb.346:
	s_or_b64 exec, exec, s[8:9]
	s_waitcnt lgkmcnt(0)
	v_sub_u32_e32 v31, v31, v29
.LBB984_347:
	s_or_b64 exec, exec, s[4:5]
	s_waitcnt lgkmcnt(14)
	v_add_u32_e32 v62, v0, v32
	v_add3_u32 v59, v35, v33, v1
	v_add3_u32 v56, v39, v36, v34
	;; [unrolled: 1-line block ×7, first 2 shown]
	v_lshlrev_b32_e32 v54, 1, v62
	v_lshlrev_b32_e32 v52, 1, v59
	;; [unrolled: 1-line block ×4, first 2 shown]
	s_waitcnt lgkmcnt(13)
	v_add3_u32 v45, v57, v55, v96
	s_waitcnt lgkmcnt(12)
	v_add3_u32 v44, v60, v58, v97
	s_waitcnt lgkmcnt(0)
	s_barrier
	ds_write_b16 v54, v3 offset:256
	ds_write_b16 v52, v28 offset:256
	;; [unrolled: 1-line block ×4, first 2 shown]
	v_lshlrev_b32_e32 v28, 1, v50
	v_lshlrev_b32_e32 v27, 1, v48
	;; [unrolled: 1-line block ×3, first 2 shown]
	v_add3_u32 v43, v63, v61, v65
	v_add3_u32 v42, v66, v64, v68
	;; [unrolled: 1-line block ×3, first 2 shown]
	ds_write_b16 v28, v25 offset:256
	ds_write_b16 v27, v24 offset:256
	;; [unrolled: 1-line block ×3, first 2 shown]
	v_lshlrev_b32_e32 v25, 1, v46
	v_lshlrev_b32_e32 v24, 1, v45
	;; [unrolled: 1-line block ×3, first 2 shown]
	v_add3_u32 v40, v72, v70, v74
	v_add3_u32 v39, v75, v73, v77
	v_add3_u32 v38, v78, v76, v80
	ds_write_b16 v25, v22 offset:256
	ds_write_b16 v24, v21 offset:256
	;; [unrolled: 1-line block ×3, first 2 shown]
	v_lshlrev_b32_e32 v22, 1, v43
	v_lshlrev_b32_e32 v21, 1, v42
	v_lshlrev_b32_e32 v20, 1, v41
	v_add3_u32 v37, v81, v79, v83
	v_add3_u32 v36, v84, v82, v86
	ds_write_b16 v22, v19 offset:256
	ds_write_b16 v21, v18 offset:256
	ds_write_b16 v20, v17 offset:256
	v_lshlrev_b32_e32 v19, 1, v40
	v_lshlrev_b32_e32 v18, 1, v39
	;; [unrolled: 1-line block ×3, first 2 shown]
	v_add3_u32 v35, v87, v85, v89
	v_add3_u32 v34, v90, v88, v92
	;; [unrolled: 1-line block ×4, first 2 shown]
	ds_write_b16 v19, v16 offset:256
	ds_write_b16 v18, v14 offset:256
	;; [unrolled: 1-line block ×3, first 2 shown]
	v_lshlrev_b32_e32 v16, 1, v37
	v_lshlrev_b32_e32 v15, 1, v36
	ds_write_b16 v16, v13 offset:256
	ds_write_b16 v15, v12 offset:256
	v_lshlrev_b32_e32 v14, 1, v35
	v_lshlrev_b32_e32 v13, 1, v34
	;; [unrolled: 1-line block ×4, first 2 shown]
	v_mov_b32_e32 v1, 0
	ds_write_b16 v14, v11 offset:256
	ds_write_b16 v13, v10 offset:256
	;; [unrolled: 1-line block ×4, first 2 shown]
	s_and_saveexec_b64 s[2:3], s[0:1]
	s_cbranch_execz .LBB984_357
; %bb.348:
	v_lshl_add_u32 v0, s33, 6, v2
	v_lshl_add_u64 v[8:9], v[0:1], 2, s[6:7]
	v_or_b32_e32 v0, 2.0, v31
	s_mov_b64 s[4:5], 0
	s_brev_b32 s22, -4
	s_mov_b32 s23, s33
	v_mov_b32_e32 v5, 0
	global_store_dword v[8:9], v0, off sc1
                                        ; implicit-def: $sgpr0_sgpr1
	s_branch .LBB984_351
.LBB984_349:                            ;   in Loop: Header=BB984_351 Depth=1
	s_or_b64 exec, exec, s[18:19]
.LBB984_350:                            ;   in Loop: Header=BB984_351 Depth=1
	s_or_b64 exec, exec, s[8:9]
	v_and_b32_e32 v7, 0x3fffffff, v0
	v_add_u32_e32 v5, v7, v5
	v_cmp_gt_i32_e64 s[0:1], -2.0, v0
	s_and_b64 s[8:9], exec, s[0:1]
	s_or_b64 s[4:5], s[8:9], s[4:5]
	s_andn2_b64 exec, exec, s[4:5]
	s_cbranch_execz .LBB984_356
.LBB984_351:                            ; =>This Loop Header: Depth=1
                                        ;     Child Loop BB984_354 Depth 2
	s_or_b64 s[0:1], s[0:1], exec
	s_cmp_eq_u32 s23, 0
	s_cbranch_scc1 .LBB984_355
; %bb.352:                              ;   in Loop: Header=BB984_351 Depth=1
	s_add_i32 s23, s23, -1
	v_lshl_or_b32 v0, s23, 6, v2
	v_lshl_add_u64 v[10:11], v[0:1], 2, s[6:7]
	global_load_dword v0, v[10:11], off sc1
	s_waitcnt vmcnt(0)
	v_cmp_gt_u32_e64 s[0:1], 2.0, v0
	s_and_saveexec_b64 s[8:9], s[0:1]
	s_cbranch_execz .LBB984_350
; %bb.353:                              ;   in Loop: Header=BB984_351 Depth=1
	s_mov_b64 s[18:19], 0
.LBB984_354:                            ;   Parent Loop BB984_351 Depth=1
                                        ; =>  This Inner Loop Header: Depth=2
	global_load_dword v0, v[10:11], off sc1
	s_waitcnt vmcnt(0)
	v_cmp_lt_u32_e64 s[0:1], s22, v0
	s_or_b64 s[18:19], s[0:1], s[18:19]
	s_andn2_b64 exec, exec, s[18:19]
	s_cbranch_execnz .LBB984_354
	s_branch .LBB984_349
.LBB984_355:                            ;   in Loop: Header=BB984_351 Depth=1
                                        ; implicit-def: $sgpr23
	s_and_b64 s[8:9], exec, s[0:1]
	s_or_b64 s[4:5], s[8:9], s[4:5]
	s_andn2_b64 exec, exec, s[4:5]
	s_cbranch_execnz .LBB984_351
.LBB984_356:
	s_or_b64 exec, exec, s[4:5]
	v_add_u32_e32 v0, v5, v31
	v_or_b32_e32 v0, 0x80000000, v0
	v_readlane_b32 s4, v117, 0
	global_store_dword v[8:9], v0, off sc1
	v_readlane_b32 s5, v117, 1
	v_sub_u32_e32 v1, v5, v29
	v_readlane_b32 s6, v117, 2
	v_readlane_b32 s7, v117, 3
	s_nop 1
	global_load_dword v0, v30, s[4:5]
	s_waitcnt vmcnt(0)
	v_add_u32_e32 v0, v1, v0
	ds_write_b32 v30, v0
.LBB984_357:
	s_or_b64 exec, exec, s[2:3]
	v_lshlrev_b32_e32 v0, 1, v2
	v_sub_u32_e32 v5, v30, v0
	s_waitcnt lgkmcnt(0)
	s_barrier
	ds_read_u16 v7, v5 offset:10496
	ds_read_u16 v78, v5 offset:11520
	;; [unrolled: 1-line block ×12, first 2 shown]
	s_waitcnt lgkmcnt(8)
	v_lshrrev_b32_sdwa v1, s96, v82 dst_sel:DWORD dst_unused:UNUSED_PAD src0_sel:DWORD src1_sel:WORD_0
	s_waitcnt lgkmcnt(5)
	v_lshrrev_b32_sdwa v8, s96, v86 dst_sel:DWORD dst_unused:UNUSED_PAD src0_sel:DWORD src1_sel:WORD_0
	v_and_b32_e32 v1, s21, v1
	s_waitcnt lgkmcnt(3)
	v_lshrrev_b32_sdwa v9, s96, v100 dst_sel:DWORD dst_unused:UNUSED_PAD src0_sel:DWORD src1_sel:WORD_0
	v_and_b32_e32 v9, s21, v9
	v_lshlrev_b32_e32 v55, 2, v9
	s_waitcnt lgkmcnt(2)
	v_lshrrev_b32_sdwa v9, s96, v101 dst_sel:DWORD dst_unused:UNUSED_PAD src0_sel:DWORD src1_sel:WORD_0
	v_and_b32_e32 v9, s21, v9
	v_lshlrev_b32_e32 v11, 2, v9
	;; [unrolled: 4-line block ×3, first 2 shown]
	s_waitcnt lgkmcnt(0)
	v_lshrrev_b32_sdwa v9, s96, v103 dst_sel:DWORD dst_unused:UNUSED_PAD src0_sel:DWORD src1_sel:WORD_0
	v_and_b32_e32 v8, s21, v8
	v_and_b32_e32 v9, s21, v9
	v_lshlrev_b32_e32 v1, 2, v1
	v_lshlrev_b32_e32 v8, 2, v8
	;; [unrolled: 1-line block ×3, first 2 shown]
	ds_read_u16 v57, v5 offset:256
	ds_read_u16 v58, v5 offset:1280
	ds_read_b32 v98, v1
	ds_read_b32 v99, v8
	;; [unrolled: 1-line block ×6, first 2 shown]
	s_waitcnt lgkmcnt(7)
	v_lshrrev_b32_sdwa v60, s96, v57 dst_sel:DWORD dst_unused:UNUSED_PAD src0_sel:DWORD src1_sel:WORD_0
	v_and_b32_e32 v60, s21, v60
	v_lshlrev_b32_e32 v95, 2, v60
	s_waitcnt lgkmcnt(6)
	v_lshrrev_b32_sdwa v60, s96, v58 dst_sel:DWORD dst_unused:UNUSED_PAD src0_sel:DWORD src1_sel:WORD_0
	v_and_b32_e32 v60, s21, v60
	v_lshlrev_b32_e32 v92, 2, v60
	ds_read_u16 v63, v5 offset:2304
	ds_read_u16 v64, v5 offset:3328
	ds_read_u16 v67, v5 offset:4352
	ds_read_u16 v70, v5 offset:5376
	ds_read_u16 v71, v5 offset:6400
	ds_read_u16 v72, v5 offset:7424
	ds_read_u16 v75, v5 offset:8448
	ds_read_u16 v5, v5 offset:9472
	s_waitcnt lgkmcnt(7)
	v_lshrrev_b32_sdwa v60, s96, v63 dst_sel:DWORD dst_unused:UNUSED_PAD src0_sel:DWORD src1_sel:WORD_0
	v_and_b32_e32 v60, s21, v60
	v_lshlrev_b32_e32 v94, 2, v60
	s_waitcnt lgkmcnt(6)
	v_lshrrev_b32_sdwa v60, s96, v64 dst_sel:DWORD dst_unused:UNUSED_PAD src0_sel:DWORD src1_sel:WORD_0
	v_and_b32_e32 v60, s21, v60
	v_lshlrev_b32_e32 v93, 2, v60
	;; [unrolled: 4-line block ×6, first 2 shown]
	ds_read_b32 v60, v95
	ds_read_b32 v66, v92
	;; [unrolled: 1-line block ×8, first 2 shown]
	s_waitcnt lgkmcnt(7)
	v_add_u32_e32 v96, v60, v2
	v_mov_b32_e32 v97, 0
	v_add_u32_e32 v65, 0x200, v2
	v_lshl_add_u64 v[60:61], v[96:97], 1, s[10:11]
	s_waitcnt lgkmcnt(6)
	v_add_u32_e32 v96, v66, v65
	global_store_short v[60:61], v57, off
	v_lshl_add_u64 v[60:61], v[96:97], 1, s[10:11]
	v_or_b32_e32 v66, 0x400, v2
	global_store_short v[60:61], v58, off
	s_waitcnt lgkmcnt(5)
	v_add_u32_e32 v96, v68, v66
	v_add_u32_e32 v58, 0x600, v2
	v_lshl_add_u64 v[60:61], v[96:97], 1, s[10:11]
	s_waitcnt lgkmcnt(4)
	v_add_u32_e32 v96, v69, v58
	global_store_short v[60:61], v63, off
	v_lshl_add_u64 v[60:61], v[96:97], 1, s[10:11]
	global_store_short v[60:61], v64, off
	v_or_b32_e32 v60, 0x800, v2
	s_waitcnt lgkmcnt(3)
	v_add_u32_e32 v96, v73, v60
	v_add_u32_e32 v61, 0xa00, v2
	v_lshl_add_u64 v[68:69], v[96:97], 1, s[10:11]
	s_waitcnt lgkmcnt(2)
	v_add_u32_e32 v96, v74, v61
	v_or_b32_e32 v63, 0xc00, v2
	global_store_short v[68:69], v67, off
	v_lshl_add_u64 v[68:69], v[96:97], 1, s[10:11]
	s_waitcnt lgkmcnt(1)
	v_add_u32_e32 v96, v76, v63
	v_add_u32_e32 v64, 0xe00, v2
	global_store_short v[68:69], v70, off
	v_lshl_add_u64 v[68:69], v[96:97], 1, s[10:11]
	s_waitcnt lgkmcnt(0)
	v_add_u32_e32 v96, v77, v64
	global_store_short v[68:69], v71, off
	v_lshl_add_u64 v[68:69], v[96:97], 1, s[10:11]
	v_lshrrev_b32_sdwa v67, s96, v75 dst_sel:DWORD dst_unused:UNUSED_PAD src0_sel:DWORD src1_sel:WORD_0
	global_store_short v[68:69], v72, off
	v_and_b32_e32 v67, s21, v67
	v_lshrrev_b32_sdwa v68, s96, v5 dst_sel:DWORD dst_unused:UNUSED_PAD src0_sel:DWORD src1_sel:WORD_0
	v_lshrrev_b32_sdwa v69, s96, v7 dst_sel:DWORD dst_unused:UNUSED_PAD src0_sel:DWORD src1_sel:WORD_0
	;; [unrolled: 1-line block ×7, first 2 shown]
	v_or_b32_e32 v57, 0x1000, v2
	v_lshlrev_b32_e32 v67, 2, v67
	v_and_b32_e32 v68, s21, v68
	v_and_b32_e32 v69, s21, v69
	;; [unrolled: 1-line block ×7, first 2 shown]
	v_lshlrev_b32_e32 v68, 2, v68
	v_lshlrev_b32_e32 v69, 2, v69
	v_lshlrev_b32_e32 v70, 2, v70
	v_lshlrev_b32_e32 v71, 2, v71
	v_lshlrev_b32_e32 v72, 2, v72
	v_lshlrev_b32_e32 v73, 2, v73
	v_lshlrev_b32_e32 v74, 2, v74
	ds_read_b32 v76, v67
	ds_read_b32 v79, v68
	;; [unrolled: 1-line block ×8, first 2 shown]
	s_waitcnt lgkmcnt(7)
	v_add_u32_e32 v96, v76, v57
	v_add_u32_e32 v83, 0x1200, v2
	v_lshl_add_u64 v[76:77], v[96:97], 1, s[10:11]
	s_waitcnt lgkmcnt(6)
	v_add_u32_e32 v96, v79, v83
	v_or_b32_e32 v87, 0x1400, v2
	global_store_short v[76:77], v75, off
	v_lshl_add_u64 v[76:77], v[96:97], 1, s[10:11]
	s_waitcnt lgkmcnt(5)
	v_add_u32_e32 v96, v108, v87
	v_add_u32_e32 v75, 0x1600, v2
	global_store_short v[76:77], v5, off
	v_lshl_add_u64 v[76:77], v[96:97], 1, s[10:11]
	s_waitcnt lgkmcnt(4)
	v_add_u32_e32 v96, v109, v75
	global_store_short v[76:77], v7, off
	v_lshl_add_u64 v[76:77], v[96:97], 1, s[10:11]
	global_store_short v[76:77], v78, off
	v_or_b32_e32 v76, 0x1800, v2
	s_waitcnt lgkmcnt(3)
	v_add_u32_e32 v96, v110, v76
	v_add_u32_e32 v77, 0x1a00, v2
	v_lshl_add_u64 v[78:79], v[96:97], 1, s[10:11]
	s_waitcnt lgkmcnt(2)
	v_add_u32_e32 v96, v111, v77
	global_store_short v[78:79], v80, off
	v_lshl_add_u64 v[78:79], v[96:97], 1, s[10:11]
	global_store_short v[78:79], v81, off
	v_or_b32_e32 v78, 0x1c00, v2
	s_waitcnt lgkmcnt(1)
	v_add_u32_e32 v96, v112, v78
	v_add_u32_e32 v79, 0x1e00, v2
	v_lshl_add_u64 v[80:81], v[96:97], 1, s[10:11]
	s_waitcnt lgkmcnt(0)
	v_add_u32_e32 v96, v113, v79
	global_store_short v[80:81], v84, off
	v_lshl_add_u64 v[80:81], v[96:97], 1, s[10:11]
	global_store_short v[80:81], v85, off
	v_or_b32_e32 v81, 0x2000, v2
	v_add_u32_e32 v96, v98, v81
	v_lshl_add_u64 v[84:85], v[96:97], 1, s[10:11]
	global_store_short v[84:85], v82, off
	v_add_u32_e32 v84, 0x2200, v2
	v_add_u32_e32 v96, v99, v84
	v_or_b32_e32 v85, 0x2400, v2
	v_lshl_add_u64 v[98:99], v[96:97], 1, s[10:11]
	v_add_u32_e32 v96, v104, v85
	v_add_u32_e32 v80, 0x2600, v2
	global_store_short v[98:99], v86, off
	v_lshl_add_u64 v[98:99], v[96:97], 1, s[10:11]
	v_add_u32_e32 v96, v105, v80
	v_or_b32_e32 v82, 0x2800, v2
	global_store_short v[98:99], v100, off
	v_lshl_add_u64 v[98:99], v[96:97], 1, s[10:11]
	v_add_u32_e32 v96, v106, v82
	v_add_u32_e32 v86, 0x2a00, v2
	s_add_u32 s0, s12, s16
	global_store_short v[98:99], v101, off
	v_lshl_add_u64 v[98:99], v[96:97], 1, s[10:11]
	v_add_u32_e32 v96, v107, v86
	s_addc_u32 s1, s13, s17
	v_mov_b32_e32 v5, v97
	global_store_short v[98:99], v102, off
	v_lshl_add_u64 v[98:99], v[96:97], 1, s[10:11]
	v_lshl_add_u64 v[4:5], s[0:1], 0, v[4:5]
	v_mov_b32_e32 v7, v97
	global_store_short v[98:99], v103, off
	v_lshl_add_u64 v[114:115], v[4:5], 0, v[6:7]
	global_load_ushort v113, v[114:115], off
	global_load_ushort v112, v[114:115], off offset:128
	global_load_ushort v111, v[114:115], off offset:256
	;; [unrolled: 1-line block ×21, first 2 shown]
	s_movk_i32 s4, 0x2c00
	v_cmp_gt_u32_e64 s[0:1], s4, v62
	s_barrier
	s_and_saveexec_b64 s[2:3], s[0:1]
	s_cbranch_execz .LBB984_384
; %bb.358:
	s_waitcnt vmcnt(21)
	ds_write_b16 v54, v113 offset:256
	s_or_b64 exec, exec, s[2:3]
	v_cmp_gt_u32_e64 s[0:1], s4, v59
	s_and_saveexec_b64 s[2:3], s[0:1]
	s_cbranch_execnz .LBB984_385
.LBB984_359:
	s_or_b64 exec, exec, s[2:3]
	v_cmp_gt_u32_e64 s[0:1], s4, v56
	s_and_saveexec_b64 s[2:3], s[0:1]
	s_cbranch_execz .LBB984_386
.LBB984_360:
	s_waitcnt vmcnt(19)
	ds_write_b16 v51, v111 offset:256
	s_or_b64 exec, exec, s[2:3]
	v_cmp_gt_u32_e64 s[0:1], s4, v53
	s_and_saveexec_b64 s[2:3], s[0:1]
	s_cbranch_execnz .LBB984_387
.LBB984_361:
	s_or_b64 exec, exec, s[2:3]
	v_cmp_gt_u32_e64 s[0:1], s4, v50
	s_and_saveexec_b64 s[2:3], s[0:1]
	s_cbranch_execz .LBB984_388
.LBB984_362:
	s_waitcnt vmcnt(17)
	ds_write_b16 v28, v109 offset:256
	s_or_b64 exec, exec, s[2:3]
	v_cmp_gt_u32_e64 s[0:1], s4, v48
	s_and_saveexec_b64 s[2:3], s[0:1]
	s_cbranch_execnz .LBB984_389
.LBB984_363:
	s_or_b64 exec, exec, s[2:3]
	v_cmp_gt_u32_e64 s[0:1], s4, v47
	s_and_saveexec_b64 s[2:3], s[0:1]
	s_cbranch_execz .LBB984_390
.LBB984_364:
	s_waitcnt vmcnt(15)
	ds_write_b16 v26, v107 offset:256
	s_or_b64 exec, exec, s[2:3]
	v_cmp_gt_u32_e64 s[0:1], s4, v46
	s_and_saveexec_b64 s[2:3], s[0:1]
	s_cbranch_execnz .LBB984_391
.LBB984_365:
	s_or_b64 exec, exec, s[2:3]
	v_cmp_gt_u32_e64 s[0:1], s4, v45
	s_and_saveexec_b64 s[2:3], s[0:1]
	s_cbranch_execz .LBB984_392
.LBB984_366:
	s_waitcnt vmcnt(13)
	ds_write_b16 v24, v105 offset:256
	s_or_b64 exec, exec, s[2:3]
	v_cmp_gt_u32_e64 s[0:1], s4, v44
	s_and_saveexec_b64 s[2:3], s[0:1]
	s_cbranch_execnz .LBB984_393
.LBB984_367:
	s_or_b64 exec, exec, s[2:3]
	v_cmp_gt_u32_e64 s[0:1], s4, v43
	s_and_saveexec_b64 s[2:3], s[0:1]
	s_cbranch_execz .LBB984_394
.LBB984_368:
	s_waitcnt vmcnt(11)
	ds_write_b16 v22, v103 offset:256
	s_or_b64 exec, exec, s[2:3]
	v_cmp_gt_u32_e64 s[0:1], s4, v42
	s_and_saveexec_b64 s[2:3], s[0:1]
	s_cbranch_execnz .LBB984_395
.LBB984_369:
	s_or_b64 exec, exec, s[2:3]
	v_cmp_gt_u32_e64 s[0:1], s4, v41
	s_and_saveexec_b64 s[2:3], s[0:1]
	s_cbranch_execz .LBB984_396
.LBB984_370:
	s_waitcnt vmcnt(9)
	ds_write_b16 v20, v101 offset:256
	s_or_b64 exec, exec, s[2:3]
	v_cmp_gt_u32_e64 s[0:1], s4, v40
	s_and_saveexec_b64 s[2:3], s[0:1]
	s_cbranch_execnz .LBB984_397
.LBB984_371:
	s_or_b64 exec, exec, s[2:3]
	v_cmp_gt_u32_e64 s[0:1], s4, v39
	s_and_saveexec_b64 s[2:3], s[0:1]
	s_cbranch_execz .LBB984_398
.LBB984_372:
	s_waitcnt vmcnt(7)
	ds_write_b16 v18, v99 offset:256
	s_or_b64 exec, exec, s[2:3]
	v_cmp_gt_u32_e64 s[0:1], s4, v38
	s_and_saveexec_b64 s[2:3], s[0:1]
	s_cbranch_execnz .LBB984_399
.LBB984_373:
	s_or_b64 exec, exec, s[2:3]
	v_cmp_gt_u32_e64 s[0:1], s4, v37
	s_and_saveexec_b64 s[2:3], s[0:1]
	s_cbranch_execz .LBB984_400
.LBB984_374:
	s_waitcnt vmcnt(5)
	ds_write_b16 v16, v97 offset:256
	s_or_b64 exec, exec, s[2:3]
	v_cmp_gt_u32_e64 s[0:1], s4, v36
	s_and_saveexec_b64 s[2:3], s[0:1]
	s_cbranch_execnz .LBB984_401
.LBB984_375:
	s_or_b64 exec, exec, s[2:3]
	v_cmp_gt_u32_e64 s[0:1], s4, v35
	s_and_saveexec_b64 s[2:3], s[0:1]
	s_cbranch_execz .LBB984_402
.LBB984_376:
	s_waitcnt vmcnt(3)
	ds_write_b16 v14, v7 offset:256
	s_or_b64 exec, exec, s[2:3]
	v_cmp_gt_u32_e64 s[0:1], s4, v34
	s_and_saveexec_b64 s[2:3], s[0:1]
	s_cbranch_execnz .LBB984_403
.LBB984_377:
	s_or_b64 exec, exec, s[2:3]
	v_cmp_gt_u32_e64 s[0:1], s4, v33
	s_and_saveexec_b64 s[2:3], s[0:1]
	s_cbranch_execz .LBB984_379
.LBB984_378:
	s_waitcnt vmcnt(1)
	ds_write_b16 v12, v5 offset:256
.LBB984_379:
	s_or_b64 exec, exec, s[2:3]
	v_sub_u32_e32 v0, 0, v0
	v_cmp_gt_u32_e64 s[0:1], s4, v32
	s_and_saveexec_b64 s[2:3], s[0:1]
	s_cbranch_execz .LBB984_381
; %bb.380:
	s_waitcnt vmcnt(0)
	ds_write_b16 v3, v4 offset:256
.LBB984_381:
	s_or_b64 exec, exec, s[2:3]
	s_waitcnt lgkmcnt(0)
	s_barrier
	s_waitcnt vmcnt(2)
	v_add_u32_e32 v6, v30, v0
	ds_read_b32 v0, v95
	ds_read_b32 v7, v92
	;; [unrolled: 1-line block ×8, first 2 shown]
	s_waitcnt lgkmcnt(7)
	v_add_u32_e32 v2, v0, v2
	v_mov_b32_e32 v3, 0
	s_waitcnt vmcnt(0)
	v_lshl_add_u64 v[4:5], v[2:3], 1, s[14:15]
	ds_read_u16 v0, v6 offset:256
	ds_read_u16 v18, v6 offset:1280
	ds_read_b32 v19, v1
	ds_read_b32 v8, v8
	;; [unrolled: 1-line block ×6, first 2 shown]
	s_waitcnt lgkmcnt(14)
	v_add_u32_e32 v2, v7, v65
	s_waitcnt lgkmcnt(7)
	global_store_short v[4:5], v0, off
	v_lshl_add_u64 v[0:1], v[2:3], 1, s[14:15]
	s_waitcnt lgkmcnt(6)
	global_store_short v[0:1], v18, off
	v_add_u32_e32 v2, v12, v66
	v_lshl_add_u64 v[0:1], v[2:3], 1, s[14:15]
	ds_read_u16 v2, v6 offset:2304
	ds_read_u16 v4, v6 offset:3328
	;; [unrolled: 1-line block ×8, first 2 shown]
	s_waitcnt lgkmcnt(7)
	global_store_short v[0:1], v2, off
	v_add_u32_e32 v2, v13, v58
	v_lshl_add_u64 v[0:1], v[2:3], 1, s[14:15]
	v_add_u32_e32 v2, v14, v60
	s_waitcnt lgkmcnt(6)
	global_store_short v[0:1], v4, off
	v_lshl_add_u64 v[0:1], v[2:3], 1, s[14:15]
	v_add_u32_e32 v2, v15, v61
	s_waitcnt lgkmcnt(5)
	global_store_short v[0:1], v5, off
	;; [unrolled: 4-line block ×4, first 2 shown]
	v_lshl_add_u64 v[0:1], v[2:3], 1, s[14:15]
	s_waitcnt lgkmcnt(2)
	global_store_short v[0:1], v18, off
	ds_read_b32 v0, v67
	ds_read_b32 v4, v68
	;; [unrolled: 1-line block ×8, first 2 shown]
	s_waitcnt lgkmcnt(7)
	v_add_u32_e32 v2, v0, v57
	v_lshl_add_u64 v[0:1], v[2:3], 1, s[14:15]
	s_waitcnt lgkmcnt(6)
	v_add_u32_e32 v2, v4, v83
	global_store_short v[0:1], v21, off
	v_lshl_add_u64 v[0:1], v[2:3], 1, s[14:15]
	global_store_short v[0:1], v22, off
	s_waitcnt lgkmcnt(5)
	v_add_u32_e32 v2, v5, v87
	v_lshl_add_u64 v[0:1], v[2:3], 1, s[14:15]
	ds_read_u16 v2, v6 offset:10496
	ds_read_u16 v4, v6 offset:11520
	;; [unrolled: 1-line block ×8, first 2 shown]
	s_waitcnt lgkmcnt(7)
	global_store_short v[0:1], v2, off
	v_add_u32_e32 v2, v7, v75
	v_lshl_add_u64 v[0:1], v[2:3], 1, s[14:15]
	v_add_u32_e32 v2, v12, v76
	s_waitcnt lgkmcnt(6)
	global_store_short v[0:1], v4, off
	v_lshl_add_u64 v[0:1], v[2:3], 1, s[14:15]
	v_add_u32_e32 v2, v13, v77
	s_waitcnt lgkmcnt(5)
	global_store_short v[0:1], v5, off
	;; [unrolled: 4-line block ×5, first 2 shown]
	v_lshl_add_u64 v[0:1], v[2:3], 1, s[14:15]
	v_add_u32_e32 v2, v8, v84
	ds_read_u16 v4, v6 offset:18688
	s_waitcnt lgkmcnt(2)
	global_store_short v[0:1], v21, off
	v_lshl_add_u64 v[0:1], v[2:3], 1, s[14:15]
	s_waitcnt lgkmcnt(1)
	global_store_short v[0:1], v22, off
	v_add_u32_e32 v2, v20, v85
	ds_read_u16 v5, v6 offset:19712
	ds_read_u16 v7, v6 offset:20736
	ds_read_u16 v6, v6 offset:21760
	v_lshl_add_u64 v[0:1], v[2:3], 1, s[14:15]
	v_add_u32_e32 v2, v11, v80
	s_add_i32 s20, s20, -1
	s_waitcnt lgkmcnt(3)
	global_store_short v[0:1], v4, off
	v_lshl_add_u64 v[0:1], v[2:3], 1, s[14:15]
	v_add_u32_e32 v2, v10, v82
	s_cmp_eq_u32 s33, s20
	s_waitcnt lgkmcnt(2)
	global_store_short v[0:1], v5, off
	v_lshl_add_u64 v[0:1], v[2:3], 1, s[14:15]
	v_add_u32_e32 v2, v9, v86
	s_cselect_b64 s[0:1], -1, 0
	s_xor_b64 s[2:3], vcc, -1
	s_waitcnt lgkmcnt(1)
	global_store_short v[0:1], v7, off
	v_lshl_add_u64 v[0:1], v[2:3], 1, s[14:15]
	s_and_b64 s[0:1], s[2:3], s[0:1]
	s_waitcnt lgkmcnt(0)
	global_store_short v[0:1], v6, off
	s_and_saveexec_b64 s[2:3], s[0:1]
	s_cbranch_execz .LBB984_383
; %bb.382:
	ds_read_b32 v0, v30
	v_readlane_b32 s0, v117, 0
	v_readlane_b32 s2, v117, 2
	;; [unrolled: 1-line block ×4, first 2 shown]
	s_waitcnt lgkmcnt(0)
	v_add3_u32 v0, v29, v31, v0
	s_nop 1
	global_store_dword v30, v0, s[2:3]
.LBB984_383:
	s_endpgm
.LBB984_384:
	s_or_b64 exec, exec, s[2:3]
	v_cmp_gt_u32_e64 s[0:1], s4, v59
	s_and_saveexec_b64 s[2:3], s[0:1]
	s_cbranch_execz .LBB984_359
.LBB984_385:
	s_waitcnt vmcnt(20)
	ds_write_b16 v52, v112 offset:256
	s_or_b64 exec, exec, s[2:3]
	v_cmp_gt_u32_e64 s[0:1], s4, v56
	s_and_saveexec_b64 s[2:3], s[0:1]
	s_cbranch_execnz .LBB984_360
.LBB984_386:
	s_or_b64 exec, exec, s[2:3]
	v_cmp_gt_u32_e64 s[0:1], s4, v53
	s_and_saveexec_b64 s[2:3], s[0:1]
	s_cbranch_execz .LBB984_361
.LBB984_387:
	s_waitcnt vmcnt(18)
	ds_write_b16 v49, v110 offset:256
	s_or_b64 exec, exec, s[2:3]
	v_cmp_gt_u32_e64 s[0:1], s4, v50
	s_and_saveexec_b64 s[2:3], s[0:1]
	s_cbranch_execnz .LBB984_362
.LBB984_388:
	s_or_b64 exec, exec, s[2:3]
	v_cmp_gt_u32_e64 s[0:1], s4, v48
	s_and_saveexec_b64 s[2:3], s[0:1]
	s_cbranch_execz .LBB984_363
.LBB984_389:
	s_waitcnt vmcnt(16)
	ds_write_b16 v27, v108 offset:256
	s_or_b64 exec, exec, s[2:3]
	v_cmp_gt_u32_e64 s[0:1], s4, v47
	s_and_saveexec_b64 s[2:3], s[0:1]
	s_cbranch_execnz .LBB984_364
.LBB984_390:
	s_or_b64 exec, exec, s[2:3]
	v_cmp_gt_u32_e64 s[0:1], s4, v46
	s_and_saveexec_b64 s[2:3], s[0:1]
	s_cbranch_execz .LBB984_365
.LBB984_391:
	s_waitcnt vmcnt(14)
	ds_write_b16 v25, v106 offset:256
	s_or_b64 exec, exec, s[2:3]
	v_cmp_gt_u32_e64 s[0:1], s4, v45
	s_and_saveexec_b64 s[2:3], s[0:1]
	s_cbranch_execnz .LBB984_366
.LBB984_392:
	s_or_b64 exec, exec, s[2:3]
	v_cmp_gt_u32_e64 s[0:1], s4, v44
	s_and_saveexec_b64 s[2:3], s[0:1]
	s_cbranch_execz .LBB984_367
.LBB984_393:
	s_waitcnt vmcnt(12)
	ds_write_b16 v23, v104 offset:256
	s_or_b64 exec, exec, s[2:3]
	v_cmp_gt_u32_e64 s[0:1], s4, v43
	s_and_saveexec_b64 s[2:3], s[0:1]
	s_cbranch_execnz .LBB984_368
.LBB984_394:
	s_or_b64 exec, exec, s[2:3]
	v_cmp_gt_u32_e64 s[0:1], s4, v42
	s_and_saveexec_b64 s[2:3], s[0:1]
	s_cbranch_execz .LBB984_369
.LBB984_395:
	s_waitcnt vmcnt(10)
	ds_write_b16 v21, v102 offset:256
	s_or_b64 exec, exec, s[2:3]
	v_cmp_gt_u32_e64 s[0:1], s4, v41
	s_and_saveexec_b64 s[2:3], s[0:1]
	s_cbranch_execnz .LBB984_370
.LBB984_396:
	s_or_b64 exec, exec, s[2:3]
	v_cmp_gt_u32_e64 s[0:1], s4, v40
	s_and_saveexec_b64 s[2:3], s[0:1]
	s_cbranch_execz .LBB984_371
.LBB984_397:
	s_waitcnt vmcnt(8)
	ds_write_b16 v19, v100 offset:256
	s_or_b64 exec, exec, s[2:3]
	v_cmp_gt_u32_e64 s[0:1], s4, v39
	s_and_saveexec_b64 s[2:3], s[0:1]
	s_cbranch_execnz .LBB984_372
.LBB984_398:
	s_or_b64 exec, exec, s[2:3]
	v_cmp_gt_u32_e64 s[0:1], s4, v38
	s_and_saveexec_b64 s[2:3], s[0:1]
	s_cbranch_execz .LBB984_373
.LBB984_399:
	s_waitcnt vmcnt(6)
	ds_write_b16 v17, v98 offset:256
	s_or_b64 exec, exec, s[2:3]
	v_cmp_gt_u32_e64 s[0:1], s4, v37
	s_and_saveexec_b64 s[2:3], s[0:1]
	s_cbranch_execnz .LBB984_374
.LBB984_400:
	s_or_b64 exec, exec, s[2:3]
	v_cmp_gt_u32_e64 s[0:1], s4, v36
	s_and_saveexec_b64 s[2:3], s[0:1]
	s_cbranch_execz .LBB984_375
.LBB984_401:
	s_waitcnt vmcnt(4)
	ds_write_b16 v15, v96 offset:256
	s_or_b64 exec, exec, s[2:3]
	v_cmp_gt_u32_e64 s[0:1], s4, v35
	s_and_saveexec_b64 s[2:3], s[0:1]
	s_cbranch_execnz .LBB984_376
.LBB984_402:
	s_or_b64 exec, exec, s[2:3]
	v_cmp_gt_u32_e64 s[0:1], s4, v34
	s_and_saveexec_b64 s[2:3], s[0:1]
	s_cbranch_execz .LBB984_377
.LBB984_403:
	s_waitcnt vmcnt(2)
	ds_write_b16 v13, v6 offset:256
	s_or_b64 exec, exec, s[2:3]
	v_cmp_gt_u32_e64 s[0:1], s4, v33
	s_and_saveexec_b64 s[2:3], s[0:1]
	s_cbranch_execnz .LBB984_378
	s_branch .LBB984_379
	.section	.rodata,"a",@progbits
	.p2align	6, 0x0
	.amdhsa_kernel _ZN7rocprim17ROCPRIM_400000_NS6detail17trampoline_kernelINS0_14default_configENS1_35radix_sort_onesweep_config_selectorIttEEZZNS1_29radix_sort_onesweep_iterationIS3_Lb0EN6thrust23THRUST_200600_302600_NS6detail15normal_iteratorINS8_10device_ptrItEEEESD_SD_SD_jNS0_19identity_decomposerENS1_16block_id_wrapperIjLb1EEEEE10hipError_tT1_PNSt15iterator_traitsISI_E10value_typeET2_T3_PNSJ_ISO_E10value_typeET4_T5_PST_SU_PNS1_23onesweep_lookback_stateEbbT6_jjT7_P12ihipStream_tbENKUlT_T0_SI_SN_E_clISD_PtSD_S15_EEDaS11_S12_SI_SN_EUlS11_E_NS1_11comp_targetILNS1_3genE6ELNS1_11target_archE950ELNS1_3gpuE13ELNS1_3repE0EEENS1_47radix_sort_onesweep_sort_config_static_selectorELNS0_4arch9wavefront6targetE1EEEvSI_
		.amdhsa_group_segment_fixed_size 22792
		.amdhsa_private_segment_fixed_size 0
		.amdhsa_kernarg_size 344
		.amdhsa_user_sgpr_count 2
		.amdhsa_user_sgpr_dispatch_ptr 0
		.amdhsa_user_sgpr_queue_ptr 0
		.amdhsa_user_sgpr_kernarg_segment_ptr 1
		.amdhsa_user_sgpr_dispatch_id 0
		.amdhsa_user_sgpr_kernarg_preload_length 0
		.amdhsa_user_sgpr_kernarg_preload_offset 0
		.amdhsa_user_sgpr_private_segment_size 0
		.amdhsa_uses_dynamic_stack 0
		.amdhsa_enable_private_segment 0
		.amdhsa_system_sgpr_workgroup_id_x 1
		.amdhsa_system_sgpr_workgroup_id_y 0
		.amdhsa_system_sgpr_workgroup_id_z 0
		.amdhsa_system_sgpr_workgroup_info 0
		.amdhsa_system_vgpr_workitem_id 2
		.amdhsa_next_free_vgpr 118
		.amdhsa_next_free_sgpr 100
		.amdhsa_accum_offset 120
		.amdhsa_reserve_vcc 1
		.amdhsa_float_round_mode_32 0
		.amdhsa_float_round_mode_16_64 0
		.amdhsa_float_denorm_mode_32 3
		.amdhsa_float_denorm_mode_16_64 3
		.amdhsa_dx10_clamp 1
		.amdhsa_ieee_mode 1
		.amdhsa_fp16_overflow 0
		.amdhsa_tg_split 0
		.amdhsa_exception_fp_ieee_invalid_op 0
		.amdhsa_exception_fp_denorm_src 0
		.amdhsa_exception_fp_ieee_div_zero 0
		.amdhsa_exception_fp_ieee_overflow 0
		.amdhsa_exception_fp_ieee_underflow 0
		.amdhsa_exception_fp_ieee_inexact 0
		.amdhsa_exception_int_div_zero 0
	.end_amdhsa_kernel
	.section	.text._ZN7rocprim17ROCPRIM_400000_NS6detail17trampoline_kernelINS0_14default_configENS1_35radix_sort_onesweep_config_selectorIttEEZZNS1_29radix_sort_onesweep_iterationIS3_Lb0EN6thrust23THRUST_200600_302600_NS6detail15normal_iteratorINS8_10device_ptrItEEEESD_SD_SD_jNS0_19identity_decomposerENS1_16block_id_wrapperIjLb1EEEEE10hipError_tT1_PNSt15iterator_traitsISI_E10value_typeET2_T3_PNSJ_ISO_E10value_typeET4_T5_PST_SU_PNS1_23onesweep_lookback_stateEbbT6_jjT7_P12ihipStream_tbENKUlT_T0_SI_SN_E_clISD_PtSD_S15_EEDaS11_S12_SI_SN_EUlS11_E_NS1_11comp_targetILNS1_3genE6ELNS1_11target_archE950ELNS1_3gpuE13ELNS1_3repE0EEENS1_47radix_sort_onesweep_sort_config_static_selectorELNS0_4arch9wavefront6targetE1EEEvSI_,"axG",@progbits,_ZN7rocprim17ROCPRIM_400000_NS6detail17trampoline_kernelINS0_14default_configENS1_35radix_sort_onesweep_config_selectorIttEEZZNS1_29radix_sort_onesweep_iterationIS3_Lb0EN6thrust23THRUST_200600_302600_NS6detail15normal_iteratorINS8_10device_ptrItEEEESD_SD_SD_jNS0_19identity_decomposerENS1_16block_id_wrapperIjLb1EEEEE10hipError_tT1_PNSt15iterator_traitsISI_E10value_typeET2_T3_PNSJ_ISO_E10value_typeET4_T5_PST_SU_PNS1_23onesweep_lookback_stateEbbT6_jjT7_P12ihipStream_tbENKUlT_T0_SI_SN_E_clISD_PtSD_S15_EEDaS11_S12_SI_SN_EUlS11_E_NS1_11comp_targetILNS1_3genE6ELNS1_11target_archE950ELNS1_3gpuE13ELNS1_3repE0EEENS1_47radix_sort_onesweep_sort_config_static_selectorELNS0_4arch9wavefront6targetE1EEEvSI_,comdat
.Lfunc_end984:
	.size	_ZN7rocprim17ROCPRIM_400000_NS6detail17trampoline_kernelINS0_14default_configENS1_35radix_sort_onesweep_config_selectorIttEEZZNS1_29radix_sort_onesweep_iterationIS3_Lb0EN6thrust23THRUST_200600_302600_NS6detail15normal_iteratorINS8_10device_ptrItEEEESD_SD_SD_jNS0_19identity_decomposerENS1_16block_id_wrapperIjLb1EEEEE10hipError_tT1_PNSt15iterator_traitsISI_E10value_typeET2_T3_PNSJ_ISO_E10value_typeET4_T5_PST_SU_PNS1_23onesweep_lookback_stateEbbT6_jjT7_P12ihipStream_tbENKUlT_T0_SI_SN_E_clISD_PtSD_S15_EEDaS11_S12_SI_SN_EUlS11_E_NS1_11comp_targetILNS1_3genE6ELNS1_11target_archE950ELNS1_3gpuE13ELNS1_3repE0EEENS1_47radix_sort_onesweep_sort_config_static_selectorELNS0_4arch9wavefront6targetE1EEEvSI_, .Lfunc_end984-_ZN7rocprim17ROCPRIM_400000_NS6detail17trampoline_kernelINS0_14default_configENS1_35radix_sort_onesweep_config_selectorIttEEZZNS1_29radix_sort_onesweep_iterationIS3_Lb0EN6thrust23THRUST_200600_302600_NS6detail15normal_iteratorINS8_10device_ptrItEEEESD_SD_SD_jNS0_19identity_decomposerENS1_16block_id_wrapperIjLb1EEEEE10hipError_tT1_PNSt15iterator_traitsISI_E10value_typeET2_T3_PNSJ_ISO_E10value_typeET4_T5_PST_SU_PNS1_23onesweep_lookback_stateEbbT6_jjT7_P12ihipStream_tbENKUlT_T0_SI_SN_E_clISD_PtSD_S15_EEDaS11_S12_SI_SN_EUlS11_E_NS1_11comp_targetILNS1_3genE6ELNS1_11target_archE950ELNS1_3gpuE13ELNS1_3repE0EEENS1_47radix_sort_onesweep_sort_config_static_selectorELNS0_4arch9wavefront6targetE1EEEvSI_
                                        ; -- End function
	.set _ZN7rocprim17ROCPRIM_400000_NS6detail17trampoline_kernelINS0_14default_configENS1_35radix_sort_onesweep_config_selectorIttEEZZNS1_29radix_sort_onesweep_iterationIS3_Lb0EN6thrust23THRUST_200600_302600_NS6detail15normal_iteratorINS8_10device_ptrItEEEESD_SD_SD_jNS0_19identity_decomposerENS1_16block_id_wrapperIjLb1EEEEE10hipError_tT1_PNSt15iterator_traitsISI_E10value_typeET2_T3_PNSJ_ISO_E10value_typeET4_T5_PST_SU_PNS1_23onesweep_lookback_stateEbbT6_jjT7_P12ihipStream_tbENKUlT_T0_SI_SN_E_clISD_PtSD_S15_EEDaS11_S12_SI_SN_EUlS11_E_NS1_11comp_targetILNS1_3genE6ELNS1_11target_archE950ELNS1_3gpuE13ELNS1_3repE0EEENS1_47radix_sort_onesweep_sort_config_static_selectorELNS0_4arch9wavefront6targetE1EEEvSI_.num_vgpr, 118
	.set _ZN7rocprim17ROCPRIM_400000_NS6detail17trampoline_kernelINS0_14default_configENS1_35radix_sort_onesweep_config_selectorIttEEZZNS1_29radix_sort_onesweep_iterationIS3_Lb0EN6thrust23THRUST_200600_302600_NS6detail15normal_iteratorINS8_10device_ptrItEEEESD_SD_SD_jNS0_19identity_decomposerENS1_16block_id_wrapperIjLb1EEEEE10hipError_tT1_PNSt15iterator_traitsISI_E10value_typeET2_T3_PNSJ_ISO_E10value_typeET4_T5_PST_SU_PNS1_23onesweep_lookback_stateEbbT6_jjT7_P12ihipStream_tbENKUlT_T0_SI_SN_E_clISD_PtSD_S15_EEDaS11_S12_SI_SN_EUlS11_E_NS1_11comp_targetILNS1_3genE6ELNS1_11target_archE950ELNS1_3gpuE13ELNS1_3repE0EEENS1_47radix_sort_onesweep_sort_config_static_selectorELNS0_4arch9wavefront6targetE1EEEvSI_.num_agpr, 0
	.set _ZN7rocprim17ROCPRIM_400000_NS6detail17trampoline_kernelINS0_14default_configENS1_35radix_sort_onesweep_config_selectorIttEEZZNS1_29radix_sort_onesweep_iterationIS3_Lb0EN6thrust23THRUST_200600_302600_NS6detail15normal_iteratorINS8_10device_ptrItEEEESD_SD_SD_jNS0_19identity_decomposerENS1_16block_id_wrapperIjLb1EEEEE10hipError_tT1_PNSt15iterator_traitsISI_E10value_typeET2_T3_PNSJ_ISO_E10value_typeET4_T5_PST_SU_PNS1_23onesweep_lookback_stateEbbT6_jjT7_P12ihipStream_tbENKUlT_T0_SI_SN_E_clISD_PtSD_S15_EEDaS11_S12_SI_SN_EUlS11_E_NS1_11comp_targetILNS1_3genE6ELNS1_11target_archE950ELNS1_3gpuE13ELNS1_3repE0EEENS1_47radix_sort_onesweep_sort_config_static_selectorELNS0_4arch9wavefront6targetE1EEEvSI_.numbered_sgpr, 100
	.set _ZN7rocprim17ROCPRIM_400000_NS6detail17trampoline_kernelINS0_14default_configENS1_35radix_sort_onesweep_config_selectorIttEEZZNS1_29radix_sort_onesweep_iterationIS3_Lb0EN6thrust23THRUST_200600_302600_NS6detail15normal_iteratorINS8_10device_ptrItEEEESD_SD_SD_jNS0_19identity_decomposerENS1_16block_id_wrapperIjLb1EEEEE10hipError_tT1_PNSt15iterator_traitsISI_E10value_typeET2_T3_PNSJ_ISO_E10value_typeET4_T5_PST_SU_PNS1_23onesweep_lookback_stateEbbT6_jjT7_P12ihipStream_tbENKUlT_T0_SI_SN_E_clISD_PtSD_S15_EEDaS11_S12_SI_SN_EUlS11_E_NS1_11comp_targetILNS1_3genE6ELNS1_11target_archE950ELNS1_3gpuE13ELNS1_3repE0EEENS1_47radix_sort_onesweep_sort_config_static_selectorELNS0_4arch9wavefront6targetE1EEEvSI_.num_named_barrier, 0
	.set _ZN7rocprim17ROCPRIM_400000_NS6detail17trampoline_kernelINS0_14default_configENS1_35radix_sort_onesweep_config_selectorIttEEZZNS1_29radix_sort_onesweep_iterationIS3_Lb0EN6thrust23THRUST_200600_302600_NS6detail15normal_iteratorINS8_10device_ptrItEEEESD_SD_SD_jNS0_19identity_decomposerENS1_16block_id_wrapperIjLb1EEEEE10hipError_tT1_PNSt15iterator_traitsISI_E10value_typeET2_T3_PNSJ_ISO_E10value_typeET4_T5_PST_SU_PNS1_23onesweep_lookback_stateEbbT6_jjT7_P12ihipStream_tbENKUlT_T0_SI_SN_E_clISD_PtSD_S15_EEDaS11_S12_SI_SN_EUlS11_E_NS1_11comp_targetILNS1_3genE6ELNS1_11target_archE950ELNS1_3gpuE13ELNS1_3repE0EEENS1_47radix_sort_onesweep_sort_config_static_selectorELNS0_4arch9wavefront6targetE1EEEvSI_.private_seg_size, 0
	.set _ZN7rocprim17ROCPRIM_400000_NS6detail17trampoline_kernelINS0_14default_configENS1_35radix_sort_onesweep_config_selectorIttEEZZNS1_29radix_sort_onesweep_iterationIS3_Lb0EN6thrust23THRUST_200600_302600_NS6detail15normal_iteratorINS8_10device_ptrItEEEESD_SD_SD_jNS0_19identity_decomposerENS1_16block_id_wrapperIjLb1EEEEE10hipError_tT1_PNSt15iterator_traitsISI_E10value_typeET2_T3_PNSJ_ISO_E10value_typeET4_T5_PST_SU_PNS1_23onesweep_lookback_stateEbbT6_jjT7_P12ihipStream_tbENKUlT_T0_SI_SN_E_clISD_PtSD_S15_EEDaS11_S12_SI_SN_EUlS11_E_NS1_11comp_targetILNS1_3genE6ELNS1_11target_archE950ELNS1_3gpuE13ELNS1_3repE0EEENS1_47radix_sort_onesweep_sort_config_static_selectorELNS0_4arch9wavefront6targetE1EEEvSI_.uses_vcc, 1
	.set _ZN7rocprim17ROCPRIM_400000_NS6detail17trampoline_kernelINS0_14default_configENS1_35radix_sort_onesweep_config_selectorIttEEZZNS1_29radix_sort_onesweep_iterationIS3_Lb0EN6thrust23THRUST_200600_302600_NS6detail15normal_iteratorINS8_10device_ptrItEEEESD_SD_SD_jNS0_19identity_decomposerENS1_16block_id_wrapperIjLb1EEEEE10hipError_tT1_PNSt15iterator_traitsISI_E10value_typeET2_T3_PNSJ_ISO_E10value_typeET4_T5_PST_SU_PNS1_23onesweep_lookback_stateEbbT6_jjT7_P12ihipStream_tbENKUlT_T0_SI_SN_E_clISD_PtSD_S15_EEDaS11_S12_SI_SN_EUlS11_E_NS1_11comp_targetILNS1_3genE6ELNS1_11target_archE950ELNS1_3gpuE13ELNS1_3repE0EEENS1_47radix_sort_onesweep_sort_config_static_selectorELNS0_4arch9wavefront6targetE1EEEvSI_.uses_flat_scratch, 0
	.set _ZN7rocprim17ROCPRIM_400000_NS6detail17trampoline_kernelINS0_14default_configENS1_35radix_sort_onesweep_config_selectorIttEEZZNS1_29radix_sort_onesweep_iterationIS3_Lb0EN6thrust23THRUST_200600_302600_NS6detail15normal_iteratorINS8_10device_ptrItEEEESD_SD_SD_jNS0_19identity_decomposerENS1_16block_id_wrapperIjLb1EEEEE10hipError_tT1_PNSt15iterator_traitsISI_E10value_typeET2_T3_PNSJ_ISO_E10value_typeET4_T5_PST_SU_PNS1_23onesweep_lookback_stateEbbT6_jjT7_P12ihipStream_tbENKUlT_T0_SI_SN_E_clISD_PtSD_S15_EEDaS11_S12_SI_SN_EUlS11_E_NS1_11comp_targetILNS1_3genE6ELNS1_11target_archE950ELNS1_3gpuE13ELNS1_3repE0EEENS1_47radix_sort_onesweep_sort_config_static_selectorELNS0_4arch9wavefront6targetE1EEEvSI_.has_dyn_sized_stack, 0
	.set _ZN7rocprim17ROCPRIM_400000_NS6detail17trampoline_kernelINS0_14default_configENS1_35radix_sort_onesweep_config_selectorIttEEZZNS1_29radix_sort_onesweep_iterationIS3_Lb0EN6thrust23THRUST_200600_302600_NS6detail15normal_iteratorINS8_10device_ptrItEEEESD_SD_SD_jNS0_19identity_decomposerENS1_16block_id_wrapperIjLb1EEEEE10hipError_tT1_PNSt15iterator_traitsISI_E10value_typeET2_T3_PNSJ_ISO_E10value_typeET4_T5_PST_SU_PNS1_23onesweep_lookback_stateEbbT6_jjT7_P12ihipStream_tbENKUlT_T0_SI_SN_E_clISD_PtSD_S15_EEDaS11_S12_SI_SN_EUlS11_E_NS1_11comp_targetILNS1_3genE6ELNS1_11target_archE950ELNS1_3gpuE13ELNS1_3repE0EEENS1_47radix_sort_onesweep_sort_config_static_selectorELNS0_4arch9wavefront6targetE1EEEvSI_.has_recursion, 0
	.set _ZN7rocprim17ROCPRIM_400000_NS6detail17trampoline_kernelINS0_14default_configENS1_35radix_sort_onesweep_config_selectorIttEEZZNS1_29radix_sort_onesweep_iterationIS3_Lb0EN6thrust23THRUST_200600_302600_NS6detail15normal_iteratorINS8_10device_ptrItEEEESD_SD_SD_jNS0_19identity_decomposerENS1_16block_id_wrapperIjLb1EEEEE10hipError_tT1_PNSt15iterator_traitsISI_E10value_typeET2_T3_PNSJ_ISO_E10value_typeET4_T5_PST_SU_PNS1_23onesweep_lookback_stateEbbT6_jjT7_P12ihipStream_tbENKUlT_T0_SI_SN_E_clISD_PtSD_S15_EEDaS11_S12_SI_SN_EUlS11_E_NS1_11comp_targetILNS1_3genE6ELNS1_11target_archE950ELNS1_3gpuE13ELNS1_3repE0EEENS1_47radix_sort_onesweep_sort_config_static_selectorELNS0_4arch9wavefront6targetE1EEEvSI_.has_indirect_call, 0
	.section	.AMDGPU.csdata,"",@progbits
; Kernel info:
; codeLenInByte = 30272
; TotalNumSgprs: 106
; NumVgprs: 118
; NumAgprs: 0
; TotalNumVgprs: 118
; ScratchSize: 0
; MemoryBound: 0
; FloatMode: 240
; IeeeMode: 1
; LDSByteSize: 22792 bytes/workgroup (compile time only)
; SGPRBlocks: 13
; VGPRBlocks: 14
; NumSGPRsForWavesPerEU: 106
; NumVGPRsForWavesPerEU: 118
; AccumOffset: 120
; Occupancy: 4
; WaveLimiterHint : 1
; COMPUTE_PGM_RSRC2:SCRATCH_EN: 0
; COMPUTE_PGM_RSRC2:USER_SGPR: 2
; COMPUTE_PGM_RSRC2:TRAP_HANDLER: 0
; COMPUTE_PGM_RSRC2:TGID_X_EN: 1
; COMPUTE_PGM_RSRC2:TGID_Y_EN: 0
; COMPUTE_PGM_RSRC2:TGID_Z_EN: 0
; COMPUTE_PGM_RSRC2:TIDIG_COMP_CNT: 2
; COMPUTE_PGM_RSRC3_GFX90A:ACCUM_OFFSET: 29
; COMPUTE_PGM_RSRC3_GFX90A:TG_SPLIT: 0
	.section	.text._ZN7rocprim17ROCPRIM_400000_NS6detail17trampoline_kernelINS0_14default_configENS1_35radix_sort_onesweep_config_selectorIttEEZZNS1_29radix_sort_onesweep_iterationIS3_Lb0EN6thrust23THRUST_200600_302600_NS6detail15normal_iteratorINS8_10device_ptrItEEEESD_SD_SD_jNS0_19identity_decomposerENS1_16block_id_wrapperIjLb1EEEEE10hipError_tT1_PNSt15iterator_traitsISI_E10value_typeET2_T3_PNSJ_ISO_E10value_typeET4_T5_PST_SU_PNS1_23onesweep_lookback_stateEbbT6_jjT7_P12ihipStream_tbENKUlT_T0_SI_SN_E_clISD_PtSD_S15_EEDaS11_S12_SI_SN_EUlS11_E_NS1_11comp_targetILNS1_3genE5ELNS1_11target_archE942ELNS1_3gpuE9ELNS1_3repE0EEENS1_47radix_sort_onesweep_sort_config_static_selectorELNS0_4arch9wavefront6targetE1EEEvSI_,"axG",@progbits,_ZN7rocprim17ROCPRIM_400000_NS6detail17trampoline_kernelINS0_14default_configENS1_35radix_sort_onesweep_config_selectorIttEEZZNS1_29radix_sort_onesweep_iterationIS3_Lb0EN6thrust23THRUST_200600_302600_NS6detail15normal_iteratorINS8_10device_ptrItEEEESD_SD_SD_jNS0_19identity_decomposerENS1_16block_id_wrapperIjLb1EEEEE10hipError_tT1_PNSt15iterator_traitsISI_E10value_typeET2_T3_PNSJ_ISO_E10value_typeET4_T5_PST_SU_PNS1_23onesweep_lookback_stateEbbT6_jjT7_P12ihipStream_tbENKUlT_T0_SI_SN_E_clISD_PtSD_S15_EEDaS11_S12_SI_SN_EUlS11_E_NS1_11comp_targetILNS1_3genE5ELNS1_11target_archE942ELNS1_3gpuE9ELNS1_3repE0EEENS1_47radix_sort_onesweep_sort_config_static_selectorELNS0_4arch9wavefront6targetE1EEEvSI_,comdat
	.protected	_ZN7rocprim17ROCPRIM_400000_NS6detail17trampoline_kernelINS0_14default_configENS1_35radix_sort_onesweep_config_selectorIttEEZZNS1_29radix_sort_onesweep_iterationIS3_Lb0EN6thrust23THRUST_200600_302600_NS6detail15normal_iteratorINS8_10device_ptrItEEEESD_SD_SD_jNS0_19identity_decomposerENS1_16block_id_wrapperIjLb1EEEEE10hipError_tT1_PNSt15iterator_traitsISI_E10value_typeET2_T3_PNSJ_ISO_E10value_typeET4_T5_PST_SU_PNS1_23onesweep_lookback_stateEbbT6_jjT7_P12ihipStream_tbENKUlT_T0_SI_SN_E_clISD_PtSD_S15_EEDaS11_S12_SI_SN_EUlS11_E_NS1_11comp_targetILNS1_3genE5ELNS1_11target_archE942ELNS1_3gpuE9ELNS1_3repE0EEENS1_47radix_sort_onesweep_sort_config_static_selectorELNS0_4arch9wavefront6targetE1EEEvSI_ ; -- Begin function _ZN7rocprim17ROCPRIM_400000_NS6detail17trampoline_kernelINS0_14default_configENS1_35radix_sort_onesweep_config_selectorIttEEZZNS1_29radix_sort_onesweep_iterationIS3_Lb0EN6thrust23THRUST_200600_302600_NS6detail15normal_iteratorINS8_10device_ptrItEEEESD_SD_SD_jNS0_19identity_decomposerENS1_16block_id_wrapperIjLb1EEEEE10hipError_tT1_PNSt15iterator_traitsISI_E10value_typeET2_T3_PNSJ_ISO_E10value_typeET4_T5_PST_SU_PNS1_23onesweep_lookback_stateEbbT6_jjT7_P12ihipStream_tbENKUlT_T0_SI_SN_E_clISD_PtSD_S15_EEDaS11_S12_SI_SN_EUlS11_E_NS1_11comp_targetILNS1_3genE5ELNS1_11target_archE942ELNS1_3gpuE9ELNS1_3repE0EEENS1_47radix_sort_onesweep_sort_config_static_selectorELNS0_4arch9wavefront6targetE1EEEvSI_
	.globl	_ZN7rocprim17ROCPRIM_400000_NS6detail17trampoline_kernelINS0_14default_configENS1_35radix_sort_onesweep_config_selectorIttEEZZNS1_29radix_sort_onesweep_iterationIS3_Lb0EN6thrust23THRUST_200600_302600_NS6detail15normal_iteratorINS8_10device_ptrItEEEESD_SD_SD_jNS0_19identity_decomposerENS1_16block_id_wrapperIjLb1EEEEE10hipError_tT1_PNSt15iterator_traitsISI_E10value_typeET2_T3_PNSJ_ISO_E10value_typeET4_T5_PST_SU_PNS1_23onesweep_lookback_stateEbbT6_jjT7_P12ihipStream_tbENKUlT_T0_SI_SN_E_clISD_PtSD_S15_EEDaS11_S12_SI_SN_EUlS11_E_NS1_11comp_targetILNS1_3genE5ELNS1_11target_archE942ELNS1_3gpuE9ELNS1_3repE0EEENS1_47radix_sort_onesweep_sort_config_static_selectorELNS0_4arch9wavefront6targetE1EEEvSI_
	.p2align	8
	.type	_ZN7rocprim17ROCPRIM_400000_NS6detail17trampoline_kernelINS0_14default_configENS1_35radix_sort_onesweep_config_selectorIttEEZZNS1_29radix_sort_onesweep_iterationIS3_Lb0EN6thrust23THRUST_200600_302600_NS6detail15normal_iteratorINS8_10device_ptrItEEEESD_SD_SD_jNS0_19identity_decomposerENS1_16block_id_wrapperIjLb1EEEEE10hipError_tT1_PNSt15iterator_traitsISI_E10value_typeET2_T3_PNSJ_ISO_E10value_typeET4_T5_PST_SU_PNS1_23onesweep_lookback_stateEbbT6_jjT7_P12ihipStream_tbENKUlT_T0_SI_SN_E_clISD_PtSD_S15_EEDaS11_S12_SI_SN_EUlS11_E_NS1_11comp_targetILNS1_3genE5ELNS1_11target_archE942ELNS1_3gpuE9ELNS1_3repE0EEENS1_47radix_sort_onesweep_sort_config_static_selectorELNS0_4arch9wavefront6targetE1EEEvSI_,@function
_ZN7rocprim17ROCPRIM_400000_NS6detail17trampoline_kernelINS0_14default_configENS1_35radix_sort_onesweep_config_selectorIttEEZZNS1_29radix_sort_onesweep_iterationIS3_Lb0EN6thrust23THRUST_200600_302600_NS6detail15normal_iteratorINS8_10device_ptrItEEEESD_SD_SD_jNS0_19identity_decomposerENS1_16block_id_wrapperIjLb1EEEEE10hipError_tT1_PNSt15iterator_traitsISI_E10value_typeET2_T3_PNSJ_ISO_E10value_typeET4_T5_PST_SU_PNS1_23onesweep_lookback_stateEbbT6_jjT7_P12ihipStream_tbENKUlT_T0_SI_SN_E_clISD_PtSD_S15_EEDaS11_S12_SI_SN_EUlS11_E_NS1_11comp_targetILNS1_3genE5ELNS1_11target_archE942ELNS1_3gpuE9ELNS1_3repE0EEENS1_47radix_sort_onesweep_sort_config_static_selectorELNS0_4arch9wavefront6targetE1EEEvSI_: ; @_ZN7rocprim17ROCPRIM_400000_NS6detail17trampoline_kernelINS0_14default_configENS1_35radix_sort_onesweep_config_selectorIttEEZZNS1_29radix_sort_onesweep_iterationIS3_Lb0EN6thrust23THRUST_200600_302600_NS6detail15normal_iteratorINS8_10device_ptrItEEEESD_SD_SD_jNS0_19identity_decomposerENS1_16block_id_wrapperIjLb1EEEEE10hipError_tT1_PNSt15iterator_traitsISI_E10value_typeET2_T3_PNSJ_ISO_E10value_typeET4_T5_PST_SU_PNS1_23onesweep_lookback_stateEbbT6_jjT7_P12ihipStream_tbENKUlT_T0_SI_SN_E_clISD_PtSD_S15_EEDaS11_S12_SI_SN_EUlS11_E_NS1_11comp_targetILNS1_3genE5ELNS1_11target_archE942ELNS1_3gpuE9ELNS1_3repE0EEENS1_47radix_sort_onesweep_sort_config_static_selectorELNS0_4arch9wavefront6targetE1EEEvSI_
; %bb.0:
	.section	.rodata,"a",@progbits
	.p2align	6, 0x0
	.amdhsa_kernel _ZN7rocprim17ROCPRIM_400000_NS6detail17trampoline_kernelINS0_14default_configENS1_35radix_sort_onesweep_config_selectorIttEEZZNS1_29radix_sort_onesweep_iterationIS3_Lb0EN6thrust23THRUST_200600_302600_NS6detail15normal_iteratorINS8_10device_ptrItEEEESD_SD_SD_jNS0_19identity_decomposerENS1_16block_id_wrapperIjLb1EEEEE10hipError_tT1_PNSt15iterator_traitsISI_E10value_typeET2_T3_PNSJ_ISO_E10value_typeET4_T5_PST_SU_PNS1_23onesweep_lookback_stateEbbT6_jjT7_P12ihipStream_tbENKUlT_T0_SI_SN_E_clISD_PtSD_S15_EEDaS11_S12_SI_SN_EUlS11_E_NS1_11comp_targetILNS1_3genE5ELNS1_11target_archE942ELNS1_3gpuE9ELNS1_3repE0EEENS1_47radix_sort_onesweep_sort_config_static_selectorELNS0_4arch9wavefront6targetE1EEEvSI_
		.amdhsa_group_segment_fixed_size 0
		.amdhsa_private_segment_fixed_size 0
		.amdhsa_kernarg_size 88
		.amdhsa_user_sgpr_count 2
		.amdhsa_user_sgpr_dispatch_ptr 0
		.amdhsa_user_sgpr_queue_ptr 0
		.amdhsa_user_sgpr_kernarg_segment_ptr 1
		.amdhsa_user_sgpr_dispatch_id 0
		.amdhsa_user_sgpr_kernarg_preload_length 0
		.amdhsa_user_sgpr_kernarg_preload_offset 0
		.amdhsa_user_sgpr_private_segment_size 0
		.amdhsa_uses_dynamic_stack 0
		.amdhsa_enable_private_segment 0
		.amdhsa_system_sgpr_workgroup_id_x 1
		.amdhsa_system_sgpr_workgroup_id_y 0
		.amdhsa_system_sgpr_workgroup_id_z 0
		.amdhsa_system_sgpr_workgroup_info 0
		.amdhsa_system_vgpr_workitem_id 0
		.amdhsa_next_free_vgpr 1
		.amdhsa_next_free_sgpr 0
		.amdhsa_accum_offset 4
		.amdhsa_reserve_vcc 0
		.amdhsa_float_round_mode_32 0
		.amdhsa_float_round_mode_16_64 0
		.amdhsa_float_denorm_mode_32 3
		.amdhsa_float_denorm_mode_16_64 3
		.amdhsa_dx10_clamp 1
		.amdhsa_ieee_mode 1
		.amdhsa_fp16_overflow 0
		.amdhsa_tg_split 0
		.amdhsa_exception_fp_ieee_invalid_op 0
		.amdhsa_exception_fp_denorm_src 0
		.amdhsa_exception_fp_ieee_div_zero 0
		.amdhsa_exception_fp_ieee_overflow 0
		.amdhsa_exception_fp_ieee_underflow 0
		.amdhsa_exception_fp_ieee_inexact 0
		.amdhsa_exception_int_div_zero 0
	.end_amdhsa_kernel
	.section	.text._ZN7rocprim17ROCPRIM_400000_NS6detail17trampoline_kernelINS0_14default_configENS1_35radix_sort_onesweep_config_selectorIttEEZZNS1_29radix_sort_onesweep_iterationIS3_Lb0EN6thrust23THRUST_200600_302600_NS6detail15normal_iteratorINS8_10device_ptrItEEEESD_SD_SD_jNS0_19identity_decomposerENS1_16block_id_wrapperIjLb1EEEEE10hipError_tT1_PNSt15iterator_traitsISI_E10value_typeET2_T3_PNSJ_ISO_E10value_typeET4_T5_PST_SU_PNS1_23onesweep_lookback_stateEbbT6_jjT7_P12ihipStream_tbENKUlT_T0_SI_SN_E_clISD_PtSD_S15_EEDaS11_S12_SI_SN_EUlS11_E_NS1_11comp_targetILNS1_3genE5ELNS1_11target_archE942ELNS1_3gpuE9ELNS1_3repE0EEENS1_47radix_sort_onesweep_sort_config_static_selectorELNS0_4arch9wavefront6targetE1EEEvSI_,"axG",@progbits,_ZN7rocprim17ROCPRIM_400000_NS6detail17trampoline_kernelINS0_14default_configENS1_35radix_sort_onesweep_config_selectorIttEEZZNS1_29radix_sort_onesweep_iterationIS3_Lb0EN6thrust23THRUST_200600_302600_NS6detail15normal_iteratorINS8_10device_ptrItEEEESD_SD_SD_jNS0_19identity_decomposerENS1_16block_id_wrapperIjLb1EEEEE10hipError_tT1_PNSt15iterator_traitsISI_E10value_typeET2_T3_PNSJ_ISO_E10value_typeET4_T5_PST_SU_PNS1_23onesweep_lookback_stateEbbT6_jjT7_P12ihipStream_tbENKUlT_T0_SI_SN_E_clISD_PtSD_S15_EEDaS11_S12_SI_SN_EUlS11_E_NS1_11comp_targetILNS1_3genE5ELNS1_11target_archE942ELNS1_3gpuE9ELNS1_3repE0EEENS1_47radix_sort_onesweep_sort_config_static_selectorELNS0_4arch9wavefront6targetE1EEEvSI_,comdat
.Lfunc_end985:
	.size	_ZN7rocprim17ROCPRIM_400000_NS6detail17trampoline_kernelINS0_14default_configENS1_35radix_sort_onesweep_config_selectorIttEEZZNS1_29radix_sort_onesweep_iterationIS3_Lb0EN6thrust23THRUST_200600_302600_NS6detail15normal_iteratorINS8_10device_ptrItEEEESD_SD_SD_jNS0_19identity_decomposerENS1_16block_id_wrapperIjLb1EEEEE10hipError_tT1_PNSt15iterator_traitsISI_E10value_typeET2_T3_PNSJ_ISO_E10value_typeET4_T5_PST_SU_PNS1_23onesweep_lookback_stateEbbT6_jjT7_P12ihipStream_tbENKUlT_T0_SI_SN_E_clISD_PtSD_S15_EEDaS11_S12_SI_SN_EUlS11_E_NS1_11comp_targetILNS1_3genE5ELNS1_11target_archE942ELNS1_3gpuE9ELNS1_3repE0EEENS1_47radix_sort_onesweep_sort_config_static_selectorELNS0_4arch9wavefront6targetE1EEEvSI_, .Lfunc_end985-_ZN7rocprim17ROCPRIM_400000_NS6detail17trampoline_kernelINS0_14default_configENS1_35radix_sort_onesweep_config_selectorIttEEZZNS1_29radix_sort_onesweep_iterationIS3_Lb0EN6thrust23THRUST_200600_302600_NS6detail15normal_iteratorINS8_10device_ptrItEEEESD_SD_SD_jNS0_19identity_decomposerENS1_16block_id_wrapperIjLb1EEEEE10hipError_tT1_PNSt15iterator_traitsISI_E10value_typeET2_T3_PNSJ_ISO_E10value_typeET4_T5_PST_SU_PNS1_23onesweep_lookback_stateEbbT6_jjT7_P12ihipStream_tbENKUlT_T0_SI_SN_E_clISD_PtSD_S15_EEDaS11_S12_SI_SN_EUlS11_E_NS1_11comp_targetILNS1_3genE5ELNS1_11target_archE942ELNS1_3gpuE9ELNS1_3repE0EEENS1_47radix_sort_onesweep_sort_config_static_selectorELNS0_4arch9wavefront6targetE1EEEvSI_
                                        ; -- End function
	.set _ZN7rocprim17ROCPRIM_400000_NS6detail17trampoline_kernelINS0_14default_configENS1_35radix_sort_onesweep_config_selectorIttEEZZNS1_29radix_sort_onesweep_iterationIS3_Lb0EN6thrust23THRUST_200600_302600_NS6detail15normal_iteratorINS8_10device_ptrItEEEESD_SD_SD_jNS0_19identity_decomposerENS1_16block_id_wrapperIjLb1EEEEE10hipError_tT1_PNSt15iterator_traitsISI_E10value_typeET2_T3_PNSJ_ISO_E10value_typeET4_T5_PST_SU_PNS1_23onesweep_lookback_stateEbbT6_jjT7_P12ihipStream_tbENKUlT_T0_SI_SN_E_clISD_PtSD_S15_EEDaS11_S12_SI_SN_EUlS11_E_NS1_11comp_targetILNS1_3genE5ELNS1_11target_archE942ELNS1_3gpuE9ELNS1_3repE0EEENS1_47radix_sort_onesweep_sort_config_static_selectorELNS0_4arch9wavefront6targetE1EEEvSI_.num_vgpr, 0
	.set _ZN7rocprim17ROCPRIM_400000_NS6detail17trampoline_kernelINS0_14default_configENS1_35radix_sort_onesweep_config_selectorIttEEZZNS1_29radix_sort_onesweep_iterationIS3_Lb0EN6thrust23THRUST_200600_302600_NS6detail15normal_iteratorINS8_10device_ptrItEEEESD_SD_SD_jNS0_19identity_decomposerENS1_16block_id_wrapperIjLb1EEEEE10hipError_tT1_PNSt15iterator_traitsISI_E10value_typeET2_T3_PNSJ_ISO_E10value_typeET4_T5_PST_SU_PNS1_23onesweep_lookback_stateEbbT6_jjT7_P12ihipStream_tbENKUlT_T0_SI_SN_E_clISD_PtSD_S15_EEDaS11_S12_SI_SN_EUlS11_E_NS1_11comp_targetILNS1_3genE5ELNS1_11target_archE942ELNS1_3gpuE9ELNS1_3repE0EEENS1_47radix_sort_onesweep_sort_config_static_selectorELNS0_4arch9wavefront6targetE1EEEvSI_.num_agpr, 0
	.set _ZN7rocprim17ROCPRIM_400000_NS6detail17trampoline_kernelINS0_14default_configENS1_35radix_sort_onesweep_config_selectorIttEEZZNS1_29radix_sort_onesweep_iterationIS3_Lb0EN6thrust23THRUST_200600_302600_NS6detail15normal_iteratorINS8_10device_ptrItEEEESD_SD_SD_jNS0_19identity_decomposerENS1_16block_id_wrapperIjLb1EEEEE10hipError_tT1_PNSt15iterator_traitsISI_E10value_typeET2_T3_PNSJ_ISO_E10value_typeET4_T5_PST_SU_PNS1_23onesweep_lookback_stateEbbT6_jjT7_P12ihipStream_tbENKUlT_T0_SI_SN_E_clISD_PtSD_S15_EEDaS11_S12_SI_SN_EUlS11_E_NS1_11comp_targetILNS1_3genE5ELNS1_11target_archE942ELNS1_3gpuE9ELNS1_3repE0EEENS1_47radix_sort_onesweep_sort_config_static_selectorELNS0_4arch9wavefront6targetE1EEEvSI_.numbered_sgpr, 0
	.set _ZN7rocprim17ROCPRIM_400000_NS6detail17trampoline_kernelINS0_14default_configENS1_35radix_sort_onesweep_config_selectorIttEEZZNS1_29radix_sort_onesweep_iterationIS3_Lb0EN6thrust23THRUST_200600_302600_NS6detail15normal_iteratorINS8_10device_ptrItEEEESD_SD_SD_jNS0_19identity_decomposerENS1_16block_id_wrapperIjLb1EEEEE10hipError_tT1_PNSt15iterator_traitsISI_E10value_typeET2_T3_PNSJ_ISO_E10value_typeET4_T5_PST_SU_PNS1_23onesweep_lookback_stateEbbT6_jjT7_P12ihipStream_tbENKUlT_T0_SI_SN_E_clISD_PtSD_S15_EEDaS11_S12_SI_SN_EUlS11_E_NS1_11comp_targetILNS1_3genE5ELNS1_11target_archE942ELNS1_3gpuE9ELNS1_3repE0EEENS1_47radix_sort_onesweep_sort_config_static_selectorELNS0_4arch9wavefront6targetE1EEEvSI_.num_named_barrier, 0
	.set _ZN7rocprim17ROCPRIM_400000_NS6detail17trampoline_kernelINS0_14default_configENS1_35radix_sort_onesweep_config_selectorIttEEZZNS1_29radix_sort_onesweep_iterationIS3_Lb0EN6thrust23THRUST_200600_302600_NS6detail15normal_iteratorINS8_10device_ptrItEEEESD_SD_SD_jNS0_19identity_decomposerENS1_16block_id_wrapperIjLb1EEEEE10hipError_tT1_PNSt15iterator_traitsISI_E10value_typeET2_T3_PNSJ_ISO_E10value_typeET4_T5_PST_SU_PNS1_23onesweep_lookback_stateEbbT6_jjT7_P12ihipStream_tbENKUlT_T0_SI_SN_E_clISD_PtSD_S15_EEDaS11_S12_SI_SN_EUlS11_E_NS1_11comp_targetILNS1_3genE5ELNS1_11target_archE942ELNS1_3gpuE9ELNS1_3repE0EEENS1_47radix_sort_onesweep_sort_config_static_selectorELNS0_4arch9wavefront6targetE1EEEvSI_.private_seg_size, 0
	.set _ZN7rocprim17ROCPRIM_400000_NS6detail17trampoline_kernelINS0_14default_configENS1_35radix_sort_onesweep_config_selectorIttEEZZNS1_29radix_sort_onesweep_iterationIS3_Lb0EN6thrust23THRUST_200600_302600_NS6detail15normal_iteratorINS8_10device_ptrItEEEESD_SD_SD_jNS0_19identity_decomposerENS1_16block_id_wrapperIjLb1EEEEE10hipError_tT1_PNSt15iterator_traitsISI_E10value_typeET2_T3_PNSJ_ISO_E10value_typeET4_T5_PST_SU_PNS1_23onesweep_lookback_stateEbbT6_jjT7_P12ihipStream_tbENKUlT_T0_SI_SN_E_clISD_PtSD_S15_EEDaS11_S12_SI_SN_EUlS11_E_NS1_11comp_targetILNS1_3genE5ELNS1_11target_archE942ELNS1_3gpuE9ELNS1_3repE0EEENS1_47radix_sort_onesweep_sort_config_static_selectorELNS0_4arch9wavefront6targetE1EEEvSI_.uses_vcc, 0
	.set _ZN7rocprim17ROCPRIM_400000_NS6detail17trampoline_kernelINS0_14default_configENS1_35radix_sort_onesweep_config_selectorIttEEZZNS1_29radix_sort_onesweep_iterationIS3_Lb0EN6thrust23THRUST_200600_302600_NS6detail15normal_iteratorINS8_10device_ptrItEEEESD_SD_SD_jNS0_19identity_decomposerENS1_16block_id_wrapperIjLb1EEEEE10hipError_tT1_PNSt15iterator_traitsISI_E10value_typeET2_T3_PNSJ_ISO_E10value_typeET4_T5_PST_SU_PNS1_23onesweep_lookback_stateEbbT6_jjT7_P12ihipStream_tbENKUlT_T0_SI_SN_E_clISD_PtSD_S15_EEDaS11_S12_SI_SN_EUlS11_E_NS1_11comp_targetILNS1_3genE5ELNS1_11target_archE942ELNS1_3gpuE9ELNS1_3repE0EEENS1_47radix_sort_onesweep_sort_config_static_selectorELNS0_4arch9wavefront6targetE1EEEvSI_.uses_flat_scratch, 0
	.set _ZN7rocprim17ROCPRIM_400000_NS6detail17trampoline_kernelINS0_14default_configENS1_35radix_sort_onesweep_config_selectorIttEEZZNS1_29radix_sort_onesweep_iterationIS3_Lb0EN6thrust23THRUST_200600_302600_NS6detail15normal_iteratorINS8_10device_ptrItEEEESD_SD_SD_jNS0_19identity_decomposerENS1_16block_id_wrapperIjLb1EEEEE10hipError_tT1_PNSt15iterator_traitsISI_E10value_typeET2_T3_PNSJ_ISO_E10value_typeET4_T5_PST_SU_PNS1_23onesweep_lookback_stateEbbT6_jjT7_P12ihipStream_tbENKUlT_T0_SI_SN_E_clISD_PtSD_S15_EEDaS11_S12_SI_SN_EUlS11_E_NS1_11comp_targetILNS1_3genE5ELNS1_11target_archE942ELNS1_3gpuE9ELNS1_3repE0EEENS1_47radix_sort_onesweep_sort_config_static_selectorELNS0_4arch9wavefront6targetE1EEEvSI_.has_dyn_sized_stack, 0
	.set _ZN7rocprim17ROCPRIM_400000_NS6detail17trampoline_kernelINS0_14default_configENS1_35radix_sort_onesweep_config_selectorIttEEZZNS1_29radix_sort_onesweep_iterationIS3_Lb0EN6thrust23THRUST_200600_302600_NS6detail15normal_iteratorINS8_10device_ptrItEEEESD_SD_SD_jNS0_19identity_decomposerENS1_16block_id_wrapperIjLb1EEEEE10hipError_tT1_PNSt15iterator_traitsISI_E10value_typeET2_T3_PNSJ_ISO_E10value_typeET4_T5_PST_SU_PNS1_23onesweep_lookback_stateEbbT6_jjT7_P12ihipStream_tbENKUlT_T0_SI_SN_E_clISD_PtSD_S15_EEDaS11_S12_SI_SN_EUlS11_E_NS1_11comp_targetILNS1_3genE5ELNS1_11target_archE942ELNS1_3gpuE9ELNS1_3repE0EEENS1_47radix_sort_onesweep_sort_config_static_selectorELNS0_4arch9wavefront6targetE1EEEvSI_.has_recursion, 0
	.set _ZN7rocprim17ROCPRIM_400000_NS6detail17trampoline_kernelINS0_14default_configENS1_35radix_sort_onesweep_config_selectorIttEEZZNS1_29radix_sort_onesweep_iterationIS3_Lb0EN6thrust23THRUST_200600_302600_NS6detail15normal_iteratorINS8_10device_ptrItEEEESD_SD_SD_jNS0_19identity_decomposerENS1_16block_id_wrapperIjLb1EEEEE10hipError_tT1_PNSt15iterator_traitsISI_E10value_typeET2_T3_PNSJ_ISO_E10value_typeET4_T5_PST_SU_PNS1_23onesweep_lookback_stateEbbT6_jjT7_P12ihipStream_tbENKUlT_T0_SI_SN_E_clISD_PtSD_S15_EEDaS11_S12_SI_SN_EUlS11_E_NS1_11comp_targetILNS1_3genE5ELNS1_11target_archE942ELNS1_3gpuE9ELNS1_3repE0EEENS1_47radix_sort_onesweep_sort_config_static_selectorELNS0_4arch9wavefront6targetE1EEEvSI_.has_indirect_call, 0
	.section	.AMDGPU.csdata,"",@progbits
; Kernel info:
; codeLenInByte = 0
; TotalNumSgprs: 6
; NumVgprs: 0
; NumAgprs: 0
; TotalNumVgprs: 0
; ScratchSize: 0
; MemoryBound: 0
; FloatMode: 240
; IeeeMode: 1
; LDSByteSize: 0 bytes/workgroup (compile time only)
; SGPRBlocks: 0
; VGPRBlocks: 0
; NumSGPRsForWavesPerEU: 6
; NumVGPRsForWavesPerEU: 1
; AccumOffset: 4
; Occupancy: 8
; WaveLimiterHint : 0
; COMPUTE_PGM_RSRC2:SCRATCH_EN: 0
; COMPUTE_PGM_RSRC2:USER_SGPR: 2
; COMPUTE_PGM_RSRC2:TRAP_HANDLER: 0
; COMPUTE_PGM_RSRC2:TGID_X_EN: 1
; COMPUTE_PGM_RSRC2:TGID_Y_EN: 0
; COMPUTE_PGM_RSRC2:TGID_Z_EN: 0
; COMPUTE_PGM_RSRC2:TIDIG_COMP_CNT: 0
; COMPUTE_PGM_RSRC3_GFX90A:ACCUM_OFFSET: 0
; COMPUTE_PGM_RSRC3_GFX90A:TG_SPLIT: 0
	.section	.text._ZN7rocprim17ROCPRIM_400000_NS6detail17trampoline_kernelINS0_14default_configENS1_35radix_sort_onesweep_config_selectorIttEEZZNS1_29radix_sort_onesweep_iterationIS3_Lb0EN6thrust23THRUST_200600_302600_NS6detail15normal_iteratorINS8_10device_ptrItEEEESD_SD_SD_jNS0_19identity_decomposerENS1_16block_id_wrapperIjLb1EEEEE10hipError_tT1_PNSt15iterator_traitsISI_E10value_typeET2_T3_PNSJ_ISO_E10value_typeET4_T5_PST_SU_PNS1_23onesweep_lookback_stateEbbT6_jjT7_P12ihipStream_tbENKUlT_T0_SI_SN_E_clISD_PtSD_S15_EEDaS11_S12_SI_SN_EUlS11_E_NS1_11comp_targetILNS1_3genE2ELNS1_11target_archE906ELNS1_3gpuE6ELNS1_3repE0EEENS1_47radix_sort_onesweep_sort_config_static_selectorELNS0_4arch9wavefront6targetE1EEEvSI_,"axG",@progbits,_ZN7rocprim17ROCPRIM_400000_NS6detail17trampoline_kernelINS0_14default_configENS1_35radix_sort_onesweep_config_selectorIttEEZZNS1_29radix_sort_onesweep_iterationIS3_Lb0EN6thrust23THRUST_200600_302600_NS6detail15normal_iteratorINS8_10device_ptrItEEEESD_SD_SD_jNS0_19identity_decomposerENS1_16block_id_wrapperIjLb1EEEEE10hipError_tT1_PNSt15iterator_traitsISI_E10value_typeET2_T3_PNSJ_ISO_E10value_typeET4_T5_PST_SU_PNS1_23onesweep_lookback_stateEbbT6_jjT7_P12ihipStream_tbENKUlT_T0_SI_SN_E_clISD_PtSD_S15_EEDaS11_S12_SI_SN_EUlS11_E_NS1_11comp_targetILNS1_3genE2ELNS1_11target_archE906ELNS1_3gpuE6ELNS1_3repE0EEENS1_47radix_sort_onesweep_sort_config_static_selectorELNS0_4arch9wavefront6targetE1EEEvSI_,comdat
	.protected	_ZN7rocprim17ROCPRIM_400000_NS6detail17trampoline_kernelINS0_14default_configENS1_35radix_sort_onesweep_config_selectorIttEEZZNS1_29radix_sort_onesweep_iterationIS3_Lb0EN6thrust23THRUST_200600_302600_NS6detail15normal_iteratorINS8_10device_ptrItEEEESD_SD_SD_jNS0_19identity_decomposerENS1_16block_id_wrapperIjLb1EEEEE10hipError_tT1_PNSt15iterator_traitsISI_E10value_typeET2_T3_PNSJ_ISO_E10value_typeET4_T5_PST_SU_PNS1_23onesweep_lookback_stateEbbT6_jjT7_P12ihipStream_tbENKUlT_T0_SI_SN_E_clISD_PtSD_S15_EEDaS11_S12_SI_SN_EUlS11_E_NS1_11comp_targetILNS1_3genE2ELNS1_11target_archE906ELNS1_3gpuE6ELNS1_3repE0EEENS1_47radix_sort_onesweep_sort_config_static_selectorELNS0_4arch9wavefront6targetE1EEEvSI_ ; -- Begin function _ZN7rocprim17ROCPRIM_400000_NS6detail17trampoline_kernelINS0_14default_configENS1_35radix_sort_onesweep_config_selectorIttEEZZNS1_29radix_sort_onesweep_iterationIS3_Lb0EN6thrust23THRUST_200600_302600_NS6detail15normal_iteratorINS8_10device_ptrItEEEESD_SD_SD_jNS0_19identity_decomposerENS1_16block_id_wrapperIjLb1EEEEE10hipError_tT1_PNSt15iterator_traitsISI_E10value_typeET2_T3_PNSJ_ISO_E10value_typeET4_T5_PST_SU_PNS1_23onesweep_lookback_stateEbbT6_jjT7_P12ihipStream_tbENKUlT_T0_SI_SN_E_clISD_PtSD_S15_EEDaS11_S12_SI_SN_EUlS11_E_NS1_11comp_targetILNS1_3genE2ELNS1_11target_archE906ELNS1_3gpuE6ELNS1_3repE0EEENS1_47radix_sort_onesweep_sort_config_static_selectorELNS0_4arch9wavefront6targetE1EEEvSI_
	.globl	_ZN7rocprim17ROCPRIM_400000_NS6detail17trampoline_kernelINS0_14default_configENS1_35radix_sort_onesweep_config_selectorIttEEZZNS1_29radix_sort_onesweep_iterationIS3_Lb0EN6thrust23THRUST_200600_302600_NS6detail15normal_iteratorINS8_10device_ptrItEEEESD_SD_SD_jNS0_19identity_decomposerENS1_16block_id_wrapperIjLb1EEEEE10hipError_tT1_PNSt15iterator_traitsISI_E10value_typeET2_T3_PNSJ_ISO_E10value_typeET4_T5_PST_SU_PNS1_23onesweep_lookback_stateEbbT6_jjT7_P12ihipStream_tbENKUlT_T0_SI_SN_E_clISD_PtSD_S15_EEDaS11_S12_SI_SN_EUlS11_E_NS1_11comp_targetILNS1_3genE2ELNS1_11target_archE906ELNS1_3gpuE6ELNS1_3repE0EEENS1_47radix_sort_onesweep_sort_config_static_selectorELNS0_4arch9wavefront6targetE1EEEvSI_
	.p2align	8
	.type	_ZN7rocprim17ROCPRIM_400000_NS6detail17trampoline_kernelINS0_14default_configENS1_35radix_sort_onesweep_config_selectorIttEEZZNS1_29radix_sort_onesweep_iterationIS3_Lb0EN6thrust23THRUST_200600_302600_NS6detail15normal_iteratorINS8_10device_ptrItEEEESD_SD_SD_jNS0_19identity_decomposerENS1_16block_id_wrapperIjLb1EEEEE10hipError_tT1_PNSt15iterator_traitsISI_E10value_typeET2_T3_PNSJ_ISO_E10value_typeET4_T5_PST_SU_PNS1_23onesweep_lookback_stateEbbT6_jjT7_P12ihipStream_tbENKUlT_T0_SI_SN_E_clISD_PtSD_S15_EEDaS11_S12_SI_SN_EUlS11_E_NS1_11comp_targetILNS1_3genE2ELNS1_11target_archE906ELNS1_3gpuE6ELNS1_3repE0EEENS1_47radix_sort_onesweep_sort_config_static_selectorELNS0_4arch9wavefront6targetE1EEEvSI_,@function
_ZN7rocprim17ROCPRIM_400000_NS6detail17trampoline_kernelINS0_14default_configENS1_35radix_sort_onesweep_config_selectorIttEEZZNS1_29radix_sort_onesweep_iterationIS3_Lb0EN6thrust23THRUST_200600_302600_NS6detail15normal_iteratorINS8_10device_ptrItEEEESD_SD_SD_jNS0_19identity_decomposerENS1_16block_id_wrapperIjLb1EEEEE10hipError_tT1_PNSt15iterator_traitsISI_E10value_typeET2_T3_PNSJ_ISO_E10value_typeET4_T5_PST_SU_PNS1_23onesweep_lookback_stateEbbT6_jjT7_P12ihipStream_tbENKUlT_T0_SI_SN_E_clISD_PtSD_S15_EEDaS11_S12_SI_SN_EUlS11_E_NS1_11comp_targetILNS1_3genE2ELNS1_11target_archE906ELNS1_3gpuE6ELNS1_3repE0EEENS1_47radix_sort_onesweep_sort_config_static_selectorELNS0_4arch9wavefront6targetE1EEEvSI_: ; @_ZN7rocprim17ROCPRIM_400000_NS6detail17trampoline_kernelINS0_14default_configENS1_35radix_sort_onesweep_config_selectorIttEEZZNS1_29radix_sort_onesweep_iterationIS3_Lb0EN6thrust23THRUST_200600_302600_NS6detail15normal_iteratorINS8_10device_ptrItEEEESD_SD_SD_jNS0_19identity_decomposerENS1_16block_id_wrapperIjLb1EEEEE10hipError_tT1_PNSt15iterator_traitsISI_E10value_typeET2_T3_PNSJ_ISO_E10value_typeET4_T5_PST_SU_PNS1_23onesweep_lookback_stateEbbT6_jjT7_P12ihipStream_tbENKUlT_T0_SI_SN_E_clISD_PtSD_S15_EEDaS11_S12_SI_SN_EUlS11_E_NS1_11comp_targetILNS1_3genE2ELNS1_11target_archE906ELNS1_3gpuE6ELNS1_3repE0EEENS1_47radix_sort_onesweep_sort_config_static_selectorELNS0_4arch9wavefront6targetE1EEEvSI_
; %bb.0:
	.section	.rodata,"a",@progbits
	.p2align	6, 0x0
	.amdhsa_kernel _ZN7rocprim17ROCPRIM_400000_NS6detail17trampoline_kernelINS0_14default_configENS1_35radix_sort_onesweep_config_selectorIttEEZZNS1_29radix_sort_onesweep_iterationIS3_Lb0EN6thrust23THRUST_200600_302600_NS6detail15normal_iteratorINS8_10device_ptrItEEEESD_SD_SD_jNS0_19identity_decomposerENS1_16block_id_wrapperIjLb1EEEEE10hipError_tT1_PNSt15iterator_traitsISI_E10value_typeET2_T3_PNSJ_ISO_E10value_typeET4_T5_PST_SU_PNS1_23onesweep_lookback_stateEbbT6_jjT7_P12ihipStream_tbENKUlT_T0_SI_SN_E_clISD_PtSD_S15_EEDaS11_S12_SI_SN_EUlS11_E_NS1_11comp_targetILNS1_3genE2ELNS1_11target_archE906ELNS1_3gpuE6ELNS1_3repE0EEENS1_47radix_sort_onesweep_sort_config_static_selectorELNS0_4arch9wavefront6targetE1EEEvSI_
		.amdhsa_group_segment_fixed_size 0
		.amdhsa_private_segment_fixed_size 0
		.amdhsa_kernarg_size 88
		.amdhsa_user_sgpr_count 2
		.amdhsa_user_sgpr_dispatch_ptr 0
		.amdhsa_user_sgpr_queue_ptr 0
		.amdhsa_user_sgpr_kernarg_segment_ptr 1
		.amdhsa_user_sgpr_dispatch_id 0
		.amdhsa_user_sgpr_kernarg_preload_length 0
		.amdhsa_user_sgpr_kernarg_preload_offset 0
		.amdhsa_user_sgpr_private_segment_size 0
		.amdhsa_uses_dynamic_stack 0
		.amdhsa_enable_private_segment 0
		.amdhsa_system_sgpr_workgroup_id_x 1
		.amdhsa_system_sgpr_workgroup_id_y 0
		.amdhsa_system_sgpr_workgroup_id_z 0
		.amdhsa_system_sgpr_workgroup_info 0
		.amdhsa_system_vgpr_workitem_id 0
		.amdhsa_next_free_vgpr 1
		.amdhsa_next_free_sgpr 0
		.amdhsa_accum_offset 4
		.amdhsa_reserve_vcc 0
		.amdhsa_float_round_mode_32 0
		.amdhsa_float_round_mode_16_64 0
		.amdhsa_float_denorm_mode_32 3
		.amdhsa_float_denorm_mode_16_64 3
		.amdhsa_dx10_clamp 1
		.amdhsa_ieee_mode 1
		.amdhsa_fp16_overflow 0
		.amdhsa_tg_split 0
		.amdhsa_exception_fp_ieee_invalid_op 0
		.amdhsa_exception_fp_denorm_src 0
		.amdhsa_exception_fp_ieee_div_zero 0
		.amdhsa_exception_fp_ieee_overflow 0
		.amdhsa_exception_fp_ieee_underflow 0
		.amdhsa_exception_fp_ieee_inexact 0
		.amdhsa_exception_int_div_zero 0
	.end_amdhsa_kernel
	.section	.text._ZN7rocprim17ROCPRIM_400000_NS6detail17trampoline_kernelINS0_14default_configENS1_35radix_sort_onesweep_config_selectorIttEEZZNS1_29radix_sort_onesweep_iterationIS3_Lb0EN6thrust23THRUST_200600_302600_NS6detail15normal_iteratorINS8_10device_ptrItEEEESD_SD_SD_jNS0_19identity_decomposerENS1_16block_id_wrapperIjLb1EEEEE10hipError_tT1_PNSt15iterator_traitsISI_E10value_typeET2_T3_PNSJ_ISO_E10value_typeET4_T5_PST_SU_PNS1_23onesweep_lookback_stateEbbT6_jjT7_P12ihipStream_tbENKUlT_T0_SI_SN_E_clISD_PtSD_S15_EEDaS11_S12_SI_SN_EUlS11_E_NS1_11comp_targetILNS1_3genE2ELNS1_11target_archE906ELNS1_3gpuE6ELNS1_3repE0EEENS1_47radix_sort_onesweep_sort_config_static_selectorELNS0_4arch9wavefront6targetE1EEEvSI_,"axG",@progbits,_ZN7rocprim17ROCPRIM_400000_NS6detail17trampoline_kernelINS0_14default_configENS1_35radix_sort_onesweep_config_selectorIttEEZZNS1_29radix_sort_onesweep_iterationIS3_Lb0EN6thrust23THRUST_200600_302600_NS6detail15normal_iteratorINS8_10device_ptrItEEEESD_SD_SD_jNS0_19identity_decomposerENS1_16block_id_wrapperIjLb1EEEEE10hipError_tT1_PNSt15iterator_traitsISI_E10value_typeET2_T3_PNSJ_ISO_E10value_typeET4_T5_PST_SU_PNS1_23onesweep_lookback_stateEbbT6_jjT7_P12ihipStream_tbENKUlT_T0_SI_SN_E_clISD_PtSD_S15_EEDaS11_S12_SI_SN_EUlS11_E_NS1_11comp_targetILNS1_3genE2ELNS1_11target_archE906ELNS1_3gpuE6ELNS1_3repE0EEENS1_47radix_sort_onesweep_sort_config_static_selectorELNS0_4arch9wavefront6targetE1EEEvSI_,comdat
.Lfunc_end986:
	.size	_ZN7rocprim17ROCPRIM_400000_NS6detail17trampoline_kernelINS0_14default_configENS1_35radix_sort_onesweep_config_selectorIttEEZZNS1_29radix_sort_onesweep_iterationIS3_Lb0EN6thrust23THRUST_200600_302600_NS6detail15normal_iteratorINS8_10device_ptrItEEEESD_SD_SD_jNS0_19identity_decomposerENS1_16block_id_wrapperIjLb1EEEEE10hipError_tT1_PNSt15iterator_traitsISI_E10value_typeET2_T3_PNSJ_ISO_E10value_typeET4_T5_PST_SU_PNS1_23onesweep_lookback_stateEbbT6_jjT7_P12ihipStream_tbENKUlT_T0_SI_SN_E_clISD_PtSD_S15_EEDaS11_S12_SI_SN_EUlS11_E_NS1_11comp_targetILNS1_3genE2ELNS1_11target_archE906ELNS1_3gpuE6ELNS1_3repE0EEENS1_47radix_sort_onesweep_sort_config_static_selectorELNS0_4arch9wavefront6targetE1EEEvSI_, .Lfunc_end986-_ZN7rocprim17ROCPRIM_400000_NS6detail17trampoline_kernelINS0_14default_configENS1_35radix_sort_onesweep_config_selectorIttEEZZNS1_29radix_sort_onesweep_iterationIS3_Lb0EN6thrust23THRUST_200600_302600_NS6detail15normal_iteratorINS8_10device_ptrItEEEESD_SD_SD_jNS0_19identity_decomposerENS1_16block_id_wrapperIjLb1EEEEE10hipError_tT1_PNSt15iterator_traitsISI_E10value_typeET2_T3_PNSJ_ISO_E10value_typeET4_T5_PST_SU_PNS1_23onesweep_lookback_stateEbbT6_jjT7_P12ihipStream_tbENKUlT_T0_SI_SN_E_clISD_PtSD_S15_EEDaS11_S12_SI_SN_EUlS11_E_NS1_11comp_targetILNS1_3genE2ELNS1_11target_archE906ELNS1_3gpuE6ELNS1_3repE0EEENS1_47radix_sort_onesweep_sort_config_static_selectorELNS0_4arch9wavefront6targetE1EEEvSI_
                                        ; -- End function
	.set _ZN7rocprim17ROCPRIM_400000_NS6detail17trampoline_kernelINS0_14default_configENS1_35radix_sort_onesweep_config_selectorIttEEZZNS1_29radix_sort_onesweep_iterationIS3_Lb0EN6thrust23THRUST_200600_302600_NS6detail15normal_iteratorINS8_10device_ptrItEEEESD_SD_SD_jNS0_19identity_decomposerENS1_16block_id_wrapperIjLb1EEEEE10hipError_tT1_PNSt15iterator_traitsISI_E10value_typeET2_T3_PNSJ_ISO_E10value_typeET4_T5_PST_SU_PNS1_23onesweep_lookback_stateEbbT6_jjT7_P12ihipStream_tbENKUlT_T0_SI_SN_E_clISD_PtSD_S15_EEDaS11_S12_SI_SN_EUlS11_E_NS1_11comp_targetILNS1_3genE2ELNS1_11target_archE906ELNS1_3gpuE6ELNS1_3repE0EEENS1_47radix_sort_onesweep_sort_config_static_selectorELNS0_4arch9wavefront6targetE1EEEvSI_.num_vgpr, 0
	.set _ZN7rocprim17ROCPRIM_400000_NS6detail17trampoline_kernelINS0_14default_configENS1_35radix_sort_onesweep_config_selectorIttEEZZNS1_29radix_sort_onesweep_iterationIS3_Lb0EN6thrust23THRUST_200600_302600_NS6detail15normal_iteratorINS8_10device_ptrItEEEESD_SD_SD_jNS0_19identity_decomposerENS1_16block_id_wrapperIjLb1EEEEE10hipError_tT1_PNSt15iterator_traitsISI_E10value_typeET2_T3_PNSJ_ISO_E10value_typeET4_T5_PST_SU_PNS1_23onesweep_lookback_stateEbbT6_jjT7_P12ihipStream_tbENKUlT_T0_SI_SN_E_clISD_PtSD_S15_EEDaS11_S12_SI_SN_EUlS11_E_NS1_11comp_targetILNS1_3genE2ELNS1_11target_archE906ELNS1_3gpuE6ELNS1_3repE0EEENS1_47radix_sort_onesweep_sort_config_static_selectorELNS0_4arch9wavefront6targetE1EEEvSI_.num_agpr, 0
	.set _ZN7rocprim17ROCPRIM_400000_NS6detail17trampoline_kernelINS0_14default_configENS1_35radix_sort_onesweep_config_selectorIttEEZZNS1_29radix_sort_onesweep_iterationIS3_Lb0EN6thrust23THRUST_200600_302600_NS6detail15normal_iteratorINS8_10device_ptrItEEEESD_SD_SD_jNS0_19identity_decomposerENS1_16block_id_wrapperIjLb1EEEEE10hipError_tT1_PNSt15iterator_traitsISI_E10value_typeET2_T3_PNSJ_ISO_E10value_typeET4_T5_PST_SU_PNS1_23onesweep_lookback_stateEbbT6_jjT7_P12ihipStream_tbENKUlT_T0_SI_SN_E_clISD_PtSD_S15_EEDaS11_S12_SI_SN_EUlS11_E_NS1_11comp_targetILNS1_3genE2ELNS1_11target_archE906ELNS1_3gpuE6ELNS1_3repE0EEENS1_47radix_sort_onesweep_sort_config_static_selectorELNS0_4arch9wavefront6targetE1EEEvSI_.numbered_sgpr, 0
	.set _ZN7rocprim17ROCPRIM_400000_NS6detail17trampoline_kernelINS0_14default_configENS1_35radix_sort_onesweep_config_selectorIttEEZZNS1_29radix_sort_onesweep_iterationIS3_Lb0EN6thrust23THRUST_200600_302600_NS6detail15normal_iteratorINS8_10device_ptrItEEEESD_SD_SD_jNS0_19identity_decomposerENS1_16block_id_wrapperIjLb1EEEEE10hipError_tT1_PNSt15iterator_traitsISI_E10value_typeET2_T3_PNSJ_ISO_E10value_typeET4_T5_PST_SU_PNS1_23onesweep_lookback_stateEbbT6_jjT7_P12ihipStream_tbENKUlT_T0_SI_SN_E_clISD_PtSD_S15_EEDaS11_S12_SI_SN_EUlS11_E_NS1_11comp_targetILNS1_3genE2ELNS1_11target_archE906ELNS1_3gpuE6ELNS1_3repE0EEENS1_47radix_sort_onesweep_sort_config_static_selectorELNS0_4arch9wavefront6targetE1EEEvSI_.num_named_barrier, 0
	.set _ZN7rocprim17ROCPRIM_400000_NS6detail17trampoline_kernelINS0_14default_configENS1_35radix_sort_onesweep_config_selectorIttEEZZNS1_29radix_sort_onesweep_iterationIS3_Lb0EN6thrust23THRUST_200600_302600_NS6detail15normal_iteratorINS8_10device_ptrItEEEESD_SD_SD_jNS0_19identity_decomposerENS1_16block_id_wrapperIjLb1EEEEE10hipError_tT1_PNSt15iterator_traitsISI_E10value_typeET2_T3_PNSJ_ISO_E10value_typeET4_T5_PST_SU_PNS1_23onesweep_lookback_stateEbbT6_jjT7_P12ihipStream_tbENKUlT_T0_SI_SN_E_clISD_PtSD_S15_EEDaS11_S12_SI_SN_EUlS11_E_NS1_11comp_targetILNS1_3genE2ELNS1_11target_archE906ELNS1_3gpuE6ELNS1_3repE0EEENS1_47radix_sort_onesweep_sort_config_static_selectorELNS0_4arch9wavefront6targetE1EEEvSI_.private_seg_size, 0
	.set _ZN7rocprim17ROCPRIM_400000_NS6detail17trampoline_kernelINS0_14default_configENS1_35radix_sort_onesweep_config_selectorIttEEZZNS1_29radix_sort_onesweep_iterationIS3_Lb0EN6thrust23THRUST_200600_302600_NS6detail15normal_iteratorINS8_10device_ptrItEEEESD_SD_SD_jNS0_19identity_decomposerENS1_16block_id_wrapperIjLb1EEEEE10hipError_tT1_PNSt15iterator_traitsISI_E10value_typeET2_T3_PNSJ_ISO_E10value_typeET4_T5_PST_SU_PNS1_23onesweep_lookback_stateEbbT6_jjT7_P12ihipStream_tbENKUlT_T0_SI_SN_E_clISD_PtSD_S15_EEDaS11_S12_SI_SN_EUlS11_E_NS1_11comp_targetILNS1_3genE2ELNS1_11target_archE906ELNS1_3gpuE6ELNS1_3repE0EEENS1_47radix_sort_onesweep_sort_config_static_selectorELNS0_4arch9wavefront6targetE1EEEvSI_.uses_vcc, 0
	.set _ZN7rocprim17ROCPRIM_400000_NS6detail17trampoline_kernelINS0_14default_configENS1_35radix_sort_onesweep_config_selectorIttEEZZNS1_29radix_sort_onesweep_iterationIS3_Lb0EN6thrust23THRUST_200600_302600_NS6detail15normal_iteratorINS8_10device_ptrItEEEESD_SD_SD_jNS0_19identity_decomposerENS1_16block_id_wrapperIjLb1EEEEE10hipError_tT1_PNSt15iterator_traitsISI_E10value_typeET2_T3_PNSJ_ISO_E10value_typeET4_T5_PST_SU_PNS1_23onesweep_lookback_stateEbbT6_jjT7_P12ihipStream_tbENKUlT_T0_SI_SN_E_clISD_PtSD_S15_EEDaS11_S12_SI_SN_EUlS11_E_NS1_11comp_targetILNS1_3genE2ELNS1_11target_archE906ELNS1_3gpuE6ELNS1_3repE0EEENS1_47radix_sort_onesweep_sort_config_static_selectorELNS0_4arch9wavefront6targetE1EEEvSI_.uses_flat_scratch, 0
	.set _ZN7rocprim17ROCPRIM_400000_NS6detail17trampoline_kernelINS0_14default_configENS1_35radix_sort_onesweep_config_selectorIttEEZZNS1_29radix_sort_onesweep_iterationIS3_Lb0EN6thrust23THRUST_200600_302600_NS6detail15normal_iteratorINS8_10device_ptrItEEEESD_SD_SD_jNS0_19identity_decomposerENS1_16block_id_wrapperIjLb1EEEEE10hipError_tT1_PNSt15iterator_traitsISI_E10value_typeET2_T3_PNSJ_ISO_E10value_typeET4_T5_PST_SU_PNS1_23onesweep_lookback_stateEbbT6_jjT7_P12ihipStream_tbENKUlT_T0_SI_SN_E_clISD_PtSD_S15_EEDaS11_S12_SI_SN_EUlS11_E_NS1_11comp_targetILNS1_3genE2ELNS1_11target_archE906ELNS1_3gpuE6ELNS1_3repE0EEENS1_47radix_sort_onesweep_sort_config_static_selectorELNS0_4arch9wavefront6targetE1EEEvSI_.has_dyn_sized_stack, 0
	.set _ZN7rocprim17ROCPRIM_400000_NS6detail17trampoline_kernelINS0_14default_configENS1_35radix_sort_onesweep_config_selectorIttEEZZNS1_29radix_sort_onesweep_iterationIS3_Lb0EN6thrust23THRUST_200600_302600_NS6detail15normal_iteratorINS8_10device_ptrItEEEESD_SD_SD_jNS0_19identity_decomposerENS1_16block_id_wrapperIjLb1EEEEE10hipError_tT1_PNSt15iterator_traitsISI_E10value_typeET2_T3_PNSJ_ISO_E10value_typeET4_T5_PST_SU_PNS1_23onesweep_lookback_stateEbbT6_jjT7_P12ihipStream_tbENKUlT_T0_SI_SN_E_clISD_PtSD_S15_EEDaS11_S12_SI_SN_EUlS11_E_NS1_11comp_targetILNS1_3genE2ELNS1_11target_archE906ELNS1_3gpuE6ELNS1_3repE0EEENS1_47radix_sort_onesweep_sort_config_static_selectorELNS0_4arch9wavefront6targetE1EEEvSI_.has_recursion, 0
	.set _ZN7rocprim17ROCPRIM_400000_NS6detail17trampoline_kernelINS0_14default_configENS1_35radix_sort_onesweep_config_selectorIttEEZZNS1_29radix_sort_onesweep_iterationIS3_Lb0EN6thrust23THRUST_200600_302600_NS6detail15normal_iteratorINS8_10device_ptrItEEEESD_SD_SD_jNS0_19identity_decomposerENS1_16block_id_wrapperIjLb1EEEEE10hipError_tT1_PNSt15iterator_traitsISI_E10value_typeET2_T3_PNSJ_ISO_E10value_typeET4_T5_PST_SU_PNS1_23onesweep_lookback_stateEbbT6_jjT7_P12ihipStream_tbENKUlT_T0_SI_SN_E_clISD_PtSD_S15_EEDaS11_S12_SI_SN_EUlS11_E_NS1_11comp_targetILNS1_3genE2ELNS1_11target_archE906ELNS1_3gpuE6ELNS1_3repE0EEENS1_47radix_sort_onesweep_sort_config_static_selectorELNS0_4arch9wavefront6targetE1EEEvSI_.has_indirect_call, 0
	.section	.AMDGPU.csdata,"",@progbits
; Kernel info:
; codeLenInByte = 0
; TotalNumSgprs: 6
; NumVgprs: 0
; NumAgprs: 0
; TotalNumVgprs: 0
; ScratchSize: 0
; MemoryBound: 0
; FloatMode: 240
; IeeeMode: 1
; LDSByteSize: 0 bytes/workgroup (compile time only)
; SGPRBlocks: 0
; VGPRBlocks: 0
; NumSGPRsForWavesPerEU: 6
; NumVGPRsForWavesPerEU: 1
; AccumOffset: 4
; Occupancy: 8
; WaveLimiterHint : 0
; COMPUTE_PGM_RSRC2:SCRATCH_EN: 0
; COMPUTE_PGM_RSRC2:USER_SGPR: 2
; COMPUTE_PGM_RSRC2:TRAP_HANDLER: 0
; COMPUTE_PGM_RSRC2:TGID_X_EN: 1
; COMPUTE_PGM_RSRC2:TGID_Y_EN: 0
; COMPUTE_PGM_RSRC2:TGID_Z_EN: 0
; COMPUTE_PGM_RSRC2:TIDIG_COMP_CNT: 0
; COMPUTE_PGM_RSRC3_GFX90A:ACCUM_OFFSET: 0
; COMPUTE_PGM_RSRC3_GFX90A:TG_SPLIT: 0
	.section	.text._ZN7rocprim17ROCPRIM_400000_NS6detail17trampoline_kernelINS0_14default_configENS1_35radix_sort_onesweep_config_selectorIttEEZZNS1_29radix_sort_onesweep_iterationIS3_Lb0EN6thrust23THRUST_200600_302600_NS6detail15normal_iteratorINS8_10device_ptrItEEEESD_SD_SD_jNS0_19identity_decomposerENS1_16block_id_wrapperIjLb1EEEEE10hipError_tT1_PNSt15iterator_traitsISI_E10value_typeET2_T3_PNSJ_ISO_E10value_typeET4_T5_PST_SU_PNS1_23onesweep_lookback_stateEbbT6_jjT7_P12ihipStream_tbENKUlT_T0_SI_SN_E_clISD_PtSD_S15_EEDaS11_S12_SI_SN_EUlS11_E_NS1_11comp_targetILNS1_3genE4ELNS1_11target_archE910ELNS1_3gpuE8ELNS1_3repE0EEENS1_47radix_sort_onesweep_sort_config_static_selectorELNS0_4arch9wavefront6targetE1EEEvSI_,"axG",@progbits,_ZN7rocprim17ROCPRIM_400000_NS6detail17trampoline_kernelINS0_14default_configENS1_35radix_sort_onesweep_config_selectorIttEEZZNS1_29radix_sort_onesweep_iterationIS3_Lb0EN6thrust23THRUST_200600_302600_NS6detail15normal_iteratorINS8_10device_ptrItEEEESD_SD_SD_jNS0_19identity_decomposerENS1_16block_id_wrapperIjLb1EEEEE10hipError_tT1_PNSt15iterator_traitsISI_E10value_typeET2_T3_PNSJ_ISO_E10value_typeET4_T5_PST_SU_PNS1_23onesweep_lookback_stateEbbT6_jjT7_P12ihipStream_tbENKUlT_T0_SI_SN_E_clISD_PtSD_S15_EEDaS11_S12_SI_SN_EUlS11_E_NS1_11comp_targetILNS1_3genE4ELNS1_11target_archE910ELNS1_3gpuE8ELNS1_3repE0EEENS1_47radix_sort_onesweep_sort_config_static_selectorELNS0_4arch9wavefront6targetE1EEEvSI_,comdat
	.protected	_ZN7rocprim17ROCPRIM_400000_NS6detail17trampoline_kernelINS0_14default_configENS1_35radix_sort_onesweep_config_selectorIttEEZZNS1_29radix_sort_onesweep_iterationIS3_Lb0EN6thrust23THRUST_200600_302600_NS6detail15normal_iteratorINS8_10device_ptrItEEEESD_SD_SD_jNS0_19identity_decomposerENS1_16block_id_wrapperIjLb1EEEEE10hipError_tT1_PNSt15iterator_traitsISI_E10value_typeET2_T3_PNSJ_ISO_E10value_typeET4_T5_PST_SU_PNS1_23onesweep_lookback_stateEbbT6_jjT7_P12ihipStream_tbENKUlT_T0_SI_SN_E_clISD_PtSD_S15_EEDaS11_S12_SI_SN_EUlS11_E_NS1_11comp_targetILNS1_3genE4ELNS1_11target_archE910ELNS1_3gpuE8ELNS1_3repE0EEENS1_47radix_sort_onesweep_sort_config_static_selectorELNS0_4arch9wavefront6targetE1EEEvSI_ ; -- Begin function _ZN7rocprim17ROCPRIM_400000_NS6detail17trampoline_kernelINS0_14default_configENS1_35radix_sort_onesweep_config_selectorIttEEZZNS1_29radix_sort_onesweep_iterationIS3_Lb0EN6thrust23THRUST_200600_302600_NS6detail15normal_iteratorINS8_10device_ptrItEEEESD_SD_SD_jNS0_19identity_decomposerENS1_16block_id_wrapperIjLb1EEEEE10hipError_tT1_PNSt15iterator_traitsISI_E10value_typeET2_T3_PNSJ_ISO_E10value_typeET4_T5_PST_SU_PNS1_23onesweep_lookback_stateEbbT6_jjT7_P12ihipStream_tbENKUlT_T0_SI_SN_E_clISD_PtSD_S15_EEDaS11_S12_SI_SN_EUlS11_E_NS1_11comp_targetILNS1_3genE4ELNS1_11target_archE910ELNS1_3gpuE8ELNS1_3repE0EEENS1_47radix_sort_onesweep_sort_config_static_selectorELNS0_4arch9wavefront6targetE1EEEvSI_
	.globl	_ZN7rocprim17ROCPRIM_400000_NS6detail17trampoline_kernelINS0_14default_configENS1_35radix_sort_onesweep_config_selectorIttEEZZNS1_29radix_sort_onesweep_iterationIS3_Lb0EN6thrust23THRUST_200600_302600_NS6detail15normal_iteratorINS8_10device_ptrItEEEESD_SD_SD_jNS0_19identity_decomposerENS1_16block_id_wrapperIjLb1EEEEE10hipError_tT1_PNSt15iterator_traitsISI_E10value_typeET2_T3_PNSJ_ISO_E10value_typeET4_T5_PST_SU_PNS1_23onesweep_lookback_stateEbbT6_jjT7_P12ihipStream_tbENKUlT_T0_SI_SN_E_clISD_PtSD_S15_EEDaS11_S12_SI_SN_EUlS11_E_NS1_11comp_targetILNS1_3genE4ELNS1_11target_archE910ELNS1_3gpuE8ELNS1_3repE0EEENS1_47radix_sort_onesweep_sort_config_static_selectorELNS0_4arch9wavefront6targetE1EEEvSI_
	.p2align	8
	.type	_ZN7rocprim17ROCPRIM_400000_NS6detail17trampoline_kernelINS0_14default_configENS1_35radix_sort_onesweep_config_selectorIttEEZZNS1_29radix_sort_onesweep_iterationIS3_Lb0EN6thrust23THRUST_200600_302600_NS6detail15normal_iteratorINS8_10device_ptrItEEEESD_SD_SD_jNS0_19identity_decomposerENS1_16block_id_wrapperIjLb1EEEEE10hipError_tT1_PNSt15iterator_traitsISI_E10value_typeET2_T3_PNSJ_ISO_E10value_typeET4_T5_PST_SU_PNS1_23onesweep_lookback_stateEbbT6_jjT7_P12ihipStream_tbENKUlT_T0_SI_SN_E_clISD_PtSD_S15_EEDaS11_S12_SI_SN_EUlS11_E_NS1_11comp_targetILNS1_3genE4ELNS1_11target_archE910ELNS1_3gpuE8ELNS1_3repE0EEENS1_47radix_sort_onesweep_sort_config_static_selectorELNS0_4arch9wavefront6targetE1EEEvSI_,@function
_ZN7rocprim17ROCPRIM_400000_NS6detail17trampoline_kernelINS0_14default_configENS1_35radix_sort_onesweep_config_selectorIttEEZZNS1_29radix_sort_onesweep_iterationIS3_Lb0EN6thrust23THRUST_200600_302600_NS6detail15normal_iteratorINS8_10device_ptrItEEEESD_SD_SD_jNS0_19identity_decomposerENS1_16block_id_wrapperIjLb1EEEEE10hipError_tT1_PNSt15iterator_traitsISI_E10value_typeET2_T3_PNSJ_ISO_E10value_typeET4_T5_PST_SU_PNS1_23onesweep_lookback_stateEbbT6_jjT7_P12ihipStream_tbENKUlT_T0_SI_SN_E_clISD_PtSD_S15_EEDaS11_S12_SI_SN_EUlS11_E_NS1_11comp_targetILNS1_3genE4ELNS1_11target_archE910ELNS1_3gpuE8ELNS1_3repE0EEENS1_47radix_sort_onesweep_sort_config_static_selectorELNS0_4arch9wavefront6targetE1EEEvSI_: ; @_ZN7rocprim17ROCPRIM_400000_NS6detail17trampoline_kernelINS0_14default_configENS1_35radix_sort_onesweep_config_selectorIttEEZZNS1_29radix_sort_onesweep_iterationIS3_Lb0EN6thrust23THRUST_200600_302600_NS6detail15normal_iteratorINS8_10device_ptrItEEEESD_SD_SD_jNS0_19identity_decomposerENS1_16block_id_wrapperIjLb1EEEEE10hipError_tT1_PNSt15iterator_traitsISI_E10value_typeET2_T3_PNSJ_ISO_E10value_typeET4_T5_PST_SU_PNS1_23onesweep_lookback_stateEbbT6_jjT7_P12ihipStream_tbENKUlT_T0_SI_SN_E_clISD_PtSD_S15_EEDaS11_S12_SI_SN_EUlS11_E_NS1_11comp_targetILNS1_3genE4ELNS1_11target_archE910ELNS1_3gpuE8ELNS1_3repE0EEENS1_47radix_sort_onesweep_sort_config_static_selectorELNS0_4arch9wavefront6targetE1EEEvSI_
; %bb.0:
	.section	.rodata,"a",@progbits
	.p2align	6, 0x0
	.amdhsa_kernel _ZN7rocprim17ROCPRIM_400000_NS6detail17trampoline_kernelINS0_14default_configENS1_35radix_sort_onesweep_config_selectorIttEEZZNS1_29radix_sort_onesweep_iterationIS3_Lb0EN6thrust23THRUST_200600_302600_NS6detail15normal_iteratorINS8_10device_ptrItEEEESD_SD_SD_jNS0_19identity_decomposerENS1_16block_id_wrapperIjLb1EEEEE10hipError_tT1_PNSt15iterator_traitsISI_E10value_typeET2_T3_PNSJ_ISO_E10value_typeET4_T5_PST_SU_PNS1_23onesweep_lookback_stateEbbT6_jjT7_P12ihipStream_tbENKUlT_T0_SI_SN_E_clISD_PtSD_S15_EEDaS11_S12_SI_SN_EUlS11_E_NS1_11comp_targetILNS1_3genE4ELNS1_11target_archE910ELNS1_3gpuE8ELNS1_3repE0EEENS1_47radix_sort_onesweep_sort_config_static_selectorELNS0_4arch9wavefront6targetE1EEEvSI_
		.amdhsa_group_segment_fixed_size 0
		.amdhsa_private_segment_fixed_size 0
		.amdhsa_kernarg_size 88
		.amdhsa_user_sgpr_count 2
		.amdhsa_user_sgpr_dispatch_ptr 0
		.amdhsa_user_sgpr_queue_ptr 0
		.amdhsa_user_sgpr_kernarg_segment_ptr 1
		.amdhsa_user_sgpr_dispatch_id 0
		.amdhsa_user_sgpr_kernarg_preload_length 0
		.amdhsa_user_sgpr_kernarg_preload_offset 0
		.amdhsa_user_sgpr_private_segment_size 0
		.amdhsa_uses_dynamic_stack 0
		.amdhsa_enable_private_segment 0
		.amdhsa_system_sgpr_workgroup_id_x 1
		.amdhsa_system_sgpr_workgroup_id_y 0
		.amdhsa_system_sgpr_workgroup_id_z 0
		.amdhsa_system_sgpr_workgroup_info 0
		.amdhsa_system_vgpr_workitem_id 0
		.amdhsa_next_free_vgpr 1
		.amdhsa_next_free_sgpr 0
		.amdhsa_accum_offset 4
		.amdhsa_reserve_vcc 0
		.amdhsa_float_round_mode_32 0
		.amdhsa_float_round_mode_16_64 0
		.amdhsa_float_denorm_mode_32 3
		.amdhsa_float_denorm_mode_16_64 3
		.amdhsa_dx10_clamp 1
		.amdhsa_ieee_mode 1
		.amdhsa_fp16_overflow 0
		.amdhsa_tg_split 0
		.amdhsa_exception_fp_ieee_invalid_op 0
		.amdhsa_exception_fp_denorm_src 0
		.amdhsa_exception_fp_ieee_div_zero 0
		.amdhsa_exception_fp_ieee_overflow 0
		.amdhsa_exception_fp_ieee_underflow 0
		.amdhsa_exception_fp_ieee_inexact 0
		.amdhsa_exception_int_div_zero 0
	.end_amdhsa_kernel
	.section	.text._ZN7rocprim17ROCPRIM_400000_NS6detail17trampoline_kernelINS0_14default_configENS1_35radix_sort_onesweep_config_selectorIttEEZZNS1_29radix_sort_onesweep_iterationIS3_Lb0EN6thrust23THRUST_200600_302600_NS6detail15normal_iteratorINS8_10device_ptrItEEEESD_SD_SD_jNS0_19identity_decomposerENS1_16block_id_wrapperIjLb1EEEEE10hipError_tT1_PNSt15iterator_traitsISI_E10value_typeET2_T3_PNSJ_ISO_E10value_typeET4_T5_PST_SU_PNS1_23onesweep_lookback_stateEbbT6_jjT7_P12ihipStream_tbENKUlT_T0_SI_SN_E_clISD_PtSD_S15_EEDaS11_S12_SI_SN_EUlS11_E_NS1_11comp_targetILNS1_3genE4ELNS1_11target_archE910ELNS1_3gpuE8ELNS1_3repE0EEENS1_47radix_sort_onesweep_sort_config_static_selectorELNS0_4arch9wavefront6targetE1EEEvSI_,"axG",@progbits,_ZN7rocprim17ROCPRIM_400000_NS6detail17trampoline_kernelINS0_14default_configENS1_35radix_sort_onesweep_config_selectorIttEEZZNS1_29radix_sort_onesweep_iterationIS3_Lb0EN6thrust23THRUST_200600_302600_NS6detail15normal_iteratorINS8_10device_ptrItEEEESD_SD_SD_jNS0_19identity_decomposerENS1_16block_id_wrapperIjLb1EEEEE10hipError_tT1_PNSt15iterator_traitsISI_E10value_typeET2_T3_PNSJ_ISO_E10value_typeET4_T5_PST_SU_PNS1_23onesweep_lookback_stateEbbT6_jjT7_P12ihipStream_tbENKUlT_T0_SI_SN_E_clISD_PtSD_S15_EEDaS11_S12_SI_SN_EUlS11_E_NS1_11comp_targetILNS1_3genE4ELNS1_11target_archE910ELNS1_3gpuE8ELNS1_3repE0EEENS1_47radix_sort_onesweep_sort_config_static_selectorELNS0_4arch9wavefront6targetE1EEEvSI_,comdat
.Lfunc_end987:
	.size	_ZN7rocprim17ROCPRIM_400000_NS6detail17trampoline_kernelINS0_14default_configENS1_35radix_sort_onesweep_config_selectorIttEEZZNS1_29radix_sort_onesweep_iterationIS3_Lb0EN6thrust23THRUST_200600_302600_NS6detail15normal_iteratorINS8_10device_ptrItEEEESD_SD_SD_jNS0_19identity_decomposerENS1_16block_id_wrapperIjLb1EEEEE10hipError_tT1_PNSt15iterator_traitsISI_E10value_typeET2_T3_PNSJ_ISO_E10value_typeET4_T5_PST_SU_PNS1_23onesweep_lookback_stateEbbT6_jjT7_P12ihipStream_tbENKUlT_T0_SI_SN_E_clISD_PtSD_S15_EEDaS11_S12_SI_SN_EUlS11_E_NS1_11comp_targetILNS1_3genE4ELNS1_11target_archE910ELNS1_3gpuE8ELNS1_3repE0EEENS1_47radix_sort_onesweep_sort_config_static_selectorELNS0_4arch9wavefront6targetE1EEEvSI_, .Lfunc_end987-_ZN7rocprim17ROCPRIM_400000_NS6detail17trampoline_kernelINS0_14default_configENS1_35radix_sort_onesweep_config_selectorIttEEZZNS1_29radix_sort_onesweep_iterationIS3_Lb0EN6thrust23THRUST_200600_302600_NS6detail15normal_iteratorINS8_10device_ptrItEEEESD_SD_SD_jNS0_19identity_decomposerENS1_16block_id_wrapperIjLb1EEEEE10hipError_tT1_PNSt15iterator_traitsISI_E10value_typeET2_T3_PNSJ_ISO_E10value_typeET4_T5_PST_SU_PNS1_23onesweep_lookback_stateEbbT6_jjT7_P12ihipStream_tbENKUlT_T0_SI_SN_E_clISD_PtSD_S15_EEDaS11_S12_SI_SN_EUlS11_E_NS1_11comp_targetILNS1_3genE4ELNS1_11target_archE910ELNS1_3gpuE8ELNS1_3repE0EEENS1_47radix_sort_onesweep_sort_config_static_selectorELNS0_4arch9wavefront6targetE1EEEvSI_
                                        ; -- End function
	.set _ZN7rocprim17ROCPRIM_400000_NS6detail17trampoline_kernelINS0_14default_configENS1_35radix_sort_onesweep_config_selectorIttEEZZNS1_29radix_sort_onesweep_iterationIS3_Lb0EN6thrust23THRUST_200600_302600_NS6detail15normal_iteratorINS8_10device_ptrItEEEESD_SD_SD_jNS0_19identity_decomposerENS1_16block_id_wrapperIjLb1EEEEE10hipError_tT1_PNSt15iterator_traitsISI_E10value_typeET2_T3_PNSJ_ISO_E10value_typeET4_T5_PST_SU_PNS1_23onesweep_lookback_stateEbbT6_jjT7_P12ihipStream_tbENKUlT_T0_SI_SN_E_clISD_PtSD_S15_EEDaS11_S12_SI_SN_EUlS11_E_NS1_11comp_targetILNS1_3genE4ELNS1_11target_archE910ELNS1_3gpuE8ELNS1_3repE0EEENS1_47radix_sort_onesweep_sort_config_static_selectorELNS0_4arch9wavefront6targetE1EEEvSI_.num_vgpr, 0
	.set _ZN7rocprim17ROCPRIM_400000_NS6detail17trampoline_kernelINS0_14default_configENS1_35radix_sort_onesweep_config_selectorIttEEZZNS1_29radix_sort_onesweep_iterationIS3_Lb0EN6thrust23THRUST_200600_302600_NS6detail15normal_iteratorINS8_10device_ptrItEEEESD_SD_SD_jNS0_19identity_decomposerENS1_16block_id_wrapperIjLb1EEEEE10hipError_tT1_PNSt15iterator_traitsISI_E10value_typeET2_T3_PNSJ_ISO_E10value_typeET4_T5_PST_SU_PNS1_23onesweep_lookback_stateEbbT6_jjT7_P12ihipStream_tbENKUlT_T0_SI_SN_E_clISD_PtSD_S15_EEDaS11_S12_SI_SN_EUlS11_E_NS1_11comp_targetILNS1_3genE4ELNS1_11target_archE910ELNS1_3gpuE8ELNS1_3repE0EEENS1_47radix_sort_onesweep_sort_config_static_selectorELNS0_4arch9wavefront6targetE1EEEvSI_.num_agpr, 0
	.set _ZN7rocprim17ROCPRIM_400000_NS6detail17trampoline_kernelINS0_14default_configENS1_35radix_sort_onesweep_config_selectorIttEEZZNS1_29radix_sort_onesweep_iterationIS3_Lb0EN6thrust23THRUST_200600_302600_NS6detail15normal_iteratorINS8_10device_ptrItEEEESD_SD_SD_jNS0_19identity_decomposerENS1_16block_id_wrapperIjLb1EEEEE10hipError_tT1_PNSt15iterator_traitsISI_E10value_typeET2_T3_PNSJ_ISO_E10value_typeET4_T5_PST_SU_PNS1_23onesweep_lookback_stateEbbT6_jjT7_P12ihipStream_tbENKUlT_T0_SI_SN_E_clISD_PtSD_S15_EEDaS11_S12_SI_SN_EUlS11_E_NS1_11comp_targetILNS1_3genE4ELNS1_11target_archE910ELNS1_3gpuE8ELNS1_3repE0EEENS1_47radix_sort_onesweep_sort_config_static_selectorELNS0_4arch9wavefront6targetE1EEEvSI_.numbered_sgpr, 0
	.set _ZN7rocprim17ROCPRIM_400000_NS6detail17trampoline_kernelINS0_14default_configENS1_35radix_sort_onesweep_config_selectorIttEEZZNS1_29radix_sort_onesweep_iterationIS3_Lb0EN6thrust23THRUST_200600_302600_NS6detail15normal_iteratorINS8_10device_ptrItEEEESD_SD_SD_jNS0_19identity_decomposerENS1_16block_id_wrapperIjLb1EEEEE10hipError_tT1_PNSt15iterator_traitsISI_E10value_typeET2_T3_PNSJ_ISO_E10value_typeET4_T5_PST_SU_PNS1_23onesweep_lookback_stateEbbT6_jjT7_P12ihipStream_tbENKUlT_T0_SI_SN_E_clISD_PtSD_S15_EEDaS11_S12_SI_SN_EUlS11_E_NS1_11comp_targetILNS1_3genE4ELNS1_11target_archE910ELNS1_3gpuE8ELNS1_3repE0EEENS1_47radix_sort_onesweep_sort_config_static_selectorELNS0_4arch9wavefront6targetE1EEEvSI_.num_named_barrier, 0
	.set _ZN7rocprim17ROCPRIM_400000_NS6detail17trampoline_kernelINS0_14default_configENS1_35radix_sort_onesweep_config_selectorIttEEZZNS1_29radix_sort_onesweep_iterationIS3_Lb0EN6thrust23THRUST_200600_302600_NS6detail15normal_iteratorINS8_10device_ptrItEEEESD_SD_SD_jNS0_19identity_decomposerENS1_16block_id_wrapperIjLb1EEEEE10hipError_tT1_PNSt15iterator_traitsISI_E10value_typeET2_T3_PNSJ_ISO_E10value_typeET4_T5_PST_SU_PNS1_23onesweep_lookback_stateEbbT6_jjT7_P12ihipStream_tbENKUlT_T0_SI_SN_E_clISD_PtSD_S15_EEDaS11_S12_SI_SN_EUlS11_E_NS1_11comp_targetILNS1_3genE4ELNS1_11target_archE910ELNS1_3gpuE8ELNS1_3repE0EEENS1_47radix_sort_onesweep_sort_config_static_selectorELNS0_4arch9wavefront6targetE1EEEvSI_.private_seg_size, 0
	.set _ZN7rocprim17ROCPRIM_400000_NS6detail17trampoline_kernelINS0_14default_configENS1_35radix_sort_onesweep_config_selectorIttEEZZNS1_29radix_sort_onesweep_iterationIS3_Lb0EN6thrust23THRUST_200600_302600_NS6detail15normal_iteratorINS8_10device_ptrItEEEESD_SD_SD_jNS0_19identity_decomposerENS1_16block_id_wrapperIjLb1EEEEE10hipError_tT1_PNSt15iterator_traitsISI_E10value_typeET2_T3_PNSJ_ISO_E10value_typeET4_T5_PST_SU_PNS1_23onesweep_lookback_stateEbbT6_jjT7_P12ihipStream_tbENKUlT_T0_SI_SN_E_clISD_PtSD_S15_EEDaS11_S12_SI_SN_EUlS11_E_NS1_11comp_targetILNS1_3genE4ELNS1_11target_archE910ELNS1_3gpuE8ELNS1_3repE0EEENS1_47radix_sort_onesweep_sort_config_static_selectorELNS0_4arch9wavefront6targetE1EEEvSI_.uses_vcc, 0
	.set _ZN7rocprim17ROCPRIM_400000_NS6detail17trampoline_kernelINS0_14default_configENS1_35radix_sort_onesweep_config_selectorIttEEZZNS1_29radix_sort_onesweep_iterationIS3_Lb0EN6thrust23THRUST_200600_302600_NS6detail15normal_iteratorINS8_10device_ptrItEEEESD_SD_SD_jNS0_19identity_decomposerENS1_16block_id_wrapperIjLb1EEEEE10hipError_tT1_PNSt15iterator_traitsISI_E10value_typeET2_T3_PNSJ_ISO_E10value_typeET4_T5_PST_SU_PNS1_23onesweep_lookback_stateEbbT6_jjT7_P12ihipStream_tbENKUlT_T0_SI_SN_E_clISD_PtSD_S15_EEDaS11_S12_SI_SN_EUlS11_E_NS1_11comp_targetILNS1_3genE4ELNS1_11target_archE910ELNS1_3gpuE8ELNS1_3repE0EEENS1_47radix_sort_onesweep_sort_config_static_selectorELNS0_4arch9wavefront6targetE1EEEvSI_.uses_flat_scratch, 0
	.set _ZN7rocprim17ROCPRIM_400000_NS6detail17trampoline_kernelINS0_14default_configENS1_35radix_sort_onesweep_config_selectorIttEEZZNS1_29radix_sort_onesweep_iterationIS3_Lb0EN6thrust23THRUST_200600_302600_NS6detail15normal_iteratorINS8_10device_ptrItEEEESD_SD_SD_jNS0_19identity_decomposerENS1_16block_id_wrapperIjLb1EEEEE10hipError_tT1_PNSt15iterator_traitsISI_E10value_typeET2_T3_PNSJ_ISO_E10value_typeET4_T5_PST_SU_PNS1_23onesweep_lookback_stateEbbT6_jjT7_P12ihipStream_tbENKUlT_T0_SI_SN_E_clISD_PtSD_S15_EEDaS11_S12_SI_SN_EUlS11_E_NS1_11comp_targetILNS1_3genE4ELNS1_11target_archE910ELNS1_3gpuE8ELNS1_3repE0EEENS1_47radix_sort_onesweep_sort_config_static_selectorELNS0_4arch9wavefront6targetE1EEEvSI_.has_dyn_sized_stack, 0
	.set _ZN7rocprim17ROCPRIM_400000_NS6detail17trampoline_kernelINS0_14default_configENS1_35radix_sort_onesweep_config_selectorIttEEZZNS1_29radix_sort_onesweep_iterationIS3_Lb0EN6thrust23THRUST_200600_302600_NS6detail15normal_iteratorINS8_10device_ptrItEEEESD_SD_SD_jNS0_19identity_decomposerENS1_16block_id_wrapperIjLb1EEEEE10hipError_tT1_PNSt15iterator_traitsISI_E10value_typeET2_T3_PNSJ_ISO_E10value_typeET4_T5_PST_SU_PNS1_23onesweep_lookback_stateEbbT6_jjT7_P12ihipStream_tbENKUlT_T0_SI_SN_E_clISD_PtSD_S15_EEDaS11_S12_SI_SN_EUlS11_E_NS1_11comp_targetILNS1_3genE4ELNS1_11target_archE910ELNS1_3gpuE8ELNS1_3repE0EEENS1_47radix_sort_onesweep_sort_config_static_selectorELNS0_4arch9wavefront6targetE1EEEvSI_.has_recursion, 0
	.set _ZN7rocprim17ROCPRIM_400000_NS6detail17trampoline_kernelINS0_14default_configENS1_35radix_sort_onesweep_config_selectorIttEEZZNS1_29radix_sort_onesweep_iterationIS3_Lb0EN6thrust23THRUST_200600_302600_NS6detail15normal_iteratorINS8_10device_ptrItEEEESD_SD_SD_jNS0_19identity_decomposerENS1_16block_id_wrapperIjLb1EEEEE10hipError_tT1_PNSt15iterator_traitsISI_E10value_typeET2_T3_PNSJ_ISO_E10value_typeET4_T5_PST_SU_PNS1_23onesweep_lookback_stateEbbT6_jjT7_P12ihipStream_tbENKUlT_T0_SI_SN_E_clISD_PtSD_S15_EEDaS11_S12_SI_SN_EUlS11_E_NS1_11comp_targetILNS1_3genE4ELNS1_11target_archE910ELNS1_3gpuE8ELNS1_3repE0EEENS1_47radix_sort_onesweep_sort_config_static_selectorELNS0_4arch9wavefront6targetE1EEEvSI_.has_indirect_call, 0
	.section	.AMDGPU.csdata,"",@progbits
; Kernel info:
; codeLenInByte = 0
; TotalNumSgprs: 6
; NumVgprs: 0
; NumAgprs: 0
; TotalNumVgprs: 0
; ScratchSize: 0
; MemoryBound: 0
; FloatMode: 240
; IeeeMode: 1
; LDSByteSize: 0 bytes/workgroup (compile time only)
; SGPRBlocks: 0
; VGPRBlocks: 0
; NumSGPRsForWavesPerEU: 6
; NumVGPRsForWavesPerEU: 1
; AccumOffset: 4
; Occupancy: 8
; WaveLimiterHint : 0
; COMPUTE_PGM_RSRC2:SCRATCH_EN: 0
; COMPUTE_PGM_RSRC2:USER_SGPR: 2
; COMPUTE_PGM_RSRC2:TRAP_HANDLER: 0
; COMPUTE_PGM_RSRC2:TGID_X_EN: 1
; COMPUTE_PGM_RSRC2:TGID_Y_EN: 0
; COMPUTE_PGM_RSRC2:TGID_Z_EN: 0
; COMPUTE_PGM_RSRC2:TIDIG_COMP_CNT: 0
; COMPUTE_PGM_RSRC3_GFX90A:ACCUM_OFFSET: 0
; COMPUTE_PGM_RSRC3_GFX90A:TG_SPLIT: 0
	.section	.text._ZN7rocprim17ROCPRIM_400000_NS6detail17trampoline_kernelINS0_14default_configENS1_35radix_sort_onesweep_config_selectorIttEEZZNS1_29radix_sort_onesweep_iterationIS3_Lb0EN6thrust23THRUST_200600_302600_NS6detail15normal_iteratorINS8_10device_ptrItEEEESD_SD_SD_jNS0_19identity_decomposerENS1_16block_id_wrapperIjLb1EEEEE10hipError_tT1_PNSt15iterator_traitsISI_E10value_typeET2_T3_PNSJ_ISO_E10value_typeET4_T5_PST_SU_PNS1_23onesweep_lookback_stateEbbT6_jjT7_P12ihipStream_tbENKUlT_T0_SI_SN_E_clISD_PtSD_S15_EEDaS11_S12_SI_SN_EUlS11_E_NS1_11comp_targetILNS1_3genE3ELNS1_11target_archE908ELNS1_3gpuE7ELNS1_3repE0EEENS1_47radix_sort_onesweep_sort_config_static_selectorELNS0_4arch9wavefront6targetE1EEEvSI_,"axG",@progbits,_ZN7rocprim17ROCPRIM_400000_NS6detail17trampoline_kernelINS0_14default_configENS1_35radix_sort_onesweep_config_selectorIttEEZZNS1_29radix_sort_onesweep_iterationIS3_Lb0EN6thrust23THRUST_200600_302600_NS6detail15normal_iteratorINS8_10device_ptrItEEEESD_SD_SD_jNS0_19identity_decomposerENS1_16block_id_wrapperIjLb1EEEEE10hipError_tT1_PNSt15iterator_traitsISI_E10value_typeET2_T3_PNSJ_ISO_E10value_typeET4_T5_PST_SU_PNS1_23onesweep_lookback_stateEbbT6_jjT7_P12ihipStream_tbENKUlT_T0_SI_SN_E_clISD_PtSD_S15_EEDaS11_S12_SI_SN_EUlS11_E_NS1_11comp_targetILNS1_3genE3ELNS1_11target_archE908ELNS1_3gpuE7ELNS1_3repE0EEENS1_47radix_sort_onesweep_sort_config_static_selectorELNS0_4arch9wavefront6targetE1EEEvSI_,comdat
	.protected	_ZN7rocprim17ROCPRIM_400000_NS6detail17trampoline_kernelINS0_14default_configENS1_35radix_sort_onesweep_config_selectorIttEEZZNS1_29radix_sort_onesweep_iterationIS3_Lb0EN6thrust23THRUST_200600_302600_NS6detail15normal_iteratorINS8_10device_ptrItEEEESD_SD_SD_jNS0_19identity_decomposerENS1_16block_id_wrapperIjLb1EEEEE10hipError_tT1_PNSt15iterator_traitsISI_E10value_typeET2_T3_PNSJ_ISO_E10value_typeET4_T5_PST_SU_PNS1_23onesweep_lookback_stateEbbT6_jjT7_P12ihipStream_tbENKUlT_T0_SI_SN_E_clISD_PtSD_S15_EEDaS11_S12_SI_SN_EUlS11_E_NS1_11comp_targetILNS1_3genE3ELNS1_11target_archE908ELNS1_3gpuE7ELNS1_3repE0EEENS1_47radix_sort_onesweep_sort_config_static_selectorELNS0_4arch9wavefront6targetE1EEEvSI_ ; -- Begin function _ZN7rocprim17ROCPRIM_400000_NS6detail17trampoline_kernelINS0_14default_configENS1_35radix_sort_onesweep_config_selectorIttEEZZNS1_29radix_sort_onesweep_iterationIS3_Lb0EN6thrust23THRUST_200600_302600_NS6detail15normal_iteratorINS8_10device_ptrItEEEESD_SD_SD_jNS0_19identity_decomposerENS1_16block_id_wrapperIjLb1EEEEE10hipError_tT1_PNSt15iterator_traitsISI_E10value_typeET2_T3_PNSJ_ISO_E10value_typeET4_T5_PST_SU_PNS1_23onesweep_lookback_stateEbbT6_jjT7_P12ihipStream_tbENKUlT_T0_SI_SN_E_clISD_PtSD_S15_EEDaS11_S12_SI_SN_EUlS11_E_NS1_11comp_targetILNS1_3genE3ELNS1_11target_archE908ELNS1_3gpuE7ELNS1_3repE0EEENS1_47radix_sort_onesweep_sort_config_static_selectorELNS0_4arch9wavefront6targetE1EEEvSI_
	.globl	_ZN7rocprim17ROCPRIM_400000_NS6detail17trampoline_kernelINS0_14default_configENS1_35radix_sort_onesweep_config_selectorIttEEZZNS1_29radix_sort_onesweep_iterationIS3_Lb0EN6thrust23THRUST_200600_302600_NS6detail15normal_iteratorINS8_10device_ptrItEEEESD_SD_SD_jNS0_19identity_decomposerENS1_16block_id_wrapperIjLb1EEEEE10hipError_tT1_PNSt15iterator_traitsISI_E10value_typeET2_T3_PNSJ_ISO_E10value_typeET4_T5_PST_SU_PNS1_23onesweep_lookback_stateEbbT6_jjT7_P12ihipStream_tbENKUlT_T0_SI_SN_E_clISD_PtSD_S15_EEDaS11_S12_SI_SN_EUlS11_E_NS1_11comp_targetILNS1_3genE3ELNS1_11target_archE908ELNS1_3gpuE7ELNS1_3repE0EEENS1_47radix_sort_onesweep_sort_config_static_selectorELNS0_4arch9wavefront6targetE1EEEvSI_
	.p2align	8
	.type	_ZN7rocprim17ROCPRIM_400000_NS6detail17trampoline_kernelINS0_14default_configENS1_35radix_sort_onesweep_config_selectorIttEEZZNS1_29radix_sort_onesweep_iterationIS3_Lb0EN6thrust23THRUST_200600_302600_NS6detail15normal_iteratorINS8_10device_ptrItEEEESD_SD_SD_jNS0_19identity_decomposerENS1_16block_id_wrapperIjLb1EEEEE10hipError_tT1_PNSt15iterator_traitsISI_E10value_typeET2_T3_PNSJ_ISO_E10value_typeET4_T5_PST_SU_PNS1_23onesweep_lookback_stateEbbT6_jjT7_P12ihipStream_tbENKUlT_T0_SI_SN_E_clISD_PtSD_S15_EEDaS11_S12_SI_SN_EUlS11_E_NS1_11comp_targetILNS1_3genE3ELNS1_11target_archE908ELNS1_3gpuE7ELNS1_3repE0EEENS1_47radix_sort_onesweep_sort_config_static_selectorELNS0_4arch9wavefront6targetE1EEEvSI_,@function
_ZN7rocprim17ROCPRIM_400000_NS6detail17trampoline_kernelINS0_14default_configENS1_35radix_sort_onesweep_config_selectorIttEEZZNS1_29radix_sort_onesweep_iterationIS3_Lb0EN6thrust23THRUST_200600_302600_NS6detail15normal_iteratorINS8_10device_ptrItEEEESD_SD_SD_jNS0_19identity_decomposerENS1_16block_id_wrapperIjLb1EEEEE10hipError_tT1_PNSt15iterator_traitsISI_E10value_typeET2_T3_PNSJ_ISO_E10value_typeET4_T5_PST_SU_PNS1_23onesweep_lookback_stateEbbT6_jjT7_P12ihipStream_tbENKUlT_T0_SI_SN_E_clISD_PtSD_S15_EEDaS11_S12_SI_SN_EUlS11_E_NS1_11comp_targetILNS1_3genE3ELNS1_11target_archE908ELNS1_3gpuE7ELNS1_3repE0EEENS1_47radix_sort_onesweep_sort_config_static_selectorELNS0_4arch9wavefront6targetE1EEEvSI_: ; @_ZN7rocprim17ROCPRIM_400000_NS6detail17trampoline_kernelINS0_14default_configENS1_35radix_sort_onesweep_config_selectorIttEEZZNS1_29radix_sort_onesweep_iterationIS3_Lb0EN6thrust23THRUST_200600_302600_NS6detail15normal_iteratorINS8_10device_ptrItEEEESD_SD_SD_jNS0_19identity_decomposerENS1_16block_id_wrapperIjLb1EEEEE10hipError_tT1_PNSt15iterator_traitsISI_E10value_typeET2_T3_PNSJ_ISO_E10value_typeET4_T5_PST_SU_PNS1_23onesweep_lookback_stateEbbT6_jjT7_P12ihipStream_tbENKUlT_T0_SI_SN_E_clISD_PtSD_S15_EEDaS11_S12_SI_SN_EUlS11_E_NS1_11comp_targetILNS1_3genE3ELNS1_11target_archE908ELNS1_3gpuE7ELNS1_3repE0EEENS1_47radix_sort_onesweep_sort_config_static_selectorELNS0_4arch9wavefront6targetE1EEEvSI_
; %bb.0:
	.section	.rodata,"a",@progbits
	.p2align	6, 0x0
	.amdhsa_kernel _ZN7rocprim17ROCPRIM_400000_NS6detail17trampoline_kernelINS0_14default_configENS1_35radix_sort_onesweep_config_selectorIttEEZZNS1_29radix_sort_onesweep_iterationIS3_Lb0EN6thrust23THRUST_200600_302600_NS6detail15normal_iteratorINS8_10device_ptrItEEEESD_SD_SD_jNS0_19identity_decomposerENS1_16block_id_wrapperIjLb1EEEEE10hipError_tT1_PNSt15iterator_traitsISI_E10value_typeET2_T3_PNSJ_ISO_E10value_typeET4_T5_PST_SU_PNS1_23onesweep_lookback_stateEbbT6_jjT7_P12ihipStream_tbENKUlT_T0_SI_SN_E_clISD_PtSD_S15_EEDaS11_S12_SI_SN_EUlS11_E_NS1_11comp_targetILNS1_3genE3ELNS1_11target_archE908ELNS1_3gpuE7ELNS1_3repE0EEENS1_47radix_sort_onesweep_sort_config_static_selectorELNS0_4arch9wavefront6targetE1EEEvSI_
		.amdhsa_group_segment_fixed_size 0
		.amdhsa_private_segment_fixed_size 0
		.amdhsa_kernarg_size 88
		.amdhsa_user_sgpr_count 2
		.amdhsa_user_sgpr_dispatch_ptr 0
		.amdhsa_user_sgpr_queue_ptr 0
		.amdhsa_user_sgpr_kernarg_segment_ptr 1
		.amdhsa_user_sgpr_dispatch_id 0
		.amdhsa_user_sgpr_kernarg_preload_length 0
		.amdhsa_user_sgpr_kernarg_preload_offset 0
		.amdhsa_user_sgpr_private_segment_size 0
		.amdhsa_uses_dynamic_stack 0
		.amdhsa_enable_private_segment 0
		.amdhsa_system_sgpr_workgroup_id_x 1
		.amdhsa_system_sgpr_workgroup_id_y 0
		.amdhsa_system_sgpr_workgroup_id_z 0
		.amdhsa_system_sgpr_workgroup_info 0
		.amdhsa_system_vgpr_workitem_id 0
		.amdhsa_next_free_vgpr 1
		.amdhsa_next_free_sgpr 0
		.amdhsa_accum_offset 4
		.amdhsa_reserve_vcc 0
		.amdhsa_float_round_mode_32 0
		.amdhsa_float_round_mode_16_64 0
		.amdhsa_float_denorm_mode_32 3
		.amdhsa_float_denorm_mode_16_64 3
		.amdhsa_dx10_clamp 1
		.amdhsa_ieee_mode 1
		.amdhsa_fp16_overflow 0
		.amdhsa_tg_split 0
		.amdhsa_exception_fp_ieee_invalid_op 0
		.amdhsa_exception_fp_denorm_src 0
		.amdhsa_exception_fp_ieee_div_zero 0
		.amdhsa_exception_fp_ieee_overflow 0
		.amdhsa_exception_fp_ieee_underflow 0
		.amdhsa_exception_fp_ieee_inexact 0
		.amdhsa_exception_int_div_zero 0
	.end_amdhsa_kernel
	.section	.text._ZN7rocprim17ROCPRIM_400000_NS6detail17trampoline_kernelINS0_14default_configENS1_35radix_sort_onesweep_config_selectorIttEEZZNS1_29radix_sort_onesweep_iterationIS3_Lb0EN6thrust23THRUST_200600_302600_NS6detail15normal_iteratorINS8_10device_ptrItEEEESD_SD_SD_jNS0_19identity_decomposerENS1_16block_id_wrapperIjLb1EEEEE10hipError_tT1_PNSt15iterator_traitsISI_E10value_typeET2_T3_PNSJ_ISO_E10value_typeET4_T5_PST_SU_PNS1_23onesweep_lookback_stateEbbT6_jjT7_P12ihipStream_tbENKUlT_T0_SI_SN_E_clISD_PtSD_S15_EEDaS11_S12_SI_SN_EUlS11_E_NS1_11comp_targetILNS1_3genE3ELNS1_11target_archE908ELNS1_3gpuE7ELNS1_3repE0EEENS1_47radix_sort_onesweep_sort_config_static_selectorELNS0_4arch9wavefront6targetE1EEEvSI_,"axG",@progbits,_ZN7rocprim17ROCPRIM_400000_NS6detail17trampoline_kernelINS0_14default_configENS1_35radix_sort_onesweep_config_selectorIttEEZZNS1_29radix_sort_onesweep_iterationIS3_Lb0EN6thrust23THRUST_200600_302600_NS6detail15normal_iteratorINS8_10device_ptrItEEEESD_SD_SD_jNS0_19identity_decomposerENS1_16block_id_wrapperIjLb1EEEEE10hipError_tT1_PNSt15iterator_traitsISI_E10value_typeET2_T3_PNSJ_ISO_E10value_typeET4_T5_PST_SU_PNS1_23onesweep_lookback_stateEbbT6_jjT7_P12ihipStream_tbENKUlT_T0_SI_SN_E_clISD_PtSD_S15_EEDaS11_S12_SI_SN_EUlS11_E_NS1_11comp_targetILNS1_3genE3ELNS1_11target_archE908ELNS1_3gpuE7ELNS1_3repE0EEENS1_47radix_sort_onesweep_sort_config_static_selectorELNS0_4arch9wavefront6targetE1EEEvSI_,comdat
.Lfunc_end988:
	.size	_ZN7rocprim17ROCPRIM_400000_NS6detail17trampoline_kernelINS0_14default_configENS1_35radix_sort_onesweep_config_selectorIttEEZZNS1_29radix_sort_onesweep_iterationIS3_Lb0EN6thrust23THRUST_200600_302600_NS6detail15normal_iteratorINS8_10device_ptrItEEEESD_SD_SD_jNS0_19identity_decomposerENS1_16block_id_wrapperIjLb1EEEEE10hipError_tT1_PNSt15iterator_traitsISI_E10value_typeET2_T3_PNSJ_ISO_E10value_typeET4_T5_PST_SU_PNS1_23onesweep_lookback_stateEbbT6_jjT7_P12ihipStream_tbENKUlT_T0_SI_SN_E_clISD_PtSD_S15_EEDaS11_S12_SI_SN_EUlS11_E_NS1_11comp_targetILNS1_3genE3ELNS1_11target_archE908ELNS1_3gpuE7ELNS1_3repE0EEENS1_47radix_sort_onesweep_sort_config_static_selectorELNS0_4arch9wavefront6targetE1EEEvSI_, .Lfunc_end988-_ZN7rocprim17ROCPRIM_400000_NS6detail17trampoline_kernelINS0_14default_configENS1_35radix_sort_onesweep_config_selectorIttEEZZNS1_29radix_sort_onesweep_iterationIS3_Lb0EN6thrust23THRUST_200600_302600_NS6detail15normal_iteratorINS8_10device_ptrItEEEESD_SD_SD_jNS0_19identity_decomposerENS1_16block_id_wrapperIjLb1EEEEE10hipError_tT1_PNSt15iterator_traitsISI_E10value_typeET2_T3_PNSJ_ISO_E10value_typeET4_T5_PST_SU_PNS1_23onesweep_lookback_stateEbbT6_jjT7_P12ihipStream_tbENKUlT_T0_SI_SN_E_clISD_PtSD_S15_EEDaS11_S12_SI_SN_EUlS11_E_NS1_11comp_targetILNS1_3genE3ELNS1_11target_archE908ELNS1_3gpuE7ELNS1_3repE0EEENS1_47radix_sort_onesweep_sort_config_static_selectorELNS0_4arch9wavefront6targetE1EEEvSI_
                                        ; -- End function
	.set _ZN7rocprim17ROCPRIM_400000_NS6detail17trampoline_kernelINS0_14default_configENS1_35radix_sort_onesweep_config_selectorIttEEZZNS1_29radix_sort_onesweep_iterationIS3_Lb0EN6thrust23THRUST_200600_302600_NS6detail15normal_iteratorINS8_10device_ptrItEEEESD_SD_SD_jNS0_19identity_decomposerENS1_16block_id_wrapperIjLb1EEEEE10hipError_tT1_PNSt15iterator_traitsISI_E10value_typeET2_T3_PNSJ_ISO_E10value_typeET4_T5_PST_SU_PNS1_23onesweep_lookback_stateEbbT6_jjT7_P12ihipStream_tbENKUlT_T0_SI_SN_E_clISD_PtSD_S15_EEDaS11_S12_SI_SN_EUlS11_E_NS1_11comp_targetILNS1_3genE3ELNS1_11target_archE908ELNS1_3gpuE7ELNS1_3repE0EEENS1_47radix_sort_onesweep_sort_config_static_selectorELNS0_4arch9wavefront6targetE1EEEvSI_.num_vgpr, 0
	.set _ZN7rocprim17ROCPRIM_400000_NS6detail17trampoline_kernelINS0_14default_configENS1_35radix_sort_onesweep_config_selectorIttEEZZNS1_29radix_sort_onesweep_iterationIS3_Lb0EN6thrust23THRUST_200600_302600_NS6detail15normal_iteratorINS8_10device_ptrItEEEESD_SD_SD_jNS0_19identity_decomposerENS1_16block_id_wrapperIjLb1EEEEE10hipError_tT1_PNSt15iterator_traitsISI_E10value_typeET2_T3_PNSJ_ISO_E10value_typeET4_T5_PST_SU_PNS1_23onesweep_lookback_stateEbbT6_jjT7_P12ihipStream_tbENKUlT_T0_SI_SN_E_clISD_PtSD_S15_EEDaS11_S12_SI_SN_EUlS11_E_NS1_11comp_targetILNS1_3genE3ELNS1_11target_archE908ELNS1_3gpuE7ELNS1_3repE0EEENS1_47radix_sort_onesweep_sort_config_static_selectorELNS0_4arch9wavefront6targetE1EEEvSI_.num_agpr, 0
	.set _ZN7rocprim17ROCPRIM_400000_NS6detail17trampoline_kernelINS0_14default_configENS1_35radix_sort_onesweep_config_selectorIttEEZZNS1_29radix_sort_onesweep_iterationIS3_Lb0EN6thrust23THRUST_200600_302600_NS6detail15normal_iteratorINS8_10device_ptrItEEEESD_SD_SD_jNS0_19identity_decomposerENS1_16block_id_wrapperIjLb1EEEEE10hipError_tT1_PNSt15iterator_traitsISI_E10value_typeET2_T3_PNSJ_ISO_E10value_typeET4_T5_PST_SU_PNS1_23onesweep_lookback_stateEbbT6_jjT7_P12ihipStream_tbENKUlT_T0_SI_SN_E_clISD_PtSD_S15_EEDaS11_S12_SI_SN_EUlS11_E_NS1_11comp_targetILNS1_3genE3ELNS1_11target_archE908ELNS1_3gpuE7ELNS1_3repE0EEENS1_47radix_sort_onesweep_sort_config_static_selectorELNS0_4arch9wavefront6targetE1EEEvSI_.numbered_sgpr, 0
	.set _ZN7rocprim17ROCPRIM_400000_NS6detail17trampoline_kernelINS0_14default_configENS1_35radix_sort_onesweep_config_selectorIttEEZZNS1_29radix_sort_onesweep_iterationIS3_Lb0EN6thrust23THRUST_200600_302600_NS6detail15normal_iteratorINS8_10device_ptrItEEEESD_SD_SD_jNS0_19identity_decomposerENS1_16block_id_wrapperIjLb1EEEEE10hipError_tT1_PNSt15iterator_traitsISI_E10value_typeET2_T3_PNSJ_ISO_E10value_typeET4_T5_PST_SU_PNS1_23onesweep_lookback_stateEbbT6_jjT7_P12ihipStream_tbENKUlT_T0_SI_SN_E_clISD_PtSD_S15_EEDaS11_S12_SI_SN_EUlS11_E_NS1_11comp_targetILNS1_3genE3ELNS1_11target_archE908ELNS1_3gpuE7ELNS1_3repE0EEENS1_47radix_sort_onesweep_sort_config_static_selectorELNS0_4arch9wavefront6targetE1EEEvSI_.num_named_barrier, 0
	.set _ZN7rocprim17ROCPRIM_400000_NS6detail17trampoline_kernelINS0_14default_configENS1_35radix_sort_onesweep_config_selectorIttEEZZNS1_29radix_sort_onesweep_iterationIS3_Lb0EN6thrust23THRUST_200600_302600_NS6detail15normal_iteratorINS8_10device_ptrItEEEESD_SD_SD_jNS0_19identity_decomposerENS1_16block_id_wrapperIjLb1EEEEE10hipError_tT1_PNSt15iterator_traitsISI_E10value_typeET2_T3_PNSJ_ISO_E10value_typeET4_T5_PST_SU_PNS1_23onesweep_lookback_stateEbbT6_jjT7_P12ihipStream_tbENKUlT_T0_SI_SN_E_clISD_PtSD_S15_EEDaS11_S12_SI_SN_EUlS11_E_NS1_11comp_targetILNS1_3genE3ELNS1_11target_archE908ELNS1_3gpuE7ELNS1_3repE0EEENS1_47radix_sort_onesweep_sort_config_static_selectorELNS0_4arch9wavefront6targetE1EEEvSI_.private_seg_size, 0
	.set _ZN7rocprim17ROCPRIM_400000_NS6detail17trampoline_kernelINS0_14default_configENS1_35radix_sort_onesweep_config_selectorIttEEZZNS1_29radix_sort_onesweep_iterationIS3_Lb0EN6thrust23THRUST_200600_302600_NS6detail15normal_iteratorINS8_10device_ptrItEEEESD_SD_SD_jNS0_19identity_decomposerENS1_16block_id_wrapperIjLb1EEEEE10hipError_tT1_PNSt15iterator_traitsISI_E10value_typeET2_T3_PNSJ_ISO_E10value_typeET4_T5_PST_SU_PNS1_23onesweep_lookback_stateEbbT6_jjT7_P12ihipStream_tbENKUlT_T0_SI_SN_E_clISD_PtSD_S15_EEDaS11_S12_SI_SN_EUlS11_E_NS1_11comp_targetILNS1_3genE3ELNS1_11target_archE908ELNS1_3gpuE7ELNS1_3repE0EEENS1_47radix_sort_onesweep_sort_config_static_selectorELNS0_4arch9wavefront6targetE1EEEvSI_.uses_vcc, 0
	.set _ZN7rocprim17ROCPRIM_400000_NS6detail17trampoline_kernelINS0_14default_configENS1_35radix_sort_onesweep_config_selectorIttEEZZNS1_29radix_sort_onesweep_iterationIS3_Lb0EN6thrust23THRUST_200600_302600_NS6detail15normal_iteratorINS8_10device_ptrItEEEESD_SD_SD_jNS0_19identity_decomposerENS1_16block_id_wrapperIjLb1EEEEE10hipError_tT1_PNSt15iterator_traitsISI_E10value_typeET2_T3_PNSJ_ISO_E10value_typeET4_T5_PST_SU_PNS1_23onesweep_lookback_stateEbbT6_jjT7_P12ihipStream_tbENKUlT_T0_SI_SN_E_clISD_PtSD_S15_EEDaS11_S12_SI_SN_EUlS11_E_NS1_11comp_targetILNS1_3genE3ELNS1_11target_archE908ELNS1_3gpuE7ELNS1_3repE0EEENS1_47radix_sort_onesweep_sort_config_static_selectorELNS0_4arch9wavefront6targetE1EEEvSI_.uses_flat_scratch, 0
	.set _ZN7rocprim17ROCPRIM_400000_NS6detail17trampoline_kernelINS0_14default_configENS1_35radix_sort_onesweep_config_selectorIttEEZZNS1_29radix_sort_onesweep_iterationIS3_Lb0EN6thrust23THRUST_200600_302600_NS6detail15normal_iteratorINS8_10device_ptrItEEEESD_SD_SD_jNS0_19identity_decomposerENS1_16block_id_wrapperIjLb1EEEEE10hipError_tT1_PNSt15iterator_traitsISI_E10value_typeET2_T3_PNSJ_ISO_E10value_typeET4_T5_PST_SU_PNS1_23onesweep_lookback_stateEbbT6_jjT7_P12ihipStream_tbENKUlT_T0_SI_SN_E_clISD_PtSD_S15_EEDaS11_S12_SI_SN_EUlS11_E_NS1_11comp_targetILNS1_3genE3ELNS1_11target_archE908ELNS1_3gpuE7ELNS1_3repE0EEENS1_47radix_sort_onesweep_sort_config_static_selectorELNS0_4arch9wavefront6targetE1EEEvSI_.has_dyn_sized_stack, 0
	.set _ZN7rocprim17ROCPRIM_400000_NS6detail17trampoline_kernelINS0_14default_configENS1_35radix_sort_onesweep_config_selectorIttEEZZNS1_29radix_sort_onesweep_iterationIS3_Lb0EN6thrust23THRUST_200600_302600_NS6detail15normal_iteratorINS8_10device_ptrItEEEESD_SD_SD_jNS0_19identity_decomposerENS1_16block_id_wrapperIjLb1EEEEE10hipError_tT1_PNSt15iterator_traitsISI_E10value_typeET2_T3_PNSJ_ISO_E10value_typeET4_T5_PST_SU_PNS1_23onesweep_lookback_stateEbbT6_jjT7_P12ihipStream_tbENKUlT_T0_SI_SN_E_clISD_PtSD_S15_EEDaS11_S12_SI_SN_EUlS11_E_NS1_11comp_targetILNS1_3genE3ELNS1_11target_archE908ELNS1_3gpuE7ELNS1_3repE0EEENS1_47radix_sort_onesweep_sort_config_static_selectorELNS0_4arch9wavefront6targetE1EEEvSI_.has_recursion, 0
	.set _ZN7rocprim17ROCPRIM_400000_NS6detail17trampoline_kernelINS0_14default_configENS1_35radix_sort_onesweep_config_selectorIttEEZZNS1_29radix_sort_onesweep_iterationIS3_Lb0EN6thrust23THRUST_200600_302600_NS6detail15normal_iteratorINS8_10device_ptrItEEEESD_SD_SD_jNS0_19identity_decomposerENS1_16block_id_wrapperIjLb1EEEEE10hipError_tT1_PNSt15iterator_traitsISI_E10value_typeET2_T3_PNSJ_ISO_E10value_typeET4_T5_PST_SU_PNS1_23onesweep_lookback_stateEbbT6_jjT7_P12ihipStream_tbENKUlT_T0_SI_SN_E_clISD_PtSD_S15_EEDaS11_S12_SI_SN_EUlS11_E_NS1_11comp_targetILNS1_3genE3ELNS1_11target_archE908ELNS1_3gpuE7ELNS1_3repE0EEENS1_47radix_sort_onesweep_sort_config_static_selectorELNS0_4arch9wavefront6targetE1EEEvSI_.has_indirect_call, 0
	.section	.AMDGPU.csdata,"",@progbits
; Kernel info:
; codeLenInByte = 0
; TotalNumSgprs: 6
; NumVgprs: 0
; NumAgprs: 0
; TotalNumVgprs: 0
; ScratchSize: 0
; MemoryBound: 0
; FloatMode: 240
; IeeeMode: 1
; LDSByteSize: 0 bytes/workgroup (compile time only)
; SGPRBlocks: 0
; VGPRBlocks: 0
; NumSGPRsForWavesPerEU: 6
; NumVGPRsForWavesPerEU: 1
; AccumOffset: 4
; Occupancy: 8
; WaveLimiterHint : 0
; COMPUTE_PGM_RSRC2:SCRATCH_EN: 0
; COMPUTE_PGM_RSRC2:USER_SGPR: 2
; COMPUTE_PGM_RSRC2:TRAP_HANDLER: 0
; COMPUTE_PGM_RSRC2:TGID_X_EN: 1
; COMPUTE_PGM_RSRC2:TGID_Y_EN: 0
; COMPUTE_PGM_RSRC2:TGID_Z_EN: 0
; COMPUTE_PGM_RSRC2:TIDIG_COMP_CNT: 0
; COMPUTE_PGM_RSRC3_GFX90A:ACCUM_OFFSET: 0
; COMPUTE_PGM_RSRC3_GFX90A:TG_SPLIT: 0
	.section	.text._ZN7rocprim17ROCPRIM_400000_NS6detail17trampoline_kernelINS0_14default_configENS1_35radix_sort_onesweep_config_selectorIttEEZZNS1_29radix_sort_onesweep_iterationIS3_Lb0EN6thrust23THRUST_200600_302600_NS6detail15normal_iteratorINS8_10device_ptrItEEEESD_SD_SD_jNS0_19identity_decomposerENS1_16block_id_wrapperIjLb1EEEEE10hipError_tT1_PNSt15iterator_traitsISI_E10value_typeET2_T3_PNSJ_ISO_E10value_typeET4_T5_PST_SU_PNS1_23onesweep_lookback_stateEbbT6_jjT7_P12ihipStream_tbENKUlT_T0_SI_SN_E_clISD_PtSD_S15_EEDaS11_S12_SI_SN_EUlS11_E_NS1_11comp_targetILNS1_3genE10ELNS1_11target_archE1201ELNS1_3gpuE5ELNS1_3repE0EEENS1_47radix_sort_onesweep_sort_config_static_selectorELNS0_4arch9wavefront6targetE1EEEvSI_,"axG",@progbits,_ZN7rocprim17ROCPRIM_400000_NS6detail17trampoline_kernelINS0_14default_configENS1_35radix_sort_onesweep_config_selectorIttEEZZNS1_29radix_sort_onesweep_iterationIS3_Lb0EN6thrust23THRUST_200600_302600_NS6detail15normal_iteratorINS8_10device_ptrItEEEESD_SD_SD_jNS0_19identity_decomposerENS1_16block_id_wrapperIjLb1EEEEE10hipError_tT1_PNSt15iterator_traitsISI_E10value_typeET2_T3_PNSJ_ISO_E10value_typeET4_T5_PST_SU_PNS1_23onesweep_lookback_stateEbbT6_jjT7_P12ihipStream_tbENKUlT_T0_SI_SN_E_clISD_PtSD_S15_EEDaS11_S12_SI_SN_EUlS11_E_NS1_11comp_targetILNS1_3genE10ELNS1_11target_archE1201ELNS1_3gpuE5ELNS1_3repE0EEENS1_47radix_sort_onesweep_sort_config_static_selectorELNS0_4arch9wavefront6targetE1EEEvSI_,comdat
	.protected	_ZN7rocprim17ROCPRIM_400000_NS6detail17trampoline_kernelINS0_14default_configENS1_35radix_sort_onesweep_config_selectorIttEEZZNS1_29radix_sort_onesweep_iterationIS3_Lb0EN6thrust23THRUST_200600_302600_NS6detail15normal_iteratorINS8_10device_ptrItEEEESD_SD_SD_jNS0_19identity_decomposerENS1_16block_id_wrapperIjLb1EEEEE10hipError_tT1_PNSt15iterator_traitsISI_E10value_typeET2_T3_PNSJ_ISO_E10value_typeET4_T5_PST_SU_PNS1_23onesweep_lookback_stateEbbT6_jjT7_P12ihipStream_tbENKUlT_T0_SI_SN_E_clISD_PtSD_S15_EEDaS11_S12_SI_SN_EUlS11_E_NS1_11comp_targetILNS1_3genE10ELNS1_11target_archE1201ELNS1_3gpuE5ELNS1_3repE0EEENS1_47radix_sort_onesweep_sort_config_static_selectorELNS0_4arch9wavefront6targetE1EEEvSI_ ; -- Begin function _ZN7rocprim17ROCPRIM_400000_NS6detail17trampoline_kernelINS0_14default_configENS1_35radix_sort_onesweep_config_selectorIttEEZZNS1_29radix_sort_onesweep_iterationIS3_Lb0EN6thrust23THRUST_200600_302600_NS6detail15normal_iteratorINS8_10device_ptrItEEEESD_SD_SD_jNS0_19identity_decomposerENS1_16block_id_wrapperIjLb1EEEEE10hipError_tT1_PNSt15iterator_traitsISI_E10value_typeET2_T3_PNSJ_ISO_E10value_typeET4_T5_PST_SU_PNS1_23onesweep_lookback_stateEbbT6_jjT7_P12ihipStream_tbENKUlT_T0_SI_SN_E_clISD_PtSD_S15_EEDaS11_S12_SI_SN_EUlS11_E_NS1_11comp_targetILNS1_3genE10ELNS1_11target_archE1201ELNS1_3gpuE5ELNS1_3repE0EEENS1_47radix_sort_onesweep_sort_config_static_selectorELNS0_4arch9wavefront6targetE1EEEvSI_
	.globl	_ZN7rocprim17ROCPRIM_400000_NS6detail17trampoline_kernelINS0_14default_configENS1_35radix_sort_onesweep_config_selectorIttEEZZNS1_29radix_sort_onesweep_iterationIS3_Lb0EN6thrust23THRUST_200600_302600_NS6detail15normal_iteratorINS8_10device_ptrItEEEESD_SD_SD_jNS0_19identity_decomposerENS1_16block_id_wrapperIjLb1EEEEE10hipError_tT1_PNSt15iterator_traitsISI_E10value_typeET2_T3_PNSJ_ISO_E10value_typeET4_T5_PST_SU_PNS1_23onesweep_lookback_stateEbbT6_jjT7_P12ihipStream_tbENKUlT_T0_SI_SN_E_clISD_PtSD_S15_EEDaS11_S12_SI_SN_EUlS11_E_NS1_11comp_targetILNS1_3genE10ELNS1_11target_archE1201ELNS1_3gpuE5ELNS1_3repE0EEENS1_47radix_sort_onesweep_sort_config_static_selectorELNS0_4arch9wavefront6targetE1EEEvSI_
	.p2align	8
	.type	_ZN7rocprim17ROCPRIM_400000_NS6detail17trampoline_kernelINS0_14default_configENS1_35radix_sort_onesweep_config_selectorIttEEZZNS1_29radix_sort_onesweep_iterationIS3_Lb0EN6thrust23THRUST_200600_302600_NS6detail15normal_iteratorINS8_10device_ptrItEEEESD_SD_SD_jNS0_19identity_decomposerENS1_16block_id_wrapperIjLb1EEEEE10hipError_tT1_PNSt15iterator_traitsISI_E10value_typeET2_T3_PNSJ_ISO_E10value_typeET4_T5_PST_SU_PNS1_23onesweep_lookback_stateEbbT6_jjT7_P12ihipStream_tbENKUlT_T0_SI_SN_E_clISD_PtSD_S15_EEDaS11_S12_SI_SN_EUlS11_E_NS1_11comp_targetILNS1_3genE10ELNS1_11target_archE1201ELNS1_3gpuE5ELNS1_3repE0EEENS1_47radix_sort_onesweep_sort_config_static_selectorELNS0_4arch9wavefront6targetE1EEEvSI_,@function
_ZN7rocprim17ROCPRIM_400000_NS6detail17trampoline_kernelINS0_14default_configENS1_35radix_sort_onesweep_config_selectorIttEEZZNS1_29radix_sort_onesweep_iterationIS3_Lb0EN6thrust23THRUST_200600_302600_NS6detail15normal_iteratorINS8_10device_ptrItEEEESD_SD_SD_jNS0_19identity_decomposerENS1_16block_id_wrapperIjLb1EEEEE10hipError_tT1_PNSt15iterator_traitsISI_E10value_typeET2_T3_PNSJ_ISO_E10value_typeET4_T5_PST_SU_PNS1_23onesweep_lookback_stateEbbT6_jjT7_P12ihipStream_tbENKUlT_T0_SI_SN_E_clISD_PtSD_S15_EEDaS11_S12_SI_SN_EUlS11_E_NS1_11comp_targetILNS1_3genE10ELNS1_11target_archE1201ELNS1_3gpuE5ELNS1_3repE0EEENS1_47radix_sort_onesweep_sort_config_static_selectorELNS0_4arch9wavefront6targetE1EEEvSI_: ; @_ZN7rocprim17ROCPRIM_400000_NS6detail17trampoline_kernelINS0_14default_configENS1_35radix_sort_onesweep_config_selectorIttEEZZNS1_29radix_sort_onesweep_iterationIS3_Lb0EN6thrust23THRUST_200600_302600_NS6detail15normal_iteratorINS8_10device_ptrItEEEESD_SD_SD_jNS0_19identity_decomposerENS1_16block_id_wrapperIjLb1EEEEE10hipError_tT1_PNSt15iterator_traitsISI_E10value_typeET2_T3_PNSJ_ISO_E10value_typeET4_T5_PST_SU_PNS1_23onesweep_lookback_stateEbbT6_jjT7_P12ihipStream_tbENKUlT_T0_SI_SN_E_clISD_PtSD_S15_EEDaS11_S12_SI_SN_EUlS11_E_NS1_11comp_targetILNS1_3genE10ELNS1_11target_archE1201ELNS1_3gpuE5ELNS1_3repE0EEENS1_47radix_sort_onesweep_sort_config_static_selectorELNS0_4arch9wavefront6targetE1EEEvSI_
; %bb.0:
	.section	.rodata,"a",@progbits
	.p2align	6, 0x0
	.amdhsa_kernel _ZN7rocprim17ROCPRIM_400000_NS6detail17trampoline_kernelINS0_14default_configENS1_35radix_sort_onesweep_config_selectorIttEEZZNS1_29radix_sort_onesweep_iterationIS3_Lb0EN6thrust23THRUST_200600_302600_NS6detail15normal_iteratorINS8_10device_ptrItEEEESD_SD_SD_jNS0_19identity_decomposerENS1_16block_id_wrapperIjLb1EEEEE10hipError_tT1_PNSt15iterator_traitsISI_E10value_typeET2_T3_PNSJ_ISO_E10value_typeET4_T5_PST_SU_PNS1_23onesweep_lookback_stateEbbT6_jjT7_P12ihipStream_tbENKUlT_T0_SI_SN_E_clISD_PtSD_S15_EEDaS11_S12_SI_SN_EUlS11_E_NS1_11comp_targetILNS1_3genE10ELNS1_11target_archE1201ELNS1_3gpuE5ELNS1_3repE0EEENS1_47radix_sort_onesweep_sort_config_static_selectorELNS0_4arch9wavefront6targetE1EEEvSI_
		.amdhsa_group_segment_fixed_size 0
		.amdhsa_private_segment_fixed_size 0
		.amdhsa_kernarg_size 88
		.amdhsa_user_sgpr_count 2
		.amdhsa_user_sgpr_dispatch_ptr 0
		.amdhsa_user_sgpr_queue_ptr 0
		.amdhsa_user_sgpr_kernarg_segment_ptr 1
		.amdhsa_user_sgpr_dispatch_id 0
		.amdhsa_user_sgpr_kernarg_preload_length 0
		.amdhsa_user_sgpr_kernarg_preload_offset 0
		.amdhsa_user_sgpr_private_segment_size 0
		.amdhsa_uses_dynamic_stack 0
		.amdhsa_enable_private_segment 0
		.amdhsa_system_sgpr_workgroup_id_x 1
		.amdhsa_system_sgpr_workgroup_id_y 0
		.amdhsa_system_sgpr_workgroup_id_z 0
		.amdhsa_system_sgpr_workgroup_info 0
		.amdhsa_system_vgpr_workitem_id 0
		.amdhsa_next_free_vgpr 1
		.amdhsa_next_free_sgpr 0
		.amdhsa_accum_offset 4
		.amdhsa_reserve_vcc 0
		.amdhsa_float_round_mode_32 0
		.amdhsa_float_round_mode_16_64 0
		.amdhsa_float_denorm_mode_32 3
		.amdhsa_float_denorm_mode_16_64 3
		.amdhsa_dx10_clamp 1
		.amdhsa_ieee_mode 1
		.amdhsa_fp16_overflow 0
		.amdhsa_tg_split 0
		.amdhsa_exception_fp_ieee_invalid_op 0
		.amdhsa_exception_fp_denorm_src 0
		.amdhsa_exception_fp_ieee_div_zero 0
		.amdhsa_exception_fp_ieee_overflow 0
		.amdhsa_exception_fp_ieee_underflow 0
		.amdhsa_exception_fp_ieee_inexact 0
		.amdhsa_exception_int_div_zero 0
	.end_amdhsa_kernel
	.section	.text._ZN7rocprim17ROCPRIM_400000_NS6detail17trampoline_kernelINS0_14default_configENS1_35radix_sort_onesweep_config_selectorIttEEZZNS1_29radix_sort_onesweep_iterationIS3_Lb0EN6thrust23THRUST_200600_302600_NS6detail15normal_iteratorINS8_10device_ptrItEEEESD_SD_SD_jNS0_19identity_decomposerENS1_16block_id_wrapperIjLb1EEEEE10hipError_tT1_PNSt15iterator_traitsISI_E10value_typeET2_T3_PNSJ_ISO_E10value_typeET4_T5_PST_SU_PNS1_23onesweep_lookback_stateEbbT6_jjT7_P12ihipStream_tbENKUlT_T0_SI_SN_E_clISD_PtSD_S15_EEDaS11_S12_SI_SN_EUlS11_E_NS1_11comp_targetILNS1_3genE10ELNS1_11target_archE1201ELNS1_3gpuE5ELNS1_3repE0EEENS1_47radix_sort_onesweep_sort_config_static_selectorELNS0_4arch9wavefront6targetE1EEEvSI_,"axG",@progbits,_ZN7rocprim17ROCPRIM_400000_NS6detail17trampoline_kernelINS0_14default_configENS1_35radix_sort_onesweep_config_selectorIttEEZZNS1_29radix_sort_onesweep_iterationIS3_Lb0EN6thrust23THRUST_200600_302600_NS6detail15normal_iteratorINS8_10device_ptrItEEEESD_SD_SD_jNS0_19identity_decomposerENS1_16block_id_wrapperIjLb1EEEEE10hipError_tT1_PNSt15iterator_traitsISI_E10value_typeET2_T3_PNSJ_ISO_E10value_typeET4_T5_PST_SU_PNS1_23onesweep_lookback_stateEbbT6_jjT7_P12ihipStream_tbENKUlT_T0_SI_SN_E_clISD_PtSD_S15_EEDaS11_S12_SI_SN_EUlS11_E_NS1_11comp_targetILNS1_3genE10ELNS1_11target_archE1201ELNS1_3gpuE5ELNS1_3repE0EEENS1_47radix_sort_onesweep_sort_config_static_selectorELNS0_4arch9wavefront6targetE1EEEvSI_,comdat
.Lfunc_end989:
	.size	_ZN7rocprim17ROCPRIM_400000_NS6detail17trampoline_kernelINS0_14default_configENS1_35radix_sort_onesweep_config_selectorIttEEZZNS1_29radix_sort_onesweep_iterationIS3_Lb0EN6thrust23THRUST_200600_302600_NS6detail15normal_iteratorINS8_10device_ptrItEEEESD_SD_SD_jNS0_19identity_decomposerENS1_16block_id_wrapperIjLb1EEEEE10hipError_tT1_PNSt15iterator_traitsISI_E10value_typeET2_T3_PNSJ_ISO_E10value_typeET4_T5_PST_SU_PNS1_23onesweep_lookback_stateEbbT6_jjT7_P12ihipStream_tbENKUlT_T0_SI_SN_E_clISD_PtSD_S15_EEDaS11_S12_SI_SN_EUlS11_E_NS1_11comp_targetILNS1_3genE10ELNS1_11target_archE1201ELNS1_3gpuE5ELNS1_3repE0EEENS1_47radix_sort_onesweep_sort_config_static_selectorELNS0_4arch9wavefront6targetE1EEEvSI_, .Lfunc_end989-_ZN7rocprim17ROCPRIM_400000_NS6detail17trampoline_kernelINS0_14default_configENS1_35radix_sort_onesweep_config_selectorIttEEZZNS1_29radix_sort_onesweep_iterationIS3_Lb0EN6thrust23THRUST_200600_302600_NS6detail15normal_iteratorINS8_10device_ptrItEEEESD_SD_SD_jNS0_19identity_decomposerENS1_16block_id_wrapperIjLb1EEEEE10hipError_tT1_PNSt15iterator_traitsISI_E10value_typeET2_T3_PNSJ_ISO_E10value_typeET4_T5_PST_SU_PNS1_23onesweep_lookback_stateEbbT6_jjT7_P12ihipStream_tbENKUlT_T0_SI_SN_E_clISD_PtSD_S15_EEDaS11_S12_SI_SN_EUlS11_E_NS1_11comp_targetILNS1_3genE10ELNS1_11target_archE1201ELNS1_3gpuE5ELNS1_3repE0EEENS1_47radix_sort_onesweep_sort_config_static_selectorELNS0_4arch9wavefront6targetE1EEEvSI_
                                        ; -- End function
	.set _ZN7rocprim17ROCPRIM_400000_NS6detail17trampoline_kernelINS0_14default_configENS1_35radix_sort_onesweep_config_selectorIttEEZZNS1_29radix_sort_onesweep_iterationIS3_Lb0EN6thrust23THRUST_200600_302600_NS6detail15normal_iteratorINS8_10device_ptrItEEEESD_SD_SD_jNS0_19identity_decomposerENS1_16block_id_wrapperIjLb1EEEEE10hipError_tT1_PNSt15iterator_traitsISI_E10value_typeET2_T3_PNSJ_ISO_E10value_typeET4_T5_PST_SU_PNS1_23onesweep_lookback_stateEbbT6_jjT7_P12ihipStream_tbENKUlT_T0_SI_SN_E_clISD_PtSD_S15_EEDaS11_S12_SI_SN_EUlS11_E_NS1_11comp_targetILNS1_3genE10ELNS1_11target_archE1201ELNS1_3gpuE5ELNS1_3repE0EEENS1_47radix_sort_onesweep_sort_config_static_selectorELNS0_4arch9wavefront6targetE1EEEvSI_.num_vgpr, 0
	.set _ZN7rocprim17ROCPRIM_400000_NS6detail17trampoline_kernelINS0_14default_configENS1_35radix_sort_onesweep_config_selectorIttEEZZNS1_29radix_sort_onesweep_iterationIS3_Lb0EN6thrust23THRUST_200600_302600_NS6detail15normal_iteratorINS8_10device_ptrItEEEESD_SD_SD_jNS0_19identity_decomposerENS1_16block_id_wrapperIjLb1EEEEE10hipError_tT1_PNSt15iterator_traitsISI_E10value_typeET2_T3_PNSJ_ISO_E10value_typeET4_T5_PST_SU_PNS1_23onesweep_lookback_stateEbbT6_jjT7_P12ihipStream_tbENKUlT_T0_SI_SN_E_clISD_PtSD_S15_EEDaS11_S12_SI_SN_EUlS11_E_NS1_11comp_targetILNS1_3genE10ELNS1_11target_archE1201ELNS1_3gpuE5ELNS1_3repE0EEENS1_47radix_sort_onesweep_sort_config_static_selectorELNS0_4arch9wavefront6targetE1EEEvSI_.num_agpr, 0
	.set _ZN7rocprim17ROCPRIM_400000_NS6detail17trampoline_kernelINS0_14default_configENS1_35radix_sort_onesweep_config_selectorIttEEZZNS1_29radix_sort_onesweep_iterationIS3_Lb0EN6thrust23THRUST_200600_302600_NS6detail15normal_iteratorINS8_10device_ptrItEEEESD_SD_SD_jNS0_19identity_decomposerENS1_16block_id_wrapperIjLb1EEEEE10hipError_tT1_PNSt15iterator_traitsISI_E10value_typeET2_T3_PNSJ_ISO_E10value_typeET4_T5_PST_SU_PNS1_23onesweep_lookback_stateEbbT6_jjT7_P12ihipStream_tbENKUlT_T0_SI_SN_E_clISD_PtSD_S15_EEDaS11_S12_SI_SN_EUlS11_E_NS1_11comp_targetILNS1_3genE10ELNS1_11target_archE1201ELNS1_3gpuE5ELNS1_3repE0EEENS1_47radix_sort_onesweep_sort_config_static_selectorELNS0_4arch9wavefront6targetE1EEEvSI_.numbered_sgpr, 0
	.set _ZN7rocprim17ROCPRIM_400000_NS6detail17trampoline_kernelINS0_14default_configENS1_35radix_sort_onesweep_config_selectorIttEEZZNS1_29radix_sort_onesweep_iterationIS3_Lb0EN6thrust23THRUST_200600_302600_NS6detail15normal_iteratorINS8_10device_ptrItEEEESD_SD_SD_jNS0_19identity_decomposerENS1_16block_id_wrapperIjLb1EEEEE10hipError_tT1_PNSt15iterator_traitsISI_E10value_typeET2_T3_PNSJ_ISO_E10value_typeET4_T5_PST_SU_PNS1_23onesweep_lookback_stateEbbT6_jjT7_P12ihipStream_tbENKUlT_T0_SI_SN_E_clISD_PtSD_S15_EEDaS11_S12_SI_SN_EUlS11_E_NS1_11comp_targetILNS1_3genE10ELNS1_11target_archE1201ELNS1_3gpuE5ELNS1_3repE0EEENS1_47radix_sort_onesweep_sort_config_static_selectorELNS0_4arch9wavefront6targetE1EEEvSI_.num_named_barrier, 0
	.set _ZN7rocprim17ROCPRIM_400000_NS6detail17trampoline_kernelINS0_14default_configENS1_35radix_sort_onesweep_config_selectorIttEEZZNS1_29radix_sort_onesweep_iterationIS3_Lb0EN6thrust23THRUST_200600_302600_NS6detail15normal_iteratorINS8_10device_ptrItEEEESD_SD_SD_jNS0_19identity_decomposerENS1_16block_id_wrapperIjLb1EEEEE10hipError_tT1_PNSt15iterator_traitsISI_E10value_typeET2_T3_PNSJ_ISO_E10value_typeET4_T5_PST_SU_PNS1_23onesweep_lookback_stateEbbT6_jjT7_P12ihipStream_tbENKUlT_T0_SI_SN_E_clISD_PtSD_S15_EEDaS11_S12_SI_SN_EUlS11_E_NS1_11comp_targetILNS1_3genE10ELNS1_11target_archE1201ELNS1_3gpuE5ELNS1_3repE0EEENS1_47radix_sort_onesweep_sort_config_static_selectorELNS0_4arch9wavefront6targetE1EEEvSI_.private_seg_size, 0
	.set _ZN7rocprim17ROCPRIM_400000_NS6detail17trampoline_kernelINS0_14default_configENS1_35radix_sort_onesweep_config_selectorIttEEZZNS1_29radix_sort_onesweep_iterationIS3_Lb0EN6thrust23THRUST_200600_302600_NS6detail15normal_iteratorINS8_10device_ptrItEEEESD_SD_SD_jNS0_19identity_decomposerENS1_16block_id_wrapperIjLb1EEEEE10hipError_tT1_PNSt15iterator_traitsISI_E10value_typeET2_T3_PNSJ_ISO_E10value_typeET4_T5_PST_SU_PNS1_23onesweep_lookback_stateEbbT6_jjT7_P12ihipStream_tbENKUlT_T0_SI_SN_E_clISD_PtSD_S15_EEDaS11_S12_SI_SN_EUlS11_E_NS1_11comp_targetILNS1_3genE10ELNS1_11target_archE1201ELNS1_3gpuE5ELNS1_3repE0EEENS1_47radix_sort_onesweep_sort_config_static_selectorELNS0_4arch9wavefront6targetE1EEEvSI_.uses_vcc, 0
	.set _ZN7rocprim17ROCPRIM_400000_NS6detail17trampoline_kernelINS0_14default_configENS1_35radix_sort_onesweep_config_selectorIttEEZZNS1_29radix_sort_onesweep_iterationIS3_Lb0EN6thrust23THRUST_200600_302600_NS6detail15normal_iteratorINS8_10device_ptrItEEEESD_SD_SD_jNS0_19identity_decomposerENS1_16block_id_wrapperIjLb1EEEEE10hipError_tT1_PNSt15iterator_traitsISI_E10value_typeET2_T3_PNSJ_ISO_E10value_typeET4_T5_PST_SU_PNS1_23onesweep_lookback_stateEbbT6_jjT7_P12ihipStream_tbENKUlT_T0_SI_SN_E_clISD_PtSD_S15_EEDaS11_S12_SI_SN_EUlS11_E_NS1_11comp_targetILNS1_3genE10ELNS1_11target_archE1201ELNS1_3gpuE5ELNS1_3repE0EEENS1_47radix_sort_onesweep_sort_config_static_selectorELNS0_4arch9wavefront6targetE1EEEvSI_.uses_flat_scratch, 0
	.set _ZN7rocprim17ROCPRIM_400000_NS6detail17trampoline_kernelINS0_14default_configENS1_35radix_sort_onesweep_config_selectorIttEEZZNS1_29radix_sort_onesweep_iterationIS3_Lb0EN6thrust23THRUST_200600_302600_NS6detail15normal_iteratorINS8_10device_ptrItEEEESD_SD_SD_jNS0_19identity_decomposerENS1_16block_id_wrapperIjLb1EEEEE10hipError_tT1_PNSt15iterator_traitsISI_E10value_typeET2_T3_PNSJ_ISO_E10value_typeET4_T5_PST_SU_PNS1_23onesweep_lookback_stateEbbT6_jjT7_P12ihipStream_tbENKUlT_T0_SI_SN_E_clISD_PtSD_S15_EEDaS11_S12_SI_SN_EUlS11_E_NS1_11comp_targetILNS1_3genE10ELNS1_11target_archE1201ELNS1_3gpuE5ELNS1_3repE0EEENS1_47radix_sort_onesweep_sort_config_static_selectorELNS0_4arch9wavefront6targetE1EEEvSI_.has_dyn_sized_stack, 0
	.set _ZN7rocprim17ROCPRIM_400000_NS6detail17trampoline_kernelINS0_14default_configENS1_35radix_sort_onesweep_config_selectorIttEEZZNS1_29radix_sort_onesweep_iterationIS3_Lb0EN6thrust23THRUST_200600_302600_NS6detail15normal_iteratorINS8_10device_ptrItEEEESD_SD_SD_jNS0_19identity_decomposerENS1_16block_id_wrapperIjLb1EEEEE10hipError_tT1_PNSt15iterator_traitsISI_E10value_typeET2_T3_PNSJ_ISO_E10value_typeET4_T5_PST_SU_PNS1_23onesweep_lookback_stateEbbT6_jjT7_P12ihipStream_tbENKUlT_T0_SI_SN_E_clISD_PtSD_S15_EEDaS11_S12_SI_SN_EUlS11_E_NS1_11comp_targetILNS1_3genE10ELNS1_11target_archE1201ELNS1_3gpuE5ELNS1_3repE0EEENS1_47radix_sort_onesweep_sort_config_static_selectorELNS0_4arch9wavefront6targetE1EEEvSI_.has_recursion, 0
	.set _ZN7rocprim17ROCPRIM_400000_NS6detail17trampoline_kernelINS0_14default_configENS1_35radix_sort_onesweep_config_selectorIttEEZZNS1_29radix_sort_onesweep_iterationIS3_Lb0EN6thrust23THRUST_200600_302600_NS6detail15normal_iteratorINS8_10device_ptrItEEEESD_SD_SD_jNS0_19identity_decomposerENS1_16block_id_wrapperIjLb1EEEEE10hipError_tT1_PNSt15iterator_traitsISI_E10value_typeET2_T3_PNSJ_ISO_E10value_typeET4_T5_PST_SU_PNS1_23onesweep_lookback_stateEbbT6_jjT7_P12ihipStream_tbENKUlT_T0_SI_SN_E_clISD_PtSD_S15_EEDaS11_S12_SI_SN_EUlS11_E_NS1_11comp_targetILNS1_3genE10ELNS1_11target_archE1201ELNS1_3gpuE5ELNS1_3repE0EEENS1_47radix_sort_onesweep_sort_config_static_selectorELNS0_4arch9wavefront6targetE1EEEvSI_.has_indirect_call, 0
	.section	.AMDGPU.csdata,"",@progbits
; Kernel info:
; codeLenInByte = 0
; TotalNumSgprs: 6
; NumVgprs: 0
; NumAgprs: 0
; TotalNumVgprs: 0
; ScratchSize: 0
; MemoryBound: 0
; FloatMode: 240
; IeeeMode: 1
; LDSByteSize: 0 bytes/workgroup (compile time only)
; SGPRBlocks: 0
; VGPRBlocks: 0
; NumSGPRsForWavesPerEU: 6
; NumVGPRsForWavesPerEU: 1
; AccumOffset: 4
; Occupancy: 8
; WaveLimiterHint : 0
; COMPUTE_PGM_RSRC2:SCRATCH_EN: 0
; COMPUTE_PGM_RSRC2:USER_SGPR: 2
; COMPUTE_PGM_RSRC2:TRAP_HANDLER: 0
; COMPUTE_PGM_RSRC2:TGID_X_EN: 1
; COMPUTE_PGM_RSRC2:TGID_Y_EN: 0
; COMPUTE_PGM_RSRC2:TGID_Z_EN: 0
; COMPUTE_PGM_RSRC2:TIDIG_COMP_CNT: 0
; COMPUTE_PGM_RSRC3_GFX90A:ACCUM_OFFSET: 0
; COMPUTE_PGM_RSRC3_GFX90A:TG_SPLIT: 0
	.section	.text._ZN7rocprim17ROCPRIM_400000_NS6detail17trampoline_kernelINS0_14default_configENS1_35radix_sort_onesweep_config_selectorIttEEZZNS1_29radix_sort_onesweep_iterationIS3_Lb0EN6thrust23THRUST_200600_302600_NS6detail15normal_iteratorINS8_10device_ptrItEEEESD_SD_SD_jNS0_19identity_decomposerENS1_16block_id_wrapperIjLb1EEEEE10hipError_tT1_PNSt15iterator_traitsISI_E10value_typeET2_T3_PNSJ_ISO_E10value_typeET4_T5_PST_SU_PNS1_23onesweep_lookback_stateEbbT6_jjT7_P12ihipStream_tbENKUlT_T0_SI_SN_E_clISD_PtSD_S15_EEDaS11_S12_SI_SN_EUlS11_E_NS1_11comp_targetILNS1_3genE9ELNS1_11target_archE1100ELNS1_3gpuE3ELNS1_3repE0EEENS1_47radix_sort_onesweep_sort_config_static_selectorELNS0_4arch9wavefront6targetE1EEEvSI_,"axG",@progbits,_ZN7rocprim17ROCPRIM_400000_NS6detail17trampoline_kernelINS0_14default_configENS1_35radix_sort_onesweep_config_selectorIttEEZZNS1_29radix_sort_onesweep_iterationIS3_Lb0EN6thrust23THRUST_200600_302600_NS6detail15normal_iteratorINS8_10device_ptrItEEEESD_SD_SD_jNS0_19identity_decomposerENS1_16block_id_wrapperIjLb1EEEEE10hipError_tT1_PNSt15iterator_traitsISI_E10value_typeET2_T3_PNSJ_ISO_E10value_typeET4_T5_PST_SU_PNS1_23onesweep_lookback_stateEbbT6_jjT7_P12ihipStream_tbENKUlT_T0_SI_SN_E_clISD_PtSD_S15_EEDaS11_S12_SI_SN_EUlS11_E_NS1_11comp_targetILNS1_3genE9ELNS1_11target_archE1100ELNS1_3gpuE3ELNS1_3repE0EEENS1_47radix_sort_onesweep_sort_config_static_selectorELNS0_4arch9wavefront6targetE1EEEvSI_,comdat
	.protected	_ZN7rocprim17ROCPRIM_400000_NS6detail17trampoline_kernelINS0_14default_configENS1_35radix_sort_onesweep_config_selectorIttEEZZNS1_29radix_sort_onesweep_iterationIS3_Lb0EN6thrust23THRUST_200600_302600_NS6detail15normal_iteratorINS8_10device_ptrItEEEESD_SD_SD_jNS0_19identity_decomposerENS1_16block_id_wrapperIjLb1EEEEE10hipError_tT1_PNSt15iterator_traitsISI_E10value_typeET2_T3_PNSJ_ISO_E10value_typeET4_T5_PST_SU_PNS1_23onesweep_lookback_stateEbbT6_jjT7_P12ihipStream_tbENKUlT_T0_SI_SN_E_clISD_PtSD_S15_EEDaS11_S12_SI_SN_EUlS11_E_NS1_11comp_targetILNS1_3genE9ELNS1_11target_archE1100ELNS1_3gpuE3ELNS1_3repE0EEENS1_47radix_sort_onesweep_sort_config_static_selectorELNS0_4arch9wavefront6targetE1EEEvSI_ ; -- Begin function _ZN7rocprim17ROCPRIM_400000_NS6detail17trampoline_kernelINS0_14default_configENS1_35radix_sort_onesweep_config_selectorIttEEZZNS1_29radix_sort_onesweep_iterationIS3_Lb0EN6thrust23THRUST_200600_302600_NS6detail15normal_iteratorINS8_10device_ptrItEEEESD_SD_SD_jNS0_19identity_decomposerENS1_16block_id_wrapperIjLb1EEEEE10hipError_tT1_PNSt15iterator_traitsISI_E10value_typeET2_T3_PNSJ_ISO_E10value_typeET4_T5_PST_SU_PNS1_23onesweep_lookback_stateEbbT6_jjT7_P12ihipStream_tbENKUlT_T0_SI_SN_E_clISD_PtSD_S15_EEDaS11_S12_SI_SN_EUlS11_E_NS1_11comp_targetILNS1_3genE9ELNS1_11target_archE1100ELNS1_3gpuE3ELNS1_3repE0EEENS1_47radix_sort_onesweep_sort_config_static_selectorELNS0_4arch9wavefront6targetE1EEEvSI_
	.globl	_ZN7rocprim17ROCPRIM_400000_NS6detail17trampoline_kernelINS0_14default_configENS1_35radix_sort_onesweep_config_selectorIttEEZZNS1_29radix_sort_onesweep_iterationIS3_Lb0EN6thrust23THRUST_200600_302600_NS6detail15normal_iteratorINS8_10device_ptrItEEEESD_SD_SD_jNS0_19identity_decomposerENS1_16block_id_wrapperIjLb1EEEEE10hipError_tT1_PNSt15iterator_traitsISI_E10value_typeET2_T3_PNSJ_ISO_E10value_typeET4_T5_PST_SU_PNS1_23onesweep_lookback_stateEbbT6_jjT7_P12ihipStream_tbENKUlT_T0_SI_SN_E_clISD_PtSD_S15_EEDaS11_S12_SI_SN_EUlS11_E_NS1_11comp_targetILNS1_3genE9ELNS1_11target_archE1100ELNS1_3gpuE3ELNS1_3repE0EEENS1_47radix_sort_onesweep_sort_config_static_selectorELNS0_4arch9wavefront6targetE1EEEvSI_
	.p2align	8
	.type	_ZN7rocprim17ROCPRIM_400000_NS6detail17trampoline_kernelINS0_14default_configENS1_35radix_sort_onesweep_config_selectorIttEEZZNS1_29radix_sort_onesweep_iterationIS3_Lb0EN6thrust23THRUST_200600_302600_NS6detail15normal_iteratorINS8_10device_ptrItEEEESD_SD_SD_jNS0_19identity_decomposerENS1_16block_id_wrapperIjLb1EEEEE10hipError_tT1_PNSt15iterator_traitsISI_E10value_typeET2_T3_PNSJ_ISO_E10value_typeET4_T5_PST_SU_PNS1_23onesweep_lookback_stateEbbT6_jjT7_P12ihipStream_tbENKUlT_T0_SI_SN_E_clISD_PtSD_S15_EEDaS11_S12_SI_SN_EUlS11_E_NS1_11comp_targetILNS1_3genE9ELNS1_11target_archE1100ELNS1_3gpuE3ELNS1_3repE0EEENS1_47radix_sort_onesweep_sort_config_static_selectorELNS0_4arch9wavefront6targetE1EEEvSI_,@function
_ZN7rocprim17ROCPRIM_400000_NS6detail17trampoline_kernelINS0_14default_configENS1_35radix_sort_onesweep_config_selectorIttEEZZNS1_29radix_sort_onesweep_iterationIS3_Lb0EN6thrust23THRUST_200600_302600_NS6detail15normal_iteratorINS8_10device_ptrItEEEESD_SD_SD_jNS0_19identity_decomposerENS1_16block_id_wrapperIjLb1EEEEE10hipError_tT1_PNSt15iterator_traitsISI_E10value_typeET2_T3_PNSJ_ISO_E10value_typeET4_T5_PST_SU_PNS1_23onesweep_lookback_stateEbbT6_jjT7_P12ihipStream_tbENKUlT_T0_SI_SN_E_clISD_PtSD_S15_EEDaS11_S12_SI_SN_EUlS11_E_NS1_11comp_targetILNS1_3genE9ELNS1_11target_archE1100ELNS1_3gpuE3ELNS1_3repE0EEENS1_47radix_sort_onesweep_sort_config_static_selectorELNS0_4arch9wavefront6targetE1EEEvSI_: ; @_ZN7rocprim17ROCPRIM_400000_NS6detail17trampoline_kernelINS0_14default_configENS1_35radix_sort_onesweep_config_selectorIttEEZZNS1_29radix_sort_onesweep_iterationIS3_Lb0EN6thrust23THRUST_200600_302600_NS6detail15normal_iteratorINS8_10device_ptrItEEEESD_SD_SD_jNS0_19identity_decomposerENS1_16block_id_wrapperIjLb1EEEEE10hipError_tT1_PNSt15iterator_traitsISI_E10value_typeET2_T3_PNSJ_ISO_E10value_typeET4_T5_PST_SU_PNS1_23onesweep_lookback_stateEbbT6_jjT7_P12ihipStream_tbENKUlT_T0_SI_SN_E_clISD_PtSD_S15_EEDaS11_S12_SI_SN_EUlS11_E_NS1_11comp_targetILNS1_3genE9ELNS1_11target_archE1100ELNS1_3gpuE3ELNS1_3repE0EEENS1_47radix_sort_onesweep_sort_config_static_selectorELNS0_4arch9wavefront6targetE1EEEvSI_
; %bb.0:
	.section	.rodata,"a",@progbits
	.p2align	6, 0x0
	.amdhsa_kernel _ZN7rocprim17ROCPRIM_400000_NS6detail17trampoline_kernelINS0_14default_configENS1_35radix_sort_onesweep_config_selectorIttEEZZNS1_29radix_sort_onesweep_iterationIS3_Lb0EN6thrust23THRUST_200600_302600_NS6detail15normal_iteratorINS8_10device_ptrItEEEESD_SD_SD_jNS0_19identity_decomposerENS1_16block_id_wrapperIjLb1EEEEE10hipError_tT1_PNSt15iterator_traitsISI_E10value_typeET2_T3_PNSJ_ISO_E10value_typeET4_T5_PST_SU_PNS1_23onesweep_lookback_stateEbbT6_jjT7_P12ihipStream_tbENKUlT_T0_SI_SN_E_clISD_PtSD_S15_EEDaS11_S12_SI_SN_EUlS11_E_NS1_11comp_targetILNS1_3genE9ELNS1_11target_archE1100ELNS1_3gpuE3ELNS1_3repE0EEENS1_47radix_sort_onesweep_sort_config_static_selectorELNS0_4arch9wavefront6targetE1EEEvSI_
		.amdhsa_group_segment_fixed_size 0
		.amdhsa_private_segment_fixed_size 0
		.amdhsa_kernarg_size 88
		.amdhsa_user_sgpr_count 2
		.amdhsa_user_sgpr_dispatch_ptr 0
		.amdhsa_user_sgpr_queue_ptr 0
		.amdhsa_user_sgpr_kernarg_segment_ptr 1
		.amdhsa_user_sgpr_dispatch_id 0
		.amdhsa_user_sgpr_kernarg_preload_length 0
		.amdhsa_user_sgpr_kernarg_preload_offset 0
		.amdhsa_user_sgpr_private_segment_size 0
		.amdhsa_uses_dynamic_stack 0
		.amdhsa_enable_private_segment 0
		.amdhsa_system_sgpr_workgroup_id_x 1
		.amdhsa_system_sgpr_workgroup_id_y 0
		.amdhsa_system_sgpr_workgroup_id_z 0
		.amdhsa_system_sgpr_workgroup_info 0
		.amdhsa_system_vgpr_workitem_id 0
		.amdhsa_next_free_vgpr 1
		.amdhsa_next_free_sgpr 0
		.amdhsa_accum_offset 4
		.amdhsa_reserve_vcc 0
		.amdhsa_float_round_mode_32 0
		.amdhsa_float_round_mode_16_64 0
		.amdhsa_float_denorm_mode_32 3
		.amdhsa_float_denorm_mode_16_64 3
		.amdhsa_dx10_clamp 1
		.amdhsa_ieee_mode 1
		.amdhsa_fp16_overflow 0
		.amdhsa_tg_split 0
		.amdhsa_exception_fp_ieee_invalid_op 0
		.amdhsa_exception_fp_denorm_src 0
		.amdhsa_exception_fp_ieee_div_zero 0
		.amdhsa_exception_fp_ieee_overflow 0
		.amdhsa_exception_fp_ieee_underflow 0
		.amdhsa_exception_fp_ieee_inexact 0
		.amdhsa_exception_int_div_zero 0
	.end_amdhsa_kernel
	.section	.text._ZN7rocprim17ROCPRIM_400000_NS6detail17trampoline_kernelINS0_14default_configENS1_35radix_sort_onesweep_config_selectorIttEEZZNS1_29radix_sort_onesweep_iterationIS3_Lb0EN6thrust23THRUST_200600_302600_NS6detail15normal_iteratorINS8_10device_ptrItEEEESD_SD_SD_jNS0_19identity_decomposerENS1_16block_id_wrapperIjLb1EEEEE10hipError_tT1_PNSt15iterator_traitsISI_E10value_typeET2_T3_PNSJ_ISO_E10value_typeET4_T5_PST_SU_PNS1_23onesweep_lookback_stateEbbT6_jjT7_P12ihipStream_tbENKUlT_T0_SI_SN_E_clISD_PtSD_S15_EEDaS11_S12_SI_SN_EUlS11_E_NS1_11comp_targetILNS1_3genE9ELNS1_11target_archE1100ELNS1_3gpuE3ELNS1_3repE0EEENS1_47radix_sort_onesweep_sort_config_static_selectorELNS0_4arch9wavefront6targetE1EEEvSI_,"axG",@progbits,_ZN7rocprim17ROCPRIM_400000_NS6detail17trampoline_kernelINS0_14default_configENS1_35radix_sort_onesweep_config_selectorIttEEZZNS1_29radix_sort_onesweep_iterationIS3_Lb0EN6thrust23THRUST_200600_302600_NS6detail15normal_iteratorINS8_10device_ptrItEEEESD_SD_SD_jNS0_19identity_decomposerENS1_16block_id_wrapperIjLb1EEEEE10hipError_tT1_PNSt15iterator_traitsISI_E10value_typeET2_T3_PNSJ_ISO_E10value_typeET4_T5_PST_SU_PNS1_23onesweep_lookback_stateEbbT6_jjT7_P12ihipStream_tbENKUlT_T0_SI_SN_E_clISD_PtSD_S15_EEDaS11_S12_SI_SN_EUlS11_E_NS1_11comp_targetILNS1_3genE9ELNS1_11target_archE1100ELNS1_3gpuE3ELNS1_3repE0EEENS1_47radix_sort_onesweep_sort_config_static_selectorELNS0_4arch9wavefront6targetE1EEEvSI_,comdat
.Lfunc_end990:
	.size	_ZN7rocprim17ROCPRIM_400000_NS6detail17trampoline_kernelINS0_14default_configENS1_35radix_sort_onesweep_config_selectorIttEEZZNS1_29radix_sort_onesweep_iterationIS3_Lb0EN6thrust23THRUST_200600_302600_NS6detail15normal_iteratorINS8_10device_ptrItEEEESD_SD_SD_jNS0_19identity_decomposerENS1_16block_id_wrapperIjLb1EEEEE10hipError_tT1_PNSt15iterator_traitsISI_E10value_typeET2_T3_PNSJ_ISO_E10value_typeET4_T5_PST_SU_PNS1_23onesweep_lookback_stateEbbT6_jjT7_P12ihipStream_tbENKUlT_T0_SI_SN_E_clISD_PtSD_S15_EEDaS11_S12_SI_SN_EUlS11_E_NS1_11comp_targetILNS1_3genE9ELNS1_11target_archE1100ELNS1_3gpuE3ELNS1_3repE0EEENS1_47radix_sort_onesweep_sort_config_static_selectorELNS0_4arch9wavefront6targetE1EEEvSI_, .Lfunc_end990-_ZN7rocprim17ROCPRIM_400000_NS6detail17trampoline_kernelINS0_14default_configENS1_35radix_sort_onesweep_config_selectorIttEEZZNS1_29radix_sort_onesweep_iterationIS3_Lb0EN6thrust23THRUST_200600_302600_NS6detail15normal_iteratorINS8_10device_ptrItEEEESD_SD_SD_jNS0_19identity_decomposerENS1_16block_id_wrapperIjLb1EEEEE10hipError_tT1_PNSt15iterator_traitsISI_E10value_typeET2_T3_PNSJ_ISO_E10value_typeET4_T5_PST_SU_PNS1_23onesweep_lookback_stateEbbT6_jjT7_P12ihipStream_tbENKUlT_T0_SI_SN_E_clISD_PtSD_S15_EEDaS11_S12_SI_SN_EUlS11_E_NS1_11comp_targetILNS1_3genE9ELNS1_11target_archE1100ELNS1_3gpuE3ELNS1_3repE0EEENS1_47radix_sort_onesweep_sort_config_static_selectorELNS0_4arch9wavefront6targetE1EEEvSI_
                                        ; -- End function
	.set _ZN7rocprim17ROCPRIM_400000_NS6detail17trampoline_kernelINS0_14default_configENS1_35radix_sort_onesweep_config_selectorIttEEZZNS1_29radix_sort_onesweep_iterationIS3_Lb0EN6thrust23THRUST_200600_302600_NS6detail15normal_iteratorINS8_10device_ptrItEEEESD_SD_SD_jNS0_19identity_decomposerENS1_16block_id_wrapperIjLb1EEEEE10hipError_tT1_PNSt15iterator_traitsISI_E10value_typeET2_T3_PNSJ_ISO_E10value_typeET4_T5_PST_SU_PNS1_23onesweep_lookback_stateEbbT6_jjT7_P12ihipStream_tbENKUlT_T0_SI_SN_E_clISD_PtSD_S15_EEDaS11_S12_SI_SN_EUlS11_E_NS1_11comp_targetILNS1_3genE9ELNS1_11target_archE1100ELNS1_3gpuE3ELNS1_3repE0EEENS1_47radix_sort_onesweep_sort_config_static_selectorELNS0_4arch9wavefront6targetE1EEEvSI_.num_vgpr, 0
	.set _ZN7rocprim17ROCPRIM_400000_NS6detail17trampoline_kernelINS0_14default_configENS1_35radix_sort_onesweep_config_selectorIttEEZZNS1_29radix_sort_onesweep_iterationIS3_Lb0EN6thrust23THRUST_200600_302600_NS6detail15normal_iteratorINS8_10device_ptrItEEEESD_SD_SD_jNS0_19identity_decomposerENS1_16block_id_wrapperIjLb1EEEEE10hipError_tT1_PNSt15iterator_traitsISI_E10value_typeET2_T3_PNSJ_ISO_E10value_typeET4_T5_PST_SU_PNS1_23onesweep_lookback_stateEbbT6_jjT7_P12ihipStream_tbENKUlT_T0_SI_SN_E_clISD_PtSD_S15_EEDaS11_S12_SI_SN_EUlS11_E_NS1_11comp_targetILNS1_3genE9ELNS1_11target_archE1100ELNS1_3gpuE3ELNS1_3repE0EEENS1_47radix_sort_onesweep_sort_config_static_selectorELNS0_4arch9wavefront6targetE1EEEvSI_.num_agpr, 0
	.set _ZN7rocprim17ROCPRIM_400000_NS6detail17trampoline_kernelINS0_14default_configENS1_35radix_sort_onesweep_config_selectorIttEEZZNS1_29radix_sort_onesweep_iterationIS3_Lb0EN6thrust23THRUST_200600_302600_NS6detail15normal_iteratorINS8_10device_ptrItEEEESD_SD_SD_jNS0_19identity_decomposerENS1_16block_id_wrapperIjLb1EEEEE10hipError_tT1_PNSt15iterator_traitsISI_E10value_typeET2_T3_PNSJ_ISO_E10value_typeET4_T5_PST_SU_PNS1_23onesweep_lookback_stateEbbT6_jjT7_P12ihipStream_tbENKUlT_T0_SI_SN_E_clISD_PtSD_S15_EEDaS11_S12_SI_SN_EUlS11_E_NS1_11comp_targetILNS1_3genE9ELNS1_11target_archE1100ELNS1_3gpuE3ELNS1_3repE0EEENS1_47radix_sort_onesweep_sort_config_static_selectorELNS0_4arch9wavefront6targetE1EEEvSI_.numbered_sgpr, 0
	.set _ZN7rocprim17ROCPRIM_400000_NS6detail17trampoline_kernelINS0_14default_configENS1_35radix_sort_onesweep_config_selectorIttEEZZNS1_29radix_sort_onesweep_iterationIS3_Lb0EN6thrust23THRUST_200600_302600_NS6detail15normal_iteratorINS8_10device_ptrItEEEESD_SD_SD_jNS0_19identity_decomposerENS1_16block_id_wrapperIjLb1EEEEE10hipError_tT1_PNSt15iterator_traitsISI_E10value_typeET2_T3_PNSJ_ISO_E10value_typeET4_T5_PST_SU_PNS1_23onesweep_lookback_stateEbbT6_jjT7_P12ihipStream_tbENKUlT_T0_SI_SN_E_clISD_PtSD_S15_EEDaS11_S12_SI_SN_EUlS11_E_NS1_11comp_targetILNS1_3genE9ELNS1_11target_archE1100ELNS1_3gpuE3ELNS1_3repE0EEENS1_47radix_sort_onesweep_sort_config_static_selectorELNS0_4arch9wavefront6targetE1EEEvSI_.num_named_barrier, 0
	.set _ZN7rocprim17ROCPRIM_400000_NS6detail17trampoline_kernelINS0_14default_configENS1_35radix_sort_onesweep_config_selectorIttEEZZNS1_29radix_sort_onesweep_iterationIS3_Lb0EN6thrust23THRUST_200600_302600_NS6detail15normal_iteratorINS8_10device_ptrItEEEESD_SD_SD_jNS0_19identity_decomposerENS1_16block_id_wrapperIjLb1EEEEE10hipError_tT1_PNSt15iterator_traitsISI_E10value_typeET2_T3_PNSJ_ISO_E10value_typeET4_T5_PST_SU_PNS1_23onesweep_lookback_stateEbbT6_jjT7_P12ihipStream_tbENKUlT_T0_SI_SN_E_clISD_PtSD_S15_EEDaS11_S12_SI_SN_EUlS11_E_NS1_11comp_targetILNS1_3genE9ELNS1_11target_archE1100ELNS1_3gpuE3ELNS1_3repE0EEENS1_47radix_sort_onesweep_sort_config_static_selectorELNS0_4arch9wavefront6targetE1EEEvSI_.private_seg_size, 0
	.set _ZN7rocprim17ROCPRIM_400000_NS6detail17trampoline_kernelINS0_14default_configENS1_35radix_sort_onesweep_config_selectorIttEEZZNS1_29radix_sort_onesweep_iterationIS3_Lb0EN6thrust23THRUST_200600_302600_NS6detail15normal_iteratorINS8_10device_ptrItEEEESD_SD_SD_jNS0_19identity_decomposerENS1_16block_id_wrapperIjLb1EEEEE10hipError_tT1_PNSt15iterator_traitsISI_E10value_typeET2_T3_PNSJ_ISO_E10value_typeET4_T5_PST_SU_PNS1_23onesweep_lookback_stateEbbT6_jjT7_P12ihipStream_tbENKUlT_T0_SI_SN_E_clISD_PtSD_S15_EEDaS11_S12_SI_SN_EUlS11_E_NS1_11comp_targetILNS1_3genE9ELNS1_11target_archE1100ELNS1_3gpuE3ELNS1_3repE0EEENS1_47radix_sort_onesweep_sort_config_static_selectorELNS0_4arch9wavefront6targetE1EEEvSI_.uses_vcc, 0
	.set _ZN7rocprim17ROCPRIM_400000_NS6detail17trampoline_kernelINS0_14default_configENS1_35radix_sort_onesweep_config_selectorIttEEZZNS1_29radix_sort_onesweep_iterationIS3_Lb0EN6thrust23THRUST_200600_302600_NS6detail15normal_iteratorINS8_10device_ptrItEEEESD_SD_SD_jNS0_19identity_decomposerENS1_16block_id_wrapperIjLb1EEEEE10hipError_tT1_PNSt15iterator_traitsISI_E10value_typeET2_T3_PNSJ_ISO_E10value_typeET4_T5_PST_SU_PNS1_23onesweep_lookback_stateEbbT6_jjT7_P12ihipStream_tbENKUlT_T0_SI_SN_E_clISD_PtSD_S15_EEDaS11_S12_SI_SN_EUlS11_E_NS1_11comp_targetILNS1_3genE9ELNS1_11target_archE1100ELNS1_3gpuE3ELNS1_3repE0EEENS1_47radix_sort_onesweep_sort_config_static_selectorELNS0_4arch9wavefront6targetE1EEEvSI_.uses_flat_scratch, 0
	.set _ZN7rocprim17ROCPRIM_400000_NS6detail17trampoline_kernelINS0_14default_configENS1_35radix_sort_onesweep_config_selectorIttEEZZNS1_29radix_sort_onesweep_iterationIS3_Lb0EN6thrust23THRUST_200600_302600_NS6detail15normal_iteratorINS8_10device_ptrItEEEESD_SD_SD_jNS0_19identity_decomposerENS1_16block_id_wrapperIjLb1EEEEE10hipError_tT1_PNSt15iterator_traitsISI_E10value_typeET2_T3_PNSJ_ISO_E10value_typeET4_T5_PST_SU_PNS1_23onesweep_lookback_stateEbbT6_jjT7_P12ihipStream_tbENKUlT_T0_SI_SN_E_clISD_PtSD_S15_EEDaS11_S12_SI_SN_EUlS11_E_NS1_11comp_targetILNS1_3genE9ELNS1_11target_archE1100ELNS1_3gpuE3ELNS1_3repE0EEENS1_47radix_sort_onesweep_sort_config_static_selectorELNS0_4arch9wavefront6targetE1EEEvSI_.has_dyn_sized_stack, 0
	.set _ZN7rocprim17ROCPRIM_400000_NS6detail17trampoline_kernelINS0_14default_configENS1_35radix_sort_onesweep_config_selectorIttEEZZNS1_29radix_sort_onesweep_iterationIS3_Lb0EN6thrust23THRUST_200600_302600_NS6detail15normal_iteratorINS8_10device_ptrItEEEESD_SD_SD_jNS0_19identity_decomposerENS1_16block_id_wrapperIjLb1EEEEE10hipError_tT1_PNSt15iterator_traitsISI_E10value_typeET2_T3_PNSJ_ISO_E10value_typeET4_T5_PST_SU_PNS1_23onesweep_lookback_stateEbbT6_jjT7_P12ihipStream_tbENKUlT_T0_SI_SN_E_clISD_PtSD_S15_EEDaS11_S12_SI_SN_EUlS11_E_NS1_11comp_targetILNS1_3genE9ELNS1_11target_archE1100ELNS1_3gpuE3ELNS1_3repE0EEENS1_47radix_sort_onesweep_sort_config_static_selectorELNS0_4arch9wavefront6targetE1EEEvSI_.has_recursion, 0
	.set _ZN7rocprim17ROCPRIM_400000_NS6detail17trampoline_kernelINS0_14default_configENS1_35radix_sort_onesweep_config_selectorIttEEZZNS1_29radix_sort_onesweep_iterationIS3_Lb0EN6thrust23THRUST_200600_302600_NS6detail15normal_iteratorINS8_10device_ptrItEEEESD_SD_SD_jNS0_19identity_decomposerENS1_16block_id_wrapperIjLb1EEEEE10hipError_tT1_PNSt15iterator_traitsISI_E10value_typeET2_T3_PNSJ_ISO_E10value_typeET4_T5_PST_SU_PNS1_23onesweep_lookback_stateEbbT6_jjT7_P12ihipStream_tbENKUlT_T0_SI_SN_E_clISD_PtSD_S15_EEDaS11_S12_SI_SN_EUlS11_E_NS1_11comp_targetILNS1_3genE9ELNS1_11target_archE1100ELNS1_3gpuE3ELNS1_3repE0EEENS1_47radix_sort_onesweep_sort_config_static_selectorELNS0_4arch9wavefront6targetE1EEEvSI_.has_indirect_call, 0
	.section	.AMDGPU.csdata,"",@progbits
; Kernel info:
; codeLenInByte = 0
; TotalNumSgprs: 6
; NumVgprs: 0
; NumAgprs: 0
; TotalNumVgprs: 0
; ScratchSize: 0
; MemoryBound: 0
; FloatMode: 240
; IeeeMode: 1
; LDSByteSize: 0 bytes/workgroup (compile time only)
; SGPRBlocks: 0
; VGPRBlocks: 0
; NumSGPRsForWavesPerEU: 6
; NumVGPRsForWavesPerEU: 1
; AccumOffset: 4
; Occupancy: 8
; WaveLimiterHint : 0
; COMPUTE_PGM_RSRC2:SCRATCH_EN: 0
; COMPUTE_PGM_RSRC2:USER_SGPR: 2
; COMPUTE_PGM_RSRC2:TRAP_HANDLER: 0
; COMPUTE_PGM_RSRC2:TGID_X_EN: 1
; COMPUTE_PGM_RSRC2:TGID_Y_EN: 0
; COMPUTE_PGM_RSRC2:TGID_Z_EN: 0
; COMPUTE_PGM_RSRC2:TIDIG_COMP_CNT: 0
; COMPUTE_PGM_RSRC3_GFX90A:ACCUM_OFFSET: 0
; COMPUTE_PGM_RSRC3_GFX90A:TG_SPLIT: 0
	.section	.text._ZN7rocprim17ROCPRIM_400000_NS6detail17trampoline_kernelINS0_14default_configENS1_35radix_sort_onesweep_config_selectorIttEEZZNS1_29radix_sort_onesweep_iterationIS3_Lb0EN6thrust23THRUST_200600_302600_NS6detail15normal_iteratorINS8_10device_ptrItEEEESD_SD_SD_jNS0_19identity_decomposerENS1_16block_id_wrapperIjLb1EEEEE10hipError_tT1_PNSt15iterator_traitsISI_E10value_typeET2_T3_PNSJ_ISO_E10value_typeET4_T5_PST_SU_PNS1_23onesweep_lookback_stateEbbT6_jjT7_P12ihipStream_tbENKUlT_T0_SI_SN_E_clISD_PtSD_S15_EEDaS11_S12_SI_SN_EUlS11_E_NS1_11comp_targetILNS1_3genE8ELNS1_11target_archE1030ELNS1_3gpuE2ELNS1_3repE0EEENS1_47radix_sort_onesweep_sort_config_static_selectorELNS0_4arch9wavefront6targetE1EEEvSI_,"axG",@progbits,_ZN7rocprim17ROCPRIM_400000_NS6detail17trampoline_kernelINS0_14default_configENS1_35radix_sort_onesweep_config_selectorIttEEZZNS1_29radix_sort_onesweep_iterationIS3_Lb0EN6thrust23THRUST_200600_302600_NS6detail15normal_iteratorINS8_10device_ptrItEEEESD_SD_SD_jNS0_19identity_decomposerENS1_16block_id_wrapperIjLb1EEEEE10hipError_tT1_PNSt15iterator_traitsISI_E10value_typeET2_T3_PNSJ_ISO_E10value_typeET4_T5_PST_SU_PNS1_23onesweep_lookback_stateEbbT6_jjT7_P12ihipStream_tbENKUlT_T0_SI_SN_E_clISD_PtSD_S15_EEDaS11_S12_SI_SN_EUlS11_E_NS1_11comp_targetILNS1_3genE8ELNS1_11target_archE1030ELNS1_3gpuE2ELNS1_3repE0EEENS1_47radix_sort_onesweep_sort_config_static_selectorELNS0_4arch9wavefront6targetE1EEEvSI_,comdat
	.protected	_ZN7rocprim17ROCPRIM_400000_NS6detail17trampoline_kernelINS0_14default_configENS1_35radix_sort_onesweep_config_selectorIttEEZZNS1_29radix_sort_onesweep_iterationIS3_Lb0EN6thrust23THRUST_200600_302600_NS6detail15normal_iteratorINS8_10device_ptrItEEEESD_SD_SD_jNS0_19identity_decomposerENS1_16block_id_wrapperIjLb1EEEEE10hipError_tT1_PNSt15iterator_traitsISI_E10value_typeET2_T3_PNSJ_ISO_E10value_typeET4_T5_PST_SU_PNS1_23onesweep_lookback_stateEbbT6_jjT7_P12ihipStream_tbENKUlT_T0_SI_SN_E_clISD_PtSD_S15_EEDaS11_S12_SI_SN_EUlS11_E_NS1_11comp_targetILNS1_3genE8ELNS1_11target_archE1030ELNS1_3gpuE2ELNS1_3repE0EEENS1_47radix_sort_onesweep_sort_config_static_selectorELNS0_4arch9wavefront6targetE1EEEvSI_ ; -- Begin function _ZN7rocprim17ROCPRIM_400000_NS6detail17trampoline_kernelINS0_14default_configENS1_35radix_sort_onesweep_config_selectorIttEEZZNS1_29radix_sort_onesweep_iterationIS3_Lb0EN6thrust23THRUST_200600_302600_NS6detail15normal_iteratorINS8_10device_ptrItEEEESD_SD_SD_jNS0_19identity_decomposerENS1_16block_id_wrapperIjLb1EEEEE10hipError_tT1_PNSt15iterator_traitsISI_E10value_typeET2_T3_PNSJ_ISO_E10value_typeET4_T5_PST_SU_PNS1_23onesweep_lookback_stateEbbT6_jjT7_P12ihipStream_tbENKUlT_T0_SI_SN_E_clISD_PtSD_S15_EEDaS11_S12_SI_SN_EUlS11_E_NS1_11comp_targetILNS1_3genE8ELNS1_11target_archE1030ELNS1_3gpuE2ELNS1_3repE0EEENS1_47radix_sort_onesweep_sort_config_static_selectorELNS0_4arch9wavefront6targetE1EEEvSI_
	.globl	_ZN7rocprim17ROCPRIM_400000_NS6detail17trampoline_kernelINS0_14default_configENS1_35radix_sort_onesweep_config_selectorIttEEZZNS1_29radix_sort_onesweep_iterationIS3_Lb0EN6thrust23THRUST_200600_302600_NS6detail15normal_iteratorINS8_10device_ptrItEEEESD_SD_SD_jNS0_19identity_decomposerENS1_16block_id_wrapperIjLb1EEEEE10hipError_tT1_PNSt15iterator_traitsISI_E10value_typeET2_T3_PNSJ_ISO_E10value_typeET4_T5_PST_SU_PNS1_23onesweep_lookback_stateEbbT6_jjT7_P12ihipStream_tbENKUlT_T0_SI_SN_E_clISD_PtSD_S15_EEDaS11_S12_SI_SN_EUlS11_E_NS1_11comp_targetILNS1_3genE8ELNS1_11target_archE1030ELNS1_3gpuE2ELNS1_3repE0EEENS1_47radix_sort_onesweep_sort_config_static_selectorELNS0_4arch9wavefront6targetE1EEEvSI_
	.p2align	8
	.type	_ZN7rocprim17ROCPRIM_400000_NS6detail17trampoline_kernelINS0_14default_configENS1_35radix_sort_onesweep_config_selectorIttEEZZNS1_29radix_sort_onesweep_iterationIS3_Lb0EN6thrust23THRUST_200600_302600_NS6detail15normal_iteratorINS8_10device_ptrItEEEESD_SD_SD_jNS0_19identity_decomposerENS1_16block_id_wrapperIjLb1EEEEE10hipError_tT1_PNSt15iterator_traitsISI_E10value_typeET2_T3_PNSJ_ISO_E10value_typeET4_T5_PST_SU_PNS1_23onesweep_lookback_stateEbbT6_jjT7_P12ihipStream_tbENKUlT_T0_SI_SN_E_clISD_PtSD_S15_EEDaS11_S12_SI_SN_EUlS11_E_NS1_11comp_targetILNS1_3genE8ELNS1_11target_archE1030ELNS1_3gpuE2ELNS1_3repE0EEENS1_47radix_sort_onesweep_sort_config_static_selectorELNS0_4arch9wavefront6targetE1EEEvSI_,@function
_ZN7rocprim17ROCPRIM_400000_NS6detail17trampoline_kernelINS0_14default_configENS1_35radix_sort_onesweep_config_selectorIttEEZZNS1_29radix_sort_onesweep_iterationIS3_Lb0EN6thrust23THRUST_200600_302600_NS6detail15normal_iteratorINS8_10device_ptrItEEEESD_SD_SD_jNS0_19identity_decomposerENS1_16block_id_wrapperIjLb1EEEEE10hipError_tT1_PNSt15iterator_traitsISI_E10value_typeET2_T3_PNSJ_ISO_E10value_typeET4_T5_PST_SU_PNS1_23onesweep_lookback_stateEbbT6_jjT7_P12ihipStream_tbENKUlT_T0_SI_SN_E_clISD_PtSD_S15_EEDaS11_S12_SI_SN_EUlS11_E_NS1_11comp_targetILNS1_3genE8ELNS1_11target_archE1030ELNS1_3gpuE2ELNS1_3repE0EEENS1_47radix_sort_onesweep_sort_config_static_selectorELNS0_4arch9wavefront6targetE1EEEvSI_: ; @_ZN7rocprim17ROCPRIM_400000_NS6detail17trampoline_kernelINS0_14default_configENS1_35radix_sort_onesweep_config_selectorIttEEZZNS1_29radix_sort_onesweep_iterationIS3_Lb0EN6thrust23THRUST_200600_302600_NS6detail15normal_iteratorINS8_10device_ptrItEEEESD_SD_SD_jNS0_19identity_decomposerENS1_16block_id_wrapperIjLb1EEEEE10hipError_tT1_PNSt15iterator_traitsISI_E10value_typeET2_T3_PNSJ_ISO_E10value_typeET4_T5_PST_SU_PNS1_23onesweep_lookback_stateEbbT6_jjT7_P12ihipStream_tbENKUlT_T0_SI_SN_E_clISD_PtSD_S15_EEDaS11_S12_SI_SN_EUlS11_E_NS1_11comp_targetILNS1_3genE8ELNS1_11target_archE1030ELNS1_3gpuE2ELNS1_3repE0EEENS1_47radix_sort_onesweep_sort_config_static_selectorELNS0_4arch9wavefront6targetE1EEEvSI_
; %bb.0:
	.section	.rodata,"a",@progbits
	.p2align	6, 0x0
	.amdhsa_kernel _ZN7rocprim17ROCPRIM_400000_NS6detail17trampoline_kernelINS0_14default_configENS1_35radix_sort_onesweep_config_selectorIttEEZZNS1_29radix_sort_onesweep_iterationIS3_Lb0EN6thrust23THRUST_200600_302600_NS6detail15normal_iteratorINS8_10device_ptrItEEEESD_SD_SD_jNS0_19identity_decomposerENS1_16block_id_wrapperIjLb1EEEEE10hipError_tT1_PNSt15iterator_traitsISI_E10value_typeET2_T3_PNSJ_ISO_E10value_typeET4_T5_PST_SU_PNS1_23onesweep_lookback_stateEbbT6_jjT7_P12ihipStream_tbENKUlT_T0_SI_SN_E_clISD_PtSD_S15_EEDaS11_S12_SI_SN_EUlS11_E_NS1_11comp_targetILNS1_3genE8ELNS1_11target_archE1030ELNS1_3gpuE2ELNS1_3repE0EEENS1_47radix_sort_onesweep_sort_config_static_selectorELNS0_4arch9wavefront6targetE1EEEvSI_
		.amdhsa_group_segment_fixed_size 0
		.amdhsa_private_segment_fixed_size 0
		.amdhsa_kernarg_size 88
		.amdhsa_user_sgpr_count 2
		.amdhsa_user_sgpr_dispatch_ptr 0
		.amdhsa_user_sgpr_queue_ptr 0
		.amdhsa_user_sgpr_kernarg_segment_ptr 1
		.amdhsa_user_sgpr_dispatch_id 0
		.amdhsa_user_sgpr_kernarg_preload_length 0
		.amdhsa_user_sgpr_kernarg_preload_offset 0
		.amdhsa_user_sgpr_private_segment_size 0
		.amdhsa_uses_dynamic_stack 0
		.amdhsa_enable_private_segment 0
		.amdhsa_system_sgpr_workgroup_id_x 1
		.amdhsa_system_sgpr_workgroup_id_y 0
		.amdhsa_system_sgpr_workgroup_id_z 0
		.amdhsa_system_sgpr_workgroup_info 0
		.amdhsa_system_vgpr_workitem_id 0
		.amdhsa_next_free_vgpr 1
		.amdhsa_next_free_sgpr 0
		.amdhsa_accum_offset 4
		.amdhsa_reserve_vcc 0
		.amdhsa_float_round_mode_32 0
		.amdhsa_float_round_mode_16_64 0
		.amdhsa_float_denorm_mode_32 3
		.amdhsa_float_denorm_mode_16_64 3
		.amdhsa_dx10_clamp 1
		.amdhsa_ieee_mode 1
		.amdhsa_fp16_overflow 0
		.amdhsa_tg_split 0
		.amdhsa_exception_fp_ieee_invalid_op 0
		.amdhsa_exception_fp_denorm_src 0
		.amdhsa_exception_fp_ieee_div_zero 0
		.amdhsa_exception_fp_ieee_overflow 0
		.amdhsa_exception_fp_ieee_underflow 0
		.amdhsa_exception_fp_ieee_inexact 0
		.amdhsa_exception_int_div_zero 0
	.end_amdhsa_kernel
	.section	.text._ZN7rocprim17ROCPRIM_400000_NS6detail17trampoline_kernelINS0_14default_configENS1_35radix_sort_onesweep_config_selectorIttEEZZNS1_29radix_sort_onesweep_iterationIS3_Lb0EN6thrust23THRUST_200600_302600_NS6detail15normal_iteratorINS8_10device_ptrItEEEESD_SD_SD_jNS0_19identity_decomposerENS1_16block_id_wrapperIjLb1EEEEE10hipError_tT1_PNSt15iterator_traitsISI_E10value_typeET2_T3_PNSJ_ISO_E10value_typeET4_T5_PST_SU_PNS1_23onesweep_lookback_stateEbbT6_jjT7_P12ihipStream_tbENKUlT_T0_SI_SN_E_clISD_PtSD_S15_EEDaS11_S12_SI_SN_EUlS11_E_NS1_11comp_targetILNS1_3genE8ELNS1_11target_archE1030ELNS1_3gpuE2ELNS1_3repE0EEENS1_47radix_sort_onesweep_sort_config_static_selectorELNS0_4arch9wavefront6targetE1EEEvSI_,"axG",@progbits,_ZN7rocprim17ROCPRIM_400000_NS6detail17trampoline_kernelINS0_14default_configENS1_35radix_sort_onesweep_config_selectorIttEEZZNS1_29radix_sort_onesweep_iterationIS3_Lb0EN6thrust23THRUST_200600_302600_NS6detail15normal_iteratorINS8_10device_ptrItEEEESD_SD_SD_jNS0_19identity_decomposerENS1_16block_id_wrapperIjLb1EEEEE10hipError_tT1_PNSt15iterator_traitsISI_E10value_typeET2_T3_PNSJ_ISO_E10value_typeET4_T5_PST_SU_PNS1_23onesweep_lookback_stateEbbT6_jjT7_P12ihipStream_tbENKUlT_T0_SI_SN_E_clISD_PtSD_S15_EEDaS11_S12_SI_SN_EUlS11_E_NS1_11comp_targetILNS1_3genE8ELNS1_11target_archE1030ELNS1_3gpuE2ELNS1_3repE0EEENS1_47radix_sort_onesweep_sort_config_static_selectorELNS0_4arch9wavefront6targetE1EEEvSI_,comdat
.Lfunc_end991:
	.size	_ZN7rocprim17ROCPRIM_400000_NS6detail17trampoline_kernelINS0_14default_configENS1_35radix_sort_onesweep_config_selectorIttEEZZNS1_29radix_sort_onesweep_iterationIS3_Lb0EN6thrust23THRUST_200600_302600_NS6detail15normal_iteratorINS8_10device_ptrItEEEESD_SD_SD_jNS0_19identity_decomposerENS1_16block_id_wrapperIjLb1EEEEE10hipError_tT1_PNSt15iterator_traitsISI_E10value_typeET2_T3_PNSJ_ISO_E10value_typeET4_T5_PST_SU_PNS1_23onesweep_lookback_stateEbbT6_jjT7_P12ihipStream_tbENKUlT_T0_SI_SN_E_clISD_PtSD_S15_EEDaS11_S12_SI_SN_EUlS11_E_NS1_11comp_targetILNS1_3genE8ELNS1_11target_archE1030ELNS1_3gpuE2ELNS1_3repE0EEENS1_47radix_sort_onesweep_sort_config_static_selectorELNS0_4arch9wavefront6targetE1EEEvSI_, .Lfunc_end991-_ZN7rocprim17ROCPRIM_400000_NS6detail17trampoline_kernelINS0_14default_configENS1_35radix_sort_onesweep_config_selectorIttEEZZNS1_29radix_sort_onesweep_iterationIS3_Lb0EN6thrust23THRUST_200600_302600_NS6detail15normal_iteratorINS8_10device_ptrItEEEESD_SD_SD_jNS0_19identity_decomposerENS1_16block_id_wrapperIjLb1EEEEE10hipError_tT1_PNSt15iterator_traitsISI_E10value_typeET2_T3_PNSJ_ISO_E10value_typeET4_T5_PST_SU_PNS1_23onesweep_lookback_stateEbbT6_jjT7_P12ihipStream_tbENKUlT_T0_SI_SN_E_clISD_PtSD_S15_EEDaS11_S12_SI_SN_EUlS11_E_NS1_11comp_targetILNS1_3genE8ELNS1_11target_archE1030ELNS1_3gpuE2ELNS1_3repE0EEENS1_47radix_sort_onesweep_sort_config_static_selectorELNS0_4arch9wavefront6targetE1EEEvSI_
                                        ; -- End function
	.set _ZN7rocprim17ROCPRIM_400000_NS6detail17trampoline_kernelINS0_14default_configENS1_35radix_sort_onesweep_config_selectorIttEEZZNS1_29radix_sort_onesweep_iterationIS3_Lb0EN6thrust23THRUST_200600_302600_NS6detail15normal_iteratorINS8_10device_ptrItEEEESD_SD_SD_jNS0_19identity_decomposerENS1_16block_id_wrapperIjLb1EEEEE10hipError_tT1_PNSt15iterator_traitsISI_E10value_typeET2_T3_PNSJ_ISO_E10value_typeET4_T5_PST_SU_PNS1_23onesweep_lookback_stateEbbT6_jjT7_P12ihipStream_tbENKUlT_T0_SI_SN_E_clISD_PtSD_S15_EEDaS11_S12_SI_SN_EUlS11_E_NS1_11comp_targetILNS1_3genE8ELNS1_11target_archE1030ELNS1_3gpuE2ELNS1_3repE0EEENS1_47radix_sort_onesweep_sort_config_static_selectorELNS0_4arch9wavefront6targetE1EEEvSI_.num_vgpr, 0
	.set _ZN7rocprim17ROCPRIM_400000_NS6detail17trampoline_kernelINS0_14default_configENS1_35radix_sort_onesweep_config_selectorIttEEZZNS1_29radix_sort_onesweep_iterationIS3_Lb0EN6thrust23THRUST_200600_302600_NS6detail15normal_iteratorINS8_10device_ptrItEEEESD_SD_SD_jNS0_19identity_decomposerENS1_16block_id_wrapperIjLb1EEEEE10hipError_tT1_PNSt15iterator_traitsISI_E10value_typeET2_T3_PNSJ_ISO_E10value_typeET4_T5_PST_SU_PNS1_23onesweep_lookback_stateEbbT6_jjT7_P12ihipStream_tbENKUlT_T0_SI_SN_E_clISD_PtSD_S15_EEDaS11_S12_SI_SN_EUlS11_E_NS1_11comp_targetILNS1_3genE8ELNS1_11target_archE1030ELNS1_3gpuE2ELNS1_3repE0EEENS1_47radix_sort_onesweep_sort_config_static_selectorELNS0_4arch9wavefront6targetE1EEEvSI_.num_agpr, 0
	.set _ZN7rocprim17ROCPRIM_400000_NS6detail17trampoline_kernelINS0_14default_configENS1_35radix_sort_onesweep_config_selectorIttEEZZNS1_29radix_sort_onesweep_iterationIS3_Lb0EN6thrust23THRUST_200600_302600_NS6detail15normal_iteratorINS8_10device_ptrItEEEESD_SD_SD_jNS0_19identity_decomposerENS1_16block_id_wrapperIjLb1EEEEE10hipError_tT1_PNSt15iterator_traitsISI_E10value_typeET2_T3_PNSJ_ISO_E10value_typeET4_T5_PST_SU_PNS1_23onesweep_lookback_stateEbbT6_jjT7_P12ihipStream_tbENKUlT_T0_SI_SN_E_clISD_PtSD_S15_EEDaS11_S12_SI_SN_EUlS11_E_NS1_11comp_targetILNS1_3genE8ELNS1_11target_archE1030ELNS1_3gpuE2ELNS1_3repE0EEENS1_47radix_sort_onesweep_sort_config_static_selectorELNS0_4arch9wavefront6targetE1EEEvSI_.numbered_sgpr, 0
	.set _ZN7rocprim17ROCPRIM_400000_NS6detail17trampoline_kernelINS0_14default_configENS1_35radix_sort_onesweep_config_selectorIttEEZZNS1_29radix_sort_onesweep_iterationIS3_Lb0EN6thrust23THRUST_200600_302600_NS6detail15normal_iteratorINS8_10device_ptrItEEEESD_SD_SD_jNS0_19identity_decomposerENS1_16block_id_wrapperIjLb1EEEEE10hipError_tT1_PNSt15iterator_traitsISI_E10value_typeET2_T3_PNSJ_ISO_E10value_typeET4_T5_PST_SU_PNS1_23onesweep_lookback_stateEbbT6_jjT7_P12ihipStream_tbENKUlT_T0_SI_SN_E_clISD_PtSD_S15_EEDaS11_S12_SI_SN_EUlS11_E_NS1_11comp_targetILNS1_3genE8ELNS1_11target_archE1030ELNS1_3gpuE2ELNS1_3repE0EEENS1_47radix_sort_onesweep_sort_config_static_selectorELNS0_4arch9wavefront6targetE1EEEvSI_.num_named_barrier, 0
	.set _ZN7rocprim17ROCPRIM_400000_NS6detail17trampoline_kernelINS0_14default_configENS1_35radix_sort_onesweep_config_selectorIttEEZZNS1_29radix_sort_onesweep_iterationIS3_Lb0EN6thrust23THRUST_200600_302600_NS6detail15normal_iteratorINS8_10device_ptrItEEEESD_SD_SD_jNS0_19identity_decomposerENS1_16block_id_wrapperIjLb1EEEEE10hipError_tT1_PNSt15iterator_traitsISI_E10value_typeET2_T3_PNSJ_ISO_E10value_typeET4_T5_PST_SU_PNS1_23onesweep_lookback_stateEbbT6_jjT7_P12ihipStream_tbENKUlT_T0_SI_SN_E_clISD_PtSD_S15_EEDaS11_S12_SI_SN_EUlS11_E_NS1_11comp_targetILNS1_3genE8ELNS1_11target_archE1030ELNS1_3gpuE2ELNS1_3repE0EEENS1_47radix_sort_onesweep_sort_config_static_selectorELNS0_4arch9wavefront6targetE1EEEvSI_.private_seg_size, 0
	.set _ZN7rocprim17ROCPRIM_400000_NS6detail17trampoline_kernelINS0_14default_configENS1_35radix_sort_onesweep_config_selectorIttEEZZNS1_29radix_sort_onesweep_iterationIS3_Lb0EN6thrust23THRUST_200600_302600_NS6detail15normal_iteratorINS8_10device_ptrItEEEESD_SD_SD_jNS0_19identity_decomposerENS1_16block_id_wrapperIjLb1EEEEE10hipError_tT1_PNSt15iterator_traitsISI_E10value_typeET2_T3_PNSJ_ISO_E10value_typeET4_T5_PST_SU_PNS1_23onesweep_lookback_stateEbbT6_jjT7_P12ihipStream_tbENKUlT_T0_SI_SN_E_clISD_PtSD_S15_EEDaS11_S12_SI_SN_EUlS11_E_NS1_11comp_targetILNS1_3genE8ELNS1_11target_archE1030ELNS1_3gpuE2ELNS1_3repE0EEENS1_47radix_sort_onesweep_sort_config_static_selectorELNS0_4arch9wavefront6targetE1EEEvSI_.uses_vcc, 0
	.set _ZN7rocprim17ROCPRIM_400000_NS6detail17trampoline_kernelINS0_14default_configENS1_35radix_sort_onesweep_config_selectorIttEEZZNS1_29radix_sort_onesweep_iterationIS3_Lb0EN6thrust23THRUST_200600_302600_NS6detail15normal_iteratorINS8_10device_ptrItEEEESD_SD_SD_jNS0_19identity_decomposerENS1_16block_id_wrapperIjLb1EEEEE10hipError_tT1_PNSt15iterator_traitsISI_E10value_typeET2_T3_PNSJ_ISO_E10value_typeET4_T5_PST_SU_PNS1_23onesweep_lookback_stateEbbT6_jjT7_P12ihipStream_tbENKUlT_T0_SI_SN_E_clISD_PtSD_S15_EEDaS11_S12_SI_SN_EUlS11_E_NS1_11comp_targetILNS1_3genE8ELNS1_11target_archE1030ELNS1_3gpuE2ELNS1_3repE0EEENS1_47radix_sort_onesweep_sort_config_static_selectorELNS0_4arch9wavefront6targetE1EEEvSI_.uses_flat_scratch, 0
	.set _ZN7rocprim17ROCPRIM_400000_NS6detail17trampoline_kernelINS0_14default_configENS1_35radix_sort_onesweep_config_selectorIttEEZZNS1_29radix_sort_onesweep_iterationIS3_Lb0EN6thrust23THRUST_200600_302600_NS6detail15normal_iteratorINS8_10device_ptrItEEEESD_SD_SD_jNS0_19identity_decomposerENS1_16block_id_wrapperIjLb1EEEEE10hipError_tT1_PNSt15iterator_traitsISI_E10value_typeET2_T3_PNSJ_ISO_E10value_typeET4_T5_PST_SU_PNS1_23onesweep_lookback_stateEbbT6_jjT7_P12ihipStream_tbENKUlT_T0_SI_SN_E_clISD_PtSD_S15_EEDaS11_S12_SI_SN_EUlS11_E_NS1_11comp_targetILNS1_3genE8ELNS1_11target_archE1030ELNS1_3gpuE2ELNS1_3repE0EEENS1_47radix_sort_onesweep_sort_config_static_selectorELNS0_4arch9wavefront6targetE1EEEvSI_.has_dyn_sized_stack, 0
	.set _ZN7rocprim17ROCPRIM_400000_NS6detail17trampoline_kernelINS0_14default_configENS1_35radix_sort_onesweep_config_selectorIttEEZZNS1_29radix_sort_onesweep_iterationIS3_Lb0EN6thrust23THRUST_200600_302600_NS6detail15normal_iteratorINS8_10device_ptrItEEEESD_SD_SD_jNS0_19identity_decomposerENS1_16block_id_wrapperIjLb1EEEEE10hipError_tT1_PNSt15iterator_traitsISI_E10value_typeET2_T3_PNSJ_ISO_E10value_typeET4_T5_PST_SU_PNS1_23onesweep_lookback_stateEbbT6_jjT7_P12ihipStream_tbENKUlT_T0_SI_SN_E_clISD_PtSD_S15_EEDaS11_S12_SI_SN_EUlS11_E_NS1_11comp_targetILNS1_3genE8ELNS1_11target_archE1030ELNS1_3gpuE2ELNS1_3repE0EEENS1_47radix_sort_onesweep_sort_config_static_selectorELNS0_4arch9wavefront6targetE1EEEvSI_.has_recursion, 0
	.set _ZN7rocprim17ROCPRIM_400000_NS6detail17trampoline_kernelINS0_14default_configENS1_35radix_sort_onesweep_config_selectorIttEEZZNS1_29radix_sort_onesweep_iterationIS3_Lb0EN6thrust23THRUST_200600_302600_NS6detail15normal_iteratorINS8_10device_ptrItEEEESD_SD_SD_jNS0_19identity_decomposerENS1_16block_id_wrapperIjLb1EEEEE10hipError_tT1_PNSt15iterator_traitsISI_E10value_typeET2_T3_PNSJ_ISO_E10value_typeET4_T5_PST_SU_PNS1_23onesweep_lookback_stateEbbT6_jjT7_P12ihipStream_tbENKUlT_T0_SI_SN_E_clISD_PtSD_S15_EEDaS11_S12_SI_SN_EUlS11_E_NS1_11comp_targetILNS1_3genE8ELNS1_11target_archE1030ELNS1_3gpuE2ELNS1_3repE0EEENS1_47radix_sort_onesweep_sort_config_static_selectorELNS0_4arch9wavefront6targetE1EEEvSI_.has_indirect_call, 0
	.section	.AMDGPU.csdata,"",@progbits
; Kernel info:
; codeLenInByte = 0
; TotalNumSgprs: 6
; NumVgprs: 0
; NumAgprs: 0
; TotalNumVgprs: 0
; ScratchSize: 0
; MemoryBound: 0
; FloatMode: 240
; IeeeMode: 1
; LDSByteSize: 0 bytes/workgroup (compile time only)
; SGPRBlocks: 0
; VGPRBlocks: 0
; NumSGPRsForWavesPerEU: 6
; NumVGPRsForWavesPerEU: 1
; AccumOffset: 4
; Occupancy: 8
; WaveLimiterHint : 0
; COMPUTE_PGM_RSRC2:SCRATCH_EN: 0
; COMPUTE_PGM_RSRC2:USER_SGPR: 2
; COMPUTE_PGM_RSRC2:TRAP_HANDLER: 0
; COMPUTE_PGM_RSRC2:TGID_X_EN: 1
; COMPUTE_PGM_RSRC2:TGID_Y_EN: 0
; COMPUTE_PGM_RSRC2:TGID_Z_EN: 0
; COMPUTE_PGM_RSRC2:TIDIG_COMP_CNT: 0
; COMPUTE_PGM_RSRC3_GFX90A:ACCUM_OFFSET: 0
; COMPUTE_PGM_RSRC3_GFX90A:TG_SPLIT: 0
	.section	.text._ZN7rocprim17ROCPRIM_400000_NS6detail17trampoline_kernelINS0_14default_configENS1_35radix_sort_onesweep_config_selectorIttEEZZNS1_29radix_sort_onesweep_iterationIS3_Lb0EN6thrust23THRUST_200600_302600_NS6detail15normal_iteratorINS8_10device_ptrItEEEESD_SD_SD_jNS0_19identity_decomposerENS1_16block_id_wrapperIjLb1EEEEE10hipError_tT1_PNSt15iterator_traitsISI_E10value_typeET2_T3_PNSJ_ISO_E10value_typeET4_T5_PST_SU_PNS1_23onesweep_lookback_stateEbbT6_jjT7_P12ihipStream_tbENKUlT_T0_SI_SN_E_clIPtSD_S15_SD_EEDaS11_S12_SI_SN_EUlS11_E_NS1_11comp_targetILNS1_3genE0ELNS1_11target_archE4294967295ELNS1_3gpuE0ELNS1_3repE0EEENS1_47radix_sort_onesweep_sort_config_static_selectorELNS0_4arch9wavefront6targetE1EEEvSI_,"axG",@progbits,_ZN7rocprim17ROCPRIM_400000_NS6detail17trampoline_kernelINS0_14default_configENS1_35radix_sort_onesweep_config_selectorIttEEZZNS1_29radix_sort_onesweep_iterationIS3_Lb0EN6thrust23THRUST_200600_302600_NS6detail15normal_iteratorINS8_10device_ptrItEEEESD_SD_SD_jNS0_19identity_decomposerENS1_16block_id_wrapperIjLb1EEEEE10hipError_tT1_PNSt15iterator_traitsISI_E10value_typeET2_T3_PNSJ_ISO_E10value_typeET4_T5_PST_SU_PNS1_23onesweep_lookback_stateEbbT6_jjT7_P12ihipStream_tbENKUlT_T0_SI_SN_E_clIPtSD_S15_SD_EEDaS11_S12_SI_SN_EUlS11_E_NS1_11comp_targetILNS1_3genE0ELNS1_11target_archE4294967295ELNS1_3gpuE0ELNS1_3repE0EEENS1_47radix_sort_onesweep_sort_config_static_selectorELNS0_4arch9wavefront6targetE1EEEvSI_,comdat
	.protected	_ZN7rocprim17ROCPRIM_400000_NS6detail17trampoline_kernelINS0_14default_configENS1_35radix_sort_onesweep_config_selectorIttEEZZNS1_29radix_sort_onesweep_iterationIS3_Lb0EN6thrust23THRUST_200600_302600_NS6detail15normal_iteratorINS8_10device_ptrItEEEESD_SD_SD_jNS0_19identity_decomposerENS1_16block_id_wrapperIjLb1EEEEE10hipError_tT1_PNSt15iterator_traitsISI_E10value_typeET2_T3_PNSJ_ISO_E10value_typeET4_T5_PST_SU_PNS1_23onesweep_lookback_stateEbbT6_jjT7_P12ihipStream_tbENKUlT_T0_SI_SN_E_clIPtSD_S15_SD_EEDaS11_S12_SI_SN_EUlS11_E_NS1_11comp_targetILNS1_3genE0ELNS1_11target_archE4294967295ELNS1_3gpuE0ELNS1_3repE0EEENS1_47radix_sort_onesweep_sort_config_static_selectorELNS0_4arch9wavefront6targetE1EEEvSI_ ; -- Begin function _ZN7rocprim17ROCPRIM_400000_NS6detail17trampoline_kernelINS0_14default_configENS1_35radix_sort_onesweep_config_selectorIttEEZZNS1_29radix_sort_onesweep_iterationIS3_Lb0EN6thrust23THRUST_200600_302600_NS6detail15normal_iteratorINS8_10device_ptrItEEEESD_SD_SD_jNS0_19identity_decomposerENS1_16block_id_wrapperIjLb1EEEEE10hipError_tT1_PNSt15iterator_traitsISI_E10value_typeET2_T3_PNSJ_ISO_E10value_typeET4_T5_PST_SU_PNS1_23onesweep_lookback_stateEbbT6_jjT7_P12ihipStream_tbENKUlT_T0_SI_SN_E_clIPtSD_S15_SD_EEDaS11_S12_SI_SN_EUlS11_E_NS1_11comp_targetILNS1_3genE0ELNS1_11target_archE4294967295ELNS1_3gpuE0ELNS1_3repE0EEENS1_47radix_sort_onesweep_sort_config_static_selectorELNS0_4arch9wavefront6targetE1EEEvSI_
	.globl	_ZN7rocprim17ROCPRIM_400000_NS6detail17trampoline_kernelINS0_14default_configENS1_35radix_sort_onesweep_config_selectorIttEEZZNS1_29radix_sort_onesweep_iterationIS3_Lb0EN6thrust23THRUST_200600_302600_NS6detail15normal_iteratorINS8_10device_ptrItEEEESD_SD_SD_jNS0_19identity_decomposerENS1_16block_id_wrapperIjLb1EEEEE10hipError_tT1_PNSt15iterator_traitsISI_E10value_typeET2_T3_PNSJ_ISO_E10value_typeET4_T5_PST_SU_PNS1_23onesweep_lookback_stateEbbT6_jjT7_P12ihipStream_tbENKUlT_T0_SI_SN_E_clIPtSD_S15_SD_EEDaS11_S12_SI_SN_EUlS11_E_NS1_11comp_targetILNS1_3genE0ELNS1_11target_archE4294967295ELNS1_3gpuE0ELNS1_3repE0EEENS1_47radix_sort_onesweep_sort_config_static_selectorELNS0_4arch9wavefront6targetE1EEEvSI_
	.p2align	8
	.type	_ZN7rocprim17ROCPRIM_400000_NS6detail17trampoline_kernelINS0_14default_configENS1_35radix_sort_onesweep_config_selectorIttEEZZNS1_29radix_sort_onesweep_iterationIS3_Lb0EN6thrust23THRUST_200600_302600_NS6detail15normal_iteratorINS8_10device_ptrItEEEESD_SD_SD_jNS0_19identity_decomposerENS1_16block_id_wrapperIjLb1EEEEE10hipError_tT1_PNSt15iterator_traitsISI_E10value_typeET2_T3_PNSJ_ISO_E10value_typeET4_T5_PST_SU_PNS1_23onesweep_lookback_stateEbbT6_jjT7_P12ihipStream_tbENKUlT_T0_SI_SN_E_clIPtSD_S15_SD_EEDaS11_S12_SI_SN_EUlS11_E_NS1_11comp_targetILNS1_3genE0ELNS1_11target_archE4294967295ELNS1_3gpuE0ELNS1_3repE0EEENS1_47radix_sort_onesweep_sort_config_static_selectorELNS0_4arch9wavefront6targetE1EEEvSI_,@function
_ZN7rocprim17ROCPRIM_400000_NS6detail17trampoline_kernelINS0_14default_configENS1_35radix_sort_onesweep_config_selectorIttEEZZNS1_29radix_sort_onesweep_iterationIS3_Lb0EN6thrust23THRUST_200600_302600_NS6detail15normal_iteratorINS8_10device_ptrItEEEESD_SD_SD_jNS0_19identity_decomposerENS1_16block_id_wrapperIjLb1EEEEE10hipError_tT1_PNSt15iterator_traitsISI_E10value_typeET2_T3_PNSJ_ISO_E10value_typeET4_T5_PST_SU_PNS1_23onesweep_lookback_stateEbbT6_jjT7_P12ihipStream_tbENKUlT_T0_SI_SN_E_clIPtSD_S15_SD_EEDaS11_S12_SI_SN_EUlS11_E_NS1_11comp_targetILNS1_3genE0ELNS1_11target_archE4294967295ELNS1_3gpuE0ELNS1_3repE0EEENS1_47radix_sort_onesweep_sort_config_static_selectorELNS0_4arch9wavefront6targetE1EEEvSI_: ; @_ZN7rocprim17ROCPRIM_400000_NS6detail17trampoline_kernelINS0_14default_configENS1_35radix_sort_onesweep_config_selectorIttEEZZNS1_29radix_sort_onesweep_iterationIS3_Lb0EN6thrust23THRUST_200600_302600_NS6detail15normal_iteratorINS8_10device_ptrItEEEESD_SD_SD_jNS0_19identity_decomposerENS1_16block_id_wrapperIjLb1EEEEE10hipError_tT1_PNSt15iterator_traitsISI_E10value_typeET2_T3_PNSJ_ISO_E10value_typeET4_T5_PST_SU_PNS1_23onesweep_lookback_stateEbbT6_jjT7_P12ihipStream_tbENKUlT_T0_SI_SN_E_clIPtSD_S15_SD_EEDaS11_S12_SI_SN_EUlS11_E_NS1_11comp_targetILNS1_3genE0ELNS1_11target_archE4294967295ELNS1_3gpuE0ELNS1_3repE0EEENS1_47radix_sort_onesweep_sort_config_static_selectorELNS0_4arch9wavefront6targetE1EEEvSI_
; %bb.0:
	.section	.rodata,"a",@progbits
	.p2align	6, 0x0
	.amdhsa_kernel _ZN7rocprim17ROCPRIM_400000_NS6detail17trampoline_kernelINS0_14default_configENS1_35radix_sort_onesweep_config_selectorIttEEZZNS1_29radix_sort_onesweep_iterationIS3_Lb0EN6thrust23THRUST_200600_302600_NS6detail15normal_iteratorINS8_10device_ptrItEEEESD_SD_SD_jNS0_19identity_decomposerENS1_16block_id_wrapperIjLb1EEEEE10hipError_tT1_PNSt15iterator_traitsISI_E10value_typeET2_T3_PNSJ_ISO_E10value_typeET4_T5_PST_SU_PNS1_23onesweep_lookback_stateEbbT6_jjT7_P12ihipStream_tbENKUlT_T0_SI_SN_E_clIPtSD_S15_SD_EEDaS11_S12_SI_SN_EUlS11_E_NS1_11comp_targetILNS1_3genE0ELNS1_11target_archE4294967295ELNS1_3gpuE0ELNS1_3repE0EEENS1_47radix_sort_onesweep_sort_config_static_selectorELNS0_4arch9wavefront6targetE1EEEvSI_
		.amdhsa_group_segment_fixed_size 0
		.amdhsa_private_segment_fixed_size 0
		.amdhsa_kernarg_size 88
		.amdhsa_user_sgpr_count 2
		.amdhsa_user_sgpr_dispatch_ptr 0
		.amdhsa_user_sgpr_queue_ptr 0
		.amdhsa_user_sgpr_kernarg_segment_ptr 1
		.amdhsa_user_sgpr_dispatch_id 0
		.amdhsa_user_sgpr_kernarg_preload_length 0
		.amdhsa_user_sgpr_kernarg_preload_offset 0
		.amdhsa_user_sgpr_private_segment_size 0
		.amdhsa_uses_dynamic_stack 0
		.amdhsa_enable_private_segment 0
		.amdhsa_system_sgpr_workgroup_id_x 1
		.amdhsa_system_sgpr_workgroup_id_y 0
		.amdhsa_system_sgpr_workgroup_id_z 0
		.amdhsa_system_sgpr_workgroup_info 0
		.amdhsa_system_vgpr_workitem_id 0
		.amdhsa_next_free_vgpr 1
		.amdhsa_next_free_sgpr 0
		.amdhsa_accum_offset 4
		.amdhsa_reserve_vcc 0
		.amdhsa_float_round_mode_32 0
		.amdhsa_float_round_mode_16_64 0
		.amdhsa_float_denorm_mode_32 3
		.amdhsa_float_denorm_mode_16_64 3
		.amdhsa_dx10_clamp 1
		.amdhsa_ieee_mode 1
		.amdhsa_fp16_overflow 0
		.amdhsa_tg_split 0
		.amdhsa_exception_fp_ieee_invalid_op 0
		.amdhsa_exception_fp_denorm_src 0
		.amdhsa_exception_fp_ieee_div_zero 0
		.amdhsa_exception_fp_ieee_overflow 0
		.amdhsa_exception_fp_ieee_underflow 0
		.amdhsa_exception_fp_ieee_inexact 0
		.amdhsa_exception_int_div_zero 0
	.end_amdhsa_kernel
	.section	.text._ZN7rocprim17ROCPRIM_400000_NS6detail17trampoline_kernelINS0_14default_configENS1_35radix_sort_onesweep_config_selectorIttEEZZNS1_29radix_sort_onesweep_iterationIS3_Lb0EN6thrust23THRUST_200600_302600_NS6detail15normal_iteratorINS8_10device_ptrItEEEESD_SD_SD_jNS0_19identity_decomposerENS1_16block_id_wrapperIjLb1EEEEE10hipError_tT1_PNSt15iterator_traitsISI_E10value_typeET2_T3_PNSJ_ISO_E10value_typeET4_T5_PST_SU_PNS1_23onesweep_lookback_stateEbbT6_jjT7_P12ihipStream_tbENKUlT_T0_SI_SN_E_clIPtSD_S15_SD_EEDaS11_S12_SI_SN_EUlS11_E_NS1_11comp_targetILNS1_3genE0ELNS1_11target_archE4294967295ELNS1_3gpuE0ELNS1_3repE0EEENS1_47radix_sort_onesweep_sort_config_static_selectorELNS0_4arch9wavefront6targetE1EEEvSI_,"axG",@progbits,_ZN7rocprim17ROCPRIM_400000_NS6detail17trampoline_kernelINS0_14default_configENS1_35radix_sort_onesweep_config_selectorIttEEZZNS1_29radix_sort_onesweep_iterationIS3_Lb0EN6thrust23THRUST_200600_302600_NS6detail15normal_iteratorINS8_10device_ptrItEEEESD_SD_SD_jNS0_19identity_decomposerENS1_16block_id_wrapperIjLb1EEEEE10hipError_tT1_PNSt15iterator_traitsISI_E10value_typeET2_T3_PNSJ_ISO_E10value_typeET4_T5_PST_SU_PNS1_23onesweep_lookback_stateEbbT6_jjT7_P12ihipStream_tbENKUlT_T0_SI_SN_E_clIPtSD_S15_SD_EEDaS11_S12_SI_SN_EUlS11_E_NS1_11comp_targetILNS1_3genE0ELNS1_11target_archE4294967295ELNS1_3gpuE0ELNS1_3repE0EEENS1_47radix_sort_onesweep_sort_config_static_selectorELNS0_4arch9wavefront6targetE1EEEvSI_,comdat
.Lfunc_end992:
	.size	_ZN7rocprim17ROCPRIM_400000_NS6detail17trampoline_kernelINS0_14default_configENS1_35radix_sort_onesweep_config_selectorIttEEZZNS1_29radix_sort_onesweep_iterationIS3_Lb0EN6thrust23THRUST_200600_302600_NS6detail15normal_iteratorINS8_10device_ptrItEEEESD_SD_SD_jNS0_19identity_decomposerENS1_16block_id_wrapperIjLb1EEEEE10hipError_tT1_PNSt15iterator_traitsISI_E10value_typeET2_T3_PNSJ_ISO_E10value_typeET4_T5_PST_SU_PNS1_23onesweep_lookback_stateEbbT6_jjT7_P12ihipStream_tbENKUlT_T0_SI_SN_E_clIPtSD_S15_SD_EEDaS11_S12_SI_SN_EUlS11_E_NS1_11comp_targetILNS1_3genE0ELNS1_11target_archE4294967295ELNS1_3gpuE0ELNS1_3repE0EEENS1_47radix_sort_onesweep_sort_config_static_selectorELNS0_4arch9wavefront6targetE1EEEvSI_, .Lfunc_end992-_ZN7rocprim17ROCPRIM_400000_NS6detail17trampoline_kernelINS0_14default_configENS1_35radix_sort_onesweep_config_selectorIttEEZZNS1_29radix_sort_onesweep_iterationIS3_Lb0EN6thrust23THRUST_200600_302600_NS6detail15normal_iteratorINS8_10device_ptrItEEEESD_SD_SD_jNS0_19identity_decomposerENS1_16block_id_wrapperIjLb1EEEEE10hipError_tT1_PNSt15iterator_traitsISI_E10value_typeET2_T3_PNSJ_ISO_E10value_typeET4_T5_PST_SU_PNS1_23onesweep_lookback_stateEbbT6_jjT7_P12ihipStream_tbENKUlT_T0_SI_SN_E_clIPtSD_S15_SD_EEDaS11_S12_SI_SN_EUlS11_E_NS1_11comp_targetILNS1_3genE0ELNS1_11target_archE4294967295ELNS1_3gpuE0ELNS1_3repE0EEENS1_47radix_sort_onesweep_sort_config_static_selectorELNS0_4arch9wavefront6targetE1EEEvSI_
                                        ; -- End function
	.set _ZN7rocprim17ROCPRIM_400000_NS6detail17trampoline_kernelINS0_14default_configENS1_35radix_sort_onesweep_config_selectorIttEEZZNS1_29radix_sort_onesweep_iterationIS3_Lb0EN6thrust23THRUST_200600_302600_NS6detail15normal_iteratorINS8_10device_ptrItEEEESD_SD_SD_jNS0_19identity_decomposerENS1_16block_id_wrapperIjLb1EEEEE10hipError_tT1_PNSt15iterator_traitsISI_E10value_typeET2_T3_PNSJ_ISO_E10value_typeET4_T5_PST_SU_PNS1_23onesweep_lookback_stateEbbT6_jjT7_P12ihipStream_tbENKUlT_T0_SI_SN_E_clIPtSD_S15_SD_EEDaS11_S12_SI_SN_EUlS11_E_NS1_11comp_targetILNS1_3genE0ELNS1_11target_archE4294967295ELNS1_3gpuE0ELNS1_3repE0EEENS1_47radix_sort_onesweep_sort_config_static_selectorELNS0_4arch9wavefront6targetE1EEEvSI_.num_vgpr, 0
	.set _ZN7rocprim17ROCPRIM_400000_NS6detail17trampoline_kernelINS0_14default_configENS1_35radix_sort_onesweep_config_selectorIttEEZZNS1_29radix_sort_onesweep_iterationIS3_Lb0EN6thrust23THRUST_200600_302600_NS6detail15normal_iteratorINS8_10device_ptrItEEEESD_SD_SD_jNS0_19identity_decomposerENS1_16block_id_wrapperIjLb1EEEEE10hipError_tT1_PNSt15iterator_traitsISI_E10value_typeET2_T3_PNSJ_ISO_E10value_typeET4_T5_PST_SU_PNS1_23onesweep_lookback_stateEbbT6_jjT7_P12ihipStream_tbENKUlT_T0_SI_SN_E_clIPtSD_S15_SD_EEDaS11_S12_SI_SN_EUlS11_E_NS1_11comp_targetILNS1_3genE0ELNS1_11target_archE4294967295ELNS1_3gpuE0ELNS1_3repE0EEENS1_47radix_sort_onesweep_sort_config_static_selectorELNS0_4arch9wavefront6targetE1EEEvSI_.num_agpr, 0
	.set _ZN7rocprim17ROCPRIM_400000_NS6detail17trampoline_kernelINS0_14default_configENS1_35radix_sort_onesweep_config_selectorIttEEZZNS1_29radix_sort_onesweep_iterationIS3_Lb0EN6thrust23THRUST_200600_302600_NS6detail15normal_iteratorINS8_10device_ptrItEEEESD_SD_SD_jNS0_19identity_decomposerENS1_16block_id_wrapperIjLb1EEEEE10hipError_tT1_PNSt15iterator_traitsISI_E10value_typeET2_T3_PNSJ_ISO_E10value_typeET4_T5_PST_SU_PNS1_23onesweep_lookback_stateEbbT6_jjT7_P12ihipStream_tbENKUlT_T0_SI_SN_E_clIPtSD_S15_SD_EEDaS11_S12_SI_SN_EUlS11_E_NS1_11comp_targetILNS1_3genE0ELNS1_11target_archE4294967295ELNS1_3gpuE0ELNS1_3repE0EEENS1_47radix_sort_onesweep_sort_config_static_selectorELNS0_4arch9wavefront6targetE1EEEvSI_.numbered_sgpr, 0
	.set _ZN7rocprim17ROCPRIM_400000_NS6detail17trampoline_kernelINS0_14default_configENS1_35radix_sort_onesweep_config_selectorIttEEZZNS1_29radix_sort_onesweep_iterationIS3_Lb0EN6thrust23THRUST_200600_302600_NS6detail15normal_iteratorINS8_10device_ptrItEEEESD_SD_SD_jNS0_19identity_decomposerENS1_16block_id_wrapperIjLb1EEEEE10hipError_tT1_PNSt15iterator_traitsISI_E10value_typeET2_T3_PNSJ_ISO_E10value_typeET4_T5_PST_SU_PNS1_23onesweep_lookback_stateEbbT6_jjT7_P12ihipStream_tbENKUlT_T0_SI_SN_E_clIPtSD_S15_SD_EEDaS11_S12_SI_SN_EUlS11_E_NS1_11comp_targetILNS1_3genE0ELNS1_11target_archE4294967295ELNS1_3gpuE0ELNS1_3repE0EEENS1_47radix_sort_onesweep_sort_config_static_selectorELNS0_4arch9wavefront6targetE1EEEvSI_.num_named_barrier, 0
	.set _ZN7rocprim17ROCPRIM_400000_NS6detail17trampoline_kernelINS0_14default_configENS1_35radix_sort_onesweep_config_selectorIttEEZZNS1_29radix_sort_onesweep_iterationIS3_Lb0EN6thrust23THRUST_200600_302600_NS6detail15normal_iteratorINS8_10device_ptrItEEEESD_SD_SD_jNS0_19identity_decomposerENS1_16block_id_wrapperIjLb1EEEEE10hipError_tT1_PNSt15iterator_traitsISI_E10value_typeET2_T3_PNSJ_ISO_E10value_typeET4_T5_PST_SU_PNS1_23onesweep_lookback_stateEbbT6_jjT7_P12ihipStream_tbENKUlT_T0_SI_SN_E_clIPtSD_S15_SD_EEDaS11_S12_SI_SN_EUlS11_E_NS1_11comp_targetILNS1_3genE0ELNS1_11target_archE4294967295ELNS1_3gpuE0ELNS1_3repE0EEENS1_47radix_sort_onesweep_sort_config_static_selectorELNS0_4arch9wavefront6targetE1EEEvSI_.private_seg_size, 0
	.set _ZN7rocprim17ROCPRIM_400000_NS6detail17trampoline_kernelINS0_14default_configENS1_35radix_sort_onesweep_config_selectorIttEEZZNS1_29radix_sort_onesweep_iterationIS3_Lb0EN6thrust23THRUST_200600_302600_NS6detail15normal_iteratorINS8_10device_ptrItEEEESD_SD_SD_jNS0_19identity_decomposerENS1_16block_id_wrapperIjLb1EEEEE10hipError_tT1_PNSt15iterator_traitsISI_E10value_typeET2_T3_PNSJ_ISO_E10value_typeET4_T5_PST_SU_PNS1_23onesweep_lookback_stateEbbT6_jjT7_P12ihipStream_tbENKUlT_T0_SI_SN_E_clIPtSD_S15_SD_EEDaS11_S12_SI_SN_EUlS11_E_NS1_11comp_targetILNS1_3genE0ELNS1_11target_archE4294967295ELNS1_3gpuE0ELNS1_3repE0EEENS1_47radix_sort_onesweep_sort_config_static_selectorELNS0_4arch9wavefront6targetE1EEEvSI_.uses_vcc, 0
	.set _ZN7rocprim17ROCPRIM_400000_NS6detail17trampoline_kernelINS0_14default_configENS1_35radix_sort_onesweep_config_selectorIttEEZZNS1_29radix_sort_onesweep_iterationIS3_Lb0EN6thrust23THRUST_200600_302600_NS6detail15normal_iteratorINS8_10device_ptrItEEEESD_SD_SD_jNS0_19identity_decomposerENS1_16block_id_wrapperIjLb1EEEEE10hipError_tT1_PNSt15iterator_traitsISI_E10value_typeET2_T3_PNSJ_ISO_E10value_typeET4_T5_PST_SU_PNS1_23onesweep_lookback_stateEbbT6_jjT7_P12ihipStream_tbENKUlT_T0_SI_SN_E_clIPtSD_S15_SD_EEDaS11_S12_SI_SN_EUlS11_E_NS1_11comp_targetILNS1_3genE0ELNS1_11target_archE4294967295ELNS1_3gpuE0ELNS1_3repE0EEENS1_47radix_sort_onesweep_sort_config_static_selectorELNS0_4arch9wavefront6targetE1EEEvSI_.uses_flat_scratch, 0
	.set _ZN7rocprim17ROCPRIM_400000_NS6detail17trampoline_kernelINS0_14default_configENS1_35radix_sort_onesweep_config_selectorIttEEZZNS1_29radix_sort_onesweep_iterationIS3_Lb0EN6thrust23THRUST_200600_302600_NS6detail15normal_iteratorINS8_10device_ptrItEEEESD_SD_SD_jNS0_19identity_decomposerENS1_16block_id_wrapperIjLb1EEEEE10hipError_tT1_PNSt15iterator_traitsISI_E10value_typeET2_T3_PNSJ_ISO_E10value_typeET4_T5_PST_SU_PNS1_23onesweep_lookback_stateEbbT6_jjT7_P12ihipStream_tbENKUlT_T0_SI_SN_E_clIPtSD_S15_SD_EEDaS11_S12_SI_SN_EUlS11_E_NS1_11comp_targetILNS1_3genE0ELNS1_11target_archE4294967295ELNS1_3gpuE0ELNS1_3repE0EEENS1_47radix_sort_onesweep_sort_config_static_selectorELNS0_4arch9wavefront6targetE1EEEvSI_.has_dyn_sized_stack, 0
	.set _ZN7rocprim17ROCPRIM_400000_NS6detail17trampoline_kernelINS0_14default_configENS1_35radix_sort_onesweep_config_selectorIttEEZZNS1_29radix_sort_onesweep_iterationIS3_Lb0EN6thrust23THRUST_200600_302600_NS6detail15normal_iteratorINS8_10device_ptrItEEEESD_SD_SD_jNS0_19identity_decomposerENS1_16block_id_wrapperIjLb1EEEEE10hipError_tT1_PNSt15iterator_traitsISI_E10value_typeET2_T3_PNSJ_ISO_E10value_typeET4_T5_PST_SU_PNS1_23onesweep_lookback_stateEbbT6_jjT7_P12ihipStream_tbENKUlT_T0_SI_SN_E_clIPtSD_S15_SD_EEDaS11_S12_SI_SN_EUlS11_E_NS1_11comp_targetILNS1_3genE0ELNS1_11target_archE4294967295ELNS1_3gpuE0ELNS1_3repE0EEENS1_47radix_sort_onesweep_sort_config_static_selectorELNS0_4arch9wavefront6targetE1EEEvSI_.has_recursion, 0
	.set _ZN7rocprim17ROCPRIM_400000_NS6detail17trampoline_kernelINS0_14default_configENS1_35radix_sort_onesweep_config_selectorIttEEZZNS1_29radix_sort_onesweep_iterationIS3_Lb0EN6thrust23THRUST_200600_302600_NS6detail15normal_iteratorINS8_10device_ptrItEEEESD_SD_SD_jNS0_19identity_decomposerENS1_16block_id_wrapperIjLb1EEEEE10hipError_tT1_PNSt15iterator_traitsISI_E10value_typeET2_T3_PNSJ_ISO_E10value_typeET4_T5_PST_SU_PNS1_23onesweep_lookback_stateEbbT6_jjT7_P12ihipStream_tbENKUlT_T0_SI_SN_E_clIPtSD_S15_SD_EEDaS11_S12_SI_SN_EUlS11_E_NS1_11comp_targetILNS1_3genE0ELNS1_11target_archE4294967295ELNS1_3gpuE0ELNS1_3repE0EEENS1_47radix_sort_onesweep_sort_config_static_selectorELNS0_4arch9wavefront6targetE1EEEvSI_.has_indirect_call, 0
	.section	.AMDGPU.csdata,"",@progbits
; Kernel info:
; codeLenInByte = 0
; TotalNumSgprs: 6
; NumVgprs: 0
; NumAgprs: 0
; TotalNumVgprs: 0
; ScratchSize: 0
; MemoryBound: 0
; FloatMode: 240
; IeeeMode: 1
; LDSByteSize: 0 bytes/workgroup (compile time only)
; SGPRBlocks: 0
; VGPRBlocks: 0
; NumSGPRsForWavesPerEU: 6
; NumVGPRsForWavesPerEU: 1
; AccumOffset: 4
; Occupancy: 8
; WaveLimiterHint : 0
; COMPUTE_PGM_RSRC2:SCRATCH_EN: 0
; COMPUTE_PGM_RSRC2:USER_SGPR: 2
; COMPUTE_PGM_RSRC2:TRAP_HANDLER: 0
; COMPUTE_PGM_RSRC2:TGID_X_EN: 1
; COMPUTE_PGM_RSRC2:TGID_Y_EN: 0
; COMPUTE_PGM_RSRC2:TGID_Z_EN: 0
; COMPUTE_PGM_RSRC2:TIDIG_COMP_CNT: 0
; COMPUTE_PGM_RSRC3_GFX90A:ACCUM_OFFSET: 0
; COMPUTE_PGM_RSRC3_GFX90A:TG_SPLIT: 0
	.section	.text._ZN7rocprim17ROCPRIM_400000_NS6detail17trampoline_kernelINS0_14default_configENS1_35radix_sort_onesweep_config_selectorIttEEZZNS1_29radix_sort_onesweep_iterationIS3_Lb0EN6thrust23THRUST_200600_302600_NS6detail15normal_iteratorINS8_10device_ptrItEEEESD_SD_SD_jNS0_19identity_decomposerENS1_16block_id_wrapperIjLb1EEEEE10hipError_tT1_PNSt15iterator_traitsISI_E10value_typeET2_T3_PNSJ_ISO_E10value_typeET4_T5_PST_SU_PNS1_23onesweep_lookback_stateEbbT6_jjT7_P12ihipStream_tbENKUlT_T0_SI_SN_E_clIPtSD_S15_SD_EEDaS11_S12_SI_SN_EUlS11_E_NS1_11comp_targetILNS1_3genE6ELNS1_11target_archE950ELNS1_3gpuE13ELNS1_3repE0EEENS1_47radix_sort_onesweep_sort_config_static_selectorELNS0_4arch9wavefront6targetE1EEEvSI_,"axG",@progbits,_ZN7rocprim17ROCPRIM_400000_NS6detail17trampoline_kernelINS0_14default_configENS1_35radix_sort_onesweep_config_selectorIttEEZZNS1_29radix_sort_onesweep_iterationIS3_Lb0EN6thrust23THRUST_200600_302600_NS6detail15normal_iteratorINS8_10device_ptrItEEEESD_SD_SD_jNS0_19identity_decomposerENS1_16block_id_wrapperIjLb1EEEEE10hipError_tT1_PNSt15iterator_traitsISI_E10value_typeET2_T3_PNSJ_ISO_E10value_typeET4_T5_PST_SU_PNS1_23onesweep_lookback_stateEbbT6_jjT7_P12ihipStream_tbENKUlT_T0_SI_SN_E_clIPtSD_S15_SD_EEDaS11_S12_SI_SN_EUlS11_E_NS1_11comp_targetILNS1_3genE6ELNS1_11target_archE950ELNS1_3gpuE13ELNS1_3repE0EEENS1_47radix_sort_onesweep_sort_config_static_selectorELNS0_4arch9wavefront6targetE1EEEvSI_,comdat
	.protected	_ZN7rocprim17ROCPRIM_400000_NS6detail17trampoline_kernelINS0_14default_configENS1_35radix_sort_onesweep_config_selectorIttEEZZNS1_29radix_sort_onesweep_iterationIS3_Lb0EN6thrust23THRUST_200600_302600_NS6detail15normal_iteratorINS8_10device_ptrItEEEESD_SD_SD_jNS0_19identity_decomposerENS1_16block_id_wrapperIjLb1EEEEE10hipError_tT1_PNSt15iterator_traitsISI_E10value_typeET2_T3_PNSJ_ISO_E10value_typeET4_T5_PST_SU_PNS1_23onesweep_lookback_stateEbbT6_jjT7_P12ihipStream_tbENKUlT_T0_SI_SN_E_clIPtSD_S15_SD_EEDaS11_S12_SI_SN_EUlS11_E_NS1_11comp_targetILNS1_3genE6ELNS1_11target_archE950ELNS1_3gpuE13ELNS1_3repE0EEENS1_47radix_sort_onesweep_sort_config_static_selectorELNS0_4arch9wavefront6targetE1EEEvSI_ ; -- Begin function _ZN7rocprim17ROCPRIM_400000_NS6detail17trampoline_kernelINS0_14default_configENS1_35radix_sort_onesweep_config_selectorIttEEZZNS1_29radix_sort_onesweep_iterationIS3_Lb0EN6thrust23THRUST_200600_302600_NS6detail15normal_iteratorINS8_10device_ptrItEEEESD_SD_SD_jNS0_19identity_decomposerENS1_16block_id_wrapperIjLb1EEEEE10hipError_tT1_PNSt15iterator_traitsISI_E10value_typeET2_T3_PNSJ_ISO_E10value_typeET4_T5_PST_SU_PNS1_23onesweep_lookback_stateEbbT6_jjT7_P12ihipStream_tbENKUlT_T0_SI_SN_E_clIPtSD_S15_SD_EEDaS11_S12_SI_SN_EUlS11_E_NS1_11comp_targetILNS1_3genE6ELNS1_11target_archE950ELNS1_3gpuE13ELNS1_3repE0EEENS1_47radix_sort_onesweep_sort_config_static_selectorELNS0_4arch9wavefront6targetE1EEEvSI_
	.globl	_ZN7rocprim17ROCPRIM_400000_NS6detail17trampoline_kernelINS0_14default_configENS1_35radix_sort_onesweep_config_selectorIttEEZZNS1_29radix_sort_onesweep_iterationIS3_Lb0EN6thrust23THRUST_200600_302600_NS6detail15normal_iteratorINS8_10device_ptrItEEEESD_SD_SD_jNS0_19identity_decomposerENS1_16block_id_wrapperIjLb1EEEEE10hipError_tT1_PNSt15iterator_traitsISI_E10value_typeET2_T3_PNSJ_ISO_E10value_typeET4_T5_PST_SU_PNS1_23onesweep_lookback_stateEbbT6_jjT7_P12ihipStream_tbENKUlT_T0_SI_SN_E_clIPtSD_S15_SD_EEDaS11_S12_SI_SN_EUlS11_E_NS1_11comp_targetILNS1_3genE6ELNS1_11target_archE950ELNS1_3gpuE13ELNS1_3repE0EEENS1_47radix_sort_onesweep_sort_config_static_selectorELNS0_4arch9wavefront6targetE1EEEvSI_
	.p2align	8
	.type	_ZN7rocprim17ROCPRIM_400000_NS6detail17trampoline_kernelINS0_14default_configENS1_35radix_sort_onesweep_config_selectorIttEEZZNS1_29radix_sort_onesweep_iterationIS3_Lb0EN6thrust23THRUST_200600_302600_NS6detail15normal_iteratorINS8_10device_ptrItEEEESD_SD_SD_jNS0_19identity_decomposerENS1_16block_id_wrapperIjLb1EEEEE10hipError_tT1_PNSt15iterator_traitsISI_E10value_typeET2_T3_PNSJ_ISO_E10value_typeET4_T5_PST_SU_PNS1_23onesweep_lookback_stateEbbT6_jjT7_P12ihipStream_tbENKUlT_T0_SI_SN_E_clIPtSD_S15_SD_EEDaS11_S12_SI_SN_EUlS11_E_NS1_11comp_targetILNS1_3genE6ELNS1_11target_archE950ELNS1_3gpuE13ELNS1_3repE0EEENS1_47radix_sort_onesweep_sort_config_static_selectorELNS0_4arch9wavefront6targetE1EEEvSI_,@function
_ZN7rocprim17ROCPRIM_400000_NS6detail17trampoline_kernelINS0_14default_configENS1_35radix_sort_onesweep_config_selectorIttEEZZNS1_29radix_sort_onesweep_iterationIS3_Lb0EN6thrust23THRUST_200600_302600_NS6detail15normal_iteratorINS8_10device_ptrItEEEESD_SD_SD_jNS0_19identity_decomposerENS1_16block_id_wrapperIjLb1EEEEE10hipError_tT1_PNSt15iterator_traitsISI_E10value_typeET2_T3_PNSJ_ISO_E10value_typeET4_T5_PST_SU_PNS1_23onesweep_lookback_stateEbbT6_jjT7_P12ihipStream_tbENKUlT_T0_SI_SN_E_clIPtSD_S15_SD_EEDaS11_S12_SI_SN_EUlS11_E_NS1_11comp_targetILNS1_3genE6ELNS1_11target_archE950ELNS1_3gpuE13ELNS1_3repE0EEENS1_47radix_sort_onesweep_sort_config_static_selectorELNS0_4arch9wavefront6targetE1EEEvSI_: ; @_ZN7rocprim17ROCPRIM_400000_NS6detail17trampoline_kernelINS0_14default_configENS1_35radix_sort_onesweep_config_selectorIttEEZZNS1_29radix_sort_onesweep_iterationIS3_Lb0EN6thrust23THRUST_200600_302600_NS6detail15normal_iteratorINS8_10device_ptrItEEEESD_SD_SD_jNS0_19identity_decomposerENS1_16block_id_wrapperIjLb1EEEEE10hipError_tT1_PNSt15iterator_traitsISI_E10value_typeET2_T3_PNSJ_ISO_E10value_typeET4_T5_PST_SU_PNS1_23onesweep_lookback_stateEbbT6_jjT7_P12ihipStream_tbENKUlT_T0_SI_SN_E_clIPtSD_S15_SD_EEDaS11_S12_SI_SN_EUlS11_E_NS1_11comp_targetILNS1_3genE6ELNS1_11target_archE950ELNS1_3gpuE13ELNS1_3repE0EEENS1_47radix_sort_onesweep_sort_config_static_selectorELNS0_4arch9wavefront6targetE1EEEvSI_
; %bb.0:
	s_load_dwordx4 s[4:7], s[0:1], 0x28
                                        ; implicit-def: $vgpr117 : SGPR spill to VGPR lane
	v_and_b32_e32 v2, 0x3ff, v0
	v_cmp_eq_u32_e64 s[94:95], 0, v2
	s_waitcnt lgkmcnt(0)
	v_writelane_b32 v117, s4, 0
	s_nop 1
	v_writelane_b32 v117, s5, 1
	v_writelane_b32 v117, s6, 2
	;; [unrolled: 1-line block ×3, first 2 shown]
	s_load_dwordx2 s[6:7], s[0:1], 0x38
	s_load_dwordx4 s[96:99], s[0:1], 0x44
	s_and_saveexec_b64 s[4:5], s[94:95]
	s_cbranch_execz .LBB993_4
; %bb.1:
	s_mov_b64 s[10:11], exec
	v_mbcnt_lo_u32_b32 v1, s10, 0
	v_mbcnt_hi_u32_b32 v1, s11, v1
	v_cmp_eq_u32_e32 vcc, 0, v1
                                        ; implicit-def: $vgpr3
	s_and_saveexec_b64 s[8:9], vcc
	s_cbranch_execz .LBB993_3
; %bb.2:
	s_load_dwordx2 s[12:13], s[0:1], 0x50
	s_bcnt1_i32_b64 s3, s[10:11]
	v_mov_b32_e32 v3, 0
	v_mov_b32_e32 v4, s3
	s_waitcnt lgkmcnt(0)
	global_atomic_add v3, v3, v4, s[12:13] sc0
.LBB993_3:
	s_or_b64 exec, exec, s[8:9]
	s_waitcnt vmcnt(0)
	v_readfirstlane_b32 s3, v3
	v_mov_b32_e32 v3, 0
	s_nop 0
	v_add_u32_e32 v1, s3, v1
	ds_write_b32 v3, v1 offset:22784
.LBB993_4:
	s_or_b64 exec, exec, s[4:5]
	v_mov_b32_e32 v5, 0
	s_load_dwordx8 s[8:15], s[0:1], 0x0
	s_load_dword s3, s[0:1], 0x20
	s_waitcnt lgkmcnt(0)
	s_barrier
	ds_read_b32 v1, v5 offset:22784
	s_mov_b64 s[16:17], -1
	s_waitcnt lgkmcnt(0)
	s_barrier
	v_readfirstlane_b32 s33, v1
	v_cmp_le_u32_e32 vcc, s98, v1
	s_mul_i32 s4, s33, 0x2c00
	v_mbcnt_lo_u32_b32 v1, -1, 0
	s_cbranch_vccz .LBB993_292
; %bb.5:
	s_mul_i32 s5, s98, 0xffffd400
	s_add_i32 s3, s5, s3
	s_mov_b32 s5, 0
	s_lshl_b64 s[98:99], s[4:5], 1
	v_mbcnt_hi_u32_b32 v15, -1, v1
	s_add_u32 s16, s8, s98
	v_and_b32_e32 v3, 63, v15
	v_and_b32_e32 v18, 0x3c0, v2
	s_addc_u32 s17, s9, s99
	v_mul_u32_u24_e32 v10, 22, v18
	v_lshlrev_b32_e32 v4, 1, v3
	v_lshl_add_u64 v[8:9], s[16:17], 0, v[4:5]
	v_lshlrev_b32_e32 v6, 1, v10
	v_mov_b32_e32 v7, v5
	v_lshl_add_u64 v[8:9], v[8:9], 0, v[6:7]
	v_or_b32_e32 v11, v3, v10
	v_mov_b32_e32 v35, 0xffff
	v_mov_b32_e32 v3, -1
	v_mov_b32_e32 v5, -1
	v_mov_b32_e32 v10, 0xffff
	v_cmp_gt_u32_e64 s[18:19], s3, v11
	s_mov_b64 s[16:17], exec
	s_nop 0
	v_writelane_b32 v117, s18, 4
	s_nop 1
	v_writelane_b32 v117, s19, 5
	s_and_b64 s[18:19], s[16:17], s[18:19]
	s_mov_b64 exec, s[18:19]
	s_cbranch_execz .LBB993_7
; %bb.6:
	global_load_ushort v5, v[8:9], off
	s_waitcnt vmcnt(0)
	v_and_b32_e32 v10, 0xffff, v5
.LBB993_7:
	s_or_b64 exec, exec, s[16:17]
	v_or_b32_e32 v7, 64, v11
	v_cmp_gt_u32_e64 s[18:19], s3, v7
	s_mov_b64 s[16:17], exec
	s_nop 0
	v_writelane_b32 v117, s18, 6
	s_nop 1
	v_writelane_b32 v117, s19, 7
	s_and_b64 s[18:19], s[16:17], s[18:19]
	s_mov_b64 exec, s[18:19]
	s_cbranch_execz .LBB993_9
; %bb.8:
	global_load_ushort v3, v[8:9], off offset:128
	s_waitcnt vmcnt(0)
	v_and_b32_e32 v35, 0xffff, v3
.LBB993_9:
	s_or_b64 exec, exec, s[16:17]
	v_add_u32_e32 v7, 0x80, v11
	v_cmp_gt_u32_e64 s[18:19], s3, v7
	v_mov_b32_e32 v45, 0xffff
	v_mov_b32_e32 v7, -1
	v_mov_b32_e32 v12, -1
	v_mov_b32_e32 v39, 0xffff
	s_mov_b64 s[16:17], exec
	v_writelane_b32 v117, s18, 8
	s_nop 1
	v_writelane_b32 v117, s19, 9
	s_and_b64 s[18:19], s[16:17], s[18:19]
	s_mov_b64 exec, s[18:19]
	s_cbranch_execz .LBB993_11
; %bb.10:
	global_load_ushort v12, v[8:9], off offset:256
	s_waitcnt vmcnt(0)
	v_and_b32_e32 v39, 0xffff, v12
.LBB993_11:
	s_or_b64 exec, exec, s[16:17]
	v_add_u32_e32 v13, 0xc0, v11
	v_cmp_gt_u32_e64 s[18:19], s3, v13
	s_mov_b64 s[16:17], exec
	s_nop 0
	v_writelane_b32 v117, s18, 10
	s_nop 1
	v_writelane_b32 v117, s19, 11
	s_and_b64 s[18:19], s[16:17], s[18:19]
	s_mov_b64 exec, s[18:19]
	s_cbranch_execz .LBB993_13
; %bb.12:
	global_load_ushort v7, v[8:9], off offset:384
	s_waitcnt vmcnt(0)
	v_and_b32_e32 v45, 0xffff, v7
.LBB993_13:
	s_or_b64 exec, exec, s[16:17]
	v_add_u32_e32 v13, 0x100, v11
	v_cmp_gt_u32_e64 s[18:19], s3, v13
	v_mov_b32_e32 v53, 0xffff
	v_mov_b32_e32 v13, -1
	v_mov_b32_e32 v14, -1
	v_mov_b32_e32 v48, 0xffff
	s_mov_b64 s[16:17], exec
	v_writelane_b32 v117, s18, 12
	s_nop 1
	v_writelane_b32 v117, s19, 13
	s_and_b64 s[18:19], s[16:17], s[18:19]
	s_mov_b64 exec, s[18:19]
	s_cbranch_execz .LBB993_15
; %bb.14:
	global_load_ushort v14, v[8:9], off offset:512
	s_waitcnt vmcnt(0)
	v_and_b32_e32 v48, 0xffff, v14
.LBB993_15:
	s_or_b64 exec, exec, s[16:17]
	v_add_u32_e32 v16, 0x140, v11
	;; [unrolled: 35-line block ×3, first 2 shown]
	v_cmp_gt_u32_e64 s[18:19], s3, v19
	s_mov_b64 s[16:17], exec
	s_nop 0
	v_writelane_b32 v117, s18, 18
	s_nop 1
	v_writelane_b32 v117, s19, 19
	s_and_b64 s[18:19], s[16:17], s[18:19]
	s_mov_b64 exec, s[18:19]
	s_cbranch_execz .LBB993_21
; %bb.20:
	global_load_ushort v16, v[8:9], off offset:896
	s_waitcnt vmcnt(0)
	v_and_b32_e32 v61, 0xffff, v16
.LBB993_21:
	s_or_b64 exec, exec, s[16:17]
	v_add_u32_e32 v19, 0x200, v11
	v_cmp_gt_u32_e32 vcc, s3, v19
	v_mov_b32_e32 v70, 0xffff
	v_mov_b32_e32 v19, -1
	v_mov_b32_e32 v20, -1
	v_mov_b32_e32 v66, 0xffff
	s_and_saveexec_b64 s[16:17], vcc
	s_cbranch_execz .LBB993_23
; %bb.22:
	global_load_ushort v20, v[8:9], off offset:1024
	s_waitcnt vmcnt(0)
	v_and_b32_e32 v66, 0xffff, v20
.LBB993_23:
	s_or_b64 exec, exec, s[16:17]
	v_add_u32_e32 v21, 0x240, v11
	v_cmp_gt_u32_e64 s[20:21], s3, v21
	s_and_saveexec_b64 s[16:17], s[20:21]
	s_cbranch_execz .LBB993_25
; %bb.24:
	global_load_ushort v19, v[8:9], off offset:1152
	s_waitcnt vmcnt(0)
	v_and_b32_e32 v70, 0xffff, v19
.LBB993_25:
	s_or_b64 exec, exec, s[16:17]
	v_add_u32_e32 v21, 0x280, v11
	v_cmp_gt_u32_e64 s[22:23], s3, v21
	v_mov_b32_e32 v71, 0xffff
	v_mov_b32_e32 v21, -1
	v_mov_b32_e32 v22, -1
	v_mov_b32_e32 v74, 0xffff
	s_and_saveexec_b64 s[16:17], s[22:23]
	s_cbranch_execz .LBB993_27
; %bb.26:
	global_load_ushort v22, v[8:9], off offset:1280
	s_waitcnt vmcnt(0)
	v_and_b32_e32 v74, 0xffff, v22
.LBB993_27:
	s_or_b64 exec, exec, s[16:17]
	v_add_u32_e32 v23, 0x2c0, v11
	v_cmp_gt_u32_e64 s[24:25], s3, v23
	s_and_saveexec_b64 s[16:17], s[24:25]
	s_cbranch_execz .LBB993_29
; %bb.28:
	global_load_ushort v21, v[8:9], off offset:1408
	s_waitcnt vmcnt(0)
	v_and_b32_e32 v71, 0xffff, v21
.LBB993_29:
	s_or_b64 exec, exec, s[16:17]
	v_add_u32_e32 v23, 0x300, v11
	v_cmp_gt_u32_e64 s[26:27], s3, v23
	v_mov_b32_e32 v65, 0xffff
	v_mov_b32_e32 v23, -1
	v_mov_b32_e32 v24, -1
	v_mov_b32_e32 v69, 0xffff
	s_and_saveexec_b64 s[16:17], s[26:27]
	;; [unrolled: 24-line block ×6, first 2 shown]
	s_cbranch_execz .LBB993_47
; %bb.46:
	global_load_ushort v32, v[8:9], off offset:2560
	s_waitcnt vmcnt(0)
	v_and_b32_e32 v40, 0xffff, v32
.LBB993_47:
	s_or_b64 exec, exec, s[16:17]
	v_add_u32_e32 v11, 0x540, v11
	v_cmp_gt_u32_e64 s[46:47], s3, v11
	s_and_saveexec_b64 s[16:17], s[46:47]
	s_cbranch_execz .LBB993_49
; %bb.48:
	global_load_ushort v31, v[8:9], off offset:2688
	s_waitcnt vmcnt(0)
	v_and_b32_e32 v36, 0xffff, v31
.LBB993_49:
	s_or_b64 exec, exec, s[16:17]
	s_load_dword s5, s[0:1], 0x64
	s_load_dword s18, s[0:1], 0x58
	s_add_u32 s16, s0, 0x58
	s_addc_u32 s17, s1, 0
	v_mov_b32_e32 v8, 0
	s_waitcnt lgkmcnt(0)
	s_lshr_b32 s5, s5, 16
	s_cmp_lt_u32 s2, s18
	s_cselect_b32 s18, 12, 18
	s_add_u32 s16, s16, s18
	s_addc_u32 s17, s17, 0
	global_load_ushort v37, v8, s[16:17]
	v_bfe_u32 v34, v0, 10, 10
	v_bfe_u32 v38, v0, 20, 10
	v_lshrrev_b32_e32 v10, s96, v10
	s_lshl_b32 s16, -1, s97
	v_lshlrev_b32_e32 v33, 3, v2
	v_mov_b32_e32 v9, v8
	v_mad_u32_u24 v38, v38, s5, v34
	v_bitop3_b32 v34, v10, s16, v10 bitop3:0x30
	v_mov_b32_e32 v11, v8
	ds_write_b64 v33, v[8:9] offset:32
	v_and_b32_e32 v10, 1, v34
	v_lshlrev_b32_e32 v9, 30, v34
	v_lshl_add_u64 v[42:43], v[10:11], 0, -1
	v_cmp_ne_u32_e64 s[48:49], 0, v10
	v_cmp_gt_i64_e64 s[50:51], 0, v[8:9]
	v_not_b32_e32 v10, v9
	v_lshlrev_b32_e32 v9, 29, v34
	v_xor_b32_e32 v11, s49, v43
	v_xor_b32_e32 v42, s48, v42
	v_ashrrev_i32_e32 v10, 31, v10
	v_cmp_gt_i64_e64 s[48:49], 0, v[8:9]
	v_not_b32_e32 v43, v9
	v_lshlrev_b32_e32 v9, 28, v34
	v_and_b32_e32 v11, exec_hi, v11
	v_and_b32_e32 v42, exec_lo, v42
	v_xor_b32_e32 v46, s51, v10
	v_xor_b32_e32 v10, s50, v10
	v_ashrrev_i32_e32 v43, 31, v43
	v_cmp_gt_i64_e64 s[50:51], 0, v[8:9]
	v_not_b32_e32 v47, v9
	v_lshlrev_b32_e32 v9, 27, v34
	v_and_b32_e32 v11, v11, v46
	v_and_b32_e32 v10, v42, v10
	v_xor_b32_e32 v42, s49, v43
	v_xor_b32_e32 v43, s48, v43
	v_ashrrev_i32_e32 v46, 31, v47
	v_cmp_gt_i64_e64 s[48:49], 0, v[8:9]
	v_not_b32_e32 v47, v9
	v_lshlrev_b32_e32 v9, 26, v34
	v_mul_u32_u24_e32 v41, 36, v34
	v_and_b32_e32 v11, v11, v42
	v_and_b32_e32 v10, v10, v43
	v_xor_b32_e32 v34, s51, v46
	v_xor_b32_e32 v42, s50, v46
	v_ashrrev_i32_e32 v43, 31, v47
	v_cmp_gt_i64_e64 s[50:51], 0, v[8:9]
	v_not_b32_e32 v9, v9
	v_and_b32_e32 v11, v11, v34
	v_and_b32_e32 v10, v10, v42
	v_xor_b32_e32 v34, s49, v43
	v_xor_b32_e32 v42, s48, v43
	v_ashrrev_i32_e32 v9, 31, v9
	v_and_b32_e32 v11, v11, v34
	v_and_b32_e32 v10, v10, v42
	v_xor_b32_e32 v34, s51, v9
	v_xor_b32_e32 v9, s50, v9
	v_and_b32_e32 v10, v10, v9
	s_not_b32 s5, s16
	v_and_b32_e32 v11, v11, v34
	v_mbcnt_lo_u32_b32 v9, v10, 0
	v_mbcnt_hi_u32_b32 v34, v11, v9
	v_cmp_ne_u64_e64 s[48:49], 0, v[10:11]
	v_cmp_eq_u32_e64 s[50:51], 0, v34
	s_and_b64 s[48:49], s[48:49], s[50:51]
	s_waitcnt lgkmcnt(0)
	s_barrier
	s_waitcnt vmcnt(0)
	; wave barrier
	v_mad_u64_u32 v[42:43], s[16:17], v38, v37, v[2:3]
	v_lshrrev_b32_e32 v9, 4, v42
	v_and_b32_e32 v43, 0xffffffc, v9
	v_add_u32_e32 v37, v43, v41
	s_and_saveexec_b64 s[16:17], s[48:49]
; %bb.50:
	v_bcnt_u32_b32 v9, v10, 0
	v_bcnt_u32_b32 v9, v11, v9
	ds_write_b32 v37, v9 offset:32
; %bb.51:
	s_or_b64 exec, exec, s[16:17]
	v_lshrrev_b32_e32 v9, s96, v35
	v_and_b32_e32 v38, s5, v9
	v_and_b32_e32 v10, 1, v38
	v_mov_b32_e32 v11, v8
	v_mad_u32_u24 v9, v38, 36, v43
	v_lshl_add_u64 v[46:47], v[10:11], 0, -1
	v_cmp_ne_u32_e64 s[48:49], 0, v10
	; wave barrier
	ds_read_b32 v35, v9 offset:32
	s_nop 0
	v_xor_b32_e32 v9, s49, v47
	v_and_b32_e32 v11, exec_hi, v9
	v_lshlrev_b32_e32 v9, 30, v38
	v_xor_b32_e32 v10, s48, v46
	v_cmp_gt_i64_e64 s[48:49], 0, v[8:9]
	v_not_b32_e32 v9, v9
	v_ashrrev_i32_e32 v9, 31, v9
	v_and_b32_e32 v10, exec_lo, v10
	v_xor_b32_e32 v42, s49, v9
	v_xor_b32_e32 v9, s48, v9
	v_and_b32_e32 v10, v10, v9
	v_lshlrev_b32_e32 v9, 29, v38
	v_cmp_gt_i64_e64 s[48:49], 0, v[8:9]
	v_not_b32_e32 v9, v9
	v_ashrrev_i32_e32 v9, 31, v9
	v_and_b32_e32 v11, v11, v42
	v_xor_b32_e32 v42, s49, v9
	v_xor_b32_e32 v9, s48, v9
	v_and_b32_e32 v10, v10, v9
	v_lshlrev_b32_e32 v9, 28, v38
	v_cmp_gt_i64_e64 s[48:49], 0, v[8:9]
	v_not_b32_e32 v9, v9
	v_ashrrev_i32_e32 v9, 31, v9
	v_and_b32_e32 v11, v11, v42
	;; [unrolled: 8-line block ×3, first 2 shown]
	v_xor_b32_e32 v42, s49, v9
	v_xor_b32_e32 v9, s48, v9
	v_and_b32_e32 v10, v10, v9
	v_lshlrev_b32_e32 v9, 26, v38
	v_cmp_gt_i64_e64 s[48:49], 0, v[8:9]
	v_not_b32_e32 v8, v9
	v_ashrrev_i32_e32 v8, 31, v8
	v_xor_b32_e32 v9, s49, v8
	v_xor_b32_e32 v8, s48, v8
	v_and_b32_e32 v11, v11, v42
	v_and_b32_e32 v8, v10, v8
	;; [unrolled: 1-line block ×3, first 2 shown]
	v_mbcnt_lo_u32_b32 v10, v8, 0
	v_mul_u32_u24_e32 v41, 36, v38
	v_mbcnt_hi_u32_b32 v38, v9, v10
	v_cmp_eq_u32_e64 s[48:49], 0, v38
	v_cmp_ne_u64_e64 s[50:51], 0, v[8:9]
	s_and_b64 s[48:49], s[50:51], s[48:49]
	v_add_u32_e32 v41, v43, v41
	; wave barrier
	s_and_saveexec_b64 s[16:17], s[48:49]
	s_cbranch_execz .LBB993_53
; %bb.52:
	v_bcnt_u32_b32 v8, v8, 0
	v_bcnt_u32_b32 v8, v9, v8
	s_waitcnt lgkmcnt(0)
	v_add_u32_e32 v8, v35, v8
	ds_write_b32 v41, v8 offset:32
.LBB993_53:
	s_or_b64 exec, exec, s[16:17]
	v_lshrrev_b32_e32 v8, s96, v39
	v_and_b32_e32 v42, s5, v8
	v_mad_u32_u24 v8, v42, 36, v43
	; wave barrier
	ds_read_b32 v39, v8 offset:32
	v_and_b32_e32 v8, 1, v42
	v_mov_b32_e32 v9, 0
	v_lshl_add_u64 v[10:11], v[8:9], 0, -1
	v_cmp_ne_u32_e64 s[48:49], 0, v8
	v_mul_u32_u24_e32 v46, 36, v42
	v_add_u32_e32 v46, v43, v46
	v_xor_b32_e32 v10, s48, v10
	v_xor_b32_e32 v8, s49, v11
	v_and_b32_e32 v47, exec_lo, v10
	v_lshlrev_b32_e32 v11, 30, v42
	v_mov_b32_e32 v10, v9
	v_cmp_gt_i64_e64 s[48:49], 0, v[10:11]
	v_not_b32_e32 v10, v11
	v_ashrrev_i32_e32 v10, 31, v10
	v_and_b32_e32 v8, exec_hi, v8
	v_xor_b32_e32 v11, s49, v10
	v_xor_b32_e32 v10, s48, v10
	v_and_b32_e32 v8, v8, v11
	v_and_b32_e32 v47, v47, v10
	v_lshlrev_b32_e32 v11, 29, v42
	v_mov_b32_e32 v10, v9
	v_cmp_gt_i64_e64 s[48:49], 0, v[10:11]
	v_not_b32_e32 v10, v11
	v_ashrrev_i32_e32 v10, 31, v10
	v_xor_b32_e32 v11, s49, v10
	v_xor_b32_e32 v10, s48, v10
	v_and_b32_e32 v8, v8, v11
	v_and_b32_e32 v47, v47, v10
	v_lshlrev_b32_e32 v11, 28, v42
	v_mov_b32_e32 v10, v9
	v_cmp_gt_i64_e64 s[48:49], 0, v[10:11]
	v_not_b32_e32 v10, v11
	v_ashrrev_i32_e32 v10, 31, v10
	;; [unrolled: 9-line block ×4, first 2 shown]
	v_xor_b32_e32 v11, s49, v10
	v_xor_b32_e32 v10, s48, v10
	v_and_b32_e32 v10, v47, v10
	v_and_b32_e32 v11, v8, v11
	v_mbcnt_lo_u32_b32 v8, v10, 0
	v_mbcnt_hi_u32_b32 v42, v11, v8
	v_cmp_eq_u32_e64 s[48:49], 0, v42
	v_cmp_ne_u64_e64 s[50:51], 0, v[10:11]
	s_and_b64 s[48:49], s[50:51], s[48:49]
	; wave barrier
	s_and_saveexec_b64 s[16:17], s[48:49]
	s_cbranch_execz .LBB993_55
; %bb.54:
	v_bcnt_u32_b32 v8, v10, 0
	v_bcnt_u32_b32 v8, v11, v8
	s_waitcnt lgkmcnt(0)
	v_add_u32_e32 v8, v39, v8
	ds_write_b32 v46, v8 offset:32
.LBB993_55:
	s_or_b64 exec, exec, s[16:17]
	v_lshrrev_b32_e32 v8, s96, v45
	v_and_b32_e32 v47, s5, v8
	v_mad_u32_u24 v8, v47, 36, v43
	; wave barrier
	ds_read_b32 v45, v8 offset:32
	v_and_b32_e32 v8, 1, v47
	v_lshl_add_u64 v[10:11], v[8:9], 0, -1
	v_cmp_ne_u32_e64 s[48:49], 0, v8
	v_mul_u32_u24_e32 v50, 36, v47
	v_add_u32_e32 v50, v43, v50
	v_xor_b32_e32 v10, s48, v10
	v_xor_b32_e32 v8, s49, v11
	v_and_b32_e32 v52, exec_lo, v10
	v_lshlrev_b32_e32 v11, 30, v47
	v_mov_b32_e32 v10, v9
	v_cmp_gt_i64_e64 s[48:49], 0, v[10:11]
	v_not_b32_e32 v10, v11
	v_ashrrev_i32_e32 v10, 31, v10
	v_and_b32_e32 v8, exec_hi, v8
	v_xor_b32_e32 v11, s49, v10
	v_xor_b32_e32 v10, s48, v10
	v_and_b32_e32 v8, v8, v11
	v_and_b32_e32 v52, v52, v10
	v_lshlrev_b32_e32 v11, 29, v47
	v_mov_b32_e32 v10, v9
	v_cmp_gt_i64_e64 s[48:49], 0, v[10:11]
	v_not_b32_e32 v10, v11
	v_ashrrev_i32_e32 v10, 31, v10
	v_xor_b32_e32 v11, s49, v10
	v_xor_b32_e32 v10, s48, v10
	v_and_b32_e32 v8, v8, v11
	v_and_b32_e32 v52, v52, v10
	v_lshlrev_b32_e32 v11, 28, v47
	v_mov_b32_e32 v10, v9
	v_cmp_gt_i64_e64 s[48:49], 0, v[10:11]
	v_not_b32_e32 v10, v11
	v_ashrrev_i32_e32 v10, 31, v10
	;; [unrolled: 9-line block ×3, first 2 shown]
	v_xor_b32_e32 v11, s49, v10
	v_xor_b32_e32 v10, s48, v10
	v_and_b32_e32 v8, v8, v11
	v_lshlrev_b32_e32 v11, 26, v47
	v_and_b32_e32 v52, v52, v10
	v_mov_b32_e32 v10, v9
	v_not_b32_e32 v9, v11
	v_cmp_gt_i64_e64 s[48:49], 0, v[10:11]
	v_ashrrev_i32_e32 v9, 31, v9
	s_nop 0
	v_xor_b32_e32 v10, s49, v9
	v_xor_b32_e32 v11, s48, v9
	v_and_b32_e32 v9, v8, v10
	v_and_b32_e32 v8, v52, v11
	v_mbcnt_lo_u32_b32 v10, v8, 0
	v_mbcnt_hi_u32_b32 v47, v9, v10
	v_cmp_eq_u32_e64 s[48:49], 0, v47
	v_cmp_ne_u64_e64 s[50:51], 0, v[8:9]
	s_and_b64 s[48:49], s[50:51], s[48:49]
	; wave barrier
	s_and_saveexec_b64 s[16:17], s[48:49]
	s_cbranch_execz .LBB993_57
; %bb.56:
	v_bcnt_u32_b32 v8, v8, 0
	v_bcnt_u32_b32 v8, v9, v8
	s_waitcnt lgkmcnt(0)
	v_add_u32_e32 v8, v45, v8
	ds_write_b32 v50, v8 offset:32
.LBB993_57:
	s_or_b64 exec, exec, s[16:17]
	v_lshrrev_b32_e32 v8, s96, v48
	v_and_b32_e32 v52, s5, v8
	v_mad_u32_u24 v8, v52, 36, v43
	; wave barrier
	ds_read_b32 v48, v8 offset:32
	v_and_b32_e32 v8, 1, v52
	v_mov_b32_e32 v9, 0
	v_lshl_add_u64 v[10:11], v[8:9], 0, -1
	v_cmp_ne_u32_e64 s[48:49], 0, v8
	v_mul_u32_u24_e32 v54, 36, v52
	v_add_u32_e32 v54, v43, v54
	v_xor_b32_e32 v10, s48, v10
	v_xor_b32_e32 v8, s49, v11
	v_and_b32_e32 v56, exec_lo, v10
	v_lshlrev_b32_e32 v11, 30, v52
	v_mov_b32_e32 v10, v9
	v_cmp_gt_i64_e64 s[48:49], 0, v[10:11]
	v_not_b32_e32 v10, v11
	v_ashrrev_i32_e32 v10, 31, v10
	v_and_b32_e32 v8, exec_hi, v8
	v_xor_b32_e32 v11, s49, v10
	v_xor_b32_e32 v10, s48, v10
	v_and_b32_e32 v8, v8, v11
	v_and_b32_e32 v56, v56, v10
	v_lshlrev_b32_e32 v11, 29, v52
	v_mov_b32_e32 v10, v9
	v_cmp_gt_i64_e64 s[48:49], 0, v[10:11]
	v_not_b32_e32 v10, v11
	v_ashrrev_i32_e32 v10, 31, v10
	v_xor_b32_e32 v11, s49, v10
	v_xor_b32_e32 v10, s48, v10
	v_and_b32_e32 v8, v8, v11
	v_and_b32_e32 v56, v56, v10
	v_lshlrev_b32_e32 v11, 28, v52
	v_mov_b32_e32 v10, v9
	v_cmp_gt_i64_e64 s[48:49], 0, v[10:11]
	v_not_b32_e32 v10, v11
	v_ashrrev_i32_e32 v10, 31, v10
	;; [unrolled: 9-line block ×4, first 2 shown]
	v_xor_b32_e32 v11, s49, v10
	v_xor_b32_e32 v10, s48, v10
	v_and_b32_e32 v10, v56, v10
	v_and_b32_e32 v11, v8, v11
	v_mbcnt_lo_u32_b32 v8, v10, 0
	v_mbcnt_hi_u32_b32 v52, v11, v8
	v_cmp_eq_u32_e64 s[48:49], 0, v52
	v_cmp_ne_u64_e64 s[50:51], 0, v[10:11]
	s_and_b64 s[48:49], s[50:51], s[48:49]
	; wave barrier
	s_and_saveexec_b64 s[16:17], s[48:49]
	s_cbranch_execz .LBB993_59
; %bb.58:
	v_bcnt_u32_b32 v8, v10, 0
	v_bcnt_u32_b32 v8, v11, v8
	s_waitcnt lgkmcnt(0)
	v_add_u32_e32 v8, v48, v8
	ds_write_b32 v54, v8 offset:32
.LBB993_59:
	s_or_b64 exec, exec, s[16:17]
	v_lshrrev_b32_e32 v8, s96, v53
	v_and_b32_e32 v56, s5, v8
	v_mad_u32_u24 v8, v56, 36, v43
	; wave barrier
	ds_read_b32 v53, v8 offset:32
	v_and_b32_e32 v8, 1, v56
	v_lshl_add_u64 v[10:11], v[8:9], 0, -1
	v_cmp_ne_u32_e64 s[48:49], 0, v8
	v_mul_u32_u24_e32 v59, 36, v56
	v_add_u32_e32 v59, v43, v59
	v_xor_b32_e32 v10, s48, v10
	v_xor_b32_e32 v8, s49, v11
	v_and_b32_e32 v60, exec_lo, v10
	v_lshlrev_b32_e32 v11, 30, v56
	v_mov_b32_e32 v10, v9
	v_cmp_gt_i64_e64 s[48:49], 0, v[10:11]
	v_not_b32_e32 v10, v11
	v_ashrrev_i32_e32 v10, 31, v10
	v_and_b32_e32 v8, exec_hi, v8
	v_xor_b32_e32 v11, s49, v10
	v_xor_b32_e32 v10, s48, v10
	v_and_b32_e32 v8, v8, v11
	v_and_b32_e32 v60, v60, v10
	v_lshlrev_b32_e32 v11, 29, v56
	v_mov_b32_e32 v10, v9
	v_cmp_gt_i64_e64 s[48:49], 0, v[10:11]
	v_not_b32_e32 v10, v11
	v_ashrrev_i32_e32 v10, 31, v10
	v_xor_b32_e32 v11, s49, v10
	v_xor_b32_e32 v10, s48, v10
	v_and_b32_e32 v8, v8, v11
	v_and_b32_e32 v60, v60, v10
	v_lshlrev_b32_e32 v11, 28, v56
	v_mov_b32_e32 v10, v9
	v_cmp_gt_i64_e64 s[48:49], 0, v[10:11]
	v_not_b32_e32 v10, v11
	v_ashrrev_i32_e32 v10, 31, v10
	;; [unrolled: 9-line block ×3, first 2 shown]
	v_xor_b32_e32 v11, s49, v10
	v_xor_b32_e32 v10, s48, v10
	v_and_b32_e32 v8, v8, v11
	v_lshlrev_b32_e32 v11, 26, v56
	v_and_b32_e32 v60, v60, v10
	v_mov_b32_e32 v10, v9
	v_not_b32_e32 v9, v11
	v_cmp_gt_i64_e64 s[48:49], 0, v[10:11]
	v_ashrrev_i32_e32 v9, 31, v9
	s_nop 0
	v_xor_b32_e32 v10, s49, v9
	v_xor_b32_e32 v11, s48, v9
	v_and_b32_e32 v9, v8, v10
	v_and_b32_e32 v8, v60, v11
	v_mbcnt_lo_u32_b32 v10, v8, 0
	v_mbcnt_hi_u32_b32 v56, v9, v10
	v_cmp_eq_u32_e64 s[48:49], 0, v56
	v_cmp_ne_u64_e64 s[50:51], 0, v[8:9]
	s_and_b64 s[48:49], s[50:51], s[48:49]
	; wave barrier
	s_and_saveexec_b64 s[16:17], s[48:49]
	s_cbranch_execz .LBB993_61
; %bb.60:
	v_bcnt_u32_b32 v8, v8, 0
	v_bcnt_u32_b32 v8, v9, v8
	s_waitcnt lgkmcnt(0)
	v_add_u32_e32 v8, v53, v8
	ds_write_b32 v59, v8 offset:32
.LBB993_61:
	s_or_b64 exec, exec, s[16:17]
	v_lshrrev_b32_e32 v8, s96, v57
	v_and_b32_e32 v60, s5, v8
	v_mad_u32_u24 v8, v60, 36, v43
	; wave barrier
	ds_read_b32 v57, v8 offset:32
	v_and_b32_e32 v8, 1, v60
	v_mov_b32_e32 v9, 0
	v_lshl_add_u64 v[10:11], v[8:9], 0, -1
	v_cmp_ne_u32_e64 s[48:49], 0, v8
	v_mul_u32_u24_e32 v63, 36, v60
	v_add_u32_e32 v63, v43, v63
	v_xor_b32_e32 v10, s48, v10
	v_xor_b32_e32 v8, s49, v11
	v_and_b32_e32 v64, exec_lo, v10
	v_lshlrev_b32_e32 v11, 30, v60
	v_mov_b32_e32 v10, v9
	v_cmp_gt_i64_e64 s[48:49], 0, v[10:11]
	v_not_b32_e32 v10, v11
	v_ashrrev_i32_e32 v10, 31, v10
	v_and_b32_e32 v8, exec_hi, v8
	v_xor_b32_e32 v11, s49, v10
	v_xor_b32_e32 v10, s48, v10
	v_and_b32_e32 v8, v8, v11
	v_and_b32_e32 v64, v64, v10
	v_lshlrev_b32_e32 v11, 29, v60
	v_mov_b32_e32 v10, v9
	v_cmp_gt_i64_e64 s[48:49], 0, v[10:11]
	v_not_b32_e32 v10, v11
	v_ashrrev_i32_e32 v10, 31, v10
	v_xor_b32_e32 v11, s49, v10
	v_xor_b32_e32 v10, s48, v10
	v_and_b32_e32 v8, v8, v11
	v_and_b32_e32 v64, v64, v10
	v_lshlrev_b32_e32 v11, 28, v60
	v_mov_b32_e32 v10, v9
	v_cmp_gt_i64_e64 s[48:49], 0, v[10:11]
	v_not_b32_e32 v10, v11
	v_ashrrev_i32_e32 v10, 31, v10
	v_xor_b32_e32 v11, s49, v10
	v_xor_b32_e32 v10, s48, v10
	v_and_b32_e32 v8, v8, v11
	v_and_b32_e32 v64, v64, v10
	v_lshlrev_b32_e32 v11, 27, v60
	v_mov_b32_e32 v10, v9
	v_cmp_gt_i64_e64 s[48:49], 0, v[10:11]
	v_not_b32_e32 v10, v11
	v_ashrrev_i32_e32 v10, 31, v10
	v_xor_b32_e32 v11, s49, v10
	v_xor_b32_e32 v10, s48, v10
	v_and_b32_e32 v8, v8, v11
	v_and_b32_e32 v64, v64, v10
	v_lshlrev_b32_e32 v11, 26, v60
	v_mov_b32_e32 v10, v9
	v_cmp_gt_i64_e64 s[48:49], 0, v[10:11]
	v_not_b32_e32 v10, v11
	v_ashrrev_i32_e32 v10, 31, v10
	v_xor_b32_e32 v11, s49, v10
	v_xor_b32_e32 v10, s48, v10
	v_and_b32_e32 v10, v64, v10
	v_and_b32_e32 v11, v8, v11
	v_mbcnt_lo_u32_b32 v8, v10, 0
	v_mbcnt_hi_u32_b32 v60, v11, v8
	v_cmp_eq_u32_e64 s[48:49], 0, v60
	v_cmp_ne_u64_e64 s[50:51], 0, v[10:11]
	s_and_b64 s[48:49], s[50:51], s[48:49]
	; wave barrier
	s_and_saveexec_b64 s[16:17], s[48:49]
	s_cbranch_execz .LBB993_63
; %bb.62:
	v_bcnt_u32_b32 v8, v10, 0
	v_bcnt_u32_b32 v8, v11, v8
	s_waitcnt lgkmcnt(0)
	v_add_u32_e32 v8, v57, v8
	ds_write_b32 v63, v8 offset:32
.LBB993_63:
	s_or_b64 exec, exec, s[16:17]
	v_lshrrev_b32_e32 v8, s96, v61
	v_and_b32_e32 v64, s5, v8
	v_mad_u32_u24 v8, v64, 36, v43
	; wave barrier
	ds_read_b32 v61, v8 offset:32
	v_and_b32_e32 v8, 1, v64
	v_lshl_add_u64 v[10:11], v[8:9], 0, -1
	v_cmp_ne_u32_e64 s[48:49], 0, v8
	v_mul_u32_u24_e32 v67, 36, v64
	v_add_u32_e32 v67, v43, v67
	v_xor_b32_e32 v10, s48, v10
	v_xor_b32_e32 v8, s49, v11
	v_and_b32_e32 v68, exec_lo, v10
	v_lshlrev_b32_e32 v11, 30, v64
	v_mov_b32_e32 v10, v9
	v_cmp_gt_i64_e64 s[48:49], 0, v[10:11]
	v_not_b32_e32 v10, v11
	v_ashrrev_i32_e32 v10, 31, v10
	v_and_b32_e32 v8, exec_hi, v8
	v_xor_b32_e32 v11, s49, v10
	v_xor_b32_e32 v10, s48, v10
	v_and_b32_e32 v8, v8, v11
	v_and_b32_e32 v68, v68, v10
	v_lshlrev_b32_e32 v11, 29, v64
	v_mov_b32_e32 v10, v9
	v_cmp_gt_i64_e64 s[48:49], 0, v[10:11]
	v_not_b32_e32 v10, v11
	v_ashrrev_i32_e32 v10, 31, v10
	v_xor_b32_e32 v11, s49, v10
	v_xor_b32_e32 v10, s48, v10
	v_and_b32_e32 v8, v8, v11
	v_and_b32_e32 v68, v68, v10
	v_lshlrev_b32_e32 v11, 28, v64
	v_mov_b32_e32 v10, v9
	v_cmp_gt_i64_e64 s[48:49], 0, v[10:11]
	v_not_b32_e32 v10, v11
	v_ashrrev_i32_e32 v10, 31, v10
	;; [unrolled: 9-line block ×3, first 2 shown]
	v_xor_b32_e32 v11, s49, v10
	v_xor_b32_e32 v10, s48, v10
	v_and_b32_e32 v8, v8, v11
	v_lshlrev_b32_e32 v11, 26, v64
	v_and_b32_e32 v68, v68, v10
	v_mov_b32_e32 v10, v9
	v_not_b32_e32 v9, v11
	v_cmp_gt_i64_e64 s[48:49], 0, v[10:11]
	v_ashrrev_i32_e32 v9, 31, v9
	s_nop 0
	v_xor_b32_e32 v10, s49, v9
	v_xor_b32_e32 v11, s48, v9
	v_and_b32_e32 v9, v8, v10
	v_and_b32_e32 v8, v68, v11
	v_mbcnt_lo_u32_b32 v10, v8, 0
	v_mbcnt_hi_u32_b32 v64, v9, v10
	v_cmp_eq_u32_e64 s[48:49], 0, v64
	v_cmp_ne_u64_e64 s[50:51], 0, v[8:9]
	s_and_b64 s[48:49], s[50:51], s[48:49]
	; wave barrier
	s_and_saveexec_b64 s[16:17], s[48:49]
	s_cbranch_execz .LBB993_65
; %bb.64:
	v_bcnt_u32_b32 v8, v8, 0
	v_bcnt_u32_b32 v8, v9, v8
	s_waitcnt lgkmcnt(0)
	v_add_u32_e32 v8, v61, v8
	ds_write_b32 v67, v8 offset:32
.LBB993_65:
	s_or_b64 exec, exec, s[16:17]
	v_lshrrev_b32_e32 v8, s96, v66
	v_and_b32_e32 v68, s5, v8
	v_mad_u32_u24 v8, v68, 36, v43
	; wave barrier
	ds_read_b32 v66, v8 offset:32
	v_and_b32_e32 v8, 1, v68
	v_mov_b32_e32 v9, 0
	v_lshl_add_u64 v[10:11], v[8:9], 0, -1
	v_cmp_ne_u32_e64 s[48:49], 0, v8
	v_mul_u32_u24_e32 v72, 36, v68
	v_add_u32_e32 v72, v43, v72
	v_xor_b32_e32 v10, s48, v10
	v_xor_b32_e32 v8, s49, v11
	v_and_b32_e32 v73, exec_lo, v10
	v_lshlrev_b32_e32 v11, 30, v68
	v_mov_b32_e32 v10, v9
	v_cmp_gt_i64_e64 s[48:49], 0, v[10:11]
	v_not_b32_e32 v10, v11
	v_ashrrev_i32_e32 v10, 31, v10
	v_and_b32_e32 v8, exec_hi, v8
	v_xor_b32_e32 v11, s49, v10
	v_xor_b32_e32 v10, s48, v10
	v_and_b32_e32 v8, v8, v11
	v_and_b32_e32 v73, v73, v10
	v_lshlrev_b32_e32 v11, 29, v68
	v_mov_b32_e32 v10, v9
	v_cmp_gt_i64_e64 s[48:49], 0, v[10:11]
	v_not_b32_e32 v10, v11
	v_ashrrev_i32_e32 v10, 31, v10
	v_xor_b32_e32 v11, s49, v10
	v_xor_b32_e32 v10, s48, v10
	v_and_b32_e32 v8, v8, v11
	v_and_b32_e32 v73, v73, v10
	v_lshlrev_b32_e32 v11, 28, v68
	v_mov_b32_e32 v10, v9
	v_cmp_gt_i64_e64 s[48:49], 0, v[10:11]
	v_not_b32_e32 v10, v11
	v_ashrrev_i32_e32 v10, 31, v10
	;; [unrolled: 9-line block ×4, first 2 shown]
	v_xor_b32_e32 v11, s49, v10
	v_xor_b32_e32 v10, s48, v10
	v_and_b32_e32 v10, v73, v10
	v_and_b32_e32 v11, v8, v11
	v_mbcnt_lo_u32_b32 v8, v10, 0
	v_mbcnt_hi_u32_b32 v68, v11, v8
	v_cmp_eq_u32_e64 s[48:49], 0, v68
	v_cmp_ne_u64_e64 s[50:51], 0, v[10:11]
	s_and_b64 s[48:49], s[50:51], s[48:49]
	; wave barrier
	s_and_saveexec_b64 s[16:17], s[48:49]
	s_cbranch_execz .LBB993_67
; %bb.66:
	v_bcnt_u32_b32 v8, v10, 0
	v_bcnt_u32_b32 v8, v11, v8
	s_waitcnt lgkmcnt(0)
	v_add_u32_e32 v8, v66, v8
	ds_write_b32 v72, v8 offset:32
.LBB993_67:
	s_or_b64 exec, exec, s[16:17]
	v_lshrrev_b32_e32 v8, s96, v70
	v_and_b32_e32 v73, s5, v8
	v_mad_u32_u24 v8, v73, 36, v43
	; wave barrier
	ds_read_b32 v70, v8 offset:32
	v_and_b32_e32 v8, 1, v73
	v_lshl_add_u64 v[10:11], v[8:9], 0, -1
	v_cmp_ne_u32_e64 s[48:49], 0, v8
	v_mul_u32_u24_e32 v75, 36, v73
	v_add_u32_e32 v75, v43, v75
	v_xor_b32_e32 v10, s48, v10
	v_xor_b32_e32 v8, s49, v11
	v_and_b32_e32 v76, exec_lo, v10
	v_lshlrev_b32_e32 v11, 30, v73
	v_mov_b32_e32 v10, v9
	v_cmp_gt_i64_e64 s[48:49], 0, v[10:11]
	v_not_b32_e32 v10, v11
	v_ashrrev_i32_e32 v10, 31, v10
	v_and_b32_e32 v8, exec_hi, v8
	v_xor_b32_e32 v11, s49, v10
	v_xor_b32_e32 v10, s48, v10
	v_and_b32_e32 v8, v8, v11
	v_and_b32_e32 v76, v76, v10
	v_lshlrev_b32_e32 v11, 29, v73
	v_mov_b32_e32 v10, v9
	v_cmp_gt_i64_e64 s[48:49], 0, v[10:11]
	v_not_b32_e32 v10, v11
	v_ashrrev_i32_e32 v10, 31, v10
	v_xor_b32_e32 v11, s49, v10
	v_xor_b32_e32 v10, s48, v10
	v_and_b32_e32 v8, v8, v11
	v_and_b32_e32 v76, v76, v10
	v_lshlrev_b32_e32 v11, 28, v73
	v_mov_b32_e32 v10, v9
	v_cmp_gt_i64_e64 s[48:49], 0, v[10:11]
	v_not_b32_e32 v10, v11
	v_ashrrev_i32_e32 v10, 31, v10
	;; [unrolled: 9-line block ×3, first 2 shown]
	v_xor_b32_e32 v11, s49, v10
	v_xor_b32_e32 v10, s48, v10
	v_and_b32_e32 v8, v8, v11
	v_lshlrev_b32_e32 v11, 26, v73
	v_and_b32_e32 v76, v76, v10
	v_mov_b32_e32 v10, v9
	v_not_b32_e32 v9, v11
	v_cmp_gt_i64_e64 s[48:49], 0, v[10:11]
	v_ashrrev_i32_e32 v9, 31, v9
	s_nop 0
	v_xor_b32_e32 v10, s49, v9
	v_xor_b32_e32 v11, s48, v9
	v_and_b32_e32 v9, v8, v10
	v_and_b32_e32 v8, v76, v11
	v_mbcnt_lo_u32_b32 v10, v8, 0
	v_mbcnt_hi_u32_b32 v73, v9, v10
	v_cmp_eq_u32_e64 s[48:49], 0, v73
	v_cmp_ne_u64_e64 s[50:51], 0, v[8:9]
	s_and_b64 s[48:49], s[50:51], s[48:49]
	; wave barrier
	s_and_saveexec_b64 s[16:17], s[48:49]
	s_cbranch_execz .LBB993_69
; %bb.68:
	v_bcnt_u32_b32 v8, v8, 0
	v_bcnt_u32_b32 v8, v9, v8
	s_waitcnt lgkmcnt(0)
	v_add_u32_e32 v8, v70, v8
	ds_write_b32 v75, v8 offset:32
.LBB993_69:
	s_or_b64 exec, exec, s[16:17]
	v_lshrrev_b32_e32 v8, s96, v74
	v_and_b32_e32 v76, s5, v8
	v_mad_u32_u24 v8, v76, 36, v43
	; wave barrier
	ds_read_b32 v74, v8 offset:32
	v_and_b32_e32 v8, 1, v76
	v_mov_b32_e32 v9, 0
	v_lshl_add_u64 v[10:11], v[8:9], 0, -1
	v_cmp_ne_u32_e64 s[48:49], 0, v8
	v_mul_u32_u24_e32 v77, 36, v76
	v_add_u32_e32 v77, v43, v77
	v_xor_b32_e32 v10, s48, v10
	v_xor_b32_e32 v8, s49, v11
	v_and_b32_e32 v78, exec_lo, v10
	v_lshlrev_b32_e32 v11, 30, v76
	v_mov_b32_e32 v10, v9
	v_cmp_gt_i64_e64 s[48:49], 0, v[10:11]
	v_not_b32_e32 v10, v11
	v_ashrrev_i32_e32 v10, 31, v10
	v_and_b32_e32 v8, exec_hi, v8
	v_xor_b32_e32 v11, s49, v10
	v_xor_b32_e32 v10, s48, v10
	v_and_b32_e32 v8, v8, v11
	v_and_b32_e32 v78, v78, v10
	v_lshlrev_b32_e32 v11, 29, v76
	v_mov_b32_e32 v10, v9
	v_cmp_gt_i64_e64 s[48:49], 0, v[10:11]
	v_not_b32_e32 v10, v11
	v_ashrrev_i32_e32 v10, 31, v10
	v_xor_b32_e32 v11, s49, v10
	v_xor_b32_e32 v10, s48, v10
	v_and_b32_e32 v8, v8, v11
	v_and_b32_e32 v78, v78, v10
	v_lshlrev_b32_e32 v11, 28, v76
	v_mov_b32_e32 v10, v9
	v_cmp_gt_i64_e64 s[48:49], 0, v[10:11]
	v_not_b32_e32 v10, v11
	v_ashrrev_i32_e32 v10, 31, v10
	v_xor_b32_e32 v11, s49, v10
	v_xor_b32_e32 v10, s48, v10
	v_and_b32_e32 v8, v8, v11
	v_and_b32_e32 v78, v78, v10
	v_lshlrev_b32_e32 v11, 27, v76
	v_mov_b32_e32 v10, v9
	v_cmp_gt_i64_e64 s[48:49], 0, v[10:11]
	v_not_b32_e32 v10, v11
	v_ashrrev_i32_e32 v10, 31, v10
	v_xor_b32_e32 v11, s49, v10
	v_xor_b32_e32 v10, s48, v10
	v_and_b32_e32 v8, v8, v11
	v_and_b32_e32 v78, v78, v10
	v_lshlrev_b32_e32 v11, 26, v76
	v_mov_b32_e32 v10, v9
	v_cmp_gt_i64_e64 s[48:49], 0, v[10:11]
	v_not_b32_e32 v10, v11
	v_ashrrev_i32_e32 v10, 31, v10
	v_xor_b32_e32 v11, s49, v10
	v_xor_b32_e32 v10, s48, v10
	v_and_b32_e32 v10, v78, v10
	v_and_b32_e32 v11, v8, v11
	v_mbcnt_lo_u32_b32 v8, v10, 0
	v_mbcnt_hi_u32_b32 v76, v11, v8
	v_cmp_eq_u32_e64 s[48:49], 0, v76
	v_cmp_ne_u64_e64 s[50:51], 0, v[10:11]
	s_and_b64 s[48:49], s[50:51], s[48:49]
	; wave barrier
	s_and_saveexec_b64 s[16:17], s[48:49]
	s_cbranch_execz .LBB993_71
; %bb.70:
	v_bcnt_u32_b32 v8, v10, 0
	v_bcnt_u32_b32 v8, v11, v8
	s_waitcnt lgkmcnt(0)
	v_add_u32_e32 v8, v74, v8
	ds_write_b32 v77, v8 offset:32
.LBB993_71:
	s_or_b64 exec, exec, s[16:17]
	v_lshrrev_b32_e32 v8, s96, v71
	v_and_b32_e32 v78, s5, v8
	v_mad_u32_u24 v8, v78, 36, v43
	; wave barrier
	ds_read_b32 v71, v8 offset:32
	v_and_b32_e32 v8, 1, v78
	v_lshl_add_u64 v[10:11], v[8:9], 0, -1
	v_cmp_ne_u32_e64 s[48:49], 0, v8
	v_mul_u32_u24_e32 v79, 36, v78
	v_add_u32_e32 v79, v43, v79
	v_xor_b32_e32 v10, s48, v10
	v_xor_b32_e32 v8, s49, v11
	v_and_b32_e32 v80, exec_lo, v10
	v_lshlrev_b32_e32 v11, 30, v78
	v_mov_b32_e32 v10, v9
	v_cmp_gt_i64_e64 s[48:49], 0, v[10:11]
	v_not_b32_e32 v10, v11
	v_ashrrev_i32_e32 v10, 31, v10
	v_and_b32_e32 v8, exec_hi, v8
	v_xor_b32_e32 v11, s49, v10
	v_xor_b32_e32 v10, s48, v10
	v_and_b32_e32 v8, v8, v11
	v_and_b32_e32 v80, v80, v10
	v_lshlrev_b32_e32 v11, 29, v78
	v_mov_b32_e32 v10, v9
	v_cmp_gt_i64_e64 s[48:49], 0, v[10:11]
	v_not_b32_e32 v10, v11
	v_ashrrev_i32_e32 v10, 31, v10
	v_xor_b32_e32 v11, s49, v10
	v_xor_b32_e32 v10, s48, v10
	v_and_b32_e32 v8, v8, v11
	v_and_b32_e32 v80, v80, v10
	v_lshlrev_b32_e32 v11, 28, v78
	v_mov_b32_e32 v10, v9
	v_cmp_gt_i64_e64 s[48:49], 0, v[10:11]
	v_not_b32_e32 v10, v11
	v_ashrrev_i32_e32 v10, 31, v10
	;; [unrolled: 9-line block ×3, first 2 shown]
	v_xor_b32_e32 v11, s49, v10
	v_xor_b32_e32 v10, s48, v10
	v_and_b32_e32 v8, v8, v11
	v_lshlrev_b32_e32 v11, 26, v78
	v_and_b32_e32 v80, v80, v10
	v_mov_b32_e32 v10, v9
	v_not_b32_e32 v9, v11
	v_cmp_gt_i64_e64 s[48:49], 0, v[10:11]
	v_ashrrev_i32_e32 v9, 31, v9
	s_nop 0
	v_xor_b32_e32 v10, s49, v9
	v_xor_b32_e32 v11, s48, v9
	v_and_b32_e32 v9, v8, v10
	v_and_b32_e32 v8, v80, v11
	v_mbcnt_lo_u32_b32 v10, v8, 0
	v_mbcnt_hi_u32_b32 v78, v9, v10
	v_cmp_eq_u32_e64 s[48:49], 0, v78
	v_cmp_ne_u64_e64 s[50:51], 0, v[8:9]
	s_and_b64 s[48:49], s[50:51], s[48:49]
	; wave barrier
	s_and_saveexec_b64 s[16:17], s[48:49]
	s_cbranch_execz .LBB993_73
; %bb.72:
	v_bcnt_u32_b32 v8, v8, 0
	v_bcnt_u32_b32 v8, v9, v8
	s_waitcnt lgkmcnt(0)
	v_add_u32_e32 v8, v71, v8
	ds_write_b32 v79, v8 offset:32
.LBB993_73:
	s_or_b64 exec, exec, s[16:17]
	v_lshrrev_b32_e32 v8, s96, v69
	v_and_b32_e32 v80, s5, v8
	v_mad_u32_u24 v8, v80, 36, v43
	; wave barrier
	ds_read_b32 v69, v8 offset:32
	v_and_b32_e32 v8, 1, v80
	v_mov_b32_e32 v9, 0
	v_lshl_add_u64 v[10:11], v[8:9], 0, -1
	v_cmp_ne_u32_e64 s[48:49], 0, v8
	v_mul_u32_u24_e32 v81, 36, v80
	v_add_u32_e32 v81, v43, v81
	v_xor_b32_e32 v10, s48, v10
	v_xor_b32_e32 v8, s49, v11
	v_and_b32_e32 v82, exec_lo, v10
	v_lshlrev_b32_e32 v11, 30, v80
	v_mov_b32_e32 v10, v9
	v_cmp_gt_i64_e64 s[48:49], 0, v[10:11]
	v_not_b32_e32 v10, v11
	v_ashrrev_i32_e32 v10, 31, v10
	v_and_b32_e32 v8, exec_hi, v8
	v_xor_b32_e32 v11, s49, v10
	v_xor_b32_e32 v10, s48, v10
	v_and_b32_e32 v8, v8, v11
	v_and_b32_e32 v82, v82, v10
	v_lshlrev_b32_e32 v11, 29, v80
	v_mov_b32_e32 v10, v9
	v_cmp_gt_i64_e64 s[48:49], 0, v[10:11]
	v_not_b32_e32 v10, v11
	v_ashrrev_i32_e32 v10, 31, v10
	v_xor_b32_e32 v11, s49, v10
	v_xor_b32_e32 v10, s48, v10
	v_and_b32_e32 v8, v8, v11
	v_and_b32_e32 v82, v82, v10
	v_lshlrev_b32_e32 v11, 28, v80
	v_mov_b32_e32 v10, v9
	v_cmp_gt_i64_e64 s[48:49], 0, v[10:11]
	v_not_b32_e32 v10, v11
	v_ashrrev_i32_e32 v10, 31, v10
	;; [unrolled: 9-line block ×4, first 2 shown]
	v_xor_b32_e32 v11, s49, v10
	v_xor_b32_e32 v10, s48, v10
	v_and_b32_e32 v10, v82, v10
	v_and_b32_e32 v11, v8, v11
	v_mbcnt_lo_u32_b32 v8, v10, 0
	v_mbcnt_hi_u32_b32 v80, v11, v8
	v_cmp_eq_u32_e64 s[48:49], 0, v80
	v_cmp_ne_u64_e64 s[50:51], 0, v[10:11]
	s_and_b64 s[48:49], s[50:51], s[48:49]
	; wave barrier
	s_and_saveexec_b64 s[16:17], s[48:49]
	s_cbranch_execz .LBB993_75
; %bb.74:
	v_bcnt_u32_b32 v8, v10, 0
	v_bcnt_u32_b32 v8, v11, v8
	s_waitcnt lgkmcnt(0)
	v_add_u32_e32 v8, v69, v8
	ds_write_b32 v81, v8 offset:32
.LBB993_75:
	s_or_b64 exec, exec, s[16:17]
	v_lshrrev_b32_e32 v8, s96, v65
	v_and_b32_e32 v82, s5, v8
	v_mad_u32_u24 v8, v82, 36, v43
	; wave barrier
	ds_read_b32 v65, v8 offset:32
	v_and_b32_e32 v8, 1, v82
	v_lshl_add_u64 v[10:11], v[8:9], 0, -1
	v_cmp_ne_u32_e64 s[48:49], 0, v8
	v_mul_u32_u24_e32 v83, 36, v82
	s_nop 0
	v_xor_b32_e32 v10, s48, v10
	v_xor_b32_e32 v8, s49, v11
	v_and_b32_e32 v84, exec_lo, v10
	v_lshlrev_b32_e32 v11, 30, v82
	v_mov_b32_e32 v10, v9
	v_cmp_gt_i64_e64 s[48:49], 0, v[10:11]
	v_not_b32_e32 v10, v11
	v_ashrrev_i32_e32 v10, 31, v10
	v_and_b32_e32 v8, exec_hi, v8
	v_xor_b32_e32 v11, s49, v10
	v_xor_b32_e32 v10, s48, v10
	v_and_b32_e32 v8, v8, v11
	v_and_b32_e32 v84, v84, v10
	v_lshlrev_b32_e32 v11, 29, v82
	v_mov_b32_e32 v10, v9
	v_cmp_gt_i64_e64 s[48:49], 0, v[10:11]
	v_not_b32_e32 v10, v11
	v_ashrrev_i32_e32 v10, 31, v10
	v_xor_b32_e32 v11, s49, v10
	v_xor_b32_e32 v10, s48, v10
	v_and_b32_e32 v8, v8, v11
	v_and_b32_e32 v84, v84, v10
	v_lshlrev_b32_e32 v11, 28, v82
	v_mov_b32_e32 v10, v9
	v_cmp_gt_i64_e64 s[48:49], 0, v[10:11]
	v_not_b32_e32 v10, v11
	v_ashrrev_i32_e32 v10, 31, v10
	;; [unrolled: 9-line block ×3, first 2 shown]
	v_xor_b32_e32 v11, s49, v10
	v_xor_b32_e32 v10, s48, v10
	v_and_b32_e32 v8, v8, v11
	v_lshlrev_b32_e32 v11, 26, v82
	v_and_b32_e32 v84, v84, v10
	v_mov_b32_e32 v10, v9
	v_not_b32_e32 v9, v11
	v_cmp_gt_i64_e64 s[48:49], 0, v[10:11]
	v_ashrrev_i32_e32 v9, 31, v9
	; wave barrier
	s_nop 0
	v_xor_b32_e32 v10, s49, v9
	v_xor_b32_e32 v11, s48, v9
	v_and_b32_e32 v9, v8, v10
	v_and_b32_e32 v8, v84, v11
	v_mbcnt_lo_u32_b32 v10, v8, 0
	v_mbcnt_hi_u32_b32 v82, v9, v10
	v_cmp_eq_u32_e64 s[48:49], 0, v82
	v_cmp_ne_u64_e64 s[50:51], 0, v[8:9]
	s_and_b64 s[48:49], s[50:51], s[48:49]
	v_add_u32_e32 v84, v43, v83
	s_and_saveexec_b64 s[16:17], s[48:49]
	s_cbranch_execz .LBB993_77
; %bb.76:
	v_bcnt_u32_b32 v8, v8, 0
	v_bcnt_u32_b32 v8, v9, v8
	s_waitcnt lgkmcnt(0)
	v_add_u32_e32 v8, v65, v8
	ds_write_b32 v84, v8 offset:32
.LBB993_77:
	s_or_b64 exec, exec, s[16:17]
	v_lshrrev_b32_e32 v8, s96, v62
	v_and_b32_e32 v62, s5, v8
	v_mad_u32_u24 v8, v62, 36, v43
	; wave barrier
	ds_read_b32 v83, v8 offset:32
	v_and_b32_e32 v8, 1, v62
	v_mov_b32_e32 v9, 0
	v_lshl_add_u64 v[10:11], v[8:9], 0, -1
	v_cmp_ne_u32_e64 s[48:49], 0, v8
	v_mul_u32_u24_e32 v86, 36, v62
	s_nop 0
	v_xor_b32_e32 v10, s48, v10
	v_xor_b32_e32 v8, s49, v11
	v_and_b32_e32 v85, exec_lo, v10
	v_lshlrev_b32_e32 v11, 30, v62
	v_mov_b32_e32 v10, v9
	v_cmp_gt_i64_e64 s[48:49], 0, v[10:11]
	v_not_b32_e32 v10, v11
	v_ashrrev_i32_e32 v10, 31, v10
	v_and_b32_e32 v8, exec_hi, v8
	v_xor_b32_e32 v11, s49, v10
	v_xor_b32_e32 v10, s48, v10
	v_and_b32_e32 v8, v8, v11
	v_and_b32_e32 v85, v85, v10
	v_lshlrev_b32_e32 v11, 29, v62
	v_mov_b32_e32 v10, v9
	v_cmp_gt_i64_e64 s[48:49], 0, v[10:11]
	v_not_b32_e32 v10, v11
	v_ashrrev_i32_e32 v10, 31, v10
	v_xor_b32_e32 v11, s49, v10
	v_xor_b32_e32 v10, s48, v10
	v_and_b32_e32 v8, v8, v11
	v_and_b32_e32 v85, v85, v10
	v_lshlrev_b32_e32 v11, 28, v62
	v_mov_b32_e32 v10, v9
	v_cmp_gt_i64_e64 s[48:49], 0, v[10:11]
	v_not_b32_e32 v10, v11
	v_ashrrev_i32_e32 v10, 31, v10
	;; [unrolled: 9-line block ×4, first 2 shown]
	v_xor_b32_e32 v11, s49, v10
	v_xor_b32_e32 v10, s48, v10
	v_and_b32_e32 v10, v85, v10
	v_and_b32_e32 v11, v8, v11
	v_mbcnt_lo_u32_b32 v8, v10, 0
	v_mbcnt_hi_u32_b32 v85, v11, v8
	v_cmp_eq_u32_e64 s[48:49], 0, v85
	v_cmp_ne_u64_e64 s[50:51], 0, v[10:11]
	s_and_b64 s[48:49], s[50:51], s[48:49]
	v_add_u32_e32 v62, v43, v86
	; wave barrier
	s_and_saveexec_b64 s[16:17], s[48:49]
	s_cbranch_execz .LBB993_79
; %bb.78:
	v_bcnt_u32_b32 v8, v10, 0
	v_bcnt_u32_b32 v8, v11, v8
	s_waitcnt lgkmcnt(0)
	v_add_u32_e32 v8, v83, v8
	ds_write_b32 v62, v8 offset:32
.LBB993_79:
	s_or_b64 exec, exec, s[16:17]
	v_lshrrev_b32_e32 v8, s96, v58
	v_and_b32_e32 v58, s5, v8
	v_mad_u32_u24 v8, v58, 36, v43
	; wave barrier
	ds_read_b32 v86, v8 offset:32
	v_and_b32_e32 v8, 1, v58
	v_lshl_add_u64 v[10:11], v[8:9], 0, -1
	v_cmp_ne_u32_e64 s[48:49], 0, v8
	v_mul_u32_u24_e32 v88, 36, v58
	s_nop 0
	v_xor_b32_e32 v10, s48, v10
	v_xor_b32_e32 v8, s49, v11
	v_and_b32_e32 v87, exec_lo, v10
	v_lshlrev_b32_e32 v11, 30, v58
	v_mov_b32_e32 v10, v9
	v_cmp_gt_i64_e64 s[48:49], 0, v[10:11]
	v_not_b32_e32 v10, v11
	v_ashrrev_i32_e32 v10, 31, v10
	v_and_b32_e32 v8, exec_hi, v8
	v_xor_b32_e32 v11, s49, v10
	v_xor_b32_e32 v10, s48, v10
	v_and_b32_e32 v8, v8, v11
	v_and_b32_e32 v87, v87, v10
	v_lshlrev_b32_e32 v11, 29, v58
	v_mov_b32_e32 v10, v9
	v_cmp_gt_i64_e64 s[48:49], 0, v[10:11]
	v_not_b32_e32 v10, v11
	v_ashrrev_i32_e32 v10, 31, v10
	v_xor_b32_e32 v11, s49, v10
	v_xor_b32_e32 v10, s48, v10
	v_and_b32_e32 v8, v8, v11
	v_and_b32_e32 v87, v87, v10
	v_lshlrev_b32_e32 v11, 28, v58
	v_mov_b32_e32 v10, v9
	v_cmp_gt_i64_e64 s[48:49], 0, v[10:11]
	v_not_b32_e32 v10, v11
	v_ashrrev_i32_e32 v10, 31, v10
	;; [unrolled: 9-line block ×3, first 2 shown]
	v_xor_b32_e32 v11, s49, v10
	v_xor_b32_e32 v10, s48, v10
	v_and_b32_e32 v8, v8, v11
	v_lshlrev_b32_e32 v11, 26, v58
	v_and_b32_e32 v87, v87, v10
	v_mov_b32_e32 v10, v9
	v_not_b32_e32 v9, v11
	v_cmp_gt_i64_e64 s[48:49], 0, v[10:11]
	v_ashrrev_i32_e32 v9, 31, v9
	v_add_u32_e32 v58, v43, v88
	v_xor_b32_e32 v10, s49, v9
	v_xor_b32_e32 v11, s48, v9
	v_and_b32_e32 v9, v8, v10
	v_and_b32_e32 v8, v87, v11
	v_mbcnt_lo_u32_b32 v10, v8, 0
	v_mbcnt_hi_u32_b32 v87, v9, v10
	v_cmp_eq_u32_e64 s[48:49], 0, v87
	v_cmp_ne_u64_e64 s[50:51], 0, v[8:9]
	s_and_b64 s[48:49], s[50:51], s[48:49]
	; wave barrier
	s_and_saveexec_b64 s[16:17], s[48:49]
	s_cbranch_execz .LBB993_81
; %bb.80:
	v_bcnt_u32_b32 v8, v8, 0
	v_bcnt_u32_b32 v8, v9, v8
	s_waitcnt lgkmcnt(0)
	v_add_u32_e32 v8, v86, v8
	ds_write_b32 v58, v8 offset:32
.LBB993_81:
	s_or_b64 exec, exec, s[16:17]
	v_lshrrev_b32_e32 v8, s96, v55
	v_and_b32_e32 v88, s5, v8
	v_mad_u32_u24 v8, v88, 36, v43
	; wave barrier
	ds_read_b32 v55, v8 offset:32
	v_and_b32_e32 v8, 1, v88
	v_mov_b32_e32 v9, 0
	v_lshl_add_u64 v[10:11], v[8:9], 0, -1
	v_cmp_ne_u32_e64 s[48:49], 0, v8
	v_mul_u32_u24_e32 v89, 36, v88
	v_add_u32_e32 v89, v43, v89
	v_xor_b32_e32 v10, s48, v10
	v_xor_b32_e32 v8, s49, v11
	v_and_b32_e32 v90, exec_lo, v10
	v_lshlrev_b32_e32 v11, 30, v88
	v_mov_b32_e32 v10, v9
	v_cmp_gt_i64_e64 s[48:49], 0, v[10:11]
	v_not_b32_e32 v10, v11
	v_ashrrev_i32_e32 v10, 31, v10
	v_and_b32_e32 v8, exec_hi, v8
	v_xor_b32_e32 v11, s49, v10
	v_xor_b32_e32 v10, s48, v10
	v_and_b32_e32 v8, v8, v11
	v_and_b32_e32 v90, v90, v10
	v_lshlrev_b32_e32 v11, 29, v88
	v_mov_b32_e32 v10, v9
	v_cmp_gt_i64_e64 s[48:49], 0, v[10:11]
	v_not_b32_e32 v10, v11
	v_ashrrev_i32_e32 v10, 31, v10
	v_xor_b32_e32 v11, s49, v10
	v_xor_b32_e32 v10, s48, v10
	v_and_b32_e32 v8, v8, v11
	v_and_b32_e32 v90, v90, v10
	v_lshlrev_b32_e32 v11, 28, v88
	v_mov_b32_e32 v10, v9
	v_cmp_gt_i64_e64 s[48:49], 0, v[10:11]
	v_not_b32_e32 v10, v11
	v_ashrrev_i32_e32 v10, 31, v10
	;; [unrolled: 9-line block ×4, first 2 shown]
	v_xor_b32_e32 v11, s49, v10
	v_xor_b32_e32 v10, s48, v10
	v_and_b32_e32 v10, v90, v10
	v_and_b32_e32 v11, v8, v11
	v_mbcnt_lo_u32_b32 v8, v10, 0
	v_mbcnt_hi_u32_b32 v88, v11, v8
	v_cmp_eq_u32_e64 s[48:49], 0, v88
	v_cmp_ne_u64_e64 s[50:51], 0, v[10:11]
	s_and_b64 s[48:49], s[50:51], s[48:49]
	; wave barrier
	s_and_saveexec_b64 s[16:17], s[48:49]
	s_cbranch_execz .LBB993_83
; %bb.82:
	v_bcnt_u32_b32 v8, v10, 0
	v_bcnt_u32_b32 v8, v11, v8
	s_waitcnt lgkmcnt(0)
	v_add_u32_e32 v8, v55, v8
	ds_write_b32 v89, v8 offset:32
.LBB993_83:
	s_or_b64 exec, exec, s[16:17]
	v_lshrrev_b32_e32 v8, s96, v51
	v_and_b32_e32 v90, s5, v8
	v_mad_u32_u24 v8, v90, 36, v43
	; wave barrier
	ds_read_b32 v51, v8 offset:32
	v_and_b32_e32 v8, 1, v90
	v_lshl_add_u64 v[10:11], v[8:9], 0, -1
	v_cmp_ne_u32_e64 s[48:49], 0, v8
	v_mul_u32_u24_e32 v91, 36, v90
	v_add_u32_e32 v91, v43, v91
	v_xor_b32_e32 v10, s48, v10
	v_xor_b32_e32 v8, s49, v11
	v_and_b32_e32 v92, exec_lo, v10
	v_lshlrev_b32_e32 v11, 30, v90
	v_mov_b32_e32 v10, v9
	v_cmp_gt_i64_e64 s[48:49], 0, v[10:11]
	v_not_b32_e32 v10, v11
	v_ashrrev_i32_e32 v10, 31, v10
	v_and_b32_e32 v8, exec_hi, v8
	v_xor_b32_e32 v11, s49, v10
	v_xor_b32_e32 v10, s48, v10
	v_and_b32_e32 v8, v8, v11
	v_and_b32_e32 v92, v92, v10
	v_lshlrev_b32_e32 v11, 29, v90
	v_mov_b32_e32 v10, v9
	v_cmp_gt_i64_e64 s[48:49], 0, v[10:11]
	v_not_b32_e32 v10, v11
	v_ashrrev_i32_e32 v10, 31, v10
	v_xor_b32_e32 v11, s49, v10
	v_xor_b32_e32 v10, s48, v10
	v_and_b32_e32 v8, v8, v11
	v_and_b32_e32 v92, v92, v10
	v_lshlrev_b32_e32 v11, 28, v90
	v_mov_b32_e32 v10, v9
	v_cmp_gt_i64_e64 s[48:49], 0, v[10:11]
	v_not_b32_e32 v10, v11
	v_ashrrev_i32_e32 v10, 31, v10
	;; [unrolled: 9-line block ×3, first 2 shown]
	v_xor_b32_e32 v11, s49, v10
	v_xor_b32_e32 v10, s48, v10
	v_and_b32_e32 v8, v8, v11
	v_lshlrev_b32_e32 v11, 26, v90
	v_and_b32_e32 v92, v92, v10
	v_mov_b32_e32 v10, v9
	v_not_b32_e32 v9, v11
	v_cmp_gt_i64_e64 s[48:49], 0, v[10:11]
	v_ashrrev_i32_e32 v9, 31, v9
	s_nop 0
	v_xor_b32_e32 v10, s49, v9
	v_xor_b32_e32 v11, s48, v9
	v_and_b32_e32 v9, v8, v10
	v_and_b32_e32 v8, v92, v11
	v_mbcnt_lo_u32_b32 v10, v8, 0
	v_mbcnt_hi_u32_b32 v90, v9, v10
	v_cmp_eq_u32_e64 s[48:49], 0, v90
	v_cmp_ne_u64_e64 s[50:51], 0, v[8:9]
	s_and_b64 s[48:49], s[50:51], s[48:49]
	; wave barrier
	s_and_saveexec_b64 s[16:17], s[48:49]
	s_cbranch_execz .LBB993_85
; %bb.84:
	v_bcnt_u32_b32 v8, v8, 0
	v_bcnt_u32_b32 v8, v9, v8
	s_waitcnt lgkmcnt(0)
	v_add_u32_e32 v8, v51, v8
	ds_write_b32 v91, v8 offset:32
.LBB993_85:
	s_or_b64 exec, exec, s[16:17]
	v_lshrrev_b32_e32 v8, s96, v49
	v_and_b32_e32 v92, s5, v8
	v_mad_u32_u24 v8, v92, 36, v43
	; wave barrier
	ds_read_b32 v49, v8 offset:32
	v_and_b32_e32 v8, 1, v92
	v_mov_b32_e32 v9, 0
	v_lshl_add_u64 v[10:11], v[8:9], 0, -1
	v_cmp_ne_u32_e64 s[48:49], 0, v8
	v_mul_u32_u24_e32 v93, 36, v92
	s_nop 0
	v_xor_b32_e32 v10, s48, v10
	v_xor_b32_e32 v8, s49, v11
	v_and_b32_e32 v94, exec_lo, v10
	v_lshlrev_b32_e32 v11, 30, v92
	v_mov_b32_e32 v10, v9
	v_cmp_gt_i64_e64 s[48:49], 0, v[10:11]
	v_not_b32_e32 v10, v11
	v_ashrrev_i32_e32 v10, 31, v10
	v_and_b32_e32 v8, exec_hi, v8
	v_xor_b32_e32 v11, s49, v10
	v_xor_b32_e32 v10, s48, v10
	v_and_b32_e32 v8, v8, v11
	v_and_b32_e32 v94, v94, v10
	v_lshlrev_b32_e32 v11, 29, v92
	v_mov_b32_e32 v10, v9
	v_cmp_gt_i64_e64 s[48:49], 0, v[10:11]
	v_not_b32_e32 v10, v11
	v_ashrrev_i32_e32 v10, 31, v10
	v_xor_b32_e32 v11, s49, v10
	v_xor_b32_e32 v10, s48, v10
	v_and_b32_e32 v8, v8, v11
	v_and_b32_e32 v94, v94, v10
	v_lshlrev_b32_e32 v11, 28, v92
	v_mov_b32_e32 v10, v9
	v_cmp_gt_i64_e64 s[48:49], 0, v[10:11]
	v_not_b32_e32 v10, v11
	v_ashrrev_i32_e32 v10, 31, v10
	;; [unrolled: 9-line block ×4, first 2 shown]
	v_xor_b32_e32 v11, s49, v10
	v_xor_b32_e32 v10, s48, v10
	v_and_b32_e32 v10, v94, v10
	v_and_b32_e32 v11, v8, v11
	v_mbcnt_lo_u32_b32 v8, v10, 0
	v_mbcnt_hi_u32_b32 v92, v11, v8
	v_cmp_eq_u32_e64 s[48:49], 0, v92
	v_cmp_ne_u64_e64 s[50:51], 0, v[10:11]
	s_and_b64 s[48:49], s[50:51], s[48:49]
	v_add_u32_e32 v94, v43, v93
	; wave barrier
	s_and_saveexec_b64 s[16:17], s[48:49]
	s_cbranch_execz .LBB993_87
; %bb.86:
	v_bcnt_u32_b32 v8, v10, 0
	v_bcnt_u32_b32 v8, v11, v8
	s_waitcnt lgkmcnt(0)
	v_add_u32_e32 v8, v49, v8
	ds_write_b32 v94, v8 offset:32
.LBB993_87:
	s_or_b64 exec, exec, s[16:17]
	v_lshrrev_b32_e32 v8, s96, v44
	v_and_b32_e32 v44, s5, v8
	v_mad_u32_u24 v8, v44, 36, v43
	; wave barrier
	ds_read_b32 v93, v8 offset:32
	v_and_b32_e32 v8, 1, v44
	v_lshl_add_u64 v[10:11], v[8:9], 0, -1
	v_cmp_ne_u32_e64 s[48:49], 0, v8
	v_mul_u32_u24_e32 v96, 36, v44
	s_nop 0
	v_xor_b32_e32 v10, s48, v10
	v_xor_b32_e32 v8, s49, v11
	v_and_b32_e32 v95, exec_lo, v10
	v_lshlrev_b32_e32 v11, 30, v44
	v_mov_b32_e32 v10, v9
	v_cmp_gt_i64_e64 s[48:49], 0, v[10:11]
	v_not_b32_e32 v10, v11
	v_ashrrev_i32_e32 v10, 31, v10
	v_and_b32_e32 v8, exec_hi, v8
	v_xor_b32_e32 v11, s49, v10
	v_xor_b32_e32 v10, s48, v10
	v_and_b32_e32 v8, v8, v11
	v_and_b32_e32 v95, v95, v10
	v_lshlrev_b32_e32 v11, 29, v44
	v_mov_b32_e32 v10, v9
	v_cmp_gt_i64_e64 s[48:49], 0, v[10:11]
	v_not_b32_e32 v10, v11
	v_ashrrev_i32_e32 v10, 31, v10
	v_xor_b32_e32 v11, s49, v10
	v_xor_b32_e32 v10, s48, v10
	v_and_b32_e32 v8, v8, v11
	v_and_b32_e32 v95, v95, v10
	v_lshlrev_b32_e32 v11, 28, v44
	v_mov_b32_e32 v10, v9
	v_cmp_gt_i64_e64 s[48:49], 0, v[10:11]
	v_not_b32_e32 v10, v11
	v_ashrrev_i32_e32 v10, 31, v10
	;; [unrolled: 9-line block ×3, first 2 shown]
	v_xor_b32_e32 v11, s49, v10
	v_xor_b32_e32 v10, s48, v10
	v_and_b32_e32 v8, v8, v11
	v_lshlrev_b32_e32 v11, 26, v44
	v_and_b32_e32 v95, v95, v10
	v_mov_b32_e32 v10, v9
	v_not_b32_e32 v9, v11
	v_cmp_gt_i64_e64 s[48:49], 0, v[10:11]
	v_ashrrev_i32_e32 v9, 31, v9
	v_add_u32_e32 v44, v43, v96
	v_xor_b32_e32 v10, s49, v9
	v_xor_b32_e32 v11, s48, v9
	v_and_b32_e32 v9, v8, v10
	v_and_b32_e32 v8, v95, v11
	v_mbcnt_lo_u32_b32 v10, v8, 0
	v_mbcnt_hi_u32_b32 v95, v9, v10
	v_cmp_eq_u32_e64 s[48:49], 0, v95
	v_cmp_ne_u64_e64 s[50:51], 0, v[8:9]
	s_and_b64 s[48:49], s[50:51], s[48:49]
	; wave barrier
	s_and_saveexec_b64 s[16:17], s[48:49]
	s_cbranch_execz .LBB993_89
; %bb.88:
	v_bcnt_u32_b32 v8, v8, 0
	v_bcnt_u32_b32 v8, v9, v8
	s_waitcnt lgkmcnt(0)
	v_add_u32_e32 v8, v93, v8
	ds_write_b32 v44, v8 offset:32
.LBB993_89:
	s_or_b64 exec, exec, s[16:17]
	v_lshrrev_b32_e32 v8, s96, v40
	v_and_b32_e32 v40, s5, v8
	v_mad_u32_u24 v8, v40, 36, v43
	; wave barrier
	ds_read_b32 v96, v8 offset:32
	v_and_b32_e32 v8, 1, v40
	v_mov_b32_e32 v9, 0
	v_lshl_add_u64 v[10:11], v[8:9], 0, -1
	v_cmp_ne_u32_e64 s[48:49], 0, v8
	v_mul_u32_u24_e32 v98, 36, v40
	s_nop 0
	v_xor_b32_e32 v10, s48, v10
	v_xor_b32_e32 v8, s49, v11
	v_and_b32_e32 v97, exec_lo, v10
	v_lshlrev_b32_e32 v11, 30, v40
	v_mov_b32_e32 v10, v9
	v_cmp_gt_i64_e64 s[48:49], 0, v[10:11]
	v_not_b32_e32 v10, v11
	v_ashrrev_i32_e32 v10, 31, v10
	v_and_b32_e32 v8, exec_hi, v8
	v_xor_b32_e32 v11, s49, v10
	v_xor_b32_e32 v10, s48, v10
	v_and_b32_e32 v8, v8, v11
	v_and_b32_e32 v97, v97, v10
	v_lshlrev_b32_e32 v11, 29, v40
	v_mov_b32_e32 v10, v9
	v_cmp_gt_i64_e64 s[48:49], 0, v[10:11]
	v_not_b32_e32 v10, v11
	v_ashrrev_i32_e32 v10, 31, v10
	v_xor_b32_e32 v11, s49, v10
	v_xor_b32_e32 v10, s48, v10
	v_and_b32_e32 v8, v8, v11
	v_and_b32_e32 v97, v97, v10
	v_lshlrev_b32_e32 v11, 28, v40
	v_mov_b32_e32 v10, v9
	v_cmp_gt_i64_e64 s[48:49], 0, v[10:11]
	v_not_b32_e32 v10, v11
	v_ashrrev_i32_e32 v10, 31, v10
	v_xor_b32_e32 v11, s49, v10
	v_xor_b32_e32 v10, s48, v10
	v_and_b32_e32 v8, v8, v11
	v_and_b32_e32 v97, v97, v10
	v_lshlrev_b32_e32 v11, 27, v40
	v_mov_b32_e32 v10, v9
	v_cmp_gt_i64_e64 s[48:49], 0, v[10:11]
	v_not_b32_e32 v10, v11
	v_ashrrev_i32_e32 v10, 31, v10
	v_xor_b32_e32 v11, s49, v10
	v_xor_b32_e32 v10, s48, v10
	v_and_b32_e32 v8, v8, v11
	v_and_b32_e32 v97, v97, v10
	v_lshlrev_b32_e32 v11, 26, v40
	v_mov_b32_e32 v10, v9
	v_cmp_gt_i64_e64 s[48:49], 0, v[10:11]
	v_not_b32_e32 v10, v11
	v_ashrrev_i32_e32 v10, 31, v10
	v_xor_b32_e32 v11, s49, v10
	v_xor_b32_e32 v10, s48, v10
	v_and_b32_e32 v10, v97, v10
	v_and_b32_e32 v11, v8, v11
	v_mbcnt_lo_u32_b32 v8, v10, 0
	v_mbcnt_hi_u32_b32 v97, v11, v8
	v_cmp_eq_u32_e64 s[48:49], 0, v97
	v_cmp_ne_u64_e64 s[50:51], 0, v[10:11]
	s_and_b64 s[48:49], s[50:51], s[48:49]
	v_add_u32_e32 v40, v43, v98
	; wave barrier
	s_and_saveexec_b64 s[16:17], s[48:49]
	s_cbranch_execz .LBB993_91
; %bb.90:
	v_bcnt_u32_b32 v8, v10, 0
	v_bcnt_u32_b32 v8, v11, v8
	s_waitcnt lgkmcnt(0)
	v_add_u32_e32 v8, v96, v8
	ds_write_b32 v40, v8 offset:32
.LBB993_91:
	s_or_b64 exec, exec, s[16:17]
	v_lshrrev_b32_e32 v8, s96, v36
	v_and_b32_e32 v11, s5, v8
	v_mad_u32_u24 v8, v11, 36, v43
	; wave barrier
	ds_read_b32 v10, v8 offset:32
	v_and_b32_e32 v8, 1, v11
	v_lshl_add_u64 v[98:99], v[8:9], 0, -1
	v_cmp_ne_u32_e64 s[48:49], 0, v8
	v_mul_u32_u24_e32 v36, 36, v11
	v_add_u32_e32 v36, v43, v36
	v_xor_b32_e32 v98, s48, v98
	v_xor_b32_e32 v8, s49, v99
	v_and_b32_e32 v100, exec_lo, v98
	v_lshlrev_b32_e32 v99, 30, v11
	v_mov_b32_e32 v98, v9
	v_cmp_gt_i64_e64 s[48:49], 0, v[98:99]
	v_not_b32_e32 v98, v99
	v_ashrrev_i32_e32 v98, 31, v98
	v_and_b32_e32 v8, exec_hi, v8
	v_xor_b32_e32 v99, s49, v98
	v_xor_b32_e32 v98, s48, v98
	v_and_b32_e32 v8, v8, v99
	v_and_b32_e32 v100, v100, v98
	v_lshlrev_b32_e32 v99, 29, v11
	v_mov_b32_e32 v98, v9
	v_cmp_gt_i64_e64 s[48:49], 0, v[98:99]
	v_not_b32_e32 v98, v99
	v_ashrrev_i32_e32 v98, 31, v98
	v_xor_b32_e32 v99, s49, v98
	v_xor_b32_e32 v98, s48, v98
	v_and_b32_e32 v8, v8, v99
	v_and_b32_e32 v100, v100, v98
	v_lshlrev_b32_e32 v99, 28, v11
	v_mov_b32_e32 v98, v9
	v_cmp_gt_i64_e64 s[48:49], 0, v[98:99]
	v_not_b32_e32 v98, v99
	v_ashrrev_i32_e32 v98, 31, v98
	;; [unrolled: 9-line block ×3, first 2 shown]
	v_xor_b32_e32 v99, s49, v98
	v_xor_b32_e32 v98, s48, v98
	v_and_b32_e32 v8, v8, v99
	v_lshlrev_b32_e32 v99, 26, v11
	v_and_b32_e32 v100, v100, v98
	v_mov_b32_e32 v98, v9
	v_not_b32_e32 v9, v99
	v_cmp_gt_i64_e64 s[48:49], 0, v[98:99]
	v_ashrrev_i32_e32 v9, 31, v9
	s_nop 0
	v_xor_b32_e32 v11, s49, v9
	v_xor_b32_e32 v98, s48, v9
	v_and_b32_e32 v9, v8, v11
	v_and_b32_e32 v8, v100, v98
	v_mbcnt_lo_u32_b32 v11, v8, 0
	v_mbcnt_hi_u32_b32 v11, v9, v11
	v_cmp_eq_u32_e64 s[48:49], 0, v11
	v_cmp_ne_u64_e64 s[50:51], 0, v[8:9]
	s_and_b64 s[48:49], s[50:51], s[48:49]
	; wave barrier
	s_and_saveexec_b64 s[16:17], s[48:49]
	s_cbranch_execz .LBB993_93
; %bb.92:
	v_bcnt_u32_b32 v8, v8, 0
	v_bcnt_u32_b32 v8, v9, v8
	s_waitcnt lgkmcnt(0)
	v_add_u32_e32 v8, v10, v8
	ds_write_b32 v36, v8 offset:32
.LBB993_93:
	s_or_b64 exec, exec, s[16:17]
	; wave barrier
	s_waitcnt lgkmcnt(0)
	s_barrier
	ds_read_b64 v[8:9], v33 offset:32
	v_and_b32_e32 v43, 15, v15
	v_cmp_ne_u32_e64 s[48:49], 0, v43
	v_min_u32_e32 v18, 0x1c0, v18
	v_or_b32_e32 v18, 63, v18
	s_waitcnt lgkmcnt(0)
	v_add_u32_e32 v9, v9, v8
	s_nop 1
	v_mov_b32_dpp v98, v9 row_shr:1 row_mask:0xf bank_mask:0xf
	v_cndmask_b32_e64 v98, 0, v98, s[48:49]
	v_add_u32_e32 v9, v98, v9
	v_cmp_lt_u32_e64 s[48:49], 1, v43
	s_nop 0
	v_mov_b32_dpp v98, v9 row_shr:2 row_mask:0xf bank_mask:0xf
	v_cndmask_b32_e64 v98, 0, v98, s[48:49]
	v_add_u32_e32 v9, v9, v98
	v_cmp_lt_u32_e64 s[48:49], 3, v43
	;; [unrolled: 5-line block ×3, first 2 shown]
	s_nop 0
	v_mov_b32_dpp v98, v9 row_shr:8 row_mask:0xf bank_mask:0xf
	v_cndmask_b32_e64 v43, 0, v98, s[48:49]
	v_add_u32_e32 v9, v9, v43
	v_bfe_i32 v98, v15, 4, 1
	v_cmp_lt_u32_e64 s[48:49], 31, v15
	v_mov_b32_dpp v43, v9 row_bcast:15 row_mask:0xf bank_mask:0xf
	v_and_b32_e32 v43, v98, v43
	v_add_u32_e32 v9, v9, v43
	s_nop 1
	v_mov_b32_dpp v43, v9 row_bcast:31 row_mask:0xf bank_mask:0xf
	v_cndmask_b32_e64 v43, 0, v43, s[48:49]
	v_add_u32_e32 v9, v9, v43
	v_lshrrev_b32_e32 v43, 6, v2
	v_cmp_eq_u32_e64 s[48:49], v2, v18
	s_and_saveexec_b64 s[16:17], s[48:49]
; %bb.94:
	v_lshlrev_b32_e32 v18, 2, v43
	ds_write_b32 v18, v9
; %bb.95:
	s_or_b64 exec, exec, s[16:17]
	v_cmp_gt_u32_e64 s[48:49], 8, v2
	s_waitcnt lgkmcnt(0)
	s_barrier
	s_and_saveexec_b64 s[50:51], s[48:49]
	s_cbranch_execz .LBB993_97
; %bb.96:
	v_lshlrev_b32_e32 v18, 2, v2
	ds_read_b32 v98, v18
	v_and_b32_e32 v99, 7, v15
	v_cmp_ne_u32_e64 s[48:49], 0, v99
	s_waitcnt lgkmcnt(0)
	v_mov_b32_dpp v100, v98 row_shr:1 row_mask:0xf bank_mask:0xf
	v_cndmask_b32_e64 v100, 0, v100, s[48:49]
	v_add_u32_e32 v98, v100, v98
	v_cmp_lt_u32_e64 s[48:49], 1, v99
	s_nop 0
	v_mov_b32_dpp v100, v98 row_shr:2 row_mask:0xf bank_mask:0xf
	v_cndmask_b32_e64 v100, 0, v100, s[48:49]
	v_add_u32_e32 v98, v98, v100
	v_cmp_lt_u32_e64 s[48:49], 3, v99
	s_nop 0
	v_mov_b32_dpp v100, v98 row_shr:4 row_mask:0xf bank_mask:0xf
	v_cndmask_b32_e64 v99, 0, v100, s[48:49]
	v_add_u32_e32 v98, v98, v99
	ds_write_b32 v18, v98
.LBB993_97:
	s_or_b64 exec, exec, s[50:51]
	v_cmp_gt_u32_e64 s[50:51], 64, v2
	v_cmp_lt_u32_e64 s[48:49], 63, v2
	v_mov_b32_e32 v18, 0
	s_waitcnt lgkmcnt(0)
	s_barrier
	s_and_saveexec_b64 s[16:17], s[48:49]
; %bb.98:
	v_lshl_add_u32 v18, v43, 2, -4
	ds_read_b32 v18, v18
; %bb.99:
	s_or_b64 exec, exec, s[16:17]
	v_subrev_co_u32_e64 v43, s[52:53], 1, v15
	v_and_b32_e32 v98, 64, v15
	v_cmp_lt_i32_e64 s[54:55], v43, v98
	s_waitcnt lgkmcnt(0)
	v_add_u32_e32 v9, v18, v9
	v_cndmask_b32_e64 v15, v43, v15, s[54:55]
	v_lshlrev_b32_e32 v15, 2, v15
	ds_bpermute_b32 v9, v15, v9
                                        ; implicit-def: $vgpr15
	s_waitcnt lgkmcnt(0)
	v_cndmask_b32_e64 v9, v9, v18, s[52:53]
	v_cndmask_b32_e64 v98, v9, 0, s[94:95]
	v_add_u32_e32 v99, v98, v8
	ds_write_b64 v33, v[98:99] offset:32
	s_waitcnt lgkmcnt(0)
	s_barrier
	ds_read_b32 v8, v37 offset:32
	ds_read_b32 v9, v41 offset:32
	;; [unrolled: 1-line block ×22, first 2 shown]
                                        ; implicit-def: $vgpr18
	s_and_saveexec_b64 s[54:55], s[50:51]
	s_cbranch_execz .LBB993_103
; %bb.100:
	v_mul_u32_u24_e32 v15, 36, v2
	ds_read_b32 v15, v15 offset:32
	v_add_u32_e32 v36, 1, v2
	v_cmp_ne_u32_e64 s[52:53], 64, v36
	v_mov_b32_e32 v18, 0x2c00
	s_and_saveexec_b64 s[16:17], s[52:53]
; %bb.101:
	v_mul_u32_u24_e32 v18, 36, v36
	ds_read_b32 v18, v18 offset:32
; %bb.102:
	s_or_b64 exec, exec, s[16:17]
	s_waitcnt lgkmcnt(0)
	v_sub_u32_e32 v18, v18, v15
.LBB993_103:
	s_or_b64 exec, exec, s[54:55]
	s_waitcnt lgkmcnt(14)
	v_add_u32_e32 v75, v8, v34
	v_add3_u32 v67, v38, v35, v9
	v_add3_u32 v62, v42, v39, v33
	;; [unrolled: 1-line block ×7, first 2 shown]
	s_waitcnt lgkmcnt(13)
	v_add3_u32 v47, v68, v66, v63
	s_waitcnt lgkmcnt(12)
	v_add3_u32 v45, v73, v70, v72
	s_waitcnt lgkmcnt(11)
	v_add3_u32 v44, v76, v74, v77
	s_waitcnt lgkmcnt(10)
	v_add3_u32 v43, v78, v71, v79
	s_waitcnt lgkmcnt(9)
	v_add3_u32 v42, v80, v69, v81
	s_waitcnt lgkmcnt(8)
	v_add3_u32 v41, v82, v65, v84
	s_waitcnt lgkmcnt(7)
	v_add3_u32 v40, v85, v83, v98
	s_waitcnt lgkmcnt(5)
	v_add3_u32 v38, v88, v55, v89
	s_waitcnt lgkmcnt(4)
	v_add3_u32 v37, v90, v51, v91
	s_waitcnt lgkmcnt(3)
	v_add3_u32 v36, v92, v49, v94
	v_lshlrev_b32_e32 v83, 1, v75
	v_lshlrev_b32_e32 v78, 1, v67
	;; [unrolled: 1-line block ×13, first 2 shown]
	v_add3_u32 v39, v87, v86, v99
	s_waitcnt lgkmcnt(2)
	v_add3_u32 v35, v95, v93, v100
	s_waitcnt lgkmcnt(1)
	;; [unrolled: 2-line block ×3, first 2 shown]
	v_add3_u32 v33, v11, v10, v102
	s_barrier
	ds_write_b16 v83, v5 offset:256
	ds_write_b16 v78, v3 offset:256
	;; [unrolled: 1-line block ×13, first 2 shown]
	v_lshlrev_b32_e32 v24, 1, v41
	ds_write_b16 v24, v23 offset:256
	v_lshlrev_b32_e32 v23, 1, v40
	v_lshlrev_b32_e32 v22, 1, v39
	;; [unrolled: 1-line block ×8, first 2 shown]
	v_mov_b32_e32 v9, 0
	v_lshlrev_b32_e32 v3, 2, v2
	ds_write_b16 v23, v26 offset:256
	ds_write_b16 v22, v25 offset:256
	;; [unrolled: 1-line block ×8, first 2 shown]
	s_and_saveexec_b64 s[52:53], s[50:51]
	s_cbranch_execz .LBB993_113
; %bb.104:
	v_lshl_add_u32 v8, s33, 6, v2
	v_lshl_add_u64 v[10:11], v[8:9], 2, s[6:7]
	v_or_b32_e32 v5, 2.0, v18
	global_store_dword v[10:11], v5, off sc1
	s_mov_b64 s[54:55], 0
	s_brev_b32 s58, -4
	s_mov_b32 s59, s33
	v_mov_b32_e32 v5, 0
                                        ; implicit-def: $sgpr50_sgpr51
	s_branch .LBB993_107
.LBB993_105:                            ;   in Loop: Header=BB993_107 Depth=1
	s_or_b64 exec, exec, s[16:17]
.LBB993_106:                            ;   in Loop: Header=BB993_107 Depth=1
	s_or_b64 exec, exec, s[56:57]
	v_and_b32_e32 v8, 0x3fffffff, v7
	v_add_u32_e32 v5, v8, v5
	v_cmp_gt_i32_e64 s[50:51], -2.0, v7
	s_and_b64 s[16:17], exec, s[50:51]
	s_or_b64 s[54:55], s[16:17], s[54:55]
	s_andn2_b64 exec, exec, s[54:55]
	s_cbranch_execz .LBB993_112
.LBB993_107:                            ; =>This Loop Header: Depth=1
                                        ;     Child Loop BB993_110 Depth 2
	s_or_b64 s[50:51], s[50:51], exec
	s_cmp_eq_u32 s59, 0
	s_cbranch_scc1 .LBB993_111
; %bb.108:                              ;   in Loop: Header=BB993_107 Depth=1
	s_add_i32 s59, s59, -1
	v_lshl_or_b32 v8, s59, 6, v2
	v_lshl_add_u64 v[12:13], v[8:9], 2, s[6:7]
	global_load_dword v7, v[12:13], off sc1
	s_waitcnt vmcnt(0)
	v_cmp_gt_u32_e64 s[50:51], 2.0, v7
	s_and_saveexec_b64 s[56:57], s[50:51]
	s_cbranch_execz .LBB993_106
; %bb.109:                              ;   in Loop: Header=BB993_107 Depth=1
	s_mov_b64 s[16:17], 0
.LBB993_110:                            ;   Parent Loop BB993_107 Depth=1
                                        ; =>  This Inner Loop Header: Depth=2
	global_load_dword v7, v[12:13], off sc1
	s_waitcnt vmcnt(0)
	v_cmp_lt_u32_e64 s[50:51], s58, v7
	s_or_b64 s[16:17], s[50:51], s[16:17]
	s_andn2_b64 exec, exec, s[16:17]
	s_cbranch_execnz .LBB993_110
	s_branch .LBB993_105
.LBB993_111:                            ;   in Loop: Header=BB993_107 Depth=1
                                        ; implicit-def: $sgpr59
	s_and_b64 s[16:17], exec, s[50:51]
	s_or_b64 s[54:55], s[16:17], s[54:55]
	s_andn2_b64 exec, exec, s[54:55]
	s_cbranch_execnz .LBB993_107
.LBB993_112:
	s_or_b64 exec, exec, s[54:55]
	s_load_dwordx4 s[16:19], s[0:1], 0x28
	v_add_u32_e32 v7, v5, v18
	v_or_b32_e32 v7, 0x80000000, v7
	global_store_dword v[10:11], v7, off sc1
	v_sub_u32_e32 v5, v5, v15
	s_waitcnt lgkmcnt(0)
	global_load_dword v7, v3, s[16:17]
	s_waitcnt vmcnt(0)
	v_add_u32_e32 v5, v5, v7
	ds_write_b32 v3, v5
.LBB993_113:
	s_or_b64 exec, exec, s[52:53]
	v_cmp_gt_u32_e64 s[50:51], s3, v2
	v_mov_b32_e32 v8, 0
	v_mov_b32_e32 v11, 0
	s_waitcnt lgkmcnt(0)
	s_barrier
	s_and_saveexec_b64 s[52:53], s[50:51]
	s_cbranch_execz .LBB993_115
; %bb.114:
	v_lshlrev_b32_e32 v5, 1, v2
	v_sub_u32_e32 v5, v3, v5
	ds_read_u16 v5, v5 offset:256
	v_mov_b32_e32 v13, 0
	s_waitcnt lgkmcnt(0)
	v_lshrrev_b32_sdwa v7, s96, v5 dst_sel:DWORD dst_unused:UNUSED_PAD src0_sel:DWORD src1_sel:WORD_0
	v_and_b32_e32 v11, s5, v7
	v_lshlrev_b32_e32 v7, 2, v11
	ds_read_b32 v7, v7
	s_waitcnt lgkmcnt(0)
	v_add_u32_e32 v12, v7, v2
	v_lshl_add_u64 v[12:13], v[12:13], 1, s[10:11]
	global_store_short v[12:13], v5, off
.LBB993_115:
	s_or_b64 exec, exec, s[52:53]
	v_add_u32_e32 v10, 0x200, v2
	v_cmp_gt_u32_e64 s[52:53], s3, v10
	s_and_saveexec_b64 s[54:55], s[52:53]
	s_cbranch_execz .LBB993_117
; %bb.116:
	v_lshlrev_b32_e32 v5, 1, v2
	v_sub_u32_e32 v5, v3, v5
	ds_read_u16 v5, v5 offset:1280
	v_mov_b32_e32 v13, 0
	s_waitcnt lgkmcnt(0)
	v_lshrrev_b32_sdwa v7, s96, v5 dst_sel:DWORD dst_unused:UNUSED_PAD src0_sel:DWORD src1_sel:WORD_0
	v_and_b32_e32 v8, s5, v7
	v_lshlrev_b32_e32 v7, 2, v8
	ds_read_b32 v7, v7
	s_waitcnt lgkmcnt(0)
	v_add_u32_e32 v12, v7, v10
	v_lshl_add_u64 v[12:13], v[12:13], 1, s[10:11]
	global_store_short v[12:13], v5, off
.LBB993_117:
	s_or_b64 exec, exec, s[54:55]
	v_or_b32_e32 v12, 0x400, v2
	v_cmp_gt_u32_e64 s[54:55], s3, v12
	v_mov_b32_e32 v9, 0
	v_mov_b32_e32 v26, 0
	s_and_saveexec_b64 s[56:57], s[54:55]
	s_cbranch_execz .LBB993_119
; %bb.118:
	v_lshlrev_b32_e32 v5, 1, v2
	v_sub_u32_e32 v5, v3, v5
	ds_read_u16 v5, v5 offset:2304
	v_mov_b32_e32 v29, 0
	s_waitcnt lgkmcnt(0)
	v_lshrrev_b32_sdwa v7, s96, v5 dst_sel:DWORD dst_unused:UNUSED_PAD src0_sel:DWORD src1_sel:WORD_0
	v_and_b32_e32 v26, s5, v7
	v_lshlrev_b32_e32 v7, 2, v26
	ds_read_b32 v7, v7
	s_waitcnt lgkmcnt(0)
	v_add_u32_e32 v28, v7, v12
	v_lshl_add_u64 v[28:29], v[28:29], 1, s[10:11]
	global_store_short v[28:29], v5, off
.LBB993_119:
	s_or_b64 exec, exec, s[56:57]
	v_add_u32_e32 v25, 0x600, v2
	v_cmp_gt_u32_e64 s[56:57], s3, v25
	s_and_saveexec_b64 s[58:59], s[56:57]
	s_cbranch_execz .LBB993_121
; %bb.120:
	v_lshlrev_b32_e32 v5, 1, v2
	v_sub_u32_e32 v5, v3, v5
	ds_read_u16 v5, v5 offset:3328
	v_mov_b32_e32 v29, 0
	s_waitcnt lgkmcnt(0)
	v_lshrrev_b32_sdwa v7, s96, v5 dst_sel:DWORD dst_unused:UNUSED_PAD src0_sel:DWORD src1_sel:WORD_0
	v_and_b32_e32 v9, s5, v7
	v_lshlrev_b32_e32 v7, 2, v9
	ds_read_b32 v7, v7
	s_waitcnt lgkmcnt(0)
	v_add_u32_e32 v28, v7, v25
	v_lshl_add_u64 v[28:29], v[28:29], 1, s[10:11]
	global_store_short v[28:29], v5, off
.LBB993_121:
	s_or_b64 exec, exec, s[58:59]
	v_or_b32_e32 v27, 0x800, v2
	v_cmp_gt_u32_e64 s[58:59], s3, v27
	v_mov_b32_e32 v13, 0
	v_mov_b32_e32 v30, 0
	;; [unrolled: 42-line block ×3, first 2 shown]
	s_and_saveexec_b64 s[64:65], s[62:63]
	s_cbranch_execz .LBB993_127
; %bb.126:
	v_lshlrev_b32_e32 v5, 1, v2
	v_sub_u32_e32 v5, v3, v5
	ds_read_u16 v5, v5 offset:6400
	v_mov_b32_e32 v61, 0
	s_waitcnt lgkmcnt(0)
	v_lshrrev_b32_sdwa v7, s96, v5 dst_sel:DWORD dst_unused:UNUSED_PAD src0_sel:DWORD src1_sel:WORD_0
	v_and_b32_e32 v63, s5, v7
	v_lshlrev_b32_e32 v7, 2, v63
	ds_read_b32 v7, v7
	s_waitcnt lgkmcnt(0)
	v_add_u32_e32 v60, v7, v31
	v_lshl_add_u64 v[60:61], v[60:61], 1, s[10:11]
	global_store_short v[60:61], v5, off
.LBB993_127:
	s_or_b64 exec, exec, s[64:65]
	v_add_u32_e32 v60, 0xe00, v2
	v_cmp_gt_u32_e64 s[64:65], s3, v60
	s_and_saveexec_b64 s[66:67], s[64:65]
	s_cbranch_execz .LBB993_129
; %bb.128:
	v_lshlrev_b32_e32 v5, 1, v2
	ds_read_u16 v5, v5 offset:7424
	v_mov_b32_e32 v71, 0
	s_waitcnt lgkmcnt(0)
	v_lshrrev_b32_sdwa v7, s96, v5 dst_sel:DWORD dst_unused:UNUSED_PAD src0_sel:DWORD src1_sel:WORD_0
	v_and_b32_e32 v28, s5, v7
	v_lshlrev_b32_e32 v7, 2, v28
	ds_read_b32 v7, v7
	s_waitcnt lgkmcnt(0)
	v_add_u32_e32 v70, v7, v60
	v_lshl_add_u64 v[70:71], v[70:71], 1, s[10:11]
	global_store_short v[70:71], v5, off
.LBB993_129:
	s_or_b64 exec, exec, s[66:67]
	v_or_b32_e32 v61, 0x1000, v2
	v_cmp_gt_u32_e64 s[66:67], s3, v61
	v_mov_b32_e32 v32, 0
	v_mov_b32_e32 v70, 0
	s_and_saveexec_b64 s[68:69], s[66:67]
	s_cbranch_execz .LBB993_131
; %bb.130:
	v_lshlrev_b32_e32 v5, 1, v2
	ds_read_u16 v5, v5 offset:8448
	v_mov_b32_e32 v77, 0
	s_waitcnt lgkmcnt(0)
	v_lshrrev_b32_sdwa v7, s96, v5 dst_sel:DWORD dst_unused:UNUSED_PAD src0_sel:DWORD src1_sel:WORD_0
	v_and_b32_e32 v70, s5, v7
	v_lshlrev_b32_e32 v7, 2, v70
	ds_read_b32 v7, v7
	s_waitcnt lgkmcnt(0)
	v_add_u32_e32 v76, v7, v61
	v_lshl_add_u64 v[76:77], v[76:77], 1, s[10:11]
	global_store_short v[76:77], v5, off
.LBB993_131:
	s_or_b64 exec, exec, s[68:69]
	v_add_u32_e32 v66, 0x1200, v2
	v_cmp_gt_u32_e64 s[68:69], s3, v66
	s_and_saveexec_b64 s[70:71], s[68:69]
	s_cbranch_execz .LBB993_133
; %bb.132:
	v_lshlrev_b32_e32 v5, 1, v2
	ds_read_u16 v5, v5 offset:9472
	v_mov_b32_e32 v77, 0
	s_waitcnt lgkmcnt(0)
	v_lshrrev_b32_sdwa v7, s96, v5 dst_sel:DWORD dst_unused:UNUSED_PAD src0_sel:DWORD src1_sel:WORD_0
	v_and_b32_e32 v32, s5, v7
	v_lshlrev_b32_e32 v7, 2, v32
	ds_read_b32 v7, v7
	s_waitcnt lgkmcnt(0)
	v_add_u32_e32 v76, v7, v66
	v_lshl_add_u64 v[76:77], v[76:77], 1, s[10:11]
	global_store_short v[76:77], v5, off
.LBB993_133:
	s_or_b64 exec, exec, s[70:71]
	v_or_b32_e32 v69, 0x1400, v2
	v_cmp_gt_u32_e64 s[70:71], s3, v69
	v_mov_b32_e32 v64, 0
	v_mov_b32_e32 v76, 0
	s_and_saveexec_b64 s[72:73], s[70:71]
	s_cbranch_execz .LBB993_135
; %bb.134:
	v_lshlrev_b32_e32 v5, 1, v2
	ds_read_u16 v5, v5 offset:10496
	v_mov_b32_e32 v81, 0
	s_waitcnt lgkmcnt(0)
	v_lshrrev_b32_sdwa v7, s96, v5 dst_sel:DWORD dst_unused:UNUSED_PAD src0_sel:DWORD src1_sel:WORD_0
	v_and_b32_e32 v76, s5, v7
	v_lshlrev_b32_e32 v7, 2, v76
	ds_read_b32 v7, v7
	s_waitcnt lgkmcnt(0)
	v_add_u32_e32 v80, v7, v69
	v_lshl_add_u64 v[80:81], v[80:81], 1, s[10:11]
	global_store_short v[80:81], v5, off
.LBB993_135:
	;; [unrolled: 40-line block ×7, first 2 shown]
	s_or_b64 exec, exec, s[92:93]
	v_add_u32_e32 v95, 0x2a00, v2
	v_cmp_gt_u32_e64 s[92:93], s3, v95
	s_and_saveexec_b64 s[16:17], s[92:93]
	s_cbranch_execz .LBB993_157
; %bb.156:
	v_lshlrev_b32_e32 v5, 1, v2
	ds_read_u16 v5, v5 offset:21760
	v_mov_b32_e32 v99, 0
	s_waitcnt lgkmcnt(0)
	v_lshrrev_b32_sdwa v7, s96, v5 dst_sel:DWORD dst_unused:UNUSED_PAD src0_sel:DWORD src1_sel:WORD_0
	v_and_b32_e32 v91, s5, v7
	v_lshlrev_b32_e32 v7, 2, v91
	ds_read_b32 v7, v7
	s_waitcnt lgkmcnt(0)
	v_add_u32_e32 v98, v7, v95
	v_lshl_add_u64 v[98:99], v[98:99], 1, s[10:11]
	global_store_short v[98:99], v5, off
.LBB993_157:
	s_or_b64 exec, exec, s[16:17]
	s_add_u32 s16, s12, s98
	s_addc_u32 s17, s13, s99
	v_mov_b32_e32 v5, 0
	v_lshl_add_u64 v[98:99], s[16:17], 0, v[4:5]
	v_mov_b32_e32 v7, v5
	v_lshl_add_u64 v[4:5], v[98:99], 0, v[6:7]
                                        ; implicit-def: $vgpr6
	s_mov_b64 s[16:17], exec
	v_readlane_b32 s18, v117, 4
	v_readlane_b32 s19, v117, 5
	s_and_b64 s[18:19], s[16:17], s[18:19]
	s_xor_b64 s[16:17], s[18:19], s[16:17]
	s_mov_b64 exec, s[18:19]
	s_cbranch_execz .LBB993_159
; %bb.158:
	global_load_ushort v6, v[4:5], off
.LBB993_159:
	s_or_b64 exec, exec, s[16:17]
	v_readlane_b32 s18, v117, 6
	v_readlane_b32 s19, v117, 7
                                        ; implicit-def: $vgpr7
	s_and_saveexec_b64 s[16:17], s[18:19]
	s_cbranch_execz .LBB993_161
; %bb.160:
	global_load_ushort v7, v[4:5], off offset:128
.LBB993_161:
	s_or_b64 exec, exec, s[16:17]
	v_readlane_b32 s18, v117, 8
	v_readlane_b32 s19, v117, 9
                                        ; implicit-def: $vgpr97
	s_and_saveexec_b64 s[16:17], s[18:19]
	s_cbranch_execz .LBB993_163
; %bb.162:
	global_load_ushort v97, v[4:5], off offset:256
.LBB993_163:
	s_or_b64 exec, exec, s[16:17]
	v_readlane_b32 s18, v117, 10
	v_readlane_b32 s19, v117, 11
                                        ; implicit-def: $vgpr98
	s_and_saveexec_b64 s[16:17], s[18:19]
	s_cbranch_execz .LBB993_165
; %bb.164:
	global_load_ushort v98, v[4:5], off offset:384
.LBB993_165:
	s_or_b64 exec, exec, s[16:17]
	v_readlane_b32 s18, v117, 12
	v_readlane_b32 s19, v117, 13
                                        ; implicit-def: $vgpr99
	s_and_saveexec_b64 s[16:17], s[18:19]
	s_cbranch_execz .LBB993_167
; %bb.166:
	global_load_ushort v99, v[4:5], off offset:512
.LBB993_167:
	s_or_b64 exec, exec, s[16:17]
	v_readlane_b32 s18, v117, 14
	v_readlane_b32 s19, v117, 15
                                        ; implicit-def: $vgpr100
	s_and_saveexec_b64 s[16:17], s[18:19]
	s_cbranch_execz .LBB993_169
; %bb.168:
	global_load_ushort v100, v[4:5], off offset:640
.LBB993_169:
	s_or_b64 exec, exec, s[16:17]
	v_readlane_b32 s18, v117, 16
	v_readlane_b32 s19, v117, 17
                                        ; implicit-def: $vgpr101
	s_and_saveexec_b64 s[16:17], s[18:19]
	s_cbranch_execz .LBB993_171
; %bb.170:
	global_load_ushort v101, v[4:5], off offset:768
.LBB993_171:
	s_or_b64 exec, exec, s[16:17]
	v_readlane_b32 s18, v117, 18
	v_readlane_b32 s19, v117, 19
                                        ; implicit-def: $vgpr102
	s_and_saveexec_b64 s[16:17], s[18:19]
	s_cbranch_execz .LBB993_209
; %bb.172:
	global_load_ushort v102, v[4:5], off offset:896
	s_or_b64 exec, exec, s[16:17]
                                        ; implicit-def: $vgpr103
	s_and_saveexec_b64 s[16:17], vcc
	s_cbranch_execnz .LBB993_210
.LBB993_173:
	s_or_b64 exec, exec, s[16:17]
                                        ; implicit-def: $vgpr104
	s_and_saveexec_b64 s[16:17], s[20:21]
	s_cbranch_execz .LBB993_211
.LBB993_174:
	global_load_ushort v104, v[4:5], off offset:1152
	s_or_b64 exec, exec, s[16:17]
                                        ; implicit-def: $vgpr105
	s_and_saveexec_b64 s[16:17], s[22:23]
	s_cbranch_execnz .LBB993_212
.LBB993_175:
	s_or_b64 exec, exec, s[16:17]
                                        ; implicit-def: $vgpr106
	s_and_saveexec_b64 s[16:17], s[24:25]
	s_cbranch_execz .LBB993_213
.LBB993_176:
	global_load_ushort v106, v[4:5], off offset:1408
	s_or_b64 exec, exec, s[16:17]
                                        ; implicit-def: $vgpr107
	s_and_saveexec_b64 s[16:17], s[26:27]
	s_cbranch_execnz .LBB993_214
.LBB993_177:
	s_or_b64 exec, exec, s[16:17]
                                        ; implicit-def: $vgpr108
	s_and_saveexec_b64 s[16:17], s[28:29]
	s_cbranch_execz .LBB993_215
.LBB993_178:
	global_load_ushort v108, v[4:5], off offset:1664
	s_or_b64 exec, exec, s[16:17]
                                        ; implicit-def: $vgpr109
	s_and_saveexec_b64 s[16:17], s[30:31]
	s_cbranch_execnz .LBB993_216
.LBB993_179:
	s_or_b64 exec, exec, s[16:17]
                                        ; implicit-def: $vgpr110
	s_and_saveexec_b64 s[16:17], s[34:35]
	s_cbranch_execz .LBB993_217
.LBB993_180:
	global_load_ushort v110, v[4:5], off offset:1920
	s_or_b64 exec, exec, s[16:17]
                                        ; implicit-def: $vgpr111
	s_and_saveexec_b64 s[16:17], s[36:37]
	s_cbranch_execnz .LBB993_218
.LBB993_181:
	s_or_b64 exec, exec, s[16:17]
                                        ; implicit-def: $vgpr112
	s_and_saveexec_b64 s[16:17], s[38:39]
	s_cbranch_execz .LBB993_219
.LBB993_182:
	global_load_ushort v112, v[4:5], off offset:2176
	s_or_b64 exec, exec, s[16:17]
                                        ; implicit-def: $vgpr113
	s_and_saveexec_b64 s[16:17], s[40:41]
	s_cbranch_execnz .LBB993_220
.LBB993_183:
	s_or_b64 exec, exec, s[16:17]
                                        ; implicit-def: $vgpr114
	s_and_saveexec_b64 s[16:17], s[42:43]
	s_cbranch_execz .LBB993_221
.LBB993_184:
	global_load_ushort v114, v[4:5], off offset:2432
	s_or_b64 exec, exec, s[16:17]
                                        ; implicit-def: $vgpr115
	s_and_saveexec_b64 s[16:17], s[44:45]
	s_cbranch_execnz .LBB993_222
.LBB993_185:
	s_or_b64 exec, exec, s[16:17]
                                        ; implicit-def: $vgpr116
	s_and_saveexec_b64 s[16:17], s[46:47]
	s_cbranch_execz .LBB993_187
.LBB993_186:
	global_load_ushort v116, v[4:5], off offset:2688
.LBB993_187:
	s_or_b64 exec, exec, s[16:17]
	s_movk_i32 s3, 0x2c00
	v_cmp_gt_u32_e32 vcc, s3, v75
	s_barrier
	s_and_saveexec_b64 s[16:17], vcc
	s_cbranch_execz .LBB993_223
; %bb.188:
	s_waitcnt vmcnt(0)
	ds_write_b16 v83, v6 offset:256
	s_or_b64 exec, exec, s[16:17]
	v_cmp_gt_u32_e32 vcc, s3, v67
	s_and_saveexec_b64 s[16:17], vcc
	s_cbranch_execnz .LBB993_224
.LBB993_189:
	s_or_b64 exec, exec, s[16:17]
	v_cmp_gt_u32_e32 vcc, s3, v62
	s_and_saveexec_b64 s[16:17], vcc
	s_cbranch_execz .LBB993_225
.LBB993_190:
	s_waitcnt vmcnt(0)
	ds_write_b16 v73, v97 offset:256
	s_or_b64 exec, exec, s[16:17]
	v_cmp_gt_u32_e32 vcc, s3, v59
	s_and_saveexec_b64 s[16:17], vcc
	s_cbranch_execnz .LBB993_226
.LBB993_191:
	s_or_b64 exec, exec, s[16:17]
	v_cmp_gt_u32_e32 vcc, s3, v58
	s_and_saveexec_b64 s[16:17], vcc
	s_cbranch_execz .LBB993_227
.LBB993_192:
	s_waitcnt vmcnt(0)
	ds_write_b16 v65, v99 offset:256
	s_or_b64 exec, exec, s[16:17]
	v_cmp_gt_u32_e32 vcc, s3, v54
	s_and_saveexec_b64 s[16:17], vcc
	s_cbranch_execnz .LBB993_228
.LBB993_193:
	s_or_b64 exec, exec, s[16:17]
	v_cmp_gt_u32_e32 vcc, s3, v52
	s_and_saveexec_b64 s[16:17], vcc
	s_cbranch_execz .LBB993_229
.LBB993_194:
	s_waitcnt vmcnt(0)
	ds_write_b16 v56, v101 offset:256
	s_or_b64 exec, exec, s[16:17]
	v_cmp_gt_u32_e32 vcc, s3, v50
	s_and_saveexec_b64 s[16:17], vcc
	s_cbranch_execnz .LBB993_230
.LBB993_195:
	s_or_b64 exec, exec, s[16:17]
	v_cmp_gt_u32_e32 vcc, s3, v47
	s_and_saveexec_b64 s[16:17], vcc
	s_cbranch_execz .LBB993_231
.LBB993_196:
	s_waitcnt vmcnt(0)
	ds_write_b16 v53, v103 offset:256
	s_or_b64 exec, exec, s[16:17]
	v_cmp_gt_u32_e32 vcc, s3, v45
	s_and_saveexec_b64 s[16:17], vcc
	s_cbranch_execnz .LBB993_232
.LBB993_197:
	s_or_b64 exec, exec, s[16:17]
	v_cmp_gt_u32_e32 vcc, s3, v44
	s_and_saveexec_b64 s[16:17], vcc
	s_cbranch_execz .LBB993_233
.LBB993_198:
	s_waitcnt vmcnt(0)
	ds_write_b16 v49, v105 offset:256
	s_or_b64 exec, exec, s[16:17]
	v_cmp_gt_u32_e32 vcc, s3, v43
	s_and_saveexec_b64 s[16:17], vcc
	s_cbranch_execnz .LBB993_234
.LBB993_199:
	s_or_b64 exec, exec, s[16:17]
	v_cmp_gt_u32_e32 vcc, s3, v42
	s_and_saveexec_b64 s[16:17], vcc
	s_cbranch_execz .LBB993_235
.LBB993_200:
	s_waitcnt vmcnt(0)
	ds_write_b16 v46, v107 offset:256
	s_or_b64 exec, exec, s[16:17]
	v_cmp_gt_u32_e32 vcc, s3, v41
	s_and_saveexec_b64 s[16:17], vcc
	s_cbranch_execnz .LBB993_236
.LBB993_201:
	s_or_b64 exec, exec, s[16:17]
	v_cmp_gt_u32_e32 vcc, s3, v40
	s_and_saveexec_b64 s[16:17], vcc
	s_cbranch_execz .LBB993_237
.LBB993_202:
	s_waitcnt vmcnt(0)
	ds_write_b16 v23, v109 offset:256
	s_or_b64 exec, exec, s[16:17]
	v_cmp_gt_u32_e32 vcc, s3, v39
	s_and_saveexec_b64 s[16:17], vcc
	s_cbranch_execnz .LBB993_238
.LBB993_203:
	s_or_b64 exec, exec, s[16:17]
	v_cmp_gt_u32_e32 vcc, s3, v38
	s_and_saveexec_b64 s[16:17], vcc
	s_cbranch_execz .LBB993_239
.LBB993_204:
	s_waitcnt vmcnt(0)
	ds_write_b16 v21, v111 offset:256
	s_or_b64 exec, exec, s[16:17]
	v_cmp_gt_u32_e32 vcc, s3, v37
	s_and_saveexec_b64 s[16:17], vcc
	s_cbranch_execnz .LBB993_240
.LBB993_205:
	s_or_b64 exec, exec, s[16:17]
	v_cmp_gt_u32_e32 vcc, s3, v36
	s_and_saveexec_b64 s[16:17], vcc
	s_cbranch_execz .LBB993_241
.LBB993_206:
	s_waitcnt vmcnt(0)
	ds_write_b16 v19, v113 offset:256
	s_or_b64 exec, exec, s[16:17]
	v_cmp_gt_u32_e32 vcc, s3, v35
	s_and_saveexec_b64 s[16:17], vcc
	s_cbranch_execnz .LBB993_242
.LBB993_207:
	s_or_b64 exec, exec, s[16:17]
	v_cmp_gt_u32_e32 vcc, s3, v34
	s_and_saveexec_b64 s[16:17], vcc
	s_cbranch_execz .LBB993_243
.LBB993_208:
	s_waitcnt vmcnt(0)
	ds_write_b16 v16, v115 offset:256
	s_or_b64 exec, exec, s[16:17]
	v_cmp_gt_u32_e32 vcc, s3, v33
	s_and_saveexec_b64 s[16:17], vcc
	s_cbranch_execnz .LBB993_244
	s_branch .LBB993_245
.LBB993_209:
	s_or_b64 exec, exec, s[16:17]
                                        ; implicit-def: $vgpr103
	s_and_saveexec_b64 s[16:17], vcc
	s_cbranch_execz .LBB993_173
.LBB993_210:
	global_load_ushort v103, v[4:5], off offset:1024
	s_or_b64 exec, exec, s[16:17]
                                        ; implicit-def: $vgpr104
	s_and_saveexec_b64 s[16:17], s[20:21]
	s_cbranch_execnz .LBB993_174
.LBB993_211:
	s_or_b64 exec, exec, s[16:17]
                                        ; implicit-def: $vgpr105
	s_and_saveexec_b64 s[16:17], s[22:23]
	s_cbranch_execz .LBB993_175
.LBB993_212:
	global_load_ushort v105, v[4:5], off offset:1280
	s_or_b64 exec, exec, s[16:17]
                                        ; implicit-def: $vgpr106
	s_and_saveexec_b64 s[16:17], s[24:25]
	s_cbranch_execnz .LBB993_176
.LBB993_213:
	s_or_b64 exec, exec, s[16:17]
                                        ; implicit-def: $vgpr107
	s_and_saveexec_b64 s[16:17], s[26:27]
	s_cbranch_execz .LBB993_177
.LBB993_214:
	global_load_ushort v107, v[4:5], off offset:1536
	s_or_b64 exec, exec, s[16:17]
                                        ; implicit-def: $vgpr108
	s_and_saveexec_b64 s[16:17], s[28:29]
	s_cbranch_execnz .LBB993_178
.LBB993_215:
	s_or_b64 exec, exec, s[16:17]
                                        ; implicit-def: $vgpr109
	s_and_saveexec_b64 s[16:17], s[30:31]
	s_cbranch_execz .LBB993_179
.LBB993_216:
	global_load_ushort v109, v[4:5], off offset:1792
	s_or_b64 exec, exec, s[16:17]
                                        ; implicit-def: $vgpr110
	s_and_saveexec_b64 s[16:17], s[34:35]
	s_cbranch_execnz .LBB993_180
.LBB993_217:
	s_or_b64 exec, exec, s[16:17]
                                        ; implicit-def: $vgpr111
	s_and_saveexec_b64 s[16:17], s[36:37]
	s_cbranch_execz .LBB993_181
.LBB993_218:
	global_load_ushort v111, v[4:5], off offset:2048
	s_or_b64 exec, exec, s[16:17]
                                        ; implicit-def: $vgpr112
	s_and_saveexec_b64 s[16:17], s[38:39]
	s_cbranch_execnz .LBB993_182
.LBB993_219:
	s_or_b64 exec, exec, s[16:17]
                                        ; implicit-def: $vgpr113
	s_and_saveexec_b64 s[16:17], s[40:41]
	s_cbranch_execz .LBB993_183
.LBB993_220:
	global_load_ushort v113, v[4:5], off offset:2304
	s_or_b64 exec, exec, s[16:17]
                                        ; implicit-def: $vgpr114
	s_and_saveexec_b64 s[16:17], s[42:43]
	s_cbranch_execnz .LBB993_184
.LBB993_221:
	s_or_b64 exec, exec, s[16:17]
                                        ; implicit-def: $vgpr115
	s_and_saveexec_b64 s[16:17], s[44:45]
	s_cbranch_execz .LBB993_185
.LBB993_222:
	global_load_ushort v115, v[4:5], off offset:2560
	s_or_b64 exec, exec, s[16:17]
                                        ; implicit-def: $vgpr116
	s_and_saveexec_b64 s[16:17], s[46:47]
	s_cbranch_execnz .LBB993_186
	s_branch .LBB993_187
.LBB993_223:
	s_or_b64 exec, exec, s[16:17]
	v_cmp_gt_u32_e32 vcc, s3, v67
	s_and_saveexec_b64 s[16:17], vcc
	s_cbranch_execz .LBB993_189
.LBB993_224:
	s_waitcnt vmcnt(0)
	ds_write_b16 v78, v7 offset:256
	s_or_b64 exec, exec, s[16:17]
	v_cmp_gt_u32_e32 vcc, s3, v62
	s_and_saveexec_b64 s[16:17], vcc
	s_cbranch_execnz .LBB993_190
.LBB993_225:
	s_or_b64 exec, exec, s[16:17]
	v_cmp_gt_u32_e32 vcc, s3, v59
	s_and_saveexec_b64 s[16:17], vcc
	s_cbranch_execz .LBB993_191
.LBB993_226:
	s_waitcnt vmcnt(0)
	ds_write_b16 v68, v98 offset:256
	s_or_b64 exec, exec, s[16:17]
	v_cmp_gt_u32_e32 vcc, s3, v58
	s_and_saveexec_b64 s[16:17], vcc
	s_cbranch_execnz .LBB993_192
.LBB993_227:
	s_or_b64 exec, exec, s[16:17]
	v_cmp_gt_u32_e32 vcc, s3, v54
	s_and_saveexec_b64 s[16:17], vcc
	s_cbranch_execz .LBB993_193
.LBB993_228:
	s_waitcnt vmcnt(0)
	ds_write_b16 v57, v100 offset:256
	s_or_b64 exec, exec, s[16:17]
	v_cmp_gt_u32_e32 vcc, s3, v52
	s_and_saveexec_b64 s[16:17], vcc
	s_cbranch_execnz .LBB993_194
.LBB993_229:
	s_or_b64 exec, exec, s[16:17]
	v_cmp_gt_u32_e32 vcc, s3, v50
	s_and_saveexec_b64 s[16:17], vcc
	s_cbranch_execz .LBB993_195
.LBB993_230:
	s_waitcnt vmcnt(0)
	ds_write_b16 v55, v102 offset:256
	s_or_b64 exec, exec, s[16:17]
	v_cmp_gt_u32_e32 vcc, s3, v47
	s_and_saveexec_b64 s[16:17], vcc
	s_cbranch_execnz .LBB993_196
.LBB993_231:
	s_or_b64 exec, exec, s[16:17]
	v_cmp_gt_u32_e32 vcc, s3, v45
	s_and_saveexec_b64 s[16:17], vcc
	s_cbranch_execz .LBB993_197
.LBB993_232:
	s_waitcnt vmcnt(0)
	ds_write_b16 v51, v104 offset:256
	s_or_b64 exec, exec, s[16:17]
	v_cmp_gt_u32_e32 vcc, s3, v44
	s_and_saveexec_b64 s[16:17], vcc
	s_cbranch_execnz .LBB993_198
.LBB993_233:
	s_or_b64 exec, exec, s[16:17]
	v_cmp_gt_u32_e32 vcc, s3, v43
	s_and_saveexec_b64 s[16:17], vcc
	s_cbranch_execz .LBB993_199
.LBB993_234:
	s_waitcnt vmcnt(0)
	ds_write_b16 v48, v106 offset:256
	s_or_b64 exec, exec, s[16:17]
	v_cmp_gt_u32_e32 vcc, s3, v42
	s_and_saveexec_b64 s[16:17], vcc
	s_cbranch_execnz .LBB993_200
.LBB993_235:
	s_or_b64 exec, exec, s[16:17]
	v_cmp_gt_u32_e32 vcc, s3, v41
	s_and_saveexec_b64 s[16:17], vcc
	s_cbranch_execz .LBB993_201
.LBB993_236:
	s_waitcnt vmcnt(0)
	ds_write_b16 v24, v108 offset:256
	s_or_b64 exec, exec, s[16:17]
	v_cmp_gt_u32_e32 vcc, s3, v40
	s_and_saveexec_b64 s[16:17], vcc
	s_cbranch_execnz .LBB993_202
.LBB993_237:
	s_or_b64 exec, exec, s[16:17]
	v_cmp_gt_u32_e32 vcc, s3, v39
	s_and_saveexec_b64 s[16:17], vcc
	s_cbranch_execz .LBB993_203
.LBB993_238:
	s_waitcnt vmcnt(0)
	ds_write_b16 v22, v110 offset:256
	s_or_b64 exec, exec, s[16:17]
	v_cmp_gt_u32_e32 vcc, s3, v38
	s_and_saveexec_b64 s[16:17], vcc
	s_cbranch_execnz .LBB993_204
.LBB993_239:
	s_or_b64 exec, exec, s[16:17]
	v_cmp_gt_u32_e32 vcc, s3, v37
	s_and_saveexec_b64 s[16:17], vcc
	s_cbranch_execz .LBB993_205
.LBB993_240:
	s_waitcnt vmcnt(0)
	ds_write_b16 v20, v112 offset:256
	s_or_b64 exec, exec, s[16:17]
	v_cmp_gt_u32_e32 vcc, s3, v36
	s_and_saveexec_b64 s[16:17], vcc
	s_cbranch_execnz .LBB993_206
.LBB993_241:
	s_or_b64 exec, exec, s[16:17]
	v_cmp_gt_u32_e32 vcc, s3, v35
	s_and_saveexec_b64 s[16:17], vcc
	s_cbranch_execz .LBB993_207
.LBB993_242:
	s_waitcnt vmcnt(0)
	ds_write_b16 v17, v114 offset:256
	s_or_b64 exec, exec, s[16:17]
	v_cmp_gt_u32_e32 vcc, s3, v34
	s_and_saveexec_b64 s[16:17], vcc
	s_cbranch_execnz .LBB993_208
.LBB993_243:
	s_or_b64 exec, exec, s[16:17]
	v_cmp_gt_u32_e32 vcc, s3, v33
	s_and_saveexec_b64 s[16:17], vcc
	s_cbranch_execz .LBB993_245
.LBB993_244:
	s_waitcnt vmcnt(0)
	ds_write_b16 v14, v116 offset:256
.LBB993_245:
	s_or_b64 exec, exec, s[16:17]
	s_waitcnt lgkmcnt(0)
	s_barrier
	s_and_saveexec_b64 s[16:17], s[50:51]
	s_cbranch_execz .LBB993_267
; %bb.246:
	v_lshlrev_b32_e32 v4, 2, v11
	ds_read_b32 v4, v4
	v_lshlrev_b32_e32 v5, 1, v2
	s_waitcnt vmcnt(0)
	ds_read_u16 v6, v5 offset:256
	v_mov_b32_e32 v5, 0
	s_waitcnt lgkmcnt(1)
	v_add_u32_e32 v4, v4, v2
	v_lshl_add_u64 v[4:5], v[4:5], 1, s[14:15]
	s_waitcnt lgkmcnt(0)
	global_store_short v[4:5], v6, off
	s_or_b64 exec, exec, s[16:17]
	s_and_saveexec_b64 s[16:17], s[52:53]
	s_cbranch_execnz .LBB993_268
.LBB993_247:
	s_or_b64 exec, exec, s[16:17]
	s_and_saveexec_b64 s[16:17], s[54:55]
	s_cbranch_execz .LBB993_269
.LBB993_248:
	v_lshlrev_b32_e32 v4, 2, v26
	ds_read_b32 v4, v4
	v_lshlrev_b32_e32 v5, 1, v2
	s_waitcnt vmcnt(0)
	ds_read_u16 v6, v5 offset:2304
	v_mov_b32_e32 v5, 0
	s_waitcnt lgkmcnt(1)
	v_add_u32_e32 v4, v4, v12
	v_lshl_add_u64 v[4:5], v[4:5], 1, s[14:15]
	s_waitcnt lgkmcnt(0)
	global_store_short v[4:5], v6, off
	s_or_b64 exec, exec, s[16:17]
	s_and_saveexec_b64 s[16:17], s[56:57]
	s_cbranch_execnz .LBB993_270
.LBB993_249:
	s_or_b64 exec, exec, s[16:17]
	s_and_saveexec_b64 s[16:17], s[58:59]
	s_cbranch_execz .LBB993_271
.LBB993_250:
	v_lshlrev_b32_e32 v4, 2, v30
	ds_read_b32 v4, v4
	v_lshlrev_b32_e32 v5, 1, v2
	s_waitcnt vmcnt(0)
	ds_read_u16 v6, v5 offset:4352
	v_mov_b32_e32 v5, 0
	s_waitcnt lgkmcnt(1)
	v_add_u32_e32 v4, v4, v27
	v_lshl_add_u64 v[4:5], v[4:5], 1, s[14:15]
	s_waitcnt lgkmcnt(0)
	global_store_short v[4:5], v6, off
	s_or_b64 exec, exec, s[16:17]
	s_and_saveexec_b64 s[16:17], s[60:61]
	s_cbranch_execnz .LBB993_272
.LBB993_251:
	s_or_b64 exec, exec, s[16:17]
	s_and_saveexec_b64 s[16:17], s[62:63]
	s_cbranch_execz .LBB993_273
.LBB993_252:
	v_lshlrev_b32_e32 v4, 2, v63
	ds_read_b32 v4, v4
	v_lshlrev_b32_e32 v5, 1, v2
	s_waitcnt vmcnt(0)
	ds_read_u16 v6, v5 offset:6400
	v_mov_b32_e32 v5, 0
	s_waitcnt lgkmcnt(1)
	v_add_u32_e32 v4, v4, v31
	v_lshl_add_u64 v[4:5], v[4:5], 1, s[14:15]
	s_waitcnt lgkmcnt(0)
	global_store_short v[4:5], v6, off
	s_or_b64 exec, exec, s[16:17]
	s_and_saveexec_b64 s[16:17], s[64:65]
	s_cbranch_execnz .LBB993_274
.LBB993_253:
	s_or_b64 exec, exec, s[16:17]
	s_and_saveexec_b64 s[16:17], s[66:67]
	s_cbranch_execz .LBB993_275
.LBB993_254:
	v_lshlrev_b32_e32 v4, 2, v70
	ds_read_b32 v4, v4
	v_lshlrev_b32_e32 v5, 1, v2
	s_waitcnt vmcnt(0)
	ds_read_u16 v6, v5 offset:8448
	v_mov_b32_e32 v5, 0
	s_waitcnt lgkmcnt(1)
	v_add_u32_e32 v4, v4, v61
	v_lshl_add_u64 v[4:5], v[4:5], 1, s[14:15]
	s_waitcnt lgkmcnt(0)
	global_store_short v[4:5], v6, off
	s_or_b64 exec, exec, s[16:17]
	s_and_saveexec_b64 s[16:17], s[68:69]
	s_cbranch_execnz .LBB993_276
.LBB993_255:
	s_or_b64 exec, exec, s[16:17]
	s_and_saveexec_b64 s[16:17], s[70:71]
	s_cbranch_execz .LBB993_277
.LBB993_256:
	v_lshlrev_b32_e32 v4, 2, v76
	ds_read_b32 v4, v4
	v_lshlrev_b32_e32 v5, 1, v2
	s_waitcnt vmcnt(0)
	ds_read_u16 v6, v5 offset:10496
	v_mov_b32_e32 v5, 0
	s_waitcnt lgkmcnt(1)
	v_add_u32_e32 v4, v4, v69
	v_lshl_add_u64 v[4:5], v[4:5], 1, s[14:15]
	s_waitcnt lgkmcnt(0)
	global_store_short v[4:5], v6, off
	s_or_b64 exec, exec, s[16:17]
	s_and_saveexec_b64 s[16:17], s[72:73]
	s_cbranch_execnz .LBB993_278
.LBB993_257:
	s_or_b64 exec, exec, s[16:17]
	s_and_saveexec_b64 s[16:17], s[74:75]
	s_cbranch_execz .LBB993_279
.LBB993_258:
	v_lshlrev_b32_e32 v4, 2, v81
	ds_read_b32 v4, v4
	v_lshlrev_b32_e32 v5, 1, v2
	s_waitcnt vmcnt(0)
	ds_read_u16 v6, v5 offset:12544
	v_mov_b32_e32 v5, 0
	s_waitcnt lgkmcnt(1)
	v_add_u32_e32 v4, v4, v74
	v_lshl_add_u64 v[4:5], v[4:5], 1, s[14:15]
	s_waitcnt lgkmcnt(0)
	global_store_short v[4:5], v6, off
	s_or_b64 exec, exec, s[16:17]
	s_and_saveexec_b64 s[16:17], s[76:77]
	s_cbranch_execnz .LBB993_280
.LBB993_259:
	s_or_b64 exec, exec, s[16:17]
	s_and_saveexec_b64 s[16:17], s[78:79]
	s_cbranch_execz .LBB993_281
.LBB993_260:
	v_lshlrev_b32_e32 v4, 2, v86
	ds_read_b32 v4, v4
	v_lshlrev_b32_e32 v5, 1, v2
	s_waitcnt vmcnt(0)
	ds_read_u16 v6, v5 offset:14592
	v_mov_b32_e32 v5, 0
	s_waitcnt lgkmcnt(1)
	v_add_u32_e32 v4, v4, v80
	v_lshl_add_u64 v[4:5], v[4:5], 1, s[14:15]
	s_waitcnt lgkmcnt(0)
	global_store_short v[4:5], v6, off
	s_or_b64 exec, exec, s[16:17]
	s_and_saveexec_b64 s[16:17], s[80:81]
	s_cbranch_execnz .LBB993_282
.LBB993_261:
	s_or_b64 exec, exec, s[16:17]
	s_and_saveexec_b64 s[16:17], s[82:83]
	s_cbranch_execz .LBB993_283
.LBB993_262:
	v_lshlrev_b32_e32 v4, 2, v90
	ds_read_b32 v4, v4
	v_lshlrev_b32_e32 v5, 1, v2
	s_waitcnt vmcnt(0)
	ds_read_u16 v6, v5 offset:16640
	v_mov_b32_e32 v5, 0
	s_waitcnt lgkmcnt(1)
	v_add_u32_e32 v4, v4, v85
	v_lshl_add_u64 v[4:5], v[4:5], 1, s[14:15]
	s_waitcnt lgkmcnt(0)
	global_store_short v[4:5], v6, off
	s_or_b64 exec, exec, s[16:17]
	s_and_saveexec_b64 s[16:17], s[84:85]
	s_cbranch_execnz .LBB993_284
.LBB993_263:
	s_or_b64 exec, exec, s[16:17]
	s_and_saveexec_b64 s[16:17], s[86:87]
	s_cbranch_execz .LBB993_285
.LBB993_264:
	v_lshlrev_b32_e32 v4, 2, v94
	ds_read_b32 v4, v4
	v_lshlrev_b32_e32 v5, 1, v2
	s_waitcnt vmcnt(0)
	ds_read_u16 v6, v5 offset:18688
	v_mov_b32_e32 v5, 0
	s_waitcnt lgkmcnt(1)
	v_add_u32_e32 v4, v4, v89
	v_lshl_add_u64 v[4:5], v[4:5], 1, s[14:15]
	s_waitcnt lgkmcnt(0)
	global_store_short v[4:5], v6, off
	s_or_b64 exec, exec, s[16:17]
	s_and_saveexec_b64 s[16:17], s[88:89]
	s_cbranch_execnz .LBB993_286
.LBB993_265:
	s_or_b64 exec, exec, s[16:17]
	s_and_saveexec_b64 s[16:17], s[90:91]
	s_cbranch_execz .LBB993_287
.LBB993_266:
	v_lshlrev_b32_e32 v4, 2, v96
	ds_read_b32 v4, v4
	v_lshlrev_b32_e32 v5, 1, v2
	s_waitcnt vmcnt(0)
	ds_read_u16 v6, v5 offset:20736
	v_mov_b32_e32 v5, 0
	s_waitcnt lgkmcnt(1)
	v_add_u32_e32 v4, v4, v93
	v_lshl_add_u64 v[4:5], v[4:5], 1, s[14:15]
	s_waitcnt lgkmcnt(0)
	global_store_short v[4:5], v6, off
	s_or_b64 exec, exec, s[16:17]
	s_and_saveexec_b64 s[16:17], s[92:93]
	s_cbranch_execnz .LBB993_288
	s_branch .LBB993_289
.LBB993_267:
	s_or_b64 exec, exec, s[16:17]
	s_and_saveexec_b64 s[16:17], s[52:53]
	s_cbranch_execz .LBB993_247
.LBB993_268:
	v_lshlrev_b32_e32 v4, 2, v8
	ds_read_b32 v4, v4
	v_lshlrev_b32_e32 v5, 1, v2
	s_waitcnt vmcnt(0)
	ds_read_u16 v6, v5 offset:1280
	v_mov_b32_e32 v5, 0
	s_waitcnt lgkmcnt(1)
	v_add_u32_e32 v4, v4, v10
	v_lshl_add_u64 v[4:5], v[4:5], 1, s[14:15]
	s_waitcnt lgkmcnt(0)
	global_store_short v[4:5], v6, off
	s_or_b64 exec, exec, s[16:17]
	s_and_saveexec_b64 s[16:17], s[54:55]
	s_cbranch_execnz .LBB993_248
.LBB993_269:
	s_or_b64 exec, exec, s[16:17]
	s_and_saveexec_b64 s[16:17], s[56:57]
	s_cbranch_execz .LBB993_249
.LBB993_270:
	v_lshlrev_b32_e32 v4, 2, v9
	ds_read_b32 v4, v4
	v_lshlrev_b32_e32 v5, 1, v2
	s_waitcnt vmcnt(0)
	ds_read_u16 v6, v5 offset:3328
	v_mov_b32_e32 v5, 0
	s_waitcnt lgkmcnt(1)
	v_add_u32_e32 v4, v4, v25
	v_lshl_add_u64 v[4:5], v[4:5], 1, s[14:15]
	s_waitcnt lgkmcnt(0)
	global_store_short v[4:5], v6, off
	s_or_b64 exec, exec, s[16:17]
	s_and_saveexec_b64 s[16:17], s[58:59]
	s_cbranch_execnz .LBB993_250
.LBB993_271:
	s_or_b64 exec, exec, s[16:17]
	s_and_saveexec_b64 s[16:17], s[60:61]
	s_cbranch_execz .LBB993_251
.LBB993_272:
	v_lshlrev_b32_e32 v4, 2, v13
	ds_read_b32 v4, v4
	v_lshlrev_b32_e32 v5, 1, v2
	s_waitcnt vmcnt(0)
	ds_read_u16 v6, v5 offset:5376
	v_mov_b32_e32 v5, 0
	s_waitcnt lgkmcnt(1)
	v_add_u32_e32 v4, v4, v29
	v_lshl_add_u64 v[4:5], v[4:5], 1, s[14:15]
	s_waitcnt lgkmcnt(0)
	global_store_short v[4:5], v6, off
	s_or_b64 exec, exec, s[16:17]
	s_and_saveexec_b64 s[16:17], s[62:63]
	s_cbranch_execnz .LBB993_252
.LBB993_273:
	s_or_b64 exec, exec, s[16:17]
	s_and_saveexec_b64 s[16:17], s[64:65]
	s_cbranch_execz .LBB993_253
.LBB993_274:
	v_lshlrev_b32_e32 v4, 2, v28
	ds_read_b32 v4, v4
	v_lshlrev_b32_e32 v5, 1, v2
	s_waitcnt vmcnt(0)
	ds_read_u16 v6, v5 offset:7424
	v_mov_b32_e32 v5, 0
	s_waitcnt lgkmcnt(1)
	v_add_u32_e32 v4, v4, v60
	v_lshl_add_u64 v[4:5], v[4:5], 1, s[14:15]
	s_waitcnt lgkmcnt(0)
	global_store_short v[4:5], v6, off
	s_or_b64 exec, exec, s[16:17]
	s_and_saveexec_b64 s[16:17], s[66:67]
	s_cbranch_execnz .LBB993_254
.LBB993_275:
	s_or_b64 exec, exec, s[16:17]
	s_and_saveexec_b64 s[16:17], s[68:69]
	s_cbranch_execz .LBB993_255
.LBB993_276:
	v_lshlrev_b32_e32 v4, 2, v32
	ds_read_b32 v4, v4
	v_lshlrev_b32_e32 v5, 1, v2
	s_waitcnt vmcnt(0)
	ds_read_u16 v6, v5 offset:9472
	v_mov_b32_e32 v5, 0
	s_waitcnt lgkmcnt(1)
	v_add_u32_e32 v4, v4, v66
	v_lshl_add_u64 v[4:5], v[4:5], 1, s[14:15]
	s_waitcnt lgkmcnt(0)
	global_store_short v[4:5], v6, off
	s_or_b64 exec, exec, s[16:17]
	s_and_saveexec_b64 s[16:17], s[70:71]
	s_cbranch_execnz .LBB993_256
.LBB993_277:
	s_or_b64 exec, exec, s[16:17]
	s_and_saveexec_b64 s[16:17], s[72:73]
	s_cbranch_execz .LBB993_257
.LBB993_278:
	v_lshlrev_b32_e32 v4, 2, v64
	ds_read_b32 v4, v4
	v_lshlrev_b32_e32 v5, 1, v2
	s_waitcnt vmcnt(0)
	ds_read_u16 v6, v5 offset:11520
	v_mov_b32_e32 v5, 0
	s_waitcnt lgkmcnt(1)
	v_add_u32_e32 v4, v4, v72
	v_lshl_add_u64 v[4:5], v[4:5], 1, s[14:15]
	s_waitcnt lgkmcnt(0)
	global_store_short v[4:5], v6, off
	s_or_b64 exec, exec, s[16:17]
	s_and_saveexec_b64 s[16:17], s[74:75]
	s_cbranch_execnz .LBB993_258
.LBB993_279:
	s_or_b64 exec, exec, s[16:17]
	s_and_saveexec_b64 s[16:17], s[76:77]
	s_cbranch_execz .LBB993_259
.LBB993_280:
	v_lshlrev_b32_e32 v4, 2, v71
	ds_read_b32 v4, v4
	v_lshlrev_b32_e32 v5, 1, v2
	s_waitcnt vmcnt(0)
	ds_read_u16 v6, v5 offset:13568
	v_mov_b32_e32 v5, 0
	s_waitcnt lgkmcnt(1)
	v_add_u32_e32 v4, v4, v79
	v_lshl_add_u64 v[4:5], v[4:5], 1, s[14:15]
	s_waitcnt lgkmcnt(0)
	global_store_short v[4:5], v6, off
	s_or_b64 exec, exec, s[16:17]
	s_and_saveexec_b64 s[16:17], s[78:79]
	s_cbranch_execnz .LBB993_260
.LBB993_281:
	s_or_b64 exec, exec, s[16:17]
	s_and_saveexec_b64 s[16:17], s[80:81]
	s_cbranch_execz .LBB993_261
.LBB993_282:
	v_lshlrev_b32_e32 v4, 2, v77
	ds_read_b32 v4, v4
	v_lshlrev_b32_e32 v5, 1, v2
	s_waitcnt vmcnt(0)
	ds_read_u16 v6, v5 offset:15616
	v_mov_b32_e32 v5, 0
	s_waitcnt lgkmcnt(1)
	v_add_u32_e32 v4, v4, v84
	v_lshl_add_u64 v[4:5], v[4:5], 1, s[14:15]
	s_waitcnt lgkmcnt(0)
	global_store_short v[4:5], v6, off
	s_or_b64 exec, exec, s[16:17]
	s_and_saveexec_b64 s[16:17], s[82:83]
	s_cbranch_execnz .LBB993_262
.LBB993_283:
	s_or_b64 exec, exec, s[16:17]
	s_and_saveexec_b64 s[16:17], s[84:85]
	s_cbranch_execz .LBB993_263
.LBB993_284:
	v_lshlrev_b32_e32 v4, 2, v82
	ds_read_b32 v4, v4
	v_lshlrev_b32_e32 v5, 1, v2
	s_waitcnt vmcnt(0)
	ds_read_u16 v6, v5 offset:17664
	v_mov_b32_e32 v5, 0
	s_waitcnt lgkmcnt(1)
	v_add_u32_e32 v4, v4, v88
	v_lshl_add_u64 v[4:5], v[4:5], 1, s[14:15]
	s_waitcnt lgkmcnt(0)
	global_store_short v[4:5], v6, off
	s_or_b64 exec, exec, s[16:17]
	s_and_saveexec_b64 s[16:17], s[86:87]
	s_cbranch_execnz .LBB993_264
.LBB993_285:
	s_or_b64 exec, exec, s[16:17]
	s_and_saveexec_b64 s[16:17], s[88:89]
	s_cbranch_execz .LBB993_265
.LBB993_286:
	v_lshlrev_b32_e32 v4, 2, v87
	ds_read_b32 v4, v4
	v_lshlrev_b32_e32 v5, 1, v2
	s_waitcnt vmcnt(0)
	ds_read_u16 v6, v5 offset:19712
	v_mov_b32_e32 v5, 0
	s_waitcnt lgkmcnt(1)
	v_add_u32_e32 v4, v4, v92
	v_lshl_add_u64 v[4:5], v[4:5], 1, s[14:15]
	s_waitcnt lgkmcnt(0)
	global_store_short v[4:5], v6, off
	s_or_b64 exec, exec, s[16:17]
	s_and_saveexec_b64 s[16:17], s[90:91]
	s_cbranch_execnz .LBB993_266
.LBB993_287:
	s_or_b64 exec, exec, s[16:17]
	s_and_saveexec_b64 s[16:17], s[92:93]
	s_cbranch_execz .LBB993_289
.LBB993_288:
	v_lshlrev_b32_e32 v4, 2, v91
	ds_read_b32 v4, v4
	v_lshlrev_b32_e32 v5, 1, v2
	s_waitcnt vmcnt(0)
	ds_read_u16 v6, v5 offset:21760
	v_mov_b32_e32 v5, 0
	s_waitcnt lgkmcnt(1)
	v_add_u32_e32 v4, v4, v95
	v_lshl_add_u64 v[4:5], v[4:5], 1, s[14:15]
	s_waitcnt lgkmcnt(0)
	global_store_short v[4:5], v6, off
.LBB993_289:
	s_or_b64 exec, exec, s[16:17]
	s_load_dword s3, s[0:1], 0x58
	s_waitcnt lgkmcnt(0)
	s_add_i32 s3, s3, -1
	s_cmp_eq_u32 s33, s3
	s_cselect_b64 s[16:17], -1, 0
	s_xor_b64 s[18:19], s[48:49], -1
	s_and_b64 s[18:19], s[18:19], s[16:17]
	s_and_saveexec_b64 s[16:17], s[18:19]
	s_cbranch_execz .LBB993_291
; %bb.290:
	ds_read_b32 v4, v3
	s_load_dwordx4 s[20:23], s[0:1], 0x28
	s_waitcnt lgkmcnt(0)
	v_add3_u32 v4, v15, v18, v4
	global_store_dword v3, v4, s[22:23]
.LBB993_291:
	s_or_b64 exec, exec, s[16:17]
	s_mov_b64 s[16:17], 0
.LBB993_292:
	s_and_b64 vcc, exec, s[16:17]
	s_cbranch_vccz .LBB993_383
; %bb.293:
	s_mov_b32 s5, 0
	s_lshl_b64 s[16:17], s[4:5], 1
	v_mbcnt_hi_u32_b32 v29, -1, v1
	s_add_u32 s4, s8, s16
	v_and_b32_e32 v3, 63, v29
	v_and_b32_e32 v30, 0x3c0, v2
	v_mov_b32_e32 v1, 0
	s_addc_u32 s5, s9, s17
	s_waitcnt vmcnt(0)
	v_mul_u32_u24_e32 v6, 22, v30
	v_lshlrev_b32_e32 v4, 1, v3
	v_mov_b32_e32 v5, v1
	v_lshl_add_u64 v[8:9], s[4:5], 0, v[4:5]
	v_lshlrev_b32_e32 v6, 1, v6
	v_mov_b32_e32 v7, v1
	v_lshl_add_u64 v[8:9], v[8:9], 0, v[6:7]
	global_load_ushort v3, v[8:9], off
	s_load_dword s3, s[0:1], 0x64
	s_load_dword s20, s[0:1], 0x58
	s_add_u32 s0, s0, 0x58
	s_addc_u32 s1, s1, 0
	v_bfe_u32 v33, v0, 20, 10
	s_waitcnt lgkmcnt(0)
	s_lshr_b32 s3, s3, 16
	s_cmp_lt_u32 s2, s20
	s_cselect_b32 s2, 12, 18
	s_add_u32 s0, s0, s2
	s_addc_u32 s1, s1, 0
	global_load_ushort v38, v1, s[0:1]
	global_load_ushort v28, v[8:9], off offset:128
	global_load_ushort v27, v[8:9], off offset:256
	global_load_ushort v26, v[8:9], off offset:384
	global_load_ushort v25, v[8:9], off offset:512
	global_load_ushort v24, v[8:9], off offset:640
	global_load_ushort v23, v[8:9], off offset:768
	global_load_ushort v22, v[8:9], off offset:896
	global_load_ushort v21, v[8:9], off offset:1024
	global_load_ushort v20, v[8:9], off offset:1152
	global_load_ushort v19, v[8:9], off offset:1280
	global_load_ushort v18, v[8:9], off offset:1408
	global_load_ushort v17, v[8:9], off offset:1536
	global_load_ushort v16, v[8:9], off offset:1664
	global_load_ushort v14, v[8:9], off offset:1792
                                        ; kill: killed $sgpr0 killed $sgpr1
	global_load_ushort v15, v[8:9], off offset:1920
	global_load_ushort v13, v[8:9], off offset:2048
	;; [unrolled: 1-line block ×7, first 2 shown]
	v_bfe_u32 v9, v0, 10, 10
	v_lshlrev_b32_e32 v31, 3, v2
	v_mov_b32_e32 v0, v1
	ds_write_b64 v31, v[0:1] offset:32
	s_lshl_b32 s0, -1, s97
	v_mov_b32_e32 v8, v1
	v_mad_u32_u24 v39, v33, s3, v9
	v_mov_b32_e32 v32, v1
	v_mov_b32_e32 v34, v1
	s_not_b32 s21, s0
	s_waitcnt lgkmcnt(0)
	s_barrier
	s_waitcnt vmcnt(22)
	; wave barrier
	v_lshrrev_b32_sdwa v0, s96, v3 dst_sel:DWORD dst_unused:UNUSED_PAD src0_sel:DWORD src1_sel:WORD_0
	v_bitop3_b32 v40, v0, s0, v0 bitop3:0x30
	v_and_b32_e32 v0, 1, v40
	v_lshlrev_b32_e32 v9, 30, v40
	v_lshlrev_b32_e32 v33, 29, v40
	;; [unrolled: 1-line block ×3, first 2 shown]
	v_lshl_add_u64 v[36:37], v[0:1], 0, -1
	v_cmp_ne_u32_e32 vcc, 0, v0
	v_cmp_gt_i64_e64 s[0:1], 0, v[8:9]
	v_not_b32_e32 v0, v9
	s_waitcnt vmcnt(21)
	v_mad_u64_u32 v[8:9], s[8:9], v39, v38, v[2:3]
	v_cmp_gt_i64_e64 s[2:3], 0, v[32:33]
	v_not_b32_e32 v32, v33
	v_cmp_gt_i64_e64 s[4:5], 0, v[34:35]
	v_xor_b32_e32 v9, vcc_hi, v37
	v_xor_b32_e32 v34, vcc_lo, v36
	v_ashrrev_i32_e32 v0, 31, v0
	v_not_b32_e32 v33, v35
	v_ashrrev_i32_e32 v32, 31, v32
	v_lshrrev_b32_e32 v8, 4, v8
	v_and_b32_e32 v9, exec_hi, v9
	v_and_b32_e32 v34, exec_lo, v34
	v_xor_b32_e32 v35, s1, v0
	v_xor_b32_e32 v0, s0, v0
	;; [unrolled: 1-line block ×4, first 2 shown]
	v_and_b32_e32 v37, 0xffffffc, v8
	v_and_b32_e32 v8, v9, v35
	;; [unrolled: 1-line block ×3, first 2 shown]
	v_ashrrev_i32_e32 v9, 31, v33
	v_and_b32_e32 v8, v8, v36
	v_and_b32_e32 v0, v0, v32
	v_xor_b32_e32 v32, s5, v9
	v_xor_b32_e32 v9, s4, v9
	v_and_b32_e32 v32, v8, v32
	v_and_b32_e32 v0, v0, v9
	v_lshlrev_b32_e32 v9, 27, v40
	v_mov_b32_e32 v8, v1
	v_cmp_gt_i64_e32 vcc, 0, v[8:9]
	v_not_b32_e32 v8, v9
	v_ashrrev_i32_e32 v8, 31, v8
	v_xor_b32_e32 v9, vcc_hi, v8
	v_xor_b32_e32 v8, vcc_lo, v8
	v_and_b32_e32 v32, v32, v9
	v_and_b32_e32 v0, v0, v8
	v_lshlrev_b32_e32 v9, 26, v40
	v_mov_b32_e32 v8, v1
	v_cmp_gt_i64_e32 vcc, 0, v[8:9]
	v_not_b32_e32 v8, v9
	v_ashrrev_i32_e32 v8, 31, v8
	v_xor_b32_e32 v9, vcc_hi, v8
	v_xor_b32_e32 v8, vcc_lo, v8
	v_and_b32_e32 v8, v0, v8
	v_and_b32_e32 v9, v32, v9
	v_mbcnt_lo_u32_b32 v0, v8, 0
	v_mbcnt_hi_u32_b32 v32, v9, v0
	v_mul_u32_u24_e32 v41, 36, v40
	v_cmp_eq_u32_e32 vcc, 0, v32
	v_cmp_ne_u64_e64 s[0:1], 0, v[8:9]
	s_and_b64 s[2:3], s[0:1], vcc
	v_add_u32_e32 v34, v37, v41
	s_and_saveexec_b64 s[0:1], s[2:3]
; %bb.294:
	v_bcnt_u32_b32 v0, v8, 0
	v_bcnt_u32_b32 v0, v9, v0
	ds_write_b32 v34, v0 offset:32
; %bb.295:
	s_or_b64 exec, exec, s[0:1]
	s_waitcnt vmcnt(20)
	v_lshrrev_b32_sdwa v0, s96, v28 dst_sel:DWORD dst_unused:UNUSED_PAD src0_sel:DWORD src1_sel:WORD_0
	v_and_b32_e32 v35, s21, v0
	v_mad_u32_u24 v0, v35, 36, v37
	; wave barrier
	ds_read_b32 v33, v0 offset:32
	v_and_b32_e32 v0, 1, v35
	v_lshl_add_u64 v[8:9], v[0:1], 0, -1
	v_cmp_ne_u32_e32 vcc, 0, v0
	v_mul_u32_u24_e32 v36, 36, v35
	s_nop 0
	v_xor_b32_e32 v8, vcc_lo, v8
	v_xor_b32_e32 v0, vcc_hi, v9
	v_and_b32_e32 v38, exec_lo, v8
	v_lshlrev_b32_e32 v9, 30, v35
	v_mov_b32_e32 v8, v1
	v_cmp_gt_i64_e32 vcc, 0, v[8:9]
	v_not_b32_e32 v8, v9
	v_ashrrev_i32_e32 v8, 31, v8
	v_and_b32_e32 v0, exec_hi, v0
	v_xor_b32_e32 v9, vcc_hi, v8
	v_xor_b32_e32 v8, vcc_lo, v8
	v_and_b32_e32 v0, v0, v9
	v_and_b32_e32 v38, v38, v8
	v_lshlrev_b32_e32 v9, 29, v35
	v_mov_b32_e32 v8, v1
	v_cmp_gt_i64_e32 vcc, 0, v[8:9]
	v_not_b32_e32 v8, v9
	v_ashrrev_i32_e32 v8, 31, v8
	v_xor_b32_e32 v9, vcc_hi, v8
	v_xor_b32_e32 v8, vcc_lo, v8
	v_and_b32_e32 v0, v0, v9
	v_and_b32_e32 v38, v38, v8
	v_lshlrev_b32_e32 v9, 28, v35
	v_mov_b32_e32 v8, v1
	v_cmp_gt_i64_e32 vcc, 0, v[8:9]
	v_not_b32_e32 v8, v9
	v_ashrrev_i32_e32 v8, 31, v8
	v_xor_b32_e32 v9, vcc_hi, v8
	v_xor_b32_e32 v8, vcc_lo, v8
	v_and_b32_e32 v0, v0, v9
	v_and_b32_e32 v38, v38, v8
	v_lshlrev_b32_e32 v9, 27, v35
	v_mov_b32_e32 v8, v1
	v_cmp_gt_i64_e32 vcc, 0, v[8:9]
	v_not_b32_e32 v8, v9
	v_ashrrev_i32_e32 v8, 31, v8
	v_xor_b32_e32 v9, vcc_hi, v8
	v_xor_b32_e32 v8, vcc_lo, v8
	v_and_b32_e32 v0, v0, v9
	v_lshlrev_b32_e32 v9, 26, v35
	v_and_b32_e32 v38, v38, v8
	v_mov_b32_e32 v8, v1
	v_not_b32_e32 v1, v9
	v_cmp_gt_i64_e32 vcc, 0, v[8:9]
	v_ashrrev_i32_e32 v1, 31, v1
	; wave barrier
	s_nop 0
	v_xor_b32_e32 v8, vcc_hi, v1
	v_xor_b32_e32 v9, vcc_lo, v1
	v_and_b32_e32 v1, v0, v8
	v_and_b32_e32 v0, v38, v9
	v_mbcnt_lo_u32_b32 v8, v0, 0
	v_mbcnt_hi_u32_b32 v35, v1, v8
	v_cmp_eq_u32_e32 vcc, 0, v35
	v_cmp_ne_u64_e64 s[0:1], 0, v[0:1]
	s_and_b64 s[2:3], s[0:1], vcc
	v_add_u32_e32 v38, v37, v36
	s_and_saveexec_b64 s[0:1], s[2:3]
	s_cbranch_execz .LBB993_297
; %bb.296:
	v_bcnt_u32_b32 v0, v0, 0
	v_bcnt_u32_b32 v0, v1, v0
	s_waitcnt lgkmcnt(0)
	v_add_u32_e32 v0, v33, v0
	ds_write_b32 v38, v0 offset:32
.LBB993_297:
	s_or_b64 exec, exec, s[0:1]
	s_waitcnt vmcnt(19)
	v_lshrrev_b32_sdwa v0, s96, v27 dst_sel:DWORD dst_unused:UNUSED_PAD src0_sel:DWORD src1_sel:WORD_0
	v_and_b32_e32 v39, s21, v0
	v_mad_u32_u24 v0, v39, 36, v37
	; wave barrier
	ds_read_b32 v36, v0 offset:32
	v_and_b32_e32 v0, 1, v39
	v_mov_b32_e32 v1, 0
	v_lshl_add_u64 v[8:9], v[0:1], 0, -1
	v_cmp_ne_u32_e32 vcc, 0, v0
	v_mul_u32_u24_e32 v40, 36, v39
	s_nop 0
	v_xor_b32_e32 v8, vcc_lo, v8
	v_xor_b32_e32 v0, vcc_hi, v9
	v_and_b32_e32 v41, exec_lo, v8
	v_lshlrev_b32_e32 v9, 30, v39
	v_mov_b32_e32 v8, v1
	v_cmp_gt_i64_e32 vcc, 0, v[8:9]
	v_not_b32_e32 v8, v9
	v_ashrrev_i32_e32 v8, 31, v8
	v_and_b32_e32 v0, exec_hi, v0
	v_xor_b32_e32 v9, vcc_hi, v8
	v_xor_b32_e32 v8, vcc_lo, v8
	v_and_b32_e32 v0, v0, v9
	v_and_b32_e32 v41, v41, v8
	v_lshlrev_b32_e32 v9, 29, v39
	v_mov_b32_e32 v8, v1
	v_cmp_gt_i64_e32 vcc, 0, v[8:9]
	v_not_b32_e32 v8, v9
	v_ashrrev_i32_e32 v8, 31, v8
	v_xor_b32_e32 v9, vcc_hi, v8
	v_xor_b32_e32 v8, vcc_lo, v8
	v_and_b32_e32 v0, v0, v9
	v_and_b32_e32 v41, v41, v8
	v_lshlrev_b32_e32 v9, 28, v39
	v_mov_b32_e32 v8, v1
	v_cmp_gt_i64_e32 vcc, 0, v[8:9]
	v_not_b32_e32 v8, v9
	v_ashrrev_i32_e32 v8, 31, v8
	v_xor_b32_e32 v9, vcc_hi, v8
	v_xor_b32_e32 v8, vcc_lo, v8
	v_and_b32_e32 v0, v0, v9
	v_and_b32_e32 v41, v41, v8
	v_lshlrev_b32_e32 v9, 27, v39
	v_mov_b32_e32 v8, v1
	v_cmp_gt_i64_e32 vcc, 0, v[8:9]
	v_not_b32_e32 v8, v9
	v_ashrrev_i32_e32 v8, 31, v8
	v_xor_b32_e32 v9, vcc_hi, v8
	v_xor_b32_e32 v8, vcc_lo, v8
	v_and_b32_e32 v0, v0, v9
	v_and_b32_e32 v41, v41, v8
	v_lshlrev_b32_e32 v9, 26, v39
	v_mov_b32_e32 v8, v1
	v_cmp_gt_i64_e32 vcc, 0, v[8:9]
	v_not_b32_e32 v8, v9
	v_ashrrev_i32_e32 v8, 31, v8
	v_xor_b32_e32 v9, vcc_hi, v8
	v_xor_b32_e32 v8, vcc_lo, v8
	v_and_b32_e32 v8, v41, v8
	v_and_b32_e32 v9, v0, v9
	v_mbcnt_lo_u32_b32 v0, v8, 0
	v_mbcnt_hi_u32_b32 v39, v9, v0
	v_cmp_eq_u32_e32 vcc, 0, v39
	v_cmp_ne_u64_e64 s[0:1], 0, v[8:9]
	s_and_b64 s[2:3], s[0:1], vcc
	v_add_u32_e32 v41, v37, v40
	; wave barrier
	s_and_saveexec_b64 s[0:1], s[2:3]
	s_cbranch_execz .LBB993_299
; %bb.298:
	v_bcnt_u32_b32 v0, v8, 0
	v_bcnt_u32_b32 v0, v9, v0
	s_waitcnt lgkmcnt(0)
	v_add_u32_e32 v0, v36, v0
	ds_write_b32 v41, v0 offset:32
.LBB993_299:
	s_or_b64 exec, exec, s[0:1]
	s_waitcnt vmcnt(18)
	v_lshrrev_b32_sdwa v0, s96, v26 dst_sel:DWORD dst_unused:UNUSED_PAD src0_sel:DWORD src1_sel:WORD_0
	v_and_b32_e32 v42, s21, v0
	v_mad_u32_u24 v0, v42, 36, v37
	; wave barrier
	ds_read_b32 v40, v0 offset:32
	v_and_b32_e32 v0, 1, v42
	v_lshl_add_u64 v[8:9], v[0:1], 0, -1
	v_cmp_ne_u32_e32 vcc, 0, v0
	v_mul_u32_u24_e32 v43, 36, v42
	s_nop 0
	v_xor_b32_e32 v8, vcc_lo, v8
	v_xor_b32_e32 v0, vcc_hi, v9
	v_and_b32_e32 v44, exec_lo, v8
	v_lshlrev_b32_e32 v9, 30, v42
	v_mov_b32_e32 v8, v1
	v_cmp_gt_i64_e32 vcc, 0, v[8:9]
	v_not_b32_e32 v8, v9
	v_ashrrev_i32_e32 v8, 31, v8
	v_and_b32_e32 v0, exec_hi, v0
	v_xor_b32_e32 v9, vcc_hi, v8
	v_xor_b32_e32 v8, vcc_lo, v8
	v_and_b32_e32 v0, v0, v9
	v_and_b32_e32 v44, v44, v8
	v_lshlrev_b32_e32 v9, 29, v42
	v_mov_b32_e32 v8, v1
	v_cmp_gt_i64_e32 vcc, 0, v[8:9]
	v_not_b32_e32 v8, v9
	v_ashrrev_i32_e32 v8, 31, v8
	v_xor_b32_e32 v9, vcc_hi, v8
	v_xor_b32_e32 v8, vcc_lo, v8
	v_and_b32_e32 v0, v0, v9
	v_and_b32_e32 v44, v44, v8
	v_lshlrev_b32_e32 v9, 28, v42
	v_mov_b32_e32 v8, v1
	v_cmp_gt_i64_e32 vcc, 0, v[8:9]
	v_not_b32_e32 v8, v9
	v_ashrrev_i32_e32 v8, 31, v8
	;; [unrolled: 9-line block ×3, first 2 shown]
	v_xor_b32_e32 v9, vcc_hi, v8
	v_xor_b32_e32 v8, vcc_lo, v8
	v_and_b32_e32 v0, v0, v9
	v_lshlrev_b32_e32 v9, 26, v42
	v_and_b32_e32 v44, v44, v8
	v_mov_b32_e32 v8, v1
	v_not_b32_e32 v1, v9
	v_cmp_gt_i64_e32 vcc, 0, v[8:9]
	v_ashrrev_i32_e32 v1, 31, v1
	; wave barrier
	s_nop 0
	v_xor_b32_e32 v8, vcc_hi, v1
	v_xor_b32_e32 v9, vcc_lo, v1
	v_and_b32_e32 v1, v0, v8
	v_and_b32_e32 v0, v44, v9
	v_mbcnt_lo_u32_b32 v8, v0, 0
	v_mbcnt_hi_u32_b32 v42, v1, v8
	v_cmp_eq_u32_e32 vcc, 0, v42
	v_cmp_ne_u64_e64 s[0:1], 0, v[0:1]
	s_and_b64 s[2:3], s[0:1], vcc
	v_add_u32_e32 v44, v37, v43
	s_and_saveexec_b64 s[0:1], s[2:3]
	s_cbranch_execz .LBB993_301
; %bb.300:
	v_bcnt_u32_b32 v0, v0, 0
	v_bcnt_u32_b32 v0, v1, v0
	s_waitcnt lgkmcnt(0)
	v_add_u32_e32 v0, v40, v0
	ds_write_b32 v44, v0 offset:32
.LBB993_301:
	s_or_b64 exec, exec, s[0:1]
	s_waitcnt vmcnt(17)
	v_lshrrev_b32_sdwa v0, s96, v25 dst_sel:DWORD dst_unused:UNUSED_PAD src0_sel:DWORD src1_sel:WORD_0
	v_and_b32_e32 v45, s21, v0
	v_mad_u32_u24 v0, v45, 36, v37
	; wave barrier
	ds_read_b32 v43, v0 offset:32
	v_and_b32_e32 v0, 1, v45
	v_mov_b32_e32 v1, 0
	v_lshl_add_u64 v[8:9], v[0:1], 0, -1
	v_cmp_ne_u32_e32 vcc, 0, v0
	v_mul_u32_u24_e32 v46, 36, v45
	s_nop 0
	v_xor_b32_e32 v8, vcc_lo, v8
	v_xor_b32_e32 v0, vcc_hi, v9
	v_and_b32_e32 v47, exec_lo, v8
	v_lshlrev_b32_e32 v9, 30, v45
	v_mov_b32_e32 v8, v1
	v_cmp_gt_i64_e32 vcc, 0, v[8:9]
	v_not_b32_e32 v8, v9
	v_ashrrev_i32_e32 v8, 31, v8
	v_and_b32_e32 v0, exec_hi, v0
	v_xor_b32_e32 v9, vcc_hi, v8
	v_xor_b32_e32 v8, vcc_lo, v8
	v_and_b32_e32 v0, v0, v9
	v_and_b32_e32 v47, v47, v8
	v_lshlrev_b32_e32 v9, 29, v45
	v_mov_b32_e32 v8, v1
	v_cmp_gt_i64_e32 vcc, 0, v[8:9]
	v_not_b32_e32 v8, v9
	v_ashrrev_i32_e32 v8, 31, v8
	v_xor_b32_e32 v9, vcc_hi, v8
	v_xor_b32_e32 v8, vcc_lo, v8
	v_and_b32_e32 v0, v0, v9
	v_and_b32_e32 v47, v47, v8
	v_lshlrev_b32_e32 v9, 28, v45
	v_mov_b32_e32 v8, v1
	v_cmp_gt_i64_e32 vcc, 0, v[8:9]
	v_not_b32_e32 v8, v9
	v_ashrrev_i32_e32 v8, 31, v8
	;; [unrolled: 9-line block ×4, first 2 shown]
	v_xor_b32_e32 v9, vcc_hi, v8
	v_xor_b32_e32 v8, vcc_lo, v8
	v_and_b32_e32 v8, v47, v8
	v_and_b32_e32 v9, v0, v9
	v_mbcnt_lo_u32_b32 v0, v8, 0
	v_mbcnt_hi_u32_b32 v45, v9, v0
	v_cmp_eq_u32_e32 vcc, 0, v45
	v_cmp_ne_u64_e64 s[0:1], 0, v[8:9]
	s_and_b64 s[2:3], s[0:1], vcc
	v_add_u32_e32 v47, v37, v46
	; wave barrier
	s_and_saveexec_b64 s[0:1], s[2:3]
	s_cbranch_execz .LBB993_303
; %bb.302:
	v_bcnt_u32_b32 v0, v8, 0
	v_bcnt_u32_b32 v0, v9, v0
	s_waitcnt lgkmcnt(0)
	v_add_u32_e32 v0, v43, v0
	ds_write_b32 v47, v0 offset:32
.LBB993_303:
	s_or_b64 exec, exec, s[0:1]
	s_waitcnt vmcnt(16)
	v_lshrrev_b32_sdwa v0, s96, v24 dst_sel:DWORD dst_unused:UNUSED_PAD src0_sel:DWORD src1_sel:WORD_0
	v_and_b32_e32 v48, s21, v0
	v_mad_u32_u24 v0, v48, 36, v37
	; wave barrier
	ds_read_b32 v46, v0 offset:32
	v_and_b32_e32 v0, 1, v48
	v_lshl_add_u64 v[8:9], v[0:1], 0, -1
	v_cmp_ne_u32_e32 vcc, 0, v0
	v_mul_u32_u24_e32 v49, 36, v48
	s_nop 0
	v_xor_b32_e32 v8, vcc_lo, v8
	v_xor_b32_e32 v0, vcc_hi, v9
	v_and_b32_e32 v50, exec_lo, v8
	v_lshlrev_b32_e32 v9, 30, v48
	v_mov_b32_e32 v8, v1
	v_cmp_gt_i64_e32 vcc, 0, v[8:9]
	v_not_b32_e32 v8, v9
	v_ashrrev_i32_e32 v8, 31, v8
	v_and_b32_e32 v0, exec_hi, v0
	v_xor_b32_e32 v9, vcc_hi, v8
	v_xor_b32_e32 v8, vcc_lo, v8
	v_and_b32_e32 v0, v0, v9
	v_and_b32_e32 v50, v50, v8
	v_lshlrev_b32_e32 v9, 29, v48
	v_mov_b32_e32 v8, v1
	v_cmp_gt_i64_e32 vcc, 0, v[8:9]
	v_not_b32_e32 v8, v9
	v_ashrrev_i32_e32 v8, 31, v8
	v_xor_b32_e32 v9, vcc_hi, v8
	v_xor_b32_e32 v8, vcc_lo, v8
	v_and_b32_e32 v0, v0, v9
	v_and_b32_e32 v50, v50, v8
	v_lshlrev_b32_e32 v9, 28, v48
	v_mov_b32_e32 v8, v1
	v_cmp_gt_i64_e32 vcc, 0, v[8:9]
	v_not_b32_e32 v8, v9
	v_ashrrev_i32_e32 v8, 31, v8
	;; [unrolled: 9-line block ×3, first 2 shown]
	v_xor_b32_e32 v9, vcc_hi, v8
	v_xor_b32_e32 v8, vcc_lo, v8
	v_and_b32_e32 v0, v0, v9
	v_lshlrev_b32_e32 v9, 26, v48
	v_and_b32_e32 v50, v50, v8
	v_mov_b32_e32 v8, v1
	v_not_b32_e32 v1, v9
	v_cmp_gt_i64_e32 vcc, 0, v[8:9]
	v_ashrrev_i32_e32 v1, 31, v1
	; wave barrier
	s_nop 0
	v_xor_b32_e32 v8, vcc_hi, v1
	v_xor_b32_e32 v9, vcc_lo, v1
	v_and_b32_e32 v1, v0, v8
	v_and_b32_e32 v0, v50, v9
	v_mbcnt_lo_u32_b32 v8, v0, 0
	v_mbcnt_hi_u32_b32 v48, v1, v8
	v_cmp_eq_u32_e32 vcc, 0, v48
	v_cmp_ne_u64_e64 s[0:1], 0, v[0:1]
	s_and_b64 s[2:3], s[0:1], vcc
	v_add_u32_e32 v50, v37, v49
	s_and_saveexec_b64 s[0:1], s[2:3]
	s_cbranch_execz .LBB993_305
; %bb.304:
	v_bcnt_u32_b32 v0, v0, 0
	v_bcnt_u32_b32 v0, v1, v0
	s_waitcnt lgkmcnt(0)
	v_add_u32_e32 v0, v46, v0
	ds_write_b32 v50, v0 offset:32
.LBB993_305:
	s_or_b64 exec, exec, s[0:1]
	s_waitcnt vmcnt(15)
	v_lshrrev_b32_sdwa v0, s96, v23 dst_sel:DWORD dst_unused:UNUSED_PAD src0_sel:DWORD src1_sel:WORD_0
	v_and_b32_e32 v51, s21, v0
	v_mad_u32_u24 v0, v51, 36, v37
	; wave barrier
	ds_read_b32 v49, v0 offset:32
	v_and_b32_e32 v0, 1, v51
	v_mov_b32_e32 v1, 0
	v_lshl_add_u64 v[8:9], v[0:1], 0, -1
	v_cmp_ne_u32_e32 vcc, 0, v0
	v_mul_u32_u24_e32 v52, 36, v51
	s_nop 0
	v_xor_b32_e32 v8, vcc_lo, v8
	v_xor_b32_e32 v0, vcc_hi, v9
	v_and_b32_e32 v53, exec_lo, v8
	v_lshlrev_b32_e32 v9, 30, v51
	v_mov_b32_e32 v8, v1
	v_cmp_gt_i64_e32 vcc, 0, v[8:9]
	v_not_b32_e32 v8, v9
	v_ashrrev_i32_e32 v8, 31, v8
	v_and_b32_e32 v0, exec_hi, v0
	v_xor_b32_e32 v9, vcc_hi, v8
	v_xor_b32_e32 v8, vcc_lo, v8
	v_and_b32_e32 v0, v0, v9
	v_and_b32_e32 v53, v53, v8
	v_lshlrev_b32_e32 v9, 29, v51
	v_mov_b32_e32 v8, v1
	v_cmp_gt_i64_e32 vcc, 0, v[8:9]
	v_not_b32_e32 v8, v9
	v_ashrrev_i32_e32 v8, 31, v8
	v_xor_b32_e32 v9, vcc_hi, v8
	v_xor_b32_e32 v8, vcc_lo, v8
	v_and_b32_e32 v0, v0, v9
	v_and_b32_e32 v53, v53, v8
	v_lshlrev_b32_e32 v9, 28, v51
	v_mov_b32_e32 v8, v1
	v_cmp_gt_i64_e32 vcc, 0, v[8:9]
	v_not_b32_e32 v8, v9
	v_ashrrev_i32_e32 v8, 31, v8
	;; [unrolled: 9-line block ×4, first 2 shown]
	v_xor_b32_e32 v9, vcc_hi, v8
	v_xor_b32_e32 v8, vcc_lo, v8
	v_and_b32_e32 v8, v53, v8
	v_and_b32_e32 v9, v0, v9
	v_mbcnt_lo_u32_b32 v0, v8, 0
	v_mbcnt_hi_u32_b32 v51, v9, v0
	v_cmp_eq_u32_e32 vcc, 0, v51
	v_cmp_ne_u64_e64 s[0:1], 0, v[8:9]
	s_and_b64 s[2:3], s[0:1], vcc
	v_add_u32_e32 v53, v37, v52
	; wave barrier
	s_and_saveexec_b64 s[0:1], s[2:3]
	s_cbranch_execz .LBB993_307
; %bb.306:
	v_bcnt_u32_b32 v0, v8, 0
	v_bcnt_u32_b32 v0, v9, v0
	s_waitcnt lgkmcnt(0)
	v_add_u32_e32 v0, v49, v0
	ds_write_b32 v53, v0 offset:32
.LBB993_307:
	s_or_b64 exec, exec, s[0:1]
	s_waitcnt vmcnt(14)
	v_lshrrev_b32_sdwa v0, s96, v22 dst_sel:DWORD dst_unused:UNUSED_PAD src0_sel:DWORD src1_sel:WORD_0
	v_and_b32_e32 v54, s21, v0
	v_mad_u32_u24 v0, v54, 36, v37
	; wave barrier
	ds_read_b32 v52, v0 offset:32
	v_and_b32_e32 v0, 1, v54
	v_lshl_add_u64 v[8:9], v[0:1], 0, -1
	v_cmp_ne_u32_e32 vcc, 0, v0
	v_mul_u32_u24_e32 v55, 36, v54
	s_nop 0
	v_xor_b32_e32 v8, vcc_lo, v8
	v_xor_b32_e32 v0, vcc_hi, v9
	v_and_b32_e32 v56, exec_lo, v8
	v_lshlrev_b32_e32 v9, 30, v54
	v_mov_b32_e32 v8, v1
	v_cmp_gt_i64_e32 vcc, 0, v[8:9]
	v_not_b32_e32 v8, v9
	v_ashrrev_i32_e32 v8, 31, v8
	v_and_b32_e32 v0, exec_hi, v0
	v_xor_b32_e32 v9, vcc_hi, v8
	v_xor_b32_e32 v8, vcc_lo, v8
	v_and_b32_e32 v0, v0, v9
	v_and_b32_e32 v56, v56, v8
	v_lshlrev_b32_e32 v9, 29, v54
	v_mov_b32_e32 v8, v1
	v_cmp_gt_i64_e32 vcc, 0, v[8:9]
	v_not_b32_e32 v8, v9
	v_ashrrev_i32_e32 v8, 31, v8
	v_xor_b32_e32 v9, vcc_hi, v8
	v_xor_b32_e32 v8, vcc_lo, v8
	v_and_b32_e32 v0, v0, v9
	v_and_b32_e32 v56, v56, v8
	v_lshlrev_b32_e32 v9, 28, v54
	v_mov_b32_e32 v8, v1
	v_cmp_gt_i64_e32 vcc, 0, v[8:9]
	v_not_b32_e32 v8, v9
	v_ashrrev_i32_e32 v8, 31, v8
	v_xor_b32_e32 v9, vcc_hi, v8
	v_xor_b32_e32 v8, vcc_lo, v8
	v_and_b32_e32 v0, v0, v9
	v_and_b32_e32 v56, v56, v8
	v_lshlrev_b32_e32 v9, 27, v54
	v_mov_b32_e32 v8, v1
	v_cmp_gt_i64_e32 vcc, 0, v[8:9]
	v_not_b32_e32 v8, v9
	v_ashrrev_i32_e32 v8, 31, v8
	v_xor_b32_e32 v9, vcc_hi, v8
	v_xor_b32_e32 v8, vcc_lo, v8
	v_and_b32_e32 v0, v0, v9
	v_lshlrev_b32_e32 v9, 26, v54
	v_and_b32_e32 v56, v56, v8
	v_mov_b32_e32 v8, v1
	v_not_b32_e32 v1, v9
	v_cmp_gt_i64_e32 vcc, 0, v[8:9]
	v_ashrrev_i32_e32 v1, 31, v1
	; wave barrier
	s_nop 0
	v_xor_b32_e32 v8, vcc_hi, v1
	v_xor_b32_e32 v9, vcc_lo, v1
	v_and_b32_e32 v1, v0, v8
	v_and_b32_e32 v0, v56, v9
	v_mbcnt_lo_u32_b32 v8, v0, 0
	v_mbcnt_hi_u32_b32 v54, v1, v8
	v_cmp_eq_u32_e32 vcc, 0, v54
	v_cmp_ne_u64_e64 s[0:1], 0, v[0:1]
	s_and_b64 s[2:3], s[0:1], vcc
	v_add_u32_e32 v56, v37, v55
	s_and_saveexec_b64 s[0:1], s[2:3]
	s_cbranch_execz .LBB993_309
; %bb.308:
	v_bcnt_u32_b32 v0, v0, 0
	v_bcnt_u32_b32 v0, v1, v0
	s_waitcnt lgkmcnt(0)
	v_add_u32_e32 v0, v52, v0
	ds_write_b32 v56, v0 offset:32
.LBB993_309:
	s_or_b64 exec, exec, s[0:1]
	s_waitcnt vmcnt(13)
	v_lshrrev_b32_sdwa v0, s96, v21 dst_sel:DWORD dst_unused:UNUSED_PAD src0_sel:DWORD src1_sel:WORD_0
	v_and_b32_e32 v57, s21, v0
	v_mad_u32_u24 v0, v57, 36, v37
	; wave barrier
	ds_read_b32 v55, v0 offset:32
	v_and_b32_e32 v0, 1, v57
	v_mov_b32_e32 v1, 0
	v_lshl_add_u64 v[8:9], v[0:1], 0, -1
	v_cmp_ne_u32_e32 vcc, 0, v0
	v_mul_u32_u24_e32 v58, 36, v57
	s_nop 0
	v_xor_b32_e32 v8, vcc_lo, v8
	v_xor_b32_e32 v0, vcc_hi, v9
	v_and_b32_e32 v59, exec_lo, v8
	v_lshlrev_b32_e32 v9, 30, v57
	v_mov_b32_e32 v8, v1
	v_cmp_gt_i64_e32 vcc, 0, v[8:9]
	v_not_b32_e32 v8, v9
	v_ashrrev_i32_e32 v8, 31, v8
	v_and_b32_e32 v0, exec_hi, v0
	v_xor_b32_e32 v9, vcc_hi, v8
	v_xor_b32_e32 v8, vcc_lo, v8
	v_and_b32_e32 v0, v0, v9
	v_and_b32_e32 v59, v59, v8
	v_lshlrev_b32_e32 v9, 29, v57
	v_mov_b32_e32 v8, v1
	v_cmp_gt_i64_e32 vcc, 0, v[8:9]
	v_not_b32_e32 v8, v9
	v_ashrrev_i32_e32 v8, 31, v8
	v_xor_b32_e32 v9, vcc_hi, v8
	v_xor_b32_e32 v8, vcc_lo, v8
	v_and_b32_e32 v0, v0, v9
	v_and_b32_e32 v59, v59, v8
	v_lshlrev_b32_e32 v9, 28, v57
	v_mov_b32_e32 v8, v1
	v_cmp_gt_i64_e32 vcc, 0, v[8:9]
	v_not_b32_e32 v8, v9
	v_ashrrev_i32_e32 v8, 31, v8
	;; [unrolled: 9-line block ×4, first 2 shown]
	v_xor_b32_e32 v9, vcc_hi, v8
	v_xor_b32_e32 v8, vcc_lo, v8
	v_and_b32_e32 v8, v59, v8
	v_and_b32_e32 v9, v0, v9
	v_mbcnt_lo_u32_b32 v0, v8, 0
	v_mbcnt_hi_u32_b32 v57, v9, v0
	v_cmp_eq_u32_e32 vcc, 0, v57
	v_cmp_ne_u64_e64 s[0:1], 0, v[8:9]
	s_and_b64 s[2:3], s[0:1], vcc
	v_add_u32_e32 v59, v37, v58
	; wave barrier
	s_and_saveexec_b64 s[0:1], s[2:3]
	s_cbranch_execz .LBB993_311
; %bb.310:
	v_bcnt_u32_b32 v0, v8, 0
	v_bcnt_u32_b32 v0, v9, v0
	s_waitcnt lgkmcnt(0)
	v_add_u32_e32 v0, v55, v0
	ds_write_b32 v59, v0 offset:32
.LBB993_311:
	s_or_b64 exec, exec, s[0:1]
	s_waitcnt vmcnt(12)
	v_lshrrev_b32_sdwa v0, s96, v20 dst_sel:DWORD dst_unused:UNUSED_PAD src0_sel:DWORD src1_sel:WORD_0
	v_and_b32_e32 v60, s21, v0
	v_mad_u32_u24 v0, v60, 36, v37
	; wave barrier
	ds_read_b32 v58, v0 offset:32
	v_and_b32_e32 v0, 1, v60
	v_lshl_add_u64 v[8:9], v[0:1], 0, -1
	v_cmp_ne_u32_e32 vcc, 0, v0
	v_mul_u32_u24_e32 v61, 36, v60
	s_nop 0
	v_xor_b32_e32 v8, vcc_lo, v8
	v_xor_b32_e32 v0, vcc_hi, v9
	v_and_b32_e32 v62, exec_lo, v8
	v_lshlrev_b32_e32 v9, 30, v60
	v_mov_b32_e32 v8, v1
	v_cmp_gt_i64_e32 vcc, 0, v[8:9]
	v_not_b32_e32 v8, v9
	v_ashrrev_i32_e32 v8, 31, v8
	v_and_b32_e32 v0, exec_hi, v0
	v_xor_b32_e32 v9, vcc_hi, v8
	v_xor_b32_e32 v8, vcc_lo, v8
	v_and_b32_e32 v0, v0, v9
	v_and_b32_e32 v62, v62, v8
	v_lshlrev_b32_e32 v9, 29, v60
	v_mov_b32_e32 v8, v1
	v_cmp_gt_i64_e32 vcc, 0, v[8:9]
	v_not_b32_e32 v8, v9
	v_ashrrev_i32_e32 v8, 31, v8
	v_xor_b32_e32 v9, vcc_hi, v8
	v_xor_b32_e32 v8, vcc_lo, v8
	v_and_b32_e32 v0, v0, v9
	v_and_b32_e32 v62, v62, v8
	v_lshlrev_b32_e32 v9, 28, v60
	v_mov_b32_e32 v8, v1
	v_cmp_gt_i64_e32 vcc, 0, v[8:9]
	v_not_b32_e32 v8, v9
	v_ashrrev_i32_e32 v8, 31, v8
	v_xor_b32_e32 v9, vcc_hi, v8
	v_xor_b32_e32 v8, vcc_lo, v8
	v_and_b32_e32 v0, v0, v9
	v_and_b32_e32 v62, v62, v8
	v_lshlrev_b32_e32 v9, 27, v60
	v_mov_b32_e32 v8, v1
	v_cmp_gt_i64_e32 vcc, 0, v[8:9]
	v_not_b32_e32 v8, v9
	v_ashrrev_i32_e32 v8, 31, v8
	v_xor_b32_e32 v9, vcc_hi, v8
	v_xor_b32_e32 v8, vcc_lo, v8
	v_and_b32_e32 v0, v0, v9
	v_lshlrev_b32_e32 v9, 26, v60
	v_and_b32_e32 v62, v62, v8
	v_mov_b32_e32 v8, v1
	v_not_b32_e32 v1, v9
	v_cmp_gt_i64_e32 vcc, 0, v[8:9]
	v_ashrrev_i32_e32 v1, 31, v1
	; wave barrier
	s_nop 0
	v_xor_b32_e32 v8, vcc_hi, v1
	v_xor_b32_e32 v9, vcc_lo, v1
	v_and_b32_e32 v1, v0, v8
	v_and_b32_e32 v0, v62, v9
	v_mbcnt_lo_u32_b32 v8, v0, 0
	v_mbcnt_hi_u32_b32 v60, v1, v8
	v_cmp_eq_u32_e32 vcc, 0, v60
	v_cmp_ne_u64_e64 s[0:1], 0, v[0:1]
	s_and_b64 s[2:3], s[0:1], vcc
	v_add_u32_e32 v62, v37, v61
	s_and_saveexec_b64 s[0:1], s[2:3]
	s_cbranch_execz .LBB993_313
; %bb.312:
	v_bcnt_u32_b32 v0, v0, 0
	v_bcnt_u32_b32 v0, v1, v0
	s_waitcnt lgkmcnt(0)
	v_add_u32_e32 v0, v58, v0
	ds_write_b32 v62, v0 offset:32
.LBB993_313:
	s_or_b64 exec, exec, s[0:1]
	s_waitcnt vmcnt(11)
	v_lshrrev_b32_sdwa v0, s96, v19 dst_sel:DWORD dst_unused:UNUSED_PAD src0_sel:DWORD src1_sel:WORD_0
	v_and_b32_e32 v63, s21, v0
	v_mad_u32_u24 v0, v63, 36, v37
	; wave barrier
	ds_read_b32 v61, v0 offset:32
	v_and_b32_e32 v0, 1, v63
	v_mov_b32_e32 v1, 0
	v_lshl_add_u64 v[8:9], v[0:1], 0, -1
	v_cmp_ne_u32_e32 vcc, 0, v0
	v_mul_u32_u24_e32 v64, 36, v63
	s_nop 0
	v_xor_b32_e32 v8, vcc_lo, v8
	v_xor_b32_e32 v0, vcc_hi, v9
	v_and_b32_e32 v65, exec_lo, v8
	v_lshlrev_b32_e32 v9, 30, v63
	v_mov_b32_e32 v8, v1
	v_cmp_gt_i64_e32 vcc, 0, v[8:9]
	v_not_b32_e32 v8, v9
	v_ashrrev_i32_e32 v8, 31, v8
	v_and_b32_e32 v0, exec_hi, v0
	v_xor_b32_e32 v9, vcc_hi, v8
	v_xor_b32_e32 v8, vcc_lo, v8
	v_and_b32_e32 v0, v0, v9
	v_and_b32_e32 v65, v65, v8
	v_lshlrev_b32_e32 v9, 29, v63
	v_mov_b32_e32 v8, v1
	v_cmp_gt_i64_e32 vcc, 0, v[8:9]
	v_not_b32_e32 v8, v9
	v_ashrrev_i32_e32 v8, 31, v8
	v_xor_b32_e32 v9, vcc_hi, v8
	v_xor_b32_e32 v8, vcc_lo, v8
	v_and_b32_e32 v0, v0, v9
	v_and_b32_e32 v65, v65, v8
	v_lshlrev_b32_e32 v9, 28, v63
	v_mov_b32_e32 v8, v1
	v_cmp_gt_i64_e32 vcc, 0, v[8:9]
	v_not_b32_e32 v8, v9
	v_ashrrev_i32_e32 v8, 31, v8
	;; [unrolled: 9-line block ×4, first 2 shown]
	v_xor_b32_e32 v9, vcc_hi, v8
	v_xor_b32_e32 v8, vcc_lo, v8
	v_and_b32_e32 v8, v65, v8
	v_and_b32_e32 v9, v0, v9
	v_mbcnt_lo_u32_b32 v0, v8, 0
	v_mbcnt_hi_u32_b32 v63, v9, v0
	v_cmp_eq_u32_e32 vcc, 0, v63
	v_cmp_ne_u64_e64 s[0:1], 0, v[8:9]
	s_and_b64 s[2:3], s[0:1], vcc
	v_add_u32_e32 v65, v37, v64
	; wave barrier
	s_and_saveexec_b64 s[0:1], s[2:3]
	s_cbranch_execz .LBB993_315
; %bb.314:
	v_bcnt_u32_b32 v0, v8, 0
	v_bcnt_u32_b32 v0, v9, v0
	s_waitcnt lgkmcnt(0)
	v_add_u32_e32 v0, v61, v0
	ds_write_b32 v65, v0 offset:32
.LBB993_315:
	s_or_b64 exec, exec, s[0:1]
	s_waitcnt vmcnt(10)
	v_lshrrev_b32_sdwa v0, s96, v18 dst_sel:DWORD dst_unused:UNUSED_PAD src0_sel:DWORD src1_sel:WORD_0
	v_and_b32_e32 v66, s21, v0
	v_mad_u32_u24 v0, v66, 36, v37
	; wave barrier
	ds_read_b32 v64, v0 offset:32
	v_and_b32_e32 v0, 1, v66
	v_lshl_add_u64 v[8:9], v[0:1], 0, -1
	v_cmp_ne_u32_e32 vcc, 0, v0
	v_mul_u32_u24_e32 v67, 36, v66
	s_nop 0
	v_xor_b32_e32 v8, vcc_lo, v8
	v_xor_b32_e32 v0, vcc_hi, v9
	v_and_b32_e32 v68, exec_lo, v8
	v_lshlrev_b32_e32 v9, 30, v66
	v_mov_b32_e32 v8, v1
	v_cmp_gt_i64_e32 vcc, 0, v[8:9]
	v_not_b32_e32 v8, v9
	v_ashrrev_i32_e32 v8, 31, v8
	v_and_b32_e32 v0, exec_hi, v0
	v_xor_b32_e32 v9, vcc_hi, v8
	v_xor_b32_e32 v8, vcc_lo, v8
	v_and_b32_e32 v0, v0, v9
	v_and_b32_e32 v68, v68, v8
	v_lshlrev_b32_e32 v9, 29, v66
	v_mov_b32_e32 v8, v1
	v_cmp_gt_i64_e32 vcc, 0, v[8:9]
	v_not_b32_e32 v8, v9
	v_ashrrev_i32_e32 v8, 31, v8
	v_xor_b32_e32 v9, vcc_hi, v8
	v_xor_b32_e32 v8, vcc_lo, v8
	v_and_b32_e32 v0, v0, v9
	v_and_b32_e32 v68, v68, v8
	v_lshlrev_b32_e32 v9, 28, v66
	v_mov_b32_e32 v8, v1
	v_cmp_gt_i64_e32 vcc, 0, v[8:9]
	v_not_b32_e32 v8, v9
	v_ashrrev_i32_e32 v8, 31, v8
	;; [unrolled: 9-line block ×3, first 2 shown]
	v_xor_b32_e32 v9, vcc_hi, v8
	v_xor_b32_e32 v8, vcc_lo, v8
	v_and_b32_e32 v0, v0, v9
	v_lshlrev_b32_e32 v9, 26, v66
	v_and_b32_e32 v68, v68, v8
	v_mov_b32_e32 v8, v1
	v_not_b32_e32 v1, v9
	v_cmp_gt_i64_e32 vcc, 0, v[8:9]
	v_ashrrev_i32_e32 v1, 31, v1
	; wave barrier
	s_nop 0
	v_xor_b32_e32 v8, vcc_hi, v1
	v_xor_b32_e32 v9, vcc_lo, v1
	v_and_b32_e32 v1, v0, v8
	v_and_b32_e32 v0, v68, v9
	v_mbcnt_lo_u32_b32 v8, v0, 0
	v_mbcnt_hi_u32_b32 v66, v1, v8
	v_cmp_eq_u32_e32 vcc, 0, v66
	v_cmp_ne_u64_e64 s[0:1], 0, v[0:1]
	s_and_b64 s[2:3], s[0:1], vcc
	v_add_u32_e32 v68, v37, v67
	s_and_saveexec_b64 s[0:1], s[2:3]
	s_cbranch_execz .LBB993_317
; %bb.316:
	v_bcnt_u32_b32 v0, v0, 0
	v_bcnt_u32_b32 v0, v1, v0
	s_waitcnt lgkmcnt(0)
	v_add_u32_e32 v0, v64, v0
	ds_write_b32 v68, v0 offset:32
.LBB993_317:
	s_or_b64 exec, exec, s[0:1]
	s_waitcnt vmcnt(9)
	v_lshrrev_b32_sdwa v0, s96, v17 dst_sel:DWORD dst_unused:UNUSED_PAD src0_sel:DWORD src1_sel:WORD_0
	v_and_b32_e32 v69, s21, v0
	v_mad_u32_u24 v0, v69, 36, v37
	; wave barrier
	ds_read_b32 v67, v0 offset:32
	v_and_b32_e32 v0, 1, v69
	v_mov_b32_e32 v1, 0
	v_lshl_add_u64 v[8:9], v[0:1], 0, -1
	v_cmp_ne_u32_e32 vcc, 0, v0
	v_mul_u32_u24_e32 v70, 36, v69
	s_nop 0
	v_xor_b32_e32 v8, vcc_lo, v8
	v_xor_b32_e32 v0, vcc_hi, v9
	v_and_b32_e32 v71, exec_lo, v8
	v_lshlrev_b32_e32 v9, 30, v69
	v_mov_b32_e32 v8, v1
	v_cmp_gt_i64_e32 vcc, 0, v[8:9]
	v_not_b32_e32 v8, v9
	v_ashrrev_i32_e32 v8, 31, v8
	v_and_b32_e32 v0, exec_hi, v0
	v_xor_b32_e32 v9, vcc_hi, v8
	v_xor_b32_e32 v8, vcc_lo, v8
	v_and_b32_e32 v0, v0, v9
	v_and_b32_e32 v71, v71, v8
	v_lshlrev_b32_e32 v9, 29, v69
	v_mov_b32_e32 v8, v1
	v_cmp_gt_i64_e32 vcc, 0, v[8:9]
	v_not_b32_e32 v8, v9
	v_ashrrev_i32_e32 v8, 31, v8
	v_xor_b32_e32 v9, vcc_hi, v8
	v_xor_b32_e32 v8, vcc_lo, v8
	v_and_b32_e32 v0, v0, v9
	v_and_b32_e32 v71, v71, v8
	v_lshlrev_b32_e32 v9, 28, v69
	v_mov_b32_e32 v8, v1
	v_cmp_gt_i64_e32 vcc, 0, v[8:9]
	v_not_b32_e32 v8, v9
	v_ashrrev_i32_e32 v8, 31, v8
	;; [unrolled: 9-line block ×4, first 2 shown]
	v_xor_b32_e32 v9, vcc_hi, v8
	v_xor_b32_e32 v8, vcc_lo, v8
	v_and_b32_e32 v8, v71, v8
	v_and_b32_e32 v9, v0, v9
	v_mbcnt_lo_u32_b32 v0, v8, 0
	v_mbcnt_hi_u32_b32 v69, v9, v0
	v_cmp_eq_u32_e32 vcc, 0, v69
	v_cmp_ne_u64_e64 s[0:1], 0, v[8:9]
	s_and_b64 s[2:3], s[0:1], vcc
	v_add_u32_e32 v71, v37, v70
	; wave barrier
	s_and_saveexec_b64 s[0:1], s[2:3]
	s_cbranch_execz .LBB993_319
; %bb.318:
	v_bcnt_u32_b32 v0, v8, 0
	v_bcnt_u32_b32 v0, v9, v0
	s_waitcnt lgkmcnt(0)
	v_add_u32_e32 v0, v67, v0
	ds_write_b32 v71, v0 offset:32
.LBB993_319:
	s_or_b64 exec, exec, s[0:1]
	s_waitcnt vmcnt(8)
	v_lshrrev_b32_sdwa v0, s96, v16 dst_sel:DWORD dst_unused:UNUSED_PAD src0_sel:DWORD src1_sel:WORD_0
	v_and_b32_e32 v72, s21, v0
	v_mad_u32_u24 v0, v72, 36, v37
	; wave barrier
	ds_read_b32 v70, v0 offset:32
	v_and_b32_e32 v0, 1, v72
	v_lshl_add_u64 v[8:9], v[0:1], 0, -1
	v_cmp_ne_u32_e32 vcc, 0, v0
	v_mul_u32_u24_e32 v73, 36, v72
	s_nop 0
	v_xor_b32_e32 v8, vcc_lo, v8
	v_xor_b32_e32 v0, vcc_hi, v9
	v_and_b32_e32 v74, exec_lo, v8
	v_lshlrev_b32_e32 v9, 30, v72
	v_mov_b32_e32 v8, v1
	v_cmp_gt_i64_e32 vcc, 0, v[8:9]
	v_not_b32_e32 v8, v9
	v_ashrrev_i32_e32 v8, 31, v8
	v_and_b32_e32 v0, exec_hi, v0
	v_xor_b32_e32 v9, vcc_hi, v8
	v_xor_b32_e32 v8, vcc_lo, v8
	v_and_b32_e32 v0, v0, v9
	v_and_b32_e32 v74, v74, v8
	v_lshlrev_b32_e32 v9, 29, v72
	v_mov_b32_e32 v8, v1
	v_cmp_gt_i64_e32 vcc, 0, v[8:9]
	v_not_b32_e32 v8, v9
	v_ashrrev_i32_e32 v8, 31, v8
	v_xor_b32_e32 v9, vcc_hi, v8
	v_xor_b32_e32 v8, vcc_lo, v8
	v_and_b32_e32 v0, v0, v9
	v_and_b32_e32 v74, v74, v8
	v_lshlrev_b32_e32 v9, 28, v72
	v_mov_b32_e32 v8, v1
	v_cmp_gt_i64_e32 vcc, 0, v[8:9]
	v_not_b32_e32 v8, v9
	v_ashrrev_i32_e32 v8, 31, v8
	;; [unrolled: 9-line block ×3, first 2 shown]
	v_xor_b32_e32 v9, vcc_hi, v8
	v_xor_b32_e32 v8, vcc_lo, v8
	v_and_b32_e32 v0, v0, v9
	v_lshlrev_b32_e32 v9, 26, v72
	v_and_b32_e32 v74, v74, v8
	v_mov_b32_e32 v8, v1
	v_not_b32_e32 v1, v9
	v_cmp_gt_i64_e32 vcc, 0, v[8:9]
	v_ashrrev_i32_e32 v1, 31, v1
	; wave barrier
	s_nop 0
	v_xor_b32_e32 v8, vcc_hi, v1
	v_xor_b32_e32 v9, vcc_lo, v1
	v_and_b32_e32 v1, v0, v8
	v_and_b32_e32 v0, v74, v9
	v_mbcnt_lo_u32_b32 v8, v0, 0
	v_mbcnt_hi_u32_b32 v72, v1, v8
	v_cmp_eq_u32_e32 vcc, 0, v72
	v_cmp_ne_u64_e64 s[0:1], 0, v[0:1]
	s_and_b64 s[2:3], s[0:1], vcc
	v_add_u32_e32 v74, v37, v73
	s_and_saveexec_b64 s[0:1], s[2:3]
	s_cbranch_execz .LBB993_321
; %bb.320:
	v_bcnt_u32_b32 v0, v0, 0
	v_bcnt_u32_b32 v0, v1, v0
	s_waitcnt lgkmcnt(0)
	v_add_u32_e32 v0, v70, v0
	ds_write_b32 v74, v0 offset:32
.LBB993_321:
	s_or_b64 exec, exec, s[0:1]
	s_waitcnt vmcnt(7)
	v_lshrrev_b32_sdwa v0, s96, v14 dst_sel:DWORD dst_unused:UNUSED_PAD src0_sel:DWORD src1_sel:WORD_0
	v_and_b32_e32 v75, s21, v0
	v_mad_u32_u24 v0, v75, 36, v37
	; wave barrier
	ds_read_b32 v73, v0 offset:32
	v_and_b32_e32 v0, 1, v75
	v_mov_b32_e32 v1, 0
	v_lshl_add_u64 v[8:9], v[0:1], 0, -1
	v_cmp_ne_u32_e32 vcc, 0, v0
	v_mul_u32_u24_e32 v76, 36, v75
	s_nop 0
	v_xor_b32_e32 v8, vcc_lo, v8
	v_xor_b32_e32 v0, vcc_hi, v9
	v_and_b32_e32 v77, exec_lo, v8
	v_lshlrev_b32_e32 v9, 30, v75
	v_mov_b32_e32 v8, v1
	v_cmp_gt_i64_e32 vcc, 0, v[8:9]
	v_not_b32_e32 v8, v9
	v_ashrrev_i32_e32 v8, 31, v8
	v_and_b32_e32 v0, exec_hi, v0
	v_xor_b32_e32 v9, vcc_hi, v8
	v_xor_b32_e32 v8, vcc_lo, v8
	v_and_b32_e32 v0, v0, v9
	v_and_b32_e32 v77, v77, v8
	v_lshlrev_b32_e32 v9, 29, v75
	v_mov_b32_e32 v8, v1
	v_cmp_gt_i64_e32 vcc, 0, v[8:9]
	v_not_b32_e32 v8, v9
	v_ashrrev_i32_e32 v8, 31, v8
	v_xor_b32_e32 v9, vcc_hi, v8
	v_xor_b32_e32 v8, vcc_lo, v8
	v_and_b32_e32 v0, v0, v9
	v_and_b32_e32 v77, v77, v8
	v_lshlrev_b32_e32 v9, 28, v75
	v_mov_b32_e32 v8, v1
	v_cmp_gt_i64_e32 vcc, 0, v[8:9]
	v_not_b32_e32 v8, v9
	v_ashrrev_i32_e32 v8, 31, v8
	;; [unrolled: 9-line block ×4, first 2 shown]
	v_xor_b32_e32 v9, vcc_hi, v8
	v_xor_b32_e32 v8, vcc_lo, v8
	v_and_b32_e32 v8, v77, v8
	v_and_b32_e32 v9, v0, v9
	v_mbcnt_lo_u32_b32 v0, v8, 0
	v_mbcnt_hi_u32_b32 v75, v9, v0
	v_cmp_eq_u32_e32 vcc, 0, v75
	v_cmp_ne_u64_e64 s[0:1], 0, v[8:9]
	s_and_b64 s[2:3], s[0:1], vcc
	v_add_u32_e32 v77, v37, v76
	; wave barrier
	s_and_saveexec_b64 s[0:1], s[2:3]
	s_cbranch_execz .LBB993_323
; %bb.322:
	v_bcnt_u32_b32 v0, v8, 0
	v_bcnt_u32_b32 v0, v9, v0
	s_waitcnt lgkmcnt(0)
	v_add_u32_e32 v0, v73, v0
	ds_write_b32 v77, v0 offset:32
.LBB993_323:
	s_or_b64 exec, exec, s[0:1]
	s_waitcnt vmcnt(6)
	v_lshrrev_b32_sdwa v0, s96, v15 dst_sel:DWORD dst_unused:UNUSED_PAD src0_sel:DWORD src1_sel:WORD_0
	v_and_b32_e32 v78, s21, v0
	v_mad_u32_u24 v0, v78, 36, v37
	; wave barrier
	ds_read_b32 v76, v0 offset:32
	v_and_b32_e32 v0, 1, v78
	v_lshl_add_u64 v[8:9], v[0:1], 0, -1
	v_cmp_ne_u32_e32 vcc, 0, v0
	v_mul_u32_u24_e32 v79, 36, v78
	s_nop 0
	v_xor_b32_e32 v8, vcc_lo, v8
	v_xor_b32_e32 v0, vcc_hi, v9
	v_and_b32_e32 v80, exec_lo, v8
	v_lshlrev_b32_e32 v9, 30, v78
	v_mov_b32_e32 v8, v1
	v_cmp_gt_i64_e32 vcc, 0, v[8:9]
	v_not_b32_e32 v8, v9
	v_ashrrev_i32_e32 v8, 31, v8
	v_and_b32_e32 v0, exec_hi, v0
	v_xor_b32_e32 v9, vcc_hi, v8
	v_xor_b32_e32 v8, vcc_lo, v8
	v_and_b32_e32 v0, v0, v9
	v_and_b32_e32 v80, v80, v8
	v_lshlrev_b32_e32 v9, 29, v78
	v_mov_b32_e32 v8, v1
	v_cmp_gt_i64_e32 vcc, 0, v[8:9]
	v_not_b32_e32 v8, v9
	v_ashrrev_i32_e32 v8, 31, v8
	v_xor_b32_e32 v9, vcc_hi, v8
	v_xor_b32_e32 v8, vcc_lo, v8
	v_and_b32_e32 v0, v0, v9
	v_and_b32_e32 v80, v80, v8
	v_lshlrev_b32_e32 v9, 28, v78
	v_mov_b32_e32 v8, v1
	v_cmp_gt_i64_e32 vcc, 0, v[8:9]
	v_not_b32_e32 v8, v9
	v_ashrrev_i32_e32 v8, 31, v8
	;; [unrolled: 9-line block ×3, first 2 shown]
	v_xor_b32_e32 v9, vcc_hi, v8
	v_xor_b32_e32 v8, vcc_lo, v8
	v_and_b32_e32 v0, v0, v9
	v_lshlrev_b32_e32 v9, 26, v78
	v_and_b32_e32 v80, v80, v8
	v_mov_b32_e32 v8, v1
	v_not_b32_e32 v1, v9
	v_cmp_gt_i64_e32 vcc, 0, v[8:9]
	v_ashrrev_i32_e32 v1, 31, v1
	; wave barrier
	s_nop 0
	v_xor_b32_e32 v8, vcc_hi, v1
	v_xor_b32_e32 v9, vcc_lo, v1
	v_and_b32_e32 v1, v0, v8
	v_and_b32_e32 v0, v80, v9
	v_mbcnt_lo_u32_b32 v8, v0, 0
	v_mbcnt_hi_u32_b32 v78, v1, v8
	v_cmp_eq_u32_e32 vcc, 0, v78
	v_cmp_ne_u64_e64 s[0:1], 0, v[0:1]
	s_and_b64 s[2:3], s[0:1], vcc
	v_add_u32_e32 v80, v37, v79
	s_and_saveexec_b64 s[0:1], s[2:3]
	s_cbranch_execz .LBB993_325
; %bb.324:
	v_bcnt_u32_b32 v0, v0, 0
	v_bcnt_u32_b32 v0, v1, v0
	s_waitcnt lgkmcnt(0)
	v_add_u32_e32 v0, v76, v0
	ds_write_b32 v80, v0 offset:32
.LBB993_325:
	s_or_b64 exec, exec, s[0:1]
	s_waitcnt vmcnt(5)
	v_lshrrev_b32_sdwa v0, s96, v13 dst_sel:DWORD dst_unused:UNUSED_PAD src0_sel:DWORD src1_sel:WORD_0
	v_and_b32_e32 v81, s21, v0
	v_mad_u32_u24 v0, v81, 36, v37
	; wave barrier
	ds_read_b32 v79, v0 offset:32
	v_and_b32_e32 v0, 1, v81
	v_mov_b32_e32 v1, 0
	v_lshl_add_u64 v[8:9], v[0:1], 0, -1
	v_cmp_ne_u32_e32 vcc, 0, v0
	v_mul_u32_u24_e32 v82, 36, v81
	s_nop 0
	v_xor_b32_e32 v8, vcc_lo, v8
	v_xor_b32_e32 v0, vcc_hi, v9
	v_and_b32_e32 v83, exec_lo, v8
	v_lshlrev_b32_e32 v9, 30, v81
	v_mov_b32_e32 v8, v1
	v_cmp_gt_i64_e32 vcc, 0, v[8:9]
	v_not_b32_e32 v8, v9
	v_ashrrev_i32_e32 v8, 31, v8
	v_and_b32_e32 v0, exec_hi, v0
	v_xor_b32_e32 v9, vcc_hi, v8
	v_xor_b32_e32 v8, vcc_lo, v8
	v_and_b32_e32 v0, v0, v9
	v_and_b32_e32 v83, v83, v8
	v_lshlrev_b32_e32 v9, 29, v81
	v_mov_b32_e32 v8, v1
	v_cmp_gt_i64_e32 vcc, 0, v[8:9]
	v_not_b32_e32 v8, v9
	v_ashrrev_i32_e32 v8, 31, v8
	v_xor_b32_e32 v9, vcc_hi, v8
	v_xor_b32_e32 v8, vcc_lo, v8
	v_and_b32_e32 v0, v0, v9
	v_and_b32_e32 v83, v83, v8
	v_lshlrev_b32_e32 v9, 28, v81
	v_mov_b32_e32 v8, v1
	v_cmp_gt_i64_e32 vcc, 0, v[8:9]
	v_not_b32_e32 v8, v9
	v_ashrrev_i32_e32 v8, 31, v8
	v_xor_b32_e32 v9, vcc_hi, v8
	v_xor_b32_e32 v8, vcc_lo, v8
	v_and_b32_e32 v0, v0, v9
	v_and_b32_e32 v83, v83, v8
	v_lshlrev_b32_e32 v9, 27, v81
	v_mov_b32_e32 v8, v1
	v_cmp_gt_i64_e32 vcc, 0, v[8:9]
	v_not_b32_e32 v8, v9
	v_ashrrev_i32_e32 v8, 31, v8
	v_xor_b32_e32 v9, vcc_hi, v8
	v_xor_b32_e32 v8, vcc_lo, v8
	v_and_b32_e32 v0, v0, v9
	v_and_b32_e32 v83, v83, v8
	v_lshlrev_b32_e32 v9, 26, v81
	v_mov_b32_e32 v8, v1
	v_cmp_gt_i64_e32 vcc, 0, v[8:9]
	v_not_b32_e32 v8, v9
	v_ashrrev_i32_e32 v8, 31, v8
	v_xor_b32_e32 v9, vcc_hi, v8
	v_xor_b32_e32 v8, vcc_lo, v8
	v_and_b32_e32 v8, v83, v8
	v_and_b32_e32 v9, v0, v9
	v_mbcnt_lo_u32_b32 v0, v8, 0
	v_mbcnt_hi_u32_b32 v81, v9, v0
	v_cmp_eq_u32_e32 vcc, 0, v81
	v_cmp_ne_u64_e64 s[0:1], 0, v[8:9]
	s_and_b64 s[2:3], s[0:1], vcc
	v_add_u32_e32 v83, v37, v82
	; wave barrier
	s_and_saveexec_b64 s[0:1], s[2:3]
	s_cbranch_execz .LBB993_327
; %bb.326:
	v_bcnt_u32_b32 v0, v8, 0
	v_bcnt_u32_b32 v0, v9, v0
	s_waitcnt lgkmcnt(0)
	v_add_u32_e32 v0, v79, v0
	ds_write_b32 v83, v0 offset:32
.LBB993_327:
	s_or_b64 exec, exec, s[0:1]
	s_waitcnt vmcnt(4)
	v_lshrrev_b32_sdwa v0, s96, v12 dst_sel:DWORD dst_unused:UNUSED_PAD src0_sel:DWORD src1_sel:WORD_0
	v_and_b32_e32 v84, s21, v0
	v_mad_u32_u24 v0, v84, 36, v37
	; wave barrier
	ds_read_b32 v82, v0 offset:32
	v_and_b32_e32 v0, 1, v84
	v_lshl_add_u64 v[8:9], v[0:1], 0, -1
	v_cmp_ne_u32_e32 vcc, 0, v0
	v_mul_u32_u24_e32 v85, 36, v84
	s_nop 0
	v_xor_b32_e32 v8, vcc_lo, v8
	v_xor_b32_e32 v0, vcc_hi, v9
	v_and_b32_e32 v86, exec_lo, v8
	v_lshlrev_b32_e32 v9, 30, v84
	v_mov_b32_e32 v8, v1
	v_cmp_gt_i64_e32 vcc, 0, v[8:9]
	v_not_b32_e32 v8, v9
	v_ashrrev_i32_e32 v8, 31, v8
	v_and_b32_e32 v0, exec_hi, v0
	v_xor_b32_e32 v9, vcc_hi, v8
	v_xor_b32_e32 v8, vcc_lo, v8
	v_and_b32_e32 v0, v0, v9
	v_and_b32_e32 v86, v86, v8
	v_lshlrev_b32_e32 v9, 29, v84
	v_mov_b32_e32 v8, v1
	v_cmp_gt_i64_e32 vcc, 0, v[8:9]
	v_not_b32_e32 v8, v9
	v_ashrrev_i32_e32 v8, 31, v8
	v_xor_b32_e32 v9, vcc_hi, v8
	v_xor_b32_e32 v8, vcc_lo, v8
	v_and_b32_e32 v0, v0, v9
	v_and_b32_e32 v86, v86, v8
	v_lshlrev_b32_e32 v9, 28, v84
	v_mov_b32_e32 v8, v1
	v_cmp_gt_i64_e32 vcc, 0, v[8:9]
	v_not_b32_e32 v8, v9
	v_ashrrev_i32_e32 v8, 31, v8
	v_xor_b32_e32 v9, vcc_hi, v8
	v_xor_b32_e32 v8, vcc_lo, v8
	v_and_b32_e32 v0, v0, v9
	v_and_b32_e32 v86, v86, v8
	v_lshlrev_b32_e32 v9, 27, v84
	v_mov_b32_e32 v8, v1
	v_cmp_gt_i64_e32 vcc, 0, v[8:9]
	v_not_b32_e32 v8, v9
	v_ashrrev_i32_e32 v8, 31, v8
	v_xor_b32_e32 v9, vcc_hi, v8
	v_xor_b32_e32 v8, vcc_lo, v8
	v_and_b32_e32 v0, v0, v9
	v_lshlrev_b32_e32 v9, 26, v84
	v_and_b32_e32 v86, v86, v8
	v_mov_b32_e32 v8, v1
	v_not_b32_e32 v1, v9
	v_cmp_gt_i64_e32 vcc, 0, v[8:9]
	v_ashrrev_i32_e32 v1, 31, v1
	; wave barrier
	s_nop 0
	v_xor_b32_e32 v8, vcc_hi, v1
	v_xor_b32_e32 v9, vcc_lo, v1
	v_and_b32_e32 v1, v0, v8
	v_and_b32_e32 v0, v86, v9
	v_mbcnt_lo_u32_b32 v8, v0, 0
	v_mbcnt_hi_u32_b32 v84, v1, v8
	v_cmp_eq_u32_e32 vcc, 0, v84
	v_cmp_ne_u64_e64 s[0:1], 0, v[0:1]
	s_and_b64 s[2:3], s[0:1], vcc
	v_add_u32_e32 v86, v37, v85
	s_and_saveexec_b64 s[0:1], s[2:3]
	s_cbranch_execz .LBB993_329
; %bb.328:
	v_bcnt_u32_b32 v0, v0, 0
	v_bcnt_u32_b32 v0, v1, v0
	s_waitcnt lgkmcnt(0)
	v_add_u32_e32 v0, v82, v0
	ds_write_b32 v86, v0 offset:32
.LBB993_329:
	s_or_b64 exec, exec, s[0:1]
	s_waitcnt vmcnt(3)
	v_lshrrev_b32_sdwa v0, s96, v11 dst_sel:DWORD dst_unused:UNUSED_PAD src0_sel:DWORD src1_sel:WORD_0
	v_and_b32_e32 v87, s21, v0
	v_mad_u32_u24 v0, v87, 36, v37
	; wave barrier
	ds_read_b32 v85, v0 offset:32
	v_and_b32_e32 v0, 1, v87
	v_mov_b32_e32 v1, 0
	v_lshl_add_u64 v[8:9], v[0:1], 0, -1
	v_cmp_ne_u32_e32 vcc, 0, v0
	v_mul_u32_u24_e32 v88, 36, v87
	s_nop 0
	v_xor_b32_e32 v8, vcc_lo, v8
	v_xor_b32_e32 v0, vcc_hi, v9
	v_and_b32_e32 v89, exec_lo, v8
	v_lshlrev_b32_e32 v9, 30, v87
	v_mov_b32_e32 v8, v1
	v_cmp_gt_i64_e32 vcc, 0, v[8:9]
	v_not_b32_e32 v8, v9
	v_ashrrev_i32_e32 v8, 31, v8
	v_and_b32_e32 v0, exec_hi, v0
	v_xor_b32_e32 v9, vcc_hi, v8
	v_xor_b32_e32 v8, vcc_lo, v8
	v_and_b32_e32 v0, v0, v9
	v_and_b32_e32 v89, v89, v8
	v_lshlrev_b32_e32 v9, 29, v87
	v_mov_b32_e32 v8, v1
	v_cmp_gt_i64_e32 vcc, 0, v[8:9]
	v_not_b32_e32 v8, v9
	v_ashrrev_i32_e32 v8, 31, v8
	v_xor_b32_e32 v9, vcc_hi, v8
	v_xor_b32_e32 v8, vcc_lo, v8
	v_and_b32_e32 v0, v0, v9
	v_and_b32_e32 v89, v89, v8
	v_lshlrev_b32_e32 v9, 28, v87
	v_mov_b32_e32 v8, v1
	v_cmp_gt_i64_e32 vcc, 0, v[8:9]
	v_not_b32_e32 v8, v9
	v_ashrrev_i32_e32 v8, 31, v8
	;; [unrolled: 9-line block ×4, first 2 shown]
	v_xor_b32_e32 v9, vcc_hi, v8
	v_xor_b32_e32 v8, vcc_lo, v8
	v_and_b32_e32 v8, v89, v8
	v_and_b32_e32 v9, v0, v9
	v_mbcnt_lo_u32_b32 v0, v8, 0
	v_mbcnt_hi_u32_b32 v87, v9, v0
	v_cmp_eq_u32_e32 vcc, 0, v87
	v_cmp_ne_u64_e64 s[0:1], 0, v[8:9]
	s_and_b64 s[2:3], s[0:1], vcc
	v_add_u32_e32 v89, v37, v88
	; wave barrier
	s_and_saveexec_b64 s[0:1], s[2:3]
	s_cbranch_execz .LBB993_331
; %bb.330:
	v_bcnt_u32_b32 v0, v8, 0
	v_bcnt_u32_b32 v0, v9, v0
	s_waitcnt lgkmcnt(0)
	v_add_u32_e32 v0, v85, v0
	ds_write_b32 v89, v0 offset:32
.LBB993_331:
	s_or_b64 exec, exec, s[0:1]
	s_waitcnt vmcnt(2)
	v_lshrrev_b32_sdwa v0, s96, v10 dst_sel:DWORD dst_unused:UNUSED_PAD src0_sel:DWORD src1_sel:WORD_0
	v_and_b32_e32 v90, s21, v0
	v_mad_u32_u24 v0, v90, 36, v37
	; wave barrier
	ds_read_b32 v88, v0 offset:32
	v_and_b32_e32 v0, 1, v90
	v_lshl_add_u64 v[8:9], v[0:1], 0, -1
	v_cmp_ne_u32_e32 vcc, 0, v0
	v_mul_u32_u24_e32 v91, 36, v90
	s_nop 0
	v_xor_b32_e32 v8, vcc_lo, v8
	v_xor_b32_e32 v0, vcc_hi, v9
	v_and_b32_e32 v92, exec_lo, v8
	v_lshlrev_b32_e32 v9, 30, v90
	v_mov_b32_e32 v8, v1
	v_cmp_gt_i64_e32 vcc, 0, v[8:9]
	v_not_b32_e32 v8, v9
	v_ashrrev_i32_e32 v8, 31, v8
	v_and_b32_e32 v0, exec_hi, v0
	v_xor_b32_e32 v9, vcc_hi, v8
	v_xor_b32_e32 v8, vcc_lo, v8
	v_and_b32_e32 v0, v0, v9
	v_and_b32_e32 v92, v92, v8
	v_lshlrev_b32_e32 v9, 29, v90
	v_mov_b32_e32 v8, v1
	v_cmp_gt_i64_e32 vcc, 0, v[8:9]
	v_not_b32_e32 v8, v9
	v_ashrrev_i32_e32 v8, 31, v8
	v_xor_b32_e32 v9, vcc_hi, v8
	v_xor_b32_e32 v8, vcc_lo, v8
	v_and_b32_e32 v0, v0, v9
	v_and_b32_e32 v92, v92, v8
	v_lshlrev_b32_e32 v9, 28, v90
	v_mov_b32_e32 v8, v1
	v_cmp_gt_i64_e32 vcc, 0, v[8:9]
	v_not_b32_e32 v8, v9
	v_ashrrev_i32_e32 v8, 31, v8
	;; [unrolled: 9-line block ×3, first 2 shown]
	v_xor_b32_e32 v9, vcc_hi, v8
	v_xor_b32_e32 v8, vcc_lo, v8
	v_and_b32_e32 v0, v0, v9
	v_lshlrev_b32_e32 v9, 26, v90
	v_and_b32_e32 v92, v92, v8
	v_mov_b32_e32 v8, v1
	v_not_b32_e32 v1, v9
	v_cmp_gt_i64_e32 vcc, 0, v[8:9]
	v_ashrrev_i32_e32 v1, 31, v1
	; wave barrier
	s_nop 0
	v_xor_b32_e32 v8, vcc_hi, v1
	v_xor_b32_e32 v9, vcc_lo, v1
	v_and_b32_e32 v1, v0, v8
	v_and_b32_e32 v0, v92, v9
	v_mbcnt_lo_u32_b32 v8, v0, 0
	v_mbcnt_hi_u32_b32 v90, v1, v8
	v_cmp_eq_u32_e32 vcc, 0, v90
	v_cmp_ne_u64_e64 s[0:1], 0, v[0:1]
	s_and_b64 s[2:3], s[0:1], vcc
	v_add_u32_e32 v92, v37, v91
	s_and_saveexec_b64 s[0:1], s[2:3]
	s_cbranch_execz .LBB993_333
; %bb.332:
	v_bcnt_u32_b32 v0, v0, 0
	v_bcnt_u32_b32 v0, v1, v0
	s_waitcnt lgkmcnt(0)
	v_add_u32_e32 v0, v88, v0
	ds_write_b32 v92, v0 offset:32
.LBB993_333:
	s_or_b64 exec, exec, s[0:1]
	s_waitcnt vmcnt(1)
	v_lshrrev_b32_sdwa v0, s96, v7 dst_sel:DWORD dst_unused:UNUSED_PAD src0_sel:DWORD src1_sel:WORD_0
	v_and_b32_e32 v93, s21, v0
	v_mad_u32_u24 v0, v93, 36, v37
	; wave barrier
	ds_read_b32 v91, v0 offset:32
	v_and_b32_e32 v0, 1, v93
	v_mov_b32_e32 v1, 0
	v_lshl_add_u64 v[8:9], v[0:1], 0, -1
	v_cmp_ne_u32_e32 vcc, 0, v0
	v_mul_u32_u24_e32 v94, 36, v93
	v_add_u32_e32 v94, v37, v94
	v_xor_b32_e32 v8, vcc_lo, v8
	v_xor_b32_e32 v0, vcc_hi, v9
	v_and_b32_e32 v95, exec_lo, v8
	v_lshlrev_b32_e32 v9, 30, v93
	v_mov_b32_e32 v8, v1
	v_cmp_gt_i64_e32 vcc, 0, v[8:9]
	v_not_b32_e32 v8, v9
	v_ashrrev_i32_e32 v8, 31, v8
	v_and_b32_e32 v0, exec_hi, v0
	v_xor_b32_e32 v9, vcc_hi, v8
	v_xor_b32_e32 v8, vcc_lo, v8
	v_and_b32_e32 v0, v0, v9
	v_and_b32_e32 v95, v95, v8
	v_lshlrev_b32_e32 v9, 29, v93
	v_mov_b32_e32 v8, v1
	v_cmp_gt_i64_e32 vcc, 0, v[8:9]
	v_not_b32_e32 v8, v9
	v_ashrrev_i32_e32 v8, 31, v8
	v_xor_b32_e32 v9, vcc_hi, v8
	v_xor_b32_e32 v8, vcc_lo, v8
	v_and_b32_e32 v0, v0, v9
	v_and_b32_e32 v95, v95, v8
	v_lshlrev_b32_e32 v9, 28, v93
	v_mov_b32_e32 v8, v1
	v_cmp_gt_i64_e32 vcc, 0, v[8:9]
	v_not_b32_e32 v8, v9
	v_ashrrev_i32_e32 v8, 31, v8
	;; [unrolled: 9-line block ×4, first 2 shown]
	v_xor_b32_e32 v9, vcc_hi, v8
	v_xor_b32_e32 v8, vcc_lo, v8
	v_and_b32_e32 v8, v95, v8
	v_and_b32_e32 v9, v0, v9
	v_mbcnt_lo_u32_b32 v0, v8, 0
	v_mbcnt_hi_u32_b32 v93, v9, v0
	v_cmp_eq_u32_e32 vcc, 0, v93
	v_cmp_ne_u64_e64 s[0:1], 0, v[8:9]
	s_and_b64 s[2:3], s[0:1], vcc
	; wave barrier
	s_and_saveexec_b64 s[0:1], s[2:3]
	s_cbranch_execz .LBB993_335
; %bb.334:
	v_bcnt_u32_b32 v0, v8, 0
	v_bcnt_u32_b32 v0, v9, v0
	s_waitcnt lgkmcnt(0)
	v_add_u32_e32 v0, v91, v0
	ds_write_b32 v94, v0 offset:32
.LBB993_335:
	s_or_b64 exec, exec, s[0:1]
	s_waitcnt vmcnt(0)
	v_lshrrev_b32_sdwa v0, s96, v5 dst_sel:DWORD dst_unused:UNUSED_PAD src0_sel:DWORD src1_sel:WORD_0
	v_and_b32_e32 v9, s21, v0
	v_mad_u32_u24 v0, v9, 36, v37
	; wave barrier
	ds_read_b32 v8, v0 offset:32
	v_and_b32_e32 v0, 1, v9
	v_lshl_add_u64 v[96:97], v[0:1], 0, -1
	v_cmp_ne_u32_e32 vcc, 0, v0
	v_mul_u32_u24_e32 v95, 36, v9
	v_add_u32_e32 v37, v37, v95
	v_xor_b32_e32 v96, vcc_lo, v96
	v_xor_b32_e32 v0, vcc_hi, v97
	v_and_b32_e32 v98, exec_lo, v96
	v_lshlrev_b32_e32 v97, 30, v9
	v_mov_b32_e32 v96, v1
	v_cmp_gt_i64_e32 vcc, 0, v[96:97]
	v_not_b32_e32 v96, v97
	v_ashrrev_i32_e32 v96, 31, v96
	v_and_b32_e32 v0, exec_hi, v0
	v_xor_b32_e32 v97, vcc_hi, v96
	v_xor_b32_e32 v96, vcc_lo, v96
	v_and_b32_e32 v0, v0, v97
	v_and_b32_e32 v98, v98, v96
	v_lshlrev_b32_e32 v97, 29, v9
	v_mov_b32_e32 v96, v1
	v_cmp_gt_i64_e32 vcc, 0, v[96:97]
	v_not_b32_e32 v96, v97
	v_ashrrev_i32_e32 v96, 31, v96
	v_xor_b32_e32 v97, vcc_hi, v96
	v_xor_b32_e32 v96, vcc_lo, v96
	v_and_b32_e32 v0, v0, v97
	v_and_b32_e32 v98, v98, v96
	v_lshlrev_b32_e32 v97, 28, v9
	v_mov_b32_e32 v96, v1
	v_cmp_gt_i64_e32 vcc, 0, v[96:97]
	v_not_b32_e32 v96, v97
	v_ashrrev_i32_e32 v96, 31, v96
	;; [unrolled: 9-line block ×3, first 2 shown]
	v_xor_b32_e32 v97, vcc_hi, v96
	v_xor_b32_e32 v96, vcc_lo, v96
	v_and_b32_e32 v0, v0, v97
	v_lshlrev_b32_e32 v97, 26, v9
	v_and_b32_e32 v98, v98, v96
	v_mov_b32_e32 v96, v1
	v_not_b32_e32 v1, v97
	v_cmp_gt_i64_e32 vcc, 0, v[96:97]
	v_ashrrev_i32_e32 v1, 31, v1
	s_nop 0
	v_xor_b32_e32 v9, vcc_hi, v1
	v_xor_b32_e32 v96, vcc_lo, v1
	v_and_b32_e32 v1, v0, v9
	v_and_b32_e32 v0, v98, v96
	v_mbcnt_lo_u32_b32 v9, v0, 0
	v_mbcnt_hi_u32_b32 v9, v1, v9
	v_cmp_eq_u32_e32 vcc, 0, v9
	v_cmp_ne_u64_e64 s[0:1], 0, v[0:1]
	s_and_b64 s[2:3], s[0:1], vcc
	; wave barrier
	s_and_saveexec_b64 s[0:1], s[2:3]
	s_cbranch_execz .LBB993_337
; %bb.336:
	v_bcnt_u32_b32 v0, v0, 0
	v_bcnt_u32_b32 v0, v1, v0
	s_waitcnt lgkmcnt(0)
	v_add_u32_e32 v0, v8, v0
	ds_write_b32 v37, v0 offset:32
.LBB993_337:
	s_or_b64 exec, exec, s[0:1]
	; wave barrier
	s_waitcnt lgkmcnt(0)
	s_barrier
	ds_read_b64 v[0:1], v31 offset:32
	v_and_b32_e32 v95, 15, v29
	v_cmp_ne_u32_e32 vcc, 0, v95
	v_min_u32_e32 v30, 0x1c0, v30
	v_or_b32_e32 v30, 63, v30
	s_waitcnt lgkmcnt(0)
	v_add_u32_e32 v1, v1, v0
	s_nop 1
	v_mov_b32_dpp v96, v1 row_shr:1 row_mask:0xf bank_mask:0xf
	v_cndmask_b32_e32 v96, 0, v96, vcc
	v_add_u32_e32 v1, v96, v1
	v_cmp_lt_u32_e32 vcc, 1, v95
	s_nop 0
	v_mov_b32_dpp v96, v1 row_shr:2 row_mask:0xf bank_mask:0xf
	v_cndmask_b32_e32 v96, 0, v96, vcc
	v_add_u32_e32 v1, v1, v96
	v_cmp_lt_u32_e32 vcc, 3, v95
	s_nop 0
	v_mov_b32_dpp v96, v1 row_shr:4 row_mask:0xf bank_mask:0xf
	v_cndmask_b32_e32 v96, 0, v96, vcc
	v_add_u32_e32 v1, v1, v96
	v_cmp_lt_u32_e32 vcc, 7, v95
	s_nop 0
	v_mov_b32_dpp v96, v1 row_shr:8 row_mask:0xf bank_mask:0xf
	v_cndmask_b32_e32 v95, 0, v96, vcc
	v_add_u32_e32 v1, v1, v95
	v_bfe_i32 v96, v29, 4, 1
	v_cmp_lt_u32_e32 vcc, 31, v29
	v_mov_b32_dpp v95, v1 row_bcast:15 row_mask:0xf bank_mask:0xf
	v_and_b32_e32 v95, v96, v95
	v_add_u32_e32 v1, v1, v95
	s_nop 1
	v_mov_b32_dpp v95, v1 row_bcast:31 row_mask:0xf bank_mask:0xf
	v_cndmask_b32_e32 v95, 0, v95, vcc
	v_add_u32_e32 v1, v1, v95
	v_lshrrev_b32_e32 v95, 6, v2
	v_cmp_eq_u32_e32 vcc, v2, v30
	s_and_saveexec_b64 s[0:1], vcc
; %bb.338:
	v_lshlrev_b32_e32 v30, 2, v95
	ds_write_b32 v30, v1
; %bb.339:
	s_or_b64 exec, exec, s[0:1]
	v_cmp_gt_u32_e32 vcc, 8, v2
	v_lshlrev_b32_e32 v30, 2, v2
	s_waitcnt lgkmcnt(0)
	s_barrier
	s_and_saveexec_b64 s[0:1], vcc
	s_cbranch_execz .LBB993_341
; %bb.340:
	ds_read_b32 v96, v30
	v_and_b32_e32 v97, 7, v29
	v_cmp_ne_u32_e32 vcc, 0, v97
	s_waitcnt lgkmcnt(0)
	v_mov_b32_dpp v98, v96 row_shr:1 row_mask:0xf bank_mask:0xf
	v_cndmask_b32_e32 v98, 0, v98, vcc
	v_add_u32_e32 v96, v98, v96
	v_cmp_lt_u32_e32 vcc, 1, v97
	s_nop 0
	v_mov_b32_dpp v98, v96 row_shr:2 row_mask:0xf bank_mask:0xf
	v_cndmask_b32_e32 v98, 0, v98, vcc
	v_add_u32_e32 v96, v96, v98
	v_cmp_lt_u32_e32 vcc, 3, v97
	s_nop 0
	v_mov_b32_dpp v98, v96 row_shr:4 row_mask:0xf bank_mask:0xf
	v_cndmask_b32_e32 v97, 0, v98, vcc
	v_add_u32_e32 v96, v96, v97
	ds_write_b32 v30, v96
.LBB993_341:
	s_or_b64 exec, exec, s[0:1]
	v_cmp_gt_u32_e64 s[0:1], 64, v2
	v_cmp_lt_u32_e32 vcc, 63, v2
	v_mov_b32_e32 v96, 0
	s_waitcnt lgkmcnt(0)
	s_barrier
	s_and_saveexec_b64 s[2:3], vcc
; %bb.342:
	v_lshl_add_u32 v95, v95, 2, -4
	ds_read_b32 v96, v95
; %bb.343:
	s_or_b64 exec, exec, s[2:3]
	v_subrev_co_u32_e64 v95, s[2:3], 1, v29
	v_and_b32_e32 v97, 64, v29
	v_cmp_lt_i32_e64 s[4:5], v95, v97
	s_waitcnt lgkmcnt(0)
	v_add_u32_e32 v1, v96, v1
	v_cndmask_b32_e64 v29, v95, v29, s[4:5]
	v_lshlrev_b32_e32 v29, 2, v29
	ds_bpermute_b32 v1, v29, v1
                                        ; implicit-def: $vgpr29
	s_waitcnt lgkmcnt(0)
	v_cndmask_b32_e64 v1, v1, v96, s[2:3]
	v_cndmask_b32_e64 v96, v1, 0, s[94:95]
	v_add_u32_e32 v97, v96, v0
	ds_write_b64 v31, v[96:97] offset:32
	s_waitcnt lgkmcnt(0)
	s_barrier
	ds_read_b32 v0, v34 offset:32
	ds_read_b32 v1, v38 offset:32
	;; [unrolled: 1-line block ×22, first 2 shown]
                                        ; implicit-def: $vgpr31
	s_and_saveexec_b64 s[4:5], s[0:1]
	s_cbranch_execz .LBB993_347
; %bb.344:
	v_mul_u32_u24_e32 v29, 36, v2
	ds_read_b32 v29, v29 offset:32
	v_add_u32_e32 v37, 1, v2
	v_cmp_ne_u32_e64 s[2:3], 64, v37
	v_mov_b32_e32 v31, 0x2c00
	s_and_saveexec_b64 s[8:9], s[2:3]
; %bb.345:
	v_mul_u32_u24_e32 v31, 36, v37
	ds_read_b32 v31, v31 offset:32
; %bb.346:
	s_or_b64 exec, exec, s[8:9]
	s_waitcnt lgkmcnt(0)
	v_sub_u32_e32 v31, v31, v29
.LBB993_347:
	s_or_b64 exec, exec, s[4:5]
	s_waitcnt lgkmcnt(14)
	v_add_u32_e32 v62, v0, v32
	v_add3_u32 v59, v35, v33, v1
	v_add3_u32 v56, v39, v36, v34
	v_add3_u32 v53, v42, v40, v38
	v_add3_u32 v50, v45, v43, v41
	v_add3_u32 v48, v48, v46, v44
	v_add3_u32 v47, v51, v49, v47
	v_add3_u32 v46, v54, v52, v95
	v_lshlrev_b32_e32 v54, 1, v62
	v_lshlrev_b32_e32 v52, 1, v59
	v_lshlrev_b32_e32 v51, 1, v56
	v_lshlrev_b32_e32 v49, 1, v53
	s_waitcnt lgkmcnt(13)
	v_add3_u32 v45, v57, v55, v96
	s_waitcnt lgkmcnt(12)
	v_add3_u32 v44, v60, v58, v97
	s_waitcnt lgkmcnt(0)
	s_barrier
	ds_write_b16 v54, v3 offset:256
	ds_write_b16 v52, v28 offset:256
	;; [unrolled: 1-line block ×4, first 2 shown]
	v_lshlrev_b32_e32 v28, 1, v50
	v_lshlrev_b32_e32 v27, 1, v48
	;; [unrolled: 1-line block ×3, first 2 shown]
	v_add3_u32 v43, v63, v61, v65
	v_add3_u32 v42, v66, v64, v68
	;; [unrolled: 1-line block ×3, first 2 shown]
	ds_write_b16 v28, v25 offset:256
	ds_write_b16 v27, v24 offset:256
	;; [unrolled: 1-line block ×3, first 2 shown]
	v_lshlrev_b32_e32 v25, 1, v46
	v_lshlrev_b32_e32 v24, 1, v45
	v_lshlrev_b32_e32 v23, 1, v44
	v_add3_u32 v40, v72, v70, v74
	v_add3_u32 v39, v75, v73, v77
	;; [unrolled: 1-line block ×3, first 2 shown]
	ds_write_b16 v25, v22 offset:256
	ds_write_b16 v24, v21 offset:256
	;; [unrolled: 1-line block ×3, first 2 shown]
	v_lshlrev_b32_e32 v22, 1, v43
	v_lshlrev_b32_e32 v21, 1, v42
	;; [unrolled: 1-line block ×3, first 2 shown]
	v_add3_u32 v37, v81, v79, v83
	v_add3_u32 v36, v84, v82, v86
	ds_write_b16 v22, v19 offset:256
	ds_write_b16 v21, v18 offset:256
	;; [unrolled: 1-line block ×3, first 2 shown]
	v_lshlrev_b32_e32 v19, 1, v40
	v_lshlrev_b32_e32 v18, 1, v39
	;; [unrolled: 1-line block ×3, first 2 shown]
	v_add3_u32 v35, v87, v85, v89
	v_add3_u32 v34, v90, v88, v92
	;; [unrolled: 1-line block ×4, first 2 shown]
	ds_write_b16 v19, v16 offset:256
	ds_write_b16 v18, v14 offset:256
	;; [unrolled: 1-line block ×3, first 2 shown]
	v_lshlrev_b32_e32 v16, 1, v37
	v_lshlrev_b32_e32 v15, 1, v36
	ds_write_b16 v16, v13 offset:256
	ds_write_b16 v15, v12 offset:256
	v_lshlrev_b32_e32 v14, 1, v35
	v_lshlrev_b32_e32 v13, 1, v34
	;; [unrolled: 1-line block ×4, first 2 shown]
	v_mov_b32_e32 v1, 0
	ds_write_b16 v14, v11 offset:256
	ds_write_b16 v13, v10 offset:256
	;; [unrolled: 1-line block ×4, first 2 shown]
	s_and_saveexec_b64 s[2:3], s[0:1]
	s_cbranch_execz .LBB993_357
; %bb.348:
	v_lshl_add_u32 v0, s33, 6, v2
	v_lshl_add_u64 v[8:9], v[0:1], 2, s[6:7]
	v_or_b32_e32 v0, 2.0, v31
	s_mov_b64 s[4:5], 0
	s_brev_b32 s22, -4
	s_mov_b32 s23, s33
	v_mov_b32_e32 v5, 0
	global_store_dword v[8:9], v0, off sc1
                                        ; implicit-def: $sgpr0_sgpr1
	s_branch .LBB993_351
.LBB993_349:                            ;   in Loop: Header=BB993_351 Depth=1
	s_or_b64 exec, exec, s[18:19]
.LBB993_350:                            ;   in Loop: Header=BB993_351 Depth=1
	s_or_b64 exec, exec, s[8:9]
	v_and_b32_e32 v7, 0x3fffffff, v0
	v_add_u32_e32 v5, v7, v5
	v_cmp_gt_i32_e64 s[0:1], -2.0, v0
	s_and_b64 s[8:9], exec, s[0:1]
	s_or_b64 s[4:5], s[8:9], s[4:5]
	s_andn2_b64 exec, exec, s[4:5]
	s_cbranch_execz .LBB993_356
.LBB993_351:                            ; =>This Loop Header: Depth=1
                                        ;     Child Loop BB993_354 Depth 2
	s_or_b64 s[0:1], s[0:1], exec
	s_cmp_eq_u32 s23, 0
	s_cbranch_scc1 .LBB993_355
; %bb.352:                              ;   in Loop: Header=BB993_351 Depth=1
	s_add_i32 s23, s23, -1
	v_lshl_or_b32 v0, s23, 6, v2
	v_lshl_add_u64 v[10:11], v[0:1], 2, s[6:7]
	global_load_dword v0, v[10:11], off sc1
	s_waitcnt vmcnt(0)
	v_cmp_gt_u32_e64 s[0:1], 2.0, v0
	s_and_saveexec_b64 s[8:9], s[0:1]
	s_cbranch_execz .LBB993_350
; %bb.353:                              ;   in Loop: Header=BB993_351 Depth=1
	s_mov_b64 s[18:19], 0
.LBB993_354:                            ;   Parent Loop BB993_351 Depth=1
                                        ; =>  This Inner Loop Header: Depth=2
	global_load_dword v0, v[10:11], off sc1
	s_waitcnt vmcnt(0)
	v_cmp_lt_u32_e64 s[0:1], s22, v0
	s_or_b64 s[18:19], s[0:1], s[18:19]
	s_andn2_b64 exec, exec, s[18:19]
	s_cbranch_execnz .LBB993_354
	s_branch .LBB993_349
.LBB993_355:                            ;   in Loop: Header=BB993_351 Depth=1
                                        ; implicit-def: $sgpr23
	s_and_b64 s[8:9], exec, s[0:1]
	s_or_b64 s[4:5], s[8:9], s[4:5]
	s_andn2_b64 exec, exec, s[4:5]
	s_cbranch_execnz .LBB993_351
.LBB993_356:
	s_or_b64 exec, exec, s[4:5]
	v_add_u32_e32 v0, v5, v31
	v_or_b32_e32 v0, 0x80000000, v0
	v_readlane_b32 s4, v117, 0
	global_store_dword v[8:9], v0, off sc1
	v_readlane_b32 s5, v117, 1
	v_sub_u32_e32 v1, v5, v29
	v_readlane_b32 s6, v117, 2
	v_readlane_b32 s7, v117, 3
	s_nop 1
	global_load_dword v0, v30, s[4:5]
	s_waitcnt vmcnt(0)
	v_add_u32_e32 v0, v1, v0
	ds_write_b32 v30, v0
.LBB993_357:
	s_or_b64 exec, exec, s[2:3]
	v_lshlrev_b32_e32 v0, 1, v2
	v_sub_u32_e32 v5, v30, v0
	s_waitcnt lgkmcnt(0)
	s_barrier
	ds_read_u16 v7, v5 offset:10496
	ds_read_u16 v78, v5 offset:11520
	;; [unrolled: 1-line block ×12, first 2 shown]
	s_waitcnt lgkmcnt(8)
	v_lshrrev_b32_sdwa v1, s96, v82 dst_sel:DWORD dst_unused:UNUSED_PAD src0_sel:DWORD src1_sel:WORD_0
	s_waitcnt lgkmcnt(5)
	v_lshrrev_b32_sdwa v8, s96, v86 dst_sel:DWORD dst_unused:UNUSED_PAD src0_sel:DWORD src1_sel:WORD_0
	v_and_b32_e32 v1, s21, v1
	s_waitcnt lgkmcnt(3)
	v_lshrrev_b32_sdwa v9, s96, v100 dst_sel:DWORD dst_unused:UNUSED_PAD src0_sel:DWORD src1_sel:WORD_0
	v_and_b32_e32 v9, s21, v9
	v_lshlrev_b32_e32 v55, 2, v9
	s_waitcnt lgkmcnt(2)
	v_lshrrev_b32_sdwa v9, s96, v101 dst_sel:DWORD dst_unused:UNUSED_PAD src0_sel:DWORD src1_sel:WORD_0
	v_and_b32_e32 v9, s21, v9
	v_lshlrev_b32_e32 v11, 2, v9
	s_waitcnt lgkmcnt(1)
	v_lshrrev_b32_sdwa v9, s96, v102 dst_sel:DWORD dst_unused:UNUSED_PAD src0_sel:DWORD src1_sel:WORD_0
	v_and_b32_e32 v9, s21, v9
	v_lshlrev_b32_e32 v10, 2, v9
	s_waitcnt lgkmcnt(0)
	v_lshrrev_b32_sdwa v9, s96, v103 dst_sel:DWORD dst_unused:UNUSED_PAD src0_sel:DWORD src1_sel:WORD_0
	v_and_b32_e32 v8, s21, v8
	v_and_b32_e32 v9, s21, v9
	v_lshlrev_b32_e32 v1, 2, v1
	v_lshlrev_b32_e32 v8, 2, v8
	;; [unrolled: 1-line block ×3, first 2 shown]
	ds_read_u16 v57, v5 offset:256
	ds_read_u16 v58, v5 offset:1280
	ds_read_b32 v98, v1
	ds_read_b32 v99, v8
	ds_read_b32 v104, v55
	ds_read_b32 v105, v11
	ds_read_b32 v106, v10
	ds_read_b32 v107, v9
	s_waitcnt lgkmcnt(7)
	v_lshrrev_b32_sdwa v60, s96, v57 dst_sel:DWORD dst_unused:UNUSED_PAD src0_sel:DWORD src1_sel:WORD_0
	v_and_b32_e32 v60, s21, v60
	v_lshlrev_b32_e32 v95, 2, v60
	s_waitcnt lgkmcnt(6)
	v_lshrrev_b32_sdwa v60, s96, v58 dst_sel:DWORD dst_unused:UNUSED_PAD src0_sel:DWORD src1_sel:WORD_0
	v_and_b32_e32 v60, s21, v60
	v_lshlrev_b32_e32 v92, 2, v60
	ds_read_u16 v63, v5 offset:2304
	ds_read_u16 v64, v5 offset:3328
	;; [unrolled: 1-line block ×8, first 2 shown]
	s_waitcnt lgkmcnt(7)
	v_lshrrev_b32_sdwa v60, s96, v63 dst_sel:DWORD dst_unused:UNUSED_PAD src0_sel:DWORD src1_sel:WORD_0
	v_and_b32_e32 v60, s21, v60
	v_lshlrev_b32_e32 v94, 2, v60
	s_waitcnt lgkmcnt(6)
	v_lshrrev_b32_sdwa v60, s96, v64 dst_sel:DWORD dst_unused:UNUSED_PAD src0_sel:DWORD src1_sel:WORD_0
	v_and_b32_e32 v60, s21, v60
	v_lshlrev_b32_e32 v93, 2, v60
	;; [unrolled: 4-line block ×6, first 2 shown]
	ds_read_b32 v60, v95
	ds_read_b32 v66, v92
	;; [unrolled: 1-line block ×8, first 2 shown]
	s_waitcnt lgkmcnt(7)
	v_add_u32_e32 v96, v60, v2
	v_mov_b32_e32 v97, 0
	v_add_u32_e32 v65, 0x200, v2
	v_lshl_add_u64 v[60:61], v[96:97], 1, s[10:11]
	s_waitcnt lgkmcnt(6)
	v_add_u32_e32 v96, v66, v65
	global_store_short v[60:61], v57, off
	v_lshl_add_u64 v[60:61], v[96:97], 1, s[10:11]
	v_or_b32_e32 v66, 0x400, v2
	global_store_short v[60:61], v58, off
	s_waitcnt lgkmcnt(5)
	v_add_u32_e32 v96, v68, v66
	v_add_u32_e32 v58, 0x600, v2
	v_lshl_add_u64 v[60:61], v[96:97], 1, s[10:11]
	s_waitcnt lgkmcnt(4)
	v_add_u32_e32 v96, v69, v58
	global_store_short v[60:61], v63, off
	v_lshl_add_u64 v[60:61], v[96:97], 1, s[10:11]
	global_store_short v[60:61], v64, off
	v_or_b32_e32 v60, 0x800, v2
	s_waitcnt lgkmcnt(3)
	v_add_u32_e32 v96, v73, v60
	v_add_u32_e32 v61, 0xa00, v2
	v_lshl_add_u64 v[68:69], v[96:97], 1, s[10:11]
	s_waitcnt lgkmcnt(2)
	v_add_u32_e32 v96, v74, v61
	v_or_b32_e32 v63, 0xc00, v2
	global_store_short v[68:69], v67, off
	v_lshl_add_u64 v[68:69], v[96:97], 1, s[10:11]
	s_waitcnt lgkmcnt(1)
	v_add_u32_e32 v96, v76, v63
	v_add_u32_e32 v64, 0xe00, v2
	global_store_short v[68:69], v70, off
	v_lshl_add_u64 v[68:69], v[96:97], 1, s[10:11]
	s_waitcnt lgkmcnt(0)
	v_add_u32_e32 v96, v77, v64
	global_store_short v[68:69], v71, off
	v_lshl_add_u64 v[68:69], v[96:97], 1, s[10:11]
	v_lshrrev_b32_sdwa v67, s96, v75 dst_sel:DWORD dst_unused:UNUSED_PAD src0_sel:DWORD src1_sel:WORD_0
	global_store_short v[68:69], v72, off
	v_and_b32_e32 v67, s21, v67
	v_lshrrev_b32_sdwa v68, s96, v5 dst_sel:DWORD dst_unused:UNUSED_PAD src0_sel:DWORD src1_sel:WORD_0
	v_lshrrev_b32_sdwa v69, s96, v7 dst_sel:DWORD dst_unused:UNUSED_PAD src0_sel:DWORD src1_sel:WORD_0
	;; [unrolled: 1-line block ×7, first 2 shown]
	v_or_b32_e32 v57, 0x1000, v2
	v_lshlrev_b32_e32 v67, 2, v67
	v_and_b32_e32 v68, s21, v68
	v_and_b32_e32 v69, s21, v69
	;; [unrolled: 1-line block ×7, first 2 shown]
	v_lshlrev_b32_e32 v68, 2, v68
	v_lshlrev_b32_e32 v69, 2, v69
	;; [unrolled: 1-line block ×7, first 2 shown]
	ds_read_b32 v76, v67
	ds_read_b32 v79, v68
	;; [unrolled: 1-line block ×8, first 2 shown]
	s_waitcnt lgkmcnt(7)
	v_add_u32_e32 v96, v76, v57
	v_add_u32_e32 v83, 0x1200, v2
	v_lshl_add_u64 v[76:77], v[96:97], 1, s[10:11]
	s_waitcnt lgkmcnt(6)
	v_add_u32_e32 v96, v79, v83
	v_or_b32_e32 v87, 0x1400, v2
	global_store_short v[76:77], v75, off
	v_lshl_add_u64 v[76:77], v[96:97], 1, s[10:11]
	s_waitcnt lgkmcnt(5)
	v_add_u32_e32 v96, v108, v87
	v_add_u32_e32 v75, 0x1600, v2
	global_store_short v[76:77], v5, off
	v_lshl_add_u64 v[76:77], v[96:97], 1, s[10:11]
	s_waitcnt lgkmcnt(4)
	v_add_u32_e32 v96, v109, v75
	global_store_short v[76:77], v7, off
	v_lshl_add_u64 v[76:77], v[96:97], 1, s[10:11]
	global_store_short v[76:77], v78, off
	v_or_b32_e32 v76, 0x1800, v2
	s_waitcnt lgkmcnt(3)
	v_add_u32_e32 v96, v110, v76
	v_add_u32_e32 v77, 0x1a00, v2
	v_lshl_add_u64 v[78:79], v[96:97], 1, s[10:11]
	s_waitcnt lgkmcnt(2)
	v_add_u32_e32 v96, v111, v77
	global_store_short v[78:79], v80, off
	v_lshl_add_u64 v[78:79], v[96:97], 1, s[10:11]
	global_store_short v[78:79], v81, off
	v_or_b32_e32 v78, 0x1c00, v2
	s_waitcnt lgkmcnt(1)
	v_add_u32_e32 v96, v112, v78
	v_add_u32_e32 v79, 0x1e00, v2
	v_lshl_add_u64 v[80:81], v[96:97], 1, s[10:11]
	s_waitcnt lgkmcnt(0)
	v_add_u32_e32 v96, v113, v79
	global_store_short v[80:81], v84, off
	v_lshl_add_u64 v[80:81], v[96:97], 1, s[10:11]
	global_store_short v[80:81], v85, off
	v_or_b32_e32 v81, 0x2000, v2
	v_add_u32_e32 v96, v98, v81
	v_lshl_add_u64 v[84:85], v[96:97], 1, s[10:11]
	global_store_short v[84:85], v82, off
	v_add_u32_e32 v84, 0x2200, v2
	v_add_u32_e32 v96, v99, v84
	v_or_b32_e32 v85, 0x2400, v2
	v_lshl_add_u64 v[98:99], v[96:97], 1, s[10:11]
	v_add_u32_e32 v96, v104, v85
	v_add_u32_e32 v80, 0x2600, v2
	global_store_short v[98:99], v86, off
	v_lshl_add_u64 v[98:99], v[96:97], 1, s[10:11]
	v_add_u32_e32 v96, v105, v80
	v_or_b32_e32 v82, 0x2800, v2
	global_store_short v[98:99], v100, off
	v_lshl_add_u64 v[98:99], v[96:97], 1, s[10:11]
	v_add_u32_e32 v96, v106, v82
	v_add_u32_e32 v86, 0x2a00, v2
	s_add_u32 s0, s12, s16
	global_store_short v[98:99], v101, off
	v_lshl_add_u64 v[98:99], v[96:97], 1, s[10:11]
	v_add_u32_e32 v96, v107, v86
	s_addc_u32 s1, s13, s17
	v_mov_b32_e32 v5, v97
	global_store_short v[98:99], v102, off
	v_lshl_add_u64 v[98:99], v[96:97], 1, s[10:11]
	v_lshl_add_u64 v[4:5], s[0:1], 0, v[4:5]
	v_mov_b32_e32 v7, v97
	global_store_short v[98:99], v103, off
	v_lshl_add_u64 v[114:115], v[4:5], 0, v[6:7]
	global_load_ushort v113, v[114:115], off
	global_load_ushort v112, v[114:115], off offset:128
	global_load_ushort v111, v[114:115], off offset:256
	;; [unrolled: 1-line block ×21, first 2 shown]
	s_movk_i32 s4, 0x2c00
	v_cmp_gt_u32_e64 s[0:1], s4, v62
	s_barrier
	s_and_saveexec_b64 s[2:3], s[0:1]
	s_cbranch_execz .LBB993_384
; %bb.358:
	s_waitcnt vmcnt(21)
	ds_write_b16 v54, v113 offset:256
	s_or_b64 exec, exec, s[2:3]
	v_cmp_gt_u32_e64 s[0:1], s4, v59
	s_and_saveexec_b64 s[2:3], s[0:1]
	s_cbranch_execnz .LBB993_385
.LBB993_359:
	s_or_b64 exec, exec, s[2:3]
	v_cmp_gt_u32_e64 s[0:1], s4, v56
	s_and_saveexec_b64 s[2:3], s[0:1]
	s_cbranch_execz .LBB993_386
.LBB993_360:
	s_waitcnt vmcnt(19)
	ds_write_b16 v51, v111 offset:256
	s_or_b64 exec, exec, s[2:3]
	v_cmp_gt_u32_e64 s[0:1], s4, v53
	s_and_saveexec_b64 s[2:3], s[0:1]
	s_cbranch_execnz .LBB993_387
.LBB993_361:
	s_or_b64 exec, exec, s[2:3]
	v_cmp_gt_u32_e64 s[0:1], s4, v50
	s_and_saveexec_b64 s[2:3], s[0:1]
	s_cbranch_execz .LBB993_388
.LBB993_362:
	s_waitcnt vmcnt(17)
	ds_write_b16 v28, v109 offset:256
	s_or_b64 exec, exec, s[2:3]
	v_cmp_gt_u32_e64 s[0:1], s4, v48
	s_and_saveexec_b64 s[2:3], s[0:1]
	s_cbranch_execnz .LBB993_389
.LBB993_363:
	s_or_b64 exec, exec, s[2:3]
	v_cmp_gt_u32_e64 s[0:1], s4, v47
	s_and_saveexec_b64 s[2:3], s[0:1]
	s_cbranch_execz .LBB993_390
.LBB993_364:
	s_waitcnt vmcnt(15)
	ds_write_b16 v26, v107 offset:256
	s_or_b64 exec, exec, s[2:3]
	v_cmp_gt_u32_e64 s[0:1], s4, v46
	s_and_saveexec_b64 s[2:3], s[0:1]
	s_cbranch_execnz .LBB993_391
.LBB993_365:
	s_or_b64 exec, exec, s[2:3]
	v_cmp_gt_u32_e64 s[0:1], s4, v45
	s_and_saveexec_b64 s[2:3], s[0:1]
	s_cbranch_execz .LBB993_392
.LBB993_366:
	s_waitcnt vmcnt(13)
	ds_write_b16 v24, v105 offset:256
	s_or_b64 exec, exec, s[2:3]
	v_cmp_gt_u32_e64 s[0:1], s4, v44
	s_and_saveexec_b64 s[2:3], s[0:1]
	s_cbranch_execnz .LBB993_393
.LBB993_367:
	s_or_b64 exec, exec, s[2:3]
	v_cmp_gt_u32_e64 s[0:1], s4, v43
	s_and_saveexec_b64 s[2:3], s[0:1]
	s_cbranch_execz .LBB993_394
.LBB993_368:
	s_waitcnt vmcnt(11)
	ds_write_b16 v22, v103 offset:256
	s_or_b64 exec, exec, s[2:3]
	v_cmp_gt_u32_e64 s[0:1], s4, v42
	s_and_saveexec_b64 s[2:3], s[0:1]
	s_cbranch_execnz .LBB993_395
.LBB993_369:
	s_or_b64 exec, exec, s[2:3]
	v_cmp_gt_u32_e64 s[0:1], s4, v41
	s_and_saveexec_b64 s[2:3], s[0:1]
	s_cbranch_execz .LBB993_396
.LBB993_370:
	s_waitcnt vmcnt(9)
	ds_write_b16 v20, v101 offset:256
	s_or_b64 exec, exec, s[2:3]
	v_cmp_gt_u32_e64 s[0:1], s4, v40
	s_and_saveexec_b64 s[2:3], s[0:1]
	s_cbranch_execnz .LBB993_397
.LBB993_371:
	s_or_b64 exec, exec, s[2:3]
	v_cmp_gt_u32_e64 s[0:1], s4, v39
	s_and_saveexec_b64 s[2:3], s[0:1]
	s_cbranch_execz .LBB993_398
.LBB993_372:
	s_waitcnt vmcnt(7)
	ds_write_b16 v18, v99 offset:256
	s_or_b64 exec, exec, s[2:3]
	v_cmp_gt_u32_e64 s[0:1], s4, v38
	s_and_saveexec_b64 s[2:3], s[0:1]
	s_cbranch_execnz .LBB993_399
.LBB993_373:
	s_or_b64 exec, exec, s[2:3]
	v_cmp_gt_u32_e64 s[0:1], s4, v37
	s_and_saveexec_b64 s[2:3], s[0:1]
	s_cbranch_execz .LBB993_400
.LBB993_374:
	s_waitcnt vmcnt(5)
	ds_write_b16 v16, v97 offset:256
	s_or_b64 exec, exec, s[2:3]
	v_cmp_gt_u32_e64 s[0:1], s4, v36
	s_and_saveexec_b64 s[2:3], s[0:1]
	s_cbranch_execnz .LBB993_401
.LBB993_375:
	s_or_b64 exec, exec, s[2:3]
	v_cmp_gt_u32_e64 s[0:1], s4, v35
	s_and_saveexec_b64 s[2:3], s[0:1]
	s_cbranch_execz .LBB993_402
.LBB993_376:
	s_waitcnt vmcnt(3)
	ds_write_b16 v14, v7 offset:256
	s_or_b64 exec, exec, s[2:3]
	v_cmp_gt_u32_e64 s[0:1], s4, v34
	s_and_saveexec_b64 s[2:3], s[0:1]
	s_cbranch_execnz .LBB993_403
.LBB993_377:
	s_or_b64 exec, exec, s[2:3]
	v_cmp_gt_u32_e64 s[0:1], s4, v33
	s_and_saveexec_b64 s[2:3], s[0:1]
	s_cbranch_execz .LBB993_379
.LBB993_378:
	s_waitcnt vmcnt(1)
	ds_write_b16 v12, v5 offset:256
.LBB993_379:
	s_or_b64 exec, exec, s[2:3]
	v_sub_u32_e32 v0, 0, v0
	v_cmp_gt_u32_e64 s[0:1], s4, v32
	s_and_saveexec_b64 s[2:3], s[0:1]
	s_cbranch_execz .LBB993_381
; %bb.380:
	s_waitcnt vmcnt(0)
	ds_write_b16 v3, v4 offset:256
.LBB993_381:
	s_or_b64 exec, exec, s[2:3]
	s_waitcnt lgkmcnt(0)
	s_barrier
	s_waitcnt vmcnt(2)
	v_add_u32_e32 v6, v30, v0
	ds_read_b32 v0, v95
	ds_read_b32 v7, v92
	;; [unrolled: 1-line block ×8, first 2 shown]
	s_waitcnt lgkmcnt(7)
	v_add_u32_e32 v2, v0, v2
	v_mov_b32_e32 v3, 0
	s_waitcnt vmcnt(0)
	v_lshl_add_u64 v[4:5], v[2:3], 1, s[14:15]
	ds_read_u16 v0, v6 offset:256
	ds_read_u16 v18, v6 offset:1280
	ds_read_b32 v19, v1
	ds_read_b32 v8, v8
	;; [unrolled: 1-line block ×6, first 2 shown]
	s_waitcnt lgkmcnt(14)
	v_add_u32_e32 v2, v7, v65
	s_waitcnt lgkmcnt(7)
	global_store_short v[4:5], v0, off
	v_lshl_add_u64 v[0:1], v[2:3], 1, s[14:15]
	s_waitcnt lgkmcnt(6)
	global_store_short v[0:1], v18, off
	v_add_u32_e32 v2, v12, v66
	v_lshl_add_u64 v[0:1], v[2:3], 1, s[14:15]
	ds_read_u16 v2, v6 offset:2304
	ds_read_u16 v4, v6 offset:3328
	;; [unrolled: 1-line block ×8, first 2 shown]
	s_waitcnt lgkmcnt(7)
	global_store_short v[0:1], v2, off
	v_add_u32_e32 v2, v13, v58
	v_lshl_add_u64 v[0:1], v[2:3], 1, s[14:15]
	v_add_u32_e32 v2, v14, v60
	s_waitcnt lgkmcnt(6)
	global_store_short v[0:1], v4, off
	v_lshl_add_u64 v[0:1], v[2:3], 1, s[14:15]
	v_add_u32_e32 v2, v15, v61
	s_waitcnt lgkmcnt(5)
	global_store_short v[0:1], v5, off
	;; [unrolled: 4-line block ×4, first 2 shown]
	v_lshl_add_u64 v[0:1], v[2:3], 1, s[14:15]
	s_waitcnt lgkmcnt(2)
	global_store_short v[0:1], v18, off
	ds_read_b32 v0, v67
	ds_read_b32 v4, v68
	;; [unrolled: 1-line block ×8, first 2 shown]
	s_waitcnt lgkmcnt(7)
	v_add_u32_e32 v2, v0, v57
	v_lshl_add_u64 v[0:1], v[2:3], 1, s[14:15]
	s_waitcnt lgkmcnt(6)
	v_add_u32_e32 v2, v4, v83
	global_store_short v[0:1], v21, off
	v_lshl_add_u64 v[0:1], v[2:3], 1, s[14:15]
	global_store_short v[0:1], v22, off
	s_waitcnt lgkmcnt(5)
	v_add_u32_e32 v2, v5, v87
	v_lshl_add_u64 v[0:1], v[2:3], 1, s[14:15]
	ds_read_u16 v2, v6 offset:10496
	ds_read_u16 v4, v6 offset:11520
	ds_read_u16 v5, v6 offset:12544
	ds_read_u16 v16, v6 offset:13568
	ds_read_u16 v17, v6 offset:14592
	ds_read_u16 v18, v6 offset:15616
	ds_read_u16 v21, v6 offset:16640
	ds_read_u16 v22, v6 offset:17664
	s_waitcnt lgkmcnt(7)
	global_store_short v[0:1], v2, off
	v_add_u32_e32 v2, v7, v75
	v_lshl_add_u64 v[0:1], v[2:3], 1, s[14:15]
	v_add_u32_e32 v2, v12, v76
	s_waitcnt lgkmcnt(6)
	global_store_short v[0:1], v4, off
	v_lshl_add_u64 v[0:1], v[2:3], 1, s[14:15]
	v_add_u32_e32 v2, v13, v77
	s_waitcnt lgkmcnt(5)
	global_store_short v[0:1], v5, off
	;; [unrolled: 4-line block ×5, first 2 shown]
	v_lshl_add_u64 v[0:1], v[2:3], 1, s[14:15]
	v_add_u32_e32 v2, v8, v84
	ds_read_u16 v4, v6 offset:18688
	s_waitcnt lgkmcnt(2)
	global_store_short v[0:1], v21, off
	v_lshl_add_u64 v[0:1], v[2:3], 1, s[14:15]
	s_waitcnt lgkmcnt(1)
	global_store_short v[0:1], v22, off
	v_add_u32_e32 v2, v20, v85
	ds_read_u16 v5, v6 offset:19712
	ds_read_u16 v7, v6 offset:20736
	;; [unrolled: 1-line block ×3, first 2 shown]
	v_lshl_add_u64 v[0:1], v[2:3], 1, s[14:15]
	v_add_u32_e32 v2, v11, v80
	s_add_i32 s20, s20, -1
	s_waitcnt lgkmcnt(3)
	global_store_short v[0:1], v4, off
	v_lshl_add_u64 v[0:1], v[2:3], 1, s[14:15]
	v_add_u32_e32 v2, v10, v82
	s_cmp_eq_u32 s33, s20
	s_waitcnt lgkmcnt(2)
	global_store_short v[0:1], v5, off
	v_lshl_add_u64 v[0:1], v[2:3], 1, s[14:15]
	v_add_u32_e32 v2, v9, v86
	s_cselect_b64 s[0:1], -1, 0
	s_xor_b64 s[2:3], vcc, -1
	s_waitcnt lgkmcnt(1)
	global_store_short v[0:1], v7, off
	v_lshl_add_u64 v[0:1], v[2:3], 1, s[14:15]
	s_and_b64 s[0:1], s[2:3], s[0:1]
	s_waitcnt lgkmcnt(0)
	global_store_short v[0:1], v6, off
	s_and_saveexec_b64 s[2:3], s[0:1]
	s_cbranch_execz .LBB993_383
; %bb.382:
	ds_read_b32 v0, v30
	v_readlane_b32 s0, v117, 0
	v_readlane_b32 s2, v117, 2
	;; [unrolled: 1-line block ×4, first 2 shown]
	s_waitcnt lgkmcnt(0)
	v_add3_u32 v0, v29, v31, v0
	s_nop 1
	global_store_dword v30, v0, s[2:3]
.LBB993_383:
	s_endpgm
.LBB993_384:
	s_or_b64 exec, exec, s[2:3]
	v_cmp_gt_u32_e64 s[0:1], s4, v59
	s_and_saveexec_b64 s[2:3], s[0:1]
	s_cbranch_execz .LBB993_359
.LBB993_385:
	s_waitcnt vmcnt(20)
	ds_write_b16 v52, v112 offset:256
	s_or_b64 exec, exec, s[2:3]
	v_cmp_gt_u32_e64 s[0:1], s4, v56
	s_and_saveexec_b64 s[2:3], s[0:1]
	s_cbranch_execnz .LBB993_360
.LBB993_386:
	s_or_b64 exec, exec, s[2:3]
	v_cmp_gt_u32_e64 s[0:1], s4, v53
	s_and_saveexec_b64 s[2:3], s[0:1]
	s_cbranch_execz .LBB993_361
.LBB993_387:
	s_waitcnt vmcnt(18)
	ds_write_b16 v49, v110 offset:256
	s_or_b64 exec, exec, s[2:3]
	v_cmp_gt_u32_e64 s[0:1], s4, v50
	s_and_saveexec_b64 s[2:3], s[0:1]
	s_cbranch_execnz .LBB993_362
.LBB993_388:
	s_or_b64 exec, exec, s[2:3]
	v_cmp_gt_u32_e64 s[0:1], s4, v48
	s_and_saveexec_b64 s[2:3], s[0:1]
	s_cbranch_execz .LBB993_363
.LBB993_389:
	s_waitcnt vmcnt(16)
	ds_write_b16 v27, v108 offset:256
	s_or_b64 exec, exec, s[2:3]
	v_cmp_gt_u32_e64 s[0:1], s4, v47
	s_and_saveexec_b64 s[2:3], s[0:1]
	s_cbranch_execnz .LBB993_364
.LBB993_390:
	s_or_b64 exec, exec, s[2:3]
	v_cmp_gt_u32_e64 s[0:1], s4, v46
	s_and_saveexec_b64 s[2:3], s[0:1]
	s_cbranch_execz .LBB993_365
.LBB993_391:
	s_waitcnt vmcnt(14)
	ds_write_b16 v25, v106 offset:256
	s_or_b64 exec, exec, s[2:3]
	v_cmp_gt_u32_e64 s[0:1], s4, v45
	s_and_saveexec_b64 s[2:3], s[0:1]
	s_cbranch_execnz .LBB993_366
.LBB993_392:
	s_or_b64 exec, exec, s[2:3]
	v_cmp_gt_u32_e64 s[0:1], s4, v44
	s_and_saveexec_b64 s[2:3], s[0:1]
	s_cbranch_execz .LBB993_367
.LBB993_393:
	s_waitcnt vmcnt(12)
	ds_write_b16 v23, v104 offset:256
	s_or_b64 exec, exec, s[2:3]
	v_cmp_gt_u32_e64 s[0:1], s4, v43
	s_and_saveexec_b64 s[2:3], s[0:1]
	s_cbranch_execnz .LBB993_368
.LBB993_394:
	s_or_b64 exec, exec, s[2:3]
	v_cmp_gt_u32_e64 s[0:1], s4, v42
	s_and_saveexec_b64 s[2:3], s[0:1]
	s_cbranch_execz .LBB993_369
.LBB993_395:
	s_waitcnt vmcnt(10)
	ds_write_b16 v21, v102 offset:256
	s_or_b64 exec, exec, s[2:3]
	v_cmp_gt_u32_e64 s[0:1], s4, v41
	s_and_saveexec_b64 s[2:3], s[0:1]
	s_cbranch_execnz .LBB993_370
.LBB993_396:
	s_or_b64 exec, exec, s[2:3]
	v_cmp_gt_u32_e64 s[0:1], s4, v40
	s_and_saveexec_b64 s[2:3], s[0:1]
	s_cbranch_execz .LBB993_371
.LBB993_397:
	s_waitcnt vmcnt(8)
	ds_write_b16 v19, v100 offset:256
	s_or_b64 exec, exec, s[2:3]
	v_cmp_gt_u32_e64 s[0:1], s4, v39
	s_and_saveexec_b64 s[2:3], s[0:1]
	s_cbranch_execnz .LBB993_372
.LBB993_398:
	s_or_b64 exec, exec, s[2:3]
	v_cmp_gt_u32_e64 s[0:1], s4, v38
	s_and_saveexec_b64 s[2:3], s[0:1]
	s_cbranch_execz .LBB993_373
.LBB993_399:
	s_waitcnt vmcnt(6)
	ds_write_b16 v17, v98 offset:256
	s_or_b64 exec, exec, s[2:3]
	v_cmp_gt_u32_e64 s[0:1], s4, v37
	s_and_saveexec_b64 s[2:3], s[0:1]
	s_cbranch_execnz .LBB993_374
.LBB993_400:
	s_or_b64 exec, exec, s[2:3]
	v_cmp_gt_u32_e64 s[0:1], s4, v36
	s_and_saveexec_b64 s[2:3], s[0:1]
	s_cbranch_execz .LBB993_375
.LBB993_401:
	s_waitcnt vmcnt(4)
	ds_write_b16 v15, v96 offset:256
	s_or_b64 exec, exec, s[2:3]
	v_cmp_gt_u32_e64 s[0:1], s4, v35
	s_and_saveexec_b64 s[2:3], s[0:1]
	s_cbranch_execnz .LBB993_376
.LBB993_402:
	s_or_b64 exec, exec, s[2:3]
	v_cmp_gt_u32_e64 s[0:1], s4, v34
	s_and_saveexec_b64 s[2:3], s[0:1]
	s_cbranch_execz .LBB993_377
.LBB993_403:
	s_waitcnt vmcnt(2)
	ds_write_b16 v13, v6 offset:256
	s_or_b64 exec, exec, s[2:3]
	v_cmp_gt_u32_e64 s[0:1], s4, v33
	s_and_saveexec_b64 s[2:3], s[0:1]
	s_cbranch_execnz .LBB993_378
	s_branch .LBB993_379
	.section	.rodata,"a",@progbits
	.p2align	6, 0x0
	.amdhsa_kernel _ZN7rocprim17ROCPRIM_400000_NS6detail17trampoline_kernelINS0_14default_configENS1_35radix_sort_onesweep_config_selectorIttEEZZNS1_29radix_sort_onesweep_iterationIS3_Lb0EN6thrust23THRUST_200600_302600_NS6detail15normal_iteratorINS8_10device_ptrItEEEESD_SD_SD_jNS0_19identity_decomposerENS1_16block_id_wrapperIjLb1EEEEE10hipError_tT1_PNSt15iterator_traitsISI_E10value_typeET2_T3_PNSJ_ISO_E10value_typeET4_T5_PST_SU_PNS1_23onesweep_lookback_stateEbbT6_jjT7_P12ihipStream_tbENKUlT_T0_SI_SN_E_clIPtSD_S15_SD_EEDaS11_S12_SI_SN_EUlS11_E_NS1_11comp_targetILNS1_3genE6ELNS1_11target_archE950ELNS1_3gpuE13ELNS1_3repE0EEENS1_47radix_sort_onesweep_sort_config_static_selectorELNS0_4arch9wavefront6targetE1EEEvSI_
		.amdhsa_group_segment_fixed_size 22792
		.amdhsa_private_segment_fixed_size 0
		.amdhsa_kernarg_size 344
		.amdhsa_user_sgpr_count 2
		.amdhsa_user_sgpr_dispatch_ptr 0
		.amdhsa_user_sgpr_queue_ptr 0
		.amdhsa_user_sgpr_kernarg_segment_ptr 1
		.amdhsa_user_sgpr_dispatch_id 0
		.amdhsa_user_sgpr_kernarg_preload_length 0
		.amdhsa_user_sgpr_kernarg_preload_offset 0
		.amdhsa_user_sgpr_private_segment_size 0
		.amdhsa_uses_dynamic_stack 0
		.amdhsa_enable_private_segment 0
		.amdhsa_system_sgpr_workgroup_id_x 1
		.amdhsa_system_sgpr_workgroup_id_y 0
		.amdhsa_system_sgpr_workgroup_id_z 0
		.amdhsa_system_sgpr_workgroup_info 0
		.amdhsa_system_vgpr_workitem_id 2
		.amdhsa_next_free_vgpr 118
		.amdhsa_next_free_sgpr 100
		.amdhsa_accum_offset 120
		.amdhsa_reserve_vcc 1
		.amdhsa_float_round_mode_32 0
		.amdhsa_float_round_mode_16_64 0
		.amdhsa_float_denorm_mode_32 3
		.amdhsa_float_denorm_mode_16_64 3
		.amdhsa_dx10_clamp 1
		.amdhsa_ieee_mode 1
		.amdhsa_fp16_overflow 0
		.amdhsa_tg_split 0
		.amdhsa_exception_fp_ieee_invalid_op 0
		.amdhsa_exception_fp_denorm_src 0
		.amdhsa_exception_fp_ieee_div_zero 0
		.amdhsa_exception_fp_ieee_overflow 0
		.amdhsa_exception_fp_ieee_underflow 0
		.amdhsa_exception_fp_ieee_inexact 0
		.amdhsa_exception_int_div_zero 0
	.end_amdhsa_kernel
	.section	.text._ZN7rocprim17ROCPRIM_400000_NS6detail17trampoline_kernelINS0_14default_configENS1_35radix_sort_onesweep_config_selectorIttEEZZNS1_29radix_sort_onesweep_iterationIS3_Lb0EN6thrust23THRUST_200600_302600_NS6detail15normal_iteratorINS8_10device_ptrItEEEESD_SD_SD_jNS0_19identity_decomposerENS1_16block_id_wrapperIjLb1EEEEE10hipError_tT1_PNSt15iterator_traitsISI_E10value_typeET2_T3_PNSJ_ISO_E10value_typeET4_T5_PST_SU_PNS1_23onesweep_lookback_stateEbbT6_jjT7_P12ihipStream_tbENKUlT_T0_SI_SN_E_clIPtSD_S15_SD_EEDaS11_S12_SI_SN_EUlS11_E_NS1_11comp_targetILNS1_3genE6ELNS1_11target_archE950ELNS1_3gpuE13ELNS1_3repE0EEENS1_47radix_sort_onesweep_sort_config_static_selectorELNS0_4arch9wavefront6targetE1EEEvSI_,"axG",@progbits,_ZN7rocprim17ROCPRIM_400000_NS6detail17trampoline_kernelINS0_14default_configENS1_35radix_sort_onesweep_config_selectorIttEEZZNS1_29radix_sort_onesweep_iterationIS3_Lb0EN6thrust23THRUST_200600_302600_NS6detail15normal_iteratorINS8_10device_ptrItEEEESD_SD_SD_jNS0_19identity_decomposerENS1_16block_id_wrapperIjLb1EEEEE10hipError_tT1_PNSt15iterator_traitsISI_E10value_typeET2_T3_PNSJ_ISO_E10value_typeET4_T5_PST_SU_PNS1_23onesweep_lookback_stateEbbT6_jjT7_P12ihipStream_tbENKUlT_T0_SI_SN_E_clIPtSD_S15_SD_EEDaS11_S12_SI_SN_EUlS11_E_NS1_11comp_targetILNS1_3genE6ELNS1_11target_archE950ELNS1_3gpuE13ELNS1_3repE0EEENS1_47radix_sort_onesweep_sort_config_static_selectorELNS0_4arch9wavefront6targetE1EEEvSI_,comdat
.Lfunc_end993:
	.size	_ZN7rocprim17ROCPRIM_400000_NS6detail17trampoline_kernelINS0_14default_configENS1_35radix_sort_onesweep_config_selectorIttEEZZNS1_29radix_sort_onesweep_iterationIS3_Lb0EN6thrust23THRUST_200600_302600_NS6detail15normal_iteratorINS8_10device_ptrItEEEESD_SD_SD_jNS0_19identity_decomposerENS1_16block_id_wrapperIjLb1EEEEE10hipError_tT1_PNSt15iterator_traitsISI_E10value_typeET2_T3_PNSJ_ISO_E10value_typeET4_T5_PST_SU_PNS1_23onesweep_lookback_stateEbbT6_jjT7_P12ihipStream_tbENKUlT_T0_SI_SN_E_clIPtSD_S15_SD_EEDaS11_S12_SI_SN_EUlS11_E_NS1_11comp_targetILNS1_3genE6ELNS1_11target_archE950ELNS1_3gpuE13ELNS1_3repE0EEENS1_47radix_sort_onesweep_sort_config_static_selectorELNS0_4arch9wavefront6targetE1EEEvSI_, .Lfunc_end993-_ZN7rocprim17ROCPRIM_400000_NS6detail17trampoline_kernelINS0_14default_configENS1_35radix_sort_onesweep_config_selectorIttEEZZNS1_29radix_sort_onesweep_iterationIS3_Lb0EN6thrust23THRUST_200600_302600_NS6detail15normal_iteratorINS8_10device_ptrItEEEESD_SD_SD_jNS0_19identity_decomposerENS1_16block_id_wrapperIjLb1EEEEE10hipError_tT1_PNSt15iterator_traitsISI_E10value_typeET2_T3_PNSJ_ISO_E10value_typeET4_T5_PST_SU_PNS1_23onesweep_lookback_stateEbbT6_jjT7_P12ihipStream_tbENKUlT_T0_SI_SN_E_clIPtSD_S15_SD_EEDaS11_S12_SI_SN_EUlS11_E_NS1_11comp_targetILNS1_3genE6ELNS1_11target_archE950ELNS1_3gpuE13ELNS1_3repE0EEENS1_47radix_sort_onesweep_sort_config_static_selectorELNS0_4arch9wavefront6targetE1EEEvSI_
                                        ; -- End function
	.set _ZN7rocprim17ROCPRIM_400000_NS6detail17trampoline_kernelINS0_14default_configENS1_35radix_sort_onesweep_config_selectorIttEEZZNS1_29radix_sort_onesweep_iterationIS3_Lb0EN6thrust23THRUST_200600_302600_NS6detail15normal_iteratorINS8_10device_ptrItEEEESD_SD_SD_jNS0_19identity_decomposerENS1_16block_id_wrapperIjLb1EEEEE10hipError_tT1_PNSt15iterator_traitsISI_E10value_typeET2_T3_PNSJ_ISO_E10value_typeET4_T5_PST_SU_PNS1_23onesweep_lookback_stateEbbT6_jjT7_P12ihipStream_tbENKUlT_T0_SI_SN_E_clIPtSD_S15_SD_EEDaS11_S12_SI_SN_EUlS11_E_NS1_11comp_targetILNS1_3genE6ELNS1_11target_archE950ELNS1_3gpuE13ELNS1_3repE0EEENS1_47radix_sort_onesweep_sort_config_static_selectorELNS0_4arch9wavefront6targetE1EEEvSI_.num_vgpr, 118
	.set _ZN7rocprim17ROCPRIM_400000_NS6detail17trampoline_kernelINS0_14default_configENS1_35radix_sort_onesweep_config_selectorIttEEZZNS1_29radix_sort_onesweep_iterationIS3_Lb0EN6thrust23THRUST_200600_302600_NS6detail15normal_iteratorINS8_10device_ptrItEEEESD_SD_SD_jNS0_19identity_decomposerENS1_16block_id_wrapperIjLb1EEEEE10hipError_tT1_PNSt15iterator_traitsISI_E10value_typeET2_T3_PNSJ_ISO_E10value_typeET4_T5_PST_SU_PNS1_23onesweep_lookback_stateEbbT6_jjT7_P12ihipStream_tbENKUlT_T0_SI_SN_E_clIPtSD_S15_SD_EEDaS11_S12_SI_SN_EUlS11_E_NS1_11comp_targetILNS1_3genE6ELNS1_11target_archE950ELNS1_3gpuE13ELNS1_3repE0EEENS1_47radix_sort_onesweep_sort_config_static_selectorELNS0_4arch9wavefront6targetE1EEEvSI_.num_agpr, 0
	.set _ZN7rocprim17ROCPRIM_400000_NS6detail17trampoline_kernelINS0_14default_configENS1_35radix_sort_onesweep_config_selectorIttEEZZNS1_29radix_sort_onesweep_iterationIS3_Lb0EN6thrust23THRUST_200600_302600_NS6detail15normal_iteratorINS8_10device_ptrItEEEESD_SD_SD_jNS0_19identity_decomposerENS1_16block_id_wrapperIjLb1EEEEE10hipError_tT1_PNSt15iterator_traitsISI_E10value_typeET2_T3_PNSJ_ISO_E10value_typeET4_T5_PST_SU_PNS1_23onesweep_lookback_stateEbbT6_jjT7_P12ihipStream_tbENKUlT_T0_SI_SN_E_clIPtSD_S15_SD_EEDaS11_S12_SI_SN_EUlS11_E_NS1_11comp_targetILNS1_3genE6ELNS1_11target_archE950ELNS1_3gpuE13ELNS1_3repE0EEENS1_47radix_sort_onesweep_sort_config_static_selectorELNS0_4arch9wavefront6targetE1EEEvSI_.numbered_sgpr, 100
	.set _ZN7rocprim17ROCPRIM_400000_NS6detail17trampoline_kernelINS0_14default_configENS1_35radix_sort_onesweep_config_selectorIttEEZZNS1_29radix_sort_onesweep_iterationIS3_Lb0EN6thrust23THRUST_200600_302600_NS6detail15normal_iteratorINS8_10device_ptrItEEEESD_SD_SD_jNS0_19identity_decomposerENS1_16block_id_wrapperIjLb1EEEEE10hipError_tT1_PNSt15iterator_traitsISI_E10value_typeET2_T3_PNSJ_ISO_E10value_typeET4_T5_PST_SU_PNS1_23onesweep_lookback_stateEbbT6_jjT7_P12ihipStream_tbENKUlT_T0_SI_SN_E_clIPtSD_S15_SD_EEDaS11_S12_SI_SN_EUlS11_E_NS1_11comp_targetILNS1_3genE6ELNS1_11target_archE950ELNS1_3gpuE13ELNS1_3repE0EEENS1_47radix_sort_onesweep_sort_config_static_selectorELNS0_4arch9wavefront6targetE1EEEvSI_.num_named_barrier, 0
	.set _ZN7rocprim17ROCPRIM_400000_NS6detail17trampoline_kernelINS0_14default_configENS1_35radix_sort_onesweep_config_selectorIttEEZZNS1_29radix_sort_onesweep_iterationIS3_Lb0EN6thrust23THRUST_200600_302600_NS6detail15normal_iteratorINS8_10device_ptrItEEEESD_SD_SD_jNS0_19identity_decomposerENS1_16block_id_wrapperIjLb1EEEEE10hipError_tT1_PNSt15iterator_traitsISI_E10value_typeET2_T3_PNSJ_ISO_E10value_typeET4_T5_PST_SU_PNS1_23onesweep_lookback_stateEbbT6_jjT7_P12ihipStream_tbENKUlT_T0_SI_SN_E_clIPtSD_S15_SD_EEDaS11_S12_SI_SN_EUlS11_E_NS1_11comp_targetILNS1_3genE6ELNS1_11target_archE950ELNS1_3gpuE13ELNS1_3repE0EEENS1_47radix_sort_onesweep_sort_config_static_selectorELNS0_4arch9wavefront6targetE1EEEvSI_.private_seg_size, 0
	.set _ZN7rocprim17ROCPRIM_400000_NS6detail17trampoline_kernelINS0_14default_configENS1_35radix_sort_onesweep_config_selectorIttEEZZNS1_29radix_sort_onesweep_iterationIS3_Lb0EN6thrust23THRUST_200600_302600_NS6detail15normal_iteratorINS8_10device_ptrItEEEESD_SD_SD_jNS0_19identity_decomposerENS1_16block_id_wrapperIjLb1EEEEE10hipError_tT1_PNSt15iterator_traitsISI_E10value_typeET2_T3_PNSJ_ISO_E10value_typeET4_T5_PST_SU_PNS1_23onesweep_lookback_stateEbbT6_jjT7_P12ihipStream_tbENKUlT_T0_SI_SN_E_clIPtSD_S15_SD_EEDaS11_S12_SI_SN_EUlS11_E_NS1_11comp_targetILNS1_3genE6ELNS1_11target_archE950ELNS1_3gpuE13ELNS1_3repE0EEENS1_47radix_sort_onesweep_sort_config_static_selectorELNS0_4arch9wavefront6targetE1EEEvSI_.uses_vcc, 1
	.set _ZN7rocprim17ROCPRIM_400000_NS6detail17trampoline_kernelINS0_14default_configENS1_35radix_sort_onesweep_config_selectorIttEEZZNS1_29radix_sort_onesweep_iterationIS3_Lb0EN6thrust23THRUST_200600_302600_NS6detail15normal_iteratorINS8_10device_ptrItEEEESD_SD_SD_jNS0_19identity_decomposerENS1_16block_id_wrapperIjLb1EEEEE10hipError_tT1_PNSt15iterator_traitsISI_E10value_typeET2_T3_PNSJ_ISO_E10value_typeET4_T5_PST_SU_PNS1_23onesweep_lookback_stateEbbT6_jjT7_P12ihipStream_tbENKUlT_T0_SI_SN_E_clIPtSD_S15_SD_EEDaS11_S12_SI_SN_EUlS11_E_NS1_11comp_targetILNS1_3genE6ELNS1_11target_archE950ELNS1_3gpuE13ELNS1_3repE0EEENS1_47radix_sort_onesweep_sort_config_static_selectorELNS0_4arch9wavefront6targetE1EEEvSI_.uses_flat_scratch, 0
	.set _ZN7rocprim17ROCPRIM_400000_NS6detail17trampoline_kernelINS0_14default_configENS1_35radix_sort_onesweep_config_selectorIttEEZZNS1_29radix_sort_onesweep_iterationIS3_Lb0EN6thrust23THRUST_200600_302600_NS6detail15normal_iteratorINS8_10device_ptrItEEEESD_SD_SD_jNS0_19identity_decomposerENS1_16block_id_wrapperIjLb1EEEEE10hipError_tT1_PNSt15iterator_traitsISI_E10value_typeET2_T3_PNSJ_ISO_E10value_typeET4_T5_PST_SU_PNS1_23onesweep_lookback_stateEbbT6_jjT7_P12ihipStream_tbENKUlT_T0_SI_SN_E_clIPtSD_S15_SD_EEDaS11_S12_SI_SN_EUlS11_E_NS1_11comp_targetILNS1_3genE6ELNS1_11target_archE950ELNS1_3gpuE13ELNS1_3repE0EEENS1_47radix_sort_onesweep_sort_config_static_selectorELNS0_4arch9wavefront6targetE1EEEvSI_.has_dyn_sized_stack, 0
	.set _ZN7rocprim17ROCPRIM_400000_NS6detail17trampoline_kernelINS0_14default_configENS1_35radix_sort_onesweep_config_selectorIttEEZZNS1_29radix_sort_onesweep_iterationIS3_Lb0EN6thrust23THRUST_200600_302600_NS6detail15normal_iteratorINS8_10device_ptrItEEEESD_SD_SD_jNS0_19identity_decomposerENS1_16block_id_wrapperIjLb1EEEEE10hipError_tT1_PNSt15iterator_traitsISI_E10value_typeET2_T3_PNSJ_ISO_E10value_typeET4_T5_PST_SU_PNS1_23onesweep_lookback_stateEbbT6_jjT7_P12ihipStream_tbENKUlT_T0_SI_SN_E_clIPtSD_S15_SD_EEDaS11_S12_SI_SN_EUlS11_E_NS1_11comp_targetILNS1_3genE6ELNS1_11target_archE950ELNS1_3gpuE13ELNS1_3repE0EEENS1_47radix_sort_onesweep_sort_config_static_selectorELNS0_4arch9wavefront6targetE1EEEvSI_.has_recursion, 0
	.set _ZN7rocprim17ROCPRIM_400000_NS6detail17trampoline_kernelINS0_14default_configENS1_35radix_sort_onesweep_config_selectorIttEEZZNS1_29radix_sort_onesweep_iterationIS3_Lb0EN6thrust23THRUST_200600_302600_NS6detail15normal_iteratorINS8_10device_ptrItEEEESD_SD_SD_jNS0_19identity_decomposerENS1_16block_id_wrapperIjLb1EEEEE10hipError_tT1_PNSt15iterator_traitsISI_E10value_typeET2_T3_PNSJ_ISO_E10value_typeET4_T5_PST_SU_PNS1_23onesweep_lookback_stateEbbT6_jjT7_P12ihipStream_tbENKUlT_T0_SI_SN_E_clIPtSD_S15_SD_EEDaS11_S12_SI_SN_EUlS11_E_NS1_11comp_targetILNS1_3genE6ELNS1_11target_archE950ELNS1_3gpuE13ELNS1_3repE0EEENS1_47radix_sort_onesweep_sort_config_static_selectorELNS0_4arch9wavefront6targetE1EEEvSI_.has_indirect_call, 0
	.section	.AMDGPU.csdata,"",@progbits
; Kernel info:
; codeLenInByte = 30272
; TotalNumSgprs: 106
; NumVgprs: 118
; NumAgprs: 0
; TotalNumVgprs: 118
; ScratchSize: 0
; MemoryBound: 0
; FloatMode: 240
; IeeeMode: 1
; LDSByteSize: 22792 bytes/workgroup (compile time only)
; SGPRBlocks: 13
; VGPRBlocks: 14
; NumSGPRsForWavesPerEU: 106
; NumVGPRsForWavesPerEU: 118
; AccumOffset: 120
; Occupancy: 4
; WaveLimiterHint : 1
; COMPUTE_PGM_RSRC2:SCRATCH_EN: 0
; COMPUTE_PGM_RSRC2:USER_SGPR: 2
; COMPUTE_PGM_RSRC2:TRAP_HANDLER: 0
; COMPUTE_PGM_RSRC2:TGID_X_EN: 1
; COMPUTE_PGM_RSRC2:TGID_Y_EN: 0
; COMPUTE_PGM_RSRC2:TGID_Z_EN: 0
; COMPUTE_PGM_RSRC2:TIDIG_COMP_CNT: 2
; COMPUTE_PGM_RSRC3_GFX90A:ACCUM_OFFSET: 29
; COMPUTE_PGM_RSRC3_GFX90A:TG_SPLIT: 0
	.section	.text._ZN7rocprim17ROCPRIM_400000_NS6detail17trampoline_kernelINS0_14default_configENS1_35radix_sort_onesweep_config_selectorIttEEZZNS1_29radix_sort_onesweep_iterationIS3_Lb0EN6thrust23THRUST_200600_302600_NS6detail15normal_iteratorINS8_10device_ptrItEEEESD_SD_SD_jNS0_19identity_decomposerENS1_16block_id_wrapperIjLb1EEEEE10hipError_tT1_PNSt15iterator_traitsISI_E10value_typeET2_T3_PNSJ_ISO_E10value_typeET4_T5_PST_SU_PNS1_23onesweep_lookback_stateEbbT6_jjT7_P12ihipStream_tbENKUlT_T0_SI_SN_E_clIPtSD_S15_SD_EEDaS11_S12_SI_SN_EUlS11_E_NS1_11comp_targetILNS1_3genE5ELNS1_11target_archE942ELNS1_3gpuE9ELNS1_3repE0EEENS1_47radix_sort_onesweep_sort_config_static_selectorELNS0_4arch9wavefront6targetE1EEEvSI_,"axG",@progbits,_ZN7rocprim17ROCPRIM_400000_NS6detail17trampoline_kernelINS0_14default_configENS1_35radix_sort_onesweep_config_selectorIttEEZZNS1_29radix_sort_onesweep_iterationIS3_Lb0EN6thrust23THRUST_200600_302600_NS6detail15normal_iteratorINS8_10device_ptrItEEEESD_SD_SD_jNS0_19identity_decomposerENS1_16block_id_wrapperIjLb1EEEEE10hipError_tT1_PNSt15iterator_traitsISI_E10value_typeET2_T3_PNSJ_ISO_E10value_typeET4_T5_PST_SU_PNS1_23onesweep_lookback_stateEbbT6_jjT7_P12ihipStream_tbENKUlT_T0_SI_SN_E_clIPtSD_S15_SD_EEDaS11_S12_SI_SN_EUlS11_E_NS1_11comp_targetILNS1_3genE5ELNS1_11target_archE942ELNS1_3gpuE9ELNS1_3repE0EEENS1_47radix_sort_onesweep_sort_config_static_selectorELNS0_4arch9wavefront6targetE1EEEvSI_,comdat
	.protected	_ZN7rocprim17ROCPRIM_400000_NS6detail17trampoline_kernelINS0_14default_configENS1_35radix_sort_onesweep_config_selectorIttEEZZNS1_29radix_sort_onesweep_iterationIS3_Lb0EN6thrust23THRUST_200600_302600_NS6detail15normal_iteratorINS8_10device_ptrItEEEESD_SD_SD_jNS0_19identity_decomposerENS1_16block_id_wrapperIjLb1EEEEE10hipError_tT1_PNSt15iterator_traitsISI_E10value_typeET2_T3_PNSJ_ISO_E10value_typeET4_T5_PST_SU_PNS1_23onesweep_lookback_stateEbbT6_jjT7_P12ihipStream_tbENKUlT_T0_SI_SN_E_clIPtSD_S15_SD_EEDaS11_S12_SI_SN_EUlS11_E_NS1_11comp_targetILNS1_3genE5ELNS1_11target_archE942ELNS1_3gpuE9ELNS1_3repE0EEENS1_47radix_sort_onesweep_sort_config_static_selectorELNS0_4arch9wavefront6targetE1EEEvSI_ ; -- Begin function _ZN7rocprim17ROCPRIM_400000_NS6detail17trampoline_kernelINS0_14default_configENS1_35radix_sort_onesweep_config_selectorIttEEZZNS1_29radix_sort_onesweep_iterationIS3_Lb0EN6thrust23THRUST_200600_302600_NS6detail15normal_iteratorINS8_10device_ptrItEEEESD_SD_SD_jNS0_19identity_decomposerENS1_16block_id_wrapperIjLb1EEEEE10hipError_tT1_PNSt15iterator_traitsISI_E10value_typeET2_T3_PNSJ_ISO_E10value_typeET4_T5_PST_SU_PNS1_23onesweep_lookback_stateEbbT6_jjT7_P12ihipStream_tbENKUlT_T0_SI_SN_E_clIPtSD_S15_SD_EEDaS11_S12_SI_SN_EUlS11_E_NS1_11comp_targetILNS1_3genE5ELNS1_11target_archE942ELNS1_3gpuE9ELNS1_3repE0EEENS1_47radix_sort_onesweep_sort_config_static_selectorELNS0_4arch9wavefront6targetE1EEEvSI_
	.globl	_ZN7rocprim17ROCPRIM_400000_NS6detail17trampoline_kernelINS0_14default_configENS1_35radix_sort_onesweep_config_selectorIttEEZZNS1_29radix_sort_onesweep_iterationIS3_Lb0EN6thrust23THRUST_200600_302600_NS6detail15normal_iteratorINS8_10device_ptrItEEEESD_SD_SD_jNS0_19identity_decomposerENS1_16block_id_wrapperIjLb1EEEEE10hipError_tT1_PNSt15iterator_traitsISI_E10value_typeET2_T3_PNSJ_ISO_E10value_typeET4_T5_PST_SU_PNS1_23onesweep_lookback_stateEbbT6_jjT7_P12ihipStream_tbENKUlT_T0_SI_SN_E_clIPtSD_S15_SD_EEDaS11_S12_SI_SN_EUlS11_E_NS1_11comp_targetILNS1_3genE5ELNS1_11target_archE942ELNS1_3gpuE9ELNS1_3repE0EEENS1_47radix_sort_onesweep_sort_config_static_selectorELNS0_4arch9wavefront6targetE1EEEvSI_
	.p2align	8
	.type	_ZN7rocprim17ROCPRIM_400000_NS6detail17trampoline_kernelINS0_14default_configENS1_35radix_sort_onesweep_config_selectorIttEEZZNS1_29radix_sort_onesweep_iterationIS3_Lb0EN6thrust23THRUST_200600_302600_NS6detail15normal_iteratorINS8_10device_ptrItEEEESD_SD_SD_jNS0_19identity_decomposerENS1_16block_id_wrapperIjLb1EEEEE10hipError_tT1_PNSt15iterator_traitsISI_E10value_typeET2_T3_PNSJ_ISO_E10value_typeET4_T5_PST_SU_PNS1_23onesweep_lookback_stateEbbT6_jjT7_P12ihipStream_tbENKUlT_T0_SI_SN_E_clIPtSD_S15_SD_EEDaS11_S12_SI_SN_EUlS11_E_NS1_11comp_targetILNS1_3genE5ELNS1_11target_archE942ELNS1_3gpuE9ELNS1_3repE0EEENS1_47radix_sort_onesweep_sort_config_static_selectorELNS0_4arch9wavefront6targetE1EEEvSI_,@function
_ZN7rocprim17ROCPRIM_400000_NS6detail17trampoline_kernelINS0_14default_configENS1_35radix_sort_onesweep_config_selectorIttEEZZNS1_29radix_sort_onesweep_iterationIS3_Lb0EN6thrust23THRUST_200600_302600_NS6detail15normal_iteratorINS8_10device_ptrItEEEESD_SD_SD_jNS0_19identity_decomposerENS1_16block_id_wrapperIjLb1EEEEE10hipError_tT1_PNSt15iterator_traitsISI_E10value_typeET2_T3_PNSJ_ISO_E10value_typeET4_T5_PST_SU_PNS1_23onesweep_lookback_stateEbbT6_jjT7_P12ihipStream_tbENKUlT_T0_SI_SN_E_clIPtSD_S15_SD_EEDaS11_S12_SI_SN_EUlS11_E_NS1_11comp_targetILNS1_3genE5ELNS1_11target_archE942ELNS1_3gpuE9ELNS1_3repE0EEENS1_47radix_sort_onesweep_sort_config_static_selectorELNS0_4arch9wavefront6targetE1EEEvSI_: ; @_ZN7rocprim17ROCPRIM_400000_NS6detail17trampoline_kernelINS0_14default_configENS1_35radix_sort_onesweep_config_selectorIttEEZZNS1_29radix_sort_onesweep_iterationIS3_Lb0EN6thrust23THRUST_200600_302600_NS6detail15normal_iteratorINS8_10device_ptrItEEEESD_SD_SD_jNS0_19identity_decomposerENS1_16block_id_wrapperIjLb1EEEEE10hipError_tT1_PNSt15iterator_traitsISI_E10value_typeET2_T3_PNSJ_ISO_E10value_typeET4_T5_PST_SU_PNS1_23onesweep_lookback_stateEbbT6_jjT7_P12ihipStream_tbENKUlT_T0_SI_SN_E_clIPtSD_S15_SD_EEDaS11_S12_SI_SN_EUlS11_E_NS1_11comp_targetILNS1_3genE5ELNS1_11target_archE942ELNS1_3gpuE9ELNS1_3repE0EEENS1_47radix_sort_onesweep_sort_config_static_selectorELNS0_4arch9wavefront6targetE1EEEvSI_
; %bb.0:
	.section	.rodata,"a",@progbits
	.p2align	6, 0x0
	.amdhsa_kernel _ZN7rocprim17ROCPRIM_400000_NS6detail17trampoline_kernelINS0_14default_configENS1_35radix_sort_onesweep_config_selectorIttEEZZNS1_29radix_sort_onesweep_iterationIS3_Lb0EN6thrust23THRUST_200600_302600_NS6detail15normal_iteratorINS8_10device_ptrItEEEESD_SD_SD_jNS0_19identity_decomposerENS1_16block_id_wrapperIjLb1EEEEE10hipError_tT1_PNSt15iterator_traitsISI_E10value_typeET2_T3_PNSJ_ISO_E10value_typeET4_T5_PST_SU_PNS1_23onesweep_lookback_stateEbbT6_jjT7_P12ihipStream_tbENKUlT_T0_SI_SN_E_clIPtSD_S15_SD_EEDaS11_S12_SI_SN_EUlS11_E_NS1_11comp_targetILNS1_3genE5ELNS1_11target_archE942ELNS1_3gpuE9ELNS1_3repE0EEENS1_47radix_sort_onesweep_sort_config_static_selectorELNS0_4arch9wavefront6targetE1EEEvSI_
		.amdhsa_group_segment_fixed_size 0
		.amdhsa_private_segment_fixed_size 0
		.amdhsa_kernarg_size 88
		.amdhsa_user_sgpr_count 2
		.amdhsa_user_sgpr_dispatch_ptr 0
		.amdhsa_user_sgpr_queue_ptr 0
		.amdhsa_user_sgpr_kernarg_segment_ptr 1
		.amdhsa_user_sgpr_dispatch_id 0
		.amdhsa_user_sgpr_kernarg_preload_length 0
		.amdhsa_user_sgpr_kernarg_preload_offset 0
		.amdhsa_user_sgpr_private_segment_size 0
		.amdhsa_uses_dynamic_stack 0
		.amdhsa_enable_private_segment 0
		.amdhsa_system_sgpr_workgroup_id_x 1
		.amdhsa_system_sgpr_workgroup_id_y 0
		.amdhsa_system_sgpr_workgroup_id_z 0
		.amdhsa_system_sgpr_workgroup_info 0
		.amdhsa_system_vgpr_workitem_id 0
		.amdhsa_next_free_vgpr 1
		.amdhsa_next_free_sgpr 0
		.amdhsa_accum_offset 4
		.amdhsa_reserve_vcc 0
		.amdhsa_float_round_mode_32 0
		.amdhsa_float_round_mode_16_64 0
		.amdhsa_float_denorm_mode_32 3
		.amdhsa_float_denorm_mode_16_64 3
		.amdhsa_dx10_clamp 1
		.amdhsa_ieee_mode 1
		.amdhsa_fp16_overflow 0
		.amdhsa_tg_split 0
		.amdhsa_exception_fp_ieee_invalid_op 0
		.amdhsa_exception_fp_denorm_src 0
		.amdhsa_exception_fp_ieee_div_zero 0
		.amdhsa_exception_fp_ieee_overflow 0
		.amdhsa_exception_fp_ieee_underflow 0
		.amdhsa_exception_fp_ieee_inexact 0
		.amdhsa_exception_int_div_zero 0
	.end_amdhsa_kernel
	.section	.text._ZN7rocprim17ROCPRIM_400000_NS6detail17trampoline_kernelINS0_14default_configENS1_35radix_sort_onesweep_config_selectorIttEEZZNS1_29radix_sort_onesweep_iterationIS3_Lb0EN6thrust23THRUST_200600_302600_NS6detail15normal_iteratorINS8_10device_ptrItEEEESD_SD_SD_jNS0_19identity_decomposerENS1_16block_id_wrapperIjLb1EEEEE10hipError_tT1_PNSt15iterator_traitsISI_E10value_typeET2_T3_PNSJ_ISO_E10value_typeET4_T5_PST_SU_PNS1_23onesweep_lookback_stateEbbT6_jjT7_P12ihipStream_tbENKUlT_T0_SI_SN_E_clIPtSD_S15_SD_EEDaS11_S12_SI_SN_EUlS11_E_NS1_11comp_targetILNS1_3genE5ELNS1_11target_archE942ELNS1_3gpuE9ELNS1_3repE0EEENS1_47radix_sort_onesweep_sort_config_static_selectorELNS0_4arch9wavefront6targetE1EEEvSI_,"axG",@progbits,_ZN7rocprim17ROCPRIM_400000_NS6detail17trampoline_kernelINS0_14default_configENS1_35radix_sort_onesweep_config_selectorIttEEZZNS1_29radix_sort_onesweep_iterationIS3_Lb0EN6thrust23THRUST_200600_302600_NS6detail15normal_iteratorINS8_10device_ptrItEEEESD_SD_SD_jNS0_19identity_decomposerENS1_16block_id_wrapperIjLb1EEEEE10hipError_tT1_PNSt15iterator_traitsISI_E10value_typeET2_T3_PNSJ_ISO_E10value_typeET4_T5_PST_SU_PNS1_23onesweep_lookback_stateEbbT6_jjT7_P12ihipStream_tbENKUlT_T0_SI_SN_E_clIPtSD_S15_SD_EEDaS11_S12_SI_SN_EUlS11_E_NS1_11comp_targetILNS1_3genE5ELNS1_11target_archE942ELNS1_3gpuE9ELNS1_3repE0EEENS1_47radix_sort_onesweep_sort_config_static_selectorELNS0_4arch9wavefront6targetE1EEEvSI_,comdat
.Lfunc_end994:
	.size	_ZN7rocprim17ROCPRIM_400000_NS6detail17trampoline_kernelINS0_14default_configENS1_35radix_sort_onesweep_config_selectorIttEEZZNS1_29radix_sort_onesweep_iterationIS3_Lb0EN6thrust23THRUST_200600_302600_NS6detail15normal_iteratorINS8_10device_ptrItEEEESD_SD_SD_jNS0_19identity_decomposerENS1_16block_id_wrapperIjLb1EEEEE10hipError_tT1_PNSt15iterator_traitsISI_E10value_typeET2_T3_PNSJ_ISO_E10value_typeET4_T5_PST_SU_PNS1_23onesweep_lookback_stateEbbT6_jjT7_P12ihipStream_tbENKUlT_T0_SI_SN_E_clIPtSD_S15_SD_EEDaS11_S12_SI_SN_EUlS11_E_NS1_11comp_targetILNS1_3genE5ELNS1_11target_archE942ELNS1_3gpuE9ELNS1_3repE0EEENS1_47radix_sort_onesweep_sort_config_static_selectorELNS0_4arch9wavefront6targetE1EEEvSI_, .Lfunc_end994-_ZN7rocprim17ROCPRIM_400000_NS6detail17trampoline_kernelINS0_14default_configENS1_35radix_sort_onesweep_config_selectorIttEEZZNS1_29radix_sort_onesweep_iterationIS3_Lb0EN6thrust23THRUST_200600_302600_NS6detail15normal_iteratorINS8_10device_ptrItEEEESD_SD_SD_jNS0_19identity_decomposerENS1_16block_id_wrapperIjLb1EEEEE10hipError_tT1_PNSt15iterator_traitsISI_E10value_typeET2_T3_PNSJ_ISO_E10value_typeET4_T5_PST_SU_PNS1_23onesweep_lookback_stateEbbT6_jjT7_P12ihipStream_tbENKUlT_T0_SI_SN_E_clIPtSD_S15_SD_EEDaS11_S12_SI_SN_EUlS11_E_NS1_11comp_targetILNS1_3genE5ELNS1_11target_archE942ELNS1_3gpuE9ELNS1_3repE0EEENS1_47radix_sort_onesweep_sort_config_static_selectorELNS0_4arch9wavefront6targetE1EEEvSI_
                                        ; -- End function
	.set _ZN7rocprim17ROCPRIM_400000_NS6detail17trampoline_kernelINS0_14default_configENS1_35radix_sort_onesweep_config_selectorIttEEZZNS1_29radix_sort_onesweep_iterationIS3_Lb0EN6thrust23THRUST_200600_302600_NS6detail15normal_iteratorINS8_10device_ptrItEEEESD_SD_SD_jNS0_19identity_decomposerENS1_16block_id_wrapperIjLb1EEEEE10hipError_tT1_PNSt15iterator_traitsISI_E10value_typeET2_T3_PNSJ_ISO_E10value_typeET4_T5_PST_SU_PNS1_23onesweep_lookback_stateEbbT6_jjT7_P12ihipStream_tbENKUlT_T0_SI_SN_E_clIPtSD_S15_SD_EEDaS11_S12_SI_SN_EUlS11_E_NS1_11comp_targetILNS1_3genE5ELNS1_11target_archE942ELNS1_3gpuE9ELNS1_3repE0EEENS1_47radix_sort_onesweep_sort_config_static_selectorELNS0_4arch9wavefront6targetE1EEEvSI_.num_vgpr, 0
	.set _ZN7rocprim17ROCPRIM_400000_NS6detail17trampoline_kernelINS0_14default_configENS1_35radix_sort_onesweep_config_selectorIttEEZZNS1_29radix_sort_onesweep_iterationIS3_Lb0EN6thrust23THRUST_200600_302600_NS6detail15normal_iteratorINS8_10device_ptrItEEEESD_SD_SD_jNS0_19identity_decomposerENS1_16block_id_wrapperIjLb1EEEEE10hipError_tT1_PNSt15iterator_traitsISI_E10value_typeET2_T3_PNSJ_ISO_E10value_typeET4_T5_PST_SU_PNS1_23onesweep_lookback_stateEbbT6_jjT7_P12ihipStream_tbENKUlT_T0_SI_SN_E_clIPtSD_S15_SD_EEDaS11_S12_SI_SN_EUlS11_E_NS1_11comp_targetILNS1_3genE5ELNS1_11target_archE942ELNS1_3gpuE9ELNS1_3repE0EEENS1_47radix_sort_onesweep_sort_config_static_selectorELNS0_4arch9wavefront6targetE1EEEvSI_.num_agpr, 0
	.set _ZN7rocprim17ROCPRIM_400000_NS6detail17trampoline_kernelINS0_14default_configENS1_35radix_sort_onesweep_config_selectorIttEEZZNS1_29radix_sort_onesweep_iterationIS3_Lb0EN6thrust23THRUST_200600_302600_NS6detail15normal_iteratorINS8_10device_ptrItEEEESD_SD_SD_jNS0_19identity_decomposerENS1_16block_id_wrapperIjLb1EEEEE10hipError_tT1_PNSt15iterator_traitsISI_E10value_typeET2_T3_PNSJ_ISO_E10value_typeET4_T5_PST_SU_PNS1_23onesweep_lookback_stateEbbT6_jjT7_P12ihipStream_tbENKUlT_T0_SI_SN_E_clIPtSD_S15_SD_EEDaS11_S12_SI_SN_EUlS11_E_NS1_11comp_targetILNS1_3genE5ELNS1_11target_archE942ELNS1_3gpuE9ELNS1_3repE0EEENS1_47radix_sort_onesweep_sort_config_static_selectorELNS0_4arch9wavefront6targetE1EEEvSI_.numbered_sgpr, 0
	.set _ZN7rocprim17ROCPRIM_400000_NS6detail17trampoline_kernelINS0_14default_configENS1_35radix_sort_onesweep_config_selectorIttEEZZNS1_29radix_sort_onesweep_iterationIS3_Lb0EN6thrust23THRUST_200600_302600_NS6detail15normal_iteratorINS8_10device_ptrItEEEESD_SD_SD_jNS0_19identity_decomposerENS1_16block_id_wrapperIjLb1EEEEE10hipError_tT1_PNSt15iterator_traitsISI_E10value_typeET2_T3_PNSJ_ISO_E10value_typeET4_T5_PST_SU_PNS1_23onesweep_lookback_stateEbbT6_jjT7_P12ihipStream_tbENKUlT_T0_SI_SN_E_clIPtSD_S15_SD_EEDaS11_S12_SI_SN_EUlS11_E_NS1_11comp_targetILNS1_3genE5ELNS1_11target_archE942ELNS1_3gpuE9ELNS1_3repE0EEENS1_47radix_sort_onesweep_sort_config_static_selectorELNS0_4arch9wavefront6targetE1EEEvSI_.num_named_barrier, 0
	.set _ZN7rocprim17ROCPRIM_400000_NS6detail17trampoline_kernelINS0_14default_configENS1_35radix_sort_onesweep_config_selectorIttEEZZNS1_29radix_sort_onesweep_iterationIS3_Lb0EN6thrust23THRUST_200600_302600_NS6detail15normal_iteratorINS8_10device_ptrItEEEESD_SD_SD_jNS0_19identity_decomposerENS1_16block_id_wrapperIjLb1EEEEE10hipError_tT1_PNSt15iterator_traitsISI_E10value_typeET2_T3_PNSJ_ISO_E10value_typeET4_T5_PST_SU_PNS1_23onesweep_lookback_stateEbbT6_jjT7_P12ihipStream_tbENKUlT_T0_SI_SN_E_clIPtSD_S15_SD_EEDaS11_S12_SI_SN_EUlS11_E_NS1_11comp_targetILNS1_3genE5ELNS1_11target_archE942ELNS1_3gpuE9ELNS1_3repE0EEENS1_47radix_sort_onesweep_sort_config_static_selectorELNS0_4arch9wavefront6targetE1EEEvSI_.private_seg_size, 0
	.set _ZN7rocprim17ROCPRIM_400000_NS6detail17trampoline_kernelINS0_14default_configENS1_35radix_sort_onesweep_config_selectorIttEEZZNS1_29radix_sort_onesweep_iterationIS3_Lb0EN6thrust23THRUST_200600_302600_NS6detail15normal_iteratorINS8_10device_ptrItEEEESD_SD_SD_jNS0_19identity_decomposerENS1_16block_id_wrapperIjLb1EEEEE10hipError_tT1_PNSt15iterator_traitsISI_E10value_typeET2_T3_PNSJ_ISO_E10value_typeET4_T5_PST_SU_PNS1_23onesweep_lookback_stateEbbT6_jjT7_P12ihipStream_tbENKUlT_T0_SI_SN_E_clIPtSD_S15_SD_EEDaS11_S12_SI_SN_EUlS11_E_NS1_11comp_targetILNS1_3genE5ELNS1_11target_archE942ELNS1_3gpuE9ELNS1_3repE0EEENS1_47radix_sort_onesweep_sort_config_static_selectorELNS0_4arch9wavefront6targetE1EEEvSI_.uses_vcc, 0
	.set _ZN7rocprim17ROCPRIM_400000_NS6detail17trampoline_kernelINS0_14default_configENS1_35radix_sort_onesweep_config_selectorIttEEZZNS1_29radix_sort_onesweep_iterationIS3_Lb0EN6thrust23THRUST_200600_302600_NS6detail15normal_iteratorINS8_10device_ptrItEEEESD_SD_SD_jNS0_19identity_decomposerENS1_16block_id_wrapperIjLb1EEEEE10hipError_tT1_PNSt15iterator_traitsISI_E10value_typeET2_T3_PNSJ_ISO_E10value_typeET4_T5_PST_SU_PNS1_23onesweep_lookback_stateEbbT6_jjT7_P12ihipStream_tbENKUlT_T0_SI_SN_E_clIPtSD_S15_SD_EEDaS11_S12_SI_SN_EUlS11_E_NS1_11comp_targetILNS1_3genE5ELNS1_11target_archE942ELNS1_3gpuE9ELNS1_3repE0EEENS1_47radix_sort_onesweep_sort_config_static_selectorELNS0_4arch9wavefront6targetE1EEEvSI_.uses_flat_scratch, 0
	.set _ZN7rocprim17ROCPRIM_400000_NS6detail17trampoline_kernelINS0_14default_configENS1_35radix_sort_onesweep_config_selectorIttEEZZNS1_29radix_sort_onesweep_iterationIS3_Lb0EN6thrust23THRUST_200600_302600_NS6detail15normal_iteratorINS8_10device_ptrItEEEESD_SD_SD_jNS0_19identity_decomposerENS1_16block_id_wrapperIjLb1EEEEE10hipError_tT1_PNSt15iterator_traitsISI_E10value_typeET2_T3_PNSJ_ISO_E10value_typeET4_T5_PST_SU_PNS1_23onesweep_lookback_stateEbbT6_jjT7_P12ihipStream_tbENKUlT_T0_SI_SN_E_clIPtSD_S15_SD_EEDaS11_S12_SI_SN_EUlS11_E_NS1_11comp_targetILNS1_3genE5ELNS1_11target_archE942ELNS1_3gpuE9ELNS1_3repE0EEENS1_47radix_sort_onesweep_sort_config_static_selectorELNS0_4arch9wavefront6targetE1EEEvSI_.has_dyn_sized_stack, 0
	.set _ZN7rocprim17ROCPRIM_400000_NS6detail17trampoline_kernelINS0_14default_configENS1_35radix_sort_onesweep_config_selectorIttEEZZNS1_29radix_sort_onesweep_iterationIS3_Lb0EN6thrust23THRUST_200600_302600_NS6detail15normal_iteratorINS8_10device_ptrItEEEESD_SD_SD_jNS0_19identity_decomposerENS1_16block_id_wrapperIjLb1EEEEE10hipError_tT1_PNSt15iterator_traitsISI_E10value_typeET2_T3_PNSJ_ISO_E10value_typeET4_T5_PST_SU_PNS1_23onesweep_lookback_stateEbbT6_jjT7_P12ihipStream_tbENKUlT_T0_SI_SN_E_clIPtSD_S15_SD_EEDaS11_S12_SI_SN_EUlS11_E_NS1_11comp_targetILNS1_3genE5ELNS1_11target_archE942ELNS1_3gpuE9ELNS1_3repE0EEENS1_47radix_sort_onesweep_sort_config_static_selectorELNS0_4arch9wavefront6targetE1EEEvSI_.has_recursion, 0
	.set _ZN7rocprim17ROCPRIM_400000_NS6detail17trampoline_kernelINS0_14default_configENS1_35radix_sort_onesweep_config_selectorIttEEZZNS1_29radix_sort_onesweep_iterationIS3_Lb0EN6thrust23THRUST_200600_302600_NS6detail15normal_iteratorINS8_10device_ptrItEEEESD_SD_SD_jNS0_19identity_decomposerENS1_16block_id_wrapperIjLb1EEEEE10hipError_tT1_PNSt15iterator_traitsISI_E10value_typeET2_T3_PNSJ_ISO_E10value_typeET4_T5_PST_SU_PNS1_23onesweep_lookback_stateEbbT6_jjT7_P12ihipStream_tbENKUlT_T0_SI_SN_E_clIPtSD_S15_SD_EEDaS11_S12_SI_SN_EUlS11_E_NS1_11comp_targetILNS1_3genE5ELNS1_11target_archE942ELNS1_3gpuE9ELNS1_3repE0EEENS1_47radix_sort_onesweep_sort_config_static_selectorELNS0_4arch9wavefront6targetE1EEEvSI_.has_indirect_call, 0
	.section	.AMDGPU.csdata,"",@progbits
; Kernel info:
; codeLenInByte = 0
; TotalNumSgprs: 6
; NumVgprs: 0
; NumAgprs: 0
; TotalNumVgprs: 0
; ScratchSize: 0
; MemoryBound: 0
; FloatMode: 240
; IeeeMode: 1
; LDSByteSize: 0 bytes/workgroup (compile time only)
; SGPRBlocks: 0
; VGPRBlocks: 0
; NumSGPRsForWavesPerEU: 6
; NumVGPRsForWavesPerEU: 1
; AccumOffset: 4
; Occupancy: 8
; WaveLimiterHint : 0
; COMPUTE_PGM_RSRC2:SCRATCH_EN: 0
; COMPUTE_PGM_RSRC2:USER_SGPR: 2
; COMPUTE_PGM_RSRC2:TRAP_HANDLER: 0
; COMPUTE_PGM_RSRC2:TGID_X_EN: 1
; COMPUTE_PGM_RSRC2:TGID_Y_EN: 0
; COMPUTE_PGM_RSRC2:TGID_Z_EN: 0
; COMPUTE_PGM_RSRC2:TIDIG_COMP_CNT: 0
; COMPUTE_PGM_RSRC3_GFX90A:ACCUM_OFFSET: 0
; COMPUTE_PGM_RSRC3_GFX90A:TG_SPLIT: 0
	.section	.text._ZN7rocprim17ROCPRIM_400000_NS6detail17trampoline_kernelINS0_14default_configENS1_35radix_sort_onesweep_config_selectorIttEEZZNS1_29radix_sort_onesweep_iterationIS3_Lb0EN6thrust23THRUST_200600_302600_NS6detail15normal_iteratorINS8_10device_ptrItEEEESD_SD_SD_jNS0_19identity_decomposerENS1_16block_id_wrapperIjLb1EEEEE10hipError_tT1_PNSt15iterator_traitsISI_E10value_typeET2_T3_PNSJ_ISO_E10value_typeET4_T5_PST_SU_PNS1_23onesweep_lookback_stateEbbT6_jjT7_P12ihipStream_tbENKUlT_T0_SI_SN_E_clIPtSD_S15_SD_EEDaS11_S12_SI_SN_EUlS11_E_NS1_11comp_targetILNS1_3genE2ELNS1_11target_archE906ELNS1_3gpuE6ELNS1_3repE0EEENS1_47radix_sort_onesweep_sort_config_static_selectorELNS0_4arch9wavefront6targetE1EEEvSI_,"axG",@progbits,_ZN7rocprim17ROCPRIM_400000_NS6detail17trampoline_kernelINS0_14default_configENS1_35radix_sort_onesweep_config_selectorIttEEZZNS1_29radix_sort_onesweep_iterationIS3_Lb0EN6thrust23THRUST_200600_302600_NS6detail15normal_iteratorINS8_10device_ptrItEEEESD_SD_SD_jNS0_19identity_decomposerENS1_16block_id_wrapperIjLb1EEEEE10hipError_tT1_PNSt15iterator_traitsISI_E10value_typeET2_T3_PNSJ_ISO_E10value_typeET4_T5_PST_SU_PNS1_23onesweep_lookback_stateEbbT6_jjT7_P12ihipStream_tbENKUlT_T0_SI_SN_E_clIPtSD_S15_SD_EEDaS11_S12_SI_SN_EUlS11_E_NS1_11comp_targetILNS1_3genE2ELNS1_11target_archE906ELNS1_3gpuE6ELNS1_3repE0EEENS1_47radix_sort_onesweep_sort_config_static_selectorELNS0_4arch9wavefront6targetE1EEEvSI_,comdat
	.protected	_ZN7rocprim17ROCPRIM_400000_NS6detail17trampoline_kernelINS0_14default_configENS1_35radix_sort_onesweep_config_selectorIttEEZZNS1_29radix_sort_onesweep_iterationIS3_Lb0EN6thrust23THRUST_200600_302600_NS6detail15normal_iteratorINS8_10device_ptrItEEEESD_SD_SD_jNS0_19identity_decomposerENS1_16block_id_wrapperIjLb1EEEEE10hipError_tT1_PNSt15iterator_traitsISI_E10value_typeET2_T3_PNSJ_ISO_E10value_typeET4_T5_PST_SU_PNS1_23onesweep_lookback_stateEbbT6_jjT7_P12ihipStream_tbENKUlT_T0_SI_SN_E_clIPtSD_S15_SD_EEDaS11_S12_SI_SN_EUlS11_E_NS1_11comp_targetILNS1_3genE2ELNS1_11target_archE906ELNS1_3gpuE6ELNS1_3repE0EEENS1_47radix_sort_onesweep_sort_config_static_selectorELNS0_4arch9wavefront6targetE1EEEvSI_ ; -- Begin function _ZN7rocprim17ROCPRIM_400000_NS6detail17trampoline_kernelINS0_14default_configENS1_35radix_sort_onesweep_config_selectorIttEEZZNS1_29radix_sort_onesweep_iterationIS3_Lb0EN6thrust23THRUST_200600_302600_NS6detail15normal_iteratorINS8_10device_ptrItEEEESD_SD_SD_jNS0_19identity_decomposerENS1_16block_id_wrapperIjLb1EEEEE10hipError_tT1_PNSt15iterator_traitsISI_E10value_typeET2_T3_PNSJ_ISO_E10value_typeET4_T5_PST_SU_PNS1_23onesweep_lookback_stateEbbT6_jjT7_P12ihipStream_tbENKUlT_T0_SI_SN_E_clIPtSD_S15_SD_EEDaS11_S12_SI_SN_EUlS11_E_NS1_11comp_targetILNS1_3genE2ELNS1_11target_archE906ELNS1_3gpuE6ELNS1_3repE0EEENS1_47radix_sort_onesweep_sort_config_static_selectorELNS0_4arch9wavefront6targetE1EEEvSI_
	.globl	_ZN7rocprim17ROCPRIM_400000_NS6detail17trampoline_kernelINS0_14default_configENS1_35radix_sort_onesweep_config_selectorIttEEZZNS1_29radix_sort_onesweep_iterationIS3_Lb0EN6thrust23THRUST_200600_302600_NS6detail15normal_iteratorINS8_10device_ptrItEEEESD_SD_SD_jNS0_19identity_decomposerENS1_16block_id_wrapperIjLb1EEEEE10hipError_tT1_PNSt15iterator_traitsISI_E10value_typeET2_T3_PNSJ_ISO_E10value_typeET4_T5_PST_SU_PNS1_23onesweep_lookback_stateEbbT6_jjT7_P12ihipStream_tbENKUlT_T0_SI_SN_E_clIPtSD_S15_SD_EEDaS11_S12_SI_SN_EUlS11_E_NS1_11comp_targetILNS1_3genE2ELNS1_11target_archE906ELNS1_3gpuE6ELNS1_3repE0EEENS1_47radix_sort_onesweep_sort_config_static_selectorELNS0_4arch9wavefront6targetE1EEEvSI_
	.p2align	8
	.type	_ZN7rocprim17ROCPRIM_400000_NS6detail17trampoline_kernelINS0_14default_configENS1_35radix_sort_onesweep_config_selectorIttEEZZNS1_29radix_sort_onesweep_iterationIS3_Lb0EN6thrust23THRUST_200600_302600_NS6detail15normal_iteratorINS8_10device_ptrItEEEESD_SD_SD_jNS0_19identity_decomposerENS1_16block_id_wrapperIjLb1EEEEE10hipError_tT1_PNSt15iterator_traitsISI_E10value_typeET2_T3_PNSJ_ISO_E10value_typeET4_T5_PST_SU_PNS1_23onesweep_lookback_stateEbbT6_jjT7_P12ihipStream_tbENKUlT_T0_SI_SN_E_clIPtSD_S15_SD_EEDaS11_S12_SI_SN_EUlS11_E_NS1_11comp_targetILNS1_3genE2ELNS1_11target_archE906ELNS1_3gpuE6ELNS1_3repE0EEENS1_47radix_sort_onesweep_sort_config_static_selectorELNS0_4arch9wavefront6targetE1EEEvSI_,@function
_ZN7rocprim17ROCPRIM_400000_NS6detail17trampoline_kernelINS0_14default_configENS1_35radix_sort_onesweep_config_selectorIttEEZZNS1_29radix_sort_onesweep_iterationIS3_Lb0EN6thrust23THRUST_200600_302600_NS6detail15normal_iteratorINS8_10device_ptrItEEEESD_SD_SD_jNS0_19identity_decomposerENS1_16block_id_wrapperIjLb1EEEEE10hipError_tT1_PNSt15iterator_traitsISI_E10value_typeET2_T3_PNSJ_ISO_E10value_typeET4_T5_PST_SU_PNS1_23onesweep_lookback_stateEbbT6_jjT7_P12ihipStream_tbENKUlT_T0_SI_SN_E_clIPtSD_S15_SD_EEDaS11_S12_SI_SN_EUlS11_E_NS1_11comp_targetILNS1_3genE2ELNS1_11target_archE906ELNS1_3gpuE6ELNS1_3repE0EEENS1_47radix_sort_onesweep_sort_config_static_selectorELNS0_4arch9wavefront6targetE1EEEvSI_: ; @_ZN7rocprim17ROCPRIM_400000_NS6detail17trampoline_kernelINS0_14default_configENS1_35radix_sort_onesweep_config_selectorIttEEZZNS1_29radix_sort_onesweep_iterationIS3_Lb0EN6thrust23THRUST_200600_302600_NS6detail15normal_iteratorINS8_10device_ptrItEEEESD_SD_SD_jNS0_19identity_decomposerENS1_16block_id_wrapperIjLb1EEEEE10hipError_tT1_PNSt15iterator_traitsISI_E10value_typeET2_T3_PNSJ_ISO_E10value_typeET4_T5_PST_SU_PNS1_23onesweep_lookback_stateEbbT6_jjT7_P12ihipStream_tbENKUlT_T0_SI_SN_E_clIPtSD_S15_SD_EEDaS11_S12_SI_SN_EUlS11_E_NS1_11comp_targetILNS1_3genE2ELNS1_11target_archE906ELNS1_3gpuE6ELNS1_3repE0EEENS1_47radix_sort_onesweep_sort_config_static_selectorELNS0_4arch9wavefront6targetE1EEEvSI_
; %bb.0:
	.section	.rodata,"a",@progbits
	.p2align	6, 0x0
	.amdhsa_kernel _ZN7rocprim17ROCPRIM_400000_NS6detail17trampoline_kernelINS0_14default_configENS1_35radix_sort_onesweep_config_selectorIttEEZZNS1_29radix_sort_onesweep_iterationIS3_Lb0EN6thrust23THRUST_200600_302600_NS6detail15normal_iteratorINS8_10device_ptrItEEEESD_SD_SD_jNS0_19identity_decomposerENS1_16block_id_wrapperIjLb1EEEEE10hipError_tT1_PNSt15iterator_traitsISI_E10value_typeET2_T3_PNSJ_ISO_E10value_typeET4_T5_PST_SU_PNS1_23onesweep_lookback_stateEbbT6_jjT7_P12ihipStream_tbENKUlT_T0_SI_SN_E_clIPtSD_S15_SD_EEDaS11_S12_SI_SN_EUlS11_E_NS1_11comp_targetILNS1_3genE2ELNS1_11target_archE906ELNS1_3gpuE6ELNS1_3repE0EEENS1_47radix_sort_onesweep_sort_config_static_selectorELNS0_4arch9wavefront6targetE1EEEvSI_
		.amdhsa_group_segment_fixed_size 0
		.amdhsa_private_segment_fixed_size 0
		.amdhsa_kernarg_size 88
		.amdhsa_user_sgpr_count 2
		.amdhsa_user_sgpr_dispatch_ptr 0
		.amdhsa_user_sgpr_queue_ptr 0
		.amdhsa_user_sgpr_kernarg_segment_ptr 1
		.amdhsa_user_sgpr_dispatch_id 0
		.amdhsa_user_sgpr_kernarg_preload_length 0
		.amdhsa_user_sgpr_kernarg_preload_offset 0
		.amdhsa_user_sgpr_private_segment_size 0
		.amdhsa_uses_dynamic_stack 0
		.amdhsa_enable_private_segment 0
		.amdhsa_system_sgpr_workgroup_id_x 1
		.amdhsa_system_sgpr_workgroup_id_y 0
		.amdhsa_system_sgpr_workgroup_id_z 0
		.amdhsa_system_sgpr_workgroup_info 0
		.amdhsa_system_vgpr_workitem_id 0
		.amdhsa_next_free_vgpr 1
		.amdhsa_next_free_sgpr 0
		.amdhsa_accum_offset 4
		.amdhsa_reserve_vcc 0
		.amdhsa_float_round_mode_32 0
		.amdhsa_float_round_mode_16_64 0
		.amdhsa_float_denorm_mode_32 3
		.amdhsa_float_denorm_mode_16_64 3
		.amdhsa_dx10_clamp 1
		.amdhsa_ieee_mode 1
		.amdhsa_fp16_overflow 0
		.amdhsa_tg_split 0
		.amdhsa_exception_fp_ieee_invalid_op 0
		.amdhsa_exception_fp_denorm_src 0
		.amdhsa_exception_fp_ieee_div_zero 0
		.amdhsa_exception_fp_ieee_overflow 0
		.amdhsa_exception_fp_ieee_underflow 0
		.amdhsa_exception_fp_ieee_inexact 0
		.amdhsa_exception_int_div_zero 0
	.end_amdhsa_kernel
	.section	.text._ZN7rocprim17ROCPRIM_400000_NS6detail17trampoline_kernelINS0_14default_configENS1_35radix_sort_onesweep_config_selectorIttEEZZNS1_29radix_sort_onesweep_iterationIS3_Lb0EN6thrust23THRUST_200600_302600_NS6detail15normal_iteratorINS8_10device_ptrItEEEESD_SD_SD_jNS0_19identity_decomposerENS1_16block_id_wrapperIjLb1EEEEE10hipError_tT1_PNSt15iterator_traitsISI_E10value_typeET2_T3_PNSJ_ISO_E10value_typeET4_T5_PST_SU_PNS1_23onesweep_lookback_stateEbbT6_jjT7_P12ihipStream_tbENKUlT_T0_SI_SN_E_clIPtSD_S15_SD_EEDaS11_S12_SI_SN_EUlS11_E_NS1_11comp_targetILNS1_3genE2ELNS1_11target_archE906ELNS1_3gpuE6ELNS1_3repE0EEENS1_47radix_sort_onesweep_sort_config_static_selectorELNS0_4arch9wavefront6targetE1EEEvSI_,"axG",@progbits,_ZN7rocprim17ROCPRIM_400000_NS6detail17trampoline_kernelINS0_14default_configENS1_35radix_sort_onesweep_config_selectorIttEEZZNS1_29radix_sort_onesweep_iterationIS3_Lb0EN6thrust23THRUST_200600_302600_NS6detail15normal_iteratorINS8_10device_ptrItEEEESD_SD_SD_jNS0_19identity_decomposerENS1_16block_id_wrapperIjLb1EEEEE10hipError_tT1_PNSt15iterator_traitsISI_E10value_typeET2_T3_PNSJ_ISO_E10value_typeET4_T5_PST_SU_PNS1_23onesweep_lookback_stateEbbT6_jjT7_P12ihipStream_tbENKUlT_T0_SI_SN_E_clIPtSD_S15_SD_EEDaS11_S12_SI_SN_EUlS11_E_NS1_11comp_targetILNS1_3genE2ELNS1_11target_archE906ELNS1_3gpuE6ELNS1_3repE0EEENS1_47radix_sort_onesweep_sort_config_static_selectorELNS0_4arch9wavefront6targetE1EEEvSI_,comdat
.Lfunc_end995:
	.size	_ZN7rocprim17ROCPRIM_400000_NS6detail17trampoline_kernelINS0_14default_configENS1_35radix_sort_onesweep_config_selectorIttEEZZNS1_29radix_sort_onesweep_iterationIS3_Lb0EN6thrust23THRUST_200600_302600_NS6detail15normal_iteratorINS8_10device_ptrItEEEESD_SD_SD_jNS0_19identity_decomposerENS1_16block_id_wrapperIjLb1EEEEE10hipError_tT1_PNSt15iterator_traitsISI_E10value_typeET2_T3_PNSJ_ISO_E10value_typeET4_T5_PST_SU_PNS1_23onesweep_lookback_stateEbbT6_jjT7_P12ihipStream_tbENKUlT_T0_SI_SN_E_clIPtSD_S15_SD_EEDaS11_S12_SI_SN_EUlS11_E_NS1_11comp_targetILNS1_3genE2ELNS1_11target_archE906ELNS1_3gpuE6ELNS1_3repE0EEENS1_47radix_sort_onesweep_sort_config_static_selectorELNS0_4arch9wavefront6targetE1EEEvSI_, .Lfunc_end995-_ZN7rocprim17ROCPRIM_400000_NS6detail17trampoline_kernelINS0_14default_configENS1_35radix_sort_onesweep_config_selectorIttEEZZNS1_29radix_sort_onesweep_iterationIS3_Lb0EN6thrust23THRUST_200600_302600_NS6detail15normal_iteratorINS8_10device_ptrItEEEESD_SD_SD_jNS0_19identity_decomposerENS1_16block_id_wrapperIjLb1EEEEE10hipError_tT1_PNSt15iterator_traitsISI_E10value_typeET2_T3_PNSJ_ISO_E10value_typeET4_T5_PST_SU_PNS1_23onesweep_lookback_stateEbbT6_jjT7_P12ihipStream_tbENKUlT_T0_SI_SN_E_clIPtSD_S15_SD_EEDaS11_S12_SI_SN_EUlS11_E_NS1_11comp_targetILNS1_3genE2ELNS1_11target_archE906ELNS1_3gpuE6ELNS1_3repE0EEENS1_47radix_sort_onesweep_sort_config_static_selectorELNS0_4arch9wavefront6targetE1EEEvSI_
                                        ; -- End function
	.set _ZN7rocprim17ROCPRIM_400000_NS6detail17trampoline_kernelINS0_14default_configENS1_35radix_sort_onesweep_config_selectorIttEEZZNS1_29radix_sort_onesweep_iterationIS3_Lb0EN6thrust23THRUST_200600_302600_NS6detail15normal_iteratorINS8_10device_ptrItEEEESD_SD_SD_jNS0_19identity_decomposerENS1_16block_id_wrapperIjLb1EEEEE10hipError_tT1_PNSt15iterator_traitsISI_E10value_typeET2_T3_PNSJ_ISO_E10value_typeET4_T5_PST_SU_PNS1_23onesweep_lookback_stateEbbT6_jjT7_P12ihipStream_tbENKUlT_T0_SI_SN_E_clIPtSD_S15_SD_EEDaS11_S12_SI_SN_EUlS11_E_NS1_11comp_targetILNS1_3genE2ELNS1_11target_archE906ELNS1_3gpuE6ELNS1_3repE0EEENS1_47radix_sort_onesweep_sort_config_static_selectorELNS0_4arch9wavefront6targetE1EEEvSI_.num_vgpr, 0
	.set _ZN7rocprim17ROCPRIM_400000_NS6detail17trampoline_kernelINS0_14default_configENS1_35radix_sort_onesweep_config_selectorIttEEZZNS1_29radix_sort_onesweep_iterationIS3_Lb0EN6thrust23THRUST_200600_302600_NS6detail15normal_iteratorINS8_10device_ptrItEEEESD_SD_SD_jNS0_19identity_decomposerENS1_16block_id_wrapperIjLb1EEEEE10hipError_tT1_PNSt15iterator_traitsISI_E10value_typeET2_T3_PNSJ_ISO_E10value_typeET4_T5_PST_SU_PNS1_23onesweep_lookback_stateEbbT6_jjT7_P12ihipStream_tbENKUlT_T0_SI_SN_E_clIPtSD_S15_SD_EEDaS11_S12_SI_SN_EUlS11_E_NS1_11comp_targetILNS1_3genE2ELNS1_11target_archE906ELNS1_3gpuE6ELNS1_3repE0EEENS1_47radix_sort_onesweep_sort_config_static_selectorELNS0_4arch9wavefront6targetE1EEEvSI_.num_agpr, 0
	.set _ZN7rocprim17ROCPRIM_400000_NS6detail17trampoline_kernelINS0_14default_configENS1_35radix_sort_onesweep_config_selectorIttEEZZNS1_29radix_sort_onesweep_iterationIS3_Lb0EN6thrust23THRUST_200600_302600_NS6detail15normal_iteratorINS8_10device_ptrItEEEESD_SD_SD_jNS0_19identity_decomposerENS1_16block_id_wrapperIjLb1EEEEE10hipError_tT1_PNSt15iterator_traitsISI_E10value_typeET2_T3_PNSJ_ISO_E10value_typeET4_T5_PST_SU_PNS1_23onesweep_lookback_stateEbbT6_jjT7_P12ihipStream_tbENKUlT_T0_SI_SN_E_clIPtSD_S15_SD_EEDaS11_S12_SI_SN_EUlS11_E_NS1_11comp_targetILNS1_3genE2ELNS1_11target_archE906ELNS1_3gpuE6ELNS1_3repE0EEENS1_47radix_sort_onesweep_sort_config_static_selectorELNS0_4arch9wavefront6targetE1EEEvSI_.numbered_sgpr, 0
	.set _ZN7rocprim17ROCPRIM_400000_NS6detail17trampoline_kernelINS0_14default_configENS1_35radix_sort_onesweep_config_selectorIttEEZZNS1_29radix_sort_onesweep_iterationIS3_Lb0EN6thrust23THRUST_200600_302600_NS6detail15normal_iteratorINS8_10device_ptrItEEEESD_SD_SD_jNS0_19identity_decomposerENS1_16block_id_wrapperIjLb1EEEEE10hipError_tT1_PNSt15iterator_traitsISI_E10value_typeET2_T3_PNSJ_ISO_E10value_typeET4_T5_PST_SU_PNS1_23onesweep_lookback_stateEbbT6_jjT7_P12ihipStream_tbENKUlT_T0_SI_SN_E_clIPtSD_S15_SD_EEDaS11_S12_SI_SN_EUlS11_E_NS1_11comp_targetILNS1_3genE2ELNS1_11target_archE906ELNS1_3gpuE6ELNS1_3repE0EEENS1_47radix_sort_onesweep_sort_config_static_selectorELNS0_4arch9wavefront6targetE1EEEvSI_.num_named_barrier, 0
	.set _ZN7rocprim17ROCPRIM_400000_NS6detail17trampoline_kernelINS0_14default_configENS1_35radix_sort_onesweep_config_selectorIttEEZZNS1_29radix_sort_onesweep_iterationIS3_Lb0EN6thrust23THRUST_200600_302600_NS6detail15normal_iteratorINS8_10device_ptrItEEEESD_SD_SD_jNS0_19identity_decomposerENS1_16block_id_wrapperIjLb1EEEEE10hipError_tT1_PNSt15iterator_traitsISI_E10value_typeET2_T3_PNSJ_ISO_E10value_typeET4_T5_PST_SU_PNS1_23onesweep_lookback_stateEbbT6_jjT7_P12ihipStream_tbENKUlT_T0_SI_SN_E_clIPtSD_S15_SD_EEDaS11_S12_SI_SN_EUlS11_E_NS1_11comp_targetILNS1_3genE2ELNS1_11target_archE906ELNS1_3gpuE6ELNS1_3repE0EEENS1_47radix_sort_onesweep_sort_config_static_selectorELNS0_4arch9wavefront6targetE1EEEvSI_.private_seg_size, 0
	.set _ZN7rocprim17ROCPRIM_400000_NS6detail17trampoline_kernelINS0_14default_configENS1_35radix_sort_onesweep_config_selectorIttEEZZNS1_29radix_sort_onesweep_iterationIS3_Lb0EN6thrust23THRUST_200600_302600_NS6detail15normal_iteratorINS8_10device_ptrItEEEESD_SD_SD_jNS0_19identity_decomposerENS1_16block_id_wrapperIjLb1EEEEE10hipError_tT1_PNSt15iterator_traitsISI_E10value_typeET2_T3_PNSJ_ISO_E10value_typeET4_T5_PST_SU_PNS1_23onesweep_lookback_stateEbbT6_jjT7_P12ihipStream_tbENKUlT_T0_SI_SN_E_clIPtSD_S15_SD_EEDaS11_S12_SI_SN_EUlS11_E_NS1_11comp_targetILNS1_3genE2ELNS1_11target_archE906ELNS1_3gpuE6ELNS1_3repE0EEENS1_47radix_sort_onesweep_sort_config_static_selectorELNS0_4arch9wavefront6targetE1EEEvSI_.uses_vcc, 0
	.set _ZN7rocprim17ROCPRIM_400000_NS6detail17trampoline_kernelINS0_14default_configENS1_35radix_sort_onesweep_config_selectorIttEEZZNS1_29radix_sort_onesweep_iterationIS3_Lb0EN6thrust23THRUST_200600_302600_NS6detail15normal_iteratorINS8_10device_ptrItEEEESD_SD_SD_jNS0_19identity_decomposerENS1_16block_id_wrapperIjLb1EEEEE10hipError_tT1_PNSt15iterator_traitsISI_E10value_typeET2_T3_PNSJ_ISO_E10value_typeET4_T5_PST_SU_PNS1_23onesweep_lookback_stateEbbT6_jjT7_P12ihipStream_tbENKUlT_T0_SI_SN_E_clIPtSD_S15_SD_EEDaS11_S12_SI_SN_EUlS11_E_NS1_11comp_targetILNS1_3genE2ELNS1_11target_archE906ELNS1_3gpuE6ELNS1_3repE0EEENS1_47radix_sort_onesweep_sort_config_static_selectorELNS0_4arch9wavefront6targetE1EEEvSI_.uses_flat_scratch, 0
	.set _ZN7rocprim17ROCPRIM_400000_NS6detail17trampoline_kernelINS0_14default_configENS1_35radix_sort_onesweep_config_selectorIttEEZZNS1_29radix_sort_onesweep_iterationIS3_Lb0EN6thrust23THRUST_200600_302600_NS6detail15normal_iteratorINS8_10device_ptrItEEEESD_SD_SD_jNS0_19identity_decomposerENS1_16block_id_wrapperIjLb1EEEEE10hipError_tT1_PNSt15iterator_traitsISI_E10value_typeET2_T3_PNSJ_ISO_E10value_typeET4_T5_PST_SU_PNS1_23onesweep_lookback_stateEbbT6_jjT7_P12ihipStream_tbENKUlT_T0_SI_SN_E_clIPtSD_S15_SD_EEDaS11_S12_SI_SN_EUlS11_E_NS1_11comp_targetILNS1_3genE2ELNS1_11target_archE906ELNS1_3gpuE6ELNS1_3repE0EEENS1_47radix_sort_onesweep_sort_config_static_selectorELNS0_4arch9wavefront6targetE1EEEvSI_.has_dyn_sized_stack, 0
	.set _ZN7rocprim17ROCPRIM_400000_NS6detail17trampoline_kernelINS0_14default_configENS1_35radix_sort_onesweep_config_selectorIttEEZZNS1_29radix_sort_onesweep_iterationIS3_Lb0EN6thrust23THRUST_200600_302600_NS6detail15normal_iteratorINS8_10device_ptrItEEEESD_SD_SD_jNS0_19identity_decomposerENS1_16block_id_wrapperIjLb1EEEEE10hipError_tT1_PNSt15iterator_traitsISI_E10value_typeET2_T3_PNSJ_ISO_E10value_typeET4_T5_PST_SU_PNS1_23onesweep_lookback_stateEbbT6_jjT7_P12ihipStream_tbENKUlT_T0_SI_SN_E_clIPtSD_S15_SD_EEDaS11_S12_SI_SN_EUlS11_E_NS1_11comp_targetILNS1_3genE2ELNS1_11target_archE906ELNS1_3gpuE6ELNS1_3repE0EEENS1_47radix_sort_onesweep_sort_config_static_selectorELNS0_4arch9wavefront6targetE1EEEvSI_.has_recursion, 0
	.set _ZN7rocprim17ROCPRIM_400000_NS6detail17trampoline_kernelINS0_14default_configENS1_35radix_sort_onesweep_config_selectorIttEEZZNS1_29radix_sort_onesweep_iterationIS3_Lb0EN6thrust23THRUST_200600_302600_NS6detail15normal_iteratorINS8_10device_ptrItEEEESD_SD_SD_jNS0_19identity_decomposerENS1_16block_id_wrapperIjLb1EEEEE10hipError_tT1_PNSt15iterator_traitsISI_E10value_typeET2_T3_PNSJ_ISO_E10value_typeET4_T5_PST_SU_PNS1_23onesweep_lookback_stateEbbT6_jjT7_P12ihipStream_tbENKUlT_T0_SI_SN_E_clIPtSD_S15_SD_EEDaS11_S12_SI_SN_EUlS11_E_NS1_11comp_targetILNS1_3genE2ELNS1_11target_archE906ELNS1_3gpuE6ELNS1_3repE0EEENS1_47radix_sort_onesweep_sort_config_static_selectorELNS0_4arch9wavefront6targetE1EEEvSI_.has_indirect_call, 0
	.section	.AMDGPU.csdata,"",@progbits
; Kernel info:
; codeLenInByte = 0
; TotalNumSgprs: 6
; NumVgprs: 0
; NumAgprs: 0
; TotalNumVgprs: 0
; ScratchSize: 0
; MemoryBound: 0
; FloatMode: 240
; IeeeMode: 1
; LDSByteSize: 0 bytes/workgroup (compile time only)
; SGPRBlocks: 0
; VGPRBlocks: 0
; NumSGPRsForWavesPerEU: 6
; NumVGPRsForWavesPerEU: 1
; AccumOffset: 4
; Occupancy: 8
; WaveLimiterHint : 0
; COMPUTE_PGM_RSRC2:SCRATCH_EN: 0
; COMPUTE_PGM_RSRC2:USER_SGPR: 2
; COMPUTE_PGM_RSRC2:TRAP_HANDLER: 0
; COMPUTE_PGM_RSRC2:TGID_X_EN: 1
; COMPUTE_PGM_RSRC2:TGID_Y_EN: 0
; COMPUTE_PGM_RSRC2:TGID_Z_EN: 0
; COMPUTE_PGM_RSRC2:TIDIG_COMP_CNT: 0
; COMPUTE_PGM_RSRC3_GFX90A:ACCUM_OFFSET: 0
; COMPUTE_PGM_RSRC3_GFX90A:TG_SPLIT: 0
	.section	.text._ZN7rocprim17ROCPRIM_400000_NS6detail17trampoline_kernelINS0_14default_configENS1_35radix_sort_onesweep_config_selectorIttEEZZNS1_29radix_sort_onesweep_iterationIS3_Lb0EN6thrust23THRUST_200600_302600_NS6detail15normal_iteratorINS8_10device_ptrItEEEESD_SD_SD_jNS0_19identity_decomposerENS1_16block_id_wrapperIjLb1EEEEE10hipError_tT1_PNSt15iterator_traitsISI_E10value_typeET2_T3_PNSJ_ISO_E10value_typeET4_T5_PST_SU_PNS1_23onesweep_lookback_stateEbbT6_jjT7_P12ihipStream_tbENKUlT_T0_SI_SN_E_clIPtSD_S15_SD_EEDaS11_S12_SI_SN_EUlS11_E_NS1_11comp_targetILNS1_3genE4ELNS1_11target_archE910ELNS1_3gpuE8ELNS1_3repE0EEENS1_47radix_sort_onesweep_sort_config_static_selectorELNS0_4arch9wavefront6targetE1EEEvSI_,"axG",@progbits,_ZN7rocprim17ROCPRIM_400000_NS6detail17trampoline_kernelINS0_14default_configENS1_35radix_sort_onesweep_config_selectorIttEEZZNS1_29radix_sort_onesweep_iterationIS3_Lb0EN6thrust23THRUST_200600_302600_NS6detail15normal_iteratorINS8_10device_ptrItEEEESD_SD_SD_jNS0_19identity_decomposerENS1_16block_id_wrapperIjLb1EEEEE10hipError_tT1_PNSt15iterator_traitsISI_E10value_typeET2_T3_PNSJ_ISO_E10value_typeET4_T5_PST_SU_PNS1_23onesweep_lookback_stateEbbT6_jjT7_P12ihipStream_tbENKUlT_T0_SI_SN_E_clIPtSD_S15_SD_EEDaS11_S12_SI_SN_EUlS11_E_NS1_11comp_targetILNS1_3genE4ELNS1_11target_archE910ELNS1_3gpuE8ELNS1_3repE0EEENS1_47radix_sort_onesweep_sort_config_static_selectorELNS0_4arch9wavefront6targetE1EEEvSI_,comdat
	.protected	_ZN7rocprim17ROCPRIM_400000_NS6detail17trampoline_kernelINS0_14default_configENS1_35radix_sort_onesweep_config_selectorIttEEZZNS1_29radix_sort_onesweep_iterationIS3_Lb0EN6thrust23THRUST_200600_302600_NS6detail15normal_iteratorINS8_10device_ptrItEEEESD_SD_SD_jNS0_19identity_decomposerENS1_16block_id_wrapperIjLb1EEEEE10hipError_tT1_PNSt15iterator_traitsISI_E10value_typeET2_T3_PNSJ_ISO_E10value_typeET4_T5_PST_SU_PNS1_23onesweep_lookback_stateEbbT6_jjT7_P12ihipStream_tbENKUlT_T0_SI_SN_E_clIPtSD_S15_SD_EEDaS11_S12_SI_SN_EUlS11_E_NS1_11comp_targetILNS1_3genE4ELNS1_11target_archE910ELNS1_3gpuE8ELNS1_3repE0EEENS1_47radix_sort_onesweep_sort_config_static_selectorELNS0_4arch9wavefront6targetE1EEEvSI_ ; -- Begin function _ZN7rocprim17ROCPRIM_400000_NS6detail17trampoline_kernelINS0_14default_configENS1_35radix_sort_onesweep_config_selectorIttEEZZNS1_29radix_sort_onesweep_iterationIS3_Lb0EN6thrust23THRUST_200600_302600_NS6detail15normal_iteratorINS8_10device_ptrItEEEESD_SD_SD_jNS0_19identity_decomposerENS1_16block_id_wrapperIjLb1EEEEE10hipError_tT1_PNSt15iterator_traitsISI_E10value_typeET2_T3_PNSJ_ISO_E10value_typeET4_T5_PST_SU_PNS1_23onesweep_lookback_stateEbbT6_jjT7_P12ihipStream_tbENKUlT_T0_SI_SN_E_clIPtSD_S15_SD_EEDaS11_S12_SI_SN_EUlS11_E_NS1_11comp_targetILNS1_3genE4ELNS1_11target_archE910ELNS1_3gpuE8ELNS1_3repE0EEENS1_47radix_sort_onesweep_sort_config_static_selectorELNS0_4arch9wavefront6targetE1EEEvSI_
	.globl	_ZN7rocprim17ROCPRIM_400000_NS6detail17trampoline_kernelINS0_14default_configENS1_35radix_sort_onesweep_config_selectorIttEEZZNS1_29radix_sort_onesweep_iterationIS3_Lb0EN6thrust23THRUST_200600_302600_NS6detail15normal_iteratorINS8_10device_ptrItEEEESD_SD_SD_jNS0_19identity_decomposerENS1_16block_id_wrapperIjLb1EEEEE10hipError_tT1_PNSt15iterator_traitsISI_E10value_typeET2_T3_PNSJ_ISO_E10value_typeET4_T5_PST_SU_PNS1_23onesweep_lookback_stateEbbT6_jjT7_P12ihipStream_tbENKUlT_T0_SI_SN_E_clIPtSD_S15_SD_EEDaS11_S12_SI_SN_EUlS11_E_NS1_11comp_targetILNS1_3genE4ELNS1_11target_archE910ELNS1_3gpuE8ELNS1_3repE0EEENS1_47radix_sort_onesweep_sort_config_static_selectorELNS0_4arch9wavefront6targetE1EEEvSI_
	.p2align	8
	.type	_ZN7rocprim17ROCPRIM_400000_NS6detail17trampoline_kernelINS0_14default_configENS1_35radix_sort_onesweep_config_selectorIttEEZZNS1_29radix_sort_onesweep_iterationIS3_Lb0EN6thrust23THRUST_200600_302600_NS6detail15normal_iteratorINS8_10device_ptrItEEEESD_SD_SD_jNS0_19identity_decomposerENS1_16block_id_wrapperIjLb1EEEEE10hipError_tT1_PNSt15iterator_traitsISI_E10value_typeET2_T3_PNSJ_ISO_E10value_typeET4_T5_PST_SU_PNS1_23onesweep_lookback_stateEbbT6_jjT7_P12ihipStream_tbENKUlT_T0_SI_SN_E_clIPtSD_S15_SD_EEDaS11_S12_SI_SN_EUlS11_E_NS1_11comp_targetILNS1_3genE4ELNS1_11target_archE910ELNS1_3gpuE8ELNS1_3repE0EEENS1_47radix_sort_onesweep_sort_config_static_selectorELNS0_4arch9wavefront6targetE1EEEvSI_,@function
_ZN7rocprim17ROCPRIM_400000_NS6detail17trampoline_kernelINS0_14default_configENS1_35radix_sort_onesweep_config_selectorIttEEZZNS1_29radix_sort_onesweep_iterationIS3_Lb0EN6thrust23THRUST_200600_302600_NS6detail15normal_iteratorINS8_10device_ptrItEEEESD_SD_SD_jNS0_19identity_decomposerENS1_16block_id_wrapperIjLb1EEEEE10hipError_tT1_PNSt15iterator_traitsISI_E10value_typeET2_T3_PNSJ_ISO_E10value_typeET4_T5_PST_SU_PNS1_23onesweep_lookback_stateEbbT6_jjT7_P12ihipStream_tbENKUlT_T0_SI_SN_E_clIPtSD_S15_SD_EEDaS11_S12_SI_SN_EUlS11_E_NS1_11comp_targetILNS1_3genE4ELNS1_11target_archE910ELNS1_3gpuE8ELNS1_3repE0EEENS1_47radix_sort_onesweep_sort_config_static_selectorELNS0_4arch9wavefront6targetE1EEEvSI_: ; @_ZN7rocprim17ROCPRIM_400000_NS6detail17trampoline_kernelINS0_14default_configENS1_35radix_sort_onesweep_config_selectorIttEEZZNS1_29radix_sort_onesweep_iterationIS3_Lb0EN6thrust23THRUST_200600_302600_NS6detail15normal_iteratorINS8_10device_ptrItEEEESD_SD_SD_jNS0_19identity_decomposerENS1_16block_id_wrapperIjLb1EEEEE10hipError_tT1_PNSt15iterator_traitsISI_E10value_typeET2_T3_PNSJ_ISO_E10value_typeET4_T5_PST_SU_PNS1_23onesweep_lookback_stateEbbT6_jjT7_P12ihipStream_tbENKUlT_T0_SI_SN_E_clIPtSD_S15_SD_EEDaS11_S12_SI_SN_EUlS11_E_NS1_11comp_targetILNS1_3genE4ELNS1_11target_archE910ELNS1_3gpuE8ELNS1_3repE0EEENS1_47radix_sort_onesweep_sort_config_static_selectorELNS0_4arch9wavefront6targetE1EEEvSI_
; %bb.0:
	.section	.rodata,"a",@progbits
	.p2align	6, 0x0
	.amdhsa_kernel _ZN7rocprim17ROCPRIM_400000_NS6detail17trampoline_kernelINS0_14default_configENS1_35radix_sort_onesweep_config_selectorIttEEZZNS1_29radix_sort_onesweep_iterationIS3_Lb0EN6thrust23THRUST_200600_302600_NS6detail15normal_iteratorINS8_10device_ptrItEEEESD_SD_SD_jNS0_19identity_decomposerENS1_16block_id_wrapperIjLb1EEEEE10hipError_tT1_PNSt15iterator_traitsISI_E10value_typeET2_T3_PNSJ_ISO_E10value_typeET4_T5_PST_SU_PNS1_23onesweep_lookback_stateEbbT6_jjT7_P12ihipStream_tbENKUlT_T0_SI_SN_E_clIPtSD_S15_SD_EEDaS11_S12_SI_SN_EUlS11_E_NS1_11comp_targetILNS1_3genE4ELNS1_11target_archE910ELNS1_3gpuE8ELNS1_3repE0EEENS1_47radix_sort_onesweep_sort_config_static_selectorELNS0_4arch9wavefront6targetE1EEEvSI_
		.amdhsa_group_segment_fixed_size 0
		.amdhsa_private_segment_fixed_size 0
		.amdhsa_kernarg_size 88
		.amdhsa_user_sgpr_count 2
		.amdhsa_user_sgpr_dispatch_ptr 0
		.amdhsa_user_sgpr_queue_ptr 0
		.amdhsa_user_sgpr_kernarg_segment_ptr 1
		.amdhsa_user_sgpr_dispatch_id 0
		.amdhsa_user_sgpr_kernarg_preload_length 0
		.amdhsa_user_sgpr_kernarg_preload_offset 0
		.amdhsa_user_sgpr_private_segment_size 0
		.amdhsa_uses_dynamic_stack 0
		.amdhsa_enable_private_segment 0
		.amdhsa_system_sgpr_workgroup_id_x 1
		.amdhsa_system_sgpr_workgroup_id_y 0
		.amdhsa_system_sgpr_workgroup_id_z 0
		.amdhsa_system_sgpr_workgroup_info 0
		.amdhsa_system_vgpr_workitem_id 0
		.amdhsa_next_free_vgpr 1
		.amdhsa_next_free_sgpr 0
		.amdhsa_accum_offset 4
		.amdhsa_reserve_vcc 0
		.amdhsa_float_round_mode_32 0
		.amdhsa_float_round_mode_16_64 0
		.amdhsa_float_denorm_mode_32 3
		.amdhsa_float_denorm_mode_16_64 3
		.amdhsa_dx10_clamp 1
		.amdhsa_ieee_mode 1
		.amdhsa_fp16_overflow 0
		.amdhsa_tg_split 0
		.amdhsa_exception_fp_ieee_invalid_op 0
		.amdhsa_exception_fp_denorm_src 0
		.amdhsa_exception_fp_ieee_div_zero 0
		.amdhsa_exception_fp_ieee_overflow 0
		.amdhsa_exception_fp_ieee_underflow 0
		.amdhsa_exception_fp_ieee_inexact 0
		.amdhsa_exception_int_div_zero 0
	.end_amdhsa_kernel
	.section	.text._ZN7rocprim17ROCPRIM_400000_NS6detail17trampoline_kernelINS0_14default_configENS1_35radix_sort_onesweep_config_selectorIttEEZZNS1_29radix_sort_onesweep_iterationIS3_Lb0EN6thrust23THRUST_200600_302600_NS6detail15normal_iteratorINS8_10device_ptrItEEEESD_SD_SD_jNS0_19identity_decomposerENS1_16block_id_wrapperIjLb1EEEEE10hipError_tT1_PNSt15iterator_traitsISI_E10value_typeET2_T3_PNSJ_ISO_E10value_typeET4_T5_PST_SU_PNS1_23onesweep_lookback_stateEbbT6_jjT7_P12ihipStream_tbENKUlT_T0_SI_SN_E_clIPtSD_S15_SD_EEDaS11_S12_SI_SN_EUlS11_E_NS1_11comp_targetILNS1_3genE4ELNS1_11target_archE910ELNS1_3gpuE8ELNS1_3repE0EEENS1_47radix_sort_onesweep_sort_config_static_selectorELNS0_4arch9wavefront6targetE1EEEvSI_,"axG",@progbits,_ZN7rocprim17ROCPRIM_400000_NS6detail17trampoline_kernelINS0_14default_configENS1_35radix_sort_onesweep_config_selectorIttEEZZNS1_29radix_sort_onesweep_iterationIS3_Lb0EN6thrust23THRUST_200600_302600_NS6detail15normal_iteratorINS8_10device_ptrItEEEESD_SD_SD_jNS0_19identity_decomposerENS1_16block_id_wrapperIjLb1EEEEE10hipError_tT1_PNSt15iterator_traitsISI_E10value_typeET2_T3_PNSJ_ISO_E10value_typeET4_T5_PST_SU_PNS1_23onesweep_lookback_stateEbbT6_jjT7_P12ihipStream_tbENKUlT_T0_SI_SN_E_clIPtSD_S15_SD_EEDaS11_S12_SI_SN_EUlS11_E_NS1_11comp_targetILNS1_3genE4ELNS1_11target_archE910ELNS1_3gpuE8ELNS1_3repE0EEENS1_47radix_sort_onesweep_sort_config_static_selectorELNS0_4arch9wavefront6targetE1EEEvSI_,comdat
.Lfunc_end996:
	.size	_ZN7rocprim17ROCPRIM_400000_NS6detail17trampoline_kernelINS0_14default_configENS1_35radix_sort_onesweep_config_selectorIttEEZZNS1_29radix_sort_onesweep_iterationIS3_Lb0EN6thrust23THRUST_200600_302600_NS6detail15normal_iteratorINS8_10device_ptrItEEEESD_SD_SD_jNS0_19identity_decomposerENS1_16block_id_wrapperIjLb1EEEEE10hipError_tT1_PNSt15iterator_traitsISI_E10value_typeET2_T3_PNSJ_ISO_E10value_typeET4_T5_PST_SU_PNS1_23onesweep_lookback_stateEbbT6_jjT7_P12ihipStream_tbENKUlT_T0_SI_SN_E_clIPtSD_S15_SD_EEDaS11_S12_SI_SN_EUlS11_E_NS1_11comp_targetILNS1_3genE4ELNS1_11target_archE910ELNS1_3gpuE8ELNS1_3repE0EEENS1_47radix_sort_onesweep_sort_config_static_selectorELNS0_4arch9wavefront6targetE1EEEvSI_, .Lfunc_end996-_ZN7rocprim17ROCPRIM_400000_NS6detail17trampoline_kernelINS0_14default_configENS1_35radix_sort_onesweep_config_selectorIttEEZZNS1_29radix_sort_onesweep_iterationIS3_Lb0EN6thrust23THRUST_200600_302600_NS6detail15normal_iteratorINS8_10device_ptrItEEEESD_SD_SD_jNS0_19identity_decomposerENS1_16block_id_wrapperIjLb1EEEEE10hipError_tT1_PNSt15iterator_traitsISI_E10value_typeET2_T3_PNSJ_ISO_E10value_typeET4_T5_PST_SU_PNS1_23onesweep_lookback_stateEbbT6_jjT7_P12ihipStream_tbENKUlT_T0_SI_SN_E_clIPtSD_S15_SD_EEDaS11_S12_SI_SN_EUlS11_E_NS1_11comp_targetILNS1_3genE4ELNS1_11target_archE910ELNS1_3gpuE8ELNS1_3repE0EEENS1_47radix_sort_onesweep_sort_config_static_selectorELNS0_4arch9wavefront6targetE1EEEvSI_
                                        ; -- End function
	.set _ZN7rocprim17ROCPRIM_400000_NS6detail17trampoline_kernelINS0_14default_configENS1_35radix_sort_onesweep_config_selectorIttEEZZNS1_29radix_sort_onesweep_iterationIS3_Lb0EN6thrust23THRUST_200600_302600_NS6detail15normal_iteratorINS8_10device_ptrItEEEESD_SD_SD_jNS0_19identity_decomposerENS1_16block_id_wrapperIjLb1EEEEE10hipError_tT1_PNSt15iterator_traitsISI_E10value_typeET2_T3_PNSJ_ISO_E10value_typeET4_T5_PST_SU_PNS1_23onesweep_lookback_stateEbbT6_jjT7_P12ihipStream_tbENKUlT_T0_SI_SN_E_clIPtSD_S15_SD_EEDaS11_S12_SI_SN_EUlS11_E_NS1_11comp_targetILNS1_3genE4ELNS1_11target_archE910ELNS1_3gpuE8ELNS1_3repE0EEENS1_47radix_sort_onesweep_sort_config_static_selectorELNS0_4arch9wavefront6targetE1EEEvSI_.num_vgpr, 0
	.set _ZN7rocprim17ROCPRIM_400000_NS6detail17trampoline_kernelINS0_14default_configENS1_35radix_sort_onesweep_config_selectorIttEEZZNS1_29radix_sort_onesweep_iterationIS3_Lb0EN6thrust23THRUST_200600_302600_NS6detail15normal_iteratorINS8_10device_ptrItEEEESD_SD_SD_jNS0_19identity_decomposerENS1_16block_id_wrapperIjLb1EEEEE10hipError_tT1_PNSt15iterator_traitsISI_E10value_typeET2_T3_PNSJ_ISO_E10value_typeET4_T5_PST_SU_PNS1_23onesweep_lookback_stateEbbT6_jjT7_P12ihipStream_tbENKUlT_T0_SI_SN_E_clIPtSD_S15_SD_EEDaS11_S12_SI_SN_EUlS11_E_NS1_11comp_targetILNS1_3genE4ELNS1_11target_archE910ELNS1_3gpuE8ELNS1_3repE0EEENS1_47radix_sort_onesweep_sort_config_static_selectorELNS0_4arch9wavefront6targetE1EEEvSI_.num_agpr, 0
	.set _ZN7rocprim17ROCPRIM_400000_NS6detail17trampoline_kernelINS0_14default_configENS1_35radix_sort_onesweep_config_selectorIttEEZZNS1_29radix_sort_onesweep_iterationIS3_Lb0EN6thrust23THRUST_200600_302600_NS6detail15normal_iteratorINS8_10device_ptrItEEEESD_SD_SD_jNS0_19identity_decomposerENS1_16block_id_wrapperIjLb1EEEEE10hipError_tT1_PNSt15iterator_traitsISI_E10value_typeET2_T3_PNSJ_ISO_E10value_typeET4_T5_PST_SU_PNS1_23onesweep_lookback_stateEbbT6_jjT7_P12ihipStream_tbENKUlT_T0_SI_SN_E_clIPtSD_S15_SD_EEDaS11_S12_SI_SN_EUlS11_E_NS1_11comp_targetILNS1_3genE4ELNS1_11target_archE910ELNS1_3gpuE8ELNS1_3repE0EEENS1_47radix_sort_onesweep_sort_config_static_selectorELNS0_4arch9wavefront6targetE1EEEvSI_.numbered_sgpr, 0
	.set _ZN7rocprim17ROCPRIM_400000_NS6detail17trampoline_kernelINS0_14default_configENS1_35radix_sort_onesweep_config_selectorIttEEZZNS1_29radix_sort_onesweep_iterationIS3_Lb0EN6thrust23THRUST_200600_302600_NS6detail15normal_iteratorINS8_10device_ptrItEEEESD_SD_SD_jNS0_19identity_decomposerENS1_16block_id_wrapperIjLb1EEEEE10hipError_tT1_PNSt15iterator_traitsISI_E10value_typeET2_T3_PNSJ_ISO_E10value_typeET4_T5_PST_SU_PNS1_23onesweep_lookback_stateEbbT6_jjT7_P12ihipStream_tbENKUlT_T0_SI_SN_E_clIPtSD_S15_SD_EEDaS11_S12_SI_SN_EUlS11_E_NS1_11comp_targetILNS1_3genE4ELNS1_11target_archE910ELNS1_3gpuE8ELNS1_3repE0EEENS1_47radix_sort_onesweep_sort_config_static_selectorELNS0_4arch9wavefront6targetE1EEEvSI_.num_named_barrier, 0
	.set _ZN7rocprim17ROCPRIM_400000_NS6detail17trampoline_kernelINS0_14default_configENS1_35radix_sort_onesweep_config_selectorIttEEZZNS1_29radix_sort_onesweep_iterationIS3_Lb0EN6thrust23THRUST_200600_302600_NS6detail15normal_iteratorINS8_10device_ptrItEEEESD_SD_SD_jNS0_19identity_decomposerENS1_16block_id_wrapperIjLb1EEEEE10hipError_tT1_PNSt15iterator_traitsISI_E10value_typeET2_T3_PNSJ_ISO_E10value_typeET4_T5_PST_SU_PNS1_23onesweep_lookback_stateEbbT6_jjT7_P12ihipStream_tbENKUlT_T0_SI_SN_E_clIPtSD_S15_SD_EEDaS11_S12_SI_SN_EUlS11_E_NS1_11comp_targetILNS1_3genE4ELNS1_11target_archE910ELNS1_3gpuE8ELNS1_3repE0EEENS1_47radix_sort_onesweep_sort_config_static_selectorELNS0_4arch9wavefront6targetE1EEEvSI_.private_seg_size, 0
	.set _ZN7rocprim17ROCPRIM_400000_NS6detail17trampoline_kernelINS0_14default_configENS1_35radix_sort_onesweep_config_selectorIttEEZZNS1_29radix_sort_onesweep_iterationIS3_Lb0EN6thrust23THRUST_200600_302600_NS6detail15normal_iteratorINS8_10device_ptrItEEEESD_SD_SD_jNS0_19identity_decomposerENS1_16block_id_wrapperIjLb1EEEEE10hipError_tT1_PNSt15iterator_traitsISI_E10value_typeET2_T3_PNSJ_ISO_E10value_typeET4_T5_PST_SU_PNS1_23onesweep_lookback_stateEbbT6_jjT7_P12ihipStream_tbENKUlT_T0_SI_SN_E_clIPtSD_S15_SD_EEDaS11_S12_SI_SN_EUlS11_E_NS1_11comp_targetILNS1_3genE4ELNS1_11target_archE910ELNS1_3gpuE8ELNS1_3repE0EEENS1_47radix_sort_onesweep_sort_config_static_selectorELNS0_4arch9wavefront6targetE1EEEvSI_.uses_vcc, 0
	.set _ZN7rocprim17ROCPRIM_400000_NS6detail17trampoline_kernelINS0_14default_configENS1_35radix_sort_onesweep_config_selectorIttEEZZNS1_29radix_sort_onesweep_iterationIS3_Lb0EN6thrust23THRUST_200600_302600_NS6detail15normal_iteratorINS8_10device_ptrItEEEESD_SD_SD_jNS0_19identity_decomposerENS1_16block_id_wrapperIjLb1EEEEE10hipError_tT1_PNSt15iterator_traitsISI_E10value_typeET2_T3_PNSJ_ISO_E10value_typeET4_T5_PST_SU_PNS1_23onesweep_lookback_stateEbbT6_jjT7_P12ihipStream_tbENKUlT_T0_SI_SN_E_clIPtSD_S15_SD_EEDaS11_S12_SI_SN_EUlS11_E_NS1_11comp_targetILNS1_3genE4ELNS1_11target_archE910ELNS1_3gpuE8ELNS1_3repE0EEENS1_47radix_sort_onesweep_sort_config_static_selectorELNS0_4arch9wavefront6targetE1EEEvSI_.uses_flat_scratch, 0
	.set _ZN7rocprim17ROCPRIM_400000_NS6detail17trampoline_kernelINS0_14default_configENS1_35radix_sort_onesweep_config_selectorIttEEZZNS1_29radix_sort_onesweep_iterationIS3_Lb0EN6thrust23THRUST_200600_302600_NS6detail15normal_iteratorINS8_10device_ptrItEEEESD_SD_SD_jNS0_19identity_decomposerENS1_16block_id_wrapperIjLb1EEEEE10hipError_tT1_PNSt15iterator_traitsISI_E10value_typeET2_T3_PNSJ_ISO_E10value_typeET4_T5_PST_SU_PNS1_23onesweep_lookback_stateEbbT6_jjT7_P12ihipStream_tbENKUlT_T0_SI_SN_E_clIPtSD_S15_SD_EEDaS11_S12_SI_SN_EUlS11_E_NS1_11comp_targetILNS1_3genE4ELNS1_11target_archE910ELNS1_3gpuE8ELNS1_3repE0EEENS1_47radix_sort_onesweep_sort_config_static_selectorELNS0_4arch9wavefront6targetE1EEEvSI_.has_dyn_sized_stack, 0
	.set _ZN7rocprim17ROCPRIM_400000_NS6detail17trampoline_kernelINS0_14default_configENS1_35radix_sort_onesweep_config_selectorIttEEZZNS1_29radix_sort_onesweep_iterationIS3_Lb0EN6thrust23THRUST_200600_302600_NS6detail15normal_iteratorINS8_10device_ptrItEEEESD_SD_SD_jNS0_19identity_decomposerENS1_16block_id_wrapperIjLb1EEEEE10hipError_tT1_PNSt15iterator_traitsISI_E10value_typeET2_T3_PNSJ_ISO_E10value_typeET4_T5_PST_SU_PNS1_23onesweep_lookback_stateEbbT6_jjT7_P12ihipStream_tbENKUlT_T0_SI_SN_E_clIPtSD_S15_SD_EEDaS11_S12_SI_SN_EUlS11_E_NS1_11comp_targetILNS1_3genE4ELNS1_11target_archE910ELNS1_3gpuE8ELNS1_3repE0EEENS1_47radix_sort_onesweep_sort_config_static_selectorELNS0_4arch9wavefront6targetE1EEEvSI_.has_recursion, 0
	.set _ZN7rocprim17ROCPRIM_400000_NS6detail17trampoline_kernelINS0_14default_configENS1_35radix_sort_onesweep_config_selectorIttEEZZNS1_29radix_sort_onesweep_iterationIS3_Lb0EN6thrust23THRUST_200600_302600_NS6detail15normal_iteratorINS8_10device_ptrItEEEESD_SD_SD_jNS0_19identity_decomposerENS1_16block_id_wrapperIjLb1EEEEE10hipError_tT1_PNSt15iterator_traitsISI_E10value_typeET2_T3_PNSJ_ISO_E10value_typeET4_T5_PST_SU_PNS1_23onesweep_lookback_stateEbbT6_jjT7_P12ihipStream_tbENKUlT_T0_SI_SN_E_clIPtSD_S15_SD_EEDaS11_S12_SI_SN_EUlS11_E_NS1_11comp_targetILNS1_3genE4ELNS1_11target_archE910ELNS1_3gpuE8ELNS1_3repE0EEENS1_47radix_sort_onesweep_sort_config_static_selectorELNS0_4arch9wavefront6targetE1EEEvSI_.has_indirect_call, 0
	.section	.AMDGPU.csdata,"",@progbits
; Kernel info:
; codeLenInByte = 0
; TotalNumSgprs: 6
; NumVgprs: 0
; NumAgprs: 0
; TotalNumVgprs: 0
; ScratchSize: 0
; MemoryBound: 0
; FloatMode: 240
; IeeeMode: 1
; LDSByteSize: 0 bytes/workgroup (compile time only)
; SGPRBlocks: 0
; VGPRBlocks: 0
; NumSGPRsForWavesPerEU: 6
; NumVGPRsForWavesPerEU: 1
; AccumOffset: 4
; Occupancy: 8
; WaveLimiterHint : 0
; COMPUTE_PGM_RSRC2:SCRATCH_EN: 0
; COMPUTE_PGM_RSRC2:USER_SGPR: 2
; COMPUTE_PGM_RSRC2:TRAP_HANDLER: 0
; COMPUTE_PGM_RSRC2:TGID_X_EN: 1
; COMPUTE_PGM_RSRC2:TGID_Y_EN: 0
; COMPUTE_PGM_RSRC2:TGID_Z_EN: 0
; COMPUTE_PGM_RSRC2:TIDIG_COMP_CNT: 0
; COMPUTE_PGM_RSRC3_GFX90A:ACCUM_OFFSET: 0
; COMPUTE_PGM_RSRC3_GFX90A:TG_SPLIT: 0
	.section	.text._ZN7rocprim17ROCPRIM_400000_NS6detail17trampoline_kernelINS0_14default_configENS1_35radix_sort_onesweep_config_selectorIttEEZZNS1_29radix_sort_onesweep_iterationIS3_Lb0EN6thrust23THRUST_200600_302600_NS6detail15normal_iteratorINS8_10device_ptrItEEEESD_SD_SD_jNS0_19identity_decomposerENS1_16block_id_wrapperIjLb1EEEEE10hipError_tT1_PNSt15iterator_traitsISI_E10value_typeET2_T3_PNSJ_ISO_E10value_typeET4_T5_PST_SU_PNS1_23onesweep_lookback_stateEbbT6_jjT7_P12ihipStream_tbENKUlT_T0_SI_SN_E_clIPtSD_S15_SD_EEDaS11_S12_SI_SN_EUlS11_E_NS1_11comp_targetILNS1_3genE3ELNS1_11target_archE908ELNS1_3gpuE7ELNS1_3repE0EEENS1_47radix_sort_onesweep_sort_config_static_selectorELNS0_4arch9wavefront6targetE1EEEvSI_,"axG",@progbits,_ZN7rocprim17ROCPRIM_400000_NS6detail17trampoline_kernelINS0_14default_configENS1_35radix_sort_onesweep_config_selectorIttEEZZNS1_29radix_sort_onesweep_iterationIS3_Lb0EN6thrust23THRUST_200600_302600_NS6detail15normal_iteratorINS8_10device_ptrItEEEESD_SD_SD_jNS0_19identity_decomposerENS1_16block_id_wrapperIjLb1EEEEE10hipError_tT1_PNSt15iterator_traitsISI_E10value_typeET2_T3_PNSJ_ISO_E10value_typeET4_T5_PST_SU_PNS1_23onesweep_lookback_stateEbbT6_jjT7_P12ihipStream_tbENKUlT_T0_SI_SN_E_clIPtSD_S15_SD_EEDaS11_S12_SI_SN_EUlS11_E_NS1_11comp_targetILNS1_3genE3ELNS1_11target_archE908ELNS1_3gpuE7ELNS1_3repE0EEENS1_47radix_sort_onesweep_sort_config_static_selectorELNS0_4arch9wavefront6targetE1EEEvSI_,comdat
	.protected	_ZN7rocprim17ROCPRIM_400000_NS6detail17trampoline_kernelINS0_14default_configENS1_35radix_sort_onesweep_config_selectorIttEEZZNS1_29radix_sort_onesweep_iterationIS3_Lb0EN6thrust23THRUST_200600_302600_NS6detail15normal_iteratorINS8_10device_ptrItEEEESD_SD_SD_jNS0_19identity_decomposerENS1_16block_id_wrapperIjLb1EEEEE10hipError_tT1_PNSt15iterator_traitsISI_E10value_typeET2_T3_PNSJ_ISO_E10value_typeET4_T5_PST_SU_PNS1_23onesweep_lookback_stateEbbT6_jjT7_P12ihipStream_tbENKUlT_T0_SI_SN_E_clIPtSD_S15_SD_EEDaS11_S12_SI_SN_EUlS11_E_NS1_11comp_targetILNS1_3genE3ELNS1_11target_archE908ELNS1_3gpuE7ELNS1_3repE0EEENS1_47radix_sort_onesweep_sort_config_static_selectorELNS0_4arch9wavefront6targetE1EEEvSI_ ; -- Begin function _ZN7rocprim17ROCPRIM_400000_NS6detail17trampoline_kernelINS0_14default_configENS1_35radix_sort_onesweep_config_selectorIttEEZZNS1_29radix_sort_onesweep_iterationIS3_Lb0EN6thrust23THRUST_200600_302600_NS6detail15normal_iteratorINS8_10device_ptrItEEEESD_SD_SD_jNS0_19identity_decomposerENS1_16block_id_wrapperIjLb1EEEEE10hipError_tT1_PNSt15iterator_traitsISI_E10value_typeET2_T3_PNSJ_ISO_E10value_typeET4_T5_PST_SU_PNS1_23onesweep_lookback_stateEbbT6_jjT7_P12ihipStream_tbENKUlT_T0_SI_SN_E_clIPtSD_S15_SD_EEDaS11_S12_SI_SN_EUlS11_E_NS1_11comp_targetILNS1_3genE3ELNS1_11target_archE908ELNS1_3gpuE7ELNS1_3repE0EEENS1_47radix_sort_onesweep_sort_config_static_selectorELNS0_4arch9wavefront6targetE1EEEvSI_
	.globl	_ZN7rocprim17ROCPRIM_400000_NS6detail17trampoline_kernelINS0_14default_configENS1_35radix_sort_onesweep_config_selectorIttEEZZNS1_29radix_sort_onesweep_iterationIS3_Lb0EN6thrust23THRUST_200600_302600_NS6detail15normal_iteratorINS8_10device_ptrItEEEESD_SD_SD_jNS0_19identity_decomposerENS1_16block_id_wrapperIjLb1EEEEE10hipError_tT1_PNSt15iterator_traitsISI_E10value_typeET2_T3_PNSJ_ISO_E10value_typeET4_T5_PST_SU_PNS1_23onesweep_lookback_stateEbbT6_jjT7_P12ihipStream_tbENKUlT_T0_SI_SN_E_clIPtSD_S15_SD_EEDaS11_S12_SI_SN_EUlS11_E_NS1_11comp_targetILNS1_3genE3ELNS1_11target_archE908ELNS1_3gpuE7ELNS1_3repE0EEENS1_47radix_sort_onesweep_sort_config_static_selectorELNS0_4arch9wavefront6targetE1EEEvSI_
	.p2align	8
	.type	_ZN7rocprim17ROCPRIM_400000_NS6detail17trampoline_kernelINS0_14default_configENS1_35radix_sort_onesweep_config_selectorIttEEZZNS1_29radix_sort_onesweep_iterationIS3_Lb0EN6thrust23THRUST_200600_302600_NS6detail15normal_iteratorINS8_10device_ptrItEEEESD_SD_SD_jNS0_19identity_decomposerENS1_16block_id_wrapperIjLb1EEEEE10hipError_tT1_PNSt15iterator_traitsISI_E10value_typeET2_T3_PNSJ_ISO_E10value_typeET4_T5_PST_SU_PNS1_23onesweep_lookback_stateEbbT6_jjT7_P12ihipStream_tbENKUlT_T0_SI_SN_E_clIPtSD_S15_SD_EEDaS11_S12_SI_SN_EUlS11_E_NS1_11comp_targetILNS1_3genE3ELNS1_11target_archE908ELNS1_3gpuE7ELNS1_3repE0EEENS1_47radix_sort_onesweep_sort_config_static_selectorELNS0_4arch9wavefront6targetE1EEEvSI_,@function
_ZN7rocprim17ROCPRIM_400000_NS6detail17trampoline_kernelINS0_14default_configENS1_35radix_sort_onesweep_config_selectorIttEEZZNS1_29radix_sort_onesweep_iterationIS3_Lb0EN6thrust23THRUST_200600_302600_NS6detail15normal_iteratorINS8_10device_ptrItEEEESD_SD_SD_jNS0_19identity_decomposerENS1_16block_id_wrapperIjLb1EEEEE10hipError_tT1_PNSt15iterator_traitsISI_E10value_typeET2_T3_PNSJ_ISO_E10value_typeET4_T5_PST_SU_PNS1_23onesweep_lookback_stateEbbT6_jjT7_P12ihipStream_tbENKUlT_T0_SI_SN_E_clIPtSD_S15_SD_EEDaS11_S12_SI_SN_EUlS11_E_NS1_11comp_targetILNS1_3genE3ELNS1_11target_archE908ELNS1_3gpuE7ELNS1_3repE0EEENS1_47radix_sort_onesweep_sort_config_static_selectorELNS0_4arch9wavefront6targetE1EEEvSI_: ; @_ZN7rocprim17ROCPRIM_400000_NS6detail17trampoline_kernelINS0_14default_configENS1_35radix_sort_onesweep_config_selectorIttEEZZNS1_29radix_sort_onesweep_iterationIS3_Lb0EN6thrust23THRUST_200600_302600_NS6detail15normal_iteratorINS8_10device_ptrItEEEESD_SD_SD_jNS0_19identity_decomposerENS1_16block_id_wrapperIjLb1EEEEE10hipError_tT1_PNSt15iterator_traitsISI_E10value_typeET2_T3_PNSJ_ISO_E10value_typeET4_T5_PST_SU_PNS1_23onesweep_lookback_stateEbbT6_jjT7_P12ihipStream_tbENKUlT_T0_SI_SN_E_clIPtSD_S15_SD_EEDaS11_S12_SI_SN_EUlS11_E_NS1_11comp_targetILNS1_3genE3ELNS1_11target_archE908ELNS1_3gpuE7ELNS1_3repE0EEENS1_47radix_sort_onesweep_sort_config_static_selectorELNS0_4arch9wavefront6targetE1EEEvSI_
; %bb.0:
	.section	.rodata,"a",@progbits
	.p2align	6, 0x0
	.amdhsa_kernel _ZN7rocprim17ROCPRIM_400000_NS6detail17trampoline_kernelINS0_14default_configENS1_35radix_sort_onesweep_config_selectorIttEEZZNS1_29radix_sort_onesweep_iterationIS3_Lb0EN6thrust23THRUST_200600_302600_NS6detail15normal_iteratorINS8_10device_ptrItEEEESD_SD_SD_jNS0_19identity_decomposerENS1_16block_id_wrapperIjLb1EEEEE10hipError_tT1_PNSt15iterator_traitsISI_E10value_typeET2_T3_PNSJ_ISO_E10value_typeET4_T5_PST_SU_PNS1_23onesweep_lookback_stateEbbT6_jjT7_P12ihipStream_tbENKUlT_T0_SI_SN_E_clIPtSD_S15_SD_EEDaS11_S12_SI_SN_EUlS11_E_NS1_11comp_targetILNS1_3genE3ELNS1_11target_archE908ELNS1_3gpuE7ELNS1_3repE0EEENS1_47radix_sort_onesweep_sort_config_static_selectorELNS0_4arch9wavefront6targetE1EEEvSI_
		.amdhsa_group_segment_fixed_size 0
		.amdhsa_private_segment_fixed_size 0
		.amdhsa_kernarg_size 88
		.amdhsa_user_sgpr_count 2
		.amdhsa_user_sgpr_dispatch_ptr 0
		.amdhsa_user_sgpr_queue_ptr 0
		.amdhsa_user_sgpr_kernarg_segment_ptr 1
		.amdhsa_user_sgpr_dispatch_id 0
		.amdhsa_user_sgpr_kernarg_preload_length 0
		.amdhsa_user_sgpr_kernarg_preload_offset 0
		.amdhsa_user_sgpr_private_segment_size 0
		.amdhsa_uses_dynamic_stack 0
		.amdhsa_enable_private_segment 0
		.amdhsa_system_sgpr_workgroup_id_x 1
		.amdhsa_system_sgpr_workgroup_id_y 0
		.amdhsa_system_sgpr_workgroup_id_z 0
		.amdhsa_system_sgpr_workgroup_info 0
		.amdhsa_system_vgpr_workitem_id 0
		.amdhsa_next_free_vgpr 1
		.amdhsa_next_free_sgpr 0
		.amdhsa_accum_offset 4
		.amdhsa_reserve_vcc 0
		.amdhsa_float_round_mode_32 0
		.amdhsa_float_round_mode_16_64 0
		.amdhsa_float_denorm_mode_32 3
		.amdhsa_float_denorm_mode_16_64 3
		.amdhsa_dx10_clamp 1
		.amdhsa_ieee_mode 1
		.amdhsa_fp16_overflow 0
		.amdhsa_tg_split 0
		.amdhsa_exception_fp_ieee_invalid_op 0
		.amdhsa_exception_fp_denorm_src 0
		.amdhsa_exception_fp_ieee_div_zero 0
		.amdhsa_exception_fp_ieee_overflow 0
		.amdhsa_exception_fp_ieee_underflow 0
		.amdhsa_exception_fp_ieee_inexact 0
		.amdhsa_exception_int_div_zero 0
	.end_amdhsa_kernel
	.section	.text._ZN7rocprim17ROCPRIM_400000_NS6detail17trampoline_kernelINS0_14default_configENS1_35radix_sort_onesweep_config_selectorIttEEZZNS1_29radix_sort_onesweep_iterationIS3_Lb0EN6thrust23THRUST_200600_302600_NS6detail15normal_iteratorINS8_10device_ptrItEEEESD_SD_SD_jNS0_19identity_decomposerENS1_16block_id_wrapperIjLb1EEEEE10hipError_tT1_PNSt15iterator_traitsISI_E10value_typeET2_T3_PNSJ_ISO_E10value_typeET4_T5_PST_SU_PNS1_23onesweep_lookback_stateEbbT6_jjT7_P12ihipStream_tbENKUlT_T0_SI_SN_E_clIPtSD_S15_SD_EEDaS11_S12_SI_SN_EUlS11_E_NS1_11comp_targetILNS1_3genE3ELNS1_11target_archE908ELNS1_3gpuE7ELNS1_3repE0EEENS1_47radix_sort_onesweep_sort_config_static_selectorELNS0_4arch9wavefront6targetE1EEEvSI_,"axG",@progbits,_ZN7rocprim17ROCPRIM_400000_NS6detail17trampoline_kernelINS0_14default_configENS1_35radix_sort_onesweep_config_selectorIttEEZZNS1_29radix_sort_onesweep_iterationIS3_Lb0EN6thrust23THRUST_200600_302600_NS6detail15normal_iteratorINS8_10device_ptrItEEEESD_SD_SD_jNS0_19identity_decomposerENS1_16block_id_wrapperIjLb1EEEEE10hipError_tT1_PNSt15iterator_traitsISI_E10value_typeET2_T3_PNSJ_ISO_E10value_typeET4_T5_PST_SU_PNS1_23onesweep_lookback_stateEbbT6_jjT7_P12ihipStream_tbENKUlT_T0_SI_SN_E_clIPtSD_S15_SD_EEDaS11_S12_SI_SN_EUlS11_E_NS1_11comp_targetILNS1_3genE3ELNS1_11target_archE908ELNS1_3gpuE7ELNS1_3repE0EEENS1_47radix_sort_onesweep_sort_config_static_selectorELNS0_4arch9wavefront6targetE1EEEvSI_,comdat
.Lfunc_end997:
	.size	_ZN7rocprim17ROCPRIM_400000_NS6detail17trampoline_kernelINS0_14default_configENS1_35radix_sort_onesweep_config_selectorIttEEZZNS1_29radix_sort_onesweep_iterationIS3_Lb0EN6thrust23THRUST_200600_302600_NS6detail15normal_iteratorINS8_10device_ptrItEEEESD_SD_SD_jNS0_19identity_decomposerENS1_16block_id_wrapperIjLb1EEEEE10hipError_tT1_PNSt15iterator_traitsISI_E10value_typeET2_T3_PNSJ_ISO_E10value_typeET4_T5_PST_SU_PNS1_23onesweep_lookback_stateEbbT6_jjT7_P12ihipStream_tbENKUlT_T0_SI_SN_E_clIPtSD_S15_SD_EEDaS11_S12_SI_SN_EUlS11_E_NS1_11comp_targetILNS1_3genE3ELNS1_11target_archE908ELNS1_3gpuE7ELNS1_3repE0EEENS1_47radix_sort_onesweep_sort_config_static_selectorELNS0_4arch9wavefront6targetE1EEEvSI_, .Lfunc_end997-_ZN7rocprim17ROCPRIM_400000_NS6detail17trampoline_kernelINS0_14default_configENS1_35radix_sort_onesweep_config_selectorIttEEZZNS1_29radix_sort_onesweep_iterationIS3_Lb0EN6thrust23THRUST_200600_302600_NS6detail15normal_iteratorINS8_10device_ptrItEEEESD_SD_SD_jNS0_19identity_decomposerENS1_16block_id_wrapperIjLb1EEEEE10hipError_tT1_PNSt15iterator_traitsISI_E10value_typeET2_T3_PNSJ_ISO_E10value_typeET4_T5_PST_SU_PNS1_23onesweep_lookback_stateEbbT6_jjT7_P12ihipStream_tbENKUlT_T0_SI_SN_E_clIPtSD_S15_SD_EEDaS11_S12_SI_SN_EUlS11_E_NS1_11comp_targetILNS1_3genE3ELNS1_11target_archE908ELNS1_3gpuE7ELNS1_3repE0EEENS1_47radix_sort_onesweep_sort_config_static_selectorELNS0_4arch9wavefront6targetE1EEEvSI_
                                        ; -- End function
	.set _ZN7rocprim17ROCPRIM_400000_NS6detail17trampoline_kernelINS0_14default_configENS1_35radix_sort_onesweep_config_selectorIttEEZZNS1_29radix_sort_onesweep_iterationIS3_Lb0EN6thrust23THRUST_200600_302600_NS6detail15normal_iteratorINS8_10device_ptrItEEEESD_SD_SD_jNS0_19identity_decomposerENS1_16block_id_wrapperIjLb1EEEEE10hipError_tT1_PNSt15iterator_traitsISI_E10value_typeET2_T3_PNSJ_ISO_E10value_typeET4_T5_PST_SU_PNS1_23onesweep_lookback_stateEbbT6_jjT7_P12ihipStream_tbENKUlT_T0_SI_SN_E_clIPtSD_S15_SD_EEDaS11_S12_SI_SN_EUlS11_E_NS1_11comp_targetILNS1_3genE3ELNS1_11target_archE908ELNS1_3gpuE7ELNS1_3repE0EEENS1_47radix_sort_onesweep_sort_config_static_selectorELNS0_4arch9wavefront6targetE1EEEvSI_.num_vgpr, 0
	.set _ZN7rocprim17ROCPRIM_400000_NS6detail17trampoline_kernelINS0_14default_configENS1_35radix_sort_onesweep_config_selectorIttEEZZNS1_29radix_sort_onesweep_iterationIS3_Lb0EN6thrust23THRUST_200600_302600_NS6detail15normal_iteratorINS8_10device_ptrItEEEESD_SD_SD_jNS0_19identity_decomposerENS1_16block_id_wrapperIjLb1EEEEE10hipError_tT1_PNSt15iterator_traitsISI_E10value_typeET2_T3_PNSJ_ISO_E10value_typeET4_T5_PST_SU_PNS1_23onesweep_lookback_stateEbbT6_jjT7_P12ihipStream_tbENKUlT_T0_SI_SN_E_clIPtSD_S15_SD_EEDaS11_S12_SI_SN_EUlS11_E_NS1_11comp_targetILNS1_3genE3ELNS1_11target_archE908ELNS1_3gpuE7ELNS1_3repE0EEENS1_47radix_sort_onesweep_sort_config_static_selectorELNS0_4arch9wavefront6targetE1EEEvSI_.num_agpr, 0
	.set _ZN7rocprim17ROCPRIM_400000_NS6detail17trampoline_kernelINS0_14default_configENS1_35radix_sort_onesweep_config_selectorIttEEZZNS1_29radix_sort_onesweep_iterationIS3_Lb0EN6thrust23THRUST_200600_302600_NS6detail15normal_iteratorINS8_10device_ptrItEEEESD_SD_SD_jNS0_19identity_decomposerENS1_16block_id_wrapperIjLb1EEEEE10hipError_tT1_PNSt15iterator_traitsISI_E10value_typeET2_T3_PNSJ_ISO_E10value_typeET4_T5_PST_SU_PNS1_23onesweep_lookback_stateEbbT6_jjT7_P12ihipStream_tbENKUlT_T0_SI_SN_E_clIPtSD_S15_SD_EEDaS11_S12_SI_SN_EUlS11_E_NS1_11comp_targetILNS1_3genE3ELNS1_11target_archE908ELNS1_3gpuE7ELNS1_3repE0EEENS1_47radix_sort_onesweep_sort_config_static_selectorELNS0_4arch9wavefront6targetE1EEEvSI_.numbered_sgpr, 0
	.set _ZN7rocprim17ROCPRIM_400000_NS6detail17trampoline_kernelINS0_14default_configENS1_35radix_sort_onesweep_config_selectorIttEEZZNS1_29radix_sort_onesweep_iterationIS3_Lb0EN6thrust23THRUST_200600_302600_NS6detail15normal_iteratorINS8_10device_ptrItEEEESD_SD_SD_jNS0_19identity_decomposerENS1_16block_id_wrapperIjLb1EEEEE10hipError_tT1_PNSt15iterator_traitsISI_E10value_typeET2_T3_PNSJ_ISO_E10value_typeET4_T5_PST_SU_PNS1_23onesweep_lookback_stateEbbT6_jjT7_P12ihipStream_tbENKUlT_T0_SI_SN_E_clIPtSD_S15_SD_EEDaS11_S12_SI_SN_EUlS11_E_NS1_11comp_targetILNS1_3genE3ELNS1_11target_archE908ELNS1_3gpuE7ELNS1_3repE0EEENS1_47radix_sort_onesweep_sort_config_static_selectorELNS0_4arch9wavefront6targetE1EEEvSI_.num_named_barrier, 0
	.set _ZN7rocprim17ROCPRIM_400000_NS6detail17trampoline_kernelINS0_14default_configENS1_35radix_sort_onesweep_config_selectorIttEEZZNS1_29radix_sort_onesweep_iterationIS3_Lb0EN6thrust23THRUST_200600_302600_NS6detail15normal_iteratorINS8_10device_ptrItEEEESD_SD_SD_jNS0_19identity_decomposerENS1_16block_id_wrapperIjLb1EEEEE10hipError_tT1_PNSt15iterator_traitsISI_E10value_typeET2_T3_PNSJ_ISO_E10value_typeET4_T5_PST_SU_PNS1_23onesweep_lookback_stateEbbT6_jjT7_P12ihipStream_tbENKUlT_T0_SI_SN_E_clIPtSD_S15_SD_EEDaS11_S12_SI_SN_EUlS11_E_NS1_11comp_targetILNS1_3genE3ELNS1_11target_archE908ELNS1_3gpuE7ELNS1_3repE0EEENS1_47radix_sort_onesweep_sort_config_static_selectorELNS0_4arch9wavefront6targetE1EEEvSI_.private_seg_size, 0
	.set _ZN7rocprim17ROCPRIM_400000_NS6detail17trampoline_kernelINS0_14default_configENS1_35radix_sort_onesweep_config_selectorIttEEZZNS1_29radix_sort_onesweep_iterationIS3_Lb0EN6thrust23THRUST_200600_302600_NS6detail15normal_iteratorINS8_10device_ptrItEEEESD_SD_SD_jNS0_19identity_decomposerENS1_16block_id_wrapperIjLb1EEEEE10hipError_tT1_PNSt15iterator_traitsISI_E10value_typeET2_T3_PNSJ_ISO_E10value_typeET4_T5_PST_SU_PNS1_23onesweep_lookback_stateEbbT6_jjT7_P12ihipStream_tbENKUlT_T0_SI_SN_E_clIPtSD_S15_SD_EEDaS11_S12_SI_SN_EUlS11_E_NS1_11comp_targetILNS1_3genE3ELNS1_11target_archE908ELNS1_3gpuE7ELNS1_3repE0EEENS1_47radix_sort_onesweep_sort_config_static_selectorELNS0_4arch9wavefront6targetE1EEEvSI_.uses_vcc, 0
	.set _ZN7rocprim17ROCPRIM_400000_NS6detail17trampoline_kernelINS0_14default_configENS1_35radix_sort_onesweep_config_selectorIttEEZZNS1_29radix_sort_onesweep_iterationIS3_Lb0EN6thrust23THRUST_200600_302600_NS6detail15normal_iteratorINS8_10device_ptrItEEEESD_SD_SD_jNS0_19identity_decomposerENS1_16block_id_wrapperIjLb1EEEEE10hipError_tT1_PNSt15iterator_traitsISI_E10value_typeET2_T3_PNSJ_ISO_E10value_typeET4_T5_PST_SU_PNS1_23onesweep_lookback_stateEbbT6_jjT7_P12ihipStream_tbENKUlT_T0_SI_SN_E_clIPtSD_S15_SD_EEDaS11_S12_SI_SN_EUlS11_E_NS1_11comp_targetILNS1_3genE3ELNS1_11target_archE908ELNS1_3gpuE7ELNS1_3repE0EEENS1_47radix_sort_onesweep_sort_config_static_selectorELNS0_4arch9wavefront6targetE1EEEvSI_.uses_flat_scratch, 0
	.set _ZN7rocprim17ROCPRIM_400000_NS6detail17trampoline_kernelINS0_14default_configENS1_35radix_sort_onesweep_config_selectorIttEEZZNS1_29radix_sort_onesweep_iterationIS3_Lb0EN6thrust23THRUST_200600_302600_NS6detail15normal_iteratorINS8_10device_ptrItEEEESD_SD_SD_jNS0_19identity_decomposerENS1_16block_id_wrapperIjLb1EEEEE10hipError_tT1_PNSt15iterator_traitsISI_E10value_typeET2_T3_PNSJ_ISO_E10value_typeET4_T5_PST_SU_PNS1_23onesweep_lookback_stateEbbT6_jjT7_P12ihipStream_tbENKUlT_T0_SI_SN_E_clIPtSD_S15_SD_EEDaS11_S12_SI_SN_EUlS11_E_NS1_11comp_targetILNS1_3genE3ELNS1_11target_archE908ELNS1_3gpuE7ELNS1_3repE0EEENS1_47radix_sort_onesweep_sort_config_static_selectorELNS0_4arch9wavefront6targetE1EEEvSI_.has_dyn_sized_stack, 0
	.set _ZN7rocprim17ROCPRIM_400000_NS6detail17trampoline_kernelINS0_14default_configENS1_35radix_sort_onesweep_config_selectorIttEEZZNS1_29radix_sort_onesweep_iterationIS3_Lb0EN6thrust23THRUST_200600_302600_NS6detail15normal_iteratorINS8_10device_ptrItEEEESD_SD_SD_jNS0_19identity_decomposerENS1_16block_id_wrapperIjLb1EEEEE10hipError_tT1_PNSt15iterator_traitsISI_E10value_typeET2_T3_PNSJ_ISO_E10value_typeET4_T5_PST_SU_PNS1_23onesweep_lookback_stateEbbT6_jjT7_P12ihipStream_tbENKUlT_T0_SI_SN_E_clIPtSD_S15_SD_EEDaS11_S12_SI_SN_EUlS11_E_NS1_11comp_targetILNS1_3genE3ELNS1_11target_archE908ELNS1_3gpuE7ELNS1_3repE0EEENS1_47radix_sort_onesweep_sort_config_static_selectorELNS0_4arch9wavefront6targetE1EEEvSI_.has_recursion, 0
	.set _ZN7rocprim17ROCPRIM_400000_NS6detail17trampoline_kernelINS0_14default_configENS1_35radix_sort_onesweep_config_selectorIttEEZZNS1_29radix_sort_onesweep_iterationIS3_Lb0EN6thrust23THRUST_200600_302600_NS6detail15normal_iteratorINS8_10device_ptrItEEEESD_SD_SD_jNS0_19identity_decomposerENS1_16block_id_wrapperIjLb1EEEEE10hipError_tT1_PNSt15iterator_traitsISI_E10value_typeET2_T3_PNSJ_ISO_E10value_typeET4_T5_PST_SU_PNS1_23onesweep_lookback_stateEbbT6_jjT7_P12ihipStream_tbENKUlT_T0_SI_SN_E_clIPtSD_S15_SD_EEDaS11_S12_SI_SN_EUlS11_E_NS1_11comp_targetILNS1_3genE3ELNS1_11target_archE908ELNS1_3gpuE7ELNS1_3repE0EEENS1_47radix_sort_onesweep_sort_config_static_selectorELNS0_4arch9wavefront6targetE1EEEvSI_.has_indirect_call, 0
	.section	.AMDGPU.csdata,"",@progbits
; Kernel info:
; codeLenInByte = 0
; TotalNumSgprs: 6
; NumVgprs: 0
; NumAgprs: 0
; TotalNumVgprs: 0
; ScratchSize: 0
; MemoryBound: 0
; FloatMode: 240
; IeeeMode: 1
; LDSByteSize: 0 bytes/workgroup (compile time only)
; SGPRBlocks: 0
; VGPRBlocks: 0
; NumSGPRsForWavesPerEU: 6
; NumVGPRsForWavesPerEU: 1
; AccumOffset: 4
; Occupancy: 8
; WaveLimiterHint : 0
; COMPUTE_PGM_RSRC2:SCRATCH_EN: 0
; COMPUTE_PGM_RSRC2:USER_SGPR: 2
; COMPUTE_PGM_RSRC2:TRAP_HANDLER: 0
; COMPUTE_PGM_RSRC2:TGID_X_EN: 1
; COMPUTE_PGM_RSRC2:TGID_Y_EN: 0
; COMPUTE_PGM_RSRC2:TGID_Z_EN: 0
; COMPUTE_PGM_RSRC2:TIDIG_COMP_CNT: 0
; COMPUTE_PGM_RSRC3_GFX90A:ACCUM_OFFSET: 0
; COMPUTE_PGM_RSRC3_GFX90A:TG_SPLIT: 0
	.section	.text._ZN7rocprim17ROCPRIM_400000_NS6detail17trampoline_kernelINS0_14default_configENS1_35radix_sort_onesweep_config_selectorIttEEZZNS1_29radix_sort_onesweep_iterationIS3_Lb0EN6thrust23THRUST_200600_302600_NS6detail15normal_iteratorINS8_10device_ptrItEEEESD_SD_SD_jNS0_19identity_decomposerENS1_16block_id_wrapperIjLb1EEEEE10hipError_tT1_PNSt15iterator_traitsISI_E10value_typeET2_T3_PNSJ_ISO_E10value_typeET4_T5_PST_SU_PNS1_23onesweep_lookback_stateEbbT6_jjT7_P12ihipStream_tbENKUlT_T0_SI_SN_E_clIPtSD_S15_SD_EEDaS11_S12_SI_SN_EUlS11_E_NS1_11comp_targetILNS1_3genE10ELNS1_11target_archE1201ELNS1_3gpuE5ELNS1_3repE0EEENS1_47radix_sort_onesweep_sort_config_static_selectorELNS0_4arch9wavefront6targetE1EEEvSI_,"axG",@progbits,_ZN7rocprim17ROCPRIM_400000_NS6detail17trampoline_kernelINS0_14default_configENS1_35radix_sort_onesweep_config_selectorIttEEZZNS1_29radix_sort_onesweep_iterationIS3_Lb0EN6thrust23THRUST_200600_302600_NS6detail15normal_iteratorINS8_10device_ptrItEEEESD_SD_SD_jNS0_19identity_decomposerENS1_16block_id_wrapperIjLb1EEEEE10hipError_tT1_PNSt15iterator_traitsISI_E10value_typeET2_T3_PNSJ_ISO_E10value_typeET4_T5_PST_SU_PNS1_23onesweep_lookback_stateEbbT6_jjT7_P12ihipStream_tbENKUlT_T0_SI_SN_E_clIPtSD_S15_SD_EEDaS11_S12_SI_SN_EUlS11_E_NS1_11comp_targetILNS1_3genE10ELNS1_11target_archE1201ELNS1_3gpuE5ELNS1_3repE0EEENS1_47radix_sort_onesweep_sort_config_static_selectorELNS0_4arch9wavefront6targetE1EEEvSI_,comdat
	.protected	_ZN7rocprim17ROCPRIM_400000_NS6detail17trampoline_kernelINS0_14default_configENS1_35radix_sort_onesweep_config_selectorIttEEZZNS1_29radix_sort_onesweep_iterationIS3_Lb0EN6thrust23THRUST_200600_302600_NS6detail15normal_iteratorINS8_10device_ptrItEEEESD_SD_SD_jNS0_19identity_decomposerENS1_16block_id_wrapperIjLb1EEEEE10hipError_tT1_PNSt15iterator_traitsISI_E10value_typeET2_T3_PNSJ_ISO_E10value_typeET4_T5_PST_SU_PNS1_23onesweep_lookback_stateEbbT6_jjT7_P12ihipStream_tbENKUlT_T0_SI_SN_E_clIPtSD_S15_SD_EEDaS11_S12_SI_SN_EUlS11_E_NS1_11comp_targetILNS1_3genE10ELNS1_11target_archE1201ELNS1_3gpuE5ELNS1_3repE0EEENS1_47radix_sort_onesweep_sort_config_static_selectorELNS0_4arch9wavefront6targetE1EEEvSI_ ; -- Begin function _ZN7rocprim17ROCPRIM_400000_NS6detail17trampoline_kernelINS0_14default_configENS1_35radix_sort_onesweep_config_selectorIttEEZZNS1_29radix_sort_onesweep_iterationIS3_Lb0EN6thrust23THRUST_200600_302600_NS6detail15normal_iteratorINS8_10device_ptrItEEEESD_SD_SD_jNS0_19identity_decomposerENS1_16block_id_wrapperIjLb1EEEEE10hipError_tT1_PNSt15iterator_traitsISI_E10value_typeET2_T3_PNSJ_ISO_E10value_typeET4_T5_PST_SU_PNS1_23onesweep_lookback_stateEbbT6_jjT7_P12ihipStream_tbENKUlT_T0_SI_SN_E_clIPtSD_S15_SD_EEDaS11_S12_SI_SN_EUlS11_E_NS1_11comp_targetILNS1_3genE10ELNS1_11target_archE1201ELNS1_3gpuE5ELNS1_3repE0EEENS1_47radix_sort_onesweep_sort_config_static_selectorELNS0_4arch9wavefront6targetE1EEEvSI_
	.globl	_ZN7rocprim17ROCPRIM_400000_NS6detail17trampoline_kernelINS0_14default_configENS1_35radix_sort_onesweep_config_selectorIttEEZZNS1_29radix_sort_onesweep_iterationIS3_Lb0EN6thrust23THRUST_200600_302600_NS6detail15normal_iteratorINS8_10device_ptrItEEEESD_SD_SD_jNS0_19identity_decomposerENS1_16block_id_wrapperIjLb1EEEEE10hipError_tT1_PNSt15iterator_traitsISI_E10value_typeET2_T3_PNSJ_ISO_E10value_typeET4_T5_PST_SU_PNS1_23onesweep_lookback_stateEbbT6_jjT7_P12ihipStream_tbENKUlT_T0_SI_SN_E_clIPtSD_S15_SD_EEDaS11_S12_SI_SN_EUlS11_E_NS1_11comp_targetILNS1_3genE10ELNS1_11target_archE1201ELNS1_3gpuE5ELNS1_3repE0EEENS1_47radix_sort_onesweep_sort_config_static_selectorELNS0_4arch9wavefront6targetE1EEEvSI_
	.p2align	8
	.type	_ZN7rocprim17ROCPRIM_400000_NS6detail17trampoline_kernelINS0_14default_configENS1_35radix_sort_onesweep_config_selectorIttEEZZNS1_29radix_sort_onesweep_iterationIS3_Lb0EN6thrust23THRUST_200600_302600_NS6detail15normal_iteratorINS8_10device_ptrItEEEESD_SD_SD_jNS0_19identity_decomposerENS1_16block_id_wrapperIjLb1EEEEE10hipError_tT1_PNSt15iterator_traitsISI_E10value_typeET2_T3_PNSJ_ISO_E10value_typeET4_T5_PST_SU_PNS1_23onesweep_lookback_stateEbbT6_jjT7_P12ihipStream_tbENKUlT_T0_SI_SN_E_clIPtSD_S15_SD_EEDaS11_S12_SI_SN_EUlS11_E_NS1_11comp_targetILNS1_3genE10ELNS1_11target_archE1201ELNS1_3gpuE5ELNS1_3repE0EEENS1_47radix_sort_onesweep_sort_config_static_selectorELNS0_4arch9wavefront6targetE1EEEvSI_,@function
_ZN7rocprim17ROCPRIM_400000_NS6detail17trampoline_kernelINS0_14default_configENS1_35radix_sort_onesweep_config_selectorIttEEZZNS1_29radix_sort_onesweep_iterationIS3_Lb0EN6thrust23THRUST_200600_302600_NS6detail15normal_iteratorINS8_10device_ptrItEEEESD_SD_SD_jNS0_19identity_decomposerENS1_16block_id_wrapperIjLb1EEEEE10hipError_tT1_PNSt15iterator_traitsISI_E10value_typeET2_T3_PNSJ_ISO_E10value_typeET4_T5_PST_SU_PNS1_23onesweep_lookback_stateEbbT6_jjT7_P12ihipStream_tbENKUlT_T0_SI_SN_E_clIPtSD_S15_SD_EEDaS11_S12_SI_SN_EUlS11_E_NS1_11comp_targetILNS1_3genE10ELNS1_11target_archE1201ELNS1_3gpuE5ELNS1_3repE0EEENS1_47radix_sort_onesweep_sort_config_static_selectorELNS0_4arch9wavefront6targetE1EEEvSI_: ; @_ZN7rocprim17ROCPRIM_400000_NS6detail17trampoline_kernelINS0_14default_configENS1_35radix_sort_onesweep_config_selectorIttEEZZNS1_29radix_sort_onesweep_iterationIS3_Lb0EN6thrust23THRUST_200600_302600_NS6detail15normal_iteratorINS8_10device_ptrItEEEESD_SD_SD_jNS0_19identity_decomposerENS1_16block_id_wrapperIjLb1EEEEE10hipError_tT1_PNSt15iterator_traitsISI_E10value_typeET2_T3_PNSJ_ISO_E10value_typeET4_T5_PST_SU_PNS1_23onesweep_lookback_stateEbbT6_jjT7_P12ihipStream_tbENKUlT_T0_SI_SN_E_clIPtSD_S15_SD_EEDaS11_S12_SI_SN_EUlS11_E_NS1_11comp_targetILNS1_3genE10ELNS1_11target_archE1201ELNS1_3gpuE5ELNS1_3repE0EEENS1_47radix_sort_onesweep_sort_config_static_selectorELNS0_4arch9wavefront6targetE1EEEvSI_
; %bb.0:
	.section	.rodata,"a",@progbits
	.p2align	6, 0x0
	.amdhsa_kernel _ZN7rocprim17ROCPRIM_400000_NS6detail17trampoline_kernelINS0_14default_configENS1_35radix_sort_onesweep_config_selectorIttEEZZNS1_29radix_sort_onesweep_iterationIS3_Lb0EN6thrust23THRUST_200600_302600_NS6detail15normal_iteratorINS8_10device_ptrItEEEESD_SD_SD_jNS0_19identity_decomposerENS1_16block_id_wrapperIjLb1EEEEE10hipError_tT1_PNSt15iterator_traitsISI_E10value_typeET2_T3_PNSJ_ISO_E10value_typeET4_T5_PST_SU_PNS1_23onesweep_lookback_stateEbbT6_jjT7_P12ihipStream_tbENKUlT_T0_SI_SN_E_clIPtSD_S15_SD_EEDaS11_S12_SI_SN_EUlS11_E_NS1_11comp_targetILNS1_3genE10ELNS1_11target_archE1201ELNS1_3gpuE5ELNS1_3repE0EEENS1_47radix_sort_onesweep_sort_config_static_selectorELNS0_4arch9wavefront6targetE1EEEvSI_
		.amdhsa_group_segment_fixed_size 0
		.amdhsa_private_segment_fixed_size 0
		.amdhsa_kernarg_size 88
		.amdhsa_user_sgpr_count 2
		.amdhsa_user_sgpr_dispatch_ptr 0
		.amdhsa_user_sgpr_queue_ptr 0
		.amdhsa_user_sgpr_kernarg_segment_ptr 1
		.amdhsa_user_sgpr_dispatch_id 0
		.amdhsa_user_sgpr_kernarg_preload_length 0
		.amdhsa_user_sgpr_kernarg_preload_offset 0
		.amdhsa_user_sgpr_private_segment_size 0
		.amdhsa_uses_dynamic_stack 0
		.amdhsa_enable_private_segment 0
		.amdhsa_system_sgpr_workgroup_id_x 1
		.amdhsa_system_sgpr_workgroup_id_y 0
		.amdhsa_system_sgpr_workgroup_id_z 0
		.amdhsa_system_sgpr_workgroup_info 0
		.amdhsa_system_vgpr_workitem_id 0
		.amdhsa_next_free_vgpr 1
		.amdhsa_next_free_sgpr 0
		.amdhsa_accum_offset 4
		.amdhsa_reserve_vcc 0
		.amdhsa_float_round_mode_32 0
		.amdhsa_float_round_mode_16_64 0
		.amdhsa_float_denorm_mode_32 3
		.amdhsa_float_denorm_mode_16_64 3
		.amdhsa_dx10_clamp 1
		.amdhsa_ieee_mode 1
		.amdhsa_fp16_overflow 0
		.amdhsa_tg_split 0
		.amdhsa_exception_fp_ieee_invalid_op 0
		.amdhsa_exception_fp_denorm_src 0
		.amdhsa_exception_fp_ieee_div_zero 0
		.amdhsa_exception_fp_ieee_overflow 0
		.amdhsa_exception_fp_ieee_underflow 0
		.amdhsa_exception_fp_ieee_inexact 0
		.amdhsa_exception_int_div_zero 0
	.end_amdhsa_kernel
	.section	.text._ZN7rocprim17ROCPRIM_400000_NS6detail17trampoline_kernelINS0_14default_configENS1_35radix_sort_onesweep_config_selectorIttEEZZNS1_29radix_sort_onesweep_iterationIS3_Lb0EN6thrust23THRUST_200600_302600_NS6detail15normal_iteratorINS8_10device_ptrItEEEESD_SD_SD_jNS0_19identity_decomposerENS1_16block_id_wrapperIjLb1EEEEE10hipError_tT1_PNSt15iterator_traitsISI_E10value_typeET2_T3_PNSJ_ISO_E10value_typeET4_T5_PST_SU_PNS1_23onesweep_lookback_stateEbbT6_jjT7_P12ihipStream_tbENKUlT_T0_SI_SN_E_clIPtSD_S15_SD_EEDaS11_S12_SI_SN_EUlS11_E_NS1_11comp_targetILNS1_3genE10ELNS1_11target_archE1201ELNS1_3gpuE5ELNS1_3repE0EEENS1_47radix_sort_onesweep_sort_config_static_selectorELNS0_4arch9wavefront6targetE1EEEvSI_,"axG",@progbits,_ZN7rocprim17ROCPRIM_400000_NS6detail17trampoline_kernelINS0_14default_configENS1_35radix_sort_onesweep_config_selectorIttEEZZNS1_29radix_sort_onesweep_iterationIS3_Lb0EN6thrust23THRUST_200600_302600_NS6detail15normal_iteratorINS8_10device_ptrItEEEESD_SD_SD_jNS0_19identity_decomposerENS1_16block_id_wrapperIjLb1EEEEE10hipError_tT1_PNSt15iterator_traitsISI_E10value_typeET2_T3_PNSJ_ISO_E10value_typeET4_T5_PST_SU_PNS1_23onesweep_lookback_stateEbbT6_jjT7_P12ihipStream_tbENKUlT_T0_SI_SN_E_clIPtSD_S15_SD_EEDaS11_S12_SI_SN_EUlS11_E_NS1_11comp_targetILNS1_3genE10ELNS1_11target_archE1201ELNS1_3gpuE5ELNS1_3repE0EEENS1_47radix_sort_onesweep_sort_config_static_selectorELNS0_4arch9wavefront6targetE1EEEvSI_,comdat
.Lfunc_end998:
	.size	_ZN7rocprim17ROCPRIM_400000_NS6detail17trampoline_kernelINS0_14default_configENS1_35radix_sort_onesweep_config_selectorIttEEZZNS1_29radix_sort_onesweep_iterationIS3_Lb0EN6thrust23THRUST_200600_302600_NS6detail15normal_iteratorINS8_10device_ptrItEEEESD_SD_SD_jNS0_19identity_decomposerENS1_16block_id_wrapperIjLb1EEEEE10hipError_tT1_PNSt15iterator_traitsISI_E10value_typeET2_T3_PNSJ_ISO_E10value_typeET4_T5_PST_SU_PNS1_23onesweep_lookback_stateEbbT6_jjT7_P12ihipStream_tbENKUlT_T0_SI_SN_E_clIPtSD_S15_SD_EEDaS11_S12_SI_SN_EUlS11_E_NS1_11comp_targetILNS1_3genE10ELNS1_11target_archE1201ELNS1_3gpuE5ELNS1_3repE0EEENS1_47radix_sort_onesweep_sort_config_static_selectorELNS0_4arch9wavefront6targetE1EEEvSI_, .Lfunc_end998-_ZN7rocprim17ROCPRIM_400000_NS6detail17trampoline_kernelINS0_14default_configENS1_35radix_sort_onesweep_config_selectorIttEEZZNS1_29radix_sort_onesweep_iterationIS3_Lb0EN6thrust23THRUST_200600_302600_NS6detail15normal_iteratorINS8_10device_ptrItEEEESD_SD_SD_jNS0_19identity_decomposerENS1_16block_id_wrapperIjLb1EEEEE10hipError_tT1_PNSt15iterator_traitsISI_E10value_typeET2_T3_PNSJ_ISO_E10value_typeET4_T5_PST_SU_PNS1_23onesweep_lookback_stateEbbT6_jjT7_P12ihipStream_tbENKUlT_T0_SI_SN_E_clIPtSD_S15_SD_EEDaS11_S12_SI_SN_EUlS11_E_NS1_11comp_targetILNS1_3genE10ELNS1_11target_archE1201ELNS1_3gpuE5ELNS1_3repE0EEENS1_47radix_sort_onesweep_sort_config_static_selectorELNS0_4arch9wavefront6targetE1EEEvSI_
                                        ; -- End function
	.set _ZN7rocprim17ROCPRIM_400000_NS6detail17trampoline_kernelINS0_14default_configENS1_35radix_sort_onesweep_config_selectorIttEEZZNS1_29radix_sort_onesweep_iterationIS3_Lb0EN6thrust23THRUST_200600_302600_NS6detail15normal_iteratorINS8_10device_ptrItEEEESD_SD_SD_jNS0_19identity_decomposerENS1_16block_id_wrapperIjLb1EEEEE10hipError_tT1_PNSt15iterator_traitsISI_E10value_typeET2_T3_PNSJ_ISO_E10value_typeET4_T5_PST_SU_PNS1_23onesweep_lookback_stateEbbT6_jjT7_P12ihipStream_tbENKUlT_T0_SI_SN_E_clIPtSD_S15_SD_EEDaS11_S12_SI_SN_EUlS11_E_NS1_11comp_targetILNS1_3genE10ELNS1_11target_archE1201ELNS1_3gpuE5ELNS1_3repE0EEENS1_47radix_sort_onesweep_sort_config_static_selectorELNS0_4arch9wavefront6targetE1EEEvSI_.num_vgpr, 0
	.set _ZN7rocprim17ROCPRIM_400000_NS6detail17trampoline_kernelINS0_14default_configENS1_35radix_sort_onesweep_config_selectorIttEEZZNS1_29radix_sort_onesweep_iterationIS3_Lb0EN6thrust23THRUST_200600_302600_NS6detail15normal_iteratorINS8_10device_ptrItEEEESD_SD_SD_jNS0_19identity_decomposerENS1_16block_id_wrapperIjLb1EEEEE10hipError_tT1_PNSt15iterator_traitsISI_E10value_typeET2_T3_PNSJ_ISO_E10value_typeET4_T5_PST_SU_PNS1_23onesweep_lookback_stateEbbT6_jjT7_P12ihipStream_tbENKUlT_T0_SI_SN_E_clIPtSD_S15_SD_EEDaS11_S12_SI_SN_EUlS11_E_NS1_11comp_targetILNS1_3genE10ELNS1_11target_archE1201ELNS1_3gpuE5ELNS1_3repE0EEENS1_47radix_sort_onesweep_sort_config_static_selectorELNS0_4arch9wavefront6targetE1EEEvSI_.num_agpr, 0
	.set _ZN7rocprim17ROCPRIM_400000_NS6detail17trampoline_kernelINS0_14default_configENS1_35radix_sort_onesweep_config_selectorIttEEZZNS1_29radix_sort_onesweep_iterationIS3_Lb0EN6thrust23THRUST_200600_302600_NS6detail15normal_iteratorINS8_10device_ptrItEEEESD_SD_SD_jNS0_19identity_decomposerENS1_16block_id_wrapperIjLb1EEEEE10hipError_tT1_PNSt15iterator_traitsISI_E10value_typeET2_T3_PNSJ_ISO_E10value_typeET4_T5_PST_SU_PNS1_23onesweep_lookback_stateEbbT6_jjT7_P12ihipStream_tbENKUlT_T0_SI_SN_E_clIPtSD_S15_SD_EEDaS11_S12_SI_SN_EUlS11_E_NS1_11comp_targetILNS1_3genE10ELNS1_11target_archE1201ELNS1_3gpuE5ELNS1_3repE0EEENS1_47radix_sort_onesweep_sort_config_static_selectorELNS0_4arch9wavefront6targetE1EEEvSI_.numbered_sgpr, 0
	.set _ZN7rocprim17ROCPRIM_400000_NS6detail17trampoline_kernelINS0_14default_configENS1_35radix_sort_onesweep_config_selectorIttEEZZNS1_29radix_sort_onesweep_iterationIS3_Lb0EN6thrust23THRUST_200600_302600_NS6detail15normal_iteratorINS8_10device_ptrItEEEESD_SD_SD_jNS0_19identity_decomposerENS1_16block_id_wrapperIjLb1EEEEE10hipError_tT1_PNSt15iterator_traitsISI_E10value_typeET2_T3_PNSJ_ISO_E10value_typeET4_T5_PST_SU_PNS1_23onesweep_lookback_stateEbbT6_jjT7_P12ihipStream_tbENKUlT_T0_SI_SN_E_clIPtSD_S15_SD_EEDaS11_S12_SI_SN_EUlS11_E_NS1_11comp_targetILNS1_3genE10ELNS1_11target_archE1201ELNS1_3gpuE5ELNS1_3repE0EEENS1_47radix_sort_onesweep_sort_config_static_selectorELNS0_4arch9wavefront6targetE1EEEvSI_.num_named_barrier, 0
	.set _ZN7rocprim17ROCPRIM_400000_NS6detail17trampoline_kernelINS0_14default_configENS1_35radix_sort_onesweep_config_selectorIttEEZZNS1_29radix_sort_onesweep_iterationIS3_Lb0EN6thrust23THRUST_200600_302600_NS6detail15normal_iteratorINS8_10device_ptrItEEEESD_SD_SD_jNS0_19identity_decomposerENS1_16block_id_wrapperIjLb1EEEEE10hipError_tT1_PNSt15iterator_traitsISI_E10value_typeET2_T3_PNSJ_ISO_E10value_typeET4_T5_PST_SU_PNS1_23onesweep_lookback_stateEbbT6_jjT7_P12ihipStream_tbENKUlT_T0_SI_SN_E_clIPtSD_S15_SD_EEDaS11_S12_SI_SN_EUlS11_E_NS1_11comp_targetILNS1_3genE10ELNS1_11target_archE1201ELNS1_3gpuE5ELNS1_3repE0EEENS1_47radix_sort_onesweep_sort_config_static_selectorELNS0_4arch9wavefront6targetE1EEEvSI_.private_seg_size, 0
	.set _ZN7rocprim17ROCPRIM_400000_NS6detail17trampoline_kernelINS0_14default_configENS1_35radix_sort_onesweep_config_selectorIttEEZZNS1_29radix_sort_onesweep_iterationIS3_Lb0EN6thrust23THRUST_200600_302600_NS6detail15normal_iteratorINS8_10device_ptrItEEEESD_SD_SD_jNS0_19identity_decomposerENS1_16block_id_wrapperIjLb1EEEEE10hipError_tT1_PNSt15iterator_traitsISI_E10value_typeET2_T3_PNSJ_ISO_E10value_typeET4_T5_PST_SU_PNS1_23onesweep_lookback_stateEbbT6_jjT7_P12ihipStream_tbENKUlT_T0_SI_SN_E_clIPtSD_S15_SD_EEDaS11_S12_SI_SN_EUlS11_E_NS1_11comp_targetILNS1_3genE10ELNS1_11target_archE1201ELNS1_3gpuE5ELNS1_3repE0EEENS1_47radix_sort_onesweep_sort_config_static_selectorELNS0_4arch9wavefront6targetE1EEEvSI_.uses_vcc, 0
	.set _ZN7rocprim17ROCPRIM_400000_NS6detail17trampoline_kernelINS0_14default_configENS1_35radix_sort_onesweep_config_selectorIttEEZZNS1_29radix_sort_onesweep_iterationIS3_Lb0EN6thrust23THRUST_200600_302600_NS6detail15normal_iteratorINS8_10device_ptrItEEEESD_SD_SD_jNS0_19identity_decomposerENS1_16block_id_wrapperIjLb1EEEEE10hipError_tT1_PNSt15iterator_traitsISI_E10value_typeET2_T3_PNSJ_ISO_E10value_typeET4_T5_PST_SU_PNS1_23onesweep_lookback_stateEbbT6_jjT7_P12ihipStream_tbENKUlT_T0_SI_SN_E_clIPtSD_S15_SD_EEDaS11_S12_SI_SN_EUlS11_E_NS1_11comp_targetILNS1_3genE10ELNS1_11target_archE1201ELNS1_3gpuE5ELNS1_3repE0EEENS1_47radix_sort_onesweep_sort_config_static_selectorELNS0_4arch9wavefront6targetE1EEEvSI_.uses_flat_scratch, 0
	.set _ZN7rocprim17ROCPRIM_400000_NS6detail17trampoline_kernelINS0_14default_configENS1_35radix_sort_onesweep_config_selectorIttEEZZNS1_29radix_sort_onesweep_iterationIS3_Lb0EN6thrust23THRUST_200600_302600_NS6detail15normal_iteratorINS8_10device_ptrItEEEESD_SD_SD_jNS0_19identity_decomposerENS1_16block_id_wrapperIjLb1EEEEE10hipError_tT1_PNSt15iterator_traitsISI_E10value_typeET2_T3_PNSJ_ISO_E10value_typeET4_T5_PST_SU_PNS1_23onesweep_lookback_stateEbbT6_jjT7_P12ihipStream_tbENKUlT_T0_SI_SN_E_clIPtSD_S15_SD_EEDaS11_S12_SI_SN_EUlS11_E_NS1_11comp_targetILNS1_3genE10ELNS1_11target_archE1201ELNS1_3gpuE5ELNS1_3repE0EEENS1_47radix_sort_onesweep_sort_config_static_selectorELNS0_4arch9wavefront6targetE1EEEvSI_.has_dyn_sized_stack, 0
	.set _ZN7rocprim17ROCPRIM_400000_NS6detail17trampoline_kernelINS0_14default_configENS1_35radix_sort_onesweep_config_selectorIttEEZZNS1_29radix_sort_onesweep_iterationIS3_Lb0EN6thrust23THRUST_200600_302600_NS6detail15normal_iteratorINS8_10device_ptrItEEEESD_SD_SD_jNS0_19identity_decomposerENS1_16block_id_wrapperIjLb1EEEEE10hipError_tT1_PNSt15iterator_traitsISI_E10value_typeET2_T3_PNSJ_ISO_E10value_typeET4_T5_PST_SU_PNS1_23onesweep_lookback_stateEbbT6_jjT7_P12ihipStream_tbENKUlT_T0_SI_SN_E_clIPtSD_S15_SD_EEDaS11_S12_SI_SN_EUlS11_E_NS1_11comp_targetILNS1_3genE10ELNS1_11target_archE1201ELNS1_3gpuE5ELNS1_3repE0EEENS1_47radix_sort_onesweep_sort_config_static_selectorELNS0_4arch9wavefront6targetE1EEEvSI_.has_recursion, 0
	.set _ZN7rocprim17ROCPRIM_400000_NS6detail17trampoline_kernelINS0_14default_configENS1_35radix_sort_onesweep_config_selectorIttEEZZNS1_29radix_sort_onesweep_iterationIS3_Lb0EN6thrust23THRUST_200600_302600_NS6detail15normal_iteratorINS8_10device_ptrItEEEESD_SD_SD_jNS0_19identity_decomposerENS1_16block_id_wrapperIjLb1EEEEE10hipError_tT1_PNSt15iterator_traitsISI_E10value_typeET2_T3_PNSJ_ISO_E10value_typeET4_T5_PST_SU_PNS1_23onesweep_lookback_stateEbbT6_jjT7_P12ihipStream_tbENKUlT_T0_SI_SN_E_clIPtSD_S15_SD_EEDaS11_S12_SI_SN_EUlS11_E_NS1_11comp_targetILNS1_3genE10ELNS1_11target_archE1201ELNS1_3gpuE5ELNS1_3repE0EEENS1_47radix_sort_onesweep_sort_config_static_selectorELNS0_4arch9wavefront6targetE1EEEvSI_.has_indirect_call, 0
	.section	.AMDGPU.csdata,"",@progbits
; Kernel info:
; codeLenInByte = 0
; TotalNumSgprs: 6
; NumVgprs: 0
; NumAgprs: 0
; TotalNumVgprs: 0
; ScratchSize: 0
; MemoryBound: 0
; FloatMode: 240
; IeeeMode: 1
; LDSByteSize: 0 bytes/workgroup (compile time only)
; SGPRBlocks: 0
; VGPRBlocks: 0
; NumSGPRsForWavesPerEU: 6
; NumVGPRsForWavesPerEU: 1
; AccumOffset: 4
; Occupancy: 8
; WaveLimiterHint : 0
; COMPUTE_PGM_RSRC2:SCRATCH_EN: 0
; COMPUTE_PGM_RSRC2:USER_SGPR: 2
; COMPUTE_PGM_RSRC2:TRAP_HANDLER: 0
; COMPUTE_PGM_RSRC2:TGID_X_EN: 1
; COMPUTE_PGM_RSRC2:TGID_Y_EN: 0
; COMPUTE_PGM_RSRC2:TGID_Z_EN: 0
; COMPUTE_PGM_RSRC2:TIDIG_COMP_CNT: 0
; COMPUTE_PGM_RSRC3_GFX90A:ACCUM_OFFSET: 0
; COMPUTE_PGM_RSRC3_GFX90A:TG_SPLIT: 0
	.section	.text._ZN7rocprim17ROCPRIM_400000_NS6detail17trampoline_kernelINS0_14default_configENS1_35radix_sort_onesweep_config_selectorIttEEZZNS1_29radix_sort_onesweep_iterationIS3_Lb0EN6thrust23THRUST_200600_302600_NS6detail15normal_iteratorINS8_10device_ptrItEEEESD_SD_SD_jNS0_19identity_decomposerENS1_16block_id_wrapperIjLb1EEEEE10hipError_tT1_PNSt15iterator_traitsISI_E10value_typeET2_T3_PNSJ_ISO_E10value_typeET4_T5_PST_SU_PNS1_23onesweep_lookback_stateEbbT6_jjT7_P12ihipStream_tbENKUlT_T0_SI_SN_E_clIPtSD_S15_SD_EEDaS11_S12_SI_SN_EUlS11_E_NS1_11comp_targetILNS1_3genE9ELNS1_11target_archE1100ELNS1_3gpuE3ELNS1_3repE0EEENS1_47radix_sort_onesweep_sort_config_static_selectorELNS0_4arch9wavefront6targetE1EEEvSI_,"axG",@progbits,_ZN7rocprim17ROCPRIM_400000_NS6detail17trampoline_kernelINS0_14default_configENS1_35radix_sort_onesweep_config_selectorIttEEZZNS1_29radix_sort_onesweep_iterationIS3_Lb0EN6thrust23THRUST_200600_302600_NS6detail15normal_iteratorINS8_10device_ptrItEEEESD_SD_SD_jNS0_19identity_decomposerENS1_16block_id_wrapperIjLb1EEEEE10hipError_tT1_PNSt15iterator_traitsISI_E10value_typeET2_T3_PNSJ_ISO_E10value_typeET4_T5_PST_SU_PNS1_23onesweep_lookback_stateEbbT6_jjT7_P12ihipStream_tbENKUlT_T0_SI_SN_E_clIPtSD_S15_SD_EEDaS11_S12_SI_SN_EUlS11_E_NS1_11comp_targetILNS1_3genE9ELNS1_11target_archE1100ELNS1_3gpuE3ELNS1_3repE0EEENS1_47radix_sort_onesweep_sort_config_static_selectorELNS0_4arch9wavefront6targetE1EEEvSI_,comdat
	.protected	_ZN7rocprim17ROCPRIM_400000_NS6detail17trampoline_kernelINS0_14default_configENS1_35radix_sort_onesweep_config_selectorIttEEZZNS1_29radix_sort_onesweep_iterationIS3_Lb0EN6thrust23THRUST_200600_302600_NS6detail15normal_iteratorINS8_10device_ptrItEEEESD_SD_SD_jNS0_19identity_decomposerENS1_16block_id_wrapperIjLb1EEEEE10hipError_tT1_PNSt15iterator_traitsISI_E10value_typeET2_T3_PNSJ_ISO_E10value_typeET4_T5_PST_SU_PNS1_23onesweep_lookback_stateEbbT6_jjT7_P12ihipStream_tbENKUlT_T0_SI_SN_E_clIPtSD_S15_SD_EEDaS11_S12_SI_SN_EUlS11_E_NS1_11comp_targetILNS1_3genE9ELNS1_11target_archE1100ELNS1_3gpuE3ELNS1_3repE0EEENS1_47radix_sort_onesweep_sort_config_static_selectorELNS0_4arch9wavefront6targetE1EEEvSI_ ; -- Begin function _ZN7rocprim17ROCPRIM_400000_NS6detail17trampoline_kernelINS0_14default_configENS1_35radix_sort_onesweep_config_selectorIttEEZZNS1_29radix_sort_onesweep_iterationIS3_Lb0EN6thrust23THRUST_200600_302600_NS6detail15normal_iteratorINS8_10device_ptrItEEEESD_SD_SD_jNS0_19identity_decomposerENS1_16block_id_wrapperIjLb1EEEEE10hipError_tT1_PNSt15iterator_traitsISI_E10value_typeET2_T3_PNSJ_ISO_E10value_typeET4_T5_PST_SU_PNS1_23onesweep_lookback_stateEbbT6_jjT7_P12ihipStream_tbENKUlT_T0_SI_SN_E_clIPtSD_S15_SD_EEDaS11_S12_SI_SN_EUlS11_E_NS1_11comp_targetILNS1_3genE9ELNS1_11target_archE1100ELNS1_3gpuE3ELNS1_3repE0EEENS1_47radix_sort_onesweep_sort_config_static_selectorELNS0_4arch9wavefront6targetE1EEEvSI_
	.globl	_ZN7rocprim17ROCPRIM_400000_NS6detail17trampoline_kernelINS0_14default_configENS1_35radix_sort_onesweep_config_selectorIttEEZZNS1_29radix_sort_onesweep_iterationIS3_Lb0EN6thrust23THRUST_200600_302600_NS6detail15normal_iteratorINS8_10device_ptrItEEEESD_SD_SD_jNS0_19identity_decomposerENS1_16block_id_wrapperIjLb1EEEEE10hipError_tT1_PNSt15iterator_traitsISI_E10value_typeET2_T3_PNSJ_ISO_E10value_typeET4_T5_PST_SU_PNS1_23onesweep_lookback_stateEbbT6_jjT7_P12ihipStream_tbENKUlT_T0_SI_SN_E_clIPtSD_S15_SD_EEDaS11_S12_SI_SN_EUlS11_E_NS1_11comp_targetILNS1_3genE9ELNS1_11target_archE1100ELNS1_3gpuE3ELNS1_3repE0EEENS1_47radix_sort_onesweep_sort_config_static_selectorELNS0_4arch9wavefront6targetE1EEEvSI_
	.p2align	8
	.type	_ZN7rocprim17ROCPRIM_400000_NS6detail17trampoline_kernelINS0_14default_configENS1_35radix_sort_onesweep_config_selectorIttEEZZNS1_29radix_sort_onesweep_iterationIS3_Lb0EN6thrust23THRUST_200600_302600_NS6detail15normal_iteratorINS8_10device_ptrItEEEESD_SD_SD_jNS0_19identity_decomposerENS1_16block_id_wrapperIjLb1EEEEE10hipError_tT1_PNSt15iterator_traitsISI_E10value_typeET2_T3_PNSJ_ISO_E10value_typeET4_T5_PST_SU_PNS1_23onesweep_lookback_stateEbbT6_jjT7_P12ihipStream_tbENKUlT_T0_SI_SN_E_clIPtSD_S15_SD_EEDaS11_S12_SI_SN_EUlS11_E_NS1_11comp_targetILNS1_3genE9ELNS1_11target_archE1100ELNS1_3gpuE3ELNS1_3repE0EEENS1_47radix_sort_onesweep_sort_config_static_selectorELNS0_4arch9wavefront6targetE1EEEvSI_,@function
_ZN7rocprim17ROCPRIM_400000_NS6detail17trampoline_kernelINS0_14default_configENS1_35radix_sort_onesweep_config_selectorIttEEZZNS1_29radix_sort_onesweep_iterationIS3_Lb0EN6thrust23THRUST_200600_302600_NS6detail15normal_iteratorINS8_10device_ptrItEEEESD_SD_SD_jNS0_19identity_decomposerENS1_16block_id_wrapperIjLb1EEEEE10hipError_tT1_PNSt15iterator_traitsISI_E10value_typeET2_T3_PNSJ_ISO_E10value_typeET4_T5_PST_SU_PNS1_23onesweep_lookback_stateEbbT6_jjT7_P12ihipStream_tbENKUlT_T0_SI_SN_E_clIPtSD_S15_SD_EEDaS11_S12_SI_SN_EUlS11_E_NS1_11comp_targetILNS1_3genE9ELNS1_11target_archE1100ELNS1_3gpuE3ELNS1_3repE0EEENS1_47radix_sort_onesweep_sort_config_static_selectorELNS0_4arch9wavefront6targetE1EEEvSI_: ; @_ZN7rocprim17ROCPRIM_400000_NS6detail17trampoline_kernelINS0_14default_configENS1_35radix_sort_onesweep_config_selectorIttEEZZNS1_29radix_sort_onesweep_iterationIS3_Lb0EN6thrust23THRUST_200600_302600_NS6detail15normal_iteratorINS8_10device_ptrItEEEESD_SD_SD_jNS0_19identity_decomposerENS1_16block_id_wrapperIjLb1EEEEE10hipError_tT1_PNSt15iterator_traitsISI_E10value_typeET2_T3_PNSJ_ISO_E10value_typeET4_T5_PST_SU_PNS1_23onesweep_lookback_stateEbbT6_jjT7_P12ihipStream_tbENKUlT_T0_SI_SN_E_clIPtSD_S15_SD_EEDaS11_S12_SI_SN_EUlS11_E_NS1_11comp_targetILNS1_3genE9ELNS1_11target_archE1100ELNS1_3gpuE3ELNS1_3repE0EEENS1_47radix_sort_onesweep_sort_config_static_selectorELNS0_4arch9wavefront6targetE1EEEvSI_
; %bb.0:
	.section	.rodata,"a",@progbits
	.p2align	6, 0x0
	.amdhsa_kernel _ZN7rocprim17ROCPRIM_400000_NS6detail17trampoline_kernelINS0_14default_configENS1_35radix_sort_onesweep_config_selectorIttEEZZNS1_29radix_sort_onesweep_iterationIS3_Lb0EN6thrust23THRUST_200600_302600_NS6detail15normal_iteratorINS8_10device_ptrItEEEESD_SD_SD_jNS0_19identity_decomposerENS1_16block_id_wrapperIjLb1EEEEE10hipError_tT1_PNSt15iterator_traitsISI_E10value_typeET2_T3_PNSJ_ISO_E10value_typeET4_T5_PST_SU_PNS1_23onesweep_lookback_stateEbbT6_jjT7_P12ihipStream_tbENKUlT_T0_SI_SN_E_clIPtSD_S15_SD_EEDaS11_S12_SI_SN_EUlS11_E_NS1_11comp_targetILNS1_3genE9ELNS1_11target_archE1100ELNS1_3gpuE3ELNS1_3repE0EEENS1_47radix_sort_onesweep_sort_config_static_selectorELNS0_4arch9wavefront6targetE1EEEvSI_
		.amdhsa_group_segment_fixed_size 0
		.amdhsa_private_segment_fixed_size 0
		.amdhsa_kernarg_size 88
		.amdhsa_user_sgpr_count 2
		.amdhsa_user_sgpr_dispatch_ptr 0
		.amdhsa_user_sgpr_queue_ptr 0
		.amdhsa_user_sgpr_kernarg_segment_ptr 1
		.amdhsa_user_sgpr_dispatch_id 0
		.amdhsa_user_sgpr_kernarg_preload_length 0
		.amdhsa_user_sgpr_kernarg_preload_offset 0
		.amdhsa_user_sgpr_private_segment_size 0
		.amdhsa_uses_dynamic_stack 0
		.amdhsa_enable_private_segment 0
		.amdhsa_system_sgpr_workgroup_id_x 1
		.amdhsa_system_sgpr_workgroup_id_y 0
		.amdhsa_system_sgpr_workgroup_id_z 0
		.amdhsa_system_sgpr_workgroup_info 0
		.amdhsa_system_vgpr_workitem_id 0
		.amdhsa_next_free_vgpr 1
		.amdhsa_next_free_sgpr 0
		.amdhsa_accum_offset 4
		.amdhsa_reserve_vcc 0
		.amdhsa_float_round_mode_32 0
		.amdhsa_float_round_mode_16_64 0
		.amdhsa_float_denorm_mode_32 3
		.amdhsa_float_denorm_mode_16_64 3
		.amdhsa_dx10_clamp 1
		.amdhsa_ieee_mode 1
		.amdhsa_fp16_overflow 0
		.amdhsa_tg_split 0
		.amdhsa_exception_fp_ieee_invalid_op 0
		.amdhsa_exception_fp_denorm_src 0
		.amdhsa_exception_fp_ieee_div_zero 0
		.amdhsa_exception_fp_ieee_overflow 0
		.amdhsa_exception_fp_ieee_underflow 0
		.amdhsa_exception_fp_ieee_inexact 0
		.amdhsa_exception_int_div_zero 0
	.end_amdhsa_kernel
	.section	.text._ZN7rocprim17ROCPRIM_400000_NS6detail17trampoline_kernelINS0_14default_configENS1_35radix_sort_onesweep_config_selectorIttEEZZNS1_29radix_sort_onesweep_iterationIS3_Lb0EN6thrust23THRUST_200600_302600_NS6detail15normal_iteratorINS8_10device_ptrItEEEESD_SD_SD_jNS0_19identity_decomposerENS1_16block_id_wrapperIjLb1EEEEE10hipError_tT1_PNSt15iterator_traitsISI_E10value_typeET2_T3_PNSJ_ISO_E10value_typeET4_T5_PST_SU_PNS1_23onesweep_lookback_stateEbbT6_jjT7_P12ihipStream_tbENKUlT_T0_SI_SN_E_clIPtSD_S15_SD_EEDaS11_S12_SI_SN_EUlS11_E_NS1_11comp_targetILNS1_3genE9ELNS1_11target_archE1100ELNS1_3gpuE3ELNS1_3repE0EEENS1_47radix_sort_onesweep_sort_config_static_selectorELNS0_4arch9wavefront6targetE1EEEvSI_,"axG",@progbits,_ZN7rocprim17ROCPRIM_400000_NS6detail17trampoline_kernelINS0_14default_configENS1_35radix_sort_onesweep_config_selectorIttEEZZNS1_29radix_sort_onesweep_iterationIS3_Lb0EN6thrust23THRUST_200600_302600_NS6detail15normal_iteratorINS8_10device_ptrItEEEESD_SD_SD_jNS0_19identity_decomposerENS1_16block_id_wrapperIjLb1EEEEE10hipError_tT1_PNSt15iterator_traitsISI_E10value_typeET2_T3_PNSJ_ISO_E10value_typeET4_T5_PST_SU_PNS1_23onesweep_lookback_stateEbbT6_jjT7_P12ihipStream_tbENKUlT_T0_SI_SN_E_clIPtSD_S15_SD_EEDaS11_S12_SI_SN_EUlS11_E_NS1_11comp_targetILNS1_3genE9ELNS1_11target_archE1100ELNS1_3gpuE3ELNS1_3repE0EEENS1_47radix_sort_onesweep_sort_config_static_selectorELNS0_4arch9wavefront6targetE1EEEvSI_,comdat
.Lfunc_end999:
	.size	_ZN7rocprim17ROCPRIM_400000_NS6detail17trampoline_kernelINS0_14default_configENS1_35radix_sort_onesweep_config_selectorIttEEZZNS1_29radix_sort_onesweep_iterationIS3_Lb0EN6thrust23THRUST_200600_302600_NS6detail15normal_iteratorINS8_10device_ptrItEEEESD_SD_SD_jNS0_19identity_decomposerENS1_16block_id_wrapperIjLb1EEEEE10hipError_tT1_PNSt15iterator_traitsISI_E10value_typeET2_T3_PNSJ_ISO_E10value_typeET4_T5_PST_SU_PNS1_23onesweep_lookback_stateEbbT6_jjT7_P12ihipStream_tbENKUlT_T0_SI_SN_E_clIPtSD_S15_SD_EEDaS11_S12_SI_SN_EUlS11_E_NS1_11comp_targetILNS1_3genE9ELNS1_11target_archE1100ELNS1_3gpuE3ELNS1_3repE0EEENS1_47radix_sort_onesweep_sort_config_static_selectorELNS0_4arch9wavefront6targetE1EEEvSI_, .Lfunc_end999-_ZN7rocprim17ROCPRIM_400000_NS6detail17trampoline_kernelINS0_14default_configENS1_35radix_sort_onesweep_config_selectorIttEEZZNS1_29radix_sort_onesweep_iterationIS3_Lb0EN6thrust23THRUST_200600_302600_NS6detail15normal_iteratorINS8_10device_ptrItEEEESD_SD_SD_jNS0_19identity_decomposerENS1_16block_id_wrapperIjLb1EEEEE10hipError_tT1_PNSt15iterator_traitsISI_E10value_typeET2_T3_PNSJ_ISO_E10value_typeET4_T5_PST_SU_PNS1_23onesweep_lookback_stateEbbT6_jjT7_P12ihipStream_tbENKUlT_T0_SI_SN_E_clIPtSD_S15_SD_EEDaS11_S12_SI_SN_EUlS11_E_NS1_11comp_targetILNS1_3genE9ELNS1_11target_archE1100ELNS1_3gpuE3ELNS1_3repE0EEENS1_47radix_sort_onesweep_sort_config_static_selectorELNS0_4arch9wavefront6targetE1EEEvSI_
                                        ; -- End function
	.set _ZN7rocprim17ROCPRIM_400000_NS6detail17trampoline_kernelINS0_14default_configENS1_35radix_sort_onesweep_config_selectorIttEEZZNS1_29radix_sort_onesweep_iterationIS3_Lb0EN6thrust23THRUST_200600_302600_NS6detail15normal_iteratorINS8_10device_ptrItEEEESD_SD_SD_jNS0_19identity_decomposerENS1_16block_id_wrapperIjLb1EEEEE10hipError_tT1_PNSt15iterator_traitsISI_E10value_typeET2_T3_PNSJ_ISO_E10value_typeET4_T5_PST_SU_PNS1_23onesweep_lookback_stateEbbT6_jjT7_P12ihipStream_tbENKUlT_T0_SI_SN_E_clIPtSD_S15_SD_EEDaS11_S12_SI_SN_EUlS11_E_NS1_11comp_targetILNS1_3genE9ELNS1_11target_archE1100ELNS1_3gpuE3ELNS1_3repE0EEENS1_47radix_sort_onesweep_sort_config_static_selectorELNS0_4arch9wavefront6targetE1EEEvSI_.num_vgpr, 0
	.set _ZN7rocprim17ROCPRIM_400000_NS6detail17trampoline_kernelINS0_14default_configENS1_35radix_sort_onesweep_config_selectorIttEEZZNS1_29radix_sort_onesweep_iterationIS3_Lb0EN6thrust23THRUST_200600_302600_NS6detail15normal_iteratorINS8_10device_ptrItEEEESD_SD_SD_jNS0_19identity_decomposerENS1_16block_id_wrapperIjLb1EEEEE10hipError_tT1_PNSt15iterator_traitsISI_E10value_typeET2_T3_PNSJ_ISO_E10value_typeET4_T5_PST_SU_PNS1_23onesweep_lookback_stateEbbT6_jjT7_P12ihipStream_tbENKUlT_T0_SI_SN_E_clIPtSD_S15_SD_EEDaS11_S12_SI_SN_EUlS11_E_NS1_11comp_targetILNS1_3genE9ELNS1_11target_archE1100ELNS1_3gpuE3ELNS1_3repE0EEENS1_47radix_sort_onesweep_sort_config_static_selectorELNS0_4arch9wavefront6targetE1EEEvSI_.num_agpr, 0
	.set _ZN7rocprim17ROCPRIM_400000_NS6detail17trampoline_kernelINS0_14default_configENS1_35radix_sort_onesweep_config_selectorIttEEZZNS1_29radix_sort_onesweep_iterationIS3_Lb0EN6thrust23THRUST_200600_302600_NS6detail15normal_iteratorINS8_10device_ptrItEEEESD_SD_SD_jNS0_19identity_decomposerENS1_16block_id_wrapperIjLb1EEEEE10hipError_tT1_PNSt15iterator_traitsISI_E10value_typeET2_T3_PNSJ_ISO_E10value_typeET4_T5_PST_SU_PNS1_23onesweep_lookback_stateEbbT6_jjT7_P12ihipStream_tbENKUlT_T0_SI_SN_E_clIPtSD_S15_SD_EEDaS11_S12_SI_SN_EUlS11_E_NS1_11comp_targetILNS1_3genE9ELNS1_11target_archE1100ELNS1_3gpuE3ELNS1_3repE0EEENS1_47radix_sort_onesweep_sort_config_static_selectorELNS0_4arch9wavefront6targetE1EEEvSI_.numbered_sgpr, 0
	.set _ZN7rocprim17ROCPRIM_400000_NS6detail17trampoline_kernelINS0_14default_configENS1_35radix_sort_onesweep_config_selectorIttEEZZNS1_29radix_sort_onesweep_iterationIS3_Lb0EN6thrust23THRUST_200600_302600_NS6detail15normal_iteratorINS8_10device_ptrItEEEESD_SD_SD_jNS0_19identity_decomposerENS1_16block_id_wrapperIjLb1EEEEE10hipError_tT1_PNSt15iterator_traitsISI_E10value_typeET2_T3_PNSJ_ISO_E10value_typeET4_T5_PST_SU_PNS1_23onesweep_lookback_stateEbbT6_jjT7_P12ihipStream_tbENKUlT_T0_SI_SN_E_clIPtSD_S15_SD_EEDaS11_S12_SI_SN_EUlS11_E_NS1_11comp_targetILNS1_3genE9ELNS1_11target_archE1100ELNS1_3gpuE3ELNS1_3repE0EEENS1_47radix_sort_onesweep_sort_config_static_selectorELNS0_4arch9wavefront6targetE1EEEvSI_.num_named_barrier, 0
	.set _ZN7rocprim17ROCPRIM_400000_NS6detail17trampoline_kernelINS0_14default_configENS1_35radix_sort_onesweep_config_selectorIttEEZZNS1_29radix_sort_onesweep_iterationIS3_Lb0EN6thrust23THRUST_200600_302600_NS6detail15normal_iteratorINS8_10device_ptrItEEEESD_SD_SD_jNS0_19identity_decomposerENS1_16block_id_wrapperIjLb1EEEEE10hipError_tT1_PNSt15iterator_traitsISI_E10value_typeET2_T3_PNSJ_ISO_E10value_typeET4_T5_PST_SU_PNS1_23onesweep_lookback_stateEbbT6_jjT7_P12ihipStream_tbENKUlT_T0_SI_SN_E_clIPtSD_S15_SD_EEDaS11_S12_SI_SN_EUlS11_E_NS1_11comp_targetILNS1_3genE9ELNS1_11target_archE1100ELNS1_3gpuE3ELNS1_3repE0EEENS1_47radix_sort_onesweep_sort_config_static_selectorELNS0_4arch9wavefront6targetE1EEEvSI_.private_seg_size, 0
	.set _ZN7rocprim17ROCPRIM_400000_NS6detail17trampoline_kernelINS0_14default_configENS1_35radix_sort_onesweep_config_selectorIttEEZZNS1_29radix_sort_onesweep_iterationIS3_Lb0EN6thrust23THRUST_200600_302600_NS6detail15normal_iteratorINS8_10device_ptrItEEEESD_SD_SD_jNS0_19identity_decomposerENS1_16block_id_wrapperIjLb1EEEEE10hipError_tT1_PNSt15iterator_traitsISI_E10value_typeET2_T3_PNSJ_ISO_E10value_typeET4_T5_PST_SU_PNS1_23onesweep_lookback_stateEbbT6_jjT7_P12ihipStream_tbENKUlT_T0_SI_SN_E_clIPtSD_S15_SD_EEDaS11_S12_SI_SN_EUlS11_E_NS1_11comp_targetILNS1_3genE9ELNS1_11target_archE1100ELNS1_3gpuE3ELNS1_3repE0EEENS1_47radix_sort_onesweep_sort_config_static_selectorELNS0_4arch9wavefront6targetE1EEEvSI_.uses_vcc, 0
	.set _ZN7rocprim17ROCPRIM_400000_NS6detail17trampoline_kernelINS0_14default_configENS1_35radix_sort_onesweep_config_selectorIttEEZZNS1_29radix_sort_onesweep_iterationIS3_Lb0EN6thrust23THRUST_200600_302600_NS6detail15normal_iteratorINS8_10device_ptrItEEEESD_SD_SD_jNS0_19identity_decomposerENS1_16block_id_wrapperIjLb1EEEEE10hipError_tT1_PNSt15iterator_traitsISI_E10value_typeET2_T3_PNSJ_ISO_E10value_typeET4_T5_PST_SU_PNS1_23onesweep_lookback_stateEbbT6_jjT7_P12ihipStream_tbENKUlT_T0_SI_SN_E_clIPtSD_S15_SD_EEDaS11_S12_SI_SN_EUlS11_E_NS1_11comp_targetILNS1_3genE9ELNS1_11target_archE1100ELNS1_3gpuE3ELNS1_3repE0EEENS1_47radix_sort_onesweep_sort_config_static_selectorELNS0_4arch9wavefront6targetE1EEEvSI_.uses_flat_scratch, 0
	.set _ZN7rocprim17ROCPRIM_400000_NS6detail17trampoline_kernelINS0_14default_configENS1_35radix_sort_onesweep_config_selectorIttEEZZNS1_29radix_sort_onesweep_iterationIS3_Lb0EN6thrust23THRUST_200600_302600_NS6detail15normal_iteratorINS8_10device_ptrItEEEESD_SD_SD_jNS0_19identity_decomposerENS1_16block_id_wrapperIjLb1EEEEE10hipError_tT1_PNSt15iterator_traitsISI_E10value_typeET2_T3_PNSJ_ISO_E10value_typeET4_T5_PST_SU_PNS1_23onesweep_lookback_stateEbbT6_jjT7_P12ihipStream_tbENKUlT_T0_SI_SN_E_clIPtSD_S15_SD_EEDaS11_S12_SI_SN_EUlS11_E_NS1_11comp_targetILNS1_3genE9ELNS1_11target_archE1100ELNS1_3gpuE3ELNS1_3repE0EEENS1_47radix_sort_onesweep_sort_config_static_selectorELNS0_4arch9wavefront6targetE1EEEvSI_.has_dyn_sized_stack, 0
	.set _ZN7rocprim17ROCPRIM_400000_NS6detail17trampoline_kernelINS0_14default_configENS1_35radix_sort_onesweep_config_selectorIttEEZZNS1_29radix_sort_onesweep_iterationIS3_Lb0EN6thrust23THRUST_200600_302600_NS6detail15normal_iteratorINS8_10device_ptrItEEEESD_SD_SD_jNS0_19identity_decomposerENS1_16block_id_wrapperIjLb1EEEEE10hipError_tT1_PNSt15iterator_traitsISI_E10value_typeET2_T3_PNSJ_ISO_E10value_typeET4_T5_PST_SU_PNS1_23onesweep_lookback_stateEbbT6_jjT7_P12ihipStream_tbENKUlT_T0_SI_SN_E_clIPtSD_S15_SD_EEDaS11_S12_SI_SN_EUlS11_E_NS1_11comp_targetILNS1_3genE9ELNS1_11target_archE1100ELNS1_3gpuE3ELNS1_3repE0EEENS1_47radix_sort_onesweep_sort_config_static_selectorELNS0_4arch9wavefront6targetE1EEEvSI_.has_recursion, 0
	.set _ZN7rocprim17ROCPRIM_400000_NS6detail17trampoline_kernelINS0_14default_configENS1_35radix_sort_onesweep_config_selectorIttEEZZNS1_29radix_sort_onesweep_iterationIS3_Lb0EN6thrust23THRUST_200600_302600_NS6detail15normal_iteratorINS8_10device_ptrItEEEESD_SD_SD_jNS0_19identity_decomposerENS1_16block_id_wrapperIjLb1EEEEE10hipError_tT1_PNSt15iterator_traitsISI_E10value_typeET2_T3_PNSJ_ISO_E10value_typeET4_T5_PST_SU_PNS1_23onesweep_lookback_stateEbbT6_jjT7_P12ihipStream_tbENKUlT_T0_SI_SN_E_clIPtSD_S15_SD_EEDaS11_S12_SI_SN_EUlS11_E_NS1_11comp_targetILNS1_3genE9ELNS1_11target_archE1100ELNS1_3gpuE3ELNS1_3repE0EEENS1_47radix_sort_onesweep_sort_config_static_selectorELNS0_4arch9wavefront6targetE1EEEvSI_.has_indirect_call, 0
	.section	.AMDGPU.csdata,"",@progbits
; Kernel info:
; codeLenInByte = 0
; TotalNumSgprs: 6
; NumVgprs: 0
; NumAgprs: 0
; TotalNumVgprs: 0
; ScratchSize: 0
; MemoryBound: 0
; FloatMode: 240
; IeeeMode: 1
; LDSByteSize: 0 bytes/workgroup (compile time only)
; SGPRBlocks: 0
; VGPRBlocks: 0
; NumSGPRsForWavesPerEU: 6
; NumVGPRsForWavesPerEU: 1
; AccumOffset: 4
; Occupancy: 8
; WaveLimiterHint : 0
; COMPUTE_PGM_RSRC2:SCRATCH_EN: 0
; COMPUTE_PGM_RSRC2:USER_SGPR: 2
; COMPUTE_PGM_RSRC2:TRAP_HANDLER: 0
; COMPUTE_PGM_RSRC2:TGID_X_EN: 1
; COMPUTE_PGM_RSRC2:TGID_Y_EN: 0
; COMPUTE_PGM_RSRC2:TGID_Z_EN: 0
; COMPUTE_PGM_RSRC2:TIDIG_COMP_CNT: 0
; COMPUTE_PGM_RSRC3_GFX90A:ACCUM_OFFSET: 0
; COMPUTE_PGM_RSRC3_GFX90A:TG_SPLIT: 0
	.section	.text._ZN7rocprim17ROCPRIM_400000_NS6detail17trampoline_kernelINS0_14default_configENS1_35radix_sort_onesweep_config_selectorIttEEZZNS1_29radix_sort_onesweep_iterationIS3_Lb0EN6thrust23THRUST_200600_302600_NS6detail15normal_iteratorINS8_10device_ptrItEEEESD_SD_SD_jNS0_19identity_decomposerENS1_16block_id_wrapperIjLb1EEEEE10hipError_tT1_PNSt15iterator_traitsISI_E10value_typeET2_T3_PNSJ_ISO_E10value_typeET4_T5_PST_SU_PNS1_23onesweep_lookback_stateEbbT6_jjT7_P12ihipStream_tbENKUlT_T0_SI_SN_E_clIPtSD_S15_SD_EEDaS11_S12_SI_SN_EUlS11_E_NS1_11comp_targetILNS1_3genE8ELNS1_11target_archE1030ELNS1_3gpuE2ELNS1_3repE0EEENS1_47radix_sort_onesweep_sort_config_static_selectorELNS0_4arch9wavefront6targetE1EEEvSI_,"axG",@progbits,_ZN7rocprim17ROCPRIM_400000_NS6detail17trampoline_kernelINS0_14default_configENS1_35radix_sort_onesweep_config_selectorIttEEZZNS1_29radix_sort_onesweep_iterationIS3_Lb0EN6thrust23THRUST_200600_302600_NS6detail15normal_iteratorINS8_10device_ptrItEEEESD_SD_SD_jNS0_19identity_decomposerENS1_16block_id_wrapperIjLb1EEEEE10hipError_tT1_PNSt15iterator_traitsISI_E10value_typeET2_T3_PNSJ_ISO_E10value_typeET4_T5_PST_SU_PNS1_23onesweep_lookback_stateEbbT6_jjT7_P12ihipStream_tbENKUlT_T0_SI_SN_E_clIPtSD_S15_SD_EEDaS11_S12_SI_SN_EUlS11_E_NS1_11comp_targetILNS1_3genE8ELNS1_11target_archE1030ELNS1_3gpuE2ELNS1_3repE0EEENS1_47radix_sort_onesweep_sort_config_static_selectorELNS0_4arch9wavefront6targetE1EEEvSI_,comdat
	.protected	_ZN7rocprim17ROCPRIM_400000_NS6detail17trampoline_kernelINS0_14default_configENS1_35radix_sort_onesweep_config_selectorIttEEZZNS1_29radix_sort_onesweep_iterationIS3_Lb0EN6thrust23THRUST_200600_302600_NS6detail15normal_iteratorINS8_10device_ptrItEEEESD_SD_SD_jNS0_19identity_decomposerENS1_16block_id_wrapperIjLb1EEEEE10hipError_tT1_PNSt15iterator_traitsISI_E10value_typeET2_T3_PNSJ_ISO_E10value_typeET4_T5_PST_SU_PNS1_23onesweep_lookback_stateEbbT6_jjT7_P12ihipStream_tbENKUlT_T0_SI_SN_E_clIPtSD_S15_SD_EEDaS11_S12_SI_SN_EUlS11_E_NS1_11comp_targetILNS1_3genE8ELNS1_11target_archE1030ELNS1_3gpuE2ELNS1_3repE0EEENS1_47radix_sort_onesweep_sort_config_static_selectorELNS0_4arch9wavefront6targetE1EEEvSI_ ; -- Begin function _ZN7rocprim17ROCPRIM_400000_NS6detail17trampoline_kernelINS0_14default_configENS1_35radix_sort_onesweep_config_selectorIttEEZZNS1_29radix_sort_onesweep_iterationIS3_Lb0EN6thrust23THRUST_200600_302600_NS6detail15normal_iteratorINS8_10device_ptrItEEEESD_SD_SD_jNS0_19identity_decomposerENS1_16block_id_wrapperIjLb1EEEEE10hipError_tT1_PNSt15iterator_traitsISI_E10value_typeET2_T3_PNSJ_ISO_E10value_typeET4_T5_PST_SU_PNS1_23onesweep_lookback_stateEbbT6_jjT7_P12ihipStream_tbENKUlT_T0_SI_SN_E_clIPtSD_S15_SD_EEDaS11_S12_SI_SN_EUlS11_E_NS1_11comp_targetILNS1_3genE8ELNS1_11target_archE1030ELNS1_3gpuE2ELNS1_3repE0EEENS1_47radix_sort_onesweep_sort_config_static_selectorELNS0_4arch9wavefront6targetE1EEEvSI_
	.globl	_ZN7rocprim17ROCPRIM_400000_NS6detail17trampoline_kernelINS0_14default_configENS1_35radix_sort_onesweep_config_selectorIttEEZZNS1_29radix_sort_onesweep_iterationIS3_Lb0EN6thrust23THRUST_200600_302600_NS6detail15normal_iteratorINS8_10device_ptrItEEEESD_SD_SD_jNS0_19identity_decomposerENS1_16block_id_wrapperIjLb1EEEEE10hipError_tT1_PNSt15iterator_traitsISI_E10value_typeET2_T3_PNSJ_ISO_E10value_typeET4_T5_PST_SU_PNS1_23onesweep_lookback_stateEbbT6_jjT7_P12ihipStream_tbENKUlT_T0_SI_SN_E_clIPtSD_S15_SD_EEDaS11_S12_SI_SN_EUlS11_E_NS1_11comp_targetILNS1_3genE8ELNS1_11target_archE1030ELNS1_3gpuE2ELNS1_3repE0EEENS1_47radix_sort_onesweep_sort_config_static_selectorELNS0_4arch9wavefront6targetE1EEEvSI_
	.p2align	8
	.type	_ZN7rocprim17ROCPRIM_400000_NS6detail17trampoline_kernelINS0_14default_configENS1_35radix_sort_onesweep_config_selectorIttEEZZNS1_29radix_sort_onesweep_iterationIS3_Lb0EN6thrust23THRUST_200600_302600_NS6detail15normal_iteratorINS8_10device_ptrItEEEESD_SD_SD_jNS0_19identity_decomposerENS1_16block_id_wrapperIjLb1EEEEE10hipError_tT1_PNSt15iterator_traitsISI_E10value_typeET2_T3_PNSJ_ISO_E10value_typeET4_T5_PST_SU_PNS1_23onesweep_lookback_stateEbbT6_jjT7_P12ihipStream_tbENKUlT_T0_SI_SN_E_clIPtSD_S15_SD_EEDaS11_S12_SI_SN_EUlS11_E_NS1_11comp_targetILNS1_3genE8ELNS1_11target_archE1030ELNS1_3gpuE2ELNS1_3repE0EEENS1_47radix_sort_onesweep_sort_config_static_selectorELNS0_4arch9wavefront6targetE1EEEvSI_,@function
_ZN7rocprim17ROCPRIM_400000_NS6detail17trampoline_kernelINS0_14default_configENS1_35radix_sort_onesweep_config_selectorIttEEZZNS1_29radix_sort_onesweep_iterationIS3_Lb0EN6thrust23THRUST_200600_302600_NS6detail15normal_iteratorINS8_10device_ptrItEEEESD_SD_SD_jNS0_19identity_decomposerENS1_16block_id_wrapperIjLb1EEEEE10hipError_tT1_PNSt15iterator_traitsISI_E10value_typeET2_T3_PNSJ_ISO_E10value_typeET4_T5_PST_SU_PNS1_23onesweep_lookback_stateEbbT6_jjT7_P12ihipStream_tbENKUlT_T0_SI_SN_E_clIPtSD_S15_SD_EEDaS11_S12_SI_SN_EUlS11_E_NS1_11comp_targetILNS1_3genE8ELNS1_11target_archE1030ELNS1_3gpuE2ELNS1_3repE0EEENS1_47radix_sort_onesweep_sort_config_static_selectorELNS0_4arch9wavefront6targetE1EEEvSI_: ; @_ZN7rocprim17ROCPRIM_400000_NS6detail17trampoline_kernelINS0_14default_configENS1_35radix_sort_onesweep_config_selectorIttEEZZNS1_29radix_sort_onesweep_iterationIS3_Lb0EN6thrust23THRUST_200600_302600_NS6detail15normal_iteratorINS8_10device_ptrItEEEESD_SD_SD_jNS0_19identity_decomposerENS1_16block_id_wrapperIjLb1EEEEE10hipError_tT1_PNSt15iterator_traitsISI_E10value_typeET2_T3_PNSJ_ISO_E10value_typeET4_T5_PST_SU_PNS1_23onesweep_lookback_stateEbbT6_jjT7_P12ihipStream_tbENKUlT_T0_SI_SN_E_clIPtSD_S15_SD_EEDaS11_S12_SI_SN_EUlS11_E_NS1_11comp_targetILNS1_3genE8ELNS1_11target_archE1030ELNS1_3gpuE2ELNS1_3repE0EEENS1_47radix_sort_onesweep_sort_config_static_selectorELNS0_4arch9wavefront6targetE1EEEvSI_
; %bb.0:
	.section	.rodata,"a",@progbits
	.p2align	6, 0x0
	.amdhsa_kernel _ZN7rocprim17ROCPRIM_400000_NS6detail17trampoline_kernelINS0_14default_configENS1_35radix_sort_onesweep_config_selectorIttEEZZNS1_29radix_sort_onesweep_iterationIS3_Lb0EN6thrust23THRUST_200600_302600_NS6detail15normal_iteratorINS8_10device_ptrItEEEESD_SD_SD_jNS0_19identity_decomposerENS1_16block_id_wrapperIjLb1EEEEE10hipError_tT1_PNSt15iterator_traitsISI_E10value_typeET2_T3_PNSJ_ISO_E10value_typeET4_T5_PST_SU_PNS1_23onesweep_lookback_stateEbbT6_jjT7_P12ihipStream_tbENKUlT_T0_SI_SN_E_clIPtSD_S15_SD_EEDaS11_S12_SI_SN_EUlS11_E_NS1_11comp_targetILNS1_3genE8ELNS1_11target_archE1030ELNS1_3gpuE2ELNS1_3repE0EEENS1_47radix_sort_onesweep_sort_config_static_selectorELNS0_4arch9wavefront6targetE1EEEvSI_
		.amdhsa_group_segment_fixed_size 0
		.amdhsa_private_segment_fixed_size 0
		.amdhsa_kernarg_size 88
		.amdhsa_user_sgpr_count 2
		.amdhsa_user_sgpr_dispatch_ptr 0
		.amdhsa_user_sgpr_queue_ptr 0
		.amdhsa_user_sgpr_kernarg_segment_ptr 1
		.amdhsa_user_sgpr_dispatch_id 0
		.amdhsa_user_sgpr_kernarg_preload_length 0
		.amdhsa_user_sgpr_kernarg_preload_offset 0
		.amdhsa_user_sgpr_private_segment_size 0
		.amdhsa_uses_dynamic_stack 0
		.amdhsa_enable_private_segment 0
		.amdhsa_system_sgpr_workgroup_id_x 1
		.amdhsa_system_sgpr_workgroup_id_y 0
		.amdhsa_system_sgpr_workgroup_id_z 0
		.amdhsa_system_sgpr_workgroup_info 0
		.amdhsa_system_vgpr_workitem_id 0
		.amdhsa_next_free_vgpr 1
		.amdhsa_next_free_sgpr 0
		.amdhsa_accum_offset 4
		.amdhsa_reserve_vcc 0
		.amdhsa_float_round_mode_32 0
		.amdhsa_float_round_mode_16_64 0
		.amdhsa_float_denorm_mode_32 3
		.amdhsa_float_denorm_mode_16_64 3
		.amdhsa_dx10_clamp 1
		.amdhsa_ieee_mode 1
		.amdhsa_fp16_overflow 0
		.amdhsa_tg_split 0
		.amdhsa_exception_fp_ieee_invalid_op 0
		.amdhsa_exception_fp_denorm_src 0
		.amdhsa_exception_fp_ieee_div_zero 0
		.amdhsa_exception_fp_ieee_overflow 0
		.amdhsa_exception_fp_ieee_underflow 0
		.amdhsa_exception_fp_ieee_inexact 0
		.amdhsa_exception_int_div_zero 0
	.end_amdhsa_kernel
	.section	.text._ZN7rocprim17ROCPRIM_400000_NS6detail17trampoline_kernelINS0_14default_configENS1_35radix_sort_onesweep_config_selectorIttEEZZNS1_29radix_sort_onesweep_iterationIS3_Lb0EN6thrust23THRUST_200600_302600_NS6detail15normal_iteratorINS8_10device_ptrItEEEESD_SD_SD_jNS0_19identity_decomposerENS1_16block_id_wrapperIjLb1EEEEE10hipError_tT1_PNSt15iterator_traitsISI_E10value_typeET2_T3_PNSJ_ISO_E10value_typeET4_T5_PST_SU_PNS1_23onesweep_lookback_stateEbbT6_jjT7_P12ihipStream_tbENKUlT_T0_SI_SN_E_clIPtSD_S15_SD_EEDaS11_S12_SI_SN_EUlS11_E_NS1_11comp_targetILNS1_3genE8ELNS1_11target_archE1030ELNS1_3gpuE2ELNS1_3repE0EEENS1_47radix_sort_onesweep_sort_config_static_selectorELNS0_4arch9wavefront6targetE1EEEvSI_,"axG",@progbits,_ZN7rocprim17ROCPRIM_400000_NS6detail17trampoline_kernelINS0_14default_configENS1_35radix_sort_onesweep_config_selectorIttEEZZNS1_29radix_sort_onesweep_iterationIS3_Lb0EN6thrust23THRUST_200600_302600_NS6detail15normal_iteratorINS8_10device_ptrItEEEESD_SD_SD_jNS0_19identity_decomposerENS1_16block_id_wrapperIjLb1EEEEE10hipError_tT1_PNSt15iterator_traitsISI_E10value_typeET2_T3_PNSJ_ISO_E10value_typeET4_T5_PST_SU_PNS1_23onesweep_lookback_stateEbbT6_jjT7_P12ihipStream_tbENKUlT_T0_SI_SN_E_clIPtSD_S15_SD_EEDaS11_S12_SI_SN_EUlS11_E_NS1_11comp_targetILNS1_3genE8ELNS1_11target_archE1030ELNS1_3gpuE2ELNS1_3repE0EEENS1_47radix_sort_onesweep_sort_config_static_selectorELNS0_4arch9wavefront6targetE1EEEvSI_,comdat
.Lfunc_end1000:
	.size	_ZN7rocprim17ROCPRIM_400000_NS6detail17trampoline_kernelINS0_14default_configENS1_35radix_sort_onesweep_config_selectorIttEEZZNS1_29radix_sort_onesweep_iterationIS3_Lb0EN6thrust23THRUST_200600_302600_NS6detail15normal_iteratorINS8_10device_ptrItEEEESD_SD_SD_jNS0_19identity_decomposerENS1_16block_id_wrapperIjLb1EEEEE10hipError_tT1_PNSt15iterator_traitsISI_E10value_typeET2_T3_PNSJ_ISO_E10value_typeET4_T5_PST_SU_PNS1_23onesweep_lookback_stateEbbT6_jjT7_P12ihipStream_tbENKUlT_T0_SI_SN_E_clIPtSD_S15_SD_EEDaS11_S12_SI_SN_EUlS11_E_NS1_11comp_targetILNS1_3genE8ELNS1_11target_archE1030ELNS1_3gpuE2ELNS1_3repE0EEENS1_47radix_sort_onesweep_sort_config_static_selectorELNS0_4arch9wavefront6targetE1EEEvSI_, .Lfunc_end1000-_ZN7rocprim17ROCPRIM_400000_NS6detail17trampoline_kernelINS0_14default_configENS1_35radix_sort_onesweep_config_selectorIttEEZZNS1_29radix_sort_onesweep_iterationIS3_Lb0EN6thrust23THRUST_200600_302600_NS6detail15normal_iteratorINS8_10device_ptrItEEEESD_SD_SD_jNS0_19identity_decomposerENS1_16block_id_wrapperIjLb1EEEEE10hipError_tT1_PNSt15iterator_traitsISI_E10value_typeET2_T3_PNSJ_ISO_E10value_typeET4_T5_PST_SU_PNS1_23onesweep_lookback_stateEbbT6_jjT7_P12ihipStream_tbENKUlT_T0_SI_SN_E_clIPtSD_S15_SD_EEDaS11_S12_SI_SN_EUlS11_E_NS1_11comp_targetILNS1_3genE8ELNS1_11target_archE1030ELNS1_3gpuE2ELNS1_3repE0EEENS1_47radix_sort_onesweep_sort_config_static_selectorELNS0_4arch9wavefront6targetE1EEEvSI_
                                        ; -- End function
	.set _ZN7rocprim17ROCPRIM_400000_NS6detail17trampoline_kernelINS0_14default_configENS1_35radix_sort_onesweep_config_selectorIttEEZZNS1_29radix_sort_onesweep_iterationIS3_Lb0EN6thrust23THRUST_200600_302600_NS6detail15normal_iteratorINS8_10device_ptrItEEEESD_SD_SD_jNS0_19identity_decomposerENS1_16block_id_wrapperIjLb1EEEEE10hipError_tT1_PNSt15iterator_traitsISI_E10value_typeET2_T3_PNSJ_ISO_E10value_typeET4_T5_PST_SU_PNS1_23onesweep_lookback_stateEbbT6_jjT7_P12ihipStream_tbENKUlT_T0_SI_SN_E_clIPtSD_S15_SD_EEDaS11_S12_SI_SN_EUlS11_E_NS1_11comp_targetILNS1_3genE8ELNS1_11target_archE1030ELNS1_3gpuE2ELNS1_3repE0EEENS1_47radix_sort_onesweep_sort_config_static_selectorELNS0_4arch9wavefront6targetE1EEEvSI_.num_vgpr, 0
	.set _ZN7rocprim17ROCPRIM_400000_NS6detail17trampoline_kernelINS0_14default_configENS1_35radix_sort_onesweep_config_selectorIttEEZZNS1_29radix_sort_onesweep_iterationIS3_Lb0EN6thrust23THRUST_200600_302600_NS6detail15normal_iteratorINS8_10device_ptrItEEEESD_SD_SD_jNS0_19identity_decomposerENS1_16block_id_wrapperIjLb1EEEEE10hipError_tT1_PNSt15iterator_traitsISI_E10value_typeET2_T3_PNSJ_ISO_E10value_typeET4_T5_PST_SU_PNS1_23onesweep_lookback_stateEbbT6_jjT7_P12ihipStream_tbENKUlT_T0_SI_SN_E_clIPtSD_S15_SD_EEDaS11_S12_SI_SN_EUlS11_E_NS1_11comp_targetILNS1_3genE8ELNS1_11target_archE1030ELNS1_3gpuE2ELNS1_3repE0EEENS1_47radix_sort_onesweep_sort_config_static_selectorELNS0_4arch9wavefront6targetE1EEEvSI_.num_agpr, 0
	.set _ZN7rocprim17ROCPRIM_400000_NS6detail17trampoline_kernelINS0_14default_configENS1_35radix_sort_onesweep_config_selectorIttEEZZNS1_29radix_sort_onesweep_iterationIS3_Lb0EN6thrust23THRUST_200600_302600_NS6detail15normal_iteratorINS8_10device_ptrItEEEESD_SD_SD_jNS0_19identity_decomposerENS1_16block_id_wrapperIjLb1EEEEE10hipError_tT1_PNSt15iterator_traitsISI_E10value_typeET2_T3_PNSJ_ISO_E10value_typeET4_T5_PST_SU_PNS1_23onesweep_lookback_stateEbbT6_jjT7_P12ihipStream_tbENKUlT_T0_SI_SN_E_clIPtSD_S15_SD_EEDaS11_S12_SI_SN_EUlS11_E_NS1_11comp_targetILNS1_3genE8ELNS1_11target_archE1030ELNS1_3gpuE2ELNS1_3repE0EEENS1_47radix_sort_onesweep_sort_config_static_selectorELNS0_4arch9wavefront6targetE1EEEvSI_.numbered_sgpr, 0
	.set _ZN7rocprim17ROCPRIM_400000_NS6detail17trampoline_kernelINS0_14default_configENS1_35radix_sort_onesweep_config_selectorIttEEZZNS1_29radix_sort_onesweep_iterationIS3_Lb0EN6thrust23THRUST_200600_302600_NS6detail15normal_iteratorINS8_10device_ptrItEEEESD_SD_SD_jNS0_19identity_decomposerENS1_16block_id_wrapperIjLb1EEEEE10hipError_tT1_PNSt15iterator_traitsISI_E10value_typeET2_T3_PNSJ_ISO_E10value_typeET4_T5_PST_SU_PNS1_23onesweep_lookback_stateEbbT6_jjT7_P12ihipStream_tbENKUlT_T0_SI_SN_E_clIPtSD_S15_SD_EEDaS11_S12_SI_SN_EUlS11_E_NS1_11comp_targetILNS1_3genE8ELNS1_11target_archE1030ELNS1_3gpuE2ELNS1_3repE0EEENS1_47radix_sort_onesweep_sort_config_static_selectorELNS0_4arch9wavefront6targetE1EEEvSI_.num_named_barrier, 0
	.set _ZN7rocprim17ROCPRIM_400000_NS6detail17trampoline_kernelINS0_14default_configENS1_35radix_sort_onesweep_config_selectorIttEEZZNS1_29radix_sort_onesweep_iterationIS3_Lb0EN6thrust23THRUST_200600_302600_NS6detail15normal_iteratorINS8_10device_ptrItEEEESD_SD_SD_jNS0_19identity_decomposerENS1_16block_id_wrapperIjLb1EEEEE10hipError_tT1_PNSt15iterator_traitsISI_E10value_typeET2_T3_PNSJ_ISO_E10value_typeET4_T5_PST_SU_PNS1_23onesweep_lookback_stateEbbT6_jjT7_P12ihipStream_tbENKUlT_T0_SI_SN_E_clIPtSD_S15_SD_EEDaS11_S12_SI_SN_EUlS11_E_NS1_11comp_targetILNS1_3genE8ELNS1_11target_archE1030ELNS1_3gpuE2ELNS1_3repE0EEENS1_47radix_sort_onesweep_sort_config_static_selectorELNS0_4arch9wavefront6targetE1EEEvSI_.private_seg_size, 0
	.set _ZN7rocprim17ROCPRIM_400000_NS6detail17trampoline_kernelINS0_14default_configENS1_35radix_sort_onesweep_config_selectorIttEEZZNS1_29radix_sort_onesweep_iterationIS3_Lb0EN6thrust23THRUST_200600_302600_NS6detail15normal_iteratorINS8_10device_ptrItEEEESD_SD_SD_jNS0_19identity_decomposerENS1_16block_id_wrapperIjLb1EEEEE10hipError_tT1_PNSt15iterator_traitsISI_E10value_typeET2_T3_PNSJ_ISO_E10value_typeET4_T5_PST_SU_PNS1_23onesweep_lookback_stateEbbT6_jjT7_P12ihipStream_tbENKUlT_T0_SI_SN_E_clIPtSD_S15_SD_EEDaS11_S12_SI_SN_EUlS11_E_NS1_11comp_targetILNS1_3genE8ELNS1_11target_archE1030ELNS1_3gpuE2ELNS1_3repE0EEENS1_47radix_sort_onesweep_sort_config_static_selectorELNS0_4arch9wavefront6targetE1EEEvSI_.uses_vcc, 0
	.set _ZN7rocprim17ROCPRIM_400000_NS6detail17trampoline_kernelINS0_14default_configENS1_35radix_sort_onesweep_config_selectorIttEEZZNS1_29radix_sort_onesweep_iterationIS3_Lb0EN6thrust23THRUST_200600_302600_NS6detail15normal_iteratorINS8_10device_ptrItEEEESD_SD_SD_jNS0_19identity_decomposerENS1_16block_id_wrapperIjLb1EEEEE10hipError_tT1_PNSt15iterator_traitsISI_E10value_typeET2_T3_PNSJ_ISO_E10value_typeET4_T5_PST_SU_PNS1_23onesweep_lookback_stateEbbT6_jjT7_P12ihipStream_tbENKUlT_T0_SI_SN_E_clIPtSD_S15_SD_EEDaS11_S12_SI_SN_EUlS11_E_NS1_11comp_targetILNS1_3genE8ELNS1_11target_archE1030ELNS1_3gpuE2ELNS1_3repE0EEENS1_47radix_sort_onesweep_sort_config_static_selectorELNS0_4arch9wavefront6targetE1EEEvSI_.uses_flat_scratch, 0
	.set _ZN7rocprim17ROCPRIM_400000_NS6detail17trampoline_kernelINS0_14default_configENS1_35radix_sort_onesweep_config_selectorIttEEZZNS1_29radix_sort_onesweep_iterationIS3_Lb0EN6thrust23THRUST_200600_302600_NS6detail15normal_iteratorINS8_10device_ptrItEEEESD_SD_SD_jNS0_19identity_decomposerENS1_16block_id_wrapperIjLb1EEEEE10hipError_tT1_PNSt15iterator_traitsISI_E10value_typeET2_T3_PNSJ_ISO_E10value_typeET4_T5_PST_SU_PNS1_23onesweep_lookback_stateEbbT6_jjT7_P12ihipStream_tbENKUlT_T0_SI_SN_E_clIPtSD_S15_SD_EEDaS11_S12_SI_SN_EUlS11_E_NS1_11comp_targetILNS1_3genE8ELNS1_11target_archE1030ELNS1_3gpuE2ELNS1_3repE0EEENS1_47radix_sort_onesweep_sort_config_static_selectorELNS0_4arch9wavefront6targetE1EEEvSI_.has_dyn_sized_stack, 0
	.set _ZN7rocprim17ROCPRIM_400000_NS6detail17trampoline_kernelINS0_14default_configENS1_35radix_sort_onesweep_config_selectorIttEEZZNS1_29radix_sort_onesweep_iterationIS3_Lb0EN6thrust23THRUST_200600_302600_NS6detail15normal_iteratorINS8_10device_ptrItEEEESD_SD_SD_jNS0_19identity_decomposerENS1_16block_id_wrapperIjLb1EEEEE10hipError_tT1_PNSt15iterator_traitsISI_E10value_typeET2_T3_PNSJ_ISO_E10value_typeET4_T5_PST_SU_PNS1_23onesweep_lookback_stateEbbT6_jjT7_P12ihipStream_tbENKUlT_T0_SI_SN_E_clIPtSD_S15_SD_EEDaS11_S12_SI_SN_EUlS11_E_NS1_11comp_targetILNS1_3genE8ELNS1_11target_archE1030ELNS1_3gpuE2ELNS1_3repE0EEENS1_47radix_sort_onesweep_sort_config_static_selectorELNS0_4arch9wavefront6targetE1EEEvSI_.has_recursion, 0
	.set _ZN7rocprim17ROCPRIM_400000_NS6detail17trampoline_kernelINS0_14default_configENS1_35radix_sort_onesweep_config_selectorIttEEZZNS1_29radix_sort_onesweep_iterationIS3_Lb0EN6thrust23THRUST_200600_302600_NS6detail15normal_iteratorINS8_10device_ptrItEEEESD_SD_SD_jNS0_19identity_decomposerENS1_16block_id_wrapperIjLb1EEEEE10hipError_tT1_PNSt15iterator_traitsISI_E10value_typeET2_T3_PNSJ_ISO_E10value_typeET4_T5_PST_SU_PNS1_23onesweep_lookback_stateEbbT6_jjT7_P12ihipStream_tbENKUlT_T0_SI_SN_E_clIPtSD_S15_SD_EEDaS11_S12_SI_SN_EUlS11_E_NS1_11comp_targetILNS1_3genE8ELNS1_11target_archE1030ELNS1_3gpuE2ELNS1_3repE0EEENS1_47radix_sort_onesweep_sort_config_static_selectorELNS0_4arch9wavefront6targetE1EEEvSI_.has_indirect_call, 0
	.section	.AMDGPU.csdata,"",@progbits
; Kernel info:
; codeLenInByte = 0
; TotalNumSgprs: 6
; NumVgprs: 0
; NumAgprs: 0
; TotalNumVgprs: 0
; ScratchSize: 0
; MemoryBound: 0
; FloatMode: 240
; IeeeMode: 1
; LDSByteSize: 0 bytes/workgroup (compile time only)
; SGPRBlocks: 0
; VGPRBlocks: 0
; NumSGPRsForWavesPerEU: 6
; NumVGPRsForWavesPerEU: 1
; AccumOffset: 4
; Occupancy: 8
; WaveLimiterHint : 0
; COMPUTE_PGM_RSRC2:SCRATCH_EN: 0
; COMPUTE_PGM_RSRC2:USER_SGPR: 2
; COMPUTE_PGM_RSRC2:TRAP_HANDLER: 0
; COMPUTE_PGM_RSRC2:TGID_X_EN: 1
; COMPUTE_PGM_RSRC2:TGID_Y_EN: 0
; COMPUTE_PGM_RSRC2:TGID_Z_EN: 0
; COMPUTE_PGM_RSRC2:TIDIG_COMP_CNT: 0
; COMPUTE_PGM_RSRC3_GFX90A:ACCUM_OFFSET: 0
; COMPUTE_PGM_RSRC3_GFX90A:TG_SPLIT: 0
	.section	.text._ZN7rocprim17ROCPRIM_400000_NS6detail17trampoline_kernelINS0_14default_configENS1_35radix_sort_onesweep_config_selectorIttEEZZNS1_29radix_sort_onesweep_iterationIS3_Lb0EN6thrust23THRUST_200600_302600_NS6detail15normal_iteratorINS8_10device_ptrItEEEESD_SD_SD_jNS0_19identity_decomposerENS1_16block_id_wrapperIjLb0EEEEE10hipError_tT1_PNSt15iterator_traitsISI_E10value_typeET2_T3_PNSJ_ISO_E10value_typeET4_T5_PST_SU_PNS1_23onesweep_lookback_stateEbbT6_jjT7_P12ihipStream_tbENKUlT_T0_SI_SN_E_clISD_SD_SD_SD_EEDaS11_S12_SI_SN_EUlS11_E_NS1_11comp_targetILNS1_3genE0ELNS1_11target_archE4294967295ELNS1_3gpuE0ELNS1_3repE0EEENS1_47radix_sort_onesweep_sort_config_static_selectorELNS0_4arch9wavefront6targetE1EEEvSI_,"axG",@progbits,_ZN7rocprim17ROCPRIM_400000_NS6detail17trampoline_kernelINS0_14default_configENS1_35radix_sort_onesweep_config_selectorIttEEZZNS1_29radix_sort_onesweep_iterationIS3_Lb0EN6thrust23THRUST_200600_302600_NS6detail15normal_iteratorINS8_10device_ptrItEEEESD_SD_SD_jNS0_19identity_decomposerENS1_16block_id_wrapperIjLb0EEEEE10hipError_tT1_PNSt15iterator_traitsISI_E10value_typeET2_T3_PNSJ_ISO_E10value_typeET4_T5_PST_SU_PNS1_23onesweep_lookback_stateEbbT6_jjT7_P12ihipStream_tbENKUlT_T0_SI_SN_E_clISD_SD_SD_SD_EEDaS11_S12_SI_SN_EUlS11_E_NS1_11comp_targetILNS1_3genE0ELNS1_11target_archE4294967295ELNS1_3gpuE0ELNS1_3repE0EEENS1_47radix_sort_onesweep_sort_config_static_selectorELNS0_4arch9wavefront6targetE1EEEvSI_,comdat
	.protected	_ZN7rocprim17ROCPRIM_400000_NS6detail17trampoline_kernelINS0_14default_configENS1_35radix_sort_onesweep_config_selectorIttEEZZNS1_29radix_sort_onesweep_iterationIS3_Lb0EN6thrust23THRUST_200600_302600_NS6detail15normal_iteratorINS8_10device_ptrItEEEESD_SD_SD_jNS0_19identity_decomposerENS1_16block_id_wrapperIjLb0EEEEE10hipError_tT1_PNSt15iterator_traitsISI_E10value_typeET2_T3_PNSJ_ISO_E10value_typeET4_T5_PST_SU_PNS1_23onesweep_lookback_stateEbbT6_jjT7_P12ihipStream_tbENKUlT_T0_SI_SN_E_clISD_SD_SD_SD_EEDaS11_S12_SI_SN_EUlS11_E_NS1_11comp_targetILNS1_3genE0ELNS1_11target_archE4294967295ELNS1_3gpuE0ELNS1_3repE0EEENS1_47radix_sort_onesweep_sort_config_static_selectorELNS0_4arch9wavefront6targetE1EEEvSI_ ; -- Begin function _ZN7rocprim17ROCPRIM_400000_NS6detail17trampoline_kernelINS0_14default_configENS1_35radix_sort_onesweep_config_selectorIttEEZZNS1_29radix_sort_onesweep_iterationIS3_Lb0EN6thrust23THRUST_200600_302600_NS6detail15normal_iteratorINS8_10device_ptrItEEEESD_SD_SD_jNS0_19identity_decomposerENS1_16block_id_wrapperIjLb0EEEEE10hipError_tT1_PNSt15iterator_traitsISI_E10value_typeET2_T3_PNSJ_ISO_E10value_typeET4_T5_PST_SU_PNS1_23onesweep_lookback_stateEbbT6_jjT7_P12ihipStream_tbENKUlT_T0_SI_SN_E_clISD_SD_SD_SD_EEDaS11_S12_SI_SN_EUlS11_E_NS1_11comp_targetILNS1_3genE0ELNS1_11target_archE4294967295ELNS1_3gpuE0ELNS1_3repE0EEENS1_47radix_sort_onesweep_sort_config_static_selectorELNS0_4arch9wavefront6targetE1EEEvSI_
	.globl	_ZN7rocprim17ROCPRIM_400000_NS6detail17trampoline_kernelINS0_14default_configENS1_35radix_sort_onesweep_config_selectorIttEEZZNS1_29radix_sort_onesweep_iterationIS3_Lb0EN6thrust23THRUST_200600_302600_NS6detail15normal_iteratorINS8_10device_ptrItEEEESD_SD_SD_jNS0_19identity_decomposerENS1_16block_id_wrapperIjLb0EEEEE10hipError_tT1_PNSt15iterator_traitsISI_E10value_typeET2_T3_PNSJ_ISO_E10value_typeET4_T5_PST_SU_PNS1_23onesweep_lookback_stateEbbT6_jjT7_P12ihipStream_tbENKUlT_T0_SI_SN_E_clISD_SD_SD_SD_EEDaS11_S12_SI_SN_EUlS11_E_NS1_11comp_targetILNS1_3genE0ELNS1_11target_archE4294967295ELNS1_3gpuE0ELNS1_3repE0EEENS1_47radix_sort_onesweep_sort_config_static_selectorELNS0_4arch9wavefront6targetE1EEEvSI_
	.p2align	8
	.type	_ZN7rocprim17ROCPRIM_400000_NS6detail17trampoline_kernelINS0_14default_configENS1_35radix_sort_onesweep_config_selectorIttEEZZNS1_29radix_sort_onesweep_iterationIS3_Lb0EN6thrust23THRUST_200600_302600_NS6detail15normal_iteratorINS8_10device_ptrItEEEESD_SD_SD_jNS0_19identity_decomposerENS1_16block_id_wrapperIjLb0EEEEE10hipError_tT1_PNSt15iterator_traitsISI_E10value_typeET2_T3_PNSJ_ISO_E10value_typeET4_T5_PST_SU_PNS1_23onesweep_lookback_stateEbbT6_jjT7_P12ihipStream_tbENKUlT_T0_SI_SN_E_clISD_SD_SD_SD_EEDaS11_S12_SI_SN_EUlS11_E_NS1_11comp_targetILNS1_3genE0ELNS1_11target_archE4294967295ELNS1_3gpuE0ELNS1_3repE0EEENS1_47radix_sort_onesweep_sort_config_static_selectorELNS0_4arch9wavefront6targetE1EEEvSI_,@function
_ZN7rocprim17ROCPRIM_400000_NS6detail17trampoline_kernelINS0_14default_configENS1_35radix_sort_onesweep_config_selectorIttEEZZNS1_29radix_sort_onesweep_iterationIS3_Lb0EN6thrust23THRUST_200600_302600_NS6detail15normal_iteratorINS8_10device_ptrItEEEESD_SD_SD_jNS0_19identity_decomposerENS1_16block_id_wrapperIjLb0EEEEE10hipError_tT1_PNSt15iterator_traitsISI_E10value_typeET2_T3_PNSJ_ISO_E10value_typeET4_T5_PST_SU_PNS1_23onesweep_lookback_stateEbbT6_jjT7_P12ihipStream_tbENKUlT_T0_SI_SN_E_clISD_SD_SD_SD_EEDaS11_S12_SI_SN_EUlS11_E_NS1_11comp_targetILNS1_3genE0ELNS1_11target_archE4294967295ELNS1_3gpuE0ELNS1_3repE0EEENS1_47radix_sort_onesweep_sort_config_static_selectorELNS0_4arch9wavefront6targetE1EEEvSI_: ; @_ZN7rocprim17ROCPRIM_400000_NS6detail17trampoline_kernelINS0_14default_configENS1_35radix_sort_onesweep_config_selectorIttEEZZNS1_29radix_sort_onesweep_iterationIS3_Lb0EN6thrust23THRUST_200600_302600_NS6detail15normal_iteratorINS8_10device_ptrItEEEESD_SD_SD_jNS0_19identity_decomposerENS1_16block_id_wrapperIjLb0EEEEE10hipError_tT1_PNSt15iterator_traitsISI_E10value_typeET2_T3_PNSJ_ISO_E10value_typeET4_T5_PST_SU_PNS1_23onesweep_lookback_stateEbbT6_jjT7_P12ihipStream_tbENKUlT_T0_SI_SN_E_clISD_SD_SD_SD_EEDaS11_S12_SI_SN_EUlS11_E_NS1_11comp_targetILNS1_3genE0ELNS1_11target_archE4294967295ELNS1_3gpuE0ELNS1_3repE0EEENS1_47radix_sort_onesweep_sort_config_static_selectorELNS0_4arch9wavefront6targetE1EEEvSI_
; %bb.0:
	.section	.rodata,"a",@progbits
	.p2align	6, 0x0
	.amdhsa_kernel _ZN7rocprim17ROCPRIM_400000_NS6detail17trampoline_kernelINS0_14default_configENS1_35radix_sort_onesweep_config_selectorIttEEZZNS1_29radix_sort_onesweep_iterationIS3_Lb0EN6thrust23THRUST_200600_302600_NS6detail15normal_iteratorINS8_10device_ptrItEEEESD_SD_SD_jNS0_19identity_decomposerENS1_16block_id_wrapperIjLb0EEEEE10hipError_tT1_PNSt15iterator_traitsISI_E10value_typeET2_T3_PNSJ_ISO_E10value_typeET4_T5_PST_SU_PNS1_23onesweep_lookback_stateEbbT6_jjT7_P12ihipStream_tbENKUlT_T0_SI_SN_E_clISD_SD_SD_SD_EEDaS11_S12_SI_SN_EUlS11_E_NS1_11comp_targetILNS1_3genE0ELNS1_11target_archE4294967295ELNS1_3gpuE0ELNS1_3repE0EEENS1_47radix_sort_onesweep_sort_config_static_selectorELNS0_4arch9wavefront6targetE1EEEvSI_
		.amdhsa_group_segment_fixed_size 0
		.amdhsa_private_segment_fixed_size 0
		.amdhsa_kernarg_size 88
		.amdhsa_user_sgpr_count 2
		.amdhsa_user_sgpr_dispatch_ptr 0
		.amdhsa_user_sgpr_queue_ptr 0
		.amdhsa_user_sgpr_kernarg_segment_ptr 1
		.amdhsa_user_sgpr_dispatch_id 0
		.amdhsa_user_sgpr_kernarg_preload_length 0
		.amdhsa_user_sgpr_kernarg_preload_offset 0
		.amdhsa_user_sgpr_private_segment_size 0
		.amdhsa_uses_dynamic_stack 0
		.amdhsa_enable_private_segment 0
		.amdhsa_system_sgpr_workgroup_id_x 1
		.amdhsa_system_sgpr_workgroup_id_y 0
		.amdhsa_system_sgpr_workgroup_id_z 0
		.amdhsa_system_sgpr_workgroup_info 0
		.amdhsa_system_vgpr_workitem_id 0
		.amdhsa_next_free_vgpr 1
		.amdhsa_next_free_sgpr 0
		.amdhsa_accum_offset 4
		.amdhsa_reserve_vcc 0
		.amdhsa_float_round_mode_32 0
		.amdhsa_float_round_mode_16_64 0
		.amdhsa_float_denorm_mode_32 3
		.amdhsa_float_denorm_mode_16_64 3
		.amdhsa_dx10_clamp 1
		.amdhsa_ieee_mode 1
		.amdhsa_fp16_overflow 0
		.amdhsa_tg_split 0
		.amdhsa_exception_fp_ieee_invalid_op 0
		.amdhsa_exception_fp_denorm_src 0
		.amdhsa_exception_fp_ieee_div_zero 0
		.amdhsa_exception_fp_ieee_overflow 0
		.amdhsa_exception_fp_ieee_underflow 0
		.amdhsa_exception_fp_ieee_inexact 0
		.amdhsa_exception_int_div_zero 0
	.end_amdhsa_kernel
	.section	.text._ZN7rocprim17ROCPRIM_400000_NS6detail17trampoline_kernelINS0_14default_configENS1_35radix_sort_onesweep_config_selectorIttEEZZNS1_29radix_sort_onesweep_iterationIS3_Lb0EN6thrust23THRUST_200600_302600_NS6detail15normal_iteratorINS8_10device_ptrItEEEESD_SD_SD_jNS0_19identity_decomposerENS1_16block_id_wrapperIjLb0EEEEE10hipError_tT1_PNSt15iterator_traitsISI_E10value_typeET2_T3_PNSJ_ISO_E10value_typeET4_T5_PST_SU_PNS1_23onesweep_lookback_stateEbbT6_jjT7_P12ihipStream_tbENKUlT_T0_SI_SN_E_clISD_SD_SD_SD_EEDaS11_S12_SI_SN_EUlS11_E_NS1_11comp_targetILNS1_3genE0ELNS1_11target_archE4294967295ELNS1_3gpuE0ELNS1_3repE0EEENS1_47radix_sort_onesweep_sort_config_static_selectorELNS0_4arch9wavefront6targetE1EEEvSI_,"axG",@progbits,_ZN7rocprim17ROCPRIM_400000_NS6detail17trampoline_kernelINS0_14default_configENS1_35radix_sort_onesweep_config_selectorIttEEZZNS1_29radix_sort_onesweep_iterationIS3_Lb0EN6thrust23THRUST_200600_302600_NS6detail15normal_iteratorINS8_10device_ptrItEEEESD_SD_SD_jNS0_19identity_decomposerENS1_16block_id_wrapperIjLb0EEEEE10hipError_tT1_PNSt15iterator_traitsISI_E10value_typeET2_T3_PNSJ_ISO_E10value_typeET4_T5_PST_SU_PNS1_23onesweep_lookback_stateEbbT6_jjT7_P12ihipStream_tbENKUlT_T0_SI_SN_E_clISD_SD_SD_SD_EEDaS11_S12_SI_SN_EUlS11_E_NS1_11comp_targetILNS1_3genE0ELNS1_11target_archE4294967295ELNS1_3gpuE0ELNS1_3repE0EEENS1_47radix_sort_onesweep_sort_config_static_selectorELNS0_4arch9wavefront6targetE1EEEvSI_,comdat
.Lfunc_end1001:
	.size	_ZN7rocprim17ROCPRIM_400000_NS6detail17trampoline_kernelINS0_14default_configENS1_35radix_sort_onesweep_config_selectorIttEEZZNS1_29radix_sort_onesweep_iterationIS3_Lb0EN6thrust23THRUST_200600_302600_NS6detail15normal_iteratorINS8_10device_ptrItEEEESD_SD_SD_jNS0_19identity_decomposerENS1_16block_id_wrapperIjLb0EEEEE10hipError_tT1_PNSt15iterator_traitsISI_E10value_typeET2_T3_PNSJ_ISO_E10value_typeET4_T5_PST_SU_PNS1_23onesweep_lookback_stateEbbT6_jjT7_P12ihipStream_tbENKUlT_T0_SI_SN_E_clISD_SD_SD_SD_EEDaS11_S12_SI_SN_EUlS11_E_NS1_11comp_targetILNS1_3genE0ELNS1_11target_archE4294967295ELNS1_3gpuE0ELNS1_3repE0EEENS1_47radix_sort_onesweep_sort_config_static_selectorELNS0_4arch9wavefront6targetE1EEEvSI_, .Lfunc_end1001-_ZN7rocprim17ROCPRIM_400000_NS6detail17trampoline_kernelINS0_14default_configENS1_35radix_sort_onesweep_config_selectorIttEEZZNS1_29radix_sort_onesweep_iterationIS3_Lb0EN6thrust23THRUST_200600_302600_NS6detail15normal_iteratorINS8_10device_ptrItEEEESD_SD_SD_jNS0_19identity_decomposerENS1_16block_id_wrapperIjLb0EEEEE10hipError_tT1_PNSt15iterator_traitsISI_E10value_typeET2_T3_PNSJ_ISO_E10value_typeET4_T5_PST_SU_PNS1_23onesweep_lookback_stateEbbT6_jjT7_P12ihipStream_tbENKUlT_T0_SI_SN_E_clISD_SD_SD_SD_EEDaS11_S12_SI_SN_EUlS11_E_NS1_11comp_targetILNS1_3genE0ELNS1_11target_archE4294967295ELNS1_3gpuE0ELNS1_3repE0EEENS1_47radix_sort_onesweep_sort_config_static_selectorELNS0_4arch9wavefront6targetE1EEEvSI_
                                        ; -- End function
	.set _ZN7rocprim17ROCPRIM_400000_NS6detail17trampoline_kernelINS0_14default_configENS1_35radix_sort_onesweep_config_selectorIttEEZZNS1_29radix_sort_onesweep_iterationIS3_Lb0EN6thrust23THRUST_200600_302600_NS6detail15normal_iteratorINS8_10device_ptrItEEEESD_SD_SD_jNS0_19identity_decomposerENS1_16block_id_wrapperIjLb0EEEEE10hipError_tT1_PNSt15iterator_traitsISI_E10value_typeET2_T3_PNSJ_ISO_E10value_typeET4_T5_PST_SU_PNS1_23onesweep_lookback_stateEbbT6_jjT7_P12ihipStream_tbENKUlT_T0_SI_SN_E_clISD_SD_SD_SD_EEDaS11_S12_SI_SN_EUlS11_E_NS1_11comp_targetILNS1_3genE0ELNS1_11target_archE4294967295ELNS1_3gpuE0ELNS1_3repE0EEENS1_47radix_sort_onesweep_sort_config_static_selectorELNS0_4arch9wavefront6targetE1EEEvSI_.num_vgpr, 0
	.set _ZN7rocprim17ROCPRIM_400000_NS6detail17trampoline_kernelINS0_14default_configENS1_35radix_sort_onesweep_config_selectorIttEEZZNS1_29radix_sort_onesweep_iterationIS3_Lb0EN6thrust23THRUST_200600_302600_NS6detail15normal_iteratorINS8_10device_ptrItEEEESD_SD_SD_jNS0_19identity_decomposerENS1_16block_id_wrapperIjLb0EEEEE10hipError_tT1_PNSt15iterator_traitsISI_E10value_typeET2_T3_PNSJ_ISO_E10value_typeET4_T5_PST_SU_PNS1_23onesweep_lookback_stateEbbT6_jjT7_P12ihipStream_tbENKUlT_T0_SI_SN_E_clISD_SD_SD_SD_EEDaS11_S12_SI_SN_EUlS11_E_NS1_11comp_targetILNS1_3genE0ELNS1_11target_archE4294967295ELNS1_3gpuE0ELNS1_3repE0EEENS1_47radix_sort_onesweep_sort_config_static_selectorELNS0_4arch9wavefront6targetE1EEEvSI_.num_agpr, 0
	.set _ZN7rocprim17ROCPRIM_400000_NS6detail17trampoline_kernelINS0_14default_configENS1_35radix_sort_onesweep_config_selectorIttEEZZNS1_29radix_sort_onesweep_iterationIS3_Lb0EN6thrust23THRUST_200600_302600_NS6detail15normal_iteratorINS8_10device_ptrItEEEESD_SD_SD_jNS0_19identity_decomposerENS1_16block_id_wrapperIjLb0EEEEE10hipError_tT1_PNSt15iterator_traitsISI_E10value_typeET2_T3_PNSJ_ISO_E10value_typeET4_T5_PST_SU_PNS1_23onesweep_lookback_stateEbbT6_jjT7_P12ihipStream_tbENKUlT_T0_SI_SN_E_clISD_SD_SD_SD_EEDaS11_S12_SI_SN_EUlS11_E_NS1_11comp_targetILNS1_3genE0ELNS1_11target_archE4294967295ELNS1_3gpuE0ELNS1_3repE0EEENS1_47radix_sort_onesweep_sort_config_static_selectorELNS0_4arch9wavefront6targetE1EEEvSI_.numbered_sgpr, 0
	.set _ZN7rocprim17ROCPRIM_400000_NS6detail17trampoline_kernelINS0_14default_configENS1_35radix_sort_onesweep_config_selectorIttEEZZNS1_29radix_sort_onesweep_iterationIS3_Lb0EN6thrust23THRUST_200600_302600_NS6detail15normal_iteratorINS8_10device_ptrItEEEESD_SD_SD_jNS0_19identity_decomposerENS1_16block_id_wrapperIjLb0EEEEE10hipError_tT1_PNSt15iterator_traitsISI_E10value_typeET2_T3_PNSJ_ISO_E10value_typeET4_T5_PST_SU_PNS1_23onesweep_lookback_stateEbbT6_jjT7_P12ihipStream_tbENKUlT_T0_SI_SN_E_clISD_SD_SD_SD_EEDaS11_S12_SI_SN_EUlS11_E_NS1_11comp_targetILNS1_3genE0ELNS1_11target_archE4294967295ELNS1_3gpuE0ELNS1_3repE0EEENS1_47radix_sort_onesweep_sort_config_static_selectorELNS0_4arch9wavefront6targetE1EEEvSI_.num_named_barrier, 0
	.set _ZN7rocprim17ROCPRIM_400000_NS6detail17trampoline_kernelINS0_14default_configENS1_35radix_sort_onesweep_config_selectorIttEEZZNS1_29radix_sort_onesweep_iterationIS3_Lb0EN6thrust23THRUST_200600_302600_NS6detail15normal_iteratorINS8_10device_ptrItEEEESD_SD_SD_jNS0_19identity_decomposerENS1_16block_id_wrapperIjLb0EEEEE10hipError_tT1_PNSt15iterator_traitsISI_E10value_typeET2_T3_PNSJ_ISO_E10value_typeET4_T5_PST_SU_PNS1_23onesweep_lookback_stateEbbT6_jjT7_P12ihipStream_tbENKUlT_T0_SI_SN_E_clISD_SD_SD_SD_EEDaS11_S12_SI_SN_EUlS11_E_NS1_11comp_targetILNS1_3genE0ELNS1_11target_archE4294967295ELNS1_3gpuE0ELNS1_3repE0EEENS1_47radix_sort_onesweep_sort_config_static_selectorELNS0_4arch9wavefront6targetE1EEEvSI_.private_seg_size, 0
	.set _ZN7rocprim17ROCPRIM_400000_NS6detail17trampoline_kernelINS0_14default_configENS1_35radix_sort_onesweep_config_selectorIttEEZZNS1_29radix_sort_onesweep_iterationIS3_Lb0EN6thrust23THRUST_200600_302600_NS6detail15normal_iteratorINS8_10device_ptrItEEEESD_SD_SD_jNS0_19identity_decomposerENS1_16block_id_wrapperIjLb0EEEEE10hipError_tT1_PNSt15iterator_traitsISI_E10value_typeET2_T3_PNSJ_ISO_E10value_typeET4_T5_PST_SU_PNS1_23onesweep_lookback_stateEbbT6_jjT7_P12ihipStream_tbENKUlT_T0_SI_SN_E_clISD_SD_SD_SD_EEDaS11_S12_SI_SN_EUlS11_E_NS1_11comp_targetILNS1_3genE0ELNS1_11target_archE4294967295ELNS1_3gpuE0ELNS1_3repE0EEENS1_47radix_sort_onesweep_sort_config_static_selectorELNS0_4arch9wavefront6targetE1EEEvSI_.uses_vcc, 0
	.set _ZN7rocprim17ROCPRIM_400000_NS6detail17trampoline_kernelINS0_14default_configENS1_35radix_sort_onesweep_config_selectorIttEEZZNS1_29radix_sort_onesweep_iterationIS3_Lb0EN6thrust23THRUST_200600_302600_NS6detail15normal_iteratorINS8_10device_ptrItEEEESD_SD_SD_jNS0_19identity_decomposerENS1_16block_id_wrapperIjLb0EEEEE10hipError_tT1_PNSt15iterator_traitsISI_E10value_typeET2_T3_PNSJ_ISO_E10value_typeET4_T5_PST_SU_PNS1_23onesweep_lookback_stateEbbT6_jjT7_P12ihipStream_tbENKUlT_T0_SI_SN_E_clISD_SD_SD_SD_EEDaS11_S12_SI_SN_EUlS11_E_NS1_11comp_targetILNS1_3genE0ELNS1_11target_archE4294967295ELNS1_3gpuE0ELNS1_3repE0EEENS1_47radix_sort_onesweep_sort_config_static_selectorELNS0_4arch9wavefront6targetE1EEEvSI_.uses_flat_scratch, 0
	.set _ZN7rocprim17ROCPRIM_400000_NS6detail17trampoline_kernelINS0_14default_configENS1_35radix_sort_onesweep_config_selectorIttEEZZNS1_29radix_sort_onesweep_iterationIS3_Lb0EN6thrust23THRUST_200600_302600_NS6detail15normal_iteratorINS8_10device_ptrItEEEESD_SD_SD_jNS0_19identity_decomposerENS1_16block_id_wrapperIjLb0EEEEE10hipError_tT1_PNSt15iterator_traitsISI_E10value_typeET2_T3_PNSJ_ISO_E10value_typeET4_T5_PST_SU_PNS1_23onesweep_lookback_stateEbbT6_jjT7_P12ihipStream_tbENKUlT_T0_SI_SN_E_clISD_SD_SD_SD_EEDaS11_S12_SI_SN_EUlS11_E_NS1_11comp_targetILNS1_3genE0ELNS1_11target_archE4294967295ELNS1_3gpuE0ELNS1_3repE0EEENS1_47radix_sort_onesweep_sort_config_static_selectorELNS0_4arch9wavefront6targetE1EEEvSI_.has_dyn_sized_stack, 0
	.set _ZN7rocprim17ROCPRIM_400000_NS6detail17trampoline_kernelINS0_14default_configENS1_35radix_sort_onesweep_config_selectorIttEEZZNS1_29radix_sort_onesweep_iterationIS3_Lb0EN6thrust23THRUST_200600_302600_NS6detail15normal_iteratorINS8_10device_ptrItEEEESD_SD_SD_jNS0_19identity_decomposerENS1_16block_id_wrapperIjLb0EEEEE10hipError_tT1_PNSt15iterator_traitsISI_E10value_typeET2_T3_PNSJ_ISO_E10value_typeET4_T5_PST_SU_PNS1_23onesweep_lookback_stateEbbT6_jjT7_P12ihipStream_tbENKUlT_T0_SI_SN_E_clISD_SD_SD_SD_EEDaS11_S12_SI_SN_EUlS11_E_NS1_11comp_targetILNS1_3genE0ELNS1_11target_archE4294967295ELNS1_3gpuE0ELNS1_3repE0EEENS1_47radix_sort_onesweep_sort_config_static_selectorELNS0_4arch9wavefront6targetE1EEEvSI_.has_recursion, 0
	.set _ZN7rocprim17ROCPRIM_400000_NS6detail17trampoline_kernelINS0_14default_configENS1_35radix_sort_onesweep_config_selectorIttEEZZNS1_29radix_sort_onesweep_iterationIS3_Lb0EN6thrust23THRUST_200600_302600_NS6detail15normal_iteratorINS8_10device_ptrItEEEESD_SD_SD_jNS0_19identity_decomposerENS1_16block_id_wrapperIjLb0EEEEE10hipError_tT1_PNSt15iterator_traitsISI_E10value_typeET2_T3_PNSJ_ISO_E10value_typeET4_T5_PST_SU_PNS1_23onesweep_lookback_stateEbbT6_jjT7_P12ihipStream_tbENKUlT_T0_SI_SN_E_clISD_SD_SD_SD_EEDaS11_S12_SI_SN_EUlS11_E_NS1_11comp_targetILNS1_3genE0ELNS1_11target_archE4294967295ELNS1_3gpuE0ELNS1_3repE0EEENS1_47radix_sort_onesweep_sort_config_static_selectorELNS0_4arch9wavefront6targetE1EEEvSI_.has_indirect_call, 0
	.section	.AMDGPU.csdata,"",@progbits
; Kernel info:
; codeLenInByte = 0
; TotalNumSgprs: 6
; NumVgprs: 0
; NumAgprs: 0
; TotalNumVgprs: 0
; ScratchSize: 0
; MemoryBound: 0
; FloatMode: 240
; IeeeMode: 1
; LDSByteSize: 0 bytes/workgroup (compile time only)
; SGPRBlocks: 0
; VGPRBlocks: 0
; NumSGPRsForWavesPerEU: 6
; NumVGPRsForWavesPerEU: 1
; AccumOffset: 4
; Occupancy: 8
; WaveLimiterHint : 0
; COMPUTE_PGM_RSRC2:SCRATCH_EN: 0
; COMPUTE_PGM_RSRC2:USER_SGPR: 2
; COMPUTE_PGM_RSRC2:TRAP_HANDLER: 0
; COMPUTE_PGM_RSRC2:TGID_X_EN: 1
; COMPUTE_PGM_RSRC2:TGID_Y_EN: 0
; COMPUTE_PGM_RSRC2:TGID_Z_EN: 0
; COMPUTE_PGM_RSRC2:TIDIG_COMP_CNT: 0
; COMPUTE_PGM_RSRC3_GFX90A:ACCUM_OFFSET: 0
; COMPUTE_PGM_RSRC3_GFX90A:TG_SPLIT: 0
	.section	.text._ZN7rocprim17ROCPRIM_400000_NS6detail17trampoline_kernelINS0_14default_configENS1_35radix_sort_onesweep_config_selectorIttEEZZNS1_29radix_sort_onesweep_iterationIS3_Lb0EN6thrust23THRUST_200600_302600_NS6detail15normal_iteratorINS8_10device_ptrItEEEESD_SD_SD_jNS0_19identity_decomposerENS1_16block_id_wrapperIjLb0EEEEE10hipError_tT1_PNSt15iterator_traitsISI_E10value_typeET2_T3_PNSJ_ISO_E10value_typeET4_T5_PST_SU_PNS1_23onesweep_lookback_stateEbbT6_jjT7_P12ihipStream_tbENKUlT_T0_SI_SN_E_clISD_SD_SD_SD_EEDaS11_S12_SI_SN_EUlS11_E_NS1_11comp_targetILNS1_3genE6ELNS1_11target_archE950ELNS1_3gpuE13ELNS1_3repE0EEENS1_47radix_sort_onesweep_sort_config_static_selectorELNS0_4arch9wavefront6targetE1EEEvSI_,"axG",@progbits,_ZN7rocprim17ROCPRIM_400000_NS6detail17trampoline_kernelINS0_14default_configENS1_35radix_sort_onesweep_config_selectorIttEEZZNS1_29radix_sort_onesweep_iterationIS3_Lb0EN6thrust23THRUST_200600_302600_NS6detail15normal_iteratorINS8_10device_ptrItEEEESD_SD_SD_jNS0_19identity_decomposerENS1_16block_id_wrapperIjLb0EEEEE10hipError_tT1_PNSt15iterator_traitsISI_E10value_typeET2_T3_PNSJ_ISO_E10value_typeET4_T5_PST_SU_PNS1_23onesweep_lookback_stateEbbT6_jjT7_P12ihipStream_tbENKUlT_T0_SI_SN_E_clISD_SD_SD_SD_EEDaS11_S12_SI_SN_EUlS11_E_NS1_11comp_targetILNS1_3genE6ELNS1_11target_archE950ELNS1_3gpuE13ELNS1_3repE0EEENS1_47radix_sort_onesweep_sort_config_static_selectorELNS0_4arch9wavefront6targetE1EEEvSI_,comdat
	.protected	_ZN7rocprim17ROCPRIM_400000_NS6detail17trampoline_kernelINS0_14default_configENS1_35radix_sort_onesweep_config_selectorIttEEZZNS1_29radix_sort_onesweep_iterationIS3_Lb0EN6thrust23THRUST_200600_302600_NS6detail15normal_iteratorINS8_10device_ptrItEEEESD_SD_SD_jNS0_19identity_decomposerENS1_16block_id_wrapperIjLb0EEEEE10hipError_tT1_PNSt15iterator_traitsISI_E10value_typeET2_T3_PNSJ_ISO_E10value_typeET4_T5_PST_SU_PNS1_23onesweep_lookback_stateEbbT6_jjT7_P12ihipStream_tbENKUlT_T0_SI_SN_E_clISD_SD_SD_SD_EEDaS11_S12_SI_SN_EUlS11_E_NS1_11comp_targetILNS1_3genE6ELNS1_11target_archE950ELNS1_3gpuE13ELNS1_3repE0EEENS1_47radix_sort_onesweep_sort_config_static_selectorELNS0_4arch9wavefront6targetE1EEEvSI_ ; -- Begin function _ZN7rocprim17ROCPRIM_400000_NS6detail17trampoline_kernelINS0_14default_configENS1_35radix_sort_onesweep_config_selectorIttEEZZNS1_29radix_sort_onesweep_iterationIS3_Lb0EN6thrust23THRUST_200600_302600_NS6detail15normal_iteratorINS8_10device_ptrItEEEESD_SD_SD_jNS0_19identity_decomposerENS1_16block_id_wrapperIjLb0EEEEE10hipError_tT1_PNSt15iterator_traitsISI_E10value_typeET2_T3_PNSJ_ISO_E10value_typeET4_T5_PST_SU_PNS1_23onesweep_lookback_stateEbbT6_jjT7_P12ihipStream_tbENKUlT_T0_SI_SN_E_clISD_SD_SD_SD_EEDaS11_S12_SI_SN_EUlS11_E_NS1_11comp_targetILNS1_3genE6ELNS1_11target_archE950ELNS1_3gpuE13ELNS1_3repE0EEENS1_47radix_sort_onesweep_sort_config_static_selectorELNS0_4arch9wavefront6targetE1EEEvSI_
	.globl	_ZN7rocprim17ROCPRIM_400000_NS6detail17trampoline_kernelINS0_14default_configENS1_35radix_sort_onesweep_config_selectorIttEEZZNS1_29radix_sort_onesweep_iterationIS3_Lb0EN6thrust23THRUST_200600_302600_NS6detail15normal_iteratorINS8_10device_ptrItEEEESD_SD_SD_jNS0_19identity_decomposerENS1_16block_id_wrapperIjLb0EEEEE10hipError_tT1_PNSt15iterator_traitsISI_E10value_typeET2_T3_PNSJ_ISO_E10value_typeET4_T5_PST_SU_PNS1_23onesweep_lookback_stateEbbT6_jjT7_P12ihipStream_tbENKUlT_T0_SI_SN_E_clISD_SD_SD_SD_EEDaS11_S12_SI_SN_EUlS11_E_NS1_11comp_targetILNS1_3genE6ELNS1_11target_archE950ELNS1_3gpuE13ELNS1_3repE0EEENS1_47radix_sort_onesweep_sort_config_static_selectorELNS0_4arch9wavefront6targetE1EEEvSI_
	.p2align	8
	.type	_ZN7rocprim17ROCPRIM_400000_NS6detail17trampoline_kernelINS0_14default_configENS1_35radix_sort_onesweep_config_selectorIttEEZZNS1_29radix_sort_onesweep_iterationIS3_Lb0EN6thrust23THRUST_200600_302600_NS6detail15normal_iteratorINS8_10device_ptrItEEEESD_SD_SD_jNS0_19identity_decomposerENS1_16block_id_wrapperIjLb0EEEEE10hipError_tT1_PNSt15iterator_traitsISI_E10value_typeET2_T3_PNSJ_ISO_E10value_typeET4_T5_PST_SU_PNS1_23onesweep_lookback_stateEbbT6_jjT7_P12ihipStream_tbENKUlT_T0_SI_SN_E_clISD_SD_SD_SD_EEDaS11_S12_SI_SN_EUlS11_E_NS1_11comp_targetILNS1_3genE6ELNS1_11target_archE950ELNS1_3gpuE13ELNS1_3repE0EEENS1_47radix_sort_onesweep_sort_config_static_selectorELNS0_4arch9wavefront6targetE1EEEvSI_,@function
_ZN7rocprim17ROCPRIM_400000_NS6detail17trampoline_kernelINS0_14default_configENS1_35radix_sort_onesweep_config_selectorIttEEZZNS1_29radix_sort_onesweep_iterationIS3_Lb0EN6thrust23THRUST_200600_302600_NS6detail15normal_iteratorINS8_10device_ptrItEEEESD_SD_SD_jNS0_19identity_decomposerENS1_16block_id_wrapperIjLb0EEEEE10hipError_tT1_PNSt15iterator_traitsISI_E10value_typeET2_T3_PNSJ_ISO_E10value_typeET4_T5_PST_SU_PNS1_23onesweep_lookback_stateEbbT6_jjT7_P12ihipStream_tbENKUlT_T0_SI_SN_E_clISD_SD_SD_SD_EEDaS11_S12_SI_SN_EUlS11_E_NS1_11comp_targetILNS1_3genE6ELNS1_11target_archE950ELNS1_3gpuE13ELNS1_3repE0EEENS1_47radix_sort_onesweep_sort_config_static_selectorELNS0_4arch9wavefront6targetE1EEEvSI_: ; @_ZN7rocprim17ROCPRIM_400000_NS6detail17trampoline_kernelINS0_14default_configENS1_35radix_sort_onesweep_config_selectorIttEEZZNS1_29radix_sort_onesweep_iterationIS3_Lb0EN6thrust23THRUST_200600_302600_NS6detail15normal_iteratorINS8_10device_ptrItEEEESD_SD_SD_jNS0_19identity_decomposerENS1_16block_id_wrapperIjLb0EEEEE10hipError_tT1_PNSt15iterator_traitsISI_E10value_typeET2_T3_PNSJ_ISO_E10value_typeET4_T5_PST_SU_PNS1_23onesweep_lookback_stateEbbT6_jjT7_P12ihipStream_tbENKUlT_T0_SI_SN_E_clISD_SD_SD_SD_EEDaS11_S12_SI_SN_EUlS11_E_NS1_11comp_targetILNS1_3genE6ELNS1_11target_archE950ELNS1_3gpuE13ELNS1_3repE0EEENS1_47radix_sort_onesweep_sort_config_static_selectorELNS0_4arch9wavefront6targetE1EEEvSI_
; %bb.0:
	s_load_dwordx4 s[8:11], s[0:1], 0x44
	s_load_dwordx8 s[92:99], s[0:1], 0x0
	s_load_dwordx4 s[4:7], s[0:1], 0x28
                                        ; implicit-def: $vgpr118 : SGPR spill to VGPR lane
	s_load_dwordx2 s[12:13], s[0:1], 0x38
	v_mbcnt_lo_u32_b32 v1, -1, 0
	s_waitcnt lgkmcnt(0)
	s_cmp_ge_u32 s2, s10
	v_writelane_b32 v118, s4, 0
	s_nop 1
	v_writelane_b32 v118, s5, 1
	v_writelane_b32 v118, s6, 2
	;; [unrolled: 1-line block ×3, first 2 shown]
	s_mov_b64 s[4:5], -1
	s_mul_i32 s6, s2, 0x2c00
	s_cbranch_scc0 .LBB1002_288
; %bb.1:
	s_load_dword s3, s[0:1], 0x20
	s_mul_i32 s4, s10, 0xffffd400
	s_mov_b32 s7, 0
	v_mbcnt_hi_u32_b32 v15, -1, v1
	s_lshl_b64 s[10:11], s[6:7], 1
	s_waitcnt lgkmcnt(0)
	s_add_i32 s7, s3, s4
	s_add_u32 s4, s92, s10
	v_and_b32_e32 v10, 63, v15
	v_and_b32_e32 v18, 0x1c0, v0
	s_addc_u32 s5, s93, s11
	v_mul_u32_u24_e32 v11, 22, v18
	v_mov_b32_e32 v5, 0
	v_lshlrev_b32_e32 v4, 1, v10
	v_lshl_add_u64 v[2:3], s[4:5], 0, v[4:5]
	v_lshlrev_b32_e32 v6, 1, v11
	v_mov_b32_e32 v7, v5
	v_lshl_add_u64 v[8:9], v[2:3], 0, v[6:7]
	v_or_b32_e32 v11, v10, v11
	v_mov_b32_e32 v35, 0xffff
	v_mov_b32_e32 v3, -1
	v_mov_b32_e32 v5, -1
	v_mov_b32_e32 v10, 0xffff
	v_cmp_gt_u32_e64 s[14:15], s7, v11
	s_mov_b64 s[4:5], exec
	s_nop 0
	v_writelane_b32 v118, s14, 4
	s_nop 1
	v_writelane_b32 v118, s15, 5
	s_and_b64 s[14:15], s[4:5], s[14:15]
	s_mov_b64 exec, s[14:15]
	s_cbranch_execz .LBB1002_3
; %bb.2:
	global_load_ushort v5, v[8:9], off
	s_waitcnt vmcnt(0)
	v_and_b32_e32 v10, 0xffff, v5
.LBB1002_3:
	s_or_b64 exec, exec, s[4:5]
	v_or_b32_e32 v2, 64, v11
	v_cmp_gt_u32_e64 s[14:15], s7, v2
	s_mov_b64 s[4:5], exec
	s_nop 0
	v_writelane_b32 v118, s14, 6
	s_nop 1
	v_writelane_b32 v118, s15, 7
	s_and_b64 s[14:15], s[4:5], s[14:15]
	s_mov_b64 exec, s[14:15]
	s_cbranch_execz .LBB1002_5
; %bb.4:
	global_load_ushort v3, v[8:9], off offset:128
	s_waitcnt vmcnt(0)
	v_and_b32_e32 v35, 0xffff, v3
.LBB1002_5:
	s_or_b64 exec, exec, s[4:5]
	v_add_u32_e32 v2, 0x80, v11
	v_mov_b32_e32 v45, 0xffff
	v_mov_b32_e32 v7, -1
	v_mov_b32_e32 v12, -1
	v_mov_b32_e32 v39, 0xffff
	v_cmp_gt_u32_e64 s[14:15], s7, v2
	s_mov_b64 s[4:5], exec
	s_nop 0
	v_writelane_b32 v118, s14, 8
	s_nop 1
	v_writelane_b32 v118, s15, 9
	s_and_b64 s[14:15], s[4:5], s[14:15]
	s_mov_b64 exec, s[14:15]
	s_cbranch_execz .LBB1002_7
; %bb.6:
	global_load_ushort v12, v[8:9], off offset:256
	s_waitcnt vmcnt(0)
	v_and_b32_e32 v39, 0xffff, v12
.LBB1002_7:
	s_or_b64 exec, exec, s[4:5]
	v_add_u32_e32 v2, 0xc0, v11
	v_cmp_gt_u32_e64 s[14:15], s7, v2
	s_mov_b64 s[4:5], exec
	s_nop 0
	v_writelane_b32 v118, s14, 10
	s_nop 1
	v_writelane_b32 v118, s15, 11
	s_and_b64 s[14:15], s[4:5], s[14:15]
	s_mov_b64 exec, s[14:15]
	s_cbranch_execz .LBB1002_9
; %bb.8:
	global_load_ushort v7, v[8:9], off offset:384
	s_waitcnt vmcnt(0)
	v_and_b32_e32 v45, 0xffff, v7
.LBB1002_9:
	s_or_b64 exec, exec, s[4:5]
	v_add_u32_e32 v2, 0x100, v11
	v_mov_b32_e32 v53, 0xffff
	v_mov_b32_e32 v13, -1
	v_mov_b32_e32 v14, -1
	v_mov_b32_e32 v48, 0xffff
	v_cmp_gt_u32_e64 s[14:15], s7, v2
	s_mov_b64 s[4:5], exec
	s_nop 0
	v_writelane_b32 v118, s14, 12
	s_nop 1
	v_writelane_b32 v118, s15, 13
	s_and_b64 s[14:15], s[4:5], s[14:15]
	s_mov_b64 exec, s[14:15]
	s_cbranch_execz .LBB1002_11
; %bb.10:
	global_load_ushort v14, v[8:9], off offset:512
	s_waitcnt vmcnt(0)
	v_and_b32_e32 v48, 0xffff, v14
.LBB1002_11:
	s_or_b64 exec, exec, s[4:5]
	v_add_u32_e32 v2, 0x140, v11
	;; [unrolled: 36-line block ×3, first 2 shown]
	v_cmp_gt_u32_e32 vcc, s7, v2
	s_and_saveexec_b64 s[4:5], vcc
	s_cbranch_execz .LBB1002_17
; %bb.16:
	global_load_ushort v16, v[8:9], off offset:896
	s_waitcnt vmcnt(0)
	v_and_b32_e32 v61, 0xffff, v16
.LBB1002_17:
	s_or_b64 exec, exec, s[4:5]
	v_add_u32_e32 v2, 0x200, v11
	v_cmp_gt_u32_e64 s[16:17], s7, v2
	v_mov_b32_e32 v70, 0xffff
	v_mov_b32_e32 v19, -1
	v_mov_b32_e32 v20, -1
	v_mov_b32_e32 v66, 0xffff
	s_and_saveexec_b64 s[4:5], s[16:17]
	s_cbranch_execz .LBB1002_19
; %bb.18:
	global_load_ushort v20, v[8:9], off offset:1024
	s_waitcnt vmcnt(0)
	v_and_b32_e32 v66, 0xffff, v20
.LBB1002_19:
	s_or_b64 exec, exec, s[4:5]
	v_add_u32_e32 v2, 0x240, v11
	v_cmp_gt_u32_e64 s[18:19], s7, v2
	s_and_saveexec_b64 s[4:5], s[18:19]
	s_cbranch_execz .LBB1002_21
; %bb.20:
	global_load_ushort v19, v[8:9], off offset:1152
	s_waitcnt vmcnt(0)
	v_and_b32_e32 v70, 0xffff, v19
.LBB1002_21:
	s_or_b64 exec, exec, s[4:5]
	v_add_u32_e32 v2, 0x280, v11
	v_cmp_gt_u32_e64 s[20:21], s7, v2
	v_mov_b32_e32 v71, 0xffff
	v_mov_b32_e32 v21, -1
	v_mov_b32_e32 v22, -1
	v_mov_b32_e32 v74, 0xffff
	s_and_saveexec_b64 s[4:5], s[20:21]
	s_cbranch_execz .LBB1002_23
; %bb.22:
	global_load_ushort v22, v[8:9], off offset:1280
	s_waitcnt vmcnt(0)
	v_and_b32_e32 v74, 0xffff, v22
.LBB1002_23:
	s_or_b64 exec, exec, s[4:5]
	v_add_u32_e32 v2, 0x2c0, v11
	v_cmp_gt_u32_e64 s[22:23], s7, v2
	s_and_saveexec_b64 s[4:5], s[22:23]
	s_cbranch_execz .LBB1002_25
; %bb.24:
	global_load_ushort v21, v[8:9], off offset:1408
	s_waitcnt vmcnt(0)
	v_and_b32_e32 v71, 0xffff, v21
.LBB1002_25:
	s_or_b64 exec, exec, s[4:5]
	v_add_u32_e32 v2, 0x300, v11
	v_cmp_gt_u32_e64 s[24:25], s7, v2
	v_mov_b32_e32 v65, 0xffff
	v_mov_b32_e32 v23, -1
	v_mov_b32_e32 v24, -1
	v_mov_b32_e32 v69, 0xffff
	s_and_saveexec_b64 s[4:5], s[24:25]
	s_cbranch_execz .LBB1002_27
; %bb.26:
	global_load_ushort v24, v[8:9], off offset:1536
	s_waitcnt vmcnt(0)
	v_and_b32_e32 v69, 0xffff, v24
.LBB1002_27:
	s_or_b64 exec, exec, s[4:5]
	v_add_u32_e32 v2, 0x340, v11
	v_cmp_gt_u32_e64 s[26:27], s7, v2
	s_and_saveexec_b64 s[4:5], s[26:27]
	s_cbranch_execz .LBB1002_29
; %bb.28:
	global_load_ushort v23, v[8:9], off offset:1664
	s_waitcnt vmcnt(0)
	v_and_b32_e32 v65, 0xffff, v23
.LBB1002_29:
	s_or_b64 exec, exec, s[4:5]
	v_add_u32_e32 v2, 0x380, v11
	v_cmp_gt_u32_e64 s[28:29], s7, v2
	v_mov_b32_e32 v58, 0xffff
	v_mov_b32_e32 v25, -1
	v_mov_b32_e32 v26, -1
	v_mov_b32_e32 v62, 0xffff
	s_and_saveexec_b64 s[4:5], s[28:29]
	s_cbranch_execz .LBB1002_31
; %bb.30:
	global_load_ushort v26, v[8:9], off offset:1792
	s_waitcnt vmcnt(0)
	v_and_b32_e32 v62, 0xffff, v26
.LBB1002_31:
	s_or_b64 exec, exec, s[4:5]
	v_add_u32_e32 v2, 0x3c0, v11
	v_cmp_gt_u32_e64 s[30:31], s7, v2
	s_and_saveexec_b64 s[4:5], s[30:31]
	s_cbranch_execz .LBB1002_33
; %bb.32:
	global_load_ushort v25, v[8:9], off offset:1920
	s_waitcnt vmcnt(0)
	v_and_b32_e32 v58, 0xffff, v25
.LBB1002_33:
	s_or_b64 exec, exec, s[4:5]
	v_add_u32_e32 v2, 0x400, v11
	v_cmp_gt_u32_e64 s[34:35], s7, v2
	v_mov_b32_e32 v51, 0xffff
	v_mov_b32_e32 v27, -1
	v_mov_b32_e32 v28, -1
	v_mov_b32_e32 v55, 0xffff
	s_and_saveexec_b64 s[4:5], s[34:35]
	s_cbranch_execz .LBB1002_35
; %bb.34:
	global_load_ushort v28, v[8:9], off offset:2048
	s_waitcnt vmcnt(0)
	v_and_b32_e32 v55, 0xffff, v28
.LBB1002_35:
	s_or_b64 exec, exec, s[4:5]
	v_add_u32_e32 v2, 0x440, v11
	v_cmp_gt_u32_e64 s[36:37], s7, v2
	s_and_saveexec_b64 s[4:5], s[36:37]
	s_cbranch_execz .LBB1002_37
; %bb.36:
	global_load_ushort v27, v[8:9], off offset:2176
	s_waitcnt vmcnt(0)
	v_and_b32_e32 v51, 0xffff, v27
.LBB1002_37:
	s_or_b64 exec, exec, s[4:5]
	v_add_u32_e32 v2, 0x480, v11
	v_cmp_gt_u32_e64 s[38:39], s7, v2
	v_mov_b32_e32 v44, 0xffff
	v_mov_b32_e32 v29, -1
	v_mov_b32_e32 v30, -1
	v_mov_b32_e32 v49, 0xffff
	s_and_saveexec_b64 s[4:5], s[38:39]
	s_cbranch_execz .LBB1002_39
; %bb.38:
	global_load_ushort v30, v[8:9], off offset:2304
	s_waitcnt vmcnt(0)
	v_and_b32_e32 v49, 0xffff, v30
.LBB1002_39:
	s_or_b64 exec, exec, s[4:5]
	v_add_u32_e32 v2, 0x4c0, v11
	v_cmp_gt_u32_e64 s[40:41], s7, v2
	s_and_saveexec_b64 s[4:5], s[40:41]
	s_cbranch_execz .LBB1002_41
; %bb.40:
	global_load_ushort v29, v[8:9], off offset:2432
	s_waitcnt vmcnt(0)
	v_and_b32_e32 v44, 0xffff, v29
.LBB1002_41:
	s_or_b64 exec, exec, s[4:5]
	v_add_u32_e32 v2, 0x500, v11
	v_cmp_gt_u32_e64 s[42:43], s7, v2
	v_mov_b32_e32 v36, 0xffff
	v_mov_b32_e32 v31, -1
	v_mov_b32_e32 v32, -1
	v_mov_b32_e32 v40, 0xffff
	s_and_saveexec_b64 s[4:5], s[42:43]
	s_cbranch_execz .LBB1002_43
; %bb.42:
	global_load_ushort v32, v[8:9], off offset:2560
	s_waitcnt vmcnt(0)
	v_and_b32_e32 v40, 0xffff, v32
.LBB1002_43:
	s_or_b64 exec, exec, s[4:5]
	v_add_u32_e32 v11, 0x540, v11
	v_and_b32_e32 v2, 0x3ff, v0
	v_cmp_gt_u32_e64 s[44:45], s7, v11
	s_and_saveexec_b64 s[4:5], s[44:45]
	s_cbranch_execz .LBB1002_45
; %bb.44:
	global_load_ushort v31, v[8:9], off offset:2688
	s_waitcnt vmcnt(0)
	v_and_b32_e32 v36, 0xffff, v31
.LBB1002_45:
	s_or_b64 exec, exec, s[4:5]
	s_load_dword s4, s[0:1], 0x64
	s_load_dword s3, s[0:1], 0x58
	s_add_u32 s5, s0, 0x58
	s_addc_u32 s14, s1, 0
	v_mov_b32_e32 v8, 0
	s_waitcnt lgkmcnt(0)
	s_lshr_b32 s15, s4, 16
	s_cmp_lt_u32 s2, s3
	s_cselect_b32 s4, 12, 18
	s_add_u32 s4, s5, s4
	s_addc_u32 s5, s14, 0
	global_load_ushort v37, v8, s[4:5]
	v_bfe_u32 v34, v0, 10, 10
	v_bfe_u32 v38, v0, 20, 10
	v_lshrrev_b32_e32 v10, s8, v10
	s_lshl_b32 s4, -1, s9
	v_lshlrev_b32_e32 v33, 3, v2
	v_mov_b32_e32 v9, v8
	v_mad_u32_u24 v38, v38, s15, v34
	v_bitop3_b32 v34, v10, s4, v10 bitop3:0x30
	v_mov_b32_e32 v11, v8
	ds_write_b64 v33, v[8:9] offset:32
	v_and_b32_e32 v10, 1, v34
	v_lshlrev_b32_e32 v9, 30, v34
	v_lshl_add_u64 v[42:43], v[10:11], 0, -1
	v_cmp_ne_u32_e64 s[46:47], 0, v10
	v_cmp_gt_i64_e64 s[48:49], 0, v[8:9]
	v_not_b32_e32 v10, v9
	v_lshlrev_b32_e32 v9, 29, v34
	v_xor_b32_e32 v11, s47, v43
	v_xor_b32_e32 v42, s46, v42
	v_ashrrev_i32_e32 v10, 31, v10
	v_cmp_gt_i64_e64 s[46:47], 0, v[8:9]
	v_not_b32_e32 v43, v9
	v_lshlrev_b32_e32 v9, 28, v34
	v_and_b32_e32 v11, exec_hi, v11
	v_and_b32_e32 v42, exec_lo, v42
	v_xor_b32_e32 v46, s49, v10
	v_xor_b32_e32 v10, s48, v10
	v_ashrrev_i32_e32 v43, 31, v43
	v_cmp_gt_i64_e64 s[48:49], 0, v[8:9]
	v_not_b32_e32 v47, v9
	v_lshlrev_b32_e32 v9, 27, v34
	v_and_b32_e32 v11, v11, v46
	v_and_b32_e32 v10, v42, v10
	v_xor_b32_e32 v42, s47, v43
	v_xor_b32_e32 v43, s46, v43
	v_ashrrev_i32_e32 v46, 31, v47
	v_cmp_gt_i64_e64 s[46:47], 0, v[8:9]
	v_not_b32_e32 v47, v9
	v_lshlrev_b32_e32 v9, 26, v34
	v_mul_u32_u24_e32 v41, 36, v34
	v_and_b32_e32 v11, v11, v42
	v_and_b32_e32 v10, v10, v43
	v_xor_b32_e32 v34, s49, v46
	v_xor_b32_e32 v42, s48, v46
	v_ashrrev_i32_e32 v43, 31, v47
	v_cmp_gt_i64_e64 s[48:49], 0, v[8:9]
	v_not_b32_e32 v9, v9
	v_and_b32_e32 v11, v11, v34
	v_and_b32_e32 v10, v10, v42
	v_xor_b32_e32 v34, s47, v43
	v_xor_b32_e32 v42, s46, v43
	v_ashrrev_i32_e32 v9, 31, v9
	v_and_b32_e32 v11, v11, v34
	v_and_b32_e32 v10, v10, v42
	v_xor_b32_e32 v34, s49, v9
	v_xor_b32_e32 v9, s48, v9
	v_and_b32_e32 v10, v10, v9
	s_not_b32 s33, s4
	v_and_b32_e32 v11, v11, v34
	v_mbcnt_lo_u32_b32 v9, v10, 0
	v_mbcnt_hi_u32_b32 v34, v11, v9
	v_cmp_ne_u64_e64 s[46:47], 0, v[10:11]
	v_cmp_eq_u32_e64 s[48:49], 0, v34
	s_and_b64 s[46:47], s[46:47], s[48:49]
	s_waitcnt lgkmcnt(0)
	s_barrier
	s_waitcnt vmcnt(0)
	; wave barrier
	v_mad_u64_u32 v[42:43], s[4:5], v38, v37, v[2:3]
	v_lshrrev_b32_e32 v9, 4, v42
	v_and_b32_e32 v43, 0xffffffc, v9
	v_add_u32_e32 v37, v43, v41
	s_and_saveexec_b64 s[4:5], s[46:47]
; %bb.46:
	v_bcnt_u32_b32 v9, v10, 0
	v_bcnt_u32_b32 v9, v11, v9
	ds_write_b32 v37, v9 offset:32
; %bb.47:
	s_or_b64 exec, exec, s[4:5]
	v_lshrrev_b32_e32 v9, s8, v35
	v_and_b32_e32 v38, s33, v9
	v_and_b32_e32 v10, 1, v38
	v_mov_b32_e32 v11, v8
	v_mad_u32_u24 v9, v38, 36, v43
	v_lshl_add_u64 v[46:47], v[10:11], 0, -1
	v_cmp_ne_u32_e64 s[46:47], 0, v10
	; wave barrier
	ds_read_b32 v35, v9 offset:32
	s_nop 0
	v_xor_b32_e32 v9, s47, v47
	v_and_b32_e32 v11, exec_hi, v9
	v_lshlrev_b32_e32 v9, 30, v38
	v_xor_b32_e32 v10, s46, v46
	v_cmp_gt_i64_e64 s[46:47], 0, v[8:9]
	v_not_b32_e32 v9, v9
	v_ashrrev_i32_e32 v9, 31, v9
	v_and_b32_e32 v10, exec_lo, v10
	v_xor_b32_e32 v42, s47, v9
	v_xor_b32_e32 v9, s46, v9
	v_and_b32_e32 v10, v10, v9
	v_lshlrev_b32_e32 v9, 29, v38
	v_cmp_gt_i64_e64 s[46:47], 0, v[8:9]
	v_not_b32_e32 v9, v9
	v_ashrrev_i32_e32 v9, 31, v9
	v_and_b32_e32 v11, v11, v42
	v_xor_b32_e32 v42, s47, v9
	v_xor_b32_e32 v9, s46, v9
	v_and_b32_e32 v10, v10, v9
	v_lshlrev_b32_e32 v9, 28, v38
	v_cmp_gt_i64_e64 s[46:47], 0, v[8:9]
	v_not_b32_e32 v9, v9
	v_ashrrev_i32_e32 v9, 31, v9
	v_and_b32_e32 v11, v11, v42
	;; [unrolled: 8-line block ×3, first 2 shown]
	v_xor_b32_e32 v42, s47, v9
	v_xor_b32_e32 v9, s46, v9
	v_and_b32_e32 v10, v10, v9
	v_lshlrev_b32_e32 v9, 26, v38
	v_cmp_gt_i64_e64 s[46:47], 0, v[8:9]
	v_not_b32_e32 v8, v9
	v_ashrrev_i32_e32 v8, 31, v8
	v_xor_b32_e32 v9, s47, v8
	v_xor_b32_e32 v8, s46, v8
	v_and_b32_e32 v11, v11, v42
	v_and_b32_e32 v8, v10, v8
	;; [unrolled: 1-line block ×3, first 2 shown]
	v_mbcnt_lo_u32_b32 v10, v8, 0
	v_mul_u32_u24_e32 v41, 36, v38
	v_mbcnt_hi_u32_b32 v38, v9, v10
	v_cmp_eq_u32_e64 s[46:47], 0, v38
	v_cmp_ne_u64_e64 s[48:49], 0, v[8:9]
	s_and_b64 s[46:47], s[48:49], s[46:47]
	v_add_u32_e32 v41, v43, v41
	; wave barrier
	s_and_saveexec_b64 s[4:5], s[46:47]
	s_cbranch_execz .LBB1002_49
; %bb.48:
	v_bcnt_u32_b32 v8, v8, 0
	v_bcnt_u32_b32 v8, v9, v8
	s_waitcnt lgkmcnt(0)
	v_add_u32_e32 v8, v35, v8
	ds_write_b32 v41, v8 offset:32
.LBB1002_49:
	s_or_b64 exec, exec, s[4:5]
	v_lshrrev_b32_e32 v8, s8, v39
	v_and_b32_e32 v42, s33, v8
	v_mad_u32_u24 v8, v42, 36, v43
	; wave barrier
	ds_read_b32 v39, v8 offset:32
	v_and_b32_e32 v8, 1, v42
	v_mov_b32_e32 v9, 0
	v_lshl_add_u64 v[10:11], v[8:9], 0, -1
	v_cmp_ne_u32_e64 s[46:47], 0, v8
	v_mul_u32_u24_e32 v46, 36, v42
	v_add_u32_e32 v46, v43, v46
	v_xor_b32_e32 v10, s46, v10
	v_xor_b32_e32 v8, s47, v11
	v_and_b32_e32 v47, exec_lo, v10
	v_lshlrev_b32_e32 v11, 30, v42
	v_mov_b32_e32 v10, v9
	v_cmp_gt_i64_e64 s[46:47], 0, v[10:11]
	v_not_b32_e32 v10, v11
	v_ashrrev_i32_e32 v10, 31, v10
	v_and_b32_e32 v8, exec_hi, v8
	v_xor_b32_e32 v11, s47, v10
	v_xor_b32_e32 v10, s46, v10
	v_and_b32_e32 v8, v8, v11
	v_and_b32_e32 v47, v47, v10
	v_lshlrev_b32_e32 v11, 29, v42
	v_mov_b32_e32 v10, v9
	v_cmp_gt_i64_e64 s[46:47], 0, v[10:11]
	v_not_b32_e32 v10, v11
	v_ashrrev_i32_e32 v10, 31, v10
	v_xor_b32_e32 v11, s47, v10
	v_xor_b32_e32 v10, s46, v10
	v_and_b32_e32 v8, v8, v11
	v_and_b32_e32 v47, v47, v10
	v_lshlrev_b32_e32 v11, 28, v42
	v_mov_b32_e32 v10, v9
	v_cmp_gt_i64_e64 s[46:47], 0, v[10:11]
	v_not_b32_e32 v10, v11
	v_ashrrev_i32_e32 v10, 31, v10
	v_xor_b32_e32 v11, s47, v10
	v_xor_b32_e32 v10, s46, v10
	v_and_b32_e32 v8, v8, v11
	v_and_b32_e32 v47, v47, v10
	v_lshlrev_b32_e32 v11, 27, v42
	v_mov_b32_e32 v10, v9
	v_cmp_gt_i64_e64 s[46:47], 0, v[10:11]
	v_not_b32_e32 v10, v11
	v_ashrrev_i32_e32 v10, 31, v10
	v_xor_b32_e32 v11, s47, v10
	v_xor_b32_e32 v10, s46, v10
	v_and_b32_e32 v8, v8, v11
	v_and_b32_e32 v47, v47, v10
	v_lshlrev_b32_e32 v11, 26, v42
	v_mov_b32_e32 v10, v9
	v_cmp_gt_i64_e64 s[46:47], 0, v[10:11]
	v_not_b32_e32 v10, v11
	v_ashrrev_i32_e32 v10, 31, v10
	v_xor_b32_e32 v11, s47, v10
	v_xor_b32_e32 v10, s46, v10
	v_and_b32_e32 v10, v47, v10
	v_and_b32_e32 v11, v8, v11
	v_mbcnt_lo_u32_b32 v8, v10, 0
	v_mbcnt_hi_u32_b32 v42, v11, v8
	v_cmp_eq_u32_e64 s[46:47], 0, v42
	v_cmp_ne_u64_e64 s[48:49], 0, v[10:11]
	s_and_b64 s[46:47], s[48:49], s[46:47]
	; wave barrier
	s_and_saveexec_b64 s[4:5], s[46:47]
	s_cbranch_execz .LBB1002_51
; %bb.50:
	v_bcnt_u32_b32 v8, v10, 0
	v_bcnt_u32_b32 v8, v11, v8
	s_waitcnt lgkmcnt(0)
	v_add_u32_e32 v8, v39, v8
	ds_write_b32 v46, v8 offset:32
.LBB1002_51:
	s_or_b64 exec, exec, s[4:5]
	v_lshrrev_b32_e32 v8, s8, v45
	v_and_b32_e32 v47, s33, v8
	v_mad_u32_u24 v8, v47, 36, v43
	; wave barrier
	ds_read_b32 v45, v8 offset:32
	v_and_b32_e32 v8, 1, v47
	v_lshl_add_u64 v[10:11], v[8:9], 0, -1
	v_cmp_ne_u32_e64 s[46:47], 0, v8
	v_mul_u32_u24_e32 v50, 36, v47
	v_add_u32_e32 v50, v43, v50
	v_xor_b32_e32 v10, s46, v10
	v_xor_b32_e32 v8, s47, v11
	v_and_b32_e32 v52, exec_lo, v10
	v_lshlrev_b32_e32 v11, 30, v47
	v_mov_b32_e32 v10, v9
	v_cmp_gt_i64_e64 s[46:47], 0, v[10:11]
	v_not_b32_e32 v10, v11
	v_ashrrev_i32_e32 v10, 31, v10
	v_and_b32_e32 v8, exec_hi, v8
	v_xor_b32_e32 v11, s47, v10
	v_xor_b32_e32 v10, s46, v10
	v_and_b32_e32 v8, v8, v11
	v_and_b32_e32 v52, v52, v10
	v_lshlrev_b32_e32 v11, 29, v47
	v_mov_b32_e32 v10, v9
	v_cmp_gt_i64_e64 s[46:47], 0, v[10:11]
	v_not_b32_e32 v10, v11
	v_ashrrev_i32_e32 v10, 31, v10
	v_xor_b32_e32 v11, s47, v10
	v_xor_b32_e32 v10, s46, v10
	v_and_b32_e32 v8, v8, v11
	v_and_b32_e32 v52, v52, v10
	v_lshlrev_b32_e32 v11, 28, v47
	v_mov_b32_e32 v10, v9
	v_cmp_gt_i64_e64 s[46:47], 0, v[10:11]
	v_not_b32_e32 v10, v11
	v_ashrrev_i32_e32 v10, 31, v10
	;; [unrolled: 9-line block ×3, first 2 shown]
	v_xor_b32_e32 v11, s47, v10
	v_xor_b32_e32 v10, s46, v10
	v_and_b32_e32 v8, v8, v11
	v_lshlrev_b32_e32 v11, 26, v47
	v_and_b32_e32 v52, v52, v10
	v_mov_b32_e32 v10, v9
	v_not_b32_e32 v9, v11
	v_cmp_gt_i64_e64 s[46:47], 0, v[10:11]
	v_ashrrev_i32_e32 v9, 31, v9
	s_nop 0
	v_xor_b32_e32 v10, s47, v9
	v_xor_b32_e32 v11, s46, v9
	v_and_b32_e32 v9, v8, v10
	v_and_b32_e32 v8, v52, v11
	v_mbcnt_lo_u32_b32 v10, v8, 0
	v_mbcnt_hi_u32_b32 v47, v9, v10
	v_cmp_eq_u32_e64 s[46:47], 0, v47
	v_cmp_ne_u64_e64 s[48:49], 0, v[8:9]
	s_and_b64 s[46:47], s[48:49], s[46:47]
	; wave barrier
	s_and_saveexec_b64 s[4:5], s[46:47]
	s_cbranch_execz .LBB1002_53
; %bb.52:
	v_bcnt_u32_b32 v8, v8, 0
	v_bcnt_u32_b32 v8, v9, v8
	s_waitcnt lgkmcnt(0)
	v_add_u32_e32 v8, v45, v8
	ds_write_b32 v50, v8 offset:32
.LBB1002_53:
	s_or_b64 exec, exec, s[4:5]
	v_lshrrev_b32_e32 v8, s8, v48
	v_and_b32_e32 v52, s33, v8
	v_mad_u32_u24 v8, v52, 36, v43
	; wave barrier
	ds_read_b32 v48, v8 offset:32
	v_and_b32_e32 v8, 1, v52
	v_mov_b32_e32 v9, 0
	v_lshl_add_u64 v[10:11], v[8:9], 0, -1
	v_cmp_ne_u32_e64 s[46:47], 0, v8
	v_mul_u32_u24_e32 v54, 36, v52
	v_add_u32_e32 v54, v43, v54
	v_xor_b32_e32 v10, s46, v10
	v_xor_b32_e32 v8, s47, v11
	v_and_b32_e32 v56, exec_lo, v10
	v_lshlrev_b32_e32 v11, 30, v52
	v_mov_b32_e32 v10, v9
	v_cmp_gt_i64_e64 s[46:47], 0, v[10:11]
	v_not_b32_e32 v10, v11
	v_ashrrev_i32_e32 v10, 31, v10
	v_and_b32_e32 v8, exec_hi, v8
	v_xor_b32_e32 v11, s47, v10
	v_xor_b32_e32 v10, s46, v10
	v_and_b32_e32 v8, v8, v11
	v_and_b32_e32 v56, v56, v10
	v_lshlrev_b32_e32 v11, 29, v52
	v_mov_b32_e32 v10, v9
	v_cmp_gt_i64_e64 s[46:47], 0, v[10:11]
	v_not_b32_e32 v10, v11
	v_ashrrev_i32_e32 v10, 31, v10
	v_xor_b32_e32 v11, s47, v10
	v_xor_b32_e32 v10, s46, v10
	v_and_b32_e32 v8, v8, v11
	v_and_b32_e32 v56, v56, v10
	v_lshlrev_b32_e32 v11, 28, v52
	v_mov_b32_e32 v10, v9
	v_cmp_gt_i64_e64 s[46:47], 0, v[10:11]
	v_not_b32_e32 v10, v11
	v_ashrrev_i32_e32 v10, 31, v10
	;; [unrolled: 9-line block ×4, first 2 shown]
	v_xor_b32_e32 v11, s47, v10
	v_xor_b32_e32 v10, s46, v10
	v_and_b32_e32 v10, v56, v10
	v_and_b32_e32 v11, v8, v11
	v_mbcnt_lo_u32_b32 v8, v10, 0
	v_mbcnt_hi_u32_b32 v52, v11, v8
	v_cmp_eq_u32_e64 s[46:47], 0, v52
	v_cmp_ne_u64_e64 s[48:49], 0, v[10:11]
	s_and_b64 s[46:47], s[48:49], s[46:47]
	; wave barrier
	s_and_saveexec_b64 s[4:5], s[46:47]
	s_cbranch_execz .LBB1002_55
; %bb.54:
	v_bcnt_u32_b32 v8, v10, 0
	v_bcnt_u32_b32 v8, v11, v8
	s_waitcnt lgkmcnt(0)
	v_add_u32_e32 v8, v48, v8
	ds_write_b32 v54, v8 offset:32
.LBB1002_55:
	s_or_b64 exec, exec, s[4:5]
	v_lshrrev_b32_e32 v8, s8, v53
	v_and_b32_e32 v56, s33, v8
	v_mad_u32_u24 v8, v56, 36, v43
	; wave barrier
	ds_read_b32 v53, v8 offset:32
	v_and_b32_e32 v8, 1, v56
	v_lshl_add_u64 v[10:11], v[8:9], 0, -1
	v_cmp_ne_u32_e64 s[46:47], 0, v8
	v_mul_u32_u24_e32 v59, 36, v56
	v_add_u32_e32 v59, v43, v59
	v_xor_b32_e32 v10, s46, v10
	v_xor_b32_e32 v8, s47, v11
	v_and_b32_e32 v60, exec_lo, v10
	v_lshlrev_b32_e32 v11, 30, v56
	v_mov_b32_e32 v10, v9
	v_cmp_gt_i64_e64 s[46:47], 0, v[10:11]
	v_not_b32_e32 v10, v11
	v_ashrrev_i32_e32 v10, 31, v10
	v_and_b32_e32 v8, exec_hi, v8
	v_xor_b32_e32 v11, s47, v10
	v_xor_b32_e32 v10, s46, v10
	v_and_b32_e32 v8, v8, v11
	v_and_b32_e32 v60, v60, v10
	v_lshlrev_b32_e32 v11, 29, v56
	v_mov_b32_e32 v10, v9
	v_cmp_gt_i64_e64 s[46:47], 0, v[10:11]
	v_not_b32_e32 v10, v11
	v_ashrrev_i32_e32 v10, 31, v10
	v_xor_b32_e32 v11, s47, v10
	v_xor_b32_e32 v10, s46, v10
	v_and_b32_e32 v8, v8, v11
	v_and_b32_e32 v60, v60, v10
	v_lshlrev_b32_e32 v11, 28, v56
	v_mov_b32_e32 v10, v9
	v_cmp_gt_i64_e64 s[46:47], 0, v[10:11]
	v_not_b32_e32 v10, v11
	v_ashrrev_i32_e32 v10, 31, v10
	;; [unrolled: 9-line block ×3, first 2 shown]
	v_xor_b32_e32 v11, s47, v10
	v_xor_b32_e32 v10, s46, v10
	v_and_b32_e32 v8, v8, v11
	v_lshlrev_b32_e32 v11, 26, v56
	v_and_b32_e32 v60, v60, v10
	v_mov_b32_e32 v10, v9
	v_not_b32_e32 v9, v11
	v_cmp_gt_i64_e64 s[46:47], 0, v[10:11]
	v_ashrrev_i32_e32 v9, 31, v9
	s_nop 0
	v_xor_b32_e32 v10, s47, v9
	v_xor_b32_e32 v11, s46, v9
	v_and_b32_e32 v9, v8, v10
	v_and_b32_e32 v8, v60, v11
	v_mbcnt_lo_u32_b32 v10, v8, 0
	v_mbcnt_hi_u32_b32 v56, v9, v10
	v_cmp_eq_u32_e64 s[46:47], 0, v56
	v_cmp_ne_u64_e64 s[48:49], 0, v[8:9]
	s_and_b64 s[46:47], s[48:49], s[46:47]
	; wave barrier
	s_and_saveexec_b64 s[4:5], s[46:47]
	s_cbranch_execz .LBB1002_57
; %bb.56:
	v_bcnt_u32_b32 v8, v8, 0
	v_bcnt_u32_b32 v8, v9, v8
	s_waitcnt lgkmcnt(0)
	v_add_u32_e32 v8, v53, v8
	ds_write_b32 v59, v8 offset:32
.LBB1002_57:
	s_or_b64 exec, exec, s[4:5]
	v_lshrrev_b32_e32 v8, s8, v57
	v_and_b32_e32 v60, s33, v8
	v_mad_u32_u24 v8, v60, 36, v43
	; wave barrier
	ds_read_b32 v57, v8 offset:32
	v_and_b32_e32 v8, 1, v60
	v_mov_b32_e32 v9, 0
	v_lshl_add_u64 v[10:11], v[8:9], 0, -1
	v_cmp_ne_u32_e64 s[46:47], 0, v8
	v_mul_u32_u24_e32 v63, 36, v60
	v_add_u32_e32 v63, v43, v63
	v_xor_b32_e32 v10, s46, v10
	v_xor_b32_e32 v8, s47, v11
	v_and_b32_e32 v64, exec_lo, v10
	v_lshlrev_b32_e32 v11, 30, v60
	v_mov_b32_e32 v10, v9
	v_cmp_gt_i64_e64 s[46:47], 0, v[10:11]
	v_not_b32_e32 v10, v11
	v_ashrrev_i32_e32 v10, 31, v10
	v_and_b32_e32 v8, exec_hi, v8
	v_xor_b32_e32 v11, s47, v10
	v_xor_b32_e32 v10, s46, v10
	v_and_b32_e32 v8, v8, v11
	v_and_b32_e32 v64, v64, v10
	v_lshlrev_b32_e32 v11, 29, v60
	v_mov_b32_e32 v10, v9
	v_cmp_gt_i64_e64 s[46:47], 0, v[10:11]
	v_not_b32_e32 v10, v11
	v_ashrrev_i32_e32 v10, 31, v10
	v_xor_b32_e32 v11, s47, v10
	v_xor_b32_e32 v10, s46, v10
	v_and_b32_e32 v8, v8, v11
	v_and_b32_e32 v64, v64, v10
	v_lshlrev_b32_e32 v11, 28, v60
	v_mov_b32_e32 v10, v9
	v_cmp_gt_i64_e64 s[46:47], 0, v[10:11]
	v_not_b32_e32 v10, v11
	v_ashrrev_i32_e32 v10, 31, v10
	;; [unrolled: 9-line block ×4, first 2 shown]
	v_xor_b32_e32 v11, s47, v10
	v_xor_b32_e32 v10, s46, v10
	v_and_b32_e32 v10, v64, v10
	v_and_b32_e32 v11, v8, v11
	v_mbcnt_lo_u32_b32 v8, v10, 0
	v_mbcnt_hi_u32_b32 v60, v11, v8
	v_cmp_eq_u32_e64 s[46:47], 0, v60
	v_cmp_ne_u64_e64 s[48:49], 0, v[10:11]
	s_and_b64 s[46:47], s[48:49], s[46:47]
	; wave barrier
	s_and_saveexec_b64 s[4:5], s[46:47]
	s_cbranch_execz .LBB1002_59
; %bb.58:
	v_bcnt_u32_b32 v8, v10, 0
	v_bcnt_u32_b32 v8, v11, v8
	s_waitcnt lgkmcnt(0)
	v_add_u32_e32 v8, v57, v8
	ds_write_b32 v63, v8 offset:32
.LBB1002_59:
	s_or_b64 exec, exec, s[4:5]
	v_lshrrev_b32_e32 v8, s8, v61
	v_and_b32_e32 v64, s33, v8
	v_mad_u32_u24 v8, v64, 36, v43
	; wave barrier
	ds_read_b32 v61, v8 offset:32
	v_and_b32_e32 v8, 1, v64
	v_lshl_add_u64 v[10:11], v[8:9], 0, -1
	v_cmp_ne_u32_e64 s[46:47], 0, v8
	v_mul_u32_u24_e32 v67, 36, v64
	v_add_u32_e32 v67, v43, v67
	v_xor_b32_e32 v10, s46, v10
	v_xor_b32_e32 v8, s47, v11
	v_and_b32_e32 v68, exec_lo, v10
	v_lshlrev_b32_e32 v11, 30, v64
	v_mov_b32_e32 v10, v9
	v_cmp_gt_i64_e64 s[46:47], 0, v[10:11]
	v_not_b32_e32 v10, v11
	v_ashrrev_i32_e32 v10, 31, v10
	v_and_b32_e32 v8, exec_hi, v8
	v_xor_b32_e32 v11, s47, v10
	v_xor_b32_e32 v10, s46, v10
	v_and_b32_e32 v8, v8, v11
	v_and_b32_e32 v68, v68, v10
	v_lshlrev_b32_e32 v11, 29, v64
	v_mov_b32_e32 v10, v9
	v_cmp_gt_i64_e64 s[46:47], 0, v[10:11]
	v_not_b32_e32 v10, v11
	v_ashrrev_i32_e32 v10, 31, v10
	v_xor_b32_e32 v11, s47, v10
	v_xor_b32_e32 v10, s46, v10
	v_and_b32_e32 v8, v8, v11
	v_and_b32_e32 v68, v68, v10
	v_lshlrev_b32_e32 v11, 28, v64
	v_mov_b32_e32 v10, v9
	v_cmp_gt_i64_e64 s[46:47], 0, v[10:11]
	v_not_b32_e32 v10, v11
	v_ashrrev_i32_e32 v10, 31, v10
	;; [unrolled: 9-line block ×3, first 2 shown]
	v_xor_b32_e32 v11, s47, v10
	v_xor_b32_e32 v10, s46, v10
	v_and_b32_e32 v8, v8, v11
	v_lshlrev_b32_e32 v11, 26, v64
	v_and_b32_e32 v68, v68, v10
	v_mov_b32_e32 v10, v9
	v_not_b32_e32 v9, v11
	v_cmp_gt_i64_e64 s[46:47], 0, v[10:11]
	v_ashrrev_i32_e32 v9, 31, v9
	s_nop 0
	v_xor_b32_e32 v10, s47, v9
	v_xor_b32_e32 v11, s46, v9
	v_and_b32_e32 v9, v8, v10
	v_and_b32_e32 v8, v68, v11
	v_mbcnt_lo_u32_b32 v10, v8, 0
	v_mbcnt_hi_u32_b32 v64, v9, v10
	v_cmp_eq_u32_e64 s[46:47], 0, v64
	v_cmp_ne_u64_e64 s[48:49], 0, v[8:9]
	s_and_b64 s[46:47], s[48:49], s[46:47]
	; wave barrier
	s_and_saveexec_b64 s[4:5], s[46:47]
	s_cbranch_execz .LBB1002_61
; %bb.60:
	v_bcnt_u32_b32 v8, v8, 0
	v_bcnt_u32_b32 v8, v9, v8
	s_waitcnt lgkmcnt(0)
	v_add_u32_e32 v8, v61, v8
	ds_write_b32 v67, v8 offset:32
.LBB1002_61:
	s_or_b64 exec, exec, s[4:5]
	v_lshrrev_b32_e32 v8, s8, v66
	v_and_b32_e32 v68, s33, v8
	v_mad_u32_u24 v8, v68, 36, v43
	; wave barrier
	ds_read_b32 v66, v8 offset:32
	v_and_b32_e32 v8, 1, v68
	v_mov_b32_e32 v9, 0
	v_lshl_add_u64 v[10:11], v[8:9], 0, -1
	v_cmp_ne_u32_e64 s[46:47], 0, v8
	v_mul_u32_u24_e32 v72, 36, v68
	v_add_u32_e32 v72, v43, v72
	v_xor_b32_e32 v10, s46, v10
	v_xor_b32_e32 v8, s47, v11
	v_and_b32_e32 v73, exec_lo, v10
	v_lshlrev_b32_e32 v11, 30, v68
	v_mov_b32_e32 v10, v9
	v_cmp_gt_i64_e64 s[46:47], 0, v[10:11]
	v_not_b32_e32 v10, v11
	v_ashrrev_i32_e32 v10, 31, v10
	v_and_b32_e32 v8, exec_hi, v8
	v_xor_b32_e32 v11, s47, v10
	v_xor_b32_e32 v10, s46, v10
	v_and_b32_e32 v8, v8, v11
	v_and_b32_e32 v73, v73, v10
	v_lshlrev_b32_e32 v11, 29, v68
	v_mov_b32_e32 v10, v9
	v_cmp_gt_i64_e64 s[46:47], 0, v[10:11]
	v_not_b32_e32 v10, v11
	v_ashrrev_i32_e32 v10, 31, v10
	v_xor_b32_e32 v11, s47, v10
	v_xor_b32_e32 v10, s46, v10
	v_and_b32_e32 v8, v8, v11
	v_and_b32_e32 v73, v73, v10
	v_lshlrev_b32_e32 v11, 28, v68
	v_mov_b32_e32 v10, v9
	v_cmp_gt_i64_e64 s[46:47], 0, v[10:11]
	v_not_b32_e32 v10, v11
	v_ashrrev_i32_e32 v10, 31, v10
	;; [unrolled: 9-line block ×4, first 2 shown]
	v_xor_b32_e32 v11, s47, v10
	v_xor_b32_e32 v10, s46, v10
	v_and_b32_e32 v10, v73, v10
	v_and_b32_e32 v11, v8, v11
	v_mbcnt_lo_u32_b32 v8, v10, 0
	v_mbcnt_hi_u32_b32 v68, v11, v8
	v_cmp_eq_u32_e64 s[46:47], 0, v68
	v_cmp_ne_u64_e64 s[48:49], 0, v[10:11]
	s_and_b64 s[46:47], s[48:49], s[46:47]
	; wave barrier
	s_and_saveexec_b64 s[4:5], s[46:47]
	s_cbranch_execz .LBB1002_63
; %bb.62:
	v_bcnt_u32_b32 v8, v10, 0
	v_bcnt_u32_b32 v8, v11, v8
	s_waitcnt lgkmcnt(0)
	v_add_u32_e32 v8, v66, v8
	ds_write_b32 v72, v8 offset:32
.LBB1002_63:
	s_or_b64 exec, exec, s[4:5]
	v_lshrrev_b32_e32 v8, s8, v70
	v_and_b32_e32 v73, s33, v8
	v_mad_u32_u24 v8, v73, 36, v43
	; wave barrier
	ds_read_b32 v70, v8 offset:32
	v_and_b32_e32 v8, 1, v73
	v_lshl_add_u64 v[10:11], v[8:9], 0, -1
	v_cmp_ne_u32_e64 s[46:47], 0, v8
	v_mul_u32_u24_e32 v75, 36, v73
	v_add_u32_e32 v75, v43, v75
	v_xor_b32_e32 v10, s46, v10
	v_xor_b32_e32 v8, s47, v11
	v_and_b32_e32 v76, exec_lo, v10
	v_lshlrev_b32_e32 v11, 30, v73
	v_mov_b32_e32 v10, v9
	v_cmp_gt_i64_e64 s[46:47], 0, v[10:11]
	v_not_b32_e32 v10, v11
	v_ashrrev_i32_e32 v10, 31, v10
	v_and_b32_e32 v8, exec_hi, v8
	v_xor_b32_e32 v11, s47, v10
	v_xor_b32_e32 v10, s46, v10
	v_and_b32_e32 v8, v8, v11
	v_and_b32_e32 v76, v76, v10
	v_lshlrev_b32_e32 v11, 29, v73
	v_mov_b32_e32 v10, v9
	v_cmp_gt_i64_e64 s[46:47], 0, v[10:11]
	v_not_b32_e32 v10, v11
	v_ashrrev_i32_e32 v10, 31, v10
	v_xor_b32_e32 v11, s47, v10
	v_xor_b32_e32 v10, s46, v10
	v_and_b32_e32 v8, v8, v11
	v_and_b32_e32 v76, v76, v10
	v_lshlrev_b32_e32 v11, 28, v73
	v_mov_b32_e32 v10, v9
	v_cmp_gt_i64_e64 s[46:47], 0, v[10:11]
	v_not_b32_e32 v10, v11
	v_ashrrev_i32_e32 v10, 31, v10
	;; [unrolled: 9-line block ×3, first 2 shown]
	v_xor_b32_e32 v11, s47, v10
	v_xor_b32_e32 v10, s46, v10
	v_and_b32_e32 v8, v8, v11
	v_lshlrev_b32_e32 v11, 26, v73
	v_and_b32_e32 v76, v76, v10
	v_mov_b32_e32 v10, v9
	v_not_b32_e32 v9, v11
	v_cmp_gt_i64_e64 s[46:47], 0, v[10:11]
	v_ashrrev_i32_e32 v9, 31, v9
	s_nop 0
	v_xor_b32_e32 v10, s47, v9
	v_xor_b32_e32 v11, s46, v9
	v_and_b32_e32 v9, v8, v10
	v_and_b32_e32 v8, v76, v11
	v_mbcnt_lo_u32_b32 v10, v8, 0
	v_mbcnt_hi_u32_b32 v73, v9, v10
	v_cmp_eq_u32_e64 s[46:47], 0, v73
	v_cmp_ne_u64_e64 s[48:49], 0, v[8:9]
	s_and_b64 s[46:47], s[48:49], s[46:47]
	; wave barrier
	s_and_saveexec_b64 s[4:5], s[46:47]
	s_cbranch_execz .LBB1002_65
; %bb.64:
	v_bcnt_u32_b32 v8, v8, 0
	v_bcnt_u32_b32 v8, v9, v8
	s_waitcnt lgkmcnt(0)
	v_add_u32_e32 v8, v70, v8
	ds_write_b32 v75, v8 offset:32
.LBB1002_65:
	s_or_b64 exec, exec, s[4:5]
	v_lshrrev_b32_e32 v8, s8, v74
	v_and_b32_e32 v76, s33, v8
	v_mad_u32_u24 v8, v76, 36, v43
	; wave barrier
	ds_read_b32 v74, v8 offset:32
	v_and_b32_e32 v8, 1, v76
	v_mov_b32_e32 v9, 0
	v_lshl_add_u64 v[10:11], v[8:9], 0, -1
	v_cmp_ne_u32_e64 s[46:47], 0, v8
	v_mul_u32_u24_e32 v77, 36, v76
	v_add_u32_e32 v77, v43, v77
	v_xor_b32_e32 v10, s46, v10
	v_xor_b32_e32 v8, s47, v11
	v_and_b32_e32 v78, exec_lo, v10
	v_lshlrev_b32_e32 v11, 30, v76
	v_mov_b32_e32 v10, v9
	v_cmp_gt_i64_e64 s[46:47], 0, v[10:11]
	v_not_b32_e32 v10, v11
	v_ashrrev_i32_e32 v10, 31, v10
	v_and_b32_e32 v8, exec_hi, v8
	v_xor_b32_e32 v11, s47, v10
	v_xor_b32_e32 v10, s46, v10
	v_and_b32_e32 v8, v8, v11
	v_and_b32_e32 v78, v78, v10
	v_lshlrev_b32_e32 v11, 29, v76
	v_mov_b32_e32 v10, v9
	v_cmp_gt_i64_e64 s[46:47], 0, v[10:11]
	v_not_b32_e32 v10, v11
	v_ashrrev_i32_e32 v10, 31, v10
	v_xor_b32_e32 v11, s47, v10
	v_xor_b32_e32 v10, s46, v10
	v_and_b32_e32 v8, v8, v11
	v_and_b32_e32 v78, v78, v10
	v_lshlrev_b32_e32 v11, 28, v76
	v_mov_b32_e32 v10, v9
	v_cmp_gt_i64_e64 s[46:47], 0, v[10:11]
	v_not_b32_e32 v10, v11
	v_ashrrev_i32_e32 v10, 31, v10
	;; [unrolled: 9-line block ×4, first 2 shown]
	v_xor_b32_e32 v11, s47, v10
	v_xor_b32_e32 v10, s46, v10
	v_and_b32_e32 v10, v78, v10
	v_and_b32_e32 v11, v8, v11
	v_mbcnt_lo_u32_b32 v8, v10, 0
	v_mbcnt_hi_u32_b32 v76, v11, v8
	v_cmp_eq_u32_e64 s[46:47], 0, v76
	v_cmp_ne_u64_e64 s[48:49], 0, v[10:11]
	s_and_b64 s[46:47], s[48:49], s[46:47]
	; wave barrier
	s_and_saveexec_b64 s[4:5], s[46:47]
	s_cbranch_execz .LBB1002_67
; %bb.66:
	v_bcnt_u32_b32 v8, v10, 0
	v_bcnt_u32_b32 v8, v11, v8
	s_waitcnt lgkmcnt(0)
	v_add_u32_e32 v8, v74, v8
	ds_write_b32 v77, v8 offset:32
.LBB1002_67:
	s_or_b64 exec, exec, s[4:5]
	v_lshrrev_b32_e32 v8, s8, v71
	v_and_b32_e32 v78, s33, v8
	v_mad_u32_u24 v8, v78, 36, v43
	; wave barrier
	ds_read_b32 v71, v8 offset:32
	v_and_b32_e32 v8, 1, v78
	v_lshl_add_u64 v[10:11], v[8:9], 0, -1
	v_cmp_ne_u32_e64 s[46:47], 0, v8
	v_mul_u32_u24_e32 v79, 36, v78
	v_add_u32_e32 v79, v43, v79
	v_xor_b32_e32 v10, s46, v10
	v_xor_b32_e32 v8, s47, v11
	v_and_b32_e32 v80, exec_lo, v10
	v_lshlrev_b32_e32 v11, 30, v78
	v_mov_b32_e32 v10, v9
	v_cmp_gt_i64_e64 s[46:47], 0, v[10:11]
	v_not_b32_e32 v10, v11
	v_ashrrev_i32_e32 v10, 31, v10
	v_and_b32_e32 v8, exec_hi, v8
	v_xor_b32_e32 v11, s47, v10
	v_xor_b32_e32 v10, s46, v10
	v_and_b32_e32 v8, v8, v11
	v_and_b32_e32 v80, v80, v10
	v_lshlrev_b32_e32 v11, 29, v78
	v_mov_b32_e32 v10, v9
	v_cmp_gt_i64_e64 s[46:47], 0, v[10:11]
	v_not_b32_e32 v10, v11
	v_ashrrev_i32_e32 v10, 31, v10
	v_xor_b32_e32 v11, s47, v10
	v_xor_b32_e32 v10, s46, v10
	v_and_b32_e32 v8, v8, v11
	v_and_b32_e32 v80, v80, v10
	v_lshlrev_b32_e32 v11, 28, v78
	v_mov_b32_e32 v10, v9
	v_cmp_gt_i64_e64 s[46:47], 0, v[10:11]
	v_not_b32_e32 v10, v11
	v_ashrrev_i32_e32 v10, 31, v10
	;; [unrolled: 9-line block ×3, first 2 shown]
	v_xor_b32_e32 v11, s47, v10
	v_xor_b32_e32 v10, s46, v10
	v_and_b32_e32 v8, v8, v11
	v_lshlrev_b32_e32 v11, 26, v78
	v_and_b32_e32 v80, v80, v10
	v_mov_b32_e32 v10, v9
	v_not_b32_e32 v9, v11
	v_cmp_gt_i64_e64 s[46:47], 0, v[10:11]
	v_ashrrev_i32_e32 v9, 31, v9
	s_nop 0
	v_xor_b32_e32 v10, s47, v9
	v_xor_b32_e32 v11, s46, v9
	v_and_b32_e32 v9, v8, v10
	v_and_b32_e32 v8, v80, v11
	v_mbcnt_lo_u32_b32 v10, v8, 0
	v_mbcnt_hi_u32_b32 v78, v9, v10
	v_cmp_eq_u32_e64 s[46:47], 0, v78
	v_cmp_ne_u64_e64 s[48:49], 0, v[8:9]
	s_and_b64 s[46:47], s[48:49], s[46:47]
	; wave barrier
	s_and_saveexec_b64 s[4:5], s[46:47]
	s_cbranch_execz .LBB1002_69
; %bb.68:
	v_bcnt_u32_b32 v8, v8, 0
	v_bcnt_u32_b32 v8, v9, v8
	s_waitcnt lgkmcnt(0)
	v_add_u32_e32 v8, v71, v8
	ds_write_b32 v79, v8 offset:32
.LBB1002_69:
	s_or_b64 exec, exec, s[4:5]
	v_lshrrev_b32_e32 v8, s8, v69
	v_and_b32_e32 v80, s33, v8
	v_mad_u32_u24 v8, v80, 36, v43
	; wave barrier
	ds_read_b32 v69, v8 offset:32
	v_and_b32_e32 v8, 1, v80
	v_mov_b32_e32 v9, 0
	v_lshl_add_u64 v[10:11], v[8:9], 0, -1
	v_cmp_ne_u32_e64 s[46:47], 0, v8
	v_mul_u32_u24_e32 v81, 36, v80
	s_nop 0
	v_xor_b32_e32 v10, s46, v10
	v_xor_b32_e32 v8, s47, v11
	v_and_b32_e32 v82, exec_lo, v10
	v_lshlrev_b32_e32 v11, 30, v80
	v_mov_b32_e32 v10, v9
	v_cmp_gt_i64_e64 s[46:47], 0, v[10:11]
	v_not_b32_e32 v10, v11
	v_ashrrev_i32_e32 v10, 31, v10
	v_and_b32_e32 v8, exec_hi, v8
	v_xor_b32_e32 v11, s47, v10
	v_xor_b32_e32 v10, s46, v10
	v_and_b32_e32 v8, v8, v11
	v_and_b32_e32 v82, v82, v10
	v_lshlrev_b32_e32 v11, 29, v80
	v_mov_b32_e32 v10, v9
	v_cmp_gt_i64_e64 s[46:47], 0, v[10:11]
	v_not_b32_e32 v10, v11
	v_ashrrev_i32_e32 v10, 31, v10
	v_xor_b32_e32 v11, s47, v10
	v_xor_b32_e32 v10, s46, v10
	v_and_b32_e32 v8, v8, v11
	v_and_b32_e32 v82, v82, v10
	v_lshlrev_b32_e32 v11, 28, v80
	v_mov_b32_e32 v10, v9
	v_cmp_gt_i64_e64 s[46:47], 0, v[10:11]
	v_not_b32_e32 v10, v11
	v_ashrrev_i32_e32 v10, 31, v10
	;; [unrolled: 9-line block ×4, first 2 shown]
	v_xor_b32_e32 v11, s47, v10
	v_xor_b32_e32 v10, s46, v10
	v_and_b32_e32 v10, v82, v10
	v_and_b32_e32 v11, v8, v11
	v_mbcnt_lo_u32_b32 v8, v10, 0
	v_mbcnt_hi_u32_b32 v80, v11, v8
	v_cmp_eq_u32_e64 s[46:47], 0, v80
	v_cmp_ne_u64_e64 s[48:49], 0, v[10:11]
	s_and_b64 s[46:47], s[48:49], s[46:47]
	v_add_u32_e32 v82, v43, v81
	; wave barrier
	s_and_saveexec_b64 s[4:5], s[46:47]
	s_cbranch_execz .LBB1002_71
; %bb.70:
	v_bcnt_u32_b32 v8, v10, 0
	v_bcnt_u32_b32 v8, v11, v8
	s_waitcnt lgkmcnt(0)
	v_add_u32_e32 v8, v69, v8
	ds_write_b32 v82, v8 offset:32
.LBB1002_71:
	s_or_b64 exec, exec, s[4:5]
	v_lshrrev_b32_e32 v8, s8, v65
	v_and_b32_e32 v65, s33, v8
	v_mad_u32_u24 v8, v65, 36, v43
	; wave barrier
	ds_read_b32 v81, v8 offset:32
	v_and_b32_e32 v8, 1, v65
	v_lshl_add_u64 v[10:11], v[8:9], 0, -1
	v_cmp_ne_u32_e64 s[46:47], 0, v8
	v_mul_u32_u24_e32 v84, 36, v65
	s_nop 0
	v_xor_b32_e32 v10, s46, v10
	v_xor_b32_e32 v8, s47, v11
	v_and_b32_e32 v83, exec_lo, v10
	v_lshlrev_b32_e32 v11, 30, v65
	v_mov_b32_e32 v10, v9
	v_cmp_gt_i64_e64 s[46:47], 0, v[10:11]
	v_not_b32_e32 v10, v11
	v_ashrrev_i32_e32 v10, 31, v10
	v_and_b32_e32 v8, exec_hi, v8
	v_xor_b32_e32 v11, s47, v10
	v_xor_b32_e32 v10, s46, v10
	v_and_b32_e32 v8, v8, v11
	v_and_b32_e32 v83, v83, v10
	v_lshlrev_b32_e32 v11, 29, v65
	v_mov_b32_e32 v10, v9
	v_cmp_gt_i64_e64 s[46:47], 0, v[10:11]
	v_not_b32_e32 v10, v11
	v_ashrrev_i32_e32 v10, 31, v10
	v_xor_b32_e32 v11, s47, v10
	v_xor_b32_e32 v10, s46, v10
	v_and_b32_e32 v8, v8, v11
	v_and_b32_e32 v83, v83, v10
	v_lshlrev_b32_e32 v11, 28, v65
	v_mov_b32_e32 v10, v9
	v_cmp_gt_i64_e64 s[46:47], 0, v[10:11]
	v_not_b32_e32 v10, v11
	v_ashrrev_i32_e32 v10, 31, v10
	;; [unrolled: 9-line block ×3, first 2 shown]
	v_xor_b32_e32 v11, s47, v10
	v_xor_b32_e32 v10, s46, v10
	v_and_b32_e32 v8, v8, v11
	v_lshlrev_b32_e32 v11, 26, v65
	v_and_b32_e32 v83, v83, v10
	v_mov_b32_e32 v10, v9
	v_not_b32_e32 v9, v11
	v_cmp_gt_i64_e64 s[46:47], 0, v[10:11]
	v_ashrrev_i32_e32 v9, 31, v9
	v_add_u32_e32 v65, v43, v84
	v_xor_b32_e32 v10, s47, v9
	v_xor_b32_e32 v11, s46, v9
	v_and_b32_e32 v9, v8, v10
	v_and_b32_e32 v8, v83, v11
	v_mbcnt_lo_u32_b32 v10, v8, 0
	v_mbcnt_hi_u32_b32 v83, v9, v10
	v_cmp_eq_u32_e64 s[46:47], 0, v83
	v_cmp_ne_u64_e64 s[48:49], 0, v[8:9]
	s_and_b64 s[46:47], s[48:49], s[46:47]
	; wave barrier
	s_and_saveexec_b64 s[4:5], s[46:47]
	s_cbranch_execz .LBB1002_73
; %bb.72:
	v_bcnt_u32_b32 v8, v8, 0
	v_bcnt_u32_b32 v8, v9, v8
	s_waitcnt lgkmcnt(0)
	v_add_u32_e32 v8, v81, v8
	ds_write_b32 v65, v8 offset:32
.LBB1002_73:
	s_or_b64 exec, exec, s[4:5]
	v_lshrrev_b32_e32 v8, s8, v62
	v_and_b32_e32 v62, s33, v8
	v_mad_u32_u24 v8, v62, 36, v43
	; wave barrier
	ds_read_b32 v84, v8 offset:32
	v_and_b32_e32 v8, 1, v62
	v_mov_b32_e32 v9, 0
	v_lshl_add_u64 v[10:11], v[8:9], 0, -1
	v_cmp_ne_u32_e64 s[46:47], 0, v8
	v_mul_u32_u24_e32 v86, 36, v62
	s_nop 0
	v_xor_b32_e32 v10, s46, v10
	v_xor_b32_e32 v8, s47, v11
	v_and_b32_e32 v85, exec_lo, v10
	v_lshlrev_b32_e32 v11, 30, v62
	v_mov_b32_e32 v10, v9
	v_cmp_gt_i64_e64 s[46:47], 0, v[10:11]
	v_not_b32_e32 v10, v11
	v_ashrrev_i32_e32 v10, 31, v10
	v_and_b32_e32 v8, exec_hi, v8
	v_xor_b32_e32 v11, s47, v10
	v_xor_b32_e32 v10, s46, v10
	v_and_b32_e32 v8, v8, v11
	v_and_b32_e32 v85, v85, v10
	v_lshlrev_b32_e32 v11, 29, v62
	v_mov_b32_e32 v10, v9
	v_cmp_gt_i64_e64 s[46:47], 0, v[10:11]
	v_not_b32_e32 v10, v11
	v_ashrrev_i32_e32 v10, 31, v10
	v_xor_b32_e32 v11, s47, v10
	v_xor_b32_e32 v10, s46, v10
	v_and_b32_e32 v8, v8, v11
	v_and_b32_e32 v85, v85, v10
	v_lshlrev_b32_e32 v11, 28, v62
	v_mov_b32_e32 v10, v9
	v_cmp_gt_i64_e64 s[46:47], 0, v[10:11]
	v_not_b32_e32 v10, v11
	v_ashrrev_i32_e32 v10, 31, v10
	;; [unrolled: 9-line block ×4, first 2 shown]
	v_xor_b32_e32 v11, s47, v10
	v_xor_b32_e32 v10, s46, v10
	v_and_b32_e32 v10, v85, v10
	v_and_b32_e32 v11, v8, v11
	v_mbcnt_lo_u32_b32 v8, v10, 0
	v_mbcnt_hi_u32_b32 v85, v11, v8
	v_cmp_eq_u32_e64 s[46:47], 0, v85
	v_cmp_ne_u64_e64 s[48:49], 0, v[10:11]
	s_and_b64 s[46:47], s[48:49], s[46:47]
	v_add_u32_e32 v62, v43, v86
	; wave barrier
	s_and_saveexec_b64 s[4:5], s[46:47]
	s_cbranch_execz .LBB1002_75
; %bb.74:
	v_bcnt_u32_b32 v8, v10, 0
	v_bcnt_u32_b32 v8, v11, v8
	s_waitcnt lgkmcnt(0)
	v_add_u32_e32 v8, v84, v8
	ds_write_b32 v62, v8 offset:32
.LBB1002_75:
	s_or_b64 exec, exec, s[4:5]
	v_lshrrev_b32_e32 v8, s8, v58
	v_and_b32_e32 v58, s33, v8
	v_mad_u32_u24 v8, v58, 36, v43
	; wave barrier
	ds_read_b32 v86, v8 offset:32
	v_and_b32_e32 v8, 1, v58
	v_lshl_add_u64 v[10:11], v[8:9], 0, -1
	v_cmp_ne_u32_e64 s[46:47], 0, v8
	v_mul_u32_u24_e32 v88, 36, v58
	s_nop 0
	v_xor_b32_e32 v10, s46, v10
	v_xor_b32_e32 v8, s47, v11
	v_and_b32_e32 v87, exec_lo, v10
	v_lshlrev_b32_e32 v11, 30, v58
	v_mov_b32_e32 v10, v9
	v_cmp_gt_i64_e64 s[46:47], 0, v[10:11]
	v_not_b32_e32 v10, v11
	v_ashrrev_i32_e32 v10, 31, v10
	v_and_b32_e32 v8, exec_hi, v8
	v_xor_b32_e32 v11, s47, v10
	v_xor_b32_e32 v10, s46, v10
	v_and_b32_e32 v8, v8, v11
	v_and_b32_e32 v87, v87, v10
	v_lshlrev_b32_e32 v11, 29, v58
	v_mov_b32_e32 v10, v9
	v_cmp_gt_i64_e64 s[46:47], 0, v[10:11]
	v_not_b32_e32 v10, v11
	v_ashrrev_i32_e32 v10, 31, v10
	v_xor_b32_e32 v11, s47, v10
	v_xor_b32_e32 v10, s46, v10
	v_and_b32_e32 v8, v8, v11
	v_and_b32_e32 v87, v87, v10
	v_lshlrev_b32_e32 v11, 28, v58
	v_mov_b32_e32 v10, v9
	v_cmp_gt_i64_e64 s[46:47], 0, v[10:11]
	v_not_b32_e32 v10, v11
	v_ashrrev_i32_e32 v10, 31, v10
	;; [unrolled: 9-line block ×3, first 2 shown]
	v_xor_b32_e32 v11, s47, v10
	v_xor_b32_e32 v10, s46, v10
	v_and_b32_e32 v8, v8, v11
	v_lshlrev_b32_e32 v11, 26, v58
	v_and_b32_e32 v87, v87, v10
	v_mov_b32_e32 v10, v9
	v_not_b32_e32 v9, v11
	v_cmp_gt_i64_e64 s[46:47], 0, v[10:11]
	v_ashrrev_i32_e32 v9, 31, v9
	v_add_u32_e32 v58, v43, v88
	v_xor_b32_e32 v10, s47, v9
	v_xor_b32_e32 v11, s46, v9
	v_and_b32_e32 v9, v8, v10
	v_and_b32_e32 v8, v87, v11
	v_mbcnt_lo_u32_b32 v10, v8, 0
	v_mbcnt_hi_u32_b32 v87, v9, v10
	v_cmp_eq_u32_e64 s[46:47], 0, v87
	v_cmp_ne_u64_e64 s[48:49], 0, v[8:9]
	s_and_b64 s[46:47], s[48:49], s[46:47]
	; wave barrier
	s_and_saveexec_b64 s[4:5], s[46:47]
	s_cbranch_execz .LBB1002_77
; %bb.76:
	v_bcnt_u32_b32 v8, v8, 0
	v_bcnt_u32_b32 v8, v9, v8
	s_waitcnt lgkmcnt(0)
	v_add_u32_e32 v8, v86, v8
	ds_write_b32 v58, v8 offset:32
.LBB1002_77:
	s_or_b64 exec, exec, s[4:5]
	v_lshrrev_b32_e32 v8, s8, v55
	v_and_b32_e32 v55, s33, v8
	v_mad_u32_u24 v8, v55, 36, v43
	; wave barrier
	ds_read_b32 v88, v8 offset:32
	v_and_b32_e32 v8, 1, v55
	v_mov_b32_e32 v9, 0
	v_lshl_add_u64 v[10:11], v[8:9], 0, -1
	v_cmp_ne_u32_e64 s[46:47], 0, v8
	v_mul_u32_u24_e32 v90, 36, v55
	s_nop 0
	v_xor_b32_e32 v10, s46, v10
	v_xor_b32_e32 v8, s47, v11
	v_and_b32_e32 v89, exec_lo, v10
	v_lshlrev_b32_e32 v11, 30, v55
	v_mov_b32_e32 v10, v9
	v_cmp_gt_i64_e64 s[46:47], 0, v[10:11]
	v_not_b32_e32 v10, v11
	v_ashrrev_i32_e32 v10, 31, v10
	v_and_b32_e32 v8, exec_hi, v8
	v_xor_b32_e32 v11, s47, v10
	v_xor_b32_e32 v10, s46, v10
	v_and_b32_e32 v8, v8, v11
	v_and_b32_e32 v89, v89, v10
	v_lshlrev_b32_e32 v11, 29, v55
	v_mov_b32_e32 v10, v9
	v_cmp_gt_i64_e64 s[46:47], 0, v[10:11]
	v_not_b32_e32 v10, v11
	v_ashrrev_i32_e32 v10, 31, v10
	v_xor_b32_e32 v11, s47, v10
	v_xor_b32_e32 v10, s46, v10
	v_and_b32_e32 v8, v8, v11
	v_and_b32_e32 v89, v89, v10
	v_lshlrev_b32_e32 v11, 28, v55
	v_mov_b32_e32 v10, v9
	v_cmp_gt_i64_e64 s[46:47], 0, v[10:11]
	v_not_b32_e32 v10, v11
	v_ashrrev_i32_e32 v10, 31, v10
	;; [unrolled: 9-line block ×4, first 2 shown]
	v_xor_b32_e32 v11, s47, v10
	v_xor_b32_e32 v10, s46, v10
	v_and_b32_e32 v10, v89, v10
	v_and_b32_e32 v11, v8, v11
	v_mbcnt_lo_u32_b32 v8, v10, 0
	v_mbcnt_hi_u32_b32 v89, v11, v8
	v_cmp_eq_u32_e64 s[46:47], 0, v89
	v_cmp_ne_u64_e64 s[48:49], 0, v[10:11]
	s_and_b64 s[46:47], s[48:49], s[46:47]
	v_add_u32_e32 v55, v43, v90
	; wave barrier
	s_and_saveexec_b64 s[4:5], s[46:47]
	s_cbranch_execz .LBB1002_79
; %bb.78:
	v_bcnt_u32_b32 v8, v10, 0
	v_bcnt_u32_b32 v8, v11, v8
	s_waitcnt lgkmcnt(0)
	v_add_u32_e32 v8, v88, v8
	ds_write_b32 v55, v8 offset:32
.LBB1002_79:
	s_or_b64 exec, exec, s[4:5]
	v_lshrrev_b32_e32 v8, s8, v51
	v_and_b32_e32 v51, s33, v8
	v_mad_u32_u24 v8, v51, 36, v43
	; wave barrier
	ds_read_b32 v90, v8 offset:32
	v_and_b32_e32 v8, 1, v51
	v_lshl_add_u64 v[10:11], v[8:9], 0, -1
	v_cmp_ne_u32_e64 s[46:47], 0, v8
	v_mul_u32_u24_e32 v92, 36, v51
	s_nop 0
	v_xor_b32_e32 v10, s46, v10
	v_xor_b32_e32 v8, s47, v11
	v_and_b32_e32 v91, exec_lo, v10
	v_lshlrev_b32_e32 v11, 30, v51
	v_mov_b32_e32 v10, v9
	v_cmp_gt_i64_e64 s[46:47], 0, v[10:11]
	v_not_b32_e32 v10, v11
	v_ashrrev_i32_e32 v10, 31, v10
	v_and_b32_e32 v8, exec_hi, v8
	v_xor_b32_e32 v11, s47, v10
	v_xor_b32_e32 v10, s46, v10
	v_and_b32_e32 v8, v8, v11
	v_and_b32_e32 v91, v91, v10
	v_lshlrev_b32_e32 v11, 29, v51
	v_mov_b32_e32 v10, v9
	v_cmp_gt_i64_e64 s[46:47], 0, v[10:11]
	v_not_b32_e32 v10, v11
	v_ashrrev_i32_e32 v10, 31, v10
	v_xor_b32_e32 v11, s47, v10
	v_xor_b32_e32 v10, s46, v10
	v_and_b32_e32 v8, v8, v11
	v_and_b32_e32 v91, v91, v10
	v_lshlrev_b32_e32 v11, 28, v51
	v_mov_b32_e32 v10, v9
	v_cmp_gt_i64_e64 s[46:47], 0, v[10:11]
	v_not_b32_e32 v10, v11
	v_ashrrev_i32_e32 v10, 31, v10
	;; [unrolled: 9-line block ×3, first 2 shown]
	v_xor_b32_e32 v11, s47, v10
	v_xor_b32_e32 v10, s46, v10
	v_and_b32_e32 v8, v8, v11
	v_lshlrev_b32_e32 v11, 26, v51
	v_and_b32_e32 v91, v91, v10
	v_mov_b32_e32 v10, v9
	v_not_b32_e32 v9, v11
	v_cmp_gt_i64_e64 s[46:47], 0, v[10:11]
	v_ashrrev_i32_e32 v9, 31, v9
	v_add_u32_e32 v51, v43, v92
	v_xor_b32_e32 v10, s47, v9
	v_xor_b32_e32 v11, s46, v9
	v_and_b32_e32 v9, v8, v10
	v_and_b32_e32 v8, v91, v11
	v_mbcnt_lo_u32_b32 v10, v8, 0
	v_mbcnt_hi_u32_b32 v91, v9, v10
	v_cmp_eq_u32_e64 s[46:47], 0, v91
	v_cmp_ne_u64_e64 s[48:49], 0, v[8:9]
	s_and_b64 s[46:47], s[48:49], s[46:47]
	; wave barrier
	s_and_saveexec_b64 s[4:5], s[46:47]
	s_cbranch_execz .LBB1002_81
; %bb.80:
	v_bcnt_u32_b32 v8, v8, 0
	v_bcnt_u32_b32 v8, v9, v8
	s_waitcnt lgkmcnt(0)
	v_add_u32_e32 v8, v90, v8
	ds_write_b32 v51, v8 offset:32
.LBB1002_81:
	s_or_b64 exec, exec, s[4:5]
	v_lshrrev_b32_e32 v8, s8, v49
	v_and_b32_e32 v92, s33, v8
	v_mad_u32_u24 v8, v92, 36, v43
	; wave barrier
	ds_read_b32 v49, v8 offset:32
	v_and_b32_e32 v8, 1, v92
	v_mov_b32_e32 v9, 0
	v_lshl_add_u64 v[10:11], v[8:9], 0, -1
	v_cmp_ne_u32_e64 s[46:47], 0, v8
	v_mul_u32_u24_e32 v93, 36, v92
	s_nop 0
	v_xor_b32_e32 v10, s46, v10
	v_xor_b32_e32 v8, s47, v11
	v_and_b32_e32 v94, exec_lo, v10
	v_lshlrev_b32_e32 v11, 30, v92
	v_mov_b32_e32 v10, v9
	v_cmp_gt_i64_e64 s[46:47], 0, v[10:11]
	v_not_b32_e32 v10, v11
	v_ashrrev_i32_e32 v10, 31, v10
	v_and_b32_e32 v8, exec_hi, v8
	v_xor_b32_e32 v11, s47, v10
	v_xor_b32_e32 v10, s46, v10
	v_and_b32_e32 v8, v8, v11
	v_and_b32_e32 v94, v94, v10
	v_lshlrev_b32_e32 v11, 29, v92
	v_mov_b32_e32 v10, v9
	v_cmp_gt_i64_e64 s[46:47], 0, v[10:11]
	v_not_b32_e32 v10, v11
	v_ashrrev_i32_e32 v10, 31, v10
	v_xor_b32_e32 v11, s47, v10
	v_xor_b32_e32 v10, s46, v10
	v_and_b32_e32 v8, v8, v11
	v_and_b32_e32 v94, v94, v10
	v_lshlrev_b32_e32 v11, 28, v92
	v_mov_b32_e32 v10, v9
	v_cmp_gt_i64_e64 s[46:47], 0, v[10:11]
	v_not_b32_e32 v10, v11
	v_ashrrev_i32_e32 v10, 31, v10
	;; [unrolled: 9-line block ×4, first 2 shown]
	v_xor_b32_e32 v11, s47, v10
	v_xor_b32_e32 v10, s46, v10
	v_and_b32_e32 v10, v94, v10
	v_and_b32_e32 v11, v8, v11
	v_mbcnt_lo_u32_b32 v8, v10, 0
	v_mbcnt_hi_u32_b32 v92, v11, v8
	v_cmp_eq_u32_e64 s[46:47], 0, v92
	v_cmp_ne_u64_e64 s[48:49], 0, v[10:11]
	s_and_b64 s[46:47], s[48:49], s[46:47]
	v_add_u32_e32 v94, v43, v93
	; wave barrier
	s_and_saveexec_b64 s[4:5], s[46:47]
	s_cbranch_execz .LBB1002_83
; %bb.82:
	v_bcnt_u32_b32 v8, v10, 0
	v_bcnt_u32_b32 v8, v11, v8
	s_waitcnt lgkmcnt(0)
	v_add_u32_e32 v8, v49, v8
	ds_write_b32 v94, v8 offset:32
.LBB1002_83:
	s_or_b64 exec, exec, s[4:5]
	v_lshrrev_b32_e32 v8, s8, v44
	v_and_b32_e32 v44, s33, v8
	v_mad_u32_u24 v8, v44, 36, v43
	; wave barrier
	ds_read_b32 v93, v8 offset:32
	v_and_b32_e32 v8, 1, v44
	v_lshl_add_u64 v[10:11], v[8:9], 0, -1
	v_cmp_ne_u32_e64 s[46:47], 0, v8
	v_mul_u32_u24_e32 v96, 36, v44
	s_nop 0
	v_xor_b32_e32 v10, s46, v10
	v_xor_b32_e32 v8, s47, v11
	v_and_b32_e32 v95, exec_lo, v10
	v_lshlrev_b32_e32 v11, 30, v44
	v_mov_b32_e32 v10, v9
	v_cmp_gt_i64_e64 s[46:47], 0, v[10:11]
	v_not_b32_e32 v10, v11
	v_ashrrev_i32_e32 v10, 31, v10
	v_and_b32_e32 v8, exec_hi, v8
	v_xor_b32_e32 v11, s47, v10
	v_xor_b32_e32 v10, s46, v10
	v_and_b32_e32 v8, v8, v11
	v_and_b32_e32 v95, v95, v10
	v_lshlrev_b32_e32 v11, 29, v44
	v_mov_b32_e32 v10, v9
	v_cmp_gt_i64_e64 s[46:47], 0, v[10:11]
	v_not_b32_e32 v10, v11
	v_ashrrev_i32_e32 v10, 31, v10
	v_xor_b32_e32 v11, s47, v10
	v_xor_b32_e32 v10, s46, v10
	v_and_b32_e32 v8, v8, v11
	v_and_b32_e32 v95, v95, v10
	v_lshlrev_b32_e32 v11, 28, v44
	v_mov_b32_e32 v10, v9
	v_cmp_gt_i64_e64 s[46:47], 0, v[10:11]
	v_not_b32_e32 v10, v11
	v_ashrrev_i32_e32 v10, 31, v10
	;; [unrolled: 9-line block ×3, first 2 shown]
	v_xor_b32_e32 v11, s47, v10
	v_xor_b32_e32 v10, s46, v10
	v_and_b32_e32 v8, v8, v11
	v_lshlrev_b32_e32 v11, 26, v44
	v_and_b32_e32 v95, v95, v10
	v_mov_b32_e32 v10, v9
	v_not_b32_e32 v9, v11
	v_cmp_gt_i64_e64 s[46:47], 0, v[10:11]
	v_ashrrev_i32_e32 v9, 31, v9
	v_add_u32_e32 v44, v43, v96
	v_xor_b32_e32 v10, s47, v9
	v_xor_b32_e32 v11, s46, v9
	v_and_b32_e32 v9, v8, v10
	v_and_b32_e32 v8, v95, v11
	v_mbcnt_lo_u32_b32 v10, v8, 0
	v_mbcnt_hi_u32_b32 v95, v9, v10
	v_cmp_eq_u32_e64 s[46:47], 0, v95
	v_cmp_ne_u64_e64 s[48:49], 0, v[8:9]
	s_and_b64 s[46:47], s[48:49], s[46:47]
	; wave barrier
	s_and_saveexec_b64 s[4:5], s[46:47]
	s_cbranch_execz .LBB1002_85
; %bb.84:
	v_bcnt_u32_b32 v8, v8, 0
	v_bcnt_u32_b32 v8, v9, v8
	s_waitcnt lgkmcnt(0)
	v_add_u32_e32 v8, v93, v8
	ds_write_b32 v44, v8 offset:32
.LBB1002_85:
	s_or_b64 exec, exec, s[4:5]
	v_lshrrev_b32_e32 v8, s8, v40
	v_and_b32_e32 v40, s33, v8
	v_mad_u32_u24 v8, v40, 36, v43
	; wave barrier
	ds_read_b32 v96, v8 offset:32
	v_and_b32_e32 v8, 1, v40
	v_mov_b32_e32 v9, 0
	v_lshl_add_u64 v[10:11], v[8:9], 0, -1
	v_cmp_ne_u32_e64 s[46:47], 0, v8
	v_mul_u32_u24_e32 v98, 36, v40
	s_nop 0
	v_xor_b32_e32 v10, s46, v10
	v_xor_b32_e32 v8, s47, v11
	v_and_b32_e32 v97, exec_lo, v10
	v_lshlrev_b32_e32 v11, 30, v40
	v_mov_b32_e32 v10, v9
	v_cmp_gt_i64_e64 s[46:47], 0, v[10:11]
	v_not_b32_e32 v10, v11
	v_ashrrev_i32_e32 v10, 31, v10
	v_and_b32_e32 v8, exec_hi, v8
	v_xor_b32_e32 v11, s47, v10
	v_xor_b32_e32 v10, s46, v10
	v_and_b32_e32 v8, v8, v11
	v_and_b32_e32 v97, v97, v10
	v_lshlrev_b32_e32 v11, 29, v40
	v_mov_b32_e32 v10, v9
	v_cmp_gt_i64_e64 s[46:47], 0, v[10:11]
	v_not_b32_e32 v10, v11
	v_ashrrev_i32_e32 v10, 31, v10
	v_xor_b32_e32 v11, s47, v10
	v_xor_b32_e32 v10, s46, v10
	v_and_b32_e32 v8, v8, v11
	v_and_b32_e32 v97, v97, v10
	v_lshlrev_b32_e32 v11, 28, v40
	v_mov_b32_e32 v10, v9
	v_cmp_gt_i64_e64 s[46:47], 0, v[10:11]
	v_not_b32_e32 v10, v11
	v_ashrrev_i32_e32 v10, 31, v10
	;; [unrolled: 9-line block ×4, first 2 shown]
	v_xor_b32_e32 v11, s47, v10
	v_xor_b32_e32 v10, s46, v10
	v_and_b32_e32 v10, v97, v10
	v_and_b32_e32 v11, v8, v11
	v_mbcnt_lo_u32_b32 v8, v10, 0
	v_mbcnt_hi_u32_b32 v97, v11, v8
	v_cmp_eq_u32_e64 s[46:47], 0, v97
	v_cmp_ne_u64_e64 s[48:49], 0, v[10:11]
	s_and_b64 s[46:47], s[48:49], s[46:47]
	v_add_u32_e32 v40, v43, v98
	; wave barrier
	s_and_saveexec_b64 s[4:5], s[46:47]
	s_cbranch_execz .LBB1002_87
; %bb.86:
	v_bcnt_u32_b32 v8, v10, 0
	v_bcnt_u32_b32 v8, v11, v8
	s_waitcnt lgkmcnt(0)
	v_add_u32_e32 v8, v96, v8
	ds_write_b32 v40, v8 offset:32
.LBB1002_87:
	s_or_b64 exec, exec, s[4:5]
	v_lshrrev_b32_e32 v8, s8, v36
	v_and_b32_e32 v11, s33, v8
	v_mad_u32_u24 v8, v11, 36, v43
	; wave barrier
	ds_read_b32 v10, v8 offset:32
	v_and_b32_e32 v8, 1, v11
	v_lshl_add_u64 v[98:99], v[8:9], 0, -1
	v_cmp_ne_u32_e64 s[46:47], 0, v8
	v_mul_u32_u24_e32 v36, 36, v11
	v_add_u32_e32 v36, v43, v36
	v_xor_b32_e32 v98, s46, v98
	v_xor_b32_e32 v8, s47, v99
	v_and_b32_e32 v100, exec_lo, v98
	v_lshlrev_b32_e32 v99, 30, v11
	v_mov_b32_e32 v98, v9
	v_cmp_gt_i64_e64 s[46:47], 0, v[98:99]
	v_not_b32_e32 v98, v99
	v_ashrrev_i32_e32 v98, 31, v98
	v_and_b32_e32 v8, exec_hi, v8
	v_xor_b32_e32 v99, s47, v98
	v_xor_b32_e32 v98, s46, v98
	v_and_b32_e32 v8, v8, v99
	v_and_b32_e32 v100, v100, v98
	v_lshlrev_b32_e32 v99, 29, v11
	v_mov_b32_e32 v98, v9
	v_cmp_gt_i64_e64 s[46:47], 0, v[98:99]
	v_not_b32_e32 v98, v99
	v_ashrrev_i32_e32 v98, 31, v98
	v_xor_b32_e32 v99, s47, v98
	v_xor_b32_e32 v98, s46, v98
	v_and_b32_e32 v8, v8, v99
	v_and_b32_e32 v100, v100, v98
	v_lshlrev_b32_e32 v99, 28, v11
	v_mov_b32_e32 v98, v9
	v_cmp_gt_i64_e64 s[46:47], 0, v[98:99]
	v_not_b32_e32 v98, v99
	v_ashrrev_i32_e32 v98, 31, v98
	;; [unrolled: 9-line block ×3, first 2 shown]
	v_xor_b32_e32 v99, s47, v98
	v_xor_b32_e32 v98, s46, v98
	v_and_b32_e32 v8, v8, v99
	v_lshlrev_b32_e32 v99, 26, v11
	v_and_b32_e32 v100, v100, v98
	v_mov_b32_e32 v98, v9
	v_not_b32_e32 v9, v99
	v_cmp_gt_i64_e64 s[46:47], 0, v[98:99]
	v_ashrrev_i32_e32 v9, 31, v9
	s_nop 0
	v_xor_b32_e32 v11, s47, v9
	v_xor_b32_e32 v98, s46, v9
	v_and_b32_e32 v9, v8, v11
	v_and_b32_e32 v8, v100, v98
	v_mbcnt_lo_u32_b32 v11, v8, 0
	v_mbcnt_hi_u32_b32 v11, v9, v11
	v_cmp_eq_u32_e64 s[46:47], 0, v11
	v_cmp_ne_u64_e64 s[48:49], 0, v[8:9]
	s_and_b64 s[46:47], s[48:49], s[46:47]
	; wave barrier
	s_and_saveexec_b64 s[4:5], s[46:47]
	s_cbranch_execz .LBB1002_89
; %bb.88:
	v_bcnt_u32_b32 v8, v8, 0
	v_bcnt_u32_b32 v8, v9, v8
	s_waitcnt lgkmcnt(0)
	v_add_u32_e32 v8, v10, v8
	ds_write_b32 v36, v8 offset:32
.LBB1002_89:
	s_or_b64 exec, exec, s[4:5]
	; wave barrier
	s_waitcnt lgkmcnt(0)
	s_barrier
	ds_read_b64 v[8:9], v33 offset:32
	v_and_b32_e32 v43, 15, v15
	v_cmp_ne_u32_e64 s[46:47], 0, v43
	v_min_u32_e32 v18, 0x1c0, v18
	v_or_b32_e32 v18, 63, v18
	s_waitcnt lgkmcnt(0)
	v_add_u32_e32 v9, v9, v8
	s_nop 1
	v_mov_b32_dpp v98, v9 row_shr:1 row_mask:0xf bank_mask:0xf
	v_cndmask_b32_e64 v98, 0, v98, s[46:47]
	v_add_u32_e32 v9, v98, v9
	v_cmp_lt_u32_e64 s[46:47], 1, v43
	s_nop 0
	v_mov_b32_dpp v98, v9 row_shr:2 row_mask:0xf bank_mask:0xf
	v_cndmask_b32_e64 v98, 0, v98, s[46:47]
	v_add_u32_e32 v9, v9, v98
	v_cmp_lt_u32_e64 s[46:47], 3, v43
	s_nop 0
	v_mov_b32_dpp v98, v9 row_shr:4 row_mask:0xf bank_mask:0xf
	v_cndmask_b32_e64 v98, 0, v98, s[46:47]
	v_add_u32_e32 v9, v9, v98
	v_cmp_lt_u32_e64 s[46:47], 7, v43
	s_nop 0
	v_mov_b32_dpp v98, v9 row_shr:8 row_mask:0xf bank_mask:0xf
	v_cndmask_b32_e64 v43, 0, v98, s[46:47]
	v_add_u32_e32 v9, v9, v43
	v_bfe_i32 v98, v15, 4, 1
	v_cmp_lt_u32_e64 s[46:47], 31, v15
	v_mov_b32_dpp v43, v9 row_bcast:15 row_mask:0xf bank_mask:0xf
	v_and_b32_e32 v43, v98, v43
	v_add_u32_e32 v9, v9, v43
	s_nop 1
	v_mov_b32_dpp v43, v9 row_bcast:31 row_mask:0xf bank_mask:0xf
	v_cndmask_b32_e64 v43, 0, v43, s[46:47]
	v_add_u32_e32 v9, v9, v43
	v_lshrrev_b32_e32 v43, 6, v2
	v_cmp_eq_u32_e64 s[46:47], v2, v18
	s_and_saveexec_b64 s[4:5], s[46:47]
; %bb.90:
	v_lshlrev_b32_e32 v18, 2, v43
	ds_write_b32 v18, v9
; %bb.91:
	s_or_b64 exec, exec, s[4:5]
	v_cmp_gt_u32_e64 s[46:47], 8, v2
	v_lshlrev_b32_e32 v18, 2, v2
	s_waitcnt lgkmcnt(0)
	s_barrier
	s_and_saveexec_b64 s[48:49], s[46:47]
	s_cbranch_execz .LBB1002_93
; %bb.92:
	ds_read_b32 v98, v18
	v_and_b32_e32 v99, 7, v15
	v_cmp_ne_u32_e64 s[46:47], 0, v99
	s_waitcnt lgkmcnt(0)
	v_mov_b32_dpp v100, v98 row_shr:1 row_mask:0xf bank_mask:0xf
	v_cndmask_b32_e64 v100, 0, v100, s[46:47]
	v_add_u32_e32 v98, v100, v98
	v_cmp_lt_u32_e64 s[46:47], 1, v99
	s_nop 0
	v_mov_b32_dpp v100, v98 row_shr:2 row_mask:0xf bank_mask:0xf
	v_cndmask_b32_e64 v100, 0, v100, s[46:47]
	v_add_u32_e32 v98, v98, v100
	v_cmp_lt_u32_e64 s[46:47], 3, v99
	s_nop 0
	v_mov_b32_dpp v100, v98 row_shr:4 row_mask:0xf bank_mask:0xf
	v_cndmask_b32_e64 v99, 0, v100, s[46:47]
	v_add_u32_e32 v98, v98, v99
	ds_write_b32 v18, v98
.LBB1002_93:
	s_or_b64 exec, exec, s[48:49]
	v_cmp_gt_u32_e64 s[48:49], 64, v2
	v_cmp_lt_u32_e64 s[46:47], 63, v2
	v_mov_b32_e32 v98, 0
	s_waitcnt lgkmcnt(0)
	s_barrier
	s_and_saveexec_b64 s[4:5], s[46:47]
; %bb.94:
	v_lshl_add_u32 v43, v43, 2, -4
	ds_read_b32 v98, v43
; %bb.95:
	s_or_b64 exec, exec, s[4:5]
	v_subrev_co_u32_e64 v43, s[50:51], 1, v15
	v_and_b32_e32 v99, 64, v15
	v_cmp_lt_i32_e64 s[52:53], v43, v99
	s_waitcnt lgkmcnt(0)
	v_add_u32_e32 v9, v98, v9
	v_cndmask_b32_e64 v15, v43, v15, s[52:53]
	v_lshlrev_b32_e32 v15, 2, v15
	ds_bpermute_b32 v9, v15, v9
                                        ; implicit-def: $vgpr15
	s_waitcnt lgkmcnt(0)
	v_cndmask_b32_e64 v9, v9, v98, s[50:51]
	v_cmp_ne_u32_e64 s[50:51], 0, v2
	s_nop 1
	v_cndmask_b32_e64 v98, 0, v9, s[50:51]
	v_add_u32_e32 v99, v98, v8
	ds_write_b64 v33, v[98:99] offset:32
	s_waitcnt lgkmcnt(0)
	s_barrier
	ds_read_b32 v8, v37 offset:32
	ds_read_b32 v9, v41 offset:32
	;; [unrolled: 1-line block ×22, first 2 shown]
                                        ; implicit-def: $vgpr33
	s_and_saveexec_b64 s[52:53], s[48:49]
	s_cbranch_execz .LBB1002_99
; %bb.96:
	v_mul_u32_u24_e32 v15, 36, v2
	ds_read_b32 v15, v15 offset:32
	v_add_u32_e32 v36, 1, v2
	v_cmp_ne_u32_e64 s[50:51], 64, v36
	v_mov_b32_e32 v33, 0x2c00
	s_and_saveexec_b64 s[4:5], s[50:51]
; %bb.97:
	v_mul_u32_u24_e32 v33, 36, v36
	ds_read_b32 v33, v33 offset:32
; %bb.98:
	s_or_b64 exec, exec, s[4:5]
	s_waitcnt lgkmcnt(0)
	v_sub_u32_e32 v33, v33, v15
.LBB1002_99:
	s_or_b64 exec, exec, s[52:53]
	s_waitcnt lgkmcnt(14)
	v_add_u32_e32 v72, v8, v34
	v_add3_u32 v65, v38, v35, v9
	v_add3_u32 v62, v42, v39, v37
	v_add3_u32 v59, v47, v45, v41
	v_add3_u32 v58, v52, v48, v43
	v_add3_u32 v55, v56, v53, v46
	v_add3_u32 v53, v60, v57, v50
	v_add3_u32 v51, v64, v61, v54
	s_waitcnt lgkmcnt(13)
	v_add3_u32 v48, v68, v66, v63
	s_waitcnt lgkmcnt(12)
	v_add3_u32 v46, v73, v70, v67
	s_waitcnt lgkmcnt(11)
	v_add3_u32 v45, v76, v74, v75
	s_waitcnt lgkmcnt(10)
	v_add3_u32 v44, v78, v71, v77
	s_waitcnt lgkmcnt(9)
	v_add3_u32 v43, v80, v69, v79
	s_waitcnt lgkmcnt(8)
	v_add3_u32 v42, v83, v81, v82
	s_waitcnt lgkmcnt(3)
	v_add3_u32 v37, v92, v49, v94
	v_lshlrev_b32_e32 v78, 1, v72
	v_lshlrev_b32_e32 v75, 1, v65
	;; [unrolled: 1-line block ×13, first 2 shown]
	v_add3_u32 v41, v85, v84, v98
	v_add3_u32 v40, v87, v86, v99
	;; [unrolled: 1-line block ×4, first 2 shown]
	s_waitcnt lgkmcnt(2)
	v_add3_u32 v36, v95, v93, v102
	s_waitcnt lgkmcnt(1)
	v_add3_u32 v35, v97, v96, v103
	;; [unrolled: 2-line block ×3, first 2 shown]
	s_barrier
	ds_write_b16 v78, v5 offset:256
	ds_write_b16 v75, v3 offset:256
	;; [unrolled: 1-line block ×13, first 2 shown]
	v_lshlrev_b32_e32 v24, 1, v42
	ds_write_b16 v24, v23 offset:256
	v_lshlrev_b32_e32 v23, 1, v41
	v_lshlrev_b32_e32 v22, 1, v40
	;; [unrolled: 1-line block ×8, first 2 shown]
	v_mov_b32_e32 v9, 0
	ds_write_b16 v23, v26 offset:256
	ds_write_b16 v22, v25 offset:256
	;; [unrolled: 1-line block ×8, first 2 shown]
	s_and_saveexec_b64 s[50:51], s[48:49]
	s_cbranch_execz .LBB1002_109
; %bb.100:
	v_lshl_add_u32 v8, s2, 6, v2
	v_lshl_add_u64 v[10:11], v[8:9], 2, s[12:13]
	v_or_b32_e32 v3, 2.0, v33
	global_store_dword v[10:11], v3, off sc1
	s_mov_b64 s[52:53], 0
	s_brev_b32 s56, -4
	s_mov_b32 s57, s2
	v_mov_b32_e32 v3, 0
                                        ; implicit-def: $sgpr48_sgpr49
	s_branch .LBB1002_103
.LBB1002_101:                           ;   in Loop: Header=BB1002_103 Depth=1
	s_or_b64 exec, exec, s[4:5]
.LBB1002_102:                           ;   in Loop: Header=BB1002_103 Depth=1
	s_or_b64 exec, exec, s[54:55]
	v_and_b32_e32 v7, 0x3fffffff, v5
	v_add_u32_e32 v3, v7, v3
	v_cmp_gt_i32_e64 s[48:49], -2.0, v5
	s_and_b64 s[4:5], exec, s[48:49]
	s_or_b64 s[52:53], s[4:5], s[52:53]
	s_andn2_b64 exec, exec, s[52:53]
	s_cbranch_execz .LBB1002_108
.LBB1002_103:                           ; =>This Loop Header: Depth=1
                                        ;     Child Loop BB1002_106 Depth 2
	s_or_b64 s[48:49], s[48:49], exec
	s_cmp_eq_u32 s57, 0
	s_cbranch_scc1 .LBB1002_107
; %bb.104:                              ;   in Loop: Header=BB1002_103 Depth=1
	s_add_i32 s57, s57, -1
	v_lshl_or_b32 v8, s57, 6, v2
	v_lshl_add_u64 v[12:13], v[8:9], 2, s[12:13]
	global_load_dword v5, v[12:13], off sc1
	s_waitcnt vmcnt(0)
	v_cmp_gt_u32_e64 s[48:49], 2.0, v5
	s_and_saveexec_b64 s[54:55], s[48:49]
	s_cbranch_execz .LBB1002_102
; %bb.105:                              ;   in Loop: Header=BB1002_103 Depth=1
	s_mov_b64 s[4:5], 0
.LBB1002_106:                           ;   Parent Loop BB1002_103 Depth=1
                                        ; =>  This Inner Loop Header: Depth=2
	global_load_dword v5, v[12:13], off sc1
	s_waitcnt vmcnt(0)
	v_cmp_lt_u32_e64 s[48:49], s56, v5
	s_or_b64 s[4:5], s[48:49], s[4:5]
	s_andn2_b64 exec, exec, s[4:5]
	s_cbranch_execnz .LBB1002_106
	s_branch .LBB1002_101
.LBB1002_107:                           ;   in Loop: Header=BB1002_103 Depth=1
                                        ; implicit-def: $sgpr57
	s_and_b64 s[4:5], exec, s[48:49]
	s_or_b64 s[52:53], s[4:5], s[52:53]
	s_andn2_b64 exec, exec, s[52:53]
	s_cbranch_execnz .LBB1002_103
.LBB1002_108:
	s_or_b64 exec, exec, s[52:53]
	s_load_dwordx4 s[52:55], s[0:1], 0x28
	v_add_u32_e32 v5, v3, v33
	v_or_b32_e32 v5, 0x80000000, v5
	global_store_dword v[10:11], v5, off sc1
	v_sub_u32_e32 v3, v3, v15
	s_waitcnt lgkmcnt(0)
	global_load_dword v5, v18, s[52:53]
	s_waitcnt vmcnt(0)
	v_add_u32_e32 v3, v3, v5
	ds_write_b32 v18, v3
.LBB1002_109:
	s_or_b64 exec, exec, s[50:51]
	v_cmp_gt_u32_e64 s[48:49], s7, v2
	v_mov_b32_e32 v8, 0
	v_lshlrev_b32_e32 v3, 1, v2
	v_mov_b32_e32 v11, 0
	s_waitcnt lgkmcnt(0)
	s_barrier
	s_and_saveexec_b64 s[50:51], s[48:49]
	s_cbranch_execz .LBB1002_111
; %bb.110:
	v_sub_u32_e32 v5, v18, v3
	ds_read_u16 v5, v5 offset:256
	v_mov_b32_e32 v13, 0
	s_waitcnt lgkmcnt(0)
	v_lshrrev_b32_sdwa v7, s8, v5 dst_sel:DWORD dst_unused:UNUSED_PAD src0_sel:DWORD src1_sel:WORD_0
	v_and_b32_e32 v11, s33, v7
	v_lshlrev_b32_e32 v7, 2, v11
	ds_read_b32 v7, v7
	s_waitcnt lgkmcnt(0)
	v_add_u32_e32 v12, v7, v2
	v_lshl_add_u64 v[12:13], v[12:13], 1, s[94:95]
	global_store_short v[12:13], v5, off
.LBB1002_111:
	s_or_b64 exec, exec, s[50:51]
	v_add_u32_e32 v10, 0x200, v2
	v_cmp_gt_u32_e64 s[50:51], s7, v10
	s_and_saveexec_b64 s[52:53], s[50:51]
	s_cbranch_execz .LBB1002_113
; %bb.112:
	v_sub_u32_e32 v5, v18, v3
	ds_read_u16 v5, v5 offset:1280
	v_mov_b32_e32 v13, 0
	s_waitcnt lgkmcnt(0)
	v_lshrrev_b32_sdwa v7, s8, v5 dst_sel:DWORD dst_unused:UNUSED_PAD src0_sel:DWORD src1_sel:WORD_0
	v_and_b32_e32 v8, s33, v7
	v_lshlrev_b32_e32 v7, 2, v8
	ds_read_b32 v7, v7
	s_waitcnt lgkmcnt(0)
	v_add_u32_e32 v12, v7, v10
	v_lshl_add_u64 v[12:13], v[12:13], 1, s[94:95]
	global_store_short v[12:13], v5, off
.LBB1002_113:
	s_or_b64 exec, exec, s[52:53]
	v_or_b32_e32 v12, 0x400, v2
	v_cmp_gt_u32_e64 s[52:53], s7, v12
	v_mov_b32_e32 v9, 0
	v_mov_b32_e32 v26, 0
	s_and_saveexec_b64 s[54:55], s[52:53]
	s_cbranch_execz .LBB1002_115
; %bb.114:
	v_sub_u32_e32 v5, v18, v3
	ds_read_u16 v5, v5 offset:2304
	v_mov_b32_e32 v29, 0
	s_waitcnt lgkmcnt(0)
	v_lshrrev_b32_sdwa v7, s8, v5 dst_sel:DWORD dst_unused:UNUSED_PAD src0_sel:DWORD src1_sel:WORD_0
	v_and_b32_e32 v26, s33, v7
	v_lshlrev_b32_e32 v7, 2, v26
	ds_read_b32 v7, v7
	s_waitcnt lgkmcnt(0)
	v_add_u32_e32 v28, v7, v12
	v_lshl_add_u64 v[28:29], v[28:29], 1, s[94:95]
	global_store_short v[28:29], v5, off
.LBB1002_115:
	s_or_b64 exec, exec, s[54:55]
	v_add_u32_e32 v25, 0x600, v2
	v_cmp_gt_u32_e64 s[54:55], s7, v25
	s_and_saveexec_b64 s[56:57], s[54:55]
	s_cbranch_execz .LBB1002_117
; %bb.116:
	v_sub_u32_e32 v5, v18, v3
	ds_read_u16 v5, v5 offset:3328
	v_mov_b32_e32 v29, 0
	s_waitcnt lgkmcnt(0)
	v_lshrrev_b32_sdwa v7, s8, v5 dst_sel:DWORD dst_unused:UNUSED_PAD src0_sel:DWORD src1_sel:WORD_0
	v_and_b32_e32 v9, s33, v7
	v_lshlrev_b32_e32 v7, 2, v9
	ds_read_b32 v7, v7
	s_waitcnt lgkmcnt(0)
	v_add_u32_e32 v28, v7, v25
	v_lshl_add_u64 v[28:29], v[28:29], 1, s[94:95]
	global_store_short v[28:29], v5, off
.LBB1002_117:
	s_or_b64 exec, exec, s[56:57]
	v_or_b32_e32 v27, 0x800, v2
	v_cmp_gt_u32_e64 s[56:57], s7, v27
	v_mov_b32_e32 v13, 0
	v_mov_b32_e32 v30, 0
	;; [unrolled: 40-line block ×3, first 2 shown]
	s_and_saveexec_b64 s[62:63], s[60:61]
	s_cbranch_execz .LBB1002_123
; %bb.122:
	v_sub_u32_e32 v5, v18, v3
	ds_read_u16 v5, v5 offset:6400
	v_mov_b32_e32 v69, 0
	s_waitcnt lgkmcnt(0)
	v_lshrrev_b32_sdwa v7, s8, v5 dst_sel:DWORD dst_unused:UNUSED_PAD src0_sel:DWORD src1_sel:WORD_0
	v_and_b32_e32 v64, s33, v7
	v_lshlrev_b32_e32 v7, 2, v64
	ds_read_b32 v7, v7
	s_waitcnt lgkmcnt(0)
	v_add_u32_e32 v68, v7, v31
	v_lshl_add_u64 v[68:69], v[68:69], 1, s[94:95]
	global_store_short v[68:69], v5, off
.LBB1002_123:
	s_or_b64 exec, exec, s[62:63]
	v_add_u32_e32 v63, 0xe00, v2
	v_cmp_gt_u32_e64 s[62:63], s7, v63
	s_and_saveexec_b64 s[64:65], s[62:63]
	s_cbranch_execz .LBB1002_125
; %bb.124:
	ds_read_u16 v5, v3 offset:7424
	v_mov_b32_e32 v69, 0
	s_waitcnt lgkmcnt(0)
	v_lshrrev_b32_sdwa v7, s8, v5 dst_sel:DWORD dst_unused:UNUSED_PAD src0_sel:DWORD src1_sel:WORD_0
	v_and_b32_e32 v28, s33, v7
	v_lshlrev_b32_e32 v7, 2, v28
	ds_read_b32 v7, v7
	s_waitcnt lgkmcnt(0)
	v_add_u32_e32 v68, v7, v63
	v_lshl_add_u64 v[68:69], v[68:69], 1, s[94:95]
	global_store_short v[68:69], v5, off
.LBB1002_125:
	s_or_b64 exec, exec, s[64:65]
	v_or_b32_e32 v66, 0x1000, v2
	v_cmp_gt_u32_e64 s[64:65], s7, v66
	v_mov_b32_e32 v32, 0
	v_mov_b32_e32 v71, 0
	s_and_saveexec_b64 s[66:67], s[64:65]
	s_cbranch_execz .LBB1002_127
; %bb.126:
	ds_read_u16 v5, v3 offset:8448
	v_mov_b32_e32 v69, 0
	s_waitcnt lgkmcnt(0)
	v_lshrrev_b32_sdwa v7, s8, v5 dst_sel:DWORD dst_unused:UNUSED_PAD src0_sel:DWORD src1_sel:WORD_0
	v_and_b32_e32 v71, s33, v7
	v_lshlrev_b32_e32 v7, 2, v71
	ds_read_b32 v7, v7
	s_waitcnt lgkmcnt(0)
	v_add_u32_e32 v68, v7, v66
	v_lshl_add_u64 v[68:69], v[68:69], 1, s[94:95]
	global_store_short v[68:69], v5, off
.LBB1002_127:
	s_or_b64 exec, exec, s[66:67]
	v_add_u32_e32 v69, 0x1200, v2
	v_cmp_gt_u32_e64 s[66:67], s7, v69
	s_and_saveexec_b64 s[68:69], s[66:67]
	s_cbranch_execz .LBB1002_129
; %bb.128:
	ds_read_u16 v5, v3 offset:9472
	v_mov_b32_e32 v77, 0
	s_waitcnt lgkmcnt(0)
	v_lshrrev_b32_sdwa v7, s8, v5 dst_sel:DWORD dst_unused:UNUSED_PAD src0_sel:DWORD src1_sel:WORD_0
	v_and_b32_e32 v32, s33, v7
	v_lshlrev_b32_e32 v7, 2, v32
	ds_read_b32 v7, v7
	s_waitcnt lgkmcnt(0)
	v_add_u32_e32 v76, v7, v69
	v_lshl_add_u64 v[76:77], v[76:77], 1, s[94:95]
	global_store_short v[76:77], v5, off
.LBB1002_129:
	s_or_b64 exec, exec, s[68:69]
	v_or_b32_e32 v73, 0x1400, v2
	v_cmp_gt_u32_e64 s[68:69], s7, v73
	v_mov_b32_e32 v68, 0
	v_mov_b32_e32 v77, 0
	s_and_saveexec_b64 s[70:71], s[68:69]
	s_cbranch_execz .LBB1002_131
; %bb.130:
	ds_read_u16 v5, v3 offset:10496
	v_mov_b32_e32 v81, 0
	s_waitcnt lgkmcnt(0)
	v_lshrrev_b32_sdwa v7, s8, v5 dst_sel:DWORD dst_unused:UNUSED_PAD src0_sel:DWORD src1_sel:WORD_0
	v_and_b32_e32 v77, s33, v7
	v_lshlrev_b32_e32 v7, 2, v77
	ds_read_b32 v7, v7
	s_waitcnt lgkmcnt(0)
	v_add_u32_e32 v80, v7, v73
	v_lshl_add_u64 v[80:81], v[80:81], 1, s[94:95]
	global_store_short v[80:81], v5, off
.LBB1002_131:
	;; [unrolled: 38-line block ×7, first 2 shown]
	s_or_b64 exec, exec, s[90:91]
	v_add_u32_e32 v96, 0x2a00, v2
	v_cmp_gt_u32_e64 s[90:91], s7, v96
	s_and_saveexec_b64 s[4:5], s[90:91]
	s_cbranch_execz .LBB1002_153
; %bb.152:
	ds_read_u16 v5, v3 offset:21760
	v_mov_b32_e32 v99, 0
	s_waitcnt lgkmcnt(0)
	v_lshrrev_b32_sdwa v7, s8, v5 dst_sel:DWORD dst_unused:UNUSED_PAD src0_sel:DWORD src1_sel:WORD_0
	v_and_b32_e32 v92, s33, v7
	v_lshlrev_b32_e32 v7, 2, v92
	ds_read_b32 v7, v7
	s_waitcnt lgkmcnt(0)
	v_add_u32_e32 v98, v7, v96
	v_lshl_add_u64 v[98:99], v[98:99], 1, s[94:95]
	global_store_short v[98:99], v5, off
.LBB1002_153:
	s_or_b64 exec, exec, s[4:5]
	s_add_u32 s4, s96, s10
	s_addc_u32 s5, s97, s11
	v_mov_b32_e32 v5, 0
	v_lshl_add_u64 v[98:99], s[4:5], 0, v[4:5]
	v_mov_b32_e32 v7, v5
	v_lshl_add_u64 v[4:5], v[98:99], 0, v[6:7]
                                        ; implicit-def: $vgpr6
	s_mov_b64 s[4:5], exec
	v_readlane_b32 s10, v118, 4
	v_readlane_b32 s11, v118, 5
	s_and_b64 s[10:11], s[4:5], s[10:11]
	s_xor_b64 s[4:5], s[10:11], s[4:5]
	s_mov_b64 exec, s[10:11]
	s_cbranch_execz .LBB1002_155
; %bb.154:
	global_load_ushort v6, v[4:5], off
.LBB1002_155:
	s_or_b64 exec, exec, s[4:5]
                                        ; implicit-def: $vgpr7
	s_mov_b64 s[4:5], exec
	v_readlane_b32 s10, v118, 6
	v_readlane_b32 s11, v118, 7
	s_and_b64 s[10:11], s[4:5], s[10:11]
	s_mov_b64 exec, s[10:11]
	s_cbranch_execz .LBB1002_157
; %bb.156:
	global_load_ushort v7, v[4:5], off offset:128
.LBB1002_157:
	s_or_b64 exec, exec, s[4:5]
                                        ; implicit-def: $vgpr98
	s_mov_b64 s[4:5], exec
	v_readlane_b32 s10, v118, 8
	v_readlane_b32 s11, v118, 9
	s_and_b64 s[10:11], s[4:5], s[10:11]
	s_mov_b64 exec, s[10:11]
	s_cbranch_execz .LBB1002_159
; %bb.158:
	global_load_ushort v98, v[4:5], off offset:256
.LBB1002_159:
	s_or_b64 exec, exec, s[4:5]
                                        ; implicit-def: $vgpr99
	s_mov_b64 s[4:5], exec
	v_readlane_b32 s10, v118, 10
	v_readlane_b32 s11, v118, 11
	s_and_b64 s[10:11], s[4:5], s[10:11]
	s_mov_b64 exec, s[10:11]
	s_cbranch_execz .LBB1002_161
; %bb.160:
	global_load_ushort v99, v[4:5], off offset:384
.LBB1002_161:
	s_or_b64 exec, exec, s[4:5]
                                        ; implicit-def: $vgpr100
	s_mov_b64 s[4:5], exec
	v_readlane_b32 s10, v118, 12
	v_readlane_b32 s11, v118, 13
	s_and_b64 s[10:11], s[4:5], s[10:11]
	s_mov_b64 exec, s[10:11]
	s_cbranch_execz .LBB1002_163
; %bb.162:
	global_load_ushort v100, v[4:5], off offset:512
.LBB1002_163:
	s_or_b64 exec, exec, s[4:5]
                                        ; implicit-def: $vgpr101
	s_mov_b64 s[4:5], exec
	v_readlane_b32 s10, v118, 14
	v_readlane_b32 s11, v118, 15
	s_and_b64 s[10:11], s[4:5], s[10:11]
	s_mov_b64 exec, s[10:11]
	s_cbranch_execz .LBB1002_165
; %bb.164:
	global_load_ushort v101, v[4:5], off offset:640
.LBB1002_165:
	s_or_b64 exec, exec, s[4:5]
                                        ; implicit-def: $vgpr102
	s_mov_b64 s[4:5], exec
	v_readlane_b32 s10, v118, 16
	v_readlane_b32 s11, v118, 17
	s_and_b64 s[10:11], s[4:5], s[10:11]
	s_mov_b64 exec, s[10:11]
	s_cbranch_execz .LBB1002_181
; %bb.166:
	global_load_ushort v102, v[4:5], off offset:768
	s_or_b64 exec, exec, s[4:5]
                                        ; implicit-def: $vgpr103
	s_and_saveexec_b64 s[4:5], vcc
	s_cbranch_execnz .LBB1002_182
.LBB1002_167:
	s_or_b64 exec, exec, s[4:5]
                                        ; implicit-def: $vgpr104
	s_and_saveexec_b64 s[4:5], s[16:17]
	s_cbranch_execz .LBB1002_183
.LBB1002_168:
	global_load_ushort v104, v[4:5], off offset:1024
	s_or_b64 exec, exec, s[4:5]
                                        ; implicit-def: $vgpr105
	s_and_saveexec_b64 s[4:5], s[18:19]
	s_cbranch_execnz .LBB1002_184
.LBB1002_169:
	s_or_b64 exec, exec, s[4:5]
                                        ; implicit-def: $vgpr106
	s_and_saveexec_b64 s[4:5], s[20:21]
	s_cbranch_execz .LBB1002_185
.LBB1002_170:
	global_load_ushort v106, v[4:5], off offset:1280
	s_or_b64 exec, exec, s[4:5]
                                        ; implicit-def: $vgpr107
	s_and_saveexec_b64 s[4:5], s[22:23]
	s_cbranch_execnz .LBB1002_186
.LBB1002_171:
	s_or_b64 exec, exec, s[4:5]
                                        ; implicit-def: $vgpr108
	s_and_saveexec_b64 s[4:5], s[24:25]
	s_cbranch_execz .LBB1002_187
.LBB1002_172:
	global_load_ushort v108, v[4:5], off offset:1536
	s_or_b64 exec, exec, s[4:5]
                                        ; implicit-def: $vgpr109
	s_and_saveexec_b64 s[4:5], s[26:27]
	s_cbranch_execnz .LBB1002_188
.LBB1002_173:
	s_or_b64 exec, exec, s[4:5]
                                        ; implicit-def: $vgpr110
	s_and_saveexec_b64 s[4:5], s[28:29]
	s_cbranch_execz .LBB1002_189
.LBB1002_174:
	global_load_ushort v110, v[4:5], off offset:1792
	s_or_b64 exec, exec, s[4:5]
                                        ; implicit-def: $vgpr111
	s_and_saveexec_b64 s[4:5], s[30:31]
	s_cbranch_execnz .LBB1002_190
.LBB1002_175:
	s_or_b64 exec, exec, s[4:5]
                                        ; implicit-def: $vgpr112
	s_and_saveexec_b64 s[4:5], s[34:35]
	s_cbranch_execz .LBB1002_191
.LBB1002_176:
	global_load_ushort v112, v[4:5], off offset:2048
	s_or_b64 exec, exec, s[4:5]
                                        ; implicit-def: $vgpr113
	s_and_saveexec_b64 s[4:5], s[36:37]
	s_cbranch_execnz .LBB1002_192
.LBB1002_177:
	s_or_b64 exec, exec, s[4:5]
                                        ; implicit-def: $vgpr114
	s_and_saveexec_b64 s[4:5], s[38:39]
	s_cbranch_execz .LBB1002_193
.LBB1002_178:
	global_load_ushort v114, v[4:5], off offset:2304
	s_or_b64 exec, exec, s[4:5]
                                        ; implicit-def: $vgpr115
	s_and_saveexec_b64 s[4:5], s[40:41]
	s_cbranch_execnz .LBB1002_194
.LBB1002_179:
	s_or_b64 exec, exec, s[4:5]
                                        ; implicit-def: $vgpr116
	s_and_saveexec_b64 s[4:5], s[42:43]
	s_cbranch_execz .LBB1002_195
.LBB1002_180:
	global_load_ushort v116, v[4:5], off offset:2560
	s_or_b64 exec, exec, s[4:5]
                                        ; implicit-def: $vgpr117
	s_and_saveexec_b64 s[4:5], s[44:45]
	s_cbranch_execnz .LBB1002_196
	s_branch .LBB1002_197
.LBB1002_181:
	s_or_b64 exec, exec, s[4:5]
                                        ; implicit-def: $vgpr103
	s_and_saveexec_b64 s[4:5], vcc
	s_cbranch_execz .LBB1002_167
.LBB1002_182:
	global_load_ushort v103, v[4:5], off offset:896
	s_or_b64 exec, exec, s[4:5]
                                        ; implicit-def: $vgpr104
	s_and_saveexec_b64 s[4:5], s[16:17]
	s_cbranch_execnz .LBB1002_168
.LBB1002_183:
	s_or_b64 exec, exec, s[4:5]
                                        ; implicit-def: $vgpr105
	s_and_saveexec_b64 s[4:5], s[18:19]
	s_cbranch_execz .LBB1002_169
.LBB1002_184:
	global_load_ushort v105, v[4:5], off offset:1152
	s_or_b64 exec, exec, s[4:5]
                                        ; implicit-def: $vgpr106
	s_and_saveexec_b64 s[4:5], s[20:21]
	s_cbranch_execnz .LBB1002_170
.LBB1002_185:
	s_or_b64 exec, exec, s[4:5]
                                        ; implicit-def: $vgpr107
	s_and_saveexec_b64 s[4:5], s[22:23]
	s_cbranch_execz .LBB1002_171
.LBB1002_186:
	global_load_ushort v107, v[4:5], off offset:1408
	s_or_b64 exec, exec, s[4:5]
                                        ; implicit-def: $vgpr108
	s_and_saveexec_b64 s[4:5], s[24:25]
	s_cbranch_execnz .LBB1002_172
.LBB1002_187:
	s_or_b64 exec, exec, s[4:5]
                                        ; implicit-def: $vgpr109
	s_and_saveexec_b64 s[4:5], s[26:27]
	s_cbranch_execz .LBB1002_173
.LBB1002_188:
	global_load_ushort v109, v[4:5], off offset:1664
	s_or_b64 exec, exec, s[4:5]
                                        ; implicit-def: $vgpr110
	s_and_saveexec_b64 s[4:5], s[28:29]
	s_cbranch_execnz .LBB1002_174
.LBB1002_189:
	s_or_b64 exec, exec, s[4:5]
                                        ; implicit-def: $vgpr111
	s_and_saveexec_b64 s[4:5], s[30:31]
	s_cbranch_execz .LBB1002_175
.LBB1002_190:
	global_load_ushort v111, v[4:5], off offset:1920
	s_or_b64 exec, exec, s[4:5]
                                        ; implicit-def: $vgpr112
	s_and_saveexec_b64 s[4:5], s[34:35]
	s_cbranch_execnz .LBB1002_176
.LBB1002_191:
	s_or_b64 exec, exec, s[4:5]
                                        ; implicit-def: $vgpr113
	s_and_saveexec_b64 s[4:5], s[36:37]
	s_cbranch_execz .LBB1002_177
.LBB1002_192:
	global_load_ushort v113, v[4:5], off offset:2176
	s_or_b64 exec, exec, s[4:5]
                                        ; implicit-def: $vgpr114
	s_and_saveexec_b64 s[4:5], s[38:39]
	s_cbranch_execnz .LBB1002_178
.LBB1002_193:
	s_or_b64 exec, exec, s[4:5]
                                        ; implicit-def: $vgpr115
	s_and_saveexec_b64 s[4:5], s[40:41]
	s_cbranch_execz .LBB1002_179
.LBB1002_194:
	global_load_ushort v115, v[4:5], off offset:2432
	s_or_b64 exec, exec, s[4:5]
                                        ; implicit-def: $vgpr116
	s_and_saveexec_b64 s[4:5], s[42:43]
	s_cbranch_execnz .LBB1002_180
.LBB1002_195:
	s_or_b64 exec, exec, s[4:5]
                                        ; implicit-def: $vgpr117
	s_and_saveexec_b64 s[4:5], s[44:45]
	s_cbranch_execz .LBB1002_197
.LBB1002_196:
	global_load_ushort v117, v[4:5], off offset:2688
.LBB1002_197:
	s_or_b64 exec, exec, s[4:5]
	s_movk_i32 s7, 0x2c00
	v_cmp_gt_u32_e32 vcc, s7, v72
	s_barrier
	s_and_saveexec_b64 s[4:5], vcc
	s_cbranch_execz .LBB1002_219
; %bb.198:
	s_waitcnt vmcnt(0)
	ds_write_b16 v78, v6 offset:256
	s_or_b64 exec, exec, s[4:5]
	v_cmp_gt_u32_e32 vcc, s7, v65
	s_and_saveexec_b64 s[4:5], vcc
	s_cbranch_execnz .LBB1002_220
.LBB1002_199:
	s_or_b64 exec, exec, s[4:5]
	v_cmp_gt_u32_e32 vcc, s7, v62
	s_and_saveexec_b64 s[4:5], vcc
	s_cbranch_execz .LBB1002_221
.LBB1002_200:
	s_waitcnt vmcnt(0)
	ds_write_b16 v70, v98 offset:256
	s_or_b64 exec, exec, s[4:5]
	v_cmp_gt_u32_e32 vcc, s7, v59
	s_and_saveexec_b64 s[4:5], vcc
	s_cbranch_execnz .LBB1002_222
.LBB1002_201:
	s_or_b64 exec, exec, s[4:5]
	v_cmp_gt_u32_e32 vcc, s7, v58
	s_and_saveexec_b64 s[4:5], vcc
	s_cbranch_execz .LBB1002_223
.LBB1002_202:
	s_waitcnt vmcnt(0)
	ds_write_b16 v61, v100 offset:256
	s_or_b64 exec, exec, s[4:5]
	v_cmp_gt_u32_e32 vcc, s7, v55
	s_and_saveexec_b64 s[4:5], vcc
	s_cbranch_execnz .LBB1002_224
.LBB1002_203:
	s_or_b64 exec, exec, s[4:5]
	v_cmp_gt_u32_e32 vcc, s7, v53
	s_and_saveexec_b64 s[4:5], vcc
	s_cbranch_execz .LBB1002_225
.LBB1002_204:
	s_waitcnt vmcnt(0)
	ds_write_b16 v57, v102 offset:256
	s_or_b64 exec, exec, s[4:5]
	v_cmp_gt_u32_e32 vcc, s7, v51
	s_and_saveexec_b64 s[4:5], vcc
	s_cbranch_execnz .LBB1002_226
.LBB1002_205:
	s_or_b64 exec, exec, s[4:5]
	v_cmp_gt_u32_e32 vcc, s7, v48
	s_and_saveexec_b64 s[4:5], vcc
	s_cbranch_execz .LBB1002_227
.LBB1002_206:
	s_waitcnt vmcnt(0)
	ds_write_b16 v54, v104 offset:256
	s_or_b64 exec, exec, s[4:5]
	v_cmp_gt_u32_e32 vcc, s7, v46
	s_and_saveexec_b64 s[4:5], vcc
	s_cbranch_execnz .LBB1002_228
.LBB1002_207:
	s_or_b64 exec, exec, s[4:5]
	v_cmp_gt_u32_e32 vcc, s7, v45
	s_and_saveexec_b64 s[4:5], vcc
	s_cbranch_execz .LBB1002_229
.LBB1002_208:
	s_waitcnt vmcnt(0)
	ds_write_b16 v50, v106 offset:256
	s_or_b64 exec, exec, s[4:5]
	v_cmp_gt_u32_e32 vcc, s7, v44
	s_and_saveexec_b64 s[4:5], vcc
	s_cbranch_execnz .LBB1002_230
.LBB1002_209:
	s_or_b64 exec, exec, s[4:5]
	v_cmp_gt_u32_e32 vcc, s7, v43
	s_and_saveexec_b64 s[4:5], vcc
	s_cbranch_execz .LBB1002_231
.LBB1002_210:
	s_waitcnt vmcnt(0)
	ds_write_b16 v47, v108 offset:256
	s_or_b64 exec, exec, s[4:5]
	v_cmp_gt_u32_e32 vcc, s7, v42
	s_and_saveexec_b64 s[4:5], vcc
	s_cbranch_execnz .LBB1002_232
.LBB1002_211:
	s_or_b64 exec, exec, s[4:5]
	v_cmp_gt_u32_e32 vcc, s7, v41
	s_and_saveexec_b64 s[4:5], vcc
	s_cbranch_execz .LBB1002_233
.LBB1002_212:
	s_waitcnt vmcnt(0)
	ds_write_b16 v23, v110 offset:256
	s_or_b64 exec, exec, s[4:5]
	v_cmp_gt_u32_e32 vcc, s7, v40
	s_and_saveexec_b64 s[4:5], vcc
	s_cbranch_execnz .LBB1002_234
.LBB1002_213:
	s_or_b64 exec, exec, s[4:5]
	v_cmp_gt_u32_e32 vcc, s7, v39
	s_and_saveexec_b64 s[4:5], vcc
	s_cbranch_execz .LBB1002_235
.LBB1002_214:
	s_waitcnt vmcnt(0)
	ds_write_b16 v21, v112 offset:256
	s_or_b64 exec, exec, s[4:5]
	v_cmp_gt_u32_e32 vcc, s7, v38
	s_and_saveexec_b64 s[4:5], vcc
	s_cbranch_execnz .LBB1002_236
.LBB1002_215:
	s_or_b64 exec, exec, s[4:5]
	v_cmp_gt_u32_e32 vcc, s7, v37
	s_and_saveexec_b64 s[4:5], vcc
	s_cbranch_execz .LBB1002_237
.LBB1002_216:
	s_waitcnt vmcnt(0)
	ds_write_b16 v19, v114 offset:256
	s_or_b64 exec, exec, s[4:5]
	v_cmp_gt_u32_e32 vcc, s7, v36
	s_and_saveexec_b64 s[4:5], vcc
	s_cbranch_execnz .LBB1002_238
.LBB1002_217:
	s_or_b64 exec, exec, s[4:5]
	v_cmp_gt_u32_e32 vcc, s7, v35
	s_and_saveexec_b64 s[4:5], vcc
	s_cbranch_execz .LBB1002_239
.LBB1002_218:
	s_waitcnt vmcnt(0)
	ds_write_b16 v16, v116 offset:256
	s_or_b64 exec, exec, s[4:5]
	v_cmp_gt_u32_e32 vcc, s7, v34
	s_and_saveexec_b64 s[4:5], vcc
	s_cbranch_execnz .LBB1002_240
	s_branch .LBB1002_241
.LBB1002_219:
	s_or_b64 exec, exec, s[4:5]
	v_cmp_gt_u32_e32 vcc, s7, v65
	s_and_saveexec_b64 s[4:5], vcc
	s_cbranch_execz .LBB1002_199
.LBB1002_220:
	s_waitcnt vmcnt(0)
	ds_write_b16 v75, v7 offset:256
	s_or_b64 exec, exec, s[4:5]
	v_cmp_gt_u32_e32 vcc, s7, v62
	s_and_saveexec_b64 s[4:5], vcc
	s_cbranch_execnz .LBB1002_200
.LBB1002_221:
	s_or_b64 exec, exec, s[4:5]
	v_cmp_gt_u32_e32 vcc, s7, v59
	s_and_saveexec_b64 s[4:5], vcc
	s_cbranch_execz .LBB1002_201
.LBB1002_222:
	s_waitcnt vmcnt(0)
	ds_write_b16 v67, v99 offset:256
	s_or_b64 exec, exec, s[4:5]
	v_cmp_gt_u32_e32 vcc, s7, v58
	s_and_saveexec_b64 s[4:5], vcc
	s_cbranch_execnz .LBB1002_202
.LBB1002_223:
	s_or_b64 exec, exec, s[4:5]
	v_cmp_gt_u32_e32 vcc, s7, v55
	s_and_saveexec_b64 s[4:5], vcc
	s_cbranch_execz .LBB1002_203
.LBB1002_224:
	s_waitcnt vmcnt(0)
	ds_write_b16 v60, v101 offset:256
	s_or_b64 exec, exec, s[4:5]
	v_cmp_gt_u32_e32 vcc, s7, v53
	s_and_saveexec_b64 s[4:5], vcc
	s_cbranch_execnz .LBB1002_204
.LBB1002_225:
	s_or_b64 exec, exec, s[4:5]
	v_cmp_gt_u32_e32 vcc, s7, v51
	s_and_saveexec_b64 s[4:5], vcc
	s_cbranch_execz .LBB1002_205
.LBB1002_226:
	s_waitcnt vmcnt(0)
	ds_write_b16 v56, v103 offset:256
	s_or_b64 exec, exec, s[4:5]
	v_cmp_gt_u32_e32 vcc, s7, v48
	s_and_saveexec_b64 s[4:5], vcc
	s_cbranch_execnz .LBB1002_206
.LBB1002_227:
	s_or_b64 exec, exec, s[4:5]
	v_cmp_gt_u32_e32 vcc, s7, v46
	s_and_saveexec_b64 s[4:5], vcc
	s_cbranch_execz .LBB1002_207
.LBB1002_228:
	s_waitcnt vmcnt(0)
	ds_write_b16 v52, v105 offset:256
	s_or_b64 exec, exec, s[4:5]
	v_cmp_gt_u32_e32 vcc, s7, v45
	s_and_saveexec_b64 s[4:5], vcc
	s_cbranch_execnz .LBB1002_208
.LBB1002_229:
	s_or_b64 exec, exec, s[4:5]
	v_cmp_gt_u32_e32 vcc, s7, v44
	s_and_saveexec_b64 s[4:5], vcc
	s_cbranch_execz .LBB1002_209
.LBB1002_230:
	s_waitcnt vmcnt(0)
	ds_write_b16 v49, v107 offset:256
	s_or_b64 exec, exec, s[4:5]
	v_cmp_gt_u32_e32 vcc, s7, v43
	s_and_saveexec_b64 s[4:5], vcc
	s_cbranch_execnz .LBB1002_210
.LBB1002_231:
	s_or_b64 exec, exec, s[4:5]
	v_cmp_gt_u32_e32 vcc, s7, v42
	s_and_saveexec_b64 s[4:5], vcc
	s_cbranch_execz .LBB1002_211
.LBB1002_232:
	s_waitcnt vmcnt(0)
	ds_write_b16 v24, v109 offset:256
	s_or_b64 exec, exec, s[4:5]
	v_cmp_gt_u32_e32 vcc, s7, v41
	s_and_saveexec_b64 s[4:5], vcc
	s_cbranch_execnz .LBB1002_212
.LBB1002_233:
	s_or_b64 exec, exec, s[4:5]
	v_cmp_gt_u32_e32 vcc, s7, v40
	s_and_saveexec_b64 s[4:5], vcc
	s_cbranch_execz .LBB1002_213
.LBB1002_234:
	s_waitcnt vmcnt(0)
	ds_write_b16 v22, v111 offset:256
	s_or_b64 exec, exec, s[4:5]
	v_cmp_gt_u32_e32 vcc, s7, v39
	s_and_saveexec_b64 s[4:5], vcc
	s_cbranch_execnz .LBB1002_214
.LBB1002_235:
	s_or_b64 exec, exec, s[4:5]
	v_cmp_gt_u32_e32 vcc, s7, v38
	s_and_saveexec_b64 s[4:5], vcc
	s_cbranch_execz .LBB1002_215
.LBB1002_236:
	s_waitcnt vmcnt(0)
	ds_write_b16 v20, v113 offset:256
	s_or_b64 exec, exec, s[4:5]
	v_cmp_gt_u32_e32 vcc, s7, v37
	s_and_saveexec_b64 s[4:5], vcc
	s_cbranch_execnz .LBB1002_216
.LBB1002_237:
	s_or_b64 exec, exec, s[4:5]
	v_cmp_gt_u32_e32 vcc, s7, v36
	s_and_saveexec_b64 s[4:5], vcc
	s_cbranch_execz .LBB1002_217
.LBB1002_238:
	s_waitcnt vmcnt(0)
	ds_write_b16 v17, v115 offset:256
	s_or_b64 exec, exec, s[4:5]
	v_cmp_gt_u32_e32 vcc, s7, v35
	s_and_saveexec_b64 s[4:5], vcc
	s_cbranch_execnz .LBB1002_218
.LBB1002_239:
	s_or_b64 exec, exec, s[4:5]
	v_cmp_gt_u32_e32 vcc, s7, v34
	s_and_saveexec_b64 s[4:5], vcc
	s_cbranch_execz .LBB1002_241
.LBB1002_240:
	s_waitcnt vmcnt(0)
	ds_write_b16 v14, v117 offset:256
.LBB1002_241:
	s_or_b64 exec, exec, s[4:5]
	s_waitcnt lgkmcnt(0)
	s_barrier
	s_and_saveexec_b64 s[4:5], s[48:49]
	s_cbranch_execz .LBB1002_263
; %bb.242:
	v_lshlrev_b32_e32 v4, 2, v11
	ds_read_b32 v4, v4
	s_waitcnt vmcnt(0)
	ds_read_u16 v6, v3 offset:256
	v_mov_b32_e32 v5, 0
	s_waitcnt lgkmcnt(1)
	v_add_u32_e32 v4, v4, v2
	v_lshl_add_u64 v[4:5], v[4:5], 1, s[98:99]
	s_waitcnt lgkmcnt(0)
	global_store_short v[4:5], v6, off
	s_or_b64 exec, exec, s[4:5]
	s_and_saveexec_b64 s[4:5], s[50:51]
	s_cbranch_execnz .LBB1002_264
.LBB1002_243:
	s_or_b64 exec, exec, s[4:5]
	s_and_saveexec_b64 s[4:5], s[52:53]
	s_cbranch_execz .LBB1002_265
.LBB1002_244:
	v_lshlrev_b32_e32 v2, 2, v26
	ds_read_b32 v2, v2
	s_waitcnt vmcnt(0)
	ds_read_u16 v6, v3 offset:2304
	v_mov_b32_e32 v5, 0
	s_waitcnt lgkmcnt(1)
	v_add_u32_e32 v4, v2, v12
	v_lshl_add_u64 v[4:5], v[4:5], 1, s[98:99]
	s_waitcnt lgkmcnt(0)
	global_store_short v[4:5], v6, off
	s_or_b64 exec, exec, s[4:5]
	s_and_saveexec_b64 s[4:5], s[54:55]
	s_cbranch_execnz .LBB1002_266
.LBB1002_245:
	s_or_b64 exec, exec, s[4:5]
	s_and_saveexec_b64 s[4:5], s[56:57]
	s_cbranch_execz .LBB1002_267
.LBB1002_246:
	v_lshlrev_b32_e32 v2, 2, v30
	ds_read_b32 v2, v2
	s_waitcnt vmcnt(0)
	ds_read_u16 v6, v3 offset:4352
	v_mov_b32_e32 v5, 0
	s_waitcnt lgkmcnt(1)
	v_add_u32_e32 v4, v2, v27
	v_lshl_add_u64 v[4:5], v[4:5], 1, s[98:99]
	s_waitcnt lgkmcnt(0)
	global_store_short v[4:5], v6, off
	s_or_b64 exec, exec, s[4:5]
	s_and_saveexec_b64 s[4:5], s[58:59]
	s_cbranch_execnz .LBB1002_268
.LBB1002_247:
	s_or_b64 exec, exec, s[4:5]
	s_and_saveexec_b64 s[4:5], s[60:61]
	s_cbranch_execz .LBB1002_269
.LBB1002_248:
	v_lshlrev_b32_e32 v2, 2, v64
	ds_read_b32 v2, v2
	s_waitcnt vmcnt(0)
	ds_read_u16 v6, v3 offset:6400
	v_mov_b32_e32 v5, 0
	s_waitcnt lgkmcnt(1)
	v_add_u32_e32 v4, v2, v31
	v_lshl_add_u64 v[4:5], v[4:5], 1, s[98:99]
	s_waitcnt lgkmcnt(0)
	global_store_short v[4:5], v6, off
	s_or_b64 exec, exec, s[4:5]
	s_and_saveexec_b64 s[4:5], s[62:63]
	s_cbranch_execnz .LBB1002_270
.LBB1002_249:
	s_or_b64 exec, exec, s[4:5]
	s_and_saveexec_b64 s[4:5], s[64:65]
	s_cbranch_execz .LBB1002_271
.LBB1002_250:
	v_lshlrev_b32_e32 v2, 2, v71
	ds_read_b32 v2, v2
	s_waitcnt vmcnt(0)
	ds_read_u16 v6, v3 offset:8448
	v_mov_b32_e32 v5, 0
	s_waitcnt lgkmcnt(1)
	v_add_u32_e32 v4, v2, v66
	v_lshl_add_u64 v[4:5], v[4:5], 1, s[98:99]
	s_waitcnt lgkmcnt(0)
	global_store_short v[4:5], v6, off
	s_or_b64 exec, exec, s[4:5]
	s_and_saveexec_b64 s[4:5], s[66:67]
	s_cbranch_execnz .LBB1002_272
.LBB1002_251:
	s_or_b64 exec, exec, s[4:5]
	s_and_saveexec_b64 s[4:5], s[68:69]
	s_cbranch_execz .LBB1002_273
.LBB1002_252:
	v_lshlrev_b32_e32 v2, 2, v77
	ds_read_b32 v2, v2
	s_waitcnt vmcnt(0)
	ds_read_u16 v6, v3 offset:10496
	v_mov_b32_e32 v5, 0
	s_waitcnt lgkmcnt(1)
	v_add_u32_e32 v4, v2, v73
	v_lshl_add_u64 v[4:5], v[4:5], 1, s[98:99]
	s_waitcnt lgkmcnt(0)
	global_store_short v[4:5], v6, off
	s_or_b64 exec, exec, s[4:5]
	s_and_saveexec_b64 s[4:5], s[70:71]
	s_cbranch_execnz .LBB1002_274
.LBB1002_253:
	s_or_b64 exec, exec, s[4:5]
	s_and_saveexec_b64 s[4:5], s[72:73]
	s_cbranch_execz .LBB1002_275
.LBB1002_254:
	v_lshlrev_b32_e32 v2, 2, v82
	ds_read_b32 v2, v2
	s_waitcnt vmcnt(0)
	ds_read_u16 v6, v3 offset:12544
	v_mov_b32_e32 v5, 0
	s_waitcnt lgkmcnt(1)
	v_add_u32_e32 v4, v2, v79
	v_lshl_add_u64 v[4:5], v[4:5], 1, s[98:99]
	s_waitcnt lgkmcnt(0)
	global_store_short v[4:5], v6, off
	s_or_b64 exec, exec, s[4:5]
	s_and_saveexec_b64 s[4:5], s[74:75]
	s_cbranch_execnz .LBB1002_276
.LBB1002_255:
	s_or_b64 exec, exec, s[4:5]
	s_and_saveexec_b64 s[4:5], s[76:77]
	s_cbranch_execz .LBB1002_277
.LBB1002_256:
	v_lshlrev_b32_e32 v2, 2, v86
	ds_read_b32 v2, v2
	s_waitcnt vmcnt(0)
	ds_read_u16 v6, v3 offset:14592
	v_mov_b32_e32 v5, 0
	s_waitcnt lgkmcnt(1)
	v_add_u32_e32 v4, v2, v83
	v_lshl_add_u64 v[4:5], v[4:5], 1, s[98:99]
	s_waitcnt lgkmcnt(0)
	global_store_short v[4:5], v6, off
	s_or_b64 exec, exec, s[4:5]
	s_and_saveexec_b64 s[4:5], s[78:79]
	s_cbranch_execnz .LBB1002_278
.LBB1002_257:
	s_or_b64 exec, exec, s[4:5]
	s_and_saveexec_b64 s[4:5], s[80:81]
	s_cbranch_execz .LBB1002_279
.LBB1002_258:
	v_lshlrev_b32_e32 v2, 2, v90
	ds_read_b32 v2, v2
	s_waitcnt vmcnt(0)
	ds_read_u16 v6, v3 offset:16640
	v_mov_b32_e32 v5, 0
	s_waitcnt lgkmcnt(1)
	v_add_u32_e32 v4, v2, v87
	v_lshl_add_u64 v[4:5], v[4:5], 1, s[98:99]
	s_waitcnt lgkmcnt(0)
	global_store_short v[4:5], v6, off
	s_or_b64 exec, exec, s[4:5]
	s_and_saveexec_b64 s[4:5], s[82:83]
	s_cbranch_execnz .LBB1002_280
.LBB1002_259:
	s_or_b64 exec, exec, s[4:5]
	s_and_saveexec_b64 s[4:5], s[84:85]
	s_cbranch_execz .LBB1002_281
.LBB1002_260:
	v_lshlrev_b32_e32 v2, 2, v94
	ds_read_b32 v2, v2
	s_waitcnt vmcnt(0)
	ds_read_u16 v6, v3 offset:18688
	v_mov_b32_e32 v5, 0
	s_waitcnt lgkmcnt(1)
	v_add_u32_e32 v4, v2, v91
	v_lshl_add_u64 v[4:5], v[4:5], 1, s[98:99]
	s_waitcnt lgkmcnt(0)
	global_store_short v[4:5], v6, off
	s_or_b64 exec, exec, s[4:5]
	s_and_saveexec_b64 s[4:5], s[86:87]
	s_cbranch_execnz .LBB1002_282
.LBB1002_261:
	s_or_b64 exec, exec, s[4:5]
	s_and_saveexec_b64 s[4:5], s[88:89]
	s_cbranch_execz .LBB1002_283
.LBB1002_262:
	v_lshlrev_b32_e32 v2, 2, v97
	ds_read_b32 v2, v2
	s_waitcnt vmcnt(0)
	ds_read_u16 v6, v3 offset:20736
	v_mov_b32_e32 v5, 0
	s_waitcnt lgkmcnt(1)
	v_add_u32_e32 v4, v2, v95
	v_lshl_add_u64 v[4:5], v[4:5], 1, s[98:99]
	s_waitcnt lgkmcnt(0)
	global_store_short v[4:5], v6, off
	s_or_b64 exec, exec, s[4:5]
	s_and_saveexec_b64 s[4:5], s[90:91]
	s_cbranch_execnz .LBB1002_284
	s_branch .LBB1002_285
.LBB1002_263:
	s_or_b64 exec, exec, s[4:5]
	s_and_saveexec_b64 s[4:5], s[50:51]
	s_cbranch_execz .LBB1002_243
.LBB1002_264:
	v_lshlrev_b32_e32 v2, 2, v8
	ds_read_b32 v2, v2
	s_waitcnt vmcnt(0)
	ds_read_u16 v6, v3 offset:1280
	v_mov_b32_e32 v5, 0
	s_waitcnt lgkmcnt(1)
	v_add_u32_e32 v4, v2, v10
	v_lshl_add_u64 v[4:5], v[4:5], 1, s[98:99]
	s_waitcnt lgkmcnt(0)
	global_store_short v[4:5], v6, off
	s_or_b64 exec, exec, s[4:5]
	s_and_saveexec_b64 s[4:5], s[52:53]
	s_cbranch_execnz .LBB1002_244
.LBB1002_265:
	s_or_b64 exec, exec, s[4:5]
	s_and_saveexec_b64 s[4:5], s[54:55]
	s_cbranch_execz .LBB1002_245
.LBB1002_266:
	v_lshlrev_b32_e32 v2, 2, v9
	ds_read_b32 v2, v2
	s_waitcnt vmcnt(0)
	ds_read_u16 v6, v3 offset:3328
	v_mov_b32_e32 v5, 0
	s_waitcnt lgkmcnt(1)
	v_add_u32_e32 v4, v2, v25
	v_lshl_add_u64 v[4:5], v[4:5], 1, s[98:99]
	s_waitcnt lgkmcnt(0)
	global_store_short v[4:5], v6, off
	s_or_b64 exec, exec, s[4:5]
	s_and_saveexec_b64 s[4:5], s[56:57]
	s_cbranch_execnz .LBB1002_246
.LBB1002_267:
	s_or_b64 exec, exec, s[4:5]
	s_and_saveexec_b64 s[4:5], s[58:59]
	s_cbranch_execz .LBB1002_247
.LBB1002_268:
	v_lshlrev_b32_e32 v2, 2, v13
	ds_read_b32 v2, v2
	s_waitcnt vmcnt(0)
	ds_read_u16 v6, v3 offset:5376
	v_mov_b32_e32 v5, 0
	s_waitcnt lgkmcnt(1)
	v_add_u32_e32 v4, v2, v29
	v_lshl_add_u64 v[4:5], v[4:5], 1, s[98:99]
	s_waitcnt lgkmcnt(0)
	global_store_short v[4:5], v6, off
	s_or_b64 exec, exec, s[4:5]
	s_and_saveexec_b64 s[4:5], s[60:61]
	s_cbranch_execnz .LBB1002_248
.LBB1002_269:
	s_or_b64 exec, exec, s[4:5]
	s_and_saveexec_b64 s[4:5], s[62:63]
	s_cbranch_execz .LBB1002_249
.LBB1002_270:
	v_lshlrev_b32_e32 v2, 2, v28
	ds_read_b32 v2, v2
	s_waitcnt vmcnt(0)
	ds_read_u16 v6, v3 offset:7424
	v_mov_b32_e32 v5, 0
	s_waitcnt lgkmcnt(1)
	v_add_u32_e32 v4, v2, v63
	v_lshl_add_u64 v[4:5], v[4:5], 1, s[98:99]
	s_waitcnt lgkmcnt(0)
	global_store_short v[4:5], v6, off
	s_or_b64 exec, exec, s[4:5]
	s_and_saveexec_b64 s[4:5], s[64:65]
	s_cbranch_execnz .LBB1002_250
.LBB1002_271:
	s_or_b64 exec, exec, s[4:5]
	s_and_saveexec_b64 s[4:5], s[66:67]
	s_cbranch_execz .LBB1002_251
.LBB1002_272:
	v_lshlrev_b32_e32 v2, 2, v32
	ds_read_b32 v2, v2
	s_waitcnt vmcnt(0)
	ds_read_u16 v6, v3 offset:9472
	v_mov_b32_e32 v5, 0
	s_waitcnt lgkmcnt(1)
	v_add_u32_e32 v4, v2, v69
	v_lshl_add_u64 v[4:5], v[4:5], 1, s[98:99]
	s_waitcnt lgkmcnt(0)
	global_store_short v[4:5], v6, off
	s_or_b64 exec, exec, s[4:5]
	s_and_saveexec_b64 s[4:5], s[68:69]
	s_cbranch_execnz .LBB1002_252
.LBB1002_273:
	s_or_b64 exec, exec, s[4:5]
	s_and_saveexec_b64 s[4:5], s[70:71]
	s_cbranch_execz .LBB1002_253
.LBB1002_274:
	v_lshlrev_b32_e32 v2, 2, v68
	ds_read_b32 v2, v2
	s_waitcnt vmcnt(0)
	ds_read_u16 v6, v3 offset:11520
	v_mov_b32_e32 v5, 0
	s_waitcnt lgkmcnt(1)
	v_add_u32_e32 v4, v2, v76
	v_lshl_add_u64 v[4:5], v[4:5], 1, s[98:99]
	s_waitcnt lgkmcnt(0)
	global_store_short v[4:5], v6, off
	s_or_b64 exec, exec, s[4:5]
	s_and_saveexec_b64 s[4:5], s[72:73]
	s_cbranch_execnz .LBB1002_254
.LBB1002_275:
	s_or_b64 exec, exec, s[4:5]
	s_and_saveexec_b64 s[4:5], s[74:75]
	s_cbranch_execz .LBB1002_255
.LBB1002_276:
	v_lshlrev_b32_e32 v2, 2, v74
	ds_read_b32 v2, v2
	s_waitcnt vmcnt(0)
	ds_read_u16 v6, v3 offset:13568
	v_mov_b32_e32 v5, 0
	s_waitcnt lgkmcnt(1)
	v_add_u32_e32 v4, v2, v81
	v_lshl_add_u64 v[4:5], v[4:5], 1, s[98:99]
	s_waitcnt lgkmcnt(0)
	global_store_short v[4:5], v6, off
	s_or_b64 exec, exec, s[4:5]
	s_and_saveexec_b64 s[4:5], s[76:77]
	s_cbranch_execnz .LBB1002_256
.LBB1002_277:
	s_or_b64 exec, exec, s[4:5]
	s_and_saveexec_b64 s[4:5], s[78:79]
	s_cbranch_execz .LBB1002_257
.LBB1002_278:
	v_lshlrev_b32_e32 v2, 2, v80
	ds_read_b32 v2, v2
	s_waitcnt vmcnt(0)
	ds_read_u16 v6, v3 offset:15616
	v_mov_b32_e32 v5, 0
	s_waitcnt lgkmcnt(1)
	v_add_u32_e32 v4, v2, v85
	v_lshl_add_u64 v[4:5], v[4:5], 1, s[98:99]
	s_waitcnt lgkmcnt(0)
	global_store_short v[4:5], v6, off
	s_or_b64 exec, exec, s[4:5]
	s_and_saveexec_b64 s[4:5], s[80:81]
	s_cbranch_execnz .LBB1002_258
.LBB1002_279:
	s_or_b64 exec, exec, s[4:5]
	s_and_saveexec_b64 s[4:5], s[82:83]
	s_cbranch_execz .LBB1002_259
.LBB1002_280:
	v_lshlrev_b32_e32 v2, 2, v84
	ds_read_b32 v2, v2
	s_waitcnt vmcnt(0)
	ds_read_u16 v6, v3 offset:17664
	v_mov_b32_e32 v5, 0
	s_waitcnt lgkmcnt(1)
	v_add_u32_e32 v4, v2, v89
	v_lshl_add_u64 v[4:5], v[4:5], 1, s[98:99]
	s_waitcnt lgkmcnt(0)
	global_store_short v[4:5], v6, off
	s_or_b64 exec, exec, s[4:5]
	s_and_saveexec_b64 s[4:5], s[84:85]
	s_cbranch_execnz .LBB1002_260
.LBB1002_281:
	s_or_b64 exec, exec, s[4:5]
	s_and_saveexec_b64 s[4:5], s[86:87]
	s_cbranch_execz .LBB1002_261
.LBB1002_282:
	v_lshlrev_b32_e32 v2, 2, v88
	ds_read_b32 v2, v2
	s_waitcnt vmcnt(0)
	ds_read_u16 v6, v3 offset:19712
	v_mov_b32_e32 v5, 0
	s_waitcnt lgkmcnt(1)
	v_add_u32_e32 v4, v2, v93
	v_lshl_add_u64 v[4:5], v[4:5], 1, s[98:99]
	s_waitcnt lgkmcnt(0)
	global_store_short v[4:5], v6, off
	s_or_b64 exec, exec, s[4:5]
	s_and_saveexec_b64 s[4:5], s[88:89]
	s_cbranch_execnz .LBB1002_262
.LBB1002_283:
	s_or_b64 exec, exec, s[4:5]
	s_and_saveexec_b64 s[4:5], s[90:91]
	s_cbranch_execz .LBB1002_285
.LBB1002_284:
	v_lshlrev_b32_e32 v2, 2, v92
	ds_read_b32 v2, v2
	ds_read_u16 v4, v3 offset:21760
	v_mov_b32_e32 v3, 0
	s_waitcnt lgkmcnt(1)
	v_add_u32_e32 v2, v2, v96
	v_lshl_add_u64 v[2:3], v[2:3], 1, s[98:99]
	s_waitcnt lgkmcnt(0)
	global_store_short v[2:3], v4, off
.LBB1002_285:
	s_or_b64 exec, exec, s[4:5]
	s_add_i32 s3, s3, -1
	s_cmp_eq_u32 s2, s3
	s_cselect_b64 s[4:5], -1, 0
	s_xor_b64 s[10:11], s[46:47], -1
	s_and_b64 s[10:11], s[10:11], s[4:5]
	s_and_saveexec_b64 s[4:5], s[10:11]
	s_cbranch_execz .LBB1002_287
; %bb.286:
	ds_read_b32 v2, v18
	s_load_dwordx4 s[16:19], s[0:1], 0x28
	s_waitcnt lgkmcnt(0)
	v_add3_u32 v2, v15, v33, v2
	global_store_dword v18, v2, s[18:19]
.LBB1002_287:
	s_or_b64 exec, exec, s[4:5]
	s_mov_b64 s[4:5], 0
.LBB1002_288:
	s_and_b64 vcc, exec, s[4:5]
	s_cbranch_vccz .LBB1002_379
; %bb.289:
	s_mov_b32 s7, 0
	s_lshl_b64 s[10:11], s[6:7], 1
	v_mbcnt_hi_u32_b32 v29, -1, v1
	s_add_u32 s4, s92, s10
	v_and_b32_e32 v2, 63, v29
	v_and_b32_e32 v30, 0x1c0, v0
	v_mov_b32_e32 v1, 0
	s_addc_u32 s5, s93, s11
	s_waitcnt vmcnt(0)
	v_mul_u32_u24_e32 v6, 22, v30
	v_lshlrev_b32_e32 v4, 1, v2
	v_mov_b32_e32 v5, v1
	v_lshl_add_u64 v[2:3], s[4:5], 0, v[4:5]
	v_lshlrev_b32_e32 v6, 1, v6
	v_mov_b32_e32 v7, v1
	v_lshl_add_u64 v[8:9], v[2:3], 0, v[6:7]
	global_load_ushort v3, v[8:9], off
	s_load_dword s4, s[0:1], 0x64
	s_load_dword s3, s[0:1], 0x58
	s_add_u32 s0, s0, 0x58
	s_addc_u32 s1, s1, 0
	v_and_b32_e32 v2, 0x3ff, v0
	s_waitcnt lgkmcnt(0)
	s_lshr_b32 s4, s4, 16
	s_cmp_lt_u32 s2, s3
	s_cselect_b32 s5, 12, 18
	s_add_u32 s0, s0, s5
	s_addc_u32 s1, s1, 0
	global_load_ushort v38, v1, s[0:1]
	global_load_ushort v28, v[8:9], off offset:128
	global_load_ushort v27, v[8:9], off offset:256
	;; [unrolled: 1-line block ×14, first 2 shown]
                                        ; kill: killed $sgpr0 killed $sgpr1
	global_load_ushort v15, v[8:9], off offset:1920
	global_load_ushort v13, v[8:9], off offset:2048
	;; [unrolled: 1-line block ×7, first 2 shown]
	v_bfe_u32 v9, v0, 10, 10
	v_bfe_u32 v33, v0, 20, 10
	v_lshlrev_b32_e32 v31, 3, v2
	v_mov_b32_e32 v0, v1
	ds_write_b64 v31, v[0:1] offset:32
	s_lshl_b32 s0, -1, s9
	v_mov_b32_e32 v8, v1
	v_mad_u32_u24 v39, v33, s4, v9
	s_not_b32 s9, s0
	v_mov_b32_e32 v32, v1
	v_mov_b32_e32 v34, v1
	s_waitcnt lgkmcnt(0)
	s_barrier
	s_waitcnt vmcnt(22)
	; wave barrier
	v_lshrrev_b32_sdwa v0, s8, v3 dst_sel:DWORD dst_unused:UNUSED_PAD src0_sel:DWORD src1_sel:WORD_0
	v_bitop3_b32 v40, v0, s0, v0 bitop3:0x30
	v_and_b32_e32 v0, 1, v40
	v_lshlrev_b32_e32 v9, 30, v40
	v_lshl_add_u64 v[36:37], v[0:1], 0, -1
	v_cmp_ne_u32_e32 vcc, 0, v0
	v_cmp_gt_i64_e64 s[0:1], 0, v[8:9]
	v_not_b32_e32 v0, v9
	s_waitcnt vmcnt(21)
	v_mad_u64_u32 v[8:9], s[14:15], v39, v38, v[2:3]
	v_lshlrev_b32_e32 v33, 29, v40
	v_lshlrev_b32_e32 v35, 28, v40
	v_xor_b32_e32 v9, vcc_hi, v37
	v_ashrrev_i32_e32 v0, 31, v0
	v_cmp_gt_i64_e64 s[4:5], 0, v[32:33]
	v_not_b32_e32 v32, v33
	v_cmp_gt_i64_e64 s[6:7], 0, v[34:35]
	v_xor_b32_e32 v33, vcc_lo, v36
	v_lshrrev_b32_e32 v8, 4, v8
	v_and_b32_e32 v9, exec_hi, v9
	v_xor_b32_e32 v34, s1, v0
	v_ashrrev_i32_e32 v32, 31, v32
	v_and_b32_e32 v33, exec_lo, v33
	v_xor_b32_e32 v0, s0, v0
	v_and_b32_e32 v37, 0xffffffc, v8
	v_and_b32_e32 v8, v9, v34
	v_not_b32_e32 v9, v35
	v_xor_b32_e32 v36, s5, v32
	v_xor_b32_e32 v32, s4, v32
	v_and_b32_e32 v0, v33, v0
	v_ashrrev_i32_e32 v9, 31, v9
	v_and_b32_e32 v8, v8, v36
	v_and_b32_e32 v0, v0, v32
	v_xor_b32_e32 v32, s7, v9
	v_xor_b32_e32 v9, s6, v9
	v_and_b32_e32 v32, v8, v32
	v_and_b32_e32 v0, v0, v9
	v_lshlrev_b32_e32 v9, 27, v40
	v_mov_b32_e32 v8, v1
	v_cmp_gt_i64_e32 vcc, 0, v[8:9]
	v_not_b32_e32 v8, v9
	v_ashrrev_i32_e32 v8, 31, v8
	v_xor_b32_e32 v9, vcc_hi, v8
	v_xor_b32_e32 v8, vcc_lo, v8
	v_and_b32_e32 v32, v32, v9
	v_and_b32_e32 v0, v0, v8
	v_lshlrev_b32_e32 v9, 26, v40
	v_mov_b32_e32 v8, v1
	v_cmp_gt_i64_e32 vcc, 0, v[8:9]
	v_not_b32_e32 v8, v9
	v_ashrrev_i32_e32 v8, 31, v8
	v_xor_b32_e32 v9, vcc_hi, v8
	v_xor_b32_e32 v8, vcc_lo, v8
	v_and_b32_e32 v8, v0, v8
	v_and_b32_e32 v9, v32, v9
	v_mbcnt_lo_u32_b32 v0, v8, 0
	v_mbcnt_hi_u32_b32 v32, v9, v0
	v_mul_u32_u24_e32 v41, 36, v40
	v_cmp_eq_u32_e32 vcc, 0, v32
	v_cmp_ne_u64_e64 s[0:1], 0, v[8:9]
	s_and_b64 s[4:5], s[0:1], vcc
	v_add_u32_e32 v34, v37, v41
	s_and_saveexec_b64 s[0:1], s[4:5]
; %bb.290:
	v_bcnt_u32_b32 v0, v8, 0
	v_bcnt_u32_b32 v0, v9, v0
	ds_write_b32 v34, v0 offset:32
; %bb.291:
	s_or_b64 exec, exec, s[0:1]
	s_waitcnt vmcnt(20)
	v_lshrrev_b32_sdwa v0, s8, v28 dst_sel:DWORD dst_unused:UNUSED_PAD src0_sel:DWORD src1_sel:WORD_0
	v_and_b32_e32 v35, s9, v0
	v_mad_u32_u24 v0, v35, 36, v37
	; wave barrier
	ds_read_b32 v33, v0 offset:32
	v_and_b32_e32 v0, 1, v35
	v_lshl_add_u64 v[8:9], v[0:1], 0, -1
	v_cmp_ne_u32_e32 vcc, 0, v0
	v_mul_u32_u24_e32 v36, 36, v35
	s_nop 0
	v_xor_b32_e32 v8, vcc_lo, v8
	v_xor_b32_e32 v0, vcc_hi, v9
	v_and_b32_e32 v38, exec_lo, v8
	v_lshlrev_b32_e32 v9, 30, v35
	v_mov_b32_e32 v8, v1
	v_cmp_gt_i64_e32 vcc, 0, v[8:9]
	v_not_b32_e32 v8, v9
	v_ashrrev_i32_e32 v8, 31, v8
	v_and_b32_e32 v0, exec_hi, v0
	v_xor_b32_e32 v9, vcc_hi, v8
	v_xor_b32_e32 v8, vcc_lo, v8
	v_and_b32_e32 v0, v0, v9
	v_and_b32_e32 v38, v38, v8
	v_lshlrev_b32_e32 v9, 29, v35
	v_mov_b32_e32 v8, v1
	v_cmp_gt_i64_e32 vcc, 0, v[8:9]
	v_not_b32_e32 v8, v9
	v_ashrrev_i32_e32 v8, 31, v8
	v_xor_b32_e32 v9, vcc_hi, v8
	v_xor_b32_e32 v8, vcc_lo, v8
	v_and_b32_e32 v0, v0, v9
	v_and_b32_e32 v38, v38, v8
	v_lshlrev_b32_e32 v9, 28, v35
	v_mov_b32_e32 v8, v1
	v_cmp_gt_i64_e32 vcc, 0, v[8:9]
	v_not_b32_e32 v8, v9
	v_ashrrev_i32_e32 v8, 31, v8
	;; [unrolled: 9-line block ×3, first 2 shown]
	v_xor_b32_e32 v9, vcc_hi, v8
	v_xor_b32_e32 v8, vcc_lo, v8
	v_and_b32_e32 v0, v0, v9
	v_lshlrev_b32_e32 v9, 26, v35
	v_and_b32_e32 v38, v38, v8
	v_mov_b32_e32 v8, v1
	v_not_b32_e32 v1, v9
	v_cmp_gt_i64_e32 vcc, 0, v[8:9]
	v_ashrrev_i32_e32 v1, 31, v1
	; wave barrier
	s_nop 0
	v_xor_b32_e32 v8, vcc_hi, v1
	v_xor_b32_e32 v9, vcc_lo, v1
	v_and_b32_e32 v1, v0, v8
	v_and_b32_e32 v0, v38, v9
	v_mbcnt_lo_u32_b32 v8, v0, 0
	v_mbcnt_hi_u32_b32 v35, v1, v8
	v_cmp_eq_u32_e32 vcc, 0, v35
	v_cmp_ne_u64_e64 s[0:1], 0, v[0:1]
	s_and_b64 s[4:5], s[0:1], vcc
	v_add_u32_e32 v38, v37, v36
	s_and_saveexec_b64 s[0:1], s[4:5]
	s_cbranch_execz .LBB1002_293
; %bb.292:
	v_bcnt_u32_b32 v0, v0, 0
	v_bcnt_u32_b32 v0, v1, v0
	s_waitcnt lgkmcnt(0)
	v_add_u32_e32 v0, v33, v0
	ds_write_b32 v38, v0 offset:32
.LBB1002_293:
	s_or_b64 exec, exec, s[0:1]
	s_waitcnt vmcnt(19)
	v_lshrrev_b32_sdwa v0, s8, v27 dst_sel:DWORD dst_unused:UNUSED_PAD src0_sel:DWORD src1_sel:WORD_0
	v_and_b32_e32 v39, s9, v0
	v_mad_u32_u24 v0, v39, 36, v37
	; wave barrier
	ds_read_b32 v36, v0 offset:32
	v_and_b32_e32 v0, 1, v39
	v_mov_b32_e32 v1, 0
	v_lshl_add_u64 v[8:9], v[0:1], 0, -1
	v_cmp_ne_u32_e32 vcc, 0, v0
	v_mul_u32_u24_e32 v40, 36, v39
	s_nop 0
	v_xor_b32_e32 v8, vcc_lo, v8
	v_xor_b32_e32 v0, vcc_hi, v9
	v_and_b32_e32 v41, exec_lo, v8
	v_lshlrev_b32_e32 v9, 30, v39
	v_mov_b32_e32 v8, v1
	v_cmp_gt_i64_e32 vcc, 0, v[8:9]
	v_not_b32_e32 v8, v9
	v_ashrrev_i32_e32 v8, 31, v8
	v_and_b32_e32 v0, exec_hi, v0
	v_xor_b32_e32 v9, vcc_hi, v8
	v_xor_b32_e32 v8, vcc_lo, v8
	v_and_b32_e32 v0, v0, v9
	v_and_b32_e32 v41, v41, v8
	v_lshlrev_b32_e32 v9, 29, v39
	v_mov_b32_e32 v8, v1
	v_cmp_gt_i64_e32 vcc, 0, v[8:9]
	v_not_b32_e32 v8, v9
	v_ashrrev_i32_e32 v8, 31, v8
	v_xor_b32_e32 v9, vcc_hi, v8
	v_xor_b32_e32 v8, vcc_lo, v8
	v_and_b32_e32 v0, v0, v9
	v_and_b32_e32 v41, v41, v8
	v_lshlrev_b32_e32 v9, 28, v39
	v_mov_b32_e32 v8, v1
	v_cmp_gt_i64_e32 vcc, 0, v[8:9]
	v_not_b32_e32 v8, v9
	v_ashrrev_i32_e32 v8, 31, v8
	;; [unrolled: 9-line block ×4, first 2 shown]
	v_xor_b32_e32 v9, vcc_hi, v8
	v_xor_b32_e32 v8, vcc_lo, v8
	v_and_b32_e32 v8, v41, v8
	v_and_b32_e32 v9, v0, v9
	v_mbcnt_lo_u32_b32 v0, v8, 0
	v_mbcnt_hi_u32_b32 v39, v9, v0
	v_cmp_eq_u32_e32 vcc, 0, v39
	v_cmp_ne_u64_e64 s[0:1], 0, v[8:9]
	s_and_b64 s[4:5], s[0:1], vcc
	v_add_u32_e32 v41, v37, v40
	; wave barrier
	s_and_saveexec_b64 s[0:1], s[4:5]
	s_cbranch_execz .LBB1002_295
; %bb.294:
	v_bcnt_u32_b32 v0, v8, 0
	v_bcnt_u32_b32 v0, v9, v0
	s_waitcnt lgkmcnt(0)
	v_add_u32_e32 v0, v36, v0
	ds_write_b32 v41, v0 offset:32
.LBB1002_295:
	s_or_b64 exec, exec, s[0:1]
	s_waitcnt vmcnt(18)
	v_lshrrev_b32_sdwa v0, s8, v26 dst_sel:DWORD dst_unused:UNUSED_PAD src0_sel:DWORD src1_sel:WORD_0
	v_and_b32_e32 v42, s9, v0
	v_mad_u32_u24 v0, v42, 36, v37
	; wave barrier
	ds_read_b32 v40, v0 offset:32
	v_and_b32_e32 v0, 1, v42
	v_lshl_add_u64 v[8:9], v[0:1], 0, -1
	v_cmp_ne_u32_e32 vcc, 0, v0
	v_mul_u32_u24_e32 v43, 36, v42
	s_nop 0
	v_xor_b32_e32 v8, vcc_lo, v8
	v_xor_b32_e32 v0, vcc_hi, v9
	v_and_b32_e32 v44, exec_lo, v8
	v_lshlrev_b32_e32 v9, 30, v42
	v_mov_b32_e32 v8, v1
	v_cmp_gt_i64_e32 vcc, 0, v[8:9]
	v_not_b32_e32 v8, v9
	v_ashrrev_i32_e32 v8, 31, v8
	v_and_b32_e32 v0, exec_hi, v0
	v_xor_b32_e32 v9, vcc_hi, v8
	v_xor_b32_e32 v8, vcc_lo, v8
	v_and_b32_e32 v0, v0, v9
	v_and_b32_e32 v44, v44, v8
	v_lshlrev_b32_e32 v9, 29, v42
	v_mov_b32_e32 v8, v1
	v_cmp_gt_i64_e32 vcc, 0, v[8:9]
	v_not_b32_e32 v8, v9
	v_ashrrev_i32_e32 v8, 31, v8
	v_xor_b32_e32 v9, vcc_hi, v8
	v_xor_b32_e32 v8, vcc_lo, v8
	v_and_b32_e32 v0, v0, v9
	v_and_b32_e32 v44, v44, v8
	v_lshlrev_b32_e32 v9, 28, v42
	v_mov_b32_e32 v8, v1
	v_cmp_gt_i64_e32 vcc, 0, v[8:9]
	v_not_b32_e32 v8, v9
	v_ashrrev_i32_e32 v8, 31, v8
	;; [unrolled: 9-line block ×3, first 2 shown]
	v_xor_b32_e32 v9, vcc_hi, v8
	v_xor_b32_e32 v8, vcc_lo, v8
	v_and_b32_e32 v0, v0, v9
	v_lshlrev_b32_e32 v9, 26, v42
	v_and_b32_e32 v44, v44, v8
	v_mov_b32_e32 v8, v1
	v_not_b32_e32 v1, v9
	v_cmp_gt_i64_e32 vcc, 0, v[8:9]
	v_ashrrev_i32_e32 v1, 31, v1
	; wave barrier
	s_nop 0
	v_xor_b32_e32 v8, vcc_hi, v1
	v_xor_b32_e32 v9, vcc_lo, v1
	v_and_b32_e32 v1, v0, v8
	v_and_b32_e32 v0, v44, v9
	v_mbcnt_lo_u32_b32 v8, v0, 0
	v_mbcnt_hi_u32_b32 v42, v1, v8
	v_cmp_eq_u32_e32 vcc, 0, v42
	v_cmp_ne_u64_e64 s[0:1], 0, v[0:1]
	s_and_b64 s[4:5], s[0:1], vcc
	v_add_u32_e32 v44, v37, v43
	s_and_saveexec_b64 s[0:1], s[4:5]
	s_cbranch_execz .LBB1002_297
; %bb.296:
	v_bcnt_u32_b32 v0, v0, 0
	v_bcnt_u32_b32 v0, v1, v0
	s_waitcnt lgkmcnt(0)
	v_add_u32_e32 v0, v40, v0
	ds_write_b32 v44, v0 offset:32
.LBB1002_297:
	s_or_b64 exec, exec, s[0:1]
	s_waitcnt vmcnt(17)
	v_lshrrev_b32_sdwa v0, s8, v25 dst_sel:DWORD dst_unused:UNUSED_PAD src0_sel:DWORD src1_sel:WORD_0
	v_and_b32_e32 v45, s9, v0
	v_mad_u32_u24 v0, v45, 36, v37
	; wave barrier
	ds_read_b32 v43, v0 offset:32
	v_and_b32_e32 v0, 1, v45
	v_mov_b32_e32 v1, 0
	v_lshl_add_u64 v[8:9], v[0:1], 0, -1
	v_cmp_ne_u32_e32 vcc, 0, v0
	v_mul_u32_u24_e32 v46, 36, v45
	s_nop 0
	v_xor_b32_e32 v8, vcc_lo, v8
	v_xor_b32_e32 v0, vcc_hi, v9
	v_and_b32_e32 v47, exec_lo, v8
	v_lshlrev_b32_e32 v9, 30, v45
	v_mov_b32_e32 v8, v1
	v_cmp_gt_i64_e32 vcc, 0, v[8:9]
	v_not_b32_e32 v8, v9
	v_ashrrev_i32_e32 v8, 31, v8
	v_and_b32_e32 v0, exec_hi, v0
	v_xor_b32_e32 v9, vcc_hi, v8
	v_xor_b32_e32 v8, vcc_lo, v8
	v_and_b32_e32 v0, v0, v9
	v_and_b32_e32 v47, v47, v8
	v_lshlrev_b32_e32 v9, 29, v45
	v_mov_b32_e32 v8, v1
	v_cmp_gt_i64_e32 vcc, 0, v[8:9]
	v_not_b32_e32 v8, v9
	v_ashrrev_i32_e32 v8, 31, v8
	v_xor_b32_e32 v9, vcc_hi, v8
	v_xor_b32_e32 v8, vcc_lo, v8
	v_and_b32_e32 v0, v0, v9
	v_and_b32_e32 v47, v47, v8
	v_lshlrev_b32_e32 v9, 28, v45
	v_mov_b32_e32 v8, v1
	v_cmp_gt_i64_e32 vcc, 0, v[8:9]
	v_not_b32_e32 v8, v9
	v_ashrrev_i32_e32 v8, 31, v8
	;; [unrolled: 9-line block ×4, first 2 shown]
	v_xor_b32_e32 v9, vcc_hi, v8
	v_xor_b32_e32 v8, vcc_lo, v8
	v_and_b32_e32 v8, v47, v8
	v_and_b32_e32 v9, v0, v9
	v_mbcnt_lo_u32_b32 v0, v8, 0
	v_mbcnt_hi_u32_b32 v45, v9, v0
	v_cmp_eq_u32_e32 vcc, 0, v45
	v_cmp_ne_u64_e64 s[0:1], 0, v[8:9]
	s_and_b64 s[4:5], s[0:1], vcc
	v_add_u32_e32 v47, v37, v46
	; wave barrier
	s_and_saveexec_b64 s[0:1], s[4:5]
	s_cbranch_execz .LBB1002_299
; %bb.298:
	v_bcnt_u32_b32 v0, v8, 0
	v_bcnt_u32_b32 v0, v9, v0
	s_waitcnt lgkmcnt(0)
	v_add_u32_e32 v0, v43, v0
	ds_write_b32 v47, v0 offset:32
.LBB1002_299:
	s_or_b64 exec, exec, s[0:1]
	s_waitcnt vmcnt(16)
	v_lshrrev_b32_sdwa v0, s8, v24 dst_sel:DWORD dst_unused:UNUSED_PAD src0_sel:DWORD src1_sel:WORD_0
	v_and_b32_e32 v48, s9, v0
	v_mad_u32_u24 v0, v48, 36, v37
	; wave barrier
	ds_read_b32 v46, v0 offset:32
	v_and_b32_e32 v0, 1, v48
	v_lshl_add_u64 v[8:9], v[0:1], 0, -1
	v_cmp_ne_u32_e32 vcc, 0, v0
	v_mul_u32_u24_e32 v49, 36, v48
	s_nop 0
	v_xor_b32_e32 v8, vcc_lo, v8
	v_xor_b32_e32 v0, vcc_hi, v9
	v_and_b32_e32 v50, exec_lo, v8
	v_lshlrev_b32_e32 v9, 30, v48
	v_mov_b32_e32 v8, v1
	v_cmp_gt_i64_e32 vcc, 0, v[8:9]
	v_not_b32_e32 v8, v9
	v_ashrrev_i32_e32 v8, 31, v8
	v_and_b32_e32 v0, exec_hi, v0
	v_xor_b32_e32 v9, vcc_hi, v8
	v_xor_b32_e32 v8, vcc_lo, v8
	v_and_b32_e32 v0, v0, v9
	v_and_b32_e32 v50, v50, v8
	v_lshlrev_b32_e32 v9, 29, v48
	v_mov_b32_e32 v8, v1
	v_cmp_gt_i64_e32 vcc, 0, v[8:9]
	v_not_b32_e32 v8, v9
	v_ashrrev_i32_e32 v8, 31, v8
	v_xor_b32_e32 v9, vcc_hi, v8
	v_xor_b32_e32 v8, vcc_lo, v8
	v_and_b32_e32 v0, v0, v9
	v_and_b32_e32 v50, v50, v8
	v_lshlrev_b32_e32 v9, 28, v48
	v_mov_b32_e32 v8, v1
	v_cmp_gt_i64_e32 vcc, 0, v[8:9]
	v_not_b32_e32 v8, v9
	v_ashrrev_i32_e32 v8, 31, v8
	;; [unrolled: 9-line block ×3, first 2 shown]
	v_xor_b32_e32 v9, vcc_hi, v8
	v_xor_b32_e32 v8, vcc_lo, v8
	v_and_b32_e32 v0, v0, v9
	v_lshlrev_b32_e32 v9, 26, v48
	v_and_b32_e32 v50, v50, v8
	v_mov_b32_e32 v8, v1
	v_not_b32_e32 v1, v9
	v_cmp_gt_i64_e32 vcc, 0, v[8:9]
	v_ashrrev_i32_e32 v1, 31, v1
	; wave barrier
	s_nop 0
	v_xor_b32_e32 v8, vcc_hi, v1
	v_xor_b32_e32 v9, vcc_lo, v1
	v_and_b32_e32 v1, v0, v8
	v_and_b32_e32 v0, v50, v9
	v_mbcnt_lo_u32_b32 v8, v0, 0
	v_mbcnt_hi_u32_b32 v48, v1, v8
	v_cmp_eq_u32_e32 vcc, 0, v48
	v_cmp_ne_u64_e64 s[0:1], 0, v[0:1]
	s_and_b64 s[4:5], s[0:1], vcc
	v_add_u32_e32 v50, v37, v49
	s_and_saveexec_b64 s[0:1], s[4:5]
	s_cbranch_execz .LBB1002_301
; %bb.300:
	v_bcnt_u32_b32 v0, v0, 0
	v_bcnt_u32_b32 v0, v1, v0
	s_waitcnt lgkmcnt(0)
	v_add_u32_e32 v0, v46, v0
	ds_write_b32 v50, v0 offset:32
.LBB1002_301:
	s_or_b64 exec, exec, s[0:1]
	s_waitcnt vmcnt(15)
	v_lshrrev_b32_sdwa v0, s8, v23 dst_sel:DWORD dst_unused:UNUSED_PAD src0_sel:DWORD src1_sel:WORD_0
	v_and_b32_e32 v51, s9, v0
	v_mad_u32_u24 v0, v51, 36, v37
	; wave barrier
	ds_read_b32 v49, v0 offset:32
	v_and_b32_e32 v0, 1, v51
	v_mov_b32_e32 v1, 0
	v_lshl_add_u64 v[8:9], v[0:1], 0, -1
	v_cmp_ne_u32_e32 vcc, 0, v0
	v_mul_u32_u24_e32 v52, 36, v51
	s_nop 0
	v_xor_b32_e32 v8, vcc_lo, v8
	v_xor_b32_e32 v0, vcc_hi, v9
	v_and_b32_e32 v53, exec_lo, v8
	v_lshlrev_b32_e32 v9, 30, v51
	v_mov_b32_e32 v8, v1
	v_cmp_gt_i64_e32 vcc, 0, v[8:9]
	v_not_b32_e32 v8, v9
	v_ashrrev_i32_e32 v8, 31, v8
	v_and_b32_e32 v0, exec_hi, v0
	v_xor_b32_e32 v9, vcc_hi, v8
	v_xor_b32_e32 v8, vcc_lo, v8
	v_and_b32_e32 v0, v0, v9
	v_and_b32_e32 v53, v53, v8
	v_lshlrev_b32_e32 v9, 29, v51
	v_mov_b32_e32 v8, v1
	v_cmp_gt_i64_e32 vcc, 0, v[8:9]
	v_not_b32_e32 v8, v9
	v_ashrrev_i32_e32 v8, 31, v8
	v_xor_b32_e32 v9, vcc_hi, v8
	v_xor_b32_e32 v8, vcc_lo, v8
	v_and_b32_e32 v0, v0, v9
	v_and_b32_e32 v53, v53, v8
	v_lshlrev_b32_e32 v9, 28, v51
	v_mov_b32_e32 v8, v1
	v_cmp_gt_i64_e32 vcc, 0, v[8:9]
	v_not_b32_e32 v8, v9
	v_ashrrev_i32_e32 v8, 31, v8
	;; [unrolled: 9-line block ×4, first 2 shown]
	v_xor_b32_e32 v9, vcc_hi, v8
	v_xor_b32_e32 v8, vcc_lo, v8
	v_and_b32_e32 v8, v53, v8
	v_and_b32_e32 v9, v0, v9
	v_mbcnt_lo_u32_b32 v0, v8, 0
	v_mbcnt_hi_u32_b32 v51, v9, v0
	v_cmp_eq_u32_e32 vcc, 0, v51
	v_cmp_ne_u64_e64 s[0:1], 0, v[8:9]
	s_and_b64 s[4:5], s[0:1], vcc
	v_add_u32_e32 v53, v37, v52
	; wave barrier
	s_and_saveexec_b64 s[0:1], s[4:5]
	s_cbranch_execz .LBB1002_303
; %bb.302:
	v_bcnt_u32_b32 v0, v8, 0
	v_bcnt_u32_b32 v0, v9, v0
	s_waitcnt lgkmcnt(0)
	v_add_u32_e32 v0, v49, v0
	ds_write_b32 v53, v0 offset:32
.LBB1002_303:
	s_or_b64 exec, exec, s[0:1]
	s_waitcnt vmcnt(14)
	v_lshrrev_b32_sdwa v0, s8, v22 dst_sel:DWORD dst_unused:UNUSED_PAD src0_sel:DWORD src1_sel:WORD_0
	v_and_b32_e32 v54, s9, v0
	v_mad_u32_u24 v0, v54, 36, v37
	; wave barrier
	ds_read_b32 v52, v0 offset:32
	v_and_b32_e32 v0, 1, v54
	v_lshl_add_u64 v[8:9], v[0:1], 0, -1
	v_cmp_ne_u32_e32 vcc, 0, v0
	v_mul_u32_u24_e32 v55, 36, v54
	s_nop 0
	v_xor_b32_e32 v8, vcc_lo, v8
	v_xor_b32_e32 v0, vcc_hi, v9
	v_and_b32_e32 v56, exec_lo, v8
	v_lshlrev_b32_e32 v9, 30, v54
	v_mov_b32_e32 v8, v1
	v_cmp_gt_i64_e32 vcc, 0, v[8:9]
	v_not_b32_e32 v8, v9
	v_ashrrev_i32_e32 v8, 31, v8
	v_and_b32_e32 v0, exec_hi, v0
	v_xor_b32_e32 v9, vcc_hi, v8
	v_xor_b32_e32 v8, vcc_lo, v8
	v_and_b32_e32 v0, v0, v9
	v_and_b32_e32 v56, v56, v8
	v_lshlrev_b32_e32 v9, 29, v54
	v_mov_b32_e32 v8, v1
	v_cmp_gt_i64_e32 vcc, 0, v[8:9]
	v_not_b32_e32 v8, v9
	v_ashrrev_i32_e32 v8, 31, v8
	v_xor_b32_e32 v9, vcc_hi, v8
	v_xor_b32_e32 v8, vcc_lo, v8
	v_and_b32_e32 v0, v0, v9
	v_and_b32_e32 v56, v56, v8
	v_lshlrev_b32_e32 v9, 28, v54
	v_mov_b32_e32 v8, v1
	v_cmp_gt_i64_e32 vcc, 0, v[8:9]
	v_not_b32_e32 v8, v9
	v_ashrrev_i32_e32 v8, 31, v8
	v_xor_b32_e32 v9, vcc_hi, v8
	v_xor_b32_e32 v8, vcc_lo, v8
	v_and_b32_e32 v0, v0, v9
	v_and_b32_e32 v56, v56, v8
	v_lshlrev_b32_e32 v9, 27, v54
	v_mov_b32_e32 v8, v1
	v_cmp_gt_i64_e32 vcc, 0, v[8:9]
	v_not_b32_e32 v8, v9
	v_ashrrev_i32_e32 v8, 31, v8
	v_xor_b32_e32 v9, vcc_hi, v8
	v_xor_b32_e32 v8, vcc_lo, v8
	v_and_b32_e32 v0, v0, v9
	v_lshlrev_b32_e32 v9, 26, v54
	v_and_b32_e32 v56, v56, v8
	v_mov_b32_e32 v8, v1
	v_not_b32_e32 v1, v9
	v_cmp_gt_i64_e32 vcc, 0, v[8:9]
	v_ashrrev_i32_e32 v1, 31, v1
	; wave barrier
	s_nop 0
	v_xor_b32_e32 v8, vcc_hi, v1
	v_xor_b32_e32 v9, vcc_lo, v1
	v_and_b32_e32 v1, v0, v8
	v_and_b32_e32 v0, v56, v9
	v_mbcnt_lo_u32_b32 v8, v0, 0
	v_mbcnt_hi_u32_b32 v54, v1, v8
	v_cmp_eq_u32_e32 vcc, 0, v54
	v_cmp_ne_u64_e64 s[0:1], 0, v[0:1]
	s_and_b64 s[4:5], s[0:1], vcc
	v_add_u32_e32 v56, v37, v55
	s_and_saveexec_b64 s[0:1], s[4:5]
	s_cbranch_execz .LBB1002_305
; %bb.304:
	v_bcnt_u32_b32 v0, v0, 0
	v_bcnt_u32_b32 v0, v1, v0
	s_waitcnt lgkmcnt(0)
	v_add_u32_e32 v0, v52, v0
	ds_write_b32 v56, v0 offset:32
.LBB1002_305:
	s_or_b64 exec, exec, s[0:1]
	s_waitcnt vmcnt(13)
	v_lshrrev_b32_sdwa v0, s8, v21 dst_sel:DWORD dst_unused:UNUSED_PAD src0_sel:DWORD src1_sel:WORD_0
	v_and_b32_e32 v57, s9, v0
	v_mad_u32_u24 v0, v57, 36, v37
	; wave barrier
	ds_read_b32 v55, v0 offset:32
	v_and_b32_e32 v0, 1, v57
	v_mov_b32_e32 v1, 0
	v_lshl_add_u64 v[8:9], v[0:1], 0, -1
	v_cmp_ne_u32_e32 vcc, 0, v0
	v_mul_u32_u24_e32 v58, 36, v57
	s_nop 0
	v_xor_b32_e32 v8, vcc_lo, v8
	v_xor_b32_e32 v0, vcc_hi, v9
	v_and_b32_e32 v59, exec_lo, v8
	v_lshlrev_b32_e32 v9, 30, v57
	v_mov_b32_e32 v8, v1
	v_cmp_gt_i64_e32 vcc, 0, v[8:9]
	v_not_b32_e32 v8, v9
	v_ashrrev_i32_e32 v8, 31, v8
	v_and_b32_e32 v0, exec_hi, v0
	v_xor_b32_e32 v9, vcc_hi, v8
	v_xor_b32_e32 v8, vcc_lo, v8
	v_and_b32_e32 v0, v0, v9
	v_and_b32_e32 v59, v59, v8
	v_lshlrev_b32_e32 v9, 29, v57
	v_mov_b32_e32 v8, v1
	v_cmp_gt_i64_e32 vcc, 0, v[8:9]
	v_not_b32_e32 v8, v9
	v_ashrrev_i32_e32 v8, 31, v8
	v_xor_b32_e32 v9, vcc_hi, v8
	v_xor_b32_e32 v8, vcc_lo, v8
	v_and_b32_e32 v0, v0, v9
	v_and_b32_e32 v59, v59, v8
	v_lshlrev_b32_e32 v9, 28, v57
	v_mov_b32_e32 v8, v1
	v_cmp_gt_i64_e32 vcc, 0, v[8:9]
	v_not_b32_e32 v8, v9
	v_ashrrev_i32_e32 v8, 31, v8
	;; [unrolled: 9-line block ×4, first 2 shown]
	v_xor_b32_e32 v9, vcc_hi, v8
	v_xor_b32_e32 v8, vcc_lo, v8
	v_and_b32_e32 v8, v59, v8
	v_and_b32_e32 v9, v0, v9
	v_mbcnt_lo_u32_b32 v0, v8, 0
	v_mbcnt_hi_u32_b32 v57, v9, v0
	v_cmp_eq_u32_e32 vcc, 0, v57
	v_cmp_ne_u64_e64 s[0:1], 0, v[8:9]
	s_and_b64 s[4:5], s[0:1], vcc
	v_add_u32_e32 v59, v37, v58
	; wave barrier
	s_and_saveexec_b64 s[0:1], s[4:5]
	s_cbranch_execz .LBB1002_307
; %bb.306:
	v_bcnt_u32_b32 v0, v8, 0
	v_bcnt_u32_b32 v0, v9, v0
	s_waitcnt lgkmcnt(0)
	v_add_u32_e32 v0, v55, v0
	ds_write_b32 v59, v0 offset:32
.LBB1002_307:
	s_or_b64 exec, exec, s[0:1]
	s_waitcnt vmcnt(12)
	v_lshrrev_b32_sdwa v0, s8, v20 dst_sel:DWORD dst_unused:UNUSED_PAD src0_sel:DWORD src1_sel:WORD_0
	v_and_b32_e32 v60, s9, v0
	v_mad_u32_u24 v0, v60, 36, v37
	; wave barrier
	ds_read_b32 v58, v0 offset:32
	v_and_b32_e32 v0, 1, v60
	v_lshl_add_u64 v[8:9], v[0:1], 0, -1
	v_cmp_ne_u32_e32 vcc, 0, v0
	v_mul_u32_u24_e32 v61, 36, v60
	s_nop 0
	v_xor_b32_e32 v8, vcc_lo, v8
	v_xor_b32_e32 v0, vcc_hi, v9
	v_and_b32_e32 v62, exec_lo, v8
	v_lshlrev_b32_e32 v9, 30, v60
	v_mov_b32_e32 v8, v1
	v_cmp_gt_i64_e32 vcc, 0, v[8:9]
	v_not_b32_e32 v8, v9
	v_ashrrev_i32_e32 v8, 31, v8
	v_and_b32_e32 v0, exec_hi, v0
	v_xor_b32_e32 v9, vcc_hi, v8
	v_xor_b32_e32 v8, vcc_lo, v8
	v_and_b32_e32 v0, v0, v9
	v_and_b32_e32 v62, v62, v8
	v_lshlrev_b32_e32 v9, 29, v60
	v_mov_b32_e32 v8, v1
	v_cmp_gt_i64_e32 vcc, 0, v[8:9]
	v_not_b32_e32 v8, v9
	v_ashrrev_i32_e32 v8, 31, v8
	v_xor_b32_e32 v9, vcc_hi, v8
	v_xor_b32_e32 v8, vcc_lo, v8
	v_and_b32_e32 v0, v0, v9
	v_and_b32_e32 v62, v62, v8
	v_lshlrev_b32_e32 v9, 28, v60
	v_mov_b32_e32 v8, v1
	v_cmp_gt_i64_e32 vcc, 0, v[8:9]
	v_not_b32_e32 v8, v9
	v_ashrrev_i32_e32 v8, 31, v8
	;; [unrolled: 9-line block ×3, first 2 shown]
	v_xor_b32_e32 v9, vcc_hi, v8
	v_xor_b32_e32 v8, vcc_lo, v8
	v_and_b32_e32 v0, v0, v9
	v_lshlrev_b32_e32 v9, 26, v60
	v_and_b32_e32 v62, v62, v8
	v_mov_b32_e32 v8, v1
	v_not_b32_e32 v1, v9
	v_cmp_gt_i64_e32 vcc, 0, v[8:9]
	v_ashrrev_i32_e32 v1, 31, v1
	; wave barrier
	s_nop 0
	v_xor_b32_e32 v8, vcc_hi, v1
	v_xor_b32_e32 v9, vcc_lo, v1
	v_and_b32_e32 v1, v0, v8
	v_and_b32_e32 v0, v62, v9
	v_mbcnt_lo_u32_b32 v8, v0, 0
	v_mbcnt_hi_u32_b32 v60, v1, v8
	v_cmp_eq_u32_e32 vcc, 0, v60
	v_cmp_ne_u64_e64 s[0:1], 0, v[0:1]
	s_and_b64 s[4:5], s[0:1], vcc
	v_add_u32_e32 v62, v37, v61
	s_and_saveexec_b64 s[0:1], s[4:5]
	s_cbranch_execz .LBB1002_309
; %bb.308:
	v_bcnt_u32_b32 v0, v0, 0
	v_bcnt_u32_b32 v0, v1, v0
	s_waitcnt lgkmcnt(0)
	v_add_u32_e32 v0, v58, v0
	ds_write_b32 v62, v0 offset:32
.LBB1002_309:
	s_or_b64 exec, exec, s[0:1]
	s_waitcnt vmcnt(11)
	v_lshrrev_b32_sdwa v0, s8, v19 dst_sel:DWORD dst_unused:UNUSED_PAD src0_sel:DWORD src1_sel:WORD_0
	v_and_b32_e32 v63, s9, v0
	v_mad_u32_u24 v0, v63, 36, v37
	; wave barrier
	ds_read_b32 v61, v0 offset:32
	v_and_b32_e32 v0, 1, v63
	v_mov_b32_e32 v1, 0
	v_lshl_add_u64 v[8:9], v[0:1], 0, -1
	v_cmp_ne_u32_e32 vcc, 0, v0
	v_mul_u32_u24_e32 v64, 36, v63
	s_nop 0
	v_xor_b32_e32 v8, vcc_lo, v8
	v_xor_b32_e32 v0, vcc_hi, v9
	v_and_b32_e32 v65, exec_lo, v8
	v_lshlrev_b32_e32 v9, 30, v63
	v_mov_b32_e32 v8, v1
	v_cmp_gt_i64_e32 vcc, 0, v[8:9]
	v_not_b32_e32 v8, v9
	v_ashrrev_i32_e32 v8, 31, v8
	v_and_b32_e32 v0, exec_hi, v0
	v_xor_b32_e32 v9, vcc_hi, v8
	v_xor_b32_e32 v8, vcc_lo, v8
	v_and_b32_e32 v0, v0, v9
	v_and_b32_e32 v65, v65, v8
	v_lshlrev_b32_e32 v9, 29, v63
	v_mov_b32_e32 v8, v1
	v_cmp_gt_i64_e32 vcc, 0, v[8:9]
	v_not_b32_e32 v8, v9
	v_ashrrev_i32_e32 v8, 31, v8
	v_xor_b32_e32 v9, vcc_hi, v8
	v_xor_b32_e32 v8, vcc_lo, v8
	v_and_b32_e32 v0, v0, v9
	v_and_b32_e32 v65, v65, v8
	v_lshlrev_b32_e32 v9, 28, v63
	v_mov_b32_e32 v8, v1
	v_cmp_gt_i64_e32 vcc, 0, v[8:9]
	v_not_b32_e32 v8, v9
	v_ashrrev_i32_e32 v8, 31, v8
	;; [unrolled: 9-line block ×4, first 2 shown]
	v_xor_b32_e32 v9, vcc_hi, v8
	v_xor_b32_e32 v8, vcc_lo, v8
	v_and_b32_e32 v8, v65, v8
	v_and_b32_e32 v9, v0, v9
	v_mbcnt_lo_u32_b32 v0, v8, 0
	v_mbcnt_hi_u32_b32 v63, v9, v0
	v_cmp_eq_u32_e32 vcc, 0, v63
	v_cmp_ne_u64_e64 s[0:1], 0, v[8:9]
	s_and_b64 s[4:5], s[0:1], vcc
	v_add_u32_e32 v65, v37, v64
	; wave barrier
	s_and_saveexec_b64 s[0:1], s[4:5]
	s_cbranch_execz .LBB1002_311
; %bb.310:
	v_bcnt_u32_b32 v0, v8, 0
	v_bcnt_u32_b32 v0, v9, v0
	s_waitcnt lgkmcnt(0)
	v_add_u32_e32 v0, v61, v0
	ds_write_b32 v65, v0 offset:32
.LBB1002_311:
	s_or_b64 exec, exec, s[0:1]
	s_waitcnt vmcnt(10)
	v_lshrrev_b32_sdwa v0, s8, v18 dst_sel:DWORD dst_unused:UNUSED_PAD src0_sel:DWORD src1_sel:WORD_0
	v_and_b32_e32 v66, s9, v0
	v_mad_u32_u24 v0, v66, 36, v37
	; wave barrier
	ds_read_b32 v64, v0 offset:32
	v_and_b32_e32 v0, 1, v66
	v_lshl_add_u64 v[8:9], v[0:1], 0, -1
	v_cmp_ne_u32_e32 vcc, 0, v0
	v_mul_u32_u24_e32 v67, 36, v66
	s_nop 0
	v_xor_b32_e32 v8, vcc_lo, v8
	v_xor_b32_e32 v0, vcc_hi, v9
	v_and_b32_e32 v68, exec_lo, v8
	v_lshlrev_b32_e32 v9, 30, v66
	v_mov_b32_e32 v8, v1
	v_cmp_gt_i64_e32 vcc, 0, v[8:9]
	v_not_b32_e32 v8, v9
	v_ashrrev_i32_e32 v8, 31, v8
	v_and_b32_e32 v0, exec_hi, v0
	v_xor_b32_e32 v9, vcc_hi, v8
	v_xor_b32_e32 v8, vcc_lo, v8
	v_and_b32_e32 v0, v0, v9
	v_and_b32_e32 v68, v68, v8
	v_lshlrev_b32_e32 v9, 29, v66
	v_mov_b32_e32 v8, v1
	v_cmp_gt_i64_e32 vcc, 0, v[8:9]
	v_not_b32_e32 v8, v9
	v_ashrrev_i32_e32 v8, 31, v8
	v_xor_b32_e32 v9, vcc_hi, v8
	v_xor_b32_e32 v8, vcc_lo, v8
	v_and_b32_e32 v0, v0, v9
	v_and_b32_e32 v68, v68, v8
	v_lshlrev_b32_e32 v9, 28, v66
	v_mov_b32_e32 v8, v1
	v_cmp_gt_i64_e32 vcc, 0, v[8:9]
	v_not_b32_e32 v8, v9
	v_ashrrev_i32_e32 v8, 31, v8
	;; [unrolled: 9-line block ×3, first 2 shown]
	v_xor_b32_e32 v9, vcc_hi, v8
	v_xor_b32_e32 v8, vcc_lo, v8
	v_and_b32_e32 v0, v0, v9
	v_lshlrev_b32_e32 v9, 26, v66
	v_and_b32_e32 v68, v68, v8
	v_mov_b32_e32 v8, v1
	v_not_b32_e32 v1, v9
	v_cmp_gt_i64_e32 vcc, 0, v[8:9]
	v_ashrrev_i32_e32 v1, 31, v1
	; wave barrier
	s_nop 0
	v_xor_b32_e32 v8, vcc_hi, v1
	v_xor_b32_e32 v9, vcc_lo, v1
	v_and_b32_e32 v1, v0, v8
	v_and_b32_e32 v0, v68, v9
	v_mbcnt_lo_u32_b32 v8, v0, 0
	v_mbcnt_hi_u32_b32 v66, v1, v8
	v_cmp_eq_u32_e32 vcc, 0, v66
	v_cmp_ne_u64_e64 s[0:1], 0, v[0:1]
	s_and_b64 s[4:5], s[0:1], vcc
	v_add_u32_e32 v68, v37, v67
	s_and_saveexec_b64 s[0:1], s[4:5]
	s_cbranch_execz .LBB1002_313
; %bb.312:
	v_bcnt_u32_b32 v0, v0, 0
	v_bcnt_u32_b32 v0, v1, v0
	s_waitcnt lgkmcnt(0)
	v_add_u32_e32 v0, v64, v0
	ds_write_b32 v68, v0 offset:32
.LBB1002_313:
	s_or_b64 exec, exec, s[0:1]
	s_waitcnt vmcnt(9)
	v_lshrrev_b32_sdwa v0, s8, v17 dst_sel:DWORD dst_unused:UNUSED_PAD src0_sel:DWORD src1_sel:WORD_0
	v_and_b32_e32 v69, s9, v0
	v_mad_u32_u24 v0, v69, 36, v37
	; wave barrier
	ds_read_b32 v67, v0 offset:32
	v_and_b32_e32 v0, 1, v69
	v_mov_b32_e32 v1, 0
	v_lshl_add_u64 v[8:9], v[0:1], 0, -1
	v_cmp_ne_u32_e32 vcc, 0, v0
	v_mul_u32_u24_e32 v70, 36, v69
	s_nop 0
	v_xor_b32_e32 v8, vcc_lo, v8
	v_xor_b32_e32 v0, vcc_hi, v9
	v_and_b32_e32 v71, exec_lo, v8
	v_lshlrev_b32_e32 v9, 30, v69
	v_mov_b32_e32 v8, v1
	v_cmp_gt_i64_e32 vcc, 0, v[8:9]
	v_not_b32_e32 v8, v9
	v_ashrrev_i32_e32 v8, 31, v8
	v_and_b32_e32 v0, exec_hi, v0
	v_xor_b32_e32 v9, vcc_hi, v8
	v_xor_b32_e32 v8, vcc_lo, v8
	v_and_b32_e32 v0, v0, v9
	v_and_b32_e32 v71, v71, v8
	v_lshlrev_b32_e32 v9, 29, v69
	v_mov_b32_e32 v8, v1
	v_cmp_gt_i64_e32 vcc, 0, v[8:9]
	v_not_b32_e32 v8, v9
	v_ashrrev_i32_e32 v8, 31, v8
	v_xor_b32_e32 v9, vcc_hi, v8
	v_xor_b32_e32 v8, vcc_lo, v8
	v_and_b32_e32 v0, v0, v9
	v_and_b32_e32 v71, v71, v8
	v_lshlrev_b32_e32 v9, 28, v69
	v_mov_b32_e32 v8, v1
	v_cmp_gt_i64_e32 vcc, 0, v[8:9]
	v_not_b32_e32 v8, v9
	v_ashrrev_i32_e32 v8, 31, v8
	;; [unrolled: 9-line block ×4, first 2 shown]
	v_xor_b32_e32 v9, vcc_hi, v8
	v_xor_b32_e32 v8, vcc_lo, v8
	v_and_b32_e32 v8, v71, v8
	v_and_b32_e32 v9, v0, v9
	v_mbcnt_lo_u32_b32 v0, v8, 0
	v_mbcnt_hi_u32_b32 v69, v9, v0
	v_cmp_eq_u32_e32 vcc, 0, v69
	v_cmp_ne_u64_e64 s[0:1], 0, v[8:9]
	s_and_b64 s[4:5], s[0:1], vcc
	v_add_u32_e32 v71, v37, v70
	; wave barrier
	s_and_saveexec_b64 s[0:1], s[4:5]
	s_cbranch_execz .LBB1002_315
; %bb.314:
	v_bcnt_u32_b32 v0, v8, 0
	v_bcnt_u32_b32 v0, v9, v0
	s_waitcnt lgkmcnt(0)
	v_add_u32_e32 v0, v67, v0
	ds_write_b32 v71, v0 offset:32
.LBB1002_315:
	s_or_b64 exec, exec, s[0:1]
	s_waitcnt vmcnt(8)
	v_lshrrev_b32_sdwa v0, s8, v16 dst_sel:DWORD dst_unused:UNUSED_PAD src0_sel:DWORD src1_sel:WORD_0
	v_and_b32_e32 v72, s9, v0
	v_mad_u32_u24 v0, v72, 36, v37
	; wave barrier
	ds_read_b32 v70, v0 offset:32
	v_and_b32_e32 v0, 1, v72
	v_lshl_add_u64 v[8:9], v[0:1], 0, -1
	v_cmp_ne_u32_e32 vcc, 0, v0
	v_mul_u32_u24_e32 v73, 36, v72
	s_nop 0
	v_xor_b32_e32 v8, vcc_lo, v8
	v_xor_b32_e32 v0, vcc_hi, v9
	v_and_b32_e32 v74, exec_lo, v8
	v_lshlrev_b32_e32 v9, 30, v72
	v_mov_b32_e32 v8, v1
	v_cmp_gt_i64_e32 vcc, 0, v[8:9]
	v_not_b32_e32 v8, v9
	v_ashrrev_i32_e32 v8, 31, v8
	v_and_b32_e32 v0, exec_hi, v0
	v_xor_b32_e32 v9, vcc_hi, v8
	v_xor_b32_e32 v8, vcc_lo, v8
	v_and_b32_e32 v0, v0, v9
	v_and_b32_e32 v74, v74, v8
	v_lshlrev_b32_e32 v9, 29, v72
	v_mov_b32_e32 v8, v1
	v_cmp_gt_i64_e32 vcc, 0, v[8:9]
	v_not_b32_e32 v8, v9
	v_ashrrev_i32_e32 v8, 31, v8
	v_xor_b32_e32 v9, vcc_hi, v8
	v_xor_b32_e32 v8, vcc_lo, v8
	v_and_b32_e32 v0, v0, v9
	v_and_b32_e32 v74, v74, v8
	v_lshlrev_b32_e32 v9, 28, v72
	v_mov_b32_e32 v8, v1
	v_cmp_gt_i64_e32 vcc, 0, v[8:9]
	v_not_b32_e32 v8, v9
	v_ashrrev_i32_e32 v8, 31, v8
	;; [unrolled: 9-line block ×3, first 2 shown]
	v_xor_b32_e32 v9, vcc_hi, v8
	v_xor_b32_e32 v8, vcc_lo, v8
	v_and_b32_e32 v0, v0, v9
	v_lshlrev_b32_e32 v9, 26, v72
	v_and_b32_e32 v74, v74, v8
	v_mov_b32_e32 v8, v1
	v_not_b32_e32 v1, v9
	v_cmp_gt_i64_e32 vcc, 0, v[8:9]
	v_ashrrev_i32_e32 v1, 31, v1
	; wave barrier
	s_nop 0
	v_xor_b32_e32 v8, vcc_hi, v1
	v_xor_b32_e32 v9, vcc_lo, v1
	v_and_b32_e32 v1, v0, v8
	v_and_b32_e32 v0, v74, v9
	v_mbcnt_lo_u32_b32 v8, v0, 0
	v_mbcnt_hi_u32_b32 v72, v1, v8
	v_cmp_eq_u32_e32 vcc, 0, v72
	v_cmp_ne_u64_e64 s[0:1], 0, v[0:1]
	s_and_b64 s[4:5], s[0:1], vcc
	v_add_u32_e32 v74, v37, v73
	s_and_saveexec_b64 s[0:1], s[4:5]
	s_cbranch_execz .LBB1002_317
; %bb.316:
	v_bcnt_u32_b32 v0, v0, 0
	v_bcnt_u32_b32 v0, v1, v0
	s_waitcnt lgkmcnt(0)
	v_add_u32_e32 v0, v70, v0
	ds_write_b32 v74, v0 offset:32
.LBB1002_317:
	s_or_b64 exec, exec, s[0:1]
	s_waitcnt vmcnt(7)
	v_lshrrev_b32_sdwa v0, s8, v14 dst_sel:DWORD dst_unused:UNUSED_PAD src0_sel:DWORD src1_sel:WORD_0
	v_and_b32_e32 v75, s9, v0
	v_mad_u32_u24 v0, v75, 36, v37
	; wave barrier
	ds_read_b32 v73, v0 offset:32
	v_and_b32_e32 v0, 1, v75
	v_mov_b32_e32 v1, 0
	v_lshl_add_u64 v[8:9], v[0:1], 0, -1
	v_cmp_ne_u32_e32 vcc, 0, v0
	v_mul_u32_u24_e32 v76, 36, v75
	s_nop 0
	v_xor_b32_e32 v8, vcc_lo, v8
	v_xor_b32_e32 v0, vcc_hi, v9
	v_and_b32_e32 v77, exec_lo, v8
	v_lshlrev_b32_e32 v9, 30, v75
	v_mov_b32_e32 v8, v1
	v_cmp_gt_i64_e32 vcc, 0, v[8:9]
	v_not_b32_e32 v8, v9
	v_ashrrev_i32_e32 v8, 31, v8
	v_and_b32_e32 v0, exec_hi, v0
	v_xor_b32_e32 v9, vcc_hi, v8
	v_xor_b32_e32 v8, vcc_lo, v8
	v_and_b32_e32 v0, v0, v9
	v_and_b32_e32 v77, v77, v8
	v_lshlrev_b32_e32 v9, 29, v75
	v_mov_b32_e32 v8, v1
	v_cmp_gt_i64_e32 vcc, 0, v[8:9]
	v_not_b32_e32 v8, v9
	v_ashrrev_i32_e32 v8, 31, v8
	v_xor_b32_e32 v9, vcc_hi, v8
	v_xor_b32_e32 v8, vcc_lo, v8
	v_and_b32_e32 v0, v0, v9
	v_and_b32_e32 v77, v77, v8
	v_lshlrev_b32_e32 v9, 28, v75
	v_mov_b32_e32 v8, v1
	v_cmp_gt_i64_e32 vcc, 0, v[8:9]
	v_not_b32_e32 v8, v9
	v_ashrrev_i32_e32 v8, 31, v8
	;; [unrolled: 9-line block ×4, first 2 shown]
	v_xor_b32_e32 v9, vcc_hi, v8
	v_xor_b32_e32 v8, vcc_lo, v8
	v_and_b32_e32 v8, v77, v8
	v_and_b32_e32 v9, v0, v9
	v_mbcnt_lo_u32_b32 v0, v8, 0
	v_mbcnt_hi_u32_b32 v75, v9, v0
	v_cmp_eq_u32_e32 vcc, 0, v75
	v_cmp_ne_u64_e64 s[0:1], 0, v[8:9]
	s_and_b64 s[4:5], s[0:1], vcc
	v_add_u32_e32 v77, v37, v76
	; wave barrier
	s_and_saveexec_b64 s[0:1], s[4:5]
	s_cbranch_execz .LBB1002_319
; %bb.318:
	v_bcnt_u32_b32 v0, v8, 0
	v_bcnt_u32_b32 v0, v9, v0
	s_waitcnt lgkmcnt(0)
	v_add_u32_e32 v0, v73, v0
	ds_write_b32 v77, v0 offset:32
.LBB1002_319:
	s_or_b64 exec, exec, s[0:1]
	s_waitcnt vmcnt(6)
	v_lshrrev_b32_sdwa v0, s8, v15 dst_sel:DWORD dst_unused:UNUSED_PAD src0_sel:DWORD src1_sel:WORD_0
	v_and_b32_e32 v78, s9, v0
	v_mad_u32_u24 v0, v78, 36, v37
	; wave barrier
	ds_read_b32 v76, v0 offset:32
	v_and_b32_e32 v0, 1, v78
	v_lshl_add_u64 v[8:9], v[0:1], 0, -1
	v_cmp_ne_u32_e32 vcc, 0, v0
	v_mul_u32_u24_e32 v79, 36, v78
	s_nop 0
	v_xor_b32_e32 v8, vcc_lo, v8
	v_xor_b32_e32 v0, vcc_hi, v9
	v_and_b32_e32 v80, exec_lo, v8
	v_lshlrev_b32_e32 v9, 30, v78
	v_mov_b32_e32 v8, v1
	v_cmp_gt_i64_e32 vcc, 0, v[8:9]
	v_not_b32_e32 v8, v9
	v_ashrrev_i32_e32 v8, 31, v8
	v_and_b32_e32 v0, exec_hi, v0
	v_xor_b32_e32 v9, vcc_hi, v8
	v_xor_b32_e32 v8, vcc_lo, v8
	v_and_b32_e32 v0, v0, v9
	v_and_b32_e32 v80, v80, v8
	v_lshlrev_b32_e32 v9, 29, v78
	v_mov_b32_e32 v8, v1
	v_cmp_gt_i64_e32 vcc, 0, v[8:9]
	v_not_b32_e32 v8, v9
	v_ashrrev_i32_e32 v8, 31, v8
	v_xor_b32_e32 v9, vcc_hi, v8
	v_xor_b32_e32 v8, vcc_lo, v8
	v_and_b32_e32 v0, v0, v9
	v_and_b32_e32 v80, v80, v8
	v_lshlrev_b32_e32 v9, 28, v78
	v_mov_b32_e32 v8, v1
	v_cmp_gt_i64_e32 vcc, 0, v[8:9]
	v_not_b32_e32 v8, v9
	v_ashrrev_i32_e32 v8, 31, v8
	;; [unrolled: 9-line block ×3, first 2 shown]
	v_xor_b32_e32 v9, vcc_hi, v8
	v_xor_b32_e32 v8, vcc_lo, v8
	v_and_b32_e32 v0, v0, v9
	v_lshlrev_b32_e32 v9, 26, v78
	v_and_b32_e32 v80, v80, v8
	v_mov_b32_e32 v8, v1
	v_not_b32_e32 v1, v9
	v_cmp_gt_i64_e32 vcc, 0, v[8:9]
	v_ashrrev_i32_e32 v1, 31, v1
	; wave barrier
	s_nop 0
	v_xor_b32_e32 v8, vcc_hi, v1
	v_xor_b32_e32 v9, vcc_lo, v1
	v_and_b32_e32 v1, v0, v8
	v_and_b32_e32 v0, v80, v9
	v_mbcnt_lo_u32_b32 v8, v0, 0
	v_mbcnt_hi_u32_b32 v78, v1, v8
	v_cmp_eq_u32_e32 vcc, 0, v78
	v_cmp_ne_u64_e64 s[0:1], 0, v[0:1]
	s_and_b64 s[4:5], s[0:1], vcc
	v_add_u32_e32 v80, v37, v79
	s_and_saveexec_b64 s[0:1], s[4:5]
	s_cbranch_execz .LBB1002_321
; %bb.320:
	v_bcnt_u32_b32 v0, v0, 0
	v_bcnt_u32_b32 v0, v1, v0
	s_waitcnt lgkmcnt(0)
	v_add_u32_e32 v0, v76, v0
	ds_write_b32 v80, v0 offset:32
.LBB1002_321:
	s_or_b64 exec, exec, s[0:1]
	s_waitcnt vmcnt(5)
	v_lshrrev_b32_sdwa v0, s8, v13 dst_sel:DWORD dst_unused:UNUSED_PAD src0_sel:DWORD src1_sel:WORD_0
	v_and_b32_e32 v81, s9, v0
	v_mad_u32_u24 v0, v81, 36, v37
	; wave barrier
	ds_read_b32 v79, v0 offset:32
	v_and_b32_e32 v0, 1, v81
	v_mov_b32_e32 v1, 0
	v_lshl_add_u64 v[8:9], v[0:1], 0, -1
	v_cmp_ne_u32_e32 vcc, 0, v0
	v_mul_u32_u24_e32 v82, 36, v81
	s_nop 0
	v_xor_b32_e32 v8, vcc_lo, v8
	v_xor_b32_e32 v0, vcc_hi, v9
	v_and_b32_e32 v83, exec_lo, v8
	v_lshlrev_b32_e32 v9, 30, v81
	v_mov_b32_e32 v8, v1
	v_cmp_gt_i64_e32 vcc, 0, v[8:9]
	v_not_b32_e32 v8, v9
	v_ashrrev_i32_e32 v8, 31, v8
	v_and_b32_e32 v0, exec_hi, v0
	v_xor_b32_e32 v9, vcc_hi, v8
	v_xor_b32_e32 v8, vcc_lo, v8
	v_and_b32_e32 v0, v0, v9
	v_and_b32_e32 v83, v83, v8
	v_lshlrev_b32_e32 v9, 29, v81
	v_mov_b32_e32 v8, v1
	v_cmp_gt_i64_e32 vcc, 0, v[8:9]
	v_not_b32_e32 v8, v9
	v_ashrrev_i32_e32 v8, 31, v8
	v_xor_b32_e32 v9, vcc_hi, v8
	v_xor_b32_e32 v8, vcc_lo, v8
	v_and_b32_e32 v0, v0, v9
	v_and_b32_e32 v83, v83, v8
	v_lshlrev_b32_e32 v9, 28, v81
	v_mov_b32_e32 v8, v1
	v_cmp_gt_i64_e32 vcc, 0, v[8:9]
	v_not_b32_e32 v8, v9
	v_ashrrev_i32_e32 v8, 31, v8
	;; [unrolled: 9-line block ×4, first 2 shown]
	v_xor_b32_e32 v9, vcc_hi, v8
	v_xor_b32_e32 v8, vcc_lo, v8
	v_and_b32_e32 v8, v83, v8
	v_and_b32_e32 v9, v0, v9
	v_mbcnt_lo_u32_b32 v0, v8, 0
	v_mbcnt_hi_u32_b32 v81, v9, v0
	v_cmp_eq_u32_e32 vcc, 0, v81
	v_cmp_ne_u64_e64 s[0:1], 0, v[8:9]
	s_and_b64 s[4:5], s[0:1], vcc
	v_add_u32_e32 v83, v37, v82
	; wave barrier
	s_and_saveexec_b64 s[0:1], s[4:5]
	s_cbranch_execz .LBB1002_323
; %bb.322:
	v_bcnt_u32_b32 v0, v8, 0
	v_bcnt_u32_b32 v0, v9, v0
	s_waitcnt lgkmcnt(0)
	v_add_u32_e32 v0, v79, v0
	ds_write_b32 v83, v0 offset:32
.LBB1002_323:
	s_or_b64 exec, exec, s[0:1]
	s_waitcnt vmcnt(4)
	v_lshrrev_b32_sdwa v0, s8, v12 dst_sel:DWORD dst_unused:UNUSED_PAD src0_sel:DWORD src1_sel:WORD_0
	v_and_b32_e32 v84, s9, v0
	v_mad_u32_u24 v0, v84, 36, v37
	; wave barrier
	ds_read_b32 v82, v0 offset:32
	v_and_b32_e32 v0, 1, v84
	v_lshl_add_u64 v[8:9], v[0:1], 0, -1
	v_cmp_ne_u32_e32 vcc, 0, v0
	v_mul_u32_u24_e32 v85, 36, v84
	s_nop 0
	v_xor_b32_e32 v8, vcc_lo, v8
	v_xor_b32_e32 v0, vcc_hi, v9
	v_and_b32_e32 v86, exec_lo, v8
	v_lshlrev_b32_e32 v9, 30, v84
	v_mov_b32_e32 v8, v1
	v_cmp_gt_i64_e32 vcc, 0, v[8:9]
	v_not_b32_e32 v8, v9
	v_ashrrev_i32_e32 v8, 31, v8
	v_and_b32_e32 v0, exec_hi, v0
	v_xor_b32_e32 v9, vcc_hi, v8
	v_xor_b32_e32 v8, vcc_lo, v8
	v_and_b32_e32 v0, v0, v9
	v_and_b32_e32 v86, v86, v8
	v_lshlrev_b32_e32 v9, 29, v84
	v_mov_b32_e32 v8, v1
	v_cmp_gt_i64_e32 vcc, 0, v[8:9]
	v_not_b32_e32 v8, v9
	v_ashrrev_i32_e32 v8, 31, v8
	v_xor_b32_e32 v9, vcc_hi, v8
	v_xor_b32_e32 v8, vcc_lo, v8
	v_and_b32_e32 v0, v0, v9
	v_and_b32_e32 v86, v86, v8
	v_lshlrev_b32_e32 v9, 28, v84
	v_mov_b32_e32 v8, v1
	v_cmp_gt_i64_e32 vcc, 0, v[8:9]
	v_not_b32_e32 v8, v9
	v_ashrrev_i32_e32 v8, 31, v8
	;; [unrolled: 9-line block ×3, first 2 shown]
	v_xor_b32_e32 v9, vcc_hi, v8
	v_xor_b32_e32 v8, vcc_lo, v8
	v_and_b32_e32 v0, v0, v9
	v_lshlrev_b32_e32 v9, 26, v84
	v_and_b32_e32 v86, v86, v8
	v_mov_b32_e32 v8, v1
	v_not_b32_e32 v1, v9
	v_cmp_gt_i64_e32 vcc, 0, v[8:9]
	v_ashrrev_i32_e32 v1, 31, v1
	; wave barrier
	s_nop 0
	v_xor_b32_e32 v8, vcc_hi, v1
	v_xor_b32_e32 v9, vcc_lo, v1
	v_and_b32_e32 v1, v0, v8
	v_and_b32_e32 v0, v86, v9
	v_mbcnt_lo_u32_b32 v8, v0, 0
	v_mbcnt_hi_u32_b32 v84, v1, v8
	v_cmp_eq_u32_e32 vcc, 0, v84
	v_cmp_ne_u64_e64 s[0:1], 0, v[0:1]
	s_and_b64 s[4:5], s[0:1], vcc
	v_add_u32_e32 v86, v37, v85
	s_and_saveexec_b64 s[0:1], s[4:5]
	s_cbranch_execz .LBB1002_325
; %bb.324:
	v_bcnt_u32_b32 v0, v0, 0
	v_bcnt_u32_b32 v0, v1, v0
	s_waitcnt lgkmcnt(0)
	v_add_u32_e32 v0, v82, v0
	ds_write_b32 v86, v0 offset:32
.LBB1002_325:
	s_or_b64 exec, exec, s[0:1]
	s_waitcnt vmcnt(3)
	v_lshrrev_b32_sdwa v0, s8, v11 dst_sel:DWORD dst_unused:UNUSED_PAD src0_sel:DWORD src1_sel:WORD_0
	v_and_b32_e32 v87, s9, v0
	v_mad_u32_u24 v0, v87, 36, v37
	; wave barrier
	ds_read_b32 v85, v0 offset:32
	v_and_b32_e32 v0, 1, v87
	v_mov_b32_e32 v1, 0
	v_lshl_add_u64 v[8:9], v[0:1], 0, -1
	v_cmp_ne_u32_e32 vcc, 0, v0
	v_mul_u32_u24_e32 v88, 36, v87
	s_nop 0
	v_xor_b32_e32 v8, vcc_lo, v8
	v_xor_b32_e32 v0, vcc_hi, v9
	v_and_b32_e32 v89, exec_lo, v8
	v_lshlrev_b32_e32 v9, 30, v87
	v_mov_b32_e32 v8, v1
	v_cmp_gt_i64_e32 vcc, 0, v[8:9]
	v_not_b32_e32 v8, v9
	v_ashrrev_i32_e32 v8, 31, v8
	v_and_b32_e32 v0, exec_hi, v0
	v_xor_b32_e32 v9, vcc_hi, v8
	v_xor_b32_e32 v8, vcc_lo, v8
	v_and_b32_e32 v0, v0, v9
	v_and_b32_e32 v89, v89, v8
	v_lshlrev_b32_e32 v9, 29, v87
	v_mov_b32_e32 v8, v1
	v_cmp_gt_i64_e32 vcc, 0, v[8:9]
	v_not_b32_e32 v8, v9
	v_ashrrev_i32_e32 v8, 31, v8
	v_xor_b32_e32 v9, vcc_hi, v8
	v_xor_b32_e32 v8, vcc_lo, v8
	v_and_b32_e32 v0, v0, v9
	v_and_b32_e32 v89, v89, v8
	v_lshlrev_b32_e32 v9, 28, v87
	v_mov_b32_e32 v8, v1
	v_cmp_gt_i64_e32 vcc, 0, v[8:9]
	v_not_b32_e32 v8, v9
	v_ashrrev_i32_e32 v8, 31, v8
	;; [unrolled: 9-line block ×4, first 2 shown]
	v_xor_b32_e32 v9, vcc_hi, v8
	v_xor_b32_e32 v8, vcc_lo, v8
	v_and_b32_e32 v8, v89, v8
	v_and_b32_e32 v9, v0, v9
	v_mbcnt_lo_u32_b32 v0, v8, 0
	v_mbcnt_hi_u32_b32 v87, v9, v0
	v_cmp_eq_u32_e32 vcc, 0, v87
	v_cmp_ne_u64_e64 s[0:1], 0, v[8:9]
	s_and_b64 s[4:5], s[0:1], vcc
	v_add_u32_e32 v89, v37, v88
	; wave barrier
	s_and_saveexec_b64 s[0:1], s[4:5]
	s_cbranch_execz .LBB1002_327
; %bb.326:
	v_bcnt_u32_b32 v0, v8, 0
	v_bcnt_u32_b32 v0, v9, v0
	s_waitcnt lgkmcnt(0)
	v_add_u32_e32 v0, v85, v0
	ds_write_b32 v89, v0 offset:32
.LBB1002_327:
	s_or_b64 exec, exec, s[0:1]
	s_waitcnt vmcnt(2)
	v_lshrrev_b32_sdwa v0, s8, v10 dst_sel:DWORD dst_unused:UNUSED_PAD src0_sel:DWORD src1_sel:WORD_0
	v_and_b32_e32 v90, s9, v0
	v_mad_u32_u24 v0, v90, 36, v37
	; wave barrier
	ds_read_b32 v88, v0 offset:32
	v_and_b32_e32 v0, 1, v90
	v_lshl_add_u64 v[8:9], v[0:1], 0, -1
	v_cmp_ne_u32_e32 vcc, 0, v0
	v_mul_u32_u24_e32 v91, 36, v90
	s_nop 0
	v_xor_b32_e32 v8, vcc_lo, v8
	v_xor_b32_e32 v0, vcc_hi, v9
	v_and_b32_e32 v92, exec_lo, v8
	v_lshlrev_b32_e32 v9, 30, v90
	v_mov_b32_e32 v8, v1
	v_cmp_gt_i64_e32 vcc, 0, v[8:9]
	v_not_b32_e32 v8, v9
	v_ashrrev_i32_e32 v8, 31, v8
	v_and_b32_e32 v0, exec_hi, v0
	v_xor_b32_e32 v9, vcc_hi, v8
	v_xor_b32_e32 v8, vcc_lo, v8
	v_and_b32_e32 v0, v0, v9
	v_and_b32_e32 v92, v92, v8
	v_lshlrev_b32_e32 v9, 29, v90
	v_mov_b32_e32 v8, v1
	v_cmp_gt_i64_e32 vcc, 0, v[8:9]
	v_not_b32_e32 v8, v9
	v_ashrrev_i32_e32 v8, 31, v8
	v_xor_b32_e32 v9, vcc_hi, v8
	v_xor_b32_e32 v8, vcc_lo, v8
	v_and_b32_e32 v0, v0, v9
	v_and_b32_e32 v92, v92, v8
	v_lshlrev_b32_e32 v9, 28, v90
	v_mov_b32_e32 v8, v1
	v_cmp_gt_i64_e32 vcc, 0, v[8:9]
	v_not_b32_e32 v8, v9
	v_ashrrev_i32_e32 v8, 31, v8
	;; [unrolled: 9-line block ×3, first 2 shown]
	v_xor_b32_e32 v9, vcc_hi, v8
	v_xor_b32_e32 v8, vcc_lo, v8
	v_and_b32_e32 v0, v0, v9
	v_lshlrev_b32_e32 v9, 26, v90
	v_and_b32_e32 v92, v92, v8
	v_mov_b32_e32 v8, v1
	v_not_b32_e32 v1, v9
	v_cmp_gt_i64_e32 vcc, 0, v[8:9]
	v_ashrrev_i32_e32 v1, 31, v1
	; wave barrier
	s_nop 0
	v_xor_b32_e32 v8, vcc_hi, v1
	v_xor_b32_e32 v9, vcc_lo, v1
	v_and_b32_e32 v1, v0, v8
	v_and_b32_e32 v0, v92, v9
	v_mbcnt_lo_u32_b32 v8, v0, 0
	v_mbcnt_hi_u32_b32 v90, v1, v8
	v_cmp_eq_u32_e32 vcc, 0, v90
	v_cmp_ne_u64_e64 s[0:1], 0, v[0:1]
	s_and_b64 s[4:5], s[0:1], vcc
	v_add_u32_e32 v92, v37, v91
	s_and_saveexec_b64 s[0:1], s[4:5]
	s_cbranch_execz .LBB1002_329
; %bb.328:
	v_bcnt_u32_b32 v0, v0, 0
	v_bcnt_u32_b32 v0, v1, v0
	s_waitcnt lgkmcnt(0)
	v_add_u32_e32 v0, v88, v0
	ds_write_b32 v92, v0 offset:32
.LBB1002_329:
	s_or_b64 exec, exec, s[0:1]
	s_waitcnt vmcnt(1)
	v_lshrrev_b32_sdwa v0, s8, v7 dst_sel:DWORD dst_unused:UNUSED_PAD src0_sel:DWORD src1_sel:WORD_0
	v_and_b32_e32 v93, s9, v0
	v_mad_u32_u24 v0, v93, 36, v37
	; wave barrier
	ds_read_b32 v91, v0 offset:32
	v_and_b32_e32 v0, 1, v93
	v_mov_b32_e32 v1, 0
	v_lshl_add_u64 v[8:9], v[0:1], 0, -1
	v_cmp_ne_u32_e32 vcc, 0, v0
	v_mul_u32_u24_e32 v94, 36, v93
	v_add_u32_e32 v94, v37, v94
	v_xor_b32_e32 v8, vcc_lo, v8
	v_xor_b32_e32 v0, vcc_hi, v9
	v_and_b32_e32 v95, exec_lo, v8
	v_lshlrev_b32_e32 v9, 30, v93
	v_mov_b32_e32 v8, v1
	v_cmp_gt_i64_e32 vcc, 0, v[8:9]
	v_not_b32_e32 v8, v9
	v_ashrrev_i32_e32 v8, 31, v8
	v_and_b32_e32 v0, exec_hi, v0
	v_xor_b32_e32 v9, vcc_hi, v8
	v_xor_b32_e32 v8, vcc_lo, v8
	v_and_b32_e32 v0, v0, v9
	v_and_b32_e32 v95, v95, v8
	v_lshlrev_b32_e32 v9, 29, v93
	v_mov_b32_e32 v8, v1
	v_cmp_gt_i64_e32 vcc, 0, v[8:9]
	v_not_b32_e32 v8, v9
	v_ashrrev_i32_e32 v8, 31, v8
	v_xor_b32_e32 v9, vcc_hi, v8
	v_xor_b32_e32 v8, vcc_lo, v8
	v_and_b32_e32 v0, v0, v9
	v_and_b32_e32 v95, v95, v8
	v_lshlrev_b32_e32 v9, 28, v93
	v_mov_b32_e32 v8, v1
	v_cmp_gt_i64_e32 vcc, 0, v[8:9]
	v_not_b32_e32 v8, v9
	v_ashrrev_i32_e32 v8, 31, v8
	;; [unrolled: 9-line block ×4, first 2 shown]
	v_xor_b32_e32 v9, vcc_hi, v8
	v_xor_b32_e32 v8, vcc_lo, v8
	v_and_b32_e32 v8, v95, v8
	v_and_b32_e32 v9, v0, v9
	v_mbcnt_lo_u32_b32 v0, v8, 0
	v_mbcnt_hi_u32_b32 v93, v9, v0
	v_cmp_eq_u32_e32 vcc, 0, v93
	v_cmp_ne_u64_e64 s[0:1], 0, v[8:9]
	s_and_b64 s[4:5], s[0:1], vcc
	; wave barrier
	s_and_saveexec_b64 s[0:1], s[4:5]
	s_cbranch_execz .LBB1002_331
; %bb.330:
	v_bcnt_u32_b32 v0, v8, 0
	v_bcnt_u32_b32 v0, v9, v0
	s_waitcnt lgkmcnt(0)
	v_add_u32_e32 v0, v91, v0
	ds_write_b32 v94, v0 offset:32
.LBB1002_331:
	s_or_b64 exec, exec, s[0:1]
	s_waitcnt vmcnt(0)
	v_lshrrev_b32_sdwa v0, s8, v5 dst_sel:DWORD dst_unused:UNUSED_PAD src0_sel:DWORD src1_sel:WORD_0
	v_and_b32_e32 v9, s9, v0
	v_mad_u32_u24 v0, v9, 36, v37
	; wave barrier
	ds_read_b32 v8, v0 offset:32
	v_and_b32_e32 v0, 1, v9
	v_lshl_add_u64 v[96:97], v[0:1], 0, -1
	v_cmp_ne_u32_e32 vcc, 0, v0
	v_mul_u32_u24_e32 v95, 36, v9
	v_add_u32_e32 v37, v37, v95
	v_xor_b32_e32 v96, vcc_lo, v96
	v_xor_b32_e32 v0, vcc_hi, v97
	v_and_b32_e32 v98, exec_lo, v96
	v_lshlrev_b32_e32 v97, 30, v9
	v_mov_b32_e32 v96, v1
	v_cmp_gt_i64_e32 vcc, 0, v[96:97]
	v_not_b32_e32 v96, v97
	v_ashrrev_i32_e32 v96, 31, v96
	v_and_b32_e32 v0, exec_hi, v0
	v_xor_b32_e32 v97, vcc_hi, v96
	v_xor_b32_e32 v96, vcc_lo, v96
	v_and_b32_e32 v0, v0, v97
	v_and_b32_e32 v98, v98, v96
	v_lshlrev_b32_e32 v97, 29, v9
	v_mov_b32_e32 v96, v1
	v_cmp_gt_i64_e32 vcc, 0, v[96:97]
	v_not_b32_e32 v96, v97
	v_ashrrev_i32_e32 v96, 31, v96
	v_xor_b32_e32 v97, vcc_hi, v96
	v_xor_b32_e32 v96, vcc_lo, v96
	v_and_b32_e32 v0, v0, v97
	v_and_b32_e32 v98, v98, v96
	v_lshlrev_b32_e32 v97, 28, v9
	v_mov_b32_e32 v96, v1
	v_cmp_gt_i64_e32 vcc, 0, v[96:97]
	v_not_b32_e32 v96, v97
	v_ashrrev_i32_e32 v96, 31, v96
	;; [unrolled: 9-line block ×3, first 2 shown]
	v_xor_b32_e32 v97, vcc_hi, v96
	v_xor_b32_e32 v96, vcc_lo, v96
	v_and_b32_e32 v0, v0, v97
	v_lshlrev_b32_e32 v97, 26, v9
	v_and_b32_e32 v98, v98, v96
	v_mov_b32_e32 v96, v1
	v_not_b32_e32 v1, v97
	v_cmp_gt_i64_e32 vcc, 0, v[96:97]
	v_ashrrev_i32_e32 v1, 31, v1
	s_nop 0
	v_xor_b32_e32 v9, vcc_hi, v1
	v_xor_b32_e32 v96, vcc_lo, v1
	v_and_b32_e32 v1, v0, v9
	v_and_b32_e32 v0, v98, v96
	v_mbcnt_lo_u32_b32 v9, v0, 0
	v_mbcnt_hi_u32_b32 v9, v1, v9
	v_cmp_eq_u32_e32 vcc, 0, v9
	v_cmp_ne_u64_e64 s[0:1], 0, v[0:1]
	s_and_b64 s[4:5], s[0:1], vcc
	; wave barrier
	s_and_saveexec_b64 s[0:1], s[4:5]
	s_cbranch_execz .LBB1002_333
; %bb.332:
	v_bcnt_u32_b32 v0, v0, 0
	v_bcnt_u32_b32 v0, v1, v0
	s_waitcnt lgkmcnt(0)
	v_add_u32_e32 v0, v8, v0
	ds_write_b32 v37, v0 offset:32
.LBB1002_333:
	s_or_b64 exec, exec, s[0:1]
	; wave barrier
	s_waitcnt lgkmcnt(0)
	s_barrier
	ds_read_b64 v[0:1], v31 offset:32
	v_and_b32_e32 v95, 15, v29
	v_cmp_ne_u32_e32 vcc, 0, v95
	v_min_u32_e32 v30, 0x1c0, v30
	v_or_b32_e32 v30, 63, v30
	s_waitcnt lgkmcnt(0)
	v_add_u32_e32 v1, v1, v0
	s_nop 1
	v_mov_b32_dpp v96, v1 row_shr:1 row_mask:0xf bank_mask:0xf
	v_cndmask_b32_e32 v96, 0, v96, vcc
	v_add_u32_e32 v1, v96, v1
	v_cmp_lt_u32_e32 vcc, 1, v95
	s_nop 0
	v_mov_b32_dpp v96, v1 row_shr:2 row_mask:0xf bank_mask:0xf
	v_cndmask_b32_e32 v96, 0, v96, vcc
	v_add_u32_e32 v1, v1, v96
	v_cmp_lt_u32_e32 vcc, 3, v95
	s_nop 0
	v_mov_b32_dpp v96, v1 row_shr:4 row_mask:0xf bank_mask:0xf
	v_cndmask_b32_e32 v96, 0, v96, vcc
	v_add_u32_e32 v1, v1, v96
	v_cmp_lt_u32_e32 vcc, 7, v95
	s_nop 0
	v_mov_b32_dpp v96, v1 row_shr:8 row_mask:0xf bank_mask:0xf
	v_cndmask_b32_e32 v95, 0, v96, vcc
	v_add_u32_e32 v1, v1, v95
	v_bfe_i32 v96, v29, 4, 1
	v_cmp_lt_u32_e32 vcc, 31, v29
	v_mov_b32_dpp v95, v1 row_bcast:15 row_mask:0xf bank_mask:0xf
	v_and_b32_e32 v95, v96, v95
	v_add_u32_e32 v1, v1, v95
	s_nop 1
	v_mov_b32_dpp v95, v1 row_bcast:31 row_mask:0xf bank_mask:0xf
	v_cndmask_b32_e32 v95, 0, v95, vcc
	v_add_u32_e32 v1, v1, v95
	v_lshrrev_b32_e32 v95, 6, v2
	v_cmp_eq_u32_e32 vcc, v2, v30
	s_and_saveexec_b64 s[0:1], vcc
; %bb.334:
	v_lshlrev_b32_e32 v30, 2, v95
	ds_write_b32 v30, v1
; %bb.335:
	s_or_b64 exec, exec, s[0:1]
	v_cmp_gt_u32_e32 vcc, 8, v2
	v_lshlrev_b32_e32 v30, 2, v2
	s_waitcnt lgkmcnt(0)
	s_barrier
	s_and_saveexec_b64 s[0:1], vcc
	s_cbranch_execz .LBB1002_337
; %bb.336:
	ds_read_b32 v96, v30
	v_and_b32_e32 v97, 7, v29
	v_cmp_ne_u32_e32 vcc, 0, v97
	s_waitcnt lgkmcnt(0)
	v_mov_b32_dpp v98, v96 row_shr:1 row_mask:0xf bank_mask:0xf
	v_cndmask_b32_e32 v98, 0, v98, vcc
	v_add_u32_e32 v96, v98, v96
	v_cmp_lt_u32_e32 vcc, 1, v97
	s_nop 0
	v_mov_b32_dpp v98, v96 row_shr:2 row_mask:0xf bank_mask:0xf
	v_cndmask_b32_e32 v98, 0, v98, vcc
	v_add_u32_e32 v96, v96, v98
	v_cmp_lt_u32_e32 vcc, 3, v97
	s_nop 0
	v_mov_b32_dpp v98, v96 row_shr:4 row_mask:0xf bank_mask:0xf
	v_cndmask_b32_e32 v97, 0, v98, vcc
	v_add_u32_e32 v96, v96, v97
	ds_write_b32 v30, v96
.LBB1002_337:
	s_or_b64 exec, exec, s[0:1]
	v_cmp_gt_u32_e64 s[0:1], 64, v2
	v_cmp_lt_u32_e32 vcc, 63, v2
	v_mov_b32_e32 v96, 0
	s_waitcnt lgkmcnt(0)
	s_barrier
	s_and_saveexec_b64 s[4:5], vcc
; %bb.338:
	v_lshl_add_u32 v95, v95, 2, -4
	ds_read_b32 v96, v95
; %bb.339:
	s_or_b64 exec, exec, s[4:5]
	v_subrev_co_u32_e64 v95, s[4:5], 1, v29
	v_and_b32_e32 v97, 64, v29
	v_cmp_lt_i32_e64 s[6:7], v95, v97
	s_waitcnt lgkmcnt(0)
	v_add_u32_e32 v1, v96, v1
	v_cndmask_b32_e64 v29, v95, v29, s[6:7]
	v_lshlrev_b32_e32 v29, 2, v29
	ds_bpermute_b32 v1, v29, v1
                                        ; implicit-def: $vgpr29
	s_waitcnt lgkmcnt(0)
	v_cndmask_b32_e64 v1, v1, v96, s[4:5]
	v_cmp_ne_u32_e64 s[4:5], 0, v2
	s_nop 1
	v_cndmask_b32_e64 v96, 0, v1, s[4:5]
	v_add_u32_e32 v97, v96, v0
	ds_write_b64 v31, v[96:97] offset:32
	s_waitcnt lgkmcnt(0)
	s_barrier
	ds_read_b32 v0, v34 offset:32
	ds_read_b32 v1, v38 offset:32
	;; [unrolled: 1-line block ×22, first 2 shown]
                                        ; implicit-def: $vgpr31
	s_and_saveexec_b64 s[6:7], s[0:1]
	s_cbranch_execz .LBB1002_343
; %bb.340:
	v_mul_u32_u24_e32 v29, 36, v2
	ds_read_b32 v29, v29 offset:32
	v_add_u32_e32 v37, 1, v2
	v_cmp_ne_u32_e64 s[4:5], 64, v37
	v_mov_b32_e32 v31, 0x2c00
	s_and_saveexec_b64 s[14:15], s[4:5]
; %bb.341:
	v_mul_u32_u24_e32 v31, 36, v37
	ds_read_b32 v31, v31 offset:32
; %bb.342:
	s_or_b64 exec, exec, s[14:15]
	s_waitcnt lgkmcnt(0)
	v_sub_u32_e32 v31, v31, v29
.LBB1002_343:
	s_or_b64 exec, exec, s[6:7]
	s_waitcnt lgkmcnt(14)
	v_add_u32_e32 v62, v0, v32
	v_add3_u32 v59, v35, v33, v1
	v_add3_u32 v56, v39, v36, v34
	;; [unrolled: 1-line block ×7, first 2 shown]
	v_lshlrev_b32_e32 v54, 1, v62
	v_lshlrev_b32_e32 v52, 1, v59
	;; [unrolled: 1-line block ×4, first 2 shown]
	s_waitcnt lgkmcnt(13)
	v_add3_u32 v45, v57, v55, v96
	s_waitcnt lgkmcnt(12)
	v_add3_u32 v44, v60, v58, v97
	s_waitcnt lgkmcnt(0)
	s_barrier
	ds_write_b16 v54, v3 offset:256
	ds_write_b16 v52, v28 offset:256
	;; [unrolled: 1-line block ×4, first 2 shown]
	v_lshlrev_b32_e32 v28, 1, v50
	v_lshlrev_b32_e32 v27, 1, v48
	;; [unrolled: 1-line block ×3, first 2 shown]
	v_add3_u32 v43, v63, v61, v65
	v_add3_u32 v42, v66, v64, v68
	;; [unrolled: 1-line block ×3, first 2 shown]
	ds_write_b16 v28, v25 offset:256
	ds_write_b16 v27, v24 offset:256
	;; [unrolled: 1-line block ×3, first 2 shown]
	v_lshlrev_b32_e32 v25, 1, v46
	v_lshlrev_b32_e32 v24, 1, v45
	;; [unrolled: 1-line block ×3, first 2 shown]
	v_add3_u32 v40, v72, v70, v74
	v_add3_u32 v39, v75, v73, v77
	;; [unrolled: 1-line block ×3, first 2 shown]
	ds_write_b16 v25, v22 offset:256
	ds_write_b16 v24, v21 offset:256
	;; [unrolled: 1-line block ×3, first 2 shown]
	v_lshlrev_b32_e32 v22, 1, v43
	v_lshlrev_b32_e32 v21, 1, v42
	;; [unrolled: 1-line block ×3, first 2 shown]
	v_add3_u32 v37, v81, v79, v83
	v_add3_u32 v36, v84, v82, v86
	ds_write_b16 v22, v19 offset:256
	ds_write_b16 v21, v18 offset:256
	;; [unrolled: 1-line block ×3, first 2 shown]
	v_lshlrev_b32_e32 v19, 1, v40
	v_lshlrev_b32_e32 v18, 1, v39
	;; [unrolled: 1-line block ×3, first 2 shown]
	v_add3_u32 v35, v87, v85, v89
	v_add3_u32 v34, v90, v88, v92
	;; [unrolled: 1-line block ×4, first 2 shown]
	ds_write_b16 v19, v16 offset:256
	ds_write_b16 v18, v14 offset:256
	;; [unrolled: 1-line block ×3, first 2 shown]
	v_lshlrev_b32_e32 v16, 1, v37
	v_lshlrev_b32_e32 v15, 1, v36
	ds_write_b16 v16, v13 offset:256
	ds_write_b16 v15, v12 offset:256
	v_lshlrev_b32_e32 v14, 1, v35
	v_lshlrev_b32_e32 v13, 1, v34
	;; [unrolled: 1-line block ×4, first 2 shown]
	v_mov_b32_e32 v1, 0
	ds_write_b16 v14, v11 offset:256
	ds_write_b16 v13, v10 offset:256
	;; [unrolled: 1-line block ×4, first 2 shown]
	s_and_saveexec_b64 s[4:5], s[0:1]
	s_cbranch_execz .LBB1002_353
; %bb.344:
	v_lshl_add_u32 v0, s2, 6, v2
	v_lshl_add_u64 v[8:9], v[0:1], 2, s[12:13]
	v_or_b32_e32 v0, 2.0, v31
	s_mov_b64 s[6:7], 0
	s_brev_b32 s18, -4
	s_mov_b32 s19, s2
	v_mov_b32_e32 v5, 0
	global_store_dword v[8:9], v0, off sc1
                                        ; implicit-def: $sgpr0_sgpr1
	s_branch .LBB1002_347
.LBB1002_345:                           ;   in Loop: Header=BB1002_347 Depth=1
	s_or_b64 exec, exec, s[16:17]
.LBB1002_346:                           ;   in Loop: Header=BB1002_347 Depth=1
	s_or_b64 exec, exec, s[14:15]
	v_and_b32_e32 v7, 0x3fffffff, v0
	v_add_u32_e32 v5, v7, v5
	v_cmp_gt_i32_e64 s[0:1], -2.0, v0
	s_and_b64 s[14:15], exec, s[0:1]
	s_or_b64 s[6:7], s[14:15], s[6:7]
	s_andn2_b64 exec, exec, s[6:7]
	s_cbranch_execz .LBB1002_352
.LBB1002_347:                           ; =>This Loop Header: Depth=1
                                        ;     Child Loop BB1002_350 Depth 2
	s_or_b64 s[0:1], s[0:1], exec
	s_cmp_eq_u32 s19, 0
	s_cbranch_scc1 .LBB1002_351
; %bb.348:                              ;   in Loop: Header=BB1002_347 Depth=1
	s_add_i32 s19, s19, -1
	v_lshl_or_b32 v0, s19, 6, v2
	v_lshl_add_u64 v[10:11], v[0:1], 2, s[12:13]
	global_load_dword v0, v[10:11], off sc1
	s_waitcnt vmcnt(0)
	v_cmp_gt_u32_e64 s[0:1], 2.0, v0
	s_and_saveexec_b64 s[14:15], s[0:1]
	s_cbranch_execz .LBB1002_346
; %bb.349:                              ;   in Loop: Header=BB1002_347 Depth=1
	s_mov_b64 s[16:17], 0
.LBB1002_350:                           ;   Parent Loop BB1002_347 Depth=1
                                        ; =>  This Inner Loop Header: Depth=2
	global_load_dword v0, v[10:11], off sc1
	s_waitcnt vmcnt(0)
	v_cmp_lt_u32_e64 s[0:1], s18, v0
	s_or_b64 s[16:17], s[0:1], s[16:17]
	s_andn2_b64 exec, exec, s[16:17]
	s_cbranch_execnz .LBB1002_350
	s_branch .LBB1002_345
.LBB1002_351:                           ;   in Loop: Header=BB1002_347 Depth=1
                                        ; implicit-def: $sgpr19
	s_and_b64 s[14:15], exec, s[0:1]
	s_or_b64 s[6:7], s[14:15], s[6:7]
	s_andn2_b64 exec, exec, s[6:7]
	s_cbranch_execnz .LBB1002_347
.LBB1002_352:
	s_or_b64 exec, exec, s[6:7]
	v_add_u32_e32 v0, v5, v31
	v_or_b32_e32 v0, 0x80000000, v0
	v_readlane_b32 s12, v118, 0
	global_store_dword v[8:9], v0, off sc1
	v_readlane_b32 s13, v118, 1
	v_sub_u32_e32 v1, v5, v29
	v_readlane_b32 s14, v118, 2
	v_readlane_b32 s15, v118, 3
	s_nop 1
	global_load_dword v0, v30, s[12:13]
	s_waitcnt vmcnt(0)
	v_add_u32_e32 v0, v1, v0
	ds_write_b32 v30, v0
.LBB1002_353:
	s_or_b64 exec, exec, s[4:5]
	v_lshlrev_b32_e32 v0, 1, v2
	v_sub_u32_e32 v5, v30, v0
	s_waitcnt lgkmcnt(0)
	s_barrier
	ds_read_u16 v7, v5 offset:10496
	ds_read_u16 v78, v5 offset:11520
	;; [unrolled: 1-line block ×12, first 2 shown]
	s_waitcnt lgkmcnt(8)
	v_lshrrev_b32_sdwa v1, s8, v82 dst_sel:DWORD dst_unused:UNUSED_PAD src0_sel:DWORD src1_sel:WORD_0
	s_waitcnt lgkmcnt(5)
	v_lshrrev_b32_sdwa v8, s8, v86 dst_sel:DWORD dst_unused:UNUSED_PAD src0_sel:DWORD src1_sel:WORD_0
	v_and_b32_e32 v1, s9, v1
	s_waitcnt lgkmcnt(3)
	v_lshrrev_b32_sdwa v9, s8, v100 dst_sel:DWORD dst_unused:UNUSED_PAD src0_sel:DWORD src1_sel:WORD_0
	v_and_b32_e32 v9, s9, v9
	v_lshlrev_b32_e32 v55, 2, v9
	s_waitcnt lgkmcnt(2)
	v_lshrrev_b32_sdwa v9, s8, v101 dst_sel:DWORD dst_unused:UNUSED_PAD src0_sel:DWORD src1_sel:WORD_0
	v_and_b32_e32 v9, s9, v9
	v_lshlrev_b32_e32 v11, 2, v9
	;; [unrolled: 4-line block ×3, first 2 shown]
	s_waitcnt lgkmcnt(0)
	v_lshrrev_b32_sdwa v9, s8, v103 dst_sel:DWORD dst_unused:UNUSED_PAD src0_sel:DWORD src1_sel:WORD_0
	v_and_b32_e32 v8, s9, v8
	v_and_b32_e32 v9, s9, v9
	v_lshlrev_b32_e32 v1, 2, v1
	v_lshlrev_b32_e32 v8, 2, v8
	;; [unrolled: 1-line block ×3, first 2 shown]
	ds_read_u16 v57, v5 offset:256
	ds_read_u16 v58, v5 offset:1280
	ds_read_b32 v98, v1
	ds_read_b32 v99, v8
	;; [unrolled: 1-line block ×6, first 2 shown]
	s_waitcnt lgkmcnt(7)
	v_lshrrev_b32_sdwa v60, s8, v57 dst_sel:DWORD dst_unused:UNUSED_PAD src0_sel:DWORD src1_sel:WORD_0
	v_and_b32_e32 v60, s9, v60
	v_lshlrev_b32_e32 v95, 2, v60
	s_waitcnt lgkmcnt(6)
	v_lshrrev_b32_sdwa v60, s8, v58 dst_sel:DWORD dst_unused:UNUSED_PAD src0_sel:DWORD src1_sel:WORD_0
	v_and_b32_e32 v60, s9, v60
	v_lshlrev_b32_e32 v92, 2, v60
	ds_read_u16 v63, v5 offset:2304
	ds_read_u16 v64, v5 offset:3328
	;; [unrolled: 1-line block ×8, first 2 shown]
	s_waitcnt lgkmcnt(7)
	v_lshrrev_b32_sdwa v60, s8, v63 dst_sel:DWORD dst_unused:UNUSED_PAD src0_sel:DWORD src1_sel:WORD_0
	v_and_b32_e32 v60, s9, v60
	v_lshlrev_b32_e32 v94, 2, v60
	s_waitcnt lgkmcnt(6)
	v_lshrrev_b32_sdwa v60, s8, v64 dst_sel:DWORD dst_unused:UNUSED_PAD src0_sel:DWORD src1_sel:WORD_0
	v_and_b32_e32 v60, s9, v60
	v_lshlrev_b32_e32 v93, 2, v60
	;; [unrolled: 4-line block ×6, first 2 shown]
	ds_read_b32 v60, v95
	ds_read_b32 v66, v92
	;; [unrolled: 1-line block ×8, first 2 shown]
	s_waitcnt lgkmcnt(7)
	v_add_u32_e32 v96, v60, v2
	v_mov_b32_e32 v97, 0
	v_add_u32_e32 v65, 0x200, v2
	v_lshl_add_u64 v[60:61], v[96:97], 1, s[94:95]
	s_waitcnt lgkmcnt(6)
	v_add_u32_e32 v96, v66, v65
	global_store_short v[60:61], v57, off
	v_lshl_add_u64 v[60:61], v[96:97], 1, s[94:95]
	v_or_b32_e32 v66, 0x400, v2
	global_store_short v[60:61], v58, off
	s_waitcnt lgkmcnt(5)
	v_add_u32_e32 v96, v68, v66
	v_add_u32_e32 v58, 0x600, v2
	v_lshl_add_u64 v[60:61], v[96:97], 1, s[94:95]
	s_waitcnt lgkmcnt(4)
	v_add_u32_e32 v96, v69, v58
	global_store_short v[60:61], v63, off
	v_lshl_add_u64 v[60:61], v[96:97], 1, s[94:95]
	global_store_short v[60:61], v64, off
	v_or_b32_e32 v60, 0x800, v2
	s_waitcnt lgkmcnt(3)
	v_add_u32_e32 v96, v73, v60
	v_add_u32_e32 v61, 0xa00, v2
	v_lshl_add_u64 v[68:69], v[96:97], 1, s[94:95]
	s_waitcnt lgkmcnt(2)
	v_add_u32_e32 v96, v74, v61
	v_or_b32_e32 v63, 0xc00, v2
	global_store_short v[68:69], v67, off
	v_lshl_add_u64 v[68:69], v[96:97], 1, s[94:95]
	s_waitcnt lgkmcnt(1)
	v_add_u32_e32 v96, v76, v63
	v_add_u32_e32 v64, 0xe00, v2
	global_store_short v[68:69], v70, off
	v_lshl_add_u64 v[68:69], v[96:97], 1, s[94:95]
	s_waitcnt lgkmcnt(0)
	v_add_u32_e32 v96, v77, v64
	global_store_short v[68:69], v71, off
	v_lshl_add_u64 v[68:69], v[96:97], 1, s[94:95]
	v_lshrrev_b32_sdwa v67, s8, v75 dst_sel:DWORD dst_unused:UNUSED_PAD src0_sel:DWORD src1_sel:WORD_0
	global_store_short v[68:69], v72, off
	v_and_b32_e32 v67, s9, v67
	v_lshrrev_b32_sdwa v68, s8, v5 dst_sel:DWORD dst_unused:UNUSED_PAD src0_sel:DWORD src1_sel:WORD_0
	v_lshrrev_b32_sdwa v69, s8, v7 dst_sel:DWORD dst_unused:UNUSED_PAD src0_sel:DWORD src1_sel:WORD_0
	;; [unrolled: 1-line block ×7, first 2 shown]
	v_or_b32_e32 v57, 0x1000, v2
	v_lshlrev_b32_e32 v67, 2, v67
	v_and_b32_e32 v68, s9, v68
	v_and_b32_e32 v69, s9, v69
	;; [unrolled: 1-line block ×7, first 2 shown]
	v_lshlrev_b32_e32 v68, 2, v68
	v_lshlrev_b32_e32 v69, 2, v69
	;; [unrolled: 1-line block ×7, first 2 shown]
	ds_read_b32 v76, v67
	ds_read_b32 v79, v68
	;; [unrolled: 1-line block ×8, first 2 shown]
	s_waitcnt lgkmcnt(7)
	v_add_u32_e32 v96, v76, v57
	v_add_u32_e32 v83, 0x1200, v2
	v_lshl_add_u64 v[76:77], v[96:97], 1, s[94:95]
	s_waitcnt lgkmcnt(6)
	v_add_u32_e32 v96, v79, v83
	v_or_b32_e32 v87, 0x1400, v2
	global_store_short v[76:77], v75, off
	v_lshl_add_u64 v[76:77], v[96:97], 1, s[94:95]
	s_waitcnt lgkmcnt(5)
	v_add_u32_e32 v96, v108, v87
	v_add_u32_e32 v75, 0x1600, v2
	global_store_short v[76:77], v5, off
	v_lshl_add_u64 v[76:77], v[96:97], 1, s[94:95]
	s_waitcnt lgkmcnt(4)
	v_add_u32_e32 v96, v109, v75
	global_store_short v[76:77], v7, off
	v_lshl_add_u64 v[76:77], v[96:97], 1, s[94:95]
	global_store_short v[76:77], v78, off
	v_or_b32_e32 v76, 0x1800, v2
	s_waitcnt lgkmcnt(3)
	v_add_u32_e32 v96, v110, v76
	v_add_u32_e32 v77, 0x1a00, v2
	v_lshl_add_u64 v[78:79], v[96:97], 1, s[94:95]
	s_waitcnt lgkmcnt(2)
	v_add_u32_e32 v96, v111, v77
	global_store_short v[78:79], v80, off
	v_lshl_add_u64 v[78:79], v[96:97], 1, s[94:95]
	global_store_short v[78:79], v81, off
	v_or_b32_e32 v78, 0x1c00, v2
	s_waitcnt lgkmcnt(1)
	v_add_u32_e32 v96, v112, v78
	v_add_u32_e32 v79, 0x1e00, v2
	v_lshl_add_u64 v[80:81], v[96:97], 1, s[94:95]
	s_waitcnt lgkmcnt(0)
	v_add_u32_e32 v96, v113, v79
	global_store_short v[80:81], v84, off
	v_lshl_add_u64 v[80:81], v[96:97], 1, s[94:95]
	global_store_short v[80:81], v85, off
	v_or_b32_e32 v81, 0x2000, v2
	v_add_u32_e32 v96, v98, v81
	v_lshl_add_u64 v[84:85], v[96:97], 1, s[94:95]
	global_store_short v[84:85], v82, off
	v_add_u32_e32 v84, 0x2200, v2
	v_add_u32_e32 v96, v99, v84
	v_or_b32_e32 v85, 0x2400, v2
	v_lshl_add_u64 v[98:99], v[96:97], 1, s[94:95]
	v_add_u32_e32 v96, v104, v85
	v_add_u32_e32 v80, 0x2600, v2
	global_store_short v[98:99], v86, off
	v_lshl_add_u64 v[98:99], v[96:97], 1, s[94:95]
	v_add_u32_e32 v96, v105, v80
	v_or_b32_e32 v82, 0x2800, v2
	global_store_short v[98:99], v100, off
	v_lshl_add_u64 v[98:99], v[96:97], 1, s[94:95]
	v_add_u32_e32 v96, v106, v82
	v_add_u32_e32 v86, 0x2a00, v2
	s_add_u32 s0, s96, s10
	global_store_short v[98:99], v101, off
	v_lshl_add_u64 v[98:99], v[96:97], 1, s[94:95]
	v_add_u32_e32 v96, v107, v86
	s_addc_u32 s1, s97, s11
	v_mov_b32_e32 v5, v97
	global_store_short v[98:99], v102, off
	v_lshl_add_u64 v[98:99], v[96:97], 1, s[94:95]
	v_lshl_add_u64 v[4:5], s[0:1], 0, v[4:5]
	v_mov_b32_e32 v7, v97
	global_store_short v[98:99], v103, off
	v_lshl_add_u64 v[114:115], v[4:5], 0, v[6:7]
	global_load_ushort v113, v[114:115], off
	global_load_ushort v112, v[114:115], off offset:128
	global_load_ushort v111, v[114:115], off offset:256
	;; [unrolled: 1-line block ×21, first 2 shown]
	s_movk_i32 s6, 0x2c00
	v_cmp_gt_u32_e64 s[0:1], s6, v62
	s_barrier
	s_and_saveexec_b64 s[4:5], s[0:1]
	s_cbranch_execz .LBB1002_380
; %bb.354:
	s_waitcnt vmcnt(21)
	ds_write_b16 v54, v113 offset:256
	s_or_b64 exec, exec, s[4:5]
	v_cmp_gt_u32_e64 s[0:1], s6, v59
	s_and_saveexec_b64 s[4:5], s[0:1]
	s_cbranch_execnz .LBB1002_381
.LBB1002_355:
	s_or_b64 exec, exec, s[4:5]
	v_cmp_gt_u32_e64 s[0:1], s6, v56
	s_and_saveexec_b64 s[4:5], s[0:1]
	s_cbranch_execz .LBB1002_382
.LBB1002_356:
	s_waitcnt vmcnt(19)
	ds_write_b16 v51, v111 offset:256
	s_or_b64 exec, exec, s[4:5]
	v_cmp_gt_u32_e64 s[0:1], s6, v53
	s_and_saveexec_b64 s[4:5], s[0:1]
	s_cbranch_execnz .LBB1002_383
.LBB1002_357:
	s_or_b64 exec, exec, s[4:5]
	v_cmp_gt_u32_e64 s[0:1], s6, v50
	s_and_saveexec_b64 s[4:5], s[0:1]
	s_cbranch_execz .LBB1002_384
.LBB1002_358:
	s_waitcnt vmcnt(17)
	ds_write_b16 v28, v109 offset:256
	s_or_b64 exec, exec, s[4:5]
	v_cmp_gt_u32_e64 s[0:1], s6, v48
	s_and_saveexec_b64 s[4:5], s[0:1]
	s_cbranch_execnz .LBB1002_385
.LBB1002_359:
	s_or_b64 exec, exec, s[4:5]
	v_cmp_gt_u32_e64 s[0:1], s6, v47
	s_and_saveexec_b64 s[4:5], s[0:1]
	s_cbranch_execz .LBB1002_386
.LBB1002_360:
	s_waitcnt vmcnt(15)
	ds_write_b16 v26, v107 offset:256
	s_or_b64 exec, exec, s[4:5]
	v_cmp_gt_u32_e64 s[0:1], s6, v46
	s_and_saveexec_b64 s[4:5], s[0:1]
	s_cbranch_execnz .LBB1002_387
.LBB1002_361:
	s_or_b64 exec, exec, s[4:5]
	v_cmp_gt_u32_e64 s[0:1], s6, v45
	s_and_saveexec_b64 s[4:5], s[0:1]
	s_cbranch_execz .LBB1002_388
.LBB1002_362:
	s_waitcnt vmcnt(13)
	ds_write_b16 v24, v105 offset:256
	s_or_b64 exec, exec, s[4:5]
	v_cmp_gt_u32_e64 s[0:1], s6, v44
	s_and_saveexec_b64 s[4:5], s[0:1]
	s_cbranch_execnz .LBB1002_389
.LBB1002_363:
	s_or_b64 exec, exec, s[4:5]
	v_cmp_gt_u32_e64 s[0:1], s6, v43
	s_and_saveexec_b64 s[4:5], s[0:1]
	s_cbranch_execz .LBB1002_390
.LBB1002_364:
	s_waitcnt vmcnt(11)
	ds_write_b16 v22, v103 offset:256
	s_or_b64 exec, exec, s[4:5]
	v_cmp_gt_u32_e64 s[0:1], s6, v42
	s_and_saveexec_b64 s[4:5], s[0:1]
	s_cbranch_execnz .LBB1002_391
.LBB1002_365:
	s_or_b64 exec, exec, s[4:5]
	v_cmp_gt_u32_e64 s[0:1], s6, v41
	s_and_saveexec_b64 s[4:5], s[0:1]
	s_cbranch_execz .LBB1002_392
.LBB1002_366:
	s_waitcnt vmcnt(9)
	ds_write_b16 v20, v101 offset:256
	s_or_b64 exec, exec, s[4:5]
	v_cmp_gt_u32_e64 s[0:1], s6, v40
	s_and_saveexec_b64 s[4:5], s[0:1]
	s_cbranch_execnz .LBB1002_393
.LBB1002_367:
	s_or_b64 exec, exec, s[4:5]
	v_cmp_gt_u32_e64 s[0:1], s6, v39
	s_and_saveexec_b64 s[4:5], s[0:1]
	s_cbranch_execz .LBB1002_394
.LBB1002_368:
	s_waitcnt vmcnt(7)
	ds_write_b16 v18, v99 offset:256
	s_or_b64 exec, exec, s[4:5]
	v_cmp_gt_u32_e64 s[0:1], s6, v38
	s_and_saveexec_b64 s[4:5], s[0:1]
	s_cbranch_execnz .LBB1002_395
.LBB1002_369:
	s_or_b64 exec, exec, s[4:5]
	v_cmp_gt_u32_e64 s[0:1], s6, v37
	s_and_saveexec_b64 s[4:5], s[0:1]
	s_cbranch_execz .LBB1002_396
.LBB1002_370:
	s_waitcnt vmcnt(5)
	ds_write_b16 v16, v97 offset:256
	s_or_b64 exec, exec, s[4:5]
	v_cmp_gt_u32_e64 s[0:1], s6, v36
	s_and_saveexec_b64 s[4:5], s[0:1]
	s_cbranch_execnz .LBB1002_397
.LBB1002_371:
	s_or_b64 exec, exec, s[4:5]
	v_cmp_gt_u32_e64 s[0:1], s6, v35
	s_and_saveexec_b64 s[4:5], s[0:1]
	s_cbranch_execz .LBB1002_398
.LBB1002_372:
	s_waitcnt vmcnt(3)
	ds_write_b16 v14, v7 offset:256
	s_or_b64 exec, exec, s[4:5]
	v_cmp_gt_u32_e64 s[0:1], s6, v34
	s_and_saveexec_b64 s[4:5], s[0:1]
	s_cbranch_execnz .LBB1002_399
.LBB1002_373:
	s_or_b64 exec, exec, s[4:5]
	v_cmp_gt_u32_e64 s[0:1], s6, v33
	s_and_saveexec_b64 s[4:5], s[0:1]
	s_cbranch_execz .LBB1002_375
.LBB1002_374:
	s_waitcnt vmcnt(1)
	ds_write_b16 v12, v5 offset:256
.LBB1002_375:
	s_or_b64 exec, exec, s[4:5]
	v_sub_u32_e32 v0, 0, v0
	v_cmp_gt_u32_e64 s[0:1], s6, v32
	s_and_saveexec_b64 s[4:5], s[0:1]
	s_cbranch_execz .LBB1002_377
; %bb.376:
	s_waitcnt vmcnt(0)
	ds_write_b16 v3, v4 offset:256
.LBB1002_377:
	s_or_b64 exec, exec, s[4:5]
	s_waitcnt lgkmcnt(0)
	s_barrier
	s_waitcnt vmcnt(2)
	v_add_u32_e32 v6, v30, v0
	ds_read_b32 v0, v95
	ds_read_b32 v7, v92
	;; [unrolled: 1-line block ×8, first 2 shown]
	s_waitcnt lgkmcnt(7)
	v_add_u32_e32 v2, v0, v2
	v_mov_b32_e32 v3, 0
	s_waitcnt vmcnt(0)
	v_lshl_add_u64 v[4:5], v[2:3], 1, s[98:99]
	ds_read_u16 v0, v6 offset:256
	ds_read_u16 v18, v6 offset:1280
	ds_read_b32 v19, v1
	ds_read_b32 v8, v8
	;; [unrolled: 1-line block ×6, first 2 shown]
	s_waitcnt lgkmcnt(14)
	v_add_u32_e32 v2, v7, v65
	s_waitcnt lgkmcnt(7)
	global_store_short v[4:5], v0, off
	v_lshl_add_u64 v[0:1], v[2:3], 1, s[98:99]
	s_waitcnt lgkmcnt(6)
	global_store_short v[0:1], v18, off
	v_add_u32_e32 v2, v12, v66
	v_lshl_add_u64 v[0:1], v[2:3], 1, s[98:99]
	ds_read_u16 v2, v6 offset:2304
	ds_read_u16 v4, v6 offset:3328
	;; [unrolled: 1-line block ×8, first 2 shown]
	s_waitcnt lgkmcnt(7)
	global_store_short v[0:1], v2, off
	v_add_u32_e32 v2, v13, v58
	v_lshl_add_u64 v[0:1], v[2:3], 1, s[98:99]
	v_add_u32_e32 v2, v14, v60
	s_waitcnt lgkmcnt(6)
	global_store_short v[0:1], v4, off
	v_lshl_add_u64 v[0:1], v[2:3], 1, s[98:99]
	v_add_u32_e32 v2, v15, v61
	s_waitcnt lgkmcnt(5)
	global_store_short v[0:1], v5, off
	;; [unrolled: 4-line block ×4, first 2 shown]
	v_lshl_add_u64 v[0:1], v[2:3], 1, s[98:99]
	s_waitcnt lgkmcnt(2)
	global_store_short v[0:1], v18, off
	ds_read_b32 v0, v67
	ds_read_b32 v4, v68
	;; [unrolled: 1-line block ×8, first 2 shown]
	s_waitcnt lgkmcnt(7)
	v_add_u32_e32 v2, v0, v57
	v_lshl_add_u64 v[0:1], v[2:3], 1, s[98:99]
	s_waitcnt lgkmcnt(6)
	v_add_u32_e32 v2, v4, v83
	global_store_short v[0:1], v21, off
	v_lshl_add_u64 v[0:1], v[2:3], 1, s[98:99]
	global_store_short v[0:1], v22, off
	s_waitcnt lgkmcnt(5)
	v_add_u32_e32 v2, v5, v87
	v_lshl_add_u64 v[0:1], v[2:3], 1, s[98:99]
	ds_read_u16 v2, v6 offset:10496
	ds_read_u16 v4, v6 offset:11520
	;; [unrolled: 1-line block ×8, first 2 shown]
	s_waitcnt lgkmcnt(7)
	global_store_short v[0:1], v2, off
	v_add_u32_e32 v2, v7, v75
	v_lshl_add_u64 v[0:1], v[2:3], 1, s[98:99]
	v_add_u32_e32 v2, v12, v76
	s_waitcnt lgkmcnt(6)
	global_store_short v[0:1], v4, off
	v_lshl_add_u64 v[0:1], v[2:3], 1, s[98:99]
	v_add_u32_e32 v2, v13, v77
	s_waitcnt lgkmcnt(5)
	global_store_short v[0:1], v5, off
	;; [unrolled: 4-line block ×5, first 2 shown]
	v_lshl_add_u64 v[0:1], v[2:3], 1, s[98:99]
	v_add_u32_e32 v2, v8, v84
	ds_read_u16 v4, v6 offset:18688
	s_waitcnt lgkmcnt(2)
	global_store_short v[0:1], v21, off
	v_lshl_add_u64 v[0:1], v[2:3], 1, s[98:99]
	s_waitcnt lgkmcnt(1)
	global_store_short v[0:1], v22, off
	v_add_u32_e32 v2, v20, v85
	ds_read_u16 v5, v6 offset:19712
	ds_read_u16 v7, v6 offset:20736
	;; [unrolled: 1-line block ×3, first 2 shown]
	v_lshl_add_u64 v[0:1], v[2:3], 1, s[98:99]
	v_add_u32_e32 v2, v11, v80
	s_add_i32 s3, s3, -1
	s_waitcnt lgkmcnt(3)
	global_store_short v[0:1], v4, off
	v_lshl_add_u64 v[0:1], v[2:3], 1, s[98:99]
	v_add_u32_e32 v2, v10, v82
	s_cmp_eq_u32 s2, s3
	s_waitcnt lgkmcnt(2)
	global_store_short v[0:1], v5, off
	v_lshl_add_u64 v[0:1], v[2:3], 1, s[98:99]
	v_add_u32_e32 v2, v9, v86
	s_cselect_b64 s[0:1], -1, 0
	s_xor_b64 s[2:3], vcc, -1
	s_waitcnt lgkmcnt(1)
	global_store_short v[0:1], v7, off
	v_lshl_add_u64 v[0:1], v[2:3], 1, s[98:99]
	s_and_b64 s[0:1], s[2:3], s[0:1]
	s_waitcnt lgkmcnt(0)
	global_store_short v[0:1], v6, off
	s_and_saveexec_b64 s[2:3], s[0:1]
	s_cbranch_execz .LBB1002_379
; %bb.378:
	ds_read_b32 v0, v30
	v_readlane_b32 s0, v118, 0
	v_readlane_b32 s2, v118, 2
	;; [unrolled: 1-line block ×4, first 2 shown]
	s_waitcnt lgkmcnt(0)
	v_add3_u32 v0, v29, v31, v0
	s_nop 1
	global_store_dword v30, v0, s[2:3]
.LBB1002_379:
	s_endpgm
.LBB1002_380:
	s_or_b64 exec, exec, s[4:5]
	v_cmp_gt_u32_e64 s[0:1], s6, v59
	s_and_saveexec_b64 s[4:5], s[0:1]
	s_cbranch_execz .LBB1002_355
.LBB1002_381:
	s_waitcnt vmcnt(20)
	ds_write_b16 v52, v112 offset:256
	s_or_b64 exec, exec, s[4:5]
	v_cmp_gt_u32_e64 s[0:1], s6, v56
	s_and_saveexec_b64 s[4:5], s[0:1]
	s_cbranch_execnz .LBB1002_356
.LBB1002_382:
	s_or_b64 exec, exec, s[4:5]
	v_cmp_gt_u32_e64 s[0:1], s6, v53
	s_and_saveexec_b64 s[4:5], s[0:1]
	s_cbranch_execz .LBB1002_357
.LBB1002_383:
	s_waitcnt vmcnt(18)
	ds_write_b16 v49, v110 offset:256
	s_or_b64 exec, exec, s[4:5]
	v_cmp_gt_u32_e64 s[0:1], s6, v50
	s_and_saveexec_b64 s[4:5], s[0:1]
	s_cbranch_execnz .LBB1002_358
.LBB1002_384:
	s_or_b64 exec, exec, s[4:5]
	v_cmp_gt_u32_e64 s[0:1], s6, v48
	s_and_saveexec_b64 s[4:5], s[0:1]
	s_cbranch_execz .LBB1002_359
.LBB1002_385:
	s_waitcnt vmcnt(16)
	ds_write_b16 v27, v108 offset:256
	s_or_b64 exec, exec, s[4:5]
	v_cmp_gt_u32_e64 s[0:1], s6, v47
	s_and_saveexec_b64 s[4:5], s[0:1]
	s_cbranch_execnz .LBB1002_360
.LBB1002_386:
	s_or_b64 exec, exec, s[4:5]
	v_cmp_gt_u32_e64 s[0:1], s6, v46
	s_and_saveexec_b64 s[4:5], s[0:1]
	s_cbranch_execz .LBB1002_361
.LBB1002_387:
	s_waitcnt vmcnt(14)
	ds_write_b16 v25, v106 offset:256
	s_or_b64 exec, exec, s[4:5]
	v_cmp_gt_u32_e64 s[0:1], s6, v45
	s_and_saveexec_b64 s[4:5], s[0:1]
	s_cbranch_execnz .LBB1002_362
.LBB1002_388:
	s_or_b64 exec, exec, s[4:5]
	v_cmp_gt_u32_e64 s[0:1], s6, v44
	s_and_saveexec_b64 s[4:5], s[0:1]
	s_cbranch_execz .LBB1002_363
.LBB1002_389:
	s_waitcnt vmcnt(12)
	ds_write_b16 v23, v104 offset:256
	s_or_b64 exec, exec, s[4:5]
	v_cmp_gt_u32_e64 s[0:1], s6, v43
	s_and_saveexec_b64 s[4:5], s[0:1]
	s_cbranch_execnz .LBB1002_364
.LBB1002_390:
	s_or_b64 exec, exec, s[4:5]
	v_cmp_gt_u32_e64 s[0:1], s6, v42
	s_and_saveexec_b64 s[4:5], s[0:1]
	s_cbranch_execz .LBB1002_365
.LBB1002_391:
	s_waitcnt vmcnt(10)
	ds_write_b16 v21, v102 offset:256
	s_or_b64 exec, exec, s[4:5]
	v_cmp_gt_u32_e64 s[0:1], s6, v41
	s_and_saveexec_b64 s[4:5], s[0:1]
	s_cbranch_execnz .LBB1002_366
.LBB1002_392:
	s_or_b64 exec, exec, s[4:5]
	v_cmp_gt_u32_e64 s[0:1], s6, v40
	s_and_saveexec_b64 s[4:5], s[0:1]
	s_cbranch_execz .LBB1002_367
.LBB1002_393:
	s_waitcnt vmcnt(8)
	ds_write_b16 v19, v100 offset:256
	s_or_b64 exec, exec, s[4:5]
	v_cmp_gt_u32_e64 s[0:1], s6, v39
	s_and_saveexec_b64 s[4:5], s[0:1]
	s_cbranch_execnz .LBB1002_368
.LBB1002_394:
	s_or_b64 exec, exec, s[4:5]
	v_cmp_gt_u32_e64 s[0:1], s6, v38
	s_and_saveexec_b64 s[4:5], s[0:1]
	s_cbranch_execz .LBB1002_369
.LBB1002_395:
	s_waitcnt vmcnt(6)
	ds_write_b16 v17, v98 offset:256
	s_or_b64 exec, exec, s[4:5]
	v_cmp_gt_u32_e64 s[0:1], s6, v37
	s_and_saveexec_b64 s[4:5], s[0:1]
	s_cbranch_execnz .LBB1002_370
.LBB1002_396:
	s_or_b64 exec, exec, s[4:5]
	v_cmp_gt_u32_e64 s[0:1], s6, v36
	s_and_saveexec_b64 s[4:5], s[0:1]
	s_cbranch_execz .LBB1002_371
.LBB1002_397:
	s_waitcnt vmcnt(4)
	ds_write_b16 v15, v96 offset:256
	s_or_b64 exec, exec, s[4:5]
	v_cmp_gt_u32_e64 s[0:1], s6, v35
	s_and_saveexec_b64 s[4:5], s[0:1]
	s_cbranch_execnz .LBB1002_372
.LBB1002_398:
	s_or_b64 exec, exec, s[4:5]
	v_cmp_gt_u32_e64 s[0:1], s6, v34
	s_and_saveexec_b64 s[4:5], s[0:1]
	s_cbranch_execz .LBB1002_373
.LBB1002_399:
	s_waitcnt vmcnt(2)
	ds_write_b16 v13, v6 offset:256
	s_or_b64 exec, exec, s[4:5]
	v_cmp_gt_u32_e64 s[0:1], s6, v33
	s_and_saveexec_b64 s[4:5], s[0:1]
	s_cbranch_execnz .LBB1002_374
	s_branch .LBB1002_375
	.section	.rodata,"a",@progbits
	.p2align	6, 0x0
	.amdhsa_kernel _ZN7rocprim17ROCPRIM_400000_NS6detail17trampoline_kernelINS0_14default_configENS1_35radix_sort_onesweep_config_selectorIttEEZZNS1_29radix_sort_onesweep_iterationIS3_Lb0EN6thrust23THRUST_200600_302600_NS6detail15normal_iteratorINS8_10device_ptrItEEEESD_SD_SD_jNS0_19identity_decomposerENS1_16block_id_wrapperIjLb0EEEEE10hipError_tT1_PNSt15iterator_traitsISI_E10value_typeET2_T3_PNSJ_ISO_E10value_typeET4_T5_PST_SU_PNS1_23onesweep_lookback_stateEbbT6_jjT7_P12ihipStream_tbENKUlT_T0_SI_SN_E_clISD_SD_SD_SD_EEDaS11_S12_SI_SN_EUlS11_E_NS1_11comp_targetILNS1_3genE6ELNS1_11target_archE950ELNS1_3gpuE13ELNS1_3repE0EEENS1_47radix_sort_onesweep_sort_config_static_selectorELNS0_4arch9wavefront6targetE1EEEvSI_
		.amdhsa_group_segment_fixed_size 22792
		.amdhsa_private_segment_fixed_size 0
		.amdhsa_kernarg_size 344
		.amdhsa_user_sgpr_count 2
		.amdhsa_user_sgpr_dispatch_ptr 0
		.amdhsa_user_sgpr_queue_ptr 0
		.amdhsa_user_sgpr_kernarg_segment_ptr 1
		.amdhsa_user_sgpr_dispatch_id 0
		.amdhsa_user_sgpr_kernarg_preload_length 0
		.amdhsa_user_sgpr_kernarg_preload_offset 0
		.amdhsa_user_sgpr_private_segment_size 0
		.amdhsa_uses_dynamic_stack 0
		.amdhsa_enable_private_segment 0
		.amdhsa_system_sgpr_workgroup_id_x 1
		.amdhsa_system_sgpr_workgroup_id_y 0
		.amdhsa_system_sgpr_workgroup_id_z 0
		.amdhsa_system_sgpr_workgroup_info 0
		.amdhsa_system_vgpr_workitem_id 2
		.amdhsa_next_free_vgpr 119
		.amdhsa_next_free_sgpr 100
		.amdhsa_accum_offset 120
		.amdhsa_reserve_vcc 1
		.amdhsa_float_round_mode_32 0
		.amdhsa_float_round_mode_16_64 0
		.amdhsa_float_denorm_mode_32 3
		.amdhsa_float_denorm_mode_16_64 3
		.amdhsa_dx10_clamp 1
		.amdhsa_ieee_mode 1
		.amdhsa_fp16_overflow 0
		.amdhsa_tg_split 0
		.amdhsa_exception_fp_ieee_invalid_op 0
		.amdhsa_exception_fp_denorm_src 0
		.amdhsa_exception_fp_ieee_div_zero 0
		.amdhsa_exception_fp_ieee_overflow 0
		.amdhsa_exception_fp_ieee_underflow 0
		.amdhsa_exception_fp_ieee_inexact 0
		.amdhsa_exception_int_div_zero 0
	.end_amdhsa_kernel
	.section	.text._ZN7rocprim17ROCPRIM_400000_NS6detail17trampoline_kernelINS0_14default_configENS1_35radix_sort_onesweep_config_selectorIttEEZZNS1_29radix_sort_onesweep_iterationIS3_Lb0EN6thrust23THRUST_200600_302600_NS6detail15normal_iteratorINS8_10device_ptrItEEEESD_SD_SD_jNS0_19identity_decomposerENS1_16block_id_wrapperIjLb0EEEEE10hipError_tT1_PNSt15iterator_traitsISI_E10value_typeET2_T3_PNSJ_ISO_E10value_typeET4_T5_PST_SU_PNS1_23onesweep_lookback_stateEbbT6_jjT7_P12ihipStream_tbENKUlT_T0_SI_SN_E_clISD_SD_SD_SD_EEDaS11_S12_SI_SN_EUlS11_E_NS1_11comp_targetILNS1_3genE6ELNS1_11target_archE950ELNS1_3gpuE13ELNS1_3repE0EEENS1_47radix_sort_onesweep_sort_config_static_selectorELNS0_4arch9wavefront6targetE1EEEvSI_,"axG",@progbits,_ZN7rocprim17ROCPRIM_400000_NS6detail17trampoline_kernelINS0_14default_configENS1_35radix_sort_onesweep_config_selectorIttEEZZNS1_29radix_sort_onesweep_iterationIS3_Lb0EN6thrust23THRUST_200600_302600_NS6detail15normal_iteratorINS8_10device_ptrItEEEESD_SD_SD_jNS0_19identity_decomposerENS1_16block_id_wrapperIjLb0EEEEE10hipError_tT1_PNSt15iterator_traitsISI_E10value_typeET2_T3_PNSJ_ISO_E10value_typeET4_T5_PST_SU_PNS1_23onesweep_lookback_stateEbbT6_jjT7_P12ihipStream_tbENKUlT_T0_SI_SN_E_clISD_SD_SD_SD_EEDaS11_S12_SI_SN_EUlS11_E_NS1_11comp_targetILNS1_3genE6ELNS1_11target_archE950ELNS1_3gpuE13ELNS1_3repE0EEENS1_47radix_sort_onesweep_sort_config_static_selectorELNS0_4arch9wavefront6targetE1EEEvSI_,comdat
.Lfunc_end1002:
	.size	_ZN7rocprim17ROCPRIM_400000_NS6detail17trampoline_kernelINS0_14default_configENS1_35radix_sort_onesweep_config_selectorIttEEZZNS1_29radix_sort_onesweep_iterationIS3_Lb0EN6thrust23THRUST_200600_302600_NS6detail15normal_iteratorINS8_10device_ptrItEEEESD_SD_SD_jNS0_19identity_decomposerENS1_16block_id_wrapperIjLb0EEEEE10hipError_tT1_PNSt15iterator_traitsISI_E10value_typeET2_T3_PNSJ_ISO_E10value_typeET4_T5_PST_SU_PNS1_23onesweep_lookback_stateEbbT6_jjT7_P12ihipStream_tbENKUlT_T0_SI_SN_E_clISD_SD_SD_SD_EEDaS11_S12_SI_SN_EUlS11_E_NS1_11comp_targetILNS1_3genE6ELNS1_11target_archE950ELNS1_3gpuE13ELNS1_3repE0EEENS1_47radix_sort_onesweep_sort_config_static_selectorELNS0_4arch9wavefront6targetE1EEEvSI_, .Lfunc_end1002-_ZN7rocprim17ROCPRIM_400000_NS6detail17trampoline_kernelINS0_14default_configENS1_35radix_sort_onesweep_config_selectorIttEEZZNS1_29radix_sort_onesweep_iterationIS3_Lb0EN6thrust23THRUST_200600_302600_NS6detail15normal_iteratorINS8_10device_ptrItEEEESD_SD_SD_jNS0_19identity_decomposerENS1_16block_id_wrapperIjLb0EEEEE10hipError_tT1_PNSt15iterator_traitsISI_E10value_typeET2_T3_PNSJ_ISO_E10value_typeET4_T5_PST_SU_PNS1_23onesweep_lookback_stateEbbT6_jjT7_P12ihipStream_tbENKUlT_T0_SI_SN_E_clISD_SD_SD_SD_EEDaS11_S12_SI_SN_EUlS11_E_NS1_11comp_targetILNS1_3genE6ELNS1_11target_archE950ELNS1_3gpuE13ELNS1_3repE0EEENS1_47radix_sort_onesweep_sort_config_static_selectorELNS0_4arch9wavefront6targetE1EEEvSI_
                                        ; -- End function
	.set _ZN7rocprim17ROCPRIM_400000_NS6detail17trampoline_kernelINS0_14default_configENS1_35radix_sort_onesweep_config_selectorIttEEZZNS1_29radix_sort_onesweep_iterationIS3_Lb0EN6thrust23THRUST_200600_302600_NS6detail15normal_iteratorINS8_10device_ptrItEEEESD_SD_SD_jNS0_19identity_decomposerENS1_16block_id_wrapperIjLb0EEEEE10hipError_tT1_PNSt15iterator_traitsISI_E10value_typeET2_T3_PNSJ_ISO_E10value_typeET4_T5_PST_SU_PNS1_23onesweep_lookback_stateEbbT6_jjT7_P12ihipStream_tbENKUlT_T0_SI_SN_E_clISD_SD_SD_SD_EEDaS11_S12_SI_SN_EUlS11_E_NS1_11comp_targetILNS1_3genE6ELNS1_11target_archE950ELNS1_3gpuE13ELNS1_3repE0EEENS1_47radix_sort_onesweep_sort_config_static_selectorELNS0_4arch9wavefront6targetE1EEEvSI_.num_vgpr, 119
	.set _ZN7rocprim17ROCPRIM_400000_NS6detail17trampoline_kernelINS0_14default_configENS1_35radix_sort_onesweep_config_selectorIttEEZZNS1_29radix_sort_onesweep_iterationIS3_Lb0EN6thrust23THRUST_200600_302600_NS6detail15normal_iteratorINS8_10device_ptrItEEEESD_SD_SD_jNS0_19identity_decomposerENS1_16block_id_wrapperIjLb0EEEEE10hipError_tT1_PNSt15iterator_traitsISI_E10value_typeET2_T3_PNSJ_ISO_E10value_typeET4_T5_PST_SU_PNS1_23onesweep_lookback_stateEbbT6_jjT7_P12ihipStream_tbENKUlT_T0_SI_SN_E_clISD_SD_SD_SD_EEDaS11_S12_SI_SN_EUlS11_E_NS1_11comp_targetILNS1_3genE6ELNS1_11target_archE950ELNS1_3gpuE13ELNS1_3repE0EEENS1_47radix_sort_onesweep_sort_config_static_selectorELNS0_4arch9wavefront6targetE1EEEvSI_.num_agpr, 0
	.set _ZN7rocprim17ROCPRIM_400000_NS6detail17trampoline_kernelINS0_14default_configENS1_35radix_sort_onesweep_config_selectorIttEEZZNS1_29radix_sort_onesweep_iterationIS3_Lb0EN6thrust23THRUST_200600_302600_NS6detail15normal_iteratorINS8_10device_ptrItEEEESD_SD_SD_jNS0_19identity_decomposerENS1_16block_id_wrapperIjLb0EEEEE10hipError_tT1_PNSt15iterator_traitsISI_E10value_typeET2_T3_PNSJ_ISO_E10value_typeET4_T5_PST_SU_PNS1_23onesweep_lookback_stateEbbT6_jjT7_P12ihipStream_tbENKUlT_T0_SI_SN_E_clISD_SD_SD_SD_EEDaS11_S12_SI_SN_EUlS11_E_NS1_11comp_targetILNS1_3genE6ELNS1_11target_archE950ELNS1_3gpuE13ELNS1_3repE0EEENS1_47radix_sort_onesweep_sort_config_static_selectorELNS0_4arch9wavefront6targetE1EEEvSI_.numbered_sgpr, 100
	.set _ZN7rocprim17ROCPRIM_400000_NS6detail17trampoline_kernelINS0_14default_configENS1_35radix_sort_onesweep_config_selectorIttEEZZNS1_29radix_sort_onesweep_iterationIS3_Lb0EN6thrust23THRUST_200600_302600_NS6detail15normal_iteratorINS8_10device_ptrItEEEESD_SD_SD_jNS0_19identity_decomposerENS1_16block_id_wrapperIjLb0EEEEE10hipError_tT1_PNSt15iterator_traitsISI_E10value_typeET2_T3_PNSJ_ISO_E10value_typeET4_T5_PST_SU_PNS1_23onesweep_lookback_stateEbbT6_jjT7_P12ihipStream_tbENKUlT_T0_SI_SN_E_clISD_SD_SD_SD_EEDaS11_S12_SI_SN_EUlS11_E_NS1_11comp_targetILNS1_3genE6ELNS1_11target_archE950ELNS1_3gpuE13ELNS1_3repE0EEENS1_47radix_sort_onesweep_sort_config_static_selectorELNS0_4arch9wavefront6targetE1EEEvSI_.num_named_barrier, 0
	.set _ZN7rocprim17ROCPRIM_400000_NS6detail17trampoline_kernelINS0_14default_configENS1_35radix_sort_onesweep_config_selectorIttEEZZNS1_29radix_sort_onesweep_iterationIS3_Lb0EN6thrust23THRUST_200600_302600_NS6detail15normal_iteratorINS8_10device_ptrItEEEESD_SD_SD_jNS0_19identity_decomposerENS1_16block_id_wrapperIjLb0EEEEE10hipError_tT1_PNSt15iterator_traitsISI_E10value_typeET2_T3_PNSJ_ISO_E10value_typeET4_T5_PST_SU_PNS1_23onesweep_lookback_stateEbbT6_jjT7_P12ihipStream_tbENKUlT_T0_SI_SN_E_clISD_SD_SD_SD_EEDaS11_S12_SI_SN_EUlS11_E_NS1_11comp_targetILNS1_3genE6ELNS1_11target_archE950ELNS1_3gpuE13ELNS1_3repE0EEENS1_47radix_sort_onesweep_sort_config_static_selectorELNS0_4arch9wavefront6targetE1EEEvSI_.private_seg_size, 0
	.set _ZN7rocprim17ROCPRIM_400000_NS6detail17trampoline_kernelINS0_14default_configENS1_35radix_sort_onesweep_config_selectorIttEEZZNS1_29radix_sort_onesweep_iterationIS3_Lb0EN6thrust23THRUST_200600_302600_NS6detail15normal_iteratorINS8_10device_ptrItEEEESD_SD_SD_jNS0_19identity_decomposerENS1_16block_id_wrapperIjLb0EEEEE10hipError_tT1_PNSt15iterator_traitsISI_E10value_typeET2_T3_PNSJ_ISO_E10value_typeET4_T5_PST_SU_PNS1_23onesweep_lookback_stateEbbT6_jjT7_P12ihipStream_tbENKUlT_T0_SI_SN_E_clISD_SD_SD_SD_EEDaS11_S12_SI_SN_EUlS11_E_NS1_11comp_targetILNS1_3genE6ELNS1_11target_archE950ELNS1_3gpuE13ELNS1_3repE0EEENS1_47radix_sort_onesweep_sort_config_static_selectorELNS0_4arch9wavefront6targetE1EEEvSI_.uses_vcc, 1
	.set _ZN7rocprim17ROCPRIM_400000_NS6detail17trampoline_kernelINS0_14default_configENS1_35radix_sort_onesweep_config_selectorIttEEZZNS1_29radix_sort_onesweep_iterationIS3_Lb0EN6thrust23THRUST_200600_302600_NS6detail15normal_iteratorINS8_10device_ptrItEEEESD_SD_SD_jNS0_19identity_decomposerENS1_16block_id_wrapperIjLb0EEEEE10hipError_tT1_PNSt15iterator_traitsISI_E10value_typeET2_T3_PNSJ_ISO_E10value_typeET4_T5_PST_SU_PNS1_23onesweep_lookback_stateEbbT6_jjT7_P12ihipStream_tbENKUlT_T0_SI_SN_E_clISD_SD_SD_SD_EEDaS11_S12_SI_SN_EUlS11_E_NS1_11comp_targetILNS1_3genE6ELNS1_11target_archE950ELNS1_3gpuE13ELNS1_3repE0EEENS1_47radix_sort_onesweep_sort_config_static_selectorELNS0_4arch9wavefront6targetE1EEEvSI_.uses_flat_scratch, 0
	.set _ZN7rocprim17ROCPRIM_400000_NS6detail17trampoline_kernelINS0_14default_configENS1_35radix_sort_onesweep_config_selectorIttEEZZNS1_29radix_sort_onesweep_iterationIS3_Lb0EN6thrust23THRUST_200600_302600_NS6detail15normal_iteratorINS8_10device_ptrItEEEESD_SD_SD_jNS0_19identity_decomposerENS1_16block_id_wrapperIjLb0EEEEE10hipError_tT1_PNSt15iterator_traitsISI_E10value_typeET2_T3_PNSJ_ISO_E10value_typeET4_T5_PST_SU_PNS1_23onesweep_lookback_stateEbbT6_jjT7_P12ihipStream_tbENKUlT_T0_SI_SN_E_clISD_SD_SD_SD_EEDaS11_S12_SI_SN_EUlS11_E_NS1_11comp_targetILNS1_3genE6ELNS1_11target_archE950ELNS1_3gpuE13ELNS1_3repE0EEENS1_47radix_sort_onesweep_sort_config_static_selectorELNS0_4arch9wavefront6targetE1EEEvSI_.has_dyn_sized_stack, 0
	.set _ZN7rocprim17ROCPRIM_400000_NS6detail17trampoline_kernelINS0_14default_configENS1_35radix_sort_onesweep_config_selectorIttEEZZNS1_29radix_sort_onesweep_iterationIS3_Lb0EN6thrust23THRUST_200600_302600_NS6detail15normal_iteratorINS8_10device_ptrItEEEESD_SD_SD_jNS0_19identity_decomposerENS1_16block_id_wrapperIjLb0EEEEE10hipError_tT1_PNSt15iterator_traitsISI_E10value_typeET2_T3_PNSJ_ISO_E10value_typeET4_T5_PST_SU_PNS1_23onesweep_lookback_stateEbbT6_jjT7_P12ihipStream_tbENKUlT_T0_SI_SN_E_clISD_SD_SD_SD_EEDaS11_S12_SI_SN_EUlS11_E_NS1_11comp_targetILNS1_3genE6ELNS1_11target_archE950ELNS1_3gpuE13ELNS1_3repE0EEENS1_47radix_sort_onesweep_sort_config_static_selectorELNS0_4arch9wavefront6targetE1EEEvSI_.has_recursion, 0
	.set _ZN7rocprim17ROCPRIM_400000_NS6detail17trampoline_kernelINS0_14default_configENS1_35radix_sort_onesweep_config_selectorIttEEZZNS1_29radix_sort_onesweep_iterationIS3_Lb0EN6thrust23THRUST_200600_302600_NS6detail15normal_iteratorINS8_10device_ptrItEEEESD_SD_SD_jNS0_19identity_decomposerENS1_16block_id_wrapperIjLb0EEEEE10hipError_tT1_PNSt15iterator_traitsISI_E10value_typeET2_T3_PNSJ_ISO_E10value_typeET4_T5_PST_SU_PNS1_23onesweep_lookback_stateEbbT6_jjT7_P12ihipStream_tbENKUlT_T0_SI_SN_E_clISD_SD_SD_SD_EEDaS11_S12_SI_SN_EUlS11_E_NS1_11comp_targetILNS1_3genE6ELNS1_11target_archE950ELNS1_3gpuE13ELNS1_3repE0EEENS1_47radix_sort_onesweep_sort_config_static_selectorELNS0_4arch9wavefront6targetE1EEEvSI_.has_indirect_call, 0
	.section	.AMDGPU.csdata,"",@progbits
; Kernel info:
; codeLenInByte = 29988
; TotalNumSgprs: 106
; NumVgprs: 119
; NumAgprs: 0
; TotalNumVgprs: 119
; ScratchSize: 0
; MemoryBound: 0
; FloatMode: 240
; IeeeMode: 1
; LDSByteSize: 22792 bytes/workgroup (compile time only)
; SGPRBlocks: 13
; VGPRBlocks: 14
; NumSGPRsForWavesPerEU: 106
; NumVGPRsForWavesPerEU: 119
; AccumOffset: 120
; Occupancy: 4
; WaveLimiterHint : 1
; COMPUTE_PGM_RSRC2:SCRATCH_EN: 0
; COMPUTE_PGM_RSRC2:USER_SGPR: 2
; COMPUTE_PGM_RSRC2:TRAP_HANDLER: 0
; COMPUTE_PGM_RSRC2:TGID_X_EN: 1
; COMPUTE_PGM_RSRC2:TGID_Y_EN: 0
; COMPUTE_PGM_RSRC2:TGID_Z_EN: 0
; COMPUTE_PGM_RSRC2:TIDIG_COMP_CNT: 2
; COMPUTE_PGM_RSRC3_GFX90A:ACCUM_OFFSET: 29
; COMPUTE_PGM_RSRC3_GFX90A:TG_SPLIT: 0
	.section	.text._ZN7rocprim17ROCPRIM_400000_NS6detail17trampoline_kernelINS0_14default_configENS1_35radix_sort_onesweep_config_selectorIttEEZZNS1_29radix_sort_onesweep_iterationIS3_Lb0EN6thrust23THRUST_200600_302600_NS6detail15normal_iteratorINS8_10device_ptrItEEEESD_SD_SD_jNS0_19identity_decomposerENS1_16block_id_wrapperIjLb0EEEEE10hipError_tT1_PNSt15iterator_traitsISI_E10value_typeET2_T3_PNSJ_ISO_E10value_typeET4_T5_PST_SU_PNS1_23onesweep_lookback_stateEbbT6_jjT7_P12ihipStream_tbENKUlT_T0_SI_SN_E_clISD_SD_SD_SD_EEDaS11_S12_SI_SN_EUlS11_E_NS1_11comp_targetILNS1_3genE5ELNS1_11target_archE942ELNS1_3gpuE9ELNS1_3repE0EEENS1_47radix_sort_onesweep_sort_config_static_selectorELNS0_4arch9wavefront6targetE1EEEvSI_,"axG",@progbits,_ZN7rocprim17ROCPRIM_400000_NS6detail17trampoline_kernelINS0_14default_configENS1_35radix_sort_onesweep_config_selectorIttEEZZNS1_29radix_sort_onesweep_iterationIS3_Lb0EN6thrust23THRUST_200600_302600_NS6detail15normal_iteratorINS8_10device_ptrItEEEESD_SD_SD_jNS0_19identity_decomposerENS1_16block_id_wrapperIjLb0EEEEE10hipError_tT1_PNSt15iterator_traitsISI_E10value_typeET2_T3_PNSJ_ISO_E10value_typeET4_T5_PST_SU_PNS1_23onesweep_lookback_stateEbbT6_jjT7_P12ihipStream_tbENKUlT_T0_SI_SN_E_clISD_SD_SD_SD_EEDaS11_S12_SI_SN_EUlS11_E_NS1_11comp_targetILNS1_3genE5ELNS1_11target_archE942ELNS1_3gpuE9ELNS1_3repE0EEENS1_47radix_sort_onesweep_sort_config_static_selectorELNS0_4arch9wavefront6targetE1EEEvSI_,comdat
	.protected	_ZN7rocprim17ROCPRIM_400000_NS6detail17trampoline_kernelINS0_14default_configENS1_35radix_sort_onesweep_config_selectorIttEEZZNS1_29radix_sort_onesweep_iterationIS3_Lb0EN6thrust23THRUST_200600_302600_NS6detail15normal_iteratorINS8_10device_ptrItEEEESD_SD_SD_jNS0_19identity_decomposerENS1_16block_id_wrapperIjLb0EEEEE10hipError_tT1_PNSt15iterator_traitsISI_E10value_typeET2_T3_PNSJ_ISO_E10value_typeET4_T5_PST_SU_PNS1_23onesweep_lookback_stateEbbT6_jjT7_P12ihipStream_tbENKUlT_T0_SI_SN_E_clISD_SD_SD_SD_EEDaS11_S12_SI_SN_EUlS11_E_NS1_11comp_targetILNS1_3genE5ELNS1_11target_archE942ELNS1_3gpuE9ELNS1_3repE0EEENS1_47radix_sort_onesweep_sort_config_static_selectorELNS0_4arch9wavefront6targetE1EEEvSI_ ; -- Begin function _ZN7rocprim17ROCPRIM_400000_NS6detail17trampoline_kernelINS0_14default_configENS1_35radix_sort_onesweep_config_selectorIttEEZZNS1_29radix_sort_onesweep_iterationIS3_Lb0EN6thrust23THRUST_200600_302600_NS6detail15normal_iteratorINS8_10device_ptrItEEEESD_SD_SD_jNS0_19identity_decomposerENS1_16block_id_wrapperIjLb0EEEEE10hipError_tT1_PNSt15iterator_traitsISI_E10value_typeET2_T3_PNSJ_ISO_E10value_typeET4_T5_PST_SU_PNS1_23onesweep_lookback_stateEbbT6_jjT7_P12ihipStream_tbENKUlT_T0_SI_SN_E_clISD_SD_SD_SD_EEDaS11_S12_SI_SN_EUlS11_E_NS1_11comp_targetILNS1_3genE5ELNS1_11target_archE942ELNS1_3gpuE9ELNS1_3repE0EEENS1_47radix_sort_onesweep_sort_config_static_selectorELNS0_4arch9wavefront6targetE1EEEvSI_
	.globl	_ZN7rocprim17ROCPRIM_400000_NS6detail17trampoline_kernelINS0_14default_configENS1_35radix_sort_onesweep_config_selectorIttEEZZNS1_29radix_sort_onesweep_iterationIS3_Lb0EN6thrust23THRUST_200600_302600_NS6detail15normal_iteratorINS8_10device_ptrItEEEESD_SD_SD_jNS0_19identity_decomposerENS1_16block_id_wrapperIjLb0EEEEE10hipError_tT1_PNSt15iterator_traitsISI_E10value_typeET2_T3_PNSJ_ISO_E10value_typeET4_T5_PST_SU_PNS1_23onesweep_lookback_stateEbbT6_jjT7_P12ihipStream_tbENKUlT_T0_SI_SN_E_clISD_SD_SD_SD_EEDaS11_S12_SI_SN_EUlS11_E_NS1_11comp_targetILNS1_3genE5ELNS1_11target_archE942ELNS1_3gpuE9ELNS1_3repE0EEENS1_47radix_sort_onesweep_sort_config_static_selectorELNS0_4arch9wavefront6targetE1EEEvSI_
	.p2align	8
	.type	_ZN7rocprim17ROCPRIM_400000_NS6detail17trampoline_kernelINS0_14default_configENS1_35radix_sort_onesweep_config_selectorIttEEZZNS1_29radix_sort_onesweep_iterationIS3_Lb0EN6thrust23THRUST_200600_302600_NS6detail15normal_iteratorINS8_10device_ptrItEEEESD_SD_SD_jNS0_19identity_decomposerENS1_16block_id_wrapperIjLb0EEEEE10hipError_tT1_PNSt15iterator_traitsISI_E10value_typeET2_T3_PNSJ_ISO_E10value_typeET4_T5_PST_SU_PNS1_23onesweep_lookback_stateEbbT6_jjT7_P12ihipStream_tbENKUlT_T0_SI_SN_E_clISD_SD_SD_SD_EEDaS11_S12_SI_SN_EUlS11_E_NS1_11comp_targetILNS1_3genE5ELNS1_11target_archE942ELNS1_3gpuE9ELNS1_3repE0EEENS1_47radix_sort_onesweep_sort_config_static_selectorELNS0_4arch9wavefront6targetE1EEEvSI_,@function
_ZN7rocprim17ROCPRIM_400000_NS6detail17trampoline_kernelINS0_14default_configENS1_35radix_sort_onesweep_config_selectorIttEEZZNS1_29radix_sort_onesweep_iterationIS3_Lb0EN6thrust23THRUST_200600_302600_NS6detail15normal_iteratorINS8_10device_ptrItEEEESD_SD_SD_jNS0_19identity_decomposerENS1_16block_id_wrapperIjLb0EEEEE10hipError_tT1_PNSt15iterator_traitsISI_E10value_typeET2_T3_PNSJ_ISO_E10value_typeET4_T5_PST_SU_PNS1_23onesweep_lookback_stateEbbT6_jjT7_P12ihipStream_tbENKUlT_T0_SI_SN_E_clISD_SD_SD_SD_EEDaS11_S12_SI_SN_EUlS11_E_NS1_11comp_targetILNS1_3genE5ELNS1_11target_archE942ELNS1_3gpuE9ELNS1_3repE0EEENS1_47radix_sort_onesweep_sort_config_static_selectorELNS0_4arch9wavefront6targetE1EEEvSI_: ; @_ZN7rocprim17ROCPRIM_400000_NS6detail17trampoline_kernelINS0_14default_configENS1_35radix_sort_onesweep_config_selectorIttEEZZNS1_29radix_sort_onesweep_iterationIS3_Lb0EN6thrust23THRUST_200600_302600_NS6detail15normal_iteratorINS8_10device_ptrItEEEESD_SD_SD_jNS0_19identity_decomposerENS1_16block_id_wrapperIjLb0EEEEE10hipError_tT1_PNSt15iterator_traitsISI_E10value_typeET2_T3_PNSJ_ISO_E10value_typeET4_T5_PST_SU_PNS1_23onesweep_lookback_stateEbbT6_jjT7_P12ihipStream_tbENKUlT_T0_SI_SN_E_clISD_SD_SD_SD_EEDaS11_S12_SI_SN_EUlS11_E_NS1_11comp_targetILNS1_3genE5ELNS1_11target_archE942ELNS1_3gpuE9ELNS1_3repE0EEENS1_47radix_sort_onesweep_sort_config_static_selectorELNS0_4arch9wavefront6targetE1EEEvSI_
; %bb.0:
	.section	.rodata,"a",@progbits
	.p2align	6, 0x0
	.amdhsa_kernel _ZN7rocprim17ROCPRIM_400000_NS6detail17trampoline_kernelINS0_14default_configENS1_35radix_sort_onesweep_config_selectorIttEEZZNS1_29radix_sort_onesweep_iterationIS3_Lb0EN6thrust23THRUST_200600_302600_NS6detail15normal_iteratorINS8_10device_ptrItEEEESD_SD_SD_jNS0_19identity_decomposerENS1_16block_id_wrapperIjLb0EEEEE10hipError_tT1_PNSt15iterator_traitsISI_E10value_typeET2_T3_PNSJ_ISO_E10value_typeET4_T5_PST_SU_PNS1_23onesweep_lookback_stateEbbT6_jjT7_P12ihipStream_tbENKUlT_T0_SI_SN_E_clISD_SD_SD_SD_EEDaS11_S12_SI_SN_EUlS11_E_NS1_11comp_targetILNS1_3genE5ELNS1_11target_archE942ELNS1_3gpuE9ELNS1_3repE0EEENS1_47radix_sort_onesweep_sort_config_static_selectorELNS0_4arch9wavefront6targetE1EEEvSI_
		.amdhsa_group_segment_fixed_size 0
		.amdhsa_private_segment_fixed_size 0
		.amdhsa_kernarg_size 88
		.amdhsa_user_sgpr_count 2
		.amdhsa_user_sgpr_dispatch_ptr 0
		.amdhsa_user_sgpr_queue_ptr 0
		.amdhsa_user_sgpr_kernarg_segment_ptr 1
		.amdhsa_user_sgpr_dispatch_id 0
		.amdhsa_user_sgpr_kernarg_preload_length 0
		.amdhsa_user_sgpr_kernarg_preload_offset 0
		.amdhsa_user_sgpr_private_segment_size 0
		.amdhsa_uses_dynamic_stack 0
		.amdhsa_enable_private_segment 0
		.amdhsa_system_sgpr_workgroup_id_x 1
		.amdhsa_system_sgpr_workgroup_id_y 0
		.amdhsa_system_sgpr_workgroup_id_z 0
		.amdhsa_system_sgpr_workgroup_info 0
		.amdhsa_system_vgpr_workitem_id 0
		.amdhsa_next_free_vgpr 1
		.amdhsa_next_free_sgpr 0
		.amdhsa_accum_offset 4
		.amdhsa_reserve_vcc 0
		.amdhsa_float_round_mode_32 0
		.amdhsa_float_round_mode_16_64 0
		.amdhsa_float_denorm_mode_32 3
		.amdhsa_float_denorm_mode_16_64 3
		.amdhsa_dx10_clamp 1
		.amdhsa_ieee_mode 1
		.amdhsa_fp16_overflow 0
		.amdhsa_tg_split 0
		.amdhsa_exception_fp_ieee_invalid_op 0
		.amdhsa_exception_fp_denorm_src 0
		.amdhsa_exception_fp_ieee_div_zero 0
		.amdhsa_exception_fp_ieee_overflow 0
		.amdhsa_exception_fp_ieee_underflow 0
		.amdhsa_exception_fp_ieee_inexact 0
		.amdhsa_exception_int_div_zero 0
	.end_amdhsa_kernel
	.section	.text._ZN7rocprim17ROCPRIM_400000_NS6detail17trampoline_kernelINS0_14default_configENS1_35radix_sort_onesweep_config_selectorIttEEZZNS1_29radix_sort_onesweep_iterationIS3_Lb0EN6thrust23THRUST_200600_302600_NS6detail15normal_iteratorINS8_10device_ptrItEEEESD_SD_SD_jNS0_19identity_decomposerENS1_16block_id_wrapperIjLb0EEEEE10hipError_tT1_PNSt15iterator_traitsISI_E10value_typeET2_T3_PNSJ_ISO_E10value_typeET4_T5_PST_SU_PNS1_23onesweep_lookback_stateEbbT6_jjT7_P12ihipStream_tbENKUlT_T0_SI_SN_E_clISD_SD_SD_SD_EEDaS11_S12_SI_SN_EUlS11_E_NS1_11comp_targetILNS1_3genE5ELNS1_11target_archE942ELNS1_3gpuE9ELNS1_3repE0EEENS1_47radix_sort_onesweep_sort_config_static_selectorELNS0_4arch9wavefront6targetE1EEEvSI_,"axG",@progbits,_ZN7rocprim17ROCPRIM_400000_NS6detail17trampoline_kernelINS0_14default_configENS1_35radix_sort_onesweep_config_selectorIttEEZZNS1_29radix_sort_onesweep_iterationIS3_Lb0EN6thrust23THRUST_200600_302600_NS6detail15normal_iteratorINS8_10device_ptrItEEEESD_SD_SD_jNS0_19identity_decomposerENS1_16block_id_wrapperIjLb0EEEEE10hipError_tT1_PNSt15iterator_traitsISI_E10value_typeET2_T3_PNSJ_ISO_E10value_typeET4_T5_PST_SU_PNS1_23onesweep_lookback_stateEbbT6_jjT7_P12ihipStream_tbENKUlT_T0_SI_SN_E_clISD_SD_SD_SD_EEDaS11_S12_SI_SN_EUlS11_E_NS1_11comp_targetILNS1_3genE5ELNS1_11target_archE942ELNS1_3gpuE9ELNS1_3repE0EEENS1_47radix_sort_onesweep_sort_config_static_selectorELNS0_4arch9wavefront6targetE1EEEvSI_,comdat
.Lfunc_end1003:
	.size	_ZN7rocprim17ROCPRIM_400000_NS6detail17trampoline_kernelINS0_14default_configENS1_35radix_sort_onesweep_config_selectorIttEEZZNS1_29radix_sort_onesweep_iterationIS3_Lb0EN6thrust23THRUST_200600_302600_NS6detail15normal_iteratorINS8_10device_ptrItEEEESD_SD_SD_jNS0_19identity_decomposerENS1_16block_id_wrapperIjLb0EEEEE10hipError_tT1_PNSt15iterator_traitsISI_E10value_typeET2_T3_PNSJ_ISO_E10value_typeET4_T5_PST_SU_PNS1_23onesweep_lookback_stateEbbT6_jjT7_P12ihipStream_tbENKUlT_T0_SI_SN_E_clISD_SD_SD_SD_EEDaS11_S12_SI_SN_EUlS11_E_NS1_11comp_targetILNS1_3genE5ELNS1_11target_archE942ELNS1_3gpuE9ELNS1_3repE0EEENS1_47radix_sort_onesweep_sort_config_static_selectorELNS0_4arch9wavefront6targetE1EEEvSI_, .Lfunc_end1003-_ZN7rocprim17ROCPRIM_400000_NS6detail17trampoline_kernelINS0_14default_configENS1_35radix_sort_onesweep_config_selectorIttEEZZNS1_29radix_sort_onesweep_iterationIS3_Lb0EN6thrust23THRUST_200600_302600_NS6detail15normal_iteratorINS8_10device_ptrItEEEESD_SD_SD_jNS0_19identity_decomposerENS1_16block_id_wrapperIjLb0EEEEE10hipError_tT1_PNSt15iterator_traitsISI_E10value_typeET2_T3_PNSJ_ISO_E10value_typeET4_T5_PST_SU_PNS1_23onesweep_lookback_stateEbbT6_jjT7_P12ihipStream_tbENKUlT_T0_SI_SN_E_clISD_SD_SD_SD_EEDaS11_S12_SI_SN_EUlS11_E_NS1_11comp_targetILNS1_3genE5ELNS1_11target_archE942ELNS1_3gpuE9ELNS1_3repE0EEENS1_47radix_sort_onesweep_sort_config_static_selectorELNS0_4arch9wavefront6targetE1EEEvSI_
                                        ; -- End function
	.set _ZN7rocprim17ROCPRIM_400000_NS6detail17trampoline_kernelINS0_14default_configENS1_35radix_sort_onesweep_config_selectorIttEEZZNS1_29radix_sort_onesweep_iterationIS3_Lb0EN6thrust23THRUST_200600_302600_NS6detail15normal_iteratorINS8_10device_ptrItEEEESD_SD_SD_jNS0_19identity_decomposerENS1_16block_id_wrapperIjLb0EEEEE10hipError_tT1_PNSt15iterator_traitsISI_E10value_typeET2_T3_PNSJ_ISO_E10value_typeET4_T5_PST_SU_PNS1_23onesweep_lookback_stateEbbT6_jjT7_P12ihipStream_tbENKUlT_T0_SI_SN_E_clISD_SD_SD_SD_EEDaS11_S12_SI_SN_EUlS11_E_NS1_11comp_targetILNS1_3genE5ELNS1_11target_archE942ELNS1_3gpuE9ELNS1_3repE0EEENS1_47radix_sort_onesweep_sort_config_static_selectorELNS0_4arch9wavefront6targetE1EEEvSI_.num_vgpr, 0
	.set _ZN7rocprim17ROCPRIM_400000_NS6detail17trampoline_kernelINS0_14default_configENS1_35radix_sort_onesweep_config_selectorIttEEZZNS1_29radix_sort_onesweep_iterationIS3_Lb0EN6thrust23THRUST_200600_302600_NS6detail15normal_iteratorINS8_10device_ptrItEEEESD_SD_SD_jNS0_19identity_decomposerENS1_16block_id_wrapperIjLb0EEEEE10hipError_tT1_PNSt15iterator_traitsISI_E10value_typeET2_T3_PNSJ_ISO_E10value_typeET4_T5_PST_SU_PNS1_23onesweep_lookback_stateEbbT6_jjT7_P12ihipStream_tbENKUlT_T0_SI_SN_E_clISD_SD_SD_SD_EEDaS11_S12_SI_SN_EUlS11_E_NS1_11comp_targetILNS1_3genE5ELNS1_11target_archE942ELNS1_3gpuE9ELNS1_3repE0EEENS1_47radix_sort_onesweep_sort_config_static_selectorELNS0_4arch9wavefront6targetE1EEEvSI_.num_agpr, 0
	.set _ZN7rocprim17ROCPRIM_400000_NS6detail17trampoline_kernelINS0_14default_configENS1_35radix_sort_onesweep_config_selectorIttEEZZNS1_29radix_sort_onesweep_iterationIS3_Lb0EN6thrust23THRUST_200600_302600_NS6detail15normal_iteratorINS8_10device_ptrItEEEESD_SD_SD_jNS0_19identity_decomposerENS1_16block_id_wrapperIjLb0EEEEE10hipError_tT1_PNSt15iterator_traitsISI_E10value_typeET2_T3_PNSJ_ISO_E10value_typeET4_T5_PST_SU_PNS1_23onesweep_lookback_stateEbbT6_jjT7_P12ihipStream_tbENKUlT_T0_SI_SN_E_clISD_SD_SD_SD_EEDaS11_S12_SI_SN_EUlS11_E_NS1_11comp_targetILNS1_3genE5ELNS1_11target_archE942ELNS1_3gpuE9ELNS1_3repE0EEENS1_47radix_sort_onesweep_sort_config_static_selectorELNS0_4arch9wavefront6targetE1EEEvSI_.numbered_sgpr, 0
	.set _ZN7rocprim17ROCPRIM_400000_NS6detail17trampoline_kernelINS0_14default_configENS1_35radix_sort_onesweep_config_selectorIttEEZZNS1_29radix_sort_onesweep_iterationIS3_Lb0EN6thrust23THRUST_200600_302600_NS6detail15normal_iteratorINS8_10device_ptrItEEEESD_SD_SD_jNS0_19identity_decomposerENS1_16block_id_wrapperIjLb0EEEEE10hipError_tT1_PNSt15iterator_traitsISI_E10value_typeET2_T3_PNSJ_ISO_E10value_typeET4_T5_PST_SU_PNS1_23onesweep_lookback_stateEbbT6_jjT7_P12ihipStream_tbENKUlT_T0_SI_SN_E_clISD_SD_SD_SD_EEDaS11_S12_SI_SN_EUlS11_E_NS1_11comp_targetILNS1_3genE5ELNS1_11target_archE942ELNS1_3gpuE9ELNS1_3repE0EEENS1_47radix_sort_onesweep_sort_config_static_selectorELNS0_4arch9wavefront6targetE1EEEvSI_.num_named_barrier, 0
	.set _ZN7rocprim17ROCPRIM_400000_NS6detail17trampoline_kernelINS0_14default_configENS1_35radix_sort_onesweep_config_selectorIttEEZZNS1_29radix_sort_onesweep_iterationIS3_Lb0EN6thrust23THRUST_200600_302600_NS6detail15normal_iteratorINS8_10device_ptrItEEEESD_SD_SD_jNS0_19identity_decomposerENS1_16block_id_wrapperIjLb0EEEEE10hipError_tT1_PNSt15iterator_traitsISI_E10value_typeET2_T3_PNSJ_ISO_E10value_typeET4_T5_PST_SU_PNS1_23onesweep_lookback_stateEbbT6_jjT7_P12ihipStream_tbENKUlT_T0_SI_SN_E_clISD_SD_SD_SD_EEDaS11_S12_SI_SN_EUlS11_E_NS1_11comp_targetILNS1_3genE5ELNS1_11target_archE942ELNS1_3gpuE9ELNS1_3repE0EEENS1_47radix_sort_onesweep_sort_config_static_selectorELNS0_4arch9wavefront6targetE1EEEvSI_.private_seg_size, 0
	.set _ZN7rocprim17ROCPRIM_400000_NS6detail17trampoline_kernelINS0_14default_configENS1_35radix_sort_onesweep_config_selectorIttEEZZNS1_29radix_sort_onesweep_iterationIS3_Lb0EN6thrust23THRUST_200600_302600_NS6detail15normal_iteratorINS8_10device_ptrItEEEESD_SD_SD_jNS0_19identity_decomposerENS1_16block_id_wrapperIjLb0EEEEE10hipError_tT1_PNSt15iterator_traitsISI_E10value_typeET2_T3_PNSJ_ISO_E10value_typeET4_T5_PST_SU_PNS1_23onesweep_lookback_stateEbbT6_jjT7_P12ihipStream_tbENKUlT_T0_SI_SN_E_clISD_SD_SD_SD_EEDaS11_S12_SI_SN_EUlS11_E_NS1_11comp_targetILNS1_3genE5ELNS1_11target_archE942ELNS1_3gpuE9ELNS1_3repE0EEENS1_47radix_sort_onesweep_sort_config_static_selectorELNS0_4arch9wavefront6targetE1EEEvSI_.uses_vcc, 0
	.set _ZN7rocprim17ROCPRIM_400000_NS6detail17trampoline_kernelINS0_14default_configENS1_35radix_sort_onesweep_config_selectorIttEEZZNS1_29radix_sort_onesweep_iterationIS3_Lb0EN6thrust23THRUST_200600_302600_NS6detail15normal_iteratorINS8_10device_ptrItEEEESD_SD_SD_jNS0_19identity_decomposerENS1_16block_id_wrapperIjLb0EEEEE10hipError_tT1_PNSt15iterator_traitsISI_E10value_typeET2_T3_PNSJ_ISO_E10value_typeET4_T5_PST_SU_PNS1_23onesweep_lookback_stateEbbT6_jjT7_P12ihipStream_tbENKUlT_T0_SI_SN_E_clISD_SD_SD_SD_EEDaS11_S12_SI_SN_EUlS11_E_NS1_11comp_targetILNS1_3genE5ELNS1_11target_archE942ELNS1_3gpuE9ELNS1_3repE0EEENS1_47radix_sort_onesweep_sort_config_static_selectorELNS0_4arch9wavefront6targetE1EEEvSI_.uses_flat_scratch, 0
	.set _ZN7rocprim17ROCPRIM_400000_NS6detail17trampoline_kernelINS0_14default_configENS1_35radix_sort_onesweep_config_selectorIttEEZZNS1_29radix_sort_onesweep_iterationIS3_Lb0EN6thrust23THRUST_200600_302600_NS6detail15normal_iteratorINS8_10device_ptrItEEEESD_SD_SD_jNS0_19identity_decomposerENS1_16block_id_wrapperIjLb0EEEEE10hipError_tT1_PNSt15iterator_traitsISI_E10value_typeET2_T3_PNSJ_ISO_E10value_typeET4_T5_PST_SU_PNS1_23onesweep_lookback_stateEbbT6_jjT7_P12ihipStream_tbENKUlT_T0_SI_SN_E_clISD_SD_SD_SD_EEDaS11_S12_SI_SN_EUlS11_E_NS1_11comp_targetILNS1_3genE5ELNS1_11target_archE942ELNS1_3gpuE9ELNS1_3repE0EEENS1_47radix_sort_onesweep_sort_config_static_selectorELNS0_4arch9wavefront6targetE1EEEvSI_.has_dyn_sized_stack, 0
	.set _ZN7rocprim17ROCPRIM_400000_NS6detail17trampoline_kernelINS0_14default_configENS1_35radix_sort_onesweep_config_selectorIttEEZZNS1_29radix_sort_onesweep_iterationIS3_Lb0EN6thrust23THRUST_200600_302600_NS6detail15normal_iteratorINS8_10device_ptrItEEEESD_SD_SD_jNS0_19identity_decomposerENS1_16block_id_wrapperIjLb0EEEEE10hipError_tT1_PNSt15iterator_traitsISI_E10value_typeET2_T3_PNSJ_ISO_E10value_typeET4_T5_PST_SU_PNS1_23onesweep_lookback_stateEbbT6_jjT7_P12ihipStream_tbENKUlT_T0_SI_SN_E_clISD_SD_SD_SD_EEDaS11_S12_SI_SN_EUlS11_E_NS1_11comp_targetILNS1_3genE5ELNS1_11target_archE942ELNS1_3gpuE9ELNS1_3repE0EEENS1_47radix_sort_onesweep_sort_config_static_selectorELNS0_4arch9wavefront6targetE1EEEvSI_.has_recursion, 0
	.set _ZN7rocprim17ROCPRIM_400000_NS6detail17trampoline_kernelINS0_14default_configENS1_35radix_sort_onesweep_config_selectorIttEEZZNS1_29radix_sort_onesweep_iterationIS3_Lb0EN6thrust23THRUST_200600_302600_NS6detail15normal_iteratorINS8_10device_ptrItEEEESD_SD_SD_jNS0_19identity_decomposerENS1_16block_id_wrapperIjLb0EEEEE10hipError_tT1_PNSt15iterator_traitsISI_E10value_typeET2_T3_PNSJ_ISO_E10value_typeET4_T5_PST_SU_PNS1_23onesweep_lookback_stateEbbT6_jjT7_P12ihipStream_tbENKUlT_T0_SI_SN_E_clISD_SD_SD_SD_EEDaS11_S12_SI_SN_EUlS11_E_NS1_11comp_targetILNS1_3genE5ELNS1_11target_archE942ELNS1_3gpuE9ELNS1_3repE0EEENS1_47radix_sort_onesweep_sort_config_static_selectorELNS0_4arch9wavefront6targetE1EEEvSI_.has_indirect_call, 0
	.section	.AMDGPU.csdata,"",@progbits
; Kernel info:
; codeLenInByte = 0
; TotalNumSgprs: 6
; NumVgprs: 0
; NumAgprs: 0
; TotalNumVgprs: 0
; ScratchSize: 0
; MemoryBound: 0
; FloatMode: 240
; IeeeMode: 1
; LDSByteSize: 0 bytes/workgroup (compile time only)
; SGPRBlocks: 0
; VGPRBlocks: 0
; NumSGPRsForWavesPerEU: 6
; NumVGPRsForWavesPerEU: 1
; AccumOffset: 4
; Occupancy: 8
; WaveLimiterHint : 0
; COMPUTE_PGM_RSRC2:SCRATCH_EN: 0
; COMPUTE_PGM_RSRC2:USER_SGPR: 2
; COMPUTE_PGM_RSRC2:TRAP_HANDLER: 0
; COMPUTE_PGM_RSRC2:TGID_X_EN: 1
; COMPUTE_PGM_RSRC2:TGID_Y_EN: 0
; COMPUTE_PGM_RSRC2:TGID_Z_EN: 0
; COMPUTE_PGM_RSRC2:TIDIG_COMP_CNT: 0
; COMPUTE_PGM_RSRC3_GFX90A:ACCUM_OFFSET: 0
; COMPUTE_PGM_RSRC3_GFX90A:TG_SPLIT: 0
	.section	.text._ZN7rocprim17ROCPRIM_400000_NS6detail17trampoline_kernelINS0_14default_configENS1_35radix_sort_onesweep_config_selectorIttEEZZNS1_29radix_sort_onesweep_iterationIS3_Lb0EN6thrust23THRUST_200600_302600_NS6detail15normal_iteratorINS8_10device_ptrItEEEESD_SD_SD_jNS0_19identity_decomposerENS1_16block_id_wrapperIjLb0EEEEE10hipError_tT1_PNSt15iterator_traitsISI_E10value_typeET2_T3_PNSJ_ISO_E10value_typeET4_T5_PST_SU_PNS1_23onesweep_lookback_stateEbbT6_jjT7_P12ihipStream_tbENKUlT_T0_SI_SN_E_clISD_SD_SD_SD_EEDaS11_S12_SI_SN_EUlS11_E_NS1_11comp_targetILNS1_3genE2ELNS1_11target_archE906ELNS1_3gpuE6ELNS1_3repE0EEENS1_47radix_sort_onesweep_sort_config_static_selectorELNS0_4arch9wavefront6targetE1EEEvSI_,"axG",@progbits,_ZN7rocprim17ROCPRIM_400000_NS6detail17trampoline_kernelINS0_14default_configENS1_35radix_sort_onesweep_config_selectorIttEEZZNS1_29radix_sort_onesweep_iterationIS3_Lb0EN6thrust23THRUST_200600_302600_NS6detail15normal_iteratorINS8_10device_ptrItEEEESD_SD_SD_jNS0_19identity_decomposerENS1_16block_id_wrapperIjLb0EEEEE10hipError_tT1_PNSt15iterator_traitsISI_E10value_typeET2_T3_PNSJ_ISO_E10value_typeET4_T5_PST_SU_PNS1_23onesweep_lookback_stateEbbT6_jjT7_P12ihipStream_tbENKUlT_T0_SI_SN_E_clISD_SD_SD_SD_EEDaS11_S12_SI_SN_EUlS11_E_NS1_11comp_targetILNS1_3genE2ELNS1_11target_archE906ELNS1_3gpuE6ELNS1_3repE0EEENS1_47radix_sort_onesweep_sort_config_static_selectorELNS0_4arch9wavefront6targetE1EEEvSI_,comdat
	.protected	_ZN7rocprim17ROCPRIM_400000_NS6detail17trampoline_kernelINS0_14default_configENS1_35radix_sort_onesweep_config_selectorIttEEZZNS1_29radix_sort_onesweep_iterationIS3_Lb0EN6thrust23THRUST_200600_302600_NS6detail15normal_iteratorINS8_10device_ptrItEEEESD_SD_SD_jNS0_19identity_decomposerENS1_16block_id_wrapperIjLb0EEEEE10hipError_tT1_PNSt15iterator_traitsISI_E10value_typeET2_T3_PNSJ_ISO_E10value_typeET4_T5_PST_SU_PNS1_23onesweep_lookback_stateEbbT6_jjT7_P12ihipStream_tbENKUlT_T0_SI_SN_E_clISD_SD_SD_SD_EEDaS11_S12_SI_SN_EUlS11_E_NS1_11comp_targetILNS1_3genE2ELNS1_11target_archE906ELNS1_3gpuE6ELNS1_3repE0EEENS1_47radix_sort_onesweep_sort_config_static_selectorELNS0_4arch9wavefront6targetE1EEEvSI_ ; -- Begin function _ZN7rocprim17ROCPRIM_400000_NS6detail17trampoline_kernelINS0_14default_configENS1_35radix_sort_onesweep_config_selectorIttEEZZNS1_29radix_sort_onesweep_iterationIS3_Lb0EN6thrust23THRUST_200600_302600_NS6detail15normal_iteratorINS8_10device_ptrItEEEESD_SD_SD_jNS0_19identity_decomposerENS1_16block_id_wrapperIjLb0EEEEE10hipError_tT1_PNSt15iterator_traitsISI_E10value_typeET2_T3_PNSJ_ISO_E10value_typeET4_T5_PST_SU_PNS1_23onesweep_lookback_stateEbbT6_jjT7_P12ihipStream_tbENKUlT_T0_SI_SN_E_clISD_SD_SD_SD_EEDaS11_S12_SI_SN_EUlS11_E_NS1_11comp_targetILNS1_3genE2ELNS1_11target_archE906ELNS1_3gpuE6ELNS1_3repE0EEENS1_47radix_sort_onesweep_sort_config_static_selectorELNS0_4arch9wavefront6targetE1EEEvSI_
	.globl	_ZN7rocprim17ROCPRIM_400000_NS6detail17trampoline_kernelINS0_14default_configENS1_35radix_sort_onesweep_config_selectorIttEEZZNS1_29radix_sort_onesweep_iterationIS3_Lb0EN6thrust23THRUST_200600_302600_NS6detail15normal_iteratorINS8_10device_ptrItEEEESD_SD_SD_jNS0_19identity_decomposerENS1_16block_id_wrapperIjLb0EEEEE10hipError_tT1_PNSt15iterator_traitsISI_E10value_typeET2_T3_PNSJ_ISO_E10value_typeET4_T5_PST_SU_PNS1_23onesweep_lookback_stateEbbT6_jjT7_P12ihipStream_tbENKUlT_T0_SI_SN_E_clISD_SD_SD_SD_EEDaS11_S12_SI_SN_EUlS11_E_NS1_11comp_targetILNS1_3genE2ELNS1_11target_archE906ELNS1_3gpuE6ELNS1_3repE0EEENS1_47radix_sort_onesweep_sort_config_static_selectorELNS0_4arch9wavefront6targetE1EEEvSI_
	.p2align	8
	.type	_ZN7rocprim17ROCPRIM_400000_NS6detail17trampoline_kernelINS0_14default_configENS1_35radix_sort_onesweep_config_selectorIttEEZZNS1_29radix_sort_onesweep_iterationIS3_Lb0EN6thrust23THRUST_200600_302600_NS6detail15normal_iteratorINS8_10device_ptrItEEEESD_SD_SD_jNS0_19identity_decomposerENS1_16block_id_wrapperIjLb0EEEEE10hipError_tT1_PNSt15iterator_traitsISI_E10value_typeET2_T3_PNSJ_ISO_E10value_typeET4_T5_PST_SU_PNS1_23onesweep_lookback_stateEbbT6_jjT7_P12ihipStream_tbENKUlT_T0_SI_SN_E_clISD_SD_SD_SD_EEDaS11_S12_SI_SN_EUlS11_E_NS1_11comp_targetILNS1_3genE2ELNS1_11target_archE906ELNS1_3gpuE6ELNS1_3repE0EEENS1_47radix_sort_onesweep_sort_config_static_selectorELNS0_4arch9wavefront6targetE1EEEvSI_,@function
_ZN7rocprim17ROCPRIM_400000_NS6detail17trampoline_kernelINS0_14default_configENS1_35radix_sort_onesweep_config_selectorIttEEZZNS1_29radix_sort_onesweep_iterationIS3_Lb0EN6thrust23THRUST_200600_302600_NS6detail15normal_iteratorINS8_10device_ptrItEEEESD_SD_SD_jNS0_19identity_decomposerENS1_16block_id_wrapperIjLb0EEEEE10hipError_tT1_PNSt15iterator_traitsISI_E10value_typeET2_T3_PNSJ_ISO_E10value_typeET4_T5_PST_SU_PNS1_23onesweep_lookback_stateEbbT6_jjT7_P12ihipStream_tbENKUlT_T0_SI_SN_E_clISD_SD_SD_SD_EEDaS11_S12_SI_SN_EUlS11_E_NS1_11comp_targetILNS1_3genE2ELNS1_11target_archE906ELNS1_3gpuE6ELNS1_3repE0EEENS1_47radix_sort_onesweep_sort_config_static_selectorELNS0_4arch9wavefront6targetE1EEEvSI_: ; @_ZN7rocprim17ROCPRIM_400000_NS6detail17trampoline_kernelINS0_14default_configENS1_35radix_sort_onesweep_config_selectorIttEEZZNS1_29radix_sort_onesweep_iterationIS3_Lb0EN6thrust23THRUST_200600_302600_NS6detail15normal_iteratorINS8_10device_ptrItEEEESD_SD_SD_jNS0_19identity_decomposerENS1_16block_id_wrapperIjLb0EEEEE10hipError_tT1_PNSt15iterator_traitsISI_E10value_typeET2_T3_PNSJ_ISO_E10value_typeET4_T5_PST_SU_PNS1_23onesweep_lookback_stateEbbT6_jjT7_P12ihipStream_tbENKUlT_T0_SI_SN_E_clISD_SD_SD_SD_EEDaS11_S12_SI_SN_EUlS11_E_NS1_11comp_targetILNS1_3genE2ELNS1_11target_archE906ELNS1_3gpuE6ELNS1_3repE0EEENS1_47radix_sort_onesweep_sort_config_static_selectorELNS0_4arch9wavefront6targetE1EEEvSI_
; %bb.0:
	.section	.rodata,"a",@progbits
	.p2align	6, 0x0
	.amdhsa_kernel _ZN7rocprim17ROCPRIM_400000_NS6detail17trampoline_kernelINS0_14default_configENS1_35radix_sort_onesweep_config_selectorIttEEZZNS1_29radix_sort_onesweep_iterationIS3_Lb0EN6thrust23THRUST_200600_302600_NS6detail15normal_iteratorINS8_10device_ptrItEEEESD_SD_SD_jNS0_19identity_decomposerENS1_16block_id_wrapperIjLb0EEEEE10hipError_tT1_PNSt15iterator_traitsISI_E10value_typeET2_T3_PNSJ_ISO_E10value_typeET4_T5_PST_SU_PNS1_23onesweep_lookback_stateEbbT6_jjT7_P12ihipStream_tbENKUlT_T0_SI_SN_E_clISD_SD_SD_SD_EEDaS11_S12_SI_SN_EUlS11_E_NS1_11comp_targetILNS1_3genE2ELNS1_11target_archE906ELNS1_3gpuE6ELNS1_3repE0EEENS1_47radix_sort_onesweep_sort_config_static_selectorELNS0_4arch9wavefront6targetE1EEEvSI_
		.amdhsa_group_segment_fixed_size 0
		.amdhsa_private_segment_fixed_size 0
		.amdhsa_kernarg_size 88
		.amdhsa_user_sgpr_count 2
		.amdhsa_user_sgpr_dispatch_ptr 0
		.amdhsa_user_sgpr_queue_ptr 0
		.amdhsa_user_sgpr_kernarg_segment_ptr 1
		.amdhsa_user_sgpr_dispatch_id 0
		.amdhsa_user_sgpr_kernarg_preload_length 0
		.amdhsa_user_sgpr_kernarg_preload_offset 0
		.amdhsa_user_sgpr_private_segment_size 0
		.amdhsa_uses_dynamic_stack 0
		.amdhsa_enable_private_segment 0
		.amdhsa_system_sgpr_workgroup_id_x 1
		.amdhsa_system_sgpr_workgroup_id_y 0
		.amdhsa_system_sgpr_workgroup_id_z 0
		.amdhsa_system_sgpr_workgroup_info 0
		.amdhsa_system_vgpr_workitem_id 0
		.amdhsa_next_free_vgpr 1
		.amdhsa_next_free_sgpr 0
		.amdhsa_accum_offset 4
		.amdhsa_reserve_vcc 0
		.amdhsa_float_round_mode_32 0
		.amdhsa_float_round_mode_16_64 0
		.amdhsa_float_denorm_mode_32 3
		.amdhsa_float_denorm_mode_16_64 3
		.amdhsa_dx10_clamp 1
		.amdhsa_ieee_mode 1
		.amdhsa_fp16_overflow 0
		.amdhsa_tg_split 0
		.amdhsa_exception_fp_ieee_invalid_op 0
		.amdhsa_exception_fp_denorm_src 0
		.amdhsa_exception_fp_ieee_div_zero 0
		.amdhsa_exception_fp_ieee_overflow 0
		.amdhsa_exception_fp_ieee_underflow 0
		.amdhsa_exception_fp_ieee_inexact 0
		.amdhsa_exception_int_div_zero 0
	.end_amdhsa_kernel
	.section	.text._ZN7rocprim17ROCPRIM_400000_NS6detail17trampoline_kernelINS0_14default_configENS1_35radix_sort_onesweep_config_selectorIttEEZZNS1_29radix_sort_onesweep_iterationIS3_Lb0EN6thrust23THRUST_200600_302600_NS6detail15normal_iteratorINS8_10device_ptrItEEEESD_SD_SD_jNS0_19identity_decomposerENS1_16block_id_wrapperIjLb0EEEEE10hipError_tT1_PNSt15iterator_traitsISI_E10value_typeET2_T3_PNSJ_ISO_E10value_typeET4_T5_PST_SU_PNS1_23onesweep_lookback_stateEbbT6_jjT7_P12ihipStream_tbENKUlT_T0_SI_SN_E_clISD_SD_SD_SD_EEDaS11_S12_SI_SN_EUlS11_E_NS1_11comp_targetILNS1_3genE2ELNS1_11target_archE906ELNS1_3gpuE6ELNS1_3repE0EEENS1_47radix_sort_onesweep_sort_config_static_selectorELNS0_4arch9wavefront6targetE1EEEvSI_,"axG",@progbits,_ZN7rocprim17ROCPRIM_400000_NS6detail17trampoline_kernelINS0_14default_configENS1_35radix_sort_onesweep_config_selectorIttEEZZNS1_29radix_sort_onesweep_iterationIS3_Lb0EN6thrust23THRUST_200600_302600_NS6detail15normal_iteratorINS8_10device_ptrItEEEESD_SD_SD_jNS0_19identity_decomposerENS1_16block_id_wrapperIjLb0EEEEE10hipError_tT1_PNSt15iterator_traitsISI_E10value_typeET2_T3_PNSJ_ISO_E10value_typeET4_T5_PST_SU_PNS1_23onesweep_lookback_stateEbbT6_jjT7_P12ihipStream_tbENKUlT_T0_SI_SN_E_clISD_SD_SD_SD_EEDaS11_S12_SI_SN_EUlS11_E_NS1_11comp_targetILNS1_3genE2ELNS1_11target_archE906ELNS1_3gpuE6ELNS1_3repE0EEENS1_47radix_sort_onesweep_sort_config_static_selectorELNS0_4arch9wavefront6targetE1EEEvSI_,comdat
.Lfunc_end1004:
	.size	_ZN7rocprim17ROCPRIM_400000_NS6detail17trampoline_kernelINS0_14default_configENS1_35radix_sort_onesweep_config_selectorIttEEZZNS1_29radix_sort_onesweep_iterationIS3_Lb0EN6thrust23THRUST_200600_302600_NS6detail15normal_iteratorINS8_10device_ptrItEEEESD_SD_SD_jNS0_19identity_decomposerENS1_16block_id_wrapperIjLb0EEEEE10hipError_tT1_PNSt15iterator_traitsISI_E10value_typeET2_T3_PNSJ_ISO_E10value_typeET4_T5_PST_SU_PNS1_23onesweep_lookback_stateEbbT6_jjT7_P12ihipStream_tbENKUlT_T0_SI_SN_E_clISD_SD_SD_SD_EEDaS11_S12_SI_SN_EUlS11_E_NS1_11comp_targetILNS1_3genE2ELNS1_11target_archE906ELNS1_3gpuE6ELNS1_3repE0EEENS1_47radix_sort_onesweep_sort_config_static_selectorELNS0_4arch9wavefront6targetE1EEEvSI_, .Lfunc_end1004-_ZN7rocprim17ROCPRIM_400000_NS6detail17trampoline_kernelINS0_14default_configENS1_35radix_sort_onesweep_config_selectorIttEEZZNS1_29radix_sort_onesweep_iterationIS3_Lb0EN6thrust23THRUST_200600_302600_NS6detail15normal_iteratorINS8_10device_ptrItEEEESD_SD_SD_jNS0_19identity_decomposerENS1_16block_id_wrapperIjLb0EEEEE10hipError_tT1_PNSt15iterator_traitsISI_E10value_typeET2_T3_PNSJ_ISO_E10value_typeET4_T5_PST_SU_PNS1_23onesweep_lookback_stateEbbT6_jjT7_P12ihipStream_tbENKUlT_T0_SI_SN_E_clISD_SD_SD_SD_EEDaS11_S12_SI_SN_EUlS11_E_NS1_11comp_targetILNS1_3genE2ELNS1_11target_archE906ELNS1_3gpuE6ELNS1_3repE0EEENS1_47radix_sort_onesweep_sort_config_static_selectorELNS0_4arch9wavefront6targetE1EEEvSI_
                                        ; -- End function
	.set _ZN7rocprim17ROCPRIM_400000_NS6detail17trampoline_kernelINS0_14default_configENS1_35radix_sort_onesweep_config_selectorIttEEZZNS1_29radix_sort_onesweep_iterationIS3_Lb0EN6thrust23THRUST_200600_302600_NS6detail15normal_iteratorINS8_10device_ptrItEEEESD_SD_SD_jNS0_19identity_decomposerENS1_16block_id_wrapperIjLb0EEEEE10hipError_tT1_PNSt15iterator_traitsISI_E10value_typeET2_T3_PNSJ_ISO_E10value_typeET4_T5_PST_SU_PNS1_23onesweep_lookback_stateEbbT6_jjT7_P12ihipStream_tbENKUlT_T0_SI_SN_E_clISD_SD_SD_SD_EEDaS11_S12_SI_SN_EUlS11_E_NS1_11comp_targetILNS1_3genE2ELNS1_11target_archE906ELNS1_3gpuE6ELNS1_3repE0EEENS1_47radix_sort_onesweep_sort_config_static_selectorELNS0_4arch9wavefront6targetE1EEEvSI_.num_vgpr, 0
	.set _ZN7rocprim17ROCPRIM_400000_NS6detail17trampoline_kernelINS0_14default_configENS1_35radix_sort_onesweep_config_selectorIttEEZZNS1_29radix_sort_onesweep_iterationIS3_Lb0EN6thrust23THRUST_200600_302600_NS6detail15normal_iteratorINS8_10device_ptrItEEEESD_SD_SD_jNS0_19identity_decomposerENS1_16block_id_wrapperIjLb0EEEEE10hipError_tT1_PNSt15iterator_traitsISI_E10value_typeET2_T3_PNSJ_ISO_E10value_typeET4_T5_PST_SU_PNS1_23onesweep_lookback_stateEbbT6_jjT7_P12ihipStream_tbENKUlT_T0_SI_SN_E_clISD_SD_SD_SD_EEDaS11_S12_SI_SN_EUlS11_E_NS1_11comp_targetILNS1_3genE2ELNS1_11target_archE906ELNS1_3gpuE6ELNS1_3repE0EEENS1_47radix_sort_onesweep_sort_config_static_selectorELNS0_4arch9wavefront6targetE1EEEvSI_.num_agpr, 0
	.set _ZN7rocprim17ROCPRIM_400000_NS6detail17trampoline_kernelINS0_14default_configENS1_35radix_sort_onesweep_config_selectorIttEEZZNS1_29radix_sort_onesweep_iterationIS3_Lb0EN6thrust23THRUST_200600_302600_NS6detail15normal_iteratorINS8_10device_ptrItEEEESD_SD_SD_jNS0_19identity_decomposerENS1_16block_id_wrapperIjLb0EEEEE10hipError_tT1_PNSt15iterator_traitsISI_E10value_typeET2_T3_PNSJ_ISO_E10value_typeET4_T5_PST_SU_PNS1_23onesweep_lookback_stateEbbT6_jjT7_P12ihipStream_tbENKUlT_T0_SI_SN_E_clISD_SD_SD_SD_EEDaS11_S12_SI_SN_EUlS11_E_NS1_11comp_targetILNS1_3genE2ELNS1_11target_archE906ELNS1_3gpuE6ELNS1_3repE0EEENS1_47radix_sort_onesweep_sort_config_static_selectorELNS0_4arch9wavefront6targetE1EEEvSI_.numbered_sgpr, 0
	.set _ZN7rocprim17ROCPRIM_400000_NS6detail17trampoline_kernelINS0_14default_configENS1_35radix_sort_onesweep_config_selectorIttEEZZNS1_29radix_sort_onesweep_iterationIS3_Lb0EN6thrust23THRUST_200600_302600_NS6detail15normal_iteratorINS8_10device_ptrItEEEESD_SD_SD_jNS0_19identity_decomposerENS1_16block_id_wrapperIjLb0EEEEE10hipError_tT1_PNSt15iterator_traitsISI_E10value_typeET2_T3_PNSJ_ISO_E10value_typeET4_T5_PST_SU_PNS1_23onesweep_lookback_stateEbbT6_jjT7_P12ihipStream_tbENKUlT_T0_SI_SN_E_clISD_SD_SD_SD_EEDaS11_S12_SI_SN_EUlS11_E_NS1_11comp_targetILNS1_3genE2ELNS1_11target_archE906ELNS1_3gpuE6ELNS1_3repE0EEENS1_47radix_sort_onesweep_sort_config_static_selectorELNS0_4arch9wavefront6targetE1EEEvSI_.num_named_barrier, 0
	.set _ZN7rocprim17ROCPRIM_400000_NS6detail17trampoline_kernelINS0_14default_configENS1_35radix_sort_onesweep_config_selectorIttEEZZNS1_29radix_sort_onesweep_iterationIS3_Lb0EN6thrust23THRUST_200600_302600_NS6detail15normal_iteratorINS8_10device_ptrItEEEESD_SD_SD_jNS0_19identity_decomposerENS1_16block_id_wrapperIjLb0EEEEE10hipError_tT1_PNSt15iterator_traitsISI_E10value_typeET2_T3_PNSJ_ISO_E10value_typeET4_T5_PST_SU_PNS1_23onesweep_lookback_stateEbbT6_jjT7_P12ihipStream_tbENKUlT_T0_SI_SN_E_clISD_SD_SD_SD_EEDaS11_S12_SI_SN_EUlS11_E_NS1_11comp_targetILNS1_3genE2ELNS1_11target_archE906ELNS1_3gpuE6ELNS1_3repE0EEENS1_47radix_sort_onesweep_sort_config_static_selectorELNS0_4arch9wavefront6targetE1EEEvSI_.private_seg_size, 0
	.set _ZN7rocprim17ROCPRIM_400000_NS6detail17trampoline_kernelINS0_14default_configENS1_35radix_sort_onesweep_config_selectorIttEEZZNS1_29radix_sort_onesweep_iterationIS3_Lb0EN6thrust23THRUST_200600_302600_NS6detail15normal_iteratorINS8_10device_ptrItEEEESD_SD_SD_jNS0_19identity_decomposerENS1_16block_id_wrapperIjLb0EEEEE10hipError_tT1_PNSt15iterator_traitsISI_E10value_typeET2_T3_PNSJ_ISO_E10value_typeET4_T5_PST_SU_PNS1_23onesweep_lookback_stateEbbT6_jjT7_P12ihipStream_tbENKUlT_T0_SI_SN_E_clISD_SD_SD_SD_EEDaS11_S12_SI_SN_EUlS11_E_NS1_11comp_targetILNS1_3genE2ELNS1_11target_archE906ELNS1_3gpuE6ELNS1_3repE0EEENS1_47radix_sort_onesweep_sort_config_static_selectorELNS0_4arch9wavefront6targetE1EEEvSI_.uses_vcc, 0
	.set _ZN7rocprim17ROCPRIM_400000_NS6detail17trampoline_kernelINS0_14default_configENS1_35radix_sort_onesweep_config_selectorIttEEZZNS1_29radix_sort_onesweep_iterationIS3_Lb0EN6thrust23THRUST_200600_302600_NS6detail15normal_iteratorINS8_10device_ptrItEEEESD_SD_SD_jNS0_19identity_decomposerENS1_16block_id_wrapperIjLb0EEEEE10hipError_tT1_PNSt15iterator_traitsISI_E10value_typeET2_T3_PNSJ_ISO_E10value_typeET4_T5_PST_SU_PNS1_23onesweep_lookback_stateEbbT6_jjT7_P12ihipStream_tbENKUlT_T0_SI_SN_E_clISD_SD_SD_SD_EEDaS11_S12_SI_SN_EUlS11_E_NS1_11comp_targetILNS1_3genE2ELNS1_11target_archE906ELNS1_3gpuE6ELNS1_3repE0EEENS1_47radix_sort_onesweep_sort_config_static_selectorELNS0_4arch9wavefront6targetE1EEEvSI_.uses_flat_scratch, 0
	.set _ZN7rocprim17ROCPRIM_400000_NS6detail17trampoline_kernelINS0_14default_configENS1_35radix_sort_onesweep_config_selectorIttEEZZNS1_29radix_sort_onesweep_iterationIS3_Lb0EN6thrust23THRUST_200600_302600_NS6detail15normal_iteratorINS8_10device_ptrItEEEESD_SD_SD_jNS0_19identity_decomposerENS1_16block_id_wrapperIjLb0EEEEE10hipError_tT1_PNSt15iterator_traitsISI_E10value_typeET2_T3_PNSJ_ISO_E10value_typeET4_T5_PST_SU_PNS1_23onesweep_lookback_stateEbbT6_jjT7_P12ihipStream_tbENKUlT_T0_SI_SN_E_clISD_SD_SD_SD_EEDaS11_S12_SI_SN_EUlS11_E_NS1_11comp_targetILNS1_3genE2ELNS1_11target_archE906ELNS1_3gpuE6ELNS1_3repE0EEENS1_47radix_sort_onesweep_sort_config_static_selectorELNS0_4arch9wavefront6targetE1EEEvSI_.has_dyn_sized_stack, 0
	.set _ZN7rocprim17ROCPRIM_400000_NS6detail17trampoline_kernelINS0_14default_configENS1_35radix_sort_onesweep_config_selectorIttEEZZNS1_29radix_sort_onesweep_iterationIS3_Lb0EN6thrust23THRUST_200600_302600_NS6detail15normal_iteratorINS8_10device_ptrItEEEESD_SD_SD_jNS0_19identity_decomposerENS1_16block_id_wrapperIjLb0EEEEE10hipError_tT1_PNSt15iterator_traitsISI_E10value_typeET2_T3_PNSJ_ISO_E10value_typeET4_T5_PST_SU_PNS1_23onesweep_lookback_stateEbbT6_jjT7_P12ihipStream_tbENKUlT_T0_SI_SN_E_clISD_SD_SD_SD_EEDaS11_S12_SI_SN_EUlS11_E_NS1_11comp_targetILNS1_3genE2ELNS1_11target_archE906ELNS1_3gpuE6ELNS1_3repE0EEENS1_47radix_sort_onesweep_sort_config_static_selectorELNS0_4arch9wavefront6targetE1EEEvSI_.has_recursion, 0
	.set _ZN7rocprim17ROCPRIM_400000_NS6detail17trampoline_kernelINS0_14default_configENS1_35radix_sort_onesweep_config_selectorIttEEZZNS1_29radix_sort_onesweep_iterationIS3_Lb0EN6thrust23THRUST_200600_302600_NS6detail15normal_iteratorINS8_10device_ptrItEEEESD_SD_SD_jNS0_19identity_decomposerENS1_16block_id_wrapperIjLb0EEEEE10hipError_tT1_PNSt15iterator_traitsISI_E10value_typeET2_T3_PNSJ_ISO_E10value_typeET4_T5_PST_SU_PNS1_23onesweep_lookback_stateEbbT6_jjT7_P12ihipStream_tbENKUlT_T0_SI_SN_E_clISD_SD_SD_SD_EEDaS11_S12_SI_SN_EUlS11_E_NS1_11comp_targetILNS1_3genE2ELNS1_11target_archE906ELNS1_3gpuE6ELNS1_3repE0EEENS1_47radix_sort_onesweep_sort_config_static_selectorELNS0_4arch9wavefront6targetE1EEEvSI_.has_indirect_call, 0
	.section	.AMDGPU.csdata,"",@progbits
; Kernel info:
; codeLenInByte = 0
; TotalNumSgprs: 6
; NumVgprs: 0
; NumAgprs: 0
; TotalNumVgprs: 0
; ScratchSize: 0
; MemoryBound: 0
; FloatMode: 240
; IeeeMode: 1
; LDSByteSize: 0 bytes/workgroup (compile time only)
; SGPRBlocks: 0
; VGPRBlocks: 0
; NumSGPRsForWavesPerEU: 6
; NumVGPRsForWavesPerEU: 1
; AccumOffset: 4
; Occupancy: 8
; WaveLimiterHint : 0
; COMPUTE_PGM_RSRC2:SCRATCH_EN: 0
; COMPUTE_PGM_RSRC2:USER_SGPR: 2
; COMPUTE_PGM_RSRC2:TRAP_HANDLER: 0
; COMPUTE_PGM_RSRC2:TGID_X_EN: 1
; COMPUTE_PGM_RSRC2:TGID_Y_EN: 0
; COMPUTE_PGM_RSRC2:TGID_Z_EN: 0
; COMPUTE_PGM_RSRC2:TIDIG_COMP_CNT: 0
; COMPUTE_PGM_RSRC3_GFX90A:ACCUM_OFFSET: 0
; COMPUTE_PGM_RSRC3_GFX90A:TG_SPLIT: 0
	.section	.text._ZN7rocprim17ROCPRIM_400000_NS6detail17trampoline_kernelINS0_14default_configENS1_35radix_sort_onesweep_config_selectorIttEEZZNS1_29radix_sort_onesweep_iterationIS3_Lb0EN6thrust23THRUST_200600_302600_NS6detail15normal_iteratorINS8_10device_ptrItEEEESD_SD_SD_jNS0_19identity_decomposerENS1_16block_id_wrapperIjLb0EEEEE10hipError_tT1_PNSt15iterator_traitsISI_E10value_typeET2_T3_PNSJ_ISO_E10value_typeET4_T5_PST_SU_PNS1_23onesweep_lookback_stateEbbT6_jjT7_P12ihipStream_tbENKUlT_T0_SI_SN_E_clISD_SD_SD_SD_EEDaS11_S12_SI_SN_EUlS11_E_NS1_11comp_targetILNS1_3genE4ELNS1_11target_archE910ELNS1_3gpuE8ELNS1_3repE0EEENS1_47radix_sort_onesweep_sort_config_static_selectorELNS0_4arch9wavefront6targetE1EEEvSI_,"axG",@progbits,_ZN7rocprim17ROCPRIM_400000_NS6detail17trampoline_kernelINS0_14default_configENS1_35radix_sort_onesweep_config_selectorIttEEZZNS1_29radix_sort_onesweep_iterationIS3_Lb0EN6thrust23THRUST_200600_302600_NS6detail15normal_iteratorINS8_10device_ptrItEEEESD_SD_SD_jNS0_19identity_decomposerENS1_16block_id_wrapperIjLb0EEEEE10hipError_tT1_PNSt15iterator_traitsISI_E10value_typeET2_T3_PNSJ_ISO_E10value_typeET4_T5_PST_SU_PNS1_23onesweep_lookback_stateEbbT6_jjT7_P12ihipStream_tbENKUlT_T0_SI_SN_E_clISD_SD_SD_SD_EEDaS11_S12_SI_SN_EUlS11_E_NS1_11comp_targetILNS1_3genE4ELNS1_11target_archE910ELNS1_3gpuE8ELNS1_3repE0EEENS1_47radix_sort_onesweep_sort_config_static_selectorELNS0_4arch9wavefront6targetE1EEEvSI_,comdat
	.protected	_ZN7rocprim17ROCPRIM_400000_NS6detail17trampoline_kernelINS0_14default_configENS1_35radix_sort_onesweep_config_selectorIttEEZZNS1_29radix_sort_onesweep_iterationIS3_Lb0EN6thrust23THRUST_200600_302600_NS6detail15normal_iteratorINS8_10device_ptrItEEEESD_SD_SD_jNS0_19identity_decomposerENS1_16block_id_wrapperIjLb0EEEEE10hipError_tT1_PNSt15iterator_traitsISI_E10value_typeET2_T3_PNSJ_ISO_E10value_typeET4_T5_PST_SU_PNS1_23onesweep_lookback_stateEbbT6_jjT7_P12ihipStream_tbENKUlT_T0_SI_SN_E_clISD_SD_SD_SD_EEDaS11_S12_SI_SN_EUlS11_E_NS1_11comp_targetILNS1_3genE4ELNS1_11target_archE910ELNS1_3gpuE8ELNS1_3repE0EEENS1_47radix_sort_onesweep_sort_config_static_selectorELNS0_4arch9wavefront6targetE1EEEvSI_ ; -- Begin function _ZN7rocprim17ROCPRIM_400000_NS6detail17trampoline_kernelINS0_14default_configENS1_35radix_sort_onesweep_config_selectorIttEEZZNS1_29radix_sort_onesweep_iterationIS3_Lb0EN6thrust23THRUST_200600_302600_NS6detail15normal_iteratorINS8_10device_ptrItEEEESD_SD_SD_jNS0_19identity_decomposerENS1_16block_id_wrapperIjLb0EEEEE10hipError_tT1_PNSt15iterator_traitsISI_E10value_typeET2_T3_PNSJ_ISO_E10value_typeET4_T5_PST_SU_PNS1_23onesweep_lookback_stateEbbT6_jjT7_P12ihipStream_tbENKUlT_T0_SI_SN_E_clISD_SD_SD_SD_EEDaS11_S12_SI_SN_EUlS11_E_NS1_11comp_targetILNS1_3genE4ELNS1_11target_archE910ELNS1_3gpuE8ELNS1_3repE0EEENS1_47radix_sort_onesweep_sort_config_static_selectorELNS0_4arch9wavefront6targetE1EEEvSI_
	.globl	_ZN7rocprim17ROCPRIM_400000_NS6detail17trampoline_kernelINS0_14default_configENS1_35radix_sort_onesweep_config_selectorIttEEZZNS1_29radix_sort_onesweep_iterationIS3_Lb0EN6thrust23THRUST_200600_302600_NS6detail15normal_iteratorINS8_10device_ptrItEEEESD_SD_SD_jNS0_19identity_decomposerENS1_16block_id_wrapperIjLb0EEEEE10hipError_tT1_PNSt15iterator_traitsISI_E10value_typeET2_T3_PNSJ_ISO_E10value_typeET4_T5_PST_SU_PNS1_23onesweep_lookback_stateEbbT6_jjT7_P12ihipStream_tbENKUlT_T0_SI_SN_E_clISD_SD_SD_SD_EEDaS11_S12_SI_SN_EUlS11_E_NS1_11comp_targetILNS1_3genE4ELNS1_11target_archE910ELNS1_3gpuE8ELNS1_3repE0EEENS1_47radix_sort_onesweep_sort_config_static_selectorELNS0_4arch9wavefront6targetE1EEEvSI_
	.p2align	8
	.type	_ZN7rocprim17ROCPRIM_400000_NS6detail17trampoline_kernelINS0_14default_configENS1_35radix_sort_onesweep_config_selectorIttEEZZNS1_29radix_sort_onesweep_iterationIS3_Lb0EN6thrust23THRUST_200600_302600_NS6detail15normal_iteratorINS8_10device_ptrItEEEESD_SD_SD_jNS0_19identity_decomposerENS1_16block_id_wrapperIjLb0EEEEE10hipError_tT1_PNSt15iterator_traitsISI_E10value_typeET2_T3_PNSJ_ISO_E10value_typeET4_T5_PST_SU_PNS1_23onesweep_lookback_stateEbbT6_jjT7_P12ihipStream_tbENKUlT_T0_SI_SN_E_clISD_SD_SD_SD_EEDaS11_S12_SI_SN_EUlS11_E_NS1_11comp_targetILNS1_3genE4ELNS1_11target_archE910ELNS1_3gpuE8ELNS1_3repE0EEENS1_47radix_sort_onesweep_sort_config_static_selectorELNS0_4arch9wavefront6targetE1EEEvSI_,@function
_ZN7rocprim17ROCPRIM_400000_NS6detail17trampoline_kernelINS0_14default_configENS1_35radix_sort_onesweep_config_selectorIttEEZZNS1_29radix_sort_onesweep_iterationIS3_Lb0EN6thrust23THRUST_200600_302600_NS6detail15normal_iteratorINS8_10device_ptrItEEEESD_SD_SD_jNS0_19identity_decomposerENS1_16block_id_wrapperIjLb0EEEEE10hipError_tT1_PNSt15iterator_traitsISI_E10value_typeET2_T3_PNSJ_ISO_E10value_typeET4_T5_PST_SU_PNS1_23onesweep_lookback_stateEbbT6_jjT7_P12ihipStream_tbENKUlT_T0_SI_SN_E_clISD_SD_SD_SD_EEDaS11_S12_SI_SN_EUlS11_E_NS1_11comp_targetILNS1_3genE4ELNS1_11target_archE910ELNS1_3gpuE8ELNS1_3repE0EEENS1_47radix_sort_onesweep_sort_config_static_selectorELNS0_4arch9wavefront6targetE1EEEvSI_: ; @_ZN7rocprim17ROCPRIM_400000_NS6detail17trampoline_kernelINS0_14default_configENS1_35radix_sort_onesweep_config_selectorIttEEZZNS1_29radix_sort_onesweep_iterationIS3_Lb0EN6thrust23THRUST_200600_302600_NS6detail15normal_iteratorINS8_10device_ptrItEEEESD_SD_SD_jNS0_19identity_decomposerENS1_16block_id_wrapperIjLb0EEEEE10hipError_tT1_PNSt15iterator_traitsISI_E10value_typeET2_T3_PNSJ_ISO_E10value_typeET4_T5_PST_SU_PNS1_23onesweep_lookback_stateEbbT6_jjT7_P12ihipStream_tbENKUlT_T0_SI_SN_E_clISD_SD_SD_SD_EEDaS11_S12_SI_SN_EUlS11_E_NS1_11comp_targetILNS1_3genE4ELNS1_11target_archE910ELNS1_3gpuE8ELNS1_3repE0EEENS1_47radix_sort_onesweep_sort_config_static_selectorELNS0_4arch9wavefront6targetE1EEEvSI_
; %bb.0:
	.section	.rodata,"a",@progbits
	.p2align	6, 0x0
	.amdhsa_kernel _ZN7rocprim17ROCPRIM_400000_NS6detail17trampoline_kernelINS0_14default_configENS1_35radix_sort_onesweep_config_selectorIttEEZZNS1_29radix_sort_onesweep_iterationIS3_Lb0EN6thrust23THRUST_200600_302600_NS6detail15normal_iteratorINS8_10device_ptrItEEEESD_SD_SD_jNS0_19identity_decomposerENS1_16block_id_wrapperIjLb0EEEEE10hipError_tT1_PNSt15iterator_traitsISI_E10value_typeET2_T3_PNSJ_ISO_E10value_typeET4_T5_PST_SU_PNS1_23onesweep_lookback_stateEbbT6_jjT7_P12ihipStream_tbENKUlT_T0_SI_SN_E_clISD_SD_SD_SD_EEDaS11_S12_SI_SN_EUlS11_E_NS1_11comp_targetILNS1_3genE4ELNS1_11target_archE910ELNS1_3gpuE8ELNS1_3repE0EEENS1_47radix_sort_onesweep_sort_config_static_selectorELNS0_4arch9wavefront6targetE1EEEvSI_
		.amdhsa_group_segment_fixed_size 0
		.amdhsa_private_segment_fixed_size 0
		.amdhsa_kernarg_size 88
		.amdhsa_user_sgpr_count 2
		.amdhsa_user_sgpr_dispatch_ptr 0
		.amdhsa_user_sgpr_queue_ptr 0
		.amdhsa_user_sgpr_kernarg_segment_ptr 1
		.amdhsa_user_sgpr_dispatch_id 0
		.amdhsa_user_sgpr_kernarg_preload_length 0
		.amdhsa_user_sgpr_kernarg_preload_offset 0
		.amdhsa_user_sgpr_private_segment_size 0
		.amdhsa_uses_dynamic_stack 0
		.amdhsa_enable_private_segment 0
		.amdhsa_system_sgpr_workgroup_id_x 1
		.amdhsa_system_sgpr_workgroup_id_y 0
		.amdhsa_system_sgpr_workgroup_id_z 0
		.amdhsa_system_sgpr_workgroup_info 0
		.amdhsa_system_vgpr_workitem_id 0
		.amdhsa_next_free_vgpr 1
		.amdhsa_next_free_sgpr 0
		.amdhsa_accum_offset 4
		.amdhsa_reserve_vcc 0
		.amdhsa_float_round_mode_32 0
		.amdhsa_float_round_mode_16_64 0
		.amdhsa_float_denorm_mode_32 3
		.amdhsa_float_denorm_mode_16_64 3
		.amdhsa_dx10_clamp 1
		.amdhsa_ieee_mode 1
		.amdhsa_fp16_overflow 0
		.amdhsa_tg_split 0
		.amdhsa_exception_fp_ieee_invalid_op 0
		.amdhsa_exception_fp_denorm_src 0
		.amdhsa_exception_fp_ieee_div_zero 0
		.amdhsa_exception_fp_ieee_overflow 0
		.amdhsa_exception_fp_ieee_underflow 0
		.amdhsa_exception_fp_ieee_inexact 0
		.amdhsa_exception_int_div_zero 0
	.end_amdhsa_kernel
	.section	.text._ZN7rocprim17ROCPRIM_400000_NS6detail17trampoline_kernelINS0_14default_configENS1_35radix_sort_onesweep_config_selectorIttEEZZNS1_29radix_sort_onesweep_iterationIS3_Lb0EN6thrust23THRUST_200600_302600_NS6detail15normal_iteratorINS8_10device_ptrItEEEESD_SD_SD_jNS0_19identity_decomposerENS1_16block_id_wrapperIjLb0EEEEE10hipError_tT1_PNSt15iterator_traitsISI_E10value_typeET2_T3_PNSJ_ISO_E10value_typeET4_T5_PST_SU_PNS1_23onesweep_lookback_stateEbbT6_jjT7_P12ihipStream_tbENKUlT_T0_SI_SN_E_clISD_SD_SD_SD_EEDaS11_S12_SI_SN_EUlS11_E_NS1_11comp_targetILNS1_3genE4ELNS1_11target_archE910ELNS1_3gpuE8ELNS1_3repE0EEENS1_47radix_sort_onesweep_sort_config_static_selectorELNS0_4arch9wavefront6targetE1EEEvSI_,"axG",@progbits,_ZN7rocprim17ROCPRIM_400000_NS6detail17trampoline_kernelINS0_14default_configENS1_35radix_sort_onesweep_config_selectorIttEEZZNS1_29radix_sort_onesweep_iterationIS3_Lb0EN6thrust23THRUST_200600_302600_NS6detail15normal_iteratorINS8_10device_ptrItEEEESD_SD_SD_jNS0_19identity_decomposerENS1_16block_id_wrapperIjLb0EEEEE10hipError_tT1_PNSt15iterator_traitsISI_E10value_typeET2_T3_PNSJ_ISO_E10value_typeET4_T5_PST_SU_PNS1_23onesweep_lookback_stateEbbT6_jjT7_P12ihipStream_tbENKUlT_T0_SI_SN_E_clISD_SD_SD_SD_EEDaS11_S12_SI_SN_EUlS11_E_NS1_11comp_targetILNS1_3genE4ELNS1_11target_archE910ELNS1_3gpuE8ELNS1_3repE0EEENS1_47radix_sort_onesweep_sort_config_static_selectorELNS0_4arch9wavefront6targetE1EEEvSI_,comdat
.Lfunc_end1005:
	.size	_ZN7rocprim17ROCPRIM_400000_NS6detail17trampoline_kernelINS0_14default_configENS1_35radix_sort_onesweep_config_selectorIttEEZZNS1_29radix_sort_onesweep_iterationIS3_Lb0EN6thrust23THRUST_200600_302600_NS6detail15normal_iteratorINS8_10device_ptrItEEEESD_SD_SD_jNS0_19identity_decomposerENS1_16block_id_wrapperIjLb0EEEEE10hipError_tT1_PNSt15iterator_traitsISI_E10value_typeET2_T3_PNSJ_ISO_E10value_typeET4_T5_PST_SU_PNS1_23onesweep_lookback_stateEbbT6_jjT7_P12ihipStream_tbENKUlT_T0_SI_SN_E_clISD_SD_SD_SD_EEDaS11_S12_SI_SN_EUlS11_E_NS1_11comp_targetILNS1_3genE4ELNS1_11target_archE910ELNS1_3gpuE8ELNS1_3repE0EEENS1_47radix_sort_onesweep_sort_config_static_selectorELNS0_4arch9wavefront6targetE1EEEvSI_, .Lfunc_end1005-_ZN7rocprim17ROCPRIM_400000_NS6detail17trampoline_kernelINS0_14default_configENS1_35radix_sort_onesweep_config_selectorIttEEZZNS1_29radix_sort_onesweep_iterationIS3_Lb0EN6thrust23THRUST_200600_302600_NS6detail15normal_iteratorINS8_10device_ptrItEEEESD_SD_SD_jNS0_19identity_decomposerENS1_16block_id_wrapperIjLb0EEEEE10hipError_tT1_PNSt15iterator_traitsISI_E10value_typeET2_T3_PNSJ_ISO_E10value_typeET4_T5_PST_SU_PNS1_23onesweep_lookback_stateEbbT6_jjT7_P12ihipStream_tbENKUlT_T0_SI_SN_E_clISD_SD_SD_SD_EEDaS11_S12_SI_SN_EUlS11_E_NS1_11comp_targetILNS1_3genE4ELNS1_11target_archE910ELNS1_3gpuE8ELNS1_3repE0EEENS1_47radix_sort_onesweep_sort_config_static_selectorELNS0_4arch9wavefront6targetE1EEEvSI_
                                        ; -- End function
	.set _ZN7rocprim17ROCPRIM_400000_NS6detail17trampoline_kernelINS0_14default_configENS1_35radix_sort_onesweep_config_selectorIttEEZZNS1_29radix_sort_onesweep_iterationIS3_Lb0EN6thrust23THRUST_200600_302600_NS6detail15normal_iteratorINS8_10device_ptrItEEEESD_SD_SD_jNS0_19identity_decomposerENS1_16block_id_wrapperIjLb0EEEEE10hipError_tT1_PNSt15iterator_traitsISI_E10value_typeET2_T3_PNSJ_ISO_E10value_typeET4_T5_PST_SU_PNS1_23onesweep_lookback_stateEbbT6_jjT7_P12ihipStream_tbENKUlT_T0_SI_SN_E_clISD_SD_SD_SD_EEDaS11_S12_SI_SN_EUlS11_E_NS1_11comp_targetILNS1_3genE4ELNS1_11target_archE910ELNS1_3gpuE8ELNS1_3repE0EEENS1_47radix_sort_onesweep_sort_config_static_selectorELNS0_4arch9wavefront6targetE1EEEvSI_.num_vgpr, 0
	.set _ZN7rocprim17ROCPRIM_400000_NS6detail17trampoline_kernelINS0_14default_configENS1_35radix_sort_onesweep_config_selectorIttEEZZNS1_29radix_sort_onesweep_iterationIS3_Lb0EN6thrust23THRUST_200600_302600_NS6detail15normal_iteratorINS8_10device_ptrItEEEESD_SD_SD_jNS0_19identity_decomposerENS1_16block_id_wrapperIjLb0EEEEE10hipError_tT1_PNSt15iterator_traitsISI_E10value_typeET2_T3_PNSJ_ISO_E10value_typeET4_T5_PST_SU_PNS1_23onesweep_lookback_stateEbbT6_jjT7_P12ihipStream_tbENKUlT_T0_SI_SN_E_clISD_SD_SD_SD_EEDaS11_S12_SI_SN_EUlS11_E_NS1_11comp_targetILNS1_3genE4ELNS1_11target_archE910ELNS1_3gpuE8ELNS1_3repE0EEENS1_47radix_sort_onesweep_sort_config_static_selectorELNS0_4arch9wavefront6targetE1EEEvSI_.num_agpr, 0
	.set _ZN7rocprim17ROCPRIM_400000_NS6detail17trampoline_kernelINS0_14default_configENS1_35radix_sort_onesweep_config_selectorIttEEZZNS1_29radix_sort_onesweep_iterationIS3_Lb0EN6thrust23THRUST_200600_302600_NS6detail15normal_iteratorINS8_10device_ptrItEEEESD_SD_SD_jNS0_19identity_decomposerENS1_16block_id_wrapperIjLb0EEEEE10hipError_tT1_PNSt15iterator_traitsISI_E10value_typeET2_T3_PNSJ_ISO_E10value_typeET4_T5_PST_SU_PNS1_23onesweep_lookback_stateEbbT6_jjT7_P12ihipStream_tbENKUlT_T0_SI_SN_E_clISD_SD_SD_SD_EEDaS11_S12_SI_SN_EUlS11_E_NS1_11comp_targetILNS1_3genE4ELNS1_11target_archE910ELNS1_3gpuE8ELNS1_3repE0EEENS1_47radix_sort_onesweep_sort_config_static_selectorELNS0_4arch9wavefront6targetE1EEEvSI_.numbered_sgpr, 0
	.set _ZN7rocprim17ROCPRIM_400000_NS6detail17trampoline_kernelINS0_14default_configENS1_35radix_sort_onesweep_config_selectorIttEEZZNS1_29radix_sort_onesweep_iterationIS3_Lb0EN6thrust23THRUST_200600_302600_NS6detail15normal_iteratorINS8_10device_ptrItEEEESD_SD_SD_jNS0_19identity_decomposerENS1_16block_id_wrapperIjLb0EEEEE10hipError_tT1_PNSt15iterator_traitsISI_E10value_typeET2_T3_PNSJ_ISO_E10value_typeET4_T5_PST_SU_PNS1_23onesweep_lookback_stateEbbT6_jjT7_P12ihipStream_tbENKUlT_T0_SI_SN_E_clISD_SD_SD_SD_EEDaS11_S12_SI_SN_EUlS11_E_NS1_11comp_targetILNS1_3genE4ELNS1_11target_archE910ELNS1_3gpuE8ELNS1_3repE0EEENS1_47radix_sort_onesweep_sort_config_static_selectorELNS0_4arch9wavefront6targetE1EEEvSI_.num_named_barrier, 0
	.set _ZN7rocprim17ROCPRIM_400000_NS6detail17trampoline_kernelINS0_14default_configENS1_35radix_sort_onesweep_config_selectorIttEEZZNS1_29radix_sort_onesweep_iterationIS3_Lb0EN6thrust23THRUST_200600_302600_NS6detail15normal_iteratorINS8_10device_ptrItEEEESD_SD_SD_jNS0_19identity_decomposerENS1_16block_id_wrapperIjLb0EEEEE10hipError_tT1_PNSt15iterator_traitsISI_E10value_typeET2_T3_PNSJ_ISO_E10value_typeET4_T5_PST_SU_PNS1_23onesweep_lookback_stateEbbT6_jjT7_P12ihipStream_tbENKUlT_T0_SI_SN_E_clISD_SD_SD_SD_EEDaS11_S12_SI_SN_EUlS11_E_NS1_11comp_targetILNS1_3genE4ELNS1_11target_archE910ELNS1_3gpuE8ELNS1_3repE0EEENS1_47radix_sort_onesweep_sort_config_static_selectorELNS0_4arch9wavefront6targetE1EEEvSI_.private_seg_size, 0
	.set _ZN7rocprim17ROCPRIM_400000_NS6detail17trampoline_kernelINS0_14default_configENS1_35radix_sort_onesweep_config_selectorIttEEZZNS1_29radix_sort_onesweep_iterationIS3_Lb0EN6thrust23THRUST_200600_302600_NS6detail15normal_iteratorINS8_10device_ptrItEEEESD_SD_SD_jNS0_19identity_decomposerENS1_16block_id_wrapperIjLb0EEEEE10hipError_tT1_PNSt15iterator_traitsISI_E10value_typeET2_T3_PNSJ_ISO_E10value_typeET4_T5_PST_SU_PNS1_23onesweep_lookback_stateEbbT6_jjT7_P12ihipStream_tbENKUlT_T0_SI_SN_E_clISD_SD_SD_SD_EEDaS11_S12_SI_SN_EUlS11_E_NS1_11comp_targetILNS1_3genE4ELNS1_11target_archE910ELNS1_3gpuE8ELNS1_3repE0EEENS1_47radix_sort_onesweep_sort_config_static_selectorELNS0_4arch9wavefront6targetE1EEEvSI_.uses_vcc, 0
	.set _ZN7rocprim17ROCPRIM_400000_NS6detail17trampoline_kernelINS0_14default_configENS1_35radix_sort_onesweep_config_selectorIttEEZZNS1_29radix_sort_onesweep_iterationIS3_Lb0EN6thrust23THRUST_200600_302600_NS6detail15normal_iteratorINS8_10device_ptrItEEEESD_SD_SD_jNS0_19identity_decomposerENS1_16block_id_wrapperIjLb0EEEEE10hipError_tT1_PNSt15iterator_traitsISI_E10value_typeET2_T3_PNSJ_ISO_E10value_typeET4_T5_PST_SU_PNS1_23onesweep_lookback_stateEbbT6_jjT7_P12ihipStream_tbENKUlT_T0_SI_SN_E_clISD_SD_SD_SD_EEDaS11_S12_SI_SN_EUlS11_E_NS1_11comp_targetILNS1_3genE4ELNS1_11target_archE910ELNS1_3gpuE8ELNS1_3repE0EEENS1_47radix_sort_onesweep_sort_config_static_selectorELNS0_4arch9wavefront6targetE1EEEvSI_.uses_flat_scratch, 0
	.set _ZN7rocprim17ROCPRIM_400000_NS6detail17trampoline_kernelINS0_14default_configENS1_35radix_sort_onesweep_config_selectorIttEEZZNS1_29radix_sort_onesweep_iterationIS3_Lb0EN6thrust23THRUST_200600_302600_NS6detail15normal_iteratorINS8_10device_ptrItEEEESD_SD_SD_jNS0_19identity_decomposerENS1_16block_id_wrapperIjLb0EEEEE10hipError_tT1_PNSt15iterator_traitsISI_E10value_typeET2_T3_PNSJ_ISO_E10value_typeET4_T5_PST_SU_PNS1_23onesweep_lookback_stateEbbT6_jjT7_P12ihipStream_tbENKUlT_T0_SI_SN_E_clISD_SD_SD_SD_EEDaS11_S12_SI_SN_EUlS11_E_NS1_11comp_targetILNS1_3genE4ELNS1_11target_archE910ELNS1_3gpuE8ELNS1_3repE0EEENS1_47radix_sort_onesweep_sort_config_static_selectorELNS0_4arch9wavefront6targetE1EEEvSI_.has_dyn_sized_stack, 0
	.set _ZN7rocprim17ROCPRIM_400000_NS6detail17trampoline_kernelINS0_14default_configENS1_35radix_sort_onesweep_config_selectorIttEEZZNS1_29radix_sort_onesweep_iterationIS3_Lb0EN6thrust23THRUST_200600_302600_NS6detail15normal_iteratorINS8_10device_ptrItEEEESD_SD_SD_jNS0_19identity_decomposerENS1_16block_id_wrapperIjLb0EEEEE10hipError_tT1_PNSt15iterator_traitsISI_E10value_typeET2_T3_PNSJ_ISO_E10value_typeET4_T5_PST_SU_PNS1_23onesweep_lookback_stateEbbT6_jjT7_P12ihipStream_tbENKUlT_T0_SI_SN_E_clISD_SD_SD_SD_EEDaS11_S12_SI_SN_EUlS11_E_NS1_11comp_targetILNS1_3genE4ELNS1_11target_archE910ELNS1_3gpuE8ELNS1_3repE0EEENS1_47radix_sort_onesweep_sort_config_static_selectorELNS0_4arch9wavefront6targetE1EEEvSI_.has_recursion, 0
	.set _ZN7rocprim17ROCPRIM_400000_NS6detail17trampoline_kernelINS0_14default_configENS1_35radix_sort_onesweep_config_selectorIttEEZZNS1_29radix_sort_onesweep_iterationIS3_Lb0EN6thrust23THRUST_200600_302600_NS6detail15normal_iteratorINS8_10device_ptrItEEEESD_SD_SD_jNS0_19identity_decomposerENS1_16block_id_wrapperIjLb0EEEEE10hipError_tT1_PNSt15iterator_traitsISI_E10value_typeET2_T3_PNSJ_ISO_E10value_typeET4_T5_PST_SU_PNS1_23onesweep_lookback_stateEbbT6_jjT7_P12ihipStream_tbENKUlT_T0_SI_SN_E_clISD_SD_SD_SD_EEDaS11_S12_SI_SN_EUlS11_E_NS1_11comp_targetILNS1_3genE4ELNS1_11target_archE910ELNS1_3gpuE8ELNS1_3repE0EEENS1_47radix_sort_onesweep_sort_config_static_selectorELNS0_4arch9wavefront6targetE1EEEvSI_.has_indirect_call, 0
	.section	.AMDGPU.csdata,"",@progbits
; Kernel info:
; codeLenInByte = 0
; TotalNumSgprs: 6
; NumVgprs: 0
; NumAgprs: 0
; TotalNumVgprs: 0
; ScratchSize: 0
; MemoryBound: 0
; FloatMode: 240
; IeeeMode: 1
; LDSByteSize: 0 bytes/workgroup (compile time only)
; SGPRBlocks: 0
; VGPRBlocks: 0
; NumSGPRsForWavesPerEU: 6
; NumVGPRsForWavesPerEU: 1
; AccumOffset: 4
; Occupancy: 8
; WaveLimiterHint : 0
; COMPUTE_PGM_RSRC2:SCRATCH_EN: 0
; COMPUTE_PGM_RSRC2:USER_SGPR: 2
; COMPUTE_PGM_RSRC2:TRAP_HANDLER: 0
; COMPUTE_PGM_RSRC2:TGID_X_EN: 1
; COMPUTE_PGM_RSRC2:TGID_Y_EN: 0
; COMPUTE_PGM_RSRC2:TGID_Z_EN: 0
; COMPUTE_PGM_RSRC2:TIDIG_COMP_CNT: 0
; COMPUTE_PGM_RSRC3_GFX90A:ACCUM_OFFSET: 0
; COMPUTE_PGM_RSRC3_GFX90A:TG_SPLIT: 0
	.section	.text._ZN7rocprim17ROCPRIM_400000_NS6detail17trampoline_kernelINS0_14default_configENS1_35radix_sort_onesweep_config_selectorIttEEZZNS1_29radix_sort_onesweep_iterationIS3_Lb0EN6thrust23THRUST_200600_302600_NS6detail15normal_iteratorINS8_10device_ptrItEEEESD_SD_SD_jNS0_19identity_decomposerENS1_16block_id_wrapperIjLb0EEEEE10hipError_tT1_PNSt15iterator_traitsISI_E10value_typeET2_T3_PNSJ_ISO_E10value_typeET4_T5_PST_SU_PNS1_23onesweep_lookback_stateEbbT6_jjT7_P12ihipStream_tbENKUlT_T0_SI_SN_E_clISD_SD_SD_SD_EEDaS11_S12_SI_SN_EUlS11_E_NS1_11comp_targetILNS1_3genE3ELNS1_11target_archE908ELNS1_3gpuE7ELNS1_3repE0EEENS1_47radix_sort_onesweep_sort_config_static_selectorELNS0_4arch9wavefront6targetE1EEEvSI_,"axG",@progbits,_ZN7rocprim17ROCPRIM_400000_NS6detail17trampoline_kernelINS0_14default_configENS1_35radix_sort_onesweep_config_selectorIttEEZZNS1_29radix_sort_onesweep_iterationIS3_Lb0EN6thrust23THRUST_200600_302600_NS6detail15normal_iteratorINS8_10device_ptrItEEEESD_SD_SD_jNS0_19identity_decomposerENS1_16block_id_wrapperIjLb0EEEEE10hipError_tT1_PNSt15iterator_traitsISI_E10value_typeET2_T3_PNSJ_ISO_E10value_typeET4_T5_PST_SU_PNS1_23onesweep_lookback_stateEbbT6_jjT7_P12ihipStream_tbENKUlT_T0_SI_SN_E_clISD_SD_SD_SD_EEDaS11_S12_SI_SN_EUlS11_E_NS1_11comp_targetILNS1_3genE3ELNS1_11target_archE908ELNS1_3gpuE7ELNS1_3repE0EEENS1_47radix_sort_onesweep_sort_config_static_selectorELNS0_4arch9wavefront6targetE1EEEvSI_,comdat
	.protected	_ZN7rocprim17ROCPRIM_400000_NS6detail17trampoline_kernelINS0_14default_configENS1_35radix_sort_onesweep_config_selectorIttEEZZNS1_29radix_sort_onesweep_iterationIS3_Lb0EN6thrust23THRUST_200600_302600_NS6detail15normal_iteratorINS8_10device_ptrItEEEESD_SD_SD_jNS0_19identity_decomposerENS1_16block_id_wrapperIjLb0EEEEE10hipError_tT1_PNSt15iterator_traitsISI_E10value_typeET2_T3_PNSJ_ISO_E10value_typeET4_T5_PST_SU_PNS1_23onesweep_lookback_stateEbbT6_jjT7_P12ihipStream_tbENKUlT_T0_SI_SN_E_clISD_SD_SD_SD_EEDaS11_S12_SI_SN_EUlS11_E_NS1_11comp_targetILNS1_3genE3ELNS1_11target_archE908ELNS1_3gpuE7ELNS1_3repE0EEENS1_47radix_sort_onesweep_sort_config_static_selectorELNS0_4arch9wavefront6targetE1EEEvSI_ ; -- Begin function _ZN7rocprim17ROCPRIM_400000_NS6detail17trampoline_kernelINS0_14default_configENS1_35radix_sort_onesweep_config_selectorIttEEZZNS1_29radix_sort_onesweep_iterationIS3_Lb0EN6thrust23THRUST_200600_302600_NS6detail15normal_iteratorINS8_10device_ptrItEEEESD_SD_SD_jNS0_19identity_decomposerENS1_16block_id_wrapperIjLb0EEEEE10hipError_tT1_PNSt15iterator_traitsISI_E10value_typeET2_T3_PNSJ_ISO_E10value_typeET4_T5_PST_SU_PNS1_23onesweep_lookback_stateEbbT6_jjT7_P12ihipStream_tbENKUlT_T0_SI_SN_E_clISD_SD_SD_SD_EEDaS11_S12_SI_SN_EUlS11_E_NS1_11comp_targetILNS1_3genE3ELNS1_11target_archE908ELNS1_3gpuE7ELNS1_3repE0EEENS1_47radix_sort_onesweep_sort_config_static_selectorELNS0_4arch9wavefront6targetE1EEEvSI_
	.globl	_ZN7rocprim17ROCPRIM_400000_NS6detail17trampoline_kernelINS0_14default_configENS1_35radix_sort_onesweep_config_selectorIttEEZZNS1_29radix_sort_onesweep_iterationIS3_Lb0EN6thrust23THRUST_200600_302600_NS6detail15normal_iteratorINS8_10device_ptrItEEEESD_SD_SD_jNS0_19identity_decomposerENS1_16block_id_wrapperIjLb0EEEEE10hipError_tT1_PNSt15iterator_traitsISI_E10value_typeET2_T3_PNSJ_ISO_E10value_typeET4_T5_PST_SU_PNS1_23onesweep_lookback_stateEbbT6_jjT7_P12ihipStream_tbENKUlT_T0_SI_SN_E_clISD_SD_SD_SD_EEDaS11_S12_SI_SN_EUlS11_E_NS1_11comp_targetILNS1_3genE3ELNS1_11target_archE908ELNS1_3gpuE7ELNS1_3repE0EEENS1_47radix_sort_onesweep_sort_config_static_selectorELNS0_4arch9wavefront6targetE1EEEvSI_
	.p2align	8
	.type	_ZN7rocprim17ROCPRIM_400000_NS6detail17trampoline_kernelINS0_14default_configENS1_35radix_sort_onesweep_config_selectorIttEEZZNS1_29radix_sort_onesweep_iterationIS3_Lb0EN6thrust23THRUST_200600_302600_NS6detail15normal_iteratorINS8_10device_ptrItEEEESD_SD_SD_jNS0_19identity_decomposerENS1_16block_id_wrapperIjLb0EEEEE10hipError_tT1_PNSt15iterator_traitsISI_E10value_typeET2_T3_PNSJ_ISO_E10value_typeET4_T5_PST_SU_PNS1_23onesweep_lookback_stateEbbT6_jjT7_P12ihipStream_tbENKUlT_T0_SI_SN_E_clISD_SD_SD_SD_EEDaS11_S12_SI_SN_EUlS11_E_NS1_11comp_targetILNS1_3genE3ELNS1_11target_archE908ELNS1_3gpuE7ELNS1_3repE0EEENS1_47radix_sort_onesweep_sort_config_static_selectorELNS0_4arch9wavefront6targetE1EEEvSI_,@function
_ZN7rocprim17ROCPRIM_400000_NS6detail17trampoline_kernelINS0_14default_configENS1_35radix_sort_onesweep_config_selectorIttEEZZNS1_29radix_sort_onesweep_iterationIS3_Lb0EN6thrust23THRUST_200600_302600_NS6detail15normal_iteratorINS8_10device_ptrItEEEESD_SD_SD_jNS0_19identity_decomposerENS1_16block_id_wrapperIjLb0EEEEE10hipError_tT1_PNSt15iterator_traitsISI_E10value_typeET2_T3_PNSJ_ISO_E10value_typeET4_T5_PST_SU_PNS1_23onesweep_lookback_stateEbbT6_jjT7_P12ihipStream_tbENKUlT_T0_SI_SN_E_clISD_SD_SD_SD_EEDaS11_S12_SI_SN_EUlS11_E_NS1_11comp_targetILNS1_3genE3ELNS1_11target_archE908ELNS1_3gpuE7ELNS1_3repE0EEENS1_47radix_sort_onesweep_sort_config_static_selectorELNS0_4arch9wavefront6targetE1EEEvSI_: ; @_ZN7rocprim17ROCPRIM_400000_NS6detail17trampoline_kernelINS0_14default_configENS1_35radix_sort_onesweep_config_selectorIttEEZZNS1_29radix_sort_onesweep_iterationIS3_Lb0EN6thrust23THRUST_200600_302600_NS6detail15normal_iteratorINS8_10device_ptrItEEEESD_SD_SD_jNS0_19identity_decomposerENS1_16block_id_wrapperIjLb0EEEEE10hipError_tT1_PNSt15iterator_traitsISI_E10value_typeET2_T3_PNSJ_ISO_E10value_typeET4_T5_PST_SU_PNS1_23onesweep_lookback_stateEbbT6_jjT7_P12ihipStream_tbENKUlT_T0_SI_SN_E_clISD_SD_SD_SD_EEDaS11_S12_SI_SN_EUlS11_E_NS1_11comp_targetILNS1_3genE3ELNS1_11target_archE908ELNS1_3gpuE7ELNS1_3repE0EEENS1_47radix_sort_onesweep_sort_config_static_selectorELNS0_4arch9wavefront6targetE1EEEvSI_
; %bb.0:
	.section	.rodata,"a",@progbits
	.p2align	6, 0x0
	.amdhsa_kernel _ZN7rocprim17ROCPRIM_400000_NS6detail17trampoline_kernelINS0_14default_configENS1_35radix_sort_onesweep_config_selectorIttEEZZNS1_29radix_sort_onesweep_iterationIS3_Lb0EN6thrust23THRUST_200600_302600_NS6detail15normal_iteratorINS8_10device_ptrItEEEESD_SD_SD_jNS0_19identity_decomposerENS1_16block_id_wrapperIjLb0EEEEE10hipError_tT1_PNSt15iterator_traitsISI_E10value_typeET2_T3_PNSJ_ISO_E10value_typeET4_T5_PST_SU_PNS1_23onesweep_lookback_stateEbbT6_jjT7_P12ihipStream_tbENKUlT_T0_SI_SN_E_clISD_SD_SD_SD_EEDaS11_S12_SI_SN_EUlS11_E_NS1_11comp_targetILNS1_3genE3ELNS1_11target_archE908ELNS1_3gpuE7ELNS1_3repE0EEENS1_47radix_sort_onesweep_sort_config_static_selectorELNS0_4arch9wavefront6targetE1EEEvSI_
		.amdhsa_group_segment_fixed_size 0
		.amdhsa_private_segment_fixed_size 0
		.amdhsa_kernarg_size 88
		.amdhsa_user_sgpr_count 2
		.amdhsa_user_sgpr_dispatch_ptr 0
		.amdhsa_user_sgpr_queue_ptr 0
		.amdhsa_user_sgpr_kernarg_segment_ptr 1
		.amdhsa_user_sgpr_dispatch_id 0
		.amdhsa_user_sgpr_kernarg_preload_length 0
		.amdhsa_user_sgpr_kernarg_preload_offset 0
		.amdhsa_user_sgpr_private_segment_size 0
		.amdhsa_uses_dynamic_stack 0
		.amdhsa_enable_private_segment 0
		.amdhsa_system_sgpr_workgroup_id_x 1
		.amdhsa_system_sgpr_workgroup_id_y 0
		.amdhsa_system_sgpr_workgroup_id_z 0
		.amdhsa_system_sgpr_workgroup_info 0
		.amdhsa_system_vgpr_workitem_id 0
		.amdhsa_next_free_vgpr 1
		.amdhsa_next_free_sgpr 0
		.amdhsa_accum_offset 4
		.amdhsa_reserve_vcc 0
		.amdhsa_float_round_mode_32 0
		.amdhsa_float_round_mode_16_64 0
		.amdhsa_float_denorm_mode_32 3
		.amdhsa_float_denorm_mode_16_64 3
		.amdhsa_dx10_clamp 1
		.amdhsa_ieee_mode 1
		.amdhsa_fp16_overflow 0
		.amdhsa_tg_split 0
		.amdhsa_exception_fp_ieee_invalid_op 0
		.amdhsa_exception_fp_denorm_src 0
		.amdhsa_exception_fp_ieee_div_zero 0
		.amdhsa_exception_fp_ieee_overflow 0
		.amdhsa_exception_fp_ieee_underflow 0
		.amdhsa_exception_fp_ieee_inexact 0
		.amdhsa_exception_int_div_zero 0
	.end_amdhsa_kernel
	.section	.text._ZN7rocprim17ROCPRIM_400000_NS6detail17trampoline_kernelINS0_14default_configENS1_35radix_sort_onesweep_config_selectorIttEEZZNS1_29radix_sort_onesweep_iterationIS3_Lb0EN6thrust23THRUST_200600_302600_NS6detail15normal_iteratorINS8_10device_ptrItEEEESD_SD_SD_jNS0_19identity_decomposerENS1_16block_id_wrapperIjLb0EEEEE10hipError_tT1_PNSt15iterator_traitsISI_E10value_typeET2_T3_PNSJ_ISO_E10value_typeET4_T5_PST_SU_PNS1_23onesweep_lookback_stateEbbT6_jjT7_P12ihipStream_tbENKUlT_T0_SI_SN_E_clISD_SD_SD_SD_EEDaS11_S12_SI_SN_EUlS11_E_NS1_11comp_targetILNS1_3genE3ELNS1_11target_archE908ELNS1_3gpuE7ELNS1_3repE0EEENS1_47radix_sort_onesweep_sort_config_static_selectorELNS0_4arch9wavefront6targetE1EEEvSI_,"axG",@progbits,_ZN7rocprim17ROCPRIM_400000_NS6detail17trampoline_kernelINS0_14default_configENS1_35radix_sort_onesweep_config_selectorIttEEZZNS1_29radix_sort_onesweep_iterationIS3_Lb0EN6thrust23THRUST_200600_302600_NS6detail15normal_iteratorINS8_10device_ptrItEEEESD_SD_SD_jNS0_19identity_decomposerENS1_16block_id_wrapperIjLb0EEEEE10hipError_tT1_PNSt15iterator_traitsISI_E10value_typeET2_T3_PNSJ_ISO_E10value_typeET4_T5_PST_SU_PNS1_23onesweep_lookback_stateEbbT6_jjT7_P12ihipStream_tbENKUlT_T0_SI_SN_E_clISD_SD_SD_SD_EEDaS11_S12_SI_SN_EUlS11_E_NS1_11comp_targetILNS1_3genE3ELNS1_11target_archE908ELNS1_3gpuE7ELNS1_3repE0EEENS1_47radix_sort_onesweep_sort_config_static_selectorELNS0_4arch9wavefront6targetE1EEEvSI_,comdat
.Lfunc_end1006:
	.size	_ZN7rocprim17ROCPRIM_400000_NS6detail17trampoline_kernelINS0_14default_configENS1_35radix_sort_onesweep_config_selectorIttEEZZNS1_29radix_sort_onesweep_iterationIS3_Lb0EN6thrust23THRUST_200600_302600_NS6detail15normal_iteratorINS8_10device_ptrItEEEESD_SD_SD_jNS0_19identity_decomposerENS1_16block_id_wrapperIjLb0EEEEE10hipError_tT1_PNSt15iterator_traitsISI_E10value_typeET2_T3_PNSJ_ISO_E10value_typeET4_T5_PST_SU_PNS1_23onesweep_lookback_stateEbbT6_jjT7_P12ihipStream_tbENKUlT_T0_SI_SN_E_clISD_SD_SD_SD_EEDaS11_S12_SI_SN_EUlS11_E_NS1_11comp_targetILNS1_3genE3ELNS1_11target_archE908ELNS1_3gpuE7ELNS1_3repE0EEENS1_47radix_sort_onesweep_sort_config_static_selectorELNS0_4arch9wavefront6targetE1EEEvSI_, .Lfunc_end1006-_ZN7rocprim17ROCPRIM_400000_NS6detail17trampoline_kernelINS0_14default_configENS1_35radix_sort_onesweep_config_selectorIttEEZZNS1_29radix_sort_onesweep_iterationIS3_Lb0EN6thrust23THRUST_200600_302600_NS6detail15normal_iteratorINS8_10device_ptrItEEEESD_SD_SD_jNS0_19identity_decomposerENS1_16block_id_wrapperIjLb0EEEEE10hipError_tT1_PNSt15iterator_traitsISI_E10value_typeET2_T3_PNSJ_ISO_E10value_typeET4_T5_PST_SU_PNS1_23onesweep_lookback_stateEbbT6_jjT7_P12ihipStream_tbENKUlT_T0_SI_SN_E_clISD_SD_SD_SD_EEDaS11_S12_SI_SN_EUlS11_E_NS1_11comp_targetILNS1_3genE3ELNS1_11target_archE908ELNS1_3gpuE7ELNS1_3repE0EEENS1_47radix_sort_onesweep_sort_config_static_selectorELNS0_4arch9wavefront6targetE1EEEvSI_
                                        ; -- End function
	.set _ZN7rocprim17ROCPRIM_400000_NS6detail17trampoline_kernelINS0_14default_configENS1_35radix_sort_onesweep_config_selectorIttEEZZNS1_29radix_sort_onesweep_iterationIS3_Lb0EN6thrust23THRUST_200600_302600_NS6detail15normal_iteratorINS8_10device_ptrItEEEESD_SD_SD_jNS0_19identity_decomposerENS1_16block_id_wrapperIjLb0EEEEE10hipError_tT1_PNSt15iterator_traitsISI_E10value_typeET2_T3_PNSJ_ISO_E10value_typeET4_T5_PST_SU_PNS1_23onesweep_lookback_stateEbbT6_jjT7_P12ihipStream_tbENKUlT_T0_SI_SN_E_clISD_SD_SD_SD_EEDaS11_S12_SI_SN_EUlS11_E_NS1_11comp_targetILNS1_3genE3ELNS1_11target_archE908ELNS1_3gpuE7ELNS1_3repE0EEENS1_47radix_sort_onesweep_sort_config_static_selectorELNS0_4arch9wavefront6targetE1EEEvSI_.num_vgpr, 0
	.set _ZN7rocprim17ROCPRIM_400000_NS6detail17trampoline_kernelINS0_14default_configENS1_35radix_sort_onesweep_config_selectorIttEEZZNS1_29radix_sort_onesweep_iterationIS3_Lb0EN6thrust23THRUST_200600_302600_NS6detail15normal_iteratorINS8_10device_ptrItEEEESD_SD_SD_jNS0_19identity_decomposerENS1_16block_id_wrapperIjLb0EEEEE10hipError_tT1_PNSt15iterator_traitsISI_E10value_typeET2_T3_PNSJ_ISO_E10value_typeET4_T5_PST_SU_PNS1_23onesweep_lookback_stateEbbT6_jjT7_P12ihipStream_tbENKUlT_T0_SI_SN_E_clISD_SD_SD_SD_EEDaS11_S12_SI_SN_EUlS11_E_NS1_11comp_targetILNS1_3genE3ELNS1_11target_archE908ELNS1_3gpuE7ELNS1_3repE0EEENS1_47radix_sort_onesweep_sort_config_static_selectorELNS0_4arch9wavefront6targetE1EEEvSI_.num_agpr, 0
	.set _ZN7rocprim17ROCPRIM_400000_NS6detail17trampoline_kernelINS0_14default_configENS1_35radix_sort_onesweep_config_selectorIttEEZZNS1_29radix_sort_onesweep_iterationIS3_Lb0EN6thrust23THRUST_200600_302600_NS6detail15normal_iteratorINS8_10device_ptrItEEEESD_SD_SD_jNS0_19identity_decomposerENS1_16block_id_wrapperIjLb0EEEEE10hipError_tT1_PNSt15iterator_traitsISI_E10value_typeET2_T3_PNSJ_ISO_E10value_typeET4_T5_PST_SU_PNS1_23onesweep_lookback_stateEbbT6_jjT7_P12ihipStream_tbENKUlT_T0_SI_SN_E_clISD_SD_SD_SD_EEDaS11_S12_SI_SN_EUlS11_E_NS1_11comp_targetILNS1_3genE3ELNS1_11target_archE908ELNS1_3gpuE7ELNS1_3repE0EEENS1_47radix_sort_onesweep_sort_config_static_selectorELNS0_4arch9wavefront6targetE1EEEvSI_.numbered_sgpr, 0
	.set _ZN7rocprim17ROCPRIM_400000_NS6detail17trampoline_kernelINS0_14default_configENS1_35radix_sort_onesweep_config_selectorIttEEZZNS1_29radix_sort_onesweep_iterationIS3_Lb0EN6thrust23THRUST_200600_302600_NS6detail15normal_iteratorINS8_10device_ptrItEEEESD_SD_SD_jNS0_19identity_decomposerENS1_16block_id_wrapperIjLb0EEEEE10hipError_tT1_PNSt15iterator_traitsISI_E10value_typeET2_T3_PNSJ_ISO_E10value_typeET4_T5_PST_SU_PNS1_23onesweep_lookback_stateEbbT6_jjT7_P12ihipStream_tbENKUlT_T0_SI_SN_E_clISD_SD_SD_SD_EEDaS11_S12_SI_SN_EUlS11_E_NS1_11comp_targetILNS1_3genE3ELNS1_11target_archE908ELNS1_3gpuE7ELNS1_3repE0EEENS1_47radix_sort_onesweep_sort_config_static_selectorELNS0_4arch9wavefront6targetE1EEEvSI_.num_named_barrier, 0
	.set _ZN7rocprim17ROCPRIM_400000_NS6detail17trampoline_kernelINS0_14default_configENS1_35radix_sort_onesweep_config_selectorIttEEZZNS1_29radix_sort_onesweep_iterationIS3_Lb0EN6thrust23THRUST_200600_302600_NS6detail15normal_iteratorINS8_10device_ptrItEEEESD_SD_SD_jNS0_19identity_decomposerENS1_16block_id_wrapperIjLb0EEEEE10hipError_tT1_PNSt15iterator_traitsISI_E10value_typeET2_T3_PNSJ_ISO_E10value_typeET4_T5_PST_SU_PNS1_23onesweep_lookback_stateEbbT6_jjT7_P12ihipStream_tbENKUlT_T0_SI_SN_E_clISD_SD_SD_SD_EEDaS11_S12_SI_SN_EUlS11_E_NS1_11comp_targetILNS1_3genE3ELNS1_11target_archE908ELNS1_3gpuE7ELNS1_3repE0EEENS1_47radix_sort_onesweep_sort_config_static_selectorELNS0_4arch9wavefront6targetE1EEEvSI_.private_seg_size, 0
	.set _ZN7rocprim17ROCPRIM_400000_NS6detail17trampoline_kernelINS0_14default_configENS1_35radix_sort_onesweep_config_selectorIttEEZZNS1_29radix_sort_onesweep_iterationIS3_Lb0EN6thrust23THRUST_200600_302600_NS6detail15normal_iteratorINS8_10device_ptrItEEEESD_SD_SD_jNS0_19identity_decomposerENS1_16block_id_wrapperIjLb0EEEEE10hipError_tT1_PNSt15iterator_traitsISI_E10value_typeET2_T3_PNSJ_ISO_E10value_typeET4_T5_PST_SU_PNS1_23onesweep_lookback_stateEbbT6_jjT7_P12ihipStream_tbENKUlT_T0_SI_SN_E_clISD_SD_SD_SD_EEDaS11_S12_SI_SN_EUlS11_E_NS1_11comp_targetILNS1_3genE3ELNS1_11target_archE908ELNS1_3gpuE7ELNS1_3repE0EEENS1_47radix_sort_onesweep_sort_config_static_selectorELNS0_4arch9wavefront6targetE1EEEvSI_.uses_vcc, 0
	.set _ZN7rocprim17ROCPRIM_400000_NS6detail17trampoline_kernelINS0_14default_configENS1_35radix_sort_onesweep_config_selectorIttEEZZNS1_29radix_sort_onesweep_iterationIS3_Lb0EN6thrust23THRUST_200600_302600_NS6detail15normal_iteratorINS8_10device_ptrItEEEESD_SD_SD_jNS0_19identity_decomposerENS1_16block_id_wrapperIjLb0EEEEE10hipError_tT1_PNSt15iterator_traitsISI_E10value_typeET2_T3_PNSJ_ISO_E10value_typeET4_T5_PST_SU_PNS1_23onesweep_lookback_stateEbbT6_jjT7_P12ihipStream_tbENKUlT_T0_SI_SN_E_clISD_SD_SD_SD_EEDaS11_S12_SI_SN_EUlS11_E_NS1_11comp_targetILNS1_3genE3ELNS1_11target_archE908ELNS1_3gpuE7ELNS1_3repE0EEENS1_47radix_sort_onesweep_sort_config_static_selectorELNS0_4arch9wavefront6targetE1EEEvSI_.uses_flat_scratch, 0
	.set _ZN7rocprim17ROCPRIM_400000_NS6detail17trampoline_kernelINS0_14default_configENS1_35radix_sort_onesweep_config_selectorIttEEZZNS1_29radix_sort_onesweep_iterationIS3_Lb0EN6thrust23THRUST_200600_302600_NS6detail15normal_iteratorINS8_10device_ptrItEEEESD_SD_SD_jNS0_19identity_decomposerENS1_16block_id_wrapperIjLb0EEEEE10hipError_tT1_PNSt15iterator_traitsISI_E10value_typeET2_T3_PNSJ_ISO_E10value_typeET4_T5_PST_SU_PNS1_23onesweep_lookback_stateEbbT6_jjT7_P12ihipStream_tbENKUlT_T0_SI_SN_E_clISD_SD_SD_SD_EEDaS11_S12_SI_SN_EUlS11_E_NS1_11comp_targetILNS1_3genE3ELNS1_11target_archE908ELNS1_3gpuE7ELNS1_3repE0EEENS1_47radix_sort_onesweep_sort_config_static_selectorELNS0_4arch9wavefront6targetE1EEEvSI_.has_dyn_sized_stack, 0
	.set _ZN7rocprim17ROCPRIM_400000_NS6detail17trampoline_kernelINS0_14default_configENS1_35radix_sort_onesweep_config_selectorIttEEZZNS1_29radix_sort_onesweep_iterationIS3_Lb0EN6thrust23THRUST_200600_302600_NS6detail15normal_iteratorINS8_10device_ptrItEEEESD_SD_SD_jNS0_19identity_decomposerENS1_16block_id_wrapperIjLb0EEEEE10hipError_tT1_PNSt15iterator_traitsISI_E10value_typeET2_T3_PNSJ_ISO_E10value_typeET4_T5_PST_SU_PNS1_23onesweep_lookback_stateEbbT6_jjT7_P12ihipStream_tbENKUlT_T0_SI_SN_E_clISD_SD_SD_SD_EEDaS11_S12_SI_SN_EUlS11_E_NS1_11comp_targetILNS1_3genE3ELNS1_11target_archE908ELNS1_3gpuE7ELNS1_3repE0EEENS1_47radix_sort_onesweep_sort_config_static_selectorELNS0_4arch9wavefront6targetE1EEEvSI_.has_recursion, 0
	.set _ZN7rocprim17ROCPRIM_400000_NS6detail17trampoline_kernelINS0_14default_configENS1_35radix_sort_onesweep_config_selectorIttEEZZNS1_29radix_sort_onesweep_iterationIS3_Lb0EN6thrust23THRUST_200600_302600_NS6detail15normal_iteratorINS8_10device_ptrItEEEESD_SD_SD_jNS0_19identity_decomposerENS1_16block_id_wrapperIjLb0EEEEE10hipError_tT1_PNSt15iterator_traitsISI_E10value_typeET2_T3_PNSJ_ISO_E10value_typeET4_T5_PST_SU_PNS1_23onesweep_lookback_stateEbbT6_jjT7_P12ihipStream_tbENKUlT_T0_SI_SN_E_clISD_SD_SD_SD_EEDaS11_S12_SI_SN_EUlS11_E_NS1_11comp_targetILNS1_3genE3ELNS1_11target_archE908ELNS1_3gpuE7ELNS1_3repE0EEENS1_47radix_sort_onesweep_sort_config_static_selectorELNS0_4arch9wavefront6targetE1EEEvSI_.has_indirect_call, 0
	.section	.AMDGPU.csdata,"",@progbits
; Kernel info:
; codeLenInByte = 0
; TotalNumSgprs: 6
; NumVgprs: 0
; NumAgprs: 0
; TotalNumVgprs: 0
; ScratchSize: 0
; MemoryBound: 0
; FloatMode: 240
; IeeeMode: 1
; LDSByteSize: 0 bytes/workgroup (compile time only)
; SGPRBlocks: 0
; VGPRBlocks: 0
; NumSGPRsForWavesPerEU: 6
; NumVGPRsForWavesPerEU: 1
; AccumOffset: 4
; Occupancy: 8
; WaveLimiterHint : 0
; COMPUTE_PGM_RSRC2:SCRATCH_EN: 0
; COMPUTE_PGM_RSRC2:USER_SGPR: 2
; COMPUTE_PGM_RSRC2:TRAP_HANDLER: 0
; COMPUTE_PGM_RSRC2:TGID_X_EN: 1
; COMPUTE_PGM_RSRC2:TGID_Y_EN: 0
; COMPUTE_PGM_RSRC2:TGID_Z_EN: 0
; COMPUTE_PGM_RSRC2:TIDIG_COMP_CNT: 0
; COMPUTE_PGM_RSRC3_GFX90A:ACCUM_OFFSET: 0
; COMPUTE_PGM_RSRC3_GFX90A:TG_SPLIT: 0
	.section	.text._ZN7rocprim17ROCPRIM_400000_NS6detail17trampoline_kernelINS0_14default_configENS1_35radix_sort_onesweep_config_selectorIttEEZZNS1_29radix_sort_onesweep_iterationIS3_Lb0EN6thrust23THRUST_200600_302600_NS6detail15normal_iteratorINS8_10device_ptrItEEEESD_SD_SD_jNS0_19identity_decomposerENS1_16block_id_wrapperIjLb0EEEEE10hipError_tT1_PNSt15iterator_traitsISI_E10value_typeET2_T3_PNSJ_ISO_E10value_typeET4_T5_PST_SU_PNS1_23onesweep_lookback_stateEbbT6_jjT7_P12ihipStream_tbENKUlT_T0_SI_SN_E_clISD_SD_SD_SD_EEDaS11_S12_SI_SN_EUlS11_E_NS1_11comp_targetILNS1_3genE10ELNS1_11target_archE1201ELNS1_3gpuE5ELNS1_3repE0EEENS1_47radix_sort_onesweep_sort_config_static_selectorELNS0_4arch9wavefront6targetE1EEEvSI_,"axG",@progbits,_ZN7rocprim17ROCPRIM_400000_NS6detail17trampoline_kernelINS0_14default_configENS1_35radix_sort_onesweep_config_selectorIttEEZZNS1_29radix_sort_onesweep_iterationIS3_Lb0EN6thrust23THRUST_200600_302600_NS6detail15normal_iteratorINS8_10device_ptrItEEEESD_SD_SD_jNS0_19identity_decomposerENS1_16block_id_wrapperIjLb0EEEEE10hipError_tT1_PNSt15iterator_traitsISI_E10value_typeET2_T3_PNSJ_ISO_E10value_typeET4_T5_PST_SU_PNS1_23onesweep_lookback_stateEbbT6_jjT7_P12ihipStream_tbENKUlT_T0_SI_SN_E_clISD_SD_SD_SD_EEDaS11_S12_SI_SN_EUlS11_E_NS1_11comp_targetILNS1_3genE10ELNS1_11target_archE1201ELNS1_3gpuE5ELNS1_3repE0EEENS1_47radix_sort_onesweep_sort_config_static_selectorELNS0_4arch9wavefront6targetE1EEEvSI_,comdat
	.protected	_ZN7rocprim17ROCPRIM_400000_NS6detail17trampoline_kernelINS0_14default_configENS1_35radix_sort_onesweep_config_selectorIttEEZZNS1_29radix_sort_onesweep_iterationIS3_Lb0EN6thrust23THRUST_200600_302600_NS6detail15normal_iteratorINS8_10device_ptrItEEEESD_SD_SD_jNS0_19identity_decomposerENS1_16block_id_wrapperIjLb0EEEEE10hipError_tT1_PNSt15iterator_traitsISI_E10value_typeET2_T3_PNSJ_ISO_E10value_typeET4_T5_PST_SU_PNS1_23onesweep_lookback_stateEbbT6_jjT7_P12ihipStream_tbENKUlT_T0_SI_SN_E_clISD_SD_SD_SD_EEDaS11_S12_SI_SN_EUlS11_E_NS1_11comp_targetILNS1_3genE10ELNS1_11target_archE1201ELNS1_3gpuE5ELNS1_3repE0EEENS1_47radix_sort_onesweep_sort_config_static_selectorELNS0_4arch9wavefront6targetE1EEEvSI_ ; -- Begin function _ZN7rocprim17ROCPRIM_400000_NS6detail17trampoline_kernelINS0_14default_configENS1_35radix_sort_onesweep_config_selectorIttEEZZNS1_29radix_sort_onesweep_iterationIS3_Lb0EN6thrust23THRUST_200600_302600_NS6detail15normal_iteratorINS8_10device_ptrItEEEESD_SD_SD_jNS0_19identity_decomposerENS1_16block_id_wrapperIjLb0EEEEE10hipError_tT1_PNSt15iterator_traitsISI_E10value_typeET2_T3_PNSJ_ISO_E10value_typeET4_T5_PST_SU_PNS1_23onesweep_lookback_stateEbbT6_jjT7_P12ihipStream_tbENKUlT_T0_SI_SN_E_clISD_SD_SD_SD_EEDaS11_S12_SI_SN_EUlS11_E_NS1_11comp_targetILNS1_3genE10ELNS1_11target_archE1201ELNS1_3gpuE5ELNS1_3repE0EEENS1_47radix_sort_onesweep_sort_config_static_selectorELNS0_4arch9wavefront6targetE1EEEvSI_
	.globl	_ZN7rocprim17ROCPRIM_400000_NS6detail17trampoline_kernelINS0_14default_configENS1_35radix_sort_onesweep_config_selectorIttEEZZNS1_29radix_sort_onesweep_iterationIS3_Lb0EN6thrust23THRUST_200600_302600_NS6detail15normal_iteratorINS8_10device_ptrItEEEESD_SD_SD_jNS0_19identity_decomposerENS1_16block_id_wrapperIjLb0EEEEE10hipError_tT1_PNSt15iterator_traitsISI_E10value_typeET2_T3_PNSJ_ISO_E10value_typeET4_T5_PST_SU_PNS1_23onesweep_lookback_stateEbbT6_jjT7_P12ihipStream_tbENKUlT_T0_SI_SN_E_clISD_SD_SD_SD_EEDaS11_S12_SI_SN_EUlS11_E_NS1_11comp_targetILNS1_3genE10ELNS1_11target_archE1201ELNS1_3gpuE5ELNS1_3repE0EEENS1_47radix_sort_onesweep_sort_config_static_selectorELNS0_4arch9wavefront6targetE1EEEvSI_
	.p2align	8
	.type	_ZN7rocprim17ROCPRIM_400000_NS6detail17trampoline_kernelINS0_14default_configENS1_35radix_sort_onesweep_config_selectorIttEEZZNS1_29radix_sort_onesweep_iterationIS3_Lb0EN6thrust23THRUST_200600_302600_NS6detail15normal_iteratorINS8_10device_ptrItEEEESD_SD_SD_jNS0_19identity_decomposerENS1_16block_id_wrapperIjLb0EEEEE10hipError_tT1_PNSt15iterator_traitsISI_E10value_typeET2_T3_PNSJ_ISO_E10value_typeET4_T5_PST_SU_PNS1_23onesweep_lookback_stateEbbT6_jjT7_P12ihipStream_tbENKUlT_T0_SI_SN_E_clISD_SD_SD_SD_EEDaS11_S12_SI_SN_EUlS11_E_NS1_11comp_targetILNS1_3genE10ELNS1_11target_archE1201ELNS1_3gpuE5ELNS1_3repE0EEENS1_47radix_sort_onesweep_sort_config_static_selectorELNS0_4arch9wavefront6targetE1EEEvSI_,@function
_ZN7rocprim17ROCPRIM_400000_NS6detail17trampoline_kernelINS0_14default_configENS1_35radix_sort_onesweep_config_selectorIttEEZZNS1_29radix_sort_onesweep_iterationIS3_Lb0EN6thrust23THRUST_200600_302600_NS6detail15normal_iteratorINS8_10device_ptrItEEEESD_SD_SD_jNS0_19identity_decomposerENS1_16block_id_wrapperIjLb0EEEEE10hipError_tT1_PNSt15iterator_traitsISI_E10value_typeET2_T3_PNSJ_ISO_E10value_typeET4_T5_PST_SU_PNS1_23onesweep_lookback_stateEbbT6_jjT7_P12ihipStream_tbENKUlT_T0_SI_SN_E_clISD_SD_SD_SD_EEDaS11_S12_SI_SN_EUlS11_E_NS1_11comp_targetILNS1_3genE10ELNS1_11target_archE1201ELNS1_3gpuE5ELNS1_3repE0EEENS1_47radix_sort_onesweep_sort_config_static_selectorELNS0_4arch9wavefront6targetE1EEEvSI_: ; @_ZN7rocprim17ROCPRIM_400000_NS6detail17trampoline_kernelINS0_14default_configENS1_35radix_sort_onesweep_config_selectorIttEEZZNS1_29radix_sort_onesweep_iterationIS3_Lb0EN6thrust23THRUST_200600_302600_NS6detail15normal_iteratorINS8_10device_ptrItEEEESD_SD_SD_jNS0_19identity_decomposerENS1_16block_id_wrapperIjLb0EEEEE10hipError_tT1_PNSt15iterator_traitsISI_E10value_typeET2_T3_PNSJ_ISO_E10value_typeET4_T5_PST_SU_PNS1_23onesweep_lookback_stateEbbT6_jjT7_P12ihipStream_tbENKUlT_T0_SI_SN_E_clISD_SD_SD_SD_EEDaS11_S12_SI_SN_EUlS11_E_NS1_11comp_targetILNS1_3genE10ELNS1_11target_archE1201ELNS1_3gpuE5ELNS1_3repE0EEENS1_47radix_sort_onesweep_sort_config_static_selectorELNS0_4arch9wavefront6targetE1EEEvSI_
; %bb.0:
	.section	.rodata,"a",@progbits
	.p2align	6, 0x0
	.amdhsa_kernel _ZN7rocprim17ROCPRIM_400000_NS6detail17trampoline_kernelINS0_14default_configENS1_35radix_sort_onesweep_config_selectorIttEEZZNS1_29radix_sort_onesweep_iterationIS3_Lb0EN6thrust23THRUST_200600_302600_NS6detail15normal_iteratorINS8_10device_ptrItEEEESD_SD_SD_jNS0_19identity_decomposerENS1_16block_id_wrapperIjLb0EEEEE10hipError_tT1_PNSt15iterator_traitsISI_E10value_typeET2_T3_PNSJ_ISO_E10value_typeET4_T5_PST_SU_PNS1_23onesweep_lookback_stateEbbT6_jjT7_P12ihipStream_tbENKUlT_T0_SI_SN_E_clISD_SD_SD_SD_EEDaS11_S12_SI_SN_EUlS11_E_NS1_11comp_targetILNS1_3genE10ELNS1_11target_archE1201ELNS1_3gpuE5ELNS1_3repE0EEENS1_47radix_sort_onesweep_sort_config_static_selectorELNS0_4arch9wavefront6targetE1EEEvSI_
		.amdhsa_group_segment_fixed_size 0
		.amdhsa_private_segment_fixed_size 0
		.amdhsa_kernarg_size 88
		.amdhsa_user_sgpr_count 2
		.amdhsa_user_sgpr_dispatch_ptr 0
		.amdhsa_user_sgpr_queue_ptr 0
		.amdhsa_user_sgpr_kernarg_segment_ptr 1
		.amdhsa_user_sgpr_dispatch_id 0
		.amdhsa_user_sgpr_kernarg_preload_length 0
		.amdhsa_user_sgpr_kernarg_preload_offset 0
		.amdhsa_user_sgpr_private_segment_size 0
		.amdhsa_uses_dynamic_stack 0
		.amdhsa_enable_private_segment 0
		.amdhsa_system_sgpr_workgroup_id_x 1
		.amdhsa_system_sgpr_workgroup_id_y 0
		.amdhsa_system_sgpr_workgroup_id_z 0
		.amdhsa_system_sgpr_workgroup_info 0
		.amdhsa_system_vgpr_workitem_id 0
		.amdhsa_next_free_vgpr 1
		.amdhsa_next_free_sgpr 0
		.amdhsa_accum_offset 4
		.amdhsa_reserve_vcc 0
		.amdhsa_float_round_mode_32 0
		.amdhsa_float_round_mode_16_64 0
		.amdhsa_float_denorm_mode_32 3
		.amdhsa_float_denorm_mode_16_64 3
		.amdhsa_dx10_clamp 1
		.amdhsa_ieee_mode 1
		.amdhsa_fp16_overflow 0
		.amdhsa_tg_split 0
		.amdhsa_exception_fp_ieee_invalid_op 0
		.amdhsa_exception_fp_denorm_src 0
		.amdhsa_exception_fp_ieee_div_zero 0
		.amdhsa_exception_fp_ieee_overflow 0
		.amdhsa_exception_fp_ieee_underflow 0
		.amdhsa_exception_fp_ieee_inexact 0
		.amdhsa_exception_int_div_zero 0
	.end_amdhsa_kernel
	.section	.text._ZN7rocprim17ROCPRIM_400000_NS6detail17trampoline_kernelINS0_14default_configENS1_35radix_sort_onesweep_config_selectorIttEEZZNS1_29radix_sort_onesweep_iterationIS3_Lb0EN6thrust23THRUST_200600_302600_NS6detail15normal_iteratorINS8_10device_ptrItEEEESD_SD_SD_jNS0_19identity_decomposerENS1_16block_id_wrapperIjLb0EEEEE10hipError_tT1_PNSt15iterator_traitsISI_E10value_typeET2_T3_PNSJ_ISO_E10value_typeET4_T5_PST_SU_PNS1_23onesweep_lookback_stateEbbT6_jjT7_P12ihipStream_tbENKUlT_T0_SI_SN_E_clISD_SD_SD_SD_EEDaS11_S12_SI_SN_EUlS11_E_NS1_11comp_targetILNS1_3genE10ELNS1_11target_archE1201ELNS1_3gpuE5ELNS1_3repE0EEENS1_47radix_sort_onesweep_sort_config_static_selectorELNS0_4arch9wavefront6targetE1EEEvSI_,"axG",@progbits,_ZN7rocprim17ROCPRIM_400000_NS6detail17trampoline_kernelINS0_14default_configENS1_35radix_sort_onesweep_config_selectorIttEEZZNS1_29radix_sort_onesweep_iterationIS3_Lb0EN6thrust23THRUST_200600_302600_NS6detail15normal_iteratorINS8_10device_ptrItEEEESD_SD_SD_jNS0_19identity_decomposerENS1_16block_id_wrapperIjLb0EEEEE10hipError_tT1_PNSt15iterator_traitsISI_E10value_typeET2_T3_PNSJ_ISO_E10value_typeET4_T5_PST_SU_PNS1_23onesweep_lookback_stateEbbT6_jjT7_P12ihipStream_tbENKUlT_T0_SI_SN_E_clISD_SD_SD_SD_EEDaS11_S12_SI_SN_EUlS11_E_NS1_11comp_targetILNS1_3genE10ELNS1_11target_archE1201ELNS1_3gpuE5ELNS1_3repE0EEENS1_47radix_sort_onesweep_sort_config_static_selectorELNS0_4arch9wavefront6targetE1EEEvSI_,comdat
.Lfunc_end1007:
	.size	_ZN7rocprim17ROCPRIM_400000_NS6detail17trampoline_kernelINS0_14default_configENS1_35radix_sort_onesweep_config_selectorIttEEZZNS1_29radix_sort_onesweep_iterationIS3_Lb0EN6thrust23THRUST_200600_302600_NS6detail15normal_iteratorINS8_10device_ptrItEEEESD_SD_SD_jNS0_19identity_decomposerENS1_16block_id_wrapperIjLb0EEEEE10hipError_tT1_PNSt15iterator_traitsISI_E10value_typeET2_T3_PNSJ_ISO_E10value_typeET4_T5_PST_SU_PNS1_23onesweep_lookback_stateEbbT6_jjT7_P12ihipStream_tbENKUlT_T0_SI_SN_E_clISD_SD_SD_SD_EEDaS11_S12_SI_SN_EUlS11_E_NS1_11comp_targetILNS1_3genE10ELNS1_11target_archE1201ELNS1_3gpuE5ELNS1_3repE0EEENS1_47radix_sort_onesweep_sort_config_static_selectorELNS0_4arch9wavefront6targetE1EEEvSI_, .Lfunc_end1007-_ZN7rocprim17ROCPRIM_400000_NS6detail17trampoline_kernelINS0_14default_configENS1_35radix_sort_onesweep_config_selectorIttEEZZNS1_29radix_sort_onesweep_iterationIS3_Lb0EN6thrust23THRUST_200600_302600_NS6detail15normal_iteratorINS8_10device_ptrItEEEESD_SD_SD_jNS0_19identity_decomposerENS1_16block_id_wrapperIjLb0EEEEE10hipError_tT1_PNSt15iterator_traitsISI_E10value_typeET2_T3_PNSJ_ISO_E10value_typeET4_T5_PST_SU_PNS1_23onesweep_lookback_stateEbbT6_jjT7_P12ihipStream_tbENKUlT_T0_SI_SN_E_clISD_SD_SD_SD_EEDaS11_S12_SI_SN_EUlS11_E_NS1_11comp_targetILNS1_3genE10ELNS1_11target_archE1201ELNS1_3gpuE5ELNS1_3repE0EEENS1_47radix_sort_onesweep_sort_config_static_selectorELNS0_4arch9wavefront6targetE1EEEvSI_
                                        ; -- End function
	.set _ZN7rocprim17ROCPRIM_400000_NS6detail17trampoline_kernelINS0_14default_configENS1_35radix_sort_onesweep_config_selectorIttEEZZNS1_29radix_sort_onesweep_iterationIS3_Lb0EN6thrust23THRUST_200600_302600_NS6detail15normal_iteratorINS8_10device_ptrItEEEESD_SD_SD_jNS0_19identity_decomposerENS1_16block_id_wrapperIjLb0EEEEE10hipError_tT1_PNSt15iterator_traitsISI_E10value_typeET2_T3_PNSJ_ISO_E10value_typeET4_T5_PST_SU_PNS1_23onesweep_lookback_stateEbbT6_jjT7_P12ihipStream_tbENKUlT_T0_SI_SN_E_clISD_SD_SD_SD_EEDaS11_S12_SI_SN_EUlS11_E_NS1_11comp_targetILNS1_3genE10ELNS1_11target_archE1201ELNS1_3gpuE5ELNS1_3repE0EEENS1_47radix_sort_onesweep_sort_config_static_selectorELNS0_4arch9wavefront6targetE1EEEvSI_.num_vgpr, 0
	.set _ZN7rocprim17ROCPRIM_400000_NS6detail17trampoline_kernelINS0_14default_configENS1_35radix_sort_onesweep_config_selectorIttEEZZNS1_29radix_sort_onesweep_iterationIS3_Lb0EN6thrust23THRUST_200600_302600_NS6detail15normal_iteratorINS8_10device_ptrItEEEESD_SD_SD_jNS0_19identity_decomposerENS1_16block_id_wrapperIjLb0EEEEE10hipError_tT1_PNSt15iterator_traitsISI_E10value_typeET2_T3_PNSJ_ISO_E10value_typeET4_T5_PST_SU_PNS1_23onesweep_lookback_stateEbbT6_jjT7_P12ihipStream_tbENKUlT_T0_SI_SN_E_clISD_SD_SD_SD_EEDaS11_S12_SI_SN_EUlS11_E_NS1_11comp_targetILNS1_3genE10ELNS1_11target_archE1201ELNS1_3gpuE5ELNS1_3repE0EEENS1_47radix_sort_onesweep_sort_config_static_selectorELNS0_4arch9wavefront6targetE1EEEvSI_.num_agpr, 0
	.set _ZN7rocprim17ROCPRIM_400000_NS6detail17trampoline_kernelINS0_14default_configENS1_35radix_sort_onesweep_config_selectorIttEEZZNS1_29radix_sort_onesweep_iterationIS3_Lb0EN6thrust23THRUST_200600_302600_NS6detail15normal_iteratorINS8_10device_ptrItEEEESD_SD_SD_jNS0_19identity_decomposerENS1_16block_id_wrapperIjLb0EEEEE10hipError_tT1_PNSt15iterator_traitsISI_E10value_typeET2_T3_PNSJ_ISO_E10value_typeET4_T5_PST_SU_PNS1_23onesweep_lookback_stateEbbT6_jjT7_P12ihipStream_tbENKUlT_T0_SI_SN_E_clISD_SD_SD_SD_EEDaS11_S12_SI_SN_EUlS11_E_NS1_11comp_targetILNS1_3genE10ELNS1_11target_archE1201ELNS1_3gpuE5ELNS1_3repE0EEENS1_47radix_sort_onesweep_sort_config_static_selectorELNS0_4arch9wavefront6targetE1EEEvSI_.numbered_sgpr, 0
	.set _ZN7rocprim17ROCPRIM_400000_NS6detail17trampoline_kernelINS0_14default_configENS1_35radix_sort_onesweep_config_selectorIttEEZZNS1_29radix_sort_onesweep_iterationIS3_Lb0EN6thrust23THRUST_200600_302600_NS6detail15normal_iteratorINS8_10device_ptrItEEEESD_SD_SD_jNS0_19identity_decomposerENS1_16block_id_wrapperIjLb0EEEEE10hipError_tT1_PNSt15iterator_traitsISI_E10value_typeET2_T3_PNSJ_ISO_E10value_typeET4_T5_PST_SU_PNS1_23onesweep_lookback_stateEbbT6_jjT7_P12ihipStream_tbENKUlT_T0_SI_SN_E_clISD_SD_SD_SD_EEDaS11_S12_SI_SN_EUlS11_E_NS1_11comp_targetILNS1_3genE10ELNS1_11target_archE1201ELNS1_3gpuE5ELNS1_3repE0EEENS1_47radix_sort_onesweep_sort_config_static_selectorELNS0_4arch9wavefront6targetE1EEEvSI_.num_named_barrier, 0
	.set _ZN7rocprim17ROCPRIM_400000_NS6detail17trampoline_kernelINS0_14default_configENS1_35radix_sort_onesweep_config_selectorIttEEZZNS1_29radix_sort_onesweep_iterationIS3_Lb0EN6thrust23THRUST_200600_302600_NS6detail15normal_iteratorINS8_10device_ptrItEEEESD_SD_SD_jNS0_19identity_decomposerENS1_16block_id_wrapperIjLb0EEEEE10hipError_tT1_PNSt15iterator_traitsISI_E10value_typeET2_T3_PNSJ_ISO_E10value_typeET4_T5_PST_SU_PNS1_23onesweep_lookback_stateEbbT6_jjT7_P12ihipStream_tbENKUlT_T0_SI_SN_E_clISD_SD_SD_SD_EEDaS11_S12_SI_SN_EUlS11_E_NS1_11comp_targetILNS1_3genE10ELNS1_11target_archE1201ELNS1_3gpuE5ELNS1_3repE0EEENS1_47radix_sort_onesweep_sort_config_static_selectorELNS0_4arch9wavefront6targetE1EEEvSI_.private_seg_size, 0
	.set _ZN7rocprim17ROCPRIM_400000_NS6detail17trampoline_kernelINS0_14default_configENS1_35radix_sort_onesweep_config_selectorIttEEZZNS1_29radix_sort_onesweep_iterationIS3_Lb0EN6thrust23THRUST_200600_302600_NS6detail15normal_iteratorINS8_10device_ptrItEEEESD_SD_SD_jNS0_19identity_decomposerENS1_16block_id_wrapperIjLb0EEEEE10hipError_tT1_PNSt15iterator_traitsISI_E10value_typeET2_T3_PNSJ_ISO_E10value_typeET4_T5_PST_SU_PNS1_23onesweep_lookback_stateEbbT6_jjT7_P12ihipStream_tbENKUlT_T0_SI_SN_E_clISD_SD_SD_SD_EEDaS11_S12_SI_SN_EUlS11_E_NS1_11comp_targetILNS1_3genE10ELNS1_11target_archE1201ELNS1_3gpuE5ELNS1_3repE0EEENS1_47radix_sort_onesweep_sort_config_static_selectorELNS0_4arch9wavefront6targetE1EEEvSI_.uses_vcc, 0
	.set _ZN7rocprim17ROCPRIM_400000_NS6detail17trampoline_kernelINS0_14default_configENS1_35radix_sort_onesweep_config_selectorIttEEZZNS1_29radix_sort_onesweep_iterationIS3_Lb0EN6thrust23THRUST_200600_302600_NS6detail15normal_iteratorINS8_10device_ptrItEEEESD_SD_SD_jNS0_19identity_decomposerENS1_16block_id_wrapperIjLb0EEEEE10hipError_tT1_PNSt15iterator_traitsISI_E10value_typeET2_T3_PNSJ_ISO_E10value_typeET4_T5_PST_SU_PNS1_23onesweep_lookback_stateEbbT6_jjT7_P12ihipStream_tbENKUlT_T0_SI_SN_E_clISD_SD_SD_SD_EEDaS11_S12_SI_SN_EUlS11_E_NS1_11comp_targetILNS1_3genE10ELNS1_11target_archE1201ELNS1_3gpuE5ELNS1_3repE0EEENS1_47radix_sort_onesweep_sort_config_static_selectorELNS0_4arch9wavefront6targetE1EEEvSI_.uses_flat_scratch, 0
	.set _ZN7rocprim17ROCPRIM_400000_NS6detail17trampoline_kernelINS0_14default_configENS1_35radix_sort_onesweep_config_selectorIttEEZZNS1_29radix_sort_onesweep_iterationIS3_Lb0EN6thrust23THRUST_200600_302600_NS6detail15normal_iteratorINS8_10device_ptrItEEEESD_SD_SD_jNS0_19identity_decomposerENS1_16block_id_wrapperIjLb0EEEEE10hipError_tT1_PNSt15iterator_traitsISI_E10value_typeET2_T3_PNSJ_ISO_E10value_typeET4_T5_PST_SU_PNS1_23onesweep_lookback_stateEbbT6_jjT7_P12ihipStream_tbENKUlT_T0_SI_SN_E_clISD_SD_SD_SD_EEDaS11_S12_SI_SN_EUlS11_E_NS1_11comp_targetILNS1_3genE10ELNS1_11target_archE1201ELNS1_3gpuE5ELNS1_3repE0EEENS1_47radix_sort_onesweep_sort_config_static_selectorELNS0_4arch9wavefront6targetE1EEEvSI_.has_dyn_sized_stack, 0
	.set _ZN7rocprim17ROCPRIM_400000_NS6detail17trampoline_kernelINS0_14default_configENS1_35radix_sort_onesweep_config_selectorIttEEZZNS1_29radix_sort_onesweep_iterationIS3_Lb0EN6thrust23THRUST_200600_302600_NS6detail15normal_iteratorINS8_10device_ptrItEEEESD_SD_SD_jNS0_19identity_decomposerENS1_16block_id_wrapperIjLb0EEEEE10hipError_tT1_PNSt15iterator_traitsISI_E10value_typeET2_T3_PNSJ_ISO_E10value_typeET4_T5_PST_SU_PNS1_23onesweep_lookback_stateEbbT6_jjT7_P12ihipStream_tbENKUlT_T0_SI_SN_E_clISD_SD_SD_SD_EEDaS11_S12_SI_SN_EUlS11_E_NS1_11comp_targetILNS1_3genE10ELNS1_11target_archE1201ELNS1_3gpuE5ELNS1_3repE0EEENS1_47radix_sort_onesweep_sort_config_static_selectorELNS0_4arch9wavefront6targetE1EEEvSI_.has_recursion, 0
	.set _ZN7rocprim17ROCPRIM_400000_NS6detail17trampoline_kernelINS0_14default_configENS1_35radix_sort_onesweep_config_selectorIttEEZZNS1_29radix_sort_onesweep_iterationIS3_Lb0EN6thrust23THRUST_200600_302600_NS6detail15normal_iteratorINS8_10device_ptrItEEEESD_SD_SD_jNS0_19identity_decomposerENS1_16block_id_wrapperIjLb0EEEEE10hipError_tT1_PNSt15iterator_traitsISI_E10value_typeET2_T3_PNSJ_ISO_E10value_typeET4_T5_PST_SU_PNS1_23onesweep_lookback_stateEbbT6_jjT7_P12ihipStream_tbENKUlT_T0_SI_SN_E_clISD_SD_SD_SD_EEDaS11_S12_SI_SN_EUlS11_E_NS1_11comp_targetILNS1_3genE10ELNS1_11target_archE1201ELNS1_3gpuE5ELNS1_3repE0EEENS1_47radix_sort_onesweep_sort_config_static_selectorELNS0_4arch9wavefront6targetE1EEEvSI_.has_indirect_call, 0
	.section	.AMDGPU.csdata,"",@progbits
; Kernel info:
; codeLenInByte = 0
; TotalNumSgprs: 6
; NumVgprs: 0
; NumAgprs: 0
; TotalNumVgprs: 0
; ScratchSize: 0
; MemoryBound: 0
; FloatMode: 240
; IeeeMode: 1
; LDSByteSize: 0 bytes/workgroup (compile time only)
; SGPRBlocks: 0
; VGPRBlocks: 0
; NumSGPRsForWavesPerEU: 6
; NumVGPRsForWavesPerEU: 1
; AccumOffset: 4
; Occupancy: 8
; WaveLimiterHint : 0
; COMPUTE_PGM_RSRC2:SCRATCH_EN: 0
; COMPUTE_PGM_RSRC2:USER_SGPR: 2
; COMPUTE_PGM_RSRC2:TRAP_HANDLER: 0
; COMPUTE_PGM_RSRC2:TGID_X_EN: 1
; COMPUTE_PGM_RSRC2:TGID_Y_EN: 0
; COMPUTE_PGM_RSRC2:TGID_Z_EN: 0
; COMPUTE_PGM_RSRC2:TIDIG_COMP_CNT: 0
; COMPUTE_PGM_RSRC3_GFX90A:ACCUM_OFFSET: 0
; COMPUTE_PGM_RSRC3_GFX90A:TG_SPLIT: 0
	.section	.text._ZN7rocprim17ROCPRIM_400000_NS6detail17trampoline_kernelINS0_14default_configENS1_35radix_sort_onesweep_config_selectorIttEEZZNS1_29radix_sort_onesweep_iterationIS3_Lb0EN6thrust23THRUST_200600_302600_NS6detail15normal_iteratorINS8_10device_ptrItEEEESD_SD_SD_jNS0_19identity_decomposerENS1_16block_id_wrapperIjLb0EEEEE10hipError_tT1_PNSt15iterator_traitsISI_E10value_typeET2_T3_PNSJ_ISO_E10value_typeET4_T5_PST_SU_PNS1_23onesweep_lookback_stateEbbT6_jjT7_P12ihipStream_tbENKUlT_T0_SI_SN_E_clISD_SD_SD_SD_EEDaS11_S12_SI_SN_EUlS11_E_NS1_11comp_targetILNS1_3genE9ELNS1_11target_archE1100ELNS1_3gpuE3ELNS1_3repE0EEENS1_47radix_sort_onesweep_sort_config_static_selectorELNS0_4arch9wavefront6targetE1EEEvSI_,"axG",@progbits,_ZN7rocprim17ROCPRIM_400000_NS6detail17trampoline_kernelINS0_14default_configENS1_35radix_sort_onesweep_config_selectorIttEEZZNS1_29radix_sort_onesweep_iterationIS3_Lb0EN6thrust23THRUST_200600_302600_NS6detail15normal_iteratorINS8_10device_ptrItEEEESD_SD_SD_jNS0_19identity_decomposerENS1_16block_id_wrapperIjLb0EEEEE10hipError_tT1_PNSt15iterator_traitsISI_E10value_typeET2_T3_PNSJ_ISO_E10value_typeET4_T5_PST_SU_PNS1_23onesweep_lookback_stateEbbT6_jjT7_P12ihipStream_tbENKUlT_T0_SI_SN_E_clISD_SD_SD_SD_EEDaS11_S12_SI_SN_EUlS11_E_NS1_11comp_targetILNS1_3genE9ELNS1_11target_archE1100ELNS1_3gpuE3ELNS1_3repE0EEENS1_47radix_sort_onesweep_sort_config_static_selectorELNS0_4arch9wavefront6targetE1EEEvSI_,comdat
	.protected	_ZN7rocprim17ROCPRIM_400000_NS6detail17trampoline_kernelINS0_14default_configENS1_35radix_sort_onesweep_config_selectorIttEEZZNS1_29radix_sort_onesweep_iterationIS3_Lb0EN6thrust23THRUST_200600_302600_NS6detail15normal_iteratorINS8_10device_ptrItEEEESD_SD_SD_jNS0_19identity_decomposerENS1_16block_id_wrapperIjLb0EEEEE10hipError_tT1_PNSt15iterator_traitsISI_E10value_typeET2_T3_PNSJ_ISO_E10value_typeET4_T5_PST_SU_PNS1_23onesweep_lookback_stateEbbT6_jjT7_P12ihipStream_tbENKUlT_T0_SI_SN_E_clISD_SD_SD_SD_EEDaS11_S12_SI_SN_EUlS11_E_NS1_11comp_targetILNS1_3genE9ELNS1_11target_archE1100ELNS1_3gpuE3ELNS1_3repE0EEENS1_47radix_sort_onesweep_sort_config_static_selectorELNS0_4arch9wavefront6targetE1EEEvSI_ ; -- Begin function _ZN7rocprim17ROCPRIM_400000_NS6detail17trampoline_kernelINS0_14default_configENS1_35radix_sort_onesweep_config_selectorIttEEZZNS1_29radix_sort_onesweep_iterationIS3_Lb0EN6thrust23THRUST_200600_302600_NS6detail15normal_iteratorINS8_10device_ptrItEEEESD_SD_SD_jNS0_19identity_decomposerENS1_16block_id_wrapperIjLb0EEEEE10hipError_tT1_PNSt15iterator_traitsISI_E10value_typeET2_T3_PNSJ_ISO_E10value_typeET4_T5_PST_SU_PNS1_23onesweep_lookback_stateEbbT6_jjT7_P12ihipStream_tbENKUlT_T0_SI_SN_E_clISD_SD_SD_SD_EEDaS11_S12_SI_SN_EUlS11_E_NS1_11comp_targetILNS1_3genE9ELNS1_11target_archE1100ELNS1_3gpuE3ELNS1_3repE0EEENS1_47radix_sort_onesweep_sort_config_static_selectorELNS0_4arch9wavefront6targetE1EEEvSI_
	.globl	_ZN7rocprim17ROCPRIM_400000_NS6detail17trampoline_kernelINS0_14default_configENS1_35radix_sort_onesweep_config_selectorIttEEZZNS1_29radix_sort_onesweep_iterationIS3_Lb0EN6thrust23THRUST_200600_302600_NS6detail15normal_iteratorINS8_10device_ptrItEEEESD_SD_SD_jNS0_19identity_decomposerENS1_16block_id_wrapperIjLb0EEEEE10hipError_tT1_PNSt15iterator_traitsISI_E10value_typeET2_T3_PNSJ_ISO_E10value_typeET4_T5_PST_SU_PNS1_23onesweep_lookback_stateEbbT6_jjT7_P12ihipStream_tbENKUlT_T0_SI_SN_E_clISD_SD_SD_SD_EEDaS11_S12_SI_SN_EUlS11_E_NS1_11comp_targetILNS1_3genE9ELNS1_11target_archE1100ELNS1_3gpuE3ELNS1_3repE0EEENS1_47radix_sort_onesweep_sort_config_static_selectorELNS0_4arch9wavefront6targetE1EEEvSI_
	.p2align	8
	.type	_ZN7rocprim17ROCPRIM_400000_NS6detail17trampoline_kernelINS0_14default_configENS1_35radix_sort_onesweep_config_selectorIttEEZZNS1_29radix_sort_onesweep_iterationIS3_Lb0EN6thrust23THRUST_200600_302600_NS6detail15normal_iteratorINS8_10device_ptrItEEEESD_SD_SD_jNS0_19identity_decomposerENS1_16block_id_wrapperIjLb0EEEEE10hipError_tT1_PNSt15iterator_traitsISI_E10value_typeET2_T3_PNSJ_ISO_E10value_typeET4_T5_PST_SU_PNS1_23onesweep_lookback_stateEbbT6_jjT7_P12ihipStream_tbENKUlT_T0_SI_SN_E_clISD_SD_SD_SD_EEDaS11_S12_SI_SN_EUlS11_E_NS1_11comp_targetILNS1_3genE9ELNS1_11target_archE1100ELNS1_3gpuE3ELNS1_3repE0EEENS1_47radix_sort_onesweep_sort_config_static_selectorELNS0_4arch9wavefront6targetE1EEEvSI_,@function
_ZN7rocprim17ROCPRIM_400000_NS6detail17trampoline_kernelINS0_14default_configENS1_35radix_sort_onesweep_config_selectorIttEEZZNS1_29radix_sort_onesweep_iterationIS3_Lb0EN6thrust23THRUST_200600_302600_NS6detail15normal_iteratorINS8_10device_ptrItEEEESD_SD_SD_jNS0_19identity_decomposerENS1_16block_id_wrapperIjLb0EEEEE10hipError_tT1_PNSt15iterator_traitsISI_E10value_typeET2_T3_PNSJ_ISO_E10value_typeET4_T5_PST_SU_PNS1_23onesweep_lookback_stateEbbT6_jjT7_P12ihipStream_tbENKUlT_T0_SI_SN_E_clISD_SD_SD_SD_EEDaS11_S12_SI_SN_EUlS11_E_NS1_11comp_targetILNS1_3genE9ELNS1_11target_archE1100ELNS1_3gpuE3ELNS1_3repE0EEENS1_47radix_sort_onesweep_sort_config_static_selectorELNS0_4arch9wavefront6targetE1EEEvSI_: ; @_ZN7rocprim17ROCPRIM_400000_NS6detail17trampoline_kernelINS0_14default_configENS1_35radix_sort_onesweep_config_selectorIttEEZZNS1_29radix_sort_onesweep_iterationIS3_Lb0EN6thrust23THRUST_200600_302600_NS6detail15normal_iteratorINS8_10device_ptrItEEEESD_SD_SD_jNS0_19identity_decomposerENS1_16block_id_wrapperIjLb0EEEEE10hipError_tT1_PNSt15iterator_traitsISI_E10value_typeET2_T3_PNSJ_ISO_E10value_typeET4_T5_PST_SU_PNS1_23onesweep_lookback_stateEbbT6_jjT7_P12ihipStream_tbENKUlT_T0_SI_SN_E_clISD_SD_SD_SD_EEDaS11_S12_SI_SN_EUlS11_E_NS1_11comp_targetILNS1_3genE9ELNS1_11target_archE1100ELNS1_3gpuE3ELNS1_3repE0EEENS1_47radix_sort_onesweep_sort_config_static_selectorELNS0_4arch9wavefront6targetE1EEEvSI_
; %bb.0:
	.section	.rodata,"a",@progbits
	.p2align	6, 0x0
	.amdhsa_kernel _ZN7rocprim17ROCPRIM_400000_NS6detail17trampoline_kernelINS0_14default_configENS1_35radix_sort_onesweep_config_selectorIttEEZZNS1_29radix_sort_onesweep_iterationIS3_Lb0EN6thrust23THRUST_200600_302600_NS6detail15normal_iteratorINS8_10device_ptrItEEEESD_SD_SD_jNS0_19identity_decomposerENS1_16block_id_wrapperIjLb0EEEEE10hipError_tT1_PNSt15iterator_traitsISI_E10value_typeET2_T3_PNSJ_ISO_E10value_typeET4_T5_PST_SU_PNS1_23onesweep_lookback_stateEbbT6_jjT7_P12ihipStream_tbENKUlT_T0_SI_SN_E_clISD_SD_SD_SD_EEDaS11_S12_SI_SN_EUlS11_E_NS1_11comp_targetILNS1_3genE9ELNS1_11target_archE1100ELNS1_3gpuE3ELNS1_3repE0EEENS1_47radix_sort_onesweep_sort_config_static_selectorELNS0_4arch9wavefront6targetE1EEEvSI_
		.amdhsa_group_segment_fixed_size 0
		.amdhsa_private_segment_fixed_size 0
		.amdhsa_kernarg_size 88
		.amdhsa_user_sgpr_count 2
		.amdhsa_user_sgpr_dispatch_ptr 0
		.amdhsa_user_sgpr_queue_ptr 0
		.amdhsa_user_sgpr_kernarg_segment_ptr 1
		.amdhsa_user_sgpr_dispatch_id 0
		.amdhsa_user_sgpr_kernarg_preload_length 0
		.amdhsa_user_sgpr_kernarg_preload_offset 0
		.amdhsa_user_sgpr_private_segment_size 0
		.amdhsa_uses_dynamic_stack 0
		.amdhsa_enable_private_segment 0
		.amdhsa_system_sgpr_workgroup_id_x 1
		.amdhsa_system_sgpr_workgroup_id_y 0
		.amdhsa_system_sgpr_workgroup_id_z 0
		.amdhsa_system_sgpr_workgroup_info 0
		.amdhsa_system_vgpr_workitem_id 0
		.amdhsa_next_free_vgpr 1
		.amdhsa_next_free_sgpr 0
		.amdhsa_accum_offset 4
		.amdhsa_reserve_vcc 0
		.amdhsa_float_round_mode_32 0
		.amdhsa_float_round_mode_16_64 0
		.amdhsa_float_denorm_mode_32 3
		.amdhsa_float_denorm_mode_16_64 3
		.amdhsa_dx10_clamp 1
		.amdhsa_ieee_mode 1
		.amdhsa_fp16_overflow 0
		.amdhsa_tg_split 0
		.amdhsa_exception_fp_ieee_invalid_op 0
		.amdhsa_exception_fp_denorm_src 0
		.amdhsa_exception_fp_ieee_div_zero 0
		.amdhsa_exception_fp_ieee_overflow 0
		.amdhsa_exception_fp_ieee_underflow 0
		.amdhsa_exception_fp_ieee_inexact 0
		.amdhsa_exception_int_div_zero 0
	.end_amdhsa_kernel
	.section	.text._ZN7rocprim17ROCPRIM_400000_NS6detail17trampoline_kernelINS0_14default_configENS1_35radix_sort_onesweep_config_selectorIttEEZZNS1_29radix_sort_onesweep_iterationIS3_Lb0EN6thrust23THRUST_200600_302600_NS6detail15normal_iteratorINS8_10device_ptrItEEEESD_SD_SD_jNS0_19identity_decomposerENS1_16block_id_wrapperIjLb0EEEEE10hipError_tT1_PNSt15iterator_traitsISI_E10value_typeET2_T3_PNSJ_ISO_E10value_typeET4_T5_PST_SU_PNS1_23onesweep_lookback_stateEbbT6_jjT7_P12ihipStream_tbENKUlT_T0_SI_SN_E_clISD_SD_SD_SD_EEDaS11_S12_SI_SN_EUlS11_E_NS1_11comp_targetILNS1_3genE9ELNS1_11target_archE1100ELNS1_3gpuE3ELNS1_3repE0EEENS1_47radix_sort_onesweep_sort_config_static_selectorELNS0_4arch9wavefront6targetE1EEEvSI_,"axG",@progbits,_ZN7rocprim17ROCPRIM_400000_NS6detail17trampoline_kernelINS0_14default_configENS1_35radix_sort_onesweep_config_selectorIttEEZZNS1_29radix_sort_onesweep_iterationIS3_Lb0EN6thrust23THRUST_200600_302600_NS6detail15normal_iteratorINS8_10device_ptrItEEEESD_SD_SD_jNS0_19identity_decomposerENS1_16block_id_wrapperIjLb0EEEEE10hipError_tT1_PNSt15iterator_traitsISI_E10value_typeET2_T3_PNSJ_ISO_E10value_typeET4_T5_PST_SU_PNS1_23onesweep_lookback_stateEbbT6_jjT7_P12ihipStream_tbENKUlT_T0_SI_SN_E_clISD_SD_SD_SD_EEDaS11_S12_SI_SN_EUlS11_E_NS1_11comp_targetILNS1_3genE9ELNS1_11target_archE1100ELNS1_3gpuE3ELNS1_3repE0EEENS1_47radix_sort_onesweep_sort_config_static_selectorELNS0_4arch9wavefront6targetE1EEEvSI_,comdat
.Lfunc_end1008:
	.size	_ZN7rocprim17ROCPRIM_400000_NS6detail17trampoline_kernelINS0_14default_configENS1_35radix_sort_onesweep_config_selectorIttEEZZNS1_29radix_sort_onesweep_iterationIS3_Lb0EN6thrust23THRUST_200600_302600_NS6detail15normal_iteratorINS8_10device_ptrItEEEESD_SD_SD_jNS0_19identity_decomposerENS1_16block_id_wrapperIjLb0EEEEE10hipError_tT1_PNSt15iterator_traitsISI_E10value_typeET2_T3_PNSJ_ISO_E10value_typeET4_T5_PST_SU_PNS1_23onesweep_lookback_stateEbbT6_jjT7_P12ihipStream_tbENKUlT_T0_SI_SN_E_clISD_SD_SD_SD_EEDaS11_S12_SI_SN_EUlS11_E_NS1_11comp_targetILNS1_3genE9ELNS1_11target_archE1100ELNS1_3gpuE3ELNS1_3repE0EEENS1_47radix_sort_onesweep_sort_config_static_selectorELNS0_4arch9wavefront6targetE1EEEvSI_, .Lfunc_end1008-_ZN7rocprim17ROCPRIM_400000_NS6detail17trampoline_kernelINS0_14default_configENS1_35radix_sort_onesweep_config_selectorIttEEZZNS1_29radix_sort_onesweep_iterationIS3_Lb0EN6thrust23THRUST_200600_302600_NS6detail15normal_iteratorINS8_10device_ptrItEEEESD_SD_SD_jNS0_19identity_decomposerENS1_16block_id_wrapperIjLb0EEEEE10hipError_tT1_PNSt15iterator_traitsISI_E10value_typeET2_T3_PNSJ_ISO_E10value_typeET4_T5_PST_SU_PNS1_23onesweep_lookback_stateEbbT6_jjT7_P12ihipStream_tbENKUlT_T0_SI_SN_E_clISD_SD_SD_SD_EEDaS11_S12_SI_SN_EUlS11_E_NS1_11comp_targetILNS1_3genE9ELNS1_11target_archE1100ELNS1_3gpuE3ELNS1_3repE0EEENS1_47radix_sort_onesweep_sort_config_static_selectorELNS0_4arch9wavefront6targetE1EEEvSI_
                                        ; -- End function
	.set _ZN7rocprim17ROCPRIM_400000_NS6detail17trampoline_kernelINS0_14default_configENS1_35radix_sort_onesweep_config_selectorIttEEZZNS1_29radix_sort_onesweep_iterationIS3_Lb0EN6thrust23THRUST_200600_302600_NS6detail15normal_iteratorINS8_10device_ptrItEEEESD_SD_SD_jNS0_19identity_decomposerENS1_16block_id_wrapperIjLb0EEEEE10hipError_tT1_PNSt15iterator_traitsISI_E10value_typeET2_T3_PNSJ_ISO_E10value_typeET4_T5_PST_SU_PNS1_23onesweep_lookback_stateEbbT6_jjT7_P12ihipStream_tbENKUlT_T0_SI_SN_E_clISD_SD_SD_SD_EEDaS11_S12_SI_SN_EUlS11_E_NS1_11comp_targetILNS1_3genE9ELNS1_11target_archE1100ELNS1_3gpuE3ELNS1_3repE0EEENS1_47radix_sort_onesweep_sort_config_static_selectorELNS0_4arch9wavefront6targetE1EEEvSI_.num_vgpr, 0
	.set _ZN7rocprim17ROCPRIM_400000_NS6detail17trampoline_kernelINS0_14default_configENS1_35radix_sort_onesweep_config_selectorIttEEZZNS1_29radix_sort_onesweep_iterationIS3_Lb0EN6thrust23THRUST_200600_302600_NS6detail15normal_iteratorINS8_10device_ptrItEEEESD_SD_SD_jNS0_19identity_decomposerENS1_16block_id_wrapperIjLb0EEEEE10hipError_tT1_PNSt15iterator_traitsISI_E10value_typeET2_T3_PNSJ_ISO_E10value_typeET4_T5_PST_SU_PNS1_23onesweep_lookback_stateEbbT6_jjT7_P12ihipStream_tbENKUlT_T0_SI_SN_E_clISD_SD_SD_SD_EEDaS11_S12_SI_SN_EUlS11_E_NS1_11comp_targetILNS1_3genE9ELNS1_11target_archE1100ELNS1_3gpuE3ELNS1_3repE0EEENS1_47radix_sort_onesweep_sort_config_static_selectorELNS0_4arch9wavefront6targetE1EEEvSI_.num_agpr, 0
	.set _ZN7rocprim17ROCPRIM_400000_NS6detail17trampoline_kernelINS0_14default_configENS1_35radix_sort_onesweep_config_selectorIttEEZZNS1_29radix_sort_onesweep_iterationIS3_Lb0EN6thrust23THRUST_200600_302600_NS6detail15normal_iteratorINS8_10device_ptrItEEEESD_SD_SD_jNS0_19identity_decomposerENS1_16block_id_wrapperIjLb0EEEEE10hipError_tT1_PNSt15iterator_traitsISI_E10value_typeET2_T3_PNSJ_ISO_E10value_typeET4_T5_PST_SU_PNS1_23onesweep_lookback_stateEbbT6_jjT7_P12ihipStream_tbENKUlT_T0_SI_SN_E_clISD_SD_SD_SD_EEDaS11_S12_SI_SN_EUlS11_E_NS1_11comp_targetILNS1_3genE9ELNS1_11target_archE1100ELNS1_3gpuE3ELNS1_3repE0EEENS1_47radix_sort_onesweep_sort_config_static_selectorELNS0_4arch9wavefront6targetE1EEEvSI_.numbered_sgpr, 0
	.set _ZN7rocprim17ROCPRIM_400000_NS6detail17trampoline_kernelINS0_14default_configENS1_35radix_sort_onesweep_config_selectorIttEEZZNS1_29radix_sort_onesweep_iterationIS3_Lb0EN6thrust23THRUST_200600_302600_NS6detail15normal_iteratorINS8_10device_ptrItEEEESD_SD_SD_jNS0_19identity_decomposerENS1_16block_id_wrapperIjLb0EEEEE10hipError_tT1_PNSt15iterator_traitsISI_E10value_typeET2_T3_PNSJ_ISO_E10value_typeET4_T5_PST_SU_PNS1_23onesweep_lookback_stateEbbT6_jjT7_P12ihipStream_tbENKUlT_T0_SI_SN_E_clISD_SD_SD_SD_EEDaS11_S12_SI_SN_EUlS11_E_NS1_11comp_targetILNS1_3genE9ELNS1_11target_archE1100ELNS1_3gpuE3ELNS1_3repE0EEENS1_47radix_sort_onesweep_sort_config_static_selectorELNS0_4arch9wavefront6targetE1EEEvSI_.num_named_barrier, 0
	.set _ZN7rocprim17ROCPRIM_400000_NS6detail17trampoline_kernelINS0_14default_configENS1_35radix_sort_onesweep_config_selectorIttEEZZNS1_29radix_sort_onesweep_iterationIS3_Lb0EN6thrust23THRUST_200600_302600_NS6detail15normal_iteratorINS8_10device_ptrItEEEESD_SD_SD_jNS0_19identity_decomposerENS1_16block_id_wrapperIjLb0EEEEE10hipError_tT1_PNSt15iterator_traitsISI_E10value_typeET2_T3_PNSJ_ISO_E10value_typeET4_T5_PST_SU_PNS1_23onesweep_lookback_stateEbbT6_jjT7_P12ihipStream_tbENKUlT_T0_SI_SN_E_clISD_SD_SD_SD_EEDaS11_S12_SI_SN_EUlS11_E_NS1_11comp_targetILNS1_3genE9ELNS1_11target_archE1100ELNS1_3gpuE3ELNS1_3repE0EEENS1_47radix_sort_onesweep_sort_config_static_selectorELNS0_4arch9wavefront6targetE1EEEvSI_.private_seg_size, 0
	.set _ZN7rocprim17ROCPRIM_400000_NS6detail17trampoline_kernelINS0_14default_configENS1_35radix_sort_onesweep_config_selectorIttEEZZNS1_29radix_sort_onesweep_iterationIS3_Lb0EN6thrust23THRUST_200600_302600_NS6detail15normal_iteratorINS8_10device_ptrItEEEESD_SD_SD_jNS0_19identity_decomposerENS1_16block_id_wrapperIjLb0EEEEE10hipError_tT1_PNSt15iterator_traitsISI_E10value_typeET2_T3_PNSJ_ISO_E10value_typeET4_T5_PST_SU_PNS1_23onesweep_lookback_stateEbbT6_jjT7_P12ihipStream_tbENKUlT_T0_SI_SN_E_clISD_SD_SD_SD_EEDaS11_S12_SI_SN_EUlS11_E_NS1_11comp_targetILNS1_3genE9ELNS1_11target_archE1100ELNS1_3gpuE3ELNS1_3repE0EEENS1_47radix_sort_onesweep_sort_config_static_selectorELNS0_4arch9wavefront6targetE1EEEvSI_.uses_vcc, 0
	.set _ZN7rocprim17ROCPRIM_400000_NS6detail17trampoline_kernelINS0_14default_configENS1_35radix_sort_onesweep_config_selectorIttEEZZNS1_29radix_sort_onesweep_iterationIS3_Lb0EN6thrust23THRUST_200600_302600_NS6detail15normal_iteratorINS8_10device_ptrItEEEESD_SD_SD_jNS0_19identity_decomposerENS1_16block_id_wrapperIjLb0EEEEE10hipError_tT1_PNSt15iterator_traitsISI_E10value_typeET2_T3_PNSJ_ISO_E10value_typeET4_T5_PST_SU_PNS1_23onesweep_lookback_stateEbbT6_jjT7_P12ihipStream_tbENKUlT_T0_SI_SN_E_clISD_SD_SD_SD_EEDaS11_S12_SI_SN_EUlS11_E_NS1_11comp_targetILNS1_3genE9ELNS1_11target_archE1100ELNS1_3gpuE3ELNS1_3repE0EEENS1_47radix_sort_onesweep_sort_config_static_selectorELNS0_4arch9wavefront6targetE1EEEvSI_.uses_flat_scratch, 0
	.set _ZN7rocprim17ROCPRIM_400000_NS6detail17trampoline_kernelINS0_14default_configENS1_35radix_sort_onesweep_config_selectorIttEEZZNS1_29radix_sort_onesweep_iterationIS3_Lb0EN6thrust23THRUST_200600_302600_NS6detail15normal_iteratorINS8_10device_ptrItEEEESD_SD_SD_jNS0_19identity_decomposerENS1_16block_id_wrapperIjLb0EEEEE10hipError_tT1_PNSt15iterator_traitsISI_E10value_typeET2_T3_PNSJ_ISO_E10value_typeET4_T5_PST_SU_PNS1_23onesweep_lookback_stateEbbT6_jjT7_P12ihipStream_tbENKUlT_T0_SI_SN_E_clISD_SD_SD_SD_EEDaS11_S12_SI_SN_EUlS11_E_NS1_11comp_targetILNS1_3genE9ELNS1_11target_archE1100ELNS1_3gpuE3ELNS1_3repE0EEENS1_47radix_sort_onesweep_sort_config_static_selectorELNS0_4arch9wavefront6targetE1EEEvSI_.has_dyn_sized_stack, 0
	.set _ZN7rocprim17ROCPRIM_400000_NS6detail17trampoline_kernelINS0_14default_configENS1_35radix_sort_onesweep_config_selectorIttEEZZNS1_29radix_sort_onesweep_iterationIS3_Lb0EN6thrust23THRUST_200600_302600_NS6detail15normal_iteratorINS8_10device_ptrItEEEESD_SD_SD_jNS0_19identity_decomposerENS1_16block_id_wrapperIjLb0EEEEE10hipError_tT1_PNSt15iterator_traitsISI_E10value_typeET2_T3_PNSJ_ISO_E10value_typeET4_T5_PST_SU_PNS1_23onesweep_lookback_stateEbbT6_jjT7_P12ihipStream_tbENKUlT_T0_SI_SN_E_clISD_SD_SD_SD_EEDaS11_S12_SI_SN_EUlS11_E_NS1_11comp_targetILNS1_3genE9ELNS1_11target_archE1100ELNS1_3gpuE3ELNS1_3repE0EEENS1_47radix_sort_onesweep_sort_config_static_selectorELNS0_4arch9wavefront6targetE1EEEvSI_.has_recursion, 0
	.set _ZN7rocprim17ROCPRIM_400000_NS6detail17trampoline_kernelINS0_14default_configENS1_35radix_sort_onesweep_config_selectorIttEEZZNS1_29radix_sort_onesweep_iterationIS3_Lb0EN6thrust23THRUST_200600_302600_NS6detail15normal_iteratorINS8_10device_ptrItEEEESD_SD_SD_jNS0_19identity_decomposerENS1_16block_id_wrapperIjLb0EEEEE10hipError_tT1_PNSt15iterator_traitsISI_E10value_typeET2_T3_PNSJ_ISO_E10value_typeET4_T5_PST_SU_PNS1_23onesweep_lookback_stateEbbT6_jjT7_P12ihipStream_tbENKUlT_T0_SI_SN_E_clISD_SD_SD_SD_EEDaS11_S12_SI_SN_EUlS11_E_NS1_11comp_targetILNS1_3genE9ELNS1_11target_archE1100ELNS1_3gpuE3ELNS1_3repE0EEENS1_47radix_sort_onesweep_sort_config_static_selectorELNS0_4arch9wavefront6targetE1EEEvSI_.has_indirect_call, 0
	.section	.AMDGPU.csdata,"",@progbits
; Kernel info:
; codeLenInByte = 0
; TotalNumSgprs: 6
; NumVgprs: 0
; NumAgprs: 0
; TotalNumVgprs: 0
; ScratchSize: 0
; MemoryBound: 0
; FloatMode: 240
; IeeeMode: 1
; LDSByteSize: 0 bytes/workgroup (compile time only)
; SGPRBlocks: 0
; VGPRBlocks: 0
; NumSGPRsForWavesPerEU: 6
; NumVGPRsForWavesPerEU: 1
; AccumOffset: 4
; Occupancy: 8
; WaveLimiterHint : 0
; COMPUTE_PGM_RSRC2:SCRATCH_EN: 0
; COMPUTE_PGM_RSRC2:USER_SGPR: 2
; COMPUTE_PGM_RSRC2:TRAP_HANDLER: 0
; COMPUTE_PGM_RSRC2:TGID_X_EN: 1
; COMPUTE_PGM_RSRC2:TGID_Y_EN: 0
; COMPUTE_PGM_RSRC2:TGID_Z_EN: 0
; COMPUTE_PGM_RSRC2:TIDIG_COMP_CNT: 0
; COMPUTE_PGM_RSRC3_GFX90A:ACCUM_OFFSET: 0
; COMPUTE_PGM_RSRC3_GFX90A:TG_SPLIT: 0
	.section	.text._ZN7rocprim17ROCPRIM_400000_NS6detail17trampoline_kernelINS0_14default_configENS1_35radix_sort_onesweep_config_selectorIttEEZZNS1_29radix_sort_onesweep_iterationIS3_Lb0EN6thrust23THRUST_200600_302600_NS6detail15normal_iteratorINS8_10device_ptrItEEEESD_SD_SD_jNS0_19identity_decomposerENS1_16block_id_wrapperIjLb0EEEEE10hipError_tT1_PNSt15iterator_traitsISI_E10value_typeET2_T3_PNSJ_ISO_E10value_typeET4_T5_PST_SU_PNS1_23onesweep_lookback_stateEbbT6_jjT7_P12ihipStream_tbENKUlT_T0_SI_SN_E_clISD_SD_SD_SD_EEDaS11_S12_SI_SN_EUlS11_E_NS1_11comp_targetILNS1_3genE8ELNS1_11target_archE1030ELNS1_3gpuE2ELNS1_3repE0EEENS1_47radix_sort_onesweep_sort_config_static_selectorELNS0_4arch9wavefront6targetE1EEEvSI_,"axG",@progbits,_ZN7rocprim17ROCPRIM_400000_NS6detail17trampoline_kernelINS0_14default_configENS1_35radix_sort_onesweep_config_selectorIttEEZZNS1_29radix_sort_onesweep_iterationIS3_Lb0EN6thrust23THRUST_200600_302600_NS6detail15normal_iteratorINS8_10device_ptrItEEEESD_SD_SD_jNS0_19identity_decomposerENS1_16block_id_wrapperIjLb0EEEEE10hipError_tT1_PNSt15iterator_traitsISI_E10value_typeET2_T3_PNSJ_ISO_E10value_typeET4_T5_PST_SU_PNS1_23onesweep_lookback_stateEbbT6_jjT7_P12ihipStream_tbENKUlT_T0_SI_SN_E_clISD_SD_SD_SD_EEDaS11_S12_SI_SN_EUlS11_E_NS1_11comp_targetILNS1_3genE8ELNS1_11target_archE1030ELNS1_3gpuE2ELNS1_3repE0EEENS1_47radix_sort_onesweep_sort_config_static_selectorELNS0_4arch9wavefront6targetE1EEEvSI_,comdat
	.protected	_ZN7rocprim17ROCPRIM_400000_NS6detail17trampoline_kernelINS0_14default_configENS1_35radix_sort_onesweep_config_selectorIttEEZZNS1_29radix_sort_onesweep_iterationIS3_Lb0EN6thrust23THRUST_200600_302600_NS6detail15normal_iteratorINS8_10device_ptrItEEEESD_SD_SD_jNS0_19identity_decomposerENS1_16block_id_wrapperIjLb0EEEEE10hipError_tT1_PNSt15iterator_traitsISI_E10value_typeET2_T3_PNSJ_ISO_E10value_typeET4_T5_PST_SU_PNS1_23onesweep_lookback_stateEbbT6_jjT7_P12ihipStream_tbENKUlT_T0_SI_SN_E_clISD_SD_SD_SD_EEDaS11_S12_SI_SN_EUlS11_E_NS1_11comp_targetILNS1_3genE8ELNS1_11target_archE1030ELNS1_3gpuE2ELNS1_3repE0EEENS1_47radix_sort_onesweep_sort_config_static_selectorELNS0_4arch9wavefront6targetE1EEEvSI_ ; -- Begin function _ZN7rocprim17ROCPRIM_400000_NS6detail17trampoline_kernelINS0_14default_configENS1_35radix_sort_onesweep_config_selectorIttEEZZNS1_29radix_sort_onesweep_iterationIS3_Lb0EN6thrust23THRUST_200600_302600_NS6detail15normal_iteratorINS8_10device_ptrItEEEESD_SD_SD_jNS0_19identity_decomposerENS1_16block_id_wrapperIjLb0EEEEE10hipError_tT1_PNSt15iterator_traitsISI_E10value_typeET2_T3_PNSJ_ISO_E10value_typeET4_T5_PST_SU_PNS1_23onesweep_lookback_stateEbbT6_jjT7_P12ihipStream_tbENKUlT_T0_SI_SN_E_clISD_SD_SD_SD_EEDaS11_S12_SI_SN_EUlS11_E_NS1_11comp_targetILNS1_3genE8ELNS1_11target_archE1030ELNS1_3gpuE2ELNS1_3repE0EEENS1_47radix_sort_onesweep_sort_config_static_selectorELNS0_4arch9wavefront6targetE1EEEvSI_
	.globl	_ZN7rocprim17ROCPRIM_400000_NS6detail17trampoline_kernelINS0_14default_configENS1_35radix_sort_onesweep_config_selectorIttEEZZNS1_29radix_sort_onesweep_iterationIS3_Lb0EN6thrust23THRUST_200600_302600_NS6detail15normal_iteratorINS8_10device_ptrItEEEESD_SD_SD_jNS0_19identity_decomposerENS1_16block_id_wrapperIjLb0EEEEE10hipError_tT1_PNSt15iterator_traitsISI_E10value_typeET2_T3_PNSJ_ISO_E10value_typeET4_T5_PST_SU_PNS1_23onesweep_lookback_stateEbbT6_jjT7_P12ihipStream_tbENKUlT_T0_SI_SN_E_clISD_SD_SD_SD_EEDaS11_S12_SI_SN_EUlS11_E_NS1_11comp_targetILNS1_3genE8ELNS1_11target_archE1030ELNS1_3gpuE2ELNS1_3repE0EEENS1_47radix_sort_onesweep_sort_config_static_selectorELNS0_4arch9wavefront6targetE1EEEvSI_
	.p2align	8
	.type	_ZN7rocprim17ROCPRIM_400000_NS6detail17trampoline_kernelINS0_14default_configENS1_35radix_sort_onesweep_config_selectorIttEEZZNS1_29radix_sort_onesweep_iterationIS3_Lb0EN6thrust23THRUST_200600_302600_NS6detail15normal_iteratorINS8_10device_ptrItEEEESD_SD_SD_jNS0_19identity_decomposerENS1_16block_id_wrapperIjLb0EEEEE10hipError_tT1_PNSt15iterator_traitsISI_E10value_typeET2_T3_PNSJ_ISO_E10value_typeET4_T5_PST_SU_PNS1_23onesweep_lookback_stateEbbT6_jjT7_P12ihipStream_tbENKUlT_T0_SI_SN_E_clISD_SD_SD_SD_EEDaS11_S12_SI_SN_EUlS11_E_NS1_11comp_targetILNS1_3genE8ELNS1_11target_archE1030ELNS1_3gpuE2ELNS1_3repE0EEENS1_47radix_sort_onesweep_sort_config_static_selectorELNS0_4arch9wavefront6targetE1EEEvSI_,@function
_ZN7rocprim17ROCPRIM_400000_NS6detail17trampoline_kernelINS0_14default_configENS1_35radix_sort_onesweep_config_selectorIttEEZZNS1_29radix_sort_onesweep_iterationIS3_Lb0EN6thrust23THRUST_200600_302600_NS6detail15normal_iteratorINS8_10device_ptrItEEEESD_SD_SD_jNS0_19identity_decomposerENS1_16block_id_wrapperIjLb0EEEEE10hipError_tT1_PNSt15iterator_traitsISI_E10value_typeET2_T3_PNSJ_ISO_E10value_typeET4_T5_PST_SU_PNS1_23onesweep_lookback_stateEbbT6_jjT7_P12ihipStream_tbENKUlT_T0_SI_SN_E_clISD_SD_SD_SD_EEDaS11_S12_SI_SN_EUlS11_E_NS1_11comp_targetILNS1_3genE8ELNS1_11target_archE1030ELNS1_3gpuE2ELNS1_3repE0EEENS1_47radix_sort_onesweep_sort_config_static_selectorELNS0_4arch9wavefront6targetE1EEEvSI_: ; @_ZN7rocprim17ROCPRIM_400000_NS6detail17trampoline_kernelINS0_14default_configENS1_35radix_sort_onesweep_config_selectorIttEEZZNS1_29radix_sort_onesweep_iterationIS3_Lb0EN6thrust23THRUST_200600_302600_NS6detail15normal_iteratorINS8_10device_ptrItEEEESD_SD_SD_jNS0_19identity_decomposerENS1_16block_id_wrapperIjLb0EEEEE10hipError_tT1_PNSt15iterator_traitsISI_E10value_typeET2_T3_PNSJ_ISO_E10value_typeET4_T5_PST_SU_PNS1_23onesweep_lookback_stateEbbT6_jjT7_P12ihipStream_tbENKUlT_T0_SI_SN_E_clISD_SD_SD_SD_EEDaS11_S12_SI_SN_EUlS11_E_NS1_11comp_targetILNS1_3genE8ELNS1_11target_archE1030ELNS1_3gpuE2ELNS1_3repE0EEENS1_47radix_sort_onesweep_sort_config_static_selectorELNS0_4arch9wavefront6targetE1EEEvSI_
; %bb.0:
	.section	.rodata,"a",@progbits
	.p2align	6, 0x0
	.amdhsa_kernel _ZN7rocprim17ROCPRIM_400000_NS6detail17trampoline_kernelINS0_14default_configENS1_35radix_sort_onesweep_config_selectorIttEEZZNS1_29radix_sort_onesweep_iterationIS3_Lb0EN6thrust23THRUST_200600_302600_NS6detail15normal_iteratorINS8_10device_ptrItEEEESD_SD_SD_jNS0_19identity_decomposerENS1_16block_id_wrapperIjLb0EEEEE10hipError_tT1_PNSt15iterator_traitsISI_E10value_typeET2_T3_PNSJ_ISO_E10value_typeET4_T5_PST_SU_PNS1_23onesweep_lookback_stateEbbT6_jjT7_P12ihipStream_tbENKUlT_T0_SI_SN_E_clISD_SD_SD_SD_EEDaS11_S12_SI_SN_EUlS11_E_NS1_11comp_targetILNS1_3genE8ELNS1_11target_archE1030ELNS1_3gpuE2ELNS1_3repE0EEENS1_47radix_sort_onesweep_sort_config_static_selectorELNS0_4arch9wavefront6targetE1EEEvSI_
		.amdhsa_group_segment_fixed_size 0
		.amdhsa_private_segment_fixed_size 0
		.amdhsa_kernarg_size 88
		.amdhsa_user_sgpr_count 2
		.amdhsa_user_sgpr_dispatch_ptr 0
		.amdhsa_user_sgpr_queue_ptr 0
		.amdhsa_user_sgpr_kernarg_segment_ptr 1
		.amdhsa_user_sgpr_dispatch_id 0
		.amdhsa_user_sgpr_kernarg_preload_length 0
		.amdhsa_user_sgpr_kernarg_preload_offset 0
		.amdhsa_user_sgpr_private_segment_size 0
		.amdhsa_uses_dynamic_stack 0
		.amdhsa_enable_private_segment 0
		.amdhsa_system_sgpr_workgroup_id_x 1
		.amdhsa_system_sgpr_workgroup_id_y 0
		.amdhsa_system_sgpr_workgroup_id_z 0
		.amdhsa_system_sgpr_workgroup_info 0
		.amdhsa_system_vgpr_workitem_id 0
		.amdhsa_next_free_vgpr 1
		.amdhsa_next_free_sgpr 0
		.amdhsa_accum_offset 4
		.amdhsa_reserve_vcc 0
		.amdhsa_float_round_mode_32 0
		.amdhsa_float_round_mode_16_64 0
		.amdhsa_float_denorm_mode_32 3
		.amdhsa_float_denorm_mode_16_64 3
		.amdhsa_dx10_clamp 1
		.amdhsa_ieee_mode 1
		.amdhsa_fp16_overflow 0
		.amdhsa_tg_split 0
		.amdhsa_exception_fp_ieee_invalid_op 0
		.amdhsa_exception_fp_denorm_src 0
		.amdhsa_exception_fp_ieee_div_zero 0
		.amdhsa_exception_fp_ieee_overflow 0
		.amdhsa_exception_fp_ieee_underflow 0
		.amdhsa_exception_fp_ieee_inexact 0
		.amdhsa_exception_int_div_zero 0
	.end_amdhsa_kernel
	.section	.text._ZN7rocprim17ROCPRIM_400000_NS6detail17trampoline_kernelINS0_14default_configENS1_35radix_sort_onesweep_config_selectorIttEEZZNS1_29radix_sort_onesweep_iterationIS3_Lb0EN6thrust23THRUST_200600_302600_NS6detail15normal_iteratorINS8_10device_ptrItEEEESD_SD_SD_jNS0_19identity_decomposerENS1_16block_id_wrapperIjLb0EEEEE10hipError_tT1_PNSt15iterator_traitsISI_E10value_typeET2_T3_PNSJ_ISO_E10value_typeET4_T5_PST_SU_PNS1_23onesweep_lookback_stateEbbT6_jjT7_P12ihipStream_tbENKUlT_T0_SI_SN_E_clISD_SD_SD_SD_EEDaS11_S12_SI_SN_EUlS11_E_NS1_11comp_targetILNS1_3genE8ELNS1_11target_archE1030ELNS1_3gpuE2ELNS1_3repE0EEENS1_47radix_sort_onesweep_sort_config_static_selectorELNS0_4arch9wavefront6targetE1EEEvSI_,"axG",@progbits,_ZN7rocprim17ROCPRIM_400000_NS6detail17trampoline_kernelINS0_14default_configENS1_35radix_sort_onesweep_config_selectorIttEEZZNS1_29radix_sort_onesweep_iterationIS3_Lb0EN6thrust23THRUST_200600_302600_NS6detail15normal_iteratorINS8_10device_ptrItEEEESD_SD_SD_jNS0_19identity_decomposerENS1_16block_id_wrapperIjLb0EEEEE10hipError_tT1_PNSt15iterator_traitsISI_E10value_typeET2_T3_PNSJ_ISO_E10value_typeET4_T5_PST_SU_PNS1_23onesweep_lookback_stateEbbT6_jjT7_P12ihipStream_tbENKUlT_T0_SI_SN_E_clISD_SD_SD_SD_EEDaS11_S12_SI_SN_EUlS11_E_NS1_11comp_targetILNS1_3genE8ELNS1_11target_archE1030ELNS1_3gpuE2ELNS1_3repE0EEENS1_47radix_sort_onesweep_sort_config_static_selectorELNS0_4arch9wavefront6targetE1EEEvSI_,comdat
.Lfunc_end1009:
	.size	_ZN7rocprim17ROCPRIM_400000_NS6detail17trampoline_kernelINS0_14default_configENS1_35radix_sort_onesweep_config_selectorIttEEZZNS1_29radix_sort_onesweep_iterationIS3_Lb0EN6thrust23THRUST_200600_302600_NS6detail15normal_iteratorINS8_10device_ptrItEEEESD_SD_SD_jNS0_19identity_decomposerENS1_16block_id_wrapperIjLb0EEEEE10hipError_tT1_PNSt15iterator_traitsISI_E10value_typeET2_T3_PNSJ_ISO_E10value_typeET4_T5_PST_SU_PNS1_23onesweep_lookback_stateEbbT6_jjT7_P12ihipStream_tbENKUlT_T0_SI_SN_E_clISD_SD_SD_SD_EEDaS11_S12_SI_SN_EUlS11_E_NS1_11comp_targetILNS1_3genE8ELNS1_11target_archE1030ELNS1_3gpuE2ELNS1_3repE0EEENS1_47radix_sort_onesweep_sort_config_static_selectorELNS0_4arch9wavefront6targetE1EEEvSI_, .Lfunc_end1009-_ZN7rocprim17ROCPRIM_400000_NS6detail17trampoline_kernelINS0_14default_configENS1_35radix_sort_onesweep_config_selectorIttEEZZNS1_29radix_sort_onesweep_iterationIS3_Lb0EN6thrust23THRUST_200600_302600_NS6detail15normal_iteratorINS8_10device_ptrItEEEESD_SD_SD_jNS0_19identity_decomposerENS1_16block_id_wrapperIjLb0EEEEE10hipError_tT1_PNSt15iterator_traitsISI_E10value_typeET2_T3_PNSJ_ISO_E10value_typeET4_T5_PST_SU_PNS1_23onesweep_lookback_stateEbbT6_jjT7_P12ihipStream_tbENKUlT_T0_SI_SN_E_clISD_SD_SD_SD_EEDaS11_S12_SI_SN_EUlS11_E_NS1_11comp_targetILNS1_3genE8ELNS1_11target_archE1030ELNS1_3gpuE2ELNS1_3repE0EEENS1_47radix_sort_onesweep_sort_config_static_selectorELNS0_4arch9wavefront6targetE1EEEvSI_
                                        ; -- End function
	.set _ZN7rocprim17ROCPRIM_400000_NS6detail17trampoline_kernelINS0_14default_configENS1_35radix_sort_onesweep_config_selectorIttEEZZNS1_29radix_sort_onesweep_iterationIS3_Lb0EN6thrust23THRUST_200600_302600_NS6detail15normal_iteratorINS8_10device_ptrItEEEESD_SD_SD_jNS0_19identity_decomposerENS1_16block_id_wrapperIjLb0EEEEE10hipError_tT1_PNSt15iterator_traitsISI_E10value_typeET2_T3_PNSJ_ISO_E10value_typeET4_T5_PST_SU_PNS1_23onesweep_lookback_stateEbbT6_jjT7_P12ihipStream_tbENKUlT_T0_SI_SN_E_clISD_SD_SD_SD_EEDaS11_S12_SI_SN_EUlS11_E_NS1_11comp_targetILNS1_3genE8ELNS1_11target_archE1030ELNS1_3gpuE2ELNS1_3repE0EEENS1_47radix_sort_onesweep_sort_config_static_selectorELNS0_4arch9wavefront6targetE1EEEvSI_.num_vgpr, 0
	.set _ZN7rocprim17ROCPRIM_400000_NS6detail17trampoline_kernelINS0_14default_configENS1_35radix_sort_onesweep_config_selectorIttEEZZNS1_29radix_sort_onesweep_iterationIS3_Lb0EN6thrust23THRUST_200600_302600_NS6detail15normal_iteratorINS8_10device_ptrItEEEESD_SD_SD_jNS0_19identity_decomposerENS1_16block_id_wrapperIjLb0EEEEE10hipError_tT1_PNSt15iterator_traitsISI_E10value_typeET2_T3_PNSJ_ISO_E10value_typeET4_T5_PST_SU_PNS1_23onesweep_lookback_stateEbbT6_jjT7_P12ihipStream_tbENKUlT_T0_SI_SN_E_clISD_SD_SD_SD_EEDaS11_S12_SI_SN_EUlS11_E_NS1_11comp_targetILNS1_3genE8ELNS1_11target_archE1030ELNS1_3gpuE2ELNS1_3repE0EEENS1_47radix_sort_onesweep_sort_config_static_selectorELNS0_4arch9wavefront6targetE1EEEvSI_.num_agpr, 0
	.set _ZN7rocprim17ROCPRIM_400000_NS6detail17trampoline_kernelINS0_14default_configENS1_35radix_sort_onesweep_config_selectorIttEEZZNS1_29radix_sort_onesweep_iterationIS3_Lb0EN6thrust23THRUST_200600_302600_NS6detail15normal_iteratorINS8_10device_ptrItEEEESD_SD_SD_jNS0_19identity_decomposerENS1_16block_id_wrapperIjLb0EEEEE10hipError_tT1_PNSt15iterator_traitsISI_E10value_typeET2_T3_PNSJ_ISO_E10value_typeET4_T5_PST_SU_PNS1_23onesweep_lookback_stateEbbT6_jjT7_P12ihipStream_tbENKUlT_T0_SI_SN_E_clISD_SD_SD_SD_EEDaS11_S12_SI_SN_EUlS11_E_NS1_11comp_targetILNS1_3genE8ELNS1_11target_archE1030ELNS1_3gpuE2ELNS1_3repE0EEENS1_47radix_sort_onesweep_sort_config_static_selectorELNS0_4arch9wavefront6targetE1EEEvSI_.numbered_sgpr, 0
	.set _ZN7rocprim17ROCPRIM_400000_NS6detail17trampoline_kernelINS0_14default_configENS1_35radix_sort_onesweep_config_selectorIttEEZZNS1_29radix_sort_onesweep_iterationIS3_Lb0EN6thrust23THRUST_200600_302600_NS6detail15normal_iteratorINS8_10device_ptrItEEEESD_SD_SD_jNS0_19identity_decomposerENS1_16block_id_wrapperIjLb0EEEEE10hipError_tT1_PNSt15iterator_traitsISI_E10value_typeET2_T3_PNSJ_ISO_E10value_typeET4_T5_PST_SU_PNS1_23onesweep_lookback_stateEbbT6_jjT7_P12ihipStream_tbENKUlT_T0_SI_SN_E_clISD_SD_SD_SD_EEDaS11_S12_SI_SN_EUlS11_E_NS1_11comp_targetILNS1_3genE8ELNS1_11target_archE1030ELNS1_3gpuE2ELNS1_3repE0EEENS1_47radix_sort_onesweep_sort_config_static_selectorELNS0_4arch9wavefront6targetE1EEEvSI_.num_named_barrier, 0
	.set _ZN7rocprim17ROCPRIM_400000_NS6detail17trampoline_kernelINS0_14default_configENS1_35radix_sort_onesweep_config_selectorIttEEZZNS1_29radix_sort_onesweep_iterationIS3_Lb0EN6thrust23THRUST_200600_302600_NS6detail15normal_iteratorINS8_10device_ptrItEEEESD_SD_SD_jNS0_19identity_decomposerENS1_16block_id_wrapperIjLb0EEEEE10hipError_tT1_PNSt15iterator_traitsISI_E10value_typeET2_T3_PNSJ_ISO_E10value_typeET4_T5_PST_SU_PNS1_23onesweep_lookback_stateEbbT6_jjT7_P12ihipStream_tbENKUlT_T0_SI_SN_E_clISD_SD_SD_SD_EEDaS11_S12_SI_SN_EUlS11_E_NS1_11comp_targetILNS1_3genE8ELNS1_11target_archE1030ELNS1_3gpuE2ELNS1_3repE0EEENS1_47radix_sort_onesweep_sort_config_static_selectorELNS0_4arch9wavefront6targetE1EEEvSI_.private_seg_size, 0
	.set _ZN7rocprim17ROCPRIM_400000_NS6detail17trampoline_kernelINS0_14default_configENS1_35radix_sort_onesweep_config_selectorIttEEZZNS1_29radix_sort_onesweep_iterationIS3_Lb0EN6thrust23THRUST_200600_302600_NS6detail15normal_iteratorINS8_10device_ptrItEEEESD_SD_SD_jNS0_19identity_decomposerENS1_16block_id_wrapperIjLb0EEEEE10hipError_tT1_PNSt15iterator_traitsISI_E10value_typeET2_T3_PNSJ_ISO_E10value_typeET4_T5_PST_SU_PNS1_23onesweep_lookback_stateEbbT6_jjT7_P12ihipStream_tbENKUlT_T0_SI_SN_E_clISD_SD_SD_SD_EEDaS11_S12_SI_SN_EUlS11_E_NS1_11comp_targetILNS1_3genE8ELNS1_11target_archE1030ELNS1_3gpuE2ELNS1_3repE0EEENS1_47radix_sort_onesweep_sort_config_static_selectorELNS0_4arch9wavefront6targetE1EEEvSI_.uses_vcc, 0
	.set _ZN7rocprim17ROCPRIM_400000_NS6detail17trampoline_kernelINS0_14default_configENS1_35radix_sort_onesweep_config_selectorIttEEZZNS1_29radix_sort_onesweep_iterationIS3_Lb0EN6thrust23THRUST_200600_302600_NS6detail15normal_iteratorINS8_10device_ptrItEEEESD_SD_SD_jNS0_19identity_decomposerENS1_16block_id_wrapperIjLb0EEEEE10hipError_tT1_PNSt15iterator_traitsISI_E10value_typeET2_T3_PNSJ_ISO_E10value_typeET4_T5_PST_SU_PNS1_23onesweep_lookback_stateEbbT6_jjT7_P12ihipStream_tbENKUlT_T0_SI_SN_E_clISD_SD_SD_SD_EEDaS11_S12_SI_SN_EUlS11_E_NS1_11comp_targetILNS1_3genE8ELNS1_11target_archE1030ELNS1_3gpuE2ELNS1_3repE0EEENS1_47radix_sort_onesweep_sort_config_static_selectorELNS0_4arch9wavefront6targetE1EEEvSI_.uses_flat_scratch, 0
	.set _ZN7rocprim17ROCPRIM_400000_NS6detail17trampoline_kernelINS0_14default_configENS1_35radix_sort_onesweep_config_selectorIttEEZZNS1_29radix_sort_onesweep_iterationIS3_Lb0EN6thrust23THRUST_200600_302600_NS6detail15normal_iteratorINS8_10device_ptrItEEEESD_SD_SD_jNS0_19identity_decomposerENS1_16block_id_wrapperIjLb0EEEEE10hipError_tT1_PNSt15iterator_traitsISI_E10value_typeET2_T3_PNSJ_ISO_E10value_typeET4_T5_PST_SU_PNS1_23onesweep_lookback_stateEbbT6_jjT7_P12ihipStream_tbENKUlT_T0_SI_SN_E_clISD_SD_SD_SD_EEDaS11_S12_SI_SN_EUlS11_E_NS1_11comp_targetILNS1_3genE8ELNS1_11target_archE1030ELNS1_3gpuE2ELNS1_3repE0EEENS1_47radix_sort_onesweep_sort_config_static_selectorELNS0_4arch9wavefront6targetE1EEEvSI_.has_dyn_sized_stack, 0
	.set _ZN7rocprim17ROCPRIM_400000_NS6detail17trampoline_kernelINS0_14default_configENS1_35radix_sort_onesweep_config_selectorIttEEZZNS1_29radix_sort_onesweep_iterationIS3_Lb0EN6thrust23THRUST_200600_302600_NS6detail15normal_iteratorINS8_10device_ptrItEEEESD_SD_SD_jNS0_19identity_decomposerENS1_16block_id_wrapperIjLb0EEEEE10hipError_tT1_PNSt15iterator_traitsISI_E10value_typeET2_T3_PNSJ_ISO_E10value_typeET4_T5_PST_SU_PNS1_23onesweep_lookback_stateEbbT6_jjT7_P12ihipStream_tbENKUlT_T0_SI_SN_E_clISD_SD_SD_SD_EEDaS11_S12_SI_SN_EUlS11_E_NS1_11comp_targetILNS1_3genE8ELNS1_11target_archE1030ELNS1_3gpuE2ELNS1_3repE0EEENS1_47radix_sort_onesweep_sort_config_static_selectorELNS0_4arch9wavefront6targetE1EEEvSI_.has_recursion, 0
	.set _ZN7rocprim17ROCPRIM_400000_NS6detail17trampoline_kernelINS0_14default_configENS1_35radix_sort_onesweep_config_selectorIttEEZZNS1_29radix_sort_onesweep_iterationIS3_Lb0EN6thrust23THRUST_200600_302600_NS6detail15normal_iteratorINS8_10device_ptrItEEEESD_SD_SD_jNS0_19identity_decomposerENS1_16block_id_wrapperIjLb0EEEEE10hipError_tT1_PNSt15iterator_traitsISI_E10value_typeET2_T3_PNSJ_ISO_E10value_typeET4_T5_PST_SU_PNS1_23onesweep_lookback_stateEbbT6_jjT7_P12ihipStream_tbENKUlT_T0_SI_SN_E_clISD_SD_SD_SD_EEDaS11_S12_SI_SN_EUlS11_E_NS1_11comp_targetILNS1_3genE8ELNS1_11target_archE1030ELNS1_3gpuE2ELNS1_3repE0EEENS1_47radix_sort_onesweep_sort_config_static_selectorELNS0_4arch9wavefront6targetE1EEEvSI_.has_indirect_call, 0
	.section	.AMDGPU.csdata,"",@progbits
; Kernel info:
; codeLenInByte = 0
; TotalNumSgprs: 6
; NumVgprs: 0
; NumAgprs: 0
; TotalNumVgprs: 0
; ScratchSize: 0
; MemoryBound: 0
; FloatMode: 240
; IeeeMode: 1
; LDSByteSize: 0 bytes/workgroup (compile time only)
; SGPRBlocks: 0
; VGPRBlocks: 0
; NumSGPRsForWavesPerEU: 6
; NumVGPRsForWavesPerEU: 1
; AccumOffset: 4
; Occupancy: 8
; WaveLimiterHint : 0
; COMPUTE_PGM_RSRC2:SCRATCH_EN: 0
; COMPUTE_PGM_RSRC2:USER_SGPR: 2
; COMPUTE_PGM_RSRC2:TRAP_HANDLER: 0
; COMPUTE_PGM_RSRC2:TGID_X_EN: 1
; COMPUTE_PGM_RSRC2:TGID_Y_EN: 0
; COMPUTE_PGM_RSRC2:TGID_Z_EN: 0
; COMPUTE_PGM_RSRC2:TIDIG_COMP_CNT: 0
; COMPUTE_PGM_RSRC3_GFX90A:ACCUM_OFFSET: 0
; COMPUTE_PGM_RSRC3_GFX90A:TG_SPLIT: 0
	.section	.text._ZN7rocprim17ROCPRIM_400000_NS6detail17trampoline_kernelINS0_14default_configENS1_35radix_sort_onesweep_config_selectorIttEEZZNS1_29radix_sort_onesweep_iterationIS3_Lb0EN6thrust23THRUST_200600_302600_NS6detail15normal_iteratorINS8_10device_ptrItEEEESD_SD_SD_jNS0_19identity_decomposerENS1_16block_id_wrapperIjLb0EEEEE10hipError_tT1_PNSt15iterator_traitsISI_E10value_typeET2_T3_PNSJ_ISO_E10value_typeET4_T5_PST_SU_PNS1_23onesweep_lookback_stateEbbT6_jjT7_P12ihipStream_tbENKUlT_T0_SI_SN_E_clISD_PtSD_S15_EEDaS11_S12_SI_SN_EUlS11_E_NS1_11comp_targetILNS1_3genE0ELNS1_11target_archE4294967295ELNS1_3gpuE0ELNS1_3repE0EEENS1_47radix_sort_onesweep_sort_config_static_selectorELNS0_4arch9wavefront6targetE1EEEvSI_,"axG",@progbits,_ZN7rocprim17ROCPRIM_400000_NS6detail17trampoline_kernelINS0_14default_configENS1_35radix_sort_onesweep_config_selectorIttEEZZNS1_29radix_sort_onesweep_iterationIS3_Lb0EN6thrust23THRUST_200600_302600_NS6detail15normal_iteratorINS8_10device_ptrItEEEESD_SD_SD_jNS0_19identity_decomposerENS1_16block_id_wrapperIjLb0EEEEE10hipError_tT1_PNSt15iterator_traitsISI_E10value_typeET2_T3_PNSJ_ISO_E10value_typeET4_T5_PST_SU_PNS1_23onesweep_lookback_stateEbbT6_jjT7_P12ihipStream_tbENKUlT_T0_SI_SN_E_clISD_PtSD_S15_EEDaS11_S12_SI_SN_EUlS11_E_NS1_11comp_targetILNS1_3genE0ELNS1_11target_archE4294967295ELNS1_3gpuE0ELNS1_3repE0EEENS1_47radix_sort_onesweep_sort_config_static_selectorELNS0_4arch9wavefront6targetE1EEEvSI_,comdat
	.protected	_ZN7rocprim17ROCPRIM_400000_NS6detail17trampoline_kernelINS0_14default_configENS1_35radix_sort_onesweep_config_selectorIttEEZZNS1_29radix_sort_onesweep_iterationIS3_Lb0EN6thrust23THRUST_200600_302600_NS6detail15normal_iteratorINS8_10device_ptrItEEEESD_SD_SD_jNS0_19identity_decomposerENS1_16block_id_wrapperIjLb0EEEEE10hipError_tT1_PNSt15iterator_traitsISI_E10value_typeET2_T3_PNSJ_ISO_E10value_typeET4_T5_PST_SU_PNS1_23onesweep_lookback_stateEbbT6_jjT7_P12ihipStream_tbENKUlT_T0_SI_SN_E_clISD_PtSD_S15_EEDaS11_S12_SI_SN_EUlS11_E_NS1_11comp_targetILNS1_3genE0ELNS1_11target_archE4294967295ELNS1_3gpuE0ELNS1_3repE0EEENS1_47radix_sort_onesweep_sort_config_static_selectorELNS0_4arch9wavefront6targetE1EEEvSI_ ; -- Begin function _ZN7rocprim17ROCPRIM_400000_NS6detail17trampoline_kernelINS0_14default_configENS1_35radix_sort_onesweep_config_selectorIttEEZZNS1_29radix_sort_onesweep_iterationIS3_Lb0EN6thrust23THRUST_200600_302600_NS6detail15normal_iteratorINS8_10device_ptrItEEEESD_SD_SD_jNS0_19identity_decomposerENS1_16block_id_wrapperIjLb0EEEEE10hipError_tT1_PNSt15iterator_traitsISI_E10value_typeET2_T3_PNSJ_ISO_E10value_typeET4_T5_PST_SU_PNS1_23onesweep_lookback_stateEbbT6_jjT7_P12ihipStream_tbENKUlT_T0_SI_SN_E_clISD_PtSD_S15_EEDaS11_S12_SI_SN_EUlS11_E_NS1_11comp_targetILNS1_3genE0ELNS1_11target_archE4294967295ELNS1_3gpuE0ELNS1_3repE0EEENS1_47radix_sort_onesweep_sort_config_static_selectorELNS0_4arch9wavefront6targetE1EEEvSI_
	.globl	_ZN7rocprim17ROCPRIM_400000_NS6detail17trampoline_kernelINS0_14default_configENS1_35radix_sort_onesweep_config_selectorIttEEZZNS1_29radix_sort_onesweep_iterationIS3_Lb0EN6thrust23THRUST_200600_302600_NS6detail15normal_iteratorINS8_10device_ptrItEEEESD_SD_SD_jNS0_19identity_decomposerENS1_16block_id_wrapperIjLb0EEEEE10hipError_tT1_PNSt15iterator_traitsISI_E10value_typeET2_T3_PNSJ_ISO_E10value_typeET4_T5_PST_SU_PNS1_23onesweep_lookback_stateEbbT6_jjT7_P12ihipStream_tbENKUlT_T0_SI_SN_E_clISD_PtSD_S15_EEDaS11_S12_SI_SN_EUlS11_E_NS1_11comp_targetILNS1_3genE0ELNS1_11target_archE4294967295ELNS1_3gpuE0ELNS1_3repE0EEENS1_47radix_sort_onesweep_sort_config_static_selectorELNS0_4arch9wavefront6targetE1EEEvSI_
	.p2align	8
	.type	_ZN7rocprim17ROCPRIM_400000_NS6detail17trampoline_kernelINS0_14default_configENS1_35radix_sort_onesweep_config_selectorIttEEZZNS1_29radix_sort_onesweep_iterationIS3_Lb0EN6thrust23THRUST_200600_302600_NS6detail15normal_iteratorINS8_10device_ptrItEEEESD_SD_SD_jNS0_19identity_decomposerENS1_16block_id_wrapperIjLb0EEEEE10hipError_tT1_PNSt15iterator_traitsISI_E10value_typeET2_T3_PNSJ_ISO_E10value_typeET4_T5_PST_SU_PNS1_23onesweep_lookback_stateEbbT6_jjT7_P12ihipStream_tbENKUlT_T0_SI_SN_E_clISD_PtSD_S15_EEDaS11_S12_SI_SN_EUlS11_E_NS1_11comp_targetILNS1_3genE0ELNS1_11target_archE4294967295ELNS1_3gpuE0ELNS1_3repE0EEENS1_47radix_sort_onesweep_sort_config_static_selectorELNS0_4arch9wavefront6targetE1EEEvSI_,@function
_ZN7rocprim17ROCPRIM_400000_NS6detail17trampoline_kernelINS0_14default_configENS1_35radix_sort_onesweep_config_selectorIttEEZZNS1_29radix_sort_onesweep_iterationIS3_Lb0EN6thrust23THRUST_200600_302600_NS6detail15normal_iteratorINS8_10device_ptrItEEEESD_SD_SD_jNS0_19identity_decomposerENS1_16block_id_wrapperIjLb0EEEEE10hipError_tT1_PNSt15iterator_traitsISI_E10value_typeET2_T3_PNSJ_ISO_E10value_typeET4_T5_PST_SU_PNS1_23onesweep_lookback_stateEbbT6_jjT7_P12ihipStream_tbENKUlT_T0_SI_SN_E_clISD_PtSD_S15_EEDaS11_S12_SI_SN_EUlS11_E_NS1_11comp_targetILNS1_3genE0ELNS1_11target_archE4294967295ELNS1_3gpuE0ELNS1_3repE0EEENS1_47radix_sort_onesweep_sort_config_static_selectorELNS0_4arch9wavefront6targetE1EEEvSI_: ; @_ZN7rocprim17ROCPRIM_400000_NS6detail17trampoline_kernelINS0_14default_configENS1_35radix_sort_onesweep_config_selectorIttEEZZNS1_29radix_sort_onesweep_iterationIS3_Lb0EN6thrust23THRUST_200600_302600_NS6detail15normal_iteratorINS8_10device_ptrItEEEESD_SD_SD_jNS0_19identity_decomposerENS1_16block_id_wrapperIjLb0EEEEE10hipError_tT1_PNSt15iterator_traitsISI_E10value_typeET2_T3_PNSJ_ISO_E10value_typeET4_T5_PST_SU_PNS1_23onesweep_lookback_stateEbbT6_jjT7_P12ihipStream_tbENKUlT_T0_SI_SN_E_clISD_PtSD_S15_EEDaS11_S12_SI_SN_EUlS11_E_NS1_11comp_targetILNS1_3genE0ELNS1_11target_archE4294967295ELNS1_3gpuE0ELNS1_3repE0EEENS1_47radix_sort_onesweep_sort_config_static_selectorELNS0_4arch9wavefront6targetE1EEEvSI_
; %bb.0:
	.section	.rodata,"a",@progbits
	.p2align	6, 0x0
	.amdhsa_kernel _ZN7rocprim17ROCPRIM_400000_NS6detail17trampoline_kernelINS0_14default_configENS1_35radix_sort_onesweep_config_selectorIttEEZZNS1_29radix_sort_onesweep_iterationIS3_Lb0EN6thrust23THRUST_200600_302600_NS6detail15normal_iteratorINS8_10device_ptrItEEEESD_SD_SD_jNS0_19identity_decomposerENS1_16block_id_wrapperIjLb0EEEEE10hipError_tT1_PNSt15iterator_traitsISI_E10value_typeET2_T3_PNSJ_ISO_E10value_typeET4_T5_PST_SU_PNS1_23onesweep_lookback_stateEbbT6_jjT7_P12ihipStream_tbENKUlT_T0_SI_SN_E_clISD_PtSD_S15_EEDaS11_S12_SI_SN_EUlS11_E_NS1_11comp_targetILNS1_3genE0ELNS1_11target_archE4294967295ELNS1_3gpuE0ELNS1_3repE0EEENS1_47radix_sort_onesweep_sort_config_static_selectorELNS0_4arch9wavefront6targetE1EEEvSI_
		.amdhsa_group_segment_fixed_size 0
		.amdhsa_private_segment_fixed_size 0
		.amdhsa_kernarg_size 88
		.amdhsa_user_sgpr_count 2
		.amdhsa_user_sgpr_dispatch_ptr 0
		.amdhsa_user_sgpr_queue_ptr 0
		.amdhsa_user_sgpr_kernarg_segment_ptr 1
		.amdhsa_user_sgpr_dispatch_id 0
		.amdhsa_user_sgpr_kernarg_preload_length 0
		.amdhsa_user_sgpr_kernarg_preload_offset 0
		.amdhsa_user_sgpr_private_segment_size 0
		.amdhsa_uses_dynamic_stack 0
		.amdhsa_enable_private_segment 0
		.amdhsa_system_sgpr_workgroup_id_x 1
		.amdhsa_system_sgpr_workgroup_id_y 0
		.amdhsa_system_sgpr_workgroup_id_z 0
		.amdhsa_system_sgpr_workgroup_info 0
		.amdhsa_system_vgpr_workitem_id 0
		.amdhsa_next_free_vgpr 1
		.amdhsa_next_free_sgpr 0
		.amdhsa_accum_offset 4
		.amdhsa_reserve_vcc 0
		.amdhsa_float_round_mode_32 0
		.amdhsa_float_round_mode_16_64 0
		.amdhsa_float_denorm_mode_32 3
		.amdhsa_float_denorm_mode_16_64 3
		.amdhsa_dx10_clamp 1
		.amdhsa_ieee_mode 1
		.amdhsa_fp16_overflow 0
		.amdhsa_tg_split 0
		.amdhsa_exception_fp_ieee_invalid_op 0
		.amdhsa_exception_fp_denorm_src 0
		.amdhsa_exception_fp_ieee_div_zero 0
		.amdhsa_exception_fp_ieee_overflow 0
		.amdhsa_exception_fp_ieee_underflow 0
		.amdhsa_exception_fp_ieee_inexact 0
		.amdhsa_exception_int_div_zero 0
	.end_amdhsa_kernel
	.section	.text._ZN7rocprim17ROCPRIM_400000_NS6detail17trampoline_kernelINS0_14default_configENS1_35radix_sort_onesweep_config_selectorIttEEZZNS1_29radix_sort_onesweep_iterationIS3_Lb0EN6thrust23THRUST_200600_302600_NS6detail15normal_iteratorINS8_10device_ptrItEEEESD_SD_SD_jNS0_19identity_decomposerENS1_16block_id_wrapperIjLb0EEEEE10hipError_tT1_PNSt15iterator_traitsISI_E10value_typeET2_T3_PNSJ_ISO_E10value_typeET4_T5_PST_SU_PNS1_23onesweep_lookback_stateEbbT6_jjT7_P12ihipStream_tbENKUlT_T0_SI_SN_E_clISD_PtSD_S15_EEDaS11_S12_SI_SN_EUlS11_E_NS1_11comp_targetILNS1_3genE0ELNS1_11target_archE4294967295ELNS1_3gpuE0ELNS1_3repE0EEENS1_47radix_sort_onesweep_sort_config_static_selectorELNS0_4arch9wavefront6targetE1EEEvSI_,"axG",@progbits,_ZN7rocprim17ROCPRIM_400000_NS6detail17trampoline_kernelINS0_14default_configENS1_35radix_sort_onesweep_config_selectorIttEEZZNS1_29radix_sort_onesweep_iterationIS3_Lb0EN6thrust23THRUST_200600_302600_NS6detail15normal_iteratorINS8_10device_ptrItEEEESD_SD_SD_jNS0_19identity_decomposerENS1_16block_id_wrapperIjLb0EEEEE10hipError_tT1_PNSt15iterator_traitsISI_E10value_typeET2_T3_PNSJ_ISO_E10value_typeET4_T5_PST_SU_PNS1_23onesweep_lookback_stateEbbT6_jjT7_P12ihipStream_tbENKUlT_T0_SI_SN_E_clISD_PtSD_S15_EEDaS11_S12_SI_SN_EUlS11_E_NS1_11comp_targetILNS1_3genE0ELNS1_11target_archE4294967295ELNS1_3gpuE0ELNS1_3repE0EEENS1_47radix_sort_onesweep_sort_config_static_selectorELNS0_4arch9wavefront6targetE1EEEvSI_,comdat
.Lfunc_end1010:
	.size	_ZN7rocprim17ROCPRIM_400000_NS6detail17trampoline_kernelINS0_14default_configENS1_35radix_sort_onesweep_config_selectorIttEEZZNS1_29radix_sort_onesweep_iterationIS3_Lb0EN6thrust23THRUST_200600_302600_NS6detail15normal_iteratorINS8_10device_ptrItEEEESD_SD_SD_jNS0_19identity_decomposerENS1_16block_id_wrapperIjLb0EEEEE10hipError_tT1_PNSt15iterator_traitsISI_E10value_typeET2_T3_PNSJ_ISO_E10value_typeET4_T5_PST_SU_PNS1_23onesweep_lookback_stateEbbT6_jjT7_P12ihipStream_tbENKUlT_T0_SI_SN_E_clISD_PtSD_S15_EEDaS11_S12_SI_SN_EUlS11_E_NS1_11comp_targetILNS1_3genE0ELNS1_11target_archE4294967295ELNS1_3gpuE0ELNS1_3repE0EEENS1_47radix_sort_onesweep_sort_config_static_selectorELNS0_4arch9wavefront6targetE1EEEvSI_, .Lfunc_end1010-_ZN7rocprim17ROCPRIM_400000_NS6detail17trampoline_kernelINS0_14default_configENS1_35radix_sort_onesweep_config_selectorIttEEZZNS1_29radix_sort_onesweep_iterationIS3_Lb0EN6thrust23THRUST_200600_302600_NS6detail15normal_iteratorINS8_10device_ptrItEEEESD_SD_SD_jNS0_19identity_decomposerENS1_16block_id_wrapperIjLb0EEEEE10hipError_tT1_PNSt15iterator_traitsISI_E10value_typeET2_T3_PNSJ_ISO_E10value_typeET4_T5_PST_SU_PNS1_23onesweep_lookback_stateEbbT6_jjT7_P12ihipStream_tbENKUlT_T0_SI_SN_E_clISD_PtSD_S15_EEDaS11_S12_SI_SN_EUlS11_E_NS1_11comp_targetILNS1_3genE0ELNS1_11target_archE4294967295ELNS1_3gpuE0ELNS1_3repE0EEENS1_47radix_sort_onesweep_sort_config_static_selectorELNS0_4arch9wavefront6targetE1EEEvSI_
                                        ; -- End function
	.set _ZN7rocprim17ROCPRIM_400000_NS6detail17trampoline_kernelINS0_14default_configENS1_35radix_sort_onesweep_config_selectorIttEEZZNS1_29radix_sort_onesweep_iterationIS3_Lb0EN6thrust23THRUST_200600_302600_NS6detail15normal_iteratorINS8_10device_ptrItEEEESD_SD_SD_jNS0_19identity_decomposerENS1_16block_id_wrapperIjLb0EEEEE10hipError_tT1_PNSt15iterator_traitsISI_E10value_typeET2_T3_PNSJ_ISO_E10value_typeET4_T5_PST_SU_PNS1_23onesweep_lookback_stateEbbT6_jjT7_P12ihipStream_tbENKUlT_T0_SI_SN_E_clISD_PtSD_S15_EEDaS11_S12_SI_SN_EUlS11_E_NS1_11comp_targetILNS1_3genE0ELNS1_11target_archE4294967295ELNS1_3gpuE0ELNS1_3repE0EEENS1_47radix_sort_onesweep_sort_config_static_selectorELNS0_4arch9wavefront6targetE1EEEvSI_.num_vgpr, 0
	.set _ZN7rocprim17ROCPRIM_400000_NS6detail17trampoline_kernelINS0_14default_configENS1_35radix_sort_onesweep_config_selectorIttEEZZNS1_29radix_sort_onesweep_iterationIS3_Lb0EN6thrust23THRUST_200600_302600_NS6detail15normal_iteratorINS8_10device_ptrItEEEESD_SD_SD_jNS0_19identity_decomposerENS1_16block_id_wrapperIjLb0EEEEE10hipError_tT1_PNSt15iterator_traitsISI_E10value_typeET2_T3_PNSJ_ISO_E10value_typeET4_T5_PST_SU_PNS1_23onesweep_lookback_stateEbbT6_jjT7_P12ihipStream_tbENKUlT_T0_SI_SN_E_clISD_PtSD_S15_EEDaS11_S12_SI_SN_EUlS11_E_NS1_11comp_targetILNS1_3genE0ELNS1_11target_archE4294967295ELNS1_3gpuE0ELNS1_3repE0EEENS1_47radix_sort_onesweep_sort_config_static_selectorELNS0_4arch9wavefront6targetE1EEEvSI_.num_agpr, 0
	.set _ZN7rocprim17ROCPRIM_400000_NS6detail17trampoline_kernelINS0_14default_configENS1_35radix_sort_onesweep_config_selectorIttEEZZNS1_29radix_sort_onesweep_iterationIS3_Lb0EN6thrust23THRUST_200600_302600_NS6detail15normal_iteratorINS8_10device_ptrItEEEESD_SD_SD_jNS0_19identity_decomposerENS1_16block_id_wrapperIjLb0EEEEE10hipError_tT1_PNSt15iterator_traitsISI_E10value_typeET2_T3_PNSJ_ISO_E10value_typeET4_T5_PST_SU_PNS1_23onesweep_lookback_stateEbbT6_jjT7_P12ihipStream_tbENKUlT_T0_SI_SN_E_clISD_PtSD_S15_EEDaS11_S12_SI_SN_EUlS11_E_NS1_11comp_targetILNS1_3genE0ELNS1_11target_archE4294967295ELNS1_3gpuE0ELNS1_3repE0EEENS1_47radix_sort_onesweep_sort_config_static_selectorELNS0_4arch9wavefront6targetE1EEEvSI_.numbered_sgpr, 0
	.set _ZN7rocprim17ROCPRIM_400000_NS6detail17trampoline_kernelINS0_14default_configENS1_35radix_sort_onesweep_config_selectorIttEEZZNS1_29radix_sort_onesweep_iterationIS3_Lb0EN6thrust23THRUST_200600_302600_NS6detail15normal_iteratorINS8_10device_ptrItEEEESD_SD_SD_jNS0_19identity_decomposerENS1_16block_id_wrapperIjLb0EEEEE10hipError_tT1_PNSt15iterator_traitsISI_E10value_typeET2_T3_PNSJ_ISO_E10value_typeET4_T5_PST_SU_PNS1_23onesweep_lookback_stateEbbT6_jjT7_P12ihipStream_tbENKUlT_T0_SI_SN_E_clISD_PtSD_S15_EEDaS11_S12_SI_SN_EUlS11_E_NS1_11comp_targetILNS1_3genE0ELNS1_11target_archE4294967295ELNS1_3gpuE0ELNS1_3repE0EEENS1_47radix_sort_onesweep_sort_config_static_selectorELNS0_4arch9wavefront6targetE1EEEvSI_.num_named_barrier, 0
	.set _ZN7rocprim17ROCPRIM_400000_NS6detail17trampoline_kernelINS0_14default_configENS1_35radix_sort_onesweep_config_selectorIttEEZZNS1_29radix_sort_onesweep_iterationIS3_Lb0EN6thrust23THRUST_200600_302600_NS6detail15normal_iteratorINS8_10device_ptrItEEEESD_SD_SD_jNS0_19identity_decomposerENS1_16block_id_wrapperIjLb0EEEEE10hipError_tT1_PNSt15iterator_traitsISI_E10value_typeET2_T3_PNSJ_ISO_E10value_typeET4_T5_PST_SU_PNS1_23onesweep_lookback_stateEbbT6_jjT7_P12ihipStream_tbENKUlT_T0_SI_SN_E_clISD_PtSD_S15_EEDaS11_S12_SI_SN_EUlS11_E_NS1_11comp_targetILNS1_3genE0ELNS1_11target_archE4294967295ELNS1_3gpuE0ELNS1_3repE0EEENS1_47radix_sort_onesweep_sort_config_static_selectorELNS0_4arch9wavefront6targetE1EEEvSI_.private_seg_size, 0
	.set _ZN7rocprim17ROCPRIM_400000_NS6detail17trampoline_kernelINS0_14default_configENS1_35radix_sort_onesweep_config_selectorIttEEZZNS1_29radix_sort_onesweep_iterationIS3_Lb0EN6thrust23THRUST_200600_302600_NS6detail15normal_iteratorINS8_10device_ptrItEEEESD_SD_SD_jNS0_19identity_decomposerENS1_16block_id_wrapperIjLb0EEEEE10hipError_tT1_PNSt15iterator_traitsISI_E10value_typeET2_T3_PNSJ_ISO_E10value_typeET4_T5_PST_SU_PNS1_23onesweep_lookback_stateEbbT6_jjT7_P12ihipStream_tbENKUlT_T0_SI_SN_E_clISD_PtSD_S15_EEDaS11_S12_SI_SN_EUlS11_E_NS1_11comp_targetILNS1_3genE0ELNS1_11target_archE4294967295ELNS1_3gpuE0ELNS1_3repE0EEENS1_47radix_sort_onesweep_sort_config_static_selectorELNS0_4arch9wavefront6targetE1EEEvSI_.uses_vcc, 0
	.set _ZN7rocprim17ROCPRIM_400000_NS6detail17trampoline_kernelINS0_14default_configENS1_35radix_sort_onesweep_config_selectorIttEEZZNS1_29radix_sort_onesweep_iterationIS3_Lb0EN6thrust23THRUST_200600_302600_NS6detail15normal_iteratorINS8_10device_ptrItEEEESD_SD_SD_jNS0_19identity_decomposerENS1_16block_id_wrapperIjLb0EEEEE10hipError_tT1_PNSt15iterator_traitsISI_E10value_typeET2_T3_PNSJ_ISO_E10value_typeET4_T5_PST_SU_PNS1_23onesweep_lookback_stateEbbT6_jjT7_P12ihipStream_tbENKUlT_T0_SI_SN_E_clISD_PtSD_S15_EEDaS11_S12_SI_SN_EUlS11_E_NS1_11comp_targetILNS1_3genE0ELNS1_11target_archE4294967295ELNS1_3gpuE0ELNS1_3repE0EEENS1_47radix_sort_onesweep_sort_config_static_selectorELNS0_4arch9wavefront6targetE1EEEvSI_.uses_flat_scratch, 0
	.set _ZN7rocprim17ROCPRIM_400000_NS6detail17trampoline_kernelINS0_14default_configENS1_35radix_sort_onesweep_config_selectorIttEEZZNS1_29radix_sort_onesweep_iterationIS3_Lb0EN6thrust23THRUST_200600_302600_NS6detail15normal_iteratorINS8_10device_ptrItEEEESD_SD_SD_jNS0_19identity_decomposerENS1_16block_id_wrapperIjLb0EEEEE10hipError_tT1_PNSt15iterator_traitsISI_E10value_typeET2_T3_PNSJ_ISO_E10value_typeET4_T5_PST_SU_PNS1_23onesweep_lookback_stateEbbT6_jjT7_P12ihipStream_tbENKUlT_T0_SI_SN_E_clISD_PtSD_S15_EEDaS11_S12_SI_SN_EUlS11_E_NS1_11comp_targetILNS1_3genE0ELNS1_11target_archE4294967295ELNS1_3gpuE0ELNS1_3repE0EEENS1_47radix_sort_onesweep_sort_config_static_selectorELNS0_4arch9wavefront6targetE1EEEvSI_.has_dyn_sized_stack, 0
	.set _ZN7rocprim17ROCPRIM_400000_NS6detail17trampoline_kernelINS0_14default_configENS1_35radix_sort_onesweep_config_selectorIttEEZZNS1_29radix_sort_onesweep_iterationIS3_Lb0EN6thrust23THRUST_200600_302600_NS6detail15normal_iteratorINS8_10device_ptrItEEEESD_SD_SD_jNS0_19identity_decomposerENS1_16block_id_wrapperIjLb0EEEEE10hipError_tT1_PNSt15iterator_traitsISI_E10value_typeET2_T3_PNSJ_ISO_E10value_typeET4_T5_PST_SU_PNS1_23onesweep_lookback_stateEbbT6_jjT7_P12ihipStream_tbENKUlT_T0_SI_SN_E_clISD_PtSD_S15_EEDaS11_S12_SI_SN_EUlS11_E_NS1_11comp_targetILNS1_3genE0ELNS1_11target_archE4294967295ELNS1_3gpuE0ELNS1_3repE0EEENS1_47radix_sort_onesweep_sort_config_static_selectorELNS0_4arch9wavefront6targetE1EEEvSI_.has_recursion, 0
	.set _ZN7rocprim17ROCPRIM_400000_NS6detail17trampoline_kernelINS0_14default_configENS1_35radix_sort_onesweep_config_selectorIttEEZZNS1_29radix_sort_onesweep_iterationIS3_Lb0EN6thrust23THRUST_200600_302600_NS6detail15normal_iteratorINS8_10device_ptrItEEEESD_SD_SD_jNS0_19identity_decomposerENS1_16block_id_wrapperIjLb0EEEEE10hipError_tT1_PNSt15iterator_traitsISI_E10value_typeET2_T3_PNSJ_ISO_E10value_typeET4_T5_PST_SU_PNS1_23onesweep_lookback_stateEbbT6_jjT7_P12ihipStream_tbENKUlT_T0_SI_SN_E_clISD_PtSD_S15_EEDaS11_S12_SI_SN_EUlS11_E_NS1_11comp_targetILNS1_3genE0ELNS1_11target_archE4294967295ELNS1_3gpuE0ELNS1_3repE0EEENS1_47radix_sort_onesweep_sort_config_static_selectorELNS0_4arch9wavefront6targetE1EEEvSI_.has_indirect_call, 0
	.section	.AMDGPU.csdata,"",@progbits
; Kernel info:
; codeLenInByte = 0
; TotalNumSgprs: 6
; NumVgprs: 0
; NumAgprs: 0
; TotalNumVgprs: 0
; ScratchSize: 0
; MemoryBound: 0
; FloatMode: 240
; IeeeMode: 1
; LDSByteSize: 0 bytes/workgroup (compile time only)
; SGPRBlocks: 0
; VGPRBlocks: 0
; NumSGPRsForWavesPerEU: 6
; NumVGPRsForWavesPerEU: 1
; AccumOffset: 4
; Occupancy: 8
; WaveLimiterHint : 0
; COMPUTE_PGM_RSRC2:SCRATCH_EN: 0
; COMPUTE_PGM_RSRC2:USER_SGPR: 2
; COMPUTE_PGM_RSRC2:TRAP_HANDLER: 0
; COMPUTE_PGM_RSRC2:TGID_X_EN: 1
; COMPUTE_PGM_RSRC2:TGID_Y_EN: 0
; COMPUTE_PGM_RSRC2:TGID_Z_EN: 0
; COMPUTE_PGM_RSRC2:TIDIG_COMP_CNT: 0
; COMPUTE_PGM_RSRC3_GFX90A:ACCUM_OFFSET: 0
; COMPUTE_PGM_RSRC3_GFX90A:TG_SPLIT: 0
	.section	.text._ZN7rocprim17ROCPRIM_400000_NS6detail17trampoline_kernelINS0_14default_configENS1_35radix_sort_onesweep_config_selectorIttEEZZNS1_29radix_sort_onesweep_iterationIS3_Lb0EN6thrust23THRUST_200600_302600_NS6detail15normal_iteratorINS8_10device_ptrItEEEESD_SD_SD_jNS0_19identity_decomposerENS1_16block_id_wrapperIjLb0EEEEE10hipError_tT1_PNSt15iterator_traitsISI_E10value_typeET2_T3_PNSJ_ISO_E10value_typeET4_T5_PST_SU_PNS1_23onesweep_lookback_stateEbbT6_jjT7_P12ihipStream_tbENKUlT_T0_SI_SN_E_clISD_PtSD_S15_EEDaS11_S12_SI_SN_EUlS11_E_NS1_11comp_targetILNS1_3genE6ELNS1_11target_archE950ELNS1_3gpuE13ELNS1_3repE0EEENS1_47radix_sort_onesweep_sort_config_static_selectorELNS0_4arch9wavefront6targetE1EEEvSI_,"axG",@progbits,_ZN7rocprim17ROCPRIM_400000_NS6detail17trampoline_kernelINS0_14default_configENS1_35radix_sort_onesweep_config_selectorIttEEZZNS1_29radix_sort_onesweep_iterationIS3_Lb0EN6thrust23THRUST_200600_302600_NS6detail15normal_iteratorINS8_10device_ptrItEEEESD_SD_SD_jNS0_19identity_decomposerENS1_16block_id_wrapperIjLb0EEEEE10hipError_tT1_PNSt15iterator_traitsISI_E10value_typeET2_T3_PNSJ_ISO_E10value_typeET4_T5_PST_SU_PNS1_23onesweep_lookback_stateEbbT6_jjT7_P12ihipStream_tbENKUlT_T0_SI_SN_E_clISD_PtSD_S15_EEDaS11_S12_SI_SN_EUlS11_E_NS1_11comp_targetILNS1_3genE6ELNS1_11target_archE950ELNS1_3gpuE13ELNS1_3repE0EEENS1_47radix_sort_onesweep_sort_config_static_selectorELNS0_4arch9wavefront6targetE1EEEvSI_,comdat
	.protected	_ZN7rocprim17ROCPRIM_400000_NS6detail17trampoline_kernelINS0_14default_configENS1_35radix_sort_onesweep_config_selectorIttEEZZNS1_29radix_sort_onesweep_iterationIS3_Lb0EN6thrust23THRUST_200600_302600_NS6detail15normal_iteratorINS8_10device_ptrItEEEESD_SD_SD_jNS0_19identity_decomposerENS1_16block_id_wrapperIjLb0EEEEE10hipError_tT1_PNSt15iterator_traitsISI_E10value_typeET2_T3_PNSJ_ISO_E10value_typeET4_T5_PST_SU_PNS1_23onesweep_lookback_stateEbbT6_jjT7_P12ihipStream_tbENKUlT_T0_SI_SN_E_clISD_PtSD_S15_EEDaS11_S12_SI_SN_EUlS11_E_NS1_11comp_targetILNS1_3genE6ELNS1_11target_archE950ELNS1_3gpuE13ELNS1_3repE0EEENS1_47radix_sort_onesweep_sort_config_static_selectorELNS0_4arch9wavefront6targetE1EEEvSI_ ; -- Begin function _ZN7rocprim17ROCPRIM_400000_NS6detail17trampoline_kernelINS0_14default_configENS1_35radix_sort_onesweep_config_selectorIttEEZZNS1_29radix_sort_onesweep_iterationIS3_Lb0EN6thrust23THRUST_200600_302600_NS6detail15normal_iteratorINS8_10device_ptrItEEEESD_SD_SD_jNS0_19identity_decomposerENS1_16block_id_wrapperIjLb0EEEEE10hipError_tT1_PNSt15iterator_traitsISI_E10value_typeET2_T3_PNSJ_ISO_E10value_typeET4_T5_PST_SU_PNS1_23onesweep_lookback_stateEbbT6_jjT7_P12ihipStream_tbENKUlT_T0_SI_SN_E_clISD_PtSD_S15_EEDaS11_S12_SI_SN_EUlS11_E_NS1_11comp_targetILNS1_3genE6ELNS1_11target_archE950ELNS1_3gpuE13ELNS1_3repE0EEENS1_47radix_sort_onesweep_sort_config_static_selectorELNS0_4arch9wavefront6targetE1EEEvSI_
	.globl	_ZN7rocprim17ROCPRIM_400000_NS6detail17trampoline_kernelINS0_14default_configENS1_35radix_sort_onesweep_config_selectorIttEEZZNS1_29radix_sort_onesweep_iterationIS3_Lb0EN6thrust23THRUST_200600_302600_NS6detail15normal_iteratorINS8_10device_ptrItEEEESD_SD_SD_jNS0_19identity_decomposerENS1_16block_id_wrapperIjLb0EEEEE10hipError_tT1_PNSt15iterator_traitsISI_E10value_typeET2_T3_PNSJ_ISO_E10value_typeET4_T5_PST_SU_PNS1_23onesweep_lookback_stateEbbT6_jjT7_P12ihipStream_tbENKUlT_T0_SI_SN_E_clISD_PtSD_S15_EEDaS11_S12_SI_SN_EUlS11_E_NS1_11comp_targetILNS1_3genE6ELNS1_11target_archE950ELNS1_3gpuE13ELNS1_3repE0EEENS1_47radix_sort_onesweep_sort_config_static_selectorELNS0_4arch9wavefront6targetE1EEEvSI_
	.p2align	8
	.type	_ZN7rocprim17ROCPRIM_400000_NS6detail17trampoline_kernelINS0_14default_configENS1_35radix_sort_onesweep_config_selectorIttEEZZNS1_29radix_sort_onesweep_iterationIS3_Lb0EN6thrust23THRUST_200600_302600_NS6detail15normal_iteratorINS8_10device_ptrItEEEESD_SD_SD_jNS0_19identity_decomposerENS1_16block_id_wrapperIjLb0EEEEE10hipError_tT1_PNSt15iterator_traitsISI_E10value_typeET2_T3_PNSJ_ISO_E10value_typeET4_T5_PST_SU_PNS1_23onesweep_lookback_stateEbbT6_jjT7_P12ihipStream_tbENKUlT_T0_SI_SN_E_clISD_PtSD_S15_EEDaS11_S12_SI_SN_EUlS11_E_NS1_11comp_targetILNS1_3genE6ELNS1_11target_archE950ELNS1_3gpuE13ELNS1_3repE0EEENS1_47radix_sort_onesweep_sort_config_static_selectorELNS0_4arch9wavefront6targetE1EEEvSI_,@function
_ZN7rocprim17ROCPRIM_400000_NS6detail17trampoline_kernelINS0_14default_configENS1_35radix_sort_onesweep_config_selectorIttEEZZNS1_29radix_sort_onesweep_iterationIS3_Lb0EN6thrust23THRUST_200600_302600_NS6detail15normal_iteratorINS8_10device_ptrItEEEESD_SD_SD_jNS0_19identity_decomposerENS1_16block_id_wrapperIjLb0EEEEE10hipError_tT1_PNSt15iterator_traitsISI_E10value_typeET2_T3_PNSJ_ISO_E10value_typeET4_T5_PST_SU_PNS1_23onesweep_lookback_stateEbbT6_jjT7_P12ihipStream_tbENKUlT_T0_SI_SN_E_clISD_PtSD_S15_EEDaS11_S12_SI_SN_EUlS11_E_NS1_11comp_targetILNS1_3genE6ELNS1_11target_archE950ELNS1_3gpuE13ELNS1_3repE0EEENS1_47radix_sort_onesweep_sort_config_static_selectorELNS0_4arch9wavefront6targetE1EEEvSI_: ; @_ZN7rocprim17ROCPRIM_400000_NS6detail17trampoline_kernelINS0_14default_configENS1_35radix_sort_onesweep_config_selectorIttEEZZNS1_29radix_sort_onesweep_iterationIS3_Lb0EN6thrust23THRUST_200600_302600_NS6detail15normal_iteratorINS8_10device_ptrItEEEESD_SD_SD_jNS0_19identity_decomposerENS1_16block_id_wrapperIjLb0EEEEE10hipError_tT1_PNSt15iterator_traitsISI_E10value_typeET2_T3_PNSJ_ISO_E10value_typeET4_T5_PST_SU_PNS1_23onesweep_lookback_stateEbbT6_jjT7_P12ihipStream_tbENKUlT_T0_SI_SN_E_clISD_PtSD_S15_EEDaS11_S12_SI_SN_EUlS11_E_NS1_11comp_targetILNS1_3genE6ELNS1_11target_archE950ELNS1_3gpuE13ELNS1_3repE0EEENS1_47radix_sort_onesweep_sort_config_static_selectorELNS0_4arch9wavefront6targetE1EEEvSI_
; %bb.0:
	s_load_dwordx4 s[8:11], s[0:1], 0x44
	s_load_dwordx8 s[92:99], s[0:1], 0x0
	s_load_dwordx4 s[4:7], s[0:1], 0x28
                                        ; implicit-def: $vgpr118 : SGPR spill to VGPR lane
	s_load_dwordx2 s[12:13], s[0:1], 0x38
	v_mbcnt_lo_u32_b32 v1, -1, 0
	s_waitcnt lgkmcnt(0)
	s_cmp_ge_u32 s2, s10
	v_writelane_b32 v118, s4, 0
	s_nop 1
	v_writelane_b32 v118, s5, 1
	v_writelane_b32 v118, s6, 2
	;; [unrolled: 1-line block ×3, first 2 shown]
	s_mov_b64 s[4:5], -1
	s_mul_i32 s6, s2, 0x2c00
	s_cbranch_scc0 .LBB1011_288
; %bb.1:
	s_load_dword s3, s[0:1], 0x20
	s_mul_i32 s4, s10, 0xffffd400
	s_mov_b32 s7, 0
	v_mbcnt_hi_u32_b32 v15, -1, v1
	s_lshl_b64 s[10:11], s[6:7], 1
	s_waitcnt lgkmcnt(0)
	s_add_i32 s7, s3, s4
	s_add_u32 s4, s92, s10
	v_and_b32_e32 v10, 63, v15
	v_and_b32_e32 v18, 0x1c0, v0
	s_addc_u32 s5, s93, s11
	v_mul_u32_u24_e32 v11, 22, v18
	v_mov_b32_e32 v5, 0
	v_lshlrev_b32_e32 v4, 1, v10
	v_lshl_add_u64 v[2:3], s[4:5], 0, v[4:5]
	v_lshlrev_b32_e32 v6, 1, v11
	v_mov_b32_e32 v7, v5
	v_lshl_add_u64 v[8:9], v[2:3], 0, v[6:7]
	v_or_b32_e32 v11, v10, v11
	v_mov_b32_e32 v35, 0xffff
	v_mov_b32_e32 v3, -1
	v_mov_b32_e32 v5, -1
	v_mov_b32_e32 v10, 0xffff
	v_cmp_gt_u32_e64 s[14:15], s7, v11
	s_mov_b64 s[4:5], exec
	s_nop 0
	v_writelane_b32 v118, s14, 4
	s_nop 1
	v_writelane_b32 v118, s15, 5
	s_and_b64 s[14:15], s[4:5], s[14:15]
	s_mov_b64 exec, s[14:15]
	s_cbranch_execz .LBB1011_3
; %bb.2:
	global_load_ushort v5, v[8:9], off
	s_waitcnt vmcnt(0)
	v_and_b32_e32 v10, 0xffff, v5
.LBB1011_3:
	s_or_b64 exec, exec, s[4:5]
	v_or_b32_e32 v2, 64, v11
	v_cmp_gt_u32_e64 s[14:15], s7, v2
	s_mov_b64 s[4:5], exec
	s_nop 0
	v_writelane_b32 v118, s14, 6
	s_nop 1
	v_writelane_b32 v118, s15, 7
	s_and_b64 s[14:15], s[4:5], s[14:15]
	s_mov_b64 exec, s[14:15]
	s_cbranch_execz .LBB1011_5
; %bb.4:
	global_load_ushort v3, v[8:9], off offset:128
	s_waitcnt vmcnt(0)
	v_and_b32_e32 v35, 0xffff, v3
.LBB1011_5:
	s_or_b64 exec, exec, s[4:5]
	v_add_u32_e32 v2, 0x80, v11
	v_mov_b32_e32 v45, 0xffff
	v_mov_b32_e32 v7, -1
	v_mov_b32_e32 v12, -1
	v_mov_b32_e32 v39, 0xffff
	v_cmp_gt_u32_e64 s[14:15], s7, v2
	s_mov_b64 s[4:5], exec
	s_nop 0
	v_writelane_b32 v118, s14, 8
	s_nop 1
	v_writelane_b32 v118, s15, 9
	s_and_b64 s[14:15], s[4:5], s[14:15]
	s_mov_b64 exec, s[14:15]
	s_cbranch_execz .LBB1011_7
; %bb.6:
	global_load_ushort v12, v[8:9], off offset:256
	s_waitcnt vmcnt(0)
	v_and_b32_e32 v39, 0xffff, v12
.LBB1011_7:
	s_or_b64 exec, exec, s[4:5]
	v_add_u32_e32 v2, 0xc0, v11
	v_cmp_gt_u32_e64 s[14:15], s7, v2
	s_mov_b64 s[4:5], exec
	s_nop 0
	v_writelane_b32 v118, s14, 10
	s_nop 1
	v_writelane_b32 v118, s15, 11
	s_and_b64 s[14:15], s[4:5], s[14:15]
	s_mov_b64 exec, s[14:15]
	s_cbranch_execz .LBB1011_9
; %bb.8:
	global_load_ushort v7, v[8:9], off offset:384
	s_waitcnt vmcnt(0)
	v_and_b32_e32 v45, 0xffff, v7
.LBB1011_9:
	s_or_b64 exec, exec, s[4:5]
	v_add_u32_e32 v2, 0x100, v11
	v_mov_b32_e32 v53, 0xffff
	v_mov_b32_e32 v13, -1
	v_mov_b32_e32 v14, -1
	v_mov_b32_e32 v48, 0xffff
	v_cmp_gt_u32_e64 s[14:15], s7, v2
	s_mov_b64 s[4:5], exec
	s_nop 0
	v_writelane_b32 v118, s14, 12
	s_nop 1
	v_writelane_b32 v118, s15, 13
	s_and_b64 s[14:15], s[4:5], s[14:15]
	s_mov_b64 exec, s[14:15]
	s_cbranch_execz .LBB1011_11
; %bb.10:
	global_load_ushort v14, v[8:9], off offset:512
	s_waitcnt vmcnt(0)
	v_and_b32_e32 v48, 0xffff, v14
.LBB1011_11:
	s_or_b64 exec, exec, s[4:5]
	v_add_u32_e32 v2, 0x140, v11
	;; [unrolled: 36-line block ×3, first 2 shown]
	v_cmp_gt_u32_e32 vcc, s7, v2
	s_and_saveexec_b64 s[4:5], vcc
	s_cbranch_execz .LBB1011_17
; %bb.16:
	global_load_ushort v16, v[8:9], off offset:896
	s_waitcnt vmcnt(0)
	v_and_b32_e32 v61, 0xffff, v16
.LBB1011_17:
	s_or_b64 exec, exec, s[4:5]
	v_add_u32_e32 v2, 0x200, v11
	v_cmp_gt_u32_e64 s[16:17], s7, v2
	v_mov_b32_e32 v70, 0xffff
	v_mov_b32_e32 v19, -1
	v_mov_b32_e32 v20, -1
	v_mov_b32_e32 v66, 0xffff
	s_and_saveexec_b64 s[4:5], s[16:17]
	s_cbranch_execz .LBB1011_19
; %bb.18:
	global_load_ushort v20, v[8:9], off offset:1024
	s_waitcnt vmcnt(0)
	v_and_b32_e32 v66, 0xffff, v20
.LBB1011_19:
	s_or_b64 exec, exec, s[4:5]
	v_add_u32_e32 v2, 0x240, v11
	v_cmp_gt_u32_e64 s[18:19], s7, v2
	s_and_saveexec_b64 s[4:5], s[18:19]
	s_cbranch_execz .LBB1011_21
; %bb.20:
	global_load_ushort v19, v[8:9], off offset:1152
	s_waitcnt vmcnt(0)
	v_and_b32_e32 v70, 0xffff, v19
.LBB1011_21:
	s_or_b64 exec, exec, s[4:5]
	v_add_u32_e32 v2, 0x280, v11
	v_cmp_gt_u32_e64 s[20:21], s7, v2
	v_mov_b32_e32 v71, 0xffff
	v_mov_b32_e32 v21, -1
	v_mov_b32_e32 v22, -1
	v_mov_b32_e32 v74, 0xffff
	s_and_saveexec_b64 s[4:5], s[20:21]
	s_cbranch_execz .LBB1011_23
; %bb.22:
	global_load_ushort v22, v[8:9], off offset:1280
	s_waitcnt vmcnt(0)
	v_and_b32_e32 v74, 0xffff, v22
.LBB1011_23:
	s_or_b64 exec, exec, s[4:5]
	v_add_u32_e32 v2, 0x2c0, v11
	v_cmp_gt_u32_e64 s[22:23], s7, v2
	s_and_saveexec_b64 s[4:5], s[22:23]
	;; [unrolled: 24-line block ×6, first 2 shown]
	s_cbranch_execz .LBB1011_41
; %bb.40:
	global_load_ushort v29, v[8:9], off offset:2432
	s_waitcnt vmcnt(0)
	v_and_b32_e32 v44, 0xffff, v29
.LBB1011_41:
	s_or_b64 exec, exec, s[4:5]
	v_add_u32_e32 v2, 0x500, v11
	v_cmp_gt_u32_e64 s[42:43], s7, v2
	v_mov_b32_e32 v36, 0xffff
	v_mov_b32_e32 v31, -1
	v_mov_b32_e32 v32, -1
	v_mov_b32_e32 v40, 0xffff
	s_and_saveexec_b64 s[4:5], s[42:43]
	s_cbranch_execz .LBB1011_43
; %bb.42:
	global_load_ushort v32, v[8:9], off offset:2560
	s_waitcnt vmcnt(0)
	v_and_b32_e32 v40, 0xffff, v32
.LBB1011_43:
	s_or_b64 exec, exec, s[4:5]
	v_add_u32_e32 v11, 0x540, v11
	v_and_b32_e32 v2, 0x3ff, v0
	v_cmp_gt_u32_e64 s[44:45], s7, v11
	s_and_saveexec_b64 s[4:5], s[44:45]
	s_cbranch_execz .LBB1011_45
; %bb.44:
	global_load_ushort v31, v[8:9], off offset:2688
	s_waitcnt vmcnt(0)
	v_and_b32_e32 v36, 0xffff, v31
.LBB1011_45:
	s_or_b64 exec, exec, s[4:5]
	s_load_dword s4, s[0:1], 0x64
	s_load_dword s3, s[0:1], 0x58
	s_add_u32 s5, s0, 0x58
	s_addc_u32 s14, s1, 0
	v_mov_b32_e32 v8, 0
	s_waitcnt lgkmcnt(0)
	s_lshr_b32 s15, s4, 16
	s_cmp_lt_u32 s2, s3
	s_cselect_b32 s4, 12, 18
	s_add_u32 s4, s5, s4
	s_addc_u32 s5, s14, 0
	global_load_ushort v37, v8, s[4:5]
	v_bfe_u32 v34, v0, 10, 10
	v_bfe_u32 v38, v0, 20, 10
	v_lshrrev_b32_e32 v10, s8, v10
	s_lshl_b32 s4, -1, s9
	v_lshlrev_b32_e32 v33, 3, v2
	v_mov_b32_e32 v9, v8
	v_mad_u32_u24 v38, v38, s15, v34
	v_bitop3_b32 v34, v10, s4, v10 bitop3:0x30
	v_mov_b32_e32 v11, v8
	ds_write_b64 v33, v[8:9] offset:32
	v_and_b32_e32 v10, 1, v34
	v_lshlrev_b32_e32 v9, 30, v34
	v_lshl_add_u64 v[42:43], v[10:11], 0, -1
	v_cmp_ne_u32_e64 s[46:47], 0, v10
	v_cmp_gt_i64_e64 s[48:49], 0, v[8:9]
	v_not_b32_e32 v10, v9
	v_lshlrev_b32_e32 v9, 29, v34
	v_xor_b32_e32 v11, s47, v43
	v_xor_b32_e32 v42, s46, v42
	v_ashrrev_i32_e32 v10, 31, v10
	v_cmp_gt_i64_e64 s[46:47], 0, v[8:9]
	v_not_b32_e32 v43, v9
	v_lshlrev_b32_e32 v9, 28, v34
	v_and_b32_e32 v11, exec_hi, v11
	v_and_b32_e32 v42, exec_lo, v42
	v_xor_b32_e32 v46, s49, v10
	v_xor_b32_e32 v10, s48, v10
	v_ashrrev_i32_e32 v43, 31, v43
	v_cmp_gt_i64_e64 s[48:49], 0, v[8:9]
	v_not_b32_e32 v47, v9
	v_lshlrev_b32_e32 v9, 27, v34
	v_and_b32_e32 v11, v11, v46
	v_and_b32_e32 v10, v42, v10
	v_xor_b32_e32 v42, s47, v43
	v_xor_b32_e32 v43, s46, v43
	v_ashrrev_i32_e32 v46, 31, v47
	v_cmp_gt_i64_e64 s[46:47], 0, v[8:9]
	v_not_b32_e32 v47, v9
	v_lshlrev_b32_e32 v9, 26, v34
	v_mul_u32_u24_e32 v41, 36, v34
	v_and_b32_e32 v11, v11, v42
	v_and_b32_e32 v10, v10, v43
	v_xor_b32_e32 v34, s49, v46
	v_xor_b32_e32 v42, s48, v46
	v_ashrrev_i32_e32 v43, 31, v47
	v_cmp_gt_i64_e64 s[48:49], 0, v[8:9]
	v_not_b32_e32 v9, v9
	v_and_b32_e32 v11, v11, v34
	v_and_b32_e32 v10, v10, v42
	v_xor_b32_e32 v34, s47, v43
	v_xor_b32_e32 v42, s46, v43
	v_ashrrev_i32_e32 v9, 31, v9
	v_and_b32_e32 v11, v11, v34
	v_and_b32_e32 v10, v10, v42
	v_xor_b32_e32 v34, s49, v9
	v_xor_b32_e32 v9, s48, v9
	v_and_b32_e32 v10, v10, v9
	s_not_b32 s33, s4
	v_and_b32_e32 v11, v11, v34
	v_mbcnt_lo_u32_b32 v9, v10, 0
	v_mbcnt_hi_u32_b32 v34, v11, v9
	v_cmp_ne_u64_e64 s[46:47], 0, v[10:11]
	v_cmp_eq_u32_e64 s[48:49], 0, v34
	s_and_b64 s[46:47], s[46:47], s[48:49]
	s_waitcnt lgkmcnt(0)
	s_barrier
	s_waitcnt vmcnt(0)
	; wave barrier
	v_mad_u64_u32 v[42:43], s[4:5], v38, v37, v[2:3]
	v_lshrrev_b32_e32 v9, 4, v42
	v_and_b32_e32 v43, 0xffffffc, v9
	v_add_u32_e32 v37, v43, v41
	s_and_saveexec_b64 s[4:5], s[46:47]
; %bb.46:
	v_bcnt_u32_b32 v9, v10, 0
	v_bcnt_u32_b32 v9, v11, v9
	ds_write_b32 v37, v9 offset:32
; %bb.47:
	s_or_b64 exec, exec, s[4:5]
	v_lshrrev_b32_e32 v9, s8, v35
	v_and_b32_e32 v38, s33, v9
	v_and_b32_e32 v10, 1, v38
	v_mov_b32_e32 v11, v8
	v_mad_u32_u24 v9, v38, 36, v43
	v_lshl_add_u64 v[46:47], v[10:11], 0, -1
	v_cmp_ne_u32_e64 s[46:47], 0, v10
	; wave barrier
	ds_read_b32 v35, v9 offset:32
	s_nop 0
	v_xor_b32_e32 v9, s47, v47
	v_and_b32_e32 v11, exec_hi, v9
	v_lshlrev_b32_e32 v9, 30, v38
	v_xor_b32_e32 v10, s46, v46
	v_cmp_gt_i64_e64 s[46:47], 0, v[8:9]
	v_not_b32_e32 v9, v9
	v_ashrrev_i32_e32 v9, 31, v9
	v_and_b32_e32 v10, exec_lo, v10
	v_xor_b32_e32 v42, s47, v9
	v_xor_b32_e32 v9, s46, v9
	v_and_b32_e32 v10, v10, v9
	v_lshlrev_b32_e32 v9, 29, v38
	v_cmp_gt_i64_e64 s[46:47], 0, v[8:9]
	v_not_b32_e32 v9, v9
	v_ashrrev_i32_e32 v9, 31, v9
	v_and_b32_e32 v11, v11, v42
	v_xor_b32_e32 v42, s47, v9
	v_xor_b32_e32 v9, s46, v9
	v_and_b32_e32 v10, v10, v9
	v_lshlrev_b32_e32 v9, 28, v38
	v_cmp_gt_i64_e64 s[46:47], 0, v[8:9]
	v_not_b32_e32 v9, v9
	v_ashrrev_i32_e32 v9, 31, v9
	v_and_b32_e32 v11, v11, v42
	;; [unrolled: 8-line block ×3, first 2 shown]
	v_xor_b32_e32 v42, s47, v9
	v_xor_b32_e32 v9, s46, v9
	v_and_b32_e32 v10, v10, v9
	v_lshlrev_b32_e32 v9, 26, v38
	v_cmp_gt_i64_e64 s[46:47], 0, v[8:9]
	v_not_b32_e32 v8, v9
	v_ashrrev_i32_e32 v8, 31, v8
	v_xor_b32_e32 v9, s47, v8
	v_xor_b32_e32 v8, s46, v8
	v_and_b32_e32 v11, v11, v42
	v_and_b32_e32 v8, v10, v8
	;; [unrolled: 1-line block ×3, first 2 shown]
	v_mbcnt_lo_u32_b32 v10, v8, 0
	v_mul_u32_u24_e32 v41, 36, v38
	v_mbcnt_hi_u32_b32 v38, v9, v10
	v_cmp_eq_u32_e64 s[46:47], 0, v38
	v_cmp_ne_u64_e64 s[48:49], 0, v[8:9]
	s_and_b64 s[46:47], s[48:49], s[46:47]
	v_add_u32_e32 v41, v43, v41
	; wave barrier
	s_and_saveexec_b64 s[4:5], s[46:47]
	s_cbranch_execz .LBB1011_49
; %bb.48:
	v_bcnt_u32_b32 v8, v8, 0
	v_bcnt_u32_b32 v8, v9, v8
	s_waitcnt lgkmcnt(0)
	v_add_u32_e32 v8, v35, v8
	ds_write_b32 v41, v8 offset:32
.LBB1011_49:
	s_or_b64 exec, exec, s[4:5]
	v_lshrrev_b32_e32 v8, s8, v39
	v_and_b32_e32 v42, s33, v8
	v_mad_u32_u24 v8, v42, 36, v43
	; wave barrier
	ds_read_b32 v39, v8 offset:32
	v_and_b32_e32 v8, 1, v42
	v_mov_b32_e32 v9, 0
	v_lshl_add_u64 v[10:11], v[8:9], 0, -1
	v_cmp_ne_u32_e64 s[46:47], 0, v8
	v_mul_u32_u24_e32 v46, 36, v42
	v_add_u32_e32 v46, v43, v46
	v_xor_b32_e32 v10, s46, v10
	v_xor_b32_e32 v8, s47, v11
	v_and_b32_e32 v47, exec_lo, v10
	v_lshlrev_b32_e32 v11, 30, v42
	v_mov_b32_e32 v10, v9
	v_cmp_gt_i64_e64 s[46:47], 0, v[10:11]
	v_not_b32_e32 v10, v11
	v_ashrrev_i32_e32 v10, 31, v10
	v_and_b32_e32 v8, exec_hi, v8
	v_xor_b32_e32 v11, s47, v10
	v_xor_b32_e32 v10, s46, v10
	v_and_b32_e32 v8, v8, v11
	v_and_b32_e32 v47, v47, v10
	v_lshlrev_b32_e32 v11, 29, v42
	v_mov_b32_e32 v10, v9
	v_cmp_gt_i64_e64 s[46:47], 0, v[10:11]
	v_not_b32_e32 v10, v11
	v_ashrrev_i32_e32 v10, 31, v10
	v_xor_b32_e32 v11, s47, v10
	v_xor_b32_e32 v10, s46, v10
	v_and_b32_e32 v8, v8, v11
	v_and_b32_e32 v47, v47, v10
	v_lshlrev_b32_e32 v11, 28, v42
	v_mov_b32_e32 v10, v9
	v_cmp_gt_i64_e64 s[46:47], 0, v[10:11]
	v_not_b32_e32 v10, v11
	v_ashrrev_i32_e32 v10, 31, v10
	;; [unrolled: 9-line block ×4, first 2 shown]
	v_xor_b32_e32 v11, s47, v10
	v_xor_b32_e32 v10, s46, v10
	v_and_b32_e32 v10, v47, v10
	v_and_b32_e32 v11, v8, v11
	v_mbcnt_lo_u32_b32 v8, v10, 0
	v_mbcnt_hi_u32_b32 v42, v11, v8
	v_cmp_eq_u32_e64 s[46:47], 0, v42
	v_cmp_ne_u64_e64 s[48:49], 0, v[10:11]
	s_and_b64 s[46:47], s[48:49], s[46:47]
	; wave barrier
	s_and_saveexec_b64 s[4:5], s[46:47]
	s_cbranch_execz .LBB1011_51
; %bb.50:
	v_bcnt_u32_b32 v8, v10, 0
	v_bcnt_u32_b32 v8, v11, v8
	s_waitcnt lgkmcnt(0)
	v_add_u32_e32 v8, v39, v8
	ds_write_b32 v46, v8 offset:32
.LBB1011_51:
	s_or_b64 exec, exec, s[4:5]
	v_lshrrev_b32_e32 v8, s8, v45
	v_and_b32_e32 v47, s33, v8
	v_mad_u32_u24 v8, v47, 36, v43
	; wave barrier
	ds_read_b32 v45, v8 offset:32
	v_and_b32_e32 v8, 1, v47
	v_lshl_add_u64 v[10:11], v[8:9], 0, -1
	v_cmp_ne_u32_e64 s[46:47], 0, v8
	v_mul_u32_u24_e32 v50, 36, v47
	v_add_u32_e32 v50, v43, v50
	v_xor_b32_e32 v10, s46, v10
	v_xor_b32_e32 v8, s47, v11
	v_and_b32_e32 v52, exec_lo, v10
	v_lshlrev_b32_e32 v11, 30, v47
	v_mov_b32_e32 v10, v9
	v_cmp_gt_i64_e64 s[46:47], 0, v[10:11]
	v_not_b32_e32 v10, v11
	v_ashrrev_i32_e32 v10, 31, v10
	v_and_b32_e32 v8, exec_hi, v8
	v_xor_b32_e32 v11, s47, v10
	v_xor_b32_e32 v10, s46, v10
	v_and_b32_e32 v8, v8, v11
	v_and_b32_e32 v52, v52, v10
	v_lshlrev_b32_e32 v11, 29, v47
	v_mov_b32_e32 v10, v9
	v_cmp_gt_i64_e64 s[46:47], 0, v[10:11]
	v_not_b32_e32 v10, v11
	v_ashrrev_i32_e32 v10, 31, v10
	v_xor_b32_e32 v11, s47, v10
	v_xor_b32_e32 v10, s46, v10
	v_and_b32_e32 v8, v8, v11
	v_and_b32_e32 v52, v52, v10
	v_lshlrev_b32_e32 v11, 28, v47
	v_mov_b32_e32 v10, v9
	v_cmp_gt_i64_e64 s[46:47], 0, v[10:11]
	v_not_b32_e32 v10, v11
	v_ashrrev_i32_e32 v10, 31, v10
	v_xor_b32_e32 v11, s47, v10
	v_xor_b32_e32 v10, s46, v10
	v_and_b32_e32 v8, v8, v11
	v_and_b32_e32 v52, v52, v10
	v_lshlrev_b32_e32 v11, 27, v47
	v_mov_b32_e32 v10, v9
	v_cmp_gt_i64_e64 s[46:47], 0, v[10:11]
	v_not_b32_e32 v10, v11
	v_ashrrev_i32_e32 v10, 31, v10
	v_xor_b32_e32 v11, s47, v10
	v_xor_b32_e32 v10, s46, v10
	v_and_b32_e32 v8, v8, v11
	v_lshlrev_b32_e32 v11, 26, v47
	v_and_b32_e32 v52, v52, v10
	v_mov_b32_e32 v10, v9
	v_not_b32_e32 v9, v11
	v_cmp_gt_i64_e64 s[46:47], 0, v[10:11]
	v_ashrrev_i32_e32 v9, 31, v9
	s_nop 0
	v_xor_b32_e32 v10, s47, v9
	v_xor_b32_e32 v11, s46, v9
	v_and_b32_e32 v9, v8, v10
	v_and_b32_e32 v8, v52, v11
	v_mbcnt_lo_u32_b32 v10, v8, 0
	v_mbcnt_hi_u32_b32 v47, v9, v10
	v_cmp_eq_u32_e64 s[46:47], 0, v47
	v_cmp_ne_u64_e64 s[48:49], 0, v[8:9]
	s_and_b64 s[46:47], s[48:49], s[46:47]
	; wave barrier
	s_and_saveexec_b64 s[4:5], s[46:47]
	s_cbranch_execz .LBB1011_53
; %bb.52:
	v_bcnt_u32_b32 v8, v8, 0
	v_bcnt_u32_b32 v8, v9, v8
	s_waitcnt lgkmcnt(0)
	v_add_u32_e32 v8, v45, v8
	ds_write_b32 v50, v8 offset:32
.LBB1011_53:
	s_or_b64 exec, exec, s[4:5]
	v_lshrrev_b32_e32 v8, s8, v48
	v_and_b32_e32 v52, s33, v8
	v_mad_u32_u24 v8, v52, 36, v43
	; wave barrier
	ds_read_b32 v48, v8 offset:32
	v_and_b32_e32 v8, 1, v52
	v_mov_b32_e32 v9, 0
	v_lshl_add_u64 v[10:11], v[8:9], 0, -1
	v_cmp_ne_u32_e64 s[46:47], 0, v8
	v_mul_u32_u24_e32 v54, 36, v52
	v_add_u32_e32 v54, v43, v54
	v_xor_b32_e32 v10, s46, v10
	v_xor_b32_e32 v8, s47, v11
	v_and_b32_e32 v56, exec_lo, v10
	v_lshlrev_b32_e32 v11, 30, v52
	v_mov_b32_e32 v10, v9
	v_cmp_gt_i64_e64 s[46:47], 0, v[10:11]
	v_not_b32_e32 v10, v11
	v_ashrrev_i32_e32 v10, 31, v10
	v_and_b32_e32 v8, exec_hi, v8
	v_xor_b32_e32 v11, s47, v10
	v_xor_b32_e32 v10, s46, v10
	v_and_b32_e32 v8, v8, v11
	v_and_b32_e32 v56, v56, v10
	v_lshlrev_b32_e32 v11, 29, v52
	v_mov_b32_e32 v10, v9
	v_cmp_gt_i64_e64 s[46:47], 0, v[10:11]
	v_not_b32_e32 v10, v11
	v_ashrrev_i32_e32 v10, 31, v10
	v_xor_b32_e32 v11, s47, v10
	v_xor_b32_e32 v10, s46, v10
	v_and_b32_e32 v8, v8, v11
	v_and_b32_e32 v56, v56, v10
	v_lshlrev_b32_e32 v11, 28, v52
	v_mov_b32_e32 v10, v9
	v_cmp_gt_i64_e64 s[46:47], 0, v[10:11]
	v_not_b32_e32 v10, v11
	v_ashrrev_i32_e32 v10, 31, v10
	;; [unrolled: 9-line block ×4, first 2 shown]
	v_xor_b32_e32 v11, s47, v10
	v_xor_b32_e32 v10, s46, v10
	v_and_b32_e32 v10, v56, v10
	v_and_b32_e32 v11, v8, v11
	v_mbcnt_lo_u32_b32 v8, v10, 0
	v_mbcnt_hi_u32_b32 v52, v11, v8
	v_cmp_eq_u32_e64 s[46:47], 0, v52
	v_cmp_ne_u64_e64 s[48:49], 0, v[10:11]
	s_and_b64 s[46:47], s[48:49], s[46:47]
	; wave barrier
	s_and_saveexec_b64 s[4:5], s[46:47]
	s_cbranch_execz .LBB1011_55
; %bb.54:
	v_bcnt_u32_b32 v8, v10, 0
	v_bcnt_u32_b32 v8, v11, v8
	s_waitcnt lgkmcnt(0)
	v_add_u32_e32 v8, v48, v8
	ds_write_b32 v54, v8 offset:32
.LBB1011_55:
	s_or_b64 exec, exec, s[4:5]
	v_lshrrev_b32_e32 v8, s8, v53
	v_and_b32_e32 v56, s33, v8
	v_mad_u32_u24 v8, v56, 36, v43
	; wave barrier
	ds_read_b32 v53, v8 offset:32
	v_and_b32_e32 v8, 1, v56
	v_lshl_add_u64 v[10:11], v[8:9], 0, -1
	v_cmp_ne_u32_e64 s[46:47], 0, v8
	v_mul_u32_u24_e32 v59, 36, v56
	v_add_u32_e32 v59, v43, v59
	v_xor_b32_e32 v10, s46, v10
	v_xor_b32_e32 v8, s47, v11
	v_and_b32_e32 v60, exec_lo, v10
	v_lshlrev_b32_e32 v11, 30, v56
	v_mov_b32_e32 v10, v9
	v_cmp_gt_i64_e64 s[46:47], 0, v[10:11]
	v_not_b32_e32 v10, v11
	v_ashrrev_i32_e32 v10, 31, v10
	v_and_b32_e32 v8, exec_hi, v8
	v_xor_b32_e32 v11, s47, v10
	v_xor_b32_e32 v10, s46, v10
	v_and_b32_e32 v8, v8, v11
	v_and_b32_e32 v60, v60, v10
	v_lshlrev_b32_e32 v11, 29, v56
	v_mov_b32_e32 v10, v9
	v_cmp_gt_i64_e64 s[46:47], 0, v[10:11]
	v_not_b32_e32 v10, v11
	v_ashrrev_i32_e32 v10, 31, v10
	v_xor_b32_e32 v11, s47, v10
	v_xor_b32_e32 v10, s46, v10
	v_and_b32_e32 v8, v8, v11
	v_and_b32_e32 v60, v60, v10
	v_lshlrev_b32_e32 v11, 28, v56
	v_mov_b32_e32 v10, v9
	v_cmp_gt_i64_e64 s[46:47], 0, v[10:11]
	v_not_b32_e32 v10, v11
	v_ashrrev_i32_e32 v10, 31, v10
	;; [unrolled: 9-line block ×3, first 2 shown]
	v_xor_b32_e32 v11, s47, v10
	v_xor_b32_e32 v10, s46, v10
	v_and_b32_e32 v8, v8, v11
	v_lshlrev_b32_e32 v11, 26, v56
	v_and_b32_e32 v60, v60, v10
	v_mov_b32_e32 v10, v9
	v_not_b32_e32 v9, v11
	v_cmp_gt_i64_e64 s[46:47], 0, v[10:11]
	v_ashrrev_i32_e32 v9, 31, v9
	s_nop 0
	v_xor_b32_e32 v10, s47, v9
	v_xor_b32_e32 v11, s46, v9
	v_and_b32_e32 v9, v8, v10
	v_and_b32_e32 v8, v60, v11
	v_mbcnt_lo_u32_b32 v10, v8, 0
	v_mbcnt_hi_u32_b32 v56, v9, v10
	v_cmp_eq_u32_e64 s[46:47], 0, v56
	v_cmp_ne_u64_e64 s[48:49], 0, v[8:9]
	s_and_b64 s[46:47], s[48:49], s[46:47]
	; wave barrier
	s_and_saveexec_b64 s[4:5], s[46:47]
	s_cbranch_execz .LBB1011_57
; %bb.56:
	v_bcnt_u32_b32 v8, v8, 0
	v_bcnt_u32_b32 v8, v9, v8
	s_waitcnt lgkmcnt(0)
	v_add_u32_e32 v8, v53, v8
	ds_write_b32 v59, v8 offset:32
.LBB1011_57:
	s_or_b64 exec, exec, s[4:5]
	v_lshrrev_b32_e32 v8, s8, v57
	v_and_b32_e32 v60, s33, v8
	v_mad_u32_u24 v8, v60, 36, v43
	; wave barrier
	ds_read_b32 v57, v8 offset:32
	v_and_b32_e32 v8, 1, v60
	v_mov_b32_e32 v9, 0
	v_lshl_add_u64 v[10:11], v[8:9], 0, -1
	v_cmp_ne_u32_e64 s[46:47], 0, v8
	v_mul_u32_u24_e32 v63, 36, v60
	v_add_u32_e32 v63, v43, v63
	v_xor_b32_e32 v10, s46, v10
	v_xor_b32_e32 v8, s47, v11
	v_and_b32_e32 v64, exec_lo, v10
	v_lshlrev_b32_e32 v11, 30, v60
	v_mov_b32_e32 v10, v9
	v_cmp_gt_i64_e64 s[46:47], 0, v[10:11]
	v_not_b32_e32 v10, v11
	v_ashrrev_i32_e32 v10, 31, v10
	v_and_b32_e32 v8, exec_hi, v8
	v_xor_b32_e32 v11, s47, v10
	v_xor_b32_e32 v10, s46, v10
	v_and_b32_e32 v8, v8, v11
	v_and_b32_e32 v64, v64, v10
	v_lshlrev_b32_e32 v11, 29, v60
	v_mov_b32_e32 v10, v9
	v_cmp_gt_i64_e64 s[46:47], 0, v[10:11]
	v_not_b32_e32 v10, v11
	v_ashrrev_i32_e32 v10, 31, v10
	v_xor_b32_e32 v11, s47, v10
	v_xor_b32_e32 v10, s46, v10
	v_and_b32_e32 v8, v8, v11
	v_and_b32_e32 v64, v64, v10
	v_lshlrev_b32_e32 v11, 28, v60
	v_mov_b32_e32 v10, v9
	v_cmp_gt_i64_e64 s[46:47], 0, v[10:11]
	v_not_b32_e32 v10, v11
	v_ashrrev_i32_e32 v10, 31, v10
	;; [unrolled: 9-line block ×4, first 2 shown]
	v_xor_b32_e32 v11, s47, v10
	v_xor_b32_e32 v10, s46, v10
	v_and_b32_e32 v10, v64, v10
	v_and_b32_e32 v11, v8, v11
	v_mbcnt_lo_u32_b32 v8, v10, 0
	v_mbcnt_hi_u32_b32 v60, v11, v8
	v_cmp_eq_u32_e64 s[46:47], 0, v60
	v_cmp_ne_u64_e64 s[48:49], 0, v[10:11]
	s_and_b64 s[46:47], s[48:49], s[46:47]
	; wave barrier
	s_and_saveexec_b64 s[4:5], s[46:47]
	s_cbranch_execz .LBB1011_59
; %bb.58:
	v_bcnt_u32_b32 v8, v10, 0
	v_bcnt_u32_b32 v8, v11, v8
	s_waitcnt lgkmcnt(0)
	v_add_u32_e32 v8, v57, v8
	ds_write_b32 v63, v8 offset:32
.LBB1011_59:
	s_or_b64 exec, exec, s[4:5]
	v_lshrrev_b32_e32 v8, s8, v61
	v_and_b32_e32 v64, s33, v8
	v_mad_u32_u24 v8, v64, 36, v43
	; wave barrier
	ds_read_b32 v61, v8 offset:32
	v_and_b32_e32 v8, 1, v64
	v_lshl_add_u64 v[10:11], v[8:9], 0, -1
	v_cmp_ne_u32_e64 s[46:47], 0, v8
	v_mul_u32_u24_e32 v67, 36, v64
	v_add_u32_e32 v67, v43, v67
	v_xor_b32_e32 v10, s46, v10
	v_xor_b32_e32 v8, s47, v11
	v_and_b32_e32 v68, exec_lo, v10
	v_lshlrev_b32_e32 v11, 30, v64
	v_mov_b32_e32 v10, v9
	v_cmp_gt_i64_e64 s[46:47], 0, v[10:11]
	v_not_b32_e32 v10, v11
	v_ashrrev_i32_e32 v10, 31, v10
	v_and_b32_e32 v8, exec_hi, v8
	v_xor_b32_e32 v11, s47, v10
	v_xor_b32_e32 v10, s46, v10
	v_and_b32_e32 v8, v8, v11
	v_and_b32_e32 v68, v68, v10
	v_lshlrev_b32_e32 v11, 29, v64
	v_mov_b32_e32 v10, v9
	v_cmp_gt_i64_e64 s[46:47], 0, v[10:11]
	v_not_b32_e32 v10, v11
	v_ashrrev_i32_e32 v10, 31, v10
	v_xor_b32_e32 v11, s47, v10
	v_xor_b32_e32 v10, s46, v10
	v_and_b32_e32 v8, v8, v11
	v_and_b32_e32 v68, v68, v10
	v_lshlrev_b32_e32 v11, 28, v64
	v_mov_b32_e32 v10, v9
	v_cmp_gt_i64_e64 s[46:47], 0, v[10:11]
	v_not_b32_e32 v10, v11
	v_ashrrev_i32_e32 v10, 31, v10
	;; [unrolled: 9-line block ×3, first 2 shown]
	v_xor_b32_e32 v11, s47, v10
	v_xor_b32_e32 v10, s46, v10
	v_and_b32_e32 v8, v8, v11
	v_lshlrev_b32_e32 v11, 26, v64
	v_and_b32_e32 v68, v68, v10
	v_mov_b32_e32 v10, v9
	v_not_b32_e32 v9, v11
	v_cmp_gt_i64_e64 s[46:47], 0, v[10:11]
	v_ashrrev_i32_e32 v9, 31, v9
	s_nop 0
	v_xor_b32_e32 v10, s47, v9
	v_xor_b32_e32 v11, s46, v9
	v_and_b32_e32 v9, v8, v10
	v_and_b32_e32 v8, v68, v11
	v_mbcnt_lo_u32_b32 v10, v8, 0
	v_mbcnt_hi_u32_b32 v64, v9, v10
	v_cmp_eq_u32_e64 s[46:47], 0, v64
	v_cmp_ne_u64_e64 s[48:49], 0, v[8:9]
	s_and_b64 s[46:47], s[48:49], s[46:47]
	; wave barrier
	s_and_saveexec_b64 s[4:5], s[46:47]
	s_cbranch_execz .LBB1011_61
; %bb.60:
	v_bcnt_u32_b32 v8, v8, 0
	v_bcnt_u32_b32 v8, v9, v8
	s_waitcnt lgkmcnt(0)
	v_add_u32_e32 v8, v61, v8
	ds_write_b32 v67, v8 offset:32
.LBB1011_61:
	s_or_b64 exec, exec, s[4:5]
	v_lshrrev_b32_e32 v8, s8, v66
	v_and_b32_e32 v68, s33, v8
	v_mad_u32_u24 v8, v68, 36, v43
	; wave barrier
	ds_read_b32 v66, v8 offset:32
	v_and_b32_e32 v8, 1, v68
	v_mov_b32_e32 v9, 0
	v_lshl_add_u64 v[10:11], v[8:9], 0, -1
	v_cmp_ne_u32_e64 s[46:47], 0, v8
	v_mul_u32_u24_e32 v72, 36, v68
	v_add_u32_e32 v72, v43, v72
	v_xor_b32_e32 v10, s46, v10
	v_xor_b32_e32 v8, s47, v11
	v_and_b32_e32 v73, exec_lo, v10
	v_lshlrev_b32_e32 v11, 30, v68
	v_mov_b32_e32 v10, v9
	v_cmp_gt_i64_e64 s[46:47], 0, v[10:11]
	v_not_b32_e32 v10, v11
	v_ashrrev_i32_e32 v10, 31, v10
	v_and_b32_e32 v8, exec_hi, v8
	v_xor_b32_e32 v11, s47, v10
	v_xor_b32_e32 v10, s46, v10
	v_and_b32_e32 v8, v8, v11
	v_and_b32_e32 v73, v73, v10
	v_lshlrev_b32_e32 v11, 29, v68
	v_mov_b32_e32 v10, v9
	v_cmp_gt_i64_e64 s[46:47], 0, v[10:11]
	v_not_b32_e32 v10, v11
	v_ashrrev_i32_e32 v10, 31, v10
	v_xor_b32_e32 v11, s47, v10
	v_xor_b32_e32 v10, s46, v10
	v_and_b32_e32 v8, v8, v11
	v_and_b32_e32 v73, v73, v10
	v_lshlrev_b32_e32 v11, 28, v68
	v_mov_b32_e32 v10, v9
	v_cmp_gt_i64_e64 s[46:47], 0, v[10:11]
	v_not_b32_e32 v10, v11
	v_ashrrev_i32_e32 v10, 31, v10
	;; [unrolled: 9-line block ×4, first 2 shown]
	v_xor_b32_e32 v11, s47, v10
	v_xor_b32_e32 v10, s46, v10
	v_and_b32_e32 v10, v73, v10
	v_and_b32_e32 v11, v8, v11
	v_mbcnt_lo_u32_b32 v8, v10, 0
	v_mbcnt_hi_u32_b32 v68, v11, v8
	v_cmp_eq_u32_e64 s[46:47], 0, v68
	v_cmp_ne_u64_e64 s[48:49], 0, v[10:11]
	s_and_b64 s[46:47], s[48:49], s[46:47]
	; wave barrier
	s_and_saveexec_b64 s[4:5], s[46:47]
	s_cbranch_execz .LBB1011_63
; %bb.62:
	v_bcnt_u32_b32 v8, v10, 0
	v_bcnt_u32_b32 v8, v11, v8
	s_waitcnt lgkmcnt(0)
	v_add_u32_e32 v8, v66, v8
	ds_write_b32 v72, v8 offset:32
.LBB1011_63:
	s_or_b64 exec, exec, s[4:5]
	v_lshrrev_b32_e32 v8, s8, v70
	v_and_b32_e32 v73, s33, v8
	v_mad_u32_u24 v8, v73, 36, v43
	; wave barrier
	ds_read_b32 v70, v8 offset:32
	v_and_b32_e32 v8, 1, v73
	v_lshl_add_u64 v[10:11], v[8:9], 0, -1
	v_cmp_ne_u32_e64 s[46:47], 0, v8
	v_mul_u32_u24_e32 v75, 36, v73
	v_add_u32_e32 v75, v43, v75
	v_xor_b32_e32 v10, s46, v10
	v_xor_b32_e32 v8, s47, v11
	v_and_b32_e32 v76, exec_lo, v10
	v_lshlrev_b32_e32 v11, 30, v73
	v_mov_b32_e32 v10, v9
	v_cmp_gt_i64_e64 s[46:47], 0, v[10:11]
	v_not_b32_e32 v10, v11
	v_ashrrev_i32_e32 v10, 31, v10
	v_and_b32_e32 v8, exec_hi, v8
	v_xor_b32_e32 v11, s47, v10
	v_xor_b32_e32 v10, s46, v10
	v_and_b32_e32 v8, v8, v11
	v_and_b32_e32 v76, v76, v10
	v_lshlrev_b32_e32 v11, 29, v73
	v_mov_b32_e32 v10, v9
	v_cmp_gt_i64_e64 s[46:47], 0, v[10:11]
	v_not_b32_e32 v10, v11
	v_ashrrev_i32_e32 v10, 31, v10
	v_xor_b32_e32 v11, s47, v10
	v_xor_b32_e32 v10, s46, v10
	v_and_b32_e32 v8, v8, v11
	v_and_b32_e32 v76, v76, v10
	v_lshlrev_b32_e32 v11, 28, v73
	v_mov_b32_e32 v10, v9
	v_cmp_gt_i64_e64 s[46:47], 0, v[10:11]
	v_not_b32_e32 v10, v11
	v_ashrrev_i32_e32 v10, 31, v10
	;; [unrolled: 9-line block ×3, first 2 shown]
	v_xor_b32_e32 v11, s47, v10
	v_xor_b32_e32 v10, s46, v10
	v_and_b32_e32 v8, v8, v11
	v_lshlrev_b32_e32 v11, 26, v73
	v_and_b32_e32 v76, v76, v10
	v_mov_b32_e32 v10, v9
	v_not_b32_e32 v9, v11
	v_cmp_gt_i64_e64 s[46:47], 0, v[10:11]
	v_ashrrev_i32_e32 v9, 31, v9
	s_nop 0
	v_xor_b32_e32 v10, s47, v9
	v_xor_b32_e32 v11, s46, v9
	v_and_b32_e32 v9, v8, v10
	v_and_b32_e32 v8, v76, v11
	v_mbcnt_lo_u32_b32 v10, v8, 0
	v_mbcnt_hi_u32_b32 v73, v9, v10
	v_cmp_eq_u32_e64 s[46:47], 0, v73
	v_cmp_ne_u64_e64 s[48:49], 0, v[8:9]
	s_and_b64 s[46:47], s[48:49], s[46:47]
	; wave barrier
	s_and_saveexec_b64 s[4:5], s[46:47]
	s_cbranch_execz .LBB1011_65
; %bb.64:
	v_bcnt_u32_b32 v8, v8, 0
	v_bcnt_u32_b32 v8, v9, v8
	s_waitcnt lgkmcnt(0)
	v_add_u32_e32 v8, v70, v8
	ds_write_b32 v75, v8 offset:32
.LBB1011_65:
	s_or_b64 exec, exec, s[4:5]
	v_lshrrev_b32_e32 v8, s8, v74
	v_and_b32_e32 v76, s33, v8
	v_mad_u32_u24 v8, v76, 36, v43
	; wave barrier
	ds_read_b32 v74, v8 offset:32
	v_and_b32_e32 v8, 1, v76
	v_mov_b32_e32 v9, 0
	v_lshl_add_u64 v[10:11], v[8:9], 0, -1
	v_cmp_ne_u32_e64 s[46:47], 0, v8
	v_mul_u32_u24_e32 v77, 36, v76
	v_add_u32_e32 v77, v43, v77
	v_xor_b32_e32 v10, s46, v10
	v_xor_b32_e32 v8, s47, v11
	v_and_b32_e32 v78, exec_lo, v10
	v_lshlrev_b32_e32 v11, 30, v76
	v_mov_b32_e32 v10, v9
	v_cmp_gt_i64_e64 s[46:47], 0, v[10:11]
	v_not_b32_e32 v10, v11
	v_ashrrev_i32_e32 v10, 31, v10
	v_and_b32_e32 v8, exec_hi, v8
	v_xor_b32_e32 v11, s47, v10
	v_xor_b32_e32 v10, s46, v10
	v_and_b32_e32 v8, v8, v11
	v_and_b32_e32 v78, v78, v10
	v_lshlrev_b32_e32 v11, 29, v76
	v_mov_b32_e32 v10, v9
	v_cmp_gt_i64_e64 s[46:47], 0, v[10:11]
	v_not_b32_e32 v10, v11
	v_ashrrev_i32_e32 v10, 31, v10
	v_xor_b32_e32 v11, s47, v10
	v_xor_b32_e32 v10, s46, v10
	v_and_b32_e32 v8, v8, v11
	v_and_b32_e32 v78, v78, v10
	v_lshlrev_b32_e32 v11, 28, v76
	v_mov_b32_e32 v10, v9
	v_cmp_gt_i64_e64 s[46:47], 0, v[10:11]
	v_not_b32_e32 v10, v11
	v_ashrrev_i32_e32 v10, 31, v10
	;; [unrolled: 9-line block ×4, first 2 shown]
	v_xor_b32_e32 v11, s47, v10
	v_xor_b32_e32 v10, s46, v10
	v_and_b32_e32 v10, v78, v10
	v_and_b32_e32 v11, v8, v11
	v_mbcnt_lo_u32_b32 v8, v10, 0
	v_mbcnt_hi_u32_b32 v76, v11, v8
	v_cmp_eq_u32_e64 s[46:47], 0, v76
	v_cmp_ne_u64_e64 s[48:49], 0, v[10:11]
	s_and_b64 s[46:47], s[48:49], s[46:47]
	; wave barrier
	s_and_saveexec_b64 s[4:5], s[46:47]
	s_cbranch_execz .LBB1011_67
; %bb.66:
	v_bcnt_u32_b32 v8, v10, 0
	v_bcnt_u32_b32 v8, v11, v8
	s_waitcnt lgkmcnt(0)
	v_add_u32_e32 v8, v74, v8
	ds_write_b32 v77, v8 offset:32
.LBB1011_67:
	s_or_b64 exec, exec, s[4:5]
	v_lshrrev_b32_e32 v8, s8, v71
	v_and_b32_e32 v78, s33, v8
	v_mad_u32_u24 v8, v78, 36, v43
	; wave barrier
	ds_read_b32 v71, v8 offset:32
	v_and_b32_e32 v8, 1, v78
	v_lshl_add_u64 v[10:11], v[8:9], 0, -1
	v_cmp_ne_u32_e64 s[46:47], 0, v8
	v_mul_u32_u24_e32 v79, 36, v78
	v_add_u32_e32 v79, v43, v79
	v_xor_b32_e32 v10, s46, v10
	v_xor_b32_e32 v8, s47, v11
	v_and_b32_e32 v80, exec_lo, v10
	v_lshlrev_b32_e32 v11, 30, v78
	v_mov_b32_e32 v10, v9
	v_cmp_gt_i64_e64 s[46:47], 0, v[10:11]
	v_not_b32_e32 v10, v11
	v_ashrrev_i32_e32 v10, 31, v10
	v_and_b32_e32 v8, exec_hi, v8
	v_xor_b32_e32 v11, s47, v10
	v_xor_b32_e32 v10, s46, v10
	v_and_b32_e32 v8, v8, v11
	v_and_b32_e32 v80, v80, v10
	v_lshlrev_b32_e32 v11, 29, v78
	v_mov_b32_e32 v10, v9
	v_cmp_gt_i64_e64 s[46:47], 0, v[10:11]
	v_not_b32_e32 v10, v11
	v_ashrrev_i32_e32 v10, 31, v10
	v_xor_b32_e32 v11, s47, v10
	v_xor_b32_e32 v10, s46, v10
	v_and_b32_e32 v8, v8, v11
	v_and_b32_e32 v80, v80, v10
	v_lshlrev_b32_e32 v11, 28, v78
	v_mov_b32_e32 v10, v9
	v_cmp_gt_i64_e64 s[46:47], 0, v[10:11]
	v_not_b32_e32 v10, v11
	v_ashrrev_i32_e32 v10, 31, v10
	;; [unrolled: 9-line block ×3, first 2 shown]
	v_xor_b32_e32 v11, s47, v10
	v_xor_b32_e32 v10, s46, v10
	v_and_b32_e32 v8, v8, v11
	v_lshlrev_b32_e32 v11, 26, v78
	v_and_b32_e32 v80, v80, v10
	v_mov_b32_e32 v10, v9
	v_not_b32_e32 v9, v11
	v_cmp_gt_i64_e64 s[46:47], 0, v[10:11]
	v_ashrrev_i32_e32 v9, 31, v9
	s_nop 0
	v_xor_b32_e32 v10, s47, v9
	v_xor_b32_e32 v11, s46, v9
	v_and_b32_e32 v9, v8, v10
	v_and_b32_e32 v8, v80, v11
	v_mbcnt_lo_u32_b32 v10, v8, 0
	v_mbcnt_hi_u32_b32 v78, v9, v10
	v_cmp_eq_u32_e64 s[46:47], 0, v78
	v_cmp_ne_u64_e64 s[48:49], 0, v[8:9]
	s_and_b64 s[46:47], s[48:49], s[46:47]
	; wave barrier
	s_and_saveexec_b64 s[4:5], s[46:47]
	s_cbranch_execz .LBB1011_69
; %bb.68:
	v_bcnt_u32_b32 v8, v8, 0
	v_bcnt_u32_b32 v8, v9, v8
	s_waitcnt lgkmcnt(0)
	v_add_u32_e32 v8, v71, v8
	ds_write_b32 v79, v8 offset:32
.LBB1011_69:
	s_or_b64 exec, exec, s[4:5]
	v_lshrrev_b32_e32 v8, s8, v69
	v_and_b32_e32 v80, s33, v8
	v_mad_u32_u24 v8, v80, 36, v43
	; wave barrier
	ds_read_b32 v69, v8 offset:32
	v_and_b32_e32 v8, 1, v80
	v_mov_b32_e32 v9, 0
	v_lshl_add_u64 v[10:11], v[8:9], 0, -1
	v_cmp_ne_u32_e64 s[46:47], 0, v8
	v_mul_u32_u24_e32 v81, 36, v80
	s_nop 0
	v_xor_b32_e32 v10, s46, v10
	v_xor_b32_e32 v8, s47, v11
	v_and_b32_e32 v82, exec_lo, v10
	v_lshlrev_b32_e32 v11, 30, v80
	v_mov_b32_e32 v10, v9
	v_cmp_gt_i64_e64 s[46:47], 0, v[10:11]
	v_not_b32_e32 v10, v11
	v_ashrrev_i32_e32 v10, 31, v10
	v_and_b32_e32 v8, exec_hi, v8
	v_xor_b32_e32 v11, s47, v10
	v_xor_b32_e32 v10, s46, v10
	v_and_b32_e32 v8, v8, v11
	v_and_b32_e32 v82, v82, v10
	v_lshlrev_b32_e32 v11, 29, v80
	v_mov_b32_e32 v10, v9
	v_cmp_gt_i64_e64 s[46:47], 0, v[10:11]
	v_not_b32_e32 v10, v11
	v_ashrrev_i32_e32 v10, 31, v10
	v_xor_b32_e32 v11, s47, v10
	v_xor_b32_e32 v10, s46, v10
	v_and_b32_e32 v8, v8, v11
	v_and_b32_e32 v82, v82, v10
	v_lshlrev_b32_e32 v11, 28, v80
	v_mov_b32_e32 v10, v9
	v_cmp_gt_i64_e64 s[46:47], 0, v[10:11]
	v_not_b32_e32 v10, v11
	v_ashrrev_i32_e32 v10, 31, v10
	;; [unrolled: 9-line block ×4, first 2 shown]
	v_xor_b32_e32 v11, s47, v10
	v_xor_b32_e32 v10, s46, v10
	v_and_b32_e32 v10, v82, v10
	v_and_b32_e32 v11, v8, v11
	v_mbcnt_lo_u32_b32 v8, v10, 0
	v_mbcnt_hi_u32_b32 v80, v11, v8
	v_cmp_eq_u32_e64 s[46:47], 0, v80
	v_cmp_ne_u64_e64 s[48:49], 0, v[10:11]
	s_and_b64 s[46:47], s[48:49], s[46:47]
	v_add_u32_e32 v82, v43, v81
	; wave barrier
	s_and_saveexec_b64 s[4:5], s[46:47]
	s_cbranch_execz .LBB1011_71
; %bb.70:
	v_bcnt_u32_b32 v8, v10, 0
	v_bcnt_u32_b32 v8, v11, v8
	s_waitcnt lgkmcnt(0)
	v_add_u32_e32 v8, v69, v8
	ds_write_b32 v82, v8 offset:32
.LBB1011_71:
	s_or_b64 exec, exec, s[4:5]
	v_lshrrev_b32_e32 v8, s8, v65
	v_and_b32_e32 v65, s33, v8
	v_mad_u32_u24 v8, v65, 36, v43
	; wave barrier
	ds_read_b32 v81, v8 offset:32
	v_and_b32_e32 v8, 1, v65
	v_lshl_add_u64 v[10:11], v[8:9], 0, -1
	v_cmp_ne_u32_e64 s[46:47], 0, v8
	v_mul_u32_u24_e32 v84, 36, v65
	s_nop 0
	v_xor_b32_e32 v10, s46, v10
	v_xor_b32_e32 v8, s47, v11
	v_and_b32_e32 v83, exec_lo, v10
	v_lshlrev_b32_e32 v11, 30, v65
	v_mov_b32_e32 v10, v9
	v_cmp_gt_i64_e64 s[46:47], 0, v[10:11]
	v_not_b32_e32 v10, v11
	v_ashrrev_i32_e32 v10, 31, v10
	v_and_b32_e32 v8, exec_hi, v8
	v_xor_b32_e32 v11, s47, v10
	v_xor_b32_e32 v10, s46, v10
	v_and_b32_e32 v8, v8, v11
	v_and_b32_e32 v83, v83, v10
	v_lshlrev_b32_e32 v11, 29, v65
	v_mov_b32_e32 v10, v9
	v_cmp_gt_i64_e64 s[46:47], 0, v[10:11]
	v_not_b32_e32 v10, v11
	v_ashrrev_i32_e32 v10, 31, v10
	v_xor_b32_e32 v11, s47, v10
	v_xor_b32_e32 v10, s46, v10
	v_and_b32_e32 v8, v8, v11
	v_and_b32_e32 v83, v83, v10
	v_lshlrev_b32_e32 v11, 28, v65
	v_mov_b32_e32 v10, v9
	v_cmp_gt_i64_e64 s[46:47], 0, v[10:11]
	v_not_b32_e32 v10, v11
	v_ashrrev_i32_e32 v10, 31, v10
	;; [unrolled: 9-line block ×3, first 2 shown]
	v_xor_b32_e32 v11, s47, v10
	v_xor_b32_e32 v10, s46, v10
	v_and_b32_e32 v8, v8, v11
	v_lshlrev_b32_e32 v11, 26, v65
	v_and_b32_e32 v83, v83, v10
	v_mov_b32_e32 v10, v9
	v_not_b32_e32 v9, v11
	v_cmp_gt_i64_e64 s[46:47], 0, v[10:11]
	v_ashrrev_i32_e32 v9, 31, v9
	v_add_u32_e32 v65, v43, v84
	v_xor_b32_e32 v10, s47, v9
	v_xor_b32_e32 v11, s46, v9
	v_and_b32_e32 v9, v8, v10
	v_and_b32_e32 v8, v83, v11
	v_mbcnt_lo_u32_b32 v10, v8, 0
	v_mbcnt_hi_u32_b32 v83, v9, v10
	v_cmp_eq_u32_e64 s[46:47], 0, v83
	v_cmp_ne_u64_e64 s[48:49], 0, v[8:9]
	s_and_b64 s[46:47], s[48:49], s[46:47]
	; wave barrier
	s_and_saveexec_b64 s[4:5], s[46:47]
	s_cbranch_execz .LBB1011_73
; %bb.72:
	v_bcnt_u32_b32 v8, v8, 0
	v_bcnt_u32_b32 v8, v9, v8
	s_waitcnt lgkmcnt(0)
	v_add_u32_e32 v8, v81, v8
	ds_write_b32 v65, v8 offset:32
.LBB1011_73:
	s_or_b64 exec, exec, s[4:5]
	v_lshrrev_b32_e32 v8, s8, v62
	v_and_b32_e32 v62, s33, v8
	v_mad_u32_u24 v8, v62, 36, v43
	; wave barrier
	ds_read_b32 v84, v8 offset:32
	v_and_b32_e32 v8, 1, v62
	v_mov_b32_e32 v9, 0
	v_lshl_add_u64 v[10:11], v[8:9], 0, -1
	v_cmp_ne_u32_e64 s[46:47], 0, v8
	v_mul_u32_u24_e32 v86, 36, v62
	s_nop 0
	v_xor_b32_e32 v10, s46, v10
	v_xor_b32_e32 v8, s47, v11
	v_and_b32_e32 v85, exec_lo, v10
	v_lshlrev_b32_e32 v11, 30, v62
	v_mov_b32_e32 v10, v9
	v_cmp_gt_i64_e64 s[46:47], 0, v[10:11]
	v_not_b32_e32 v10, v11
	v_ashrrev_i32_e32 v10, 31, v10
	v_and_b32_e32 v8, exec_hi, v8
	v_xor_b32_e32 v11, s47, v10
	v_xor_b32_e32 v10, s46, v10
	v_and_b32_e32 v8, v8, v11
	v_and_b32_e32 v85, v85, v10
	v_lshlrev_b32_e32 v11, 29, v62
	v_mov_b32_e32 v10, v9
	v_cmp_gt_i64_e64 s[46:47], 0, v[10:11]
	v_not_b32_e32 v10, v11
	v_ashrrev_i32_e32 v10, 31, v10
	v_xor_b32_e32 v11, s47, v10
	v_xor_b32_e32 v10, s46, v10
	v_and_b32_e32 v8, v8, v11
	v_and_b32_e32 v85, v85, v10
	v_lshlrev_b32_e32 v11, 28, v62
	v_mov_b32_e32 v10, v9
	v_cmp_gt_i64_e64 s[46:47], 0, v[10:11]
	v_not_b32_e32 v10, v11
	v_ashrrev_i32_e32 v10, 31, v10
	v_xor_b32_e32 v11, s47, v10
	v_xor_b32_e32 v10, s46, v10
	v_and_b32_e32 v8, v8, v11
	v_and_b32_e32 v85, v85, v10
	v_lshlrev_b32_e32 v11, 27, v62
	v_mov_b32_e32 v10, v9
	v_cmp_gt_i64_e64 s[46:47], 0, v[10:11]
	v_not_b32_e32 v10, v11
	v_ashrrev_i32_e32 v10, 31, v10
	v_xor_b32_e32 v11, s47, v10
	v_xor_b32_e32 v10, s46, v10
	v_and_b32_e32 v8, v8, v11
	v_and_b32_e32 v85, v85, v10
	v_lshlrev_b32_e32 v11, 26, v62
	v_mov_b32_e32 v10, v9
	v_cmp_gt_i64_e64 s[46:47], 0, v[10:11]
	v_not_b32_e32 v10, v11
	v_ashrrev_i32_e32 v10, 31, v10
	v_xor_b32_e32 v11, s47, v10
	v_xor_b32_e32 v10, s46, v10
	v_and_b32_e32 v10, v85, v10
	v_and_b32_e32 v11, v8, v11
	v_mbcnt_lo_u32_b32 v8, v10, 0
	v_mbcnt_hi_u32_b32 v85, v11, v8
	v_cmp_eq_u32_e64 s[46:47], 0, v85
	v_cmp_ne_u64_e64 s[48:49], 0, v[10:11]
	s_and_b64 s[46:47], s[48:49], s[46:47]
	v_add_u32_e32 v62, v43, v86
	; wave barrier
	s_and_saveexec_b64 s[4:5], s[46:47]
	s_cbranch_execz .LBB1011_75
; %bb.74:
	v_bcnt_u32_b32 v8, v10, 0
	v_bcnt_u32_b32 v8, v11, v8
	s_waitcnt lgkmcnt(0)
	v_add_u32_e32 v8, v84, v8
	ds_write_b32 v62, v8 offset:32
.LBB1011_75:
	s_or_b64 exec, exec, s[4:5]
	v_lshrrev_b32_e32 v8, s8, v58
	v_and_b32_e32 v58, s33, v8
	v_mad_u32_u24 v8, v58, 36, v43
	; wave barrier
	ds_read_b32 v86, v8 offset:32
	v_and_b32_e32 v8, 1, v58
	v_lshl_add_u64 v[10:11], v[8:9], 0, -1
	v_cmp_ne_u32_e64 s[46:47], 0, v8
	v_mul_u32_u24_e32 v88, 36, v58
	s_nop 0
	v_xor_b32_e32 v10, s46, v10
	v_xor_b32_e32 v8, s47, v11
	v_and_b32_e32 v87, exec_lo, v10
	v_lshlrev_b32_e32 v11, 30, v58
	v_mov_b32_e32 v10, v9
	v_cmp_gt_i64_e64 s[46:47], 0, v[10:11]
	v_not_b32_e32 v10, v11
	v_ashrrev_i32_e32 v10, 31, v10
	v_and_b32_e32 v8, exec_hi, v8
	v_xor_b32_e32 v11, s47, v10
	v_xor_b32_e32 v10, s46, v10
	v_and_b32_e32 v8, v8, v11
	v_and_b32_e32 v87, v87, v10
	v_lshlrev_b32_e32 v11, 29, v58
	v_mov_b32_e32 v10, v9
	v_cmp_gt_i64_e64 s[46:47], 0, v[10:11]
	v_not_b32_e32 v10, v11
	v_ashrrev_i32_e32 v10, 31, v10
	v_xor_b32_e32 v11, s47, v10
	v_xor_b32_e32 v10, s46, v10
	v_and_b32_e32 v8, v8, v11
	v_and_b32_e32 v87, v87, v10
	v_lshlrev_b32_e32 v11, 28, v58
	v_mov_b32_e32 v10, v9
	v_cmp_gt_i64_e64 s[46:47], 0, v[10:11]
	v_not_b32_e32 v10, v11
	v_ashrrev_i32_e32 v10, 31, v10
	;; [unrolled: 9-line block ×3, first 2 shown]
	v_xor_b32_e32 v11, s47, v10
	v_xor_b32_e32 v10, s46, v10
	v_and_b32_e32 v8, v8, v11
	v_lshlrev_b32_e32 v11, 26, v58
	v_and_b32_e32 v87, v87, v10
	v_mov_b32_e32 v10, v9
	v_not_b32_e32 v9, v11
	v_cmp_gt_i64_e64 s[46:47], 0, v[10:11]
	v_ashrrev_i32_e32 v9, 31, v9
	v_add_u32_e32 v58, v43, v88
	v_xor_b32_e32 v10, s47, v9
	v_xor_b32_e32 v11, s46, v9
	v_and_b32_e32 v9, v8, v10
	v_and_b32_e32 v8, v87, v11
	v_mbcnt_lo_u32_b32 v10, v8, 0
	v_mbcnt_hi_u32_b32 v87, v9, v10
	v_cmp_eq_u32_e64 s[46:47], 0, v87
	v_cmp_ne_u64_e64 s[48:49], 0, v[8:9]
	s_and_b64 s[46:47], s[48:49], s[46:47]
	; wave barrier
	s_and_saveexec_b64 s[4:5], s[46:47]
	s_cbranch_execz .LBB1011_77
; %bb.76:
	v_bcnt_u32_b32 v8, v8, 0
	v_bcnt_u32_b32 v8, v9, v8
	s_waitcnt lgkmcnt(0)
	v_add_u32_e32 v8, v86, v8
	ds_write_b32 v58, v8 offset:32
.LBB1011_77:
	s_or_b64 exec, exec, s[4:5]
	v_lshrrev_b32_e32 v8, s8, v55
	v_and_b32_e32 v55, s33, v8
	v_mad_u32_u24 v8, v55, 36, v43
	; wave barrier
	ds_read_b32 v88, v8 offset:32
	v_and_b32_e32 v8, 1, v55
	v_mov_b32_e32 v9, 0
	v_lshl_add_u64 v[10:11], v[8:9], 0, -1
	v_cmp_ne_u32_e64 s[46:47], 0, v8
	v_mul_u32_u24_e32 v90, 36, v55
	s_nop 0
	v_xor_b32_e32 v10, s46, v10
	v_xor_b32_e32 v8, s47, v11
	v_and_b32_e32 v89, exec_lo, v10
	v_lshlrev_b32_e32 v11, 30, v55
	v_mov_b32_e32 v10, v9
	v_cmp_gt_i64_e64 s[46:47], 0, v[10:11]
	v_not_b32_e32 v10, v11
	v_ashrrev_i32_e32 v10, 31, v10
	v_and_b32_e32 v8, exec_hi, v8
	v_xor_b32_e32 v11, s47, v10
	v_xor_b32_e32 v10, s46, v10
	v_and_b32_e32 v8, v8, v11
	v_and_b32_e32 v89, v89, v10
	v_lshlrev_b32_e32 v11, 29, v55
	v_mov_b32_e32 v10, v9
	v_cmp_gt_i64_e64 s[46:47], 0, v[10:11]
	v_not_b32_e32 v10, v11
	v_ashrrev_i32_e32 v10, 31, v10
	v_xor_b32_e32 v11, s47, v10
	v_xor_b32_e32 v10, s46, v10
	v_and_b32_e32 v8, v8, v11
	v_and_b32_e32 v89, v89, v10
	v_lshlrev_b32_e32 v11, 28, v55
	v_mov_b32_e32 v10, v9
	v_cmp_gt_i64_e64 s[46:47], 0, v[10:11]
	v_not_b32_e32 v10, v11
	v_ashrrev_i32_e32 v10, 31, v10
	;; [unrolled: 9-line block ×4, first 2 shown]
	v_xor_b32_e32 v11, s47, v10
	v_xor_b32_e32 v10, s46, v10
	v_and_b32_e32 v10, v89, v10
	v_and_b32_e32 v11, v8, v11
	v_mbcnt_lo_u32_b32 v8, v10, 0
	v_mbcnt_hi_u32_b32 v89, v11, v8
	v_cmp_eq_u32_e64 s[46:47], 0, v89
	v_cmp_ne_u64_e64 s[48:49], 0, v[10:11]
	s_and_b64 s[46:47], s[48:49], s[46:47]
	v_add_u32_e32 v55, v43, v90
	; wave barrier
	s_and_saveexec_b64 s[4:5], s[46:47]
	s_cbranch_execz .LBB1011_79
; %bb.78:
	v_bcnt_u32_b32 v8, v10, 0
	v_bcnt_u32_b32 v8, v11, v8
	s_waitcnt lgkmcnt(0)
	v_add_u32_e32 v8, v88, v8
	ds_write_b32 v55, v8 offset:32
.LBB1011_79:
	s_or_b64 exec, exec, s[4:5]
	v_lshrrev_b32_e32 v8, s8, v51
	v_and_b32_e32 v51, s33, v8
	v_mad_u32_u24 v8, v51, 36, v43
	; wave barrier
	ds_read_b32 v90, v8 offset:32
	v_and_b32_e32 v8, 1, v51
	v_lshl_add_u64 v[10:11], v[8:9], 0, -1
	v_cmp_ne_u32_e64 s[46:47], 0, v8
	v_mul_u32_u24_e32 v92, 36, v51
	s_nop 0
	v_xor_b32_e32 v10, s46, v10
	v_xor_b32_e32 v8, s47, v11
	v_and_b32_e32 v91, exec_lo, v10
	v_lshlrev_b32_e32 v11, 30, v51
	v_mov_b32_e32 v10, v9
	v_cmp_gt_i64_e64 s[46:47], 0, v[10:11]
	v_not_b32_e32 v10, v11
	v_ashrrev_i32_e32 v10, 31, v10
	v_and_b32_e32 v8, exec_hi, v8
	v_xor_b32_e32 v11, s47, v10
	v_xor_b32_e32 v10, s46, v10
	v_and_b32_e32 v8, v8, v11
	v_and_b32_e32 v91, v91, v10
	v_lshlrev_b32_e32 v11, 29, v51
	v_mov_b32_e32 v10, v9
	v_cmp_gt_i64_e64 s[46:47], 0, v[10:11]
	v_not_b32_e32 v10, v11
	v_ashrrev_i32_e32 v10, 31, v10
	v_xor_b32_e32 v11, s47, v10
	v_xor_b32_e32 v10, s46, v10
	v_and_b32_e32 v8, v8, v11
	v_and_b32_e32 v91, v91, v10
	v_lshlrev_b32_e32 v11, 28, v51
	v_mov_b32_e32 v10, v9
	v_cmp_gt_i64_e64 s[46:47], 0, v[10:11]
	v_not_b32_e32 v10, v11
	v_ashrrev_i32_e32 v10, 31, v10
	;; [unrolled: 9-line block ×3, first 2 shown]
	v_xor_b32_e32 v11, s47, v10
	v_xor_b32_e32 v10, s46, v10
	v_and_b32_e32 v8, v8, v11
	v_lshlrev_b32_e32 v11, 26, v51
	v_and_b32_e32 v91, v91, v10
	v_mov_b32_e32 v10, v9
	v_not_b32_e32 v9, v11
	v_cmp_gt_i64_e64 s[46:47], 0, v[10:11]
	v_ashrrev_i32_e32 v9, 31, v9
	v_add_u32_e32 v51, v43, v92
	v_xor_b32_e32 v10, s47, v9
	v_xor_b32_e32 v11, s46, v9
	v_and_b32_e32 v9, v8, v10
	v_and_b32_e32 v8, v91, v11
	v_mbcnt_lo_u32_b32 v10, v8, 0
	v_mbcnt_hi_u32_b32 v91, v9, v10
	v_cmp_eq_u32_e64 s[46:47], 0, v91
	v_cmp_ne_u64_e64 s[48:49], 0, v[8:9]
	s_and_b64 s[46:47], s[48:49], s[46:47]
	; wave barrier
	s_and_saveexec_b64 s[4:5], s[46:47]
	s_cbranch_execz .LBB1011_81
; %bb.80:
	v_bcnt_u32_b32 v8, v8, 0
	v_bcnt_u32_b32 v8, v9, v8
	s_waitcnt lgkmcnt(0)
	v_add_u32_e32 v8, v90, v8
	ds_write_b32 v51, v8 offset:32
.LBB1011_81:
	s_or_b64 exec, exec, s[4:5]
	v_lshrrev_b32_e32 v8, s8, v49
	v_and_b32_e32 v92, s33, v8
	v_mad_u32_u24 v8, v92, 36, v43
	; wave barrier
	ds_read_b32 v49, v8 offset:32
	v_and_b32_e32 v8, 1, v92
	v_mov_b32_e32 v9, 0
	v_lshl_add_u64 v[10:11], v[8:9], 0, -1
	v_cmp_ne_u32_e64 s[46:47], 0, v8
	v_mul_u32_u24_e32 v93, 36, v92
	s_nop 0
	v_xor_b32_e32 v10, s46, v10
	v_xor_b32_e32 v8, s47, v11
	v_and_b32_e32 v94, exec_lo, v10
	v_lshlrev_b32_e32 v11, 30, v92
	v_mov_b32_e32 v10, v9
	v_cmp_gt_i64_e64 s[46:47], 0, v[10:11]
	v_not_b32_e32 v10, v11
	v_ashrrev_i32_e32 v10, 31, v10
	v_and_b32_e32 v8, exec_hi, v8
	v_xor_b32_e32 v11, s47, v10
	v_xor_b32_e32 v10, s46, v10
	v_and_b32_e32 v8, v8, v11
	v_and_b32_e32 v94, v94, v10
	v_lshlrev_b32_e32 v11, 29, v92
	v_mov_b32_e32 v10, v9
	v_cmp_gt_i64_e64 s[46:47], 0, v[10:11]
	v_not_b32_e32 v10, v11
	v_ashrrev_i32_e32 v10, 31, v10
	v_xor_b32_e32 v11, s47, v10
	v_xor_b32_e32 v10, s46, v10
	v_and_b32_e32 v8, v8, v11
	v_and_b32_e32 v94, v94, v10
	v_lshlrev_b32_e32 v11, 28, v92
	v_mov_b32_e32 v10, v9
	v_cmp_gt_i64_e64 s[46:47], 0, v[10:11]
	v_not_b32_e32 v10, v11
	v_ashrrev_i32_e32 v10, 31, v10
	;; [unrolled: 9-line block ×4, first 2 shown]
	v_xor_b32_e32 v11, s47, v10
	v_xor_b32_e32 v10, s46, v10
	v_and_b32_e32 v10, v94, v10
	v_and_b32_e32 v11, v8, v11
	v_mbcnt_lo_u32_b32 v8, v10, 0
	v_mbcnt_hi_u32_b32 v92, v11, v8
	v_cmp_eq_u32_e64 s[46:47], 0, v92
	v_cmp_ne_u64_e64 s[48:49], 0, v[10:11]
	s_and_b64 s[46:47], s[48:49], s[46:47]
	v_add_u32_e32 v94, v43, v93
	; wave barrier
	s_and_saveexec_b64 s[4:5], s[46:47]
	s_cbranch_execz .LBB1011_83
; %bb.82:
	v_bcnt_u32_b32 v8, v10, 0
	v_bcnt_u32_b32 v8, v11, v8
	s_waitcnt lgkmcnt(0)
	v_add_u32_e32 v8, v49, v8
	ds_write_b32 v94, v8 offset:32
.LBB1011_83:
	s_or_b64 exec, exec, s[4:5]
	v_lshrrev_b32_e32 v8, s8, v44
	v_and_b32_e32 v44, s33, v8
	v_mad_u32_u24 v8, v44, 36, v43
	; wave barrier
	ds_read_b32 v93, v8 offset:32
	v_and_b32_e32 v8, 1, v44
	v_lshl_add_u64 v[10:11], v[8:9], 0, -1
	v_cmp_ne_u32_e64 s[46:47], 0, v8
	v_mul_u32_u24_e32 v96, 36, v44
	s_nop 0
	v_xor_b32_e32 v10, s46, v10
	v_xor_b32_e32 v8, s47, v11
	v_and_b32_e32 v95, exec_lo, v10
	v_lshlrev_b32_e32 v11, 30, v44
	v_mov_b32_e32 v10, v9
	v_cmp_gt_i64_e64 s[46:47], 0, v[10:11]
	v_not_b32_e32 v10, v11
	v_ashrrev_i32_e32 v10, 31, v10
	v_and_b32_e32 v8, exec_hi, v8
	v_xor_b32_e32 v11, s47, v10
	v_xor_b32_e32 v10, s46, v10
	v_and_b32_e32 v8, v8, v11
	v_and_b32_e32 v95, v95, v10
	v_lshlrev_b32_e32 v11, 29, v44
	v_mov_b32_e32 v10, v9
	v_cmp_gt_i64_e64 s[46:47], 0, v[10:11]
	v_not_b32_e32 v10, v11
	v_ashrrev_i32_e32 v10, 31, v10
	v_xor_b32_e32 v11, s47, v10
	v_xor_b32_e32 v10, s46, v10
	v_and_b32_e32 v8, v8, v11
	v_and_b32_e32 v95, v95, v10
	v_lshlrev_b32_e32 v11, 28, v44
	v_mov_b32_e32 v10, v9
	v_cmp_gt_i64_e64 s[46:47], 0, v[10:11]
	v_not_b32_e32 v10, v11
	v_ashrrev_i32_e32 v10, 31, v10
	;; [unrolled: 9-line block ×3, first 2 shown]
	v_xor_b32_e32 v11, s47, v10
	v_xor_b32_e32 v10, s46, v10
	v_and_b32_e32 v8, v8, v11
	v_lshlrev_b32_e32 v11, 26, v44
	v_and_b32_e32 v95, v95, v10
	v_mov_b32_e32 v10, v9
	v_not_b32_e32 v9, v11
	v_cmp_gt_i64_e64 s[46:47], 0, v[10:11]
	v_ashrrev_i32_e32 v9, 31, v9
	v_add_u32_e32 v44, v43, v96
	v_xor_b32_e32 v10, s47, v9
	v_xor_b32_e32 v11, s46, v9
	v_and_b32_e32 v9, v8, v10
	v_and_b32_e32 v8, v95, v11
	v_mbcnt_lo_u32_b32 v10, v8, 0
	v_mbcnt_hi_u32_b32 v95, v9, v10
	v_cmp_eq_u32_e64 s[46:47], 0, v95
	v_cmp_ne_u64_e64 s[48:49], 0, v[8:9]
	s_and_b64 s[46:47], s[48:49], s[46:47]
	; wave barrier
	s_and_saveexec_b64 s[4:5], s[46:47]
	s_cbranch_execz .LBB1011_85
; %bb.84:
	v_bcnt_u32_b32 v8, v8, 0
	v_bcnt_u32_b32 v8, v9, v8
	s_waitcnt lgkmcnt(0)
	v_add_u32_e32 v8, v93, v8
	ds_write_b32 v44, v8 offset:32
.LBB1011_85:
	s_or_b64 exec, exec, s[4:5]
	v_lshrrev_b32_e32 v8, s8, v40
	v_and_b32_e32 v40, s33, v8
	v_mad_u32_u24 v8, v40, 36, v43
	; wave barrier
	ds_read_b32 v96, v8 offset:32
	v_and_b32_e32 v8, 1, v40
	v_mov_b32_e32 v9, 0
	v_lshl_add_u64 v[10:11], v[8:9], 0, -1
	v_cmp_ne_u32_e64 s[46:47], 0, v8
	v_mul_u32_u24_e32 v98, 36, v40
	s_nop 0
	v_xor_b32_e32 v10, s46, v10
	v_xor_b32_e32 v8, s47, v11
	v_and_b32_e32 v97, exec_lo, v10
	v_lshlrev_b32_e32 v11, 30, v40
	v_mov_b32_e32 v10, v9
	v_cmp_gt_i64_e64 s[46:47], 0, v[10:11]
	v_not_b32_e32 v10, v11
	v_ashrrev_i32_e32 v10, 31, v10
	v_and_b32_e32 v8, exec_hi, v8
	v_xor_b32_e32 v11, s47, v10
	v_xor_b32_e32 v10, s46, v10
	v_and_b32_e32 v8, v8, v11
	v_and_b32_e32 v97, v97, v10
	v_lshlrev_b32_e32 v11, 29, v40
	v_mov_b32_e32 v10, v9
	v_cmp_gt_i64_e64 s[46:47], 0, v[10:11]
	v_not_b32_e32 v10, v11
	v_ashrrev_i32_e32 v10, 31, v10
	v_xor_b32_e32 v11, s47, v10
	v_xor_b32_e32 v10, s46, v10
	v_and_b32_e32 v8, v8, v11
	v_and_b32_e32 v97, v97, v10
	v_lshlrev_b32_e32 v11, 28, v40
	v_mov_b32_e32 v10, v9
	v_cmp_gt_i64_e64 s[46:47], 0, v[10:11]
	v_not_b32_e32 v10, v11
	v_ashrrev_i32_e32 v10, 31, v10
	;; [unrolled: 9-line block ×4, first 2 shown]
	v_xor_b32_e32 v11, s47, v10
	v_xor_b32_e32 v10, s46, v10
	v_and_b32_e32 v10, v97, v10
	v_and_b32_e32 v11, v8, v11
	v_mbcnt_lo_u32_b32 v8, v10, 0
	v_mbcnt_hi_u32_b32 v97, v11, v8
	v_cmp_eq_u32_e64 s[46:47], 0, v97
	v_cmp_ne_u64_e64 s[48:49], 0, v[10:11]
	s_and_b64 s[46:47], s[48:49], s[46:47]
	v_add_u32_e32 v40, v43, v98
	; wave barrier
	s_and_saveexec_b64 s[4:5], s[46:47]
	s_cbranch_execz .LBB1011_87
; %bb.86:
	v_bcnt_u32_b32 v8, v10, 0
	v_bcnt_u32_b32 v8, v11, v8
	s_waitcnt lgkmcnt(0)
	v_add_u32_e32 v8, v96, v8
	ds_write_b32 v40, v8 offset:32
.LBB1011_87:
	s_or_b64 exec, exec, s[4:5]
	v_lshrrev_b32_e32 v8, s8, v36
	v_and_b32_e32 v11, s33, v8
	v_mad_u32_u24 v8, v11, 36, v43
	; wave barrier
	ds_read_b32 v10, v8 offset:32
	v_and_b32_e32 v8, 1, v11
	v_lshl_add_u64 v[98:99], v[8:9], 0, -1
	v_cmp_ne_u32_e64 s[46:47], 0, v8
	v_mul_u32_u24_e32 v36, 36, v11
	v_add_u32_e32 v36, v43, v36
	v_xor_b32_e32 v98, s46, v98
	v_xor_b32_e32 v8, s47, v99
	v_and_b32_e32 v100, exec_lo, v98
	v_lshlrev_b32_e32 v99, 30, v11
	v_mov_b32_e32 v98, v9
	v_cmp_gt_i64_e64 s[46:47], 0, v[98:99]
	v_not_b32_e32 v98, v99
	v_ashrrev_i32_e32 v98, 31, v98
	v_and_b32_e32 v8, exec_hi, v8
	v_xor_b32_e32 v99, s47, v98
	v_xor_b32_e32 v98, s46, v98
	v_and_b32_e32 v8, v8, v99
	v_and_b32_e32 v100, v100, v98
	v_lshlrev_b32_e32 v99, 29, v11
	v_mov_b32_e32 v98, v9
	v_cmp_gt_i64_e64 s[46:47], 0, v[98:99]
	v_not_b32_e32 v98, v99
	v_ashrrev_i32_e32 v98, 31, v98
	v_xor_b32_e32 v99, s47, v98
	v_xor_b32_e32 v98, s46, v98
	v_and_b32_e32 v8, v8, v99
	v_and_b32_e32 v100, v100, v98
	v_lshlrev_b32_e32 v99, 28, v11
	v_mov_b32_e32 v98, v9
	v_cmp_gt_i64_e64 s[46:47], 0, v[98:99]
	v_not_b32_e32 v98, v99
	v_ashrrev_i32_e32 v98, 31, v98
	;; [unrolled: 9-line block ×3, first 2 shown]
	v_xor_b32_e32 v99, s47, v98
	v_xor_b32_e32 v98, s46, v98
	v_and_b32_e32 v8, v8, v99
	v_lshlrev_b32_e32 v99, 26, v11
	v_and_b32_e32 v100, v100, v98
	v_mov_b32_e32 v98, v9
	v_not_b32_e32 v9, v99
	v_cmp_gt_i64_e64 s[46:47], 0, v[98:99]
	v_ashrrev_i32_e32 v9, 31, v9
	s_nop 0
	v_xor_b32_e32 v11, s47, v9
	v_xor_b32_e32 v98, s46, v9
	v_and_b32_e32 v9, v8, v11
	v_and_b32_e32 v8, v100, v98
	v_mbcnt_lo_u32_b32 v11, v8, 0
	v_mbcnt_hi_u32_b32 v11, v9, v11
	v_cmp_eq_u32_e64 s[46:47], 0, v11
	v_cmp_ne_u64_e64 s[48:49], 0, v[8:9]
	s_and_b64 s[46:47], s[48:49], s[46:47]
	; wave barrier
	s_and_saveexec_b64 s[4:5], s[46:47]
	s_cbranch_execz .LBB1011_89
; %bb.88:
	v_bcnt_u32_b32 v8, v8, 0
	v_bcnt_u32_b32 v8, v9, v8
	s_waitcnt lgkmcnt(0)
	v_add_u32_e32 v8, v10, v8
	ds_write_b32 v36, v8 offset:32
.LBB1011_89:
	s_or_b64 exec, exec, s[4:5]
	; wave barrier
	s_waitcnt lgkmcnt(0)
	s_barrier
	ds_read_b64 v[8:9], v33 offset:32
	v_and_b32_e32 v43, 15, v15
	v_cmp_ne_u32_e64 s[46:47], 0, v43
	v_min_u32_e32 v18, 0x1c0, v18
	v_or_b32_e32 v18, 63, v18
	s_waitcnt lgkmcnt(0)
	v_add_u32_e32 v9, v9, v8
	s_nop 1
	v_mov_b32_dpp v98, v9 row_shr:1 row_mask:0xf bank_mask:0xf
	v_cndmask_b32_e64 v98, 0, v98, s[46:47]
	v_add_u32_e32 v9, v98, v9
	v_cmp_lt_u32_e64 s[46:47], 1, v43
	s_nop 0
	v_mov_b32_dpp v98, v9 row_shr:2 row_mask:0xf bank_mask:0xf
	v_cndmask_b32_e64 v98, 0, v98, s[46:47]
	v_add_u32_e32 v9, v9, v98
	v_cmp_lt_u32_e64 s[46:47], 3, v43
	;; [unrolled: 5-line block ×3, first 2 shown]
	s_nop 0
	v_mov_b32_dpp v98, v9 row_shr:8 row_mask:0xf bank_mask:0xf
	v_cndmask_b32_e64 v43, 0, v98, s[46:47]
	v_add_u32_e32 v9, v9, v43
	v_bfe_i32 v98, v15, 4, 1
	v_cmp_lt_u32_e64 s[46:47], 31, v15
	v_mov_b32_dpp v43, v9 row_bcast:15 row_mask:0xf bank_mask:0xf
	v_and_b32_e32 v43, v98, v43
	v_add_u32_e32 v9, v9, v43
	s_nop 1
	v_mov_b32_dpp v43, v9 row_bcast:31 row_mask:0xf bank_mask:0xf
	v_cndmask_b32_e64 v43, 0, v43, s[46:47]
	v_add_u32_e32 v9, v9, v43
	v_lshrrev_b32_e32 v43, 6, v2
	v_cmp_eq_u32_e64 s[46:47], v2, v18
	s_and_saveexec_b64 s[4:5], s[46:47]
; %bb.90:
	v_lshlrev_b32_e32 v18, 2, v43
	ds_write_b32 v18, v9
; %bb.91:
	s_or_b64 exec, exec, s[4:5]
	v_cmp_gt_u32_e64 s[46:47], 8, v2
	v_lshlrev_b32_e32 v18, 2, v2
	s_waitcnt lgkmcnt(0)
	s_barrier
	s_and_saveexec_b64 s[48:49], s[46:47]
	s_cbranch_execz .LBB1011_93
; %bb.92:
	ds_read_b32 v98, v18
	v_and_b32_e32 v99, 7, v15
	v_cmp_ne_u32_e64 s[46:47], 0, v99
	s_waitcnt lgkmcnt(0)
	v_mov_b32_dpp v100, v98 row_shr:1 row_mask:0xf bank_mask:0xf
	v_cndmask_b32_e64 v100, 0, v100, s[46:47]
	v_add_u32_e32 v98, v100, v98
	v_cmp_lt_u32_e64 s[46:47], 1, v99
	s_nop 0
	v_mov_b32_dpp v100, v98 row_shr:2 row_mask:0xf bank_mask:0xf
	v_cndmask_b32_e64 v100, 0, v100, s[46:47]
	v_add_u32_e32 v98, v98, v100
	v_cmp_lt_u32_e64 s[46:47], 3, v99
	s_nop 0
	v_mov_b32_dpp v100, v98 row_shr:4 row_mask:0xf bank_mask:0xf
	v_cndmask_b32_e64 v99, 0, v100, s[46:47]
	v_add_u32_e32 v98, v98, v99
	ds_write_b32 v18, v98
.LBB1011_93:
	s_or_b64 exec, exec, s[48:49]
	v_cmp_gt_u32_e64 s[48:49], 64, v2
	v_cmp_lt_u32_e64 s[46:47], 63, v2
	v_mov_b32_e32 v98, 0
	s_waitcnt lgkmcnt(0)
	s_barrier
	s_and_saveexec_b64 s[4:5], s[46:47]
; %bb.94:
	v_lshl_add_u32 v43, v43, 2, -4
	ds_read_b32 v98, v43
; %bb.95:
	s_or_b64 exec, exec, s[4:5]
	v_subrev_co_u32_e64 v43, s[50:51], 1, v15
	v_and_b32_e32 v99, 64, v15
	v_cmp_lt_i32_e64 s[52:53], v43, v99
	s_waitcnt lgkmcnt(0)
	v_add_u32_e32 v9, v98, v9
	v_cndmask_b32_e64 v15, v43, v15, s[52:53]
	v_lshlrev_b32_e32 v15, 2, v15
	ds_bpermute_b32 v9, v15, v9
                                        ; implicit-def: $vgpr15
	s_waitcnt lgkmcnt(0)
	v_cndmask_b32_e64 v9, v9, v98, s[50:51]
	v_cmp_ne_u32_e64 s[50:51], 0, v2
	s_nop 1
	v_cndmask_b32_e64 v98, 0, v9, s[50:51]
	v_add_u32_e32 v99, v98, v8
	ds_write_b64 v33, v[98:99] offset:32
	s_waitcnt lgkmcnt(0)
	s_barrier
	ds_read_b32 v8, v37 offset:32
	ds_read_b32 v9, v41 offset:32
	;; [unrolled: 1-line block ×22, first 2 shown]
                                        ; implicit-def: $vgpr33
	s_and_saveexec_b64 s[52:53], s[48:49]
	s_cbranch_execz .LBB1011_99
; %bb.96:
	v_mul_u32_u24_e32 v15, 36, v2
	ds_read_b32 v15, v15 offset:32
	v_add_u32_e32 v36, 1, v2
	v_cmp_ne_u32_e64 s[50:51], 64, v36
	v_mov_b32_e32 v33, 0x2c00
	s_and_saveexec_b64 s[4:5], s[50:51]
; %bb.97:
	v_mul_u32_u24_e32 v33, 36, v36
	ds_read_b32 v33, v33 offset:32
; %bb.98:
	s_or_b64 exec, exec, s[4:5]
	s_waitcnt lgkmcnt(0)
	v_sub_u32_e32 v33, v33, v15
.LBB1011_99:
	s_or_b64 exec, exec, s[52:53]
	s_waitcnt lgkmcnt(14)
	v_add_u32_e32 v72, v8, v34
	v_add3_u32 v65, v38, v35, v9
	v_add3_u32 v62, v42, v39, v37
	;; [unrolled: 1-line block ×7, first 2 shown]
	s_waitcnt lgkmcnt(13)
	v_add3_u32 v48, v68, v66, v63
	s_waitcnt lgkmcnt(12)
	v_add3_u32 v46, v73, v70, v67
	;; [unrolled: 2-line block ×7, first 2 shown]
	v_lshlrev_b32_e32 v78, 1, v72
	v_lshlrev_b32_e32 v75, 1, v65
	;; [unrolled: 1-line block ×13, first 2 shown]
	v_add3_u32 v41, v85, v84, v98
	v_add3_u32 v40, v87, v86, v99
	;; [unrolled: 1-line block ×4, first 2 shown]
	s_waitcnt lgkmcnt(2)
	v_add3_u32 v36, v95, v93, v102
	s_waitcnt lgkmcnt(1)
	v_add3_u32 v35, v97, v96, v103
	;; [unrolled: 2-line block ×3, first 2 shown]
	s_barrier
	ds_write_b16 v78, v5 offset:256
	ds_write_b16 v75, v3 offset:256
	;; [unrolled: 1-line block ×13, first 2 shown]
	v_lshlrev_b32_e32 v24, 1, v42
	ds_write_b16 v24, v23 offset:256
	v_lshlrev_b32_e32 v23, 1, v41
	v_lshlrev_b32_e32 v22, 1, v40
	;; [unrolled: 1-line block ×8, first 2 shown]
	v_mov_b32_e32 v9, 0
	ds_write_b16 v23, v26 offset:256
	ds_write_b16 v22, v25 offset:256
	;; [unrolled: 1-line block ×8, first 2 shown]
	s_and_saveexec_b64 s[50:51], s[48:49]
	s_cbranch_execz .LBB1011_109
; %bb.100:
	v_lshl_add_u32 v8, s2, 6, v2
	v_lshl_add_u64 v[10:11], v[8:9], 2, s[12:13]
	v_or_b32_e32 v3, 2.0, v33
	global_store_dword v[10:11], v3, off sc1
	s_mov_b64 s[52:53], 0
	s_brev_b32 s56, -4
	s_mov_b32 s57, s2
	v_mov_b32_e32 v3, 0
                                        ; implicit-def: $sgpr48_sgpr49
	s_branch .LBB1011_103
.LBB1011_101:                           ;   in Loop: Header=BB1011_103 Depth=1
	s_or_b64 exec, exec, s[4:5]
.LBB1011_102:                           ;   in Loop: Header=BB1011_103 Depth=1
	s_or_b64 exec, exec, s[54:55]
	v_and_b32_e32 v7, 0x3fffffff, v5
	v_add_u32_e32 v3, v7, v3
	v_cmp_gt_i32_e64 s[48:49], -2.0, v5
	s_and_b64 s[4:5], exec, s[48:49]
	s_or_b64 s[52:53], s[4:5], s[52:53]
	s_andn2_b64 exec, exec, s[52:53]
	s_cbranch_execz .LBB1011_108
.LBB1011_103:                           ; =>This Loop Header: Depth=1
                                        ;     Child Loop BB1011_106 Depth 2
	s_or_b64 s[48:49], s[48:49], exec
	s_cmp_eq_u32 s57, 0
	s_cbranch_scc1 .LBB1011_107
; %bb.104:                              ;   in Loop: Header=BB1011_103 Depth=1
	s_add_i32 s57, s57, -1
	v_lshl_or_b32 v8, s57, 6, v2
	v_lshl_add_u64 v[12:13], v[8:9], 2, s[12:13]
	global_load_dword v5, v[12:13], off sc1
	s_waitcnt vmcnt(0)
	v_cmp_gt_u32_e64 s[48:49], 2.0, v5
	s_and_saveexec_b64 s[54:55], s[48:49]
	s_cbranch_execz .LBB1011_102
; %bb.105:                              ;   in Loop: Header=BB1011_103 Depth=1
	s_mov_b64 s[4:5], 0
.LBB1011_106:                           ;   Parent Loop BB1011_103 Depth=1
                                        ; =>  This Inner Loop Header: Depth=2
	global_load_dword v5, v[12:13], off sc1
	s_waitcnt vmcnt(0)
	v_cmp_lt_u32_e64 s[48:49], s56, v5
	s_or_b64 s[4:5], s[48:49], s[4:5]
	s_andn2_b64 exec, exec, s[4:5]
	s_cbranch_execnz .LBB1011_106
	s_branch .LBB1011_101
.LBB1011_107:                           ;   in Loop: Header=BB1011_103 Depth=1
                                        ; implicit-def: $sgpr57
	s_and_b64 s[4:5], exec, s[48:49]
	s_or_b64 s[52:53], s[4:5], s[52:53]
	s_andn2_b64 exec, exec, s[52:53]
	s_cbranch_execnz .LBB1011_103
.LBB1011_108:
	s_or_b64 exec, exec, s[52:53]
	s_load_dwordx4 s[52:55], s[0:1], 0x28
	v_add_u32_e32 v5, v3, v33
	v_or_b32_e32 v5, 0x80000000, v5
	global_store_dword v[10:11], v5, off sc1
	v_sub_u32_e32 v3, v3, v15
	s_waitcnt lgkmcnt(0)
	global_load_dword v5, v18, s[52:53]
	s_waitcnt vmcnt(0)
	v_add_u32_e32 v3, v3, v5
	ds_write_b32 v18, v3
.LBB1011_109:
	s_or_b64 exec, exec, s[50:51]
	v_cmp_gt_u32_e64 s[48:49], s7, v2
	v_mov_b32_e32 v8, 0
	v_lshlrev_b32_e32 v3, 1, v2
	v_mov_b32_e32 v11, 0
	s_waitcnt lgkmcnt(0)
	s_barrier
	s_and_saveexec_b64 s[50:51], s[48:49]
	s_cbranch_execz .LBB1011_111
; %bb.110:
	v_sub_u32_e32 v5, v18, v3
	ds_read_u16 v5, v5 offset:256
	v_mov_b32_e32 v13, 0
	s_waitcnt lgkmcnt(0)
	v_lshrrev_b32_sdwa v7, s8, v5 dst_sel:DWORD dst_unused:UNUSED_PAD src0_sel:DWORD src1_sel:WORD_0
	v_and_b32_e32 v11, s33, v7
	v_lshlrev_b32_e32 v7, 2, v11
	ds_read_b32 v7, v7
	s_waitcnt lgkmcnt(0)
	v_add_u32_e32 v12, v7, v2
	v_lshl_add_u64 v[12:13], v[12:13], 1, s[94:95]
	global_store_short v[12:13], v5, off
.LBB1011_111:
	s_or_b64 exec, exec, s[50:51]
	v_add_u32_e32 v10, 0x200, v2
	v_cmp_gt_u32_e64 s[50:51], s7, v10
	s_and_saveexec_b64 s[52:53], s[50:51]
	s_cbranch_execz .LBB1011_113
; %bb.112:
	v_sub_u32_e32 v5, v18, v3
	ds_read_u16 v5, v5 offset:1280
	v_mov_b32_e32 v13, 0
	s_waitcnt lgkmcnt(0)
	v_lshrrev_b32_sdwa v7, s8, v5 dst_sel:DWORD dst_unused:UNUSED_PAD src0_sel:DWORD src1_sel:WORD_0
	v_and_b32_e32 v8, s33, v7
	v_lshlrev_b32_e32 v7, 2, v8
	ds_read_b32 v7, v7
	s_waitcnt lgkmcnt(0)
	v_add_u32_e32 v12, v7, v10
	v_lshl_add_u64 v[12:13], v[12:13], 1, s[94:95]
	global_store_short v[12:13], v5, off
.LBB1011_113:
	s_or_b64 exec, exec, s[52:53]
	v_or_b32_e32 v12, 0x400, v2
	v_cmp_gt_u32_e64 s[52:53], s7, v12
	v_mov_b32_e32 v9, 0
	v_mov_b32_e32 v26, 0
	s_and_saveexec_b64 s[54:55], s[52:53]
	s_cbranch_execz .LBB1011_115
; %bb.114:
	v_sub_u32_e32 v5, v18, v3
	ds_read_u16 v5, v5 offset:2304
	v_mov_b32_e32 v29, 0
	s_waitcnt lgkmcnt(0)
	v_lshrrev_b32_sdwa v7, s8, v5 dst_sel:DWORD dst_unused:UNUSED_PAD src0_sel:DWORD src1_sel:WORD_0
	v_and_b32_e32 v26, s33, v7
	v_lshlrev_b32_e32 v7, 2, v26
	ds_read_b32 v7, v7
	s_waitcnt lgkmcnt(0)
	v_add_u32_e32 v28, v7, v12
	v_lshl_add_u64 v[28:29], v[28:29], 1, s[94:95]
	global_store_short v[28:29], v5, off
.LBB1011_115:
	s_or_b64 exec, exec, s[54:55]
	v_add_u32_e32 v25, 0x600, v2
	v_cmp_gt_u32_e64 s[54:55], s7, v25
	s_and_saveexec_b64 s[56:57], s[54:55]
	s_cbranch_execz .LBB1011_117
; %bb.116:
	v_sub_u32_e32 v5, v18, v3
	ds_read_u16 v5, v5 offset:3328
	v_mov_b32_e32 v29, 0
	s_waitcnt lgkmcnt(0)
	v_lshrrev_b32_sdwa v7, s8, v5 dst_sel:DWORD dst_unused:UNUSED_PAD src0_sel:DWORD src1_sel:WORD_0
	v_and_b32_e32 v9, s33, v7
	v_lshlrev_b32_e32 v7, 2, v9
	ds_read_b32 v7, v7
	s_waitcnt lgkmcnt(0)
	v_add_u32_e32 v28, v7, v25
	v_lshl_add_u64 v[28:29], v[28:29], 1, s[94:95]
	global_store_short v[28:29], v5, off
.LBB1011_117:
	s_or_b64 exec, exec, s[56:57]
	v_or_b32_e32 v27, 0x800, v2
	v_cmp_gt_u32_e64 s[56:57], s7, v27
	v_mov_b32_e32 v13, 0
	v_mov_b32_e32 v30, 0
	;; [unrolled: 40-line block ×3, first 2 shown]
	s_and_saveexec_b64 s[62:63], s[60:61]
	s_cbranch_execz .LBB1011_123
; %bb.122:
	v_sub_u32_e32 v5, v18, v3
	ds_read_u16 v5, v5 offset:6400
	v_mov_b32_e32 v69, 0
	s_waitcnt lgkmcnt(0)
	v_lshrrev_b32_sdwa v7, s8, v5 dst_sel:DWORD dst_unused:UNUSED_PAD src0_sel:DWORD src1_sel:WORD_0
	v_and_b32_e32 v64, s33, v7
	v_lshlrev_b32_e32 v7, 2, v64
	ds_read_b32 v7, v7
	s_waitcnt lgkmcnt(0)
	v_add_u32_e32 v68, v7, v31
	v_lshl_add_u64 v[68:69], v[68:69], 1, s[94:95]
	global_store_short v[68:69], v5, off
.LBB1011_123:
	s_or_b64 exec, exec, s[62:63]
	v_add_u32_e32 v63, 0xe00, v2
	v_cmp_gt_u32_e64 s[62:63], s7, v63
	s_and_saveexec_b64 s[64:65], s[62:63]
	s_cbranch_execz .LBB1011_125
; %bb.124:
	ds_read_u16 v5, v3 offset:7424
	v_mov_b32_e32 v69, 0
	s_waitcnt lgkmcnt(0)
	v_lshrrev_b32_sdwa v7, s8, v5 dst_sel:DWORD dst_unused:UNUSED_PAD src0_sel:DWORD src1_sel:WORD_0
	v_and_b32_e32 v28, s33, v7
	v_lshlrev_b32_e32 v7, 2, v28
	ds_read_b32 v7, v7
	s_waitcnt lgkmcnt(0)
	v_add_u32_e32 v68, v7, v63
	v_lshl_add_u64 v[68:69], v[68:69], 1, s[94:95]
	global_store_short v[68:69], v5, off
.LBB1011_125:
	s_or_b64 exec, exec, s[64:65]
	v_or_b32_e32 v66, 0x1000, v2
	v_cmp_gt_u32_e64 s[64:65], s7, v66
	v_mov_b32_e32 v32, 0
	v_mov_b32_e32 v71, 0
	s_and_saveexec_b64 s[66:67], s[64:65]
	s_cbranch_execz .LBB1011_127
; %bb.126:
	ds_read_u16 v5, v3 offset:8448
	v_mov_b32_e32 v69, 0
	s_waitcnt lgkmcnt(0)
	v_lshrrev_b32_sdwa v7, s8, v5 dst_sel:DWORD dst_unused:UNUSED_PAD src0_sel:DWORD src1_sel:WORD_0
	v_and_b32_e32 v71, s33, v7
	v_lshlrev_b32_e32 v7, 2, v71
	ds_read_b32 v7, v7
	s_waitcnt lgkmcnt(0)
	v_add_u32_e32 v68, v7, v66
	v_lshl_add_u64 v[68:69], v[68:69], 1, s[94:95]
	global_store_short v[68:69], v5, off
.LBB1011_127:
	s_or_b64 exec, exec, s[66:67]
	v_add_u32_e32 v69, 0x1200, v2
	v_cmp_gt_u32_e64 s[66:67], s7, v69
	s_and_saveexec_b64 s[68:69], s[66:67]
	s_cbranch_execz .LBB1011_129
; %bb.128:
	ds_read_u16 v5, v3 offset:9472
	v_mov_b32_e32 v77, 0
	s_waitcnt lgkmcnt(0)
	v_lshrrev_b32_sdwa v7, s8, v5 dst_sel:DWORD dst_unused:UNUSED_PAD src0_sel:DWORD src1_sel:WORD_0
	v_and_b32_e32 v32, s33, v7
	v_lshlrev_b32_e32 v7, 2, v32
	ds_read_b32 v7, v7
	s_waitcnt lgkmcnt(0)
	v_add_u32_e32 v76, v7, v69
	v_lshl_add_u64 v[76:77], v[76:77], 1, s[94:95]
	global_store_short v[76:77], v5, off
.LBB1011_129:
	s_or_b64 exec, exec, s[68:69]
	v_or_b32_e32 v73, 0x1400, v2
	v_cmp_gt_u32_e64 s[68:69], s7, v73
	v_mov_b32_e32 v68, 0
	v_mov_b32_e32 v77, 0
	s_and_saveexec_b64 s[70:71], s[68:69]
	s_cbranch_execz .LBB1011_131
; %bb.130:
	ds_read_u16 v5, v3 offset:10496
	v_mov_b32_e32 v81, 0
	s_waitcnt lgkmcnt(0)
	v_lshrrev_b32_sdwa v7, s8, v5 dst_sel:DWORD dst_unused:UNUSED_PAD src0_sel:DWORD src1_sel:WORD_0
	v_and_b32_e32 v77, s33, v7
	v_lshlrev_b32_e32 v7, 2, v77
	ds_read_b32 v7, v7
	s_waitcnt lgkmcnt(0)
	v_add_u32_e32 v80, v7, v73
	v_lshl_add_u64 v[80:81], v[80:81], 1, s[94:95]
	global_store_short v[80:81], v5, off
.LBB1011_131:
	;; [unrolled: 38-line block ×7, first 2 shown]
	s_or_b64 exec, exec, s[90:91]
	v_add_u32_e32 v96, 0x2a00, v2
	v_cmp_gt_u32_e64 s[90:91], s7, v96
	s_and_saveexec_b64 s[4:5], s[90:91]
	s_cbranch_execz .LBB1011_153
; %bb.152:
	ds_read_u16 v5, v3 offset:21760
	v_mov_b32_e32 v99, 0
	s_waitcnt lgkmcnt(0)
	v_lshrrev_b32_sdwa v7, s8, v5 dst_sel:DWORD dst_unused:UNUSED_PAD src0_sel:DWORD src1_sel:WORD_0
	v_and_b32_e32 v92, s33, v7
	v_lshlrev_b32_e32 v7, 2, v92
	ds_read_b32 v7, v7
	s_waitcnt lgkmcnt(0)
	v_add_u32_e32 v98, v7, v96
	v_lshl_add_u64 v[98:99], v[98:99], 1, s[94:95]
	global_store_short v[98:99], v5, off
.LBB1011_153:
	s_or_b64 exec, exec, s[4:5]
	s_add_u32 s4, s96, s10
	s_addc_u32 s5, s97, s11
	v_mov_b32_e32 v5, 0
	v_lshl_add_u64 v[98:99], s[4:5], 0, v[4:5]
	v_mov_b32_e32 v7, v5
	v_lshl_add_u64 v[4:5], v[98:99], 0, v[6:7]
                                        ; implicit-def: $vgpr6
	s_mov_b64 s[4:5], exec
	v_readlane_b32 s10, v118, 4
	v_readlane_b32 s11, v118, 5
	s_and_b64 s[10:11], s[4:5], s[10:11]
	s_xor_b64 s[4:5], s[10:11], s[4:5]
	s_mov_b64 exec, s[10:11]
	s_cbranch_execz .LBB1011_155
; %bb.154:
	global_load_ushort v6, v[4:5], off
.LBB1011_155:
	s_or_b64 exec, exec, s[4:5]
                                        ; implicit-def: $vgpr7
	s_mov_b64 s[4:5], exec
	v_readlane_b32 s10, v118, 6
	v_readlane_b32 s11, v118, 7
	s_and_b64 s[10:11], s[4:5], s[10:11]
	s_mov_b64 exec, s[10:11]
	s_cbranch_execz .LBB1011_157
; %bb.156:
	global_load_ushort v7, v[4:5], off offset:128
.LBB1011_157:
	s_or_b64 exec, exec, s[4:5]
                                        ; implicit-def: $vgpr98
	s_mov_b64 s[4:5], exec
	v_readlane_b32 s10, v118, 8
	v_readlane_b32 s11, v118, 9
	s_and_b64 s[10:11], s[4:5], s[10:11]
	s_mov_b64 exec, s[10:11]
	s_cbranch_execz .LBB1011_159
; %bb.158:
	global_load_ushort v98, v[4:5], off offset:256
.LBB1011_159:
	s_or_b64 exec, exec, s[4:5]
                                        ; implicit-def: $vgpr99
	s_mov_b64 s[4:5], exec
	v_readlane_b32 s10, v118, 10
	v_readlane_b32 s11, v118, 11
	s_and_b64 s[10:11], s[4:5], s[10:11]
	s_mov_b64 exec, s[10:11]
	s_cbranch_execz .LBB1011_161
; %bb.160:
	global_load_ushort v99, v[4:5], off offset:384
.LBB1011_161:
	s_or_b64 exec, exec, s[4:5]
                                        ; implicit-def: $vgpr100
	s_mov_b64 s[4:5], exec
	v_readlane_b32 s10, v118, 12
	v_readlane_b32 s11, v118, 13
	s_and_b64 s[10:11], s[4:5], s[10:11]
	s_mov_b64 exec, s[10:11]
	s_cbranch_execz .LBB1011_163
; %bb.162:
	global_load_ushort v100, v[4:5], off offset:512
.LBB1011_163:
	s_or_b64 exec, exec, s[4:5]
                                        ; implicit-def: $vgpr101
	s_mov_b64 s[4:5], exec
	v_readlane_b32 s10, v118, 14
	v_readlane_b32 s11, v118, 15
	s_and_b64 s[10:11], s[4:5], s[10:11]
	s_mov_b64 exec, s[10:11]
	s_cbranch_execz .LBB1011_165
; %bb.164:
	global_load_ushort v101, v[4:5], off offset:640
.LBB1011_165:
	s_or_b64 exec, exec, s[4:5]
                                        ; implicit-def: $vgpr102
	s_mov_b64 s[4:5], exec
	v_readlane_b32 s10, v118, 16
	v_readlane_b32 s11, v118, 17
	s_and_b64 s[10:11], s[4:5], s[10:11]
	s_mov_b64 exec, s[10:11]
	s_cbranch_execz .LBB1011_181
; %bb.166:
	global_load_ushort v102, v[4:5], off offset:768
	s_or_b64 exec, exec, s[4:5]
                                        ; implicit-def: $vgpr103
	s_and_saveexec_b64 s[4:5], vcc
	s_cbranch_execnz .LBB1011_182
.LBB1011_167:
	s_or_b64 exec, exec, s[4:5]
                                        ; implicit-def: $vgpr104
	s_and_saveexec_b64 s[4:5], s[16:17]
	s_cbranch_execz .LBB1011_183
.LBB1011_168:
	global_load_ushort v104, v[4:5], off offset:1024
	s_or_b64 exec, exec, s[4:5]
                                        ; implicit-def: $vgpr105
	s_and_saveexec_b64 s[4:5], s[18:19]
	s_cbranch_execnz .LBB1011_184
.LBB1011_169:
	s_or_b64 exec, exec, s[4:5]
                                        ; implicit-def: $vgpr106
	s_and_saveexec_b64 s[4:5], s[20:21]
	s_cbranch_execz .LBB1011_185
.LBB1011_170:
	global_load_ushort v106, v[4:5], off offset:1280
	s_or_b64 exec, exec, s[4:5]
                                        ; implicit-def: $vgpr107
	s_and_saveexec_b64 s[4:5], s[22:23]
	s_cbranch_execnz .LBB1011_186
.LBB1011_171:
	s_or_b64 exec, exec, s[4:5]
                                        ; implicit-def: $vgpr108
	s_and_saveexec_b64 s[4:5], s[24:25]
	s_cbranch_execz .LBB1011_187
.LBB1011_172:
	global_load_ushort v108, v[4:5], off offset:1536
	s_or_b64 exec, exec, s[4:5]
                                        ; implicit-def: $vgpr109
	s_and_saveexec_b64 s[4:5], s[26:27]
	s_cbranch_execnz .LBB1011_188
.LBB1011_173:
	s_or_b64 exec, exec, s[4:5]
                                        ; implicit-def: $vgpr110
	s_and_saveexec_b64 s[4:5], s[28:29]
	s_cbranch_execz .LBB1011_189
.LBB1011_174:
	global_load_ushort v110, v[4:5], off offset:1792
	s_or_b64 exec, exec, s[4:5]
                                        ; implicit-def: $vgpr111
	s_and_saveexec_b64 s[4:5], s[30:31]
	s_cbranch_execnz .LBB1011_190
.LBB1011_175:
	s_or_b64 exec, exec, s[4:5]
                                        ; implicit-def: $vgpr112
	s_and_saveexec_b64 s[4:5], s[34:35]
	s_cbranch_execz .LBB1011_191
.LBB1011_176:
	global_load_ushort v112, v[4:5], off offset:2048
	s_or_b64 exec, exec, s[4:5]
                                        ; implicit-def: $vgpr113
	s_and_saveexec_b64 s[4:5], s[36:37]
	s_cbranch_execnz .LBB1011_192
.LBB1011_177:
	s_or_b64 exec, exec, s[4:5]
                                        ; implicit-def: $vgpr114
	s_and_saveexec_b64 s[4:5], s[38:39]
	s_cbranch_execz .LBB1011_193
.LBB1011_178:
	global_load_ushort v114, v[4:5], off offset:2304
	s_or_b64 exec, exec, s[4:5]
                                        ; implicit-def: $vgpr115
	s_and_saveexec_b64 s[4:5], s[40:41]
	s_cbranch_execnz .LBB1011_194
.LBB1011_179:
	s_or_b64 exec, exec, s[4:5]
                                        ; implicit-def: $vgpr116
	s_and_saveexec_b64 s[4:5], s[42:43]
	s_cbranch_execz .LBB1011_195
.LBB1011_180:
	global_load_ushort v116, v[4:5], off offset:2560
	s_or_b64 exec, exec, s[4:5]
                                        ; implicit-def: $vgpr117
	s_and_saveexec_b64 s[4:5], s[44:45]
	s_cbranch_execnz .LBB1011_196
	s_branch .LBB1011_197
.LBB1011_181:
	s_or_b64 exec, exec, s[4:5]
                                        ; implicit-def: $vgpr103
	s_and_saveexec_b64 s[4:5], vcc
	s_cbranch_execz .LBB1011_167
.LBB1011_182:
	global_load_ushort v103, v[4:5], off offset:896
	s_or_b64 exec, exec, s[4:5]
                                        ; implicit-def: $vgpr104
	s_and_saveexec_b64 s[4:5], s[16:17]
	s_cbranch_execnz .LBB1011_168
.LBB1011_183:
	s_or_b64 exec, exec, s[4:5]
                                        ; implicit-def: $vgpr105
	s_and_saveexec_b64 s[4:5], s[18:19]
	s_cbranch_execz .LBB1011_169
.LBB1011_184:
	global_load_ushort v105, v[4:5], off offset:1152
	s_or_b64 exec, exec, s[4:5]
                                        ; implicit-def: $vgpr106
	s_and_saveexec_b64 s[4:5], s[20:21]
	s_cbranch_execnz .LBB1011_170
.LBB1011_185:
	s_or_b64 exec, exec, s[4:5]
                                        ; implicit-def: $vgpr107
	s_and_saveexec_b64 s[4:5], s[22:23]
	s_cbranch_execz .LBB1011_171
.LBB1011_186:
	global_load_ushort v107, v[4:5], off offset:1408
	s_or_b64 exec, exec, s[4:5]
                                        ; implicit-def: $vgpr108
	s_and_saveexec_b64 s[4:5], s[24:25]
	s_cbranch_execnz .LBB1011_172
.LBB1011_187:
	s_or_b64 exec, exec, s[4:5]
                                        ; implicit-def: $vgpr109
	s_and_saveexec_b64 s[4:5], s[26:27]
	s_cbranch_execz .LBB1011_173
.LBB1011_188:
	global_load_ushort v109, v[4:5], off offset:1664
	s_or_b64 exec, exec, s[4:5]
                                        ; implicit-def: $vgpr110
	s_and_saveexec_b64 s[4:5], s[28:29]
	s_cbranch_execnz .LBB1011_174
.LBB1011_189:
	s_or_b64 exec, exec, s[4:5]
                                        ; implicit-def: $vgpr111
	s_and_saveexec_b64 s[4:5], s[30:31]
	s_cbranch_execz .LBB1011_175
.LBB1011_190:
	global_load_ushort v111, v[4:5], off offset:1920
	s_or_b64 exec, exec, s[4:5]
                                        ; implicit-def: $vgpr112
	s_and_saveexec_b64 s[4:5], s[34:35]
	s_cbranch_execnz .LBB1011_176
.LBB1011_191:
	s_or_b64 exec, exec, s[4:5]
                                        ; implicit-def: $vgpr113
	s_and_saveexec_b64 s[4:5], s[36:37]
	s_cbranch_execz .LBB1011_177
.LBB1011_192:
	global_load_ushort v113, v[4:5], off offset:2176
	s_or_b64 exec, exec, s[4:5]
                                        ; implicit-def: $vgpr114
	s_and_saveexec_b64 s[4:5], s[38:39]
	s_cbranch_execnz .LBB1011_178
.LBB1011_193:
	s_or_b64 exec, exec, s[4:5]
                                        ; implicit-def: $vgpr115
	s_and_saveexec_b64 s[4:5], s[40:41]
	s_cbranch_execz .LBB1011_179
.LBB1011_194:
	global_load_ushort v115, v[4:5], off offset:2432
	s_or_b64 exec, exec, s[4:5]
                                        ; implicit-def: $vgpr116
	s_and_saveexec_b64 s[4:5], s[42:43]
	s_cbranch_execnz .LBB1011_180
.LBB1011_195:
	s_or_b64 exec, exec, s[4:5]
                                        ; implicit-def: $vgpr117
	s_and_saveexec_b64 s[4:5], s[44:45]
	s_cbranch_execz .LBB1011_197
.LBB1011_196:
	global_load_ushort v117, v[4:5], off offset:2688
.LBB1011_197:
	s_or_b64 exec, exec, s[4:5]
	s_movk_i32 s7, 0x2c00
	v_cmp_gt_u32_e32 vcc, s7, v72
	s_barrier
	s_and_saveexec_b64 s[4:5], vcc
	s_cbranch_execz .LBB1011_219
; %bb.198:
	s_waitcnt vmcnt(0)
	ds_write_b16 v78, v6 offset:256
	s_or_b64 exec, exec, s[4:5]
	v_cmp_gt_u32_e32 vcc, s7, v65
	s_and_saveexec_b64 s[4:5], vcc
	s_cbranch_execnz .LBB1011_220
.LBB1011_199:
	s_or_b64 exec, exec, s[4:5]
	v_cmp_gt_u32_e32 vcc, s7, v62
	s_and_saveexec_b64 s[4:5], vcc
	s_cbranch_execz .LBB1011_221
.LBB1011_200:
	s_waitcnt vmcnt(0)
	ds_write_b16 v70, v98 offset:256
	s_or_b64 exec, exec, s[4:5]
	v_cmp_gt_u32_e32 vcc, s7, v59
	s_and_saveexec_b64 s[4:5], vcc
	s_cbranch_execnz .LBB1011_222
.LBB1011_201:
	s_or_b64 exec, exec, s[4:5]
	v_cmp_gt_u32_e32 vcc, s7, v58
	s_and_saveexec_b64 s[4:5], vcc
	s_cbranch_execz .LBB1011_223
.LBB1011_202:
	s_waitcnt vmcnt(0)
	ds_write_b16 v61, v100 offset:256
	s_or_b64 exec, exec, s[4:5]
	v_cmp_gt_u32_e32 vcc, s7, v55
	s_and_saveexec_b64 s[4:5], vcc
	s_cbranch_execnz .LBB1011_224
.LBB1011_203:
	s_or_b64 exec, exec, s[4:5]
	v_cmp_gt_u32_e32 vcc, s7, v53
	s_and_saveexec_b64 s[4:5], vcc
	s_cbranch_execz .LBB1011_225
.LBB1011_204:
	s_waitcnt vmcnt(0)
	ds_write_b16 v57, v102 offset:256
	s_or_b64 exec, exec, s[4:5]
	v_cmp_gt_u32_e32 vcc, s7, v51
	s_and_saveexec_b64 s[4:5], vcc
	s_cbranch_execnz .LBB1011_226
.LBB1011_205:
	s_or_b64 exec, exec, s[4:5]
	v_cmp_gt_u32_e32 vcc, s7, v48
	s_and_saveexec_b64 s[4:5], vcc
	s_cbranch_execz .LBB1011_227
.LBB1011_206:
	s_waitcnt vmcnt(0)
	ds_write_b16 v54, v104 offset:256
	s_or_b64 exec, exec, s[4:5]
	v_cmp_gt_u32_e32 vcc, s7, v46
	s_and_saveexec_b64 s[4:5], vcc
	s_cbranch_execnz .LBB1011_228
.LBB1011_207:
	s_or_b64 exec, exec, s[4:5]
	v_cmp_gt_u32_e32 vcc, s7, v45
	s_and_saveexec_b64 s[4:5], vcc
	s_cbranch_execz .LBB1011_229
.LBB1011_208:
	s_waitcnt vmcnt(0)
	ds_write_b16 v50, v106 offset:256
	s_or_b64 exec, exec, s[4:5]
	v_cmp_gt_u32_e32 vcc, s7, v44
	s_and_saveexec_b64 s[4:5], vcc
	s_cbranch_execnz .LBB1011_230
.LBB1011_209:
	s_or_b64 exec, exec, s[4:5]
	v_cmp_gt_u32_e32 vcc, s7, v43
	s_and_saveexec_b64 s[4:5], vcc
	s_cbranch_execz .LBB1011_231
.LBB1011_210:
	s_waitcnt vmcnt(0)
	ds_write_b16 v47, v108 offset:256
	s_or_b64 exec, exec, s[4:5]
	v_cmp_gt_u32_e32 vcc, s7, v42
	s_and_saveexec_b64 s[4:5], vcc
	s_cbranch_execnz .LBB1011_232
.LBB1011_211:
	s_or_b64 exec, exec, s[4:5]
	v_cmp_gt_u32_e32 vcc, s7, v41
	s_and_saveexec_b64 s[4:5], vcc
	s_cbranch_execz .LBB1011_233
.LBB1011_212:
	s_waitcnt vmcnt(0)
	ds_write_b16 v23, v110 offset:256
	s_or_b64 exec, exec, s[4:5]
	v_cmp_gt_u32_e32 vcc, s7, v40
	s_and_saveexec_b64 s[4:5], vcc
	s_cbranch_execnz .LBB1011_234
.LBB1011_213:
	s_or_b64 exec, exec, s[4:5]
	v_cmp_gt_u32_e32 vcc, s7, v39
	s_and_saveexec_b64 s[4:5], vcc
	s_cbranch_execz .LBB1011_235
.LBB1011_214:
	s_waitcnt vmcnt(0)
	ds_write_b16 v21, v112 offset:256
	s_or_b64 exec, exec, s[4:5]
	v_cmp_gt_u32_e32 vcc, s7, v38
	s_and_saveexec_b64 s[4:5], vcc
	s_cbranch_execnz .LBB1011_236
.LBB1011_215:
	s_or_b64 exec, exec, s[4:5]
	v_cmp_gt_u32_e32 vcc, s7, v37
	s_and_saveexec_b64 s[4:5], vcc
	s_cbranch_execz .LBB1011_237
.LBB1011_216:
	s_waitcnt vmcnt(0)
	ds_write_b16 v19, v114 offset:256
	s_or_b64 exec, exec, s[4:5]
	v_cmp_gt_u32_e32 vcc, s7, v36
	s_and_saveexec_b64 s[4:5], vcc
	s_cbranch_execnz .LBB1011_238
.LBB1011_217:
	s_or_b64 exec, exec, s[4:5]
	v_cmp_gt_u32_e32 vcc, s7, v35
	s_and_saveexec_b64 s[4:5], vcc
	s_cbranch_execz .LBB1011_239
.LBB1011_218:
	s_waitcnt vmcnt(0)
	ds_write_b16 v16, v116 offset:256
	s_or_b64 exec, exec, s[4:5]
	v_cmp_gt_u32_e32 vcc, s7, v34
	s_and_saveexec_b64 s[4:5], vcc
	s_cbranch_execnz .LBB1011_240
	s_branch .LBB1011_241
.LBB1011_219:
	s_or_b64 exec, exec, s[4:5]
	v_cmp_gt_u32_e32 vcc, s7, v65
	s_and_saveexec_b64 s[4:5], vcc
	s_cbranch_execz .LBB1011_199
.LBB1011_220:
	s_waitcnt vmcnt(0)
	ds_write_b16 v75, v7 offset:256
	s_or_b64 exec, exec, s[4:5]
	v_cmp_gt_u32_e32 vcc, s7, v62
	s_and_saveexec_b64 s[4:5], vcc
	s_cbranch_execnz .LBB1011_200
.LBB1011_221:
	s_or_b64 exec, exec, s[4:5]
	v_cmp_gt_u32_e32 vcc, s7, v59
	s_and_saveexec_b64 s[4:5], vcc
	s_cbranch_execz .LBB1011_201
.LBB1011_222:
	s_waitcnt vmcnt(0)
	ds_write_b16 v67, v99 offset:256
	s_or_b64 exec, exec, s[4:5]
	v_cmp_gt_u32_e32 vcc, s7, v58
	s_and_saveexec_b64 s[4:5], vcc
	s_cbranch_execnz .LBB1011_202
.LBB1011_223:
	s_or_b64 exec, exec, s[4:5]
	v_cmp_gt_u32_e32 vcc, s7, v55
	s_and_saveexec_b64 s[4:5], vcc
	s_cbranch_execz .LBB1011_203
.LBB1011_224:
	s_waitcnt vmcnt(0)
	ds_write_b16 v60, v101 offset:256
	s_or_b64 exec, exec, s[4:5]
	v_cmp_gt_u32_e32 vcc, s7, v53
	s_and_saveexec_b64 s[4:5], vcc
	s_cbranch_execnz .LBB1011_204
.LBB1011_225:
	s_or_b64 exec, exec, s[4:5]
	v_cmp_gt_u32_e32 vcc, s7, v51
	s_and_saveexec_b64 s[4:5], vcc
	s_cbranch_execz .LBB1011_205
.LBB1011_226:
	s_waitcnt vmcnt(0)
	ds_write_b16 v56, v103 offset:256
	s_or_b64 exec, exec, s[4:5]
	v_cmp_gt_u32_e32 vcc, s7, v48
	s_and_saveexec_b64 s[4:5], vcc
	s_cbranch_execnz .LBB1011_206
.LBB1011_227:
	s_or_b64 exec, exec, s[4:5]
	v_cmp_gt_u32_e32 vcc, s7, v46
	s_and_saveexec_b64 s[4:5], vcc
	s_cbranch_execz .LBB1011_207
.LBB1011_228:
	s_waitcnt vmcnt(0)
	ds_write_b16 v52, v105 offset:256
	s_or_b64 exec, exec, s[4:5]
	v_cmp_gt_u32_e32 vcc, s7, v45
	s_and_saveexec_b64 s[4:5], vcc
	s_cbranch_execnz .LBB1011_208
.LBB1011_229:
	s_or_b64 exec, exec, s[4:5]
	v_cmp_gt_u32_e32 vcc, s7, v44
	s_and_saveexec_b64 s[4:5], vcc
	s_cbranch_execz .LBB1011_209
.LBB1011_230:
	s_waitcnt vmcnt(0)
	ds_write_b16 v49, v107 offset:256
	s_or_b64 exec, exec, s[4:5]
	v_cmp_gt_u32_e32 vcc, s7, v43
	s_and_saveexec_b64 s[4:5], vcc
	s_cbranch_execnz .LBB1011_210
.LBB1011_231:
	s_or_b64 exec, exec, s[4:5]
	v_cmp_gt_u32_e32 vcc, s7, v42
	s_and_saveexec_b64 s[4:5], vcc
	s_cbranch_execz .LBB1011_211
.LBB1011_232:
	s_waitcnt vmcnt(0)
	ds_write_b16 v24, v109 offset:256
	s_or_b64 exec, exec, s[4:5]
	v_cmp_gt_u32_e32 vcc, s7, v41
	s_and_saveexec_b64 s[4:5], vcc
	s_cbranch_execnz .LBB1011_212
.LBB1011_233:
	s_or_b64 exec, exec, s[4:5]
	v_cmp_gt_u32_e32 vcc, s7, v40
	s_and_saveexec_b64 s[4:5], vcc
	s_cbranch_execz .LBB1011_213
.LBB1011_234:
	s_waitcnt vmcnt(0)
	ds_write_b16 v22, v111 offset:256
	s_or_b64 exec, exec, s[4:5]
	v_cmp_gt_u32_e32 vcc, s7, v39
	s_and_saveexec_b64 s[4:5], vcc
	s_cbranch_execnz .LBB1011_214
.LBB1011_235:
	s_or_b64 exec, exec, s[4:5]
	v_cmp_gt_u32_e32 vcc, s7, v38
	s_and_saveexec_b64 s[4:5], vcc
	s_cbranch_execz .LBB1011_215
.LBB1011_236:
	s_waitcnt vmcnt(0)
	ds_write_b16 v20, v113 offset:256
	s_or_b64 exec, exec, s[4:5]
	v_cmp_gt_u32_e32 vcc, s7, v37
	s_and_saveexec_b64 s[4:5], vcc
	s_cbranch_execnz .LBB1011_216
.LBB1011_237:
	s_or_b64 exec, exec, s[4:5]
	v_cmp_gt_u32_e32 vcc, s7, v36
	s_and_saveexec_b64 s[4:5], vcc
	s_cbranch_execz .LBB1011_217
.LBB1011_238:
	s_waitcnt vmcnt(0)
	ds_write_b16 v17, v115 offset:256
	s_or_b64 exec, exec, s[4:5]
	v_cmp_gt_u32_e32 vcc, s7, v35
	s_and_saveexec_b64 s[4:5], vcc
	s_cbranch_execnz .LBB1011_218
.LBB1011_239:
	s_or_b64 exec, exec, s[4:5]
	v_cmp_gt_u32_e32 vcc, s7, v34
	s_and_saveexec_b64 s[4:5], vcc
	s_cbranch_execz .LBB1011_241
.LBB1011_240:
	s_waitcnt vmcnt(0)
	ds_write_b16 v14, v117 offset:256
.LBB1011_241:
	s_or_b64 exec, exec, s[4:5]
	s_waitcnt lgkmcnt(0)
	s_barrier
	s_and_saveexec_b64 s[4:5], s[48:49]
	s_cbranch_execz .LBB1011_263
; %bb.242:
	v_lshlrev_b32_e32 v4, 2, v11
	ds_read_b32 v4, v4
	s_waitcnt vmcnt(0)
	ds_read_u16 v6, v3 offset:256
	v_mov_b32_e32 v5, 0
	s_waitcnt lgkmcnt(1)
	v_add_u32_e32 v4, v4, v2
	v_lshl_add_u64 v[4:5], v[4:5], 1, s[98:99]
	s_waitcnt lgkmcnt(0)
	global_store_short v[4:5], v6, off
	s_or_b64 exec, exec, s[4:5]
	s_and_saveexec_b64 s[4:5], s[50:51]
	s_cbranch_execnz .LBB1011_264
.LBB1011_243:
	s_or_b64 exec, exec, s[4:5]
	s_and_saveexec_b64 s[4:5], s[52:53]
	s_cbranch_execz .LBB1011_265
.LBB1011_244:
	v_lshlrev_b32_e32 v2, 2, v26
	ds_read_b32 v2, v2
	s_waitcnt vmcnt(0)
	ds_read_u16 v6, v3 offset:2304
	v_mov_b32_e32 v5, 0
	s_waitcnt lgkmcnt(1)
	v_add_u32_e32 v4, v2, v12
	v_lshl_add_u64 v[4:5], v[4:5], 1, s[98:99]
	s_waitcnt lgkmcnt(0)
	global_store_short v[4:5], v6, off
	s_or_b64 exec, exec, s[4:5]
	s_and_saveexec_b64 s[4:5], s[54:55]
	s_cbranch_execnz .LBB1011_266
.LBB1011_245:
	s_or_b64 exec, exec, s[4:5]
	s_and_saveexec_b64 s[4:5], s[56:57]
	s_cbranch_execz .LBB1011_267
.LBB1011_246:
	v_lshlrev_b32_e32 v2, 2, v30
	ds_read_b32 v2, v2
	s_waitcnt vmcnt(0)
	ds_read_u16 v6, v3 offset:4352
	v_mov_b32_e32 v5, 0
	s_waitcnt lgkmcnt(1)
	v_add_u32_e32 v4, v2, v27
	v_lshl_add_u64 v[4:5], v[4:5], 1, s[98:99]
	s_waitcnt lgkmcnt(0)
	global_store_short v[4:5], v6, off
	s_or_b64 exec, exec, s[4:5]
	s_and_saveexec_b64 s[4:5], s[58:59]
	s_cbranch_execnz .LBB1011_268
.LBB1011_247:
	s_or_b64 exec, exec, s[4:5]
	s_and_saveexec_b64 s[4:5], s[60:61]
	s_cbranch_execz .LBB1011_269
.LBB1011_248:
	v_lshlrev_b32_e32 v2, 2, v64
	ds_read_b32 v2, v2
	s_waitcnt vmcnt(0)
	ds_read_u16 v6, v3 offset:6400
	v_mov_b32_e32 v5, 0
	s_waitcnt lgkmcnt(1)
	v_add_u32_e32 v4, v2, v31
	v_lshl_add_u64 v[4:5], v[4:5], 1, s[98:99]
	s_waitcnt lgkmcnt(0)
	global_store_short v[4:5], v6, off
	s_or_b64 exec, exec, s[4:5]
	s_and_saveexec_b64 s[4:5], s[62:63]
	s_cbranch_execnz .LBB1011_270
.LBB1011_249:
	s_or_b64 exec, exec, s[4:5]
	s_and_saveexec_b64 s[4:5], s[64:65]
	s_cbranch_execz .LBB1011_271
.LBB1011_250:
	v_lshlrev_b32_e32 v2, 2, v71
	ds_read_b32 v2, v2
	s_waitcnt vmcnt(0)
	ds_read_u16 v6, v3 offset:8448
	v_mov_b32_e32 v5, 0
	s_waitcnt lgkmcnt(1)
	v_add_u32_e32 v4, v2, v66
	v_lshl_add_u64 v[4:5], v[4:5], 1, s[98:99]
	s_waitcnt lgkmcnt(0)
	global_store_short v[4:5], v6, off
	s_or_b64 exec, exec, s[4:5]
	s_and_saveexec_b64 s[4:5], s[66:67]
	s_cbranch_execnz .LBB1011_272
.LBB1011_251:
	s_or_b64 exec, exec, s[4:5]
	s_and_saveexec_b64 s[4:5], s[68:69]
	s_cbranch_execz .LBB1011_273
.LBB1011_252:
	v_lshlrev_b32_e32 v2, 2, v77
	ds_read_b32 v2, v2
	s_waitcnt vmcnt(0)
	ds_read_u16 v6, v3 offset:10496
	v_mov_b32_e32 v5, 0
	s_waitcnt lgkmcnt(1)
	v_add_u32_e32 v4, v2, v73
	v_lshl_add_u64 v[4:5], v[4:5], 1, s[98:99]
	s_waitcnt lgkmcnt(0)
	global_store_short v[4:5], v6, off
	s_or_b64 exec, exec, s[4:5]
	s_and_saveexec_b64 s[4:5], s[70:71]
	s_cbranch_execnz .LBB1011_274
.LBB1011_253:
	s_or_b64 exec, exec, s[4:5]
	s_and_saveexec_b64 s[4:5], s[72:73]
	s_cbranch_execz .LBB1011_275
.LBB1011_254:
	v_lshlrev_b32_e32 v2, 2, v82
	ds_read_b32 v2, v2
	s_waitcnt vmcnt(0)
	ds_read_u16 v6, v3 offset:12544
	v_mov_b32_e32 v5, 0
	s_waitcnt lgkmcnt(1)
	v_add_u32_e32 v4, v2, v79
	v_lshl_add_u64 v[4:5], v[4:5], 1, s[98:99]
	s_waitcnt lgkmcnt(0)
	global_store_short v[4:5], v6, off
	s_or_b64 exec, exec, s[4:5]
	s_and_saveexec_b64 s[4:5], s[74:75]
	s_cbranch_execnz .LBB1011_276
.LBB1011_255:
	s_or_b64 exec, exec, s[4:5]
	s_and_saveexec_b64 s[4:5], s[76:77]
	s_cbranch_execz .LBB1011_277
.LBB1011_256:
	v_lshlrev_b32_e32 v2, 2, v86
	ds_read_b32 v2, v2
	s_waitcnt vmcnt(0)
	ds_read_u16 v6, v3 offset:14592
	v_mov_b32_e32 v5, 0
	s_waitcnt lgkmcnt(1)
	v_add_u32_e32 v4, v2, v83
	v_lshl_add_u64 v[4:5], v[4:5], 1, s[98:99]
	s_waitcnt lgkmcnt(0)
	global_store_short v[4:5], v6, off
	s_or_b64 exec, exec, s[4:5]
	s_and_saveexec_b64 s[4:5], s[78:79]
	s_cbranch_execnz .LBB1011_278
.LBB1011_257:
	s_or_b64 exec, exec, s[4:5]
	s_and_saveexec_b64 s[4:5], s[80:81]
	s_cbranch_execz .LBB1011_279
.LBB1011_258:
	v_lshlrev_b32_e32 v2, 2, v90
	ds_read_b32 v2, v2
	s_waitcnt vmcnt(0)
	ds_read_u16 v6, v3 offset:16640
	v_mov_b32_e32 v5, 0
	s_waitcnt lgkmcnt(1)
	v_add_u32_e32 v4, v2, v87
	v_lshl_add_u64 v[4:5], v[4:5], 1, s[98:99]
	s_waitcnt lgkmcnt(0)
	global_store_short v[4:5], v6, off
	s_or_b64 exec, exec, s[4:5]
	s_and_saveexec_b64 s[4:5], s[82:83]
	s_cbranch_execnz .LBB1011_280
.LBB1011_259:
	s_or_b64 exec, exec, s[4:5]
	s_and_saveexec_b64 s[4:5], s[84:85]
	s_cbranch_execz .LBB1011_281
.LBB1011_260:
	v_lshlrev_b32_e32 v2, 2, v94
	ds_read_b32 v2, v2
	s_waitcnt vmcnt(0)
	ds_read_u16 v6, v3 offset:18688
	v_mov_b32_e32 v5, 0
	s_waitcnt lgkmcnt(1)
	v_add_u32_e32 v4, v2, v91
	v_lshl_add_u64 v[4:5], v[4:5], 1, s[98:99]
	s_waitcnt lgkmcnt(0)
	global_store_short v[4:5], v6, off
	s_or_b64 exec, exec, s[4:5]
	s_and_saveexec_b64 s[4:5], s[86:87]
	s_cbranch_execnz .LBB1011_282
.LBB1011_261:
	s_or_b64 exec, exec, s[4:5]
	s_and_saveexec_b64 s[4:5], s[88:89]
	s_cbranch_execz .LBB1011_283
.LBB1011_262:
	v_lshlrev_b32_e32 v2, 2, v97
	ds_read_b32 v2, v2
	s_waitcnt vmcnt(0)
	ds_read_u16 v6, v3 offset:20736
	v_mov_b32_e32 v5, 0
	s_waitcnt lgkmcnt(1)
	v_add_u32_e32 v4, v2, v95
	v_lshl_add_u64 v[4:5], v[4:5], 1, s[98:99]
	s_waitcnt lgkmcnt(0)
	global_store_short v[4:5], v6, off
	s_or_b64 exec, exec, s[4:5]
	s_and_saveexec_b64 s[4:5], s[90:91]
	s_cbranch_execnz .LBB1011_284
	s_branch .LBB1011_285
.LBB1011_263:
	s_or_b64 exec, exec, s[4:5]
	s_and_saveexec_b64 s[4:5], s[50:51]
	s_cbranch_execz .LBB1011_243
.LBB1011_264:
	v_lshlrev_b32_e32 v2, 2, v8
	ds_read_b32 v2, v2
	s_waitcnt vmcnt(0)
	ds_read_u16 v6, v3 offset:1280
	v_mov_b32_e32 v5, 0
	s_waitcnt lgkmcnt(1)
	v_add_u32_e32 v4, v2, v10
	v_lshl_add_u64 v[4:5], v[4:5], 1, s[98:99]
	s_waitcnt lgkmcnt(0)
	global_store_short v[4:5], v6, off
	s_or_b64 exec, exec, s[4:5]
	s_and_saveexec_b64 s[4:5], s[52:53]
	s_cbranch_execnz .LBB1011_244
.LBB1011_265:
	s_or_b64 exec, exec, s[4:5]
	s_and_saveexec_b64 s[4:5], s[54:55]
	s_cbranch_execz .LBB1011_245
.LBB1011_266:
	v_lshlrev_b32_e32 v2, 2, v9
	ds_read_b32 v2, v2
	s_waitcnt vmcnt(0)
	ds_read_u16 v6, v3 offset:3328
	v_mov_b32_e32 v5, 0
	s_waitcnt lgkmcnt(1)
	v_add_u32_e32 v4, v2, v25
	v_lshl_add_u64 v[4:5], v[4:5], 1, s[98:99]
	s_waitcnt lgkmcnt(0)
	global_store_short v[4:5], v6, off
	s_or_b64 exec, exec, s[4:5]
	s_and_saveexec_b64 s[4:5], s[56:57]
	s_cbranch_execnz .LBB1011_246
.LBB1011_267:
	s_or_b64 exec, exec, s[4:5]
	s_and_saveexec_b64 s[4:5], s[58:59]
	s_cbranch_execz .LBB1011_247
.LBB1011_268:
	v_lshlrev_b32_e32 v2, 2, v13
	ds_read_b32 v2, v2
	s_waitcnt vmcnt(0)
	ds_read_u16 v6, v3 offset:5376
	v_mov_b32_e32 v5, 0
	s_waitcnt lgkmcnt(1)
	v_add_u32_e32 v4, v2, v29
	v_lshl_add_u64 v[4:5], v[4:5], 1, s[98:99]
	s_waitcnt lgkmcnt(0)
	global_store_short v[4:5], v6, off
	s_or_b64 exec, exec, s[4:5]
	s_and_saveexec_b64 s[4:5], s[60:61]
	s_cbranch_execnz .LBB1011_248
.LBB1011_269:
	s_or_b64 exec, exec, s[4:5]
	s_and_saveexec_b64 s[4:5], s[62:63]
	s_cbranch_execz .LBB1011_249
.LBB1011_270:
	v_lshlrev_b32_e32 v2, 2, v28
	ds_read_b32 v2, v2
	s_waitcnt vmcnt(0)
	ds_read_u16 v6, v3 offset:7424
	v_mov_b32_e32 v5, 0
	s_waitcnt lgkmcnt(1)
	v_add_u32_e32 v4, v2, v63
	v_lshl_add_u64 v[4:5], v[4:5], 1, s[98:99]
	s_waitcnt lgkmcnt(0)
	global_store_short v[4:5], v6, off
	s_or_b64 exec, exec, s[4:5]
	s_and_saveexec_b64 s[4:5], s[64:65]
	s_cbranch_execnz .LBB1011_250
.LBB1011_271:
	s_or_b64 exec, exec, s[4:5]
	s_and_saveexec_b64 s[4:5], s[66:67]
	s_cbranch_execz .LBB1011_251
.LBB1011_272:
	v_lshlrev_b32_e32 v2, 2, v32
	ds_read_b32 v2, v2
	s_waitcnt vmcnt(0)
	ds_read_u16 v6, v3 offset:9472
	v_mov_b32_e32 v5, 0
	s_waitcnt lgkmcnt(1)
	v_add_u32_e32 v4, v2, v69
	v_lshl_add_u64 v[4:5], v[4:5], 1, s[98:99]
	s_waitcnt lgkmcnt(0)
	global_store_short v[4:5], v6, off
	s_or_b64 exec, exec, s[4:5]
	s_and_saveexec_b64 s[4:5], s[68:69]
	s_cbranch_execnz .LBB1011_252
.LBB1011_273:
	s_or_b64 exec, exec, s[4:5]
	s_and_saveexec_b64 s[4:5], s[70:71]
	s_cbranch_execz .LBB1011_253
.LBB1011_274:
	v_lshlrev_b32_e32 v2, 2, v68
	ds_read_b32 v2, v2
	s_waitcnt vmcnt(0)
	ds_read_u16 v6, v3 offset:11520
	v_mov_b32_e32 v5, 0
	s_waitcnt lgkmcnt(1)
	v_add_u32_e32 v4, v2, v76
	v_lshl_add_u64 v[4:5], v[4:5], 1, s[98:99]
	s_waitcnt lgkmcnt(0)
	global_store_short v[4:5], v6, off
	s_or_b64 exec, exec, s[4:5]
	s_and_saveexec_b64 s[4:5], s[72:73]
	s_cbranch_execnz .LBB1011_254
.LBB1011_275:
	s_or_b64 exec, exec, s[4:5]
	s_and_saveexec_b64 s[4:5], s[74:75]
	s_cbranch_execz .LBB1011_255
.LBB1011_276:
	v_lshlrev_b32_e32 v2, 2, v74
	ds_read_b32 v2, v2
	s_waitcnt vmcnt(0)
	ds_read_u16 v6, v3 offset:13568
	v_mov_b32_e32 v5, 0
	s_waitcnt lgkmcnt(1)
	v_add_u32_e32 v4, v2, v81
	v_lshl_add_u64 v[4:5], v[4:5], 1, s[98:99]
	s_waitcnt lgkmcnt(0)
	global_store_short v[4:5], v6, off
	s_or_b64 exec, exec, s[4:5]
	s_and_saveexec_b64 s[4:5], s[76:77]
	s_cbranch_execnz .LBB1011_256
.LBB1011_277:
	s_or_b64 exec, exec, s[4:5]
	s_and_saveexec_b64 s[4:5], s[78:79]
	s_cbranch_execz .LBB1011_257
.LBB1011_278:
	v_lshlrev_b32_e32 v2, 2, v80
	ds_read_b32 v2, v2
	s_waitcnt vmcnt(0)
	ds_read_u16 v6, v3 offset:15616
	v_mov_b32_e32 v5, 0
	s_waitcnt lgkmcnt(1)
	v_add_u32_e32 v4, v2, v85
	v_lshl_add_u64 v[4:5], v[4:5], 1, s[98:99]
	s_waitcnt lgkmcnt(0)
	global_store_short v[4:5], v6, off
	s_or_b64 exec, exec, s[4:5]
	s_and_saveexec_b64 s[4:5], s[80:81]
	s_cbranch_execnz .LBB1011_258
.LBB1011_279:
	s_or_b64 exec, exec, s[4:5]
	s_and_saveexec_b64 s[4:5], s[82:83]
	s_cbranch_execz .LBB1011_259
.LBB1011_280:
	v_lshlrev_b32_e32 v2, 2, v84
	ds_read_b32 v2, v2
	s_waitcnt vmcnt(0)
	ds_read_u16 v6, v3 offset:17664
	v_mov_b32_e32 v5, 0
	s_waitcnt lgkmcnt(1)
	v_add_u32_e32 v4, v2, v89
	v_lshl_add_u64 v[4:5], v[4:5], 1, s[98:99]
	s_waitcnt lgkmcnt(0)
	global_store_short v[4:5], v6, off
	s_or_b64 exec, exec, s[4:5]
	s_and_saveexec_b64 s[4:5], s[84:85]
	s_cbranch_execnz .LBB1011_260
.LBB1011_281:
	s_or_b64 exec, exec, s[4:5]
	s_and_saveexec_b64 s[4:5], s[86:87]
	s_cbranch_execz .LBB1011_261
.LBB1011_282:
	v_lshlrev_b32_e32 v2, 2, v88
	ds_read_b32 v2, v2
	s_waitcnt vmcnt(0)
	ds_read_u16 v6, v3 offset:19712
	v_mov_b32_e32 v5, 0
	s_waitcnt lgkmcnt(1)
	v_add_u32_e32 v4, v2, v93
	v_lshl_add_u64 v[4:5], v[4:5], 1, s[98:99]
	s_waitcnt lgkmcnt(0)
	global_store_short v[4:5], v6, off
	s_or_b64 exec, exec, s[4:5]
	s_and_saveexec_b64 s[4:5], s[88:89]
	s_cbranch_execnz .LBB1011_262
.LBB1011_283:
	s_or_b64 exec, exec, s[4:5]
	s_and_saveexec_b64 s[4:5], s[90:91]
	s_cbranch_execz .LBB1011_285
.LBB1011_284:
	v_lshlrev_b32_e32 v2, 2, v92
	ds_read_b32 v2, v2
	ds_read_u16 v4, v3 offset:21760
	v_mov_b32_e32 v3, 0
	s_waitcnt lgkmcnt(1)
	v_add_u32_e32 v2, v2, v96
	v_lshl_add_u64 v[2:3], v[2:3], 1, s[98:99]
	s_waitcnt lgkmcnt(0)
	global_store_short v[2:3], v4, off
.LBB1011_285:
	s_or_b64 exec, exec, s[4:5]
	s_add_i32 s3, s3, -1
	s_cmp_eq_u32 s2, s3
	s_cselect_b64 s[4:5], -1, 0
	s_xor_b64 s[10:11], s[46:47], -1
	s_and_b64 s[10:11], s[10:11], s[4:5]
	s_and_saveexec_b64 s[4:5], s[10:11]
	s_cbranch_execz .LBB1011_287
; %bb.286:
	ds_read_b32 v2, v18
	s_load_dwordx4 s[16:19], s[0:1], 0x28
	s_waitcnt lgkmcnt(0)
	v_add3_u32 v2, v15, v33, v2
	global_store_dword v18, v2, s[18:19]
.LBB1011_287:
	s_or_b64 exec, exec, s[4:5]
	s_mov_b64 s[4:5], 0
.LBB1011_288:
	s_and_b64 vcc, exec, s[4:5]
	s_cbranch_vccz .LBB1011_379
; %bb.289:
	s_mov_b32 s7, 0
	s_lshl_b64 s[10:11], s[6:7], 1
	v_mbcnt_hi_u32_b32 v29, -1, v1
	s_add_u32 s4, s92, s10
	v_and_b32_e32 v2, 63, v29
	v_and_b32_e32 v30, 0x1c0, v0
	v_mov_b32_e32 v1, 0
	s_addc_u32 s5, s93, s11
	s_waitcnt vmcnt(0)
	v_mul_u32_u24_e32 v6, 22, v30
	v_lshlrev_b32_e32 v4, 1, v2
	v_mov_b32_e32 v5, v1
	v_lshl_add_u64 v[2:3], s[4:5], 0, v[4:5]
	v_lshlrev_b32_e32 v6, 1, v6
	v_mov_b32_e32 v7, v1
	v_lshl_add_u64 v[8:9], v[2:3], 0, v[6:7]
	global_load_ushort v3, v[8:9], off
	s_load_dword s4, s[0:1], 0x64
	s_load_dword s3, s[0:1], 0x58
	s_add_u32 s0, s0, 0x58
	s_addc_u32 s1, s1, 0
	v_and_b32_e32 v2, 0x3ff, v0
	s_waitcnt lgkmcnt(0)
	s_lshr_b32 s4, s4, 16
	s_cmp_lt_u32 s2, s3
	s_cselect_b32 s5, 12, 18
	s_add_u32 s0, s0, s5
	s_addc_u32 s1, s1, 0
	global_load_ushort v38, v1, s[0:1]
	global_load_ushort v28, v[8:9], off offset:128
	global_load_ushort v27, v[8:9], off offset:256
	;; [unrolled: 1-line block ×14, first 2 shown]
                                        ; kill: killed $sgpr0 killed $sgpr1
	global_load_ushort v15, v[8:9], off offset:1920
	global_load_ushort v13, v[8:9], off offset:2048
	;; [unrolled: 1-line block ×7, first 2 shown]
	v_bfe_u32 v9, v0, 10, 10
	v_bfe_u32 v33, v0, 20, 10
	v_lshlrev_b32_e32 v31, 3, v2
	v_mov_b32_e32 v0, v1
	ds_write_b64 v31, v[0:1] offset:32
	s_lshl_b32 s0, -1, s9
	v_mov_b32_e32 v8, v1
	v_mad_u32_u24 v39, v33, s4, v9
	s_not_b32 s9, s0
	v_mov_b32_e32 v32, v1
	v_mov_b32_e32 v34, v1
	s_waitcnt lgkmcnt(0)
	s_barrier
	s_waitcnt vmcnt(22)
	; wave barrier
	v_lshrrev_b32_sdwa v0, s8, v3 dst_sel:DWORD dst_unused:UNUSED_PAD src0_sel:DWORD src1_sel:WORD_0
	v_bitop3_b32 v40, v0, s0, v0 bitop3:0x30
	v_and_b32_e32 v0, 1, v40
	v_lshlrev_b32_e32 v9, 30, v40
	v_lshl_add_u64 v[36:37], v[0:1], 0, -1
	v_cmp_ne_u32_e32 vcc, 0, v0
	v_cmp_gt_i64_e64 s[0:1], 0, v[8:9]
	v_not_b32_e32 v0, v9
	s_waitcnt vmcnt(21)
	v_mad_u64_u32 v[8:9], s[14:15], v39, v38, v[2:3]
	v_lshlrev_b32_e32 v33, 29, v40
	v_lshlrev_b32_e32 v35, 28, v40
	v_xor_b32_e32 v9, vcc_hi, v37
	v_ashrrev_i32_e32 v0, 31, v0
	v_cmp_gt_i64_e64 s[4:5], 0, v[32:33]
	v_not_b32_e32 v32, v33
	v_cmp_gt_i64_e64 s[6:7], 0, v[34:35]
	v_xor_b32_e32 v33, vcc_lo, v36
	v_lshrrev_b32_e32 v8, 4, v8
	v_and_b32_e32 v9, exec_hi, v9
	v_xor_b32_e32 v34, s1, v0
	v_ashrrev_i32_e32 v32, 31, v32
	v_and_b32_e32 v33, exec_lo, v33
	v_xor_b32_e32 v0, s0, v0
	v_and_b32_e32 v37, 0xffffffc, v8
	v_and_b32_e32 v8, v9, v34
	v_not_b32_e32 v9, v35
	v_xor_b32_e32 v36, s5, v32
	v_xor_b32_e32 v32, s4, v32
	v_and_b32_e32 v0, v33, v0
	v_ashrrev_i32_e32 v9, 31, v9
	v_and_b32_e32 v8, v8, v36
	v_and_b32_e32 v0, v0, v32
	v_xor_b32_e32 v32, s7, v9
	v_xor_b32_e32 v9, s6, v9
	v_and_b32_e32 v32, v8, v32
	v_and_b32_e32 v0, v0, v9
	v_lshlrev_b32_e32 v9, 27, v40
	v_mov_b32_e32 v8, v1
	v_cmp_gt_i64_e32 vcc, 0, v[8:9]
	v_not_b32_e32 v8, v9
	v_ashrrev_i32_e32 v8, 31, v8
	v_xor_b32_e32 v9, vcc_hi, v8
	v_xor_b32_e32 v8, vcc_lo, v8
	v_and_b32_e32 v32, v32, v9
	v_and_b32_e32 v0, v0, v8
	v_lshlrev_b32_e32 v9, 26, v40
	v_mov_b32_e32 v8, v1
	v_cmp_gt_i64_e32 vcc, 0, v[8:9]
	v_not_b32_e32 v8, v9
	v_ashrrev_i32_e32 v8, 31, v8
	v_xor_b32_e32 v9, vcc_hi, v8
	v_xor_b32_e32 v8, vcc_lo, v8
	v_and_b32_e32 v8, v0, v8
	v_and_b32_e32 v9, v32, v9
	v_mbcnt_lo_u32_b32 v0, v8, 0
	v_mbcnt_hi_u32_b32 v32, v9, v0
	v_mul_u32_u24_e32 v41, 36, v40
	v_cmp_eq_u32_e32 vcc, 0, v32
	v_cmp_ne_u64_e64 s[0:1], 0, v[8:9]
	s_and_b64 s[4:5], s[0:1], vcc
	v_add_u32_e32 v34, v37, v41
	s_and_saveexec_b64 s[0:1], s[4:5]
; %bb.290:
	v_bcnt_u32_b32 v0, v8, 0
	v_bcnt_u32_b32 v0, v9, v0
	ds_write_b32 v34, v0 offset:32
; %bb.291:
	s_or_b64 exec, exec, s[0:1]
	s_waitcnt vmcnt(20)
	v_lshrrev_b32_sdwa v0, s8, v28 dst_sel:DWORD dst_unused:UNUSED_PAD src0_sel:DWORD src1_sel:WORD_0
	v_and_b32_e32 v35, s9, v0
	v_mad_u32_u24 v0, v35, 36, v37
	; wave barrier
	ds_read_b32 v33, v0 offset:32
	v_and_b32_e32 v0, 1, v35
	v_lshl_add_u64 v[8:9], v[0:1], 0, -1
	v_cmp_ne_u32_e32 vcc, 0, v0
	v_mul_u32_u24_e32 v36, 36, v35
	s_nop 0
	v_xor_b32_e32 v8, vcc_lo, v8
	v_xor_b32_e32 v0, vcc_hi, v9
	v_and_b32_e32 v38, exec_lo, v8
	v_lshlrev_b32_e32 v9, 30, v35
	v_mov_b32_e32 v8, v1
	v_cmp_gt_i64_e32 vcc, 0, v[8:9]
	v_not_b32_e32 v8, v9
	v_ashrrev_i32_e32 v8, 31, v8
	v_and_b32_e32 v0, exec_hi, v0
	v_xor_b32_e32 v9, vcc_hi, v8
	v_xor_b32_e32 v8, vcc_lo, v8
	v_and_b32_e32 v0, v0, v9
	v_and_b32_e32 v38, v38, v8
	v_lshlrev_b32_e32 v9, 29, v35
	v_mov_b32_e32 v8, v1
	v_cmp_gt_i64_e32 vcc, 0, v[8:9]
	v_not_b32_e32 v8, v9
	v_ashrrev_i32_e32 v8, 31, v8
	v_xor_b32_e32 v9, vcc_hi, v8
	v_xor_b32_e32 v8, vcc_lo, v8
	v_and_b32_e32 v0, v0, v9
	v_and_b32_e32 v38, v38, v8
	v_lshlrev_b32_e32 v9, 28, v35
	v_mov_b32_e32 v8, v1
	v_cmp_gt_i64_e32 vcc, 0, v[8:9]
	v_not_b32_e32 v8, v9
	v_ashrrev_i32_e32 v8, 31, v8
	;; [unrolled: 9-line block ×3, first 2 shown]
	v_xor_b32_e32 v9, vcc_hi, v8
	v_xor_b32_e32 v8, vcc_lo, v8
	v_and_b32_e32 v0, v0, v9
	v_lshlrev_b32_e32 v9, 26, v35
	v_and_b32_e32 v38, v38, v8
	v_mov_b32_e32 v8, v1
	v_not_b32_e32 v1, v9
	v_cmp_gt_i64_e32 vcc, 0, v[8:9]
	v_ashrrev_i32_e32 v1, 31, v1
	; wave barrier
	s_nop 0
	v_xor_b32_e32 v8, vcc_hi, v1
	v_xor_b32_e32 v9, vcc_lo, v1
	v_and_b32_e32 v1, v0, v8
	v_and_b32_e32 v0, v38, v9
	v_mbcnt_lo_u32_b32 v8, v0, 0
	v_mbcnt_hi_u32_b32 v35, v1, v8
	v_cmp_eq_u32_e32 vcc, 0, v35
	v_cmp_ne_u64_e64 s[0:1], 0, v[0:1]
	s_and_b64 s[4:5], s[0:1], vcc
	v_add_u32_e32 v38, v37, v36
	s_and_saveexec_b64 s[0:1], s[4:5]
	s_cbranch_execz .LBB1011_293
; %bb.292:
	v_bcnt_u32_b32 v0, v0, 0
	v_bcnt_u32_b32 v0, v1, v0
	s_waitcnt lgkmcnt(0)
	v_add_u32_e32 v0, v33, v0
	ds_write_b32 v38, v0 offset:32
.LBB1011_293:
	s_or_b64 exec, exec, s[0:1]
	s_waitcnt vmcnt(19)
	v_lshrrev_b32_sdwa v0, s8, v27 dst_sel:DWORD dst_unused:UNUSED_PAD src0_sel:DWORD src1_sel:WORD_0
	v_and_b32_e32 v39, s9, v0
	v_mad_u32_u24 v0, v39, 36, v37
	; wave barrier
	ds_read_b32 v36, v0 offset:32
	v_and_b32_e32 v0, 1, v39
	v_mov_b32_e32 v1, 0
	v_lshl_add_u64 v[8:9], v[0:1], 0, -1
	v_cmp_ne_u32_e32 vcc, 0, v0
	v_mul_u32_u24_e32 v40, 36, v39
	s_nop 0
	v_xor_b32_e32 v8, vcc_lo, v8
	v_xor_b32_e32 v0, vcc_hi, v9
	v_and_b32_e32 v41, exec_lo, v8
	v_lshlrev_b32_e32 v9, 30, v39
	v_mov_b32_e32 v8, v1
	v_cmp_gt_i64_e32 vcc, 0, v[8:9]
	v_not_b32_e32 v8, v9
	v_ashrrev_i32_e32 v8, 31, v8
	v_and_b32_e32 v0, exec_hi, v0
	v_xor_b32_e32 v9, vcc_hi, v8
	v_xor_b32_e32 v8, vcc_lo, v8
	v_and_b32_e32 v0, v0, v9
	v_and_b32_e32 v41, v41, v8
	v_lshlrev_b32_e32 v9, 29, v39
	v_mov_b32_e32 v8, v1
	v_cmp_gt_i64_e32 vcc, 0, v[8:9]
	v_not_b32_e32 v8, v9
	v_ashrrev_i32_e32 v8, 31, v8
	v_xor_b32_e32 v9, vcc_hi, v8
	v_xor_b32_e32 v8, vcc_lo, v8
	v_and_b32_e32 v0, v0, v9
	v_and_b32_e32 v41, v41, v8
	v_lshlrev_b32_e32 v9, 28, v39
	v_mov_b32_e32 v8, v1
	v_cmp_gt_i64_e32 vcc, 0, v[8:9]
	v_not_b32_e32 v8, v9
	v_ashrrev_i32_e32 v8, 31, v8
	;; [unrolled: 9-line block ×4, first 2 shown]
	v_xor_b32_e32 v9, vcc_hi, v8
	v_xor_b32_e32 v8, vcc_lo, v8
	v_and_b32_e32 v8, v41, v8
	v_and_b32_e32 v9, v0, v9
	v_mbcnt_lo_u32_b32 v0, v8, 0
	v_mbcnt_hi_u32_b32 v39, v9, v0
	v_cmp_eq_u32_e32 vcc, 0, v39
	v_cmp_ne_u64_e64 s[0:1], 0, v[8:9]
	s_and_b64 s[4:5], s[0:1], vcc
	v_add_u32_e32 v41, v37, v40
	; wave barrier
	s_and_saveexec_b64 s[0:1], s[4:5]
	s_cbranch_execz .LBB1011_295
; %bb.294:
	v_bcnt_u32_b32 v0, v8, 0
	v_bcnt_u32_b32 v0, v9, v0
	s_waitcnt lgkmcnt(0)
	v_add_u32_e32 v0, v36, v0
	ds_write_b32 v41, v0 offset:32
.LBB1011_295:
	s_or_b64 exec, exec, s[0:1]
	s_waitcnt vmcnt(18)
	v_lshrrev_b32_sdwa v0, s8, v26 dst_sel:DWORD dst_unused:UNUSED_PAD src0_sel:DWORD src1_sel:WORD_0
	v_and_b32_e32 v42, s9, v0
	v_mad_u32_u24 v0, v42, 36, v37
	; wave barrier
	ds_read_b32 v40, v0 offset:32
	v_and_b32_e32 v0, 1, v42
	v_lshl_add_u64 v[8:9], v[0:1], 0, -1
	v_cmp_ne_u32_e32 vcc, 0, v0
	v_mul_u32_u24_e32 v43, 36, v42
	s_nop 0
	v_xor_b32_e32 v8, vcc_lo, v8
	v_xor_b32_e32 v0, vcc_hi, v9
	v_and_b32_e32 v44, exec_lo, v8
	v_lshlrev_b32_e32 v9, 30, v42
	v_mov_b32_e32 v8, v1
	v_cmp_gt_i64_e32 vcc, 0, v[8:9]
	v_not_b32_e32 v8, v9
	v_ashrrev_i32_e32 v8, 31, v8
	v_and_b32_e32 v0, exec_hi, v0
	v_xor_b32_e32 v9, vcc_hi, v8
	v_xor_b32_e32 v8, vcc_lo, v8
	v_and_b32_e32 v0, v0, v9
	v_and_b32_e32 v44, v44, v8
	v_lshlrev_b32_e32 v9, 29, v42
	v_mov_b32_e32 v8, v1
	v_cmp_gt_i64_e32 vcc, 0, v[8:9]
	v_not_b32_e32 v8, v9
	v_ashrrev_i32_e32 v8, 31, v8
	v_xor_b32_e32 v9, vcc_hi, v8
	v_xor_b32_e32 v8, vcc_lo, v8
	v_and_b32_e32 v0, v0, v9
	v_and_b32_e32 v44, v44, v8
	v_lshlrev_b32_e32 v9, 28, v42
	v_mov_b32_e32 v8, v1
	v_cmp_gt_i64_e32 vcc, 0, v[8:9]
	v_not_b32_e32 v8, v9
	v_ashrrev_i32_e32 v8, 31, v8
	;; [unrolled: 9-line block ×3, first 2 shown]
	v_xor_b32_e32 v9, vcc_hi, v8
	v_xor_b32_e32 v8, vcc_lo, v8
	v_and_b32_e32 v0, v0, v9
	v_lshlrev_b32_e32 v9, 26, v42
	v_and_b32_e32 v44, v44, v8
	v_mov_b32_e32 v8, v1
	v_not_b32_e32 v1, v9
	v_cmp_gt_i64_e32 vcc, 0, v[8:9]
	v_ashrrev_i32_e32 v1, 31, v1
	; wave barrier
	s_nop 0
	v_xor_b32_e32 v8, vcc_hi, v1
	v_xor_b32_e32 v9, vcc_lo, v1
	v_and_b32_e32 v1, v0, v8
	v_and_b32_e32 v0, v44, v9
	v_mbcnt_lo_u32_b32 v8, v0, 0
	v_mbcnt_hi_u32_b32 v42, v1, v8
	v_cmp_eq_u32_e32 vcc, 0, v42
	v_cmp_ne_u64_e64 s[0:1], 0, v[0:1]
	s_and_b64 s[4:5], s[0:1], vcc
	v_add_u32_e32 v44, v37, v43
	s_and_saveexec_b64 s[0:1], s[4:5]
	s_cbranch_execz .LBB1011_297
; %bb.296:
	v_bcnt_u32_b32 v0, v0, 0
	v_bcnt_u32_b32 v0, v1, v0
	s_waitcnt lgkmcnt(0)
	v_add_u32_e32 v0, v40, v0
	ds_write_b32 v44, v0 offset:32
.LBB1011_297:
	s_or_b64 exec, exec, s[0:1]
	s_waitcnt vmcnt(17)
	v_lshrrev_b32_sdwa v0, s8, v25 dst_sel:DWORD dst_unused:UNUSED_PAD src0_sel:DWORD src1_sel:WORD_0
	v_and_b32_e32 v45, s9, v0
	v_mad_u32_u24 v0, v45, 36, v37
	; wave barrier
	ds_read_b32 v43, v0 offset:32
	v_and_b32_e32 v0, 1, v45
	v_mov_b32_e32 v1, 0
	v_lshl_add_u64 v[8:9], v[0:1], 0, -1
	v_cmp_ne_u32_e32 vcc, 0, v0
	v_mul_u32_u24_e32 v46, 36, v45
	s_nop 0
	v_xor_b32_e32 v8, vcc_lo, v8
	v_xor_b32_e32 v0, vcc_hi, v9
	v_and_b32_e32 v47, exec_lo, v8
	v_lshlrev_b32_e32 v9, 30, v45
	v_mov_b32_e32 v8, v1
	v_cmp_gt_i64_e32 vcc, 0, v[8:9]
	v_not_b32_e32 v8, v9
	v_ashrrev_i32_e32 v8, 31, v8
	v_and_b32_e32 v0, exec_hi, v0
	v_xor_b32_e32 v9, vcc_hi, v8
	v_xor_b32_e32 v8, vcc_lo, v8
	v_and_b32_e32 v0, v0, v9
	v_and_b32_e32 v47, v47, v8
	v_lshlrev_b32_e32 v9, 29, v45
	v_mov_b32_e32 v8, v1
	v_cmp_gt_i64_e32 vcc, 0, v[8:9]
	v_not_b32_e32 v8, v9
	v_ashrrev_i32_e32 v8, 31, v8
	v_xor_b32_e32 v9, vcc_hi, v8
	v_xor_b32_e32 v8, vcc_lo, v8
	v_and_b32_e32 v0, v0, v9
	v_and_b32_e32 v47, v47, v8
	v_lshlrev_b32_e32 v9, 28, v45
	v_mov_b32_e32 v8, v1
	v_cmp_gt_i64_e32 vcc, 0, v[8:9]
	v_not_b32_e32 v8, v9
	v_ashrrev_i32_e32 v8, 31, v8
	;; [unrolled: 9-line block ×4, first 2 shown]
	v_xor_b32_e32 v9, vcc_hi, v8
	v_xor_b32_e32 v8, vcc_lo, v8
	v_and_b32_e32 v8, v47, v8
	v_and_b32_e32 v9, v0, v9
	v_mbcnt_lo_u32_b32 v0, v8, 0
	v_mbcnt_hi_u32_b32 v45, v9, v0
	v_cmp_eq_u32_e32 vcc, 0, v45
	v_cmp_ne_u64_e64 s[0:1], 0, v[8:9]
	s_and_b64 s[4:5], s[0:1], vcc
	v_add_u32_e32 v47, v37, v46
	; wave barrier
	s_and_saveexec_b64 s[0:1], s[4:5]
	s_cbranch_execz .LBB1011_299
; %bb.298:
	v_bcnt_u32_b32 v0, v8, 0
	v_bcnt_u32_b32 v0, v9, v0
	s_waitcnt lgkmcnt(0)
	v_add_u32_e32 v0, v43, v0
	ds_write_b32 v47, v0 offset:32
.LBB1011_299:
	s_or_b64 exec, exec, s[0:1]
	s_waitcnt vmcnt(16)
	v_lshrrev_b32_sdwa v0, s8, v24 dst_sel:DWORD dst_unused:UNUSED_PAD src0_sel:DWORD src1_sel:WORD_0
	v_and_b32_e32 v48, s9, v0
	v_mad_u32_u24 v0, v48, 36, v37
	; wave barrier
	ds_read_b32 v46, v0 offset:32
	v_and_b32_e32 v0, 1, v48
	v_lshl_add_u64 v[8:9], v[0:1], 0, -1
	v_cmp_ne_u32_e32 vcc, 0, v0
	v_mul_u32_u24_e32 v49, 36, v48
	s_nop 0
	v_xor_b32_e32 v8, vcc_lo, v8
	v_xor_b32_e32 v0, vcc_hi, v9
	v_and_b32_e32 v50, exec_lo, v8
	v_lshlrev_b32_e32 v9, 30, v48
	v_mov_b32_e32 v8, v1
	v_cmp_gt_i64_e32 vcc, 0, v[8:9]
	v_not_b32_e32 v8, v9
	v_ashrrev_i32_e32 v8, 31, v8
	v_and_b32_e32 v0, exec_hi, v0
	v_xor_b32_e32 v9, vcc_hi, v8
	v_xor_b32_e32 v8, vcc_lo, v8
	v_and_b32_e32 v0, v0, v9
	v_and_b32_e32 v50, v50, v8
	v_lshlrev_b32_e32 v9, 29, v48
	v_mov_b32_e32 v8, v1
	v_cmp_gt_i64_e32 vcc, 0, v[8:9]
	v_not_b32_e32 v8, v9
	v_ashrrev_i32_e32 v8, 31, v8
	v_xor_b32_e32 v9, vcc_hi, v8
	v_xor_b32_e32 v8, vcc_lo, v8
	v_and_b32_e32 v0, v0, v9
	v_and_b32_e32 v50, v50, v8
	v_lshlrev_b32_e32 v9, 28, v48
	v_mov_b32_e32 v8, v1
	v_cmp_gt_i64_e32 vcc, 0, v[8:9]
	v_not_b32_e32 v8, v9
	v_ashrrev_i32_e32 v8, 31, v8
	v_xor_b32_e32 v9, vcc_hi, v8
	v_xor_b32_e32 v8, vcc_lo, v8
	v_and_b32_e32 v0, v0, v9
	v_and_b32_e32 v50, v50, v8
	v_lshlrev_b32_e32 v9, 27, v48
	v_mov_b32_e32 v8, v1
	v_cmp_gt_i64_e32 vcc, 0, v[8:9]
	v_not_b32_e32 v8, v9
	v_ashrrev_i32_e32 v8, 31, v8
	v_xor_b32_e32 v9, vcc_hi, v8
	v_xor_b32_e32 v8, vcc_lo, v8
	v_and_b32_e32 v0, v0, v9
	v_lshlrev_b32_e32 v9, 26, v48
	v_and_b32_e32 v50, v50, v8
	v_mov_b32_e32 v8, v1
	v_not_b32_e32 v1, v9
	v_cmp_gt_i64_e32 vcc, 0, v[8:9]
	v_ashrrev_i32_e32 v1, 31, v1
	; wave barrier
	s_nop 0
	v_xor_b32_e32 v8, vcc_hi, v1
	v_xor_b32_e32 v9, vcc_lo, v1
	v_and_b32_e32 v1, v0, v8
	v_and_b32_e32 v0, v50, v9
	v_mbcnt_lo_u32_b32 v8, v0, 0
	v_mbcnt_hi_u32_b32 v48, v1, v8
	v_cmp_eq_u32_e32 vcc, 0, v48
	v_cmp_ne_u64_e64 s[0:1], 0, v[0:1]
	s_and_b64 s[4:5], s[0:1], vcc
	v_add_u32_e32 v50, v37, v49
	s_and_saveexec_b64 s[0:1], s[4:5]
	s_cbranch_execz .LBB1011_301
; %bb.300:
	v_bcnt_u32_b32 v0, v0, 0
	v_bcnt_u32_b32 v0, v1, v0
	s_waitcnt lgkmcnt(0)
	v_add_u32_e32 v0, v46, v0
	ds_write_b32 v50, v0 offset:32
.LBB1011_301:
	s_or_b64 exec, exec, s[0:1]
	s_waitcnt vmcnt(15)
	v_lshrrev_b32_sdwa v0, s8, v23 dst_sel:DWORD dst_unused:UNUSED_PAD src0_sel:DWORD src1_sel:WORD_0
	v_and_b32_e32 v51, s9, v0
	v_mad_u32_u24 v0, v51, 36, v37
	; wave barrier
	ds_read_b32 v49, v0 offset:32
	v_and_b32_e32 v0, 1, v51
	v_mov_b32_e32 v1, 0
	v_lshl_add_u64 v[8:9], v[0:1], 0, -1
	v_cmp_ne_u32_e32 vcc, 0, v0
	v_mul_u32_u24_e32 v52, 36, v51
	s_nop 0
	v_xor_b32_e32 v8, vcc_lo, v8
	v_xor_b32_e32 v0, vcc_hi, v9
	v_and_b32_e32 v53, exec_lo, v8
	v_lshlrev_b32_e32 v9, 30, v51
	v_mov_b32_e32 v8, v1
	v_cmp_gt_i64_e32 vcc, 0, v[8:9]
	v_not_b32_e32 v8, v9
	v_ashrrev_i32_e32 v8, 31, v8
	v_and_b32_e32 v0, exec_hi, v0
	v_xor_b32_e32 v9, vcc_hi, v8
	v_xor_b32_e32 v8, vcc_lo, v8
	v_and_b32_e32 v0, v0, v9
	v_and_b32_e32 v53, v53, v8
	v_lshlrev_b32_e32 v9, 29, v51
	v_mov_b32_e32 v8, v1
	v_cmp_gt_i64_e32 vcc, 0, v[8:9]
	v_not_b32_e32 v8, v9
	v_ashrrev_i32_e32 v8, 31, v8
	v_xor_b32_e32 v9, vcc_hi, v8
	v_xor_b32_e32 v8, vcc_lo, v8
	v_and_b32_e32 v0, v0, v9
	v_and_b32_e32 v53, v53, v8
	v_lshlrev_b32_e32 v9, 28, v51
	v_mov_b32_e32 v8, v1
	v_cmp_gt_i64_e32 vcc, 0, v[8:9]
	v_not_b32_e32 v8, v9
	v_ashrrev_i32_e32 v8, 31, v8
	;; [unrolled: 9-line block ×4, first 2 shown]
	v_xor_b32_e32 v9, vcc_hi, v8
	v_xor_b32_e32 v8, vcc_lo, v8
	v_and_b32_e32 v8, v53, v8
	v_and_b32_e32 v9, v0, v9
	v_mbcnt_lo_u32_b32 v0, v8, 0
	v_mbcnt_hi_u32_b32 v51, v9, v0
	v_cmp_eq_u32_e32 vcc, 0, v51
	v_cmp_ne_u64_e64 s[0:1], 0, v[8:9]
	s_and_b64 s[4:5], s[0:1], vcc
	v_add_u32_e32 v53, v37, v52
	; wave barrier
	s_and_saveexec_b64 s[0:1], s[4:5]
	s_cbranch_execz .LBB1011_303
; %bb.302:
	v_bcnt_u32_b32 v0, v8, 0
	v_bcnt_u32_b32 v0, v9, v0
	s_waitcnt lgkmcnt(0)
	v_add_u32_e32 v0, v49, v0
	ds_write_b32 v53, v0 offset:32
.LBB1011_303:
	s_or_b64 exec, exec, s[0:1]
	s_waitcnt vmcnt(14)
	v_lshrrev_b32_sdwa v0, s8, v22 dst_sel:DWORD dst_unused:UNUSED_PAD src0_sel:DWORD src1_sel:WORD_0
	v_and_b32_e32 v54, s9, v0
	v_mad_u32_u24 v0, v54, 36, v37
	; wave barrier
	ds_read_b32 v52, v0 offset:32
	v_and_b32_e32 v0, 1, v54
	v_lshl_add_u64 v[8:9], v[0:1], 0, -1
	v_cmp_ne_u32_e32 vcc, 0, v0
	v_mul_u32_u24_e32 v55, 36, v54
	s_nop 0
	v_xor_b32_e32 v8, vcc_lo, v8
	v_xor_b32_e32 v0, vcc_hi, v9
	v_and_b32_e32 v56, exec_lo, v8
	v_lshlrev_b32_e32 v9, 30, v54
	v_mov_b32_e32 v8, v1
	v_cmp_gt_i64_e32 vcc, 0, v[8:9]
	v_not_b32_e32 v8, v9
	v_ashrrev_i32_e32 v8, 31, v8
	v_and_b32_e32 v0, exec_hi, v0
	v_xor_b32_e32 v9, vcc_hi, v8
	v_xor_b32_e32 v8, vcc_lo, v8
	v_and_b32_e32 v0, v0, v9
	v_and_b32_e32 v56, v56, v8
	v_lshlrev_b32_e32 v9, 29, v54
	v_mov_b32_e32 v8, v1
	v_cmp_gt_i64_e32 vcc, 0, v[8:9]
	v_not_b32_e32 v8, v9
	v_ashrrev_i32_e32 v8, 31, v8
	v_xor_b32_e32 v9, vcc_hi, v8
	v_xor_b32_e32 v8, vcc_lo, v8
	v_and_b32_e32 v0, v0, v9
	v_and_b32_e32 v56, v56, v8
	v_lshlrev_b32_e32 v9, 28, v54
	v_mov_b32_e32 v8, v1
	v_cmp_gt_i64_e32 vcc, 0, v[8:9]
	v_not_b32_e32 v8, v9
	v_ashrrev_i32_e32 v8, 31, v8
	;; [unrolled: 9-line block ×3, first 2 shown]
	v_xor_b32_e32 v9, vcc_hi, v8
	v_xor_b32_e32 v8, vcc_lo, v8
	v_and_b32_e32 v0, v0, v9
	v_lshlrev_b32_e32 v9, 26, v54
	v_and_b32_e32 v56, v56, v8
	v_mov_b32_e32 v8, v1
	v_not_b32_e32 v1, v9
	v_cmp_gt_i64_e32 vcc, 0, v[8:9]
	v_ashrrev_i32_e32 v1, 31, v1
	; wave barrier
	s_nop 0
	v_xor_b32_e32 v8, vcc_hi, v1
	v_xor_b32_e32 v9, vcc_lo, v1
	v_and_b32_e32 v1, v0, v8
	v_and_b32_e32 v0, v56, v9
	v_mbcnt_lo_u32_b32 v8, v0, 0
	v_mbcnt_hi_u32_b32 v54, v1, v8
	v_cmp_eq_u32_e32 vcc, 0, v54
	v_cmp_ne_u64_e64 s[0:1], 0, v[0:1]
	s_and_b64 s[4:5], s[0:1], vcc
	v_add_u32_e32 v56, v37, v55
	s_and_saveexec_b64 s[0:1], s[4:5]
	s_cbranch_execz .LBB1011_305
; %bb.304:
	v_bcnt_u32_b32 v0, v0, 0
	v_bcnt_u32_b32 v0, v1, v0
	s_waitcnt lgkmcnt(0)
	v_add_u32_e32 v0, v52, v0
	ds_write_b32 v56, v0 offset:32
.LBB1011_305:
	s_or_b64 exec, exec, s[0:1]
	s_waitcnt vmcnt(13)
	v_lshrrev_b32_sdwa v0, s8, v21 dst_sel:DWORD dst_unused:UNUSED_PAD src0_sel:DWORD src1_sel:WORD_0
	v_and_b32_e32 v57, s9, v0
	v_mad_u32_u24 v0, v57, 36, v37
	; wave barrier
	ds_read_b32 v55, v0 offset:32
	v_and_b32_e32 v0, 1, v57
	v_mov_b32_e32 v1, 0
	v_lshl_add_u64 v[8:9], v[0:1], 0, -1
	v_cmp_ne_u32_e32 vcc, 0, v0
	v_mul_u32_u24_e32 v58, 36, v57
	s_nop 0
	v_xor_b32_e32 v8, vcc_lo, v8
	v_xor_b32_e32 v0, vcc_hi, v9
	v_and_b32_e32 v59, exec_lo, v8
	v_lshlrev_b32_e32 v9, 30, v57
	v_mov_b32_e32 v8, v1
	v_cmp_gt_i64_e32 vcc, 0, v[8:9]
	v_not_b32_e32 v8, v9
	v_ashrrev_i32_e32 v8, 31, v8
	v_and_b32_e32 v0, exec_hi, v0
	v_xor_b32_e32 v9, vcc_hi, v8
	v_xor_b32_e32 v8, vcc_lo, v8
	v_and_b32_e32 v0, v0, v9
	v_and_b32_e32 v59, v59, v8
	v_lshlrev_b32_e32 v9, 29, v57
	v_mov_b32_e32 v8, v1
	v_cmp_gt_i64_e32 vcc, 0, v[8:9]
	v_not_b32_e32 v8, v9
	v_ashrrev_i32_e32 v8, 31, v8
	v_xor_b32_e32 v9, vcc_hi, v8
	v_xor_b32_e32 v8, vcc_lo, v8
	v_and_b32_e32 v0, v0, v9
	v_and_b32_e32 v59, v59, v8
	v_lshlrev_b32_e32 v9, 28, v57
	v_mov_b32_e32 v8, v1
	v_cmp_gt_i64_e32 vcc, 0, v[8:9]
	v_not_b32_e32 v8, v9
	v_ashrrev_i32_e32 v8, 31, v8
	;; [unrolled: 9-line block ×4, first 2 shown]
	v_xor_b32_e32 v9, vcc_hi, v8
	v_xor_b32_e32 v8, vcc_lo, v8
	v_and_b32_e32 v8, v59, v8
	v_and_b32_e32 v9, v0, v9
	v_mbcnt_lo_u32_b32 v0, v8, 0
	v_mbcnt_hi_u32_b32 v57, v9, v0
	v_cmp_eq_u32_e32 vcc, 0, v57
	v_cmp_ne_u64_e64 s[0:1], 0, v[8:9]
	s_and_b64 s[4:5], s[0:1], vcc
	v_add_u32_e32 v59, v37, v58
	; wave barrier
	s_and_saveexec_b64 s[0:1], s[4:5]
	s_cbranch_execz .LBB1011_307
; %bb.306:
	v_bcnt_u32_b32 v0, v8, 0
	v_bcnt_u32_b32 v0, v9, v0
	s_waitcnt lgkmcnt(0)
	v_add_u32_e32 v0, v55, v0
	ds_write_b32 v59, v0 offset:32
.LBB1011_307:
	s_or_b64 exec, exec, s[0:1]
	s_waitcnt vmcnt(12)
	v_lshrrev_b32_sdwa v0, s8, v20 dst_sel:DWORD dst_unused:UNUSED_PAD src0_sel:DWORD src1_sel:WORD_0
	v_and_b32_e32 v60, s9, v0
	v_mad_u32_u24 v0, v60, 36, v37
	; wave barrier
	ds_read_b32 v58, v0 offset:32
	v_and_b32_e32 v0, 1, v60
	v_lshl_add_u64 v[8:9], v[0:1], 0, -1
	v_cmp_ne_u32_e32 vcc, 0, v0
	v_mul_u32_u24_e32 v61, 36, v60
	s_nop 0
	v_xor_b32_e32 v8, vcc_lo, v8
	v_xor_b32_e32 v0, vcc_hi, v9
	v_and_b32_e32 v62, exec_lo, v8
	v_lshlrev_b32_e32 v9, 30, v60
	v_mov_b32_e32 v8, v1
	v_cmp_gt_i64_e32 vcc, 0, v[8:9]
	v_not_b32_e32 v8, v9
	v_ashrrev_i32_e32 v8, 31, v8
	v_and_b32_e32 v0, exec_hi, v0
	v_xor_b32_e32 v9, vcc_hi, v8
	v_xor_b32_e32 v8, vcc_lo, v8
	v_and_b32_e32 v0, v0, v9
	v_and_b32_e32 v62, v62, v8
	v_lshlrev_b32_e32 v9, 29, v60
	v_mov_b32_e32 v8, v1
	v_cmp_gt_i64_e32 vcc, 0, v[8:9]
	v_not_b32_e32 v8, v9
	v_ashrrev_i32_e32 v8, 31, v8
	v_xor_b32_e32 v9, vcc_hi, v8
	v_xor_b32_e32 v8, vcc_lo, v8
	v_and_b32_e32 v0, v0, v9
	v_and_b32_e32 v62, v62, v8
	v_lshlrev_b32_e32 v9, 28, v60
	v_mov_b32_e32 v8, v1
	v_cmp_gt_i64_e32 vcc, 0, v[8:9]
	v_not_b32_e32 v8, v9
	v_ashrrev_i32_e32 v8, 31, v8
	;; [unrolled: 9-line block ×3, first 2 shown]
	v_xor_b32_e32 v9, vcc_hi, v8
	v_xor_b32_e32 v8, vcc_lo, v8
	v_and_b32_e32 v0, v0, v9
	v_lshlrev_b32_e32 v9, 26, v60
	v_and_b32_e32 v62, v62, v8
	v_mov_b32_e32 v8, v1
	v_not_b32_e32 v1, v9
	v_cmp_gt_i64_e32 vcc, 0, v[8:9]
	v_ashrrev_i32_e32 v1, 31, v1
	; wave barrier
	s_nop 0
	v_xor_b32_e32 v8, vcc_hi, v1
	v_xor_b32_e32 v9, vcc_lo, v1
	v_and_b32_e32 v1, v0, v8
	v_and_b32_e32 v0, v62, v9
	v_mbcnt_lo_u32_b32 v8, v0, 0
	v_mbcnt_hi_u32_b32 v60, v1, v8
	v_cmp_eq_u32_e32 vcc, 0, v60
	v_cmp_ne_u64_e64 s[0:1], 0, v[0:1]
	s_and_b64 s[4:5], s[0:1], vcc
	v_add_u32_e32 v62, v37, v61
	s_and_saveexec_b64 s[0:1], s[4:5]
	s_cbranch_execz .LBB1011_309
; %bb.308:
	v_bcnt_u32_b32 v0, v0, 0
	v_bcnt_u32_b32 v0, v1, v0
	s_waitcnt lgkmcnt(0)
	v_add_u32_e32 v0, v58, v0
	ds_write_b32 v62, v0 offset:32
.LBB1011_309:
	s_or_b64 exec, exec, s[0:1]
	s_waitcnt vmcnt(11)
	v_lshrrev_b32_sdwa v0, s8, v19 dst_sel:DWORD dst_unused:UNUSED_PAD src0_sel:DWORD src1_sel:WORD_0
	v_and_b32_e32 v63, s9, v0
	v_mad_u32_u24 v0, v63, 36, v37
	; wave barrier
	ds_read_b32 v61, v0 offset:32
	v_and_b32_e32 v0, 1, v63
	v_mov_b32_e32 v1, 0
	v_lshl_add_u64 v[8:9], v[0:1], 0, -1
	v_cmp_ne_u32_e32 vcc, 0, v0
	v_mul_u32_u24_e32 v64, 36, v63
	s_nop 0
	v_xor_b32_e32 v8, vcc_lo, v8
	v_xor_b32_e32 v0, vcc_hi, v9
	v_and_b32_e32 v65, exec_lo, v8
	v_lshlrev_b32_e32 v9, 30, v63
	v_mov_b32_e32 v8, v1
	v_cmp_gt_i64_e32 vcc, 0, v[8:9]
	v_not_b32_e32 v8, v9
	v_ashrrev_i32_e32 v8, 31, v8
	v_and_b32_e32 v0, exec_hi, v0
	v_xor_b32_e32 v9, vcc_hi, v8
	v_xor_b32_e32 v8, vcc_lo, v8
	v_and_b32_e32 v0, v0, v9
	v_and_b32_e32 v65, v65, v8
	v_lshlrev_b32_e32 v9, 29, v63
	v_mov_b32_e32 v8, v1
	v_cmp_gt_i64_e32 vcc, 0, v[8:9]
	v_not_b32_e32 v8, v9
	v_ashrrev_i32_e32 v8, 31, v8
	v_xor_b32_e32 v9, vcc_hi, v8
	v_xor_b32_e32 v8, vcc_lo, v8
	v_and_b32_e32 v0, v0, v9
	v_and_b32_e32 v65, v65, v8
	v_lshlrev_b32_e32 v9, 28, v63
	v_mov_b32_e32 v8, v1
	v_cmp_gt_i64_e32 vcc, 0, v[8:9]
	v_not_b32_e32 v8, v9
	v_ashrrev_i32_e32 v8, 31, v8
	;; [unrolled: 9-line block ×4, first 2 shown]
	v_xor_b32_e32 v9, vcc_hi, v8
	v_xor_b32_e32 v8, vcc_lo, v8
	v_and_b32_e32 v8, v65, v8
	v_and_b32_e32 v9, v0, v9
	v_mbcnt_lo_u32_b32 v0, v8, 0
	v_mbcnt_hi_u32_b32 v63, v9, v0
	v_cmp_eq_u32_e32 vcc, 0, v63
	v_cmp_ne_u64_e64 s[0:1], 0, v[8:9]
	s_and_b64 s[4:5], s[0:1], vcc
	v_add_u32_e32 v65, v37, v64
	; wave barrier
	s_and_saveexec_b64 s[0:1], s[4:5]
	s_cbranch_execz .LBB1011_311
; %bb.310:
	v_bcnt_u32_b32 v0, v8, 0
	v_bcnt_u32_b32 v0, v9, v0
	s_waitcnt lgkmcnt(0)
	v_add_u32_e32 v0, v61, v0
	ds_write_b32 v65, v0 offset:32
.LBB1011_311:
	s_or_b64 exec, exec, s[0:1]
	s_waitcnt vmcnt(10)
	v_lshrrev_b32_sdwa v0, s8, v18 dst_sel:DWORD dst_unused:UNUSED_PAD src0_sel:DWORD src1_sel:WORD_0
	v_and_b32_e32 v66, s9, v0
	v_mad_u32_u24 v0, v66, 36, v37
	; wave barrier
	ds_read_b32 v64, v0 offset:32
	v_and_b32_e32 v0, 1, v66
	v_lshl_add_u64 v[8:9], v[0:1], 0, -1
	v_cmp_ne_u32_e32 vcc, 0, v0
	v_mul_u32_u24_e32 v67, 36, v66
	s_nop 0
	v_xor_b32_e32 v8, vcc_lo, v8
	v_xor_b32_e32 v0, vcc_hi, v9
	v_and_b32_e32 v68, exec_lo, v8
	v_lshlrev_b32_e32 v9, 30, v66
	v_mov_b32_e32 v8, v1
	v_cmp_gt_i64_e32 vcc, 0, v[8:9]
	v_not_b32_e32 v8, v9
	v_ashrrev_i32_e32 v8, 31, v8
	v_and_b32_e32 v0, exec_hi, v0
	v_xor_b32_e32 v9, vcc_hi, v8
	v_xor_b32_e32 v8, vcc_lo, v8
	v_and_b32_e32 v0, v0, v9
	v_and_b32_e32 v68, v68, v8
	v_lshlrev_b32_e32 v9, 29, v66
	v_mov_b32_e32 v8, v1
	v_cmp_gt_i64_e32 vcc, 0, v[8:9]
	v_not_b32_e32 v8, v9
	v_ashrrev_i32_e32 v8, 31, v8
	v_xor_b32_e32 v9, vcc_hi, v8
	v_xor_b32_e32 v8, vcc_lo, v8
	v_and_b32_e32 v0, v0, v9
	v_and_b32_e32 v68, v68, v8
	v_lshlrev_b32_e32 v9, 28, v66
	v_mov_b32_e32 v8, v1
	v_cmp_gt_i64_e32 vcc, 0, v[8:9]
	v_not_b32_e32 v8, v9
	v_ashrrev_i32_e32 v8, 31, v8
	;; [unrolled: 9-line block ×3, first 2 shown]
	v_xor_b32_e32 v9, vcc_hi, v8
	v_xor_b32_e32 v8, vcc_lo, v8
	v_and_b32_e32 v0, v0, v9
	v_lshlrev_b32_e32 v9, 26, v66
	v_and_b32_e32 v68, v68, v8
	v_mov_b32_e32 v8, v1
	v_not_b32_e32 v1, v9
	v_cmp_gt_i64_e32 vcc, 0, v[8:9]
	v_ashrrev_i32_e32 v1, 31, v1
	; wave barrier
	s_nop 0
	v_xor_b32_e32 v8, vcc_hi, v1
	v_xor_b32_e32 v9, vcc_lo, v1
	v_and_b32_e32 v1, v0, v8
	v_and_b32_e32 v0, v68, v9
	v_mbcnt_lo_u32_b32 v8, v0, 0
	v_mbcnt_hi_u32_b32 v66, v1, v8
	v_cmp_eq_u32_e32 vcc, 0, v66
	v_cmp_ne_u64_e64 s[0:1], 0, v[0:1]
	s_and_b64 s[4:5], s[0:1], vcc
	v_add_u32_e32 v68, v37, v67
	s_and_saveexec_b64 s[0:1], s[4:5]
	s_cbranch_execz .LBB1011_313
; %bb.312:
	v_bcnt_u32_b32 v0, v0, 0
	v_bcnt_u32_b32 v0, v1, v0
	s_waitcnt lgkmcnt(0)
	v_add_u32_e32 v0, v64, v0
	ds_write_b32 v68, v0 offset:32
.LBB1011_313:
	s_or_b64 exec, exec, s[0:1]
	s_waitcnt vmcnt(9)
	v_lshrrev_b32_sdwa v0, s8, v17 dst_sel:DWORD dst_unused:UNUSED_PAD src0_sel:DWORD src1_sel:WORD_0
	v_and_b32_e32 v69, s9, v0
	v_mad_u32_u24 v0, v69, 36, v37
	; wave barrier
	ds_read_b32 v67, v0 offset:32
	v_and_b32_e32 v0, 1, v69
	v_mov_b32_e32 v1, 0
	v_lshl_add_u64 v[8:9], v[0:1], 0, -1
	v_cmp_ne_u32_e32 vcc, 0, v0
	v_mul_u32_u24_e32 v70, 36, v69
	s_nop 0
	v_xor_b32_e32 v8, vcc_lo, v8
	v_xor_b32_e32 v0, vcc_hi, v9
	v_and_b32_e32 v71, exec_lo, v8
	v_lshlrev_b32_e32 v9, 30, v69
	v_mov_b32_e32 v8, v1
	v_cmp_gt_i64_e32 vcc, 0, v[8:9]
	v_not_b32_e32 v8, v9
	v_ashrrev_i32_e32 v8, 31, v8
	v_and_b32_e32 v0, exec_hi, v0
	v_xor_b32_e32 v9, vcc_hi, v8
	v_xor_b32_e32 v8, vcc_lo, v8
	v_and_b32_e32 v0, v0, v9
	v_and_b32_e32 v71, v71, v8
	v_lshlrev_b32_e32 v9, 29, v69
	v_mov_b32_e32 v8, v1
	v_cmp_gt_i64_e32 vcc, 0, v[8:9]
	v_not_b32_e32 v8, v9
	v_ashrrev_i32_e32 v8, 31, v8
	v_xor_b32_e32 v9, vcc_hi, v8
	v_xor_b32_e32 v8, vcc_lo, v8
	v_and_b32_e32 v0, v0, v9
	v_and_b32_e32 v71, v71, v8
	v_lshlrev_b32_e32 v9, 28, v69
	v_mov_b32_e32 v8, v1
	v_cmp_gt_i64_e32 vcc, 0, v[8:9]
	v_not_b32_e32 v8, v9
	v_ashrrev_i32_e32 v8, 31, v8
	;; [unrolled: 9-line block ×4, first 2 shown]
	v_xor_b32_e32 v9, vcc_hi, v8
	v_xor_b32_e32 v8, vcc_lo, v8
	v_and_b32_e32 v8, v71, v8
	v_and_b32_e32 v9, v0, v9
	v_mbcnt_lo_u32_b32 v0, v8, 0
	v_mbcnt_hi_u32_b32 v69, v9, v0
	v_cmp_eq_u32_e32 vcc, 0, v69
	v_cmp_ne_u64_e64 s[0:1], 0, v[8:9]
	s_and_b64 s[4:5], s[0:1], vcc
	v_add_u32_e32 v71, v37, v70
	; wave barrier
	s_and_saveexec_b64 s[0:1], s[4:5]
	s_cbranch_execz .LBB1011_315
; %bb.314:
	v_bcnt_u32_b32 v0, v8, 0
	v_bcnt_u32_b32 v0, v9, v0
	s_waitcnt lgkmcnt(0)
	v_add_u32_e32 v0, v67, v0
	ds_write_b32 v71, v0 offset:32
.LBB1011_315:
	s_or_b64 exec, exec, s[0:1]
	s_waitcnt vmcnt(8)
	v_lshrrev_b32_sdwa v0, s8, v16 dst_sel:DWORD dst_unused:UNUSED_PAD src0_sel:DWORD src1_sel:WORD_0
	v_and_b32_e32 v72, s9, v0
	v_mad_u32_u24 v0, v72, 36, v37
	; wave barrier
	ds_read_b32 v70, v0 offset:32
	v_and_b32_e32 v0, 1, v72
	v_lshl_add_u64 v[8:9], v[0:1], 0, -1
	v_cmp_ne_u32_e32 vcc, 0, v0
	v_mul_u32_u24_e32 v73, 36, v72
	s_nop 0
	v_xor_b32_e32 v8, vcc_lo, v8
	v_xor_b32_e32 v0, vcc_hi, v9
	v_and_b32_e32 v74, exec_lo, v8
	v_lshlrev_b32_e32 v9, 30, v72
	v_mov_b32_e32 v8, v1
	v_cmp_gt_i64_e32 vcc, 0, v[8:9]
	v_not_b32_e32 v8, v9
	v_ashrrev_i32_e32 v8, 31, v8
	v_and_b32_e32 v0, exec_hi, v0
	v_xor_b32_e32 v9, vcc_hi, v8
	v_xor_b32_e32 v8, vcc_lo, v8
	v_and_b32_e32 v0, v0, v9
	v_and_b32_e32 v74, v74, v8
	v_lshlrev_b32_e32 v9, 29, v72
	v_mov_b32_e32 v8, v1
	v_cmp_gt_i64_e32 vcc, 0, v[8:9]
	v_not_b32_e32 v8, v9
	v_ashrrev_i32_e32 v8, 31, v8
	v_xor_b32_e32 v9, vcc_hi, v8
	v_xor_b32_e32 v8, vcc_lo, v8
	v_and_b32_e32 v0, v0, v9
	v_and_b32_e32 v74, v74, v8
	v_lshlrev_b32_e32 v9, 28, v72
	v_mov_b32_e32 v8, v1
	v_cmp_gt_i64_e32 vcc, 0, v[8:9]
	v_not_b32_e32 v8, v9
	v_ashrrev_i32_e32 v8, 31, v8
	;; [unrolled: 9-line block ×3, first 2 shown]
	v_xor_b32_e32 v9, vcc_hi, v8
	v_xor_b32_e32 v8, vcc_lo, v8
	v_and_b32_e32 v0, v0, v9
	v_lshlrev_b32_e32 v9, 26, v72
	v_and_b32_e32 v74, v74, v8
	v_mov_b32_e32 v8, v1
	v_not_b32_e32 v1, v9
	v_cmp_gt_i64_e32 vcc, 0, v[8:9]
	v_ashrrev_i32_e32 v1, 31, v1
	; wave barrier
	s_nop 0
	v_xor_b32_e32 v8, vcc_hi, v1
	v_xor_b32_e32 v9, vcc_lo, v1
	v_and_b32_e32 v1, v0, v8
	v_and_b32_e32 v0, v74, v9
	v_mbcnt_lo_u32_b32 v8, v0, 0
	v_mbcnt_hi_u32_b32 v72, v1, v8
	v_cmp_eq_u32_e32 vcc, 0, v72
	v_cmp_ne_u64_e64 s[0:1], 0, v[0:1]
	s_and_b64 s[4:5], s[0:1], vcc
	v_add_u32_e32 v74, v37, v73
	s_and_saveexec_b64 s[0:1], s[4:5]
	s_cbranch_execz .LBB1011_317
; %bb.316:
	v_bcnt_u32_b32 v0, v0, 0
	v_bcnt_u32_b32 v0, v1, v0
	s_waitcnt lgkmcnt(0)
	v_add_u32_e32 v0, v70, v0
	ds_write_b32 v74, v0 offset:32
.LBB1011_317:
	s_or_b64 exec, exec, s[0:1]
	s_waitcnt vmcnt(7)
	v_lshrrev_b32_sdwa v0, s8, v14 dst_sel:DWORD dst_unused:UNUSED_PAD src0_sel:DWORD src1_sel:WORD_0
	v_and_b32_e32 v75, s9, v0
	v_mad_u32_u24 v0, v75, 36, v37
	; wave barrier
	ds_read_b32 v73, v0 offset:32
	v_and_b32_e32 v0, 1, v75
	v_mov_b32_e32 v1, 0
	v_lshl_add_u64 v[8:9], v[0:1], 0, -1
	v_cmp_ne_u32_e32 vcc, 0, v0
	v_mul_u32_u24_e32 v76, 36, v75
	s_nop 0
	v_xor_b32_e32 v8, vcc_lo, v8
	v_xor_b32_e32 v0, vcc_hi, v9
	v_and_b32_e32 v77, exec_lo, v8
	v_lshlrev_b32_e32 v9, 30, v75
	v_mov_b32_e32 v8, v1
	v_cmp_gt_i64_e32 vcc, 0, v[8:9]
	v_not_b32_e32 v8, v9
	v_ashrrev_i32_e32 v8, 31, v8
	v_and_b32_e32 v0, exec_hi, v0
	v_xor_b32_e32 v9, vcc_hi, v8
	v_xor_b32_e32 v8, vcc_lo, v8
	v_and_b32_e32 v0, v0, v9
	v_and_b32_e32 v77, v77, v8
	v_lshlrev_b32_e32 v9, 29, v75
	v_mov_b32_e32 v8, v1
	v_cmp_gt_i64_e32 vcc, 0, v[8:9]
	v_not_b32_e32 v8, v9
	v_ashrrev_i32_e32 v8, 31, v8
	v_xor_b32_e32 v9, vcc_hi, v8
	v_xor_b32_e32 v8, vcc_lo, v8
	v_and_b32_e32 v0, v0, v9
	v_and_b32_e32 v77, v77, v8
	v_lshlrev_b32_e32 v9, 28, v75
	v_mov_b32_e32 v8, v1
	v_cmp_gt_i64_e32 vcc, 0, v[8:9]
	v_not_b32_e32 v8, v9
	v_ashrrev_i32_e32 v8, 31, v8
	;; [unrolled: 9-line block ×4, first 2 shown]
	v_xor_b32_e32 v9, vcc_hi, v8
	v_xor_b32_e32 v8, vcc_lo, v8
	v_and_b32_e32 v8, v77, v8
	v_and_b32_e32 v9, v0, v9
	v_mbcnt_lo_u32_b32 v0, v8, 0
	v_mbcnt_hi_u32_b32 v75, v9, v0
	v_cmp_eq_u32_e32 vcc, 0, v75
	v_cmp_ne_u64_e64 s[0:1], 0, v[8:9]
	s_and_b64 s[4:5], s[0:1], vcc
	v_add_u32_e32 v77, v37, v76
	; wave barrier
	s_and_saveexec_b64 s[0:1], s[4:5]
	s_cbranch_execz .LBB1011_319
; %bb.318:
	v_bcnt_u32_b32 v0, v8, 0
	v_bcnt_u32_b32 v0, v9, v0
	s_waitcnt lgkmcnt(0)
	v_add_u32_e32 v0, v73, v0
	ds_write_b32 v77, v0 offset:32
.LBB1011_319:
	s_or_b64 exec, exec, s[0:1]
	s_waitcnt vmcnt(6)
	v_lshrrev_b32_sdwa v0, s8, v15 dst_sel:DWORD dst_unused:UNUSED_PAD src0_sel:DWORD src1_sel:WORD_0
	v_and_b32_e32 v78, s9, v0
	v_mad_u32_u24 v0, v78, 36, v37
	; wave barrier
	ds_read_b32 v76, v0 offset:32
	v_and_b32_e32 v0, 1, v78
	v_lshl_add_u64 v[8:9], v[0:1], 0, -1
	v_cmp_ne_u32_e32 vcc, 0, v0
	v_mul_u32_u24_e32 v79, 36, v78
	s_nop 0
	v_xor_b32_e32 v8, vcc_lo, v8
	v_xor_b32_e32 v0, vcc_hi, v9
	v_and_b32_e32 v80, exec_lo, v8
	v_lshlrev_b32_e32 v9, 30, v78
	v_mov_b32_e32 v8, v1
	v_cmp_gt_i64_e32 vcc, 0, v[8:9]
	v_not_b32_e32 v8, v9
	v_ashrrev_i32_e32 v8, 31, v8
	v_and_b32_e32 v0, exec_hi, v0
	v_xor_b32_e32 v9, vcc_hi, v8
	v_xor_b32_e32 v8, vcc_lo, v8
	v_and_b32_e32 v0, v0, v9
	v_and_b32_e32 v80, v80, v8
	v_lshlrev_b32_e32 v9, 29, v78
	v_mov_b32_e32 v8, v1
	v_cmp_gt_i64_e32 vcc, 0, v[8:9]
	v_not_b32_e32 v8, v9
	v_ashrrev_i32_e32 v8, 31, v8
	v_xor_b32_e32 v9, vcc_hi, v8
	v_xor_b32_e32 v8, vcc_lo, v8
	v_and_b32_e32 v0, v0, v9
	v_and_b32_e32 v80, v80, v8
	v_lshlrev_b32_e32 v9, 28, v78
	v_mov_b32_e32 v8, v1
	v_cmp_gt_i64_e32 vcc, 0, v[8:9]
	v_not_b32_e32 v8, v9
	v_ashrrev_i32_e32 v8, 31, v8
	;; [unrolled: 9-line block ×3, first 2 shown]
	v_xor_b32_e32 v9, vcc_hi, v8
	v_xor_b32_e32 v8, vcc_lo, v8
	v_and_b32_e32 v0, v0, v9
	v_lshlrev_b32_e32 v9, 26, v78
	v_and_b32_e32 v80, v80, v8
	v_mov_b32_e32 v8, v1
	v_not_b32_e32 v1, v9
	v_cmp_gt_i64_e32 vcc, 0, v[8:9]
	v_ashrrev_i32_e32 v1, 31, v1
	; wave barrier
	s_nop 0
	v_xor_b32_e32 v8, vcc_hi, v1
	v_xor_b32_e32 v9, vcc_lo, v1
	v_and_b32_e32 v1, v0, v8
	v_and_b32_e32 v0, v80, v9
	v_mbcnt_lo_u32_b32 v8, v0, 0
	v_mbcnt_hi_u32_b32 v78, v1, v8
	v_cmp_eq_u32_e32 vcc, 0, v78
	v_cmp_ne_u64_e64 s[0:1], 0, v[0:1]
	s_and_b64 s[4:5], s[0:1], vcc
	v_add_u32_e32 v80, v37, v79
	s_and_saveexec_b64 s[0:1], s[4:5]
	s_cbranch_execz .LBB1011_321
; %bb.320:
	v_bcnt_u32_b32 v0, v0, 0
	v_bcnt_u32_b32 v0, v1, v0
	s_waitcnt lgkmcnt(0)
	v_add_u32_e32 v0, v76, v0
	ds_write_b32 v80, v0 offset:32
.LBB1011_321:
	s_or_b64 exec, exec, s[0:1]
	s_waitcnt vmcnt(5)
	v_lshrrev_b32_sdwa v0, s8, v13 dst_sel:DWORD dst_unused:UNUSED_PAD src0_sel:DWORD src1_sel:WORD_0
	v_and_b32_e32 v81, s9, v0
	v_mad_u32_u24 v0, v81, 36, v37
	; wave barrier
	ds_read_b32 v79, v0 offset:32
	v_and_b32_e32 v0, 1, v81
	v_mov_b32_e32 v1, 0
	v_lshl_add_u64 v[8:9], v[0:1], 0, -1
	v_cmp_ne_u32_e32 vcc, 0, v0
	v_mul_u32_u24_e32 v82, 36, v81
	s_nop 0
	v_xor_b32_e32 v8, vcc_lo, v8
	v_xor_b32_e32 v0, vcc_hi, v9
	v_and_b32_e32 v83, exec_lo, v8
	v_lshlrev_b32_e32 v9, 30, v81
	v_mov_b32_e32 v8, v1
	v_cmp_gt_i64_e32 vcc, 0, v[8:9]
	v_not_b32_e32 v8, v9
	v_ashrrev_i32_e32 v8, 31, v8
	v_and_b32_e32 v0, exec_hi, v0
	v_xor_b32_e32 v9, vcc_hi, v8
	v_xor_b32_e32 v8, vcc_lo, v8
	v_and_b32_e32 v0, v0, v9
	v_and_b32_e32 v83, v83, v8
	v_lshlrev_b32_e32 v9, 29, v81
	v_mov_b32_e32 v8, v1
	v_cmp_gt_i64_e32 vcc, 0, v[8:9]
	v_not_b32_e32 v8, v9
	v_ashrrev_i32_e32 v8, 31, v8
	v_xor_b32_e32 v9, vcc_hi, v8
	v_xor_b32_e32 v8, vcc_lo, v8
	v_and_b32_e32 v0, v0, v9
	v_and_b32_e32 v83, v83, v8
	v_lshlrev_b32_e32 v9, 28, v81
	v_mov_b32_e32 v8, v1
	v_cmp_gt_i64_e32 vcc, 0, v[8:9]
	v_not_b32_e32 v8, v9
	v_ashrrev_i32_e32 v8, 31, v8
	;; [unrolled: 9-line block ×4, first 2 shown]
	v_xor_b32_e32 v9, vcc_hi, v8
	v_xor_b32_e32 v8, vcc_lo, v8
	v_and_b32_e32 v8, v83, v8
	v_and_b32_e32 v9, v0, v9
	v_mbcnt_lo_u32_b32 v0, v8, 0
	v_mbcnt_hi_u32_b32 v81, v9, v0
	v_cmp_eq_u32_e32 vcc, 0, v81
	v_cmp_ne_u64_e64 s[0:1], 0, v[8:9]
	s_and_b64 s[4:5], s[0:1], vcc
	v_add_u32_e32 v83, v37, v82
	; wave barrier
	s_and_saveexec_b64 s[0:1], s[4:5]
	s_cbranch_execz .LBB1011_323
; %bb.322:
	v_bcnt_u32_b32 v0, v8, 0
	v_bcnt_u32_b32 v0, v9, v0
	s_waitcnt lgkmcnt(0)
	v_add_u32_e32 v0, v79, v0
	ds_write_b32 v83, v0 offset:32
.LBB1011_323:
	s_or_b64 exec, exec, s[0:1]
	s_waitcnt vmcnt(4)
	v_lshrrev_b32_sdwa v0, s8, v12 dst_sel:DWORD dst_unused:UNUSED_PAD src0_sel:DWORD src1_sel:WORD_0
	v_and_b32_e32 v84, s9, v0
	v_mad_u32_u24 v0, v84, 36, v37
	; wave barrier
	ds_read_b32 v82, v0 offset:32
	v_and_b32_e32 v0, 1, v84
	v_lshl_add_u64 v[8:9], v[0:1], 0, -1
	v_cmp_ne_u32_e32 vcc, 0, v0
	v_mul_u32_u24_e32 v85, 36, v84
	s_nop 0
	v_xor_b32_e32 v8, vcc_lo, v8
	v_xor_b32_e32 v0, vcc_hi, v9
	v_and_b32_e32 v86, exec_lo, v8
	v_lshlrev_b32_e32 v9, 30, v84
	v_mov_b32_e32 v8, v1
	v_cmp_gt_i64_e32 vcc, 0, v[8:9]
	v_not_b32_e32 v8, v9
	v_ashrrev_i32_e32 v8, 31, v8
	v_and_b32_e32 v0, exec_hi, v0
	v_xor_b32_e32 v9, vcc_hi, v8
	v_xor_b32_e32 v8, vcc_lo, v8
	v_and_b32_e32 v0, v0, v9
	v_and_b32_e32 v86, v86, v8
	v_lshlrev_b32_e32 v9, 29, v84
	v_mov_b32_e32 v8, v1
	v_cmp_gt_i64_e32 vcc, 0, v[8:9]
	v_not_b32_e32 v8, v9
	v_ashrrev_i32_e32 v8, 31, v8
	v_xor_b32_e32 v9, vcc_hi, v8
	v_xor_b32_e32 v8, vcc_lo, v8
	v_and_b32_e32 v0, v0, v9
	v_and_b32_e32 v86, v86, v8
	v_lshlrev_b32_e32 v9, 28, v84
	v_mov_b32_e32 v8, v1
	v_cmp_gt_i64_e32 vcc, 0, v[8:9]
	v_not_b32_e32 v8, v9
	v_ashrrev_i32_e32 v8, 31, v8
	;; [unrolled: 9-line block ×3, first 2 shown]
	v_xor_b32_e32 v9, vcc_hi, v8
	v_xor_b32_e32 v8, vcc_lo, v8
	v_and_b32_e32 v0, v0, v9
	v_lshlrev_b32_e32 v9, 26, v84
	v_and_b32_e32 v86, v86, v8
	v_mov_b32_e32 v8, v1
	v_not_b32_e32 v1, v9
	v_cmp_gt_i64_e32 vcc, 0, v[8:9]
	v_ashrrev_i32_e32 v1, 31, v1
	; wave barrier
	s_nop 0
	v_xor_b32_e32 v8, vcc_hi, v1
	v_xor_b32_e32 v9, vcc_lo, v1
	v_and_b32_e32 v1, v0, v8
	v_and_b32_e32 v0, v86, v9
	v_mbcnt_lo_u32_b32 v8, v0, 0
	v_mbcnt_hi_u32_b32 v84, v1, v8
	v_cmp_eq_u32_e32 vcc, 0, v84
	v_cmp_ne_u64_e64 s[0:1], 0, v[0:1]
	s_and_b64 s[4:5], s[0:1], vcc
	v_add_u32_e32 v86, v37, v85
	s_and_saveexec_b64 s[0:1], s[4:5]
	s_cbranch_execz .LBB1011_325
; %bb.324:
	v_bcnt_u32_b32 v0, v0, 0
	v_bcnt_u32_b32 v0, v1, v0
	s_waitcnt lgkmcnt(0)
	v_add_u32_e32 v0, v82, v0
	ds_write_b32 v86, v0 offset:32
.LBB1011_325:
	s_or_b64 exec, exec, s[0:1]
	s_waitcnt vmcnt(3)
	v_lshrrev_b32_sdwa v0, s8, v11 dst_sel:DWORD dst_unused:UNUSED_PAD src0_sel:DWORD src1_sel:WORD_0
	v_and_b32_e32 v87, s9, v0
	v_mad_u32_u24 v0, v87, 36, v37
	; wave barrier
	ds_read_b32 v85, v0 offset:32
	v_and_b32_e32 v0, 1, v87
	v_mov_b32_e32 v1, 0
	v_lshl_add_u64 v[8:9], v[0:1], 0, -1
	v_cmp_ne_u32_e32 vcc, 0, v0
	v_mul_u32_u24_e32 v88, 36, v87
	s_nop 0
	v_xor_b32_e32 v8, vcc_lo, v8
	v_xor_b32_e32 v0, vcc_hi, v9
	v_and_b32_e32 v89, exec_lo, v8
	v_lshlrev_b32_e32 v9, 30, v87
	v_mov_b32_e32 v8, v1
	v_cmp_gt_i64_e32 vcc, 0, v[8:9]
	v_not_b32_e32 v8, v9
	v_ashrrev_i32_e32 v8, 31, v8
	v_and_b32_e32 v0, exec_hi, v0
	v_xor_b32_e32 v9, vcc_hi, v8
	v_xor_b32_e32 v8, vcc_lo, v8
	v_and_b32_e32 v0, v0, v9
	v_and_b32_e32 v89, v89, v8
	v_lshlrev_b32_e32 v9, 29, v87
	v_mov_b32_e32 v8, v1
	v_cmp_gt_i64_e32 vcc, 0, v[8:9]
	v_not_b32_e32 v8, v9
	v_ashrrev_i32_e32 v8, 31, v8
	v_xor_b32_e32 v9, vcc_hi, v8
	v_xor_b32_e32 v8, vcc_lo, v8
	v_and_b32_e32 v0, v0, v9
	v_and_b32_e32 v89, v89, v8
	v_lshlrev_b32_e32 v9, 28, v87
	v_mov_b32_e32 v8, v1
	v_cmp_gt_i64_e32 vcc, 0, v[8:9]
	v_not_b32_e32 v8, v9
	v_ashrrev_i32_e32 v8, 31, v8
	;; [unrolled: 9-line block ×4, first 2 shown]
	v_xor_b32_e32 v9, vcc_hi, v8
	v_xor_b32_e32 v8, vcc_lo, v8
	v_and_b32_e32 v8, v89, v8
	v_and_b32_e32 v9, v0, v9
	v_mbcnt_lo_u32_b32 v0, v8, 0
	v_mbcnt_hi_u32_b32 v87, v9, v0
	v_cmp_eq_u32_e32 vcc, 0, v87
	v_cmp_ne_u64_e64 s[0:1], 0, v[8:9]
	s_and_b64 s[4:5], s[0:1], vcc
	v_add_u32_e32 v89, v37, v88
	; wave barrier
	s_and_saveexec_b64 s[0:1], s[4:5]
	s_cbranch_execz .LBB1011_327
; %bb.326:
	v_bcnt_u32_b32 v0, v8, 0
	v_bcnt_u32_b32 v0, v9, v0
	s_waitcnt lgkmcnt(0)
	v_add_u32_e32 v0, v85, v0
	ds_write_b32 v89, v0 offset:32
.LBB1011_327:
	s_or_b64 exec, exec, s[0:1]
	s_waitcnt vmcnt(2)
	v_lshrrev_b32_sdwa v0, s8, v10 dst_sel:DWORD dst_unused:UNUSED_PAD src0_sel:DWORD src1_sel:WORD_0
	v_and_b32_e32 v90, s9, v0
	v_mad_u32_u24 v0, v90, 36, v37
	; wave barrier
	ds_read_b32 v88, v0 offset:32
	v_and_b32_e32 v0, 1, v90
	v_lshl_add_u64 v[8:9], v[0:1], 0, -1
	v_cmp_ne_u32_e32 vcc, 0, v0
	v_mul_u32_u24_e32 v91, 36, v90
	s_nop 0
	v_xor_b32_e32 v8, vcc_lo, v8
	v_xor_b32_e32 v0, vcc_hi, v9
	v_and_b32_e32 v92, exec_lo, v8
	v_lshlrev_b32_e32 v9, 30, v90
	v_mov_b32_e32 v8, v1
	v_cmp_gt_i64_e32 vcc, 0, v[8:9]
	v_not_b32_e32 v8, v9
	v_ashrrev_i32_e32 v8, 31, v8
	v_and_b32_e32 v0, exec_hi, v0
	v_xor_b32_e32 v9, vcc_hi, v8
	v_xor_b32_e32 v8, vcc_lo, v8
	v_and_b32_e32 v0, v0, v9
	v_and_b32_e32 v92, v92, v8
	v_lshlrev_b32_e32 v9, 29, v90
	v_mov_b32_e32 v8, v1
	v_cmp_gt_i64_e32 vcc, 0, v[8:9]
	v_not_b32_e32 v8, v9
	v_ashrrev_i32_e32 v8, 31, v8
	v_xor_b32_e32 v9, vcc_hi, v8
	v_xor_b32_e32 v8, vcc_lo, v8
	v_and_b32_e32 v0, v0, v9
	v_and_b32_e32 v92, v92, v8
	v_lshlrev_b32_e32 v9, 28, v90
	v_mov_b32_e32 v8, v1
	v_cmp_gt_i64_e32 vcc, 0, v[8:9]
	v_not_b32_e32 v8, v9
	v_ashrrev_i32_e32 v8, 31, v8
	;; [unrolled: 9-line block ×3, first 2 shown]
	v_xor_b32_e32 v9, vcc_hi, v8
	v_xor_b32_e32 v8, vcc_lo, v8
	v_and_b32_e32 v0, v0, v9
	v_lshlrev_b32_e32 v9, 26, v90
	v_and_b32_e32 v92, v92, v8
	v_mov_b32_e32 v8, v1
	v_not_b32_e32 v1, v9
	v_cmp_gt_i64_e32 vcc, 0, v[8:9]
	v_ashrrev_i32_e32 v1, 31, v1
	; wave barrier
	s_nop 0
	v_xor_b32_e32 v8, vcc_hi, v1
	v_xor_b32_e32 v9, vcc_lo, v1
	v_and_b32_e32 v1, v0, v8
	v_and_b32_e32 v0, v92, v9
	v_mbcnt_lo_u32_b32 v8, v0, 0
	v_mbcnt_hi_u32_b32 v90, v1, v8
	v_cmp_eq_u32_e32 vcc, 0, v90
	v_cmp_ne_u64_e64 s[0:1], 0, v[0:1]
	s_and_b64 s[4:5], s[0:1], vcc
	v_add_u32_e32 v92, v37, v91
	s_and_saveexec_b64 s[0:1], s[4:5]
	s_cbranch_execz .LBB1011_329
; %bb.328:
	v_bcnt_u32_b32 v0, v0, 0
	v_bcnt_u32_b32 v0, v1, v0
	s_waitcnt lgkmcnt(0)
	v_add_u32_e32 v0, v88, v0
	ds_write_b32 v92, v0 offset:32
.LBB1011_329:
	s_or_b64 exec, exec, s[0:1]
	s_waitcnt vmcnt(1)
	v_lshrrev_b32_sdwa v0, s8, v7 dst_sel:DWORD dst_unused:UNUSED_PAD src0_sel:DWORD src1_sel:WORD_0
	v_and_b32_e32 v93, s9, v0
	v_mad_u32_u24 v0, v93, 36, v37
	; wave barrier
	ds_read_b32 v91, v0 offset:32
	v_and_b32_e32 v0, 1, v93
	v_mov_b32_e32 v1, 0
	v_lshl_add_u64 v[8:9], v[0:1], 0, -1
	v_cmp_ne_u32_e32 vcc, 0, v0
	v_mul_u32_u24_e32 v94, 36, v93
	v_add_u32_e32 v94, v37, v94
	v_xor_b32_e32 v8, vcc_lo, v8
	v_xor_b32_e32 v0, vcc_hi, v9
	v_and_b32_e32 v95, exec_lo, v8
	v_lshlrev_b32_e32 v9, 30, v93
	v_mov_b32_e32 v8, v1
	v_cmp_gt_i64_e32 vcc, 0, v[8:9]
	v_not_b32_e32 v8, v9
	v_ashrrev_i32_e32 v8, 31, v8
	v_and_b32_e32 v0, exec_hi, v0
	v_xor_b32_e32 v9, vcc_hi, v8
	v_xor_b32_e32 v8, vcc_lo, v8
	v_and_b32_e32 v0, v0, v9
	v_and_b32_e32 v95, v95, v8
	v_lshlrev_b32_e32 v9, 29, v93
	v_mov_b32_e32 v8, v1
	v_cmp_gt_i64_e32 vcc, 0, v[8:9]
	v_not_b32_e32 v8, v9
	v_ashrrev_i32_e32 v8, 31, v8
	v_xor_b32_e32 v9, vcc_hi, v8
	v_xor_b32_e32 v8, vcc_lo, v8
	v_and_b32_e32 v0, v0, v9
	v_and_b32_e32 v95, v95, v8
	v_lshlrev_b32_e32 v9, 28, v93
	v_mov_b32_e32 v8, v1
	v_cmp_gt_i64_e32 vcc, 0, v[8:9]
	v_not_b32_e32 v8, v9
	v_ashrrev_i32_e32 v8, 31, v8
	;; [unrolled: 9-line block ×4, first 2 shown]
	v_xor_b32_e32 v9, vcc_hi, v8
	v_xor_b32_e32 v8, vcc_lo, v8
	v_and_b32_e32 v8, v95, v8
	v_and_b32_e32 v9, v0, v9
	v_mbcnt_lo_u32_b32 v0, v8, 0
	v_mbcnt_hi_u32_b32 v93, v9, v0
	v_cmp_eq_u32_e32 vcc, 0, v93
	v_cmp_ne_u64_e64 s[0:1], 0, v[8:9]
	s_and_b64 s[4:5], s[0:1], vcc
	; wave barrier
	s_and_saveexec_b64 s[0:1], s[4:5]
	s_cbranch_execz .LBB1011_331
; %bb.330:
	v_bcnt_u32_b32 v0, v8, 0
	v_bcnt_u32_b32 v0, v9, v0
	s_waitcnt lgkmcnt(0)
	v_add_u32_e32 v0, v91, v0
	ds_write_b32 v94, v0 offset:32
.LBB1011_331:
	s_or_b64 exec, exec, s[0:1]
	s_waitcnt vmcnt(0)
	v_lshrrev_b32_sdwa v0, s8, v5 dst_sel:DWORD dst_unused:UNUSED_PAD src0_sel:DWORD src1_sel:WORD_0
	v_and_b32_e32 v9, s9, v0
	v_mad_u32_u24 v0, v9, 36, v37
	; wave barrier
	ds_read_b32 v8, v0 offset:32
	v_and_b32_e32 v0, 1, v9
	v_lshl_add_u64 v[96:97], v[0:1], 0, -1
	v_cmp_ne_u32_e32 vcc, 0, v0
	v_mul_u32_u24_e32 v95, 36, v9
	v_add_u32_e32 v37, v37, v95
	v_xor_b32_e32 v96, vcc_lo, v96
	v_xor_b32_e32 v0, vcc_hi, v97
	v_and_b32_e32 v98, exec_lo, v96
	v_lshlrev_b32_e32 v97, 30, v9
	v_mov_b32_e32 v96, v1
	v_cmp_gt_i64_e32 vcc, 0, v[96:97]
	v_not_b32_e32 v96, v97
	v_ashrrev_i32_e32 v96, 31, v96
	v_and_b32_e32 v0, exec_hi, v0
	v_xor_b32_e32 v97, vcc_hi, v96
	v_xor_b32_e32 v96, vcc_lo, v96
	v_and_b32_e32 v0, v0, v97
	v_and_b32_e32 v98, v98, v96
	v_lshlrev_b32_e32 v97, 29, v9
	v_mov_b32_e32 v96, v1
	v_cmp_gt_i64_e32 vcc, 0, v[96:97]
	v_not_b32_e32 v96, v97
	v_ashrrev_i32_e32 v96, 31, v96
	v_xor_b32_e32 v97, vcc_hi, v96
	v_xor_b32_e32 v96, vcc_lo, v96
	v_and_b32_e32 v0, v0, v97
	v_and_b32_e32 v98, v98, v96
	v_lshlrev_b32_e32 v97, 28, v9
	v_mov_b32_e32 v96, v1
	v_cmp_gt_i64_e32 vcc, 0, v[96:97]
	v_not_b32_e32 v96, v97
	v_ashrrev_i32_e32 v96, 31, v96
	;; [unrolled: 9-line block ×3, first 2 shown]
	v_xor_b32_e32 v97, vcc_hi, v96
	v_xor_b32_e32 v96, vcc_lo, v96
	v_and_b32_e32 v0, v0, v97
	v_lshlrev_b32_e32 v97, 26, v9
	v_and_b32_e32 v98, v98, v96
	v_mov_b32_e32 v96, v1
	v_not_b32_e32 v1, v97
	v_cmp_gt_i64_e32 vcc, 0, v[96:97]
	v_ashrrev_i32_e32 v1, 31, v1
	s_nop 0
	v_xor_b32_e32 v9, vcc_hi, v1
	v_xor_b32_e32 v96, vcc_lo, v1
	v_and_b32_e32 v1, v0, v9
	v_and_b32_e32 v0, v98, v96
	v_mbcnt_lo_u32_b32 v9, v0, 0
	v_mbcnt_hi_u32_b32 v9, v1, v9
	v_cmp_eq_u32_e32 vcc, 0, v9
	v_cmp_ne_u64_e64 s[0:1], 0, v[0:1]
	s_and_b64 s[4:5], s[0:1], vcc
	; wave barrier
	s_and_saveexec_b64 s[0:1], s[4:5]
	s_cbranch_execz .LBB1011_333
; %bb.332:
	v_bcnt_u32_b32 v0, v0, 0
	v_bcnt_u32_b32 v0, v1, v0
	s_waitcnt lgkmcnt(0)
	v_add_u32_e32 v0, v8, v0
	ds_write_b32 v37, v0 offset:32
.LBB1011_333:
	s_or_b64 exec, exec, s[0:1]
	; wave barrier
	s_waitcnt lgkmcnt(0)
	s_barrier
	ds_read_b64 v[0:1], v31 offset:32
	v_and_b32_e32 v95, 15, v29
	v_cmp_ne_u32_e32 vcc, 0, v95
	v_min_u32_e32 v30, 0x1c0, v30
	v_or_b32_e32 v30, 63, v30
	s_waitcnt lgkmcnt(0)
	v_add_u32_e32 v1, v1, v0
	s_nop 1
	v_mov_b32_dpp v96, v1 row_shr:1 row_mask:0xf bank_mask:0xf
	v_cndmask_b32_e32 v96, 0, v96, vcc
	v_add_u32_e32 v1, v96, v1
	v_cmp_lt_u32_e32 vcc, 1, v95
	s_nop 0
	v_mov_b32_dpp v96, v1 row_shr:2 row_mask:0xf bank_mask:0xf
	v_cndmask_b32_e32 v96, 0, v96, vcc
	v_add_u32_e32 v1, v1, v96
	v_cmp_lt_u32_e32 vcc, 3, v95
	s_nop 0
	v_mov_b32_dpp v96, v1 row_shr:4 row_mask:0xf bank_mask:0xf
	v_cndmask_b32_e32 v96, 0, v96, vcc
	v_add_u32_e32 v1, v1, v96
	v_cmp_lt_u32_e32 vcc, 7, v95
	s_nop 0
	v_mov_b32_dpp v96, v1 row_shr:8 row_mask:0xf bank_mask:0xf
	v_cndmask_b32_e32 v95, 0, v96, vcc
	v_add_u32_e32 v1, v1, v95
	v_bfe_i32 v96, v29, 4, 1
	v_cmp_lt_u32_e32 vcc, 31, v29
	v_mov_b32_dpp v95, v1 row_bcast:15 row_mask:0xf bank_mask:0xf
	v_and_b32_e32 v95, v96, v95
	v_add_u32_e32 v1, v1, v95
	s_nop 1
	v_mov_b32_dpp v95, v1 row_bcast:31 row_mask:0xf bank_mask:0xf
	v_cndmask_b32_e32 v95, 0, v95, vcc
	v_add_u32_e32 v1, v1, v95
	v_lshrrev_b32_e32 v95, 6, v2
	v_cmp_eq_u32_e32 vcc, v2, v30
	s_and_saveexec_b64 s[0:1], vcc
; %bb.334:
	v_lshlrev_b32_e32 v30, 2, v95
	ds_write_b32 v30, v1
; %bb.335:
	s_or_b64 exec, exec, s[0:1]
	v_cmp_gt_u32_e32 vcc, 8, v2
	v_lshlrev_b32_e32 v30, 2, v2
	s_waitcnt lgkmcnt(0)
	s_barrier
	s_and_saveexec_b64 s[0:1], vcc
	s_cbranch_execz .LBB1011_337
; %bb.336:
	ds_read_b32 v96, v30
	v_and_b32_e32 v97, 7, v29
	v_cmp_ne_u32_e32 vcc, 0, v97
	s_waitcnt lgkmcnt(0)
	v_mov_b32_dpp v98, v96 row_shr:1 row_mask:0xf bank_mask:0xf
	v_cndmask_b32_e32 v98, 0, v98, vcc
	v_add_u32_e32 v96, v98, v96
	v_cmp_lt_u32_e32 vcc, 1, v97
	s_nop 0
	v_mov_b32_dpp v98, v96 row_shr:2 row_mask:0xf bank_mask:0xf
	v_cndmask_b32_e32 v98, 0, v98, vcc
	v_add_u32_e32 v96, v96, v98
	v_cmp_lt_u32_e32 vcc, 3, v97
	s_nop 0
	v_mov_b32_dpp v98, v96 row_shr:4 row_mask:0xf bank_mask:0xf
	v_cndmask_b32_e32 v97, 0, v98, vcc
	v_add_u32_e32 v96, v96, v97
	ds_write_b32 v30, v96
.LBB1011_337:
	s_or_b64 exec, exec, s[0:1]
	v_cmp_gt_u32_e64 s[0:1], 64, v2
	v_cmp_lt_u32_e32 vcc, 63, v2
	v_mov_b32_e32 v96, 0
	s_waitcnt lgkmcnt(0)
	s_barrier
	s_and_saveexec_b64 s[4:5], vcc
; %bb.338:
	v_lshl_add_u32 v95, v95, 2, -4
	ds_read_b32 v96, v95
; %bb.339:
	s_or_b64 exec, exec, s[4:5]
	v_subrev_co_u32_e64 v95, s[4:5], 1, v29
	v_and_b32_e32 v97, 64, v29
	v_cmp_lt_i32_e64 s[6:7], v95, v97
	s_waitcnt lgkmcnt(0)
	v_add_u32_e32 v1, v96, v1
	v_cndmask_b32_e64 v29, v95, v29, s[6:7]
	v_lshlrev_b32_e32 v29, 2, v29
	ds_bpermute_b32 v1, v29, v1
                                        ; implicit-def: $vgpr29
	s_waitcnt lgkmcnt(0)
	v_cndmask_b32_e64 v1, v1, v96, s[4:5]
	v_cmp_ne_u32_e64 s[4:5], 0, v2
	s_nop 1
	v_cndmask_b32_e64 v96, 0, v1, s[4:5]
	v_add_u32_e32 v97, v96, v0
	ds_write_b64 v31, v[96:97] offset:32
	s_waitcnt lgkmcnt(0)
	s_barrier
	ds_read_b32 v0, v34 offset:32
	ds_read_b32 v1, v38 offset:32
	;; [unrolled: 1-line block ×22, first 2 shown]
                                        ; implicit-def: $vgpr31
	s_and_saveexec_b64 s[6:7], s[0:1]
	s_cbranch_execz .LBB1011_343
; %bb.340:
	v_mul_u32_u24_e32 v29, 36, v2
	ds_read_b32 v29, v29 offset:32
	v_add_u32_e32 v37, 1, v2
	v_cmp_ne_u32_e64 s[4:5], 64, v37
	v_mov_b32_e32 v31, 0x2c00
	s_and_saveexec_b64 s[14:15], s[4:5]
; %bb.341:
	v_mul_u32_u24_e32 v31, 36, v37
	ds_read_b32 v31, v31 offset:32
; %bb.342:
	s_or_b64 exec, exec, s[14:15]
	s_waitcnt lgkmcnt(0)
	v_sub_u32_e32 v31, v31, v29
.LBB1011_343:
	s_or_b64 exec, exec, s[6:7]
	s_waitcnt lgkmcnt(14)
	v_add_u32_e32 v62, v0, v32
	v_add3_u32 v59, v35, v33, v1
	v_add3_u32 v56, v39, v36, v34
	;; [unrolled: 1-line block ×7, first 2 shown]
	v_lshlrev_b32_e32 v54, 1, v62
	v_lshlrev_b32_e32 v52, 1, v59
	;; [unrolled: 1-line block ×4, first 2 shown]
	s_waitcnt lgkmcnt(13)
	v_add3_u32 v45, v57, v55, v96
	s_waitcnt lgkmcnt(12)
	v_add3_u32 v44, v60, v58, v97
	s_waitcnt lgkmcnt(0)
	s_barrier
	ds_write_b16 v54, v3 offset:256
	ds_write_b16 v52, v28 offset:256
	ds_write_b16 v51, v27 offset:256
	ds_write_b16 v49, v26 offset:256
	v_lshlrev_b32_e32 v28, 1, v50
	v_lshlrev_b32_e32 v27, 1, v48
	;; [unrolled: 1-line block ×3, first 2 shown]
	v_add3_u32 v43, v63, v61, v65
	v_add3_u32 v42, v66, v64, v68
	;; [unrolled: 1-line block ×3, first 2 shown]
	ds_write_b16 v28, v25 offset:256
	ds_write_b16 v27, v24 offset:256
	;; [unrolled: 1-line block ×3, first 2 shown]
	v_lshlrev_b32_e32 v25, 1, v46
	v_lshlrev_b32_e32 v24, 1, v45
	;; [unrolled: 1-line block ×3, first 2 shown]
	v_add3_u32 v40, v72, v70, v74
	v_add3_u32 v39, v75, v73, v77
	;; [unrolled: 1-line block ×3, first 2 shown]
	ds_write_b16 v25, v22 offset:256
	ds_write_b16 v24, v21 offset:256
	;; [unrolled: 1-line block ×3, first 2 shown]
	v_lshlrev_b32_e32 v22, 1, v43
	v_lshlrev_b32_e32 v21, 1, v42
	;; [unrolled: 1-line block ×3, first 2 shown]
	v_add3_u32 v37, v81, v79, v83
	v_add3_u32 v36, v84, v82, v86
	ds_write_b16 v22, v19 offset:256
	ds_write_b16 v21, v18 offset:256
	;; [unrolled: 1-line block ×3, first 2 shown]
	v_lshlrev_b32_e32 v19, 1, v40
	v_lshlrev_b32_e32 v18, 1, v39
	;; [unrolled: 1-line block ×3, first 2 shown]
	v_add3_u32 v35, v87, v85, v89
	v_add3_u32 v34, v90, v88, v92
	;; [unrolled: 1-line block ×4, first 2 shown]
	ds_write_b16 v19, v16 offset:256
	ds_write_b16 v18, v14 offset:256
	;; [unrolled: 1-line block ×3, first 2 shown]
	v_lshlrev_b32_e32 v16, 1, v37
	v_lshlrev_b32_e32 v15, 1, v36
	ds_write_b16 v16, v13 offset:256
	ds_write_b16 v15, v12 offset:256
	v_lshlrev_b32_e32 v14, 1, v35
	v_lshlrev_b32_e32 v13, 1, v34
	v_lshlrev_b32_e32 v12, 1, v33
	v_lshlrev_b32_e32 v3, 1, v32
	v_mov_b32_e32 v1, 0
	ds_write_b16 v14, v11 offset:256
	ds_write_b16 v13, v10 offset:256
	;; [unrolled: 1-line block ×4, first 2 shown]
	s_and_saveexec_b64 s[4:5], s[0:1]
	s_cbranch_execz .LBB1011_353
; %bb.344:
	v_lshl_add_u32 v0, s2, 6, v2
	v_lshl_add_u64 v[8:9], v[0:1], 2, s[12:13]
	v_or_b32_e32 v0, 2.0, v31
	s_mov_b64 s[6:7], 0
	s_brev_b32 s18, -4
	s_mov_b32 s19, s2
	v_mov_b32_e32 v5, 0
	global_store_dword v[8:9], v0, off sc1
                                        ; implicit-def: $sgpr0_sgpr1
	s_branch .LBB1011_347
.LBB1011_345:                           ;   in Loop: Header=BB1011_347 Depth=1
	s_or_b64 exec, exec, s[16:17]
.LBB1011_346:                           ;   in Loop: Header=BB1011_347 Depth=1
	s_or_b64 exec, exec, s[14:15]
	v_and_b32_e32 v7, 0x3fffffff, v0
	v_add_u32_e32 v5, v7, v5
	v_cmp_gt_i32_e64 s[0:1], -2.0, v0
	s_and_b64 s[14:15], exec, s[0:1]
	s_or_b64 s[6:7], s[14:15], s[6:7]
	s_andn2_b64 exec, exec, s[6:7]
	s_cbranch_execz .LBB1011_352
.LBB1011_347:                           ; =>This Loop Header: Depth=1
                                        ;     Child Loop BB1011_350 Depth 2
	s_or_b64 s[0:1], s[0:1], exec
	s_cmp_eq_u32 s19, 0
	s_cbranch_scc1 .LBB1011_351
; %bb.348:                              ;   in Loop: Header=BB1011_347 Depth=1
	s_add_i32 s19, s19, -1
	v_lshl_or_b32 v0, s19, 6, v2
	v_lshl_add_u64 v[10:11], v[0:1], 2, s[12:13]
	global_load_dword v0, v[10:11], off sc1
	s_waitcnt vmcnt(0)
	v_cmp_gt_u32_e64 s[0:1], 2.0, v0
	s_and_saveexec_b64 s[14:15], s[0:1]
	s_cbranch_execz .LBB1011_346
; %bb.349:                              ;   in Loop: Header=BB1011_347 Depth=1
	s_mov_b64 s[16:17], 0
.LBB1011_350:                           ;   Parent Loop BB1011_347 Depth=1
                                        ; =>  This Inner Loop Header: Depth=2
	global_load_dword v0, v[10:11], off sc1
	s_waitcnt vmcnt(0)
	v_cmp_lt_u32_e64 s[0:1], s18, v0
	s_or_b64 s[16:17], s[0:1], s[16:17]
	s_andn2_b64 exec, exec, s[16:17]
	s_cbranch_execnz .LBB1011_350
	s_branch .LBB1011_345
.LBB1011_351:                           ;   in Loop: Header=BB1011_347 Depth=1
                                        ; implicit-def: $sgpr19
	s_and_b64 s[14:15], exec, s[0:1]
	s_or_b64 s[6:7], s[14:15], s[6:7]
	s_andn2_b64 exec, exec, s[6:7]
	s_cbranch_execnz .LBB1011_347
.LBB1011_352:
	s_or_b64 exec, exec, s[6:7]
	v_add_u32_e32 v0, v5, v31
	v_or_b32_e32 v0, 0x80000000, v0
	v_readlane_b32 s12, v118, 0
	global_store_dword v[8:9], v0, off sc1
	v_readlane_b32 s13, v118, 1
	v_sub_u32_e32 v1, v5, v29
	v_readlane_b32 s14, v118, 2
	v_readlane_b32 s15, v118, 3
	s_nop 1
	global_load_dword v0, v30, s[12:13]
	s_waitcnt vmcnt(0)
	v_add_u32_e32 v0, v1, v0
	ds_write_b32 v30, v0
.LBB1011_353:
	s_or_b64 exec, exec, s[4:5]
	v_lshlrev_b32_e32 v0, 1, v2
	v_sub_u32_e32 v5, v30, v0
	s_waitcnt lgkmcnt(0)
	s_barrier
	ds_read_u16 v7, v5 offset:10496
	ds_read_u16 v78, v5 offset:11520
	;; [unrolled: 1-line block ×12, first 2 shown]
	s_waitcnt lgkmcnt(8)
	v_lshrrev_b32_sdwa v1, s8, v82 dst_sel:DWORD dst_unused:UNUSED_PAD src0_sel:DWORD src1_sel:WORD_0
	s_waitcnt lgkmcnt(5)
	v_lshrrev_b32_sdwa v8, s8, v86 dst_sel:DWORD dst_unused:UNUSED_PAD src0_sel:DWORD src1_sel:WORD_0
	v_and_b32_e32 v1, s9, v1
	s_waitcnt lgkmcnt(3)
	v_lshrrev_b32_sdwa v9, s8, v100 dst_sel:DWORD dst_unused:UNUSED_PAD src0_sel:DWORD src1_sel:WORD_0
	v_and_b32_e32 v9, s9, v9
	v_lshlrev_b32_e32 v55, 2, v9
	s_waitcnt lgkmcnt(2)
	v_lshrrev_b32_sdwa v9, s8, v101 dst_sel:DWORD dst_unused:UNUSED_PAD src0_sel:DWORD src1_sel:WORD_0
	v_and_b32_e32 v9, s9, v9
	v_lshlrev_b32_e32 v11, 2, v9
	;; [unrolled: 4-line block ×3, first 2 shown]
	s_waitcnt lgkmcnt(0)
	v_lshrrev_b32_sdwa v9, s8, v103 dst_sel:DWORD dst_unused:UNUSED_PAD src0_sel:DWORD src1_sel:WORD_0
	v_and_b32_e32 v8, s9, v8
	v_and_b32_e32 v9, s9, v9
	v_lshlrev_b32_e32 v1, 2, v1
	v_lshlrev_b32_e32 v8, 2, v8
	;; [unrolled: 1-line block ×3, first 2 shown]
	ds_read_u16 v57, v5 offset:256
	ds_read_u16 v58, v5 offset:1280
	ds_read_b32 v98, v1
	ds_read_b32 v99, v8
	;; [unrolled: 1-line block ×6, first 2 shown]
	s_waitcnt lgkmcnt(7)
	v_lshrrev_b32_sdwa v60, s8, v57 dst_sel:DWORD dst_unused:UNUSED_PAD src0_sel:DWORD src1_sel:WORD_0
	v_and_b32_e32 v60, s9, v60
	v_lshlrev_b32_e32 v95, 2, v60
	s_waitcnt lgkmcnt(6)
	v_lshrrev_b32_sdwa v60, s8, v58 dst_sel:DWORD dst_unused:UNUSED_PAD src0_sel:DWORD src1_sel:WORD_0
	v_and_b32_e32 v60, s9, v60
	v_lshlrev_b32_e32 v92, 2, v60
	ds_read_u16 v63, v5 offset:2304
	ds_read_u16 v64, v5 offset:3328
	;; [unrolled: 1-line block ×8, first 2 shown]
	s_waitcnt lgkmcnt(7)
	v_lshrrev_b32_sdwa v60, s8, v63 dst_sel:DWORD dst_unused:UNUSED_PAD src0_sel:DWORD src1_sel:WORD_0
	v_and_b32_e32 v60, s9, v60
	v_lshlrev_b32_e32 v94, 2, v60
	s_waitcnt lgkmcnt(6)
	v_lshrrev_b32_sdwa v60, s8, v64 dst_sel:DWORD dst_unused:UNUSED_PAD src0_sel:DWORD src1_sel:WORD_0
	v_and_b32_e32 v60, s9, v60
	v_lshlrev_b32_e32 v93, 2, v60
	;; [unrolled: 4-line block ×6, first 2 shown]
	ds_read_b32 v60, v95
	ds_read_b32 v66, v92
	;; [unrolled: 1-line block ×8, first 2 shown]
	s_waitcnt lgkmcnt(7)
	v_add_u32_e32 v96, v60, v2
	v_mov_b32_e32 v97, 0
	v_add_u32_e32 v65, 0x200, v2
	v_lshl_add_u64 v[60:61], v[96:97], 1, s[94:95]
	s_waitcnt lgkmcnt(6)
	v_add_u32_e32 v96, v66, v65
	global_store_short v[60:61], v57, off
	v_lshl_add_u64 v[60:61], v[96:97], 1, s[94:95]
	v_or_b32_e32 v66, 0x400, v2
	global_store_short v[60:61], v58, off
	s_waitcnt lgkmcnt(5)
	v_add_u32_e32 v96, v68, v66
	v_add_u32_e32 v58, 0x600, v2
	v_lshl_add_u64 v[60:61], v[96:97], 1, s[94:95]
	s_waitcnt lgkmcnt(4)
	v_add_u32_e32 v96, v69, v58
	global_store_short v[60:61], v63, off
	v_lshl_add_u64 v[60:61], v[96:97], 1, s[94:95]
	global_store_short v[60:61], v64, off
	v_or_b32_e32 v60, 0x800, v2
	s_waitcnt lgkmcnt(3)
	v_add_u32_e32 v96, v73, v60
	v_add_u32_e32 v61, 0xa00, v2
	v_lshl_add_u64 v[68:69], v[96:97], 1, s[94:95]
	s_waitcnt lgkmcnt(2)
	v_add_u32_e32 v96, v74, v61
	v_or_b32_e32 v63, 0xc00, v2
	global_store_short v[68:69], v67, off
	v_lshl_add_u64 v[68:69], v[96:97], 1, s[94:95]
	s_waitcnt lgkmcnt(1)
	v_add_u32_e32 v96, v76, v63
	v_add_u32_e32 v64, 0xe00, v2
	global_store_short v[68:69], v70, off
	v_lshl_add_u64 v[68:69], v[96:97], 1, s[94:95]
	s_waitcnt lgkmcnt(0)
	v_add_u32_e32 v96, v77, v64
	global_store_short v[68:69], v71, off
	v_lshl_add_u64 v[68:69], v[96:97], 1, s[94:95]
	v_lshrrev_b32_sdwa v67, s8, v75 dst_sel:DWORD dst_unused:UNUSED_PAD src0_sel:DWORD src1_sel:WORD_0
	global_store_short v[68:69], v72, off
	v_and_b32_e32 v67, s9, v67
	v_lshrrev_b32_sdwa v68, s8, v5 dst_sel:DWORD dst_unused:UNUSED_PAD src0_sel:DWORD src1_sel:WORD_0
	v_lshrrev_b32_sdwa v69, s8, v7 dst_sel:DWORD dst_unused:UNUSED_PAD src0_sel:DWORD src1_sel:WORD_0
	;; [unrolled: 1-line block ×7, first 2 shown]
	v_or_b32_e32 v57, 0x1000, v2
	v_lshlrev_b32_e32 v67, 2, v67
	v_and_b32_e32 v68, s9, v68
	v_and_b32_e32 v69, s9, v69
	;; [unrolled: 1-line block ×7, first 2 shown]
	v_lshlrev_b32_e32 v68, 2, v68
	v_lshlrev_b32_e32 v69, 2, v69
	;; [unrolled: 1-line block ×7, first 2 shown]
	ds_read_b32 v76, v67
	ds_read_b32 v79, v68
	ds_read_b32 v108, v69
	ds_read_b32 v109, v70
	ds_read_b32 v110, v71
	ds_read_b32 v111, v72
	ds_read_b32 v112, v73
	ds_read_b32 v113, v74
	s_waitcnt lgkmcnt(7)
	v_add_u32_e32 v96, v76, v57
	v_add_u32_e32 v83, 0x1200, v2
	v_lshl_add_u64 v[76:77], v[96:97], 1, s[94:95]
	s_waitcnt lgkmcnt(6)
	v_add_u32_e32 v96, v79, v83
	v_or_b32_e32 v87, 0x1400, v2
	global_store_short v[76:77], v75, off
	v_lshl_add_u64 v[76:77], v[96:97], 1, s[94:95]
	s_waitcnt lgkmcnt(5)
	v_add_u32_e32 v96, v108, v87
	v_add_u32_e32 v75, 0x1600, v2
	global_store_short v[76:77], v5, off
	v_lshl_add_u64 v[76:77], v[96:97], 1, s[94:95]
	s_waitcnt lgkmcnt(4)
	v_add_u32_e32 v96, v109, v75
	global_store_short v[76:77], v7, off
	v_lshl_add_u64 v[76:77], v[96:97], 1, s[94:95]
	global_store_short v[76:77], v78, off
	v_or_b32_e32 v76, 0x1800, v2
	s_waitcnt lgkmcnt(3)
	v_add_u32_e32 v96, v110, v76
	v_add_u32_e32 v77, 0x1a00, v2
	v_lshl_add_u64 v[78:79], v[96:97], 1, s[94:95]
	s_waitcnt lgkmcnt(2)
	v_add_u32_e32 v96, v111, v77
	global_store_short v[78:79], v80, off
	v_lshl_add_u64 v[78:79], v[96:97], 1, s[94:95]
	global_store_short v[78:79], v81, off
	v_or_b32_e32 v78, 0x1c00, v2
	s_waitcnt lgkmcnt(1)
	v_add_u32_e32 v96, v112, v78
	v_add_u32_e32 v79, 0x1e00, v2
	v_lshl_add_u64 v[80:81], v[96:97], 1, s[94:95]
	s_waitcnt lgkmcnt(0)
	v_add_u32_e32 v96, v113, v79
	global_store_short v[80:81], v84, off
	v_lshl_add_u64 v[80:81], v[96:97], 1, s[94:95]
	global_store_short v[80:81], v85, off
	v_or_b32_e32 v81, 0x2000, v2
	v_add_u32_e32 v96, v98, v81
	v_lshl_add_u64 v[84:85], v[96:97], 1, s[94:95]
	global_store_short v[84:85], v82, off
	v_add_u32_e32 v84, 0x2200, v2
	v_add_u32_e32 v96, v99, v84
	v_or_b32_e32 v85, 0x2400, v2
	v_lshl_add_u64 v[98:99], v[96:97], 1, s[94:95]
	v_add_u32_e32 v96, v104, v85
	v_add_u32_e32 v80, 0x2600, v2
	global_store_short v[98:99], v86, off
	v_lshl_add_u64 v[98:99], v[96:97], 1, s[94:95]
	v_add_u32_e32 v96, v105, v80
	v_or_b32_e32 v82, 0x2800, v2
	global_store_short v[98:99], v100, off
	v_lshl_add_u64 v[98:99], v[96:97], 1, s[94:95]
	v_add_u32_e32 v96, v106, v82
	v_add_u32_e32 v86, 0x2a00, v2
	s_add_u32 s0, s96, s10
	global_store_short v[98:99], v101, off
	v_lshl_add_u64 v[98:99], v[96:97], 1, s[94:95]
	v_add_u32_e32 v96, v107, v86
	s_addc_u32 s1, s97, s11
	v_mov_b32_e32 v5, v97
	global_store_short v[98:99], v102, off
	v_lshl_add_u64 v[98:99], v[96:97], 1, s[94:95]
	v_lshl_add_u64 v[4:5], s[0:1], 0, v[4:5]
	v_mov_b32_e32 v7, v97
	global_store_short v[98:99], v103, off
	v_lshl_add_u64 v[114:115], v[4:5], 0, v[6:7]
	global_load_ushort v113, v[114:115], off
	global_load_ushort v112, v[114:115], off offset:128
	global_load_ushort v111, v[114:115], off offset:256
	global_load_ushort v110, v[114:115], off offset:384
	global_load_ushort v109, v[114:115], off offset:512
	global_load_ushort v108, v[114:115], off offset:640
	global_load_ushort v107, v[114:115], off offset:768
	global_load_ushort v106, v[114:115], off offset:896
	global_load_ushort v105, v[114:115], off offset:1024
	global_load_ushort v104, v[114:115], off offset:1152
	global_load_ushort v103, v[114:115], off offset:1280
	global_load_ushort v102, v[114:115], off offset:1408
	global_load_ushort v101, v[114:115], off offset:1536
	global_load_ushort v100, v[114:115], off offset:1664
	global_load_ushort v99, v[114:115], off offset:1792
	global_load_ushort v98, v[114:115], off offset:1920
	global_load_ushort v97, v[114:115], off offset:2048
	global_load_ushort v96, v[114:115], off offset:2176
	global_load_ushort v7, v[114:115], off offset:2304
	global_load_ushort v6, v[114:115], off offset:2432
	global_load_ushort v5, v[114:115], off offset:2560
	global_load_ushort v4, v[114:115], off offset:2688
	s_movk_i32 s6, 0x2c00
	v_cmp_gt_u32_e64 s[0:1], s6, v62
	s_barrier
	s_and_saveexec_b64 s[4:5], s[0:1]
	s_cbranch_execz .LBB1011_380
; %bb.354:
	s_waitcnt vmcnt(21)
	ds_write_b16 v54, v113 offset:256
	s_or_b64 exec, exec, s[4:5]
	v_cmp_gt_u32_e64 s[0:1], s6, v59
	s_and_saveexec_b64 s[4:5], s[0:1]
	s_cbranch_execnz .LBB1011_381
.LBB1011_355:
	s_or_b64 exec, exec, s[4:5]
	v_cmp_gt_u32_e64 s[0:1], s6, v56
	s_and_saveexec_b64 s[4:5], s[0:1]
	s_cbranch_execz .LBB1011_382
.LBB1011_356:
	s_waitcnt vmcnt(19)
	ds_write_b16 v51, v111 offset:256
	s_or_b64 exec, exec, s[4:5]
	v_cmp_gt_u32_e64 s[0:1], s6, v53
	s_and_saveexec_b64 s[4:5], s[0:1]
	s_cbranch_execnz .LBB1011_383
.LBB1011_357:
	s_or_b64 exec, exec, s[4:5]
	v_cmp_gt_u32_e64 s[0:1], s6, v50
	s_and_saveexec_b64 s[4:5], s[0:1]
	s_cbranch_execz .LBB1011_384
.LBB1011_358:
	s_waitcnt vmcnt(17)
	ds_write_b16 v28, v109 offset:256
	s_or_b64 exec, exec, s[4:5]
	v_cmp_gt_u32_e64 s[0:1], s6, v48
	s_and_saveexec_b64 s[4:5], s[0:1]
	s_cbranch_execnz .LBB1011_385
.LBB1011_359:
	s_or_b64 exec, exec, s[4:5]
	v_cmp_gt_u32_e64 s[0:1], s6, v47
	s_and_saveexec_b64 s[4:5], s[0:1]
	s_cbranch_execz .LBB1011_386
.LBB1011_360:
	s_waitcnt vmcnt(15)
	ds_write_b16 v26, v107 offset:256
	s_or_b64 exec, exec, s[4:5]
	v_cmp_gt_u32_e64 s[0:1], s6, v46
	s_and_saveexec_b64 s[4:5], s[0:1]
	s_cbranch_execnz .LBB1011_387
.LBB1011_361:
	s_or_b64 exec, exec, s[4:5]
	v_cmp_gt_u32_e64 s[0:1], s6, v45
	s_and_saveexec_b64 s[4:5], s[0:1]
	s_cbranch_execz .LBB1011_388
.LBB1011_362:
	s_waitcnt vmcnt(13)
	ds_write_b16 v24, v105 offset:256
	s_or_b64 exec, exec, s[4:5]
	v_cmp_gt_u32_e64 s[0:1], s6, v44
	s_and_saveexec_b64 s[4:5], s[0:1]
	s_cbranch_execnz .LBB1011_389
.LBB1011_363:
	s_or_b64 exec, exec, s[4:5]
	v_cmp_gt_u32_e64 s[0:1], s6, v43
	s_and_saveexec_b64 s[4:5], s[0:1]
	s_cbranch_execz .LBB1011_390
.LBB1011_364:
	s_waitcnt vmcnt(11)
	ds_write_b16 v22, v103 offset:256
	s_or_b64 exec, exec, s[4:5]
	v_cmp_gt_u32_e64 s[0:1], s6, v42
	s_and_saveexec_b64 s[4:5], s[0:1]
	s_cbranch_execnz .LBB1011_391
.LBB1011_365:
	s_or_b64 exec, exec, s[4:5]
	v_cmp_gt_u32_e64 s[0:1], s6, v41
	s_and_saveexec_b64 s[4:5], s[0:1]
	s_cbranch_execz .LBB1011_392
.LBB1011_366:
	s_waitcnt vmcnt(9)
	ds_write_b16 v20, v101 offset:256
	s_or_b64 exec, exec, s[4:5]
	v_cmp_gt_u32_e64 s[0:1], s6, v40
	s_and_saveexec_b64 s[4:5], s[0:1]
	s_cbranch_execnz .LBB1011_393
.LBB1011_367:
	s_or_b64 exec, exec, s[4:5]
	v_cmp_gt_u32_e64 s[0:1], s6, v39
	s_and_saveexec_b64 s[4:5], s[0:1]
	s_cbranch_execz .LBB1011_394
.LBB1011_368:
	s_waitcnt vmcnt(7)
	ds_write_b16 v18, v99 offset:256
	s_or_b64 exec, exec, s[4:5]
	v_cmp_gt_u32_e64 s[0:1], s6, v38
	s_and_saveexec_b64 s[4:5], s[0:1]
	s_cbranch_execnz .LBB1011_395
.LBB1011_369:
	s_or_b64 exec, exec, s[4:5]
	v_cmp_gt_u32_e64 s[0:1], s6, v37
	s_and_saveexec_b64 s[4:5], s[0:1]
	s_cbranch_execz .LBB1011_396
.LBB1011_370:
	s_waitcnt vmcnt(5)
	ds_write_b16 v16, v97 offset:256
	s_or_b64 exec, exec, s[4:5]
	v_cmp_gt_u32_e64 s[0:1], s6, v36
	s_and_saveexec_b64 s[4:5], s[0:1]
	s_cbranch_execnz .LBB1011_397
.LBB1011_371:
	s_or_b64 exec, exec, s[4:5]
	v_cmp_gt_u32_e64 s[0:1], s6, v35
	s_and_saveexec_b64 s[4:5], s[0:1]
	s_cbranch_execz .LBB1011_398
.LBB1011_372:
	s_waitcnt vmcnt(3)
	ds_write_b16 v14, v7 offset:256
	s_or_b64 exec, exec, s[4:5]
	v_cmp_gt_u32_e64 s[0:1], s6, v34
	s_and_saveexec_b64 s[4:5], s[0:1]
	s_cbranch_execnz .LBB1011_399
.LBB1011_373:
	s_or_b64 exec, exec, s[4:5]
	v_cmp_gt_u32_e64 s[0:1], s6, v33
	s_and_saveexec_b64 s[4:5], s[0:1]
	s_cbranch_execz .LBB1011_375
.LBB1011_374:
	s_waitcnt vmcnt(1)
	ds_write_b16 v12, v5 offset:256
.LBB1011_375:
	s_or_b64 exec, exec, s[4:5]
	v_sub_u32_e32 v0, 0, v0
	v_cmp_gt_u32_e64 s[0:1], s6, v32
	s_and_saveexec_b64 s[4:5], s[0:1]
	s_cbranch_execz .LBB1011_377
; %bb.376:
	s_waitcnt vmcnt(0)
	ds_write_b16 v3, v4 offset:256
.LBB1011_377:
	s_or_b64 exec, exec, s[4:5]
	s_waitcnt lgkmcnt(0)
	s_barrier
	s_waitcnt vmcnt(2)
	v_add_u32_e32 v6, v30, v0
	ds_read_b32 v0, v95
	ds_read_b32 v7, v92
	;; [unrolled: 1-line block ×8, first 2 shown]
	s_waitcnt lgkmcnt(7)
	v_add_u32_e32 v2, v0, v2
	v_mov_b32_e32 v3, 0
	s_waitcnt vmcnt(0)
	v_lshl_add_u64 v[4:5], v[2:3], 1, s[98:99]
	ds_read_u16 v0, v6 offset:256
	ds_read_u16 v18, v6 offset:1280
	ds_read_b32 v19, v1
	ds_read_b32 v8, v8
	;; [unrolled: 1-line block ×6, first 2 shown]
	s_waitcnt lgkmcnt(14)
	v_add_u32_e32 v2, v7, v65
	s_waitcnt lgkmcnt(7)
	global_store_short v[4:5], v0, off
	v_lshl_add_u64 v[0:1], v[2:3], 1, s[98:99]
	s_waitcnt lgkmcnt(6)
	global_store_short v[0:1], v18, off
	v_add_u32_e32 v2, v12, v66
	v_lshl_add_u64 v[0:1], v[2:3], 1, s[98:99]
	ds_read_u16 v2, v6 offset:2304
	ds_read_u16 v4, v6 offset:3328
	;; [unrolled: 1-line block ×8, first 2 shown]
	s_waitcnt lgkmcnt(7)
	global_store_short v[0:1], v2, off
	v_add_u32_e32 v2, v13, v58
	v_lshl_add_u64 v[0:1], v[2:3], 1, s[98:99]
	v_add_u32_e32 v2, v14, v60
	s_waitcnt lgkmcnt(6)
	global_store_short v[0:1], v4, off
	v_lshl_add_u64 v[0:1], v[2:3], 1, s[98:99]
	v_add_u32_e32 v2, v15, v61
	s_waitcnt lgkmcnt(5)
	global_store_short v[0:1], v5, off
	;; [unrolled: 4-line block ×4, first 2 shown]
	v_lshl_add_u64 v[0:1], v[2:3], 1, s[98:99]
	s_waitcnt lgkmcnt(2)
	global_store_short v[0:1], v18, off
	ds_read_b32 v0, v67
	ds_read_b32 v4, v68
	;; [unrolled: 1-line block ×8, first 2 shown]
	s_waitcnt lgkmcnt(7)
	v_add_u32_e32 v2, v0, v57
	v_lshl_add_u64 v[0:1], v[2:3], 1, s[98:99]
	s_waitcnt lgkmcnt(6)
	v_add_u32_e32 v2, v4, v83
	global_store_short v[0:1], v21, off
	v_lshl_add_u64 v[0:1], v[2:3], 1, s[98:99]
	global_store_short v[0:1], v22, off
	s_waitcnt lgkmcnt(5)
	v_add_u32_e32 v2, v5, v87
	v_lshl_add_u64 v[0:1], v[2:3], 1, s[98:99]
	ds_read_u16 v2, v6 offset:10496
	ds_read_u16 v4, v6 offset:11520
	;; [unrolled: 1-line block ×8, first 2 shown]
	s_waitcnt lgkmcnt(7)
	global_store_short v[0:1], v2, off
	v_add_u32_e32 v2, v7, v75
	v_lshl_add_u64 v[0:1], v[2:3], 1, s[98:99]
	v_add_u32_e32 v2, v12, v76
	s_waitcnt lgkmcnt(6)
	global_store_short v[0:1], v4, off
	v_lshl_add_u64 v[0:1], v[2:3], 1, s[98:99]
	v_add_u32_e32 v2, v13, v77
	s_waitcnt lgkmcnt(5)
	global_store_short v[0:1], v5, off
	;; [unrolled: 4-line block ×5, first 2 shown]
	v_lshl_add_u64 v[0:1], v[2:3], 1, s[98:99]
	v_add_u32_e32 v2, v8, v84
	ds_read_u16 v4, v6 offset:18688
	s_waitcnt lgkmcnt(2)
	global_store_short v[0:1], v21, off
	v_lshl_add_u64 v[0:1], v[2:3], 1, s[98:99]
	s_waitcnt lgkmcnt(1)
	global_store_short v[0:1], v22, off
	v_add_u32_e32 v2, v20, v85
	ds_read_u16 v5, v6 offset:19712
	ds_read_u16 v7, v6 offset:20736
	;; [unrolled: 1-line block ×3, first 2 shown]
	v_lshl_add_u64 v[0:1], v[2:3], 1, s[98:99]
	v_add_u32_e32 v2, v11, v80
	s_add_i32 s3, s3, -1
	s_waitcnt lgkmcnt(3)
	global_store_short v[0:1], v4, off
	v_lshl_add_u64 v[0:1], v[2:3], 1, s[98:99]
	v_add_u32_e32 v2, v10, v82
	s_cmp_eq_u32 s2, s3
	s_waitcnt lgkmcnt(2)
	global_store_short v[0:1], v5, off
	v_lshl_add_u64 v[0:1], v[2:3], 1, s[98:99]
	v_add_u32_e32 v2, v9, v86
	s_cselect_b64 s[0:1], -1, 0
	s_xor_b64 s[2:3], vcc, -1
	s_waitcnt lgkmcnt(1)
	global_store_short v[0:1], v7, off
	v_lshl_add_u64 v[0:1], v[2:3], 1, s[98:99]
	s_and_b64 s[0:1], s[2:3], s[0:1]
	s_waitcnt lgkmcnt(0)
	global_store_short v[0:1], v6, off
	s_and_saveexec_b64 s[2:3], s[0:1]
	s_cbranch_execz .LBB1011_379
; %bb.378:
	ds_read_b32 v0, v30
	v_readlane_b32 s0, v118, 0
	v_readlane_b32 s2, v118, 2
	v_readlane_b32 s3, v118, 3
	v_readlane_b32 s1, v118, 1
	s_waitcnt lgkmcnt(0)
	v_add3_u32 v0, v29, v31, v0
	s_nop 1
	global_store_dword v30, v0, s[2:3]
.LBB1011_379:
	s_endpgm
.LBB1011_380:
	s_or_b64 exec, exec, s[4:5]
	v_cmp_gt_u32_e64 s[0:1], s6, v59
	s_and_saveexec_b64 s[4:5], s[0:1]
	s_cbranch_execz .LBB1011_355
.LBB1011_381:
	s_waitcnt vmcnt(20)
	ds_write_b16 v52, v112 offset:256
	s_or_b64 exec, exec, s[4:5]
	v_cmp_gt_u32_e64 s[0:1], s6, v56
	s_and_saveexec_b64 s[4:5], s[0:1]
	s_cbranch_execnz .LBB1011_356
.LBB1011_382:
	s_or_b64 exec, exec, s[4:5]
	v_cmp_gt_u32_e64 s[0:1], s6, v53
	s_and_saveexec_b64 s[4:5], s[0:1]
	s_cbranch_execz .LBB1011_357
.LBB1011_383:
	s_waitcnt vmcnt(18)
	ds_write_b16 v49, v110 offset:256
	s_or_b64 exec, exec, s[4:5]
	v_cmp_gt_u32_e64 s[0:1], s6, v50
	s_and_saveexec_b64 s[4:5], s[0:1]
	s_cbranch_execnz .LBB1011_358
.LBB1011_384:
	s_or_b64 exec, exec, s[4:5]
	v_cmp_gt_u32_e64 s[0:1], s6, v48
	s_and_saveexec_b64 s[4:5], s[0:1]
	s_cbranch_execz .LBB1011_359
.LBB1011_385:
	s_waitcnt vmcnt(16)
	ds_write_b16 v27, v108 offset:256
	s_or_b64 exec, exec, s[4:5]
	v_cmp_gt_u32_e64 s[0:1], s6, v47
	s_and_saveexec_b64 s[4:5], s[0:1]
	s_cbranch_execnz .LBB1011_360
.LBB1011_386:
	s_or_b64 exec, exec, s[4:5]
	v_cmp_gt_u32_e64 s[0:1], s6, v46
	s_and_saveexec_b64 s[4:5], s[0:1]
	s_cbranch_execz .LBB1011_361
.LBB1011_387:
	s_waitcnt vmcnt(14)
	ds_write_b16 v25, v106 offset:256
	s_or_b64 exec, exec, s[4:5]
	v_cmp_gt_u32_e64 s[0:1], s6, v45
	s_and_saveexec_b64 s[4:5], s[0:1]
	s_cbranch_execnz .LBB1011_362
.LBB1011_388:
	s_or_b64 exec, exec, s[4:5]
	v_cmp_gt_u32_e64 s[0:1], s6, v44
	s_and_saveexec_b64 s[4:5], s[0:1]
	s_cbranch_execz .LBB1011_363
.LBB1011_389:
	s_waitcnt vmcnt(12)
	ds_write_b16 v23, v104 offset:256
	s_or_b64 exec, exec, s[4:5]
	v_cmp_gt_u32_e64 s[0:1], s6, v43
	s_and_saveexec_b64 s[4:5], s[0:1]
	s_cbranch_execnz .LBB1011_364
.LBB1011_390:
	s_or_b64 exec, exec, s[4:5]
	v_cmp_gt_u32_e64 s[0:1], s6, v42
	s_and_saveexec_b64 s[4:5], s[0:1]
	s_cbranch_execz .LBB1011_365
.LBB1011_391:
	s_waitcnt vmcnt(10)
	ds_write_b16 v21, v102 offset:256
	s_or_b64 exec, exec, s[4:5]
	v_cmp_gt_u32_e64 s[0:1], s6, v41
	s_and_saveexec_b64 s[4:5], s[0:1]
	s_cbranch_execnz .LBB1011_366
.LBB1011_392:
	s_or_b64 exec, exec, s[4:5]
	v_cmp_gt_u32_e64 s[0:1], s6, v40
	s_and_saveexec_b64 s[4:5], s[0:1]
	s_cbranch_execz .LBB1011_367
.LBB1011_393:
	s_waitcnt vmcnt(8)
	ds_write_b16 v19, v100 offset:256
	s_or_b64 exec, exec, s[4:5]
	v_cmp_gt_u32_e64 s[0:1], s6, v39
	s_and_saveexec_b64 s[4:5], s[0:1]
	s_cbranch_execnz .LBB1011_368
.LBB1011_394:
	s_or_b64 exec, exec, s[4:5]
	v_cmp_gt_u32_e64 s[0:1], s6, v38
	s_and_saveexec_b64 s[4:5], s[0:1]
	s_cbranch_execz .LBB1011_369
.LBB1011_395:
	s_waitcnt vmcnt(6)
	ds_write_b16 v17, v98 offset:256
	s_or_b64 exec, exec, s[4:5]
	v_cmp_gt_u32_e64 s[0:1], s6, v37
	s_and_saveexec_b64 s[4:5], s[0:1]
	s_cbranch_execnz .LBB1011_370
.LBB1011_396:
	s_or_b64 exec, exec, s[4:5]
	v_cmp_gt_u32_e64 s[0:1], s6, v36
	s_and_saveexec_b64 s[4:5], s[0:1]
	s_cbranch_execz .LBB1011_371
.LBB1011_397:
	s_waitcnt vmcnt(4)
	ds_write_b16 v15, v96 offset:256
	s_or_b64 exec, exec, s[4:5]
	v_cmp_gt_u32_e64 s[0:1], s6, v35
	s_and_saveexec_b64 s[4:5], s[0:1]
	s_cbranch_execnz .LBB1011_372
.LBB1011_398:
	s_or_b64 exec, exec, s[4:5]
	v_cmp_gt_u32_e64 s[0:1], s6, v34
	s_and_saveexec_b64 s[4:5], s[0:1]
	s_cbranch_execz .LBB1011_373
.LBB1011_399:
	s_waitcnt vmcnt(2)
	ds_write_b16 v13, v6 offset:256
	s_or_b64 exec, exec, s[4:5]
	v_cmp_gt_u32_e64 s[0:1], s6, v33
	s_and_saveexec_b64 s[4:5], s[0:1]
	s_cbranch_execnz .LBB1011_374
	s_branch .LBB1011_375
	.section	.rodata,"a",@progbits
	.p2align	6, 0x0
	.amdhsa_kernel _ZN7rocprim17ROCPRIM_400000_NS6detail17trampoline_kernelINS0_14default_configENS1_35radix_sort_onesweep_config_selectorIttEEZZNS1_29radix_sort_onesweep_iterationIS3_Lb0EN6thrust23THRUST_200600_302600_NS6detail15normal_iteratorINS8_10device_ptrItEEEESD_SD_SD_jNS0_19identity_decomposerENS1_16block_id_wrapperIjLb0EEEEE10hipError_tT1_PNSt15iterator_traitsISI_E10value_typeET2_T3_PNSJ_ISO_E10value_typeET4_T5_PST_SU_PNS1_23onesweep_lookback_stateEbbT6_jjT7_P12ihipStream_tbENKUlT_T0_SI_SN_E_clISD_PtSD_S15_EEDaS11_S12_SI_SN_EUlS11_E_NS1_11comp_targetILNS1_3genE6ELNS1_11target_archE950ELNS1_3gpuE13ELNS1_3repE0EEENS1_47radix_sort_onesweep_sort_config_static_selectorELNS0_4arch9wavefront6targetE1EEEvSI_
		.amdhsa_group_segment_fixed_size 22792
		.amdhsa_private_segment_fixed_size 0
		.amdhsa_kernarg_size 344
		.amdhsa_user_sgpr_count 2
		.amdhsa_user_sgpr_dispatch_ptr 0
		.amdhsa_user_sgpr_queue_ptr 0
		.amdhsa_user_sgpr_kernarg_segment_ptr 1
		.amdhsa_user_sgpr_dispatch_id 0
		.amdhsa_user_sgpr_kernarg_preload_length 0
		.amdhsa_user_sgpr_kernarg_preload_offset 0
		.amdhsa_user_sgpr_private_segment_size 0
		.amdhsa_uses_dynamic_stack 0
		.amdhsa_enable_private_segment 0
		.amdhsa_system_sgpr_workgroup_id_x 1
		.amdhsa_system_sgpr_workgroup_id_y 0
		.amdhsa_system_sgpr_workgroup_id_z 0
		.amdhsa_system_sgpr_workgroup_info 0
		.amdhsa_system_vgpr_workitem_id 2
		.amdhsa_next_free_vgpr 119
		.amdhsa_next_free_sgpr 100
		.amdhsa_accum_offset 120
		.amdhsa_reserve_vcc 1
		.amdhsa_float_round_mode_32 0
		.amdhsa_float_round_mode_16_64 0
		.amdhsa_float_denorm_mode_32 3
		.amdhsa_float_denorm_mode_16_64 3
		.amdhsa_dx10_clamp 1
		.amdhsa_ieee_mode 1
		.amdhsa_fp16_overflow 0
		.amdhsa_tg_split 0
		.amdhsa_exception_fp_ieee_invalid_op 0
		.amdhsa_exception_fp_denorm_src 0
		.amdhsa_exception_fp_ieee_div_zero 0
		.amdhsa_exception_fp_ieee_overflow 0
		.amdhsa_exception_fp_ieee_underflow 0
		.amdhsa_exception_fp_ieee_inexact 0
		.amdhsa_exception_int_div_zero 0
	.end_amdhsa_kernel
	.section	.text._ZN7rocprim17ROCPRIM_400000_NS6detail17trampoline_kernelINS0_14default_configENS1_35radix_sort_onesweep_config_selectorIttEEZZNS1_29radix_sort_onesweep_iterationIS3_Lb0EN6thrust23THRUST_200600_302600_NS6detail15normal_iteratorINS8_10device_ptrItEEEESD_SD_SD_jNS0_19identity_decomposerENS1_16block_id_wrapperIjLb0EEEEE10hipError_tT1_PNSt15iterator_traitsISI_E10value_typeET2_T3_PNSJ_ISO_E10value_typeET4_T5_PST_SU_PNS1_23onesweep_lookback_stateEbbT6_jjT7_P12ihipStream_tbENKUlT_T0_SI_SN_E_clISD_PtSD_S15_EEDaS11_S12_SI_SN_EUlS11_E_NS1_11comp_targetILNS1_3genE6ELNS1_11target_archE950ELNS1_3gpuE13ELNS1_3repE0EEENS1_47radix_sort_onesweep_sort_config_static_selectorELNS0_4arch9wavefront6targetE1EEEvSI_,"axG",@progbits,_ZN7rocprim17ROCPRIM_400000_NS6detail17trampoline_kernelINS0_14default_configENS1_35radix_sort_onesweep_config_selectorIttEEZZNS1_29radix_sort_onesweep_iterationIS3_Lb0EN6thrust23THRUST_200600_302600_NS6detail15normal_iteratorINS8_10device_ptrItEEEESD_SD_SD_jNS0_19identity_decomposerENS1_16block_id_wrapperIjLb0EEEEE10hipError_tT1_PNSt15iterator_traitsISI_E10value_typeET2_T3_PNSJ_ISO_E10value_typeET4_T5_PST_SU_PNS1_23onesweep_lookback_stateEbbT6_jjT7_P12ihipStream_tbENKUlT_T0_SI_SN_E_clISD_PtSD_S15_EEDaS11_S12_SI_SN_EUlS11_E_NS1_11comp_targetILNS1_3genE6ELNS1_11target_archE950ELNS1_3gpuE13ELNS1_3repE0EEENS1_47radix_sort_onesweep_sort_config_static_selectorELNS0_4arch9wavefront6targetE1EEEvSI_,comdat
.Lfunc_end1011:
	.size	_ZN7rocprim17ROCPRIM_400000_NS6detail17trampoline_kernelINS0_14default_configENS1_35radix_sort_onesweep_config_selectorIttEEZZNS1_29radix_sort_onesweep_iterationIS3_Lb0EN6thrust23THRUST_200600_302600_NS6detail15normal_iteratorINS8_10device_ptrItEEEESD_SD_SD_jNS0_19identity_decomposerENS1_16block_id_wrapperIjLb0EEEEE10hipError_tT1_PNSt15iterator_traitsISI_E10value_typeET2_T3_PNSJ_ISO_E10value_typeET4_T5_PST_SU_PNS1_23onesweep_lookback_stateEbbT6_jjT7_P12ihipStream_tbENKUlT_T0_SI_SN_E_clISD_PtSD_S15_EEDaS11_S12_SI_SN_EUlS11_E_NS1_11comp_targetILNS1_3genE6ELNS1_11target_archE950ELNS1_3gpuE13ELNS1_3repE0EEENS1_47radix_sort_onesweep_sort_config_static_selectorELNS0_4arch9wavefront6targetE1EEEvSI_, .Lfunc_end1011-_ZN7rocprim17ROCPRIM_400000_NS6detail17trampoline_kernelINS0_14default_configENS1_35radix_sort_onesweep_config_selectorIttEEZZNS1_29radix_sort_onesweep_iterationIS3_Lb0EN6thrust23THRUST_200600_302600_NS6detail15normal_iteratorINS8_10device_ptrItEEEESD_SD_SD_jNS0_19identity_decomposerENS1_16block_id_wrapperIjLb0EEEEE10hipError_tT1_PNSt15iterator_traitsISI_E10value_typeET2_T3_PNSJ_ISO_E10value_typeET4_T5_PST_SU_PNS1_23onesweep_lookback_stateEbbT6_jjT7_P12ihipStream_tbENKUlT_T0_SI_SN_E_clISD_PtSD_S15_EEDaS11_S12_SI_SN_EUlS11_E_NS1_11comp_targetILNS1_3genE6ELNS1_11target_archE950ELNS1_3gpuE13ELNS1_3repE0EEENS1_47radix_sort_onesweep_sort_config_static_selectorELNS0_4arch9wavefront6targetE1EEEvSI_
                                        ; -- End function
	.set _ZN7rocprim17ROCPRIM_400000_NS6detail17trampoline_kernelINS0_14default_configENS1_35radix_sort_onesweep_config_selectorIttEEZZNS1_29radix_sort_onesweep_iterationIS3_Lb0EN6thrust23THRUST_200600_302600_NS6detail15normal_iteratorINS8_10device_ptrItEEEESD_SD_SD_jNS0_19identity_decomposerENS1_16block_id_wrapperIjLb0EEEEE10hipError_tT1_PNSt15iterator_traitsISI_E10value_typeET2_T3_PNSJ_ISO_E10value_typeET4_T5_PST_SU_PNS1_23onesweep_lookback_stateEbbT6_jjT7_P12ihipStream_tbENKUlT_T0_SI_SN_E_clISD_PtSD_S15_EEDaS11_S12_SI_SN_EUlS11_E_NS1_11comp_targetILNS1_3genE6ELNS1_11target_archE950ELNS1_3gpuE13ELNS1_3repE0EEENS1_47radix_sort_onesweep_sort_config_static_selectorELNS0_4arch9wavefront6targetE1EEEvSI_.num_vgpr, 119
	.set _ZN7rocprim17ROCPRIM_400000_NS6detail17trampoline_kernelINS0_14default_configENS1_35radix_sort_onesweep_config_selectorIttEEZZNS1_29radix_sort_onesweep_iterationIS3_Lb0EN6thrust23THRUST_200600_302600_NS6detail15normal_iteratorINS8_10device_ptrItEEEESD_SD_SD_jNS0_19identity_decomposerENS1_16block_id_wrapperIjLb0EEEEE10hipError_tT1_PNSt15iterator_traitsISI_E10value_typeET2_T3_PNSJ_ISO_E10value_typeET4_T5_PST_SU_PNS1_23onesweep_lookback_stateEbbT6_jjT7_P12ihipStream_tbENKUlT_T0_SI_SN_E_clISD_PtSD_S15_EEDaS11_S12_SI_SN_EUlS11_E_NS1_11comp_targetILNS1_3genE6ELNS1_11target_archE950ELNS1_3gpuE13ELNS1_3repE0EEENS1_47radix_sort_onesweep_sort_config_static_selectorELNS0_4arch9wavefront6targetE1EEEvSI_.num_agpr, 0
	.set _ZN7rocprim17ROCPRIM_400000_NS6detail17trampoline_kernelINS0_14default_configENS1_35radix_sort_onesweep_config_selectorIttEEZZNS1_29radix_sort_onesweep_iterationIS3_Lb0EN6thrust23THRUST_200600_302600_NS6detail15normal_iteratorINS8_10device_ptrItEEEESD_SD_SD_jNS0_19identity_decomposerENS1_16block_id_wrapperIjLb0EEEEE10hipError_tT1_PNSt15iterator_traitsISI_E10value_typeET2_T3_PNSJ_ISO_E10value_typeET4_T5_PST_SU_PNS1_23onesweep_lookback_stateEbbT6_jjT7_P12ihipStream_tbENKUlT_T0_SI_SN_E_clISD_PtSD_S15_EEDaS11_S12_SI_SN_EUlS11_E_NS1_11comp_targetILNS1_3genE6ELNS1_11target_archE950ELNS1_3gpuE13ELNS1_3repE0EEENS1_47radix_sort_onesweep_sort_config_static_selectorELNS0_4arch9wavefront6targetE1EEEvSI_.numbered_sgpr, 100
	.set _ZN7rocprim17ROCPRIM_400000_NS6detail17trampoline_kernelINS0_14default_configENS1_35radix_sort_onesweep_config_selectorIttEEZZNS1_29radix_sort_onesweep_iterationIS3_Lb0EN6thrust23THRUST_200600_302600_NS6detail15normal_iteratorINS8_10device_ptrItEEEESD_SD_SD_jNS0_19identity_decomposerENS1_16block_id_wrapperIjLb0EEEEE10hipError_tT1_PNSt15iterator_traitsISI_E10value_typeET2_T3_PNSJ_ISO_E10value_typeET4_T5_PST_SU_PNS1_23onesweep_lookback_stateEbbT6_jjT7_P12ihipStream_tbENKUlT_T0_SI_SN_E_clISD_PtSD_S15_EEDaS11_S12_SI_SN_EUlS11_E_NS1_11comp_targetILNS1_3genE6ELNS1_11target_archE950ELNS1_3gpuE13ELNS1_3repE0EEENS1_47radix_sort_onesweep_sort_config_static_selectorELNS0_4arch9wavefront6targetE1EEEvSI_.num_named_barrier, 0
	.set _ZN7rocprim17ROCPRIM_400000_NS6detail17trampoline_kernelINS0_14default_configENS1_35radix_sort_onesweep_config_selectorIttEEZZNS1_29radix_sort_onesweep_iterationIS3_Lb0EN6thrust23THRUST_200600_302600_NS6detail15normal_iteratorINS8_10device_ptrItEEEESD_SD_SD_jNS0_19identity_decomposerENS1_16block_id_wrapperIjLb0EEEEE10hipError_tT1_PNSt15iterator_traitsISI_E10value_typeET2_T3_PNSJ_ISO_E10value_typeET4_T5_PST_SU_PNS1_23onesweep_lookback_stateEbbT6_jjT7_P12ihipStream_tbENKUlT_T0_SI_SN_E_clISD_PtSD_S15_EEDaS11_S12_SI_SN_EUlS11_E_NS1_11comp_targetILNS1_3genE6ELNS1_11target_archE950ELNS1_3gpuE13ELNS1_3repE0EEENS1_47radix_sort_onesweep_sort_config_static_selectorELNS0_4arch9wavefront6targetE1EEEvSI_.private_seg_size, 0
	.set _ZN7rocprim17ROCPRIM_400000_NS6detail17trampoline_kernelINS0_14default_configENS1_35radix_sort_onesweep_config_selectorIttEEZZNS1_29radix_sort_onesweep_iterationIS3_Lb0EN6thrust23THRUST_200600_302600_NS6detail15normal_iteratorINS8_10device_ptrItEEEESD_SD_SD_jNS0_19identity_decomposerENS1_16block_id_wrapperIjLb0EEEEE10hipError_tT1_PNSt15iterator_traitsISI_E10value_typeET2_T3_PNSJ_ISO_E10value_typeET4_T5_PST_SU_PNS1_23onesweep_lookback_stateEbbT6_jjT7_P12ihipStream_tbENKUlT_T0_SI_SN_E_clISD_PtSD_S15_EEDaS11_S12_SI_SN_EUlS11_E_NS1_11comp_targetILNS1_3genE6ELNS1_11target_archE950ELNS1_3gpuE13ELNS1_3repE0EEENS1_47radix_sort_onesweep_sort_config_static_selectorELNS0_4arch9wavefront6targetE1EEEvSI_.uses_vcc, 1
	.set _ZN7rocprim17ROCPRIM_400000_NS6detail17trampoline_kernelINS0_14default_configENS1_35radix_sort_onesweep_config_selectorIttEEZZNS1_29radix_sort_onesweep_iterationIS3_Lb0EN6thrust23THRUST_200600_302600_NS6detail15normal_iteratorINS8_10device_ptrItEEEESD_SD_SD_jNS0_19identity_decomposerENS1_16block_id_wrapperIjLb0EEEEE10hipError_tT1_PNSt15iterator_traitsISI_E10value_typeET2_T3_PNSJ_ISO_E10value_typeET4_T5_PST_SU_PNS1_23onesweep_lookback_stateEbbT6_jjT7_P12ihipStream_tbENKUlT_T0_SI_SN_E_clISD_PtSD_S15_EEDaS11_S12_SI_SN_EUlS11_E_NS1_11comp_targetILNS1_3genE6ELNS1_11target_archE950ELNS1_3gpuE13ELNS1_3repE0EEENS1_47radix_sort_onesweep_sort_config_static_selectorELNS0_4arch9wavefront6targetE1EEEvSI_.uses_flat_scratch, 0
	.set _ZN7rocprim17ROCPRIM_400000_NS6detail17trampoline_kernelINS0_14default_configENS1_35radix_sort_onesweep_config_selectorIttEEZZNS1_29radix_sort_onesweep_iterationIS3_Lb0EN6thrust23THRUST_200600_302600_NS6detail15normal_iteratorINS8_10device_ptrItEEEESD_SD_SD_jNS0_19identity_decomposerENS1_16block_id_wrapperIjLb0EEEEE10hipError_tT1_PNSt15iterator_traitsISI_E10value_typeET2_T3_PNSJ_ISO_E10value_typeET4_T5_PST_SU_PNS1_23onesweep_lookback_stateEbbT6_jjT7_P12ihipStream_tbENKUlT_T0_SI_SN_E_clISD_PtSD_S15_EEDaS11_S12_SI_SN_EUlS11_E_NS1_11comp_targetILNS1_3genE6ELNS1_11target_archE950ELNS1_3gpuE13ELNS1_3repE0EEENS1_47radix_sort_onesweep_sort_config_static_selectorELNS0_4arch9wavefront6targetE1EEEvSI_.has_dyn_sized_stack, 0
	.set _ZN7rocprim17ROCPRIM_400000_NS6detail17trampoline_kernelINS0_14default_configENS1_35radix_sort_onesweep_config_selectorIttEEZZNS1_29radix_sort_onesweep_iterationIS3_Lb0EN6thrust23THRUST_200600_302600_NS6detail15normal_iteratorINS8_10device_ptrItEEEESD_SD_SD_jNS0_19identity_decomposerENS1_16block_id_wrapperIjLb0EEEEE10hipError_tT1_PNSt15iterator_traitsISI_E10value_typeET2_T3_PNSJ_ISO_E10value_typeET4_T5_PST_SU_PNS1_23onesweep_lookback_stateEbbT6_jjT7_P12ihipStream_tbENKUlT_T0_SI_SN_E_clISD_PtSD_S15_EEDaS11_S12_SI_SN_EUlS11_E_NS1_11comp_targetILNS1_3genE6ELNS1_11target_archE950ELNS1_3gpuE13ELNS1_3repE0EEENS1_47radix_sort_onesweep_sort_config_static_selectorELNS0_4arch9wavefront6targetE1EEEvSI_.has_recursion, 0
	.set _ZN7rocprim17ROCPRIM_400000_NS6detail17trampoline_kernelINS0_14default_configENS1_35radix_sort_onesweep_config_selectorIttEEZZNS1_29radix_sort_onesweep_iterationIS3_Lb0EN6thrust23THRUST_200600_302600_NS6detail15normal_iteratorINS8_10device_ptrItEEEESD_SD_SD_jNS0_19identity_decomposerENS1_16block_id_wrapperIjLb0EEEEE10hipError_tT1_PNSt15iterator_traitsISI_E10value_typeET2_T3_PNSJ_ISO_E10value_typeET4_T5_PST_SU_PNS1_23onesweep_lookback_stateEbbT6_jjT7_P12ihipStream_tbENKUlT_T0_SI_SN_E_clISD_PtSD_S15_EEDaS11_S12_SI_SN_EUlS11_E_NS1_11comp_targetILNS1_3genE6ELNS1_11target_archE950ELNS1_3gpuE13ELNS1_3repE0EEENS1_47radix_sort_onesweep_sort_config_static_selectorELNS0_4arch9wavefront6targetE1EEEvSI_.has_indirect_call, 0
	.section	.AMDGPU.csdata,"",@progbits
; Kernel info:
; codeLenInByte = 29988
; TotalNumSgprs: 106
; NumVgprs: 119
; NumAgprs: 0
; TotalNumVgprs: 119
; ScratchSize: 0
; MemoryBound: 0
; FloatMode: 240
; IeeeMode: 1
; LDSByteSize: 22792 bytes/workgroup (compile time only)
; SGPRBlocks: 13
; VGPRBlocks: 14
; NumSGPRsForWavesPerEU: 106
; NumVGPRsForWavesPerEU: 119
; AccumOffset: 120
; Occupancy: 4
; WaveLimiterHint : 1
; COMPUTE_PGM_RSRC2:SCRATCH_EN: 0
; COMPUTE_PGM_RSRC2:USER_SGPR: 2
; COMPUTE_PGM_RSRC2:TRAP_HANDLER: 0
; COMPUTE_PGM_RSRC2:TGID_X_EN: 1
; COMPUTE_PGM_RSRC2:TGID_Y_EN: 0
; COMPUTE_PGM_RSRC2:TGID_Z_EN: 0
; COMPUTE_PGM_RSRC2:TIDIG_COMP_CNT: 2
; COMPUTE_PGM_RSRC3_GFX90A:ACCUM_OFFSET: 29
; COMPUTE_PGM_RSRC3_GFX90A:TG_SPLIT: 0
	.section	.text._ZN7rocprim17ROCPRIM_400000_NS6detail17trampoline_kernelINS0_14default_configENS1_35radix_sort_onesweep_config_selectorIttEEZZNS1_29radix_sort_onesweep_iterationIS3_Lb0EN6thrust23THRUST_200600_302600_NS6detail15normal_iteratorINS8_10device_ptrItEEEESD_SD_SD_jNS0_19identity_decomposerENS1_16block_id_wrapperIjLb0EEEEE10hipError_tT1_PNSt15iterator_traitsISI_E10value_typeET2_T3_PNSJ_ISO_E10value_typeET4_T5_PST_SU_PNS1_23onesweep_lookback_stateEbbT6_jjT7_P12ihipStream_tbENKUlT_T0_SI_SN_E_clISD_PtSD_S15_EEDaS11_S12_SI_SN_EUlS11_E_NS1_11comp_targetILNS1_3genE5ELNS1_11target_archE942ELNS1_3gpuE9ELNS1_3repE0EEENS1_47radix_sort_onesweep_sort_config_static_selectorELNS0_4arch9wavefront6targetE1EEEvSI_,"axG",@progbits,_ZN7rocprim17ROCPRIM_400000_NS6detail17trampoline_kernelINS0_14default_configENS1_35radix_sort_onesweep_config_selectorIttEEZZNS1_29radix_sort_onesweep_iterationIS3_Lb0EN6thrust23THRUST_200600_302600_NS6detail15normal_iteratorINS8_10device_ptrItEEEESD_SD_SD_jNS0_19identity_decomposerENS1_16block_id_wrapperIjLb0EEEEE10hipError_tT1_PNSt15iterator_traitsISI_E10value_typeET2_T3_PNSJ_ISO_E10value_typeET4_T5_PST_SU_PNS1_23onesweep_lookback_stateEbbT6_jjT7_P12ihipStream_tbENKUlT_T0_SI_SN_E_clISD_PtSD_S15_EEDaS11_S12_SI_SN_EUlS11_E_NS1_11comp_targetILNS1_3genE5ELNS1_11target_archE942ELNS1_3gpuE9ELNS1_3repE0EEENS1_47radix_sort_onesweep_sort_config_static_selectorELNS0_4arch9wavefront6targetE1EEEvSI_,comdat
	.protected	_ZN7rocprim17ROCPRIM_400000_NS6detail17trampoline_kernelINS0_14default_configENS1_35radix_sort_onesweep_config_selectorIttEEZZNS1_29radix_sort_onesweep_iterationIS3_Lb0EN6thrust23THRUST_200600_302600_NS6detail15normal_iteratorINS8_10device_ptrItEEEESD_SD_SD_jNS0_19identity_decomposerENS1_16block_id_wrapperIjLb0EEEEE10hipError_tT1_PNSt15iterator_traitsISI_E10value_typeET2_T3_PNSJ_ISO_E10value_typeET4_T5_PST_SU_PNS1_23onesweep_lookback_stateEbbT6_jjT7_P12ihipStream_tbENKUlT_T0_SI_SN_E_clISD_PtSD_S15_EEDaS11_S12_SI_SN_EUlS11_E_NS1_11comp_targetILNS1_3genE5ELNS1_11target_archE942ELNS1_3gpuE9ELNS1_3repE0EEENS1_47radix_sort_onesweep_sort_config_static_selectorELNS0_4arch9wavefront6targetE1EEEvSI_ ; -- Begin function _ZN7rocprim17ROCPRIM_400000_NS6detail17trampoline_kernelINS0_14default_configENS1_35radix_sort_onesweep_config_selectorIttEEZZNS1_29radix_sort_onesweep_iterationIS3_Lb0EN6thrust23THRUST_200600_302600_NS6detail15normal_iteratorINS8_10device_ptrItEEEESD_SD_SD_jNS0_19identity_decomposerENS1_16block_id_wrapperIjLb0EEEEE10hipError_tT1_PNSt15iterator_traitsISI_E10value_typeET2_T3_PNSJ_ISO_E10value_typeET4_T5_PST_SU_PNS1_23onesweep_lookback_stateEbbT6_jjT7_P12ihipStream_tbENKUlT_T0_SI_SN_E_clISD_PtSD_S15_EEDaS11_S12_SI_SN_EUlS11_E_NS1_11comp_targetILNS1_3genE5ELNS1_11target_archE942ELNS1_3gpuE9ELNS1_3repE0EEENS1_47radix_sort_onesweep_sort_config_static_selectorELNS0_4arch9wavefront6targetE1EEEvSI_
	.globl	_ZN7rocprim17ROCPRIM_400000_NS6detail17trampoline_kernelINS0_14default_configENS1_35radix_sort_onesweep_config_selectorIttEEZZNS1_29radix_sort_onesweep_iterationIS3_Lb0EN6thrust23THRUST_200600_302600_NS6detail15normal_iteratorINS8_10device_ptrItEEEESD_SD_SD_jNS0_19identity_decomposerENS1_16block_id_wrapperIjLb0EEEEE10hipError_tT1_PNSt15iterator_traitsISI_E10value_typeET2_T3_PNSJ_ISO_E10value_typeET4_T5_PST_SU_PNS1_23onesweep_lookback_stateEbbT6_jjT7_P12ihipStream_tbENKUlT_T0_SI_SN_E_clISD_PtSD_S15_EEDaS11_S12_SI_SN_EUlS11_E_NS1_11comp_targetILNS1_3genE5ELNS1_11target_archE942ELNS1_3gpuE9ELNS1_3repE0EEENS1_47radix_sort_onesweep_sort_config_static_selectorELNS0_4arch9wavefront6targetE1EEEvSI_
	.p2align	8
	.type	_ZN7rocprim17ROCPRIM_400000_NS6detail17trampoline_kernelINS0_14default_configENS1_35radix_sort_onesweep_config_selectorIttEEZZNS1_29radix_sort_onesweep_iterationIS3_Lb0EN6thrust23THRUST_200600_302600_NS6detail15normal_iteratorINS8_10device_ptrItEEEESD_SD_SD_jNS0_19identity_decomposerENS1_16block_id_wrapperIjLb0EEEEE10hipError_tT1_PNSt15iterator_traitsISI_E10value_typeET2_T3_PNSJ_ISO_E10value_typeET4_T5_PST_SU_PNS1_23onesweep_lookback_stateEbbT6_jjT7_P12ihipStream_tbENKUlT_T0_SI_SN_E_clISD_PtSD_S15_EEDaS11_S12_SI_SN_EUlS11_E_NS1_11comp_targetILNS1_3genE5ELNS1_11target_archE942ELNS1_3gpuE9ELNS1_3repE0EEENS1_47radix_sort_onesweep_sort_config_static_selectorELNS0_4arch9wavefront6targetE1EEEvSI_,@function
_ZN7rocprim17ROCPRIM_400000_NS6detail17trampoline_kernelINS0_14default_configENS1_35radix_sort_onesweep_config_selectorIttEEZZNS1_29radix_sort_onesweep_iterationIS3_Lb0EN6thrust23THRUST_200600_302600_NS6detail15normal_iteratorINS8_10device_ptrItEEEESD_SD_SD_jNS0_19identity_decomposerENS1_16block_id_wrapperIjLb0EEEEE10hipError_tT1_PNSt15iterator_traitsISI_E10value_typeET2_T3_PNSJ_ISO_E10value_typeET4_T5_PST_SU_PNS1_23onesweep_lookback_stateEbbT6_jjT7_P12ihipStream_tbENKUlT_T0_SI_SN_E_clISD_PtSD_S15_EEDaS11_S12_SI_SN_EUlS11_E_NS1_11comp_targetILNS1_3genE5ELNS1_11target_archE942ELNS1_3gpuE9ELNS1_3repE0EEENS1_47radix_sort_onesweep_sort_config_static_selectorELNS0_4arch9wavefront6targetE1EEEvSI_: ; @_ZN7rocprim17ROCPRIM_400000_NS6detail17trampoline_kernelINS0_14default_configENS1_35radix_sort_onesweep_config_selectorIttEEZZNS1_29radix_sort_onesweep_iterationIS3_Lb0EN6thrust23THRUST_200600_302600_NS6detail15normal_iteratorINS8_10device_ptrItEEEESD_SD_SD_jNS0_19identity_decomposerENS1_16block_id_wrapperIjLb0EEEEE10hipError_tT1_PNSt15iterator_traitsISI_E10value_typeET2_T3_PNSJ_ISO_E10value_typeET4_T5_PST_SU_PNS1_23onesweep_lookback_stateEbbT6_jjT7_P12ihipStream_tbENKUlT_T0_SI_SN_E_clISD_PtSD_S15_EEDaS11_S12_SI_SN_EUlS11_E_NS1_11comp_targetILNS1_3genE5ELNS1_11target_archE942ELNS1_3gpuE9ELNS1_3repE0EEENS1_47radix_sort_onesweep_sort_config_static_selectorELNS0_4arch9wavefront6targetE1EEEvSI_
; %bb.0:
	.section	.rodata,"a",@progbits
	.p2align	6, 0x0
	.amdhsa_kernel _ZN7rocprim17ROCPRIM_400000_NS6detail17trampoline_kernelINS0_14default_configENS1_35radix_sort_onesweep_config_selectorIttEEZZNS1_29radix_sort_onesweep_iterationIS3_Lb0EN6thrust23THRUST_200600_302600_NS6detail15normal_iteratorINS8_10device_ptrItEEEESD_SD_SD_jNS0_19identity_decomposerENS1_16block_id_wrapperIjLb0EEEEE10hipError_tT1_PNSt15iterator_traitsISI_E10value_typeET2_T3_PNSJ_ISO_E10value_typeET4_T5_PST_SU_PNS1_23onesweep_lookback_stateEbbT6_jjT7_P12ihipStream_tbENKUlT_T0_SI_SN_E_clISD_PtSD_S15_EEDaS11_S12_SI_SN_EUlS11_E_NS1_11comp_targetILNS1_3genE5ELNS1_11target_archE942ELNS1_3gpuE9ELNS1_3repE0EEENS1_47radix_sort_onesweep_sort_config_static_selectorELNS0_4arch9wavefront6targetE1EEEvSI_
		.amdhsa_group_segment_fixed_size 0
		.amdhsa_private_segment_fixed_size 0
		.amdhsa_kernarg_size 88
		.amdhsa_user_sgpr_count 2
		.amdhsa_user_sgpr_dispatch_ptr 0
		.amdhsa_user_sgpr_queue_ptr 0
		.amdhsa_user_sgpr_kernarg_segment_ptr 1
		.amdhsa_user_sgpr_dispatch_id 0
		.amdhsa_user_sgpr_kernarg_preload_length 0
		.amdhsa_user_sgpr_kernarg_preload_offset 0
		.amdhsa_user_sgpr_private_segment_size 0
		.amdhsa_uses_dynamic_stack 0
		.amdhsa_enable_private_segment 0
		.amdhsa_system_sgpr_workgroup_id_x 1
		.amdhsa_system_sgpr_workgroup_id_y 0
		.amdhsa_system_sgpr_workgroup_id_z 0
		.amdhsa_system_sgpr_workgroup_info 0
		.amdhsa_system_vgpr_workitem_id 0
		.amdhsa_next_free_vgpr 1
		.amdhsa_next_free_sgpr 0
		.amdhsa_accum_offset 4
		.amdhsa_reserve_vcc 0
		.amdhsa_float_round_mode_32 0
		.amdhsa_float_round_mode_16_64 0
		.amdhsa_float_denorm_mode_32 3
		.amdhsa_float_denorm_mode_16_64 3
		.amdhsa_dx10_clamp 1
		.amdhsa_ieee_mode 1
		.amdhsa_fp16_overflow 0
		.amdhsa_tg_split 0
		.amdhsa_exception_fp_ieee_invalid_op 0
		.amdhsa_exception_fp_denorm_src 0
		.amdhsa_exception_fp_ieee_div_zero 0
		.amdhsa_exception_fp_ieee_overflow 0
		.amdhsa_exception_fp_ieee_underflow 0
		.amdhsa_exception_fp_ieee_inexact 0
		.amdhsa_exception_int_div_zero 0
	.end_amdhsa_kernel
	.section	.text._ZN7rocprim17ROCPRIM_400000_NS6detail17trampoline_kernelINS0_14default_configENS1_35radix_sort_onesweep_config_selectorIttEEZZNS1_29radix_sort_onesweep_iterationIS3_Lb0EN6thrust23THRUST_200600_302600_NS6detail15normal_iteratorINS8_10device_ptrItEEEESD_SD_SD_jNS0_19identity_decomposerENS1_16block_id_wrapperIjLb0EEEEE10hipError_tT1_PNSt15iterator_traitsISI_E10value_typeET2_T3_PNSJ_ISO_E10value_typeET4_T5_PST_SU_PNS1_23onesweep_lookback_stateEbbT6_jjT7_P12ihipStream_tbENKUlT_T0_SI_SN_E_clISD_PtSD_S15_EEDaS11_S12_SI_SN_EUlS11_E_NS1_11comp_targetILNS1_3genE5ELNS1_11target_archE942ELNS1_3gpuE9ELNS1_3repE0EEENS1_47radix_sort_onesweep_sort_config_static_selectorELNS0_4arch9wavefront6targetE1EEEvSI_,"axG",@progbits,_ZN7rocprim17ROCPRIM_400000_NS6detail17trampoline_kernelINS0_14default_configENS1_35radix_sort_onesweep_config_selectorIttEEZZNS1_29radix_sort_onesweep_iterationIS3_Lb0EN6thrust23THRUST_200600_302600_NS6detail15normal_iteratorINS8_10device_ptrItEEEESD_SD_SD_jNS0_19identity_decomposerENS1_16block_id_wrapperIjLb0EEEEE10hipError_tT1_PNSt15iterator_traitsISI_E10value_typeET2_T3_PNSJ_ISO_E10value_typeET4_T5_PST_SU_PNS1_23onesweep_lookback_stateEbbT6_jjT7_P12ihipStream_tbENKUlT_T0_SI_SN_E_clISD_PtSD_S15_EEDaS11_S12_SI_SN_EUlS11_E_NS1_11comp_targetILNS1_3genE5ELNS1_11target_archE942ELNS1_3gpuE9ELNS1_3repE0EEENS1_47radix_sort_onesweep_sort_config_static_selectorELNS0_4arch9wavefront6targetE1EEEvSI_,comdat
.Lfunc_end1012:
	.size	_ZN7rocprim17ROCPRIM_400000_NS6detail17trampoline_kernelINS0_14default_configENS1_35radix_sort_onesweep_config_selectorIttEEZZNS1_29radix_sort_onesweep_iterationIS3_Lb0EN6thrust23THRUST_200600_302600_NS6detail15normal_iteratorINS8_10device_ptrItEEEESD_SD_SD_jNS0_19identity_decomposerENS1_16block_id_wrapperIjLb0EEEEE10hipError_tT1_PNSt15iterator_traitsISI_E10value_typeET2_T3_PNSJ_ISO_E10value_typeET4_T5_PST_SU_PNS1_23onesweep_lookback_stateEbbT6_jjT7_P12ihipStream_tbENKUlT_T0_SI_SN_E_clISD_PtSD_S15_EEDaS11_S12_SI_SN_EUlS11_E_NS1_11comp_targetILNS1_3genE5ELNS1_11target_archE942ELNS1_3gpuE9ELNS1_3repE0EEENS1_47radix_sort_onesweep_sort_config_static_selectorELNS0_4arch9wavefront6targetE1EEEvSI_, .Lfunc_end1012-_ZN7rocprim17ROCPRIM_400000_NS6detail17trampoline_kernelINS0_14default_configENS1_35radix_sort_onesweep_config_selectorIttEEZZNS1_29radix_sort_onesweep_iterationIS3_Lb0EN6thrust23THRUST_200600_302600_NS6detail15normal_iteratorINS8_10device_ptrItEEEESD_SD_SD_jNS0_19identity_decomposerENS1_16block_id_wrapperIjLb0EEEEE10hipError_tT1_PNSt15iterator_traitsISI_E10value_typeET2_T3_PNSJ_ISO_E10value_typeET4_T5_PST_SU_PNS1_23onesweep_lookback_stateEbbT6_jjT7_P12ihipStream_tbENKUlT_T0_SI_SN_E_clISD_PtSD_S15_EEDaS11_S12_SI_SN_EUlS11_E_NS1_11comp_targetILNS1_3genE5ELNS1_11target_archE942ELNS1_3gpuE9ELNS1_3repE0EEENS1_47radix_sort_onesweep_sort_config_static_selectorELNS0_4arch9wavefront6targetE1EEEvSI_
                                        ; -- End function
	.set _ZN7rocprim17ROCPRIM_400000_NS6detail17trampoline_kernelINS0_14default_configENS1_35radix_sort_onesweep_config_selectorIttEEZZNS1_29radix_sort_onesweep_iterationIS3_Lb0EN6thrust23THRUST_200600_302600_NS6detail15normal_iteratorINS8_10device_ptrItEEEESD_SD_SD_jNS0_19identity_decomposerENS1_16block_id_wrapperIjLb0EEEEE10hipError_tT1_PNSt15iterator_traitsISI_E10value_typeET2_T3_PNSJ_ISO_E10value_typeET4_T5_PST_SU_PNS1_23onesweep_lookback_stateEbbT6_jjT7_P12ihipStream_tbENKUlT_T0_SI_SN_E_clISD_PtSD_S15_EEDaS11_S12_SI_SN_EUlS11_E_NS1_11comp_targetILNS1_3genE5ELNS1_11target_archE942ELNS1_3gpuE9ELNS1_3repE0EEENS1_47radix_sort_onesweep_sort_config_static_selectorELNS0_4arch9wavefront6targetE1EEEvSI_.num_vgpr, 0
	.set _ZN7rocprim17ROCPRIM_400000_NS6detail17trampoline_kernelINS0_14default_configENS1_35radix_sort_onesweep_config_selectorIttEEZZNS1_29radix_sort_onesweep_iterationIS3_Lb0EN6thrust23THRUST_200600_302600_NS6detail15normal_iteratorINS8_10device_ptrItEEEESD_SD_SD_jNS0_19identity_decomposerENS1_16block_id_wrapperIjLb0EEEEE10hipError_tT1_PNSt15iterator_traitsISI_E10value_typeET2_T3_PNSJ_ISO_E10value_typeET4_T5_PST_SU_PNS1_23onesweep_lookback_stateEbbT6_jjT7_P12ihipStream_tbENKUlT_T0_SI_SN_E_clISD_PtSD_S15_EEDaS11_S12_SI_SN_EUlS11_E_NS1_11comp_targetILNS1_3genE5ELNS1_11target_archE942ELNS1_3gpuE9ELNS1_3repE0EEENS1_47radix_sort_onesweep_sort_config_static_selectorELNS0_4arch9wavefront6targetE1EEEvSI_.num_agpr, 0
	.set _ZN7rocprim17ROCPRIM_400000_NS6detail17trampoline_kernelINS0_14default_configENS1_35radix_sort_onesweep_config_selectorIttEEZZNS1_29radix_sort_onesweep_iterationIS3_Lb0EN6thrust23THRUST_200600_302600_NS6detail15normal_iteratorINS8_10device_ptrItEEEESD_SD_SD_jNS0_19identity_decomposerENS1_16block_id_wrapperIjLb0EEEEE10hipError_tT1_PNSt15iterator_traitsISI_E10value_typeET2_T3_PNSJ_ISO_E10value_typeET4_T5_PST_SU_PNS1_23onesweep_lookback_stateEbbT6_jjT7_P12ihipStream_tbENKUlT_T0_SI_SN_E_clISD_PtSD_S15_EEDaS11_S12_SI_SN_EUlS11_E_NS1_11comp_targetILNS1_3genE5ELNS1_11target_archE942ELNS1_3gpuE9ELNS1_3repE0EEENS1_47radix_sort_onesweep_sort_config_static_selectorELNS0_4arch9wavefront6targetE1EEEvSI_.numbered_sgpr, 0
	.set _ZN7rocprim17ROCPRIM_400000_NS6detail17trampoline_kernelINS0_14default_configENS1_35radix_sort_onesweep_config_selectorIttEEZZNS1_29radix_sort_onesweep_iterationIS3_Lb0EN6thrust23THRUST_200600_302600_NS6detail15normal_iteratorINS8_10device_ptrItEEEESD_SD_SD_jNS0_19identity_decomposerENS1_16block_id_wrapperIjLb0EEEEE10hipError_tT1_PNSt15iterator_traitsISI_E10value_typeET2_T3_PNSJ_ISO_E10value_typeET4_T5_PST_SU_PNS1_23onesweep_lookback_stateEbbT6_jjT7_P12ihipStream_tbENKUlT_T0_SI_SN_E_clISD_PtSD_S15_EEDaS11_S12_SI_SN_EUlS11_E_NS1_11comp_targetILNS1_3genE5ELNS1_11target_archE942ELNS1_3gpuE9ELNS1_3repE0EEENS1_47radix_sort_onesweep_sort_config_static_selectorELNS0_4arch9wavefront6targetE1EEEvSI_.num_named_barrier, 0
	.set _ZN7rocprim17ROCPRIM_400000_NS6detail17trampoline_kernelINS0_14default_configENS1_35radix_sort_onesweep_config_selectorIttEEZZNS1_29radix_sort_onesweep_iterationIS3_Lb0EN6thrust23THRUST_200600_302600_NS6detail15normal_iteratorINS8_10device_ptrItEEEESD_SD_SD_jNS0_19identity_decomposerENS1_16block_id_wrapperIjLb0EEEEE10hipError_tT1_PNSt15iterator_traitsISI_E10value_typeET2_T3_PNSJ_ISO_E10value_typeET4_T5_PST_SU_PNS1_23onesweep_lookback_stateEbbT6_jjT7_P12ihipStream_tbENKUlT_T0_SI_SN_E_clISD_PtSD_S15_EEDaS11_S12_SI_SN_EUlS11_E_NS1_11comp_targetILNS1_3genE5ELNS1_11target_archE942ELNS1_3gpuE9ELNS1_3repE0EEENS1_47radix_sort_onesweep_sort_config_static_selectorELNS0_4arch9wavefront6targetE1EEEvSI_.private_seg_size, 0
	.set _ZN7rocprim17ROCPRIM_400000_NS6detail17trampoline_kernelINS0_14default_configENS1_35radix_sort_onesweep_config_selectorIttEEZZNS1_29radix_sort_onesweep_iterationIS3_Lb0EN6thrust23THRUST_200600_302600_NS6detail15normal_iteratorINS8_10device_ptrItEEEESD_SD_SD_jNS0_19identity_decomposerENS1_16block_id_wrapperIjLb0EEEEE10hipError_tT1_PNSt15iterator_traitsISI_E10value_typeET2_T3_PNSJ_ISO_E10value_typeET4_T5_PST_SU_PNS1_23onesweep_lookback_stateEbbT6_jjT7_P12ihipStream_tbENKUlT_T0_SI_SN_E_clISD_PtSD_S15_EEDaS11_S12_SI_SN_EUlS11_E_NS1_11comp_targetILNS1_3genE5ELNS1_11target_archE942ELNS1_3gpuE9ELNS1_3repE0EEENS1_47radix_sort_onesweep_sort_config_static_selectorELNS0_4arch9wavefront6targetE1EEEvSI_.uses_vcc, 0
	.set _ZN7rocprim17ROCPRIM_400000_NS6detail17trampoline_kernelINS0_14default_configENS1_35radix_sort_onesweep_config_selectorIttEEZZNS1_29radix_sort_onesweep_iterationIS3_Lb0EN6thrust23THRUST_200600_302600_NS6detail15normal_iteratorINS8_10device_ptrItEEEESD_SD_SD_jNS0_19identity_decomposerENS1_16block_id_wrapperIjLb0EEEEE10hipError_tT1_PNSt15iterator_traitsISI_E10value_typeET2_T3_PNSJ_ISO_E10value_typeET4_T5_PST_SU_PNS1_23onesweep_lookback_stateEbbT6_jjT7_P12ihipStream_tbENKUlT_T0_SI_SN_E_clISD_PtSD_S15_EEDaS11_S12_SI_SN_EUlS11_E_NS1_11comp_targetILNS1_3genE5ELNS1_11target_archE942ELNS1_3gpuE9ELNS1_3repE0EEENS1_47radix_sort_onesweep_sort_config_static_selectorELNS0_4arch9wavefront6targetE1EEEvSI_.uses_flat_scratch, 0
	.set _ZN7rocprim17ROCPRIM_400000_NS6detail17trampoline_kernelINS0_14default_configENS1_35radix_sort_onesweep_config_selectorIttEEZZNS1_29radix_sort_onesweep_iterationIS3_Lb0EN6thrust23THRUST_200600_302600_NS6detail15normal_iteratorINS8_10device_ptrItEEEESD_SD_SD_jNS0_19identity_decomposerENS1_16block_id_wrapperIjLb0EEEEE10hipError_tT1_PNSt15iterator_traitsISI_E10value_typeET2_T3_PNSJ_ISO_E10value_typeET4_T5_PST_SU_PNS1_23onesweep_lookback_stateEbbT6_jjT7_P12ihipStream_tbENKUlT_T0_SI_SN_E_clISD_PtSD_S15_EEDaS11_S12_SI_SN_EUlS11_E_NS1_11comp_targetILNS1_3genE5ELNS1_11target_archE942ELNS1_3gpuE9ELNS1_3repE0EEENS1_47radix_sort_onesweep_sort_config_static_selectorELNS0_4arch9wavefront6targetE1EEEvSI_.has_dyn_sized_stack, 0
	.set _ZN7rocprim17ROCPRIM_400000_NS6detail17trampoline_kernelINS0_14default_configENS1_35radix_sort_onesweep_config_selectorIttEEZZNS1_29radix_sort_onesweep_iterationIS3_Lb0EN6thrust23THRUST_200600_302600_NS6detail15normal_iteratorINS8_10device_ptrItEEEESD_SD_SD_jNS0_19identity_decomposerENS1_16block_id_wrapperIjLb0EEEEE10hipError_tT1_PNSt15iterator_traitsISI_E10value_typeET2_T3_PNSJ_ISO_E10value_typeET4_T5_PST_SU_PNS1_23onesweep_lookback_stateEbbT6_jjT7_P12ihipStream_tbENKUlT_T0_SI_SN_E_clISD_PtSD_S15_EEDaS11_S12_SI_SN_EUlS11_E_NS1_11comp_targetILNS1_3genE5ELNS1_11target_archE942ELNS1_3gpuE9ELNS1_3repE0EEENS1_47radix_sort_onesweep_sort_config_static_selectorELNS0_4arch9wavefront6targetE1EEEvSI_.has_recursion, 0
	.set _ZN7rocprim17ROCPRIM_400000_NS6detail17trampoline_kernelINS0_14default_configENS1_35radix_sort_onesweep_config_selectorIttEEZZNS1_29radix_sort_onesweep_iterationIS3_Lb0EN6thrust23THRUST_200600_302600_NS6detail15normal_iteratorINS8_10device_ptrItEEEESD_SD_SD_jNS0_19identity_decomposerENS1_16block_id_wrapperIjLb0EEEEE10hipError_tT1_PNSt15iterator_traitsISI_E10value_typeET2_T3_PNSJ_ISO_E10value_typeET4_T5_PST_SU_PNS1_23onesweep_lookback_stateEbbT6_jjT7_P12ihipStream_tbENKUlT_T0_SI_SN_E_clISD_PtSD_S15_EEDaS11_S12_SI_SN_EUlS11_E_NS1_11comp_targetILNS1_3genE5ELNS1_11target_archE942ELNS1_3gpuE9ELNS1_3repE0EEENS1_47radix_sort_onesweep_sort_config_static_selectorELNS0_4arch9wavefront6targetE1EEEvSI_.has_indirect_call, 0
	.section	.AMDGPU.csdata,"",@progbits
; Kernel info:
; codeLenInByte = 0
; TotalNumSgprs: 6
; NumVgprs: 0
; NumAgprs: 0
; TotalNumVgprs: 0
; ScratchSize: 0
; MemoryBound: 0
; FloatMode: 240
; IeeeMode: 1
; LDSByteSize: 0 bytes/workgroup (compile time only)
; SGPRBlocks: 0
; VGPRBlocks: 0
; NumSGPRsForWavesPerEU: 6
; NumVGPRsForWavesPerEU: 1
; AccumOffset: 4
; Occupancy: 8
; WaveLimiterHint : 0
; COMPUTE_PGM_RSRC2:SCRATCH_EN: 0
; COMPUTE_PGM_RSRC2:USER_SGPR: 2
; COMPUTE_PGM_RSRC2:TRAP_HANDLER: 0
; COMPUTE_PGM_RSRC2:TGID_X_EN: 1
; COMPUTE_PGM_RSRC2:TGID_Y_EN: 0
; COMPUTE_PGM_RSRC2:TGID_Z_EN: 0
; COMPUTE_PGM_RSRC2:TIDIG_COMP_CNT: 0
; COMPUTE_PGM_RSRC3_GFX90A:ACCUM_OFFSET: 0
; COMPUTE_PGM_RSRC3_GFX90A:TG_SPLIT: 0
	.section	.text._ZN7rocprim17ROCPRIM_400000_NS6detail17trampoline_kernelINS0_14default_configENS1_35radix_sort_onesweep_config_selectorIttEEZZNS1_29radix_sort_onesweep_iterationIS3_Lb0EN6thrust23THRUST_200600_302600_NS6detail15normal_iteratorINS8_10device_ptrItEEEESD_SD_SD_jNS0_19identity_decomposerENS1_16block_id_wrapperIjLb0EEEEE10hipError_tT1_PNSt15iterator_traitsISI_E10value_typeET2_T3_PNSJ_ISO_E10value_typeET4_T5_PST_SU_PNS1_23onesweep_lookback_stateEbbT6_jjT7_P12ihipStream_tbENKUlT_T0_SI_SN_E_clISD_PtSD_S15_EEDaS11_S12_SI_SN_EUlS11_E_NS1_11comp_targetILNS1_3genE2ELNS1_11target_archE906ELNS1_3gpuE6ELNS1_3repE0EEENS1_47radix_sort_onesweep_sort_config_static_selectorELNS0_4arch9wavefront6targetE1EEEvSI_,"axG",@progbits,_ZN7rocprim17ROCPRIM_400000_NS6detail17trampoline_kernelINS0_14default_configENS1_35radix_sort_onesweep_config_selectorIttEEZZNS1_29radix_sort_onesweep_iterationIS3_Lb0EN6thrust23THRUST_200600_302600_NS6detail15normal_iteratorINS8_10device_ptrItEEEESD_SD_SD_jNS0_19identity_decomposerENS1_16block_id_wrapperIjLb0EEEEE10hipError_tT1_PNSt15iterator_traitsISI_E10value_typeET2_T3_PNSJ_ISO_E10value_typeET4_T5_PST_SU_PNS1_23onesweep_lookback_stateEbbT6_jjT7_P12ihipStream_tbENKUlT_T0_SI_SN_E_clISD_PtSD_S15_EEDaS11_S12_SI_SN_EUlS11_E_NS1_11comp_targetILNS1_3genE2ELNS1_11target_archE906ELNS1_3gpuE6ELNS1_3repE0EEENS1_47radix_sort_onesweep_sort_config_static_selectorELNS0_4arch9wavefront6targetE1EEEvSI_,comdat
	.protected	_ZN7rocprim17ROCPRIM_400000_NS6detail17trampoline_kernelINS0_14default_configENS1_35radix_sort_onesweep_config_selectorIttEEZZNS1_29radix_sort_onesweep_iterationIS3_Lb0EN6thrust23THRUST_200600_302600_NS6detail15normal_iteratorINS8_10device_ptrItEEEESD_SD_SD_jNS0_19identity_decomposerENS1_16block_id_wrapperIjLb0EEEEE10hipError_tT1_PNSt15iterator_traitsISI_E10value_typeET2_T3_PNSJ_ISO_E10value_typeET4_T5_PST_SU_PNS1_23onesweep_lookback_stateEbbT6_jjT7_P12ihipStream_tbENKUlT_T0_SI_SN_E_clISD_PtSD_S15_EEDaS11_S12_SI_SN_EUlS11_E_NS1_11comp_targetILNS1_3genE2ELNS1_11target_archE906ELNS1_3gpuE6ELNS1_3repE0EEENS1_47radix_sort_onesweep_sort_config_static_selectorELNS0_4arch9wavefront6targetE1EEEvSI_ ; -- Begin function _ZN7rocprim17ROCPRIM_400000_NS6detail17trampoline_kernelINS0_14default_configENS1_35radix_sort_onesweep_config_selectorIttEEZZNS1_29radix_sort_onesweep_iterationIS3_Lb0EN6thrust23THRUST_200600_302600_NS6detail15normal_iteratorINS8_10device_ptrItEEEESD_SD_SD_jNS0_19identity_decomposerENS1_16block_id_wrapperIjLb0EEEEE10hipError_tT1_PNSt15iterator_traitsISI_E10value_typeET2_T3_PNSJ_ISO_E10value_typeET4_T5_PST_SU_PNS1_23onesweep_lookback_stateEbbT6_jjT7_P12ihipStream_tbENKUlT_T0_SI_SN_E_clISD_PtSD_S15_EEDaS11_S12_SI_SN_EUlS11_E_NS1_11comp_targetILNS1_3genE2ELNS1_11target_archE906ELNS1_3gpuE6ELNS1_3repE0EEENS1_47radix_sort_onesweep_sort_config_static_selectorELNS0_4arch9wavefront6targetE1EEEvSI_
	.globl	_ZN7rocprim17ROCPRIM_400000_NS6detail17trampoline_kernelINS0_14default_configENS1_35radix_sort_onesweep_config_selectorIttEEZZNS1_29radix_sort_onesweep_iterationIS3_Lb0EN6thrust23THRUST_200600_302600_NS6detail15normal_iteratorINS8_10device_ptrItEEEESD_SD_SD_jNS0_19identity_decomposerENS1_16block_id_wrapperIjLb0EEEEE10hipError_tT1_PNSt15iterator_traitsISI_E10value_typeET2_T3_PNSJ_ISO_E10value_typeET4_T5_PST_SU_PNS1_23onesweep_lookback_stateEbbT6_jjT7_P12ihipStream_tbENKUlT_T0_SI_SN_E_clISD_PtSD_S15_EEDaS11_S12_SI_SN_EUlS11_E_NS1_11comp_targetILNS1_3genE2ELNS1_11target_archE906ELNS1_3gpuE6ELNS1_3repE0EEENS1_47radix_sort_onesweep_sort_config_static_selectorELNS0_4arch9wavefront6targetE1EEEvSI_
	.p2align	8
	.type	_ZN7rocprim17ROCPRIM_400000_NS6detail17trampoline_kernelINS0_14default_configENS1_35radix_sort_onesweep_config_selectorIttEEZZNS1_29radix_sort_onesweep_iterationIS3_Lb0EN6thrust23THRUST_200600_302600_NS6detail15normal_iteratorINS8_10device_ptrItEEEESD_SD_SD_jNS0_19identity_decomposerENS1_16block_id_wrapperIjLb0EEEEE10hipError_tT1_PNSt15iterator_traitsISI_E10value_typeET2_T3_PNSJ_ISO_E10value_typeET4_T5_PST_SU_PNS1_23onesweep_lookback_stateEbbT6_jjT7_P12ihipStream_tbENKUlT_T0_SI_SN_E_clISD_PtSD_S15_EEDaS11_S12_SI_SN_EUlS11_E_NS1_11comp_targetILNS1_3genE2ELNS1_11target_archE906ELNS1_3gpuE6ELNS1_3repE0EEENS1_47radix_sort_onesweep_sort_config_static_selectorELNS0_4arch9wavefront6targetE1EEEvSI_,@function
_ZN7rocprim17ROCPRIM_400000_NS6detail17trampoline_kernelINS0_14default_configENS1_35radix_sort_onesweep_config_selectorIttEEZZNS1_29radix_sort_onesweep_iterationIS3_Lb0EN6thrust23THRUST_200600_302600_NS6detail15normal_iteratorINS8_10device_ptrItEEEESD_SD_SD_jNS0_19identity_decomposerENS1_16block_id_wrapperIjLb0EEEEE10hipError_tT1_PNSt15iterator_traitsISI_E10value_typeET2_T3_PNSJ_ISO_E10value_typeET4_T5_PST_SU_PNS1_23onesweep_lookback_stateEbbT6_jjT7_P12ihipStream_tbENKUlT_T0_SI_SN_E_clISD_PtSD_S15_EEDaS11_S12_SI_SN_EUlS11_E_NS1_11comp_targetILNS1_3genE2ELNS1_11target_archE906ELNS1_3gpuE6ELNS1_3repE0EEENS1_47radix_sort_onesweep_sort_config_static_selectorELNS0_4arch9wavefront6targetE1EEEvSI_: ; @_ZN7rocprim17ROCPRIM_400000_NS6detail17trampoline_kernelINS0_14default_configENS1_35radix_sort_onesweep_config_selectorIttEEZZNS1_29radix_sort_onesweep_iterationIS3_Lb0EN6thrust23THRUST_200600_302600_NS6detail15normal_iteratorINS8_10device_ptrItEEEESD_SD_SD_jNS0_19identity_decomposerENS1_16block_id_wrapperIjLb0EEEEE10hipError_tT1_PNSt15iterator_traitsISI_E10value_typeET2_T3_PNSJ_ISO_E10value_typeET4_T5_PST_SU_PNS1_23onesweep_lookback_stateEbbT6_jjT7_P12ihipStream_tbENKUlT_T0_SI_SN_E_clISD_PtSD_S15_EEDaS11_S12_SI_SN_EUlS11_E_NS1_11comp_targetILNS1_3genE2ELNS1_11target_archE906ELNS1_3gpuE6ELNS1_3repE0EEENS1_47radix_sort_onesweep_sort_config_static_selectorELNS0_4arch9wavefront6targetE1EEEvSI_
; %bb.0:
	.section	.rodata,"a",@progbits
	.p2align	6, 0x0
	.amdhsa_kernel _ZN7rocprim17ROCPRIM_400000_NS6detail17trampoline_kernelINS0_14default_configENS1_35radix_sort_onesweep_config_selectorIttEEZZNS1_29radix_sort_onesweep_iterationIS3_Lb0EN6thrust23THRUST_200600_302600_NS6detail15normal_iteratorINS8_10device_ptrItEEEESD_SD_SD_jNS0_19identity_decomposerENS1_16block_id_wrapperIjLb0EEEEE10hipError_tT1_PNSt15iterator_traitsISI_E10value_typeET2_T3_PNSJ_ISO_E10value_typeET4_T5_PST_SU_PNS1_23onesweep_lookback_stateEbbT6_jjT7_P12ihipStream_tbENKUlT_T0_SI_SN_E_clISD_PtSD_S15_EEDaS11_S12_SI_SN_EUlS11_E_NS1_11comp_targetILNS1_3genE2ELNS1_11target_archE906ELNS1_3gpuE6ELNS1_3repE0EEENS1_47radix_sort_onesweep_sort_config_static_selectorELNS0_4arch9wavefront6targetE1EEEvSI_
		.amdhsa_group_segment_fixed_size 0
		.amdhsa_private_segment_fixed_size 0
		.amdhsa_kernarg_size 88
		.amdhsa_user_sgpr_count 2
		.amdhsa_user_sgpr_dispatch_ptr 0
		.amdhsa_user_sgpr_queue_ptr 0
		.amdhsa_user_sgpr_kernarg_segment_ptr 1
		.amdhsa_user_sgpr_dispatch_id 0
		.amdhsa_user_sgpr_kernarg_preload_length 0
		.amdhsa_user_sgpr_kernarg_preload_offset 0
		.amdhsa_user_sgpr_private_segment_size 0
		.amdhsa_uses_dynamic_stack 0
		.amdhsa_enable_private_segment 0
		.amdhsa_system_sgpr_workgroup_id_x 1
		.amdhsa_system_sgpr_workgroup_id_y 0
		.amdhsa_system_sgpr_workgroup_id_z 0
		.amdhsa_system_sgpr_workgroup_info 0
		.amdhsa_system_vgpr_workitem_id 0
		.amdhsa_next_free_vgpr 1
		.amdhsa_next_free_sgpr 0
		.amdhsa_accum_offset 4
		.amdhsa_reserve_vcc 0
		.amdhsa_float_round_mode_32 0
		.amdhsa_float_round_mode_16_64 0
		.amdhsa_float_denorm_mode_32 3
		.amdhsa_float_denorm_mode_16_64 3
		.amdhsa_dx10_clamp 1
		.amdhsa_ieee_mode 1
		.amdhsa_fp16_overflow 0
		.amdhsa_tg_split 0
		.amdhsa_exception_fp_ieee_invalid_op 0
		.amdhsa_exception_fp_denorm_src 0
		.amdhsa_exception_fp_ieee_div_zero 0
		.amdhsa_exception_fp_ieee_overflow 0
		.amdhsa_exception_fp_ieee_underflow 0
		.amdhsa_exception_fp_ieee_inexact 0
		.amdhsa_exception_int_div_zero 0
	.end_amdhsa_kernel
	.section	.text._ZN7rocprim17ROCPRIM_400000_NS6detail17trampoline_kernelINS0_14default_configENS1_35radix_sort_onesweep_config_selectorIttEEZZNS1_29radix_sort_onesweep_iterationIS3_Lb0EN6thrust23THRUST_200600_302600_NS6detail15normal_iteratorINS8_10device_ptrItEEEESD_SD_SD_jNS0_19identity_decomposerENS1_16block_id_wrapperIjLb0EEEEE10hipError_tT1_PNSt15iterator_traitsISI_E10value_typeET2_T3_PNSJ_ISO_E10value_typeET4_T5_PST_SU_PNS1_23onesweep_lookback_stateEbbT6_jjT7_P12ihipStream_tbENKUlT_T0_SI_SN_E_clISD_PtSD_S15_EEDaS11_S12_SI_SN_EUlS11_E_NS1_11comp_targetILNS1_3genE2ELNS1_11target_archE906ELNS1_3gpuE6ELNS1_3repE0EEENS1_47radix_sort_onesweep_sort_config_static_selectorELNS0_4arch9wavefront6targetE1EEEvSI_,"axG",@progbits,_ZN7rocprim17ROCPRIM_400000_NS6detail17trampoline_kernelINS0_14default_configENS1_35radix_sort_onesweep_config_selectorIttEEZZNS1_29radix_sort_onesweep_iterationIS3_Lb0EN6thrust23THRUST_200600_302600_NS6detail15normal_iteratorINS8_10device_ptrItEEEESD_SD_SD_jNS0_19identity_decomposerENS1_16block_id_wrapperIjLb0EEEEE10hipError_tT1_PNSt15iterator_traitsISI_E10value_typeET2_T3_PNSJ_ISO_E10value_typeET4_T5_PST_SU_PNS1_23onesweep_lookback_stateEbbT6_jjT7_P12ihipStream_tbENKUlT_T0_SI_SN_E_clISD_PtSD_S15_EEDaS11_S12_SI_SN_EUlS11_E_NS1_11comp_targetILNS1_3genE2ELNS1_11target_archE906ELNS1_3gpuE6ELNS1_3repE0EEENS1_47radix_sort_onesweep_sort_config_static_selectorELNS0_4arch9wavefront6targetE1EEEvSI_,comdat
.Lfunc_end1013:
	.size	_ZN7rocprim17ROCPRIM_400000_NS6detail17trampoline_kernelINS0_14default_configENS1_35radix_sort_onesweep_config_selectorIttEEZZNS1_29radix_sort_onesweep_iterationIS3_Lb0EN6thrust23THRUST_200600_302600_NS6detail15normal_iteratorINS8_10device_ptrItEEEESD_SD_SD_jNS0_19identity_decomposerENS1_16block_id_wrapperIjLb0EEEEE10hipError_tT1_PNSt15iterator_traitsISI_E10value_typeET2_T3_PNSJ_ISO_E10value_typeET4_T5_PST_SU_PNS1_23onesweep_lookback_stateEbbT6_jjT7_P12ihipStream_tbENKUlT_T0_SI_SN_E_clISD_PtSD_S15_EEDaS11_S12_SI_SN_EUlS11_E_NS1_11comp_targetILNS1_3genE2ELNS1_11target_archE906ELNS1_3gpuE6ELNS1_3repE0EEENS1_47radix_sort_onesweep_sort_config_static_selectorELNS0_4arch9wavefront6targetE1EEEvSI_, .Lfunc_end1013-_ZN7rocprim17ROCPRIM_400000_NS6detail17trampoline_kernelINS0_14default_configENS1_35radix_sort_onesweep_config_selectorIttEEZZNS1_29radix_sort_onesweep_iterationIS3_Lb0EN6thrust23THRUST_200600_302600_NS6detail15normal_iteratorINS8_10device_ptrItEEEESD_SD_SD_jNS0_19identity_decomposerENS1_16block_id_wrapperIjLb0EEEEE10hipError_tT1_PNSt15iterator_traitsISI_E10value_typeET2_T3_PNSJ_ISO_E10value_typeET4_T5_PST_SU_PNS1_23onesweep_lookback_stateEbbT6_jjT7_P12ihipStream_tbENKUlT_T0_SI_SN_E_clISD_PtSD_S15_EEDaS11_S12_SI_SN_EUlS11_E_NS1_11comp_targetILNS1_3genE2ELNS1_11target_archE906ELNS1_3gpuE6ELNS1_3repE0EEENS1_47radix_sort_onesweep_sort_config_static_selectorELNS0_4arch9wavefront6targetE1EEEvSI_
                                        ; -- End function
	.set _ZN7rocprim17ROCPRIM_400000_NS6detail17trampoline_kernelINS0_14default_configENS1_35radix_sort_onesweep_config_selectorIttEEZZNS1_29radix_sort_onesweep_iterationIS3_Lb0EN6thrust23THRUST_200600_302600_NS6detail15normal_iteratorINS8_10device_ptrItEEEESD_SD_SD_jNS0_19identity_decomposerENS1_16block_id_wrapperIjLb0EEEEE10hipError_tT1_PNSt15iterator_traitsISI_E10value_typeET2_T3_PNSJ_ISO_E10value_typeET4_T5_PST_SU_PNS1_23onesweep_lookback_stateEbbT6_jjT7_P12ihipStream_tbENKUlT_T0_SI_SN_E_clISD_PtSD_S15_EEDaS11_S12_SI_SN_EUlS11_E_NS1_11comp_targetILNS1_3genE2ELNS1_11target_archE906ELNS1_3gpuE6ELNS1_3repE0EEENS1_47radix_sort_onesweep_sort_config_static_selectorELNS0_4arch9wavefront6targetE1EEEvSI_.num_vgpr, 0
	.set _ZN7rocprim17ROCPRIM_400000_NS6detail17trampoline_kernelINS0_14default_configENS1_35radix_sort_onesweep_config_selectorIttEEZZNS1_29radix_sort_onesweep_iterationIS3_Lb0EN6thrust23THRUST_200600_302600_NS6detail15normal_iteratorINS8_10device_ptrItEEEESD_SD_SD_jNS0_19identity_decomposerENS1_16block_id_wrapperIjLb0EEEEE10hipError_tT1_PNSt15iterator_traitsISI_E10value_typeET2_T3_PNSJ_ISO_E10value_typeET4_T5_PST_SU_PNS1_23onesweep_lookback_stateEbbT6_jjT7_P12ihipStream_tbENKUlT_T0_SI_SN_E_clISD_PtSD_S15_EEDaS11_S12_SI_SN_EUlS11_E_NS1_11comp_targetILNS1_3genE2ELNS1_11target_archE906ELNS1_3gpuE6ELNS1_3repE0EEENS1_47radix_sort_onesweep_sort_config_static_selectorELNS0_4arch9wavefront6targetE1EEEvSI_.num_agpr, 0
	.set _ZN7rocprim17ROCPRIM_400000_NS6detail17trampoline_kernelINS0_14default_configENS1_35radix_sort_onesweep_config_selectorIttEEZZNS1_29radix_sort_onesweep_iterationIS3_Lb0EN6thrust23THRUST_200600_302600_NS6detail15normal_iteratorINS8_10device_ptrItEEEESD_SD_SD_jNS0_19identity_decomposerENS1_16block_id_wrapperIjLb0EEEEE10hipError_tT1_PNSt15iterator_traitsISI_E10value_typeET2_T3_PNSJ_ISO_E10value_typeET4_T5_PST_SU_PNS1_23onesweep_lookback_stateEbbT6_jjT7_P12ihipStream_tbENKUlT_T0_SI_SN_E_clISD_PtSD_S15_EEDaS11_S12_SI_SN_EUlS11_E_NS1_11comp_targetILNS1_3genE2ELNS1_11target_archE906ELNS1_3gpuE6ELNS1_3repE0EEENS1_47radix_sort_onesweep_sort_config_static_selectorELNS0_4arch9wavefront6targetE1EEEvSI_.numbered_sgpr, 0
	.set _ZN7rocprim17ROCPRIM_400000_NS6detail17trampoline_kernelINS0_14default_configENS1_35radix_sort_onesweep_config_selectorIttEEZZNS1_29radix_sort_onesweep_iterationIS3_Lb0EN6thrust23THRUST_200600_302600_NS6detail15normal_iteratorINS8_10device_ptrItEEEESD_SD_SD_jNS0_19identity_decomposerENS1_16block_id_wrapperIjLb0EEEEE10hipError_tT1_PNSt15iterator_traitsISI_E10value_typeET2_T3_PNSJ_ISO_E10value_typeET4_T5_PST_SU_PNS1_23onesweep_lookback_stateEbbT6_jjT7_P12ihipStream_tbENKUlT_T0_SI_SN_E_clISD_PtSD_S15_EEDaS11_S12_SI_SN_EUlS11_E_NS1_11comp_targetILNS1_3genE2ELNS1_11target_archE906ELNS1_3gpuE6ELNS1_3repE0EEENS1_47radix_sort_onesweep_sort_config_static_selectorELNS0_4arch9wavefront6targetE1EEEvSI_.num_named_barrier, 0
	.set _ZN7rocprim17ROCPRIM_400000_NS6detail17trampoline_kernelINS0_14default_configENS1_35radix_sort_onesweep_config_selectorIttEEZZNS1_29radix_sort_onesweep_iterationIS3_Lb0EN6thrust23THRUST_200600_302600_NS6detail15normal_iteratorINS8_10device_ptrItEEEESD_SD_SD_jNS0_19identity_decomposerENS1_16block_id_wrapperIjLb0EEEEE10hipError_tT1_PNSt15iterator_traitsISI_E10value_typeET2_T3_PNSJ_ISO_E10value_typeET4_T5_PST_SU_PNS1_23onesweep_lookback_stateEbbT6_jjT7_P12ihipStream_tbENKUlT_T0_SI_SN_E_clISD_PtSD_S15_EEDaS11_S12_SI_SN_EUlS11_E_NS1_11comp_targetILNS1_3genE2ELNS1_11target_archE906ELNS1_3gpuE6ELNS1_3repE0EEENS1_47radix_sort_onesweep_sort_config_static_selectorELNS0_4arch9wavefront6targetE1EEEvSI_.private_seg_size, 0
	.set _ZN7rocprim17ROCPRIM_400000_NS6detail17trampoline_kernelINS0_14default_configENS1_35radix_sort_onesweep_config_selectorIttEEZZNS1_29radix_sort_onesweep_iterationIS3_Lb0EN6thrust23THRUST_200600_302600_NS6detail15normal_iteratorINS8_10device_ptrItEEEESD_SD_SD_jNS0_19identity_decomposerENS1_16block_id_wrapperIjLb0EEEEE10hipError_tT1_PNSt15iterator_traitsISI_E10value_typeET2_T3_PNSJ_ISO_E10value_typeET4_T5_PST_SU_PNS1_23onesweep_lookback_stateEbbT6_jjT7_P12ihipStream_tbENKUlT_T0_SI_SN_E_clISD_PtSD_S15_EEDaS11_S12_SI_SN_EUlS11_E_NS1_11comp_targetILNS1_3genE2ELNS1_11target_archE906ELNS1_3gpuE6ELNS1_3repE0EEENS1_47radix_sort_onesweep_sort_config_static_selectorELNS0_4arch9wavefront6targetE1EEEvSI_.uses_vcc, 0
	.set _ZN7rocprim17ROCPRIM_400000_NS6detail17trampoline_kernelINS0_14default_configENS1_35radix_sort_onesweep_config_selectorIttEEZZNS1_29radix_sort_onesweep_iterationIS3_Lb0EN6thrust23THRUST_200600_302600_NS6detail15normal_iteratorINS8_10device_ptrItEEEESD_SD_SD_jNS0_19identity_decomposerENS1_16block_id_wrapperIjLb0EEEEE10hipError_tT1_PNSt15iterator_traitsISI_E10value_typeET2_T3_PNSJ_ISO_E10value_typeET4_T5_PST_SU_PNS1_23onesweep_lookback_stateEbbT6_jjT7_P12ihipStream_tbENKUlT_T0_SI_SN_E_clISD_PtSD_S15_EEDaS11_S12_SI_SN_EUlS11_E_NS1_11comp_targetILNS1_3genE2ELNS1_11target_archE906ELNS1_3gpuE6ELNS1_3repE0EEENS1_47radix_sort_onesweep_sort_config_static_selectorELNS0_4arch9wavefront6targetE1EEEvSI_.uses_flat_scratch, 0
	.set _ZN7rocprim17ROCPRIM_400000_NS6detail17trampoline_kernelINS0_14default_configENS1_35radix_sort_onesweep_config_selectorIttEEZZNS1_29radix_sort_onesweep_iterationIS3_Lb0EN6thrust23THRUST_200600_302600_NS6detail15normal_iteratorINS8_10device_ptrItEEEESD_SD_SD_jNS0_19identity_decomposerENS1_16block_id_wrapperIjLb0EEEEE10hipError_tT1_PNSt15iterator_traitsISI_E10value_typeET2_T3_PNSJ_ISO_E10value_typeET4_T5_PST_SU_PNS1_23onesweep_lookback_stateEbbT6_jjT7_P12ihipStream_tbENKUlT_T0_SI_SN_E_clISD_PtSD_S15_EEDaS11_S12_SI_SN_EUlS11_E_NS1_11comp_targetILNS1_3genE2ELNS1_11target_archE906ELNS1_3gpuE6ELNS1_3repE0EEENS1_47radix_sort_onesweep_sort_config_static_selectorELNS0_4arch9wavefront6targetE1EEEvSI_.has_dyn_sized_stack, 0
	.set _ZN7rocprim17ROCPRIM_400000_NS6detail17trampoline_kernelINS0_14default_configENS1_35radix_sort_onesweep_config_selectorIttEEZZNS1_29radix_sort_onesweep_iterationIS3_Lb0EN6thrust23THRUST_200600_302600_NS6detail15normal_iteratorINS8_10device_ptrItEEEESD_SD_SD_jNS0_19identity_decomposerENS1_16block_id_wrapperIjLb0EEEEE10hipError_tT1_PNSt15iterator_traitsISI_E10value_typeET2_T3_PNSJ_ISO_E10value_typeET4_T5_PST_SU_PNS1_23onesweep_lookback_stateEbbT6_jjT7_P12ihipStream_tbENKUlT_T0_SI_SN_E_clISD_PtSD_S15_EEDaS11_S12_SI_SN_EUlS11_E_NS1_11comp_targetILNS1_3genE2ELNS1_11target_archE906ELNS1_3gpuE6ELNS1_3repE0EEENS1_47radix_sort_onesweep_sort_config_static_selectorELNS0_4arch9wavefront6targetE1EEEvSI_.has_recursion, 0
	.set _ZN7rocprim17ROCPRIM_400000_NS6detail17trampoline_kernelINS0_14default_configENS1_35radix_sort_onesweep_config_selectorIttEEZZNS1_29radix_sort_onesweep_iterationIS3_Lb0EN6thrust23THRUST_200600_302600_NS6detail15normal_iteratorINS8_10device_ptrItEEEESD_SD_SD_jNS0_19identity_decomposerENS1_16block_id_wrapperIjLb0EEEEE10hipError_tT1_PNSt15iterator_traitsISI_E10value_typeET2_T3_PNSJ_ISO_E10value_typeET4_T5_PST_SU_PNS1_23onesweep_lookback_stateEbbT6_jjT7_P12ihipStream_tbENKUlT_T0_SI_SN_E_clISD_PtSD_S15_EEDaS11_S12_SI_SN_EUlS11_E_NS1_11comp_targetILNS1_3genE2ELNS1_11target_archE906ELNS1_3gpuE6ELNS1_3repE0EEENS1_47radix_sort_onesweep_sort_config_static_selectorELNS0_4arch9wavefront6targetE1EEEvSI_.has_indirect_call, 0
	.section	.AMDGPU.csdata,"",@progbits
; Kernel info:
; codeLenInByte = 0
; TotalNumSgprs: 6
; NumVgprs: 0
; NumAgprs: 0
; TotalNumVgprs: 0
; ScratchSize: 0
; MemoryBound: 0
; FloatMode: 240
; IeeeMode: 1
; LDSByteSize: 0 bytes/workgroup (compile time only)
; SGPRBlocks: 0
; VGPRBlocks: 0
; NumSGPRsForWavesPerEU: 6
; NumVGPRsForWavesPerEU: 1
; AccumOffset: 4
; Occupancy: 8
; WaveLimiterHint : 0
; COMPUTE_PGM_RSRC2:SCRATCH_EN: 0
; COMPUTE_PGM_RSRC2:USER_SGPR: 2
; COMPUTE_PGM_RSRC2:TRAP_HANDLER: 0
; COMPUTE_PGM_RSRC2:TGID_X_EN: 1
; COMPUTE_PGM_RSRC2:TGID_Y_EN: 0
; COMPUTE_PGM_RSRC2:TGID_Z_EN: 0
; COMPUTE_PGM_RSRC2:TIDIG_COMP_CNT: 0
; COMPUTE_PGM_RSRC3_GFX90A:ACCUM_OFFSET: 0
; COMPUTE_PGM_RSRC3_GFX90A:TG_SPLIT: 0
	.section	.text._ZN7rocprim17ROCPRIM_400000_NS6detail17trampoline_kernelINS0_14default_configENS1_35radix_sort_onesweep_config_selectorIttEEZZNS1_29radix_sort_onesweep_iterationIS3_Lb0EN6thrust23THRUST_200600_302600_NS6detail15normal_iteratorINS8_10device_ptrItEEEESD_SD_SD_jNS0_19identity_decomposerENS1_16block_id_wrapperIjLb0EEEEE10hipError_tT1_PNSt15iterator_traitsISI_E10value_typeET2_T3_PNSJ_ISO_E10value_typeET4_T5_PST_SU_PNS1_23onesweep_lookback_stateEbbT6_jjT7_P12ihipStream_tbENKUlT_T0_SI_SN_E_clISD_PtSD_S15_EEDaS11_S12_SI_SN_EUlS11_E_NS1_11comp_targetILNS1_3genE4ELNS1_11target_archE910ELNS1_3gpuE8ELNS1_3repE0EEENS1_47radix_sort_onesweep_sort_config_static_selectorELNS0_4arch9wavefront6targetE1EEEvSI_,"axG",@progbits,_ZN7rocprim17ROCPRIM_400000_NS6detail17trampoline_kernelINS0_14default_configENS1_35radix_sort_onesweep_config_selectorIttEEZZNS1_29radix_sort_onesweep_iterationIS3_Lb0EN6thrust23THRUST_200600_302600_NS6detail15normal_iteratorINS8_10device_ptrItEEEESD_SD_SD_jNS0_19identity_decomposerENS1_16block_id_wrapperIjLb0EEEEE10hipError_tT1_PNSt15iterator_traitsISI_E10value_typeET2_T3_PNSJ_ISO_E10value_typeET4_T5_PST_SU_PNS1_23onesweep_lookback_stateEbbT6_jjT7_P12ihipStream_tbENKUlT_T0_SI_SN_E_clISD_PtSD_S15_EEDaS11_S12_SI_SN_EUlS11_E_NS1_11comp_targetILNS1_3genE4ELNS1_11target_archE910ELNS1_3gpuE8ELNS1_3repE0EEENS1_47radix_sort_onesweep_sort_config_static_selectorELNS0_4arch9wavefront6targetE1EEEvSI_,comdat
	.protected	_ZN7rocprim17ROCPRIM_400000_NS6detail17trampoline_kernelINS0_14default_configENS1_35radix_sort_onesweep_config_selectorIttEEZZNS1_29radix_sort_onesweep_iterationIS3_Lb0EN6thrust23THRUST_200600_302600_NS6detail15normal_iteratorINS8_10device_ptrItEEEESD_SD_SD_jNS0_19identity_decomposerENS1_16block_id_wrapperIjLb0EEEEE10hipError_tT1_PNSt15iterator_traitsISI_E10value_typeET2_T3_PNSJ_ISO_E10value_typeET4_T5_PST_SU_PNS1_23onesweep_lookback_stateEbbT6_jjT7_P12ihipStream_tbENKUlT_T0_SI_SN_E_clISD_PtSD_S15_EEDaS11_S12_SI_SN_EUlS11_E_NS1_11comp_targetILNS1_3genE4ELNS1_11target_archE910ELNS1_3gpuE8ELNS1_3repE0EEENS1_47radix_sort_onesweep_sort_config_static_selectorELNS0_4arch9wavefront6targetE1EEEvSI_ ; -- Begin function _ZN7rocprim17ROCPRIM_400000_NS6detail17trampoline_kernelINS0_14default_configENS1_35radix_sort_onesweep_config_selectorIttEEZZNS1_29radix_sort_onesweep_iterationIS3_Lb0EN6thrust23THRUST_200600_302600_NS6detail15normal_iteratorINS8_10device_ptrItEEEESD_SD_SD_jNS0_19identity_decomposerENS1_16block_id_wrapperIjLb0EEEEE10hipError_tT1_PNSt15iterator_traitsISI_E10value_typeET2_T3_PNSJ_ISO_E10value_typeET4_T5_PST_SU_PNS1_23onesweep_lookback_stateEbbT6_jjT7_P12ihipStream_tbENKUlT_T0_SI_SN_E_clISD_PtSD_S15_EEDaS11_S12_SI_SN_EUlS11_E_NS1_11comp_targetILNS1_3genE4ELNS1_11target_archE910ELNS1_3gpuE8ELNS1_3repE0EEENS1_47radix_sort_onesweep_sort_config_static_selectorELNS0_4arch9wavefront6targetE1EEEvSI_
	.globl	_ZN7rocprim17ROCPRIM_400000_NS6detail17trampoline_kernelINS0_14default_configENS1_35radix_sort_onesweep_config_selectorIttEEZZNS1_29radix_sort_onesweep_iterationIS3_Lb0EN6thrust23THRUST_200600_302600_NS6detail15normal_iteratorINS8_10device_ptrItEEEESD_SD_SD_jNS0_19identity_decomposerENS1_16block_id_wrapperIjLb0EEEEE10hipError_tT1_PNSt15iterator_traitsISI_E10value_typeET2_T3_PNSJ_ISO_E10value_typeET4_T5_PST_SU_PNS1_23onesweep_lookback_stateEbbT6_jjT7_P12ihipStream_tbENKUlT_T0_SI_SN_E_clISD_PtSD_S15_EEDaS11_S12_SI_SN_EUlS11_E_NS1_11comp_targetILNS1_3genE4ELNS1_11target_archE910ELNS1_3gpuE8ELNS1_3repE0EEENS1_47radix_sort_onesweep_sort_config_static_selectorELNS0_4arch9wavefront6targetE1EEEvSI_
	.p2align	8
	.type	_ZN7rocprim17ROCPRIM_400000_NS6detail17trampoline_kernelINS0_14default_configENS1_35radix_sort_onesweep_config_selectorIttEEZZNS1_29radix_sort_onesweep_iterationIS3_Lb0EN6thrust23THRUST_200600_302600_NS6detail15normal_iteratorINS8_10device_ptrItEEEESD_SD_SD_jNS0_19identity_decomposerENS1_16block_id_wrapperIjLb0EEEEE10hipError_tT1_PNSt15iterator_traitsISI_E10value_typeET2_T3_PNSJ_ISO_E10value_typeET4_T5_PST_SU_PNS1_23onesweep_lookback_stateEbbT6_jjT7_P12ihipStream_tbENKUlT_T0_SI_SN_E_clISD_PtSD_S15_EEDaS11_S12_SI_SN_EUlS11_E_NS1_11comp_targetILNS1_3genE4ELNS1_11target_archE910ELNS1_3gpuE8ELNS1_3repE0EEENS1_47radix_sort_onesweep_sort_config_static_selectorELNS0_4arch9wavefront6targetE1EEEvSI_,@function
_ZN7rocprim17ROCPRIM_400000_NS6detail17trampoline_kernelINS0_14default_configENS1_35radix_sort_onesweep_config_selectorIttEEZZNS1_29radix_sort_onesweep_iterationIS3_Lb0EN6thrust23THRUST_200600_302600_NS6detail15normal_iteratorINS8_10device_ptrItEEEESD_SD_SD_jNS0_19identity_decomposerENS1_16block_id_wrapperIjLb0EEEEE10hipError_tT1_PNSt15iterator_traitsISI_E10value_typeET2_T3_PNSJ_ISO_E10value_typeET4_T5_PST_SU_PNS1_23onesweep_lookback_stateEbbT6_jjT7_P12ihipStream_tbENKUlT_T0_SI_SN_E_clISD_PtSD_S15_EEDaS11_S12_SI_SN_EUlS11_E_NS1_11comp_targetILNS1_3genE4ELNS1_11target_archE910ELNS1_3gpuE8ELNS1_3repE0EEENS1_47radix_sort_onesweep_sort_config_static_selectorELNS0_4arch9wavefront6targetE1EEEvSI_: ; @_ZN7rocprim17ROCPRIM_400000_NS6detail17trampoline_kernelINS0_14default_configENS1_35radix_sort_onesweep_config_selectorIttEEZZNS1_29radix_sort_onesweep_iterationIS3_Lb0EN6thrust23THRUST_200600_302600_NS6detail15normal_iteratorINS8_10device_ptrItEEEESD_SD_SD_jNS0_19identity_decomposerENS1_16block_id_wrapperIjLb0EEEEE10hipError_tT1_PNSt15iterator_traitsISI_E10value_typeET2_T3_PNSJ_ISO_E10value_typeET4_T5_PST_SU_PNS1_23onesweep_lookback_stateEbbT6_jjT7_P12ihipStream_tbENKUlT_T0_SI_SN_E_clISD_PtSD_S15_EEDaS11_S12_SI_SN_EUlS11_E_NS1_11comp_targetILNS1_3genE4ELNS1_11target_archE910ELNS1_3gpuE8ELNS1_3repE0EEENS1_47radix_sort_onesweep_sort_config_static_selectorELNS0_4arch9wavefront6targetE1EEEvSI_
; %bb.0:
	.section	.rodata,"a",@progbits
	.p2align	6, 0x0
	.amdhsa_kernel _ZN7rocprim17ROCPRIM_400000_NS6detail17trampoline_kernelINS0_14default_configENS1_35radix_sort_onesweep_config_selectorIttEEZZNS1_29radix_sort_onesweep_iterationIS3_Lb0EN6thrust23THRUST_200600_302600_NS6detail15normal_iteratorINS8_10device_ptrItEEEESD_SD_SD_jNS0_19identity_decomposerENS1_16block_id_wrapperIjLb0EEEEE10hipError_tT1_PNSt15iterator_traitsISI_E10value_typeET2_T3_PNSJ_ISO_E10value_typeET4_T5_PST_SU_PNS1_23onesweep_lookback_stateEbbT6_jjT7_P12ihipStream_tbENKUlT_T0_SI_SN_E_clISD_PtSD_S15_EEDaS11_S12_SI_SN_EUlS11_E_NS1_11comp_targetILNS1_3genE4ELNS1_11target_archE910ELNS1_3gpuE8ELNS1_3repE0EEENS1_47radix_sort_onesweep_sort_config_static_selectorELNS0_4arch9wavefront6targetE1EEEvSI_
		.amdhsa_group_segment_fixed_size 0
		.amdhsa_private_segment_fixed_size 0
		.amdhsa_kernarg_size 88
		.amdhsa_user_sgpr_count 2
		.amdhsa_user_sgpr_dispatch_ptr 0
		.amdhsa_user_sgpr_queue_ptr 0
		.amdhsa_user_sgpr_kernarg_segment_ptr 1
		.amdhsa_user_sgpr_dispatch_id 0
		.amdhsa_user_sgpr_kernarg_preload_length 0
		.amdhsa_user_sgpr_kernarg_preload_offset 0
		.amdhsa_user_sgpr_private_segment_size 0
		.amdhsa_uses_dynamic_stack 0
		.amdhsa_enable_private_segment 0
		.amdhsa_system_sgpr_workgroup_id_x 1
		.amdhsa_system_sgpr_workgroup_id_y 0
		.amdhsa_system_sgpr_workgroup_id_z 0
		.amdhsa_system_sgpr_workgroup_info 0
		.amdhsa_system_vgpr_workitem_id 0
		.amdhsa_next_free_vgpr 1
		.amdhsa_next_free_sgpr 0
		.amdhsa_accum_offset 4
		.amdhsa_reserve_vcc 0
		.amdhsa_float_round_mode_32 0
		.amdhsa_float_round_mode_16_64 0
		.amdhsa_float_denorm_mode_32 3
		.amdhsa_float_denorm_mode_16_64 3
		.amdhsa_dx10_clamp 1
		.amdhsa_ieee_mode 1
		.amdhsa_fp16_overflow 0
		.amdhsa_tg_split 0
		.amdhsa_exception_fp_ieee_invalid_op 0
		.amdhsa_exception_fp_denorm_src 0
		.amdhsa_exception_fp_ieee_div_zero 0
		.amdhsa_exception_fp_ieee_overflow 0
		.amdhsa_exception_fp_ieee_underflow 0
		.amdhsa_exception_fp_ieee_inexact 0
		.amdhsa_exception_int_div_zero 0
	.end_amdhsa_kernel
	.section	.text._ZN7rocprim17ROCPRIM_400000_NS6detail17trampoline_kernelINS0_14default_configENS1_35radix_sort_onesweep_config_selectorIttEEZZNS1_29radix_sort_onesweep_iterationIS3_Lb0EN6thrust23THRUST_200600_302600_NS6detail15normal_iteratorINS8_10device_ptrItEEEESD_SD_SD_jNS0_19identity_decomposerENS1_16block_id_wrapperIjLb0EEEEE10hipError_tT1_PNSt15iterator_traitsISI_E10value_typeET2_T3_PNSJ_ISO_E10value_typeET4_T5_PST_SU_PNS1_23onesweep_lookback_stateEbbT6_jjT7_P12ihipStream_tbENKUlT_T0_SI_SN_E_clISD_PtSD_S15_EEDaS11_S12_SI_SN_EUlS11_E_NS1_11comp_targetILNS1_3genE4ELNS1_11target_archE910ELNS1_3gpuE8ELNS1_3repE0EEENS1_47radix_sort_onesweep_sort_config_static_selectorELNS0_4arch9wavefront6targetE1EEEvSI_,"axG",@progbits,_ZN7rocprim17ROCPRIM_400000_NS6detail17trampoline_kernelINS0_14default_configENS1_35radix_sort_onesweep_config_selectorIttEEZZNS1_29radix_sort_onesweep_iterationIS3_Lb0EN6thrust23THRUST_200600_302600_NS6detail15normal_iteratorINS8_10device_ptrItEEEESD_SD_SD_jNS0_19identity_decomposerENS1_16block_id_wrapperIjLb0EEEEE10hipError_tT1_PNSt15iterator_traitsISI_E10value_typeET2_T3_PNSJ_ISO_E10value_typeET4_T5_PST_SU_PNS1_23onesweep_lookback_stateEbbT6_jjT7_P12ihipStream_tbENKUlT_T0_SI_SN_E_clISD_PtSD_S15_EEDaS11_S12_SI_SN_EUlS11_E_NS1_11comp_targetILNS1_3genE4ELNS1_11target_archE910ELNS1_3gpuE8ELNS1_3repE0EEENS1_47radix_sort_onesweep_sort_config_static_selectorELNS0_4arch9wavefront6targetE1EEEvSI_,comdat
.Lfunc_end1014:
	.size	_ZN7rocprim17ROCPRIM_400000_NS6detail17trampoline_kernelINS0_14default_configENS1_35radix_sort_onesweep_config_selectorIttEEZZNS1_29radix_sort_onesweep_iterationIS3_Lb0EN6thrust23THRUST_200600_302600_NS6detail15normal_iteratorINS8_10device_ptrItEEEESD_SD_SD_jNS0_19identity_decomposerENS1_16block_id_wrapperIjLb0EEEEE10hipError_tT1_PNSt15iterator_traitsISI_E10value_typeET2_T3_PNSJ_ISO_E10value_typeET4_T5_PST_SU_PNS1_23onesweep_lookback_stateEbbT6_jjT7_P12ihipStream_tbENKUlT_T0_SI_SN_E_clISD_PtSD_S15_EEDaS11_S12_SI_SN_EUlS11_E_NS1_11comp_targetILNS1_3genE4ELNS1_11target_archE910ELNS1_3gpuE8ELNS1_3repE0EEENS1_47radix_sort_onesweep_sort_config_static_selectorELNS0_4arch9wavefront6targetE1EEEvSI_, .Lfunc_end1014-_ZN7rocprim17ROCPRIM_400000_NS6detail17trampoline_kernelINS0_14default_configENS1_35radix_sort_onesweep_config_selectorIttEEZZNS1_29radix_sort_onesweep_iterationIS3_Lb0EN6thrust23THRUST_200600_302600_NS6detail15normal_iteratorINS8_10device_ptrItEEEESD_SD_SD_jNS0_19identity_decomposerENS1_16block_id_wrapperIjLb0EEEEE10hipError_tT1_PNSt15iterator_traitsISI_E10value_typeET2_T3_PNSJ_ISO_E10value_typeET4_T5_PST_SU_PNS1_23onesweep_lookback_stateEbbT6_jjT7_P12ihipStream_tbENKUlT_T0_SI_SN_E_clISD_PtSD_S15_EEDaS11_S12_SI_SN_EUlS11_E_NS1_11comp_targetILNS1_3genE4ELNS1_11target_archE910ELNS1_3gpuE8ELNS1_3repE0EEENS1_47radix_sort_onesweep_sort_config_static_selectorELNS0_4arch9wavefront6targetE1EEEvSI_
                                        ; -- End function
	.set _ZN7rocprim17ROCPRIM_400000_NS6detail17trampoline_kernelINS0_14default_configENS1_35radix_sort_onesweep_config_selectorIttEEZZNS1_29radix_sort_onesweep_iterationIS3_Lb0EN6thrust23THRUST_200600_302600_NS6detail15normal_iteratorINS8_10device_ptrItEEEESD_SD_SD_jNS0_19identity_decomposerENS1_16block_id_wrapperIjLb0EEEEE10hipError_tT1_PNSt15iterator_traitsISI_E10value_typeET2_T3_PNSJ_ISO_E10value_typeET4_T5_PST_SU_PNS1_23onesweep_lookback_stateEbbT6_jjT7_P12ihipStream_tbENKUlT_T0_SI_SN_E_clISD_PtSD_S15_EEDaS11_S12_SI_SN_EUlS11_E_NS1_11comp_targetILNS1_3genE4ELNS1_11target_archE910ELNS1_3gpuE8ELNS1_3repE0EEENS1_47radix_sort_onesweep_sort_config_static_selectorELNS0_4arch9wavefront6targetE1EEEvSI_.num_vgpr, 0
	.set _ZN7rocprim17ROCPRIM_400000_NS6detail17trampoline_kernelINS0_14default_configENS1_35radix_sort_onesweep_config_selectorIttEEZZNS1_29radix_sort_onesweep_iterationIS3_Lb0EN6thrust23THRUST_200600_302600_NS6detail15normal_iteratorINS8_10device_ptrItEEEESD_SD_SD_jNS0_19identity_decomposerENS1_16block_id_wrapperIjLb0EEEEE10hipError_tT1_PNSt15iterator_traitsISI_E10value_typeET2_T3_PNSJ_ISO_E10value_typeET4_T5_PST_SU_PNS1_23onesweep_lookback_stateEbbT6_jjT7_P12ihipStream_tbENKUlT_T0_SI_SN_E_clISD_PtSD_S15_EEDaS11_S12_SI_SN_EUlS11_E_NS1_11comp_targetILNS1_3genE4ELNS1_11target_archE910ELNS1_3gpuE8ELNS1_3repE0EEENS1_47radix_sort_onesweep_sort_config_static_selectorELNS0_4arch9wavefront6targetE1EEEvSI_.num_agpr, 0
	.set _ZN7rocprim17ROCPRIM_400000_NS6detail17trampoline_kernelINS0_14default_configENS1_35radix_sort_onesweep_config_selectorIttEEZZNS1_29radix_sort_onesweep_iterationIS3_Lb0EN6thrust23THRUST_200600_302600_NS6detail15normal_iteratorINS8_10device_ptrItEEEESD_SD_SD_jNS0_19identity_decomposerENS1_16block_id_wrapperIjLb0EEEEE10hipError_tT1_PNSt15iterator_traitsISI_E10value_typeET2_T3_PNSJ_ISO_E10value_typeET4_T5_PST_SU_PNS1_23onesweep_lookback_stateEbbT6_jjT7_P12ihipStream_tbENKUlT_T0_SI_SN_E_clISD_PtSD_S15_EEDaS11_S12_SI_SN_EUlS11_E_NS1_11comp_targetILNS1_3genE4ELNS1_11target_archE910ELNS1_3gpuE8ELNS1_3repE0EEENS1_47radix_sort_onesweep_sort_config_static_selectorELNS0_4arch9wavefront6targetE1EEEvSI_.numbered_sgpr, 0
	.set _ZN7rocprim17ROCPRIM_400000_NS6detail17trampoline_kernelINS0_14default_configENS1_35radix_sort_onesweep_config_selectorIttEEZZNS1_29radix_sort_onesweep_iterationIS3_Lb0EN6thrust23THRUST_200600_302600_NS6detail15normal_iteratorINS8_10device_ptrItEEEESD_SD_SD_jNS0_19identity_decomposerENS1_16block_id_wrapperIjLb0EEEEE10hipError_tT1_PNSt15iterator_traitsISI_E10value_typeET2_T3_PNSJ_ISO_E10value_typeET4_T5_PST_SU_PNS1_23onesweep_lookback_stateEbbT6_jjT7_P12ihipStream_tbENKUlT_T0_SI_SN_E_clISD_PtSD_S15_EEDaS11_S12_SI_SN_EUlS11_E_NS1_11comp_targetILNS1_3genE4ELNS1_11target_archE910ELNS1_3gpuE8ELNS1_3repE0EEENS1_47radix_sort_onesweep_sort_config_static_selectorELNS0_4arch9wavefront6targetE1EEEvSI_.num_named_barrier, 0
	.set _ZN7rocprim17ROCPRIM_400000_NS6detail17trampoline_kernelINS0_14default_configENS1_35radix_sort_onesweep_config_selectorIttEEZZNS1_29radix_sort_onesweep_iterationIS3_Lb0EN6thrust23THRUST_200600_302600_NS6detail15normal_iteratorINS8_10device_ptrItEEEESD_SD_SD_jNS0_19identity_decomposerENS1_16block_id_wrapperIjLb0EEEEE10hipError_tT1_PNSt15iterator_traitsISI_E10value_typeET2_T3_PNSJ_ISO_E10value_typeET4_T5_PST_SU_PNS1_23onesweep_lookback_stateEbbT6_jjT7_P12ihipStream_tbENKUlT_T0_SI_SN_E_clISD_PtSD_S15_EEDaS11_S12_SI_SN_EUlS11_E_NS1_11comp_targetILNS1_3genE4ELNS1_11target_archE910ELNS1_3gpuE8ELNS1_3repE0EEENS1_47radix_sort_onesweep_sort_config_static_selectorELNS0_4arch9wavefront6targetE1EEEvSI_.private_seg_size, 0
	.set _ZN7rocprim17ROCPRIM_400000_NS6detail17trampoline_kernelINS0_14default_configENS1_35radix_sort_onesweep_config_selectorIttEEZZNS1_29radix_sort_onesweep_iterationIS3_Lb0EN6thrust23THRUST_200600_302600_NS6detail15normal_iteratorINS8_10device_ptrItEEEESD_SD_SD_jNS0_19identity_decomposerENS1_16block_id_wrapperIjLb0EEEEE10hipError_tT1_PNSt15iterator_traitsISI_E10value_typeET2_T3_PNSJ_ISO_E10value_typeET4_T5_PST_SU_PNS1_23onesweep_lookback_stateEbbT6_jjT7_P12ihipStream_tbENKUlT_T0_SI_SN_E_clISD_PtSD_S15_EEDaS11_S12_SI_SN_EUlS11_E_NS1_11comp_targetILNS1_3genE4ELNS1_11target_archE910ELNS1_3gpuE8ELNS1_3repE0EEENS1_47radix_sort_onesweep_sort_config_static_selectorELNS0_4arch9wavefront6targetE1EEEvSI_.uses_vcc, 0
	.set _ZN7rocprim17ROCPRIM_400000_NS6detail17trampoline_kernelINS0_14default_configENS1_35radix_sort_onesweep_config_selectorIttEEZZNS1_29radix_sort_onesweep_iterationIS3_Lb0EN6thrust23THRUST_200600_302600_NS6detail15normal_iteratorINS8_10device_ptrItEEEESD_SD_SD_jNS0_19identity_decomposerENS1_16block_id_wrapperIjLb0EEEEE10hipError_tT1_PNSt15iterator_traitsISI_E10value_typeET2_T3_PNSJ_ISO_E10value_typeET4_T5_PST_SU_PNS1_23onesweep_lookback_stateEbbT6_jjT7_P12ihipStream_tbENKUlT_T0_SI_SN_E_clISD_PtSD_S15_EEDaS11_S12_SI_SN_EUlS11_E_NS1_11comp_targetILNS1_3genE4ELNS1_11target_archE910ELNS1_3gpuE8ELNS1_3repE0EEENS1_47radix_sort_onesweep_sort_config_static_selectorELNS0_4arch9wavefront6targetE1EEEvSI_.uses_flat_scratch, 0
	.set _ZN7rocprim17ROCPRIM_400000_NS6detail17trampoline_kernelINS0_14default_configENS1_35radix_sort_onesweep_config_selectorIttEEZZNS1_29radix_sort_onesweep_iterationIS3_Lb0EN6thrust23THRUST_200600_302600_NS6detail15normal_iteratorINS8_10device_ptrItEEEESD_SD_SD_jNS0_19identity_decomposerENS1_16block_id_wrapperIjLb0EEEEE10hipError_tT1_PNSt15iterator_traitsISI_E10value_typeET2_T3_PNSJ_ISO_E10value_typeET4_T5_PST_SU_PNS1_23onesweep_lookback_stateEbbT6_jjT7_P12ihipStream_tbENKUlT_T0_SI_SN_E_clISD_PtSD_S15_EEDaS11_S12_SI_SN_EUlS11_E_NS1_11comp_targetILNS1_3genE4ELNS1_11target_archE910ELNS1_3gpuE8ELNS1_3repE0EEENS1_47radix_sort_onesweep_sort_config_static_selectorELNS0_4arch9wavefront6targetE1EEEvSI_.has_dyn_sized_stack, 0
	.set _ZN7rocprim17ROCPRIM_400000_NS6detail17trampoline_kernelINS0_14default_configENS1_35radix_sort_onesweep_config_selectorIttEEZZNS1_29radix_sort_onesweep_iterationIS3_Lb0EN6thrust23THRUST_200600_302600_NS6detail15normal_iteratorINS8_10device_ptrItEEEESD_SD_SD_jNS0_19identity_decomposerENS1_16block_id_wrapperIjLb0EEEEE10hipError_tT1_PNSt15iterator_traitsISI_E10value_typeET2_T3_PNSJ_ISO_E10value_typeET4_T5_PST_SU_PNS1_23onesweep_lookback_stateEbbT6_jjT7_P12ihipStream_tbENKUlT_T0_SI_SN_E_clISD_PtSD_S15_EEDaS11_S12_SI_SN_EUlS11_E_NS1_11comp_targetILNS1_3genE4ELNS1_11target_archE910ELNS1_3gpuE8ELNS1_3repE0EEENS1_47radix_sort_onesweep_sort_config_static_selectorELNS0_4arch9wavefront6targetE1EEEvSI_.has_recursion, 0
	.set _ZN7rocprim17ROCPRIM_400000_NS6detail17trampoline_kernelINS0_14default_configENS1_35radix_sort_onesweep_config_selectorIttEEZZNS1_29radix_sort_onesweep_iterationIS3_Lb0EN6thrust23THRUST_200600_302600_NS6detail15normal_iteratorINS8_10device_ptrItEEEESD_SD_SD_jNS0_19identity_decomposerENS1_16block_id_wrapperIjLb0EEEEE10hipError_tT1_PNSt15iterator_traitsISI_E10value_typeET2_T3_PNSJ_ISO_E10value_typeET4_T5_PST_SU_PNS1_23onesweep_lookback_stateEbbT6_jjT7_P12ihipStream_tbENKUlT_T0_SI_SN_E_clISD_PtSD_S15_EEDaS11_S12_SI_SN_EUlS11_E_NS1_11comp_targetILNS1_3genE4ELNS1_11target_archE910ELNS1_3gpuE8ELNS1_3repE0EEENS1_47radix_sort_onesweep_sort_config_static_selectorELNS0_4arch9wavefront6targetE1EEEvSI_.has_indirect_call, 0
	.section	.AMDGPU.csdata,"",@progbits
; Kernel info:
; codeLenInByte = 0
; TotalNumSgprs: 6
; NumVgprs: 0
; NumAgprs: 0
; TotalNumVgprs: 0
; ScratchSize: 0
; MemoryBound: 0
; FloatMode: 240
; IeeeMode: 1
; LDSByteSize: 0 bytes/workgroup (compile time only)
; SGPRBlocks: 0
; VGPRBlocks: 0
; NumSGPRsForWavesPerEU: 6
; NumVGPRsForWavesPerEU: 1
; AccumOffset: 4
; Occupancy: 8
; WaveLimiterHint : 0
; COMPUTE_PGM_RSRC2:SCRATCH_EN: 0
; COMPUTE_PGM_RSRC2:USER_SGPR: 2
; COMPUTE_PGM_RSRC2:TRAP_HANDLER: 0
; COMPUTE_PGM_RSRC2:TGID_X_EN: 1
; COMPUTE_PGM_RSRC2:TGID_Y_EN: 0
; COMPUTE_PGM_RSRC2:TGID_Z_EN: 0
; COMPUTE_PGM_RSRC2:TIDIG_COMP_CNT: 0
; COMPUTE_PGM_RSRC3_GFX90A:ACCUM_OFFSET: 0
; COMPUTE_PGM_RSRC3_GFX90A:TG_SPLIT: 0
	.section	.text._ZN7rocprim17ROCPRIM_400000_NS6detail17trampoline_kernelINS0_14default_configENS1_35radix_sort_onesweep_config_selectorIttEEZZNS1_29radix_sort_onesweep_iterationIS3_Lb0EN6thrust23THRUST_200600_302600_NS6detail15normal_iteratorINS8_10device_ptrItEEEESD_SD_SD_jNS0_19identity_decomposerENS1_16block_id_wrapperIjLb0EEEEE10hipError_tT1_PNSt15iterator_traitsISI_E10value_typeET2_T3_PNSJ_ISO_E10value_typeET4_T5_PST_SU_PNS1_23onesweep_lookback_stateEbbT6_jjT7_P12ihipStream_tbENKUlT_T0_SI_SN_E_clISD_PtSD_S15_EEDaS11_S12_SI_SN_EUlS11_E_NS1_11comp_targetILNS1_3genE3ELNS1_11target_archE908ELNS1_3gpuE7ELNS1_3repE0EEENS1_47radix_sort_onesweep_sort_config_static_selectorELNS0_4arch9wavefront6targetE1EEEvSI_,"axG",@progbits,_ZN7rocprim17ROCPRIM_400000_NS6detail17trampoline_kernelINS0_14default_configENS1_35radix_sort_onesweep_config_selectorIttEEZZNS1_29radix_sort_onesweep_iterationIS3_Lb0EN6thrust23THRUST_200600_302600_NS6detail15normal_iteratorINS8_10device_ptrItEEEESD_SD_SD_jNS0_19identity_decomposerENS1_16block_id_wrapperIjLb0EEEEE10hipError_tT1_PNSt15iterator_traitsISI_E10value_typeET2_T3_PNSJ_ISO_E10value_typeET4_T5_PST_SU_PNS1_23onesweep_lookback_stateEbbT6_jjT7_P12ihipStream_tbENKUlT_T0_SI_SN_E_clISD_PtSD_S15_EEDaS11_S12_SI_SN_EUlS11_E_NS1_11comp_targetILNS1_3genE3ELNS1_11target_archE908ELNS1_3gpuE7ELNS1_3repE0EEENS1_47radix_sort_onesweep_sort_config_static_selectorELNS0_4arch9wavefront6targetE1EEEvSI_,comdat
	.protected	_ZN7rocprim17ROCPRIM_400000_NS6detail17trampoline_kernelINS0_14default_configENS1_35radix_sort_onesweep_config_selectorIttEEZZNS1_29radix_sort_onesweep_iterationIS3_Lb0EN6thrust23THRUST_200600_302600_NS6detail15normal_iteratorINS8_10device_ptrItEEEESD_SD_SD_jNS0_19identity_decomposerENS1_16block_id_wrapperIjLb0EEEEE10hipError_tT1_PNSt15iterator_traitsISI_E10value_typeET2_T3_PNSJ_ISO_E10value_typeET4_T5_PST_SU_PNS1_23onesweep_lookback_stateEbbT6_jjT7_P12ihipStream_tbENKUlT_T0_SI_SN_E_clISD_PtSD_S15_EEDaS11_S12_SI_SN_EUlS11_E_NS1_11comp_targetILNS1_3genE3ELNS1_11target_archE908ELNS1_3gpuE7ELNS1_3repE0EEENS1_47radix_sort_onesweep_sort_config_static_selectorELNS0_4arch9wavefront6targetE1EEEvSI_ ; -- Begin function _ZN7rocprim17ROCPRIM_400000_NS6detail17trampoline_kernelINS0_14default_configENS1_35radix_sort_onesweep_config_selectorIttEEZZNS1_29radix_sort_onesweep_iterationIS3_Lb0EN6thrust23THRUST_200600_302600_NS6detail15normal_iteratorINS8_10device_ptrItEEEESD_SD_SD_jNS0_19identity_decomposerENS1_16block_id_wrapperIjLb0EEEEE10hipError_tT1_PNSt15iterator_traitsISI_E10value_typeET2_T3_PNSJ_ISO_E10value_typeET4_T5_PST_SU_PNS1_23onesweep_lookback_stateEbbT6_jjT7_P12ihipStream_tbENKUlT_T0_SI_SN_E_clISD_PtSD_S15_EEDaS11_S12_SI_SN_EUlS11_E_NS1_11comp_targetILNS1_3genE3ELNS1_11target_archE908ELNS1_3gpuE7ELNS1_3repE0EEENS1_47radix_sort_onesweep_sort_config_static_selectorELNS0_4arch9wavefront6targetE1EEEvSI_
	.globl	_ZN7rocprim17ROCPRIM_400000_NS6detail17trampoline_kernelINS0_14default_configENS1_35radix_sort_onesweep_config_selectorIttEEZZNS1_29radix_sort_onesweep_iterationIS3_Lb0EN6thrust23THRUST_200600_302600_NS6detail15normal_iteratorINS8_10device_ptrItEEEESD_SD_SD_jNS0_19identity_decomposerENS1_16block_id_wrapperIjLb0EEEEE10hipError_tT1_PNSt15iterator_traitsISI_E10value_typeET2_T3_PNSJ_ISO_E10value_typeET4_T5_PST_SU_PNS1_23onesweep_lookback_stateEbbT6_jjT7_P12ihipStream_tbENKUlT_T0_SI_SN_E_clISD_PtSD_S15_EEDaS11_S12_SI_SN_EUlS11_E_NS1_11comp_targetILNS1_3genE3ELNS1_11target_archE908ELNS1_3gpuE7ELNS1_3repE0EEENS1_47radix_sort_onesweep_sort_config_static_selectorELNS0_4arch9wavefront6targetE1EEEvSI_
	.p2align	8
	.type	_ZN7rocprim17ROCPRIM_400000_NS6detail17trampoline_kernelINS0_14default_configENS1_35radix_sort_onesweep_config_selectorIttEEZZNS1_29radix_sort_onesweep_iterationIS3_Lb0EN6thrust23THRUST_200600_302600_NS6detail15normal_iteratorINS8_10device_ptrItEEEESD_SD_SD_jNS0_19identity_decomposerENS1_16block_id_wrapperIjLb0EEEEE10hipError_tT1_PNSt15iterator_traitsISI_E10value_typeET2_T3_PNSJ_ISO_E10value_typeET4_T5_PST_SU_PNS1_23onesweep_lookback_stateEbbT6_jjT7_P12ihipStream_tbENKUlT_T0_SI_SN_E_clISD_PtSD_S15_EEDaS11_S12_SI_SN_EUlS11_E_NS1_11comp_targetILNS1_3genE3ELNS1_11target_archE908ELNS1_3gpuE7ELNS1_3repE0EEENS1_47radix_sort_onesweep_sort_config_static_selectorELNS0_4arch9wavefront6targetE1EEEvSI_,@function
_ZN7rocprim17ROCPRIM_400000_NS6detail17trampoline_kernelINS0_14default_configENS1_35radix_sort_onesweep_config_selectorIttEEZZNS1_29radix_sort_onesweep_iterationIS3_Lb0EN6thrust23THRUST_200600_302600_NS6detail15normal_iteratorINS8_10device_ptrItEEEESD_SD_SD_jNS0_19identity_decomposerENS1_16block_id_wrapperIjLb0EEEEE10hipError_tT1_PNSt15iterator_traitsISI_E10value_typeET2_T3_PNSJ_ISO_E10value_typeET4_T5_PST_SU_PNS1_23onesweep_lookback_stateEbbT6_jjT7_P12ihipStream_tbENKUlT_T0_SI_SN_E_clISD_PtSD_S15_EEDaS11_S12_SI_SN_EUlS11_E_NS1_11comp_targetILNS1_3genE3ELNS1_11target_archE908ELNS1_3gpuE7ELNS1_3repE0EEENS1_47radix_sort_onesweep_sort_config_static_selectorELNS0_4arch9wavefront6targetE1EEEvSI_: ; @_ZN7rocprim17ROCPRIM_400000_NS6detail17trampoline_kernelINS0_14default_configENS1_35radix_sort_onesweep_config_selectorIttEEZZNS1_29radix_sort_onesweep_iterationIS3_Lb0EN6thrust23THRUST_200600_302600_NS6detail15normal_iteratorINS8_10device_ptrItEEEESD_SD_SD_jNS0_19identity_decomposerENS1_16block_id_wrapperIjLb0EEEEE10hipError_tT1_PNSt15iterator_traitsISI_E10value_typeET2_T3_PNSJ_ISO_E10value_typeET4_T5_PST_SU_PNS1_23onesweep_lookback_stateEbbT6_jjT7_P12ihipStream_tbENKUlT_T0_SI_SN_E_clISD_PtSD_S15_EEDaS11_S12_SI_SN_EUlS11_E_NS1_11comp_targetILNS1_3genE3ELNS1_11target_archE908ELNS1_3gpuE7ELNS1_3repE0EEENS1_47radix_sort_onesweep_sort_config_static_selectorELNS0_4arch9wavefront6targetE1EEEvSI_
; %bb.0:
	.section	.rodata,"a",@progbits
	.p2align	6, 0x0
	.amdhsa_kernel _ZN7rocprim17ROCPRIM_400000_NS6detail17trampoline_kernelINS0_14default_configENS1_35radix_sort_onesweep_config_selectorIttEEZZNS1_29radix_sort_onesweep_iterationIS3_Lb0EN6thrust23THRUST_200600_302600_NS6detail15normal_iteratorINS8_10device_ptrItEEEESD_SD_SD_jNS0_19identity_decomposerENS1_16block_id_wrapperIjLb0EEEEE10hipError_tT1_PNSt15iterator_traitsISI_E10value_typeET2_T3_PNSJ_ISO_E10value_typeET4_T5_PST_SU_PNS1_23onesweep_lookback_stateEbbT6_jjT7_P12ihipStream_tbENKUlT_T0_SI_SN_E_clISD_PtSD_S15_EEDaS11_S12_SI_SN_EUlS11_E_NS1_11comp_targetILNS1_3genE3ELNS1_11target_archE908ELNS1_3gpuE7ELNS1_3repE0EEENS1_47radix_sort_onesweep_sort_config_static_selectorELNS0_4arch9wavefront6targetE1EEEvSI_
		.amdhsa_group_segment_fixed_size 0
		.amdhsa_private_segment_fixed_size 0
		.amdhsa_kernarg_size 88
		.amdhsa_user_sgpr_count 2
		.amdhsa_user_sgpr_dispatch_ptr 0
		.amdhsa_user_sgpr_queue_ptr 0
		.amdhsa_user_sgpr_kernarg_segment_ptr 1
		.amdhsa_user_sgpr_dispatch_id 0
		.amdhsa_user_sgpr_kernarg_preload_length 0
		.amdhsa_user_sgpr_kernarg_preload_offset 0
		.amdhsa_user_sgpr_private_segment_size 0
		.amdhsa_uses_dynamic_stack 0
		.amdhsa_enable_private_segment 0
		.amdhsa_system_sgpr_workgroup_id_x 1
		.amdhsa_system_sgpr_workgroup_id_y 0
		.amdhsa_system_sgpr_workgroup_id_z 0
		.amdhsa_system_sgpr_workgroup_info 0
		.amdhsa_system_vgpr_workitem_id 0
		.amdhsa_next_free_vgpr 1
		.amdhsa_next_free_sgpr 0
		.amdhsa_accum_offset 4
		.amdhsa_reserve_vcc 0
		.amdhsa_float_round_mode_32 0
		.amdhsa_float_round_mode_16_64 0
		.amdhsa_float_denorm_mode_32 3
		.amdhsa_float_denorm_mode_16_64 3
		.amdhsa_dx10_clamp 1
		.amdhsa_ieee_mode 1
		.amdhsa_fp16_overflow 0
		.amdhsa_tg_split 0
		.amdhsa_exception_fp_ieee_invalid_op 0
		.amdhsa_exception_fp_denorm_src 0
		.amdhsa_exception_fp_ieee_div_zero 0
		.amdhsa_exception_fp_ieee_overflow 0
		.amdhsa_exception_fp_ieee_underflow 0
		.amdhsa_exception_fp_ieee_inexact 0
		.amdhsa_exception_int_div_zero 0
	.end_amdhsa_kernel
	.section	.text._ZN7rocprim17ROCPRIM_400000_NS6detail17trampoline_kernelINS0_14default_configENS1_35radix_sort_onesweep_config_selectorIttEEZZNS1_29radix_sort_onesweep_iterationIS3_Lb0EN6thrust23THRUST_200600_302600_NS6detail15normal_iteratorINS8_10device_ptrItEEEESD_SD_SD_jNS0_19identity_decomposerENS1_16block_id_wrapperIjLb0EEEEE10hipError_tT1_PNSt15iterator_traitsISI_E10value_typeET2_T3_PNSJ_ISO_E10value_typeET4_T5_PST_SU_PNS1_23onesweep_lookback_stateEbbT6_jjT7_P12ihipStream_tbENKUlT_T0_SI_SN_E_clISD_PtSD_S15_EEDaS11_S12_SI_SN_EUlS11_E_NS1_11comp_targetILNS1_3genE3ELNS1_11target_archE908ELNS1_3gpuE7ELNS1_3repE0EEENS1_47radix_sort_onesweep_sort_config_static_selectorELNS0_4arch9wavefront6targetE1EEEvSI_,"axG",@progbits,_ZN7rocprim17ROCPRIM_400000_NS6detail17trampoline_kernelINS0_14default_configENS1_35radix_sort_onesweep_config_selectorIttEEZZNS1_29radix_sort_onesweep_iterationIS3_Lb0EN6thrust23THRUST_200600_302600_NS6detail15normal_iteratorINS8_10device_ptrItEEEESD_SD_SD_jNS0_19identity_decomposerENS1_16block_id_wrapperIjLb0EEEEE10hipError_tT1_PNSt15iterator_traitsISI_E10value_typeET2_T3_PNSJ_ISO_E10value_typeET4_T5_PST_SU_PNS1_23onesweep_lookback_stateEbbT6_jjT7_P12ihipStream_tbENKUlT_T0_SI_SN_E_clISD_PtSD_S15_EEDaS11_S12_SI_SN_EUlS11_E_NS1_11comp_targetILNS1_3genE3ELNS1_11target_archE908ELNS1_3gpuE7ELNS1_3repE0EEENS1_47radix_sort_onesweep_sort_config_static_selectorELNS0_4arch9wavefront6targetE1EEEvSI_,comdat
.Lfunc_end1015:
	.size	_ZN7rocprim17ROCPRIM_400000_NS6detail17trampoline_kernelINS0_14default_configENS1_35radix_sort_onesweep_config_selectorIttEEZZNS1_29radix_sort_onesweep_iterationIS3_Lb0EN6thrust23THRUST_200600_302600_NS6detail15normal_iteratorINS8_10device_ptrItEEEESD_SD_SD_jNS0_19identity_decomposerENS1_16block_id_wrapperIjLb0EEEEE10hipError_tT1_PNSt15iterator_traitsISI_E10value_typeET2_T3_PNSJ_ISO_E10value_typeET4_T5_PST_SU_PNS1_23onesweep_lookback_stateEbbT6_jjT7_P12ihipStream_tbENKUlT_T0_SI_SN_E_clISD_PtSD_S15_EEDaS11_S12_SI_SN_EUlS11_E_NS1_11comp_targetILNS1_3genE3ELNS1_11target_archE908ELNS1_3gpuE7ELNS1_3repE0EEENS1_47radix_sort_onesweep_sort_config_static_selectorELNS0_4arch9wavefront6targetE1EEEvSI_, .Lfunc_end1015-_ZN7rocprim17ROCPRIM_400000_NS6detail17trampoline_kernelINS0_14default_configENS1_35radix_sort_onesweep_config_selectorIttEEZZNS1_29radix_sort_onesweep_iterationIS3_Lb0EN6thrust23THRUST_200600_302600_NS6detail15normal_iteratorINS8_10device_ptrItEEEESD_SD_SD_jNS0_19identity_decomposerENS1_16block_id_wrapperIjLb0EEEEE10hipError_tT1_PNSt15iterator_traitsISI_E10value_typeET2_T3_PNSJ_ISO_E10value_typeET4_T5_PST_SU_PNS1_23onesweep_lookback_stateEbbT6_jjT7_P12ihipStream_tbENKUlT_T0_SI_SN_E_clISD_PtSD_S15_EEDaS11_S12_SI_SN_EUlS11_E_NS1_11comp_targetILNS1_3genE3ELNS1_11target_archE908ELNS1_3gpuE7ELNS1_3repE0EEENS1_47radix_sort_onesweep_sort_config_static_selectorELNS0_4arch9wavefront6targetE1EEEvSI_
                                        ; -- End function
	.set _ZN7rocprim17ROCPRIM_400000_NS6detail17trampoline_kernelINS0_14default_configENS1_35radix_sort_onesweep_config_selectorIttEEZZNS1_29radix_sort_onesweep_iterationIS3_Lb0EN6thrust23THRUST_200600_302600_NS6detail15normal_iteratorINS8_10device_ptrItEEEESD_SD_SD_jNS0_19identity_decomposerENS1_16block_id_wrapperIjLb0EEEEE10hipError_tT1_PNSt15iterator_traitsISI_E10value_typeET2_T3_PNSJ_ISO_E10value_typeET4_T5_PST_SU_PNS1_23onesweep_lookback_stateEbbT6_jjT7_P12ihipStream_tbENKUlT_T0_SI_SN_E_clISD_PtSD_S15_EEDaS11_S12_SI_SN_EUlS11_E_NS1_11comp_targetILNS1_3genE3ELNS1_11target_archE908ELNS1_3gpuE7ELNS1_3repE0EEENS1_47radix_sort_onesweep_sort_config_static_selectorELNS0_4arch9wavefront6targetE1EEEvSI_.num_vgpr, 0
	.set _ZN7rocprim17ROCPRIM_400000_NS6detail17trampoline_kernelINS0_14default_configENS1_35radix_sort_onesweep_config_selectorIttEEZZNS1_29radix_sort_onesweep_iterationIS3_Lb0EN6thrust23THRUST_200600_302600_NS6detail15normal_iteratorINS8_10device_ptrItEEEESD_SD_SD_jNS0_19identity_decomposerENS1_16block_id_wrapperIjLb0EEEEE10hipError_tT1_PNSt15iterator_traitsISI_E10value_typeET2_T3_PNSJ_ISO_E10value_typeET4_T5_PST_SU_PNS1_23onesweep_lookback_stateEbbT6_jjT7_P12ihipStream_tbENKUlT_T0_SI_SN_E_clISD_PtSD_S15_EEDaS11_S12_SI_SN_EUlS11_E_NS1_11comp_targetILNS1_3genE3ELNS1_11target_archE908ELNS1_3gpuE7ELNS1_3repE0EEENS1_47radix_sort_onesweep_sort_config_static_selectorELNS0_4arch9wavefront6targetE1EEEvSI_.num_agpr, 0
	.set _ZN7rocprim17ROCPRIM_400000_NS6detail17trampoline_kernelINS0_14default_configENS1_35radix_sort_onesweep_config_selectorIttEEZZNS1_29radix_sort_onesweep_iterationIS3_Lb0EN6thrust23THRUST_200600_302600_NS6detail15normal_iteratorINS8_10device_ptrItEEEESD_SD_SD_jNS0_19identity_decomposerENS1_16block_id_wrapperIjLb0EEEEE10hipError_tT1_PNSt15iterator_traitsISI_E10value_typeET2_T3_PNSJ_ISO_E10value_typeET4_T5_PST_SU_PNS1_23onesweep_lookback_stateEbbT6_jjT7_P12ihipStream_tbENKUlT_T0_SI_SN_E_clISD_PtSD_S15_EEDaS11_S12_SI_SN_EUlS11_E_NS1_11comp_targetILNS1_3genE3ELNS1_11target_archE908ELNS1_3gpuE7ELNS1_3repE0EEENS1_47radix_sort_onesweep_sort_config_static_selectorELNS0_4arch9wavefront6targetE1EEEvSI_.numbered_sgpr, 0
	.set _ZN7rocprim17ROCPRIM_400000_NS6detail17trampoline_kernelINS0_14default_configENS1_35radix_sort_onesweep_config_selectorIttEEZZNS1_29radix_sort_onesweep_iterationIS3_Lb0EN6thrust23THRUST_200600_302600_NS6detail15normal_iteratorINS8_10device_ptrItEEEESD_SD_SD_jNS0_19identity_decomposerENS1_16block_id_wrapperIjLb0EEEEE10hipError_tT1_PNSt15iterator_traitsISI_E10value_typeET2_T3_PNSJ_ISO_E10value_typeET4_T5_PST_SU_PNS1_23onesweep_lookback_stateEbbT6_jjT7_P12ihipStream_tbENKUlT_T0_SI_SN_E_clISD_PtSD_S15_EEDaS11_S12_SI_SN_EUlS11_E_NS1_11comp_targetILNS1_3genE3ELNS1_11target_archE908ELNS1_3gpuE7ELNS1_3repE0EEENS1_47radix_sort_onesweep_sort_config_static_selectorELNS0_4arch9wavefront6targetE1EEEvSI_.num_named_barrier, 0
	.set _ZN7rocprim17ROCPRIM_400000_NS6detail17trampoline_kernelINS0_14default_configENS1_35radix_sort_onesweep_config_selectorIttEEZZNS1_29radix_sort_onesweep_iterationIS3_Lb0EN6thrust23THRUST_200600_302600_NS6detail15normal_iteratorINS8_10device_ptrItEEEESD_SD_SD_jNS0_19identity_decomposerENS1_16block_id_wrapperIjLb0EEEEE10hipError_tT1_PNSt15iterator_traitsISI_E10value_typeET2_T3_PNSJ_ISO_E10value_typeET4_T5_PST_SU_PNS1_23onesweep_lookback_stateEbbT6_jjT7_P12ihipStream_tbENKUlT_T0_SI_SN_E_clISD_PtSD_S15_EEDaS11_S12_SI_SN_EUlS11_E_NS1_11comp_targetILNS1_3genE3ELNS1_11target_archE908ELNS1_3gpuE7ELNS1_3repE0EEENS1_47radix_sort_onesweep_sort_config_static_selectorELNS0_4arch9wavefront6targetE1EEEvSI_.private_seg_size, 0
	.set _ZN7rocprim17ROCPRIM_400000_NS6detail17trampoline_kernelINS0_14default_configENS1_35radix_sort_onesweep_config_selectorIttEEZZNS1_29radix_sort_onesweep_iterationIS3_Lb0EN6thrust23THRUST_200600_302600_NS6detail15normal_iteratorINS8_10device_ptrItEEEESD_SD_SD_jNS0_19identity_decomposerENS1_16block_id_wrapperIjLb0EEEEE10hipError_tT1_PNSt15iterator_traitsISI_E10value_typeET2_T3_PNSJ_ISO_E10value_typeET4_T5_PST_SU_PNS1_23onesweep_lookback_stateEbbT6_jjT7_P12ihipStream_tbENKUlT_T0_SI_SN_E_clISD_PtSD_S15_EEDaS11_S12_SI_SN_EUlS11_E_NS1_11comp_targetILNS1_3genE3ELNS1_11target_archE908ELNS1_3gpuE7ELNS1_3repE0EEENS1_47radix_sort_onesweep_sort_config_static_selectorELNS0_4arch9wavefront6targetE1EEEvSI_.uses_vcc, 0
	.set _ZN7rocprim17ROCPRIM_400000_NS6detail17trampoline_kernelINS0_14default_configENS1_35radix_sort_onesweep_config_selectorIttEEZZNS1_29radix_sort_onesweep_iterationIS3_Lb0EN6thrust23THRUST_200600_302600_NS6detail15normal_iteratorINS8_10device_ptrItEEEESD_SD_SD_jNS0_19identity_decomposerENS1_16block_id_wrapperIjLb0EEEEE10hipError_tT1_PNSt15iterator_traitsISI_E10value_typeET2_T3_PNSJ_ISO_E10value_typeET4_T5_PST_SU_PNS1_23onesweep_lookback_stateEbbT6_jjT7_P12ihipStream_tbENKUlT_T0_SI_SN_E_clISD_PtSD_S15_EEDaS11_S12_SI_SN_EUlS11_E_NS1_11comp_targetILNS1_3genE3ELNS1_11target_archE908ELNS1_3gpuE7ELNS1_3repE0EEENS1_47radix_sort_onesweep_sort_config_static_selectorELNS0_4arch9wavefront6targetE1EEEvSI_.uses_flat_scratch, 0
	.set _ZN7rocprim17ROCPRIM_400000_NS6detail17trampoline_kernelINS0_14default_configENS1_35radix_sort_onesweep_config_selectorIttEEZZNS1_29radix_sort_onesweep_iterationIS3_Lb0EN6thrust23THRUST_200600_302600_NS6detail15normal_iteratorINS8_10device_ptrItEEEESD_SD_SD_jNS0_19identity_decomposerENS1_16block_id_wrapperIjLb0EEEEE10hipError_tT1_PNSt15iterator_traitsISI_E10value_typeET2_T3_PNSJ_ISO_E10value_typeET4_T5_PST_SU_PNS1_23onesweep_lookback_stateEbbT6_jjT7_P12ihipStream_tbENKUlT_T0_SI_SN_E_clISD_PtSD_S15_EEDaS11_S12_SI_SN_EUlS11_E_NS1_11comp_targetILNS1_3genE3ELNS1_11target_archE908ELNS1_3gpuE7ELNS1_3repE0EEENS1_47radix_sort_onesweep_sort_config_static_selectorELNS0_4arch9wavefront6targetE1EEEvSI_.has_dyn_sized_stack, 0
	.set _ZN7rocprim17ROCPRIM_400000_NS6detail17trampoline_kernelINS0_14default_configENS1_35radix_sort_onesweep_config_selectorIttEEZZNS1_29radix_sort_onesweep_iterationIS3_Lb0EN6thrust23THRUST_200600_302600_NS6detail15normal_iteratorINS8_10device_ptrItEEEESD_SD_SD_jNS0_19identity_decomposerENS1_16block_id_wrapperIjLb0EEEEE10hipError_tT1_PNSt15iterator_traitsISI_E10value_typeET2_T3_PNSJ_ISO_E10value_typeET4_T5_PST_SU_PNS1_23onesweep_lookback_stateEbbT6_jjT7_P12ihipStream_tbENKUlT_T0_SI_SN_E_clISD_PtSD_S15_EEDaS11_S12_SI_SN_EUlS11_E_NS1_11comp_targetILNS1_3genE3ELNS1_11target_archE908ELNS1_3gpuE7ELNS1_3repE0EEENS1_47radix_sort_onesweep_sort_config_static_selectorELNS0_4arch9wavefront6targetE1EEEvSI_.has_recursion, 0
	.set _ZN7rocprim17ROCPRIM_400000_NS6detail17trampoline_kernelINS0_14default_configENS1_35radix_sort_onesweep_config_selectorIttEEZZNS1_29radix_sort_onesweep_iterationIS3_Lb0EN6thrust23THRUST_200600_302600_NS6detail15normal_iteratorINS8_10device_ptrItEEEESD_SD_SD_jNS0_19identity_decomposerENS1_16block_id_wrapperIjLb0EEEEE10hipError_tT1_PNSt15iterator_traitsISI_E10value_typeET2_T3_PNSJ_ISO_E10value_typeET4_T5_PST_SU_PNS1_23onesweep_lookback_stateEbbT6_jjT7_P12ihipStream_tbENKUlT_T0_SI_SN_E_clISD_PtSD_S15_EEDaS11_S12_SI_SN_EUlS11_E_NS1_11comp_targetILNS1_3genE3ELNS1_11target_archE908ELNS1_3gpuE7ELNS1_3repE0EEENS1_47radix_sort_onesweep_sort_config_static_selectorELNS0_4arch9wavefront6targetE1EEEvSI_.has_indirect_call, 0
	.section	.AMDGPU.csdata,"",@progbits
; Kernel info:
; codeLenInByte = 0
; TotalNumSgprs: 6
; NumVgprs: 0
; NumAgprs: 0
; TotalNumVgprs: 0
; ScratchSize: 0
; MemoryBound: 0
; FloatMode: 240
; IeeeMode: 1
; LDSByteSize: 0 bytes/workgroup (compile time only)
; SGPRBlocks: 0
; VGPRBlocks: 0
; NumSGPRsForWavesPerEU: 6
; NumVGPRsForWavesPerEU: 1
; AccumOffset: 4
; Occupancy: 8
; WaveLimiterHint : 0
; COMPUTE_PGM_RSRC2:SCRATCH_EN: 0
; COMPUTE_PGM_RSRC2:USER_SGPR: 2
; COMPUTE_PGM_RSRC2:TRAP_HANDLER: 0
; COMPUTE_PGM_RSRC2:TGID_X_EN: 1
; COMPUTE_PGM_RSRC2:TGID_Y_EN: 0
; COMPUTE_PGM_RSRC2:TGID_Z_EN: 0
; COMPUTE_PGM_RSRC2:TIDIG_COMP_CNT: 0
; COMPUTE_PGM_RSRC3_GFX90A:ACCUM_OFFSET: 0
; COMPUTE_PGM_RSRC3_GFX90A:TG_SPLIT: 0
	.section	.text._ZN7rocprim17ROCPRIM_400000_NS6detail17trampoline_kernelINS0_14default_configENS1_35radix_sort_onesweep_config_selectorIttEEZZNS1_29radix_sort_onesweep_iterationIS3_Lb0EN6thrust23THRUST_200600_302600_NS6detail15normal_iteratorINS8_10device_ptrItEEEESD_SD_SD_jNS0_19identity_decomposerENS1_16block_id_wrapperIjLb0EEEEE10hipError_tT1_PNSt15iterator_traitsISI_E10value_typeET2_T3_PNSJ_ISO_E10value_typeET4_T5_PST_SU_PNS1_23onesweep_lookback_stateEbbT6_jjT7_P12ihipStream_tbENKUlT_T0_SI_SN_E_clISD_PtSD_S15_EEDaS11_S12_SI_SN_EUlS11_E_NS1_11comp_targetILNS1_3genE10ELNS1_11target_archE1201ELNS1_3gpuE5ELNS1_3repE0EEENS1_47radix_sort_onesweep_sort_config_static_selectorELNS0_4arch9wavefront6targetE1EEEvSI_,"axG",@progbits,_ZN7rocprim17ROCPRIM_400000_NS6detail17trampoline_kernelINS0_14default_configENS1_35radix_sort_onesweep_config_selectorIttEEZZNS1_29radix_sort_onesweep_iterationIS3_Lb0EN6thrust23THRUST_200600_302600_NS6detail15normal_iteratorINS8_10device_ptrItEEEESD_SD_SD_jNS0_19identity_decomposerENS1_16block_id_wrapperIjLb0EEEEE10hipError_tT1_PNSt15iterator_traitsISI_E10value_typeET2_T3_PNSJ_ISO_E10value_typeET4_T5_PST_SU_PNS1_23onesweep_lookback_stateEbbT6_jjT7_P12ihipStream_tbENKUlT_T0_SI_SN_E_clISD_PtSD_S15_EEDaS11_S12_SI_SN_EUlS11_E_NS1_11comp_targetILNS1_3genE10ELNS1_11target_archE1201ELNS1_3gpuE5ELNS1_3repE0EEENS1_47radix_sort_onesweep_sort_config_static_selectorELNS0_4arch9wavefront6targetE1EEEvSI_,comdat
	.protected	_ZN7rocprim17ROCPRIM_400000_NS6detail17trampoline_kernelINS0_14default_configENS1_35radix_sort_onesweep_config_selectorIttEEZZNS1_29radix_sort_onesweep_iterationIS3_Lb0EN6thrust23THRUST_200600_302600_NS6detail15normal_iteratorINS8_10device_ptrItEEEESD_SD_SD_jNS0_19identity_decomposerENS1_16block_id_wrapperIjLb0EEEEE10hipError_tT1_PNSt15iterator_traitsISI_E10value_typeET2_T3_PNSJ_ISO_E10value_typeET4_T5_PST_SU_PNS1_23onesweep_lookback_stateEbbT6_jjT7_P12ihipStream_tbENKUlT_T0_SI_SN_E_clISD_PtSD_S15_EEDaS11_S12_SI_SN_EUlS11_E_NS1_11comp_targetILNS1_3genE10ELNS1_11target_archE1201ELNS1_3gpuE5ELNS1_3repE0EEENS1_47radix_sort_onesweep_sort_config_static_selectorELNS0_4arch9wavefront6targetE1EEEvSI_ ; -- Begin function _ZN7rocprim17ROCPRIM_400000_NS6detail17trampoline_kernelINS0_14default_configENS1_35radix_sort_onesweep_config_selectorIttEEZZNS1_29radix_sort_onesweep_iterationIS3_Lb0EN6thrust23THRUST_200600_302600_NS6detail15normal_iteratorINS8_10device_ptrItEEEESD_SD_SD_jNS0_19identity_decomposerENS1_16block_id_wrapperIjLb0EEEEE10hipError_tT1_PNSt15iterator_traitsISI_E10value_typeET2_T3_PNSJ_ISO_E10value_typeET4_T5_PST_SU_PNS1_23onesweep_lookback_stateEbbT6_jjT7_P12ihipStream_tbENKUlT_T0_SI_SN_E_clISD_PtSD_S15_EEDaS11_S12_SI_SN_EUlS11_E_NS1_11comp_targetILNS1_3genE10ELNS1_11target_archE1201ELNS1_3gpuE5ELNS1_3repE0EEENS1_47radix_sort_onesweep_sort_config_static_selectorELNS0_4arch9wavefront6targetE1EEEvSI_
	.globl	_ZN7rocprim17ROCPRIM_400000_NS6detail17trampoline_kernelINS0_14default_configENS1_35radix_sort_onesweep_config_selectorIttEEZZNS1_29radix_sort_onesweep_iterationIS3_Lb0EN6thrust23THRUST_200600_302600_NS6detail15normal_iteratorINS8_10device_ptrItEEEESD_SD_SD_jNS0_19identity_decomposerENS1_16block_id_wrapperIjLb0EEEEE10hipError_tT1_PNSt15iterator_traitsISI_E10value_typeET2_T3_PNSJ_ISO_E10value_typeET4_T5_PST_SU_PNS1_23onesweep_lookback_stateEbbT6_jjT7_P12ihipStream_tbENKUlT_T0_SI_SN_E_clISD_PtSD_S15_EEDaS11_S12_SI_SN_EUlS11_E_NS1_11comp_targetILNS1_3genE10ELNS1_11target_archE1201ELNS1_3gpuE5ELNS1_3repE0EEENS1_47radix_sort_onesweep_sort_config_static_selectorELNS0_4arch9wavefront6targetE1EEEvSI_
	.p2align	8
	.type	_ZN7rocprim17ROCPRIM_400000_NS6detail17trampoline_kernelINS0_14default_configENS1_35radix_sort_onesweep_config_selectorIttEEZZNS1_29radix_sort_onesweep_iterationIS3_Lb0EN6thrust23THRUST_200600_302600_NS6detail15normal_iteratorINS8_10device_ptrItEEEESD_SD_SD_jNS0_19identity_decomposerENS1_16block_id_wrapperIjLb0EEEEE10hipError_tT1_PNSt15iterator_traitsISI_E10value_typeET2_T3_PNSJ_ISO_E10value_typeET4_T5_PST_SU_PNS1_23onesweep_lookback_stateEbbT6_jjT7_P12ihipStream_tbENKUlT_T0_SI_SN_E_clISD_PtSD_S15_EEDaS11_S12_SI_SN_EUlS11_E_NS1_11comp_targetILNS1_3genE10ELNS1_11target_archE1201ELNS1_3gpuE5ELNS1_3repE0EEENS1_47radix_sort_onesweep_sort_config_static_selectorELNS0_4arch9wavefront6targetE1EEEvSI_,@function
_ZN7rocprim17ROCPRIM_400000_NS6detail17trampoline_kernelINS0_14default_configENS1_35radix_sort_onesweep_config_selectorIttEEZZNS1_29radix_sort_onesweep_iterationIS3_Lb0EN6thrust23THRUST_200600_302600_NS6detail15normal_iteratorINS8_10device_ptrItEEEESD_SD_SD_jNS0_19identity_decomposerENS1_16block_id_wrapperIjLb0EEEEE10hipError_tT1_PNSt15iterator_traitsISI_E10value_typeET2_T3_PNSJ_ISO_E10value_typeET4_T5_PST_SU_PNS1_23onesweep_lookback_stateEbbT6_jjT7_P12ihipStream_tbENKUlT_T0_SI_SN_E_clISD_PtSD_S15_EEDaS11_S12_SI_SN_EUlS11_E_NS1_11comp_targetILNS1_3genE10ELNS1_11target_archE1201ELNS1_3gpuE5ELNS1_3repE0EEENS1_47radix_sort_onesweep_sort_config_static_selectorELNS0_4arch9wavefront6targetE1EEEvSI_: ; @_ZN7rocprim17ROCPRIM_400000_NS6detail17trampoline_kernelINS0_14default_configENS1_35radix_sort_onesweep_config_selectorIttEEZZNS1_29radix_sort_onesweep_iterationIS3_Lb0EN6thrust23THRUST_200600_302600_NS6detail15normal_iteratorINS8_10device_ptrItEEEESD_SD_SD_jNS0_19identity_decomposerENS1_16block_id_wrapperIjLb0EEEEE10hipError_tT1_PNSt15iterator_traitsISI_E10value_typeET2_T3_PNSJ_ISO_E10value_typeET4_T5_PST_SU_PNS1_23onesweep_lookback_stateEbbT6_jjT7_P12ihipStream_tbENKUlT_T0_SI_SN_E_clISD_PtSD_S15_EEDaS11_S12_SI_SN_EUlS11_E_NS1_11comp_targetILNS1_3genE10ELNS1_11target_archE1201ELNS1_3gpuE5ELNS1_3repE0EEENS1_47radix_sort_onesweep_sort_config_static_selectorELNS0_4arch9wavefront6targetE1EEEvSI_
; %bb.0:
	.section	.rodata,"a",@progbits
	.p2align	6, 0x0
	.amdhsa_kernel _ZN7rocprim17ROCPRIM_400000_NS6detail17trampoline_kernelINS0_14default_configENS1_35radix_sort_onesweep_config_selectorIttEEZZNS1_29radix_sort_onesweep_iterationIS3_Lb0EN6thrust23THRUST_200600_302600_NS6detail15normal_iteratorINS8_10device_ptrItEEEESD_SD_SD_jNS0_19identity_decomposerENS1_16block_id_wrapperIjLb0EEEEE10hipError_tT1_PNSt15iterator_traitsISI_E10value_typeET2_T3_PNSJ_ISO_E10value_typeET4_T5_PST_SU_PNS1_23onesweep_lookback_stateEbbT6_jjT7_P12ihipStream_tbENKUlT_T0_SI_SN_E_clISD_PtSD_S15_EEDaS11_S12_SI_SN_EUlS11_E_NS1_11comp_targetILNS1_3genE10ELNS1_11target_archE1201ELNS1_3gpuE5ELNS1_3repE0EEENS1_47radix_sort_onesweep_sort_config_static_selectorELNS0_4arch9wavefront6targetE1EEEvSI_
		.amdhsa_group_segment_fixed_size 0
		.amdhsa_private_segment_fixed_size 0
		.amdhsa_kernarg_size 88
		.amdhsa_user_sgpr_count 2
		.amdhsa_user_sgpr_dispatch_ptr 0
		.amdhsa_user_sgpr_queue_ptr 0
		.amdhsa_user_sgpr_kernarg_segment_ptr 1
		.amdhsa_user_sgpr_dispatch_id 0
		.amdhsa_user_sgpr_kernarg_preload_length 0
		.amdhsa_user_sgpr_kernarg_preload_offset 0
		.amdhsa_user_sgpr_private_segment_size 0
		.amdhsa_uses_dynamic_stack 0
		.amdhsa_enable_private_segment 0
		.amdhsa_system_sgpr_workgroup_id_x 1
		.amdhsa_system_sgpr_workgroup_id_y 0
		.amdhsa_system_sgpr_workgroup_id_z 0
		.amdhsa_system_sgpr_workgroup_info 0
		.amdhsa_system_vgpr_workitem_id 0
		.amdhsa_next_free_vgpr 1
		.amdhsa_next_free_sgpr 0
		.amdhsa_accum_offset 4
		.amdhsa_reserve_vcc 0
		.amdhsa_float_round_mode_32 0
		.amdhsa_float_round_mode_16_64 0
		.amdhsa_float_denorm_mode_32 3
		.amdhsa_float_denorm_mode_16_64 3
		.amdhsa_dx10_clamp 1
		.amdhsa_ieee_mode 1
		.amdhsa_fp16_overflow 0
		.amdhsa_tg_split 0
		.amdhsa_exception_fp_ieee_invalid_op 0
		.amdhsa_exception_fp_denorm_src 0
		.amdhsa_exception_fp_ieee_div_zero 0
		.amdhsa_exception_fp_ieee_overflow 0
		.amdhsa_exception_fp_ieee_underflow 0
		.amdhsa_exception_fp_ieee_inexact 0
		.amdhsa_exception_int_div_zero 0
	.end_amdhsa_kernel
	.section	.text._ZN7rocprim17ROCPRIM_400000_NS6detail17trampoline_kernelINS0_14default_configENS1_35radix_sort_onesweep_config_selectorIttEEZZNS1_29radix_sort_onesweep_iterationIS3_Lb0EN6thrust23THRUST_200600_302600_NS6detail15normal_iteratorINS8_10device_ptrItEEEESD_SD_SD_jNS0_19identity_decomposerENS1_16block_id_wrapperIjLb0EEEEE10hipError_tT1_PNSt15iterator_traitsISI_E10value_typeET2_T3_PNSJ_ISO_E10value_typeET4_T5_PST_SU_PNS1_23onesweep_lookback_stateEbbT6_jjT7_P12ihipStream_tbENKUlT_T0_SI_SN_E_clISD_PtSD_S15_EEDaS11_S12_SI_SN_EUlS11_E_NS1_11comp_targetILNS1_3genE10ELNS1_11target_archE1201ELNS1_3gpuE5ELNS1_3repE0EEENS1_47radix_sort_onesweep_sort_config_static_selectorELNS0_4arch9wavefront6targetE1EEEvSI_,"axG",@progbits,_ZN7rocprim17ROCPRIM_400000_NS6detail17trampoline_kernelINS0_14default_configENS1_35radix_sort_onesweep_config_selectorIttEEZZNS1_29radix_sort_onesweep_iterationIS3_Lb0EN6thrust23THRUST_200600_302600_NS6detail15normal_iteratorINS8_10device_ptrItEEEESD_SD_SD_jNS0_19identity_decomposerENS1_16block_id_wrapperIjLb0EEEEE10hipError_tT1_PNSt15iterator_traitsISI_E10value_typeET2_T3_PNSJ_ISO_E10value_typeET4_T5_PST_SU_PNS1_23onesweep_lookback_stateEbbT6_jjT7_P12ihipStream_tbENKUlT_T0_SI_SN_E_clISD_PtSD_S15_EEDaS11_S12_SI_SN_EUlS11_E_NS1_11comp_targetILNS1_3genE10ELNS1_11target_archE1201ELNS1_3gpuE5ELNS1_3repE0EEENS1_47radix_sort_onesweep_sort_config_static_selectorELNS0_4arch9wavefront6targetE1EEEvSI_,comdat
.Lfunc_end1016:
	.size	_ZN7rocprim17ROCPRIM_400000_NS6detail17trampoline_kernelINS0_14default_configENS1_35radix_sort_onesweep_config_selectorIttEEZZNS1_29radix_sort_onesweep_iterationIS3_Lb0EN6thrust23THRUST_200600_302600_NS6detail15normal_iteratorINS8_10device_ptrItEEEESD_SD_SD_jNS0_19identity_decomposerENS1_16block_id_wrapperIjLb0EEEEE10hipError_tT1_PNSt15iterator_traitsISI_E10value_typeET2_T3_PNSJ_ISO_E10value_typeET4_T5_PST_SU_PNS1_23onesweep_lookback_stateEbbT6_jjT7_P12ihipStream_tbENKUlT_T0_SI_SN_E_clISD_PtSD_S15_EEDaS11_S12_SI_SN_EUlS11_E_NS1_11comp_targetILNS1_3genE10ELNS1_11target_archE1201ELNS1_3gpuE5ELNS1_3repE0EEENS1_47radix_sort_onesweep_sort_config_static_selectorELNS0_4arch9wavefront6targetE1EEEvSI_, .Lfunc_end1016-_ZN7rocprim17ROCPRIM_400000_NS6detail17trampoline_kernelINS0_14default_configENS1_35radix_sort_onesweep_config_selectorIttEEZZNS1_29radix_sort_onesweep_iterationIS3_Lb0EN6thrust23THRUST_200600_302600_NS6detail15normal_iteratorINS8_10device_ptrItEEEESD_SD_SD_jNS0_19identity_decomposerENS1_16block_id_wrapperIjLb0EEEEE10hipError_tT1_PNSt15iterator_traitsISI_E10value_typeET2_T3_PNSJ_ISO_E10value_typeET4_T5_PST_SU_PNS1_23onesweep_lookback_stateEbbT6_jjT7_P12ihipStream_tbENKUlT_T0_SI_SN_E_clISD_PtSD_S15_EEDaS11_S12_SI_SN_EUlS11_E_NS1_11comp_targetILNS1_3genE10ELNS1_11target_archE1201ELNS1_3gpuE5ELNS1_3repE0EEENS1_47radix_sort_onesweep_sort_config_static_selectorELNS0_4arch9wavefront6targetE1EEEvSI_
                                        ; -- End function
	.set _ZN7rocprim17ROCPRIM_400000_NS6detail17trampoline_kernelINS0_14default_configENS1_35radix_sort_onesweep_config_selectorIttEEZZNS1_29radix_sort_onesweep_iterationIS3_Lb0EN6thrust23THRUST_200600_302600_NS6detail15normal_iteratorINS8_10device_ptrItEEEESD_SD_SD_jNS0_19identity_decomposerENS1_16block_id_wrapperIjLb0EEEEE10hipError_tT1_PNSt15iterator_traitsISI_E10value_typeET2_T3_PNSJ_ISO_E10value_typeET4_T5_PST_SU_PNS1_23onesweep_lookback_stateEbbT6_jjT7_P12ihipStream_tbENKUlT_T0_SI_SN_E_clISD_PtSD_S15_EEDaS11_S12_SI_SN_EUlS11_E_NS1_11comp_targetILNS1_3genE10ELNS1_11target_archE1201ELNS1_3gpuE5ELNS1_3repE0EEENS1_47radix_sort_onesweep_sort_config_static_selectorELNS0_4arch9wavefront6targetE1EEEvSI_.num_vgpr, 0
	.set _ZN7rocprim17ROCPRIM_400000_NS6detail17trampoline_kernelINS0_14default_configENS1_35radix_sort_onesweep_config_selectorIttEEZZNS1_29radix_sort_onesweep_iterationIS3_Lb0EN6thrust23THRUST_200600_302600_NS6detail15normal_iteratorINS8_10device_ptrItEEEESD_SD_SD_jNS0_19identity_decomposerENS1_16block_id_wrapperIjLb0EEEEE10hipError_tT1_PNSt15iterator_traitsISI_E10value_typeET2_T3_PNSJ_ISO_E10value_typeET4_T5_PST_SU_PNS1_23onesweep_lookback_stateEbbT6_jjT7_P12ihipStream_tbENKUlT_T0_SI_SN_E_clISD_PtSD_S15_EEDaS11_S12_SI_SN_EUlS11_E_NS1_11comp_targetILNS1_3genE10ELNS1_11target_archE1201ELNS1_3gpuE5ELNS1_3repE0EEENS1_47radix_sort_onesweep_sort_config_static_selectorELNS0_4arch9wavefront6targetE1EEEvSI_.num_agpr, 0
	.set _ZN7rocprim17ROCPRIM_400000_NS6detail17trampoline_kernelINS0_14default_configENS1_35radix_sort_onesweep_config_selectorIttEEZZNS1_29radix_sort_onesweep_iterationIS3_Lb0EN6thrust23THRUST_200600_302600_NS6detail15normal_iteratorINS8_10device_ptrItEEEESD_SD_SD_jNS0_19identity_decomposerENS1_16block_id_wrapperIjLb0EEEEE10hipError_tT1_PNSt15iterator_traitsISI_E10value_typeET2_T3_PNSJ_ISO_E10value_typeET4_T5_PST_SU_PNS1_23onesweep_lookback_stateEbbT6_jjT7_P12ihipStream_tbENKUlT_T0_SI_SN_E_clISD_PtSD_S15_EEDaS11_S12_SI_SN_EUlS11_E_NS1_11comp_targetILNS1_3genE10ELNS1_11target_archE1201ELNS1_3gpuE5ELNS1_3repE0EEENS1_47radix_sort_onesweep_sort_config_static_selectorELNS0_4arch9wavefront6targetE1EEEvSI_.numbered_sgpr, 0
	.set _ZN7rocprim17ROCPRIM_400000_NS6detail17trampoline_kernelINS0_14default_configENS1_35radix_sort_onesweep_config_selectorIttEEZZNS1_29radix_sort_onesweep_iterationIS3_Lb0EN6thrust23THRUST_200600_302600_NS6detail15normal_iteratorINS8_10device_ptrItEEEESD_SD_SD_jNS0_19identity_decomposerENS1_16block_id_wrapperIjLb0EEEEE10hipError_tT1_PNSt15iterator_traitsISI_E10value_typeET2_T3_PNSJ_ISO_E10value_typeET4_T5_PST_SU_PNS1_23onesweep_lookback_stateEbbT6_jjT7_P12ihipStream_tbENKUlT_T0_SI_SN_E_clISD_PtSD_S15_EEDaS11_S12_SI_SN_EUlS11_E_NS1_11comp_targetILNS1_3genE10ELNS1_11target_archE1201ELNS1_3gpuE5ELNS1_3repE0EEENS1_47radix_sort_onesweep_sort_config_static_selectorELNS0_4arch9wavefront6targetE1EEEvSI_.num_named_barrier, 0
	.set _ZN7rocprim17ROCPRIM_400000_NS6detail17trampoline_kernelINS0_14default_configENS1_35radix_sort_onesweep_config_selectorIttEEZZNS1_29radix_sort_onesweep_iterationIS3_Lb0EN6thrust23THRUST_200600_302600_NS6detail15normal_iteratorINS8_10device_ptrItEEEESD_SD_SD_jNS0_19identity_decomposerENS1_16block_id_wrapperIjLb0EEEEE10hipError_tT1_PNSt15iterator_traitsISI_E10value_typeET2_T3_PNSJ_ISO_E10value_typeET4_T5_PST_SU_PNS1_23onesweep_lookback_stateEbbT6_jjT7_P12ihipStream_tbENKUlT_T0_SI_SN_E_clISD_PtSD_S15_EEDaS11_S12_SI_SN_EUlS11_E_NS1_11comp_targetILNS1_3genE10ELNS1_11target_archE1201ELNS1_3gpuE5ELNS1_3repE0EEENS1_47radix_sort_onesweep_sort_config_static_selectorELNS0_4arch9wavefront6targetE1EEEvSI_.private_seg_size, 0
	.set _ZN7rocprim17ROCPRIM_400000_NS6detail17trampoline_kernelINS0_14default_configENS1_35radix_sort_onesweep_config_selectorIttEEZZNS1_29radix_sort_onesweep_iterationIS3_Lb0EN6thrust23THRUST_200600_302600_NS6detail15normal_iteratorINS8_10device_ptrItEEEESD_SD_SD_jNS0_19identity_decomposerENS1_16block_id_wrapperIjLb0EEEEE10hipError_tT1_PNSt15iterator_traitsISI_E10value_typeET2_T3_PNSJ_ISO_E10value_typeET4_T5_PST_SU_PNS1_23onesweep_lookback_stateEbbT6_jjT7_P12ihipStream_tbENKUlT_T0_SI_SN_E_clISD_PtSD_S15_EEDaS11_S12_SI_SN_EUlS11_E_NS1_11comp_targetILNS1_3genE10ELNS1_11target_archE1201ELNS1_3gpuE5ELNS1_3repE0EEENS1_47radix_sort_onesweep_sort_config_static_selectorELNS0_4arch9wavefront6targetE1EEEvSI_.uses_vcc, 0
	.set _ZN7rocprim17ROCPRIM_400000_NS6detail17trampoline_kernelINS0_14default_configENS1_35radix_sort_onesweep_config_selectorIttEEZZNS1_29radix_sort_onesweep_iterationIS3_Lb0EN6thrust23THRUST_200600_302600_NS6detail15normal_iteratorINS8_10device_ptrItEEEESD_SD_SD_jNS0_19identity_decomposerENS1_16block_id_wrapperIjLb0EEEEE10hipError_tT1_PNSt15iterator_traitsISI_E10value_typeET2_T3_PNSJ_ISO_E10value_typeET4_T5_PST_SU_PNS1_23onesweep_lookback_stateEbbT6_jjT7_P12ihipStream_tbENKUlT_T0_SI_SN_E_clISD_PtSD_S15_EEDaS11_S12_SI_SN_EUlS11_E_NS1_11comp_targetILNS1_3genE10ELNS1_11target_archE1201ELNS1_3gpuE5ELNS1_3repE0EEENS1_47radix_sort_onesweep_sort_config_static_selectorELNS0_4arch9wavefront6targetE1EEEvSI_.uses_flat_scratch, 0
	.set _ZN7rocprim17ROCPRIM_400000_NS6detail17trampoline_kernelINS0_14default_configENS1_35radix_sort_onesweep_config_selectorIttEEZZNS1_29radix_sort_onesweep_iterationIS3_Lb0EN6thrust23THRUST_200600_302600_NS6detail15normal_iteratorINS8_10device_ptrItEEEESD_SD_SD_jNS0_19identity_decomposerENS1_16block_id_wrapperIjLb0EEEEE10hipError_tT1_PNSt15iterator_traitsISI_E10value_typeET2_T3_PNSJ_ISO_E10value_typeET4_T5_PST_SU_PNS1_23onesweep_lookback_stateEbbT6_jjT7_P12ihipStream_tbENKUlT_T0_SI_SN_E_clISD_PtSD_S15_EEDaS11_S12_SI_SN_EUlS11_E_NS1_11comp_targetILNS1_3genE10ELNS1_11target_archE1201ELNS1_3gpuE5ELNS1_3repE0EEENS1_47radix_sort_onesweep_sort_config_static_selectorELNS0_4arch9wavefront6targetE1EEEvSI_.has_dyn_sized_stack, 0
	.set _ZN7rocprim17ROCPRIM_400000_NS6detail17trampoline_kernelINS0_14default_configENS1_35radix_sort_onesweep_config_selectorIttEEZZNS1_29radix_sort_onesweep_iterationIS3_Lb0EN6thrust23THRUST_200600_302600_NS6detail15normal_iteratorINS8_10device_ptrItEEEESD_SD_SD_jNS0_19identity_decomposerENS1_16block_id_wrapperIjLb0EEEEE10hipError_tT1_PNSt15iterator_traitsISI_E10value_typeET2_T3_PNSJ_ISO_E10value_typeET4_T5_PST_SU_PNS1_23onesweep_lookback_stateEbbT6_jjT7_P12ihipStream_tbENKUlT_T0_SI_SN_E_clISD_PtSD_S15_EEDaS11_S12_SI_SN_EUlS11_E_NS1_11comp_targetILNS1_3genE10ELNS1_11target_archE1201ELNS1_3gpuE5ELNS1_3repE0EEENS1_47radix_sort_onesweep_sort_config_static_selectorELNS0_4arch9wavefront6targetE1EEEvSI_.has_recursion, 0
	.set _ZN7rocprim17ROCPRIM_400000_NS6detail17trampoline_kernelINS0_14default_configENS1_35radix_sort_onesweep_config_selectorIttEEZZNS1_29radix_sort_onesweep_iterationIS3_Lb0EN6thrust23THRUST_200600_302600_NS6detail15normal_iteratorINS8_10device_ptrItEEEESD_SD_SD_jNS0_19identity_decomposerENS1_16block_id_wrapperIjLb0EEEEE10hipError_tT1_PNSt15iterator_traitsISI_E10value_typeET2_T3_PNSJ_ISO_E10value_typeET4_T5_PST_SU_PNS1_23onesweep_lookback_stateEbbT6_jjT7_P12ihipStream_tbENKUlT_T0_SI_SN_E_clISD_PtSD_S15_EEDaS11_S12_SI_SN_EUlS11_E_NS1_11comp_targetILNS1_3genE10ELNS1_11target_archE1201ELNS1_3gpuE5ELNS1_3repE0EEENS1_47radix_sort_onesweep_sort_config_static_selectorELNS0_4arch9wavefront6targetE1EEEvSI_.has_indirect_call, 0
	.section	.AMDGPU.csdata,"",@progbits
; Kernel info:
; codeLenInByte = 0
; TotalNumSgprs: 6
; NumVgprs: 0
; NumAgprs: 0
; TotalNumVgprs: 0
; ScratchSize: 0
; MemoryBound: 0
; FloatMode: 240
; IeeeMode: 1
; LDSByteSize: 0 bytes/workgroup (compile time only)
; SGPRBlocks: 0
; VGPRBlocks: 0
; NumSGPRsForWavesPerEU: 6
; NumVGPRsForWavesPerEU: 1
; AccumOffset: 4
; Occupancy: 8
; WaveLimiterHint : 0
; COMPUTE_PGM_RSRC2:SCRATCH_EN: 0
; COMPUTE_PGM_RSRC2:USER_SGPR: 2
; COMPUTE_PGM_RSRC2:TRAP_HANDLER: 0
; COMPUTE_PGM_RSRC2:TGID_X_EN: 1
; COMPUTE_PGM_RSRC2:TGID_Y_EN: 0
; COMPUTE_PGM_RSRC2:TGID_Z_EN: 0
; COMPUTE_PGM_RSRC2:TIDIG_COMP_CNT: 0
; COMPUTE_PGM_RSRC3_GFX90A:ACCUM_OFFSET: 0
; COMPUTE_PGM_RSRC3_GFX90A:TG_SPLIT: 0
	.section	.text._ZN7rocprim17ROCPRIM_400000_NS6detail17trampoline_kernelINS0_14default_configENS1_35radix_sort_onesweep_config_selectorIttEEZZNS1_29radix_sort_onesweep_iterationIS3_Lb0EN6thrust23THRUST_200600_302600_NS6detail15normal_iteratorINS8_10device_ptrItEEEESD_SD_SD_jNS0_19identity_decomposerENS1_16block_id_wrapperIjLb0EEEEE10hipError_tT1_PNSt15iterator_traitsISI_E10value_typeET2_T3_PNSJ_ISO_E10value_typeET4_T5_PST_SU_PNS1_23onesweep_lookback_stateEbbT6_jjT7_P12ihipStream_tbENKUlT_T0_SI_SN_E_clISD_PtSD_S15_EEDaS11_S12_SI_SN_EUlS11_E_NS1_11comp_targetILNS1_3genE9ELNS1_11target_archE1100ELNS1_3gpuE3ELNS1_3repE0EEENS1_47radix_sort_onesweep_sort_config_static_selectorELNS0_4arch9wavefront6targetE1EEEvSI_,"axG",@progbits,_ZN7rocprim17ROCPRIM_400000_NS6detail17trampoline_kernelINS0_14default_configENS1_35radix_sort_onesweep_config_selectorIttEEZZNS1_29radix_sort_onesweep_iterationIS3_Lb0EN6thrust23THRUST_200600_302600_NS6detail15normal_iteratorINS8_10device_ptrItEEEESD_SD_SD_jNS0_19identity_decomposerENS1_16block_id_wrapperIjLb0EEEEE10hipError_tT1_PNSt15iterator_traitsISI_E10value_typeET2_T3_PNSJ_ISO_E10value_typeET4_T5_PST_SU_PNS1_23onesweep_lookback_stateEbbT6_jjT7_P12ihipStream_tbENKUlT_T0_SI_SN_E_clISD_PtSD_S15_EEDaS11_S12_SI_SN_EUlS11_E_NS1_11comp_targetILNS1_3genE9ELNS1_11target_archE1100ELNS1_3gpuE3ELNS1_3repE0EEENS1_47radix_sort_onesweep_sort_config_static_selectorELNS0_4arch9wavefront6targetE1EEEvSI_,comdat
	.protected	_ZN7rocprim17ROCPRIM_400000_NS6detail17trampoline_kernelINS0_14default_configENS1_35radix_sort_onesweep_config_selectorIttEEZZNS1_29radix_sort_onesweep_iterationIS3_Lb0EN6thrust23THRUST_200600_302600_NS6detail15normal_iteratorINS8_10device_ptrItEEEESD_SD_SD_jNS0_19identity_decomposerENS1_16block_id_wrapperIjLb0EEEEE10hipError_tT1_PNSt15iterator_traitsISI_E10value_typeET2_T3_PNSJ_ISO_E10value_typeET4_T5_PST_SU_PNS1_23onesweep_lookback_stateEbbT6_jjT7_P12ihipStream_tbENKUlT_T0_SI_SN_E_clISD_PtSD_S15_EEDaS11_S12_SI_SN_EUlS11_E_NS1_11comp_targetILNS1_3genE9ELNS1_11target_archE1100ELNS1_3gpuE3ELNS1_3repE0EEENS1_47radix_sort_onesweep_sort_config_static_selectorELNS0_4arch9wavefront6targetE1EEEvSI_ ; -- Begin function _ZN7rocprim17ROCPRIM_400000_NS6detail17trampoline_kernelINS0_14default_configENS1_35radix_sort_onesweep_config_selectorIttEEZZNS1_29radix_sort_onesweep_iterationIS3_Lb0EN6thrust23THRUST_200600_302600_NS6detail15normal_iteratorINS8_10device_ptrItEEEESD_SD_SD_jNS0_19identity_decomposerENS1_16block_id_wrapperIjLb0EEEEE10hipError_tT1_PNSt15iterator_traitsISI_E10value_typeET2_T3_PNSJ_ISO_E10value_typeET4_T5_PST_SU_PNS1_23onesweep_lookback_stateEbbT6_jjT7_P12ihipStream_tbENKUlT_T0_SI_SN_E_clISD_PtSD_S15_EEDaS11_S12_SI_SN_EUlS11_E_NS1_11comp_targetILNS1_3genE9ELNS1_11target_archE1100ELNS1_3gpuE3ELNS1_3repE0EEENS1_47radix_sort_onesweep_sort_config_static_selectorELNS0_4arch9wavefront6targetE1EEEvSI_
	.globl	_ZN7rocprim17ROCPRIM_400000_NS6detail17trampoline_kernelINS0_14default_configENS1_35radix_sort_onesweep_config_selectorIttEEZZNS1_29radix_sort_onesweep_iterationIS3_Lb0EN6thrust23THRUST_200600_302600_NS6detail15normal_iteratorINS8_10device_ptrItEEEESD_SD_SD_jNS0_19identity_decomposerENS1_16block_id_wrapperIjLb0EEEEE10hipError_tT1_PNSt15iterator_traitsISI_E10value_typeET2_T3_PNSJ_ISO_E10value_typeET4_T5_PST_SU_PNS1_23onesweep_lookback_stateEbbT6_jjT7_P12ihipStream_tbENKUlT_T0_SI_SN_E_clISD_PtSD_S15_EEDaS11_S12_SI_SN_EUlS11_E_NS1_11comp_targetILNS1_3genE9ELNS1_11target_archE1100ELNS1_3gpuE3ELNS1_3repE0EEENS1_47radix_sort_onesweep_sort_config_static_selectorELNS0_4arch9wavefront6targetE1EEEvSI_
	.p2align	8
	.type	_ZN7rocprim17ROCPRIM_400000_NS6detail17trampoline_kernelINS0_14default_configENS1_35radix_sort_onesweep_config_selectorIttEEZZNS1_29radix_sort_onesweep_iterationIS3_Lb0EN6thrust23THRUST_200600_302600_NS6detail15normal_iteratorINS8_10device_ptrItEEEESD_SD_SD_jNS0_19identity_decomposerENS1_16block_id_wrapperIjLb0EEEEE10hipError_tT1_PNSt15iterator_traitsISI_E10value_typeET2_T3_PNSJ_ISO_E10value_typeET4_T5_PST_SU_PNS1_23onesweep_lookback_stateEbbT6_jjT7_P12ihipStream_tbENKUlT_T0_SI_SN_E_clISD_PtSD_S15_EEDaS11_S12_SI_SN_EUlS11_E_NS1_11comp_targetILNS1_3genE9ELNS1_11target_archE1100ELNS1_3gpuE3ELNS1_3repE0EEENS1_47radix_sort_onesweep_sort_config_static_selectorELNS0_4arch9wavefront6targetE1EEEvSI_,@function
_ZN7rocprim17ROCPRIM_400000_NS6detail17trampoline_kernelINS0_14default_configENS1_35radix_sort_onesweep_config_selectorIttEEZZNS1_29radix_sort_onesweep_iterationIS3_Lb0EN6thrust23THRUST_200600_302600_NS6detail15normal_iteratorINS8_10device_ptrItEEEESD_SD_SD_jNS0_19identity_decomposerENS1_16block_id_wrapperIjLb0EEEEE10hipError_tT1_PNSt15iterator_traitsISI_E10value_typeET2_T3_PNSJ_ISO_E10value_typeET4_T5_PST_SU_PNS1_23onesweep_lookback_stateEbbT6_jjT7_P12ihipStream_tbENKUlT_T0_SI_SN_E_clISD_PtSD_S15_EEDaS11_S12_SI_SN_EUlS11_E_NS1_11comp_targetILNS1_3genE9ELNS1_11target_archE1100ELNS1_3gpuE3ELNS1_3repE0EEENS1_47radix_sort_onesweep_sort_config_static_selectorELNS0_4arch9wavefront6targetE1EEEvSI_: ; @_ZN7rocprim17ROCPRIM_400000_NS6detail17trampoline_kernelINS0_14default_configENS1_35radix_sort_onesweep_config_selectorIttEEZZNS1_29radix_sort_onesweep_iterationIS3_Lb0EN6thrust23THRUST_200600_302600_NS6detail15normal_iteratorINS8_10device_ptrItEEEESD_SD_SD_jNS0_19identity_decomposerENS1_16block_id_wrapperIjLb0EEEEE10hipError_tT1_PNSt15iterator_traitsISI_E10value_typeET2_T3_PNSJ_ISO_E10value_typeET4_T5_PST_SU_PNS1_23onesweep_lookback_stateEbbT6_jjT7_P12ihipStream_tbENKUlT_T0_SI_SN_E_clISD_PtSD_S15_EEDaS11_S12_SI_SN_EUlS11_E_NS1_11comp_targetILNS1_3genE9ELNS1_11target_archE1100ELNS1_3gpuE3ELNS1_3repE0EEENS1_47radix_sort_onesweep_sort_config_static_selectorELNS0_4arch9wavefront6targetE1EEEvSI_
; %bb.0:
	.section	.rodata,"a",@progbits
	.p2align	6, 0x0
	.amdhsa_kernel _ZN7rocprim17ROCPRIM_400000_NS6detail17trampoline_kernelINS0_14default_configENS1_35radix_sort_onesweep_config_selectorIttEEZZNS1_29radix_sort_onesweep_iterationIS3_Lb0EN6thrust23THRUST_200600_302600_NS6detail15normal_iteratorINS8_10device_ptrItEEEESD_SD_SD_jNS0_19identity_decomposerENS1_16block_id_wrapperIjLb0EEEEE10hipError_tT1_PNSt15iterator_traitsISI_E10value_typeET2_T3_PNSJ_ISO_E10value_typeET4_T5_PST_SU_PNS1_23onesweep_lookback_stateEbbT6_jjT7_P12ihipStream_tbENKUlT_T0_SI_SN_E_clISD_PtSD_S15_EEDaS11_S12_SI_SN_EUlS11_E_NS1_11comp_targetILNS1_3genE9ELNS1_11target_archE1100ELNS1_3gpuE3ELNS1_3repE0EEENS1_47radix_sort_onesweep_sort_config_static_selectorELNS0_4arch9wavefront6targetE1EEEvSI_
		.amdhsa_group_segment_fixed_size 0
		.amdhsa_private_segment_fixed_size 0
		.amdhsa_kernarg_size 88
		.amdhsa_user_sgpr_count 2
		.amdhsa_user_sgpr_dispatch_ptr 0
		.amdhsa_user_sgpr_queue_ptr 0
		.amdhsa_user_sgpr_kernarg_segment_ptr 1
		.amdhsa_user_sgpr_dispatch_id 0
		.amdhsa_user_sgpr_kernarg_preload_length 0
		.amdhsa_user_sgpr_kernarg_preload_offset 0
		.amdhsa_user_sgpr_private_segment_size 0
		.amdhsa_uses_dynamic_stack 0
		.amdhsa_enable_private_segment 0
		.amdhsa_system_sgpr_workgroup_id_x 1
		.amdhsa_system_sgpr_workgroup_id_y 0
		.amdhsa_system_sgpr_workgroup_id_z 0
		.amdhsa_system_sgpr_workgroup_info 0
		.amdhsa_system_vgpr_workitem_id 0
		.amdhsa_next_free_vgpr 1
		.amdhsa_next_free_sgpr 0
		.amdhsa_accum_offset 4
		.amdhsa_reserve_vcc 0
		.amdhsa_float_round_mode_32 0
		.amdhsa_float_round_mode_16_64 0
		.amdhsa_float_denorm_mode_32 3
		.amdhsa_float_denorm_mode_16_64 3
		.amdhsa_dx10_clamp 1
		.amdhsa_ieee_mode 1
		.amdhsa_fp16_overflow 0
		.amdhsa_tg_split 0
		.amdhsa_exception_fp_ieee_invalid_op 0
		.amdhsa_exception_fp_denorm_src 0
		.amdhsa_exception_fp_ieee_div_zero 0
		.amdhsa_exception_fp_ieee_overflow 0
		.amdhsa_exception_fp_ieee_underflow 0
		.amdhsa_exception_fp_ieee_inexact 0
		.amdhsa_exception_int_div_zero 0
	.end_amdhsa_kernel
	.section	.text._ZN7rocprim17ROCPRIM_400000_NS6detail17trampoline_kernelINS0_14default_configENS1_35radix_sort_onesweep_config_selectorIttEEZZNS1_29radix_sort_onesweep_iterationIS3_Lb0EN6thrust23THRUST_200600_302600_NS6detail15normal_iteratorINS8_10device_ptrItEEEESD_SD_SD_jNS0_19identity_decomposerENS1_16block_id_wrapperIjLb0EEEEE10hipError_tT1_PNSt15iterator_traitsISI_E10value_typeET2_T3_PNSJ_ISO_E10value_typeET4_T5_PST_SU_PNS1_23onesweep_lookback_stateEbbT6_jjT7_P12ihipStream_tbENKUlT_T0_SI_SN_E_clISD_PtSD_S15_EEDaS11_S12_SI_SN_EUlS11_E_NS1_11comp_targetILNS1_3genE9ELNS1_11target_archE1100ELNS1_3gpuE3ELNS1_3repE0EEENS1_47radix_sort_onesweep_sort_config_static_selectorELNS0_4arch9wavefront6targetE1EEEvSI_,"axG",@progbits,_ZN7rocprim17ROCPRIM_400000_NS6detail17trampoline_kernelINS0_14default_configENS1_35radix_sort_onesweep_config_selectorIttEEZZNS1_29radix_sort_onesweep_iterationIS3_Lb0EN6thrust23THRUST_200600_302600_NS6detail15normal_iteratorINS8_10device_ptrItEEEESD_SD_SD_jNS0_19identity_decomposerENS1_16block_id_wrapperIjLb0EEEEE10hipError_tT1_PNSt15iterator_traitsISI_E10value_typeET2_T3_PNSJ_ISO_E10value_typeET4_T5_PST_SU_PNS1_23onesweep_lookback_stateEbbT6_jjT7_P12ihipStream_tbENKUlT_T0_SI_SN_E_clISD_PtSD_S15_EEDaS11_S12_SI_SN_EUlS11_E_NS1_11comp_targetILNS1_3genE9ELNS1_11target_archE1100ELNS1_3gpuE3ELNS1_3repE0EEENS1_47radix_sort_onesweep_sort_config_static_selectorELNS0_4arch9wavefront6targetE1EEEvSI_,comdat
.Lfunc_end1017:
	.size	_ZN7rocprim17ROCPRIM_400000_NS6detail17trampoline_kernelINS0_14default_configENS1_35radix_sort_onesweep_config_selectorIttEEZZNS1_29radix_sort_onesweep_iterationIS3_Lb0EN6thrust23THRUST_200600_302600_NS6detail15normal_iteratorINS8_10device_ptrItEEEESD_SD_SD_jNS0_19identity_decomposerENS1_16block_id_wrapperIjLb0EEEEE10hipError_tT1_PNSt15iterator_traitsISI_E10value_typeET2_T3_PNSJ_ISO_E10value_typeET4_T5_PST_SU_PNS1_23onesweep_lookback_stateEbbT6_jjT7_P12ihipStream_tbENKUlT_T0_SI_SN_E_clISD_PtSD_S15_EEDaS11_S12_SI_SN_EUlS11_E_NS1_11comp_targetILNS1_3genE9ELNS1_11target_archE1100ELNS1_3gpuE3ELNS1_3repE0EEENS1_47radix_sort_onesweep_sort_config_static_selectorELNS0_4arch9wavefront6targetE1EEEvSI_, .Lfunc_end1017-_ZN7rocprim17ROCPRIM_400000_NS6detail17trampoline_kernelINS0_14default_configENS1_35radix_sort_onesweep_config_selectorIttEEZZNS1_29radix_sort_onesweep_iterationIS3_Lb0EN6thrust23THRUST_200600_302600_NS6detail15normal_iteratorINS8_10device_ptrItEEEESD_SD_SD_jNS0_19identity_decomposerENS1_16block_id_wrapperIjLb0EEEEE10hipError_tT1_PNSt15iterator_traitsISI_E10value_typeET2_T3_PNSJ_ISO_E10value_typeET4_T5_PST_SU_PNS1_23onesweep_lookback_stateEbbT6_jjT7_P12ihipStream_tbENKUlT_T0_SI_SN_E_clISD_PtSD_S15_EEDaS11_S12_SI_SN_EUlS11_E_NS1_11comp_targetILNS1_3genE9ELNS1_11target_archE1100ELNS1_3gpuE3ELNS1_3repE0EEENS1_47radix_sort_onesweep_sort_config_static_selectorELNS0_4arch9wavefront6targetE1EEEvSI_
                                        ; -- End function
	.set _ZN7rocprim17ROCPRIM_400000_NS6detail17trampoline_kernelINS0_14default_configENS1_35radix_sort_onesweep_config_selectorIttEEZZNS1_29radix_sort_onesweep_iterationIS3_Lb0EN6thrust23THRUST_200600_302600_NS6detail15normal_iteratorINS8_10device_ptrItEEEESD_SD_SD_jNS0_19identity_decomposerENS1_16block_id_wrapperIjLb0EEEEE10hipError_tT1_PNSt15iterator_traitsISI_E10value_typeET2_T3_PNSJ_ISO_E10value_typeET4_T5_PST_SU_PNS1_23onesweep_lookback_stateEbbT6_jjT7_P12ihipStream_tbENKUlT_T0_SI_SN_E_clISD_PtSD_S15_EEDaS11_S12_SI_SN_EUlS11_E_NS1_11comp_targetILNS1_3genE9ELNS1_11target_archE1100ELNS1_3gpuE3ELNS1_3repE0EEENS1_47radix_sort_onesweep_sort_config_static_selectorELNS0_4arch9wavefront6targetE1EEEvSI_.num_vgpr, 0
	.set _ZN7rocprim17ROCPRIM_400000_NS6detail17trampoline_kernelINS0_14default_configENS1_35radix_sort_onesweep_config_selectorIttEEZZNS1_29radix_sort_onesweep_iterationIS3_Lb0EN6thrust23THRUST_200600_302600_NS6detail15normal_iteratorINS8_10device_ptrItEEEESD_SD_SD_jNS0_19identity_decomposerENS1_16block_id_wrapperIjLb0EEEEE10hipError_tT1_PNSt15iterator_traitsISI_E10value_typeET2_T3_PNSJ_ISO_E10value_typeET4_T5_PST_SU_PNS1_23onesweep_lookback_stateEbbT6_jjT7_P12ihipStream_tbENKUlT_T0_SI_SN_E_clISD_PtSD_S15_EEDaS11_S12_SI_SN_EUlS11_E_NS1_11comp_targetILNS1_3genE9ELNS1_11target_archE1100ELNS1_3gpuE3ELNS1_3repE0EEENS1_47radix_sort_onesweep_sort_config_static_selectorELNS0_4arch9wavefront6targetE1EEEvSI_.num_agpr, 0
	.set _ZN7rocprim17ROCPRIM_400000_NS6detail17trampoline_kernelINS0_14default_configENS1_35radix_sort_onesweep_config_selectorIttEEZZNS1_29radix_sort_onesweep_iterationIS3_Lb0EN6thrust23THRUST_200600_302600_NS6detail15normal_iteratorINS8_10device_ptrItEEEESD_SD_SD_jNS0_19identity_decomposerENS1_16block_id_wrapperIjLb0EEEEE10hipError_tT1_PNSt15iterator_traitsISI_E10value_typeET2_T3_PNSJ_ISO_E10value_typeET4_T5_PST_SU_PNS1_23onesweep_lookback_stateEbbT6_jjT7_P12ihipStream_tbENKUlT_T0_SI_SN_E_clISD_PtSD_S15_EEDaS11_S12_SI_SN_EUlS11_E_NS1_11comp_targetILNS1_3genE9ELNS1_11target_archE1100ELNS1_3gpuE3ELNS1_3repE0EEENS1_47radix_sort_onesweep_sort_config_static_selectorELNS0_4arch9wavefront6targetE1EEEvSI_.numbered_sgpr, 0
	.set _ZN7rocprim17ROCPRIM_400000_NS6detail17trampoline_kernelINS0_14default_configENS1_35radix_sort_onesweep_config_selectorIttEEZZNS1_29radix_sort_onesweep_iterationIS3_Lb0EN6thrust23THRUST_200600_302600_NS6detail15normal_iteratorINS8_10device_ptrItEEEESD_SD_SD_jNS0_19identity_decomposerENS1_16block_id_wrapperIjLb0EEEEE10hipError_tT1_PNSt15iterator_traitsISI_E10value_typeET2_T3_PNSJ_ISO_E10value_typeET4_T5_PST_SU_PNS1_23onesweep_lookback_stateEbbT6_jjT7_P12ihipStream_tbENKUlT_T0_SI_SN_E_clISD_PtSD_S15_EEDaS11_S12_SI_SN_EUlS11_E_NS1_11comp_targetILNS1_3genE9ELNS1_11target_archE1100ELNS1_3gpuE3ELNS1_3repE0EEENS1_47radix_sort_onesweep_sort_config_static_selectorELNS0_4arch9wavefront6targetE1EEEvSI_.num_named_barrier, 0
	.set _ZN7rocprim17ROCPRIM_400000_NS6detail17trampoline_kernelINS0_14default_configENS1_35radix_sort_onesweep_config_selectorIttEEZZNS1_29radix_sort_onesweep_iterationIS3_Lb0EN6thrust23THRUST_200600_302600_NS6detail15normal_iteratorINS8_10device_ptrItEEEESD_SD_SD_jNS0_19identity_decomposerENS1_16block_id_wrapperIjLb0EEEEE10hipError_tT1_PNSt15iterator_traitsISI_E10value_typeET2_T3_PNSJ_ISO_E10value_typeET4_T5_PST_SU_PNS1_23onesweep_lookback_stateEbbT6_jjT7_P12ihipStream_tbENKUlT_T0_SI_SN_E_clISD_PtSD_S15_EEDaS11_S12_SI_SN_EUlS11_E_NS1_11comp_targetILNS1_3genE9ELNS1_11target_archE1100ELNS1_3gpuE3ELNS1_3repE0EEENS1_47radix_sort_onesweep_sort_config_static_selectorELNS0_4arch9wavefront6targetE1EEEvSI_.private_seg_size, 0
	.set _ZN7rocprim17ROCPRIM_400000_NS6detail17trampoline_kernelINS0_14default_configENS1_35radix_sort_onesweep_config_selectorIttEEZZNS1_29radix_sort_onesweep_iterationIS3_Lb0EN6thrust23THRUST_200600_302600_NS6detail15normal_iteratorINS8_10device_ptrItEEEESD_SD_SD_jNS0_19identity_decomposerENS1_16block_id_wrapperIjLb0EEEEE10hipError_tT1_PNSt15iterator_traitsISI_E10value_typeET2_T3_PNSJ_ISO_E10value_typeET4_T5_PST_SU_PNS1_23onesweep_lookback_stateEbbT6_jjT7_P12ihipStream_tbENKUlT_T0_SI_SN_E_clISD_PtSD_S15_EEDaS11_S12_SI_SN_EUlS11_E_NS1_11comp_targetILNS1_3genE9ELNS1_11target_archE1100ELNS1_3gpuE3ELNS1_3repE0EEENS1_47radix_sort_onesweep_sort_config_static_selectorELNS0_4arch9wavefront6targetE1EEEvSI_.uses_vcc, 0
	.set _ZN7rocprim17ROCPRIM_400000_NS6detail17trampoline_kernelINS0_14default_configENS1_35radix_sort_onesweep_config_selectorIttEEZZNS1_29radix_sort_onesweep_iterationIS3_Lb0EN6thrust23THRUST_200600_302600_NS6detail15normal_iteratorINS8_10device_ptrItEEEESD_SD_SD_jNS0_19identity_decomposerENS1_16block_id_wrapperIjLb0EEEEE10hipError_tT1_PNSt15iterator_traitsISI_E10value_typeET2_T3_PNSJ_ISO_E10value_typeET4_T5_PST_SU_PNS1_23onesweep_lookback_stateEbbT6_jjT7_P12ihipStream_tbENKUlT_T0_SI_SN_E_clISD_PtSD_S15_EEDaS11_S12_SI_SN_EUlS11_E_NS1_11comp_targetILNS1_3genE9ELNS1_11target_archE1100ELNS1_3gpuE3ELNS1_3repE0EEENS1_47radix_sort_onesweep_sort_config_static_selectorELNS0_4arch9wavefront6targetE1EEEvSI_.uses_flat_scratch, 0
	.set _ZN7rocprim17ROCPRIM_400000_NS6detail17trampoline_kernelINS0_14default_configENS1_35radix_sort_onesweep_config_selectorIttEEZZNS1_29radix_sort_onesweep_iterationIS3_Lb0EN6thrust23THRUST_200600_302600_NS6detail15normal_iteratorINS8_10device_ptrItEEEESD_SD_SD_jNS0_19identity_decomposerENS1_16block_id_wrapperIjLb0EEEEE10hipError_tT1_PNSt15iterator_traitsISI_E10value_typeET2_T3_PNSJ_ISO_E10value_typeET4_T5_PST_SU_PNS1_23onesweep_lookback_stateEbbT6_jjT7_P12ihipStream_tbENKUlT_T0_SI_SN_E_clISD_PtSD_S15_EEDaS11_S12_SI_SN_EUlS11_E_NS1_11comp_targetILNS1_3genE9ELNS1_11target_archE1100ELNS1_3gpuE3ELNS1_3repE0EEENS1_47radix_sort_onesweep_sort_config_static_selectorELNS0_4arch9wavefront6targetE1EEEvSI_.has_dyn_sized_stack, 0
	.set _ZN7rocprim17ROCPRIM_400000_NS6detail17trampoline_kernelINS0_14default_configENS1_35radix_sort_onesweep_config_selectorIttEEZZNS1_29radix_sort_onesweep_iterationIS3_Lb0EN6thrust23THRUST_200600_302600_NS6detail15normal_iteratorINS8_10device_ptrItEEEESD_SD_SD_jNS0_19identity_decomposerENS1_16block_id_wrapperIjLb0EEEEE10hipError_tT1_PNSt15iterator_traitsISI_E10value_typeET2_T3_PNSJ_ISO_E10value_typeET4_T5_PST_SU_PNS1_23onesweep_lookback_stateEbbT6_jjT7_P12ihipStream_tbENKUlT_T0_SI_SN_E_clISD_PtSD_S15_EEDaS11_S12_SI_SN_EUlS11_E_NS1_11comp_targetILNS1_3genE9ELNS1_11target_archE1100ELNS1_3gpuE3ELNS1_3repE0EEENS1_47radix_sort_onesweep_sort_config_static_selectorELNS0_4arch9wavefront6targetE1EEEvSI_.has_recursion, 0
	.set _ZN7rocprim17ROCPRIM_400000_NS6detail17trampoline_kernelINS0_14default_configENS1_35radix_sort_onesweep_config_selectorIttEEZZNS1_29radix_sort_onesweep_iterationIS3_Lb0EN6thrust23THRUST_200600_302600_NS6detail15normal_iteratorINS8_10device_ptrItEEEESD_SD_SD_jNS0_19identity_decomposerENS1_16block_id_wrapperIjLb0EEEEE10hipError_tT1_PNSt15iterator_traitsISI_E10value_typeET2_T3_PNSJ_ISO_E10value_typeET4_T5_PST_SU_PNS1_23onesweep_lookback_stateEbbT6_jjT7_P12ihipStream_tbENKUlT_T0_SI_SN_E_clISD_PtSD_S15_EEDaS11_S12_SI_SN_EUlS11_E_NS1_11comp_targetILNS1_3genE9ELNS1_11target_archE1100ELNS1_3gpuE3ELNS1_3repE0EEENS1_47radix_sort_onesweep_sort_config_static_selectorELNS0_4arch9wavefront6targetE1EEEvSI_.has_indirect_call, 0
	.section	.AMDGPU.csdata,"",@progbits
; Kernel info:
; codeLenInByte = 0
; TotalNumSgprs: 6
; NumVgprs: 0
; NumAgprs: 0
; TotalNumVgprs: 0
; ScratchSize: 0
; MemoryBound: 0
; FloatMode: 240
; IeeeMode: 1
; LDSByteSize: 0 bytes/workgroup (compile time only)
; SGPRBlocks: 0
; VGPRBlocks: 0
; NumSGPRsForWavesPerEU: 6
; NumVGPRsForWavesPerEU: 1
; AccumOffset: 4
; Occupancy: 8
; WaveLimiterHint : 0
; COMPUTE_PGM_RSRC2:SCRATCH_EN: 0
; COMPUTE_PGM_RSRC2:USER_SGPR: 2
; COMPUTE_PGM_RSRC2:TRAP_HANDLER: 0
; COMPUTE_PGM_RSRC2:TGID_X_EN: 1
; COMPUTE_PGM_RSRC2:TGID_Y_EN: 0
; COMPUTE_PGM_RSRC2:TGID_Z_EN: 0
; COMPUTE_PGM_RSRC2:TIDIG_COMP_CNT: 0
; COMPUTE_PGM_RSRC3_GFX90A:ACCUM_OFFSET: 0
; COMPUTE_PGM_RSRC3_GFX90A:TG_SPLIT: 0
	.section	.text._ZN7rocprim17ROCPRIM_400000_NS6detail17trampoline_kernelINS0_14default_configENS1_35radix_sort_onesweep_config_selectorIttEEZZNS1_29radix_sort_onesweep_iterationIS3_Lb0EN6thrust23THRUST_200600_302600_NS6detail15normal_iteratorINS8_10device_ptrItEEEESD_SD_SD_jNS0_19identity_decomposerENS1_16block_id_wrapperIjLb0EEEEE10hipError_tT1_PNSt15iterator_traitsISI_E10value_typeET2_T3_PNSJ_ISO_E10value_typeET4_T5_PST_SU_PNS1_23onesweep_lookback_stateEbbT6_jjT7_P12ihipStream_tbENKUlT_T0_SI_SN_E_clISD_PtSD_S15_EEDaS11_S12_SI_SN_EUlS11_E_NS1_11comp_targetILNS1_3genE8ELNS1_11target_archE1030ELNS1_3gpuE2ELNS1_3repE0EEENS1_47radix_sort_onesweep_sort_config_static_selectorELNS0_4arch9wavefront6targetE1EEEvSI_,"axG",@progbits,_ZN7rocprim17ROCPRIM_400000_NS6detail17trampoline_kernelINS0_14default_configENS1_35radix_sort_onesweep_config_selectorIttEEZZNS1_29radix_sort_onesweep_iterationIS3_Lb0EN6thrust23THRUST_200600_302600_NS6detail15normal_iteratorINS8_10device_ptrItEEEESD_SD_SD_jNS0_19identity_decomposerENS1_16block_id_wrapperIjLb0EEEEE10hipError_tT1_PNSt15iterator_traitsISI_E10value_typeET2_T3_PNSJ_ISO_E10value_typeET4_T5_PST_SU_PNS1_23onesweep_lookback_stateEbbT6_jjT7_P12ihipStream_tbENKUlT_T0_SI_SN_E_clISD_PtSD_S15_EEDaS11_S12_SI_SN_EUlS11_E_NS1_11comp_targetILNS1_3genE8ELNS1_11target_archE1030ELNS1_3gpuE2ELNS1_3repE0EEENS1_47radix_sort_onesweep_sort_config_static_selectorELNS0_4arch9wavefront6targetE1EEEvSI_,comdat
	.protected	_ZN7rocprim17ROCPRIM_400000_NS6detail17trampoline_kernelINS0_14default_configENS1_35radix_sort_onesweep_config_selectorIttEEZZNS1_29radix_sort_onesweep_iterationIS3_Lb0EN6thrust23THRUST_200600_302600_NS6detail15normal_iteratorINS8_10device_ptrItEEEESD_SD_SD_jNS0_19identity_decomposerENS1_16block_id_wrapperIjLb0EEEEE10hipError_tT1_PNSt15iterator_traitsISI_E10value_typeET2_T3_PNSJ_ISO_E10value_typeET4_T5_PST_SU_PNS1_23onesweep_lookback_stateEbbT6_jjT7_P12ihipStream_tbENKUlT_T0_SI_SN_E_clISD_PtSD_S15_EEDaS11_S12_SI_SN_EUlS11_E_NS1_11comp_targetILNS1_3genE8ELNS1_11target_archE1030ELNS1_3gpuE2ELNS1_3repE0EEENS1_47radix_sort_onesweep_sort_config_static_selectorELNS0_4arch9wavefront6targetE1EEEvSI_ ; -- Begin function _ZN7rocprim17ROCPRIM_400000_NS6detail17trampoline_kernelINS0_14default_configENS1_35radix_sort_onesweep_config_selectorIttEEZZNS1_29radix_sort_onesweep_iterationIS3_Lb0EN6thrust23THRUST_200600_302600_NS6detail15normal_iteratorINS8_10device_ptrItEEEESD_SD_SD_jNS0_19identity_decomposerENS1_16block_id_wrapperIjLb0EEEEE10hipError_tT1_PNSt15iterator_traitsISI_E10value_typeET2_T3_PNSJ_ISO_E10value_typeET4_T5_PST_SU_PNS1_23onesweep_lookback_stateEbbT6_jjT7_P12ihipStream_tbENKUlT_T0_SI_SN_E_clISD_PtSD_S15_EEDaS11_S12_SI_SN_EUlS11_E_NS1_11comp_targetILNS1_3genE8ELNS1_11target_archE1030ELNS1_3gpuE2ELNS1_3repE0EEENS1_47radix_sort_onesweep_sort_config_static_selectorELNS0_4arch9wavefront6targetE1EEEvSI_
	.globl	_ZN7rocprim17ROCPRIM_400000_NS6detail17trampoline_kernelINS0_14default_configENS1_35radix_sort_onesweep_config_selectorIttEEZZNS1_29radix_sort_onesweep_iterationIS3_Lb0EN6thrust23THRUST_200600_302600_NS6detail15normal_iteratorINS8_10device_ptrItEEEESD_SD_SD_jNS0_19identity_decomposerENS1_16block_id_wrapperIjLb0EEEEE10hipError_tT1_PNSt15iterator_traitsISI_E10value_typeET2_T3_PNSJ_ISO_E10value_typeET4_T5_PST_SU_PNS1_23onesweep_lookback_stateEbbT6_jjT7_P12ihipStream_tbENKUlT_T0_SI_SN_E_clISD_PtSD_S15_EEDaS11_S12_SI_SN_EUlS11_E_NS1_11comp_targetILNS1_3genE8ELNS1_11target_archE1030ELNS1_3gpuE2ELNS1_3repE0EEENS1_47radix_sort_onesweep_sort_config_static_selectorELNS0_4arch9wavefront6targetE1EEEvSI_
	.p2align	8
	.type	_ZN7rocprim17ROCPRIM_400000_NS6detail17trampoline_kernelINS0_14default_configENS1_35radix_sort_onesweep_config_selectorIttEEZZNS1_29radix_sort_onesweep_iterationIS3_Lb0EN6thrust23THRUST_200600_302600_NS6detail15normal_iteratorINS8_10device_ptrItEEEESD_SD_SD_jNS0_19identity_decomposerENS1_16block_id_wrapperIjLb0EEEEE10hipError_tT1_PNSt15iterator_traitsISI_E10value_typeET2_T3_PNSJ_ISO_E10value_typeET4_T5_PST_SU_PNS1_23onesweep_lookback_stateEbbT6_jjT7_P12ihipStream_tbENKUlT_T0_SI_SN_E_clISD_PtSD_S15_EEDaS11_S12_SI_SN_EUlS11_E_NS1_11comp_targetILNS1_3genE8ELNS1_11target_archE1030ELNS1_3gpuE2ELNS1_3repE0EEENS1_47radix_sort_onesweep_sort_config_static_selectorELNS0_4arch9wavefront6targetE1EEEvSI_,@function
_ZN7rocprim17ROCPRIM_400000_NS6detail17trampoline_kernelINS0_14default_configENS1_35radix_sort_onesweep_config_selectorIttEEZZNS1_29radix_sort_onesweep_iterationIS3_Lb0EN6thrust23THRUST_200600_302600_NS6detail15normal_iteratorINS8_10device_ptrItEEEESD_SD_SD_jNS0_19identity_decomposerENS1_16block_id_wrapperIjLb0EEEEE10hipError_tT1_PNSt15iterator_traitsISI_E10value_typeET2_T3_PNSJ_ISO_E10value_typeET4_T5_PST_SU_PNS1_23onesweep_lookback_stateEbbT6_jjT7_P12ihipStream_tbENKUlT_T0_SI_SN_E_clISD_PtSD_S15_EEDaS11_S12_SI_SN_EUlS11_E_NS1_11comp_targetILNS1_3genE8ELNS1_11target_archE1030ELNS1_3gpuE2ELNS1_3repE0EEENS1_47radix_sort_onesweep_sort_config_static_selectorELNS0_4arch9wavefront6targetE1EEEvSI_: ; @_ZN7rocprim17ROCPRIM_400000_NS6detail17trampoline_kernelINS0_14default_configENS1_35radix_sort_onesweep_config_selectorIttEEZZNS1_29radix_sort_onesweep_iterationIS3_Lb0EN6thrust23THRUST_200600_302600_NS6detail15normal_iteratorINS8_10device_ptrItEEEESD_SD_SD_jNS0_19identity_decomposerENS1_16block_id_wrapperIjLb0EEEEE10hipError_tT1_PNSt15iterator_traitsISI_E10value_typeET2_T3_PNSJ_ISO_E10value_typeET4_T5_PST_SU_PNS1_23onesweep_lookback_stateEbbT6_jjT7_P12ihipStream_tbENKUlT_T0_SI_SN_E_clISD_PtSD_S15_EEDaS11_S12_SI_SN_EUlS11_E_NS1_11comp_targetILNS1_3genE8ELNS1_11target_archE1030ELNS1_3gpuE2ELNS1_3repE0EEENS1_47radix_sort_onesweep_sort_config_static_selectorELNS0_4arch9wavefront6targetE1EEEvSI_
; %bb.0:
	.section	.rodata,"a",@progbits
	.p2align	6, 0x0
	.amdhsa_kernel _ZN7rocprim17ROCPRIM_400000_NS6detail17trampoline_kernelINS0_14default_configENS1_35radix_sort_onesweep_config_selectorIttEEZZNS1_29radix_sort_onesweep_iterationIS3_Lb0EN6thrust23THRUST_200600_302600_NS6detail15normal_iteratorINS8_10device_ptrItEEEESD_SD_SD_jNS0_19identity_decomposerENS1_16block_id_wrapperIjLb0EEEEE10hipError_tT1_PNSt15iterator_traitsISI_E10value_typeET2_T3_PNSJ_ISO_E10value_typeET4_T5_PST_SU_PNS1_23onesweep_lookback_stateEbbT6_jjT7_P12ihipStream_tbENKUlT_T0_SI_SN_E_clISD_PtSD_S15_EEDaS11_S12_SI_SN_EUlS11_E_NS1_11comp_targetILNS1_3genE8ELNS1_11target_archE1030ELNS1_3gpuE2ELNS1_3repE0EEENS1_47radix_sort_onesweep_sort_config_static_selectorELNS0_4arch9wavefront6targetE1EEEvSI_
		.amdhsa_group_segment_fixed_size 0
		.amdhsa_private_segment_fixed_size 0
		.amdhsa_kernarg_size 88
		.amdhsa_user_sgpr_count 2
		.amdhsa_user_sgpr_dispatch_ptr 0
		.amdhsa_user_sgpr_queue_ptr 0
		.amdhsa_user_sgpr_kernarg_segment_ptr 1
		.amdhsa_user_sgpr_dispatch_id 0
		.amdhsa_user_sgpr_kernarg_preload_length 0
		.amdhsa_user_sgpr_kernarg_preload_offset 0
		.amdhsa_user_sgpr_private_segment_size 0
		.amdhsa_uses_dynamic_stack 0
		.amdhsa_enable_private_segment 0
		.amdhsa_system_sgpr_workgroup_id_x 1
		.amdhsa_system_sgpr_workgroup_id_y 0
		.amdhsa_system_sgpr_workgroup_id_z 0
		.amdhsa_system_sgpr_workgroup_info 0
		.amdhsa_system_vgpr_workitem_id 0
		.amdhsa_next_free_vgpr 1
		.amdhsa_next_free_sgpr 0
		.amdhsa_accum_offset 4
		.amdhsa_reserve_vcc 0
		.amdhsa_float_round_mode_32 0
		.amdhsa_float_round_mode_16_64 0
		.amdhsa_float_denorm_mode_32 3
		.amdhsa_float_denorm_mode_16_64 3
		.amdhsa_dx10_clamp 1
		.amdhsa_ieee_mode 1
		.amdhsa_fp16_overflow 0
		.amdhsa_tg_split 0
		.amdhsa_exception_fp_ieee_invalid_op 0
		.amdhsa_exception_fp_denorm_src 0
		.amdhsa_exception_fp_ieee_div_zero 0
		.amdhsa_exception_fp_ieee_overflow 0
		.amdhsa_exception_fp_ieee_underflow 0
		.amdhsa_exception_fp_ieee_inexact 0
		.amdhsa_exception_int_div_zero 0
	.end_amdhsa_kernel
	.section	.text._ZN7rocprim17ROCPRIM_400000_NS6detail17trampoline_kernelINS0_14default_configENS1_35radix_sort_onesweep_config_selectorIttEEZZNS1_29radix_sort_onesweep_iterationIS3_Lb0EN6thrust23THRUST_200600_302600_NS6detail15normal_iteratorINS8_10device_ptrItEEEESD_SD_SD_jNS0_19identity_decomposerENS1_16block_id_wrapperIjLb0EEEEE10hipError_tT1_PNSt15iterator_traitsISI_E10value_typeET2_T3_PNSJ_ISO_E10value_typeET4_T5_PST_SU_PNS1_23onesweep_lookback_stateEbbT6_jjT7_P12ihipStream_tbENKUlT_T0_SI_SN_E_clISD_PtSD_S15_EEDaS11_S12_SI_SN_EUlS11_E_NS1_11comp_targetILNS1_3genE8ELNS1_11target_archE1030ELNS1_3gpuE2ELNS1_3repE0EEENS1_47radix_sort_onesweep_sort_config_static_selectorELNS0_4arch9wavefront6targetE1EEEvSI_,"axG",@progbits,_ZN7rocprim17ROCPRIM_400000_NS6detail17trampoline_kernelINS0_14default_configENS1_35radix_sort_onesweep_config_selectorIttEEZZNS1_29radix_sort_onesweep_iterationIS3_Lb0EN6thrust23THRUST_200600_302600_NS6detail15normal_iteratorINS8_10device_ptrItEEEESD_SD_SD_jNS0_19identity_decomposerENS1_16block_id_wrapperIjLb0EEEEE10hipError_tT1_PNSt15iterator_traitsISI_E10value_typeET2_T3_PNSJ_ISO_E10value_typeET4_T5_PST_SU_PNS1_23onesweep_lookback_stateEbbT6_jjT7_P12ihipStream_tbENKUlT_T0_SI_SN_E_clISD_PtSD_S15_EEDaS11_S12_SI_SN_EUlS11_E_NS1_11comp_targetILNS1_3genE8ELNS1_11target_archE1030ELNS1_3gpuE2ELNS1_3repE0EEENS1_47radix_sort_onesweep_sort_config_static_selectorELNS0_4arch9wavefront6targetE1EEEvSI_,comdat
.Lfunc_end1018:
	.size	_ZN7rocprim17ROCPRIM_400000_NS6detail17trampoline_kernelINS0_14default_configENS1_35radix_sort_onesweep_config_selectorIttEEZZNS1_29radix_sort_onesweep_iterationIS3_Lb0EN6thrust23THRUST_200600_302600_NS6detail15normal_iteratorINS8_10device_ptrItEEEESD_SD_SD_jNS0_19identity_decomposerENS1_16block_id_wrapperIjLb0EEEEE10hipError_tT1_PNSt15iterator_traitsISI_E10value_typeET2_T3_PNSJ_ISO_E10value_typeET4_T5_PST_SU_PNS1_23onesweep_lookback_stateEbbT6_jjT7_P12ihipStream_tbENKUlT_T0_SI_SN_E_clISD_PtSD_S15_EEDaS11_S12_SI_SN_EUlS11_E_NS1_11comp_targetILNS1_3genE8ELNS1_11target_archE1030ELNS1_3gpuE2ELNS1_3repE0EEENS1_47radix_sort_onesweep_sort_config_static_selectorELNS0_4arch9wavefront6targetE1EEEvSI_, .Lfunc_end1018-_ZN7rocprim17ROCPRIM_400000_NS6detail17trampoline_kernelINS0_14default_configENS1_35radix_sort_onesweep_config_selectorIttEEZZNS1_29radix_sort_onesweep_iterationIS3_Lb0EN6thrust23THRUST_200600_302600_NS6detail15normal_iteratorINS8_10device_ptrItEEEESD_SD_SD_jNS0_19identity_decomposerENS1_16block_id_wrapperIjLb0EEEEE10hipError_tT1_PNSt15iterator_traitsISI_E10value_typeET2_T3_PNSJ_ISO_E10value_typeET4_T5_PST_SU_PNS1_23onesweep_lookback_stateEbbT6_jjT7_P12ihipStream_tbENKUlT_T0_SI_SN_E_clISD_PtSD_S15_EEDaS11_S12_SI_SN_EUlS11_E_NS1_11comp_targetILNS1_3genE8ELNS1_11target_archE1030ELNS1_3gpuE2ELNS1_3repE0EEENS1_47radix_sort_onesweep_sort_config_static_selectorELNS0_4arch9wavefront6targetE1EEEvSI_
                                        ; -- End function
	.set _ZN7rocprim17ROCPRIM_400000_NS6detail17trampoline_kernelINS0_14default_configENS1_35radix_sort_onesweep_config_selectorIttEEZZNS1_29radix_sort_onesweep_iterationIS3_Lb0EN6thrust23THRUST_200600_302600_NS6detail15normal_iteratorINS8_10device_ptrItEEEESD_SD_SD_jNS0_19identity_decomposerENS1_16block_id_wrapperIjLb0EEEEE10hipError_tT1_PNSt15iterator_traitsISI_E10value_typeET2_T3_PNSJ_ISO_E10value_typeET4_T5_PST_SU_PNS1_23onesweep_lookback_stateEbbT6_jjT7_P12ihipStream_tbENKUlT_T0_SI_SN_E_clISD_PtSD_S15_EEDaS11_S12_SI_SN_EUlS11_E_NS1_11comp_targetILNS1_3genE8ELNS1_11target_archE1030ELNS1_3gpuE2ELNS1_3repE0EEENS1_47radix_sort_onesweep_sort_config_static_selectorELNS0_4arch9wavefront6targetE1EEEvSI_.num_vgpr, 0
	.set _ZN7rocprim17ROCPRIM_400000_NS6detail17trampoline_kernelINS0_14default_configENS1_35radix_sort_onesweep_config_selectorIttEEZZNS1_29radix_sort_onesweep_iterationIS3_Lb0EN6thrust23THRUST_200600_302600_NS6detail15normal_iteratorINS8_10device_ptrItEEEESD_SD_SD_jNS0_19identity_decomposerENS1_16block_id_wrapperIjLb0EEEEE10hipError_tT1_PNSt15iterator_traitsISI_E10value_typeET2_T3_PNSJ_ISO_E10value_typeET4_T5_PST_SU_PNS1_23onesweep_lookback_stateEbbT6_jjT7_P12ihipStream_tbENKUlT_T0_SI_SN_E_clISD_PtSD_S15_EEDaS11_S12_SI_SN_EUlS11_E_NS1_11comp_targetILNS1_3genE8ELNS1_11target_archE1030ELNS1_3gpuE2ELNS1_3repE0EEENS1_47radix_sort_onesweep_sort_config_static_selectorELNS0_4arch9wavefront6targetE1EEEvSI_.num_agpr, 0
	.set _ZN7rocprim17ROCPRIM_400000_NS6detail17trampoline_kernelINS0_14default_configENS1_35radix_sort_onesweep_config_selectorIttEEZZNS1_29radix_sort_onesweep_iterationIS3_Lb0EN6thrust23THRUST_200600_302600_NS6detail15normal_iteratorINS8_10device_ptrItEEEESD_SD_SD_jNS0_19identity_decomposerENS1_16block_id_wrapperIjLb0EEEEE10hipError_tT1_PNSt15iterator_traitsISI_E10value_typeET2_T3_PNSJ_ISO_E10value_typeET4_T5_PST_SU_PNS1_23onesweep_lookback_stateEbbT6_jjT7_P12ihipStream_tbENKUlT_T0_SI_SN_E_clISD_PtSD_S15_EEDaS11_S12_SI_SN_EUlS11_E_NS1_11comp_targetILNS1_3genE8ELNS1_11target_archE1030ELNS1_3gpuE2ELNS1_3repE0EEENS1_47radix_sort_onesweep_sort_config_static_selectorELNS0_4arch9wavefront6targetE1EEEvSI_.numbered_sgpr, 0
	.set _ZN7rocprim17ROCPRIM_400000_NS6detail17trampoline_kernelINS0_14default_configENS1_35radix_sort_onesweep_config_selectorIttEEZZNS1_29radix_sort_onesweep_iterationIS3_Lb0EN6thrust23THRUST_200600_302600_NS6detail15normal_iteratorINS8_10device_ptrItEEEESD_SD_SD_jNS0_19identity_decomposerENS1_16block_id_wrapperIjLb0EEEEE10hipError_tT1_PNSt15iterator_traitsISI_E10value_typeET2_T3_PNSJ_ISO_E10value_typeET4_T5_PST_SU_PNS1_23onesweep_lookback_stateEbbT6_jjT7_P12ihipStream_tbENKUlT_T0_SI_SN_E_clISD_PtSD_S15_EEDaS11_S12_SI_SN_EUlS11_E_NS1_11comp_targetILNS1_3genE8ELNS1_11target_archE1030ELNS1_3gpuE2ELNS1_3repE0EEENS1_47radix_sort_onesweep_sort_config_static_selectorELNS0_4arch9wavefront6targetE1EEEvSI_.num_named_barrier, 0
	.set _ZN7rocprim17ROCPRIM_400000_NS6detail17trampoline_kernelINS0_14default_configENS1_35radix_sort_onesweep_config_selectorIttEEZZNS1_29radix_sort_onesweep_iterationIS3_Lb0EN6thrust23THRUST_200600_302600_NS6detail15normal_iteratorINS8_10device_ptrItEEEESD_SD_SD_jNS0_19identity_decomposerENS1_16block_id_wrapperIjLb0EEEEE10hipError_tT1_PNSt15iterator_traitsISI_E10value_typeET2_T3_PNSJ_ISO_E10value_typeET4_T5_PST_SU_PNS1_23onesweep_lookback_stateEbbT6_jjT7_P12ihipStream_tbENKUlT_T0_SI_SN_E_clISD_PtSD_S15_EEDaS11_S12_SI_SN_EUlS11_E_NS1_11comp_targetILNS1_3genE8ELNS1_11target_archE1030ELNS1_3gpuE2ELNS1_3repE0EEENS1_47radix_sort_onesweep_sort_config_static_selectorELNS0_4arch9wavefront6targetE1EEEvSI_.private_seg_size, 0
	.set _ZN7rocprim17ROCPRIM_400000_NS6detail17trampoline_kernelINS0_14default_configENS1_35radix_sort_onesweep_config_selectorIttEEZZNS1_29radix_sort_onesweep_iterationIS3_Lb0EN6thrust23THRUST_200600_302600_NS6detail15normal_iteratorINS8_10device_ptrItEEEESD_SD_SD_jNS0_19identity_decomposerENS1_16block_id_wrapperIjLb0EEEEE10hipError_tT1_PNSt15iterator_traitsISI_E10value_typeET2_T3_PNSJ_ISO_E10value_typeET4_T5_PST_SU_PNS1_23onesweep_lookback_stateEbbT6_jjT7_P12ihipStream_tbENKUlT_T0_SI_SN_E_clISD_PtSD_S15_EEDaS11_S12_SI_SN_EUlS11_E_NS1_11comp_targetILNS1_3genE8ELNS1_11target_archE1030ELNS1_3gpuE2ELNS1_3repE0EEENS1_47radix_sort_onesweep_sort_config_static_selectorELNS0_4arch9wavefront6targetE1EEEvSI_.uses_vcc, 0
	.set _ZN7rocprim17ROCPRIM_400000_NS6detail17trampoline_kernelINS0_14default_configENS1_35radix_sort_onesweep_config_selectorIttEEZZNS1_29radix_sort_onesweep_iterationIS3_Lb0EN6thrust23THRUST_200600_302600_NS6detail15normal_iteratorINS8_10device_ptrItEEEESD_SD_SD_jNS0_19identity_decomposerENS1_16block_id_wrapperIjLb0EEEEE10hipError_tT1_PNSt15iterator_traitsISI_E10value_typeET2_T3_PNSJ_ISO_E10value_typeET4_T5_PST_SU_PNS1_23onesweep_lookback_stateEbbT6_jjT7_P12ihipStream_tbENKUlT_T0_SI_SN_E_clISD_PtSD_S15_EEDaS11_S12_SI_SN_EUlS11_E_NS1_11comp_targetILNS1_3genE8ELNS1_11target_archE1030ELNS1_3gpuE2ELNS1_3repE0EEENS1_47radix_sort_onesweep_sort_config_static_selectorELNS0_4arch9wavefront6targetE1EEEvSI_.uses_flat_scratch, 0
	.set _ZN7rocprim17ROCPRIM_400000_NS6detail17trampoline_kernelINS0_14default_configENS1_35radix_sort_onesweep_config_selectorIttEEZZNS1_29radix_sort_onesweep_iterationIS3_Lb0EN6thrust23THRUST_200600_302600_NS6detail15normal_iteratorINS8_10device_ptrItEEEESD_SD_SD_jNS0_19identity_decomposerENS1_16block_id_wrapperIjLb0EEEEE10hipError_tT1_PNSt15iterator_traitsISI_E10value_typeET2_T3_PNSJ_ISO_E10value_typeET4_T5_PST_SU_PNS1_23onesweep_lookback_stateEbbT6_jjT7_P12ihipStream_tbENKUlT_T0_SI_SN_E_clISD_PtSD_S15_EEDaS11_S12_SI_SN_EUlS11_E_NS1_11comp_targetILNS1_3genE8ELNS1_11target_archE1030ELNS1_3gpuE2ELNS1_3repE0EEENS1_47radix_sort_onesweep_sort_config_static_selectorELNS0_4arch9wavefront6targetE1EEEvSI_.has_dyn_sized_stack, 0
	.set _ZN7rocprim17ROCPRIM_400000_NS6detail17trampoline_kernelINS0_14default_configENS1_35radix_sort_onesweep_config_selectorIttEEZZNS1_29radix_sort_onesweep_iterationIS3_Lb0EN6thrust23THRUST_200600_302600_NS6detail15normal_iteratorINS8_10device_ptrItEEEESD_SD_SD_jNS0_19identity_decomposerENS1_16block_id_wrapperIjLb0EEEEE10hipError_tT1_PNSt15iterator_traitsISI_E10value_typeET2_T3_PNSJ_ISO_E10value_typeET4_T5_PST_SU_PNS1_23onesweep_lookback_stateEbbT6_jjT7_P12ihipStream_tbENKUlT_T0_SI_SN_E_clISD_PtSD_S15_EEDaS11_S12_SI_SN_EUlS11_E_NS1_11comp_targetILNS1_3genE8ELNS1_11target_archE1030ELNS1_3gpuE2ELNS1_3repE0EEENS1_47radix_sort_onesweep_sort_config_static_selectorELNS0_4arch9wavefront6targetE1EEEvSI_.has_recursion, 0
	.set _ZN7rocprim17ROCPRIM_400000_NS6detail17trampoline_kernelINS0_14default_configENS1_35radix_sort_onesweep_config_selectorIttEEZZNS1_29radix_sort_onesweep_iterationIS3_Lb0EN6thrust23THRUST_200600_302600_NS6detail15normal_iteratorINS8_10device_ptrItEEEESD_SD_SD_jNS0_19identity_decomposerENS1_16block_id_wrapperIjLb0EEEEE10hipError_tT1_PNSt15iterator_traitsISI_E10value_typeET2_T3_PNSJ_ISO_E10value_typeET4_T5_PST_SU_PNS1_23onesweep_lookback_stateEbbT6_jjT7_P12ihipStream_tbENKUlT_T0_SI_SN_E_clISD_PtSD_S15_EEDaS11_S12_SI_SN_EUlS11_E_NS1_11comp_targetILNS1_3genE8ELNS1_11target_archE1030ELNS1_3gpuE2ELNS1_3repE0EEENS1_47radix_sort_onesweep_sort_config_static_selectorELNS0_4arch9wavefront6targetE1EEEvSI_.has_indirect_call, 0
	.section	.AMDGPU.csdata,"",@progbits
; Kernel info:
; codeLenInByte = 0
; TotalNumSgprs: 6
; NumVgprs: 0
; NumAgprs: 0
; TotalNumVgprs: 0
; ScratchSize: 0
; MemoryBound: 0
; FloatMode: 240
; IeeeMode: 1
; LDSByteSize: 0 bytes/workgroup (compile time only)
; SGPRBlocks: 0
; VGPRBlocks: 0
; NumSGPRsForWavesPerEU: 6
; NumVGPRsForWavesPerEU: 1
; AccumOffset: 4
; Occupancy: 8
; WaveLimiterHint : 0
; COMPUTE_PGM_RSRC2:SCRATCH_EN: 0
; COMPUTE_PGM_RSRC2:USER_SGPR: 2
; COMPUTE_PGM_RSRC2:TRAP_HANDLER: 0
; COMPUTE_PGM_RSRC2:TGID_X_EN: 1
; COMPUTE_PGM_RSRC2:TGID_Y_EN: 0
; COMPUTE_PGM_RSRC2:TGID_Z_EN: 0
; COMPUTE_PGM_RSRC2:TIDIG_COMP_CNT: 0
; COMPUTE_PGM_RSRC3_GFX90A:ACCUM_OFFSET: 0
; COMPUTE_PGM_RSRC3_GFX90A:TG_SPLIT: 0
	.section	.text._ZN7rocprim17ROCPRIM_400000_NS6detail17trampoline_kernelINS0_14default_configENS1_35radix_sort_onesweep_config_selectorIttEEZZNS1_29radix_sort_onesweep_iterationIS3_Lb0EN6thrust23THRUST_200600_302600_NS6detail15normal_iteratorINS8_10device_ptrItEEEESD_SD_SD_jNS0_19identity_decomposerENS1_16block_id_wrapperIjLb0EEEEE10hipError_tT1_PNSt15iterator_traitsISI_E10value_typeET2_T3_PNSJ_ISO_E10value_typeET4_T5_PST_SU_PNS1_23onesweep_lookback_stateEbbT6_jjT7_P12ihipStream_tbENKUlT_T0_SI_SN_E_clIPtSD_S15_SD_EEDaS11_S12_SI_SN_EUlS11_E_NS1_11comp_targetILNS1_3genE0ELNS1_11target_archE4294967295ELNS1_3gpuE0ELNS1_3repE0EEENS1_47radix_sort_onesweep_sort_config_static_selectorELNS0_4arch9wavefront6targetE1EEEvSI_,"axG",@progbits,_ZN7rocprim17ROCPRIM_400000_NS6detail17trampoline_kernelINS0_14default_configENS1_35radix_sort_onesweep_config_selectorIttEEZZNS1_29radix_sort_onesweep_iterationIS3_Lb0EN6thrust23THRUST_200600_302600_NS6detail15normal_iteratorINS8_10device_ptrItEEEESD_SD_SD_jNS0_19identity_decomposerENS1_16block_id_wrapperIjLb0EEEEE10hipError_tT1_PNSt15iterator_traitsISI_E10value_typeET2_T3_PNSJ_ISO_E10value_typeET4_T5_PST_SU_PNS1_23onesweep_lookback_stateEbbT6_jjT7_P12ihipStream_tbENKUlT_T0_SI_SN_E_clIPtSD_S15_SD_EEDaS11_S12_SI_SN_EUlS11_E_NS1_11comp_targetILNS1_3genE0ELNS1_11target_archE4294967295ELNS1_3gpuE0ELNS1_3repE0EEENS1_47radix_sort_onesweep_sort_config_static_selectorELNS0_4arch9wavefront6targetE1EEEvSI_,comdat
	.protected	_ZN7rocprim17ROCPRIM_400000_NS6detail17trampoline_kernelINS0_14default_configENS1_35radix_sort_onesweep_config_selectorIttEEZZNS1_29radix_sort_onesweep_iterationIS3_Lb0EN6thrust23THRUST_200600_302600_NS6detail15normal_iteratorINS8_10device_ptrItEEEESD_SD_SD_jNS0_19identity_decomposerENS1_16block_id_wrapperIjLb0EEEEE10hipError_tT1_PNSt15iterator_traitsISI_E10value_typeET2_T3_PNSJ_ISO_E10value_typeET4_T5_PST_SU_PNS1_23onesweep_lookback_stateEbbT6_jjT7_P12ihipStream_tbENKUlT_T0_SI_SN_E_clIPtSD_S15_SD_EEDaS11_S12_SI_SN_EUlS11_E_NS1_11comp_targetILNS1_3genE0ELNS1_11target_archE4294967295ELNS1_3gpuE0ELNS1_3repE0EEENS1_47radix_sort_onesweep_sort_config_static_selectorELNS0_4arch9wavefront6targetE1EEEvSI_ ; -- Begin function _ZN7rocprim17ROCPRIM_400000_NS6detail17trampoline_kernelINS0_14default_configENS1_35radix_sort_onesweep_config_selectorIttEEZZNS1_29radix_sort_onesweep_iterationIS3_Lb0EN6thrust23THRUST_200600_302600_NS6detail15normal_iteratorINS8_10device_ptrItEEEESD_SD_SD_jNS0_19identity_decomposerENS1_16block_id_wrapperIjLb0EEEEE10hipError_tT1_PNSt15iterator_traitsISI_E10value_typeET2_T3_PNSJ_ISO_E10value_typeET4_T5_PST_SU_PNS1_23onesweep_lookback_stateEbbT6_jjT7_P12ihipStream_tbENKUlT_T0_SI_SN_E_clIPtSD_S15_SD_EEDaS11_S12_SI_SN_EUlS11_E_NS1_11comp_targetILNS1_3genE0ELNS1_11target_archE4294967295ELNS1_3gpuE0ELNS1_3repE0EEENS1_47radix_sort_onesweep_sort_config_static_selectorELNS0_4arch9wavefront6targetE1EEEvSI_
	.globl	_ZN7rocprim17ROCPRIM_400000_NS6detail17trampoline_kernelINS0_14default_configENS1_35radix_sort_onesweep_config_selectorIttEEZZNS1_29radix_sort_onesweep_iterationIS3_Lb0EN6thrust23THRUST_200600_302600_NS6detail15normal_iteratorINS8_10device_ptrItEEEESD_SD_SD_jNS0_19identity_decomposerENS1_16block_id_wrapperIjLb0EEEEE10hipError_tT1_PNSt15iterator_traitsISI_E10value_typeET2_T3_PNSJ_ISO_E10value_typeET4_T5_PST_SU_PNS1_23onesweep_lookback_stateEbbT6_jjT7_P12ihipStream_tbENKUlT_T0_SI_SN_E_clIPtSD_S15_SD_EEDaS11_S12_SI_SN_EUlS11_E_NS1_11comp_targetILNS1_3genE0ELNS1_11target_archE4294967295ELNS1_3gpuE0ELNS1_3repE0EEENS1_47radix_sort_onesweep_sort_config_static_selectorELNS0_4arch9wavefront6targetE1EEEvSI_
	.p2align	8
	.type	_ZN7rocprim17ROCPRIM_400000_NS6detail17trampoline_kernelINS0_14default_configENS1_35radix_sort_onesweep_config_selectorIttEEZZNS1_29radix_sort_onesweep_iterationIS3_Lb0EN6thrust23THRUST_200600_302600_NS6detail15normal_iteratorINS8_10device_ptrItEEEESD_SD_SD_jNS0_19identity_decomposerENS1_16block_id_wrapperIjLb0EEEEE10hipError_tT1_PNSt15iterator_traitsISI_E10value_typeET2_T3_PNSJ_ISO_E10value_typeET4_T5_PST_SU_PNS1_23onesweep_lookback_stateEbbT6_jjT7_P12ihipStream_tbENKUlT_T0_SI_SN_E_clIPtSD_S15_SD_EEDaS11_S12_SI_SN_EUlS11_E_NS1_11comp_targetILNS1_3genE0ELNS1_11target_archE4294967295ELNS1_3gpuE0ELNS1_3repE0EEENS1_47radix_sort_onesweep_sort_config_static_selectorELNS0_4arch9wavefront6targetE1EEEvSI_,@function
_ZN7rocprim17ROCPRIM_400000_NS6detail17trampoline_kernelINS0_14default_configENS1_35radix_sort_onesweep_config_selectorIttEEZZNS1_29radix_sort_onesweep_iterationIS3_Lb0EN6thrust23THRUST_200600_302600_NS6detail15normal_iteratorINS8_10device_ptrItEEEESD_SD_SD_jNS0_19identity_decomposerENS1_16block_id_wrapperIjLb0EEEEE10hipError_tT1_PNSt15iterator_traitsISI_E10value_typeET2_T3_PNSJ_ISO_E10value_typeET4_T5_PST_SU_PNS1_23onesweep_lookback_stateEbbT6_jjT7_P12ihipStream_tbENKUlT_T0_SI_SN_E_clIPtSD_S15_SD_EEDaS11_S12_SI_SN_EUlS11_E_NS1_11comp_targetILNS1_3genE0ELNS1_11target_archE4294967295ELNS1_3gpuE0ELNS1_3repE0EEENS1_47radix_sort_onesweep_sort_config_static_selectorELNS0_4arch9wavefront6targetE1EEEvSI_: ; @_ZN7rocprim17ROCPRIM_400000_NS6detail17trampoline_kernelINS0_14default_configENS1_35radix_sort_onesweep_config_selectorIttEEZZNS1_29radix_sort_onesweep_iterationIS3_Lb0EN6thrust23THRUST_200600_302600_NS6detail15normal_iteratorINS8_10device_ptrItEEEESD_SD_SD_jNS0_19identity_decomposerENS1_16block_id_wrapperIjLb0EEEEE10hipError_tT1_PNSt15iterator_traitsISI_E10value_typeET2_T3_PNSJ_ISO_E10value_typeET4_T5_PST_SU_PNS1_23onesweep_lookback_stateEbbT6_jjT7_P12ihipStream_tbENKUlT_T0_SI_SN_E_clIPtSD_S15_SD_EEDaS11_S12_SI_SN_EUlS11_E_NS1_11comp_targetILNS1_3genE0ELNS1_11target_archE4294967295ELNS1_3gpuE0ELNS1_3repE0EEENS1_47radix_sort_onesweep_sort_config_static_selectorELNS0_4arch9wavefront6targetE1EEEvSI_
; %bb.0:
	.section	.rodata,"a",@progbits
	.p2align	6, 0x0
	.amdhsa_kernel _ZN7rocprim17ROCPRIM_400000_NS6detail17trampoline_kernelINS0_14default_configENS1_35radix_sort_onesweep_config_selectorIttEEZZNS1_29radix_sort_onesweep_iterationIS3_Lb0EN6thrust23THRUST_200600_302600_NS6detail15normal_iteratorINS8_10device_ptrItEEEESD_SD_SD_jNS0_19identity_decomposerENS1_16block_id_wrapperIjLb0EEEEE10hipError_tT1_PNSt15iterator_traitsISI_E10value_typeET2_T3_PNSJ_ISO_E10value_typeET4_T5_PST_SU_PNS1_23onesweep_lookback_stateEbbT6_jjT7_P12ihipStream_tbENKUlT_T0_SI_SN_E_clIPtSD_S15_SD_EEDaS11_S12_SI_SN_EUlS11_E_NS1_11comp_targetILNS1_3genE0ELNS1_11target_archE4294967295ELNS1_3gpuE0ELNS1_3repE0EEENS1_47radix_sort_onesweep_sort_config_static_selectorELNS0_4arch9wavefront6targetE1EEEvSI_
		.amdhsa_group_segment_fixed_size 0
		.amdhsa_private_segment_fixed_size 0
		.amdhsa_kernarg_size 88
		.amdhsa_user_sgpr_count 2
		.amdhsa_user_sgpr_dispatch_ptr 0
		.amdhsa_user_sgpr_queue_ptr 0
		.amdhsa_user_sgpr_kernarg_segment_ptr 1
		.amdhsa_user_sgpr_dispatch_id 0
		.amdhsa_user_sgpr_kernarg_preload_length 0
		.amdhsa_user_sgpr_kernarg_preload_offset 0
		.amdhsa_user_sgpr_private_segment_size 0
		.amdhsa_uses_dynamic_stack 0
		.amdhsa_enable_private_segment 0
		.amdhsa_system_sgpr_workgroup_id_x 1
		.amdhsa_system_sgpr_workgroup_id_y 0
		.amdhsa_system_sgpr_workgroup_id_z 0
		.amdhsa_system_sgpr_workgroup_info 0
		.amdhsa_system_vgpr_workitem_id 0
		.amdhsa_next_free_vgpr 1
		.amdhsa_next_free_sgpr 0
		.amdhsa_accum_offset 4
		.amdhsa_reserve_vcc 0
		.amdhsa_float_round_mode_32 0
		.amdhsa_float_round_mode_16_64 0
		.amdhsa_float_denorm_mode_32 3
		.amdhsa_float_denorm_mode_16_64 3
		.amdhsa_dx10_clamp 1
		.amdhsa_ieee_mode 1
		.amdhsa_fp16_overflow 0
		.amdhsa_tg_split 0
		.amdhsa_exception_fp_ieee_invalid_op 0
		.amdhsa_exception_fp_denorm_src 0
		.amdhsa_exception_fp_ieee_div_zero 0
		.amdhsa_exception_fp_ieee_overflow 0
		.amdhsa_exception_fp_ieee_underflow 0
		.amdhsa_exception_fp_ieee_inexact 0
		.amdhsa_exception_int_div_zero 0
	.end_amdhsa_kernel
	.section	.text._ZN7rocprim17ROCPRIM_400000_NS6detail17trampoline_kernelINS0_14default_configENS1_35radix_sort_onesweep_config_selectorIttEEZZNS1_29radix_sort_onesweep_iterationIS3_Lb0EN6thrust23THRUST_200600_302600_NS6detail15normal_iteratorINS8_10device_ptrItEEEESD_SD_SD_jNS0_19identity_decomposerENS1_16block_id_wrapperIjLb0EEEEE10hipError_tT1_PNSt15iterator_traitsISI_E10value_typeET2_T3_PNSJ_ISO_E10value_typeET4_T5_PST_SU_PNS1_23onesweep_lookback_stateEbbT6_jjT7_P12ihipStream_tbENKUlT_T0_SI_SN_E_clIPtSD_S15_SD_EEDaS11_S12_SI_SN_EUlS11_E_NS1_11comp_targetILNS1_3genE0ELNS1_11target_archE4294967295ELNS1_3gpuE0ELNS1_3repE0EEENS1_47radix_sort_onesweep_sort_config_static_selectorELNS0_4arch9wavefront6targetE1EEEvSI_,"axG",@progbits,_ZN7rocprim17ROCPRIM_400000_NS6detail17trampoline_kernelINS0_14default_configENS1_35radix_sort_onesweep_config_selectorIttEEZZNS1_29radix_sort_onesweep_iterationIS3_Lb0EN6thrust23THRUST_200600_302600_NS6detail15normal_iteratorINS8_10device_ptrItEEEESD_SD_SD_jNS0_19identity_decomposerENS1_16block_id_wrapperIjLb0EEEEE10hipError_tT1_PNSt15iterator_traitsISI_E10value_typeET2_T3_PNSJ_ISO_E10value_typeET4_T5_PST_SU_PNS1_23onesweep_lookback_stateEbbT6_jjT7_P12ihipStream_tbENKUlT_T0_SI_SN_E_clIPtSD_S15_SD_EEDaS11_S12_SI_SN_EUlS11_E_NS1_11comp_targetILNS1_3genE0ELNS1_11target_archE4294967295ELNS1_3gpuE0ELNS1_3repE0EEENS1_47radix_sort_onesweep_sort_config_static_selectorELNS0_4arch9wavefront6targetE1EEEvSI_,comdat
.Lfunc_end1019:
	.size	_ZN7rocprim17ROCPRIM_400000_NS6detail17trampoline_kernelINS0_14default_configENS1_35radix_sort_onesweep_config_selectorIttEEZZNS1_29radix_sort_onesweep_iterationIS3_Lb0EN6thrust23THRUST_200600_302600_NS6detail15normal_iteratorINS8_10device_ptrItEEEESD_SD_SD_jNS0_19identity_decomposerENS1_16block_id_wrapperIjLb0EEEEE10hipError_tT1_PNSt15iterator_traitsISI_E10value_typeET2_T3_PNSJ_ISO_E10value_typeET4_T5_PST_SU_PNS1_23onesweep_lookback_stateEbbT6_jjT7_P12ihipStream_tbENKUlT_T0_SI_SN_E_clIPtSD_S15_SD_EEDaS11_S12_SI_SN_EUlS11_E_NS1_11comp_targetILNS1_3genE0ELNS1_11target_archE4294967295ELNS1_3gpuE0ELNS1_3repE0EEENS1_47radix_sort_onesweep_sort_config_static_selectorELNS0_4arch9wavefront6targetE1EEEvSI_, .Lfunc_end1019-_ZN7rocprim17ROCPRIM_400000_NS6detail17trampoline_kernelINS0_14default_configENS1_35radix_sort_onesweep_config_selectorIttEEZZNS1_29radix_sort_onesweep_iterationIS3_Lb0EN6thrust23THRUST_200600_302600_NS6detail15normal_iteratorINS8_10device_ptrItEEEESD_SD_SD_jNS0_19identity_decomposerENS1_16block_id_wrapperIjLb0EEEEE10hipError_tT1_PNSt15iterator_traitsISI_E10value_typeET2_T3_PNSJ_ISO_E10value_typeET4_T5_PST_SU_PNS1_23onesweep_lookback_stateEbbT6_jjT7_P12ihipStream_tbENKUlT_T0_SI_SN_E_clIPtSD_S15_SD_EEDaS11_S12_SI_SN_EUlS11_E_NS1_11comp_targetILNS1_3genE0ELNS1_11target_archE4294967295ELNS1_3gpuE0ELNS1_3repE0EEENS1_47radix_sort_onesweep_sort_config_static_selectorELNS0_4arch9wavefront6targetE1EEEvSI_
                                        ; -- End function
	.set _ZN7rocprim17ROCPRIM_400000_NS6detail17trampoline_kernelINS0_14default_configENS1_35radix_sort_onesweep_config_selectorIttEEZZNS1_29radix_sort_onesweep_iterationIS3_Lb0EN6thrust23THRUST_200600_302600_NS6detail15normal_iteratorINS8_10device_ptrItEEEESD_SD_SD_jNS0_19identity_decomposerENS1_16block_id_wrapperIjLb0EEEEE10hipError_tT1_PNSt15iterator_traitsISI_E10value_typeET2_T3_PNSJ_ISO_E10value_typeET4_T5_PST_SU_PNS1_23onesweep_lookback_stateEbbT6_jjT7_P12ihipStream_tbENKUlT_T0_SI_SN_E_clIPtSD_S15_SD_EEDaS11_S12_SI_SN_EUlS11_E_NS1_11comp_targetILNS1_3genE0ELNS1_11target_archE4294967295ELNS1_3gpuE0ELNS1_3repE0EEENS1_47radix_sort_onesweep_sort_config_static_selectorELNS0_4arch9wavefront6targetE1EEEvSI_.num_vgpr, 0
	.set _ZN7rocprim17ROCPRIM_400000_NS6detail17trampoline_kernelINS0_14default_configENS1_35radix_sort_onesweep_config_selectorIttEEZZNS1_29radix_sort_onesweep_iterationIS3_Lb0EN6thrust23THRUST_200600_302600_NS6detail15normal_iteratorINS8_10device_ptrItEEEESD_SD_SD_jNS0_19identity_decomposerENS1_16block_id_wrapperIjLb0EEEEE10hipError_tT1_PNSt15iterator_traitsISI_E10value_typeET2_T3_PNSJ_ISO_E10value_typeET4_T5_PST_SU_PNS1_23onesweep_lookback_stateEbbT6_jjT7_P12ihipStream_tbENKUlT_T0_SI_SN_E_clIPtSD_S15_SD_EEDaS11_S12_SI_SN_EUlS11_E_NS1_11comp_targetILNS1_3genE0ELNS1_11target_archE4294967295ELNS1_3gpuE0ELNS1_3repE0EEENS1_47radix_sort_onesweep_sort_config_static_selectorELNS0_4arch9wavefront6targetE1EEEvSI_.num_agpr, 0
	.set _ZN7rocprim17ROCPRIM_400000_NS6detail17trampoline_kernelINS0_14default_configENS1_35radix_sort_onesweep_config_selectorIttEEZZNS1_29radix_sort_onesweep_iterationIS3_Lb0EN6thrust23THRUST_200600_302600_NS6detail15normal_iteratorINS8_10device_ptrItEEEESD_SD_SD_jNS0_19identity_decomposerENS1_16block_id_wrapperIjLb0EEEEE10hipError_tT1_PNSt15iterator_traitsISI_E10value_typeET2_T3_PNSJ_ISO_E10value_typeET4_T5_PST_SU_PNS1_23onesweep_lookback_stateEbbT6_jjT7_P12ihipStream_tbENKUlT_T0_SI_SN_E_clIPtSD_S15_SD_EEDaS11_S12_SI_SN_EUlS11_E_NS1_11comp_targetILNS1_3genE0ELNS1_11target_archE4294967295ELNS1_3gpuE0ELNS1_3repE0EEENS1_47radix_sort_onesweep_sort_config_static_selectorELNS0_4arch9wavefront6targetE1EEEvSI_.numbered_sgpr, 0
	.set _ZN7rocprim17ROCPRIM_400000_NS6detail17trampoline_kernelINS0_14default_configENS1_35radix_sort_onesweep_config_selectorIttEEZZNS1_29radix_sort_onesweep_iterationIS3_Lb0EN6thrust23THRUST_200600_302600_NS6detail15normal_iteratorINS8_10device_ptrItEEEESD_SD_SD_jNS0_19identity_decomposerENS1_16block_id_wrapperIjLb0EEEEE10hipError_tT1_PNSt15iterator_traitsISI_E10value_typeET2_T3_PNSJ_ISO_E10value_typeET4_T5_PST_SU_PNS1_23onesweep_lookback_stateEbbT6_jjT7_P12ihipStream_tbENKUlT_T0_SI_SN_E_clIPtSD_S15_SD_EEDaS11_S12_SI_SN_EUlS11_E_NS1_11comp_targetILNS1_3genE0ELNS1_11target_archE4294967295ELNS1_3gpuE0ELNS1_3repE0EEENS1_47radix_sort_onesweep_sort_config_static_selectorELNS0_4arch9wavefront6targetE1EEEvSI_.num_named_barrier, 0
	.set _ZN7rocprim17ROCPRIM_400000_NS6detail17trampoline_kernelINS0_14default_configENS1_35radix_sort_onesweep_config_selectorIttEEZZNS1_29radix_sort_onesweep_iterationIS3_Lb0EN6thrust23THRUST_200600_302600_NS6detail15normal_iteratorINS8_10device_ptrItEEEESD_SD_SD_jNS0_19identity_decomposerENS1_16block_id_wrapperIjLb0EEEEE10hipError_tT1_PNSt15iterator_traitsISI_E10value_typeET2_T3_PNSJ_ISO_E10value_typeET4_T5_PST_SU_PNS1_23onesweep_lookback_stateEbbT6_jjT7_P12ihipStream_tbENKUlT_T0_SI_SN_E_clIPtSD_S15_SD_EEDaS11_S12_SI_SN_EUlS11_E_NS1_11comp_targetILNS1_3genE0ELNS1_11target_archE4294967295ELNS1_3gpuE0ELNS1_3repE0EEENS1_47radix_sort_onesweep_sort_config_static_selectorELNS0_4arch9wavefront6targetE1EEEvSI_.private_seg_size, 0
	.set _ZN7rocprim17ROCPRIM_400000_NS6detail17trampoline_kernelINS0_14default_configENS1_35radix_sort_onesweep_config_selectorIttEEZZNS1_29radix_sort_onesweep_iterationIS3_Lb0EN6thrust23THRUST_200600_302600_NS6detail15normal_iteratorINS8_10device_ptrItEEEESD_SD_SD_jNS0_19identity_decomposerENS1_16block_id_wrapperIjLb0EEEEE10hipError_tT1_PNSt15iterator_traitsISI_E10value_typeET2_T3_PNSJ_ISO_E10value_typeET4_T5_PST_SU_PNS1_23onesweep_lookback_stateEbbT6_jjT7_P12ihipStream_tbENKUlT_T0_SI_SN_E_clIPtSD_S15_SD_EEDaS11_S12_SI_SN_EUlS11_E_NS1_11comp_targetILNS1_3genE0ELNS1_11target_archE4294967295ELNS1_3gpuE0ELNS1_3repE0EEENS1_47radix_sort_onesweep_sort_config_static_selectorELNS0_4arch9wavefront6targetE1EEEvSI_.uses_vcc, 0
	.set _ZN7rocprim17ROCPRIM_400000_NS6detail17trampoline_kernelINS0_14default_configENS1_35radix_sort_onesweep_config_selectorIttEEZZNS1_29radix_sort_onesweep_iterationIS3_Lb0EN6thrust23THRUST_200600_302600_NS6detail15normal_iteratorINS8_10device_ptrItEEEESD_SD_SD_jNS0_19identity_decomposerENS1_16block_id_wrapperIjLb0EEEEE10hipError_tT1_PNSt15iterator_traitsISI_E10value_typeET2_T3_PNSJ_ISO_E10value_typeET4_T5_PST_SU_PNS1_23onesweep_lookback_stateEbbT6_jjT7_P12ihipStream_tbENKUlT_T0_SI_SN_E_clIPtSD_S15_SD_EEDaS11_S12_SI_SN_EUlS11_E_NS1_11comp_targetILNS1_3genE0ELNS1_11target_archE4294967295ELNS1_3gpuE0ELNS1_3repE0EEENS1_47radix_sort_onesweep_sort_config_static_selectorELNS0_4arch9wavefront6targetE1EEEvSI_.uses_flat_scratch, 0
	.set _ZN7rocprim17ROCPRIM_400000_NS6detail17trampoline_kernelINS0_14default_configENS1_35radix_sort_onesweep_config_selectorIttEEZZNS1_29radix_sort_onesweep_iterationIS3_Lb0EN6thrust23THRUST_200600_302600_NS6detail15normal_iteratorINS8_10device_ptrItEEEESD_SD_SD_jNS0_19identity_decomposerENS1_16block_id_wrapperIjLb0EEEEE10hipError_tT1_PNSt15iterator_traitsISI_E10value_typeET2_T3_PNSJ_ISO_E10value_typeET4_T5_PST_SU_PNS1_23onesweep_lookback_stateEbbT6_jjT7_P12ihipStream_tbENKUlT_T0_SI_SN_E_clIPtSD_S15_SD_EEDaS11_S12_SI_SN_EUlS11_E_NS1_11comp_targetILNS1_3genE0ELNS1_11target_archE4294967295ELNS1_3gpuE0ELNS1_3repE0EEENS1_47radix_sort_onesweep_sort_config_static_selectorELNS0_4arch9wavefront6targetE1EEEvSI_.has_dyn_sized_stack, 0
	.set _ZN7rocprim17ROCPRIM_400000_NS6detail17trampoline_kernelINS0_14default_configENS1_35radix_sort_onesweep_config_selectorIttEEZZNS1_29radix_sort_onesweep_iterationIS3_Lb0EN6thrust23THRUST_200600_302600_NS6detail15normal_iteratorINS8_10device_ptrItEEEESD_SD_SD_jNS0_19identity_decomposerENS1_16block_id_wrapperIjLb0EEEEE10hipError_tT1_PNSt15iterator_traitsISI_E10value_typeET2_T3_PNSJ_ISO_E10value_typeET4_T5_PST_SU_PNS1_23onesweep_lookback_stateEbbT6_jjT7_P12ihipStream_tbENKUlT_T0_SI_SN_E_clIPtSD_S15_SD_EEDaS11_S12_SI_SN_EUlS11_E_NS1_11comp_targetILNS1_3genE0ELNS1_11target_archE4294967295ELNS1_3gpuE0ELNS1_3repE0EEENS1_47radix_sort_onesweep_sort_config_static_selectorELNS0_4arch9wavefront6targetE1EEEvSI_.has_recursion, 0
	.set _ZN7rocprim17ROCPRIM_400000_NS6detail17trampoline_kernelINS0_14default_configENS1_35radix_sort_onesweep_config_selectorIttEEZZNS1_29radix_sort_onesweep_iterationIS3_Lb0EN6thrust23THRUST_200600_302600_NS6detail15normal_iteratorINS8_10device_ptrItEEEESD_SD_SD_jNS0_19identity_decomposerENS1_16block_id_wrapperIjLb0EEEEE10hipError_tT1_PNSt15iterator_traitsISI_E10value_typeET2_T3_PNSJ_ISO_E10value_typeET4_T5_PST_SU_PNS1_23onesweep_lookback_stateEbbT6_jjT7_P12ihipStream_tbENKUlT_T0_SI_SN_E_clIPtSD_S15_SD_EEDaS11_S12_SI_SN_EUlS11_E_NS1_11comp_targetILNS1_3genE0ELNS1_11target_archE4294967295ELNS1_3gpuE0ELNS1_3repE0EEENS1_47radix_sort_onesweep_sort_config_static_selectorELNS0_4arch9wavefront6targetE1EEEvSI_.has_indirect_call, 0
	.section	.AMDGPU.csdata,"",@progbits
; Kernel info:
; codeLenInByte = 0
; TotalNumSgprs: 6
; NumVgprs: 0
; NumAgprs: 0
; TotalNumVgprs: 0
; ScratchSize: 0
; MemoryBound: 0
; FloatMode: 240
; IeeeMode: 1
; LDSByteSize: 0 bytes/workgroup (compile time only)
; SGPRBlocks: 0
; VGPRBlocks: 0
; NumSGPRsForWavesPerEU: 6
; NumVGPRsForWavesPerEU: 1
; AccumOffset: 4
; Occupancy: 8
; WaveLimiterHint : 0
; COMPUTE_PGM_RSRC2:SCRATCH_EN: 0
; COMPUTE_PGM_RSRC2:USER_SGPR: 2
; COMPUTE_PGM_RSRC2:TRAP_HANDLER: 0
; COMPUTE_PGM_RSRC2:TGID_X_EN: 1
; COMPUTE_PGM_RSRC2:TGID_Y_EN: 0
; COMPUTE_PGM_RSRC2:TGID_Z_EN: 0
; COMPUTE_PGM_RSRC2:TIDIG_COMP_CNT: 0
; COMPUTE_PGM_RSRC3_GFX90A:ACCUM_OFFSET: 0
; COMPUTE_PGM_RSRC3_GFX90A:TG_SPLIT: 0
	.section	.text._ZN7rocprim17ROCPRIM_400000_NS6detail17trampoline_kernelINS0_14default_configENS1_35radix_sort_onesweep_config_selectorIttEEZZNS1_29radix_sort_onesweep_iterationIS3_Lb0EN6thrust23THRUST_200600_302600_NS6detail15normal_iteratorINS8_10device_ptrItEEEESD_SD_SD_jNS0_19identity_decomposerENS1_16block_id_wrapperIjLb0EEEEE10hipError_tT1_PNSt15iterator_traitsISI_E10value_typeET2_T3_PNSJ_ISO_E10value_typeET4_T5_PST_SU_PNS1_23onesweep_lookback_stateEbbT6_jjT7_P12ihipStream_tbENKUlT_T0_SI_SN_E_clIPtSD_S15_SD_EEDaS11_S12_SI_SN_EUlS11_E_NS1_11comp_targetILNS1_3genE6ELNS1_11target_archE950ELNS1_3gpuE13ELNS1_3repE0EEENS1_47radix_sort_onesweep_sort_config_static_selectorELNS0_4arch9wavefront6targetE1EEEvSI_,"axG",@progbits,_ZN7rocprim17ROCPRIM_400000_NS6detail17trampoline_kernelINS0_14default_configENS1_35radix_sort_onesweep_config_selectorIttEEZZNS1_29radix_sort_onesweep_iterationIS3_Lb0EN6thrust23THRUST_200600_302600_NS6detail15normal_iteratorINS8_10device_ptrItEEEESD_SD_SD_jNS0_19identity_decomposerENS1_16block_id_wrapperIjLb0EEEEE10hipError_tT1_PNSt15iterator_traitsISI_E10value_typeET2_T3_PNSJ_ISO_E10value_typeET4_T5_PST_SU_PNS1_23onesweep_lookback_stateEbbT6_jjT7_P12ihipStream_tbENKUlT_T0_SI_SN_E_clIPtSD_S15_SD_EEDaS11_S12_SI_SN_EUlS11_E_NS1_11comp_targetILNS1_3genE6ELNS1_11target_archE950ELNS1_3gpuE13ELNS1_3repE0EEENS1_47radix_sort_onesweep_sort_config_static_selectorELNS0_4arch9wavefront6targetE1EEEvSI_,comdat
	.protected	_ZN7rocprim17ROCPRIM_400000_NS6detail17trampoline_kernelINS0_14default_configENS1_35radix_sort_onesweep_config_selectorIttEEZZNS1_29radix_sort_onesweep_iterationIS3_Lb0EN6thrust23THRUST_200600_302600_NS6detail15normal_iteratorINS8_10device_ptrItEEEESD_SD_SD_jNS0_19identity_decomposerENS1_16block_id_wrapperIjLb0EEEEE10hipError_tT1_PNSt15iterator_traitsISI_E10value_typeET2_T3_PNSJ_ISO_E10value_typeET4_T5_PST_SU_PNS1_23onesweep_lookback_stateEbbT6_jjT7_P12ihipStream_tbENKUlT_T0_SI_SN_E_clIPtSD_S15_SD_EEDaS11_S12_SI_SN_EUlS11_E_NS1_11comp_targetILNS1_3genE6ELNS1_11target_archE950ELNS1_3gpuE13ELNS1_3repE0EEENS1_47radix_sort_onesweep_sort_config_static_selectorELNS0_4arch9wavefront6targetE1EEEvSI_ ; -- Begin function _ZN7rocprim17ROCPRIM_400000_NS6detail17trampoline_kernelINS0_14default_configENS1_35radix_sort_onesweep_config_selectorIttEEZZNS1_29radix_sort_onesweep_iterationIS3_Lb0EN6thrust23THRUST_200600_302600_NS6detail15normal_iteratorINS8_10device_ptrItEEEESD_SD_SD_jNS0_19identity_decomposerENS1_16block_id_wrapperIjLb0EEEEE10hipError_tT1_PNSt15iterator_traitsISI_E10value_typeET2_T3_PNSJ_ISO_E10value_typeET4_T5_PST_SU_PNS1_23onesweep_lookback_stateEbbT6_jjT7_P12ihipStream_tbENKUlT_T0_SI_SN_E_clIPtSD_S15_SD_EEDaS11_S12_SI_SN_EUlS11_E_NS1_11comp_targetILNS1_3genE6ELNS1_11target_archE950ELNS1_3gpuE13ELNS1_3repE0EEENS1_47radix_sort_onesweep_sort_config_static_selectorELNS0_4arch9wavefront6targetE1EEEvSI_
	.globl	_ZN7rocprim17ROCPRIM_400000_NS6detail17trampoline_kernelINS0_14default_configENS1_35radix_sort_onesweep_config_selectorIttEEZZNS1_29radix_sort_onesweep_iterationIS3_Lb0EN6thrust23THRUST_200600_302600_NS6detail15normal_iteratorINS8_10device_ptrItEEEESD_SD_SD_jNS0_19identity_decomposerENS1_16block_id_wrapperIjLb0EEEEE10hipError_tT1_PNSt15iterator_traitsISI_E10value_typeET2_T3_PNSJ_ISO_E10value_typeET4_T5_PST_SU_PNS1_23onesweep_lookback_stateEbbT6_jjT7_P12ihipStream_tbENKUlT_T0_SI_SN_E_clIPtSD_S15_SD_EEDaS11_S12_SI_SN_EUlS11_E_NS1_11comp_targetILNS1_3genE6ELNS1_11target_archE950ELNS1_3gpuE13ELNS1_3repE0EEENS1_47radix_sort_onesweep_sort_config_static_selectorELNS0_4arch9wavefront6targetE1EEEvSI_
	.p2align	8
	.type	_ZN7rocprim17ROCPRIM_400000_NS6detail17trampoline_kernelINS0_14default_configENS1_35radix_sort_onesweep_config_selectorIttEEZZNS1_29radix_sort_onesweep_iterationIS3_Lb0EN6thrust23THRUST_200600_302600_NS6detail15normal_iteratorINS8_10device_ptrItEEEESD_SD_SD_jNS0_19identity_decomposerENS1_16block_id_wrapperIjLb0EEEEE10hipError_tT1_PNSt15iterator_traitsISI_E10value_typeET2_T3_PNSJ_ISO_E10value_typeET4_T5_PST_SU_PNS1_23onesweep_lookback_stateEbbT6_jjT7_P12ihipStream_tbENKUlT_T0_SI_SN_E_clIPtSD_S15_SD_EEDaS11_S12_SI_SN_EUlS11_E_NS1_11comp_targetILNS1_3genE6ELNS1_11target_archE950ELNS1_3gpuE13ELNS1_3repE0EEENS1_47radix_sort_onesweep_sort_config_static_selectorELNS0_4arch9wavefront6targetE1EEEvSI_,@function
_ZN7rocprim17ROCPRIM_400000_NS6detail17trampoline_kernelINS0_14default_configENS1_35radix_sort_onesweep_config_selectorIttEEZZNS1_29radix_sort_onesweep_iterationIS3_Lb0EN6thrust23THRUST_200600_302600_NS6detail15normal_iteratorINS8_10device_ptrItEEEESD_SD_SD_jNS0_19identity_decomposerENS1_16block_id_wrapperIjLb0EEEEE10hipError_tT1_PNSt15iterator_traitsISI_E10value_typeET2_T3_PNSJ_ISO_E10value_typeET4_T5_PST_SU_PNS1_23onesweep_lookback_stateEbbT6_jjT7_P12ihipStream_tbENKUlT_T0_SI_SN_E_clIPtSD_S15_SD_EEDaS11_S12_SI_SN_EUlS11_E_NS1_11comp_targetILNS1_3genE6ELNS1_11target_archE950ELNS1_3gpuE13ELNS1_3repE0EEENS1_47radix_sort_onesweep_sort_config_static_selectorELNS0_4arch9wavefront6targetE1EEEvSI_: ; @_ZN7rocprim17ROCPRIM_400000_NS6detail17trampoline_kernelINS0_14default_configENS1_35radix_sort_onesweep_config_selectorIttEEZZNS1_29radix_sort_onesweep_iterationIS3_Lb0EN6thrust23THRUST_200600_302600_NS6detail15normal_iteratorINS8_10device_ptrItEEEESD_SD_SD_jNS0_19identity_decomposerENS1_16block_id_wrapperIjLb0EEEEE10hipError_tT1_PNSt15iterator_traitsISI_E10value_typeET2_T3_PNSJ_ISO_E10value_typeET4_T5_PST_SU_PNS1_23onesweep_lookback_stateEbbT6_jjT7_P12ihipStream_tbENKUlT_T0_SI_SN_E_clIPtSD_S15_SD_EEDaS11_S12_SI_SN_EUlS11_E_NS1_11comp_targetILNS1_3genE6ELNS1_11target_archE950ELNS1_3gpuE13ELNS1_3repE0EEENS1_47radix_sort_onesweep_sort_config_static_selectorELNS0_4arch9wavefront6targetE1EEEvSI_
; %bb.0:
	s_load_dwordx4 s[8:11], s[0:1], 0x44
	s_load_dwordx8 s[92:99], s[0:1], 0x0
	s_load_dwordx4 s[4:7], s[0:1], 0x28
                                        ; implicit-def: $vgpr118 : SGPR spill to VGPR lane
	s_load_dwordx2 s[12:13], s[0:1], 0x38
	v_mbcnt_lo_u32_b32 v1, -1, 0
	s_waitcnt lgkmcnt(0)
	s_cmp_ge_u32 s2, s10
	v_writelane_b32 v118, s4, 0
	s_nop 1
	v_writelane_b32 v118, s5, 1
	v_writelane_b32 v118, s6, 2
	;; [unrolled: 1-line block ×3, first 2 shown]
	s_mov_b64 s[4:5], -1
	s_mul_i32 s6, s2, 0x2c00
	s_cbranch_scc0 .LBB1020_288
; %bb.1:
	s_load_dword s3, s[0:1], 0x20
	s_mul_i32 s4, s10, 0xffffd400
	s_mov_b32 s7, 0
	v_mbcnt_hi_u32_b32 v15, -1, v1
	s_lshl_b64 s[10:11], s[6:7], 1
	s_waitcnt lgkmcnt(0)
	s_add_i32 s7, s3, s4
	s_add_u32 s4, s92, s10
	v_and_b32_e32 v10, 63, v15
	v_and_b32_e32 v18, 0x1c0, v0
	s_addc_u32 s5, s93, s11
	v_mul_u32_u24_e32 v11, 22, v18
	v_mov_b32_e32 v5, 0
	v_lshlrev_b32_e32 v4, 1, v10
	v_lshl_add_u64 v[2:3], s[4:5], 0, v[4:5]
	v_lshlrev_b32_e32 v6, 1, v11
	v_mov_b32_e32 v7, v5
	v_lshl_add_u64 v[8:9], v[2:3], 0, v[6:7]
	v_or_b32_e32 v11, v10, v11
	v_mov_b32_e32 v35, 0xffff
	v_mov_b32_e32 v3, -1
	v_mov_b32_e32 v5, -1
	v_mov_b32_e32 v10, 0xffff
	v_cmp_gt_u32_e64 s[14:15], s7, v11
	s_mov_b64 s[4:5], exec
	s_nop 0
	v_writelane_b32 v118, s14, 4
	s_nop 1
	v_writelane_b32 v118, s15, 5
	s_and_b64 s[14:15], s[4:5], s[14:15]
	s_mov_b64 exec, s[14:15]
	s_cbranch_execz .LBB1020_3
; %bb.2:
	global_load_ushort v5, v[8:9], off
	s_waitcnt vmcnt(0)
	v_and_b32_e32 v10, 0xffff, v5
.LBB1020_3:
	s_or_b64 exec, exec, s[4:5]
	v_or_b32_e32 v2, 64, v11
	v_cmp_gt_u32_e64 s[14:15], s7, v2
	s_mov_b64 s[4:5], exec
	s_nop 0
	v_writelane_b32 v118, s14, 6
	s_nop 1
	v_writelane_b32 v118, s15, 7
	s_and_b64 s[14:15], s[4:5], s[14:15]
	s_mov_b64 exec, s[14:15]
	s_cbranch_execz .LBB1020_5
; %bb.4:
	global_load_ushort v3, v[8:9], off offset:128
	s_waitcnt vmcnt(0)
	v_and_b32_e32 v35, 0xffff, v3
.LBB1020_5:
	s_or_b64 exec, exec, s[4:5]
	v_add_u32_e32 v2, 0x80, v11
	v_mov_b32_e32 v45, 0xffff
	v_mov_b32_e32 v7, -1
	v_mov_b32_e32 v12, -1
	v_mov_b32_e32 v39, 0xffff
	v_cmp_gt_u32_e64 s[14:15], s7, v2
	s_mov_b64 s[4:5], exec
	s_nop 0
	v_writelane_b32 v118, s14, 8
	s_nop 1
	v_writelane_b32 v118, s15, 9
	s_and_b64 s[14:15], s[4:5], s[14:15]
	s_mov_b64 exec, s[14:15]
	s_cbranch_execz .LBB1020_7
; %bb.6:
	global_load_ushort v12, v[8:9], off offset:256
	s_waitcnt vmcnt(0)
	v_and_b32_e32 v39, 0xffff, v12
.LBB1020_7:
	s_or_b64 exec, exec, s[4:5]
	v_add_u32_e32 v2, 0xc0, v11
	v_cmp_gt_u32_e64 s[14:15], s7, v2
	s_mov_b64 s[4:5], exec
	s_nop 0
	v_writelane_b32 v118, s14, 10
	s_nop 1
	v_writelane_b32 v118, s15, 11
	s_and_b64 s[14:15], s[4:5], s[14:15]
	s_mov_b64 exec, s[14:15]
	s_cbranch_execz .LBB1020_9
; %bb.8:
	global_load_ushort v7, v[8:9], off offset:384
	s_waitcnt vmcnt(0)
	v_and_b32_e32 v45, 0xffff, v7
.LBB1020_9:
	s_or_b64 exec, exec, s[4:5]
	v_add_u32_e32 v2, 0x100, v11
	v_mov_b32_e32 v53, 0xffff
	v_mov_b32_e32 v13, -1
	v_mov_b32_e32 v14, -1
	v_mov_b32_e32 v48, 0xffff
	v_cmp_gt_u32_e64 s[14:15], s7, v2
	s_mov_b64 s[4:5], exec
	s_nop 0
	v_writelane_b32 v118, s14, 12
	s_nop 1
	v_writelane_b32 v118, s15, 13
	s_and_b64 s[14:15], s[4:5], s[14:15]
	s_mov_b64 exec, s[14:15]
	s_cbranch_execz .LBB1020_11
; %bb.10:
	global_load_ushort v14, v[8:9], off offset:512
	s_waitcnt vmcnt(0)
	v_and_b32_e32 v48, 0xffff, v14
.LBB1020_11:
	s_or_b64 exec, exec, s[4:5]
	v_add_u32_e32 v2, 0x140, v11
	;; [unrolled: 36-line block ×3, first 2 shown]
	v_cmp_gt_u32_e32 vcc, s7, v2
	s_and_saveexec_b64 s[4:5], vcc
	s_cbranch_execz .LBB1020_17
; %bb.16:
	global_load_ushort v16, v[8:9], off offset:896
	s_waitcnt vmcnt(0)
	v_and_b32_e32 v61, 0xffff, v16
.LBB1020_17:
	s_or_b64 exec, exec, s[4:5]
	v_add_u32_e32 v2, 0x200, v11
	v_cmp_gt_u32_e64 s[16:17], s7, v2
	v_mov_b32_e32 v70, 0xffff
	v_mov_b32_e32 v19, -1
	v_mov_b32_e32 v20, -1
	v_mov_b32_e32 v66, 0xffff
	s_and_saveexec_b64 s[4:5], s[16:17]
	s_cbranch_execz .LBB1020_19
; %bb.18:
	global_load_ushort v20, v[8:9], off offset:1024
	s_waitcnt vmcnt(0)
	v_and_b32_e32 v66, 0xffff, v20
.LBB1020_19:
	s_or_b64 exec, exec, s[4:5]
	v_add_u32_e32 v2, 0x240, v11
	v_cmp_gt_u32_e64 s[18:19], s7, v2
	s_and_saveexec_b64 s[4:5], s[18:19]
	s_cbranch_execz .LBB1020_21
; %bb.20:
	global_load_ushort v19, v[8:9], off offset:1152
	s_waitcnt vmcnt(0)
	v_and_b32_e32 v70, 0xffff, v19
.LBB1020_21:
	s_or_b64 exec, exec, s[4:5]
	v_add_u32_e32 v2, 0x280, v11
	v_cmp_gt_u32_e64 s[20:21], s7, v2
	v_mov_b32_e32 v71, 0xffff
	v_mov_b32_e32 v21, -1
	v_mov_b32_e32 v22, -1
	v_mov_b32_e32 v74, 0xffff
	s_and_saveexec_b64 s[4:5], s[20:21]
	s_cbranch_execz .LBB1020_23
; %bb.22:
	global_load_ushort v22, v[8:9], off offset:1280
	s_waitcnt vmcnt(0)
	v_and_b32_e32 v74, 0xffff, v22
.LBB1020_23:
	s_or_b64 exec, exec, s[4:5]
	v_add_u32_e32 v2, 0x2c0, v11
	v_cmp_gt_u32_e64 s[22:23], s7, v2
	s_and_saveexec_b64 s[4:5], s[22:23]
	;; [unrolled: 24-line block ×6, first 2 shown]
	s_cbranch_execz .LBB1020_41
; %bb.40:
	global_load_ushort v29, v[8:9], off offset:2432
	s_waitcnt vmcnt(0)
	v_and_b32_e32 v44, 0xffff, v29
.LBB1020_41:
	s_or_b64 exec, exec, s[4:5]
	v_add_u32_e32 v2, 0x500, v11
	v_cmp_gt_u32_e64 s[42:43], s7, v2
	v_mov_b32_e32 v36, 0xffff
	v_mov_b32_e32 v31, -1
	v_mov_b32_e32 v32, -1
	v_mov_b32_e32 v40, 0xffff
	s_and_saveexec_b64 s[4:5], s[42:43]
	s_cbranch_execz .LBB1020_43
; %bb.42:
	global_load_ushort v32, v[8:9], off offset:2560
	s_waitcnt vmcnt(0)
	v_and_b32_e32 v40, 0xffff, v32
.LBB1020_43:
	s_or_b64 exec, exec, s[4:5]
	v_add_u32_e32 v11, 0x540, v11
	v_and_b32_e32 v2, 0x3ff, v0
	v_cmp_gt_u32_e64 s[44:45], s7, v11
	s_and_saveexec_b64 s[4:5], s[44:45]
	s_cbranch_execz .LBB1020_45
; %bb.44:
	global_load_ushort v31, v[8:9], off offset:2688
	s_waitcnt vmcnt(0)
	v_and_b32_e32 v36, 0xffff, v31
.LBB1020_45:
	s_or_b64 exec, exec, s[4:5]
	s_load_dword s4, s[0:1], 0x64
	s_load_dword s3, s[0:1], 0x58
	s_add_u32 s5, s0, 0x58
	s_addc_u32 s14, s1, 0
	v_mov_b32_e32 v8, 0
	s_waitcnt lgkmcnt(0)
	s_lshr_b32 s15, s4, 16
	s_cmp_lt_u32 s2, s3
	s_cselect_b32 s4, 12, 18
	s_add_u32 s4, s5, s4
	s_addc_u32 s5, s14, 0
	global_load_ushort v37, v8, s[4:5]
	v_bfe_u32 v34, v0, 10, 10
	v_bfe_u32 v38, v0, 20, 10
	v_lshrrev_b32_e32 v10, s8, v10
	s_lshl_b32 s4, -1, s9
	v_lshlrev_b32_e32 v33, 3, v2
	v_mov_b32_e32 v9, v8
	v_mad_u32_u24 v38, v38, s15, v34
	v_bitop3_b32 v34, v10, s4, v10 bitop3:0x30
	v_mov_b32_e32 v11, v8
	ds_write_b64 v33, v[8:9] offset:32
	v_and_b32_e32 v10, 1, v34
	v_lshlrev_b32_e32 v9, 30, v34
	v_lshl_add_u64 v[42:43], v[10:11], 0, -1
	v_cmp_ne_u32_e64 s[46:47], 0, v10
	v_cmp_gt_i64_e64 s[48:49], 0, v[8:9]
	v_not_b32_e32 v10, v9
	v_lshlrev_b32_e32 v9, 29, v34
	v_xor_b32_e32 v11, s47, v43
	v_xor_b32_e32 v42, s46, v42
	v_ashrrev_i32_e32 v10, 31, v10
	v_cmp_gt_i64_e64 s[46:47], 0, v[8:9]
	v_not_b32_e32 v43, v9
	v_lshlrev_b32_e32 v9, 28, v34
	v_and_b32_e32 v11, exec_hi, v11
	v_and_b32_e32 v42, exec_lo, v42
	v_xor_b32_e32 v46, s49, v10
	v_xor_b32_e32 v10, s48, v10
	v_ashrrev_i32_e32 v43, 31, v43
	v_cmp_gt_i64_e64 s[48:49], 0, v[8:9]
	v_not_b32_e32 v47, v9
	v_lshlrev_b32_e32 v9, 27, v34
	v_and_b32_e32 v11, v11, v46
	v_and_b32_e32 v10, v42, v10
	v_xor_b32_e32 v42, s47, v43
	v_xor_b32_e32 v43, s46, v43
	v_ashrrev_i32_e32 v46, 31, v47
	v_cmp_gt_i64_e64 s[46:47], 0, v[8:9]
	v_not_b32_e32 v47, v9
	v_lshlrev_b32_e32 v9, 26, v34
	v_mul_u32_u24_e32 v41, 36, v34
	v_and_b32_e32 v11, v11, v42
	v_and_b32_e32 v10, v10, v43
	v_xor_b32_e32 v34, s49, v46
	v_xor_b32_e32 v42, s48, v46
	v_ashrrev_i32_e32 v43, 31, v47
	v_cmp_gt_i64_e64 s[48:49], 0, v[8:9]
	v_not_b32_e32 v9, v9
	v_and_b32_e32 v11, v11, v34
	v_and_b32_e32 v10, v10, v42
	v_xor_b32_e32 v34, s47, v43
	v_xor_b32_e32 v42, s46, v43
	v_ashrrev_i32_e32 v9, 31, v9
	v_and_b32_e32 v11, v11, v34
	v_and_b32_e32 v10, v10, v42
	v_xor_b32_e32 v34, s49, v9
	v_xor_b32_e32 v9, s48, v9
	v_and_b32_e32 v10, v10, v9
	s_not_b32 s33, s4
	v_and_b32_e32 v11, v11, v34
	v_mbcnt_lo_u32_b32 v9, v10, 0
	v_mbcnt_hi_u32_b32 v34, v11, v9
	v_cmp_ne_u64_e64 s[46:47], 0, v[10:11]
	v_cmp_eq_u32_e64 s[48:49], 0, v34
	s_and_b64 s[46:47], s[46:47], s[48:49]
	s_waitcnt lgkmcnt(0)
	s_barrier
	s_waitcnt vmcnt(0)
	; wave barrier
	v_mad_u64_u32 v[42:43], s[4:5], v38, v37, v[2:3]
	v_lshrrev_b32_e32 v9, 4, v42
	v_and_b32_e32 v43, 0xffffffc, v9
	v_add_u32_e32 v37, v43, v41
	s_and_saveexec_b64 s[4:5], s[46:47]
; %bb.46:
	v_bcnt_u32_b32 v9, v10, 0
	v_bcnt_u32_b32 v9, v11, v9
	ds_write_b32 v37, v9 offset:32
; %bb.47:
	s_or_b64 exec, exec, s[4:5]
	v_lshrrev_b32_e32 v9, s8, v35
	v_and_b32_e32 v38, s33, v9
	v_and_b32_e32 v10, 1, v38
	v_mov_b32_e32 v11, v8
	v_mad_u32_u24 v9, v38, 36, v43
	v_lshl_add_u64 v[46:47], v[10:11], 0, -1
	v_cmp_ne_u32_e64 s[46:47], 0, v10
	; wave barrier
	ds_read_b32 v35, v9 offset:32
	s_nop 0
	v_xor_b32_e32 v9, s47, v47
	v_and_b32_e32 v11, exec_hi, v9
	v_lshlrev_b32_e32 v9, 30, v38
	v_xor_b32_e32 v10, s46, v46
	v_cmp_gt_i64_e64 s[46:47], 0, v[8:9]
	v_not_b32_e32 v9, v9
	v_ashrrev_i32_e32 v9, 31, v9
	v_and_b32_e32 v10, exec_lo, v10
	v_xor_b32_e32 v42, s47, v9
	v_xor_b32_e32 v9, s46, v9
	v_and_b32_e32 v10, v10, v9
	v_lshlrev_b32_e32 v9, 29, v38
	v_cmp_gt_i64_e64 s[46:47], 0, v[8:9]
	v_not_b32_e32 v9, v9
	v_ashrrev_i32_e32 v9, 31, v9
	v_and_b32_e32 v11, v11, v42
	v_xor_b32_e32 v42, s47, v9
	v_xor_b32_e32 v9, s46, v9
	v_and_b32_e32 v10, v10, v9
	v_lshlrev_b32_e32 v9, 28, v38
	v_cmp_gt_i64_e64 s[46:47], 0, v[8:9]
	v_not_b32_e32 v9, v9
	v_ashrrev_i32_e32 v9, 31, v9
	v_and_b32_e32 v11, v11, v42
	;; [unrolled: 8-line block ×3, first 2 shown]
	v_xor_b32_e32 v42, s47, v9
	v_xor_b32_e32 v9, s46, v9
	v_and_b32_e32 v10, v10, v9
	v_lshlrev_b32_e32 v9, 26, v38
	v_cmp_gt_i64_e64 s[46:47], 0, v[8:9]
	v_not_b32_e32 v8, v9
	v_ashrrev_i32_e32 v8, 31, v8
	v_xor_b32_e32 v9, s47, v8
	v_xor_b32_e32 v8, s46, v8
	v_and_b32_e32 v11, v11, v42
	v_and_b32_e32 v8, v10, v8
	;; [unrolled: 1-line block ×3, first 2 shown]
	v_mbcnt_lo_u32_b32 v10, v8, 0
	v_mul_u32_u24_e32 v41, 36, v38
	v_mbcnt_hi_u32_b32 v38, v9, v10
	v_cmp_eq_u32_e64 s[46:47], 0, v38
	v_cmp_ne_u64_e64 s[48:49], 0, v[8:9]
	s_and_b64 s[46:47], s[48:49], s[46:47]
	v_add_u32_e32 v41, v43, v41
	; wave barrier
	s_and_saveexec_b64 s[4:5], s[46:47]
	s_cbranch_execz .LBB1020_49
; %bb.48:
	v_bcnt_u32_b32 v8, v8, 0
	v_bcnt_u32_b32 v8, v9, v8
	s_waitcnt lgkmcnt(0)
	v_add_u32_e32 v8, v35, v8
	ds_write_b32 v41, v8 offset:32
.LBB1020_49:
	s_or_b64 exec, exec, s[4:5]
	v_lshrrev_b32_e32 v8, s8, v39
	v_and_b32_e32 v42, s33, v8
	v_mad_u32_u24 v8, v42, 36, v43
	; wave barrier
	ds_read_b32 v39, v8 offset:32
	v_and_b32_e32 v8, 1, v42
	v_mov_b32_e32 v9, 0
	v_lshl_add_u64 v[10:11], v[8:9], 0, -1
	v_cmp_ne_u32_e64 s[46:47], 0, v8
	v_mul_u32_u24_e32 v46, 36, v42
	v_add_u32_e32 v46, v43, v46
	v_xor_b32_e32 v10, s46, v10
	v_xor_b32_e32 v8, s47, v11
	v_and_b32_e32 v47, exec_lo, v10
	v_lshlrev_b32_e32 v11, 30, v42
	v_mov_b32_e32 v10, v9
	v_cmp_gt_i64_e64 s[46:47], 0, v[10:11]
	v_not_b32_e32 v10, v11
	v_ashrrev_i32_e32 v10, 31, v10
	v_and_b32_e32 v8, exec_hi, v8
	v_xor_b32_e32 v11, s47, v10
	v_xor_b32_e32 v10, s46, v10
	v_and_b32_e32 v8, v8, v11
	v_and_b32_e32 v47, v47, v10
	v_lshlrev_b32_e32 v11, 29, v42
	v_mov_b32_e32 v10, v9
	v_cmp_gt_i64_e64 s[46:47], 0, v[10:11]
	v_not_b32_e32 v10, v11
	v_ashrrev_i32_e32 v10, 31, v10
	v_xor_b32_e32 v11, s47, v10
	v_xor_b32_e32 v10, s46, v10
	v_and_b32_e32 v8, v8, v11
	v_and_b32_e32 v47, v47, v10
	v_lshlrev_b32_e32 v11, 28, v42
	v_mov_b32_e32 v10, v9
	v_cmp_gt_i64_e64 s[46:47], 0, v[10:11]
	v_not_b32_e32 v10, v11
	v_ashrrev_i32_e32 v10, 31, v10
	;; [unrolled: 9-line block ×4, first 2 shown]
	v_xor_b32_e32 v11, s47, v10
	v_xor_b32_e32 v10, s46, v10
	v_and_b32_e32 v10, v47, v10
	v_and_b32_e32 v11, v8, v11
	v_mbcnt_lo_u32_b32 v8, v10, 0
	v_mbcnt_hi_u32_b32 v42, v11, v8
	v_cmp_eq_u32_e64 s[46:47], 0, v42
	v_cmp_ne_u64_e64 s[48:49], 0, v[10:11]
	s_and_b64 s[46:47], s[48:49], s[46:47]
	; wave barrier
	s_and_saveexec_b64 s[4:5], s[46:47]
	s_cbranch_execz .LBB1020_51
; %bb.50:
	v_bcnt_u32_b32 v8, v10, 0
	v_bcnt_u32_b32 v8, v11, v8
	s_waitcnt lgkmcnt(0)
	v_add_u32_e32 v8, v39, v8
	ds_write_b32 v46, v8 offset:32
.LBB1020_51:
	s_or_b64 exec, exec, s[4:5]
	v_lshrrev_b32_e32 v8, s8, v45
	v_and_b32_e32 v47, s33, v8
	v_mad_u32_u24 v8, v47, 36, v43
	; wave barrier
	ds_read_b32 v45, v8 offset:32
	v_and_b32_e32 v8, 1, v47
	v_lshl_add_u64 v[10:11], v[8:9], 0, -1
	v_cmp_ne_u32_e64 s[46:47], 0, v8
	v_mul_u32_u24_e32 v50, 36, v47
	v_add_u32_e32 v50, v43, v50
	v_xor_b32_e32 v10, s46, v10
	v_xor_b32_e32 v8, s47, v11
	v_and_b32_e32 v52, exec_lo, v10
	v_lshlrev_b32_e32 v11, 30, v47
	v_mov_b32_e32 v10, v9
	v_cmp_gt_i64_e64 s[46:47], 0, v[10:11]
	v_not_b32_e32 v10, v11
	v_ashrrev_i32_e32 v10, 31, v10
	v_and_b32_e32 v8, exec_hi, v8
	v_xor_b32_e32 v11, s47, v10
	v_xor_b32_e32 v10, s46, v10
	v_and_b32_e32 v8, v8, v11
	v_and_b32_e32 v52, v52, v10
	v_lshlrev_b32_e32 v11, 29, v47
	v_mov_b32_e32 v10, v9
	v_cmp_gt_i64_e64 s[46:47], 0, v[10:11]
	v_not_b32_e32 v10, v11
	v_ashrrev_i32_e32 v10, 31, v10
	v_xor_b32_e32 v11, s47, v10
	v_xor_b32_e32 v10, s46, v10
	v_and_b32_e32 v8, v8, v11
	v_and_b32_e32 v52, v52, v10
	v_lshlrev_b32_e32 v11, 28, v47
	v_mov_b32_e32 v10, v9
	v_cmp_gt_i64_e64 s[46:47], 0, v[10:11]
	v_not_b32_e32 v10, v11
	v_ashrrev_i32_e32 v10, 31, v10
	;; [unrolled: 9-line block ×3, first 2 shown]
	v_xor_b32_e32 v11, s47, v10
	v_xor_b32_e32 v10, s46, v10
	v_and_b32_e32 v8, v8, v11
	v_lshlrev_b32_e32 v11, 26, v47
	v_and_b32_e32 v52, v52, v10
	v_mov_b32_e32 v10, v9
	v_not_b32_e32 v9, v11
	v_cmp_gt_i64_e64 s[46:47], 0, v[10:11]
	v_ashrrev_i32_e32 v9, 31, v9
	s_nop 0
	v_xor_b32_e32 v10, s47, v9
	v_xor_b32_e32 v11, s46, v9
	v_and_b32_e32 v9, v8, v10
	v_and_b32_e32 v8, v52, v11
	v_mbcnt_lo_u32_b32 v10, v8, 0
	v_mbcnt_hi_u32_b32 v47, v9, v10
	v_cmp_eq_u32_e64 s[46:47], 0, v47
	v_cmp_ne_u64_e64 s[48:49], 0, v[8:9]
	s_and_b64 s[46:47], s[48:49], s[46:47]
	; wave barrier
	s_and_saveexec_b64 s[4:5], s[46:47]
	s_cbranch_execz .LBB1020_53
; %bb.52:
	v_bcnt_u32_b32 v8, v8, 0
	v_bcnt_u32_b32 v8, v9, v8
	s_waitcnt lgkmcnt(0)
	v_add_u32_e32 v8, v45, v8
	ds_write_b32 v50, v8 offset:32
.LBB1020_53:
	s_or_b64 exec, exec, s[4:5]
	v_lshrrev_b32_e32 v8, s8, v48
	v_and_b32_e32 v52, s33, v8
	v_mad_u32_u24 v8, v52, 36, v43
	; wave barrier
	ds_read_b32 v48, v8 offset:32
	v_and_b32_e32 v8, 1, v52
	v_mov_b32_e32 v9, 0
	v_lshl_add_u64 v[10:11], v[8:9], 0, -1
	v_cmp_ne_u32_e64 s[46:47], 0, v8
	v_mul_u32_u24_e32 v54, 36, v52
	v_add_u32_e32 v54, v43, v54
	v_xor_b32_e32 v10, s46, v10
	v_xor_b32_e32 v8, s47, v11
	v_and_b32_e32 v56, exec_lo, v10
	v_lshlrev_b32_e32 v11, 30, v52
	v_mov_b32_e32 v10, v9
	v_cmp_gt_i64_e64 s[46:47], 0, v[10:11]
	v_not_b32_e32 v10, v11
	v_ashrrev_i32_e32 v10, 31, v10
	v_and_b32_e32 v8, exec_hi, v8
	v_xor_b32_e32 v11, s47, v10
	v_xor_b32_e32 v10, s46, v10
	v_and_b32_e32 v8, v8, v11
	v_and_b32_e32 v56, v56, v10
	v_lshlrev_b32_e32 v11, 29, v52
	v_mov_b32_e32 v10, v9
	v_cmp_gt_i64_e64 s[46:47], 0, v[10:11]
	v_not_b32_e32 v10, v11
	v_ashrrev_i32_e32 v10, 31, v10
	v_xor_b32_e32 v11, s47, v10
	v_xor_b32_e32 v10, s46, v10
	v_and_b32_e32 v8, v8, v11
	v_and_b32_e32 v56, v56, v10
	v_lshlrev_b32_e32 v11, 28, v52
	v_mov_b32_e32 v10, v9
	v_cmp_gt_i64_e64 s[46:47], 0, v[10:11]
	v_not_b32_e32 v10, v11
	v_ashrrev_i32_e32 v10, 31, v10
	;; [unrolled: 9-line block ×4, first 2 shown]
	v_xor_b32_e32 v11, s47, v10
	v_xor_b32_e32 v10, s46, v10
	v_and_b32_e32 v10, v56, v10
	v_and_b32_e32 v11, v8, v11
	v_mbcnt_lo_u32_b32 v8, v10, 0
	v_mbcnt_hi_u32_b32 v52, v11, v8
	v_cmp_eq_u32_e64 s[46:47], 0, v52
	v_cmp_ne_u64_e64 s[48:49], 0, v[10:11]
	s_and_b64 s[46:47], s[48:49], s[46:47]
	; wave barrier
	s_and_saveexec_b64 s[4:5], s[46:47]
	s_cbranch_execz .LBB1020_55
; %bb.54:
	v_bcnt_u32_b32 v8, v10, 0
	v_bcnt_u32_b32 v8, v11, v8
	s_waitcnt lgkmcnt(0)
	v_add_u32_e32 v8, v48, v8
	ds_write_b32 v54, v8 offset:32
.LBB1020_55:
	s_or_b64 exec, exec, s[4:5]
	v_lshrrev_b32_e32 v8, s8, v53
	v_and_b32_e32 v56, s33, v8
	v_mad_u32_u24 v8, v56, 36, v43
	; wave barrier
	ds_read_b32 v53, v8 offset:32
	v_and_b32_e32 v8, 1, v56
	v_lshl_add_u64 v[10:11], v[8:9], 0, -1
	v_cmp_ne_u32_e64 s[46:47], 0, v8
	v_mul_u32_u24_e32 v59, 36, v56
	v_add_u32_e32 v59, v43, v59
	v_xor_b32_e32 v10, s46, v10
	v_xor_b32_e32 v8, s47, v11
	v_and_b32_e32 v60, exec_lo, v10
	v_lshlrev_b32_e32 v11, 30, v56
	v_mov_b32_e32 v10, v9
	v_cmp_gt_i64_e64 s[46:47], 0, v[10:11]
	v_not_b32_e32 v10, v11
	v_ashrrev_i32_e32 v10, 31, v10
	v_and_b32_e32 v8, exec_hi, v8
	v_xor_b32_e32 v11, s47, v10
	v_xor_b32_e32 v10, s46, v10
	v_and_b32_e32 v8, v8, v11
	v_and_b32_e32 v60, v60, v10
	v_lshlrev_b32_e32 v11, 29, v56
	v_mov_b32_e32 v10, v9
	v_cmp_gt_i64_e64 s[46:47], 0, v[10:11]
	v_not_b32_e32 v10, v11
	v_ashrrev_i32_e32 v10, 31, v10
	v_xor_b32_e32 v11, s47, v10
	v_xor_b32_e32 v10, s46, v10
	v_and_b32_e32 v8, v8, v11
	v_and_b32_e32 v60, v60, v10
	v_lshlrev_b32_e32 v11, 28, v56
	v_mov_b32_e32 v10, v9
	v_cmp_gt_i64_e64 s[46:47], 0, v[10:11]
	v_not_b32_e32 v10, v11
	v_ashrrev_i32_e32 v10, 31, v10
	;; [unrolled: 9-line block ×3, first 2 shown]
	v_xor_b32_e32 v11, s47, v10
	v_xor_b32_e32 v10, s46, v10
	v_and_b32_e32 v8, v8, v11
	v_lshlrev_b32_e32 v11, 26, v56
	v_and_b32_e32 v60, v60, v10
	v_mov_b32_e32 v10, v9
	v_not_b32_e32 v9, v11
	v_cmp_gt_i64_e64 s[46:47], 0, v[10:11]
	v_ashrrev_i32_e32 v9, 31, v9
	s_nop 0
	v_xor_b32_e32 v10, s47, v9
	v_xor_b32_e32 v11, s46, v9
	v_and_b32_e32 v9, v8, v10
	v_and_b32_e32 v8, v60, v11
	v_mbcnt_lo_u32_b32 v10, v8, 0
	v_mbcnt_hi_u32_b32 v56, v9, v10
	v_cmp_eq_u32_e64 s[46:47], 0, v56
	v_cmp_ne_u64_e64 s[48:49], 0, v[8:9]
	s_and_b64 s[46:47], s[48:49], s[46:47]
	; wave barrier
	s_and_saveexec_b64 s[4:5], s[46:47]
	s_cbranch_execz .LBB1020_57
; %bb.56:
	v_bcnt_u32_b32 v8, v8, 0
	v_bcnt_u32_b32 v8, v9, v8
	s_waitcnt lgkmcnt(0)
	v_add_u32_e32 v8, v53, v8
	ds_write_b32 v59, v8 offset:32
.LBB1020_57:
	s_or_b64 exec, exec, s[4:5]
	v_lshrrev_b32_e32 v8, s8, v57
	v_and_b32_e32 v60, s33, v8
	v_mad_u32_u24 v8, v60, 36, v43
	; wave barrier
	ds_read_b32 v57, v8 offset:32
	v_and_b32_e32 v8, 1, v60
	v_mov_b32_e32 v9, 0
	v_lshl_add_u64 v[10:11], v[8:9], 0, -1
	v_cmp_ne_u32_e64 s[46:47], 0, v8
	v_mul_u32_u24_e32 v63, 36, v60
	v_add_u32_e32 v63, v43, v63
	v_xor_b32_e32 v10, s46, v10
	v_xor_b32_e32 v8, s47, v11
	v_and_b32_e32 v64, exec_lo, v10
	v_lshlrev_b32_e32 v11, 30, v60
	v_mov_b32_e32 v10, v9
	v_cmp_gt_i64_e64 s[46:47], 0, v[10:11]
	v_not_b32_e32 v10, v11
	v_ashrrev_i32_e32 v10, 31, v10
	v_and_b32_e32 v8, exec_hi, v8
	v_xor_b32_e32 v11, s47, v10
	v_xor_b32_e32 v10, s46, v10
	v_and_b32_e32 v8, v8, v11
	v_and_b32_e32 v64, v64, v10
	v_lshlrev_b32_e32 v11, 29, v60
	v_mov_b32_e32 v10, v9
	v_cmp_gt_i64_e64 s[46:47], 0, v[10:11]
	v_not_b32_e32 v10, v11
	v_ashrrev_i32_e32 v10, 31, v10
	v_xor_b32_e32 v11, s47, v10
	v_xor_b32_e32 v10, s46, v10
	v_and_b32_e32 v8, v8, v11
	v_and_b32_e32 v64, v64, v10
	v_lshlrev_b32_e32 v11, 28, v60
	v_mov_b32_e32 v10, v9
	v_cmp_gt_i64_e64 s[46:47], 0, v[10:11]
	v_not_b32_e32 v10, v11
	v_ashrrev_i32_e32 v10, 31, v10
	;; [unrolled: 9-line block ×4, first 2 shown]
	v_xor_b32_e32 v11, s47, v10
	v_xor_b32_e32 v10, s46, v10
	v_and_b32_e32 v10, v64, v10
	v_and_b32_e32 v11, v8, v11
	v_mbcnt_lo_u32_b32 v8, v10, 0
	v_mbcnt_hi_u32_b32 v60, v11, v8
	v_cmp_eq_u32_e64 s[46:47], 0, v60
	v_cmp_ne_u64_e64 s[48:49], 0, v[10:11]
	s_and_b64 s[46:47], s[48:49], s[46:47]
	; wave barrier
	s_and_saveexec_b64 s[4:5], s[46:47]
	s_cbranch_execz .LBB1020_59
; %bb.58:
	v_bcnt_u32_b32 v8, v10, 0
	v_bcnt_u32_b32 v8, v11, v8
	s_waitcnt lgkmcnt(0)
	v_add_u32_e32 v8, v57, v8
	ds_write_b32 v63, v8 offset:32
.LBB1020_59:
	s_or_b64 exec, exec, s[4:5]
	v_lshrrev_b32_e32 v8, s8, v61
	v_and_b32_e32 v64, s33, v8
	v_mad_u32_u24 v8, v64, 36, v43
	; wave barrier
	ds_read_b32 v61, v8 offset:32
	v_and_b32_e32 v8, 1, v64
	v_lshl_add_u64 v[10:11], v[8:9], 0, -1
	v_cmp_ne_u32_e64 s[46:47], 0, v8
	v_mul_u32_u24_e32 v67, 36, v64
	v_add_u32_e32 v67, v43, v67
	v_xor_b32_e32 v10, s46, v10
	v_xor_b32_e32 v8, s47, v11
	v_and_b32_e32 v68, exec_lo, v10
	v_lshlrev_b32_e32 v11, 30, v64
	v_mov_b32_e32 v10, v9
	v_cmp_gt_i64_e64 s[46:47], 0, v[10:11]
	v_not_b32_e32 v10, v11
	v_ashrrev_i32_e32 v10, 31, v10
	v_and_b32_e32 v8, exec_hi, v8
	v_xor_b32_e32 v11, s47, v10
	v_xor_b32_e32 v10, s46, v10
	v_and_b32_e32 v8, v8, v11
	v_and_b32_e32 v68, v68, v10
	v_lshlrev_b32_e32 v11, 29, v64
	v_mov_b32_e32 v10, v9
	v_cmp_gt_i64_e64 s[46:47], 0, v[10:11]
	v_not_b32_e32 v10, v11
	v_ashrrev_i32_e32 v10, 31, v10
	v_xor_b32_e32 v11, s47, v10
	v_xor_b32_e32 v10, s46, v10
	v_and_b32_e32 v8, v8, v11
	v_and_b32_e32 v68, v68, v10
	v_lshlrev_b32_e32 v11, 28, v64
	v_mov_b32_e32 v10, v9
	v_cmp_gt_i64_e64 s[46:47], 0, v[10:11]
	v_not_b32_e32 v10, v11
	v_ashrrev_i32_e32 v10, 31, v10
	v_xor_b32_e32 v11, s47, v10
	v_xor_b32_e32 v10, s46, v10
	v_and_b32_e32 v8, v8, v11
	v_and_b32_e32 v68, v68, v10
	v_lshlrev_b32_e32 v11, 27, v64
	v_mov_b32_e32 v10, v9
	v_cmp_gt_i64_e64 s[46:47], 0, v[10:11]
	v_not_b32_e32 v10, v11
	v_ashrrev_i32_e32 v10, 31, v10
	v_xor_b32_e32 v11, s47, v10
	v_xor_b32_e32 v10, s46, v10
	v_and_b32_e32 v8, v8, v11
	v_lshlrev_b32_e32 v11, 26, v64
	v_and_b32_e32 v68, v68, v10
	v_mov_b32_e32 v10, v9
	v_not_b32_e32 v9, v11
	v_cmp_gt_i64_e64 s[46:47], 0, v[10:11]
	v_ashrrev_i32_e32 v9, 31, v9
	s_nop 0
	v_xor_b32_e32 v10, s47, v9
	v_xor_b32_e32 v11, s46, v9
	v_and_b32_e32 v9, v8, v10
	v_and_b32_e32 v8, v68, v11
	v_mbcnt_lo_u32_b32 v10, v8, 0
	v_mbcnt_hi_u32_b32 v64, v9, v10
	v_cmp_eq_u32_e64 s[46:47], 0, v64
	v_cmp_ne_u64_e64 s[48:49], 0, v[8:9]
	s_and_b64 s[46:47], s[48:49], s[46:47]
	; wave barrier
	s_and_saveexec_b64 s[4:5], s[46:47]
	s_cbranch_execz .LBB1020_61
; %bb.60:
	v_bcnt_u32_b32 v8, v8, 0
	v_bcnt_u32_b32 v8, v9, v8
	s_waitcnt lgkmcnt(0)
	v_add_u32_e32 v8, v61, v8
	ds_write_b32 v67, v8 offset:32
.LBB1020_61:
	s_or_b64 exec, exec, s[4:5]
	v_lshrrev_b32_e32 v8, s8, v66
	v_and_b32_e32 v68, s33, v8
	v_mad_u32_u24 v8, v68, 36, v43
	; wave barrier
	ds_read_b32 v66, v8 offset:32
	v_and_b32_e32 v8, 1, v68
	v_mov_b32_e32 v9, 0
	v_lshl_add_u64 v[10:11], v[8:9], 0, -1
	v_cmp_ne_u32_e64 s[46:47], 0, v8
	v_mul_u32_u24_e32 v72, 36, v68
	v_add_u32_e32 v72, v43, v72
	v_xor_b32_e32 v10, s46, v10
	v_xor_b32_e32 v8, s47, v11
	v_and_b32_e32 v73, exec_lo, v10
	v_lshlrev_b32_e32 v11, 30, v68
	v_mov_b32_e32 v10, v9
	v_cmp_gt_i64_e64 s[46:47], 0, v[10:11]
	v_not_b32_e32 v10, v11
	v_ashrrev_i32_e32 v10, 31, v10
	v_and_b32_e32 v8, exec_hi, v8
	v_xor_b32_e32 v11, s47, v10
	v_xor_b32_e32 v10, s46, v10
	v_and_b32_e32 v8, v8, v11
	v_and_b32_e32 v73, v73, v10
	v_lshlrev_b32_e32 v11, 29, v68
	v_mov_b32_e32 v10, v9
	v_cmp_gt_i64_e64 s[46:47], 0, v[10:11]
	v_not_b32_e32 v10, v11
	v_ashrrev_i32_e32 v10, 31, v10
	v_xor_b32_e32 v11, s47, v10
	v_xor_b32_e32 v10, s46, v10
	v_and_b32_e32 v8, v8, v11
	v_and_b32_e32 v73, v73, v10
	v_lshlrev_b32_e32 v11, 28, v68
	v_mov_b32_e32 v10, v9
	v_cmp_gt_i64_e64 s[46:47], 0, v[10:11]
	v_not_b32_e32 v10, v11
	v_ashrrev_i32_e32 v10, 31, v10
	;; [unrolled: 9-line block ×4, first 2 shown]
	v_xor_b32_e32 v11, s47, v10
	v_xor_b32_e32 v10, s46, v10
	v_and_b32_e32 v10, v73, v10
	v_and_b32_e32 v11, v8, v11
	v_mbcnt_lo_u32_b32 v8, v10, 0
	v_mbcnt_hi_u32_b32 v68, v11, v8
	v_cmp_eq_u32_e64 s[46:47], 0, v68
	v_cmp_ne_u64_e64 s[48:49], 0, v[10:11]
	s_and_b64 s[46:47], s[48:49], s[46:47]
	; wave barrier
	s_and_saveexec_b64 s[4:5], s[46:47]
	s_cbranch_execz .LBB1020_63
; %bb.62:
	v_bcnt_u32_b32 v8, v10, 0
	v_bcnt_u32_b32 v8, v11, v8
	s_waitcnt lgkmcnt(0)
	v_add_u32_e32 v8, v66, v8
	ds_write_b32 v72, v8 offset:32
.LBB1020_63:
	s_or_b64 exec, exec, s[4:5]
	v_lshrrev_b32_e32 v8, s8, v70
	v_and_b32_e32 v73, s33, v8
	v_mad_u32_u24 v8, v73, 36, v43
	; wave barrier
	ds_read_b32 v70, v8 offset:32
	v_and_b32_e32 v8, 1, v73
	v_lshl_add_u64 v[10:11], v[8:9], 0, -1
	v_cmp_ne_u32_e64 s[46:47], 0, v8
	v_mul_u32_u24_e32 v75, 36, v73
	v_add_u32_e32 v75, v43, v75
	v_xor_b32_e32 v10, s46, v10
	v_xor_b32_e32 v8, s47, v11
	v_and_b32_e32 v76, exec_lo, v10
	v_lshlrev_b32_e32 v11, 30, v73
	v_mov_b32_e32 v10, v9
	v_cmp_gt_i64_e64 s[46:47], 0, v[10:11]
	v_not_b32_e32 v10, v11
	v_ashrrev_i32_e32 v10, 31, v10
	v_and_b32_e32 v8, exec_hi, v8
	v_xor_b32_e32 v11, s47, v10
	v_xor_b32_e32 v10, s46, v10
	v_and_b32_e32 v8, v8, v11
	v_and_b32_e32 v76, v76, v10
	v_lshlrev_b32_e32 v11, 29, v73
	v_mov_b32_e32 v10, v9
	v_cmp_gt_i64_e64 s[46:47], 0, v[10:11]
	v_not_b32_e32 v10, v11
	v_ashrrev_i32_e32 v10, 31, v10
	v_xor_b32_e32 v11, s47, v10
	v_xor_b32_e32 v10, s46, v10
	v_and_b32_e32 v8, v8, v11
	v_and_b32_e32 v76, v76, v10
	v_lshlrev_b32_e32 v11, 28, v73
	v_mov_b32_e32 v10, v9
	v_cmp_gt_i64_e64 s[46:47], 0, v[10:11]
	v_not_b32_e32 v10, v11
	v_ashrrev_i32_e32 v10, 31, v10
	v_xor_b32_e32 v11, s47, v10
	v_xor_b32_e32 v10, s46, v10
	v_and_b32_e32 v8, v8, v11
	v_and_b32_e32 v76, v76, v10
	v_lshlrev_b32_e32 v11, 27, v73
	v_mov_b32_e32 v10, v9
	v_cmp_gt_i64_e64 s[46:47], 0, v[10:11]
	v_not_b32_e32 v10, v11
	v_ashrrev_i32_e32 v10, 31, v10
	v_xor_b32_e32 v11, s47, v10
	v_xor_b32_e32 v10, s46, v10
	v_and_b32_e32 v8, v8, v11
	v_lshlrev_b32_e32 v11, 26, v73
	v_and_b32_e32 v76, v76, v10
	v_mov_b32_e32 v10, v9
	v_not_b32_e32 v9, v11
	v_cmp_gt_i64_e64 s[46:47], 0, v[10:11]
	v_ashrrev_i32_e32 v9, 31, v9
	s_nop 0
	v_xor_b32_e32 v10, s47, v9
	v_xor_b32_e32 v11, s46, v9
	v_and_b32_e32 v9, v8, v10
	v_and_b32_e32 v8, v76, v11
	v_mbcnt_lo_u32_b32 v10, v8, 0
	v_mbcnt_hi_u32_b32 v73, v9, v10
	v_cmp_eq_u32_e64 s[46:47], 0, v73
	v_cmp_ne_u64_e64 s[48:49], 0, v[8:9]
	s_and_b64 s[46:47], s[48:49], s[46:47]
	; wave barrier
	s_and_saveexec_b64 s[4:5], s[46:47]
	s_cbranch_execz .LBB1020_65
; %bb.64:
	v_bcnt_u32_b32 v8, v8, 0
	v_bcnt_u32_b32 v8, v9, v8
	s_waitcnt lgkmcnt(0)
	v_add_u32_e32 v8, v70, v8
	ds_write_b32 v75, v8 offset:32
.LBB1020_65:
	s_or_b64 exec, exec, s[4:5]
	v_lshrrev_b32_e32 v8, s8, v74
	v_and_b32_e32 v76, s33, v8
	v_mad_u32_u24 v8, v76, 36, v43
	; wave barrier
	ds_read_b32 v74, v8 offset:32
	v_and_b32_e32 v8, 1, v76
	v_mov_b32_e32 v9, 0
	v_lshl_add_u64 v[10:11], v[8:9], 0, -1
	v_cmp_ne_u32_e64 s[46:47], 0, v8
	v_mul_u32_u24_e32 v77, 36, v76
	v_add_u32_e32 v77, v43, v77
	v_xor_b32_e32 v10, s46, v10
	v_xor_b32_e32 v8, s47, v11
	v_and_b32_e32 v78, exec_lo, v10
	v_lshlrev_b32_e32 v11, 30, v76
	v_mov_b32_e32 v10, v9
	v_cmp_gt_i64_e64 s[46:47], 0, v[10:11]
	v_not_b32_e32 v10, v11
	v_ashrrev_i32_e32 v10, 31, v10
	v_and_b32_e32 v8, exec_hi, v8
	v_xor_b32_e32 v11, s47, v10
	v_xor_b32_e32 v10, s46, v10
	v_and_b32_e32 v8, v8, v11
	v_and_b32_e32 v78, v78, v10
	v_lshlrev_b32_e32 v11, 29, v76
	v_mov_b32_e32 v10, v9
	v_cmp_gt_i64_e64 s[46:47], 0, v[10:11]
	v_not_b32_e32 v10, v11
	v_ashrrev_i32_e32 v10, 31, v10
	v_xor_b32_e32 v11, s47, v10
	v_xor_b32_e32 v10, s46, v10
	v_and_b32_e32 v8, v8, v11
	v_and_b32_e32 v78, v78, v10
	v_lshlrev_b32_e32 v11, 28, v76
	v_mov_b32_e32 v10, v9
	v_cmp_gt_i64_e64 s[46:47], 0, v[10:11]
	v_not_b32_e32 v10, v11
	v_ashrrev_i32_e32 v10, 31, v10
	;; [unrolled: 9-line block ×4, first 2 shown]
	v_xor_b32_e32 v11, s47, v10
	v_xor_b32_e32 v10, s46, v10
	v_and_b32_e32 v10, v78, v10
	v_and_b32_e32 v11, v8, v11
	v_mbcnt_lo_u32_b32 v8, v10, 0
	v_mbcnt_hi_u32_b32 v76, v11, v8
	v_cmp_eq_u32_e64 s[46:47], 0, v76
	v_cmp_ne_u64_e64 s[48:49], 0, v[10:11]
	s_and_b64 s[46:47], s[48:49], s[46:47]
	; wave barrier
	s_and_saveexec_b64 s[4:5], s[46:47]
	s_cbranch_execz .LBB1020_67
; %bb.66:
	v_bcnt_u32_b32 v8, v10, 0
	v_bcnt_u32_b32 v8, v11, v8
	s_waitcnt lgkmcnt(0)
	v_add_u32_e32 v8, v74, v8
	ds_write_b32 v77, v8 offset:32
.LBB1020_67:
	s_or_b64 exec, exec, s[4:5]
	v_lshrrev_b32_e32 v8, s8, v71
	v_and_b32_e32 v78, s33, v8
	v_mad_u32_u24 v8, v78, 36, v43
	; wave barrier
	ds_read_b32 v71, v8 offset:32
	v_and_b32_e32 v8, 1, v78
	v_lshl_add_u64 v[10:11], v[8:9], 0, -1
	v_cmp_ne_u32_e64 s[46:47], 0, v8
	v_mul_u32_u24_e32 v79, 36, v78
	v_add_u32_e32 v79, v43, v79
	v_xor_b32_e32 v10, s46, v10
	v_xor_b32_e32 v8, s47, v11
	v_and_b32_e32 v80, exec_lo, v10
	v_lshlrev_b32_e32 v11, 30, v78
	v_mov_b32_e32 v10, v9
	v_cmp_gt_i64_e64 s[46:47], 0, v[10:11]
	v_not_b32_e32 v10, v11
	v_ashrrev_i32_e32 v10, 31, v10
	v_and_b32_e32 v8, exec_hi, v8
	v_xor_b32_e32 v11, s47, v10
	v_xor_b32_e32 v10, s46, v10
	v_and_b32_e32 v8, v8, v11
	v_and_b32_e32 v80, v80, v10
	v_lshlrev_b32_e32 v11, 29, v78
	v_mov_b32_e32 v10, v9
	v_cmp_gt_i64_e64 s[46:47], 0, v[10:11]
	v_not_b32_e32 v10, v11
	v_ashrrev_i32_e32 v10, 31, v10
	v_xor_b32_e32 v11, s47, v10
	v_xor_b32_e32 v10, s46, v10
	v_and_b32_e32 v8, v8, v11
	v_and_b32_e32 v80, v80, v10
	v_lshlrev_b32_e32 v11, 28, v78
	v_mov_b32_e32 v10, v9
	v_cmp_gt_i64_e64 s[46:47], 0, v[10:11]
	v_not_b32_e32 v10, v11
	v_ashrrev_i32_e32 v10, 31, v10
	;; [unrolled: 9-line block ×3, first 2 shown]
	v_xor_b32_e32 v11, s47, v10
	v_xor_b32_e32 v10, s46, v10
	v_and_b32_e32 v8, v8, v11
	v_lshlrev_b32_e32 v11, 26, v78
	v_and_b32_e32 v80, v80, v10
	v_mov_b32_e32 v10, v9
	v_not_b32_e32 v9, v11
	v_cmp_gt_i64_e64 s[46:47], 0, v[10:11]
	v_ashrrev_i32_e32 v9, 31, v9
	s_nop 0
	v_xor_b32_e32 v10, s47, v9
	v_xor_b32_e32 v11, s46, v9
	v_and_b32_e32 v9, v8, v10
	v_and_b32_e32 v8, v80, v11
	v_mbcnt_lo_u32_b32 v10, v8, 0
	v_mbcnt_hi_u32_b32 v78, v9, v10
	v_cmp_eq_u32_e64 s[46:47], 0, v78
	v_cmp_ne_u64_e64 s[48:49], 0, v[8:9]
	s_and_b64 s[46:47], s[48:49], s[46:47]
	; wave barrier
	s_and_saveexec_b64 s[4:5], s[46:47]
	s_cbranch_execz .LBB1020_69
; %bb.68:
	v_bcnt_u32_b32 v8, v8, 0
	v_bcnt_u32_b32 v8, v9, v8
	s_waitcnt lgkmcnt(0)
	v_add_u32_e32 v8, v71, v8
	ds_write_b32 v79, v8 offset:32
.LBB1020_69:
	s_or_b64 exec, exec, s[4:5]
	v_lshrrev_b32_e32 v8, s8, v69
	v_and_b32_e32 v80, s33, v8
	v_mad_u32_u24 v8, v80, 36, v43
	; wave barrier
	ds_read_b32 v69, v8 offset:32
	v_and_b32_e32 v8, 1, v80
	v_mov_b32_e32 v9, 0
	v_lshl_add_u64 v[10:11], v[8:9], 0, -1
	v_cmp_ne_u32_e64 s[46:47], 0, v8
	v_mul_u32_u24_e32 v81, 36, v80
	s_nop 0
	v_xor_b32_e32 v10, s46, v10
	v_xor_b32_e32 v8, s47, v11
	v_and_b32_e32 v82, exec_lo, v10
	v_lshlrev_b32_e32 v11, 30, v80
	v_mov_b32_e32 v10, v9
	v_cmp_gt_i64_e64 s[46:47], 0, v[10:11]
	v_not_b32_e32 v10, v11
	v_ashrrev_i32_e32 v10, 31, v10
	v_and_b32_e32 v8, exec_hi, v8
	v_xor_b32_e32 v11, s47, v10
	v_xor_b32_e32 v10, s46, v10
	v_and_b32_e32 v8, v8, v11
	v_and_b32_e32 v82, v82, v10
	v_lshlrev_b32_e32 v11, 29, v80
	v_mov_b32_e32 v10, v9
	v_cmp_gt_i64_e64 s[46:47], 0, v[10:11]
	v_not_b32_e32 v10, v11
	v_ashrrev_i32_e32 v10, 31, v10
	v_xor_b32_e32 v11, s47, v10
	v_xor_b32_e32 v10, s46, v10
	v_and_b32_e32 v8, v8, v11
	v_and_b32_e32 v82, v82, v10
	v_lshlrev_b32_e32 v11, 28, v80
	v_mov_b32_e32 v10, v9
	v_cmp_gt_i64_e64 s[46:47], 0, v[10:11]
	v_not_b32_e32 v10, v11
	v_ashrrev_i32_e32 v10, 31, v10
	;; [unrolled: 9-line block ×4, first 2 shown]
	v_xor_b32_e32 v11, s47, v10
	v_xor_b32_e32 v10, s46, v10
	v_and_b32_e32 v10, v82, v10
	v_and_b32_e32 v11, v8, v11
	v_mbcnt_lo_u32_b32 v8, v10, 0
	v_mbcnt_hi_u32_b32 v80, v11, v8
	v_cmp_eq_u32_e64 s[46:47], 0, v80
	v_cmp_ne_u64_e64 s[48:49], 0, v[10:11]
	s_and_b64 s[46:47], s[48:49], s[46:47]
	v_add_u32_e32 v82, v43, v81
	; wave barrier
	s_and_saveexec_b64 s[4:5], s[46:47]
	s_cbranch_execz .LBB1020_71
; %bb.70:
	v_bcnt_u32_b32 v8, v10, 0
	v_bcnt_u32_b32 v8, v11, v8
	s_waitcnt lgkmcnt(0)
	v_add_u32_e32 v8, v69, v8
	ds_write_b32 v82, v8 offset:32
.LBB1020_71:
	s_or_b64 exec, exec, s[4:5]
	v_lshrrev_b32_e32 v8, s8, v65
	v_and_b32_e32 v65, s33, v8
	v_mad_u32_u24 v8, v65, 36, v43
	; wave barrier
	ds_read_b32 v81, v8 offset:32
	v_and_b32_e32 v8, 1, v65
	v_lshl_add_u64 v[10:11], v[8:9], 0, -1
	v_cmp_ne_u32_e64 s[46:47], 0, v8
	v_mul_u32_u24_e32 v84, 36, v65
	s_nop 0
	v_xor_b32_e32 v10, s46, v10
	v_xor_b32_e32 v8, s47, v11
	v_and_b32_e32 v83, exec_lo, v10
	v_lshlrev_b32_e32 v11, 30, v65
	v_mov_b32_e32 v10, v9
	v_cmp_gt_i64_e64 s[46:47], 0, v[10:11]
	v_not_b32_e32 v10, v11
	v_ashrrev_i32_e32 v10, 31, v10
	v_and_b32_e32 v8, exec_hi, v8
	v_xor_b32_e32 v11, s47, v10
	v_xor_b32_e32 v10, s46, v10
	v_and_b32_e32 v8, v8, v11
	v_and_b32_e32 v83, v83, v10
	v_lshlrev_b32_e32 v11, 29, v65
	v_mov_b32_e32 v10, v9
	v_cmp_gt_i64_e64 s[46:47], 0, v[10:11]
	v_not_b32_e32 v10, v11
	v_ashrrev_i32_e32 v10, 31, v10
	v_xor_b32_e32 v11, s47, v10
	v_xor_b32_e32 v10, s46, v10
	v_and_b32_e32 v8, v8, v11
	v_and_b32_e32 v83, v83, v10
	v_lshlrev_b32_e32 v11, 28, v65
	v_mov_b32_e32 v10, v9
	v_cmp_gt_i64_e64 s[46:47], 0, v[10:11]
	v_not_b32_e32 v10, v11
	v_ashrrev_i32_e32 v10, 31, v10
	;; [unrolled: 9-line block ×3, first 2 shown]
	v_xor_b32_e32 v11, s47, v10
	v_xor_b32_e32 v10, s46, v10
	v_and_b32_e32 v8, v8, v11
	v_lshlrev_b32_e32 v11, 26, v65
	v_and_b32_e32 v83, v83, v10
	v_mov_b32_e32 v10, v9
	v_not_b32_e32 v9, v11
	v_cmp_gt_i64_e64 s[46:47], 0, v[10:11]
	v_ashrrev_i32_e32 v9, 31, v9
	v_add_u32_e32 v65, v43, v84
	v_xor_b32_e32 v10, s47, v9
	v_xor_b32_e32 v11, s46, v9
	v_and_b32_e32 v9, v8, v10
	v_and_b32_e32 v8, v83, v11
	v_mbcnt_lo_u32_b32 v10, v8, 0
	v_mbcnt_hi_u32_b32 v83, v9, v10
	v_cmp_eq_u32_e64 s[46:47], 0, v83
	v_cmp_ne_u64_e64 s[48:49], 0, v[8:9]
	s_and_b64 s[46:47], s[48:49], s[46:47]
	; wave barrier
	s_and_saveexec_b64 s[4:5], s[46:47]
	s_cbranch_execz .LBB1020_73
; %bb.72:
	v_bcnt_u32_b32 v8, v8, 0
	v_bcnt_u32_b32 v8, v9, v8
	s_waitcnt lgkmcnt(0)
	v_add_u32_e32 v8, v81, v8
	ds_write_b32 v65, v8 offset:32
.LBB1020_73:
	s_or_b64 exec, exec, s[4:5]
	v_lshrrev_b32_e32 v8, s8, v62
	v_and_b32_e32 v62, s33, v8
	v_mad_u32_u24 v8, v62, 36, v43
	; wave barrier
	ds_read_b32 v84, v8 offset:32
	v_and_b32_e32 v8, 1, v62
	v_mov_b32_e32 v9, 0
	v_lshl_add_u64 v[10:11], v[8:9], 0, -1
	v_cmp_ne_u32_e64 s[46:47], 0, v8
	v_mul_u32_u24_e32 v86, 36, v62
	s_nop 0
	v_xor_b32_e32 v10, s46, v10
	v_xor_b32_e32 v8, s47, v11
	v_and_b32_e32 v85, exec_lo, v10
	v_lshlrev_b32_e32 v11, 30, v62
	v_mov_b32_e32 v10, v9
	v_cmp_gt_i64_e64 s[46:47], 0, v[10:11]
	v_not_b32_e32 v10, v11
	v_ashrrev_i32_e32 v10, 31, v10
	v_and_b32_e32 v8, exec_hi, v8
	v_xor_b32_e32 v11, s47, v10
	v_xor_b32_e32 v10, s46, v10
	v_and_b32_e32 v8, v8, v11
	v_and_b32_e32 v85, v85, v10
	v_lshlrev_b32_e32 v11, 29, v62
	v_mov_b32_e32 v10, v9
	v_cmp_gt_i64_e64 s[46:47], 0, v[10:11]
	v_not_b32_e32 v10, v11
	v_ashrrev_i32_e32 v10, 31, v10
	v_xor_b32_e32 v11, s47, v10
	v_xor_b32_e32 v10, s46, v10
	v_and_b32_e32 v8, v8, v11
	v_and_b32_e32 v85, v85, v10
	v_lshlrev_b32_e32 v11, 28, v62
	v_mov_b32_e32 v10, v9
	v_cmp_gt_i64_e64 s[46:47], 0, v[10:11]
	v_not_b32_e32 v10, v11
	v_ashrrev_i32_e32 v10, 31, v10
	;; [unrolled: 9-line block ×4, first 2 shown]
	v_xor_b32_e32 v11, s47, v10
	v_xor_b32_e32 v10, s46, v10
	v_and_b32_e32 v10, v85, v10
	v_and_b32_e32 v11, v8, v11
	v_mbcnt_lo_u32_b32 v8, v10, 0
	v_mbcnt_hi_u32_b32 v85, v11, v8
	v_cmp_eq_u32_e64 s[46:47], 0, v85
	v_cmp_ne_u64_e64 s[48:49], 0, v[10:11]
	s_and_b64 s[46:47], s[48:49], s[46:47]
	v_add_u32_e32 v62, v43, v86
	; wave barrier
	s_and_saveexec_b64 s[4:5], s[46:47]
	s_cbranch_execz .LBB1020_75
; %bb.74:
	v_bcnt_u32_b32 v8, v10, 0
	v_bcnt_u32_b32 v8, v11, v8
	s_waitcnt lgkmcnt(0)
	v_add_u32_e32 v8, v84, v8
	ds_write_b32 v62, v8 offset:32
.LBB1020_75:
	s_or_b64 exec, exec, s[4:5]
	v_lshrrev_b32_e32 v8, s8, v58
	v_and_b32_e32 v58, s33, v8
	v_mad_u32_u24 v8, v58, 36, v43
	; wave barrier
	ds_read_b32 v86, v8 offset:32
	v_and_b32_e32 v8, 1, v58
	v_lshl_add_u64 v[10:11], v[8:9], 0, -1
	v_cmp_ne_u32_e64 s[46:47], 0, v8
	v_mul_u32_u24_e32 v88, 36, v58
	s_nop 0
	v_xor_b32_e32 v10, s46, v10
	v_xor_b32_e32 v8, s47, v11
	v_and_b32_e32 v87, exec_lo, v10
	v_lshlrev_b32_e32 v11, 30, v58
	v_mov_b32_e32 v10, v9
	v_cmp_gt_i64_e64 s[46:47], 0, v[10:11]
	v_not_b32_e32 v10, v11
	v_ashrrev_i32_e32 v10, 31, v10
	v_and_b32_e32 v8, exec_hi, v8
	v_xor_b32_e32 v11, s47, v10
	v_xor_b32_e32 v10, s46, v10
	v_and_b32_e32 v8, v8, v11
	v_and_b32_e32 v87, v87, v10
	v_lshlrev_b32_e32 v11, 29, v58
	v_mov_b32_e32 v10, v9
	v_cmp_gt_i64_e64 s[46:47], 0, v[10:11]
	v_not_b32_e32 v10, v11
	v_ashrrev_i32_e32 v10, 31, v10
	v_xor_b32_e32 v11, s47, v10
	v_xor_b32_e32 v10, s46, v10
	v_and_b32_e32 v8, v8, v11
	v_and_b32_e32 v87, v87, v10
	v_lshlrev_b32_e32 v11, 28, v58
	v_mov_b32_e32 v10, v9
	v_cmp_gt_i64_e64 s[46:47], 0, v[10:11]
	v_not_b32_e32 v10, v11
	v_ashrrev_i32_e32 v10, 31, v10
	;; [unrolled: 9-line block ×3, first 2 shown]
	v_xor_b32_e32 v11, s47, v10
	v_xor_b32_e32 v10, s46, v10
	v_and_b32_e32 v8, v8, v11
	v_lshlrev_b32_e32 v11, 26, v58
	v_and_b32_e32 v87, v87, v10
	v_mov_b32_e32 v10, v9
	v_not_b32_e32 v9, v11
	v_cmp_gt_i64_e64 s[46:47], 0, v[10:11]
	v_ashrrev_i32_e32 v9, 31, v9
	v_add_u32_e32 v58, v43, v88
	v_xor_b32_e32 v10, s47, v9
	v_xor_b32_e32 v11, s46, v9
	v_and_b32_e32 v9, v8, v10
	v_and_b32_e32 v8, v87, v11
	v_mbcnt_lo_u32_b32 v10, v8, 0
	v_mbcnt_hi_u32_b32 v87, v9, v10
	v_cmp_eq_u32_e64 s[46:47], 0, v87
	v_cmp_ne_u64_e64 s[48:49], 0, v[8:9]
	s_and_b64 s[46:47], s[48:49], s[46:47]
	; wave barrier
	s_and_saveexec_b64 s[4:5], s[46:47]
	s_cbranch_execz .LBB1020_77
; %bb.76:
	v_bcnt_u32_b32 v8, v8, 0
	v_bcnt_u32_b32 v8, v9, v8
	s_waitcnt lgkmcnt(0)
	v_add_u32_e32 v8, v86, v8
	ds_write_b32 v58, v8 offset:32
.LBB1020_77:
	s_or_b64 exec, exec, s[4:5]
	v_lshrrev_b32_e32 v8, s8, v55
	v_and_b32_e32 v55, s33, v8
	v_mad_u32_u24 v8, v55, 36, v43
	; wave barrier
	ds_read_b32 v88, v8 offset:32
	v_and_b32_e32 v8, 1, v55
	v_mov_b32_e32 v9, 0
	v_lshl_add_u64 v[10:11], v[8:9], 0, -1
	v_cmp_ne_u32_e64 s[46:47], 0, v8
	v_mul_u32_u24_e32 v90, 36, v55
	s_nop 0
	v_xor_b32_e32 v10, s46, v10
	v_xor_b32_e32 v8, s47, v11
	v_and_b32_e32 v89, exec_lo, v10
	v_lshlrev_b32_e32 v11, 30, v55
	v_mov_b32_e32 v10, v9
	v_cmp_gt_i64_e64 s[46:47], 0, v[10:11]
	v_not_b32_e32 v10, v11
	v_ashrrev_i32_e32 v10, 31, v10
	v_and_b32_e32 v8, exec_hi, v8
	v_xor_b32_e32 v11, s47, v10
	v_xor_b32_e32 v10, s46, v10
	v_and_b32_e32 v8, v8, v11
	v_and_b32_e32 v89, v89, v10
	v_lshlrev_b32_e32 v11, 29, v55
	v_mov_b32_e32 v10, v9
	v_cmp_gt_i64_e64 s[46:47], 0, v[10:11]
	v_not_b32_e32 v10, v11
	v_ashrrev_i32_e32 v10, 31, v10
	v_xor_b32_e32 v11, s47, v10
	v_xor_b32_e32 v10, s46, v10
	v_and_b32_e32 v8, v8, v11
	v_and_b32_e32 v89, v89, v10
	v_lshlrev_b32_e32 v11, 28, v55
	v_mov_b32_e32 v10, v9
	v_cmp_gt_i64_e64 s[46:47], 0, v[10:11]
	v_not_b32_e32 v10, v11
	v_ashrrev_i32_e32 v10, 31, v10
	;; [unrolled: 9-line block ×4, first 2 shown]
	v_xor_b32_e32 v11, s47, v10
	v_xor_b32_e32 v10, s46, v10
	v_and_b32_e32 v10, v89, v10
	v_and_b32_e32 v11, v8, v11
	v_mbcnt_lo_u32_b32 v8, v10, 0
	v_mbcnt_hi_u32_b32 v89, v11, v8
	v_cmp_eq_u32_e64 s[46:47], 0, v89
	v_cmp_ne_u64_e64 s[48:49], 0, v[10:11]
	s_and_b64 s[46:47], s[48:49], s[46:47]
	v_add_u32_e32 v55, v43, v90
	; wave barrier
	s_and_saveexec_b64 s[4:5], s[46:47]
	s_cbranch_execz .LBB1020_79
; %bb.78:
	v_bcnt_u32_b32 v8, v10, 0
	v_bcnt_u32_b32 v8, v11, v8
	s_waitcnt lgkmcnt(0)
	v_add_u32_e32 v8, v88, v8
	ds_write_b32 v55, v8 offset:32
.LBB1020_79:
	s_or_b64 exec, exec, s[4:5]
	v_lshrrev_b32_e32 v8, s8, v51
	v_and_b32_e32 v51, s33, v8
	v_mad_u32_u24 v8, v51, 36, v43
	; wave barrier
	ds_read_b32 v90, v8 offset:32
	v_and_b32_e32 v8, 1, v51
	v_lshl_add_u64 v[10:11], v[8:9], 0, -1
	v_cmp_ne_u32_e64 s[46:47], 0, v8
	v_mul_u32_u24_e32 v92, 36, v51
	s_nop 0
	v_xor_b32_e32 v10, s46, v10
	v_xor_b32_e32 v8, s47, v11
	v_and_b32_e32 v91, exec_lo, v10
	v_lshlrev_b32_e32 v11, 30, v51
	v_mov_b32_e32 v10, v9
	v_cmp_gt_i64_e64 s[46:47], 0, v[10:11]
	v_not_b32_e32 v10, v11
	v_ashrrev_i32_e32 v10, 31, v10
	v_and_b32_e32 v8, exec_hi, v8
	v_xor_b32_e32 v11, s47, v10
	v_xor_b32_e32 v10, s46, v10
	v_and_b32_e32 v8, v8, v11
	v_and_b32_e32 v91, v91, v10
	v_lshlrev_b32_e32 v11, 29, v51
	v_mov_b32_e32 v10, v9
	v_cmp_gt_i64_e64 s[46:47], 0, v[10:11]
	v_not_b32_e32 v10, v11
	v_ashrrev_i32_e32 v10, 31, v10
	v_xor_b32_e32 v11, s47, v10
	v_xor_b32_e32 v10, s46, v10
	v_and_b32_e32 v8, v8, v11
	v_and_b32_e32 v91, v91, v10
	v_lshlrev_b32_e32 v11, 28, v51
	v_mov_b32_e32 v10, v9
	v_cmp_gt_i64_e64 s[46:47], 0, v[10:11]
	v_not_b32_e32 v10, v11
	v_ashrrev_i32_e32 v10, 31, v10
	;; [unrolled: 9-line block ×3, first 2 shown]
	v_xor_b32_e32 v11, s47, v10
	v_xor_b32_e32 v10, s46, v10
	v_and_b32_e32 v8, v8, v11
	v_lshlrev_b32_e32 v11, 26, v51
	v_and_b32_e32 v91, v91, v10
	v_mov_b32_e32 v10, v9
	v_not_b32_e32 v9, v11
	v_cmp_gt_i64_e64 s[46:47], 0, v[10:11]
	v_ashrrev_i32_e32 v9, 31, v9
	v_add_u32_e32 v51, v43, v92
	v_xor_b32_e32 v10, s47, v9
	v_xor_b32_e32 v11, s46, v9
	v_and_b32_e32 v9, v8, v10
	v_and_b32_e32 v8, v91, v11
	v_mbcnt_lo_u32_b32 v10, v8, 0
	v_mbcnt_hi_u32_b32 v91, v9, v10
	v_cmp_eq_u32_e64 s[46:47], 0, v91
	v_cmp_ne_u64_e64 s[48:49], 0, v[8:9]
	s_and_b64 s[46:47], s[48:49], s[46:47]
	; wave barrier
	s_and_saveexec_b64 s[4:5], s[46:47]
	s_cbranch_execz .LBB1020_81
; %bb.80:
	v_bcnt_u32_b32 v8, v8, 0
	v_bcnt_u32_b32 v8, v9, v8
	s_waitcnt lgkmcnt(0)
	v_add_u32_e32 v8, v90, v8
	ds_write_b32 v51, v8 offset:32
.LBB1020_81:
	s_or_b64 exec, exec, s[4:5]
	v_lshrrev_b32_e32 v8, s8, v49
	v_and_b32_e32 v92, s33, v8
	v_mad_u32_u24 v8, v92, 36, v43
	; wave barrier
	ds_read_b32 v49, v8 offset:32
	v_and_b32_e32 v8, 1, v92
	v_mov_b32_e32 v9, 0
	v_lshl_add_u64 v[10:11], v[8:9], 0, -1
	v_cmp_ne_u32_e64 s[46:47], 0, v8
	v_mul_u32_u24_e32 v93, 36, v92
	s_nop 0
	v_xor_b32_e32 v10, s46, v10
	v_xor_b32_e32 v8, s47, v11
	v_and_b32_e32 v94, exec_lo, v10
	v_lshlrev_b32_e32 v11, 30, v92
	v_mov_b32_e32 v10, v9
	v_cmp_gt_i64_e64 s[46:47], 0, v[10:11]
	v_not_b32_e32 v10, v11
	v_ashrrev_i32_e32 v10, 31, v10
	v_and_b32_e32 v8, exec_hi, v8
	v_xor_b32_e32 v11, s47, v10
	v_xor_b32_e32 v10, s46, v10
	v_and_b32_e32 v8, v8, v11
	v_and_b32_e32 v94, v94, v10
	v_lshlrev_b32_e32 v11, 29, v92
	v_mov_b32_e32 v10, v9
	v_cmp_gt_i64_e64 s[46:47], 0, v[10:11]
	v_not_b32_e32 v10, v11
	v_ashrrev_i32_e32 v10, 31, v10
	v_xor_b32_e32 v11, s47, v10
	v_xor_b32_e32 v10, s46, v10
	v_and_b32_e32 v8, v8, v11
	v_and_b32_e32 v94, v94, v10
	v_lshlrev_b32_e32 v11, 28, v92
	v_mov_b32_e32 v10, v9
	v_cmp_gt_i64_e64 s[46:47], 0, v[10:11]
	v_not_b32_e32 v10, v11
	v_ashrrev_i32_e32 v10, 31, v10
	;; [unrolled: 9-line block ×4, first 2 shown]
	v_xor_b32_e32 v11, s47, v10
	v_xor_b32_e32 v10, s46, v10
	v_and_b32_e32 v10, v94, v10
	v_and_b32_e32 v11, v8, v11
	v_mbcnt_lo_u32_b32 v8, v10, 0
	v_mbcnt_hi_u32_b32 v92, v11, v8
	v_cmp_eq_u32_e64 s[46:47], 0, v92
	v_cmp_ne_u64_e64 s[48:49], 0, v[10:11]
	s_and_b64 s[46:47], s[48:49], s[46:47]
	v_add_u32_e32 v94, v43, v93
	; wave barrier
	s_and_saveexec_b64 s[4:5], s[46:47]
	s_cbranch_execz .LBB1020_83
; %bb.82:
	v_bcnt_u32_b32 v8, v10, 0
	v_bcnt_u32_b32 v8, v11, v8
	s_waitcnt lgkmcnt(0)
	v_add_u32_e32 v8, v49, v8
	ds_write_b32 v94, v8 offset:32
.LBB1020_83:
	s_or_b64 exec, exec, s[4:5]
	v_lshrrev_b32_e32 v8, s8, v44
	v_and_b32_e32 v44, s33, v8
	v_mad_u32_u24 v8, v44, 36, v43
	; wave barrier
	ds_read_b32 v93, v8 offset:32
	v_and_b32_e32 v8, 1, v44
	v_lshl_add_u64 v[10:11], v[8:9], 0, -1
	v_cmp_ne_u32_e64 s[46:47], 0, v8
	v_mul_u32_u24_e32 v96, 36, v44
	s_nop 0
	v_xor_b32_e32 v10, s46, v10
	v_xor_b32_e32 v8, s47, v11
	v_and_b32_e32 v95, exec_lo, v10
	v_lshlrev_b32_e32 v11, 30, v44
	v_mov_b32_e32 v10, v9
	v_cmp_gt_i64_e64 s[46:47], 0, v[10:11]
	v_not_b32_e32 v10, v11
	v_ashrrev_i32_e32 v10, 31, v10
	v_and_b32_e32 v8, exec_hi, v8
	v_xor_b32_e32 v11, s47, v10
	v_xor_b32_e32 v10, s46, v10
	v_and_b32_e32 v8, v8, v11
	v_and_b32_e32 v95, v95, v10
	v_lshlrev_b32_e32 v11, 29, v44
	v_mov_b32_e32 v10, v9
	v_cmp_gt_i64_e64 s[46:47], 0, v[10:11]
	v_not_b32_e32 v10, v11
	v_ashrrev_i32_e32 v10, 31, v10
	v_xor_b32_e32 v11, s47, v10
	v_xor_b32_e32 v10, s46, v10
	v_and_b32_e32 v8, v8, v11
	v_and_b32_e32 v95, v95, v10
	v_lshlrev_b32_e32 v11, 28, v44
	v_mov_b32_e32 v10, v9
	v_cmp_gt_i64_e64 s[46:47], 0, v[10:11]
	v_not_b32_e32 v10, v11
	v_ashrrev_i32_e32 v10, 31, v10
	;; [unrolled: 9-line block ×3, first 2 shown]
	v_xor_b32_e32 v11, s47, v10
	v_xor_b32_e32 v10, s46, v10
	v_and_b32_e32 v8, v8, v11
	v_lshlrev_b32_e32 v11, 26, v44
	v_and_b32_e32 v95, v95, v10
	v_mov_b32_e32 v10, v9
	v_not_b32_e32 v9, v11
	v_cmp_gt_i64_e64 s[46:47], 0, v[10:11]
	v_ashrrev_i32_e32 v9, 31, v9
	v_add_u32_e32 v44, v43, v96
	v_xor_b32_e32 v10, s47, v9
	v_xor_b32_e32 v11, s46, v9
	v_and_b32_e32 v9, v8, v10
	v_and_b32_e32 v8, v95, v11
	v_mbcnt_lo_u32_b32 v10, v8, 0
	v_mbcnt_hi_u32_b32 v95, v9, v10
	v_cmp_eq_u32_e64 s[46:47], 0, v95
	v_cmp_ne_u64_e64 s[48:49], 0, v[8:9]
	s_and_b64 s[46:47], s[48:49], s[46:47]
	; wave barrier
	s_and_saveexec_b64 s[4:5], s[46:47]
	s_cbranch_execz .LBB1020_85
; %bb.84:
	v_bcnt_u32_b32 v8, v8, 0
	v_bcnt_u32_b32 v8, v9, v8
	s_waitcnt lgkmcnt(0)
	v_add_u32_e32 v8, v93, v8
	ds_write_b32 v44, v8 offset:32
.LBB1020_85:
	s_or_b64 exec, exec, s[4:5]
	v_lshrrev_b32_e32 v8, s8, v40
	v_and_b32_e32 v40, s33, v8
	v_mad_u32_u24 v8, v40, 36, v43
	; wave barrier
	ds_read_b32 v96, v8 offset:32
	v_and_b32_e32 v8, 1, v40
	v_mov_b32_e32 v9, 0
	v_lshl_add_u64 v[10:11], v[8:9], 0, -1
	v_cmp_ne_u32_e64 s[46:47], 0, v8
	v_mul_u32_u24_e32 v98, 36, v40
	s_nop 0
	v_xor_b32_e32 v10, s46, v10
	v_xor_b32_e32 v8, s47, v11
	v_and_b32_e32 v97, exec_lo, v10
	v_lshlrev_b32_e32 v11, 30, v40
	v_mov_b32_e32 v10, v9
	v_cmp_gt_i64_e64 s[46:47], 0, v[10:11]
	v_not_b32_e32 v10, v11
	v_ashrrev_i32_e32 v10, 31, v10
	v_and_b32_e32 v8, exec_hi, v8
	v_xor_b32_e32 v11, s47, v10
	v_xor_b32_e32 v10, s46, v10
	v_and_b32_e32 v8, v8, v11
	v_and_b32_e32 v97, v97, v10
	v_lshlrev_b32_e32 v11, 29, v40
	v_mov_b32_e32 v10, v9
	v_cmp_gt_i64_e64 s[46:47], 0, v[10:11]
	v_not_b32_e32 v10, v11
	v_ashrrev_i32_e32 v10, 31, v10
	v_xor_b32_e32 v11, s47, v10
	v_xor_b32_e32 v10, s46, v10
	v_and_b32_e32 v8, v8, v11
	v_and_b32_e32 v97, v97, v10
	v_lshlrev_b32_e32 v11, 28, v40
	v_mov_b32_e32 v10, v9
	v_cmp_gt_i64_e64 s[46:47], 0, v[10:11]
	v_not_b32_e32 v10, v11
	v_ashrrev_i32_e32 v10, 31, v10
	;; [unrolled: 9-line block ×4, first 2 shown]
	v_xor_b32_e32 v11, s47, v10
	v_xor_b32_e32 v10, s46, v10
	v_and_b32_e32 v10, v97, v10
	v_and_b32_e32 v11, v8, v11
	v_mbcnt_lo_u32_b32 v8, v10, 0
	v_mbcnt_hi_u32_b32 v97, v11, v8
	v_cmp_eq_u32_e64 s[46:47], 0, v97
	v_cmp_ne_u64_e64 s[48:49], 0, v[10:11]
	s_and_b64 s[46:47], s[48:49], s[46:47]
	v_add_u32_e32 v40, v43, v98
	; wave barrier
	s_and_saveexec_b64 s[4:5], s[46:47]
	s_cbranch_execz .LBB1020_87
; %bb.86:
	v_bcnt_u32_b32 v8, v10, 0
	v_bcnt_u32_b32 v8, v11, v8
	s_waitcnt lgkmcnt(0)
	v_add_u32_e32 v8, v96, v8
	ds_write_b32 v40, v8 offset:32
.LBB1020_87:
	s_or_b64 exec, exec, s[4:5]
	v_lshrrev_b32_e32 v8, s8, v36
	v_and_b32_e32 v11, s33, v8
	v_mad_u32_u24 v8, v11, 36, v43
	; wave barrier
	ds_read_b32 v10, v8 offset:32
	v_and_b32_e32 v8, 1, v11
	v_lshl_add_u64 v[98:99], v[8:9], 0, -1
	v_cmp_ne_u32_e64 s[46:47], 0, v8
	v_mul_u32_u24_e32 v36, 36, v11
	v_add_u32_e32 v36, v43, v36
	v_xor_b32_e32 v98, s46, v98
	v_xor_b32_e32 v8, s47, v99
	v_and_b32_e32 v100, exec_lo, v98
	v_lshlrev_b32_e32 v99, 30, v11
	v_mov_b32_e32 v98, v9
	v_cmp_gt_i64_e64 s[46:47], 0, v[98:99]
	v_not_b32_e32 v98, v99
	v_ashrrev_i32_e32 v98, 31, v98
	v_and_b32_e32 v8, exec_hi, v8
	v_xor_b32_e32 v99, s47, v98
	v_xor_b32_e32 v98, s46, v98
	v_and_b32_e32 v8, v8, v99
	v_and_b32_e32 v100, v100, v98
	v_lshlrev_b32_e32 v99, 29, v11
	v_mov_b32_e32 v98, v9
	v_cmp_gt_i64_e64 s[46:47], 0, v[98:99]
	v_not_b32_e32 v98, v99
	v_ashrrev_i32_e32 v98, 31, v98
	v_xor_b32_e32 v99, s47, v98
	v_xor_b32_e32 v98, s46, v98
	v_and_b32_e32 v8, v8, v99
	v_and_b32_e32 v100, v100, v98
	v_lshlrev_b32_e32 v99, 28, v11
	v_mov_b32_e32 v98, v9
	v_cmp_gt_i64_e64 s[46:47], 0, v[98:99]
	v_not_b32_e32 v98, v99
	v_ashrrev_i32_e32 v98, 31, v98
	;; [unrolled: 9-line block ×3, first 2 shown]
	v_xor_b32_e32 v99, s47, v98
	v_xor_b32_e32 v98, s46, v98
	v_and_b32_e32 v8, v8, v99
	v_lshlrev_b32_e32 v99, 26, v11
	v_and_b32_e32 v100, v100, v98
	v_mov_b32_e32 v98, v9
	v_not_b32_e32 v9, v99
	v_cmp_gt_i64_e64 s[46:47], 0, v[98:99]
	v_ashrrev_i32_e32 v9, 31, v9
	s_nop 0
	v_xor_b32_e32 v11, s47, v9
	v_xor_b32_e32 v98, s46, v9
	v_and_b32_e32 v9, v8, v11
	v_and_b32_e32 v8, v100, v98
	v_mbcnt_lo_u32_b32 v11, v8, 0
	v_mbcnt_hi_u32_b32 v11, v9, v11
	v_cmp_eq_u32_e64 s[46:47], 0, v11
	v_cmp_ne_u64_e64 s[48:49], 0, v[8:9]
	s_and_b64 s[46:47], s[48:49], s[46:47]
	; wave barrier
	s_and_saveexec_b64 s[4:5], s[46:47]
	s_cbranch_execz .LBB1020_89
; %bb.88:
	v_bcnt_u32_b32 v8, v8, 0
	v_bcnt_u32_b32 v8, v9, v8
	s_waitcnt lgkmcnt(0)
	v_add_u32_e32 v8, v10, v8
	ds_write_b32 v36, v8 offset:32
.LBB1020_89:
	s_or_b64 exec, exec, s[4:5]
	; wave barrier
	s_waitcnt lgkmcnt(0)
	s_barrier
	ds_read_b64 v[8:9], v33 offset:32
	v_and_b32_e32 v43, 15, v15
	v_cmp_ne_u32_e64 s[46:47], 0, v43
	v_min_u32_e32 v18, 0x1c0, v18
	v_or_b32_e32 v18, 63, v18
	s_waitcnt lgkmcnt(0)
	v_add_u32_e32 v9, v9, v8
	s_nop 1
	v_mov_b32_dpp v98, v9 row_shr:1 row_mask:0xf bank_mask:0xf
	v_cndmask_b32_e64 v98, 0, v98, s[46:47]
	v_add_u32_e32 v9, v98, v9
	v_cmp_lt_u32_e64 s[46:47], 1, v43
	s_nop 0
	v_mov_b32_dpp v98, v9 row_shr:2 row_mask:0xf bank_mask:0xf
	v_cndmask_b32_e64 v98, 0, v98, s[46:47]
	v_add_u32_e32 v9, v9, v98
	v_cmp_lt_u32_e64 s[46:47], 3, v43
	;; [unrolled: 5-line block ×3, first 2 shown]
	s_nop 0
	v_mov_b32_dpp v98, v9 row_shr:8 row_mask:0xf bank_mask:0xf
	v_cndmask_b32_e64 v43, 0, v98, s[46:47]
	v_add_u32_e32 v9, v9, v43
	v_bfe_i32 v98, v15, 4, 1
	v_cmp_lt_u32_e64 s[46:47], 31, v15
	v_mov_b32_dpp v43, v9 row_bcast:15 row_mask:0xf bank_mask:0xf
	v_and_b32_e32 v43, v98, v43
	v_add_u32_e32 v9, v9, v43
	s_nop 1
	v_mov_b32_dpp v43, v9 row_bcast:31 row_mask:0xf bank_mask:0xf
	v_cndmask_b32_e64 v43, 0, v43, s[46:47]
	v_add_u32_e32 v9, v9, v43
	v_lshrrev_b32_e32 v43, 6, v2
	v_cmp_eq_u32_e64 s[46:47], v2, v18
	s_and_saveexec_b64 s[4:5], s[46:47]
; %bb.90:
	v_lshlrev_b32_e32 v18, 2, v43
	ds_write_b32 v18, v9
; %bb.91:
	s_or_b64 exec, exec, s[4:5]
	v_cmp_gt_u32_e64 s[46:47], 8, v2
	v_lshlrev_b32_e32 v18, 2, v2
	s_waitcnt lgkmcnt(0)
	s_barrier
	s_and_saveexec_b64 s[48:49], s[46:47]
	s_cbranch_execz .LBB1020_93
; %bb.92:
	ds_read_b32 v98, v18
	v_and_b32_e32 v99, 7, v15
	v_cmp_ne_u32_e64 s[46:47], 0, v99
	s_waitcnt lgkmcnt(0)
	v_mov_b32_dpp v100, v98 row_shr:1 row_mask:0xf bank_mask:0xf
	v_cndmask_b32_e64 v100, 0, v100, s[46:47]
	v_add_u32_e32 v98, v100, v98
	v_cmp_lt_u32_e64 s[46:47], 1, v99
	s_nop 0
	v_mov_b32_dpp v100, v98 row_shr:2 row_mask:0xf bank_mask:0xf
	v_cndmask_b32_e64 v100, 0, v100, s[46:47]
	v_add_u32_e32 v98, v98, v100
	v_cmp_lt_u32_e64 s[46:47], 3, v99
	s_nop 0
	v_mov_b32_dpp v100, v98 row_shr:4 row_mask:0xf bank_mask:0xf
	v_cndmask_b32_e64 v99, 0, v100, s[46:47]
	v_add_u32_e32 v98, v98, v99
	ds_write_b32 v18, v98
.LBB1020_93:
	s_or_b64 exec, exec, s[48:49]
	v_cmp_gt_u32_e64 s[48:49], 64, v2
	v_cmp_lt_u32_e64 s[46:47], 63, v2
	v_mov_b32_e32 v98, 0
	s_waitcnt lgkmcnt(0)
	s_barrier
	s_and_saveexec_b64 s[4:5], s[46:47]
; %bb.94:
	v_lshl_add_u32 v43, v43, 2, -4
	ds_read_b32 v98, v43
; %bb.95:
	s_or_b64 exec, exec, s[4:5]
	v_subrev_co_u32_e64 v43, s[50:51], 1, v15
	v_and_b32_e32 v99, 64, v15
	v_cmp_lt_i32_e64 s[52:53], v43, v99
	s_waitcnt lgkmcnt(0)
	v_add_u32_e32 v9, v98, v9
	v_cndmask_b32_e64 v15, v43, v15, s[52:53]
	v_lshlrev_b32_e32 v15, 2, v15
	ds_bpermute_b32 v9, v15, v9
                                        ; implicit-def: $vgpr15
	s_waitcnt lgkmcnt(0)
	v_cndmask_b32_e64 v9, v9, v98, s[50:51]
	v_cmp_ne_u32_e64 s[50:51], 0, v2
	s_nop 1
	v_cndmask_b32_e64 v98, 0, v9, s[50:51]
	v_add_u32_e32 v99, v98, v8
	ds_write_b64 v33, v[98:99] offset:32
	s_waitcnt lgkmcnt(0)
	s_barrier
	ds_read_b32 v8, v37 offset:32
	ds_read_b32 v9, v41 offset:32
	;; [unrolled: 1-line block ×22, first 2 shown]
                                        ; implicit-def: $vgpr33
	s_and_saveexec_b64 s[52:53], s[48:49]
	s_cbranch_execz .LBB1020_99
; %bb.96:
	v_mul_u32_u24_e32 v15, 36, v2
	ds_read_b32 v15, v15 offset:32
	v_add_u32_e32 v36, 1, v2
	v_cmp_ne_u32_e64 s[50:51], 64, v36
	v_mov_b32_e32 v33, 0x2c00
	s_and_saveexec_b64 s[4:5], s[50:51]
; %bb.97:
	v_mul_u32_u24_e32 v33, 36, v36
	ds_read_b32 v33, v33 offset:32
; %bb.98:
	s_or_b64 exec, exec, s[4:5]
	s_waitcnt lgkmcnt(0)
	v_sub_u32_e32 v33, v33, v15
.LBB1020_99:
	s_or_b64 exec, exec, s[52:53]
	s_waitcnt lgkmcnt(14)
	v_add_u32_e32 v72, v8, v34
	v_add3_u32 v65, v38, v35, v9
	v_add3_u32 v62, v42, v39, v37
	;; [unrolled: 1-line block ×7, first 2 shown]
	s_waitcnt lgkmcnt(13)
	v_add3_u32 v48, v68, v66, v63
	s_waitcnt lgkmcnt(12)
	v_add3_u32 v46, v73, v70, v67
	;; [unrolled: 2-line block ×7, first 2 shown]
	v_lshlrev_b32_e32 v78, 1, v72
	v_lshlrev_b32_e32 v75, 1, v65
	;; [unrolled: 1-line block ×13, first 2 shown]
	v_add3_u32 v41, v85, v84, v98
	v_add3_u32 v40, v87, v86, v99
	;; [unrolled: 1-line block ×4, first 2 shown]
	s_waitcnt lgkmcnt(2)
	v_add3_u32 v36, v95, v93, v102
	s_waitcnt lgkmcnt(1)
	v_add3_u32 v35, v97, v96, v103
	;; [unrolled: 2-line block ×3, first 2 shown]
	s_barrier
	ds_write_b16 v78, v5 offset:256
	ds_write_b16 v75, v3 offset:256
	;; [unrolled: 1-line block ×13, first 2 shown]
	v_lshlrev_b32_e32 v24, 1, v42
	ds_write_b16 v24, v23 offset:256
	v_lshlrev_b32_e32 v23, 1, v41
	v_lshlrev_b32_e32 v22, 1, v40
	;; [unrolled: 1-line block ×8, first 2 shown]
	v_mov_b32_e32 v9, 0
	ds_write_b16 v23, v26 offset:256
	ds_write_b16 v22, v25 offset:256
	;; [unrolled: 1-line block ×8, first 2 shown]
	s_and_saveexec_b64 s[50:51], s[48:49]
	s_cbranch_execz .LBB1020_109
; %bb.100:
	v_lshl_add_u32 v8, s2, 6, v2
	v_lshl_add_u64 v[10:11], v[8:9], 2, s[12:13]
	v_or_b32_e32 v3, 2.0, v33
	global_store_dword v[10:11], v3, off sc1
	s_mov_b64 s[52:53], 0
	s_brev_b32 s56, -4
	s_mov_b32 s57, s2
	v_mov_b32_e32 v3, 0
                                        ; implicit-def: $sgpr48_sgpr49
	s_branch .LBB1020_103
.LBB1020_101:                           ;   in Loop: Header=BB1020_103 Depth=1
	s_or_b64 exec, exec, s[4:5]
.LBB1020_102:                           ;   in Loop: Header=BB1020_103 Depth=1
	s_or_b64 exec, exec, s[54:55]
	v_and_b32_e32 v7, 0x3fffffff, v5
	v_add_u32_e32 v3, v7, v3
	v_cmp_gt_i32_e64 s[48:49], -2.0, v5
	s_and_b64 s[4:5], exec, s[48:49]
	s_or_b64 s[52:53], s[4:5], s[52:53]
	s_andn2_b64 exec, exec, s[52:53]
	s_cbranch_execz .LBB1020_108
.LBB1020_103:                           ; =>This Loop Header: Depth=1
                                        ;     Child Loop BB1020_106 Depth 2
	s_or_b64 s[48:49], s[48:49], exec
	s_cmp_eq_u32 s57, 0
	s_cbranch_scc1 .LBB1020_107
; %bb.104:                              ;   in Loop: Header=BB1020_103 Depth=1
	s_add_i32 s57, s57, -1
	v_lshl_or_b32 v8, s57, 6, v2
	v_lshl_add_u64 v[12:13], v[8:9], 2, s[12:13]
	global_load_dword v5, v[12:13], off sc1
	s_waitcnt vmcnt(0)
	v_cmp_gt_u32_e64 s[48:49], 2.0, v5
	s_and_saveexec_b64 s[54:55], s[48:49]
	s_cbranch_execz .LBB1020_102
; %bb.105:                              ;   in Loop: Header=BB1020_103 Depth=1
	s_mov_b64 s[4:5], 0
.LBB1020_106:                           ;   Parent Loop BB1020_103 Depth=1
                                        ; =>  This Inner Loop Header: Depth=2
	global_load_dword v5, v[12:13], off sc1
	s_waitcnt vmcnt(0)
	v_cmp_lt_u32_e64 s[48:49], s56, v5
	s_or_b64 s[4:5], s[48:49], s[4:5]
	s_andn2_b64 exec, exec, s[4:5]
	s_cbranch_execnz .LBB1020_106
	s_branch .LBB1020_101
.LBB1020_107:                           ;   in Loop: Header=BB1020_103 Depth=1
                                        ; implicit-def: $sgpr57
	s_and_b64 s[4:5], exec, s[48:49]
	s_or_b64 s[52:53], s[4:5], s[52:53]
	s_andn2_b64 exec, exec, s[52:53]
	s_cbranch_execnz .LBB1020_103
.LBB1020_108:
	s_or_b64 exec, exec, s[52:53]
	s_load_dwordx4 s[52:55], s[0:1], 0x28
	v_add_u32_e32 v5, v3, v33
	v_or_b32_e32 v5, 0x80000000, v5
	global_store_dword v[10:11], v5, off sc1
	v_sub_u32_e32 v3, v3, v15
	s_waitcnt lgkmcnt(0)
	global_load_dword v5, v18, s[52:53]
	s_waitcnt vmcnt(0)
	v_add_u32_e32 v3, v3, v5
	ds_write_b32 v18, v3
.LBB1020_109:
	s_or_b64 exec, exec, s[50:51]
	v_cmp_gt_u32_e64 s[48:49], s7, v2
	v_mov_b32_e32 v8, 0
	v_lshlrev_b32_e32 v3, 1, v2
	v_mov_b32_e32 v11, 0
	s_waitcnt lgkmcnt(0)
	s_barrier
	s_and_saveexec_b64 s[50:51], s[48:49]
	s_cbranch_execz .LBB1020_111
; %bb.110:
	v_sub_u32_e32 v5, v18, v3
	ds_read_u16 v5, v5 offset:256
	v_mov_b32_e32 v13, 0
	s_waitcnt lgkmcnt(0)
	v_lshrrev_b32_sdwa v7, s8, v5 dst_sel:DWORD dst_unused:UNUSED_PAD src0_sel:DWORD src1_sel:WORD_0
	v_and_b32_e32 v11, s33, v7
	v_lshlrev_b32_e32 v7, 2, v11
	ds_read_b32 v7, v7
	s_waitcnt lgkmcnt(0)
	v_add_u32_e32 v12, v7, v2
	v_lshl_add_u64 v[12:13], v[12:13], 1, s[94:95]
	global_store_short v[12:13], v5, off
.LBB1020_111:
	s_or_b64 exec, exec, s[50:51]
	v_add_u32_e32 v10, 0x200, v2
	v_cmp_gt_u32_e64 s[50:51], s7, v10
	s_and_saveexec_b64 s[52:53], s[50:51]
	s_cbranch_execz .LBB1020_113
; %bb.112:
	v_sub_u32_e32 v5, v18, v3
	ds_read_u16 v5, v5 offset:1280
	v_mov_b32_e32 v13, 0
	s_waitcnt lgkmcnt(0)
	v_lshrrev_b32_sdwa v7, s8, v5 dst_sel:DWORD dst_unused:UNUSED_PAD src0_sel:DWORD src1_sel:WORD_0
	v_and_b32_e32 v8, s33, v7
	v_lshlrev_b32_e32 v7, 2, v8
	ds_read_b32 v7, v7
	s_waitcnt lgkmcnt(0)
	v_add_u32_e32 v12, v7, v10
	v_lshl_add_u64 v[12:13], v[12:13], 1, s[94:95]
	global_store_short v[12:13], v5, off
.LBB1020_113:
	s_or_b64 exec, exec, s[52:53]
	v_or_b32_e32 v12, 0x400, v2
	v_cmp_gt_u32_e64 s[52:53], s7, v12
	v_mov_b32_e32 v9, 0
	v_mov_b32_e32 v26, 0
	s_and_saveexec_b64 s[54:55], s[52:53]
	s_cbranch_execz .LBB1020_115
; %bb.114:
	v_sub_u32_e32 v5, v18, v3
	ds_read_u16 v5, v5 offset:2304
	v_mov_b32_e32 v29, 0
	s_waitcnt lgkmcnt(0)
	v_lshrrev_b32_sdwa v7, s8, v5 dst_sel:DWORD dst_unused:UNUSED_PAD src0_sel:DWORD src1_sel:WORD_0
	v_and_b32_e32 v26, s33, v7
	v_lshlrev_b32_e32 v7, 2, v26
	ds_read_b32 v7, v7
	s_waitcnt lgkmcnt(0)
	v_add_u32_e32 v28, v7, v12
	v_lshl_add_u64 v[28:29], v[28:29], 1, s[94:95]
	global_store_short v[28:29], v5, off
.LBB1020_115:
	s_or_b64 exec, exec, s[54:55]
	v_add_u32_e32 v25, 0x600, v2
	v_cmp_gt_u32_e64 s[54:55], s7, v25
	s_and_saveexec_b64 s[56:57], s[54:55]
	s_cbranch_execz .LBB1020_117
; %bb.116:
	v_sub_u32_e32 v5, v18, v3
	ds_read_u16 v5, v5 offset:3328
	v_mov_b32_e32 v29, 0
	s_waitcnt lgkmcnt(0)
	v_lshrrev_b32_sdwa v7, s8, v5 dst_sel:DWORD dst_unused:UNUSED_PAD src0_sel:DWORD src1_sel:WORD_0
	v_and_b32_e32 v9, s33, v7
	v_lshlrev_b32_e32 v7, 2, v9
	ds_read_b32 v7, v7
	s_waitcnt lgkmcnt(0)
	v_add_u32_e32 v28, v7, v25
	v_lshl_add_u64 v[28:29], v[28:29], 1, s[94:95]
	global_store_short v[28:29], v5, off
.LBB1020_117:
	s_or_b64 exec, exec, s[56:57]
	v_or_b32_e32 v27, 0x800, v2
	v_cmp_gt_u32_e64 s[56:57], s7, v27
	v_mov_b32_e32 v13, 0
	v_mov_b32_e32 v30, 0
	;; [unrolled: 40-line block ×3, first 2 shown]
	s_and_saveexec_b64 s[62:63], s[60:61]
	s_cbranch_execz .LBB1020_123
; %bb.122:
	v_sub_u32_e32 v5, v18, v3
	ds_read_u16 v5, v5 offset:6400
	v_mov_b32_e32 v69, 0
	s_waitcnt lgkmcnt(0)
	v_lshrrev_b32_sdwa v7, s8, v5 dst_sel:DWORD dst_unused:UNUSED_PAD src0_sel:DWORD src1_sel:WORD_0
	v_and_b32_e32 v64, s33, v7
	v_lshlrev_b32_e32 v7, 2, v64
	ds_read_b32 v7, v7
	s_waitcnt lgkmcnt(0)
	v_add_u32_e32 v68, v7, v31
	v_lshl_add_u64 v[68:69], v[68:69], 1, s[94:95]
	global_store_short v[68:69], v5, off
.LBB1020_123:
	s_or_b64 exec, exec, s[62:63]
	v_add_u32_e32 v63, 0xe00, v2
	v_cmp_gt_u32_e64 s[62:63], s7, v63
	s_and_saveexec_b64 s[64:65], s[62:63]
	s_cbranch_execz .LBB1020_125
; %bb.124:
	ds_read_u16 v5, v3 offset:7424
	v_mov_b32_e32 v69, 0
	s_waitcnt lgkmcnt(0)
	v_lshrrev_b32_sdwa v7, s8, v5 dst_sel:DWORD dst_unused:UNUSED_PAD src0_sel:DWORD src1_sel:WORD_0
	v_and_b32_e32 v28, s33, v7
	v_lshlrev_b32_e32 v7, 2, v28
	ds_read_b32 v7, v7
	s_waitcnt lgkmcnt(0)
	v_add_u32_e32 v68, v7, v63
	v_lshl_add_u64 v[68:69], v[68:69], 1, s[94:95]
	global_store_short v[68:69], v5, off
.LBB1020_125:
	s_or_b64 exec, exec, s[64:65]
	v_or_b32_e32 v66, 0x1000, v2
	v_cmp_gt_u32_e64 s[64:65], s7, v66
	v_mov_b32_e32 v32, 0
	v_mov_b32_e32 v71, 0
	s_and_saveexec_b64 s[66:67], s[64:65]
	s_cbranch_execz .LBB1020_127
; %bb.126:
	ds_read_u16 v5, v3 offset:8448
	v_mov_b32_e32 v69, 0
	s_waitcnt lgkmcnt(0)
	v_lshrrev_b32_sdwa v7, s8, v5 dst_sel:DWORD dst_unused:UNUSED_PAD src0_sel:DWORD src1_sel:WORD_0
	v_and_b32_e32 v71, s33, v7
	v_lshlrev_b32_e32 v7, 2, v71
	ds_read_b32 v7, v7
	s_waitcnt lgkmcnt(0)
	v_add_u32_e32 v68, v7, v66
	v_lshl_add_u64 v[68:69], v[68:69], 1, s[94:95]
	global_store_short v[68:69], v5, off
.LBB1020_127:
	s_or_b64 exec, exec, s[66:67]
	v_add_u32_e32 v69, 0x1200, v2
	v_cmp_gt_u32_e64 s[66:67], s7, v69
	s_and_saveexec_b64 s[68:69], s[66:67]
	s_cbranch_execz .LBB1020_129
; %bb.128:
	ds_read_u16 v5, v3 offset:9472
	v_mov_b32_e32 v77, 0
	s_waitcnt lgkmcnt(0)
	v_lshrrev_b32_sdwa v7, s8, v5 dst_sel:DWORD dst_unused:UNUSED_PAD src0_sel:DWORD src1_sel:WORD_0
	v_and_b32_e32 v32, s33, v7
	v_lshlrev_b32_e32 v7, 2, v32
	ds_read_b32 v7, v7
	s_waitcnt lgkmcnt(0)
	v_add_u32_e32 v76, v7, v69
	v_lshl_add_u64 v[76:77], v[76:77], 1, s[94:95]
	global_store_short v[76:77], v5, off
.LBB1020_129:
	s_or_b64 exec, exec, s[68:69]
	v_or_b32_e32 v73, 0x1400, v2
	v_cmp_gt_u32_e64 s[68:69], s7, v73
	v_mov_b32_e32 v68, 0
	v_mov_b32_e32 v77, 0
	s_and_saveexec_b64 s[70:71], s[68:69]
	s_cbranch_execz .LBB1020_131
; %bb.130:
	ds_read_u16 v5, v3 offset:10496
	v_mov_b32_e32 v81, 0
	s_waitcnt lgkmcnt(0)
	v_lshrrev_b32_sdwa v7, s8, v5 dst_sel:DWORD dst_unused:UNUSED_PAD src0_sel:DWORD src1_sel:WORD_0
	v_and_b32_e32 v77, s33, v7
	v_lshlrev_b32_e32 v7, 2, v77
	ds_read_b32 v7, v7
	s_waitcnt lgkmcnt(0)
	v_add_u32_e32 v80, v7, v73
	v_lshl_add_u64 v[80:81], v[80:81], 1, s[94:95]
	global_store_short v[80:81], v5, off
.LBB1020_131:
	;; [unrolled: 38-line block ×7, first 2 shown]
	s_or_b64 exec, exec, s[90:91]
	v_add_u32_e32 v96, 0x2a00, v2
	v_cmp_gt_u32_e64 s[90:91], s7, v96
	s_and_saveexec_b64 s[4:5], s[90:91]
	s_cbranch_execz .LBB1020_153
; %bb.152:
	ds_read_u16 v5, v3 offset:21760
	v_mov_b32_e32 v99, 0
	s_waitcnt lgkmcnt(0)
	v_lshrrev_b32_sdwa v7, s8, v5 dst_sel:DWORD dst_unused:UNUSED_PAD src0_sel:DWORD src1_sel:WORD_0
	v_and_b32_e32 v92, s33, v7
	v_lshlrev_b32_e32 v7, 2, v92
	ds_read_b32 v7, v7
	s_waitcnt lgkmcnt(0)
	v_add_u32_e32 v98, v7, v96
	v_lshl_add_u64 v[98:99], v[98:99], 1, s[94:95]
	global_store_short v[98:99], v5, off
.LBB1020_153:
	s_or_b64 exec, exec, s[4:5]
	s_add_u32 s4, s96, s10
	s_addc_u32 s5, s97, s11
	v_mov_b32_e32 v5, 0
	v_lshl_add_u64 v[98:99], s[4:5], 0, v[4:5]
	v_mov_b32_e32 v7, v5
	v_lshl_add_u64 v[4:5], v[98:99], 0, v[6:7]
                                        ; implicit-def: $vgpr6
	s_mov_b64 s[4:5], exec
	v_readlane_b32 s10, v118, 4
	v_readlane_b32 s11, v118, 5
	s_and_b64 s[10:11], s[4:5], s[10:11]
	s_xor_b64 s[4:5], s[10:11], s[4:5]
	s_mov_b64 exec, s[10:11]
	s_cbranch_execz .LBB1020_155
; %bb.154:
	global_load_ushort v6, v[4:5], off
.LBB1020_155:
	s_or_b64 exec, exec, s[4:5]
                                        ; implicit-def: $vgpr7
	s_mov_b64 s[4:5], exec
	v_readlane_b32 s10, v118, 6
	v_readlane_b32 s11, v118, 7
	s_and_b64 s[10:11], s[4:5], s[10:11]
	s_mov_b64 exec, s[10:11]
	s_cbranch_execz .LBB1020_157
; %bb.156:
	global_load_ushort v7, v[4:5], off offset:128
.LBB1020_157:
	s_or_b64 exec, exec, s[4:5]
                                        ; implicit-def: $vgpr98
	s_mov_b64 s[4:5], exec
	v_readlane_b32 s10, v118, 8
	v_readlane_b32 s11, v118, 9
	s_and_b64 s[10:11], s[4:5], s[10:11]
	s_mov_b64 exec, s[10:11]
	s_cbranch_execz .LBB1020_159
; %bb.158:
	global_load_ushort v98, v[4:5], off offset:256
.LBB1020_159:
	s_or_b64 exec, exec, s[4:5]
                                        ; implicit-def: $vgpr99
	s_mov_b64 s[4:5], exec
	v_readlane_b32 s10, v118, 10
	v_readlane_b32 s11, v118, 11
	s_and_b64 s[10:11], s[4:5], s[10:11]
	s_mov_b64 exec, s[10:11]
	s_cbranch_execz .LBB1020_161
; %bb.160:
	global_load_ushort v99, v[4:5], off offset:384
.LBB1020_161:
	s_or_b64 exec, exec, s[4:5]
                                        ; implicit-def: $vgpr100
	s_mov_b64 s[4:5], exec
	v_readlane_b32 s10, v118, 12
	v_readlane_b32 s11, v118, 13
	s_and_b64 s[10:11], s[4:5], s[10:11]
	s_mov_b64 exec, s[10:11]
	s_cbranch_execz .LBB1020_163
; %bb.162:
	global_load_ushort v100, v[4:5], off offset:512
.LBB1020_163:
	s_or_b64 exec, exec, s[4:5]
                                        ; implicit-def: $vgpr101
	s_mov_b64 s[4:5], exec
	v_readlane_b32 s10, v118, 14
	v_readlane_b32 s11, v118, 15
	s_and_b64 s[10:11], s[4:5], s[10:11]
	s_mov_b64 exec, s[10:11]
	s_cbranch_execz .LBB1020_165
; %bb.164:
	global_load_ushort v101, v[4:5], off offset:640
.LBB1020_165:
	s_or_b64 exec, exec, s[4:5]
                                        ; implicit-def: $vgpr102
	s_mov_b64 s[4:5], exec
	v_readlane_b32 s10, v118, 16
	v_readlane_b32 s11, v118, 17
	s_and_b64 s[10:11], s[4:5], s[10:11]
	s_mov_b64 exec, s[10:11]
	s_cbranch_execz .LBB1020_181
; %bb.166:
	global_load_ushort v102, v[4:5], off offset:768
	s_or_b64 exec, exec, s[4:5]
                                        ; implicit-def: $vgpr103
	s_and_saveexec_b64 s[4:5], vcc
	s_cbranch_execnz .LBB1020_182
.LBB1020_167:
	s_or_b64 exec, exec, s[4:5]
                                        ; implicit-def: $vgpr104
	s_and_saveexec_b64 s[4:5], s[16:17]
	s_cbranch_execz .LBB1020_183
.LBB1020_168:
	global_load_ushort v104, v[4:5], off offset:1024
	s_or_b64 exec, exec, s[4:5]
                                        ; implicit-def: $vgpr105
	s_and_saveexec_b64 s[4:5], s[18:19]
	s_cbranch_execnz .LBB1020_184
.LBB1020_169:
	s_or_b64 exec, exec, s[4:5]
                                        ; implicit-def: $vgpr106
	s_and_saveexec_b64 s[4:5], s[20:21]
	s_cbranch_execz .LBB1020_185
.LBB1020_170:
	global_load_ushort v106, v[4:5], off offset:1280
	s_or_b64 exec, exec, s[4:5]
                                        ; implicit-def: $vgpr107
	s_and_saveexec_b64 s[4:5], s[22:23]
	s_cbranch_execnz .LBB1020_186
.LBB1020_171:
	s_or_b64 exec, exec, s[4:5]
                                        ; implicit-def: $vgpr108
	s_and_saveexec_b64 s[4:5], s[24:25]
	s_cbranch_execz .LBB1020_187
.LBB1020_172:
	global_load_ushort v108, v[4:5], off offset:1536
	s_or_b64 exec, exec, s[4:5]
                                        ; implicit-def: $vgpr109
	s_and_saveexec_b64 s[4:5], s[26:27]
	s_cbranch_execnz .LBB1020_188
.LBB1020_173:
	s_or_b64 exec, exec, s[4:5]
                                        ; implicit-def: $vgpr110
	s_and_saveexec_b64 s[4:5], s[28:29]
	s_cbranch_execz .LBB1020_189
.LBB1020_174:
	global_load_ushort v110, v[4:5], off offset:1792
	s_or_b64 exec, exec, s[4:5]
                                        ; implicit-def: $vgpr111
	s_and_saveexec_b64 s[4:5], s[30:31]
	s_cbranch_execnz .LBB1020_190
.LBB1020_175:
	s_or_b64 exec, exec, s[4:5]
                                        ; implicit-def: $vgpr112
	s_and_saveexec_b64 s[4:5], s[34:35]
	s_cbranch_execz .LBB1020_191
.LBB1020_176:
	global_load_ushort v112, v[4:5], off offset:2048
	s_or_b64 exec, exec, s[4:5]
                                        ; implicit-def: $vgpr113
	s_and_saveexec_b64 s[4:5], s[36:37]
	s_cbranch_execnz .LBB1020_192
.LBB1020_177:
	s_or_b64 exec, exec, s[4:5]
                                        ; implicit-def: $vgpr114
	s_and_saveexec_b64 s[4:5], s[38:39]
	s_cbranch_execz .LBB1020_193
.LBB1020_178:
	global_load_ushort v114, v[4:5], off offset:2304
	s_or_b64 exec, exec, s[4:5]
                                        ; implicit-def: $vgpr115
	s_and_saveexec_b64 s[4:5], s[40:41]
	s_cbranch_execnz .LBB1020_194
.LBB1020_179:
	s_or_b64 exec, exec, s[4:5]
                                        ; implicit-def: $vgpr116
	s_and_saveexec_b64 s[4:5], s[42:43]
	s_cbranch_execz .LBB1020_195
.LBB1020_180:
	global_load_ushort v116, v[4:5], off offset:2560
	s_or_b64 exec, exec, s[4:5]
                                        ; implicit-def: $vgpr117
	s_and_saveexec_b64 s[4:5], s[44:45]
	s_cbranch_execnz .LBB1020_196
	s_branch .LBB1020_197
.LBB1020_181:
	s_or_b64 exec, exec, s[4:5]
                                        ; implicit-def: $vgpr103
	s_and_saveexec_b64 s[4:5], vcc
	s_cbranch_execz .LBB1020_167
.LBB1020_182:
	global_load_ushort v103, v[4:5], off offset:896
	s_or_b64 exec, exec, s[4:5]
                                        ; implicit-def: $vgpr104
	s_and_saveexec_b64 s[4:5], s[16:17]
	s_cbranch_execnz .LBB1020_168
.LBB1020_183:
	s_or_b64 exec, exec, s[4:5]
                                        ; implicit-def: $vgpr105
	s_and_saveexec_b64 s[4:5], s[18:19]
	s_cbranch_execz .LBB1020_169
.LBB1020_184:
	global_load_ushort v105, v[4:5], off offset:1152
	s_or_b64 exec, exec, s[4:5]
                                        ; implicit-def: $vgpr106
	s_and_saveexec_b64 s[4:5], s[20:21]
	s_cbranch_execnz .LBB1020_170
.LBB1020_185:
	s_or_b64 exec, exec, s[4:5]
                                        ; implicit-def: $vgpr107
	s_and_saveexec_b64 s[4:5], s[22:23]
	s_cbranch_execz .LBB1020_171
.LBB1020_186:
	global_load_ushort v107, v[4:5], off offset:1408
	s_or_b64 exec, exec, s[4:5]
                                        ; implicit-def: $vgpr108
	s_and_saveexec_b64 s[4:5], s[24:25]
	s_cbranch_execnz .LBB1020_172
.LBB1020_187:
	s_or_b64 exec, exec, s[4:5]
                                        ; implicit-def: $vgpr109
	s_and_saveexec_b64 s[4:5], s[26:27]
	s_cbranch_execz .LBB1020_173
.LBB1020_188:
	global_load_ushort v109, v[4:5], off offset:1664
	s_or_b64 exec, exec, s[4:5]
                                        ; implicit-def: $vgpr110
	s_and_saveexec_b64 s[4:5], s[28:29]
	s_cbranch_execnz .LBB1020_174
.LBB1020_189:
	s_or_b64 exec, exec, s[4:5]
                                        ; implicit-def: $vgpr111
	s_and_saveexec_b64 s[4:5], s[30:31]
	s_cbranch_execz .LBB1020_175
.LBB1020_190:
	global_load_ushort v111, v[4:5], off offset:1920
	s_or_b64 exec, exec, s[4:5]
                                        ; implicit-def: $vgpr112
	s_and_saveexec_b64 s[4:5], s[34:35]
	s_cbranch_execnz .LBB1020_176
.LBB1020_191:
	s_or_b64 exec, exec, s[4:5]
                                        ; implicit-def: $vgpr113
	s_and_saveexec_b64 s[4:5], s[36:37]
	s_cbranch_execz .LBB1020_177
.LBB1020_192:
	global_load_ushort v113, v[4:5], off offset:2176
	s_or_b64 exec, exec, s[4:5]
                                        ; implicit-def: $vgpr114
	s_and_saveexec_b64 s[4:5], s[38:39]
	s_cbranch_execnz .LBB1020_178
.LBB1020_193:
	s_or_b64 exec, exec, s[4:5]
                                        ; implicit-def: $vgpr115
	s_and_saveexec_b64 s[4:5], s[40:41]
	s_cbranch_execz .LBB1020_179
.LBB1020_194:
	global_load_ushort v115, v[4:5], off offset:2432
	s_or_b64 exec, exec, s[4:5]
                                        ; implicit-def: $vgpr116
	s_and_saveexec_b64 s[4:5], s[42:43]
	s_cbranch_execnz .LBB1020_180
.LBB1020_195:
	s_or_b64 exec, exec, s[4:5]
                                        ; implicit-def: $vgpr117
	s_and_saveexec_b64 s[4:5], s[44:45]
	s_cbranch_execz .LBB1020_197
.LBB1020_196:
	global_load_ushort v117, v[4:5], off offset:2688
.LBB1020_197:
	s_or_b64 exec, exec, s[4:5]
	s_movk_i32 s7, 0x2c00
	v_cmp_gt_u32_e32 vcc, s7, v72
	s_barrier
	s_and_saveexec_b64 s[4:5], vcc
	s_cbranch_execz .LBB1020_219
; %bb.198:
	s_waitcnt vmcnt(0)
	ds_write_b16 v78, v6 offset:256
	s_or_b64 exec, exec, s[4:5]
	v_cmp_gt_u32_e32 vcc, s7, v65
	s_and_saveexec_b64 s[4:5], vcc
	s_cbranch_execnz .LBB1020_220
.LBB1020_199:
	s_or_b64 exec, exec, s[4:5]
	v_cmp_gt_u32_e32 vcc, s7, v62
	s_and_saveexec_b64 s[4:5], vcc
	s_cbranch_execz .LBB1020_221
.LBB1020_200:
	s_waitcnt vmcnt(0)
	ds_write_b16 v70, v98 offset:256
	s_or_b64 exec, exec, s[4:5]
	v_cmp_gt_u32_e32 vcc, s7, v59
	s_and_saveexec_b64 s[4:5], vcc
	s_cbranch_execnz .LBB1020_222
.LBB1020_201:
	s_or_b64 exec, exec, s[4:5]
	v_cmp_gt_u32_e32 vcc, s7, v58
	s_and_saveexec_b64 s[4:5], vcc
	s_cbranch_execz .LBB1020_223
.LBB1020_202:
	s_waitcnt vmcnt(0)
	ds_write_b16 v61, v100 offset:256
	s_or_b64 exec, exec, s[4:5]
	v_cmp_gt_u32_e32 vcc, s7, v55
	s_and_saveexec_b64 s[4:5], vcc
	s_cbranch_execnz .LBB1020_224
.LBB1020_203:
	s_or_b64 exec, exec, s[4:5]
	v_cmp_gt_u32_e32 vcc, s7, v53
	s_and_saveexec_b64 s[4:5], vcc
	s_cbranch_execz .LBB1020_225
.LBB1020_204:
	s_waitcnt vmcnt(0)
	ds_write_b16 v57, v102 offset:256
	s_or_b64 exec, exec, s[4:5]
	v_cmp_gt_u32_e32 vcc, s7, v51
	s_and_saveexec_b64 s[4:5], vcc
	s_cbranch_execnz .LBB1020_226
.LBB1020_205:
	s_or_b64 exec, exec, s[4:5]
	v_cmp_gt_u32_e32 vcc, s7, v48
	s_and_saveexec_b64 s[4:5], vcc
	s_cbranch_execz .LBB1020_227
.LBB1020_206:
	s_waitcnt vmcnt(0)
	ds_write_b16 v54, v104 offset:256
	s_or_b64 exec, exec, s[4:5]
	v_cmp_gt_u32_e32 vcc, s7, v46
	s_and_saveexec_b64 s[4:5], vcc
	s_cbranch_execnz .LBB1020_228
.LBB1020_207:
	s_or_b64 exec, exec, s[4:5]
	v_cmp_gt_u32_e32 vcc, s7, v45
	s_and_saveexec_b64 s[4:5], vcc
	s_cbranch_execz .LBB1020_229
.LBB1020_208:
	s_waitcnt vmcnt(0)
	ds_write_b16 v50, v106 offset:256
	s_or_b64 exec, exec, s[4:5]
	v_cmp_gt_u32_e32 vcc, s7, v44
	s_and_saveexec_b64 s[4:5], vcc
	s_cbranch_execnz .LBB1020_230
.LBB1020_209:
	s_or_b64 exec, exec, s[4:5]
	v_cmp_gt_u32_e32 vcc, s7, v43
	s_and_saveexec_b64 s[4:5], vcc
	s_cbranch_execz .LBB1020_231
.LBB1020_210:
	s_waitcnt vmcnt(0)
	ds_write_b16 v47, v108 offset:256
	s_or_b64 exec, exec, s[4:5]
	v_cmp_gt_u32_e32 vcc, s7, v42
	s_and_saveexec_b64 s[4:5], vcc
	s_cbranch_execnz .LBB1020_232
.LBB1020_211:
	s_or_b64 exec, exec, s[4:5]
	v_cmp_gt_u32_e32 vcc, s7, v41
	s_and_saveexec_b64 s[4:5], vcc
	s_cbranch_execz .LBB1020_233
.LBB1020_212:
	s_waitcnt vmcnt(0)
	ds_write_b16 v23, v110 offset:256
	s_or_b64 exec, exec, s[4:5]
	v_cmp_gt_u32_e32 vcc, s7, v40
	s_and_saveexec_b64 s[4:5], vcc
	s_cbranch_execnz .LBB1020_234
.LBB1020_213:
	s_or_b64 exec, exec, s[4:5]
	v_cmp_gt_u32_e32 vcc, s7, v39
	s_and_saveexec_b64 s[4:5], vcc
	s_cbranch_execz .LBB1020_235
.LBB1020_214:
	s_waitcnt vmcnt(0)
	ds_write_b16 v21, v112 offset:256
	s_or_b64 exec, exec, s[4:5]
	v_cmp_gt_u32_e32 vcc, s7, v38
	s_and_saveexec_b64 s[4:5], vcc
	s_cbranch_execnz .LBB1020_236
.LBB1020_215:
	s_or_b64 exec, exec, s[4:5]
	v_cmp_gt_u32_e32 vcc, s7, v37
	s_and_saveexec_b64 s[4:5], vcc
	s_cbranch_execz .LBB1020_237
.LBB1020_216:
	s_waitcnt vmcnt(0)
	ds_write_b16 v19, v114 offset:256
	s_or_b64 exec, exec, s[4:5]
	v_cmp_gt_u32_e32 vcc, s7, v36
	s_and_saveexec_b64 s[4:5], vcc
	s_cbranch_execnz .LBB1020_238
.LBB1020_217:
	s_or_b64 exec, exec, s[4:5]
	v_cmp_gt_u32_e32 vcc, s7, v35
	s_and_saveexec_b64 s[4:5], vcc
	s_cbranch_execz .LBB1020_239
.LBB1020_218:
	s_waitcnt vmcnt(0)
	ds_write_b16 v16, v116 offset:256
	s_or_b64 exec, exec, s[4:5]
	v_cmp_gt_u32_e32 vcc, s7, v34
	s_and_saveexec_b64 s[4:5], vcc
	s_cbranch_execnz .LBB1020_240
	s_branch .LBB1020_241
.LBB1020_219:
	s_or_b64 exec, exec, s[4:5]
	v_cmp_gt_u32_e32 vcc, s7, v65
	s_and_saveexec_b64 s[4:5], vcc
	s_cbranch_execz .LBB1020_199
.LBB1020_220:
	s_waitcnt vmcnt(0)
	ds_write_b16 v75, v7 offset:256
	s_or_b64 exec, exec, s[4:5]
	v_cmp_gt_u32_e32 vcc, s7, v62
	s_and_saveexec_b64 s[4:5], vcc
	s_cbranch_execnz .LBB1020_200
.LBB1020_221:
	s_or_b64 exec, exec, s[4:5]
	v_cmp_gt_u32_e32 vcc, s7, v59
	s_and_saveexec_b64 s[4:5], vcc
	s_cbranch_execz .LBB1020_201
.LBB1020_222:
	s_waitcnt vmcnt(0)
	ds_write_b16 v67, v99 offset:256
	s_or_b64 exec, exec, s[4:5]
	v_cmp_gt_u32_e32 vcc, s7, v58
	s_and_saveexec_b64 s[4:5], vcc
	s_cbranch_execnz .LBB1020_202
.LBB1020_223:
	s_or_b64 exec, exec, s[4:5]
	v_cmp_gt_u32_e32 vcc, s7, v55
	s_and_saveexec_b64 s[4:5], vcc
	s_cbranch_execz .LBB1020_203
.LBB1020_224:
	s_waitcnt vmcnt(0)
	ds_write_b16 v60, v101 offset:256
	s_or_b64 exec, exec, s[4:5]
	v_cmp_gt_u32_e32 vcc, s7, v53
	s_and_saveexec_b64 s[4:5], vcc
	s_cbranch_execnz .LBB1020_204
.LBB1020_225:
	s_or_b64 exec, exec, s[4:5]
	v_cmp_gt_u32_e32 vcc, s7, v51
	s_and_saveexec_b64 s[4:5], vcc
	s_cbranch_execz .LBB1020_205
.LBB1020_226:
	s_waitcnt vmcnt(0)
	ds_write_b16 v56, v103 offset:256
	s_or_b64 exec, exec, s[4:5]
	v_cmp_gt_u32_e32 vcc, s7, v48
	s_and_saveexec_b64 s[4:5], vcc
	s_cbranch_execnz .LBB1020_206
.LBB1020_227:
	s_or_b64 exec, exec, s[4:5]
	v_cmp_gt_u32_e32 vcc, s7, v46
	s_and_saveexec_b64 s[4:5], vcc
	s_cbranch_execz .LBB1020_207
.LBB1020_228:
	s_waitcnt vmcnt(0)
	ds_write_b16 v52, v105 offset:256
	s_or_b64 exec, exec, s[4:5]
	v_cmp_gt_u32_e32 vcc, s7, v45
	s_and_saveexec_b64 s[4:5], vcc
	s_cbranch_execnz .LBB1020_208
.LBB1020_229:
	s_or_b64 exec, exec, s[4:5]
	v_cmp_gt_u32_e32 vcc, s7, v44
	s_and_saveexec_b64 s[4:5], vcc
	s_cbranch_execz .LBB1020_209
.LBB1020_230:
	s_waitcnt vmcnt(0)
	ds_write_b16 v49, v107 offset:256
	s_or_b64 exec, exec, s[4:5]
	v_cmp_gt_u32_e32 vcc, s7, v43
	s_and_saveexec_b64 s[4:5], vcc
	s_cbranch_execnz .LBB1020_210
.LBB1020_231:
	s_or_b64 exec, exec, s[4:5]
	v_cmp_gt_u32_e32 vcc, s7, v42
	s_and_saveexec_b64 s[4:5], vcc
	s_cbranch_execz .LBB1020_211
.LBB1020_232:
	s_waitcnt vmcnt(0)
	ds_write_b16 v24, v109 offset:256
	s_or_b64 exec, exec, s[4:5]
	v_cmp_gt_u32_e32 vcc, s7, v41
	s_and_saveexec_b64 s[4:5], vcc
	s_cbranch_execnz .LBB1020_212
.LBB1020_233:
	s_or_b64 exec, exec, s[4:5]
	v_cmp_gt_u32_e32 vcc, s7, v40
	s_and_saveexec_b64 s[4:5], vcc
	s_cbranch_execz .LBB1020_213
.LBB1020_234:
	s_waitcnt vmcnt(0)
	ds_write_b16 v22, v111 offset:256
	s_or_b64 exec, exec, s[4:5]
	v_cmp_gt_u32_e32 vcc, s7, v39
	s_and_saveexec_b64 s[4:5], vcc
	s_cbranch_execnz .LBB1020_214
.LBB1020_235:
	s_or_b64 exec, exec, s[4:5]
	v_cmp_gt_u32_e32 vcc, s7, v38
	s_and_saveexec_b64 s[4:5], vcc
	s_cbranch_execz .LBB1020_215
.LBB1020_236:
	s_waitcnt vmcnt(0)
	ds_write_b16 v20, v113 offset:256
	s_or_b64 exec, exec, s[4:5]
	v_cmp_gt_u32_e32 vcc, s7, v37
	s_and_saveexec_b64 s[4:5], vcc
	s_cbranch_execnz .LBB1020_216
.LBB1020_237:
	s_or_b64 exec, exec, s[4:5]
	v_cmp_gt_u32_e32 vcc, s7, v36
	s_and_saveexec_b64 s[4:5], vcc
	s_cbranch_execz .LBB1020_217
.LBB1020_238:
	s_waitcnt vmcnt(0)
	ds_write_b16 v17, v115 offset:256
	s_or_b64 exec, exec, s[4:5]
	v_cmp_gt_u32_e32 vcc, s7, v35
	s_and_saveexec_b64 s[4:5], vcc
	s_cbranch_execnz .LBB1020_218
.LBB1020_239:
	s_or_b64 exec, exec, s[4:5]
	v_cmp_gt_u32_e32 vcc, s7, v34
	s_and_saveexec_b64 s[4:5], vcc
	s_cbranch_execz .LBB1020_241
.LBB1020_240:
	s_waitcnt vmcnt(0)
	ds_write_b16 v14, v117 offset:256
.LBB1020_241:
	s_or_b64 exec, exec, s[4:5]
	s_waitcnt lgkmcnt(0)
	s_barrier
	s_and_saveexec_b64 s[4:5], s[48:49]
	s_cbranch_execz .LBB1020_263
; %bb.242:
	v_lshlrev_b32_e32 v4, 2, v11
	ds_read_b32 v4, v4
	s_waitcnt vmcnt(0)
	ds_read_u16 v6, v3 offset:256
	v_mov_b32_e32 v5, 0
	s_waitcnt lgkmcnt(1)
	v_add_u32_e32 v4, v4, v2
	v_lshl_add_u64 v[4:5], v[4:5], 1, s[98:99]
	s_waitcnt lgkmcnt(0)
	global_store_short v[4:5], v6, off
	s_or_b64 exec, exec, s[4:5]
	s_and_saveexec_b64 s[4:5], s[50:51]
	s_cbranch_execnz .LBB1020_264
.LBB1020_243:
	s_or_b64 exec, exec, s[4:5]
	s_and_saveexec_b64 s[4:5], s[52:53]
	s_cbranch_execz .LBB1020_265
.LBB1020_244:
	v_lshlrev_b32_e32 v2, 2, v26
	ds_read_b32 v2, v2
	s_waitcnt vmcnt(0)
	ds_read_u16 v6, v3 offset:2304
	v_mov_b32_e32 v5, 0
	s_waitcnt lgkmcnt(1)
	v_add_u32_e32 v4, v2, v12
	v_lshl_add_u64 v[4:5], v[4:5], 1, s[98:99]
	s_waitcnt lgkmcnt(0)
	global_store_short v[4:5], v6, off
	s_or_b64 exec, exec, s[4:5]
	s_and_saveexec_b64 s[4:5], s[54:55]
	s_cbranch_execnz .LBB1020_266
.LBB1020_245:
	s_or_b64 exec, exec, s[4:5]
	s_and_saveexec_b64 s[4:5], s[56:57]
	s_cbranch_execz .LBB1020_267
.LBB1020_246:
	v_lshlrev_b32_e32 v2, 2, v30
	ds_read_b32 v2, v2
	s_waitcnt vmcnt(0)
	ds_read_u16 v6, v3 offset:4352
	v_mov_b32_e32 v5, 0
	s_waitcnt lgkmcnt(1)
	v_add_u32_e32 v4, v2, v27
	v_lshl_add_u64 v[4:5], v[4:5], 1, s[98:99]
	s_waitcnt lgkmcnt(0)
	global_store_short v[4:5], v6, off
	s_or_b64 exec, exec, s[4:5]
	s_and_saveexec_b64 s[4:5], s[58:59]
	s_cbranch_execnz .LBB1020_268
.LBB1020_247:
	s_or_b64 exec, exec, s[4:5]
	s_and_saveexec_b64 s[4:5], s[60:61]
	s_cbranch_execz .LBB1020_269
.LBB1020_248:
	v_lshlrev_b32_e32 v2, 2, v64
	ds_read_b32 v2, v2
	s_waitcnt vmcnt(0)
	ds_read_u16 v6, v3 offset:6400
	v_mov_b32_e32 v5, 0
	s_waitcnt lgkmcnt(1)
	v_add_u32_e32 v4, v2, v31
	v_lshl_add_u64 v[4:5], v[4:5], 1, s[98:99]
	s_waitcnt lgkmcnt(0)
	global_store_short v[4:5], v6, off
	s_or_b64 exec, exec, s[4:5]
	s_and_saveexec_b64 s[4:5], s[62:63]
	s_cbranch_execnz .LBB1020_270
.LBB1020_249:
	s_or_b64 exec, exec, s[4:5]
	s_and_saveexec_b64 s[4:5], s[64:65]
	s_cbranch_execz .LBB1020_271
.LBB1020_250:
	v_lshlrev_b32_e32 v2, 2, v71
	ds_read_b32 v2, v2
	s_waitcnt vmcnt(0)
	ds_read_u16 v6, v3 offset:8448
	v_mov_b32_e32 v5, 0
	s_waitcnt lgkmcnt(1)
	v_add_u32_e32 v4, v2, v66
	v_lshl_add_u64 v[4:5], v[4:5], 1, s[98:99]
	s_waitcnt lgkmcnt(0)
	global_store_short v[4:5], v6, off
	s_or_b64 exec, exec, s[4:5]
	s_and_saveexec_b64 s[4:5], s[66:67]
	s_cbranch_execnz .LBB1020_272
.LBB1020_251:
	s_or_b64 exec, exec, s[4:5]
	s_and_saveexec_b64 s[4:5], s[68:69]
	s_cbranch_execz .LBB1020_273
.LBB1020_252:
	v_lshlrev_b32_e32 v2, 2, v77
	ds_read_b32 v2, v2
	s_waitcnt vmcnt(0)
	ds_read_u16 v6, v3 offset:10496
	v_mov_b32_e32 v5, 0
	s_waitcnt lgkmcnt(1)
	v_add_u32_e32 v4, v2, v73
	v_lshl_add_u64 v[4:5], v[4:5], 1, s[98:99]
	s_waitcnt lgkmcnt(0)
	global_store_short v[4:5], v6, off
	s_or_b64 exec, exec, s[4:5]
	s_and_saveexec_b64 s[4:5], s[70:71]
	s_cbranch_execnz .LBB1020_274
.LBB1020_253:
	s_or_b64 exec, exec, s[4:5]
	s_and_saveexec_b64 s[4:5], s[72:73]
	s_cbranch_execz .LBB1020_275
.LBB1020_254:
	v_lshlrev_b32_e32 v2, 2, v82
	ds_read_b32 v2, v2
	s_waitcnt vmcnt(0)
	ds_read_u16 v6, v3 offset:12544
	v_mov_b32_e32 v5, 0
	s_waitcnt lgkmcnt(1)
	v_add_u32_e32 v4, v2, v79
	v_lshl_add_u64 v[4:5], v[4:5], 1, s[98:99]
	s_waitcnt lgkmcnt(0)
	global_store_short v[4:5], v6, off
	s_or_b64 exec, exec, s[4:5]
	s_and_saveexec_b64 s[4:5], s[74:75]
	s_cbranch_execnz .LBB1020_276
.LBB1020_255:
	s_or_b64 exec, exec, s[4:5]
	s_and_saveexec_b64 s[4:5], s[76:77]
	s_cbranch_execz .LBB1020_277
.LBB1020_256:
	v_lshlrev_b32_e32 v2, 2, v86
	ds_read_b32 v2, v2
	s_waitcnt vmcnt(0)
	ds_read_u16 v6, v3 offset:14592
	v_mov_b32_e32 v5, 0
	s_waitcnt lgkmcnt(1)
	v_add_u32_e32 v4, v2, v83
	v_lshl_add_u64 v[4:5], v[4:5], 1, s[98:99]
	s_waitcnt lgkmcnt(0)
	global_store_short v[4:5], v6, off
	s_or_b64 exec, exec, s[4:5]
	s_and_saveexec_b64 s[4:5], s[78:79]
	s_cbranch_execnz .LBB1020_278
.LBB1020_257:
	s_or_b64 exec, exec, s[4:5]
	s_and_saveexec_b64 s[4:5], s[80:81]
	s_cbranch_execz .LBB1020_279
.LBB1020_258:
	v_lshlrev_b32_e32 v2, 2, v90
	ds_read_b32 v2, v2
	s_waitcnt vmcnt(0)
	ds_read_u16 v6, v3 offset:16640
	v_mov_b32_e32 v5, 0
	s_waitcnt lgkmcnt(1)
	v_add_u32_e32 v4, v2, v87
	v_lshl_add_u64 v[4:5], v[4:5], 1, s[98:99]
	s_waitcnt lgkmcnt(0)
	global_store_short v[4:5], v6, off
	s_or_b64 exec, exec, s[4:5]
	s_and_saveexec_b64 s[4:5], s[82:83]
	s_cbranch_execnz .LBB1020_280
.LBB1020_259:
	s_or_b64 exec, exec, s[4:5]
	s_and_saveexec_b64 s[4:5], s[84:85]
	s_cbranch_execz .LBB1020_281
.LBB1020_260:
	v_lshlrev_b32_e32 v2, 2, v94
	ds_read_b32 v2, v2
	s_waitcnt vmcnt(0)
	ds_read_u16 v6, v3 offset:18688
	v_mov_b32_e32 v5, 0
	s_waitcnt lgkmcnt(1)
	v_add_u32_e32 v4, v2, v91
	v_lshl_add_u64 v[4:5], v[4:5], 1, s[98:99]
	s_waitcnt lgkmcnt(0)
	global_store_short v[4:5], v6, off
	s_or_b64 exec, exec, s[4:5]
	s_and_saveexec_b64 s[4:5], s[86:87]
	s_cbranch_execnz .LBB1020_282
.LBB1020_261:
	s_or_b64 exec, exec, s[4:5]
	s_and_saveexec_b64 s[4:5], s[88:89]
	s_cbranch_execz .LBB1020_283
.LBB1020_262:
	v_lshlrev_b32_e32 v2, 2, v97
	ds_read_b32 v2, v2
	s_waitcnt vmcnt(0)
	ds_read_u16 v6, v3 offset:20736
	v_mov_b32_e32 v5, 0
	s_waitcnt lgkmcnt(1)
	v_add_u32_e32 v4, v2, v95
	v_lshl_add_u64 v[4:5], v[4:5], 1, s[98:99]
	s_waitcnt lgkmcnt(0)
	global_store_short v[4:5], v6, off
	s_or_b64 exec, exec, s[4:5]
	s_and_saveexec_b64 s[4:5], s[90:91]
	s_cbranch_execnz .LBB1020_284
	s_branch .LBB1020_285
.LBB1020_263:
	s_or_b64 exec, exec, s[4:5]
	s_and_saveexec_b64 s[4:5], s[50:51]
	s_cbranch_execz .LBB1020_243
.LBB1020_264:
	v_lshlrev_b32_e32 v2, 2, v8
	ds_read_b32 v2, v2
	s_waitcnt vmcnt(0)
	ds_read_u16 v6, v3 offset:1280
	v_mov_b32_e32 v5, 0
	s_waitcnt lgkmcnt(1)
	v_add_u32_e32 v4, v2, v10
	v_lshl_add_u64 v[4:5], v[4:5], 1, s[98:99]
	s_waitcnt lgkmcnt(0)
	global_store_short v[4:5], v6, off
	s_or_b64 exec, exec, s[4:5]
	s_and_saveexec_b64 s[4:5], s[52:53]
	s_cbranch_execnz .LBB1020_244
.LBB1020_265:
	s_or_b64 exec, exec, s[4:5]
	s_and_saveexec_b64 s[4:5], s[54:55]
	s_cbranch_execz .LBB1020_245
.LBB1020_266:
	v_lshlrev_b32_e32 v2, 2, v9
	ds_read_b32 v2, v2
	s_waitcnt vmcnt(0)
	ds_read_u16 v6, v3 offset:3328
	v_mov_b32_e32 v5, 0
	s_waitcnt lgkmcnt(1)
	v_add_u32_e32 v4, v2, v25
	v_lshl_add_u64 v[4:5], v[4:5], 1, s[98:99]
	s_waitcnt lgkmcnt(0)
	global_store_short v[4:5], v6, off
	s_or_b64 exec, exec, s[4:5]
	s_and_saveexec_b64 s[4:5], s[56:57]
	s_cbranch_execnz .LBB1020_246
.LBB1020_267:
	s_or_b64 exec, exec, s[4:5]
	s_and_saveexec_b64 s[4:5], s[58:59]
	s_cbranch_execz .LBB1020_247
.LBB1020_268:
	v_lshlrev_b32_e32 v2, 2, v13
	ds_read_b32 v2, v2
	s_waitcnt vmcnt(0)
	ds_read_u16 v6, v3 offset:5376
	v_mov_b32_e32 v5, 0
	s_waitcnt lgkmcnt(1)
	v_add_u32_e32 v4, v2, v29
	v_lshl_add_u64 v[4:5], v[4:5], 1, s[98:99]
	s_waitcnt lgkmcnt(0)
	global_store_short v[4:5], v6, off
	s_or_b64 exec, exec, s[4:5]
	s_and_saveexec_b64 s[4:5], s[60:61]
	s_cbranch_execnz .LBB1020_248
.LBB1020_269:
	s_or_b64 exec, exec, s[4:5]
	s_and_saveexec_b64 s[4:5], s[62:63]
	s_cbranch_execz .LBB1020_249
.LBB1020_270:
	v_lshlrev_b32_e32 v2, 2, v28
	ds_read_b32 v2, v2
	s_waitcnt vmcnt(0)
	ds_read_u16 v6, v3 offset:7424
	v_mov_b32_e32 v5, 0
	s_waitcnt lgkmcnt(1)
	v_add_u32_e32 v4, v2, v63
	v_lshl_add_u64 v[4:5], v[4:5], 1, s[98:99]
	s_waitcnt lgkmcnt(0)
	global_store_short v[4:5], v6, off
	s_or_b64 exec, exec, s[4:5]
	s_and_saveexec_b64 s[4:5], s[64:65]
	s_cbranch_execnz .LBB1020_250
.LBB1020_271:
	s_or_b64 exec, exec, s[4:5]
	s_and_saveexec_b64 s[4:5], s[66:67]
	s_cbranch_execz .LBB1020_251
.LBB1020_272:
	v_lshlrev_b32_e32 v2, 2, v32
	ds_read_b32 v2, v2
	s_waitcnt vmcnt(0)
	ds_read_u16 v6, v3 offset:9472
	v_mov_b32_e32 v5, 0
	s_waitcnt lgkmcnt(1)
	v_add_u32_e32 v4, v2, v69
	v_lshl_add_u64 v[4:5], v[4:5], 1, s[98:99]
	s_waitcnt lgkmcnt(0)
	global_store_short v[4:5], v6, off
	s_or_b64 exec, exec, s[4:5]
	s_and_saveexec_b64 s[4:5], s[68:69]
	s_cbranch_execnz .LBB1020_252
.LBB1020_273:
	s_or_b64 exec, exec, s[4:5]
	s_and_saveexec_b64 s[4:5], s[70:71]
	s_cbranch_execz .LBB1020_253
.LBB1020_274:
	v_lshlrev_b32_e32 v2, 2, v68
	ds_read_b32 v2, v2
	s_waitcnt vmcnt(0)
	ds_read_u16 v6, v3 offset:11520
	v_mov_b32_e32 v5, 0
	s_waitcnt lgkmcnt(1)
	v_add_u32_e32 v4, v2, v76
	v_lshl_add_u64 v[4:5], v[4:5], 1, s[98:99]
	s_waitcnt lgkmcnt(0)
	global_store_short v[4:5], v6, off
	s_or_b64 exec, exec, s[4:5]
	s_and_saveexec_b64 s[4:5], s[72:73]
	s_cbranch_execnz .LBB1020_254
.LBB1020_275:
	s_or_b64 exec, exec, s[4:5]
	s_and_saveexec_b64 s[4:5], s[74:75]
	s_cbranch_execz .LBB1020_255
.LBB1020_276:
	v_lshlrev_b32_e32 v2, 2, v74
	ds_read_b32 v2, v2
	s_waitcnt vmcnt(0)
	ds_read_u16 v6, v3 offset:13568
	v_mov_b32_e32 v5, 0
	s_waitcnt lgkmcnt(1)
	v_add_u32_e32 v4, v2, v81
	v_lshl_add_u64 v[4:5], v[4:5], 1, s[98:99]
	s_waitcnt lgkmcnt(0)
	global_store_short v[4:5], v6, off
	s_or_b64 exec, exec, s[4:5]
	s_and_saveexec_b64 s[4:5], s[76:77]
	s_cbranch_execnz .LBB1020_256
.LBB1020_277:
	s_or_b64 exec, exec, s[4:5]
	s_and_saveexec_b64 s[4:5], s[78:79]
	s_cbranch_execz .LBB1020_257
.LBB1020_278:
	v_lshlrev_b32_e32 v2, 2, v80
	ds_read_b32 v2, v2
	s_waitcnt vmcnt(0)
	ds_read_u16 v6, v3 offset:15616
	v_mov_b32_e32 v5, 0
	s_waitcnt lgkmcnt(1)
	v_add_u32_e32 v4, v2, v85
	v_lshl_add_u64 v[4:5], v[4:5], 1, s[98:99]
	s_waitcnt lgkmcnt(0)
	global_store_short v[4:5], v6, off
	s_or_b64 exec, exec, s[4:5]
	s_and_saveexec_b64 s[4:5], s[80:81]
	s_cbranch_execnz .LBB1020_258
.LBB1020_279:
	s_or_b64 exec, exec, s[4:5]
	s_and_saveexec_b64 s[4:5], s[82:83]
	s_cbranch_execz .LBB1020_259
.LBB1020_280:
	v_lshlrev_b32_e32 v2, 2, v84
	ds_read_b32 v2, v2
	s_waitcnt vmcnt(0)
	ds_read_u16 v6, v3 offset:17664
	v_mov_b32_e32 v5, 0
	s_waitcnt lgkmcnt(1)
	v_add_u32_e32 v4, v2, v89
	v_lshl_add_u64 v[4:5], v[4:5], 1, s[98:99]
	s_waitcnt lgkmcnt(0)
	global_store_short v[4:5], v6, off
	s_or_b64 exec, exec, s[4:5]
	s_and_saveexec_b64 s[4:5], s[84:85]
	s_cbranch_execnz .LBB1020_260
.LBB1020_281:
	s_or_b64 exec, exec, s[4:5]
	s_and_saveexec_b64 s[4:5], s[86:87]
	s_cbranch_execz .LBB1020_261
.LBB1020_282:
	v_lshlrev_b32_e32 v2, 2, v88
	ds_read_b32 v2, v2
	s_waitcnt vmcnt(0)
	ds_read_u16 v6, v3 offset:19712
	v_mov_b32_e32 v5, 0
	s_waitcnt lgkmcnt(1)
	v_add_u32_e32 v4, v2, v93
	v_lshl_add_u64 v[4:5], v[4:5], 1, s[98:99]
	s_waitcnt lgkmcnt(0)
	global_store_short v[4:5], v6, off
	s_or_b64 exec, exec, s[4:5]
	s_and_saveexec_b64 s[4:5], s[88:89]
	s_cbranch_execnz .LBB1020_262
.LBB1020_283:
	s_or_b64 exec, exec, s[4:5]
	s_and_saveexec_b64 s[4:5], s[90:91]
	s_cbranch_execz .LBB1020_285
.LBB1020_284:
	v_lshlrev_b32_e32 v2, 2, v92
	ds_read_b32 v2, v2
	ds_read_u16 v4, v3 offset:21760
	v_mov_b32_e32 v3, 0
	s_waitcnt lgkmcnt(1)
	v_add_u32_e32 v2, v2, v96
	v_lshl_add_u64 v[2:3], v[2:3], 1, s[98:99]
	s_waitcnt lgkmcnt(0)
	global_store_short v[2:3], v4, off
.LBB1020_285:
	s_or_b64 exec, exec, s[4:5]
	s_add_i32 s3, s3, -1
	s_cmp_eq_u32 s2, s3
	s_cselect_b64 s[4:5], -1, 0
	s_xor_b64 s[10:11], s[46:47], -1
	s_and_b64 s[10:11], s[10:11], s[4:5]
	s_and_saveexec_b64 s[4:5], s[10:11]
	s_cbranch_execz .LBB1020_287
; %bb.286:
	ds_read_b32 v2, v18
	s_load_dwordx4 s[16:19], s[0:1], 0x28
	s_waitcnt lgkmcnt(0)
	v_add3_u32 v2, v15, v33, v2
	global_store_dword v18, v2, s[18:19]
.LBB1020_287:
	s_or_b64 exec, exec, s[4:5]
	s_mov_b64 s[4:5], 0
.LBB1020_288:
	s_and_b64 vcc, exec, s[4:5]
	s_cbranch_vccz .LBB1020_379
; %bb.289:
	s_mov_b32 s7, 0
	s_lshl_b64 s[10:11], s[6:7], 1
	v_mbcnt_hi_u32_b32 v29, -1, v1
	s_add_u32 s4, s92, s10
	v_and_b32_e32 v2, 63, v29
	v_and_b32_e32 v30, 0x1c0, v0
	v_mov_b32_e32 v1, 0
	s_addc_u32 s5, s93, s11
	s_waitcnt vmcnt(0)
	v_mul_u32_u24_e32 v6, 22, v30
	v_lshlrev_b32_e32 v4, 1, v2
	v_mov_b32_e32 v5, v1
	v_lshl_add_u64 v[2:3], s[4:5], 0, v[4:5]
	v_lshlrev_b32_e32 v6, 1, v6
	v_mov_b32_e32 v7, v1
	v_lshl_add_u64 v[8:9], v[2:3], 0, v[6:7]
	global_load_ushort v3, v[8:9], off
	s_load_dword s4, s[0:1], 0x64
	s_load_dword s3, s[0:1], 0x58
	s_add_u32 s0, s0, 0x58
	s_addc_u32 s1, s1, 0
	v_and_b32_e32 v2, 0x3ff, v0
	s_waitcnt lgkmcnt(0)
	s_lshr_b32 s4, s4, 16
	s_cmp_lt_u32 s2, s3
	s_cselect_b32 s5, 12, 18
	s_add_u32 s0, s0, s5
	s_addc_u32 s1, s1, 0
	global_load_ushort v38, v1, s[0:1]
	global_load_ushort v28, v[8:9], off offset:128
	global_load_ushort v27, v[8:9], off offset:256
	;; [unrolled: 1-line block ×14, first 2 shown]
                                        ; kill: killed $sgpr0 killed $sgpr1
	global_load_ushort v15, v[8:9], off offset:1920
	global_load_ushort v13, v[8:9], off offset:2048
	global_load_ushort v12, v[8:9], off offset:2176
	global_load_ushort v11, v[8:9], off offset:2304
	global_load_ushort v10, v[8:9], off offset:2432
	global_load_ushort v7, v[8:9], off offset:2560
	global_load_ushort v5, v[8:9], off offset:2688
	v_bfe_u32 v9, v0, 10, 10
	v_bfe_u32 v33, v0, 20, 10
	v_lshlrev_b32_e32 v31, 3, v2
	v_mov_b32_e32 v0, v1
	ds_write_b64 v31, v[0:1] offset:32
	s_lshl_b32 s0, -1, s9
	v_mov_b32_e32 v8, v1
	v_mad_u32_u24 v39, v33, s4, v9
	s_not_b32 s9, s0
	v_mov_b32_e32 v32, v1
	v_mov_b32_e32 v34, v1
	s_waitcnt lgkmcnt(0)
	s_barrier
	s_waitcnt vmcnt(22)
	; wave barrier
	v_lshrrev_b32_sdwa v0, s8, v3 dst_sel:DWORD dst_unused:UNUSED_PAD src0_sel:DWORD src1_sel:WORD_0
	v_bitop3_b32 v40, v0, s0, v0 bitop3:0x30
	v_and_b32_e32 v0, 1, v40
	v_lshlrev_b32_e32 v9, 30, v40
	v_lshl_add_u64 v[36:37], v[0:1], 0, -1
	v_cmp_ne_u32_e32 vcc, 0, v0
	v_cmp_gt_i64_e64 s[0:1], 0, v[8:9]
	v_not_b32_e32 v0, v9
	s_waitcnt vmcnt(21)
	v_mad_u64_u32 v[8:9], s[14:15], v39, v38, v[2:3]
	v_lshlrev_b32_e32 v33, 29, v40
	v_lshlrev_b32_e32 v35, 28, v40
	v_xor_b32_e32 v9, vcc_hi, v37
	v_ashrrev_i32_e32 v0, 31, v0
	v_cmp_gt_i64_e64 s[4:5], 0, v[32:33]
	v_not_b32_e32 v32, v33
	v_cmp_gt_i64_e64 s[6:7], 0, v[34:35]
	v_xor_b32_e32 v33, vcc_lo, v36
	v_lshrrev_b32_e32 v8, 4, v8
	v_and_b32_e32 v9, exec_hi, v9
	v_xor_b32_e32 v34, s1, v0
	v_ashrrev_i32_e32 v32, 31, v32
	v_and_b32_e32 v33, exec_lo, v33
	v_xor_b32_e32 v0, s0, v0
	v_and_b32_e32 v37, 0xffffffc, v8
	v_and_b32_e32 v8, v9, v34
	v_not_b32_e32 v9, v35
	v_xor_b32_e32 v36, s5, v32
	v_xor_b32_e32 v32, s4, v32
	v_and_b32_e32 v0, v33, v0
	v_ashrrev_i32_e32 v9, 31, v9
	v_and_b32_e32 v8, v8, v36
	v_and_b32_e32 v0, v0, v32
	v_xor_b32_e32 v32, s7, v9
	v_xor_b32_e32 v9, s6, v9
	v_and_b32_e32 v32, v8, v32
	v_and_b32_e32 v0, v0, v9
	v_lshlrev_b32_e32 v9, 27, v40
	v_mov_b32_e32 v8, v1
	v_cmp_gt_i64_e32 vcc, 0, v[8:9]
	v_not_b32_e32 v8, v9
	v_ashrrev_i32_e32 v8, 31, v8
	v_xor_b32_e32 v9, vcc_hi, v8
	v_xor_b32_e32 v8, vcc_lo, v8
	v_and_b32_e32 v32, v32, v9
	v_and_b32_e32 v0, v0, v8
	v_lshlrev_b32_e32 v9, 26, v40
	v_mov_b32_e32 v8, v1
	v_cmp_gt_i64_e32 vcc, 0, v[8:9]
	v_not_b32_e32 v8, v9
	v_ashrrev_i32_e32 v8, 31, v8
	v_xor_b32_e32 v9, vcc_hi, v8
	v_xor_b32_e32 v8, vcc_lo, v8
	v_and_b32_e32 v8, v0, v8
	v_and_b32_e32 v9, v32, v9
	v_mbcnt_lo_u32_b32 v0, v8, 0
	v_mbcnt_hi_u32_b32 v32, v9, v0
	v_mul_u32_u24_e32 v41, 36, v40
	v_cmp_eq_u32_e32 vcc, 0, v32
	v_cmp_ne_u64_e64 s[0:1], 0, v[8:9]
	s_and_b64 s[4:5], s[0:1], vcc
	v_add_u32_e32 v34, v37, v41
	s_and_saveexec_b64 s[0:1], s[4:5]
; %bb.290:
	v_bcnt_u32_b32 v0, v8, 0
	v_bcnt_u32_b32 v0, v9, v0
	ds_write_b32 v34, v0 offset:32
; %bb.291:
	s_or_b64 exec, exec, s[0:1]
	s_waitcnt vmcnt(20)
	v_lshrrev_b32_sdwa v0, s8, v28 dst_sel:DWORD dst_unused:UNUSED_PAD src0_sel:DWORD src1_sel:WORD_0
	v_and_b32_e32 v35, s9, v0
	v_mad_u32_u24 v0, v35, 36, v37
	; wave barrier
	ds_read_b32 v33, v0 offset:32
	v_and_b32_e32 v0, 1, v35
	v_lshl_add_u64 v[8:9], v[0:1], 0, -1
	v_cmp_ne_u32_e32 vcc, 0, v0
	v_mul_u32_u24_e32 v36, 36, v35
	s_nop 0
	v_xor_b32_e32 v8, vcc_lo, v8
	v_xor_b32_e32 v0, vcc_hi, v9
	v_and_b32_e32 v38, exec_lo, v8
	v_lshlrev_b32_e32 v9, 30, v35
	v_mov_b32_e32 v8, v1
	v_cmp_gt_i64_e32 vcc, 0, v[8:9]
	v_not_b32_e32 v8, v9
	v_ashrrev_i32_e32 v8, 31, v8
	v_and_b32_e32 v0, exec_hi, v0
	v_xor_b32_e32 v9, vcc_hi, v8
	v_xor_b32_e32 v8, vcc_lo, v8
	v_and_b32_e32 v0, v0, v9
	v_and_b32_e32 v38, v38, v8
	v_lshlrev_b32_e32 v9, 29, v35
	v_mov_b32_e32 v8, v1
	v_cmp_gt_i64_e32 vcc, 0, v[8:9]
	v_not_b32_e32 v8, v9
	v_ashrrev_i32_e32 v8, 31, v8
	v_xor_b32_e32 v9, vcc_hi, v8
	v_xor_b32_e32 v8, vcc_lo, v8
	v_and_b32_e32 v0, v0, v9
	v_and_b32_e32 v38, v38, v8
	v_lshlrev_b32_e32 v9, 28, v35
	v_mov_b32_e32 v8, v1
	v_cmp_gt_i64_e32 vcc, 0, v[8:9]
	v_not_b32_e32 v8, v9
	v_ashrrev_i32_e32 v8, 31, v8
	;; [unrolled: 9-line block ×3, first 2 shown]
	v_xor_b32_e32 v9, vcc_hi, v8
	v_xor_b32_e32 v8, vcc_lo, v8
	v_and_b32_e32 v0, v0, v9
	v_lshlrev_b32_e32 v9, 26, v35
	v_and_b32_e32 v38, v38, v8
	v_mov_b32_e32 v8, v1
	v_not_b32_e32 v1, v9
	v_cmp_gt_i64_e32 vcc, 0, v[8:9]
	v_ashrrev_i32_e32 v1, 31, v1
	; wave barrier
	s_nop 0
	v_xor_b32_e32 v8, vcc_hi, v1
	v_xor_b32_e32 v9, vcc_lo, v1
	v_and_b32_e32 v1, v0, v8
	v_and_b32_e32 v0, v38, v9
	v_mbcnt_lo_u32_b32 v8, v0, 0
	v_mbcnt_hi_u32_b32 v35, v1, v8
	v_cmp_eq_u32_e32 vcc, 0, v35
	v_cmp_ne_u64_e64 s[0:1], 0, v[0:1]
	s_and_b64 s[4:5], s[0:1], vcc
	v_add_u32_e32 v38, v37, v36
	s_and_saveexec_b64 s[0:1], s[4:5]
	s_cbranch_execz .LBB1020_293
; %bb.292:
	v_bcnt_u32_b32 v0, v0, 0
	v_bcnt_u32_b32 v0, v1, v0
	s_waitcnt lgkmcnt(0)
	v_add_u32_e32 v0, v33, v0
	ds_write_b32 v38, v0 offset:32
.LBB1020_293:
	s_or_b64 exec, exec, s[0:1]
	s_waitcnt vmcnt(19)
	v_lshrrev_b32_sdwa v0, s8, v27 dst_sel:DWORD dst_unused:UNUSED_PAD src0_sel:DWORD src1_sel:WORD_0
	v_and_b32_e32 v39, s9, v0
	v_mad_u32_u24 v0, v39, 36, v37
	; wave barrier
	ds_read_b32 v36, v0 offset:32
	v_and_b32_e32 v0, 1, v39
	v_mov_b32_e32 v1, 0
	v_lshl_add_u64 v[8:9], v[0:1], 0, -1
	v_cmp_ne_u32_e32 vcc, 0, v0
	v_mul_u32_u24_e32 v40, 36, v39
	s_nop 0
	v_xor_b32_e32 v8, vcc_lo, v8
	v_xor_b32_e32 v0, vcc_hi, v9
	v_and_b32_e32 v41, exec_lo, v8
	v_lshlrev_b32_e32 v9, 30, v39
	v_mov_b32_e32 v8, v1
	v_cmp_gt_i64_e32 vcc, 0, v[8:9]
	v_not_b32_e32 v8, v9
	v_ashrrev_i32_e32 v8, 31, v8
	v_and_b32_e32 v0, exec_hi, v0
	v_xor_b32_e32 v9, vcc_hi, v8
	v_xor_b32_e32 v8, vcc_lo, v8
	v_and_b32_e32 v0, v0, v9
	v_and_b32_e32 v41, v41, v8
	v_lshlrev_b32_e32 v9, 29, v39
	v_mov_b32_e32 v8, v1
	v_cmp_gt_i64_e32 vcc, 0, v[8:9]
	v_not_b32_e32 v8, v9
	v_ashrrev_i32_e32 v8, 31, v8
	v_xor_b32_e32 v9, vcc_hi, v8
	v_xor_b32_e32 v8, vcc_lo, v8
	v_and_b32_e32 v0, v0, v9
	v_and_b32_e32 v41, v41, v8
	v_lshlrev_b32_e32 v9, 28, v39
	v_mov_b32_e32 v8, v1
	v_cmp_gt_i64_e32 vcc, 0, v[8:9]
	v_not_b32_e32 v8, v9
	v_ashrrev_i32_e32 v8, 31, v8
	;; [unrolled: 9-line block ×4, first 2 shown]
	v_xor_b32_e32 v9, vcc_hi, v8
	v_xor_b32_e32 v8, vcc_lo, v8
	v_and_b32_e32 v8, v41, v8
	v_and_b32_e32 v9, v0, v9
	v_mbcnt_lo_u32_b32 v0, v8, 0
	v_mbcnt_hi_u32_b32 v39, v9, v0
	v_cmp_eq_u32_e32 vcc, 0, v39
	v_cmp_ne_u64_e64 s[0:1], 0, v[8:9]
	s_and_b64 s[4:5], s[0:1], vcc
	v_add_u32_e32 v41, v37, v40
	; wave barrier
	s_and_saveexec_b64 s[0:1], s[4:5]
	s_cbranch_execz .LBB1020_295
; %bb.294:
	v_bcnt_u32_b32 v0, v8, 0
	v_bcnt_u32_b32 v0, v9, v0
	s_waitcnt lgkmcnt(0)
	v_add_u32_e32 v0, v36, v0
	ds_write_b32 v41, v0 offset:32
.LBB1020_295:
	s_or_b64 exec, exec, s[0:1]
	s_waitcnt vmcnt(18)
	v_lshrrev_b32_sdwa v0, s8, v26 dst_sel:DWORD dst_unused:UNUSED_PAD src0_sel:DWORD src1_sel:WORD_0
	v_and_b32_e32 v42, s9, v0
	v_mad_u32_u24 v0, v42, 36, v37
	; wave barrier
	ds_read_b32 v40, v0 offset:32
	v_and_b32_e32 v0, 1, v42
	v_lshl_add_u64 v[8:9], v[0:1], 0, -1
	v_cmp_ne_u32_e32 vcc, 0, v0
	v_mul_u32_u24_e32 v43, 36, v42
	s_nop 0
	v_xor_b32_e32 v8, vcc_lo, v8
	v_xor_b32_e32 v0, vcc_hi, v9
	v_and_b32_e32 v44, exec_lo, v8
	v_lshlrev_b32_e32 v9, 30, v42
	v_mov_b32_e32 v8, v1
	v_cmp_gt_i64_e32 vcc, 0, v[8:9]
	v_not_b32_e32 v8, v9
	v_ashrrev_i32_e32 v8, 31, v8
	v_and_b32_e32 v0, exec_hi, v0
	v_xor_b32_e32 v9, vcc_hi, v8
	v_xor_b32_e32 v8, vcc_lo, v8
	v_and_b32_e32 v0, v0, v9
	v_and_b32_e32 v44, v44, v8
	v_lshlrev_b32_e32 v9, 29, v42
	v_mov_b32_e32 v8, v1
	v_cmp_gt_i64_e32 vcc, 0, v[8:9]
	v_not_b32_e32 v8, v9
	v_ashrrev_i32_e32 v8, 31, v8
	v_xor_b32_e32 v9, vcc_hi, v8
	v_xor_b32_e32 v8, vcc_lo, v8
	v_and_b32_e32 v0, v0, v9
	v_and_b32_e32 v44, v44, v8
	v_lshlrev_b32_e32 v9, 28, v42
	v_mov_b32_e32 v8, v1
	v_cmp_gt_i64_e32 vcc, 0, v[8:9]
	v_not_b32_e32 v8, v9
	v_ashrrev_i32_e32 v8, 31, v8
	;; [unrolled: 9-line block ×3, first 2 shown]
	v_xor_b32_e32 v9, vcc_hi, v8
	v_xor_b32_e32 v8, vcc_lo, v8
	v_and_b32_e32 v0, v0, v9
	v_lshlrev_b32_e32 v9, 26, v42
	v_and_b32_e32 v44, v44, v8
	v_mov_b32_e32 v8, v1
	v_not_b32_e32 v1, v9
	v_cmp_gt_i64_e32 vcc, 0, v[8:9]
	v_ashrrev_i32_e32 v1, 31, v1
	; wave barrier
	s_nop 0
	v_xor_b32_e32 v8, vcc_hi, v1
	v_xor_b32_e32 v9, vcc_lo, v1
	v_and_b32_e32 v1, v0, v8
	v_and_b32_e32 v0, v44, v9
	v_mbcnt_lo_u32_b32 v8, v0, 0
	v_mbcnt_hi_u32_b32 v42, v1, v8
	v_cmp_eq_u32_e32 vcc, 0, v42
	v_cmp_ne_u64_e64 s[0:1], 0, v[0:1]
	s_and_b64 s[4:5], s[0:1], vcc
	v_add_u32_e32 v44, v37, v43
	s_and_saveexec_b64 s[0:1], s[4:5]
	s_cbranch_execz .LBB1020_297
; %bb.296:
	v_bcnt_u32_b32 v0, v0, 0
	v_bcnt_u32_b32 v0, v1, v0
	s_waitcnt lgkmcnt(0)
	v_add_u32_e32 v0, v40, v0
	ds_write_b32 v44, v0 offset:32
.LBB1020_297:
	s_or_b64 exec, exec, s[0:1]
	s_waitcnt vmcnt(17)
	v_lshrrev_b32_sdwa v0, s8, v25 dst_sel:DWORD dst_unused:UNUSED_PAD src0_sel:DWORD src1_sel:WORD_0
	v_and_b32_e32 v45, s9, v0
	v_mad_u32_u24 v0, v45, 36, v37
	; wave barrier
	ds_read_b32 v43, v0 offset:32
	v_and_b32_e32 v0, 1, v45
	v_mov_b32_e32 v1, 0
	v_lshl_add_u64 v[8:9], v[0:1], 0, -1
	v_cmp_ne_u32_e32 vcc, 0, v0
	v_mul_u32_u24_e32 v46, 36, v45
	s_nop 0
	v_xor_b32_e32 v8, vcc_lo, v8
	v_xor_b32_e32 v0, vcc_hi, v9
	v_and_b32_e32 v47, exec_lo, v8
	v_lshlrev_b32_e32 v9, 30, v45
	v_mov_b32_e32 v8, v1
	v_cmp_gt_i64_e32 vcc, 0, v[8:9]
	v_not_b32_e32 v8, v9
	v_ashrrev_i32_e32 v8, 31, v8
	v_and_b32_e32 v0, exec_hi, v0
	v_xor_b32_e32 v9, vcc_hi, v8
	v_xor_b32_e32 v8, vcc_lo, v8
	v_and_b32_e32 v0, v0, v9
	v_and_b32_e32 v47, v47, v8
	v_lshlrev_b32_e32 v9, 29, v45
	v_mov_b32_e32 v8, v1
	v_cmp_gt_i64_e32 vcc, 0, v[8:9]
	v_not_b32_e32 v8, v9
	v_ashrrev_i32_e32 v8, 31, v8
	v_xor_b32_e32 v9, vcc_hi, v8
	v_xor_b32_e32 v8, vcc_lo, v8
	v_and_b32_e32 v0, v0, v9
	v_and_b32_e32 v47, v47, v8
	v_lshlrev_b32_e32 v9, 28, v45
	v_mov_b32_e32 v8, v1
	v_cmp_gt_i64_e32 vcc, 0, v[8:9]
	v_not_b32_e32 v8, v9
	v_ashrrev_i32_e32 v8, 31, v8
	;; [unrolled: 9-line block ×4, first 2 shown]
	v_xor_b32_e32 v9, vcc_hi, v8
	v_xor_b32_e32 v8, vcc_lo, v8
	v_and_b32_e32 v8, v47, v8
	v_and_b32_e32 v9, v0, v9
	v_mbcnt_lo_u32_b32 v0, v8, 0
	v_mbcnt_hi_u32_b32 v45, v9, v0
	v_cmp_eq_u32_e32 vcc, 0, v45
	v_cmp_ne_u64_e64 s[0:1], 0, v[8:9]
	s_and_b64 s[4:5], s[0:1], vcc
	v_add_u32_e32 v47, v37, v46
	; wave barrier
	s_and_saveexec_b64 s[0:1], s[4:5]
	s_cbranch_execz .LBB1020_299
; %bb.298:
	v_bcnt_u32_b32 v0, v8, 0
	v_bcnt_u32_b32 v0, v9, v0
	s_waitcnt lgkmcnt(0)
	v_add_u32_e32 v0, v43, v0
	ds_write_b32 v47, v0 offset:32
.LBB1020_299:
	s_or_b64 exec, exec, s[0:1]
	s_waitcnt vmcnt(16)
	v_lshrrev_b32_sdwa v0, s8, v24 dst_sel:DWORD dst_unused:UNUSED_PAD src0_sel:DWORD src1_sel:WORD_0
	v_and_b32_e32 v48, s9, v0
	v_mad_u32_u24 v0, v48, 36, v37
	; wave barrier
	ds_read_b32 v46, v0 offset:32
	v_and_b32_e32 v0, 1, v48
	v_lshl_add_u64 v[8:9], v[0:1], 0, -1
	v_cmp_ne_u32_e32 vcc, 0, v0
	v_mul_u32_u24_e32 v49, 36, v48
	s_nop 0
	v_xor_b32_e32 v8, vcc_lo, v8
	v_xor_b32_e32 v0, vcc_hi, v9
	v_and_b32_e32 v50, exec_lo, v8
	v_lshlrev_b32_e32 v9, 30, v48
	v_mov_b32_e32 v8, v1
	v_cmp_gt_i64_e32 vcc, 0, v[8:9]
	v_not_b32_e32 v8, v9
	v_ashrrev_i32_e32 v8, 31, v8
	v_and_b32_e32 v0, exec_hi, v0
	v_xor_b32_e32 v9, vcc_hi, v8
	v_xor_b32_e32 v8, vcc_lo, v8
	v_and_b32_e32 v0, v0, v9
	v_and_b32_e32 v50, v50, v8
	v_lshlrev_b32_e32 v9, 29, v48
	v_mov_b32_e32 v8, v1
	v_cmp_gt_i64_e32 vcc, 0, v[8:9]
	v_not_b32_e32 v8, v9
	v_ashrrev_i32_e32 v8, 31, v8
	v_xor_b32_e32 v9, vcc_hi, v8
	v_xor_b32_e32 v8, vcc_lo, v8
	v_and_b32_e32 v0, v0, v9
	v_and_b32_e32 v50, v50, v8
	v_lshlrev_b32_e32 v9, 28, v48
	v_mov_b32_e32 v8, v1
	v_cmp_gt_i64_e32 vcc, 0, v[8:9]
	v_not_b32_e32 v8, v9
	v_ashrrev_i32_e32 v8, 31, v8
	;; [unrolled: 9-line block ×3, first 2 shown]
	v_xor_b32_e32 v9, vcc_hi, v8
	v_xor_b32_e32 v8, vcc_lo, v8
	v_and_b32_e32 v0, v0, v9
	v_lshlrev_b32_e32 v9, 26, v48
	v_and_b32_e32 v50, v50, v8
	v_mov_b32_e32 v8, v1
	v_not_b32_e32 v1, v9
	v_cmp_gt_i64_e32 vcc, 0, v[8:9]
	v_ashrrev_i32_e32 v1, 31, v1
	; wave barrier
	s_nop 0
	v_xor_b32_e32 v8, vcc_hi, v1
	v_xor_b32_e32 v9, vcc_lo, v1
	v_and_b32_e32 v1, v0, v8
	v_and_b32_e32 v0, v50, v9
	v_mbcnt_lo_u32_b32 v8, v0, 0
	v_mbcnt_hi_u32_b32 v48, v1, v8
	v_cmp_eq_u32_e32 vcc, 0, v48
	v_cmp_ne_u64_e64 s[0:1], 0, v[0:1]
	s_and_b64 s[4:5], s[0:1], vcc
	v_add_u32_e32 v50, v37, v49
	s_and_saveexec_b64 s[0:1], s[4:5]
	s_cbranch_execz .LBB1020_301
; %bb.300:
	v_bcnt_u32_b32 v0, v0, 0
	v_bcnt_u32_b32 v0, v1, v0
	s_waitcnt lgkmcnt(0)
	v_add_u32_e32 v0, v46, v0
	ds_write_b32 v50, v0 offset:32
.LBB1020_301:
	s_or_b64 exec, exec, s[0:1]
	s_waitcnt vmcnt(15)
	v_lshrrev_b32_sdwa v0, s8, v23 dst_sel:DWORD dst_unused:UNUSED_PAD src0_sel:DWORD src1_sel:WORD_0
	v_and_b32_e32 v51, s9, v0
	v_mad_u32_u24 v0, v51, 36, v37
	; wave barrier
	ds_read_b32 v49, v0 offset:32
	v_and_b32_e32 v0, 1, v51
	v_mov_b32_e32 v1, 0
	v_lshl_add_u64 v[8:9], v[0:1], 0, -1
	v_cmp_ne_u32_e32 vcc, 0, v0
	v_mul_u32_u24_e32 v52, 36, v51
	s_nop 0
	v_xor_b32_e32 v8, vcc_lo, v8
	v_xor_b32_e32 v0, vcc_hi, v9
	v_and_b32_e32 v53, exec_lo, v8
	v_lshlrev_b32_e32 v9, 30, v51
	v_mov_b32_e32 v8, v1
	v_cmp_gt_i64_e32 vcc, 0, v[8:9]
	v_not_b32_e32 v8, v9
	v_ashrrev_i32_e32 v8, 31, v8
	v_and_b32_e32 v0, exec_hi, v0
	v_xor_b32_e32 v9, vcc_hi, v8
	v_xor_b32_e32 v8, vcc_lo, v8
	v_and_b32_e32 v0, v0, v9
	v_and_b32_e32 v53, v53, v8
	v_lshlrev_b32_e32 v9, 29, v51
	v_mov_b32_e32 v8, v1
	v_cmp_gt_i64_e32 vcc, 0, v[8:9]
	v_not_b32_e32 v8, v9
	v_ashrrev_i32_e32 v8, 31, v8
	v_xor_b32_e32 v9, vcc_hi, v8
	v_xor_b32_e32 v8, vcc_lo, v8
	v_and_b32_e32 v0, v0, v9
	v_and_b32_e32 v53, v53, v8
	v_lshlrev_b32_e32 v9, 28, v51
	v_mov_b32_e32 v8, v1
	v_cmp_gt_i64_e32 vcc, 0, v[8:9]
	v_not_b32_e32 v8, v9
	v_ashrrev_i32_e32 v8, 31, v8
	;; [unrolled: 9-line block ×4, first 2 shown]
	v_xor_b32_e32 v9, vcc_hi, v8
	v_xor_b32_e32 v8, vcc_lo, v8
	v_and_b32_e32 v8, v53, v8
	v_and_b32_e32 v9, v0, v9
	v_mbcnt_lo_u32_b32 v0, v8, 0
	v_mbcnt_hi_u32_b32 v51, v9, v0
	v_cmp_eq_u32_e32 vcc, 0, v51
	v_cmp_ne_u64_e64 s[0:1], 0, v[8:9]
	s_and_b64 s[4:5], s[0:1], vcc
	v_add_u32_e32 v53, v37, v52
	; wave barrier
	s_and_saveexec_b64 s[0:1], s[4:5]
	s_cbranch_execz .LBB1020_303
; %bb.302:
	v_bcnt_u32_b32 v0, v8, 0
	v_bcnt_u32_b32 v0, v9, v0
	s_waitcnt lgkmcnt(0)
	v_add_u32_e32 v0, v49, v0
	ds_write_b32 v53, v0 offset:32
.LBB1020_303:
	s_or_b64 exec, exec, s[0:1]
	s_waitcnt vmcnt(14)
	v_lshrrev_b32_sdwa v0, s8, v22 dst_sel:DWORD dst_unused:UNUSED_PAD src0_sel:DWORD src1_sel:WORD_0
	v_and_b32_e32 v54, s9, v0
	v_mad_u32_u24 v0, v54, 36, v37
	; wave barrier
	ds_read_b32 v52, v0 offset:32
	v_and_b32_e32 v0, 1, v54
	v_lshl_add_u64 v[8:9], v[0:1], 0, -1
	v_cmp_ne_u32_e32 vcc, 0, v0
	v_mul_u32_u24_e32 v55, 36, v54
	s_nop 0
	v_xor_b32_e32 v8, vcc_lo, v8
	v_xor_b32_e32 v0, vcc_hi, v9
	v_and_b32_e32 v56, exec_lo, v8
	v_lshlrev_b32_e32 v9, 30, v54
	v_mov_b32_e32 v8, v1
	v_cmp_gt_i64_e32 vcc, 0, v[8:9]
	v_not_b32_e32 v8, v9
	v_ashrrev_i32_e32 v8, 31, v8
	v_and_b32_e32 v0, exec_hi, v0
	v_xor_b32_e32 v9, vcc_hi, v8
	v_xor_b32_e32 v8, vcc_lo, v8
	v_and_b32_e32 v0, v0, v9
	v_and_b32_e32 v56, v56, v8
	v_lshlrev_b32_e32 v9, 29, v54
	v_mov_b32_e32 v8, v1
	v_cmp_gt_i64_e32 vcc, 0, v[8:9]
	v_not_b32_e32 v8, v9
	v_ashrrev_i32_e32 v8, 31, v8
	v_xor_b32_e32 v9, vcc_hi, v8
	v_xor_b32_e32 v8, vcc_lo, v8
	v_and_b32_e32 v0, v0, v9
	v_and_b32_e32 v56, v56, v8
	v_lshlrev_b32_e32 v9, 28, v54
	v_mov_b32_e32 v8, v1
	v_cmp_gt_i64_e32 vcc, 0, v[8:9]
	v_not_b32_e32 v8, v9
	v_ashrrev_i32_e32 v8, 31, v8
	v_xor_b32_e32 v9, vcc_hi, v8
	v_xor_b32_e32 v8, vcc_lo, v8
	v_and_b32_e32 v0, v0, v9
	v_and_b32_e32 v56, v56, v8
	v_lshlrev_b32_e32 v9, 27, v54
	v_mov_b32_e32 v8, v1
	v_cmp_gt_i64_e32 vcc, 0, v[8:9]
	v_not_b32_e32 v8, v9
	v_ashrrev_i32_e32 v8, 31, v8
	v_xor_b32_e32 v9, vcc_hi, v8
	v_xor_b32_e32 v8, vcc_lo, v8
	v_and_b32_e32 v0, v0, v9
	v_lshlrev_b32_e32 v9, 26, v54
	v_and_b32_e32 v56, v56, v8
	v_mov_b32_e32 v8, v1
	v_not_b32_e32 v1, v9
	v_cmp_gt_i64_e32 vcc, 0, v[8:9]
	v_ashrrev_i32_e32 v1, 31, v1
	; wave barrier
	s_nop 0
	v_xor_b32_e32 v8, vcc_hi, v1
	v_xor_b32_e32 v9, vcc_lo, v1
	v_and_b32_e32 v1, v0, v8
	v_and_b32_e32 v0, v56, v9
	v_mbcnt_lo_u32_b32 v8, v0, 0
	v_mbcnt_hi_u32_b32 v54, v1, v8
	v_cmp_eq_u32_e32 vcc, 0, v54
	v_cmp_ne_u64_e64 s[0:1], 0, v[0:1]
	s_and_b64 s[4:5], s[0:1], vcc
	v_add_u32_e32 v56, v37, v55
	s_and_saveexec_b64 s[0:1], s[4:5]
	s_cbranch_execz .LBB1020_305
; %bb.304:
	v_bcnt_u32_b32 v0, v0, 0
	v_bcnt_u32_b32 v0, v1, v0
	s_waitcnt lgkmcnt(0)
	v_add_u32_e32 v0, v52, v0
	ds_write_b32 v56, v0 offset:32
.LBB1020_305:
	s_or_b64 exec, exec, s[0:1]
	s_waitcnt vmcnt(13)
	v_lshrrev_b32_sdwa v0, s8, v21 dst_sel:DWORD dst_unused:UNUSED_PAD src0_sel:DWORD src1_sel:WORD_0
	v_and_b32_e32 v57, s9, v0
	v_mad_u32_u24 v0, v57, 36, v37
	; wave barrier
	ds_read_b32 v55, v0 offset:32
	v_and_b32_e32 v0, 1, v57
	v_mov_b32_e32 v1, 0
	v_lshl_add_u64 v[8:9], v[0:1], 0, -1
	v_cmp_ne_u32_e32 vcc, 0, v0
	v_mul_u32_u24_e32 v58, 36, v57
	s_nop 0
	v_xor_b32_e32 v8, vcc_lo, v8
	v_xor_b32_e32 v0, vcc_hi, v9
	v_and_b32_e32 v59, exec_lo, v8
	v_lshlrev_b32_e32 v9, 30, v57
	v_mov_b32_e32 v8, v1
	v_cmp_gt_i64_e32 vcc, 0, v[8:9]
	v_not_b32_e32 v8, v9
	v_ashrrev_i32_e32 v8, 31, v8
	v_and_b32_e32 v0, exec_hi, v0
	v_xor_b32_e32 v9, vcc_hi, v8
	v_xor_b32_e32 v8, vcc_lo, v8
	v_and_b32_e32 v0, v0, v9
	v_and_b32_e32 v59, v59, v8
	v_lshlrev_b32_e32 v9, 29, v57
	v_mov_b32_e32 v8, v1
	v_cmp_gt_i64_e32 vcc, 0, v[8:9]
	v_not_b32_e32 v8, v9
	v_ashrrev_i32_e32 v8, 31, v8
	v_xor_b32_e32 v9, vcc_hi, v8
	v_xor_b32_e32 v8, vcc_lo, v8
	v_and_b32_e32 v0, v0, v9
	v_and_b32_e32 v59, v59, v8
	v_lshlrev_b32_e32 v9, 28, v57
	v_mov_b32_e32 v8, v1
	v_cmp_gt_i64_e32 vcc, 0, v[8:9]
	v_not_b32_e32 v8, v9
	v_ashrrev_i32_e32 v8, 31, v8
	;; [unrolled: 9-line block ×4, first 2 shown]
	v_xor_b32_e32 v9, vcc_hi, v8
	v_xor_b32_e32 v8, vcc_lo, v8
	v_and_b32_e32 v8, v59, v8
	v_and_b32_e32 v9, v0, v9
	v_mbcnt_lo_u32_b32 v0, v8, 0
	v_mbcnt_hi_u32_b32 v57, v9, v0
	v_cmp_eq_u32_e32 vcc, 0, v57
	v_cmp_ne_u64_e64 s[0:1], 0, v[8:9]
	s_and_b64 s[4:5], s[0:1], vcc
	v_add_u32_e32 v59, v37, v58
	; wave barrier
	s_and_saveexec_b64 s[0:1], s[4:5]
	s_cbranch_execz .LBB1020_307
; %bb.306:
	v_bcnt_u32_b32 v0, v8, 0
	v_bcnt_u32_b32 v0, v9, v0
	s_waitcnt lgkmcnt(0)
	v_add_u32_e32 v0, v55, v0
	ds_write_b32 v59, v0 offset:32
.LBB1020_307:
	s_or_b64 exec, exec, s[0:1]
	s_waitcnt vmcnt(12)
	v_lshrrev_b32_sdwa v0, s8, v20 dst_sel:DWORD dst_unused:UNUSED_PAD src0_sel:DWORD src1_sel:WORD_0
	v_and_b32_e32 v60, s9, v0
	v_mad_u32_u24 v0, v60, 36, v37
	; wave barrier
	ds_read_b32 v58, v0 offset:32
	v_and_b32_e32 v0, 1, v60
	v_lshl_add_u64 v[8:9], v[0:1], 0, -1
	v_cmp_ne_u32_e32 vcc, 0, v0
	v_mul_u32_u24_e32 v61, 36, v60
	s_nop 0
	v_xor_b32_e32 v8, vcc_lo, v8
	v_xor_b32_e32 v0, vcc_hi, v9
	v_and_b32_e32 v62, exec_lo, v8
	v_lshlrev_b32_e32 v9, 30, v60
	v_mov_b32_e32 v8, v1
	v_cmp_gt_i64_e32 vcc, 0, v[8:9]
	v_not_b32_e32 v8, v9
	v_ashrrev_i32_e32 v8, 31, v8
	v_and_b32_e32 v0, exec_hi, v0
	v_xor_b32_e32 v9, vcc_hi, v8
	v_xor_b32_e32 v8, vcc_lo, v8
	v_and_b32_e32 v0, v0, v9
	v_and_b32_e32 v62, v62, v8
	v_lshlrev_b32_e32 v9, 29, v60
	v_mov_b32_e32 v8, v1
	v_cmp_gt_i64_e32 vcc, 0, v[8:9]
	v_not_b32_e32 v8, v9
	v_ashrrev_i32_e32 v8, 31, v8
	v_xor_b32_e32 v9, vcc_hi, v8
	v_xor_b32_e32 v8, vcc_lo, v8
	v_and_b32_e32 v0, v0, v9
	v_and_b32_e32 v62, v62, v8
	v_lshlrev_b32_e32 v9, 28, v60
	v_mov_b32_e32 v8, v1
	v_cmp_gt_i64_e32 vcc, 0, v[8:9]
	v_not_b32_e32 v8, v9
	v_ashrrev_i32_e32 v8, 31, v8
	;; [unrolled: 9-line block ×3, first 2 shown]
	v_xor_b32_e32 v9, vcc_hi, v8
	v_xor_b32_e32 v8, vcc_lo, v8
	v_and_b32_e32 v0, v0, v9
	v_lshlrev_b32_e32 v9, 26, v60
	v_and_b32_e32 v62, v62, v8
	v_mov_b32_e32 v8, v1
	v_not_b32_e32 v1, v9
	v_cmp_gt_i64_e32 vcc, 0, v[8:9]
	v_ashrrev_i32_e32 v1, 31, v1
	; wave barrier
	s_nop 0
	v_xor_b32_e32 v8, vcc_hi, v1
	v_xor_b32_e32 v9, vcc_lo, v1
	v_and_b32_e32 v1, v0, v8
	v_and_b32_e32 v0, v62, v9
	v_mbcnt_lo_u32_b32 v8, v0, 0
	v_mbcnt_hi_u32_b32 v60, v1, v8
	v_cmp_eq_u32_e32 vcc, 0, v60
	v_cmp_ne_u64_e64 s[0:1], 0, v[0:1]
	s_and_b64 s[4:5], s[0:1], vcc
	v_add_u32_e32 v62, v37, v61
	s_and_saveexec_b64 s[0:1], s[4:5]
	s_cbranch_execz .LBB1020_309
; %bb.308:
	v_bcnt_u32_b32 v0, v0, 0
	v_bcnt_u32_b32 v0, v1, v0
	s_waitcnt lgkmcnt(0)
	v_add_u32_e32 v0, v58, v0
	ds_write_b32 v62, v0 offset:32
.LBB1020_309:
	s_or_b64 exec, exec, s[0:1]
	s_waitcnt vmcnt(11)
	v_lshrrev_b32_sdwa v0, s8, v19 dst_sel:DWORD dst_unused:UNUSED_PAD src0_sel:DWORD src1_sel:WORD_0
	v_and_b32_e32 v63, s9, v0
	v_mad_u32_u24 v0, v63, 36, v37
	; wave barrier
	ds_read_b32 v61, v0 offset:32
	v_and_b32_e32 v0, 1, v63
	v_mov_b32_e32 v1, 0
	v_lshl_add_u64 v[8:9], v[0:1], 0, -1
	v_cmp_ne_u32_e32 vcc, 0, v0
	v_mul_u32_u24_e32 v64, 36, v63
	s_nop 0
	v_xor_b32_e32 v8, vcc_lo, v8
	v_xor_b32_e32 v0, vcc_hi, v9
	v_and_b32_e32 v65, exec_lo, v8
	v_lshlrev_b32_e32 v9, 30, v63
	v_mov_b32_e32 v8, v1
	v_cmp_gt_i64_e32 vcc, 0, v[8:9]
	v_not_b32_e32 v8, v9
	v_ashrrev_i32_e32 v8, 31, v8
	v_and_b32_e32 v0, exec_hi, v0
	v_xor_b32_e32 v9, vcc_hi, v8
	v_xor_b32_e32 v8, vcc_lo, v8
	v_and_b32_e32 v0, v0, v9
	v_and_b32_e32 v65, v65, v8
	v_lshlrev_b32_e32 v9, 29, v63
	v_mov_b32_e32 v8, v1
	v_cmp_gt_i64_e32 vcc, 0, v[8:9]
	v_not_b32_e32 v8, v9
	v_ashrrev_i32_e32 v8, 31, v8
	v_xor_b32_e32 v9, vcc_hi, v8
	v_xor_b32_e32 v8, vcc_lo, v8
	v_and_b32_e32 v0, v0, v9
	v_and_b32_e32 v65, v65, v8
	v_lshlrev_b32_e32 v9, 28, v63
	v_mov_b32_e32 v8, v1
	v_cmp_gt_i64_e32 vcc, 0, v[8:9]
	v_not_b32_e32 v8, v9
	v_ashrrev_i32_e32 v8, 31, v8
	;; [unrolled: 9-line block ×4, first 2 shown]
	v_xor_b32_e32 v9, vcc_hi, v8
	v_xor_b32_e32 v8, vcc_lo, v8
	v_and_b32_e32 v8, v65, v8
	v_and_b32_e32 v9, v0, v9
	v_mbcnt_lo_u32_b32 v0, v8, 0
	v_mbcnt_hi_u32_b32 v63, v9, v0
	v_cmp_eq_u32_e32 vcc, 0, v63
	v_cmp_ne_u64_e64 s[0:1], 0, v[8:9]
	s_and_b64 s[4:5], s[0:1], vcc
	v_add_u32_e32 v65, v37, v64
	; wave barrier
	s_and_saveexec_b64 s[0:1], s[4:5]
	s_cbranch_execz .LBB1020_311
; %bb.310:
	v_bcnt_u32_b32 v0, v8, 0
	v_bcnt_u32_b32 v0, v9, v0
	s_waitcnt lgkmcnt(0)
	v_add_u32_e32 v0, v61, v0
	ds_write_b32 v65, v0 offset:32
.LBB1020_311:
	s_or_b64 exec, exec, s[0:1]
	s_waitcnt vmcnt(10)
	v_lshrrev_b32_sdwa v0, s8, v18 dst_sel:DWORD dst_unused:UNUSED_PAD src0_sel:DWORD src1_sel:WORD_0
	v_and_b32_e32 v66, s9, v0
	v_mad_u32_u24 v0, v66, 36, v37
	; wave barrier
	ds_read_b32 v64, v0 offset:32
	v_and_b32_e32 v0, 1, v66
	v_lshl_add_u64 v[8:9], v[0:1], 0, -1
	v_cmp_ne_u32_e32 vcc, 0, v0
	v_mul_u32_u24_e32 v67, 36, v66
	s_nop 0
	v_xor_b32_e32 v8, vcc_lo, v8
	v_xor_b32_e32 v0, vcc_hi, v9
	v_and_b32_e32 v68, exec_lo, v8
	v_lshlrev_b32_e32 v9, 30, v66
	v_mov_b32_e32 v8, v1
	v_cmp_gt_i64_e32 vcc, 0, v[8:9]
	v_not_b32_e32 v8, v9
	v_ashrrev_i32_e32 v8, 31, v8
	v_and_b32_e32 v0, exec_hi, v0
	v_xor_b32_e32 v9, vcc_hi, v8
	v_xor_b32_e32 v8, vcc_lo, v8
	v_and_b32_e32 v0, v0, v9
	v_and_b32_e32 v68, v68, v8
	v_lshlrev_b32_e32 v9, 29, v66
	v_mov_b32_e32 v8, v1
	v_cmp_gt_i64_e32 vcc, 0, v[8:9]
	v_not_b32_e32 v8, v9
	v_ashrrev_i32_e32 v8, 31, v8
	v_xor_b32_e32 v9, vcc_hi, v8
	v_xor_b32_e32 v8, vcc_lo, v8
	v_and_b32_e32 v0, v0, v9
	v_and_b32_e32 v68, v68, v8
	v_lshlrev_b32_e32 v9, 28, v66
	v_mov_b32_e32 v8, v1
	v_cmp_gt_i64_e32 vcc, 0, v[8:9]
	v_not_b32_e32 v8, v9
	v_ashrrev_i32_e32 v8, 31, v8
	;; [unrolled: 9-line block ×3, first 2 shown]
	v_xor_b32_e32 v9, vcc_hi, v8
	v_xor_b32_e32 v8, vcc_lo, v8
	v_and_b32_e32 v0, v0, v9
	v_lshlrev_b32_e32 v9, 26, v66
	v_and_b32_e32 v68, v68, v8
	v_mov_b32_e32 v8, v1
	v_not_b32_e32 v1, v9
	v_cmp_gt_i64_e32 vcc, 0, v[8:9]
	v_ashrrev_i32_e32 v1, 31, v1
	; wave barrier
	s_nop 0
	v_xor_b32_e32 v8, vcc_hi, v1
	v_xor_b32_e32 v9, vcc_lo, v1
	v_and_b32_e32 v1, v0, v8
	v_and_b32_e32 v0, v68, v9
	v_mbcnt_lo_u32_b32 v8, v0, 0
	v_mbcnt_hi_u32_b32 v66, v1, v8
	v_cmp_eq_u32_e32 vcc, 0, v66
	v_cmp_ne_u64_e64 s[0:1], 0, v[0:1]
	s_and_b64 s[4:5], s[0:1], vcc
	v_add_u32_e32 v68, v37, v67
	s_and_saveexec_b64 s[0:1], s[4:5]
	s_cbranch_execz .LBB1020_313
; %bb.312:
	v_bcnt_u32_b32 v0, v0, 0
	v_bcnt_u32_b32 v0, v1, v0
	s_waitcnt lgkmcnt(0)
	v_add_u32_e32 v0, v64, v0
	ds_write_b32 v68, v0 offset:32
.LBB1020_313:
	s_or_b64 exec, exec, s[0:1]
	s_waitcnt vmcnt(9)
	v_lshrrev_b32_sdwa v0, s8, v17 dst_sel:DWORD dst_unused:UNUSED_PAD src0_sel:DWORD src1_sel:WORD_0
	v_and_b32_e32 v69, s9, v0
	v_mad_u32_u24 v0, v69, 36, v37
	; wave barrier
	ds_read_b32 v67, v0 offset:32
	v_and_b32_e32 v0, 1, v69
	v_mov_b32_e32 v1, 0
	v_lshl_add_u64 v[8:9], v[0:1], 0, -1
	v_cmp_ne_u32_e32 vcc, 0, v0
	v_mul_u32_u24_e32 v70, 36, v69
	s_nop 0
	v_xor_b32_e32 v8, vcc_lo, v8
	v_xor_b32_e32 v0, vcc_hi, v9
	v_and_b32_e32 v71, exec_lo, v8
	v_lshlrev_b32_e32 v9, 30, v69
	v_mov_b32_e32 v8, v1
	v_cmp_gt_i64_e32 vcc, 0, v[8:9]
	v_not_b32_e32 v8, v9
	v_ashrrev_i32_e32 v8, 31, v8
	v_and_b32_e32 v0, exec_hi, v0
	v_xor_b32_e32 v9, vcc_hi, v8
	v_xor_b32_e32 v8, vcc_lo, v8
	v_and_b32_e32 v0, v0, v9
	v_and_b32_e32 v71, v71, v8
	v_lshlrev_b32_e32 v9, 29, v69
	v_mov_b32_e32 v8, v1
	v_cmp_gt_i64_e32 vcc, 0, v[8:9]
	v_not_b32_e32 v8, v9
	v_ashrrev_i32_e32 v8, 31, v8
	v_xor_b32_e32 v9, vcc_hi, v8
	v_xor_b32_e32 v8, vcc_lo, v8
	v_and_b32_e32 v0, v0, v9
	v_and_b32_e32 v71, v71, v8
	v_lshlrev_b32_e32 v9, 28, v69
	v_mov_b32_e32 v8, v1
	v_cmp_gt_i64_e32 vcc, 0, v[8:9]
	v_not_b32_e32 v8, v9
	v_ashrrev_i32_e32 v8, 31, v8
	;; [unrolled: 9-line block ×4, first 2 shown]
	v_xor_b32_e32 v9, vcc_hi, v8
	v_xor_b32_e32 v8, vcc_lo, v8
	v_and_b32_e32 v8, v71, v8
	v_and_b32_e32 v9, v0, v9
	v_mbcnt_lo_u32_b32 v0, v8, 0
	v_mbcnt_hi_u32_b32 v69, v9, v0
	v_cmp_eq_u32_e32 vcc, 0, v69
	v_cmp_ne_u64_e64 s[0:1], 0, v[8:9]
	s_and_b64 s[4:5], s[0:1], vcc
	v_add_u32_e32 v71, v37, v70
	; wave barrier
	s_and_saveexec_b64 s[0:1], s[4:5]
	s_cbranch_execz .LBB1020_315
; %bb.314:
	v_bcnt_u32_b32 v0, v8, 0
	v_bcnt_u32_b32 v0, v9, v0
	s_waitcnt lgkmcnt(0)
	v_add_u32_e32 v0, v67, v0
	ds_write_b32 v71, v0 offset:32
.LBB1020_315:
	s_or_b64 exec, exec, s[0:1]
	s_waitcnt vmcnt(8)
	v_lshrrev_b32_sdwa v0, s8, v16 dst_sel:DWORD dst_unused:UNUSED_PAD src0_sel:DWORD src1_sel:WORD_0
	v_and_b32_e32 v72, s9, v0
	v_mad_u32_u24 v0, v72, 36, v37
	; wave barrier
	ds_read_b32 v70, v0 offset:32
	v_and_b32_e32 v0, 1, v72
	v_lshl_add_u64 v[8:9], v[0:1], 0, -1
	v_cmp_ne_u32_e32 vcc, 0, v0
	v_mul_u32_u24_e32 v73, 36, v72
	s_nop 0
	v_xor_b32_e32 v8, vcc_lo, v8
	v_xor_b32_e32 v0, vcc_hi, v9
	v_and_b32_e32 v74, exec_lo, v8
	v_lshlrev_b32_e32 v9, 30, v72
	v_mov_b32_e32 v8, v1
	v_cmp_gt_i64_e32 vcc, 0, v[8:9]
	v_not_b32_e32 v8, v9
	v_ashrrev_i32_e32 v8, 31, v8
	v_and_b32_e32 v0, exec_hi, v0
	v_xor_b32_e32 v9, vcc_hi, v8
	v_xor_b32_e32 v8, vcc_lo, v8
	v_and_b32_e32 v0, v0, v9
	v_and_b32_e32 v74, v74, v8
	v_lshlrev_b32_e32 v9, 29, v72
	v_mov_b32_e32 v8, v1
	v_cmp_gt_i64_e32 vcc, 0, v[8:9]
	v_not_b32_e32 v8, v9
	v_ashrrev_i32_e32 v8, 31, v8
	v_xor_b32_e32 v9, vcc_hi, v8
	v_xor_b32_e32 v8, vcc_lo, v8
	v_and_b32_e32 v0, v0, v9
	v_and_b32_e32 v74, v74, v8
	v_lshlrev_b32_e32 v9, 28, v72
	v_mov_b32_e32 v8, v1
	v_cmp_gt_i64_e32 vcc, 0, v[8:9]
	v_not_b32_e32 v8, v9
	v_ashrrev_i32_e32 v8, 31, v8
	;; [unrolled: 9-line block ×3, first 2 shown]
	v_xor_b32_e32 v9, vcc_hi, v8
	v_xor_b32_e32 v8, vcc_lo, v8
	v_and_b32_e32 v0, v0, v9
	v_lshlrev_b32_e32 v9, 26, v72
	v_and_b32_e32 v74, v74, v8
	v_mov_b32_e32 v8, v1
	v_not_b32_e32 v1, v9
	v_cmp_gt_i64_e32 vcc, 0, v[8:9]
	v_ashrrev_i32_e32 v1, 31, v1
	; wave barrier
	s_nop 0
	v_xor_b32_e32 v8, vcc_hi, v1
	v_xor_b32_e32 v9, vcc_lo, v1
	v_and_b32_e32 v1, v0, v8
	v_and_b32_e32 v0, v74, v9
	v_mbcnt_lo_u32_b32 v8, v0, 0
	v_mbcnt_hi_u32_b32 v72, v1, v8
	v_cmp_eq_u32_e32 vcc, 0, v72
	v_cmp_ne_u64_e64 s[0:1], 0, v[0:1]
	s_and_b64 s[4:5], s[0:1], vcc
	v_add_u32_e32 v74, v37, v73
	s_and_saveexec_b64 s[0:1], s[4:5]
	s_cbranch_execz .LBB1020_317
; %bb.316:
	v_bcnt_u32_b32 v0, v0, 0
	v_bcnt_u32_b32 v0, v1, v0
	s_waitcnt lgkmcnt(0)
	v_add_u32_e32 v0, v70, v0
	ds_write_b32 v74, v0 offset:32
.LBB1020_317:
	s_or_b64 exec, exec, s[0:1]
	s_waitcnt vmcnt(7)
	v_lshrrev_b32_sdwa v0, s8, v14 dst_sel:DWORD dst_unused:UNUSED_PAD src0_sel:DWORD src1_sel:WORD_0
	v_and_b32_e32 v75, s9, v0
	v_mad_u32_u24 v0, v75, 36, v37
	; wave barrier
	ds_read_b32 v73, v0 offset:32
	v_and_b32_e32 v0, 1, v75
	v_mov_b32_e32 v1, 0
	v_lshl_add_u64 v[8:9], v[0:1], 0, -1
	v_cmp_ne_u32_e32 vcc, 0, v0
	v_mul_u32_u24_e32 v76, 36, v75
	s_nop 0
	v_xor_b32_e32 v8, vcc_lo, v8
	v_xor_b32_e32 v0, vcc_hi, v9
	v_and_b32_e32 v77, exec_lo, v8
	v_lshlrev_b32_e32 v9, 30, v75
	v_mov_b32_e32 v8, v1
	v_cmp_gt_i64_e32 vcc, 0, v[8:9]
	v_not_b32_e32 v8, v9
	v_ashrrev_i32_e32 v8, 31, v8
	v_and_b32_e32 v0, exec_hi, v0
	v_xor_b32_e32 v9, vcc_hi, v8
	v_xor_b32_e32 v8, vcc_lo, v8
	v_and_b32_e32 v0, v0, v9
	v_and_b32_e32 v77, v77, v8
	v_lshlrev_b32_e32 v9, 29, v75
	v_mov_b32_e32 v8, v1
	v_cmp_gt_i64_e32 vcc, 0, v[8:9]
	v_not_b32_e32 v8, v9
	v_ashrrev_i32_e32 v8, 31, v8
	v_xor_b32_e32 v9, vcc_hi, v8
	v_xor_b32_e32 v8, vcc_lo, v8
	v_and_b32_e32 v0, v0, v9
	v_and_b32_e32 v77, v77, v8
	v_lshlrev_b32_e32 v9, 28, v75
	v_mov_b32_e32 v8, v1
	v_cmp_gt_i64_e32 vcc, 0, v[8:9]
	v_not_b32_e32 v8, v9
	v_ashrrev_i32_e32 v8, 31, v8
	;; [unrolled: 9-line block ×4, first 2 shown]
	v_xor_b32_e32 v9, vcc_hi, v8
	v_xor_b32_e32 v8, vcc_lo, v8
	v_and_b32_e32 v8, v77, v8
	v_and_b32_e32 v9, v0, v9
	v_mbcnt_lo_u32_b32 v0, v8, 0
	v_mbcnt_hi_u32_b32 v75, v9, v0
	v_cmp_eq_u32_e32 vcc, 0, v75
	v_cmp_ne_u64_e64 s[0:1], 0, v[8:9]
	s_and_b64 s[4:5], s[0:1], vcc
	v_add_u32_e32 v77, v37, v76
	; wave barrier
	s_and_saveexec_b64 s[0:1], s[4:5]
	s_cbranch_execz .LBB1020_319
; %bb.318:
	v_bcnt_u32_b32 v0, v8, 0
	v_bcnt_u32_b32 v0, v9, v0
	s_waitcnt lgkmcnt(0)
	v_add_u32_e32 v0, v73, v0
	ds_write_b32 v77, v0 offset:32
.LBB1020_319:
	s_or_b64 exec, exec, s[0:1]
	s_waitcnt vmcnt(6)
	v_lshrrev_b32_sdwa v0, s8, v15 dst_sel:DWORD dst_unused:UNUSED_PAD src0_sel:DWORD src1_sel:WORD_0
	v_and_b32_e32 v78, s9, v0
	v_mad_u32_u24 v0, v78, 36, v37
	; wave barrier
	ds_read_b32 v76, v0 offset:32
	v_and_b32_e32 v0, 1, v78
	v_lshl_add_u64 v[8:9], v[0:1], 0, -1
	v_cmp_ne_u32_e32 vcc, 0, v0
	v_mul_u32_u24_e32 v79, 36, v78
	s_nop 0
	v_xor_b32_e32 v8, vcc_lo, v8
	v_xor_b32_e32 v0, vcc_hi, v9
	v_and_b32_e32 v80, exec_lo, v8
	v_lshlrev_b32_e32 v9, 30, v78
	v_mov_b32_e32 v8, v1
	v_cmp_gt_i64_e32 vcc, 0, v[8:9]
	v_not_b32_e32 v8, v9
	v_ashrrev_i32_e32 v8, 31, v8
	v_and_b32_e32 v0, exec_hi, v0
	v_xor_b32_e32 v9, vcc_hi, v8
	v_xor_b32_e32 v8, vcc_lo, v8
	v_and_b32_e32 v0, v0, v9
	v_and_b32_e32 v80, v80, v8
	v_lshlrev_b32_e32 v9, 29, v78
	v_mov_b32_e32 v8, v1
	v_cmp_gt_i64_e32 vcc, 0, v[8:9]
	v_not_b32_e32 v8, v9
	v_ashrrev_i32_e32 v8, 31, v8
	v_xor_b32_e32 v9, vcc_hi, v8
	v_xor_b32_e32 v8, vcc_lo, v8
	v_and_b32_e32 v0, v0, v9
	v_and_b32_e32 v80, v80, v8
	v_lshlrev_b32_e32 v9, 28, v78
	v_mov_b32_e32 v8, v1
	v_cmp_gt_i64_e32 vcc, 0, v[8:9]
	v_not_b32_e32 v8, v9
	v_ashrrev_i32_e32 v8, 31, v8
	;; [unrolled: 9-line block ×3, first 2 shown]
	v_xor_b32_e32 v9, vcc_hi, v8
	v_xor_b32_e32 v8, vcc_lo, v8
	v_and_b32_e32 v0, v0, v9
	v_lshlrev_b32_e32 v9, 26, v78
	v_and_b32_e32 v80, v80, v8
	v_mov_b32_e32 v8, v1
	v_not_b32_e32 v1, v9
	v_cmp_gt_i64_e32 vcc, 0, v[8:9]
	v_ashrrev_i32_e32 v1, 31, v1
	; wave barrier
	s_nop 0
	v_xor_b32_e32 v8, vcc_hi, v1
	v_xor_b32_e32 v9, vcc_lo, v1
	v_and_b32_e32 v1, v0, v8
	v_and_b32_e32 v0, v80, v9
	v_mbcnt_lo_u32_b32 v8, v0, 0
	v_mbcnt_hi_u32_b32 v78, v1, v8
	v_cmp_eq_u32_e32 vcc, 0, v78
	v_cmp_ne_u64_e64 s[0:1], 0, v[0:1]
	s_and_b64 s[4:5], s[0:1], vcc
	v_add_u32_e32 v80, v37, v79
	s_and_saveexec_b64 s[0:1], s[4:5]
	s_cbranch_execz .LBB1020_321
; %bb.320:
	v_bcnt_u32_b32 v0, v0, 0
	v_bcnt_u32_b32 v0, v1, v0
	s_waitcnt lgkmcnt(0)
	v_add_u32_e32 v0, v76, v0
	ds_write_b32 v80, v0 offset:32
.LBB1020_321:
	s_or_b64 exec, exec, s[0:1]
	s_waitcnt vmcnt(5)
	v_lshrrev_b32_sdwa v0, s8, v13 dst_sel:DWORD dst_unused:UNUSED_PAD src0_sel:DWORD src1_sel:WORD_0
	v_and_b32_e32 v81, s9, v0
	v_mad_u32_u24 v0, v81, 36, v37
	; wave barrier
	ds_read_b32 v79, v0 offset:32
	v_and_b32_e32 v0, 1, v81
	v_mov_b32_e32 v1, 0
	v_lshl_add_u64 v[8:9], v[0:1], 0, -1
	v_cmp_ne_u32_e32 vcc, 0, v0
	v_mul_u32_u24_e32 v82, 36, v81
	s_nop 0
	v_xor_b32_e32 v8, vcc_lo, v8
	v_xor_b32_e32 v0, vcc_hi, v9
	v_and_b32_e32 v83, exec_lo, v8
	v_lshlrev_b32_e32 v9, 30, v81
	v_mov_b32_e32 v8, v1
	v_cmp_gt_i64_e32 vcc, 0, v[8:9]
	v_not_b32_e32 v8, v9
	v_ashrrev_i32_e32 v8, 31, v8
	v_and_b32_e32 v0, exec_hi, v0
	v_xor_b32_e32 v9, vcc_hi, v8
	v_xor_b32_e32 v8, vcc_lo, v8
	v_and_b32_e32 v0, v0, v9
	v_and_b32_e32 v83, v83, v8
	v_lshlrev_b32_e32 v9, 29, v81
	v_mov_b32_e32 v8, v1
	v_cmp_gt_i64_e32 vcc, 0, v[8:9]
	v_not_b32_e32 v8, v9
	v_ashrrev_i32_e32 v8, 31, v8
	v_xor_b32_e32 v9, vcc_hi, v8
	v_xor_b32_e32 v8, vcc_lo, v8
	v_and_b32_e32 v0, v0, v9
	v_and_b32_e32 v83, v83, v8
	v_lshlrev_b32_e32 v9, 28, v81
	v_mov_b32_e32 v8, v1
	v_cmp_gt_i64_e32 vcc, 0, v[8:9]
	v_not_b32_e32 v8, v9
	v_ashrrev_i32_e32 v8, 31, v8
	;; [unrolled: 9-line block ×4, first 2 shown]
	v_xor_b32_e32 v9, vcc_hi, v8
	v_xor_b32_e32 v8, vcc_lo, v8
	v_and_b32_e32 v8, v83, v8
	v_and_b32_e32 v9, v0, v9
	v_mbcnt_lo_u32_b32 v0, v8, 0
	v_mbcnt_hi_u32_b32 v81, v9, v0
	v_cmp_eq_u32_e32 vcc, 0, v81
	v_cmp_ne_u64_e64 s[0:1], 0, v[8:9]
	s_and_b64 s[4:5], s[0:1], vcc
	v_add_u32_e32 v83, v37, v82
	; wave barrier
	s_and_saveexec_b64 s[0:1], s[4:5]
	s_cbranch_execz .LBB1020_323
; %bb.322:
	v_bcnt_u32_b32 v0, v8, 0
	v_bcnt_u32_b32 v0, v9, v0
	s_waitcnt lgkmcnt(0)
	v_add_u32_e32 v0, v79, v0
	ds_write_b32 v83, v0 offset:32
.LBB1020_323:
	s_or_b64 exec, exec, s[0:1]
	s_waitcnt vmcnt(4)
	v_lshrrev_b32_sdwa v0, s8, v12 dst_sel:DWORD dst_unused:UNUSED_PAD src0_sel:DWORD src1_sel:WORD_0
	v_and_b32_e32 v84, s9, v0
	v_mad_u32_u24 v0, v84, 36, v37
	; wave barrier
	ds_read_b32 v82, v0 offset:32
	v_and_b32_e32 v0, 1, v84
	v_lshl_add_u64 v[8:9], v[0:1], 0, -1
	v_cmp_ne_u32_e32 vcc, 0, v0
	v_mul_u32_u24_e32 v85, 36, v84
	s_nop 0
	v_xor_b32_e32 v8, vcc_lo, v8
	v_xor_b32_e32 v0, vcc_hi, v9
	v_and_b32_e32 v86, exec_lo, v8
	v_lshlrev_b32_e32 v9, 30, v84
	v_mov_b32_e32 v8, v1
	v_cmp_gt_i64_e32 vcc, 0, v[8:9]
	v_not_b32_e32 v8, v9
	v_ashrrev_i32_e32 v8, 31, v8
	v_and_b32_e32 v0, exec_hi, v0
	v_xor_b32_e32 v9, vcc_hi, v8
	v_xor_b32_e32 v8, vcc_lo, v8
	v_and_b32_e32 v0, v0, v9
	v_and_b32_e32 v86, v86, v8
	v_lshlrev_b32_e32 v9, 29, v84
	v_mov_b32_e32 v8, v1
	v_cmp_gt_i64_e32 vcc, 0, v[8:9]
	v_not_b32_e32 v8, v9
	v_ashrrev_i32_e32 v8, 31, v8
	v_xor_b32_e32 v9, vcc_hi, v8
	v_xor_b32_e32 v8, vcc_lo, v8
	v_and_b32_e32 v0, v0, v9
	v_and_b32_e32 v86, v86, v8
	v_lshlrev_b32_e32 v9, 28, v84
	v_mov_b32_e32 v8, v1
	v_cmp_gt_i64_e32 vcc, 0, v[8:9]
	v_not_b32_e32 v8, v9
	v_ashrrev_i32_e32 v8, 31, v8
	;; [unrolled: 9-line block ×3, first 2 shown]
	v_xor_b32_e32 v9, vcc_hi, v8
	v_xor_b32_e32 v8, vcc_lo, v8
	v_and_b32_e32 v0, v0, v9
	v_lshlrev_b32_e32 v9, 26, v84
	v_and_b32_e32 v86, v86, v8
	v_mov_b32_e32 v8, v1
	v_not_b32_e32 v1, v9
	v_cmp_gt_i64_e32 vcc, 0, v[8:9]
	v_ashrrev_i32_e32 v1, 31, v1
	; wave barrier
	s_nop 0
	v_xor_b32_e32 v8, vcc_hi, v1
	v_xor_b32_e32 v9, vcc_lo, v1
	v_and_b32_e32 v1, v0, v8
	v_and_b32_e32 v0, v86, v9
	v_mbcnt_lo_u32_b32 v8, v0, 0
	v_mbcnt_hi_u32_b32 v84, v1, v8
	v_cmp_eq_u32_e32 vcc, 0, v84
	v_cmp_ne_u64_e64 s[0:1], 0, v[0:1]
	s_and_b64 s[4:5], s[0:1], vcc
	v_add_u32_e32 v86, v37, v85
	s_and_saveexec_b64 s[0:1], s[4:5]
	s_cbranch_execz .LBB1020_325
; %bb.324:
	v_bcnt_u32_b32 v0, v0, 0
	v_bcnt_u32_b32 v0, v1, v0
	s_waitcnt lgkmcnt(0)
	v_add_u32_e32 v0, v82, v0
	ds_write_b32 v86, v0 offset:32
.LBB1020_325:
	s_or_b64 exec, exec, s[0:1]
	s_waitcnt vmcnt(3)
	v_lshrrev_b32_sdwa v0, s8, v11 dst_sel:DWORD dst_unused:UNUSED_PAD src0_sel:DWORD src1_sel:WORD_0
	v_and_b32_e32 v87, s9, v0
	v_mad_u32_u24 v0, v87, 36, v37
	; wave barrier
	ds_read_b32 v85, v0 offset:32
	v_and_b32_e32 v0, 1, v87
	v_mov_b32_e32 v1, 0
	v_lshl_add_u64 v[8:9], v[0:1], 0, -1
	v_cmp_ne_u32_e32 vcc, 0, v0
	v_mul_u32_u24_e32 v88, 36, v87
	s_nop 0
	v_xor_b32_e32 v8, vcc_lo, v8
	v_xor_b32_e32 v0, vcc_hi, v9
	v_and_b32_e32 v89, exec_lo, v8
	v_lshlrev_b32_e32 v9, 30, v87
	v_mov_b32_e32 v8, v1
	v_cmp_gt_i64_e32 vcc, 0, v[8:9]
	v_not_b32_e32 v8, v9
	v_ashrrev_i32_e32 v8, 31, v8
	v_and_b32_e32 v0, exec_hi, v0
	v_xor_b32_e32 v9, vcc_hi, v8
	v_xor_b32_e32 v8, vcc_lo, v8
	v_and_b32_e32 v0, v0, v9
	v_and_b32_e32 v89, v89, v8
	v_lshlrev_b32_e32 v9, 29, v87
	v_mov_b32_e32 v8, v1
	v_cmp_gt_i64_e32 vcc, 0, v[8:9]
	v_not_b32_e32 v8, v9
	v_ashrrev_i32_e32 v8, 31, v8
	v_xor_b32_e32 v9, vcc_hi, v8
	v_xor_b32_e32 v8, vcc_lo, v8
	v_and_b32_e32 v0, v0, v9
	v_and_b32_e32 v89, v89, v8
	v_lshlrev_b32_e32 v9, 28, v87
	v_mov_b32_e32 v8, v1
	v_cmp_gt_i64_e32 vcc, 0, v[8:9]
	v_not_b32_e32 v8, v9
	v_ashrrev_i32_e32 v8, 31, v8
	;; [unrolled: 9-line block ×4, first 2 shown]
	v_xor_b32_e32 v9, vcc_hi, v8
	v_xor_b32_e32 v8, vcc_lo, v8
	v_and_b32_e32 v8, v89, v8
	v_and_b32_e32 v9, v0, v9
	v_mbcnt_lo_u32_b32 v0, v8, 0
	v_mbcnt_hi_u32_b32 v87, v9, v0
	v_cmp_eq_u32_e32 vcc, 0, v87
	v_cmp_ne_u64_e64 s[0:1], 0, v[8:9]
	s_and_b64 s[4:5], s[0:1], vcc
	v_add_u32_e32 v89, v37, v88
	; wave barrier
	s_and_saveexec_b64 s[0:1], s[4:5]
	s_cbranch_execz .LBB1020_327
; %bb.326:
	v_bcnt_u32_b32 v0, v8, 0
	v_bcnt_u32_b32 v0, v9, v0
	s_waitcnt lgkmcnt(0)
	v_add_u32_e32 v0, v85, v0
	ds_write_b32 v89, v0 offset:32
.LBB1020_327:
	s_or_b64 exec, exec, s[0:1]
	s_waitcnt vmcnt(2)
	v_lshrrev_b32_sdwa v0, s8, v10 dst_sel:DWORD dst_unused:UNUSED_PAD src0_sel:DWORD src1_sel:WORD_0
	v_and_b32_e32 v90, s9, v0
	v_mad_u32_u24 v0, v90, 36, v37
	; wave barrier
	ds_read_b32 v88, v0 offset:32
	v_and_b32_e32 v0, 1, v90
	v_lshl_add_u64 v[8:9], v[0:1], 0, -1
	v_cmp_ne_u32_e32 vcc, 0, v0
	v_mul_u32_u24_e32 v91, 36, v90
	s_nop 0
	v_xor_b32_e32 v8, vcc_lo, v8
	v_xor_b32_e32 v0, vcc_hi, v9
	v_and_b32_e32 v92, exec_lo, v8
	v_lshlrev_b32_e32 v9, 30, v90
	v_mov_b32_e32 v8, v1
	v_cmp_gt_i64_e32 vcc, 0, v[8:9]
	v_not_b32_e32 v8, v9
	v_ashrrev_i32_e32 v8, 31, v8
	v_and_b32_e32 v0, exec_hi, v0
	v_xor_b32_e32 v9, vcc_hi, v8
	v_xor_b32_e32 v8, vcc_lo, v8
	v_and_b32_e32 v0, v0, v9
	v_and_b32_e32 v92, v92, v8
	v_lshlrev_b32_e32 v9, 29, v90
	v_mov_b32_e32 v8, v1
	v_cmp_gt_i64_e32 vcc, 0, v[8:9]
	v_not_b32_e32 v8, v9
	v_ashrrev_i32_e32 v8, 31, v8
	v_xor_b32_e32 v9, vcc_hi, v8
	v_xor_b32_e32 v8, vcc_lo, v8
	v_and_b32_e32 v0, v0, v9
	v_and_b32_e32 v92, v92, v8
	v_lshlrev_b32_e32 v9, 28, v90
	v_mov_b32_e32 v8, v1
	v_cmp_gt_i64_e32 vcc, 0, v[8:9]
	v_not_b32_e32 v8, v9
	v_ashrrev_i32_e32 v8, 31, v8
	;; [unrolled: 9-line block ×3, first 2 shown]
	v_xor_b32_e32 v9, vcc_hi, v8
	v_xor_b32_e32 v8, vcc_lo, v8
	v_and_b32_e32 v0, v0, v9
	v_lshlrev_b32_e32 v9, 26, v90
	v_and_b32_e32 v92, v92, v8
	v_mov_b32_e32 v8, v1
	v_not_b32_e32 v1, v9
	v_cmp_gt_i64_e32 vcc, 0, v[8:9]
	v_ashrrev_i32_e32 v1, 31, v1
	; wave barrier
	s_nop 0
	v_xor_b32_e32 v8, vcc_hi, v1
	v_xor_b32_e32 v9, vcc_lo, v1
	v_and_b32_e32 v1, v0, v8
	v_and_b32_e32 v0, v92, v9
	v_mbcnt_lo_u32_b32 v8, v0, 0
	v_mbcnt_hi_u32_b32 v90, v1, v8
	v_cmp_eq_u32_e32 vcc, 0, v90
	v_cmp_ne_u64_e64 s[0:1], 0, v[0:1]
	s_and_b64 s[4:5], s[0:1], vcc
	v_add_u32_e32 v92, v37, v91
	s_and_saveexec_b64 s[0:1], s[4:5]
	s_cbranch_execz .LBB1020_329
; %bb.328:
	v_bcnt_u32_b32 v0, v0, 0
	v_bcnt_u32_b32 v0, v1, v0
	s_waitcnt lgkmcnt(0)
	v_add_u32_e32 v0, v88, v0
	ds_write_b32 v92, v0 offset:32
.LBB1020_329:
	s_or_b64 exec, exec, s[0:1]
	s_waitcnt vmcnt(1)
	v_lshrrev_b32_sdwa v0, s8, v7 dst_sel:DWORD dst_unused:UNUSED_PAD src0_sel:DWORD src1_sel:WORD_0
	v_and_b32_e32 v93, s9, v0
	v_mad_u32_u24 v0, v93, 36, v37
	; wave barrier
	ds_read_b32 v91, v0 offset:32
	v_and_b32_e32 v0, 1, v93
	v_mov_b32_e32 v1, 0
	v_lshl_add_u64 v[8:9], v[0:1], 0, -1
	v_cmp_ne_u32_e32 vcc, 0, v0
	v_mul_u32_u24_e32 v94, 36, v93
	v_add_u32_e32 v94, v37, v94
	v_xor_b32_e32 v8, vcc_lo, v8
	v_xor_b32_e32 v0, vcc_hi, v9
	v_and_b32_e32 v95, exec_lo, v8
	v_lshlrev_b32_e32 v9, 30, v93
	v_mov_b32_e32 v8, v1
	v_cmp_gt_i64_e32 vcc, 0, v[8:9]
	v_not_b32_e32 v8, v9
	v_ashrrev_i32_e32 v8, 31, v8
	v_and_b32_e32 v0, exec_hi, v0
	v_xor_b32_e32 v9, vcc_hi, v8
	v_xor_b32_e32 v8, vcc_lo, v8
	v_and_b32_e32 v0, v0, v9
	v_and_b32_e32 v95, v95, v8
	v_lshlrev_b32_e32 v9, 29, v93
	v_mov_b32_e32 v8, v1
	v_cmp_gt_i64_e32 vcc, 0, v[8:9]
	v_not_b32_e32 v8, v9
	v_ashrrev_i32_e32 v8, 31, v8
	v_xor_b32_e32 v9, vcc_hi, v8
	v_xor_b32_e32 v8, vcc_lo, v8
	v_and_b32_e32 v0, v0, v9
	v_and_b32_e32 v95, v95, v8
	v_lshlrev_b32_e32 v9, 28, v93
	v_mov_b32_e32 v8, v1
	v_cmp_gt_i64_e32 vcc, 0, v[8:9]
	v_not_b32_e32 v8, v9
	v_ashrrev_i32_e32 v8, 31, v8
	;; [unrolled: 9-line block ×4, first 2 shown]
	v_xor_b32_e32 v9, vcc_hi, v8
	v_xor_b32_e32 v8, vcc_lo, v8
	v_and_b32_e32 v8, v95, v8
	v_and_b32_e32 v9, v0, v9
	v_mbcnt_lo_u32_b32 v0, v8, 0
	v_mbcnt_hi_u32_b32 v93, v9, v0
	v_cmp_eq_u32_e32 vcc, 0, v93
	v_cmp_ne_u64_e64 s[0:1], 0, v[8:9]
	s_and_b64 s[4:5], s[0:1], vcc
	; wave barrier
	s_and_saveexec_b64 s[0:1], s[4:5]
	s_cbranch_execz .LBB1020_331
; %bb.330:
	v_bcnt_u32_b32 v0, v8, 0
	v_bcnt_u32_b32 v0, v9, v0
	s_waitcnt lgkmcnt(0)
	v_add_u32_e32 v0, v91, v0
	ds_write_b32 v94, v0 offset:32
.LBB1020_331:
	s_or_b64 exec, exec, s[0:1]
	s_waitcnt vmcnt(0)
	v_lshrrev_b32_sdwa v0, s8, v5 dst_sel:DWORD dst_unused:UNUSED_PAD src0_sel:DWORD src1_sel:WORD_0
	v_and_b32_e32 v9, s9, v0
	v_mad_u32_u24 v0, v9, 36, v37
	; wave barrier
	ds_read_b32 v8, v0 offset:32
	v_and_b32_e32 v0, 1, v9
	v_lshl_add_u64 v[96:97], v[0:1], 0, -1
	v_cmp_ne_u32_e32 vcc, 0, v0
	v_mul_u32_u24_e32 v95, 36, v9
	v_add_u32_e32 v37, v37, v95
	v_xor_b32_e32 v96, vcc_lo, v96
	v_xor_b32_e32 v0, vcc_hi, v97
	v_and_b32_e32 v98, exec_lo, v96
	v_lshlrev_b32_e32 v97, 30, v9
	v_mov_b32_e32 v96, v1
	v_cmp_gt_i64_e32 vcc, 0, v[96:97]
	v_not_b32_e32 v96, v97
	v_ashrrev_i32_e32 v96, 31, v96
	v_and_b32_e32 v0, exec_hi, v0
	v_xor_b32_e32 v97, vcc_hi, v96
	v_xor_b32_e32 v96, vcc_lo, v96
	v_and_b32_e32 v0, v0, v97
	v_and_b32_e32 v98, v98, v96
	v_lshlrev_b32_e32 v97, 29, v9
	v_mov_b32_e32 v96, v1
	v_cmp_gt_i64_e32 vcc, 0, v[96:97]
	v_not_b32_e32 v96, v97
	v_ashrrev_i32_e32 v96, 31, v96
	v_xor_b32_e32 v97, vcc_hi, v96
	v_xor_b32_e32 v96, vcc_lo, v96
	v_and_b32_e32 v0, v0, v97
	v_and_b32_e32 v98, v98, v96
	v_lshlrev_b32_e32 v97, 28, v9
	v_mov_b32_e32 v96, v1
	v_cmp_gt_i64_e32 vcc, 0, v[96:97]
	v_not_b32_e32 v96, v97
	v_ashrrev_i32_e32 v96, 31, v96
	;; [unrolled: 9-line block ×3, first 2 shown]
	v_xor_b32_e32 v97, vcc_hi, v96
	v_xor_b32_e32 v96, vcc_lo, v96
	v_and_b32_e32 v0, v0, v97
	v_lshlrev_b32_e32 v97, 26, v9
	v_and_b32_e32 v98, v98, v96
	v_mov_b32_e32 v96, v1
	v_not_b32_e32 v1, v97
	v_cmp_gt_i64_e32 vcc, 0, v[96:97]
	v_ashrrev_i32_e32 v1, 31, v1
	s_nop 0
	v_xor_b32_e32 v9, vcc_hi, v1
	v_xor_b32_e32 v96, vcc_lo, v1
	v_and_b32_e32 v1, v0, v9
	v_and_b32_e32 v0, v98, v96
	v_mbcnt_lo_u32_b32 v9, v0, 0
	v_mbcnt_hi_u32_b32 v9, v1, v9
	v_cmp_eq_u32_e32 vcc, 0, v9
	v_cmp_ne_u64_e64 s[0:1], 0, v[0:1]
	s_and_b64 s[4:5], s[0:1], vcc
	; wave barrier
	s_and_saveexec_b64 s[0:1], s[4:5]
	s_cbranch_execz .LBB1020_333
; %bb.332:
	v_bcnt_u32_b32 v0, v0, 0
	v_bcnt_u32_b32 v0, v1, v0
	s_waitcnt lgkmcnt(0)
	v_add_u32_e32 v0, v8, v0
	ds_write_b32 v37, v0 offset:32
.LBB1020_333:
	s_or_b64 exec, exec, s[0:1]
	; wave barrier
	s_waitcnt lgkmcnt(0)
	s_barrier
	ds_read_b64 v[0:1], v31 offset:32
	v_and_b32_e32 v95, 15, v29
	v_cmp_ne_u32_e32 vcc, 0, v95
	v_min_u32_e32 v30, 0x1c0, v30
	v_or_b32_e32 v30, 63, v30
	s_waitcnt lgkmcnt(0)
	v_add_u32_e32 v1, v1, v0
	s_nop 1
	v_mov_b32_dpp v96, v1 row_shr:1 row_mask:0xf bank_mask:0xf
	v_cndmask_b32_e32 v96, 0, v96, vcc
	v_add_u32_e32 v1, v96, v1
	v_cmp_lt_u32_e32 vcc, 1, v95
	s_nop 0
	v_mov_b32_dpp v96, v1 row_shr:2 row_mask:0xf bank_mask:0xf
	v_cndmask_b32_e32 v96, 0, v96, vcc
	v_add_u32_e32 v1, v1, v96
	v_cmp_lt_u32_e32 vcc, 3, v95
	;; [unrolled: 5-line block ×3, first 2 shown]
	s_nop 0
	v_mov_b32_dpp v96, v1 row_shr:8 row_mask:0xf bank_mask:0xf
	v_cndmask_b32_e32 v95, 0, v96, vcc
	v_add_u32_e32 v1, v1, v95
	v_bfe_i32 v96, v29, 4, 1
	v_cmp_lt_u32_e32 vcc, 31, v29
	v_mov_b32_dpp v95, v1 row_bcast:15 row_mask:0xf bank_mask:0xf
	v_and_b32_e32 v95, v96, v95
	v_add_u32_e32 v1, v1, v95
	s_nop 1
	v_mov_b32_dpp v95, v1 row_bcast:31 row_mask:0xf bank_mask:0xf
	v_cndmask_b32_e32 v95, 0, v95, vcc
	v_add_u32_e32 v1, v1, v95
	v_lshrrev_b32_e32 v95, 6, v2
	v_cmp_eq_u32_e32 vcc, v2, v30
	s_and_saveexec_b64 s[0:1], vcc
; %bb.334:
	v_lshlrev_b32_e32 v30, 2, v95
	ds_write_b32 v30, v1
; %bb.335:
	s_or_b64 exec, exec, s[0:1]
	v_cmp_gt_u32_e32 vcc, 8, v2
	v_lshlrev_b32_e32 v30, 2, v2
	s_waitcnt lgkmcnt(0)
	s_barrier
	s_and_saveexec_b64 s[0:1], vcc
	s_cbranch_execz .LBB1020_337
; %bb.336:
	ds_read_b32 v96, v30
	v_and_b32_e32 v97, 7, v29
	v_cmp_ne_u32_e32 vcc, 0, v97
	s_waitcnt lgkmcnt(0)
	v_mov_b32_dpp v98, v96 row_shr:1 row_mask:0xf bank_mask:0xf
	v_cndmask_b32_e32 v98, 0, v98, vcc
	v_add_u32_e32 v96, v98, v96
	v_cmp_lt_u32_e32 vcc, 1, v97
	s_nop 0
	v_mov_b32_dpp v98, v96 row_shr:2 row_mask:0xf bank_mask:0xf
	v_cndmask_b32_e32 v98, 0, v98, vcc
	v_add_u32_e32 v96, v96, v98
	v_cmp_lt_u32_e32 vcc, 3, v97
	s_nop 0
	v_mov_b32_dpp v98, v96 row_shr:4 row_mask:0xf bank_mask:0xf
	v_cndmask_b32_e32 v97, 0, v98, vcc
	v_add_u32_e32 v96, v96, v97
	ds_write_b32 v30, v96
.LBB1020_337:
	s_or_b64 exec, exec, s[0:1]
	v_cmp_gt_u32_e64 s[0:1], 64, v2
	v_cmp_lt_u32_e32 vcc, 63, v2
	v_mov_b32_e32 v96, 0
	s_waitcnt lgkmcnt(0)
	s_barrier
	s_and_saveexec_b64 s[4:5], vcc
; %bb.338:
	v_lshl_add_u32 v95, v95, 2, -4
	ds_read_b32 v96, v95
; %bb.339:
	s_or_b64 exec, exec, s[4:5]
	v_subrev_co_u32_e64 v95, s[4:5], 1, v29
	v_and_b32_e32 v97, 64, v29
	v_cmp_lt_i32_e64 s[6:7], v95, v97
	s_waitcnt lgkmcnt(0)
	v_add_u32_e32 v1, v96, v1
	v_cndmask_b32_e64 v29, v95, v29, s[6:7]
	v_lshlrev_b32_e32 v29, 2, v29
	ds_bpermute_b32 v1, v29, v1
                                        ; implicit-def: $vgpr29
	s_waitcnt lgkmcnt(0)
	v_cndmask_b32_e64 v1, v1, v96, s[4:5]
	v_cmp_ne_u32_e64 s[4:5], 0, v2
	s_nop 1
	v_cndmask_b32_e64 v96, 0, v1, s[4:5]
	v_add_u32_e32 v97, v96, v0
	ds_write_b64 v31, v[96:97] offset:32
	s_waitcnt lgkmcnt(0)
	s_barrier
	ds_read_b32 v0, v34 offset:32
	ds_read_b32 v1, v38 offset:32
	;; [unrolled: 1-line block ×22, first 2 shown]
                                        ; implicit-def: $vgpr31
	s_and_saveexec_b64 s[6:7], s[0:1]
	s_cbranch_execz .LBB1020_343
; %bb.340:
	v_mul_u32_u24_e32 v29, 36, v2
	ds_read_b32 v29, v29 offset:32
	v_add_u32_e32 v37, 1, v2
	v_cmp_ne_u32_e64 s[4:5], 64, v37
	v_mov_b32_e32 v31, 0x2c00
	s_and_saveexec_b64 s[14:15], s[4:5]
; %bb.341:
	v_mul_u32_u24_e32 v31, 36, v37
	ds_read_b32 v31, v31 offset:32
; %bb.342:
	s_or_b64 exec, exec, s[14:15]
	s_waitcnt lgkmcnt(0)
	v_sub_u32_e32 v31, v31, v29
.LBB1020_343:
	s_or_b64 exec, exec, s[6:7]
	s_waitcnt lgkmcnt(14)
	v_add_u32_e32 v62, v0, v32
	v_add3_u32 v59, v35, v33, v1
	v_add3_u32 v56, v39, v36, v34
	;; [unrolled: 1-line block ×7, first 2 shown]
	v_lshlrev_b32_e32 v54, 1, v62
	v_lshlrev_b32_e32 v52, 1, v59
	;; [unrolled: 1-line block ×4, first 2 shown]
	s_waitcnt lgkmcnt(13)
	v_add3_u32 v45, v57, v55, v96
	s_waitcnt lgkmcnt(12)
	v_add3_u32 v44, v60, v58, v97
	s_waitcnt lgkmcnt(0)
	s_barrier
	ds_write_b16 v54, v3 offset:256
	ds_write_b16 v52, v28 offset:256
	ds_write_b16 v51, v27 offset:256
	ds_write_b16 v49, v26 offset:256
	v_lshlrev_b32_e32 v28, 1, v50
	v_lshlrev_b32_e32 v27, 1, v48
	;; [unrolled: 1-line block ×3, first 2 shown]
	v_add3_u32 v43, v63, v61, v65
	v_add3_u32 v42, v66, v64, v68
	;; [unrolled: 1-line block ×3, first 2 shown]
	ds_write_b16 v28, v25 offset:256
	ds_write_b16 v27, v24 offset:256
	;; [unrolled: 1-line block ×3, first 2 shown]
	v_lshlrev_b32_e32 v25, 1, v46
	v_lshlrev_b32_e32 v24, 1, v45
	;; [unrolled: 1-line block ×3, first 2 shown]
	v_add3_u32 v40, v72, v70, v74
	v_add3_u32 v39, v75, v73, v77
	;; [unrolled: 1-line block ×3, first 2 shown]
	ds_write_b16 v25, v22 offset:256
	ds_write_b16 v24, v21 offset:256
	;; [unrolled: 1-line block ×3, first 2 shown]
	v_lshlrev_b32_e32 v22, 1, v43
	v_lshlrev_b32_e32 v21, 1, v42
	;; [unrolled: 1-line block ×3, first 2 shown]
	v_add3_u32 v37, v81, v79, v83
	v_add3_u32 v36, v84, v82, v86
	ds_write_b16 v22, v19 offset:256
	ds_write_b16 v21, v18 offset:256
	;; [unrolled: 1-line block ×3, first 2 shown]
	v_lshlrev_b32_e32 v19, 1, v40
	v_lshlrev_b32_e32 v18, 1, v39
	;; [unrolled: 1-line block ×3, first 2 shown]
	v_add3_u32 v35, v87, v85, v89
	v_add3_u32 v34, v90, v88, v92
	;; [unrolled: 1-line block ×4, first 2 shown]
	ds_write_b16 v19, v16 offset:256
	ds_write_b16 v18, v14 offset:256
	;; [unrolled: 1-line block ×3, first 2 shown]
	v_lshlrev_b32_e32 v16, 1, v37
	v_lshlrev_b32_e32 v15, 1, v36
	ds_write_b16 v16, v13 offset:256
	ds_write_b16 v15, v12 offset:256
	v_lshlrev_b32_e32 v14, 1, v35
	v_lshlrev_b32_e32 v13, 1, v34
	;; [unrolled: 1-line block ×4, first 2 shown]
	v_mov_b32_e32 v1, 0
	ds_write_b16 v14, v11 offset:256
	ds_write_b16 v13, v10 offset:256
	;; [unrolled: 1-line block ×4, first 2 shown]
	s_and_saveexec_b64 s[4:5], s[0:1]
	s_cbranch_execz .LBB1020_353
; %bb.344:
	v_lshl_add_u32 v0, s2, 6, v2
	v_lshl_add_u64 v[8:9], v[0:1], 2, s[12:13]
	v_or_b32_e32 v0, 2.0, v31
	s_mov_b64 s[6:7], 0
	s_brev_b32 s18, -4
	s_mov_b32 s19, s2
	v_mov_b32_e32 v5, 0
	global_store_dword v[8:9], v0, off sc1
                                        ; implicit-def: $sgpr0_sgpr1
	s_branch .LBB1020_347
.LBB1020_345:                           ;   in Loop: Header=BB1020_347 Depth=1
	s_or_b64 exec, exec, s[16:17]
.LBB1020_346:                           ;   in Loop: Header=BB1020_347 Depth=1
	s_or_b64 exec, exec, s[14:15]
	v_and_b32_e32 v7, 0x3fffffff, v0
	v_add_u32_e32 v5, v7, v5
	v_cmp_gt_i32_e64 s[0:1], -2.0, v0
	s_and_b64 s[14:15], exec, s[0:1]
	s_or_b64 s[6:7], s[14:15], s[6:7]
	s_andn2_b64 exec, exec, s[6:7]
	s_cbranch_execz .LBB1020_352
.LBB1020_347:                           ; =>This Loop Header: Depth=1
                                        ;     Child Loop BB1020_350 Depth 2
	s_or_b64 s[0:1], s[0:1], exec
	s_cmp_eq_u32 s19, 0
	s_cbranch_scc1 .LBB1020_351
; %bb.348:                              ;   in Loop: Header=BB1020_347 Depth=1
	s_add_i32 s19, s19, -1
	v_lshl_or_b32 v0, s19, 6, v2
	v_lshl_add_u64 v[10:11], v[0:1], 2, s[12:13]
	global_load_dword v0, v[10:11], off sc1
	s_waitcnt vmcnt(0)
	v_cmp_gt_u32_e64 s[0:1], 2.0, v0
	s_and_saveexec_b64 s[14:15], s[0:1]
	s_cbranch_execz .LBB1020_346
; %bb.349:                              ;   in Loop: Header=BB1020_347 Depth=1
	s_mov_b64 s[16:17], 0
.LBB1020_350:                           ;   Parent Loop BB1020_347 Depth=1
                                        ; =>  This Inner Loop Header: Depth=2
	global_load_dword v0, v[10:11], off sc1
	s_waitcnt vmcnt(0)
	v_cmp_lt_u32_e64 s[0:1], s18, v0
	s_or_b64 s[16:17], s[0:1], s[16:17]
	s_andn2_b64 exec, exec, s[16:17]
	s_cbranch_execnz .LBB1020_350
	s_branch .LBB1020_345
.LBB1020_351:                           ;   in Loop: Header=BB1020_347 Depth=1
                                        ; implicit-def: $sgpr19
	s_and_b64 s[14:15], exec, s[0:1]
	s_or_b64 s[6:7], s[14:15], s[6:7]
	s_andn2_b64 exec, exec, s[6:7]
	s_cbranch_execnz .LBB1020_347
.LBB1020_352:
	s_or_b64 exec, exec, s[6:7]
	v_add_u32_e32 v0, v5, v31
	v_or_b32_e32 v0, 0x80000000, v0
	v_readlane_b32 s12, v118, 0
	global_store_dword v[8:9], v0, off sc1
	v_readlane_b32 s13, v118, 1
	v_sub_u32_e32 v1, v5, v29
	v_readlane_b32 s14, v118, 2
	v_readlane_b32 s15, v118, 3
	s_nop 1
	global_load_dword v0, v30, s[12:13]
	s_waitcnt vmcnt(0)
	v_add_u32_e32 v0, v1, v0
	ds_write_b32 v30, v0
.LBB1020_353:
	s_or_b64 exec, exec, s[4:5]
	v_lshlrev_b32_e32 v0, 1, v2
	v_sub_u32_e32 v5, v30, v0
	s_waitcnt lgkmcnt(0)
	s_barrier
	ds_read_u16 v7, v5 offset:10496
	ds_read_u16 v78, v5 offset:11520
	;; [unrolled: 1-line block ×12, first 2 shown]
	s_waitcnt lgkmcnt(8)
	v_lshrrev_b32_sdwa v1, s8, v82 dst_sel:DWORD dst_unused:UNUSED_PAD src0_sel:DWORD src1_sel:WORD_0
	s_waitcnt lgkmcnt(5)
	v_lshrrev_b32_sdwa v8, s8, v86 dst_sel:DWORD dst_unused:UNUSED_PAD src0_sel:DWORD src1_sel:WORD_0
	v_and_b32_e32 v1, s9, v1
	s_waitcnt lgkmcnt(3)
	v_lshrrev_b32_sdwa v9, s8, v100 dst_sel:DWORD dst_unused:UNUSED_PAD src0_sel:DWORD src1_sel:WORD_0
	v_and_b32_e32 v9, s9, v9
	v_lshlrev_b32_e32 v55, 2, v9
	s_waitcnt lgkmcnt(2)
	v_lshrrev_b32_sdwa v9, s8, v101 dst_sel:DWORD dst_unused:UNUSED_PAD src0_sel:DWORD src1_sel:WORD_0
	v_and_b32_e32 v9, s9, v9
	v_lshlrev_b32_e32 v11, 2, v9
	;; [unrolled: 4-line block ×3, first 2 shown]
	s_waitcnt lgkmcnt(0)
	v_lshrrev_b32_sdwa v9, s8, v103 dst_sel:DWORD dst_unused:UNUSED_PAD src0_sel:DWORD src1_sel:WORD_0
	v_and_b32_e32 v8, s9, v8
	v_and_b32_e32 v9, s9, v9
	v_lshlrev_b32_e32 v1, 2, v1
	v_lshlrev_b32_e32 v8, 2, v8
	;; [unrolled: 1-line block ×3, first 2 shown]
	ds_read_u16 v57, v5 offset:256
	ds_read_u16 v58, v5 offset:1280
	ds_read_b32 v98, v1
	ds_read_b32 v99, v8
	;; [unrolled: 1-line block ×6, first 2 shown]
	s_waitcnt lgkmcnt(7)
	v_lshrrev_b32_sdwa v60, s8, v57 dst_sel:DWORD dst_unused:UNUSED_PAD src0_sel:DWORD src1_sel:WORD_0
	v_and_b32_e32 v60, s9, v60
	v_lshlrev_b32_e32 v95, 2, v60
	s_waitcnt lgkmcnt(6)
	v_lshrrev_b32_sdwa v60, s8, v58 dst_sel:DWORD dst_unused:UNUSED_PAD src0_sel:DWORD src1_sel:WORD_0
	v_and_b32_e32 v60, s9, v60
	v_lshlrev_b32_e32 v92, 2, v60
	ds_read_u16 v63, v5 offset:2304
	ds_read_u16 v64, v5 offset:3328
	;; [unrolled: 1-line block ×8, first 2 shown]
	s_waitcnt lgkmcnt(7)
	v_lshrrev_b32_sdwa v60, s8, v63 dst_sel:DWORD dst_unused:UNUSED_PAD src0_sel:DWORD src1_sel:WORD_0
	v_and_b32_e32 v60, s9, v60
	v_lshlrev_b32_e32 v94, 2, v60
	s_waitcnt lgkmcnt(6)
	v_lshrrev_b32_sdwa v60, s8, v64 dst_sel:DWORD dst_unused:UNUSED_PAD src0_sel:DWORD src1_sel:WORD_0
	v_and_b32_e32 v60, s9, v60
	v_lshlrev_b32_e32 v93, 2, v60
	s_waitcnt lgkmcnt(5)
	v_lshrrev_b32_sdwa v60, s8, v67 dst_sel:DWORD dst_unused:UNUSED_PAD src0_sel:DWORD src1_sel:WORD_0
	v_and_b32_e32 v60, s9, v60
	v_lshlrev_b32_e32 v91, 2, v60
	s_waitcnt lgkmcnt(4)
	v_lshrrev_b32_sdwa v60, s8, v70 dst_sel:DWORD dst_unused:UNUSED_PAD src0_sel:DWORD src1_sel:WORD_0
	v_and_b32_e32 v60, s9, v60
	v_lshlrev_b32_e32 v90, 2, v60
	s_waitcnt lgkmcnt(3)
	v_lshrrev_b32_sdwa v60, s8, v71 dst_sel:DWORD dst_unused:UNUSED_PAD src0_sel:DWORD src1_sel:WORD_0
	v_and_b32_e32 v60, s9, v60
	v_lshlrev_b32_e32 v89, 2, v60
	s_waitcnt lgkmcnt(2)
	v_lshrrev_b32_sdwa v60, s8, v72 dst_sel:DWORD dst_unused:UNUSED_PAD src0_sel:DWORD src1_sel:WORD_0
	v_and_b32_e32 v60, s9, v60
	v_lshlrev_b32_e32 v88, 2, v60
	ds_read_b32 v60, v95
	ds_read_b32 v66, v92
	;; [unrolled: 1-line block ×8, first 2 shown]
	s_waitcnt lgkmcnt(7)
	v_add_u32_e32 v96, v60, v2
	v_mov_b32_e32 v97, 0
	v_add_u32_e32 v65, 0x200, v2
	v_lshl_add_u64 v[60:61], v[96:97], 1, s[94:95]
	s_waitcnt lgkmcnt(6)
	v_add_u32_e32 v96, v66, v65
	global_store_short v[60:61], v57, off
	v_lshl_add_u64 v[60:61], v[96:97], 1, s[94:95]
	v_or_b32_e32 v66, 0x400, v2
	global_store_short v[60:61], v58, off
	s_waitcnt lgkmcnt(5)
	v_add_u32_e32 v96, v68, v66
	v_add_u32_e32 v58, 0x600, v2
	v_lshl_add_u64 v[60:61], v[96:97], 1, s[94:95]
	s_waitcnt lgkmcnt(4)
	v_add_u32_e32 v96, v69, v58
	global_store_short v[60:61], v63, off
	v_lshl_add_u64 v[60:61], v[96:97], 1, s[94:95]
	global_store_short v[60:61], v64, off
	v_or_b32_e32 v60, 0x800, v2
	s_waitcnt lgkmcnt(3)
	v_add_u32_e32 v96, v73, v60
	v_add_u32_e32 v61, 0xa00, v2
	v_lshl_add_u64 v[68:69], v[96:97], 1, s[94:95]
	s_waitcnt lgkmcnt(2)
	v_add_u32_e32 v96, v74, v61
	v_or_b32_e32 v63, 0xc00, v2
	global_store_short v[68:69], v67, off
	v_lshl_add_u64 v[68:69], v[96:97], 1, s[94:95]
	s_waitcnt lgkmcnt(1)
	v_add_u32_e32 v96, v76, v63
	v_add_u32_e32 v64, 0xe00, v2
	global_store_short v[68:69], v70, off
	v_lshl_add_u64 v[68:69], v[96:97], 1, s[94:95]
	s_waitcnt lgkmcnt(0)
	v_add_u32_e32 v96, v77, v64
	global_store_short v[68:69], v71, off
	v_lshl_add_u64 v[68:69], v[96:97], 1, s[94:95]
	v_lshrrev_b32_sdwa v67, s8, v75 dst_sel:DWORD dst_unused:UNUSED_PAD src0_sel:DWORD src1_sel:WORD_0
	global_store_short v[68:69], v72, off
	v_and_b32_e32 v67, s9, v67
	v_lshrrev_b32_sdwa v68, s8, v5 dst_sel:DWORD dst_unused:UNUSED_PAD src0_sel:DWORD src1_sel:WORD_0
	v_lshrrev_b32_sdwa v69, s8, v7 dst_sel:DWORD dst_unused:UNUSED_PAD src0_sel:DWORD src1_sel:WORD_0
	;; [unrolled: 1-line block ×7, first 2 shown]
	v_or_b32_e32 v57, 0x1000, v2
	v_lshlrev_b32_e32 v67, 2, v67
	v_and_b32_e32 v68, s9, v68
	v_and_b32_e32 v69, s9, v69
	;; [unrolled: 1-line block ×7, first 2 shown]
	v_lshlrev_b32_e32 v68, 2, v68
	v_lshlrev_b32_e32 v69, 2, v69
	;; [unrolled: 1-line block ×7, first 2 shown]
	ds_read_b32 v76, v67
	ds_read_b32 v79, v68
	;; [unrolled: 1-line block ×8, first 2 shown]
	s_waitcnt lgkmcnt(7)
	v_add_u32_e32 v96, v76, v57
	v_add_u32_e32 v83, 0x1200, v2
	v_lshl_add_u64 v[76:77], v[96:97], 1, s[94:95]
	s_waitcnt lgkmcnt(6)
	v_add_u32_e32 v96, v79, v83
	v_or_b32_e32 v87, 0x1400, v2
	global_store_short v[76:77], v75, off
	v_lshl_add_u64 v[76:77], v[96:97], 1, s[94:95]
	s_waitcnt lgkmcnt(5)
	v_add_u32_e32 v96, v108, v87
	v_add_u32_e32 v75, 0x1600, v2
	global_store_short v[76:77], v5, off
	v_lshl_add_u64 v[76:77], v[96:97], 1, s[94:95]
	s_waitcnt lgkmcnt(4)
	v_add_u32_e32 v96, v109, v75
	global_store_short v[76:77], v7, off
	v_lshl_add_u64 v[76:77], v[96:97], 1, s[94:95]
	global_store_short v[76:77], v78, off
	v_or_b32_e32 v76, 0x1800, v2
	s_waitcnt lgkmcnt(3)
	v_add_u32_e32 v96, v110, v76
	v_add_u32_e32 v77, 0x1a00, v2
	v_lshl_add_u64 v[78:79], v[96:97], 1, s[94:95]
	s_waitcnt lgkmcnt(2)
	v_add_u32_e32 v96, v111, v77
	global_store_short v[78:79], v80, off
	v_lshl_add_u64 v[78:79], v[96:97], 1, s[94:95]
	global_store_short v[78:79], v81, off
	v_or_b32_e32 v78, 0x1c00, v2
	s_waitcnt lgkmcnt(1)
	v_add_u32_e32 v96, v112, v78
	v_add_u32_e32 v79, 0x1e00, v2
	v_lshl_add_u64 v[80:81], v[96:97], 1, s[94:95]
	s_waitcnt lgkmcnt(0)
	v_add_u32_e32 v96, v113, v79
	global_store_short v[80:81], v84, off
	v_lshl_add_u64 v[80:81], v[96:97], 1, s[94:95]
	global_store_short v[80:81], v85, off
	v_or_b32_e32 v81, 0x2000, v2
	v_add_u32_e32 v96, v98, v81
	v_lshl_add_u64 v[84:85], v[96:97], 1, s[94:95]
	global_store_short v[84:85], v82, off
	v_add_u32_e32 v84, 0x2200, v2
	v_add_u32_e32 v96, v99, v84
	v_or_b32_e32 v85, 0x2400, v2
	v_lshl_add_u64 v[98:99], v[96:97], 1, s[94:95]
	v_add_u32_e32 v96, v104, v85
	v_add_u32_e32 v80, 0x2600, v2
	global_store_short v[98:99], v86, off
	v_lshl_add_u64 v[98:99], v[96:97], 1, s[94:95]
	v_add_u32_e32 v96, v105, v80
	v_or_b32_e32 v82, 0x2800, v2
	global_store_short v[98:99], v100, off
	v_lshl_add_u64 v[98:99], v[96:97], 1, s[94:95]
	v_add_u32_e32 v96, v106, v82
	v_add_u32_e32 v86, 0x2a00, v2
	s_add_u32 s0, s96, s10
	global_store_short v[98:99], v101, off
	v_lshl_add_u64 v[98:99], v[96:97], 1, s[94:95]
	v_add_u32_e32 v96, v107, v86
	s_addc_u32 s1, s97, s11
	v_mov_b32_e32 v5, v97
	global_store_short v[98:99], v102, off
	v_lshl_add_u64 v[98:99], v[96:97], 1, s[94:95]
	v_lshl_add_u64 v[4:5], s[0:1], 0, v[4:5]
	v_mov_b32_e32 v7, v97
	global_store_short v[98:99], v103, off
	v_lshl_add_u64 v[114:115], v[4:5], 0, v[6:7]
	global_load_ushort v113, v[114:115], off
	global_load_ushort v112, v[114:115], off offset:128
	global_load_ushort v111, v[114:115], off offset:256
	;; [unrolled: 1-line block ×21, first 2 shown]
	s_movk_i32 s6, 0x2c00
	v_cmp_gt_u32_e64 s[0:1], s6, v62
	s_barrier
	s_and_saveexec_b64 s[4:5], s[0:1]
	s_cbranch_execz .LBB1020_380
; %bb.354:
	s_waitcnt vmcnt(21)
	ds_write_b16 v54, v113 offset:256
	s_or_b64 exec, exec, s[4:5]
	v_cmp_gt_u32_e64 s[0:1], s6, v59
	s_and_saveexec_b64 s[4:5], s[0:1]
	s_cbranch_execnz .LBB1020_381
.LBB1020_355:
	s_or_b64 exec, exec, s[4:5]
	v_cmp_gt_u32_e64 s[0:1], s6, v56
	s_and_saveexec_b64 s[4:5], s[0:1]
	s_cbranch_execz .LBB1020_382
.LBB1020_356:
	s_waitcnt vmcnt(19)
	ds_write_b16 v51, v111 offset:256
	s_or_b64 exec, exec, s[4:5]
	v_cmp_gt_u32_e64 s[0:1], s6, v53
	s_and_saveexec_b64 s[4:5], s[0:1]
	s_cbranch_execnz .LBB1020_383
.LBB1020_357:
	s_or_b64 exec, exec, s[4:5]
	v_cmp_gt_u32_e64 s[0:1], s6, v50
	s_and_saveexec_b64 s[4:5], s[0:1]
	s_cbranch_execz .LBB1020_384
.LBB1020_358:
	s_waitcnt vmcnt(17)
	ds_write_b16 v28, v109 offset:256
	s_or_b64 exec, exec, s[4:5]
	v_cmp_gt_u32_e64 s[0:1], s6, v48
	s_and_saveexec_b64 s[4:5], s[0:1]
	s_cbranch_execnz .LBB1020_385
.LBB1020_359:
	s_or_b64 exec, exec, s[4:5]
	v_cmp_gt_u32_e64 s[0:1], s6, v47
	s_and_saveexec_b64 s[4:5], s[0:1]
	s_cbranch_execz .LBB1020_386
.LBB1020_360:
	s_waitcnt vmcnt(15)
	ds_write_b16 v26, v107 offset:256
	s_or_b64 exec, exec, s[4:5]
	v_cmp_gt_u32_e64 s[0:1], s6, v46
	s_and_saveexec_b64 s[4:5], s[0:1]
	s_cbranch_execnz .LBB1020_387
.LBB1020_361:
	s_or_b64 exec, exec, s[4:5]
	v_cmp_gt_u32_e64 s[0:1], s6, v45
	s_and_saveexec_b64 s[4:5], s[0:1]
	s_cbranch_execz .LBB1020_388
.LBB1020_362:
	s_waitcnt vmcnt(13)
	ds_write_b16 v24, v105 offset:256
	s_or_b64 exec, exec, s[4:5]
	v_cmp_gt_u32_e64 s[0:1], s6, v44
	s_and_saveexec_b64 s[4:5], s[0:1]
	s_cbranch_execnz .LBB1020_389
.LBB1020_363:
	s_or_b64 exec, exec, s[4:5]
	v_cmp_gt_u32_e64 s[0:1], s6, v43
	s_and_saveexec_b64 s[4:5], s[0:1]
	s_cbranch_execz .LBB1020_390
.LBB1020_364:
	s_waitcnt vmcnt(11)
	ds_write_b16 v22, v103 offset:256
	s_or_b64 exec, exec, s[4:5]
	v_cmp_gt_u32_e64 s[0:1], s6, v42
	s_and_saveexec_b64 s[4:5], s[0:1]
	s_cbranch_execnz .LBB1020_391
.LBB1020_365:
	s_or_b64 exec, exec, s[4:5]
	v_cmp_gt_u32_e64 s[0:1], s6, v41
	s_and_saveexec_b64 s[4:5], s[0:1]
	s_cbranch_execz .LBB1020_392
.LBB1020_366:
	s_waitcnt vmcnt(9)
	ds_write_b16 v20, v101 offset:256
	s_or_b64 exec, exec, s[4:5]
	v_cmp_gt_u32_e64 s[0:1], s6, v40
	s_and_saveexec_b64 s[4:5], s[0:1]
	s_cbranch_execnz .LBB1020_393
.LBB1020_367:
	s_or_b64 exec, exec, s[4:5]
	v_cmp_gt_u32_e64 s[0:1], s6, v39
	s_and_saveexec_b64 s[4:5], s[0:1]
	s_cbranch_execz .LBB1020_394
.LBB1020_368:
	s_waitcnt vmcnt(7)
	ds_write_b16 v18, v99 offset:256
	s_or_b64 exec, exec, s[4:5]
	v_cmp_gt_u32_e64 s[0:1], s6, v38
	s_and_saveexec_b64 s[4:5], s[0:1]
	s_cbranch_execnz .LBB1020_395
.LBB1020_369:
	s_or_b64 exec, exec, s[4:5]
	v_cmp_gt_u32_e64 s[0:1], s6, v37
	s_and_saveexec_b64 s[4:5], s[0:1]
	s_cbranch_execz .LBB1020_396
.LBB1020_370:
	s_waitcnt vmcnt(5)
	ds_write_b16 v16, v97 offset:256
	s_or_b64 exec, exec, s[4:5]
	v_cmp_gt_u32_e64 s[0:1], s6, v36
	s_and_saveexec_b64 s[4:5], s[0:1]
	s_cbranch_execnz .LBB1020_397
.LBB1020_371:
	s_or_b64 exec, exec, s[4:5]
	v_cmp_gt_u32_e64 s[0:1], s6, v35
	s_and_saveexec_b64 s[4:5], s[0:1]
	s_cbranch_execz .LBB1020_398
.LBB1020_372:
	s_waitcnt vmcnt(3)
	ds_write_b16 v14, v7 offset:256
	s_or_b64 exec, exec, s[4:5]
	v_cmp_gt_u32_e64 s[0:1], s6, v34
	s_and_saveexec_b64 s[4:5], s[0:1]
	s_cbranch_execnz .LBB1020_399
.LBB1020_373:
	s_or_b64 exec, exec, s[4:5]
	v_cmp_gt_u32_e64 s[0:1], s6, v33
	s_and_saveexec_b64 s[4:5], s[0:1]
	s_cbranch_execz .LBB1020_375
.LBB1020_374:
	s_waitcnt vmcnt(1)
	ds_write_b16 v12, v5 offset:256
.LBB1020_375:
	s_or_b64 exec, exec, s[4:5]
	v_sub_u32_e32 v0, 0, v0
	v_cmp_gt_u32_e64 s[0:1], s6, v32
	s_and_saveexec_b64 s[4:5], s[0:1]
	s_cbranch_execz .LBB1020_377
; %bb.376:
	s_waitcnt vmcnt(0)
	ds_write_b16 v3, v4 offset:256
.LBB1020_377:
	s_or_b64 exec, exec, s[4:5]
	s_waitcnt lgkmcnt(0)
	s_barrier
	s_waitcnt vmcnt(2)
	v_add_u32_e32 v6, v30, v0
	ds_read_b32 v0, v95
	ds_read_b32 v7, v92
	;; [unrolled: 1-line block ×8, first 2 shown]
	s_waitcnt lgkmcnt(7)
	v_add_u32_e32 v2, v0, v2
	v_mov_b32_e32 v3, 0
	s_waitcnt vmcnt(0)
	v_lshl_add_u64 v[4:5], v[2:3], 1, s[98:99]
	ds_read_u16 v0, v6 offset:256
	ds_read_u16 v18, v6 offset:1280
	ds_read_b32 v19, v1
	ds_read_b32 v8, v8
	;; [unrolled: 1-line block ×6, first 2 shown]
	s_waitcnt lgkmcnt(14)
	v_add_u32_e32 v2, v7, v65
	s_waitcnt lgkmcnt(7)
	global_store_short v[4:5], v0, off
	v_lshl_add_u64 v[0:1], v[2:3], 1, s[98:99]
	s_waitcnt lgkmcnt(6)
	global_store_short v[0:1], v18, off
	v_add_u32_e32 v2, v12, v66
	v_lshl_add_u64 v[0:1], v[2:3], 1, s[98:99]
	ds_read_u16 v2, v6 offset:2304
	ds_read_u16 v4, v6 offset:3328
	;; [unrolled: 1-line block ×8, first 2 shown]
	s_waitcnt lgkmcnt(7)
	global_store_short v[0:1], v2, off
	v_add_u32_e32 v2, v13, v58
	v_lshl_add_u64 v[0:1], v[2:3], 1, s[98:99]
	v_add_u32_e32 v2, v14, v60
	s_waitcnt lgkmcnt(6)
	global_store_short v[0:1], v4, off
	v_lshl_add_u64 v[0:1], v[2:3], 1, s[98:99]
	v_add_u32_e32 v2, v15, v61
	s_waitcnt lgkmcnt(5)
	global_store_short v[0:1], v5, off
	;; [unrolled: 4-line block ×4, first 2 shown]
	v_lshl_add_u64 v[0:1], v[2:3], 1, s[98:99]
	s_waitcnt lgkmcnt(2)
	global_store_short v[0:1], v18, off
	ds_read_b32 v0, v67
	ds_read_b32 v4, v68
	;; [unrolled: 1-line block ×8, first 2 shown]
	s_waitcnt lgkmcnt(7)
	v_add_u32_e32 v2, v0, v57
	v_lshl_add_u64 v[0:1], v[2:3], 1, s[98:99]
	s_waitcnt lgkmcnt(6)
	v_add_u32_e32 v2, v4, v83
	global_store_short v[0:1], v21, off
	v_lshl_add_u64 v[0:1], v[2:3], 1, s[98:99]
	global_store_short v[0:1], v22, off
	s_waitcnt lgkmcnt(5)
	v_add_u32_e32 v2, v5, v87
	v_lshl_add_u64 v[0:1], v[2:3], 1, s[98:99]
	ds_read_u16 v2, v6 offset:10496
	ds_read_u16 v4, v6 offset:11520
	;; [unrolled: 1-line block ×8, first 2 shown]
	s_waitcnt lgkmcnt(7)
	global_store_short v[0:1], v2, off
	v_add_u32_e32 v2, v7, v75
	v_lshl_add_u64 v[0:1], v[2:3], 1, s[98:99]
	v_add_u32_e32 v2, v12, v76
	s_waitcnt lgkmcnt(6)
	global_store_short v[0:1], v4, off
	v_lshl_add_u64 v[0:1], v[2:3], 1, s[98:99]
	v_add_u32_e32 v2, v13, v77
	s_waitcnt lgkmcnt(5)
	global_store_short v[0:1], v5, off
	;; [unrolled: 4-line block ×5, first 2 shown]
	v_lshl_add_u64 v[0:1], v[2:3], 1, s[98:99]
	v_add_u32_e32 v2, v8, v84
	ds_read_u16 v4, v6 offset:18688
	s_waitcnt lgkmcnt(2)
	global_store_short v[0:1], v21, off
	v_lshl_add_u64 v[0:1], v[2:3], 1, s[98:99]
	s_waitcnt lgkmcnt(1)
	global_store_short v[0:1], v22, off
	v_add_u32_e32 v2, v20, v85
	ds_read_u16 v5, v6 offset:19712
	ds_read_u16 v7, v6 offset:20736
	;; [unrolled: 1-line block ×3, first 2 shown]
	v_lshl_add_u64 v[0:1], v[2:3], 1, s[98:99]
	v_add_u32_e32 v2, v11, v80
	s_add_i32 s3, s3, -1
	s_waitcnt lgkmcnt(3)
	global_store_short v[0:1], v4, off
	v_lshl_add_u64 v[0:1], v[2:3], 1, s[98:99]
	v_add_u32_e32 v2, v10, v82
	s_cmp_eq_u32 s2, s3
	s_waitcnt lgkmcnt(2)
	global_store_short v[0:1], v5, off
	v_lshl_add_u64 v[0:1], v[2:3], 1, s[98:99]
	v_add_u32_e32 v2, v9, v86
	s_cselect_b64 s[0:1], -1, 0
	s_xor_b64 s[2:3], vcc, -1
	s_waitcnt lgkmcnt(1)
	global_store_short v[0:1], v7, off
	v_lshl_add_u64 v[0:1], v[2:3], 1, s[98:99]
	s_and_b64 s[0:1], s[2:3], s[0:1]
	s_waitcnt lgkmcnt(0)
	global_store_short v[0:1], v6, off
	s_and_saveexec_b64 s[2:3], s[0:1]
	s_cbranch_execz .LBB1020_379
; %bb.378:
	ds_read_b32 v0, v30
	v_readlane_b32 s0, v118, 0
	v_readlane_b32 s2, v118, 2
	;; [unrolled: 1-line block ×4, first 2 shown]
	s_waitcnt lgkmcnt(0)
	v_add3_u32 v0, v29, v31, v0
	s_nop 1
	global_store_dword v30, v0, s[2:3]
.LBB1020_379:
	s_endpgm
.LBB1020_380:
	s_or_b64 exec, exec, s[4:5]
	v_cmp_gt_u32_e64 s[0:1], s6, v59
	s_and_saveexec_b64 s[4:5], s[0:1]
	s_cbranch_execz .LBB1020_355
.LBB1020_381:
	s_waitcnt vmcnt(20)
	ds_write_b16 v52, v112 offset:256
	s_or_b64 exec, exec, s[4:5]
	v_cmp_gt_u32_e64 s[0:1], s6, v56
	s_and_saveexec_b64 s[4:5], s[0:1]
	s_cbranch_execnz .LBB1020_356
.LBB1020_382:
	s_or_b64 exec, exec, s[4:5]
	v_cmp_gt_u32_e64 s[0:1], s6, v53
	s_and_saveexec_b64 s[4:5], s[0:1]
	s_cbranch_execz .LBB1020_357
.LBB1020_383:
	s_waitcnt vmcnt(18)
	ds_write_b16 v49, v110 offset:256
	s_or_b64 exec, exec, s[4:5]
	v_cmp_gt_u32_e64 s[0:1], s6, v50
	s_and_saveexec_b64 s[4:5], s[0:1]
	s_cbranch_execnz .LBB1020_358
.LBB1020_384:
	s_or_b64 exec, exec, s[4:5]
	v_cmp_gt_u32_e64 s[0:1], s6, v48
	s_and_saveexec_b64 s[4:5], s[0:1]
	s_cbranch_execz .LBB1020_359
.LBB1020_385:
	s_waitcnt vmcnt(16)
	ds_write_b16 v27, v108 offset:256
	s_or_b64 exec, exec, s[4:5]
	v_cmp_gt_u32_e64 s[0:1], s6, v47
	s_and_saveexec_b64 s[4:5], s[0:1]
	s_cbranch_execnz .LBB1020_360
.LBB1020_386:
	s_or_b64 exec, exec, s[4:5]
	v_cmp_gt_u32_e64 s[0:1], s6, v46
	s_and_saveexec_b64 s[4:5], s[0:1]
	s_cbranch_execz .LBB1020_361
.LBB1020_387:
	s_waitcnt vmcnt(14)
	ds_write_b16 v25, v106 offset:256
	s_or_b64 exec, exec, s[4:5]
	v_cmp_gt_u32_e64 s[0:1], s6, v45
	s_and_saveexec_b64 s[4:5], s[0:1]
	s_cbranch_execnz .LBB1020_362
.LBB1020_388:
	s_or_b64 exec, exec, s[4:5]
	v_cmp_gt_u32_e64 s[0:1], s6, v44
	s_and_saveexec_b64 s[4:5], s[0:1]
	s_cbranch_execz .LBB1020_363
.LBB1020_389:
	s_waitcnt vmcnt(12)
	ds_write_b16 v23, v104 offset:256
	s_or_b64 exec, exec, s[4:5]
	v_cmp_gt_u32_e64 s[0:1], s6, v43
	s_and_saveexec_b64 s[4:5], s[0:1]
	s_cbranch_execnz .LBB1020_364
.LBB1020_390:
	s_or_b64 exec, exec, s[4:5]
	v_cmp_gt_u32_e64 s[0:1], s6, v42
	s_and_saveexec_b64 s[4:5], s[0:1]
	s_cbranch_execz .LBB1020_365
.LBB1020_391:
	s_waitcnt vmcnt(10)
	ds_write_b16 v21, v102 offset:256
	s_or_b64 exec, exec, s[4:5]
	v_cmp_gt_u32_e64 s[0:1], s6, v41
	s_and_saveexec_b64 s[4:5], s[0:1]
	s_cbranch_execnz .LBB1020_366
.LBB1020_392:
	s_or_b64 exec, exec, s[4:5]
	v_cmp_gt_u32_e64 s[0:1], s6, v40
	s_and_saveexec_b64 s[4:5], s[0:1]
	s_cbranch_execz .LBB1020_367
.LBB1020_393:
	s_waitcnt vmcnt(8)
	ds_write_b16 v19, v100 offset:256
	s_or_b64 exec, exec, s[4:5]
	v_cmp_gt_u32_e64 s[0:1], s6, v39
	s_and_saveexec_b64 s[4:5], s[0:1]
	s_cbranch_execnz .LBB1020_368
.LBB1020_394:
	s_or_b64 exec, exec, s[4:5]
	v_cmp_gt_u32_e64 s[0:1], s6, v38
	s_and_saveexec_b64 s[4:5], s[0:1]
	s_cbranch_execz .LBB1020_369
.LBB1020_395:
	s_waitcnt vmcnt(6)
	ds_write_b16 v17, v98 offset:256
	s_or_b64 exec, exec, s[4:5]
	v_cmp_gt_u32_e64 s[0:1], s6, v37
	s_and_saveexec_b64 s[4:5], s[0:1]
	s_cbranch_execnz .LBB1020_370
.LBB1020_396:
	s_or_b64 exec, exec, s[4:5]
	v_cmp_gt_u32_e64 s[0:1], s6, v36
	s_and_saveexec_b64 s[4:5], s[0:1]
	s_cbranch_execz .LBB1020_371
.LBB1020_397:
	s_waitcnt vmcnt(4)
	ds_write_b16 v15, v96 offset:256
	s_or_b64 exec, exec, s[4:5]
	v_cmp_gt_u32_e64 s[0:1], s6, v35
	s_and_saveexec_b64 s[4:5], s[0:1]
	s_cbranch_execnz .LBB1020_372
.LBB1020_398:
	s_or_b64 exec, exec, s[4:5]
	v_cmp_gt_u32_e64 s[0:1], s6, v34
	s_and_saveexec_b64 s[4:5], s[0:1]
	s_cbranch_execz .LBB1020_373
.LBB1020_399:
	s_waitcnt vmcnt(2)
	ds_write_b16 v13, v6 offset:256
	s_or_b64 exec, exec, s[4:5]
	v_cmp_gt_u32_e64 s[0:1], s6, v33
	s_and_saveexec_b64 s[4:5], s[0:1]
	s_cbranch_execnz .LBB1020_374
	s_branch .LBB1020_375
	.section	.rodata,"a",@progbits
	.p2align	6, 0x0
	.amdhsa_kernel _ZN7rocprim17ROCPRIM_400000_NS6detail17trampoline_kernelINS0_14default_configENS1_35radix_sort_onesweep_config_selectorIttEEZZNS1_29radix_sort_onesweep_iterationIS3_Lb0EN6thrust23THRUST_200600_302600_NS6detail15normal_iteratorINS8_10device_ptrItEEEESD_SD_SD_jNS0_19identity_decomposerENS1_16block_id_wrapperIjLb0EEEEE10hipError_tT1_PNSt15iterator_traitsISI_E10value_typeET2_T3_PNSJ_ISO_E10value_typeET4_T5_PST_SU_PNS1_23onesweep_lookback_stateEbbT6_jjT7_P12ihipStream_tbENKUlT_T0_SI_SN_E_clIPtSD_S15_SD_EEDaS11_S12_SI_SN_EUlS11_E_NS1_11comp_targetILNS1_3genE6ELNS1_11target_archE950ELNS1_3gpuE13ELNS1_3repE0EEENS1_47radix_sort_onesweep_sort_config_static_selectorELNS0_4arch9wavefront6targetE1EEEvSI_
		.amdhsa_group_segment_fixed_size 22792
		.amdhsa_private_segment_fixed_size 0
		.amdhsa_kernarg_size 344
		.amdhsa_user_sgpr_count 2
		.amdhsa_user_sgpr_dispatch_ptr 0
		.amdhsa_user_sgpr_queue_ptr 0
		.amdhsa_user_sgpr_kernarg_segment_ptr 1
		.amdhsa_user_sgpr_dispatch_id 0
		.amdhsa_user_sgpr_kernarg_preload_length 0
		.amdhsa_user_sgpr_kernarg_preload_offset 0
		.amdhsa_user_sgpr_private_segment_size 0
		.amdhsa_uses_dynamic_stack 0
		.amdhsa_enable_private_segment 0
		.amdhsa_system_sgpr_workgroup_id_x 1
		.amdhsa_system_sgpr_workgroup_id_y 0
		.amdhsa_system_sgpr_workgroup_id_z 0
		.amdhsa_system_sgpr_workgroup_info 0
		.amdhsa_system_vgpr_workitem_id 2
		.amdhsa_next_free_vgpr 119
		.amdhsa_next_free_sgpr 100
		.amdhsa_accum_offset 120
		.amdhsa_reserve_vcc 1
		.amdhsa_float_round_mode_32 0
		.amdhsa_float_round_mode_16_64 0
		.amdhsa_float_denorm_mode_32 3
		.amdhsa_float_denorm_mode_16_64 3
		.amdhsa_dx10_clamp 1
		.amdhsa_ieee_mode 1
		.amdhsa_fp16_overflow 0
		.amdhsa_tg_split 0
		.amdhsa_exception_fp_ieee_invalid_op 0
		.amdhsa_exception_fp_denorm_src 0
		.amdhsa_exception_fp_ieee_div_zero 0
		.amdhsa_exception_fp_ieee_overflow 0
		.amdhsa_exception_fp_ieee_underflow 0
		.amdhsa_exception_fp_ieee_inexact 0
		.amdhsa_exception_int_div_zero 0
	.end_amdhsa_kernel
	.section	.text._ZN7rocprim17ROCPRIM_400000_NS6detail17trampoline_kernelINS0_14default_configENS1_35radix_sort_onesweep_config_selectorIttEEZZNS1_29radix_sort_onesweep_iterationIS3_Lb0EN6thrust23THRUST_200600_302600_NS6detail15normal_iteratorINS8_10device_ptrItEEEESD_SD_SD_jNS0_19identity_decomposerENS1_16block_id_wrapperIjLb0EEEEE10hipError_tT1_PNSt15iterator_traitsISI_E10value_typeET2_T3_PNSJ_ISO_E10value_typeET4_T5_PST_SU_PNS1_23onesweep_lookback_stateEbbT6_jjT7_P12ihipStream_tbENKUlT_T0_SI_SN_E_clIPtSD_S15_SD_EEDaS11_S12_SI_SN_EUlS11_E_NS1_11comp_targetILNS1_3genE6ELNS1_11target_archE950ELNS1_3gpuE13ELNS1_3repE0EEENS1_47radix_sort_onesweep_sort_config_static_selectorELNS0_4arch9wavefront6targetE1EEEvSI_,"axG",@progbits,_ZN7rocprim17ROCPRIM_400000_NS6detail17trampoline_kernelINS0_14default_configENS1_35radix_sort_onesweep_config_selectorIttEEZZNS1_29radix_sort_onesweep_iterationIS3_Lb0EN6thrust23THRUST_200600_302600_NS6detail15normal_iteratorINS8_10device_ptrItEEEESD_SD_SD_jNS0_19identity_decomposerENS1_16block_id_wrapperIjLb0EEEEE10hipError_tT1_PNSt15iterator_traitsISI_E10value_typeET2_T3_PNSJ_ISO_E10value_typeET4_T5_PST_SU_PNS1_23onesweep_lookback_stateEbbT6_jjT7_P12ihipStream_tbENKUlT_T0_SI_SN_E_clIPtSD_S15_SD_EEDaS11_S12_SI_SN_EUlS11_E_NS1_11comp_targetILNS1_3genE6ELNS1_11target_archE950ELNS1_3gpuE13ELNS1_3repE0EEENS1_47radix_sort_onesweep_sort_config_static_selectorELNS0_4arch9wavefront6targetE1EEEvSI_,comdat
.Lfunc_end1020:
	.size	_ZN7rocprim17ROCPRIM_400000_NS6detail17trampoline_kernelINS0_14default_configENS1_35radix_sort_onesweep_config_selectorIttEEZZNS1_29radix_sort_onesweep_iterationIS3_Lb0EN6thrust23THRUST_200600_302600_NS6detail15normal_iteratorINS8_10device_ptrItEEEESD_SD_SD_jNS0_19identity_decomposerENS1_16block_id_wrapperIjLb0EEEEE10hipError_tT1_PNSt15iterator_traitsISI_E10value_typeET2_T3_PNSJ_ISO_E10value_typeET4_T5_PST_SU_PNS1_23onesweep_lookback_stateEbbT6_jjT7_P12ihipStream_tbENKUlT_T0_SI_SN_E_clIPtSD_S15_SD_EEDaS11_S12_SI_SN_EUlS11_E_NS1_11comp_targetILNS1_3genE6ELNS1_11target_archE950ELNS1_3gpuE13ELNS1_3repE0EEENS1_47radix_sort_onesweep_sort_config_static_selectorELNS0_4arch9wavefront6targetE1EEEvSI_, .Lfunc_end1020-_ZN7rocprim17ROCPRIM_400000_NS6detail17trampoline_kernelINS0_14default_configENS1_35radix_sort_onesweep_config_selectorIttEEZZNS1_29radix_sort_onesweep_iterationIS3_Lb0EN6thrust23THRUST_200600_302600_NS6detail15normal_iteratorINS8_10device_ptrItEEEESD_SD_SD_jNS0_19identity_decomposerENS1_16block_id_wrapperIjLb0EEEEE10hipError_tT1_PNSt15iterator_traitsISI_E10value_typeET2_T3_PNSJ_ISO_E10value_typeET4_T5_PST_SU_PNS1_23onesweep_lookback_stateEbbT6_jjT7_P12ihipStream_tbENKUlT_T0_SI_SN_E_clIPtSD_S15_SD_EEDaS11_S12_SI_SN_EUlS11_E_NS1_11comp_targetILNS1_3genE6ELNS1_11target_archE950ELNS1_3gpuE13ELNS1_3repE0EEENS1_47radix_sort_onesweep_sort_config_static_selectorELNS0_4arch9wavefront6targetE1EEEvSI_
                                        ; -- End function
	.set _ZN7rocprim17ROCPRIM_400000_NS6detail17trampoline_kernelINS0_14default_configENS1_35radix_sort_onesweep_config_selectorIttEEZZNS1_29radix_sort_onesweep_iterationIS3_Lb0EN6thrust23THRUST_200600_302600_NS6detail15normal_iteratorINS8_10device_ptrItEEEESD_SD_SD_jNS0_19identity_decomposerENS1_16block_id_wrapperIjLb0EEEEE10hipError_tT1_PNSt15iterator_traitsISI_E10value_typeET2_T3_PNSJ_ISO_E10value_typeET4_T5_PST_SU_PNS1_23onesweep_lookback_stateEbbT6_jjT7_P12ihipStream_tbENKUlT_T0_SI_SN_E_clIPtSD_S15_SD_EEDaS11_S12_SI_SN_EUlS11_E_NS1_11comp_targetILNS1_3genE6ELNS1_11target_archE950ELNS1_3gpuE13ELNS1_3repE0EEENS1_47radix_sort_onesweep_sort_config_static_selectorELNS0_4arch9wavefront6targetE1EEEvSI_.num_vgpr, 119
	.set _ZN7rocprim17ROCPRIM_400000_NS6detail17trampoline_kernelINS0_14default_configENS1_35radix_sort_onesweep_config_selectorIttEEZZNS1_29radix_sort_onesweep_iterationIS3_Lb0EN6thrust23THRUST_200600_302600_NS6detail15normal_iteratorINS8_10device_ptrItEEEESD_SD_SD_jNS0_19identity_decomposerENS1_16block_id_wrapperIjLb0EEEEE10hipError_tT1_PNSt15iterator_traitsISI_E10value_typeET2_T3_PNSJ_ISO_E10value_typeET4_T5_PST_SU_PNS1_23onesweep_lookback_stateEbbT6_jjT7_P12ihipStream_tbENKUlT_T0_SI_SN_E_clIPtSD_S15_SD_EEDaS11_S12_SI_SN_EUlS11_E_NS1_11comp_targetILNS1_3genE6ELNS1_11target_archE950ELNS1_3gpuE13ELNS1_3repE0EEENS1_47radix_sort_onesweep_sort_config_static_selectorELNS0_4arch9wavefront6targetE1EEEvSI_.num_agpr, 0
	.set _ZN7rocprim17ROCPRIM_400000_NS6detail17trampoline_kernelINS0_14default_configENS1_35radix_sort_onesweep_config_selectorIttEEZZNS1_29radix_sort_onesweep_iterationIS3_Lb0EN6thrust23THRUST_200600_302600_NS6detail15normal_iteratorINS8_10device_ptrItEEEESD_SD_SD_jNS0_19identity_decomposerENS1_16block_id_wrapperIjLb0EEEEE10hipError_tT1_PNSt15iterator_traitsISI_E10value_typeET2_T3_PNSJ_ISO_E10value_typeET4_T5_PST_SU_PNS1_23onesweep_lookback_stateEbbT6_jjT7_P12ihipStream_tbENKUlT_T0_SI_SN_E_clIPtSD_S15_SD_EEDaS11_S12_SI_SN_EUlS11_E_NS1_11comp_targetILNS1_3genE6ELNS1_11target_archE950ELNS1_3gpuE13ELNS1_3repE0EEENS1_47radix_sort_onesweep_sort_config_static_selectorELNS0_4arch9wavefront6targetE1EEEvSI_.numbered_sgpr, 100
	.set _ZN7rocprim17ROCPRIM_400000_NS6detail17trampoline_kernelINS0_14default_configENS1_35radix_sort_onesweep_config_selectorIttEEZZNS1_29radix_sort_onesweep_iterationIS3_Lb0EN6thrust23THRUST_200600_302600_NS6detail15normal_iteratorINS8_10device_ptrItEEEESD_SD_SD_jNS0_19identity_decomposerENS1_16block_id_wrapperIjLb0EEEEE10hipError_tT1_PNSt15iterator_traitsISI_E10value_typeET2_T3_PNSJ_ISO_E10value_typeET4_T5_PST_SU_PNS1_23onesweep_lookback_stateEbbT6_jjT7_P12ihipStream_tbENKUlT_T0_SI_SN_E_clIPtSD_S15_SD_EEDaS11_S12_SI_SN_EUlS11_E_NS1_11comp_targetILNS1_3genE6ELNS1_11target_archE950ELNS1_3gpuE13ELNS1_3repE0EEENS1_47radix_sort_onesweep_sort_config_static_selectorELNS0_4arch9wavefront6targetE1EEEvSI_.num_named_barrier, 0
	.set _ZN7rocprim17ROCPRIM_400000_NS6detail17trampoline_kernelINS0_14default_configENS1_35radix_sort_onesweep_config_selectorIttEEZZNS1_29radix_sort_onesweep_iterationIS3_Lb0EN6thrust23THRUST_200600_302600_NS6detail15normal_iteratorINS8_10device_ptrItEEEESD_SD_SD_jNS0_19identity_decomposerENS1_16block_id_wrapperIjLb0EEEEE10hipError_tT1_PNSt15iterator_traitsISI_E10value_typeET2_T3_PNSJ_ISO_E10value_typeET4_T5_PST_SU_PNS1_23onesweep_lookback_stateEbbT6_jjT7_P12ihipStream_tbENKUlT_T0_SI_SN_E_clIPtSD_S15_SD_EEDaS11_S12_SI_SN_EUlS11_E_NS1_11comp_targetILNS1_3genE6ELNS1_11target_archE950ELNS1_3gpuE13ELNS1_3repE0EEENS1_47radix_sort_onesweep_sort_config_static_selectorELNS0_4arch9wavefront6targetE1EEEvSI_.private_seg_size, 0
	.set _ZN7rocprim17ROCPRIM_400000_NS6detail17trampoline_kernelINS0_14default_configENS1_35radix_sort_onesweep_config_selectorIttEEZZNS1_29radix_sort_onesweep_iterationIS3_Lb0EN6thrust23THRUST_200600_302600_NS6detail15normal_iteratorINS8_10device_ptrItEEEESD_SD_SD_jNS0_19identity_decomposerENS1_16block_id_wrapperIjLb0EEEEE10hipError_tT1_PNSt15iterator_traitsISI_E10value_typeET2_T3_PNSJ_ISO_E10value_typeET4_T5_PST_SU_PNS1_23onesweep_lookback_stateEbbT6_jjT7_P12ihipStream_tbENKUlT_T0_SI_SN_E_clIPtSD_S15_SD_EEDaS11_S12_SI_SN_EUlS11_E_NS1_11comp_targetILNS1_3genE6ELNS1_11target_archE950ELNS1_3gpuE13ELNS1_3repE0EEENS1_47radix_sort_onesweep_sort_config_static_selectorELNS0_4arch9wavefront6targetE1EEEvSI_.uses_vcc, 1
	.set _ZN7rocprim17ROCPRIM_400000_NS6detail17trampoline_kernelINS0_14default_configENS1_35radix_sort_onesweep_config_selectorIttEEZZNS1_29radix_sort_onesweep_iterationIS3_Lb0EN6thrust23THRUST_200600_302600_NS6detail15normal_iteratorINS8_10device_ptrItEEEESD_SD_SD_jNS0_19identity_decomposerENS1_16block_id_wrapperIjLb0EEEEE10hipError_tT1_PNSt15iterator_traitsISI_E10value_typeET2_T3_PNSJ_ISO_E10value_typeET4_T5_PST_SU_PNS1_23onesweep_lookback_stateEbbT6_jjT7_P12ihipStream_tbENKUlT_T0_SI_SN_E_clIPtSD_S15_SD_EEDaS11_S12_SI_SN_EUlS11_E_NS1_11comp_targetILNS1_3genE6ELNS1_11target_archE950ELNS1_3gpuE13ELNS1_3repE0EEENS1_47radix_sort_onesweep_sort_config_static_selectorELNS0_4arch9wavefront6targetE1EEEvSI_.uses_flat_scratch, 0
	.set _ZN7rocprim17ROCPRIM_400000_NS6detail17trampoline_kernelINS0_14default_configENS1_35radix_sort_onesweep_config_selectorIttEEZZNS1_29radix_sort_onesweep_iterationIS3_Lb0EN6thrust23THRUST_200600_302600_NS6detail15normal_iteratorINS8_10device_ptrItEEEESD_SD_SD_jNS0_19identity_decomposerENS1_16block_id_wrapperIjLb0EEEEE10hipError_tT1_PNSt15iterator_traitsISI_E10value_typeET2_T3_PNSJ_ISO_E10value_typeET4_T5_PST_SU_PNS1_23onesweep_lookback_stateEbbT6_jjT7_P12ihipStream_tbENKUlT_T0_SI_SN_E_clIPtSD_S15_SD_EEDaS11_S12_SI_SN_EUlS11_E_NS1_11comp_targetILNS1_3genE6ELNS1_11target_archE950ELNS1_3gpuE13ELNS1_3repE0EEENS1_47radix_sort_onesweep_sort_config_static_selectorELNS0_4arch9wavefront6targetE1EEEvSI_.has_dyn_sized_stack, 0
	.set _ZN7rocprim17ROCPRIM_400000_NS6detail17trampoline_kernelINS0_14default_configENS1_35radix_sort_onesweep_config_selectorIttEEZZNS1_29radix_sort_onesweep_iterationIS3_Lb0EN6thrust23THRUST_200600_302600_NS6detail15normal_iteratorINS8_10device_ptrItEEEESD_SD_SD_jNS0_19identity_decomposerENS1_16block_id_wrapperIjLb0EEEEE10hipError_tT1_PNSt15iterator_traitsISI_E10value_typeET2_T3_PNSJ_ISO_E10value_typeET4_T5_PST_SU_PNS1_23onesweep_lookback_stateEbbT6_jjT7_P12ihipStream_tbENKUlT_T0_SI_SN_E_clIPtSD_S15_SD_EEDaS11_S12_SI_SN_EUlS11_E_NS1_11comp_targetILNS1_3genE6ELNS1_11target_archE950ELNS1_3gpuE13ELNS1_3repE0EEENS1_47radix_sort_onesweep_sort_config_static_selectorELNS0_4arch9wavefront6targetE1EEEvSI_.has_recursion, 0
	.set _ZN7rocprim17ROCPRIM_400000_NS6detail17trampoline_kernelINS0_14default_configENS1_35radix_sort_onesweep_config_selectorIttEEZZNS1_29radix_sort_onesweep_iterationIS3_Lb0EN6thrust23THRUST_200600_302600_NS6detail15normal_iteratorINS8_10device_ptrItEEEESD_SD_SD_jNS0_19identity_decomposerENS1_16block_id_wrapperIjLb0EEEEE10hipError_tT1_PNSt15iterator_traitsISI_E10value_typeET2_T3_PNSJ_ISO_E10value_typeET4_T5_PST_SU_PNS1_23onesweep_lookback_stateEbbT6_jjT7_P12ihipStream_tbENKUlT_T0_SI_SN_E_clIPtSD_S15_SD_EEDaS11_S12_SI_SN_EUlS11_E_NS1_11comp_targetILNS1_3genE6ELNS1_11target_archE950ELNS1_3gpuE13ELNS1_3repE0EEENS1_47radix_sort_onesweep_sort_config_static_selectorELNS0_4arch9wavefront6targetE1EEEvSI_.has_indirect_call, 0
	.section	.AMDGPU.csdata,"",@progbits
; Kernel info:
; codeLenInByte = 29988
; TotalNumSgprs: 106
; NumVgprs: 119
; NumAgprs: 0
; TotalNumVgprs: 119
; ScratchSize: 0
; MemoryBound: 0
; FloatMode: 240
; IeeeMode: 1
; LDSByteSize: 22792 bytes/workgroup (compile time only)
; SGPRBlocks: 13
; VGPRBlocks: 14
; NumSGPRsForWavesPerEU: 106
; NumVGPRsForWavesPerEU: 119
; AccumOffset: 120
; Occupancy: 4
; WaveLimiterHint : 1
; COMPUTE_PGM_RSRC2:SCRATCH_EN: 0
; COMPUTE_PGM_RSRC2:USER_SGPR: 2
; COMPUTE_PGM_RSRC2:TRAP_HANDLER: 0
; COMPUTE_PGM_RSRC2:TGID_X_EN: 1
; COMPUTE_PGM_RSRC2:TGID_Y_EN: 0
; COMPUTE_PGM_RSRC2:TGID_Z_EN: 0
; COMPUTE_PGM_RSRC2:TIDIG_COMP_CNT: 2
; COMPUTE_PGM_RSRC3_GFX90A:ACCUM_OFFSET: 29
; COMPUTE_PGM_RSRC3_GFX90A:TG_SPLIT: 0
	.section	.text._ZN7rocprim17ROCPRIM_400000_NS6detail17trampoline_kernelINS0_14default_configENS1_35radix_sort_onesweep_config_selectorIttEEZZNS1_29radix_sort_onesweep_iterationIS3_Lb0EN6thrust23THRUST_200600_302600_NS6detail15normal_iteratorINS8_10device_ptrItEEEESD_SD_SD_jNS0_19identity_decomposerENS1_16block_id_wrapperIjLb0EEEEE10hipError_tT1_PNSt15iterator_traitsISI_E10value_typeET2_T3_PNSJ_ISO_E10value_typeET4_T5_PST_SU_PNS1_23onesweep_lookback_stateEbbT6_jjT7_P12ihipStream_tbENKUlT_T0_SI_SN_E_clIPtSD_S15_SD_EEDaS11_S12_SI_SN_EUlS11_E_NS1_11comp_targetILNS1_3genE5ELNS1_11target_archE942ELNS1_3gpuE9ELNS1_3repE0EEENS1_47radix_sort_onesweep_sort_config_static_selectorELNS0_4arch9wavefront6targetE1EEEvSI_,"axG",@progbits,_ZN7rocprim17ROCPRIM_400000_NS6detail17trampoline_kernelINS0_14default_configENS1_35radix_sort_onesweep_config_selectorIttEEZZNS1_29radix_sort_onesweep_iterationIS3_Lb0EN6thrust23THRUST_200600_302600_NS6detail15normal_iteratorINS8_10device_ptrItEEEESD_SD_SD_jNS0_19identity_decomposerENS1_16block_id_wrapperIjLb0EEEEE10hipError_tT1_PNSt15iterator_traitsISI_E10value_typeET2_T3_PNSJ_ISO_E10value_typeET4_T5_PST_SU_PNS1_23onesweep_lookback_stateEbbT6_jjT7_P12ihipStream_tbENKUlT_T0_SI_SN_E_clIPtSD_S15_SD_EEDaS11_S12_SI_SN_EUlS11_E_NS1_11comp_targetILNS1_3genE5ELNS1_11target_archE942ELNS1_3gpuE9ELNS1_3repE0EEENS1_47radix_sort_onesweep_sort_config_static_selectorELNS0_4arch9wavefront6targetE1EEEvSI_,comdat
	.protected	_ZN7rocprim17ROCPRIM_400000_NS6detail17trampoline_kernelINS0_14default_configENS1_35radix_sort_onesweep_config_selectorIttEEZZNS1_29radix_sort_onesweep_iterationIS3_Lb0EN6thrust23THRUST_200600_302600_NS6detail15normal_iteratorINS8_10device_ptrItEEEESD_SD_SD_jNS0_19identity_decomposerENS1_16block_id_wrapperIjLb0EEEEE10hipError_tT1_PNSt15iterator_traitsISI_E10value_typeET2_T3_PNSJ_ISO_E10value_typeET4_T5_PST_SU_PNS1_23onesweep_lookback_stateEbbT6_jjT7_P12ihipStream_tbENKUlT_T0_SI_SN_E_clIPtSD_S15_SD_EEDaS11_S12_SI_SN_EUlS11_E_NS1_11comp_targetILNS1_3genE5ELNS1_11target_archE942ELNS1_3gpuE9ELNS1_3repE0EEENS1_47radix_sort_onesweep_sort_config_static_selectorELNS0_4arch9wavefront6targetE1EEEvSI_ ; -- Begin function _ZN7rocprim17ROCPRIM_400000_NS6detail17trampoline_kernelINS0_14default_configENS1_35radix_sort_onesweep_config_selectorIttEEZZNS1_29radix_sort_onesweep_iterationIS3_Lb0EN6thrust23THRUST_200600_302600_NS6detail15normal_iteratorINS8_10device_ptrItEEEESD_SD_SD_jNS0_19identity_decomposerENS1_16block_id_wrapperIjLb0EEEEE10hipError_tT1_PNSt15iterator_traitsISI_E10value_typeET2_T3_PNSJ_ISO_E10value_typeET4_T5_PST_SU_PNS1_23onesweep_lookback_stateEbbT6_jjT7_P12ihipStream_tbENKUlT_T0_SI_SN_E_clIPtSD_S15_SD_EEDaS11_S12_SI_SN_EUlS11_E_NS1_11comp_targetILNS1_3genE5ELNS1_11target_archE942ELNS1_3gpuE9ELNS1_3repE0EEENS1_47radix_sort_onesweep_sort_config_static_selectorELNS0_4arch9wavefront6targetE1EEEvSI_
	.globl	_ZN7rocprim17ROCPRIM_400000_NS6detail17trampoline_kernelINS0_14default_configENS1_35radix_sort_onesweep_config_selectorIttEEZZNS1_29radix_sort_onesweep_iterationIS3_Lb0EN6thrust23THRUST_200600_302600_NS6detail15normal_iteratorINS8_10device_ptrItEEEESD_SD_SD_jNS0_19identity_decomposerENS1_16block_id_wrapperIjLb0EEEEE10hipError_tT1_PNSt15iterator_traitsISI_E10value_typeET2_T3_PNSJ_ISO_E10value_typeET4_T5_PST_SU_PNS1_23onesweep_lookback_stateEbbT6_jjT7_P12ihipStream_tbENKUlT_T0_SI_SN_E_clIPtSD_S15_SD_EEDaS11_S12_SI_SN_EUlS11_E_NS1_11comp_targetILNS1_3genE5ELNS1_11target_archE942ELNS1_3gpuE9ELNS1_3repE0EEENS1_47radix_sort_onesweep_sort_config_static_selectorELNS0_4arch9wavefront6targetE1EEEvSI_
	.p2align	8
	.type	_ZN7rocprim17ROCPRIM_400000_NS6detail17trampoline_kernelINS0_14default_configENS1_35radix_sort_onesweep_config_selectorIttEEZZNS1_29radix_sort_onesweep_iterationIS3_Lb0EN6thrust23THRUST_200600_302600_NS6detail15normal_iteratorINS8_10device_ptrItEEEESD_SD_SD_jNS0_19identity_decomposerENS1_16block_id_wrapperIjLb0EEEEE10hipError_tT1_PNSt15iterator_traitsISI_E10value_typeET2_T3_PNSJ_ISO_E10value_typeET4_T5_PST_SU_PNS1_23onesweep_lookback_stateEbbT6_jjT7_P12ihipStream_tbENKUlT_T0_SI_SN_E_clIPtSD_S15_SD_EEDaS11_S12_SI_SN_EUlS11_E_NS1_11comp_targetILNS1_3genE5ELNS1_11target_archE942ELNS1_3gpuE9ELNS1_3repE0EEENS1_47radix_sort_onesweep_sort_config_static_selectorELNS0_4arch9wavefront6targetE1EEEvSI_,@function
_ZN7rocprim17ROCPRIM_400000_NS6detail17trampoline_kernelINS0_14default_configENS1_35radix_sort_onesweep_config_selectorIttEEZZNS1_29radix_sort_onesweep_iterationIS3_Lb0EN6thrust23THRUST_200600_302600_NS6detail15normal_iteratorINS8_10device_ptrItEEEESD_SD_SD_jNS0_19identity_decomposerENS1_16block_id_wrapperIjLb0EEEEE10hipError_tT1_PNSt15iterator_traitsISI_E10value_typeET2_T3_PNSJ_ISO_E10value_typeET4_T5_PST_SU_PNS1_23onesweep_lookback_stateEbbT6_jjT7_P12ihipStream_tbENKUlT_T0_SI_SN_E_clIPtSD_S15_SD_EEDaS11_S12_SI_SN_EUlS11_E_NS1_11comp_targetILNS1_3genE5ELNS1_11target_archE942ELNS1_3gpuE9ELNS1_3repE0EEENS1_47radix_sort_onesweep_sort_config_static_selectorELNS0_4arch9wavefront6targetE1EEEvSI_: ; @_ZN7rocprim17ROCPRIM_400000_NS6detail17trampoline_kernelINS0_14default_configENS1_35radix_sort_onesweep_config_selectorIttEEZZNS1_29radix_sort_onesweep_iterationIS3_Lb0EN6thrust23THRUST_200600_302600_NS6detail15normal_iteratorINS8_10device_ptrItEEEESD_SD_SD_jNS0_19identity_decomposerENS1_16block_id_wrapperIjLb0EEEEE10hipError_tT1_PNSt15iterator_traitsISI_E10value_typeET2_T3_PNSJ_ISO_E10value_typeET4_T5_PST_SU_PNS1_23onesweep_lookback_stateEbbT6_jjT7_P12ihipStream_tbENKUlT_T0_SI_SN_E_clIPtSD_S15_SD_EEDaS11_S12_SI_SN_EUlS11_E_NS1_11comp_targetILNS1_3genE5ELNS1_11target_archE942ELNS1_3gpuE9ELNS1_3repE0EEENS1_47radix_sort_onesweep_sort_config_static_selectorELNS0_4arch9wavefront6targetE1EEEvSI_
; %bb.0:
	.section	.rodata,"a",@progbits
	.p2align	6, 0x0
	.amdhsa_kernel _ZN7rocprim17ROCPRIM_400000_NS6detail17trampoline_kernelINS0_14default_configENS1_35radix_sort_onesweep_config_selectorIttEEZZNS1_29radix_sort_onesweep_iterationIS3_Lb0EN6thrust23THRUST_200600_302600_NS6detail15normal_iteratorINS8_10device_ptrItEEEESD_SD_SD_jNS0_19identity_decomposerENS1_16block_id_wrapperIjLb0EEEEE10hipError_tT1_PNSt15iterator_traitsISI_E10value_typeET2_T3_PNSJ_ISO_E10value_typeET4_T5_PST_SU_PNS1_23onesweep_lookback_stateEbbT6_jjT7_P12ihipStream_tbENKUlT_T0_SI_SN_E_clIPtSD_S15_SD_EEDaS11_S12_SI_SN_EUlS11_E_NS1_11comp_targetILNS1_3genE5ELNS1_11target_archE942ELNS1_3gpuE9ELNS1_3repE0EEENS1_47radix_sort_onesweep_sort_config_static_selectorELNS0_4arch9wavefront6targetE1EEEvSI_
		.amdhsa_group_segment_fixed_size 0
		.amdhsa_private_segment_fixed_size 0
		.amdhsa_kernarg_size 88
		.amdhsa_user_sgpr_count 2
		.amdhsa_user_sgpr_dispatch_ptr 0
		.amdhsa_user_sgpr_queue_ptr 0
		.amdhsa_user_sgpr_kernarg_segment_ptr 1
		.amdhsa_user_sgpr_dispatch_id 0
		.amdhsa_user_sgpr_kernarg_preload_length 0
		.amdhsa_user_sgpr_kernarg_preload_offset 0
		.amdhsa_user_sgpr_private_segment_size 0
		.amdhsa_uses_dynamic_stack 0
		.amdhsa_enable_private_segment 0
		.amdhsa_system_sgpr_workgroup_id_x 1
		.amdhsa_system_sgpr_workgroup_id_y 0
		.amdhsa_system_sgpr_workgroup_id_z 0
		.amdhsa_system_sgpr_workgroup_info 0
		.amdhsa_system_vgpr_workitem_id 0
		.amdhsa_next_free_vgpr 1
		.amdhsa_next_free_sgpr 0
		.amdhsa_accum_offset 4
		.amdhsa_reserve_vcc 0
		.amdhsa_float_round_mode_32 0
		.amdhsa_float_round_mode_16_64 0
		.amdhsa_float_denorm_mode_32 3
		.amdhsa_float_denorm_mode_16_64 3
		.amdhsa_dx10_clamp 1
		.amdhsa_ieee_mode 1
		.amdhsa_fp16_overflow 0
		.amdhsa_tg_split 0
		.amdhsa_exception_fp_ieee_invalid_op 0
		.amdhsa_exception_fp_denorm_src 0
		.amdhsa_exception_fp_ieee_div_zero 0
		.amdhsa_exception_fp_ieee_overflow 0
		.amdhsa_exception_fp_ieee_underflow 0
		.amdhsa_exception_fp_ieee_inexact 0
		.amdhsa_exception_int_div_zero 0
	.end_amdhsa_kernel
	.section	.text._ZN7rocprim17ROCPRIM_400000_NS6detail17trampoline_kernelINS0_14default_configENS1_35radix_sort_onesweep_config_selectorIttEEZZNS1_29radix_sort_onesweep_iterationIS3_Lb0EN6thrust23THRUST_200600_302600_NS6detail15normal_iteratorINS8_10device_ptrItEEEESD_SD_SD_jNS0_19identity_decomposerENS1_16block_id_wrapperIjLb0EEEEE10hipError_tT1_PNSt15iterator_traitsISI_E10value_typeET2_T3_PNSJ_ISO_E10value_typeET4_T5_PST_SU_PNS1_23onesweep_lookback_stateEbbT6_jjT7_P12ihipStream_tbENKUlT_T0_SI_SN_E_clIPtSD_S15_SD_EEDaS11_S12_SI_SN_EUlS11_E_NS1_11comp_targetILNS1_3genE5ELNS1_11target_archE942ELNS1_3gpuE9ELNS1_3repE0EEENS1_47radix_sort_onesweep_sort_config_static_selectorELNS0_4arch9wavefront6targetE1EEEvSI_,"axG",@progbits,_ZN7rocprim17ROCPRIM_400000_NS6detail17trampoline_kernelINS0_14default_configENS1_35radix_sort_onesweep_config_selectorIttEEZZNS1_29radix_sort_onesweep_iterationIS3_Lb0EN6thrust23THRUST_200600_302600_NS6detail15normal_iteratorINS8_10device_ptrItEEEESD_SD_SD_jNS0_19identity_decomposerENS1_16block_id_wrapperIjLb0EEEEE10hipError_tT1_PNSt15iterator_traitsISI_E10value_typeET2_T3_PNSJ_ISO_E10value_typeET4_T5_PST_SU_PNS1_23onesweep_lookback_stateEbbT6_jjT7_P12ihipStream_tbENKUlT_T0_SI_SN_E_clIPtSD_S15_SD_EEDaS11_S12_SI_SN_EUlS11_E_NS1_11comp_targetILNS1_3genE5ELNS1_11target_archE942ELNS1_3gpuE9ELNS1_3repE0EEENS1_47radix_sort_onesweep_sort_config_static_selectorELNS0_4arch9wavefront6targetE1EEEvSI_,comdat
.Lfunc_end1021:
	.size	_ZN7rocprim17ROCPRIM_400000_NS6detail17trampoline_kernelINS0_14default_configENS1_35radix_sort_onesweep_config_selectorIttEEZZNS1_29radix_sort_onesweep_iterationIS3_Lb0EN6thrust23THRUST_200600_302600_NS6detail15normal_iteratorINS8_10device_ptrItEEEESD_SD_SD_jNS0_19identity_decomposerENS1_16block_id_wrapperIjLb0EEEEE10hipError_tT1_PNSt15iterator_traitsISI_E10value_typeET2_T3_PNSJ_ISO_E10value_typeET4_T5_PST_SU_PNS1_23onesweep_lookback_stateEbbT6_jjT7_P12ihipStream_tbENKUlT_T0_SI_SN_E_clIPtSD_S15_SD_EEDaS11_S12_SI_SN_EUlS11_E_NS1_11comp_targetILNS1_3genE5ELNS1_11target_archE942ELNS1_3gpuE9ELNS1_3repE0EEENS1_47radix_sort_onesweep_sort_config_static_selectorELNS0_4arch9wavefront6targetE1EEEvSI_, .Lfunc_end1021-_ZN7rocprim17ROCPRIM_400000_NS6detail17trampoline_kernelINS0_14default_configENS1_35radix_sort_onesweep_config_selectorIttEEZZNS1_29radix_sort_onesweep_iterationIS3_Lb0EN6thrust23THRUST_200600_302600_NS6detail15normal_iteratorINS8_10device_ptrItEEEESD_SD_SD_jNS0_19identity_decomposerENS1_16block_id_wrapperIjLb0EEEEE10hipError_tT1_PNSt15iterator_traitsISI_E10value_typeET2_T3_PNSJ_ISO_E10value_typeET4_T5_PST_SU_PNS1_23onesweep_lookback_stateEbbT6_jjT7_P12ihipStream_tbENKUlT_T0_SI_SN_E_clIPtSD_S15_SD_EEDaS11_S12_SI_SN_EUlS11_E_NS1_11comp_targetILNS1_3genE5ELNS1_11target_archE942ELNS1_3gpuE9ELNS1_3repE0EEENS1_47radix_sort_onesweep_sort_config_static_selectorELNS0_4arch9wavefront6targetE1EEEvSI_
                                        ; -- End function
	.set _ZN7rocprim17ROCPRIM_400000_NS6detail17trampoline_kernelINS0_14default_configENS1_35radix_sort_onesweep_config_selectorIttEEZZNS1_29radix_sort_onesweep_iterationIS3_Lb0EN6thrust23THRUST_200600_302600_NS6detail15normal_iteratorINS8_10device_ptrItEEEESD_SD_SD_jNS0_19identity_decomposerENS1_16block_id_wrapperIjLb0EEEEE10hipError_tT1_PNSt15iterator_traitsISI_E10value_typeET2_T3_PNSJ_ISO_E10value_typeET4_T5_PST_SU_PNS1_23onesweep_lookback_stateEbbT6_jjT7_P12ihipStream_tbENKUlT_T0_SI_SN_E_clIPtSD_S15_SD_EEDaS11_S12_SI_SN_EUlS11_E_NS1_11comp_targetILNS1_3genE5ELNS1_11target_archE942ELNS1_3gpuE9ELNS1_3repE0EEENS1_47radix_sort_onesweep_sort_config_static_selectorELNS0_4arch9wavefront6targetE1EEEvSI_.num_vgpr, 0
	.set _ZN7rocprim17ROCPRIM_400000_NS6detail17trampoline_kernelINS0_14default_configENS1_35radix_sort_onesweep_config_selectorIttEEZZNS1_29radix_sort_onesweep_iterationIS3_Lb0EN6thrust23THRUST_200600_302600_NS6detail15normal_iteratorINS8_10device_ptrItEEEESD_SD_SD_jNS0_19identity_decomposerENS1_16block_id_wrapperIjLb0EEEEE10hipError_tT1_PNSt15iterator_traitsISI_E10value_typeET2_T3_PNSJ_ISO_E10value_typeET4_T5_PST_SU_PNS1_23onesweep_lookback_stateEbbT6_jjT7_P12ihipStream_tbENKUlT_T0_SI_SN_E_clIPtSD_S15_SD_EEDaS11_S12_SI_SN_EUlS11_E_NS1_11comp_targetILNS1_3genE5ELNS1_11target_archE942ELNS1_3gpuE9ELNS1_3repE0EEENS1_47radix_sort_onesweep_sort_config_static_selectorELNS0_4arch9wavefront6targetE1EEEvSI_.num_agpr, 0
	.set _ZN7rocprim17ROCPRIM_400000_NS6detail17trampoline_kernelINS0_14default_configENS1_35radix_sort_onesweep_config_selectorIttEEZZNS1_29radix_sort_onesweep_iterationIS3_Lb0EN6thrust23THRUST_200600_302600_NS6detail15normal_iteratorINS8_10device_ptrItEEEESD_SD_SD_jNS0_19identity_decomposerENS1_16block_id_wrapperIjLb0EEEEE10hipError_tT1_PNSt15iterator_traitsISI_E10value_typeET2_T3_PNSJ_ISO_E10value_typeET4_T5_PST_SU_PNS1_23onesweep_lookback_stateEbbT6_jjT7_P12ihipStream_tbENKUlT_T0_SI_SN_E_clIPtSD_S15_SD_EEDaS11_S12_SI_SN_EUlS11_E_NS1_11comp_targetILNS1_3genE5ELNS1_11target_archE942ELNS1_3gpuE9ELNS1_3repE0EEENS1_47radix_sort_onesweep_sort_config_static_selectorELNS0_4arch9wavefront6targetE1EEEvSI_.numbered_sgpr, 0
	.set _ZN7rocprim17ROCPRIM_400000_NS6detail17trampoline_kernelINS0_14default_configENS1_35radix_sort_onesweep_config_selectorIttEEZZNS1_29radix_sort_onesweep_iterationIS3_Lb0EN6thrust23THRUST_200600_302600_NS6detail15normal_iteratorINS8_10device_ptrItEEEESD_SD_SD_jNS0_19identity_decomposerENS1_16block_id_wrapperIjLb0EEEEE10hipError_tT1_PNSt15iterator_traitsISI_E10value_typeET2_T3_PNSJ_ISO_E10value_typeET4_T5_PST_SU_PNS1_23onesweep_lookback_stateEbbT6_jjT7_P12ihipStream_tbENKUlT_T0_SI_SN_E_clIPtSD_S15_SD_EEDaS11_S12_SI_SN_EUlS11_E_NS1_11comp_targetILNS1_3genE5ELNS1_11target_archE942ELNS1_3gpuE9ELNS1_3repE0EEENS1_47radix_sort_onesweep_sort_config_static_selectorELNS0_4arch9wavefront6targetE1EEEvSI_.num_named_barrier, 0
	.set _ZN7rocprim17ROCPRIM_400000_NS6detail17trampoline_kernelINS0_14default_configENS1_35radix_sort_onesweep_config_selectorIttEEZZNS1_29radix_sort_onesweep_iterationIS3_Lb0EN6thrust23THRUST_200600_302600_NS6detail15normal_iteratorINS8_10device_ptrItEEEESD_SD_SD_jNS0_19identity_decomposerENS1_16block_id_wrapperIjLb0EEEEE10hipError_tT1_PNSt15iterator_traitsISI_E10value_typeET2_T3_PNSJ_ISO_E10value_typeET4_T5_PST_SU_PNS1_23onesweep_lookback_stateEbbT6_jjT7_P12ihipStream_tbENKUlT_T0_SI_SN_E_clIPtSD_S15_SD_EEDaS11_S12_SI_SN_EUlS11_E_NS1_11comp_targetILNS1_3genE5ELNS1_11target_archE942ELNS1_3gpuE9ELNS1_3repE0EEENS1_47radix_sort_onesweep_sort_config_static_selectorELNS0_4arch9wavefront6targetE1EEEvSI_.private_seg_size, 0
	.set _ZN7rocprim17ROCPRIM_400000_NS6detail17trampoline_kernelINS0_14default_configENS1_35radix_sort_onesweep_config_selectorIttEEZZNS1_29radix_sort_onesweep_iterationIS3_Lb0EN6thrust23THRUST_200600_302600_NS6detail15normal_iteratorINS8_10device_ptrItEEEESD_SD_SD_jNS0_19identity_decomposerENS1_16block_id_wrapperIjLb0EEEEE10hipError_tT1_PNSt15iterator_traitsISI_E10value_typeET2_T3_PNSJ_ISO_E10value_typeET4_T5_PST_SU_PNS1_23onesweep_lookback_stateEbbT6_jjT7_P12ihipStream_tbENKUlT_T0_SI_SN_E_clIPtSD_S15_SD_EEDaS11_S12_SI_SN_EUlS11_E_NS1_11comp_targetILNS1_3genE5ELNS1_11target_archE942ELNS1_3gpuE9ELNS1_3repE0EEENS1_47radix_sort_onesweep_sort_config_static_selectorELNS0_4arch9wavefront6targetE1EEEvSI_.uses_vcc, 0
	.set _ZN7rocprim17ROCPRIM_400000_NS6detail17trampoline_kernelINS0_14default_configENS1_35radix_sort_onesweep_config_selectorIttEEZZNS1_29radix_sort_onesweep_iterationIS3_Lb0EN6thrust23THRUST_200600_302600_NS6detail15normal_iteratorINS8_10device_ptrItEEEESD_SD_SD_jNS0_19identity_decomposerENS1_16block_id_wrapperIjLb0EEEEE10hipError_tT1_PNSt15iterator_traitsISI_E10value_typeET2_T3_PNSJ_ISO_E10value_typeET4_T5_PST_SU_PNS1_23onesweep_lookback_stateEbbT6_jjT7_P12ihipStream_tbENKUlT_T0_SI_SN_E_clIPtSD_S15_SD_EEDaS11_S12_SI_SN_EUlS11_E_NS1_11comp_targetILNS1_3genE5ELNS1_11target_archE942ELNS1_3gpuE9ELNS1_3repE0EEENS1_47radix_sort_onesweep_sort_config_static_selectorELNS0_4arch9wavefront6targetE1EEEvSI_.uses_flat_scratch, 0
	.set _ZN7rocprim17ROCPRIM_400000_NS6detail17trampoline_kernelINS0_14default_configENS1_35radix_sort_onesweep_config_selectorIttEEZZNS1_29radix_sort_onesweep_iterationIS3_Lb0EN6thrust23THRUST_200600_302600_NS6detail15normal_iteratorINS8_10device_ptrItEEEESD_SD_SD_jNS0_19identity_decomposerENS1_16block_id_wrapperIjLb0EEEEE10hipError_tT1_PNSt15iterator_traitsISI_E10value_typeET2_T3_PNSJ_ISO_E10value_typeET4_T5_PST_SU_PNS1_23onesweep_lookback_stateEbbT6_jjT7_P12ihipStream_tbENKUlT_T0_SI_SN_E_clIPtSD_S15_SD_EEDaS11_S12_SI_SN_EUlS11_E_NS1_11comp_targetILNS1_3genE5ELNS1_11target_archE942ELNS1_3gpuE9ELNS1_3repE0EEENS1_47radix_sort_onesweep_sort_config_static_selectorELNS0_4arch9wavefront6targetE1EEEvSI_.has_dyn_sized_stack, 0
	.set _ZN7rocprim17ROCPRIM_400000_NS6detail17trampoline_kernelINS0_14default_configENS1_35radix_sort_onesweep_config_selectorIttEEZZNS1_29radix_sort_onesweep_iterationIS3_Lb0EN6thrust23THRUST_200600_302600_NS6detail15normal_iteratorINS8_10device_ptrItEEEESD_SD_SD_jNS0_19identity_decomposerENS1_16block_id_wrapperIjLb0EEEEE10hipError_tT1_PNSt15iterator_traitsISI_E10value_typeET2_T3_PNSJ_ISO_E10value_typeET4_T5_PST_SU_PNS1_23onesweep_lookback_stateEbbT6_jjT7_P12ihipStream_tbENKUlT_T0_SI_SN_E_clIPtSD_S15_SD_EEDaS11_S12_SI_SN_EUlS11_E_NS1_11comp_targetILNS1_3genE5ELNS1_11target_archE942ELNS1_3gpuE9ELNS1_3repE0EEENS1_47radix_sort_onesweep_sort_config_static_selectorELNS0_4arch9wavefront6targetE1EEEvSI_.has_recursion, 0
	.set _ZN7rocprim17ROCPRIM_400000_NS6detail17trampoline_kernelINS0_14default_configENS1_35radix_sort_onesweep_config_selectorIttEEZZNS1_29radix_sort_onesweep_iterationIS3_Lb0EN6thrust23THRUST_200600_302600_NS6detail15normal_iteratorINS8_10device_ptrItEEEESD_SD_SD_jNS0_19identity_decomposerENS1_16block_id_wrapperIjLb0EEEEE10hipError_tT1_PNSt15iterator_traitsISI_E10value_typeET2_T3_PNSJ_ISO_E10value_typeET4_T5_PST_SU_PNS1_23onesweep_lookback_stateEbbT6_jjT7_P12ihipStream_tbENKUlT_T0_SI_SN_E_clIPtSD_S15_SD_EEDaS11_S12_SI_SN_EUlS11_E_NS1_11comp_targetILNS1_3genE5ELNS1_11target_archE942ELNS1_3gpuE9ELNS1_3repE0EEENS1_47radix_sort_onesweep_sort_config_static_selectorELNS0_4arch9wavefront6targetE1EEEvSI_.has_indirect_call, 0
	.section	.AMDGPU.csdata,"",@progbits
; Kernel info:
; codeLenInByte = 0
; TotalNumSgprs: 6
; NumVgprs: 0
; NumAgprs: 0
; TotalNumVgprs: 0
; ScratchSize: 0
; MemoryBound: 0
; FloatMode: 240
; IeeeMode: 1
; LDSByteSize: 0 bytes/workgroup (compile time only)
; SGPRBlocks: 0
; VGPRBlocks: 0
; NumSGPRsForWavesPerEU: 6
; NumVGPRsForWavesPerEU: 1
; AccumOffset: 4
; Occupancy: 8
; WaveLimiterHint : 0
; COMPUTE_PGM_RSRC2:SCRATCH_EN: 0
; COMPUTE_PGM_RSRC2:USER_SGPR: 2
; COMPUTE_PGM_RSRC2:TRAP_HANDLER: 0
; COMPUTE_PGM_RSRC2:TGID_X_EN: 1
; COMPUTE_PGM_RSRC2:TGID_Y_EN: 0
; COMPUTE_PGM_RSRC2:TGID_Z_EN: 0
; COMPUTE_PGM_RSRC2:TIDIG_COMP_CNT: 0
; COMPUTE_PGM_RSRC3_GFX90A:ACCUM_OFFSET: 0
; COMPUTE_PGM_RSRC3_GFX90A:TG_SPLIT: 0
	.section	.text._ZN7rocprim17ROCPRIM_400000_NS6detail17trampoline_kernelINS0_14default_configENS1_35radix_sort_onesweep_config_selectorIttEEZZNS1_29radix_sort_onesweep_iterationIS3_Lb0EN6thrust23THRUST_200600_302600_NS6detail15normal_iteratorINS8_10device_ptrItEEEESD_SD_SD_jNS0_19identity_decomposerENS1_16block_id_wrapperIjLb0EEEEE10hipError_tT1_PNSt15iterator_traitsISI_E10value_typeET2_T3_PNSJ_ISO_E10value_typeET4_T5_PST_SU_PNS1_23onesweep_lookback_stateEbbT6_jjT7_P12ihipStream_tbENKUlT_T0_SI_SN_E_clIPtSD_S15_SD_EEDaS11_S12_SI_SN_EUlS11_E_NS1_11comp_targetILNS1_3genE2ELNS1_11target_archE906ELNS1_3gpuE6ELNS1_3repE0EEENS1_47radix_sort_onesweep_sort_config_static_selectorELNS0_4arch9wavefront6targetE1EEEvSI_,"axG",@progbits,_ZN7rocprim17ROCPRIM_400000_NS6detail17trampoline_kernelINS0_14default_configENS1_35radix_sort_onesweep_config_selectorIttEEZZNS1_29radix_sort_onesweep_iterationIS3_Lb0EN6thrust23THRUST_200600_302600_NS6detail15normal_iteratorINS8_10device_ptrItEEEESD_SD_SD_jNS0_19identity_decomposerENS1_16block_id_wrapperIjLb0EEEEE10hipError_tT1_PNSt15iterator_traitsISI_E10value_typeET2_T3_PNSJ_ISO_E10value_typeET4_T5_PST_SU_PNS1_23onesweep_lookback_stateEbbT6_jjT7_P12ihipStream_tbENKUlT_T0_SI_SN_E_clIPtSD_S15_SD_EEDaS11_S12_SI_SN_EUlS11_E_NS1_11comp_targetILNS1_3genE2ELNS1_11target_archE906ELNS1_3gpuE6ELNS1_3repE0EEENS1_47radix_sort_onesweep_sort_config_static_selectorELNS0_4arch9wavefront6targetE1EEEvSI_,comdat
	.protected	_ZN7rocprim17ROCPRIM_400000_NS6detail17trampoline_kernelINS0_14default_configENS1_35radix_sort_onesweep_config_selectorIttEEZZNS1_29radix_sort_onesweep_iterationIS3_Lb0EN6thrust23THRUST_200600_302600_NS6detail15normal_iteratorINS8_10device_ptrItEEEESD_SD_SD_jNS0_19identity_decomposerENS1_16block_id_wrapperIjLb0EEEEE10hipError_tT1_PNSt15iterator_traitsISI_E10value_typeET2_T3_PNSJ_ISO_E10value_typeET4_T5_PST_SU_PNS1_23onesweep_lookback_stateEbbT6_jjT7_P12ihipStream_tbENKUlT_T0_SI_SN_E_clIPtSD_S15_SD_EEDaS11_S12_SI_SN_EUlS11_E_NS1_11comp_targetILNS1_3genE2ELNS1_11target_archE906ELNS1_3gpuE6ELNS1_3repE0EEENS1_47radix_sort_onesweep_sort_config_static_selectorELNS0_4arch9wavefront6targetE1EEEvSI_ ; -- Begin function _ZN7rocprim17ROCPRIM_400000_NS6detail17trampoline_kernelINS0_14default_configENS1_35radix_sort_onesweep_config_selectorIttEEZZNS1_29radix_sort_onesweep_iterationIS3_Lb0EN6thrust23THRUST_200600_302600_NS6detail15normal_iteratorINS8_10device_ptrItEEEESD_SD_SD_jNS0_19identity_decomposerENS1_16block_id_wrapperIjLb0EEEEE10hipError_tT1_PNSt15iterator_traitsISI_E10value_typeET2_T3_PNSJ_ISO_E10value_typeET4_T5_PST_SU_PNS1_23onesweep_lookback_stateEbbT6_jjT7_P12ihipStream_tbENKUlT_T0_SI_SN_E_clIPtSD_S15_SD_EEDaS11_S12_SI_SN_EUlS11_E_NS1_11comp_targetILNS1_3genE2ELNS1_11target_archE906ELNS1_3gpuE6ELNS1_3repE0EEENS1_47radix_sort_onesweep_sort_config_static_selectorELNS0_4arch9wavefront6targetE1EEEvSI_
	.globl	_ZN7rocprim17ROCPRIM_400000_NS6detail17trampoline_kernelINS0_14default_configENS1_35radix_sort_onesweep_config_selectorIttEEZZNS1_29radix_sort_onesweep_iterationIS3_Lb0EN6thrust23THRUST_200600_302600_NS6detail15normal_iteratorINS8_10device_ptrItEEEESD_SD_SD_jNS0_19identity_decomposerENS1_16block_id_wrapperIjLb0EEEEE10hipError_tT1_PNSt15iterator_traitsISI_E10value_typeET2_T3_PNSJ_ISO_E10value_typeET4_T5_PST_SU_PNS1_23onesweep_lookback_stateEbbT6_jjT7_P12ihipStream_tbENKUlT_T0_SI_SN_E_clIPtSD_S15_SD_EEDaS11_S12_SI_SN_EUlS11_E_NS1_11comp_targetILNS1_3genE2ELNS1_11target_archE906ELNS1_3gpuE6ELNS1_3repE0EEENS1_47radix_sort_onesweep_sort_config_static_selectorELNS0_4arch9wavefront6targetE1EEEvSI_
	.p2align	8
	.type	_ZN7rocprim17ROCPRIM_400000_NS6detail17trampoline_kernelINS0_14default_configENS1_35radix_sort_onesweep_config_selectorIttEEZZNS1_29radix_sort_onesweep_iterationIS3_Lb0EN6thrust23THRUST_200600_302600_NS6detail15normal_iteratorINS8_10device_ptrItEEEESD_SD_SD_jNS0_19identity_decomposerENS1_16block_id_wrapperIjLb0EEEEE10hipError_tT1_PNSt15iterator_traitsISI_E10value_typeET2_T3_PNSJ_ISO_E10value_typeET4_T5_PST_SU_PNS1_23onesweep_lookback_stateEbbT6_jjT7_P12ihipStream_tbENKUlT_T0_SI_SN_E_clIPtSD_S15_SD_EEDaS11_S12_SI_SN_EUlS11_E_NS1_11comp_targetILNS1_3genE2ELNS1_11target_archE906ELNS1_3gpuE6ELNS1_3repE0EEENS1_47radix_sort_onesweep_sort_config_static_selectorELNS0_4arch9wavefront6targetE1EEEvSI_,@function
_ZN7rocprim17ROCPRIM_400000_NS6detail17trampoline_kernelINS0_14default_configENS1_35radix_sort_onesweep_config_selectorIttEEZZNS1_29radix_sort_onesweep_iterationIS3_Lb0EN6thrust23THRUST_200600_302600_NS6detail15normal_iteratorINS8_10device_ptrItEEEESD_SD_SD_jNS0_19identity_decomposerENS1_16block_id_wrapperIjLb0EEEEE10hipError_tT1_PNSt15iterator_traitsISI_E10value_typeET2_T3_PNSJ_ISO_E10value_typeET4_T5_PST_SU_PNS1_23onesweep_lookback_stateEbbT6_jjT7_P12ihipStream_tbENKUlT_T0_SI_SN_E_clIPtSD_S15_SD_EEDaS11_S12_SI_SN_EUlS11_E_NS1_11comp_targetILNS1_3genE2ELNS1_11target_archE906ELNS1_3gpuE6ELNS1_3repE0EEENS1_47radix_sort_onesweep_sort_config_static_selectorELNS0_4arch9wavefront6targetE1EEEvSI_: ; @_ZN7rocprim17ROCPRIM_400000_NS6detail17trampoline_kernelINS0_14default_configENS1_35radix_sort_onesweep_config_selectorIttEEZZNS1_29radix_sort_onesweep_iterationIS3_Lb0EN6thrust23THRUST_200600_302600_NS6detail15normal_iteratorINS8_10device_ptrItEEEESD_SD_SD_jNS0_19identity_decomposerENS1_16block_id_wrapperIjLb0EEEEE10hipError_tT1_PNSt15iterator_traitsISI_E10value_typeET2_T3_PNSJ_ISO_E10value_typeET4_T5_PST_SU_PNS1_23onesweep_lookback_stateEbbT6_jjT7_P12ihipStream_tbENKUlT_T0_SI_SN_E_clIPtSD_S15_SD_EEDaS11_S12_SI_SN_EUlS11_E_NS1_11comp_targetILNS1_3genE2ELNS1_11target_archE906ELNS1_3gpuE6ELNS1_3repE0EEENS1_47radix_sort_onesweep_sort_config_static_selectorELNS0_4arch9wavefront6targetE1EEEvSI_
; %bb.0:
	.section	.rodata,"a",@progbits
	.p2align	6, 0x0
	.amdhsa_kernel _ZN7rocprim17ROCPRIM_400000_NS6detail17trampoline_kernelINS0_14default_configENS1_35radix_sort_onesweep_config_selectorIttEEZZNS1_29radix_sort_onesweep_iterationIS3_Lb0EN6thrust23THRUST_200600_302600_NS6detail15normal_iteratorINS8_10device_ptrItEEEESD_SD_SD_jNS0_19identity_decomposerENS1_16block_id_wrapperIjLb0EEEEE10hipError_tT1_PNSt15iterator_traitsISI_E10value_typeET2_T3_PNSJ_ISO_E10value_typeET4_T5_PST_SU_PNS1_23onesweep_lookback_stateEbbT6_jjT7_P12ihipStream_tbENKUlT_T0_SI_SN_E_clIPtSD_S15_SD_EEDaS11_S12_SI_SN_EUlS11_E_NS1_11comp_targetILNS1_3genE2ELNS1_11target_archE906ELNS1_3gpuE6ELNS1_3repE0EEENS1_47radix_sort_onesweep_sort_config_static_selectorELNS0_4arch9wavefront6targetE1EEEvSI_
		.amdhsa_group_segment_fixed_size 0
		.amdhsa_private_segment_fixed_size 0
		.amdhsa_kernarg_size 88
		.amdhsa_user_sgpr_count 2
		.amdhsa_user_sgpr_dispatch_ptr 0
		.amdhsa_user_sgpr_queue_ptr 0
		.amdhsa_user_sgpr_kernarg_segment_ptr 1
		.amdhsa_user_sgpr_dispatch_id 0
		.amdhsa_user_sgpr_kernarg_preload_length 0
		.amdhsa_user_sgpr_kernarg_preload_offset 0
		.amdhsa_user_sgpr_private_segment_size 0
		.amdhsa_uses_dynamic_stack 0
		.amdhsa_enable_private_segment 0
		.amdhsa_system_sgpr_workgroup_id_x 1
		.amdhsa_system_sgpr_workgroup_id_y 0
		.amdhsa_system_sgpr_workgroup_id_z 0
		.amdhsa_system_sgpr_workgroup_info 0
		.amdhsa_system_vgpr_workitem_id 0
		.amdhsa_next_free_vgpr 1
		.amdhsa_next_free_sgpr 0
		.amdhsa_accum_offset 4
		.amdhsa_reserve_vcc 0
		.amdhsa_float_round_mode_32 0
		.amdhsa_float_round_mode_16_64 0
		.amdhsa_float_denorm_mode_32 3
		.amdhsa_float_denorm_mode_16_64 3
		.amdhsa_dx10_clamp 1
		.amdhsa_ieee_mode 1
		.amdhsa_fp16_overflow 0
		.amdhsa_tg_split 0
		.amdhsa_exception_fp_ieee_invalid_op 0
		.amdhsa_exception_fp_denorm_src 0
		.amdhsa_exception_fp_ieee_div_zero 0
		.amdhsa_exception_fp_ieee_overflow 0
		.amdhsa_exception_fp_ieee_underflow 0
		.amdhsa_exception_fp_ieee_inexact 0
		.amdhsa_exception_int_div_zero 0
	.end_amdhsa_kernel
	.section	.text._ZN7rocprim17ROCPRIM_400000_NS6detail17trampoline_kernelINS0_14default_configENS1_35radix_sort_onesweep_config_selectorIttEEZZNS1_29radix_sort_onesweep_iterationIS3_Lb0EN6thrust23THRUST_200600_302600_NS6detail15normal_iteratorINS8_10device_ptrItEEEESD_SD_SD_jNS0_19identity_decomposerENS1_16block_id_wrapperIjLb0EEEEE10hipError_tT1_PNSt15iterator_traitsISI_E10value_typeET2_T3_PNSJ_ISO_E10value_typeET4_T5_PST_SU_PNS1_23onesweep_lookback_stateEbbT6_jjT7_P12ihipStream_tbENKUlT_T0_SI_SN_E_clIPtSD_S15_SD_EEDaS11_S12_SI_SN_EUlS11_E_NS1_11comp_targetILNS1_3genE2ELNS1_11target_archE906ELNS1_3gpuE6ELNS1_3repE0EEENS1_47radix_sort_onesweep_sort_config_static_selectorELNS0_4arch9wavefront6targetE1EEEvSI_,"axG",@progbits,_ZN7rocprim17ROCPRIM_400000_NS6detail17trampoline_kernelINS0_14default_configENS1_35radix_sort_onesweep_config_selectorIttEEZZNS1_29radix_sort_onesweep_iterationIS3_Lb0EN6thrust23THRUST_200600_302600_NS6detail15normal_iteratorINS8_10device_ptrItEEEESD_SD_SD_jNS0_19identity_decomposerENS1_16block_id_wrapperIjLb0EEEEE10hipError_tT1_PNSt15iterator_traitsISI_E10value_typeET2_T3_PNSJ_ISO_E10value_typeET4_T5_PST_SU_PNS1_23onesweep_lookback_stateEbbT6_jjT7_P12ihipStream_tbENKUlT_T0_SI_SN_E_clIPtSD_S15_SD_EEDaS11_S12_SI_SN_EUlS11_E_NS1_11comp_targetILNS1_3genE2ELNS1_11target_archE906ELNS1_3gpuE6ELNS1_3repE0EEENS1_47radix_sort_onesweep_sort_config_static_selectorELNS0_4arch9wavefront6targetE1EEEvSI_,comdat
.Lfunc_end1022:
	.size	_ZN7rocprim17ROCPRIM_400000_NS6detail17trampoline_kernelINS0_14default_configENS1_35radix_sort_onesweep_config_selectorIttEEZZNS1_29radix_sort_onesweep_iterationIS3_Lb0EN6thrust23THRUST_200600_302600_NS6detail15normal_iteratorINS8_10device_ptrItEEEESD_SD_SD_jNS0_19identity_decomposerENS1_16block_id_wrapperIjLb0EEEEE10hipError_tT1_PNSt15iterator_traitsISI_E10value_typeET2_T3_PNSJ_ISO_E10value_typeET4_T5_PST_SU_PNS1_23onesweep_lookback_stateEbbT6_jjT7_P12ihipStream_tbENKUlT_T0_SI_SN_E_clIPtSD_S15_SD_EEDaS11_S12_SI_SN_EUlS11_E_NS1_11comp_targetILNS1_3genE2ELNS1_11target_archE906ELNS1_3gpuE6ELNS1_3repE0EEENS1_47radix_sort_onesweep_sort_config_static_selectorELNS0_4arch9wavefront6targetE1EEEvSI_, .Lfunc_end1022-_ZN7rocprim17ROCPRIM_400000_NS6detail17trampoline_kernelINS0_14default_configENS1_35radix_sort_onesweep_config_selectorIttEEZZNS1_29radix_sort_onesweep_iterationIS3_Lb0EN6thrust23THRUST_200600_302600_NS6detail15normal_iteratorINS8_10device_ptrItEEEESD_SD_SD_jNS0_19identity_decomposerENS1_16block_id_wrapperIjLb0EEEEE10hipError_tT1_PNSt15iterator_traitsISI_E10value_typeET2_T3_PNSJ_ISO_E10value_typeET4_T5_PST_SU_PNS1_23onesweep_lookback_stateEbbT6_jjT7_P12ihipStream_tbENKUlT_T0_SI_SN_E_clIPtSD_S15_SD_EEDaS11_S12_SI_SN_EUlS11_E_NS1_11comp_targetILNS1_3genE2ELNS1_11target_archE906ELNS1_3gpuE6ELNS1_3repE0EEENS1_47radix_sort_onesweep_sort_config_static_selectorELNS0_4arch9wavefront6targetE1EEEvSI_
                                        ; -- End function
	.set _ZN7rocprim17ROCPRIM_400000_NS6detail17trampoline_kernelINS0_14default_configENS1_35radix_sort_onesweep_config_selectorIttEEZZNS1_29radix_sort_onesweep_iterationIS3_Lb0EN6thrust23THRUST_200600_302600_NS6detail15normal_iteratorINS8_10device_ptrItEEEESD_SD_SD_jNS0_19identity_decomposerENS1_16block_id_wrapperIjLb0EEEEE10hipError_tT1_PNSt15iterator_traitsISI_E10value_typeET2_T3_PNSJ_ISO_E10value_typeET4_T5_PST_SU_PNS1_23onesweep_lookback_stateEbbT6_jjT7_P12ihipStream_tbENKUlT_T0_SI_SN_E_clIPtSD_S15_SD_EEDaS11_S12_SI_SN_EUlS11_E_NS1_11comp_targetILNS1_3genE2ELNS1_11target_archE906ELNS1_3gpuE6ELNS1_3repE0EEENS1_47radix_sort_onesweep_sort_config_static_selectorELNS0_4arch9wavefront6targetE1EEEvSI_.num_vgpr, 0
	.set _ZN7rocprim17ROCPRIM_400000_NS6detail17trampoline_kernelINS0_14default_configENS1_35radix_sort_onesweep_config_selectorIttEEZZNS1_29radix_sort_onesweep_iterationIS3_Lb0EN6thrust23THRUST_200600_302600_NS6detail15normal_iteratorINS8_10device_ptrItEEEESD_SD_SD_jNS0_19identity_decomposerENS1_16block_id_wrapperIjLb0EEEEE10hipError_tT1_PNSt15iterator_traitsISI_E10value_typeET2_T3_PNSJ_ISO_E10value_typeET4_T5_PST_SU_PNS1_23onesweep_lookback_stateEbbT6_jjT7_P12ihipStream_tbENKUlT_T0_SI_SN_E_clIPtSD_S15_SD_EEDaS11_S12_SI_SN_EUlS11_E_NS1_11comp_targetILNS1_3genE2ELNS1_11target_archE906ELNS1_3gpuE6ELNS1_3repE0EEENS1_47radix_sort_onesweep_sort_config_static_selectorELNS0_4arch9wavefront6targetE1EEEvSI_.num_agpr, 0
	.set _ZN7rocprim17ROCPRIM_400000_NS6detail17trampoline_kernelINS0_14default_configENS1_35radix_sort_onesweep_config_selectorIttEEZZNS1_29radix_sort_onesweep_iterationIS3_Lb0EN6thrust23THRUST_200600_302600_NS6detail15normal_iteratorINS8_10device_ptrItEEEESD_SD_SD_jNS0_19identity_decomposerENS1_16block_id_wrapperIjLb0EEEEE10hipError_tT1_PNSt15iterator_traitsISI_E10value_typeET2_T3_PNSJ_ISO_E10value_typeET4_T5_PST_SU_PNS1_23onesweep_lookback_stateEbbT6_jjT7_P12ihipStream_tbENKUlT_T0_SI_SN_E_clIPtSD_S15_SD_EEDaS11_S12_SI_SN_EUlS11_E_NS1_11comp_targetILNS1_3genE2ELNS1_11target_archE906ELNS1_3gpuE6ELNS1_3repE0EEENS1_47radix_sort_onesweep_sort_config_static_selectorELNS0_4arch9wavefront6targetE1EEEvSI_.numbered_sgpr, 0
	.set _ZN7rocprim17ROCPRIM_400000_NS6detail17trampoline_kernelINS0_14default_configENS1_35radix_sort_onesweep_config_selectorIttEEZZNS1_29radix_sort_onesweep_iterationIS3_Lb0EN6thrust23THRUST_200600_302600_NS6detail15normal_iteratorINS8_10device_ptrItEEEESD_SD_SD_jNS0_19identity_decomposerENS1_16block_id_wrapperIjLb0EEEEE10hipError_tT1_PNSt15iterator_traitsISI_E10value_typeET2_T3_PNSJ_ISO_E10value_typeET4_T5_PST_SU_PNS1_23onesweep_lookback_stateEbbT6_jjT7_P12ihipStream_tbENKUlT_T0_SI_SN_E_clIPtSD_S15_SD_EEDaS11_S12_SI_SN_EUlS11_E_NS1_11comp_targetILNS1_3genE2ELNS1_11target_archE906ELNS1_3gpuE6ELNS1_3repE0EEENS1_47radix_sort_onesweep_sort_config_static_selectorELNS0_4arch9wavefront6targetE1EEEvSI_.num_named_barrier, 0
	.set _ZN7rocprim17ROCPRIM_400000_NS6detail17trampoline_kernelINS0_14default_configENS1_35radix_sort_onesweep_config_selectorIttEEZZNS1_29radix_sort_onesweep_iterationIS3_Lb0EN6thrust23THRUST_200600_302600_NS6detail15normal_iteratorINS8_10device_ptrItEEEESD_SD_SD_jNS0_19identity_decomposerENS1_16block_id_wrapperIjLb0EEEEE10hipError_tT1_PNSt15iterator_traitsISI_E10value_typeET2_T3_PNSJ_ISO_E10value_typeET4_T5_PST_SU_PNS1_23onesweep_lookback_stateEbbT6_jjT7_P12ihipStream_tbENKUlT_T0_SI_SN_E_clIPtSD_S15_SD_EEDaS11_S12_SI_SN_EUlS11_E_NS1_11comp_targetILNS1_3genE2ELNS1_11target_archE906ELNS1_3gpuE6ELNS1_3repE0EEENS1_47radix_sort_onesweep_sort_config_static_selectorELNS0_4arch9wavefront6targetE1EEEvSI_.private_seg_size, 0
	.set _ZN7rocprim17ROCPRIM_400000_NS6detail17trampoline_kernelINS0_14default_configENS1_35radix_sort_onesweep_config_selectorIttEEZZNS1_29radix_sort_onesweep_iterationIS3_Lb0EN6thrust23THRUST_200600_302600_NS6detail15normal_iteratorINS8_10device_ptrItEEEESD_SD_SD_jNS0_19identity_decomposerENS1_16block_id_wrapperIjLb0EEEEE10hipError_tT1_PNSt15iterator_traitsISI_E10value_typeET2_T3_PNSJ_ISO_E10value_typeET4_T5_PST_SU_PNS1_23onesweep_lookback_stateEbbT6_jjT7_P12ihipStream_tbENKUlT_T0_SI_SN_E_clIPtSD_S15_SD_EEDaS11_S12_SI_SN_EUlS11_E_NS1_11comp_targetILNS1_3genE2ELNS1_11target_archE906ELNS1_3gpuE6ELNS1_3repE0EEENS1_47radix_sort_onesweep_sort_config_static_selectorELNS0_4arch9wavefront6targetE1EEEvSI_.uses_vcc, 0
	.set _ZN7rocprim17ROCPRIM_400000_NS6detail17trampoline_kernelINS0_14default_configENS1_35radix_sort_onesweep_config_selectorIttEEZZNS1_29radix_sort_onesweep_iterationIS3_Lb0EN6thrust23THRUST_200600_302600_NS6detail15normal_iteratorINS8_10device_ptrItEEEESD_SD_SD_jNS0_19identity_decomposerENS1_16block_id_wrapperIjLb0EEEEE10hipError_tT1_PNSt15iterator_traitsISI_E10value_typeET2_T3_PNSJ_ISO_E10value_typeET4_T5_PST_SU_PNS1_23onesweep_lookback_stateEbbT6_jjT7_P12ihipStream_tbENKUlT_T0_SI_SN_E_clIPtSD_S15_SD_EEDaS11_S12_SI_SN_EUlS11_E_NS1_11comp_targetILNS1_3genE2ELNS1_11target_archE906ELNS1_3gpuE6ELNS1_3repE0EEENS1_47radix_sort_onesweep_sort_config_static_selectorELNS0_4arch9wavefront6targetE1EEEvSI_.uses_flat_scratch, 0
	.set _ZN7rocprim17ROCPRIM_400000_NS6detail17trampoline_kernelINS0_14default_configENS1_35radix_sort_onesweep_config_selectorIttEEZZNS1_29radix_sort_onesweep_iterationIS3_Lb0EN6thrust23THRUST_200600_302600_NS6detail15normal_iteratorINS8_10device_ptrItEEEESD_SD_SD_jNS0_19identity_decomposerENS1_16block_id_wrapperIjLb0EEEEE10hipError_tT1_PNSt15iterator_traitsISI_E10value_typeET2_T3_PNSJ_ISO_E10value_typeET4_T5_PST_SU_PNS1_23onesweep_lookback_stateEbbT6_jjT7_P12ihipStream_tbENKUlT_T0_SI_SN_E_clIPtSD_S15_SD_EEDaS11_S12_SI_SN_EUlS11_E_NS1_11comp_targetILNS1_3genE2ELNS1_11target_archE906ELNS1_3gpuE6ELNS1_3repE0EEENS1_47radix_sort_onesweep_sort_config_static_selectorELNS0_4arch9wavefront6targetE1EEEvSI_.has_dyn_sized_stack, 0
	.set _ZN7rocprim17ROCPRIM_400000_NS6detail17trampoline_kernelINS0_14default_configENS1_35radix_sort_onesweep_config_selectorIttEEZZNS1_29radix_sort_onesweep_iterationIS3_Lb0EN6thrust23THRUST_200600_302600_NS6detail15normal_iteratorINS8_10device_ptrItEEEESD_SD_SD_jNS0_19identity_decomposerENS1_16block_id_wrapperIjLb0EEEEE10hipError_tT1_PNSt15iterator_traitsISI_E10value_typeET2_T3_PNSJ_ISO_E10value_typeET4_T5_PST_SU_PNS1_23onesweep_lookback_stateEbbT6_jjT7_P12ihipStream_tbENKUlT_T0_SI_SN_E_clIPtSD_S15_SD_EEDaS11_S12_SI_SN_EUlS11_E_NS1_11comp_targetILNS1_3genE2ELNS1_11target_archE906ELNS1_3gpuE6ELNS1_3repE0EEENS1_47radix_sort_onesweep_sort_config_static_selectorELNS0_4arch9wavefront6targetE1EEEvSI_.has_recursion, 0
	.set _ZN7rocprim17ROCPRIM_400000_NS6detail17trampoline_kernelINS0_14default_configENS1_35radix_sort_onesweep_config_selectorIttEEZZNS1_29radix_sort_onesweep_iterationIS3_Lb0EN6thrust23THRUST_200600_302600_NS6detail15normal_iteratorINS8_10device_ptrItEEEESD_SD_SD_jNS0_19identity_decomposerENS1_16block_id_wrapperIjLb0EEEEE10hipError_tT1_PNSt15iterator_traitsISI_E10value_typeET2_T3_PNSJ_ISO_E10value_typeET4_T5_PST_SU_PNS1_23onesweep_lookback_stateEbbT6_jjT7_P12ihipStream_tbENKUlT_T0_SI_SN_E_clIPtSD_S15_SD_EEDaS11_S12_SI_SN_EUlS11_E_NS1_11comp_targetILNS1_3genE2ELNS1_11target_archE906ELNS1_3gpuE6ELNS1_3repE0EEENS1_47radix_sort_onesweep_sort_config_static_selectorELNS0_4arch9wavefront6targetE1EEEvSI_.has_indirect_call, 0
	.section	.AMDGPU.csdata,"",@progbits
; Kernel info:
; codeLenInByte = 0
; TotalNumSgprs: 6
; NumVgprs: 0
; NumAgprs: 0
; TotalNumVgprs: 0
; ScratchSize: 0
; MemoryBound: 0
; FloatMode: 240
; IeeeMode: 1
; LDSByteSize: 0 bytes/workgroup (compile time only)
; SGPRBlocks: 0
; VGPRBlocks: 0
; NumSGPRsForWavesPerEU: 6
; NumVGPRsForWavesPerEU: 1
; AccumOffset: 4
; Occupancy: 8
; WaveLimiterHint : 0
; COMPUTE_PGM_RSRC2:SCRATCH_EN: 0
; COMPUTE_PGM_RSRC2:USER_SGPR: 2
; COMPUTE_PGM_RSRC2:TRAP_HANDLER: 0
; COMPUTE_PGM_RSRC2:TGID_X_EN: 1
; COMPUTE_PGM_RSRC2:TGID_Y_EN: 0
; COMPUTE_PGM_RSRC2:TGID_Z_EN: 0
; COMPUTE_PGM_RSRC2:TIDIG_COMP_CNT: 0
; COMPUTE_PGM_RSRC3_GFX90A:ACCUM_OFFSET: 0
; COMPUTE_PGM_RSRC3_GFX90A:TG_SPLIT: 0
	.section	.text._ZN7rocprim17ROCPRIM_400000_NS6detail17trampoline_kernelINS0_14default_configENS1_35radix_sort_onesweep_config_selectorIttEEZZNS1_29radix_sort_onesweep_iterationIS3_Lb0EN6thrust23THRUST_200600_302600_NS6detail15normal_iteratorINS8_10device_ptrItEEEESD_SD_SD_jNS0_19identity_decomposerENS1_16block_id_wrapperIjLb0EEEEE10hipError_tT1_PNSt15iterator_traitsISI_E10value_typeET2_T3_PNSJ_ISO_E10value_typeET4_T5_PST_SU_PNS1_23onesweep_lookback_stateEbbT6_jjT7_P12ihipStream_tbENKUlT_T0_SI_SN_E_clIPtSD_S15_SD_EEDaS11_S12_SI_SN_EUlS11_E_NS1_11comp_targetILNS1_3genE4ELNS1_11target_archE910ELNS1_3gpuE8ELNS1_3repE0EEENS1_47radix_sort_onesweep_sort_config_static_selectorELNS0_4arch9wavefront6targetE1EEEvSI_,"axG",@progbits,_ZN7rocprim17ROCPRIM_400000_NS6detail17trampoline_kernelINS0_14default_configENS1_35radix_sort_onesweep_config_selectorIttEEZZNS1_29radix_sort_onesweep_iterationIS3_Lb0EN6thrust23THRUST_200600_302600_NS6detail15normal_iteratorINS8_10device_ptrItEEEESD_SD_SD_jNS0_19identity_decomposerENS1_16block_id_wrapperIjLb0EEEEE10hipError_tT1_PNSt15iterator_traitsISI_E10value_typeET2_T3_PNSJ_ISO_E10value_typeET4_T5_PST_SU_PNS1_23onesweep_lookback_stateEbbT6_jjT7_P12ihipStream_tbENKUlT_T0_SI_SN_E_clIPtSD_S15_SD_EEDaS11_S12_SI_SN_EUlS11_E_NS1_11comp_targetILNS1_3genE4ELNS1_11target_archE910ELNS1_3gpuE8ELNS1_3repE0EEENS1_47radix_sort_onesweep_sort_config_static_selectorELNS0_4arch9wavefront6targetE1EEEvSI_,comdat
	.protected	_ZN7rocprim17ROCPRIM_400000_NS6detail17trampoline_kernelINS0_14default_configENS1_35radix_sort_onesweep_config_selectorIttEEZZNS1_29radix_sort_onesweep_iterationIS3_Lb0EN6thrust23THRUST_200600_302600_NS6detail15normal_iteratorINS8_10device_ptrItEEEESD_SD_SD_jNS0_19identity_decomposerENS1_16block_id_wrapperIjLb0EEEEE10hipError_tT1_PNSt15iterator_traitsISI_E10value_typeET2_T3_PNSJ_ISO_E10value_typeET4_T5_PST_SU_PNS1_23onesweep_lookback_stateEbbT6_jjT7_P12ihipStream_tbENKUlT_T0_SI_SN_E_clIPtSD_S15_SD_EEDaS11_S12_SI_SN_EUlS11_E_NS1_11comp_targetILNS1_3genE4ELNS1_11target_archE910ELNS1_3gpuE8ELNS1_3repE0EEENS1_47radix_sort_onesweep_sort_config_static_selectorELNS0_4arch9wavefront6targetE1EEEvSI_ ; -- Begin function _ZN7rocprim17ROCPRIM_400000_NS6detail17trampoline_kernelINS0_14default_configENS1_35radix_sort_onesweep_config_selectorIttEEZZNS1_29radix_sort_onesweep_iterationIS3_Lb0EN6thrust23THRUST_200600_302600_NS6detail15normal_iteratorINS8_10device_ptrItEEEESD_SD_SD_jNS0_19identity_decomposerENS1_16block_id_wrapperIjLb0EEEEE10hipError_tT1_PNSt15iterator_traitsISI_E10value_typeET2_T3_PNSJ_ISO_E10value_typeET4_T5_PST_SU_PNS1_23onesweep_lookback_stateEbbT6_jjT7_P12ihipStream_tbENKUlT_T0_SI_SN_E_clIPtSD_S15_SD_EEDaS11_S12_SI_SN_EUlS11_E_NS1_11comp_targetILNS1_3genE4ELNS1_11target_archE910ELNS1_3gpuE8ELNS1_3repE0EEENS1_47radix_sort_onesweep_sort_config_static_selectorELNS0_4arch9wavefront6targetE1EEEvSI_
	.globl	_ZN7rocprim17ROCPRIM_400000_NS6detail17trampoline_kernelINS0_14default_configENS1_35radix_sort_onesweep_config_selectorIttEEZZNS1_29radix_sort_onesweep_iterationIS3_Lb0EN6thrust23THRUST_200600_302600_NS6detail15normal_iteratorINS8_10device_ptrItEEEESD_SD_SD_jNS0_19identity_decomposerENS1_16block_id_wrapperIjLb0EEEEE10hipError_tT1_PNSt15iterator_traitsISI_E10value_typeET2_T3_PNSJ_ISO_E10value_typeET4_T5_PST_SU_PNS1_23onesweep_lookback_stateEbbT6_jjT7_P12ihipStream_tbENKUlT_T0_SI_SN_E_clIPtSD_S15_SD_EEDaS11_S12_SI_SN_EUlS11_E_NS1_11comp_targetILNS1_3genE4ELNS1_11target_archE910ELNS1_3gpuE8ELNS1_3repE0EEENS1_47radix_sort_onesweep_sort_config_static_selectorELNS0_4arch9wavefront6targetE1EEEvSI_
	.p2align	8
	.type	_ZN7rocprim17ROCPRIM_400000_NS6detail17trampoline_kernelINS0_14default_configENS1_35radix_sort_onesweep_config_selectorIttEEZZNS1_29radix_sort_onesweep_iterationIS3_Lb0EN6thrust23THRUST_200600_302600_NS6detail15normal_iteratorINS8_10device_ptrItEEEESD_SD_SD_jNS0_19identity_decomposerENS1_16block_id_wrapperIjLb0EEEEE10hipError_tT1_PNSt15iterator_traitsISI_E10value_typeET2_T3_PNSJ_ISO_E10value_typeET4_T5_PST_SU_PNS1_23onesweep_lookback_stateEbbT6_jjT7_P12ihipStream_tbENKUlT_T0_SI_SN_E_clIPtSD_S15_SD_EEDaS11_S12_SI_SN_EUlS11_E_NS1_11comp_targetILNS1_3genE4ELNS1_11target_archE910ELNS1_3gpuE8ELNS1_3repE0EEENS1_47radix_sort_onesweep_sort_config_static_selectorELNS0_4arch9wavefront6targetE1EEEvSI_,@function
_ZN7rocprim17ROCPRIM_400000_NS6detail17trampoline_kernelINS0_14default_configENS1_35radix_sort_onesweep_config_selectorIttEEZZNS1_29radix_sort_onesweep_iterationIS3_Lb0EN6thrust23THRUST_200600_302600_NS6detail15normal_iteratorINS8_10device_ptrItEEEESD_SD_SD_jNS0_19identity_decomposerENS1_16block_id_wrapperIjLb0EEEEE10hipError_tT1_PNSt15iterator_traitsISI_E10value_typeET2_T3_PNSJ_ISO_E10value_typeET4_T5_PST_SU_PNS1_23onesweep_lookback_stateEbbT6_jjT7_P12ihipStream_tbENKUlT_T0_SI_SN_E_clIPtSD_S15_SD_EEDaS11_S12_SI_SN_EUlS11_E_NS1_11comp_targetILNS1_3genE4ELNS1_11target_archE910ELNS1_3gpuE8ELNS1_3repE0EEENS1_47radix_sort_onesweep_sort_config_static_selectorELNS0_4arch9wavefront6targetE1EEEvSI_: ; @_ZN7rocprim17ROCPRIM_400000_NS6detail17trampoline_kernelINS0_14default_configENS1_35radix_sort_onesweep_config_selectorIttEEZZNS1_29radix_sort_onesweep_iterationIS3_Lb0EN6thrust23THRUST_200600_302600_NS6detail15normal_iteratorINS8_10device_ptrItEEEESD_SD_SD_jNS0_19identity_decomposerENS1_16block_id_wrapperIjLb0EEEEE10hipError_tT1_PNSt15iterator_traitsISI_E10value_typeET2_T3_PNSJ_ISO_E10value_typeET4_T5_PST_SU_PNS1_23onesweep_lookback_stateEbbT6_jjT7_P12ihipStream_tbENKUlT_T0_SI_SN_E_clIPtSD_S15_SD_EEDaS11_S12_SI_SN_EUlS11_E_NS1_11comp_targetILNS1_3genE4ELNS1_11target_archE910ELNS1_3gpuE8ELNS1_3repE0EEENS1_47radix_sort_onesweep_sort_config_static_selectorELNS0_4arch9wavefront6targetE1EEEvSI_
; %bb.0:
	.section	.rodata,"a",@progbits
	.p2align	6, 0x0
	.amdhsa_kernel _ZN7rocprim17ROCPRIM_400000_NS6detail17trampoline_kernelINS0_14default_configENS1_35radix_sort_onesweep_config_selectorIttEEZZNS1_29radix_sort_onesweep_iterationIS3_Lb0EN6thrust23THRUST_200600_302600_NS6detail15normal_iteratorINS8_10device_ptrItEEEESD_SD_SD_jNS0_19identity_decomposerENS1_16block_id_wrapperIjLb0EEEEE10hipError_tT1_PNSt15iterator_traitsISI_E10value_typeET2_T3_PNSJ_ISO_E10value_typeET4_T5_PST_SU_PNS1_23onesweep_lookback_stateEbbT6_jjT7_P12ihipStream_tbENKUlT_T0_SI_SN_E_clIPtSD_S15_SD_EEDaS11_S12_SI_SN_EUlS11_E_NS1_11comp_targetILNS1_3genE4ELNS1_11target_archE910ELNS1_3gpuE8ELNS1_3repE0EEENS1_47radix_sort_onesweep_sort_config_static_selectorELNS0_4arch9wavefront6targetE1EEEvSI_
		.amdhsa_group_segment_fixed_size 0
		.amdhsa_private_segment_fixed_size 0
		.amdhsa_kernarg_size 88
		.amdhsa_user_sgpr_count 2
		.amdhsa_user_sgpr_dispatch_ptr 0
		.amdhsa_user_sgpr_queue_ptr 0
		.amdhsa_user_sgpr_kernarg_segment_ptr 1
		.amdhsa_user_sgpr_dispatch_id 0
		.amdhsa_user_sgpr_kernarg_preload_length 0
		.amdhsa_user_sgpr_kernarg_preload_offset 0
		.amdhsa_user_sgpr_private_segment_size 0
		.amdhsa_uses_dynamic_stack 0
		.amdhsa_enable_private_segment 0
		.amdhsa_system_sgpr_workgroup_id_x 1
		.amdhsa_system_sgpr_workgroup_id_y 0
		.amdhsa_system_sgpr_workgroup_id_z 0
		.amdhsa_system_sgpr_workgroup_info 0
		.amdhsa_system_vgpr_workitem_id 0
		.amdhsa_next_free_vgpr 1
		.amdhsa_next_free_sgpr 0
		.amdhsa_accum_offset 4
		.amdhsa_reserve_vcc 0
		.amdhsa_float_round_mode_32 0
		.amdhsa_float_round_mode_16_64 0
		.amdhsa_float_denorm_mode_32 3
		.amdhsa_float_denorm_mode_16_64 3
		.amdhsa_dx10_clamp 1
		.amdhsa_ieee_mode 1
		.amdhsa_fp16_overflow 0
		.amdhsa_tg_split 0
		.amdhsa_exception_fp_ieee_invalid_op 0
		.amdhsa_exception_fp_denorm_src 0
		.amdhsa_exception_fp_ieee_div_zero 0
		.amdhsa_exception_fp_ieee_overflow 0
		.amdhsa_exception_fp_ieee_underflow 0
		.amdhsa_exception_fp_ieee_inexact 0
		.amdhsa_exception_int_div_zero 0
	.end_amdhsa_kernel
	.section	.text._ZN7rocprim17ROCPRIM_400000_NS6detail17trampoline_kernelINS0_14default_configENS1_35radix_sort_onesweep_config_selectorIttEEZZNS1_29radix_sort_onesweep_iterationIS3_Lb0EN6thrust23THRUST_200600_302600_NS6detail15normal_iteratorINS8_10device_ptrItEEEESD_SD_SD_jNS0_19identity_decomposerENS1_16block_id_wrapperIjLb0EEEEE10hipError_tT1_PNSt15iterator_traitsISI_E10value_typeET2_T3_PNSJ_ISO_E10value_typeET4_T5_PST_SU_PNS1_23onesweep_lookback_stateEbbT6_jjT7_P12ihipStream_tbENKUlT_T0_SI_SN_E_clIPtSD_S15_SD_EEDaS11_S12_SI_SN_EUlS11_E_NS1_11comp_targetILNS1_3genE4ELNS1_11target_archE910ELNS1_3gpuE8ELNS1_3repE0EEENS1_47radix_sort_onesweep_sort_config_static_selectorELNS0_4arch9wavefront6targetE1EEEvSI_,"axG",@progbits,_ZN7rocprim17ROCPRIM_400000_NS6detail17trampoline_kernelINS0_14default_configENS1_35radix_sort_onesweep_config_selectorIttEEZZNS1_29radix_sort_onesweep_iterationIS3_Lb0EN6thrust23THRUST_200600_302600_NS6detail15normal_iteratorINS8_10device_ptrItEEEESD_SD_SD_jNS0_19identity_decomposerENS1_16block_id_wrapperIjLb0EEEEE10hipError_tT1_PNSt15iterator_traitsISI_E10value_typeET2_T3_PNSJ_ISO_E10value_typeET4_T5_PST_SU_PNS1_23onesweep_lookback_stateEbbT6_jjT7_P12ihipStream_tbENKUlT_T0_SI_SN_E_clIPtSD_S15_SD_EEDaS11_S12_SI_SN_EUlS11_E_NS1_11comp_targetILNS1_3genE4ELNS1_11target_archE910ELNS1_3gpuE8ELNS1_3repE0EEENS1_47radix_sort_onesweep_sort_config_static_selectorELNS0_4arch9wavefront6targetE1EEEvSI_,comdat
.Lfunc_end1023:
	.size	_ZN7rocprim17ROCPRIM_400000_NS6detail17trampoline_kernelINS0_14default_configENS1_35radix_sort_onesweep_config_selectorIttEEZZNS1_29radix_sort_onesweep_iterationIS3_Lb0EN6thrust23THRUST_200600_302600_NS6detail15normal_iteratorINS8_10device_ptrItEEEESD_SD_SD_jNS0_19identity_decomposerENS1_16block_id_wrapperIjLb0EEEEE10hipError_tT1_PNSt15iterator_traitsISI_E10value_typeET2_T3_PNSJ_ISO_E10value_typeET4_T5_PST_SU_PNS1_23onesweep_lookback_stateEbbT6_jjT7_P12ihipStream_tbENKUlT_T0_SI_SN_E_clIPtSD_S15_SD_EEDaS11_S12_SI_SN_EUlS11_E_NS1_11comp_targetILNS1_3genE4ELNS1_11target_archE910ELNS1_3gpuE8ELNS1_3repE0EEENS1_47radix_sort_onesweep_sort_config_static_selectorELNS0_4arch9wavefront6targetE1EEEvSI_, .Lfunc_end1023-_ZN7rocprim17ROCPRIM_400000_NS6detail17trampoline_kernelINS0_14default_configENS1_35radix_sort_onesweep_config_selectorIttEEZZNS1_29radix_sort_onesweep_iterationIS3_Lb0EN6thrust23THRUST_200600_302600_NS6detail15normal_iteratorINS8_10device_ptrItEEEESD_SD_SD_jNS0_19identity_decomposerENS1_16block_id_wrapperIjLb0EEEEE10hipError_tT1_PNSt15iterator_traitsISI_E10value_typeET2_T3_PNSJ_ISO_E10value_typeET4_T5_PST_SU_PNS1_23onesweep_lookback_stateEbbT6_jjT7_P12ihipStream_tbENKUlT_T0_SI_SN_E_clIPtSD_S15_SD_EEDaS11_S12_SI_SN_EUlS11_E_NS1_11comp_targetILNS1_3genE4ELNS1_11target_archE910ELNS1_3gpuE8ELNS1_3repE0EEENS1_47radix_sort_onesweep_sort_config_static_selectorELNS0_4arch9wavefront6targetE1EEEvSI_
                                        ; -- End function
	.set _ZN7rocprim17ROCPRIM_400000_NS6detail17trampoline_kernelINS0_14default_configENS1_35radix_sort_onesweep_config_selectorIttEEZZNS1_29radix_sort_onesweep_iterationIS3_Lb0EN6thrust23THRUST_200600_302600_NS6detail15normal_iteratorINS8_10device_ptrItEEEESD_SD_SD_jNS0_19identity_decomposerENS1_16block_id_wrapperIjLb0EEEEE10hipError_tT1_PNSt15iterator_traitsISI_E10value_typeET2_T3_PNSJ_ISO_E10value_typeET4_T5_PST_SU_PNS1_23onesweep_lookback_stateEbbT6_jjT7_P12ihipStream_tbENKUlT_T0_SI_SN_E_clIPtSD_S15_SD_EEDaS11_S12_SI_SN_EUlS11_E_NS1_11comp_targetILNS1_3genE4ELNS1_11target_archE910ELNS1_3gpuE8ELNS1_3repE0EEENS1_47radix_sort_onesweep_sort_config_static_selectorELNS0_4arch9wavefront6targetE1EEEvSI_.num_vgpr, 0
	.set _ZN7rocprim17ROCPRIM_400000_NS6detail17trampoline_kernelINS0_14default_configENS1_35radix_sort_onesweep_config_selectorIttEEZZNS1_29radix_sort_onesweep_iterationIS3_Lb0EN6thrust23THRUST_200600_302600_NS6detail15normal_iteratorINS8_10device_ptrItEEEESD_SD_SD_jNS0_19identity_decomposerENS1_16block_id_wrapperIjLb0EEEEE10hipError_tT1_PNSt15iterator_traitsISI_E10value_typeET2_T3_PNSJ_ISO_E10value_typeET4_T5_PST_SU_PNS1_23onesweep_lookback_stateEbbT6_jjT7_P12ihipStream_tbENKUlT_T0_SI_SN_E_clIPtSD_S15_SD_EEDaS11_S12_SI_SN_EUlS11_E_NS1_11comp_targetILNS1_3genE4ELNS1_11target_archE910ELNS1_3gpuE8ELNS1_3repE0EEENS1_47radix_sort_onesweep_sort_config_static_selectorELNS0_4arch9wavefront6targetE1EEEvSI_.num_agpr, 0
	.set _ZN7rocprim17ROCPRIM_400000_NS6detail17trampoline_kernelINS0_14default_configENS1_35radix_sort_onesweep_config_selectorIttEEZZNS1_29radix_sort_onesweep_iterationIS3_Lb0EN6thrust23THRUST_200600_302600_NS6detail15normal_iteratorINS8_10device_ptrItEEEESD_SD_SD_jNS0_19identity_decomposerENS1_16block_id_wrapperIjLb0EEEEE10hipError_tT1_PNSt15iterator_traitsISI_E10value_typeET2_T3_PNSJ_ISO_E10value_typeET4_T5_PST_SU_PNS1_23onesweep_lookback_stateEbbT6_jjT7_P12ihipStream_tbENKUlT_T0_SI_SN_E_clIPtSD_S15_SD_EEDaS11_S12_SI_SN_EUlS11_E_NS1_11comp_targetILNS1_3genE4ELNS1_11target_archE910ELNS1_3gpuE8ELNS1_3repE0EEENS1_47radix_sort_onesweep_sort_config_static_selectorELNS0_4arch9wavefront6targetE1EEEvSI_.numbered_sgpr, 0
	.set _ZN7rocprim17ROCPRIM_400000_NS6detail17trampoline_kernelINS0_14default_configENS1_35radix_sort_onesweep_config_selectorIttEEZZNS1_29radix_sort_onesweep_iterationIS3_Lb0EN6thrust23THRUST_200600_302600_NS6detail15normal_iteratorINS8_10device_ptrItEEEESD_SD_SD_jNS0_19identity_decomposerENS1_16block_id_wrapperIjLb0EEEEE10hipError_tT1_PNSt15iterator_traitsISI_E10value_typeET2_T3_PNSJ_ISO_E10value_typeET4_T5_PST_SU_PNS1_23onesweep_lookback_stateEbbT6_jjT7_P12ihipStream_tbENKUlT_T0_SI_SN_E_clIPtSD_S15_SD_EEDaS11_S12_SI_SN_EUlS11_E_NS1_11comp_targetILNS1_3genE4ELNS1_11target_archE910ELNS1_3gpuE8ELNS1_3repE0EEENS1_47radix_sort_onesweep_sort_config_static_selectorELNS0_4arch9wavefront6targetE1EEEvSI_.num_named_barrier, 0
	.set _ZN7rocprim17ROCPRIM_400000_NS6detail17trampoline_kernelINS0_14default_configENS1_35radix_sort_onesweep_config_selectorIttEEZZNS1_29radix_sort_onesweep_iterationIS3_Lb0EN6thrust23THRUST_200600_302600_NS6detail15normal_iteratorINS8_10device_ptrItEEEESD_SD_SD_jNS0_19identity_decomposerENS1_16block_id_wrapperIjLb0EEEEE10hipError_tT1_PNSt15iterator_traitsISI_E10value_typeET2_T3_PNSJ_ISO_E10value_typeET4_T5_PST_SU_PNS1_23onesweep_lookback_stateEbbT6_jjT7_P12ihipStream_tbENKUlT_T0_SI_SN_E_clIPtSD_S15_SD_EEDaS11_S12_SI_SN_EUlS11_E_NS1_11comp_targetILNS1_3genE4ELNS1_11target_archE910ELNS1_3gpuE8ELNS1_3repE0EEENS1_47radix_sort_onesweep_sort_config_static_selectorELNS0_4arch9wavefront6targetE1EEEvSI_.private_seg_size, 0
	.set _ZN7rocprim17ROCPRIM_400000_NS6detail17trampoline_kernelINS0_14default_configENS1_35radix_sort_onesweep_config_selectorIttEEZZNS1_29radix_sort_onesweep_iterationIS3_Lb0EN6thrust23THRUST_200600_302600_NS6detail15normal_iteratorINS8_10device_ptrItEEEESD_SD_SD_jNS0_19identity_decomposerENS1_16block_id_wrapperIjLb0EEEEE10hipError_tT1_PNSt15iterator_traitsISI_E10value_typeET2_T3_PNSJ_ISO_E10value_typeET4_T5_PST_SU_PNS1_23onesweep_lookback_stateEbbT6_jjT7_P12ihipStream_tbENKUlT_T0_SI_SN_E_clIPtSD_S15_SD_EEDaS11_S12_SI_SN_EUlS11_E_NS1_11comp_targetILNS1_3genE4ELNS1_11target_archE910ELNS1_3gpuE8ELNS1_3repE0EEENS1_47radix_sort_onesweep_sort_config_static_selectorELNS0_4arch9wavefront6targetE1EEEvSI_.uses_vcc, 0
	.set _ZN7rocprim17ROCPRIM_400000_NS6detail17trampoline_kernelINS0_14default_configENS1_35radix_sort_onesweep_config_selectorIttEEZZNS1_29radix_sort_onesweep_iterationIS3_Lb0EN6thrust23THRUST_200600_302600_NS6detail15normal_iteratorINS8_10device_ptrItEEEESD_SD_SD_jNS0_19identity_decomposerENS1_16block_id_wrapperIjLb0EEEEE10hipError_tT1_PNSt15iterator_traitsISI_E10value_typeET2_T3_PNSJ_ISO_E10value_typeET4_T5_PST_SU_PNS1_23onesweep_lookback_stateEbbT6_jjT7_P12ihipStream_tbENKUlT_T0_SI_SN_E_clIPtSD_S15_SD_EEDaS11_S12_SI_SN_EUlS11_E_NS1_11comp_targetILNS1_3genE4ELNS1_11target_archE910ELNS1_3gpuE8ELNS1_3repE0EEENS1_47radix_sort_onesweep_sort_config_static_selectorELNS0_4arch9wavefront6targetE1EEEvSI_.uses_flat_scratch, 0
	.set _ZN7rocprim17ROCPRIM_400000_NS6detail17trampoline_kernelINS0_14default_configENS1_35radix_sort_onesweep_config_selectorIttEEZZNS1_29radix_sort_onesweep_iterationIS3_Lb0EN6thrust23THRUST_200600_302600_NS6detail15normal_iteratorINS8_10device_ptrItEEEESD_SD_SD_jNS0_19identity_decomposerENS1_16block_id_wrapperIjLb0EEEEE10hipError_tT1_PNSt15iterator_traitsISI_E10value_typeET2_T3_PNSJ_ISO_E10value_typeET4_T5_PST_SU_PNS1_23onesweep_lookback_stateEbbT6_jjT7_P12ihipStream_tbENKUlT_T0_SI_SN_E_clIPtSD_S15_SD_EEDaS11_S12_SI_SN_EUlS11_E_NS1_11comp_targetILNS1_3genE4ELNS1_11target_archE910ELNS1_3gpuE8ELNS1_3repE0EEENS1_47radix_sort_onesweep_sort_config_static_selectorELNS0_4arch9wavefront6targetE1EEEvSI_.has_dyn_sized_stack, 0
	.set _ZN7rocprim17ROCPRIM_400000_NS6detail17trampoline_kernelINS0_14default_configENS1_35radix_sort_onesweep_config_selectorIttEEZZNS1_29radix_sort_onesweep_iterationIS3_Lb0EN6thrust23THRUST_200600_302600_NS6detail15normal_iteratorINS8_10device_ptrItEEEESD_SD_SD_jNS0_19identity_decomposerENS1_16block_id_wrapperIjLb0EEEEE10hipError_tT1_PNSt15iterator_traitsISI_E10value_typeET2_T3_PNSJ_ISO_E10value_typeET4_T5_PST_SU_PNS1_23onesweep_lookback_stateEbbT6_jjT7_P12ihipStream_tbENKUlT_T0_SI_SN_E_clIPtSD_S15_SD_EEDaS11_S12_SI_SN_EUlS11_E_NS1_11comp_targetILNS1_3genE4ELNS1_11target_archE910ELNS1_3gpuE8ELNS1_3repE0EEENS1_47radix_sort_onesweep_sort_config_static_selectorELNS0_4arch9wavefront6targetE1EEEvSI_.has_recursion, 0
	.set _ZN7rocprim17ROCPRIM_400000_NS6detail17trampoline_kernelINS0_14default_configENS1_35radix_sort_onesweep_config_selectorIttEEZZNS1_29radix_sort_onesweep_iterationIS3_Lb0EN6thrust23THRUST_200600_302600_NS6detail15normal_iteratorINS8_10device_ptrItEEEESD_SD_SD_jNS0_19identity_decomposerENS1_16block_id_wrapperIjLb0EEEEE10hipError_tT1_PNSt15iterator_traitsISI_E10value_typeET2_T3_PNSJ_ISO_E10value_typeET4_T5_PST_SU_PNS1_23onesweep_lookback_stateEbbT6_jjT7_P12ihipStream_tbENKUlT_T0_SI_SN_E_clIPtSD_S15_SD_EEDaS11_S12_SI_SN_EUlS11_E_NS1_11comp_targetILNS1_3genE4ELNS1_11target_archE910ELNS1_3gpuE8ELNS1_3repE0EEENS1_47radix_sort_onesweep_sort_config_static_selectorELNS0_4arch9wavefront6targetE1EEEvSI_.has_indirect_call, 0
	.section	.AMDGPU.csdata,"",@progbits
; Kernel info:
; codeLenInByte = 0
; TotalNumSgprs: 6
; NumVgprs: 0
; NumAgprs: 0
; TotalNumVgprs: 0
; ScratchSize: 0
; MemoryBound: 0
; FloatMode: 240
; IeeeMode: 1
; LDSByteSize: 0 bytes/workgroup (compile time only)
; SGPRBlocks: 0
; VGPRBlocks: 0
; NumSGPRsForWavesPerEU: 6
; NumVGPRsForWavesPerEU: 1
; AccumOffset: 4
; Occupancy: 8
; WaveLimiterHint : 0
; COMPUTE_PGM_RSRC2:SCRATCH_EN: 0
; COMPUTE_PGM_RSRC2:USER_SGPR: 2
; COMPUTE_PGM_RSRC2:TRAP_HANDLER: 0
; COMPUTE_PGM_RSRC2:TGID_X_EN: 1
; COMPUTE_PGM_RSRC2:TGID_Y_EN: 0
; COMPUTE_PGM_RSRC2:TGID_Z_EN: 0
; COMPUTE_PGM_RSRC2:TIDIG_COMP_CNT: 0
; COMPUTE_PGM_RSRC3_GFX90A:ACCUM_OFFSET: 0
; COMPUTE_PGM_RSRC3_GFX90A:TG_SPLIT: 0
	.section	.text._ZN7rocprim17ROCPRIM_400000_NS6detail17trampoline_kernelINS0_14default_configENS1_35radix_sort_onesweep_config_selectorIttEEZZNS1_29radix_sort_onesweep_iterationIS3_Lb0EN6thrust23THRUST_200600_302600_NS6detail15normal_iteratorINS8_10device_ptrItEEEESD_SD_SD_jNS0_19identity_decomposerENS1_16block_id_wrapperIjLb0EEEEE10hipError_tT1_PNSt15iterator_traitsISI_E10value_typeET2_T3_PNSJ_ISO_E10value_typeET4_T5_PST_SU_PNS1_23onesweep_lookback_stateEbbT6_jjT7_P12ihipStream_tbENKUlT_T0_SI_SN_E_clIPtSD_S15_SD_EEDaS11_S12_SI_SN_EUlS11_E_NS1_11comp_targetILNS1_3genE3ELNS1_11target_archE908ELNS1_3gpuE7ELNS1_3repE0EEENS1_47radix_sort_onesweep_sort_config_static_selectorELNS0_4arch9wavefront6targetE1EEEvSI_,"axG",@progbits,_ZN7rocprim17ROCPRIM_400000_NS6detail17trampoline_kernelINS0_14default_configENS1_35radix_sort_onesweep_config_selectorIttEEZZNS1_29radix_sort_onesweep_iterationIS3_Lb0EN6thrust23THRUST_200600_302600_NS6detail15normal_iteratorINS8_10device_ptrItEEEESD_SD_SD_jNS0_19identity_decomposerENS1_16block_id_wrapperIjLb0EEEEE10hipError_tT1_PNSt15iterator_traitsISI_E10value_typeET2_T3_PNSJ_ISO_E10value_typeET4_T5_PST_SU_PNS1_23onesweep_lookback_stateEbbT6_jjT7_P12ihipStream_tbENKUlT_T0_SI_SN_E_clIPtSD_S15_SD_EEDaS11_S12_SI_SN_EUlS11_E_NS1_11comp_targetILNS1_3genE3ELNS1_11target_archE908ELNS1_3gpuE7ELNS1_3repE0EEENS1_47radix_sort_onesweep_sort_config_static_selectorELNS0_4arch9wavefront6targetE1EEEvSI_,comdat
	.protected	_ZN7rocprim17ROCPRIM_400000_NS6detail17trampoline_kernelINS0_14default_configENS1_35radix_sort_onesweep_config_selectorIttEEZZNS1_29radix_sort_onesweep_iterationIS3_Lb0EN6thrust23THRUST_200600_302600_NS6detail15normal_iteratorINS8_10device_ptrItEEEESD_SD_SD_jNS0_19identity_decomposerENS1_16block_id_wrapperIjLb0EEEEE10hipError_tT1_PNSt15iterator_traitsISI_E10value_typeET2_T3_PNSJ_ISO_E10value_typeET4_T5_PST_SU_PNS1_23onesweep_lookback_stateEbbT6_jjT7_P12ihipStream_tbENKUlT_T0_SI_SN_E_clIPtSD_S15_SD_EEDaS11_S12_SI_SN_EUlS11_E_NS1_11comp_targetILNS1_3genE3ELNS1_11target_archE908ELNS1_3gpuE7ELNS1_3repE0EEENS1_47radix_sort_onesweep_sort_config_static_selectorELNS0_4arch9wavefront6targetE1EEEvSI_ ; -- Begin function _ZN7rocprim17ROCPRIM_400000_NS6detail17trampoline_kernelINS0_14default_configENS1_35radix_sort_onesweep_config_selectorIttEEZZNS1_29radix_sort_onesweep_iterationIS3_Lb0EN6thrust23THRUST_200600_302600_NS6detail15normal_iteratorINS8_10device_ptrItEEEESD_SD_SD_jNS0_19identity_decomposerENS1_16block_id_wrapperIjLb0EEEEE10hipError_tT1_PNSt15iterator_traitsISI_E10value_typeET2_T3_PNSJ_ISO_E10value_typeET4_T5_PST_SU_PNS1_23onesweep_lookback_stateEbbT6_jjT7_P12ihipStream_tbENKUlT_T0_SI_SN_E_clIPtSD_S15_SD_EEDaS11_S12_SI_SN_EUlS11_E_NS1_11comp_targetILNS1_3genE3ELNS1_11target_archE908ELNS1_3gpuE7ELNS1_3repE0EEENS1_47radix_sort_onesweep_sort_config_static_selectorELNS0_4arch9wavefront6targetE1EEEvSI_
	.globl	_ZN7rocprim17ROCPRIM_400000_NS6detail17trampoline_kernelINS0_14default_configENS1_35radix_sort_onesweep_config_selectorIttEEZZNS1_29radix_sort_onesweep_iterationIS3_Lb0EN6thrust23THRUST_200600_302600_NS6detail15normal_iteratorINS8_10device_ptrItEEEESD_SD_SD_jNS0_19identity_decomposerENS1_16block_id_wrapperIjLb0EEEEE10hipError_tT1_PNSt15iterator_traitsISI_E10value_typeET2_T3_PNSJ_ISO_E10value_typeET4_T5_PST_SU_PNS1_23onesweep_lookback_stateEbbT6_jjT7_P12ihipStream_tbENKUlT_T0_SI_SN_E_clIPtSD_S15_SD_EEDaS11_S12_SI_SN_EUlS11_E_NS1_11comp_targetILNS1_3genE3ELNS1_11target_archE908ELNS1_3gpuE7ELNS1_3repE0EEENS1_47radix_sort_onesweep_sort_config_static_selectorELNS0_4arch9wavefront6targetE1EEEvSI_
	.p2align	8
	.type	_ZN7rocprim17ROCPRIM_400000_NS6detail17trampoline_kernelINS0_14default_configENS1_35radix_sort_onesweep_config_selectorIttEEZZNS1_29radix_sort_onesweep_iterationIS3_Lb0EN6thrust23THRUST_200600_302600_NS6detail15normal_iteratorINS8_10device_ptrItEEEESD_SD_SD_jNS0_19identity_decomposerENS1_16block_id_wrapperIjLb0EEEEE10hipError_tT1_PNSt15iterator_traitsISI_E10value_typeET2_T3_PNSJ_ISO_E10value_typeET4_T5_PST_SU_PNS1_23onesweep_lookback_stateEbbT6_jjT7_P12ihipStream_tbENKUlT_T0_SI_SN_E_clIPtSD_S15_SD_EEDaS11_S12_SI_SN_EUlS11_E_NS1_11comp_targetILNS1_3genE3ELNS1_11target_archE908ELNS1_3gpuE7ELNS1_3repE0EEENS1_47radix_sort_onesweep_sort_config_static_selectorELNS0_4arch9wavefront6targetE1EEEvSI_,@function
_ZN7rocprim17ROCPRIM_400000_NS6detail17trampoline_kernelINS0_14default_configENS1_35radix_sort_onesweep_config_selectorIttEEZZNS1_29radix_sort_onesweep_iterationIS3_Lb0EN6thrust23THRUST_200600_302600_NS6detail15normal_iteratorINS8_10device_ptrItEEEESD_SD_SD_jNS0_19identity_decomposerENS1_16block_id_wrapperIjLb0EEEEE10hipError_tT1_PNSt15iterator_traitsISI_E10value_typeET2_T3_PNSJ_ISO_E10value_typeET4_T5_PST_SU_PNS1_23onesweep_lookback_stateEbbT6_jjT7_P12ihipStream_tbENKUlT_T0_SI_SN_E_clIPtSD_S15_SD_EEDaS11_S12_SI_SN_EUlS11_E_NS1_11comp_targetILNS1_3genE3ELNS1_11target_archE908ELNS1_3gpuE7ELNS1_3repE0EEENS1_47radix_sort_onesweep_sort_config_static_selectorELNS0_4arch9wavefront6targetE1EEEvSI_: ; @_ZN7rocprim17ROCPRIM_400000_NS6detail17trampoline_kernelINS0_14default_configENS1_35radix_sort_onesweep_config_selectorIttEEZZNS1_29radix_sort_onesweep_iterationIS3_Lb0EN6thrust23THRUST_200600_302600_NS6detail15normal_iteratorINS8_10device_ptrItEEEESD_SD_SD_jNS0_19identity_decomposerENS1_16block_id_wrapperIjLb0EEEEE10hipError_tT1_PNSt15iterator_traitsISI_E10value_typeET2_T3_PNSJ_ISO_E10value_typeET4_T5_PST_SU_PNS1_23onesweep_lookback_stateEbbT6_jjT7_P12ihipStream_tbENKUlT_T0_SI_SN_E_clIPtSD_S15_SD_EEDaS11_S12_SI_SN_EUlS11_E_NS1_11comp_targetILNS1_3genE3ELNS1_11target_archE908ELNS1_3gpuE7ELNS1_3repE0EEENS1_47radix_sort_onesweep_sort_config_static_selectorELNS0_4arch9wavefront6targetE1EEEvSI_
; %bb.0:
	.section	.rodata,"a",@progbits
	.p2align	6, 0x0
	.amdhsa_kernel _ZN7rocprim17ROCPRIM_400000_NS6detail17trampoline_kernelINS0_14default_configENS1_35radix_sort_onesweep_config_selectorIttEEZZNS1_29radix_sort_onesweep_iterationIS3_Lb0EN6thrust23THRUST_200600_302600_NS6detail15normal_iteratorINS8_10device_ptrItEEEESD_SD_SD_jNS0_19identity_decomposerENS1_16block_id_wrapperIjLb0EEEEE10hipError_tT1_PNSt15iterator_traitsISI_E10value_typeET2_T3_PNSJ_ISO_E10value_typeET4_T5_PST_SU_PNS1_23onesweep_lookback_stateEbbT6_jjT7_P12ihipStream_tbENKUlT_T0_SI_SN_E_clIPtSD_S15_SD_EEDaS11_S12_SI_SN_EUlS11_E_NS1_11comp_targetILNS1_3genE3ELNS1_11target_archE908ELNS1_3gpuE7ELNS1_3repE0EEENS1_47radix_sort_onesweep_sort_config_static_selectorELNS0_4arch9wavefront6targetE1EEEvSI_
		.amdhsa_group_segment_fixed_size 0
		.amdhsa_private_segment_fixed_size 0
		.amdhsa_kernarg_size 88
		.amdhsa_user_sgpr_count 2
		.amdhsa_user_sgpr_dispatch_ptr 0
		.amdhsa_user_sgpr_queue_ptr 0
		.amdhsa_user_sgpr_kernarg_segment_ptr 1
		.amdhsa_user_sgpr_dispatch_id 0
		.amdhsa_user_sgpr_kernarg_preload_length 0
		.amdhsa_user_sgpr_kernarg_preload_offset 0
		.amdhsa_user_sgpr_private_segment_size 0
		.amdhsa_uses_dynamic_stack 0
		.amdhsa_enable_private_segment 0
		.amdhsa_system_sgpr_workgroup_id_x 1
		.amdhsa_system_sgpr_workgroup_id_y 0
		.amdhsa_system_sgpr_workgroup_id_z 0
		.amdhsa_system_sgpr_workgroup_info 0
		.amdhsa_system_vgpr_workitem_id 0
		.amdhsa_next_free_vgpr 1
		.amdhsa_next_free_sgpr 0
		.amdhsa_accum_offset 4
		.amdhsa_reserve_vcc 0
		.amdhsa_float_round_mode_32 0
		.amdhsa_float_round_mode_16_64 0
		.amdhsa_float_denorm_mode_32 3
		.amdhsa_float_denorm_mode_16_64 3
		.amdhsa_dx10_clamp 1
		.amdhsa_ieee_mode 1
		.amdhsa_fp16_overflow 0
		.amdhsa_tg_split 0
		.amdhsa_exception_fp_ieee_invalid_op 0
		.amdhsa_exception_fp_denorm_src 0
		.amdhsa_exception_fp_ieee_div_zero 0
		.amdhsa_exception_fp_ieee_overflow 0
		.amdhsa_exception_fp_ieee_underflow 0
		.amdhsa_exception_fp_ieee_inexact 0
		.amdhsa_exception_int_div_zero 0
	.end_amdhsa_kernel
	.section	.text._ZN7rocprim17ROCPRIM_400000_NS6detail17trampoline_kernelINS0_14default_configENS1_35radix_sort_onesweep_config_selectorIttEEZZNS1_29radix_sort_onesweep_iterationIS3_Lb0EN6thrust23THRUST_200600_302600_NS6detail15normal_iteratorINS8_10device_ptrItEEEESD_SD_SD_jNS0_19identity_decomposerENS1_16block_id_wrapperIjLb0EEEEE10hipError_tT1_PNSt15iterator_traitsISI_E10value_typeET2_T3_PNSJ_ISO_E10value_typeET4_T5_PST_SU_PNS1_23onesweep_lookback_stateEbbT6_jjT7_P12ihipStream_tbENKUlT_T0_SI_SN_E_clIPtSD_S15_SD_EEDaS11_S12_SI_SN_EUlS11_E_NS1_11comp_targetILNS1_3genE3ELNS1_11target_archE908ELNS1_3gpuE7ELNS1_3repE0EEENS1_47radix_sort_onesweep_sort_config_static_selectorELNS0_4arch9wavefront6targetE1EEEvSI_,"axG",@progbits,_ZN7rocprim17ROCPRIM_400000_NS6detail17trampoline_kernelINS0_14default_configENS1_35radix_sort_onesweep_config_selectorIttEEZZNS1_29radix_sort_onesweep_iterationIS3_Lb0EN6thrust23THRUST_200600_302600_NS6detail15normal_iteratorINS8_10device_ptrItEEEESD_SD_SD_jNS0_19identity_decomposerENS1_16block_id_wrapperIjLb0EEEEE10hipError_tT1_PNSt15iterator_traitsISI_E10value_typeET2_T3_PNSJ_ISO_E10value_typeET4_T5_PST_SU_PNS1_23onesweep_lookback_stateEbbT6_jjT7_P12ihipStream_tbENKUlT_T0_SI_SN_E_clIPtSD_S15_SD_EEDaS11_S12_SI_SN_EUlS11_E_NS1_11comp_targetILNS1_3genE3ELNS1_11target_archE908ELNS1_3gpuE7ELNS1_3repE0EEENS1_47radix_sort_onesweep_sort_config_static_selectorELNS0_4arch9wavefront6targetE1EEEvSI_,comdat
.Lfunc_end1024:
	.size	_ZN7rocprim17ROCPRIM_400000_NS6detail17trampoline_kernelINS0_14default_configENS1_35radix_sort_onesweep_config_selectorIttEEZZNS1_29radix_sort_onesweep_iterationIS3_Lb0EN6thrust23THRUST_200600_302600_NS6detail15normal_iteratorINS8_10device_ptrItEEEESD_SD_SD_jNS0_19identity_decomposerENS1_16block_id_wrapperIjLb0EEEEE10hipError_tT1_PNSt15iterator_traitsISI_E10value_typeET2_T3_PNSJ_ISO_E10value_typeET4_T5_PST_SU_PNS1_23onesweep_lookback_stateEbbT6_jjT7_P12ihipStream_tbENKUlT_T0_SI_SN_E_clIPtSD_S15_SD_EEDaS11_S12_SI_SN_EUlS11_E_NS1_11comp_targetILNS1_3genE3ELNS1_11target_archE908ELNS1_3gpuE7ELNS1_3repE0EEENS1_47radix_sort_onesweep_sort_config_static_selectorELNS0_4arch9wavefront6targetE1EEEvSI_, .Lfunc_end1024-_ZN7rocprim17ROCPRIM_400000_NS6detail17trampoline_kernelINS0_14default_configENS1_35radix_sort_onesweep_config_selectorIttEEZZNS1_29radix_sort_onesweep_iterationIS3_Lb0EN6thrust23THRUST_200600_302600_NS6detail15normal_iteratorINS8_10device_ptrItEEEESD_SD_SD_jNS0_19identity_decomposerENS1_16block_id_wrapperIjLb0EEEEE10hipError_tT1_PNSt15iterator_traitsISI_E10value_typeET2_T3_PNSJ_ISO_E10value_typeET4_T5_PST_SU_PNS1_23onesweep_lookback_stateEbbT6_jjT7_P12ihipStream_tbENKUlT_T0_SI_SN_E_clIPtSD_S15_SD_EEDaS11_S12_SI_SN_EUlS11_E_NS1_11comp_targetILNS1_3genE3ELNS1_11target_archE908ELNS1_3gpuE7ELNS1_3repE0EEENS1_47radix_sort_onesweep_sort_config_static_selectorELNS0_4arch9wavefront6targetE1EEEvSI_
                                        ; -- End function
	.set _ZN7rocprim17ROCPRIM_400000_NS6detail17trampoline_kernelINS0_14default_configENS1_35radix_sort_onesweep_config_selectorIttEEZZNS1_29radix_sort_onesweep_iterationIS3_Lb0EN6thrust23THRUST_200600_302600_NS6detail15normal_iteratorINS8_10device_ptrItEEEESD_SD_SD_jNS0_19identity_decomposerENS1_16block_id_wrapperIjLb0EEEEE10hipError_tT1_PNSt15iterator_traitsISI_E10value_typeET2_T3_PNSJ_ISO_E10value_typeET4_T5_PST_SU_PNS1_23onesweep_lookback_stateEbbT6_jjT7_P12ihipStream_tbENKUlT_T0_SI_SN_E_clIPtSD_S15_SD_EEDaS11_S12_SI_SN_EUlS11_E_NS1_11comp_targetILNS1_3genE3ELNS1_11target_archE908ELNS1_3gpuE7ELNS1_3repE0EEENS1_47radix_sort_onesweep_sort_config_static_selectorELNS0_4arch9wavefront6targetE1EEEvSI_.num_vgpr, 0
	.set _ZN7rocprim17ROCPRIM_400000_NS6detail17trampoline_kernelINS0_14default_configENS1_35radix_sort_onesweep_config_selectorIttEEZZNS1_29radix_sort_onesweep_iterationIS3_Lb0EN6thrust23THRUST_200600_302600_NS6detail15normal_iteratorINS8_10device_ptrItEEEESD_SD_SD_jNS0_19identity_decomposerENS1_16block_id_wrapperIjLb0EEEEE10hipError_tT1_PNSt15iterator_traitsISI_E10value_typeET2_T3_PNSJ_ISO_E10value_typeET4_T5_PST_SU_PNS1_23onesweep_lookback_stateEbbT6_jjT7_P12ihipStream_tbENKUlT_T0_SI_SN_E_clIPtSD_S15_SD_EEDaS11_S12_SI_SN_EUlS11_E_NS1_11comp_targetILNS1_3genE3ELNS1_11target_archE908ELNS1_3gpuE7ELNS1_3repE0EEENS1_47radix_sort_onesweep_sort_config_static_selectorELNS0_4arch9wavefront6targetE1EEEvSI_.num_agpr, 0
	.set _ZN7rocprim17ROCPRIM_400000_NS6detail17trampoline_kernelINS0_14default_configENS1_35radix_sort_onesweep_config_selectorIttEEZZNS1_29radix_sort_onesweep_iterationIS3_Lb0EN6thrust23THRUST_200600_302600_NS6detail15normal_iteratorINS8_10device_ptrItEEEESD_SD_SD_jNS0_19identity_decomposerENS1_16block_id_wrapperIjLb0EEEEE10hipError_tT1_PNSt15iterator_traitsISI_E10value_typeET2_T3_PNSJ_ISO_E10value_typeET4_T5_PST_SU_PNS1_23onesweep_lookback_stateEbbT6_jjT7_P12ihipStream_tbENKUlT_T0_SI_SN_E_clIPtSD_S15_SD_EEDaS11_S12_SI_SN_EUlS11_E_NS1_11comp_targetILNS1_3genE3ELNS1_11target_archE908ELNS1_3gpuE7ELNS1_3repE0EEENS1_47radix_sort_onesweep_sort_config_static_selectorELNS0_4arch9wavefront6targetE1EEEvSI_.numbered_sgpr, 0
	.set _ZN7rocprim17ROCPRIM_400000_NS6detail17trampoline_kernelINS0_14default_configENS1_35radix_sort_onesweep_config_selectorIttEEZZNS1_29radix_sort_onesweep_iterationIS3_Lb0EN6thrust23THRUST_200600_302600_NS6detail15normal_iteratorINS8_10device_ptrItEEEESD_SD_SD_jNS0_19identity_decomposerENS1_16block_id_wrapperIjLb0EEEEE10hipError_tT1_PNSt15iterator_traitsISI_E10value_typeET2_T3_PNSJ_ISO_E10value_typeET4_T5_PST_SU_PNS1_23onesweep_lookback_stateEbbT6_jjT7_P12ihipStream_tbENKUlT_T0_SI_SN_E_clIPtSD_S15_SD_EEDaS11_S12_SI_SN_EUlS11_E_NS1_11comp_targetILNS1_3genE3ELNS1_11target_archE908ELNS1_3gpuE7ELNS1_3repE0EEENS1_47radix_sort_onesweep_sort_config_static_selectorELNS0_4arch9wavefront6targetE1EEEvSI_.num_named_barrier, 0
	.set _ZN7rocprim17ROCPRIM_400000_NS6detail17trampoline_kernelINS0_14default_configENS1_35radix_sort_onesweep_config_selectorIttEEZZNS1_29radix_sort_onesweep_iterationIS3_Lb0EN6thrust23THRUST_200600_302600_NS6detail15normal_iteratorINS8_10device_ptrItEEEESD_SD_SD_jNS0_19identity_decomposerENS1_16block_id_wrapperIjLb0EEEEE10hipError_tT1_PNSt15iterator_traitsISI_E10value_typeET2_T3_PNSJ_ISO_E10value_typeET4_T5_PST_SU_PNS1_23onesweep_lookback_stateEbbT6_jjT7_P12ihipStream_tbENKUlT_T0_SI_SN_E_clIPtSD_S15_SD_EEDaS11_S12_SI_SN_EUlS11_E_NS1_11comp_targetILNS1_3genE3ELNS1_11target_archE908ELNS1_3gpuE7ELNS1_3repE0EEENS1_47radix_sort_onesweep_sort_config_static_selectorELNS0_4arch9wavefront6targetE1EEEvSI_.private_seg_size, 0
	.set _ZN7rocprim17ROCPRIM_400000_NS6detail17trampoline_kernelINS0_14default_configENS1_35radix_sort_onesweep_config_selectorIttEEZZNS1_29radix_sort_onesweep_iterationIS3_Lb0EN6thrust23THRUST_200600_302600_NS6detail15normal_iteratorINS8_10device_ptrItEEEESD_SD_SD_jNS0_19identity_decomposerENS1_16block_id_wrapperIjLb0EEEEE10hipError_tT1_PNSt15iterator_traitsISI_E10value_typeET2_T3_PNSJ_ISO_E10value_typeET4_T5_PST_SU_PNS1_23onesweep_lookback_stateEbbT6_jjT7_P12ihipStream_tbENKUlT_T0_SI_SN_E_clIPtSD_S15_SD_EEDaS11_S12_SI_SN_EUlS11_E_NS1_11comp_targetILNS1_3genE3ELNS1_11target_archE908ELNS1_3gpuE7ELNS1_3repE0EEENS1_47radix_sort_onesweep_sort_config_static_selectorELNS0_4arch9wavefront6targetE1EEEvSI_.uses_vcc, 0
	.set _ZN7rocprim17ROCPRIM_400000_NS6detail17trampoline_kernelINS0_14default_configENS1_35radix_sort_onesweep_config_selectorIttEEZZNS1_29radix_sort_onesweep_iterationIS3_Lb0EN6thrust23THRUST_200600_302600_NS6detail15normal_iteratorINS8_10device_ptrItEEEESD_SD_SD_jNS0_19identity_decomposerENS1_16block_id_wrapperIjLb0EEEEE10hipError_tT1_PNSt15iterator_traitsISI_E10value_typeET2_T3_PNSJ_ISO_E10value_typeET4_T5_PST_SU_PNS1_23onesweep_lookback_stateEbbT6_jjT7_P12ihipStream_tbENKUlT_T0_SI_SN_E_clIPtSD_S15_SD_EEDaS11_S12_SI_SN_EUlS11_E_NS1_11comp_targetILNS1_3genE3ELNS1_11target_archE908ELNS1_3gpuE7ELNS1_3repE0EEENS1_47radix_sort_onesweep_sort_config_static_selectorELNS0_4arch9wavefront6targetE1EEEvSI_.uses_flat_scratch, 0
	.set _ZN7rocprim17ROCPRIM_400000_NS6detail17trampoline_kernelINS0_14default_configENS1_35radix_sort_onesweep_config_selectorIttEEZZNS1_29radix_sort_onesweep_iterationIS3_Lb0EN6thrust23THRUST_200600_302600_NS6detail15normal_iteratorINS8_10device_ptrItEEEESD_SD_SD_jNS0_19identity_decomposerENS1_16block_id_wrapperIjLb0EEEEE10hipError_tT1_PNSt15iterator_traitsISI_E10value_typeET2_T3_PNSJ_ISO_E10value_typeET4_T5_PST_SU_PNS1_23onesweep_lookback_stateEbbT6_jjT7_P12ihipStream_tbENKUlT_T0_SI_SN_E_clIPtSD_S15_SD_EEDaS11_S12_SI_SN_EUlS11_E_NS1_11comp_targetILNS1_3genE3ELNS1_11target_archE908ELNS1_3gpuE7ELNS1_3repE0EEENS1_47radix_sort_onesweep_sort_config_static_selectorELNS0_4arch9wavefront6targetE1EEEvSI_.has_dyn_sized_stack, 0
	.set _ZN7rocprim17ROCPRIM_400000_NS6detail17trampoline_kernelINS0_14default_configENS1_35radix_sort_onesweep_config_selectorIttEEZZNS1_29radix_sort_onesweep_iterationIS3_Lb0EN6thrust23THRUST_200600_302600_NS6detail15normal_iteratorINS8_10device_ptrItEEEESD_SD_SD_jNS0_19identity_decomposerENS1_16block_id_wrapperIjLb0EEEEE10hipError_tT1_PNSt15iterator_traitsISI_E10value_typeET2_T3_PNSJ_ISO_E10value_typeET4_T5_PST_SU_PNS1_23onesweep_lookback_stateEbbT6_jjT7_P12ihipStream_tbENKUlT_T0_SI_SN_E_clIPtSD_S15_SD_EEDaS11_S12_SI_SN_EUlS11_E_NS1_11comp_targetILNS1_3genE3ELNS1_11target_archE908ELNS1_3gpuE7ELNS1_3repE0EEENS1_47radix_sort_onesweep_sort_config_static_selectorELNS0_4arch9wavefront6targetE1EEEvSI_.has_recursion, 0
	.set _ZN7rocprim17ROCPRIM_400000_NS6detail17trampoline_kernelINS0_14default_configENS1_35radix_sort_onesweep_config_selectorIttEEZZNS1_29radix_sort_onesweep_iterationIS3_Lb0EN6thrust23THRUST_200600_302600_NS6detail15normal_iteratorINS8_10device_ptrItEEEESD_SD_SD_jNS0_19identity_decomposerENS1_16block_id_wrapperIjLb0EEEEE10hipError_tT1_PNSt15iterator_traitsISI_E10value_typeET2_T3_PNSJ_ISO_E10value_typeET4_T5_PST_SU_PNS1_23onesweep_lookback_stateEbbT6_jjT7_P12ihipStream_tbENKUlT_T0_SI_SN_E_clIPtSD_S15_SD_EEDaS11_S12_SI_SN_EUlS11_E_NS1_11comp_targetILNS1_3genE3ELNS1_11target_archE908ELNS1_3gpuE7ELNS1_3repE0EEENS1_47radix_sort_onesweep_sort_config_static_selectorELNS0_4arch9wavefront6targetE1EEEvSI_.has_indirect_call, 0
	.section	.AMDGPU.csdata,"",@progbits
; Kernel info:
; codeLenInByte = 0
; TotalNumSgprs: 6
; NumVgprs: 0
; NumAgprs: 0
; TotalNumVgprs: 0
; ScratchSize: 0
; MemoryBound: 0
; FloatMode: 240
; IeeeMode: 1
; LDSByteSize: 0 bytes/workgroup (compile time only)
; SGPRBlocks: 0
; VGPRBlocks: 0
; NumSGPRsForWavesPerEU: 6
; NumVGPRsForWavesPerEU: 1
; AccumOffset: 4
; Occupancy: 8
; WaveLimiterHint : 0
; COMPUTE_PGM_RSRC2:SCRATCH_EN: 0
; COMPUTE_PGM_RSRC2:USER_SGPR: 2
; COMPUTE_PGM_RSRC2:TRAP_HANDLER: 0
; COMPUTE_PGM_RSRC2:TGID_X_EN: 1
; COMPUTE_PGM_RSRC2:TGID_Y_EN: 0
; COMPUTE_PGM_RSRC2:TGID_Z_EN: 0
; COMPUTE_PGM_RSRC2:TIDIG_COMP_CNT: 0
; COMPUTE_PGM_RSRC3_GFX90A:ACCUM_OFFSET: 0
; COMPUTE_PGM_RSRC3_GFX90A:TG_SPLIT: 0
	.section	.text._ZN7rocprim17ROCPRIM_400000_NS6detail17trampoline_kernelINS0_14default_configENS1_35radix_sort_onesweep_config_selectorIttEEZZNS1_29radix_sort_onesweep_iterationIS3_Lb0EN6thrust23THRUST_200600_302600_NS6detail15normal_iteratorINS8_10device_ptrItEEEESD_SD_SD_jNS0_19identity_decomposerENS1_16block_id_wrapperIjLb0EEEEE10hipError_tT1_PNSt15iterator_traitsISI_E10value_typeET2_T3_PNSJ_ISO_E10value_typeET4_T5_PST_SU_PNS1_23onesweep_lookback_stateEbbT6_jjT7_P12ihipStream_tbENKUlT_T0_SI_SN_E_clIPtSD_S15_SD_EEDaS11_S12_SI_SN_EUlS11_E_NS1_11comp_targetILNS1_3genE10ELNS1_11target_archE1201ELNS1_3gpuE5ELNS1_3repE0EEENS1_47radix_sort_onesweep_sort_config_static_selectorELNS0_4arch9wavefront6targetE1EEEvSI_,"axG",@progbits,_ZN7rocprim17ROCPRIM_400000_NS6detail17trampoline_kernelINS0_14default_configENS1_35radix_sort_onesweep_config_selectorIttEEZZNS1_29radix_sort_onesweep_iterationIS3_Lb0EN6thrust23THRUST_200600_302600_NS6detail15normal_iteratorINS8_10device_ptrItEEEESD_SD_SD_jNS0_19identity_decomposerENS1_16block_id_wrapperIjLb0EEEEE10hipError_tT1_PNSt15iterator_traitsISI_E10value_typeET2_T3_PNSJ_ISO_E10value_typeET4_T5_PST_SU_PNS1_23onesweep_lookback_stateEbbT6_jjT7_P12ihipStream_tbENKUlT_T0_SI_SN_E_clIPtSD_S15_SD_EEDaS11_S12_SI_SN_EUlS11_E_NS1_11comp_targetILNS1_3genE10ELNS1_11target_archE1201ELNS1_3gpuE5ELNS1_3repE0EEENS1_47radix_sort_onesweep_sort_config_static_selectorELNS0_4arch9wavefront6targetE1EEEvSI_,comdat
	.protected	_ZN7rocprim17ROCPRIM_400000_NS6detail17trampoline_kernelINS0_14default_configENS1_35radix_sort_onesweep_config_selectorIttEEZZNS1_29radix_sort_onesweep_iterationIS3_Lb0EN6thrust23THRUST_200600_302600_NS6detail15normal_iteratorINS8_10device_ptrItEEEESD_SD_SD_jNS0_19identity_decomposerENS1_16block_id_wrapperIjLb0EEEEE10hipError_tT1_PNSt15iterator_traitsISI_E10value_typeET2_T3_PNSJ_ISO_E10value_typeET4_T5_PST_SU_PNS1_23onesweep_lookback_stateEbbT6_jjT7_P12ihipStream_tbENKUlT_T0_SI_SN_E_clIPtSD_S15_SD_EEDaS11_S12_SI_SN_EUlS11_E_NS1_11comp_targetILNS1_3genE10ELNS1_11target_archE1201ELNS1_3gpuE5ELNS1_3repE0EEENS1_47radix_sort_onesweep_sort_config_static_selectorELNS0_4arch9wavefront6targetE1EEEvSI_ ; -- Begin function _ZN7rocprim17ROCPRIM_400000_NS6detail17trampoline_kernelINS0_14default_configENS1_35radix_sort_onesweep_config_selectorIttEEZZNS1_29radix_sort_onesweep_iterationIS3_Lb0EN6thrust23THRUST_200600_302600_NS6detail15normal_iteratorINS8_10device_ptrItEEEESD_SD_SD_jNS0_19identity_decomposerENS1_16block_id_wrapperIjLb0EEEEE10hipError_tT1_PNSt15iterator_traitsISI_E10value_typeET2_T3_PNSJ_ISO_E10value_typeET4_T5_PST_SU_PNS1_23onesweep_lookback_stateEbbT6_jjT7_P12ihipStream_tbENKUlT_T0_SI_SN_E_clIPtSD_S15_SD_EEDaS11_S12_SI_SN_EUlS11_E_NS1_11comp_targetILNS1_3genE10ELNS1_11target_archE1201ELNS1_3gpuE5ELNS1_3repE0EEENS1_47radix_sort_onesweep_sort_config_static_selectorELNS0_4arch9wavefront6targetE1EEEvSI_
	.globl	_ZN7rocprim17ROCPRIM_400000_NS6detail17trampoline_kernelINS0_14default_configENS1_35radix_sort_onesweep_config_selectorIttEEZZNS1_29radix_sort_onesweep_iterationIS3_Lb0EN6thrust23THRUST_200600_302600_NS6detail15normal_iteratorINS8_10device_ptrItEEEESD_SD_SD_jNS0_19identity_decomposerENS1_16block_id_wrapperIjLb0EEEEE10hipError_tT1_PNSt15iterator_traitsISI_E10value_typeET2_T3_PNSJ_ISO_E10value_typeET4_T5_PST_SU_PNS1_23onesweep_lookback_stateEbbT6_jjT7_P12ihipStream_tbENKUlT_T0_SI_SN_E_clIPtSD_S15_SD_EEDaS11_S12_SI_SN_EUlS11_E_NS1_11comp_targetILNS1_3genE10ELNS1_11target_archE1201ELNS1_3gpuE5ELNS1_3repE0EEENS1_47radix_sort_onesweep_sort_config_static_selectorELNS0_4arch9wavefront6targetE1EEEvSI_
	.p2align	8
	.type	_ZN7rocprim17ROCPRIM_400000_NS6detail17trampoline_kernelINS0_14default_configENS1_35radix_sort_onesweep_config_selectorIttEEZZNS1_29radix_sort_onesweep_iterationIS3_Lb0EN6thrust23THRUST_200600_302600_NS6detail15normal_iteratorINS8_10device_ptrItEEEESD_SD_SD_jNS0_19identity_decomposerENS1_16block_id_wrapperIjLb0EEEEE10hipError_tT1_PNSt15iterator_traitsISI_E10value_typeET2_T3_PNSJ_ISO_E10value_typeET4_T5_PST_SU_PNS1_23onesweep_lookback_stateEbbT6_jjT7_P12ihipStream_tbENKUlT_T0_SI_SN_E_clIPtSD_S15_SD_EEDaS11_S12_SI_SN_EUlS11_E_NS1_11comp_targetILNS1_3genE10ELNS1_11target_archE1201ELNS1_3gpuE5ELNS1_3repE0EEENS1_47radix_sort_onesweep_sort_config_static_selectorELNS0_4arch9wavefront6targetE1EEEvSI_,@function
_ZN7rocprim17ROCPRIM_400000_NS6detail17trampoline_kernelINS0_14default_configENS1_35radix_sort_onesweep_config_selectorIttEEZZNS1_29radix_sort_onesweep_iterationIS3_Lb0EN6thrust23THRUST_200600_302600_NS6detail15normal_iteratorINS8_10device_ptrItEEEESD_SD_SD_jNS0_19identity_decomposerENS1_16block_id_wrapperIjLb0EEEEE10hipError_tT1_PNSt15iterator_traitsISI_E10value_typeET2_T3_PNSJ_ISO_E10value_typeET4_T5_PST_SU_PNS1_23onesweep_lookback_stateEbbT6_jjT7_P12ihipStream_tbENKUlT_T0_SI_SN_E_clIPtSD_S15_SD_EEDaS11_S12_SI_SN_EUlS11_E_NS1_11comp_targetILNS1_3genE10ELNS1_11target_archE1201ELNS1_3gpuE5ELNS1_3repE0EEENS1_47radix_sort_onesweep_sort_config_static_selectorELNS0_4arch9wavefront6targetE1EEEvSI_: ; @_ZN7rocprim17ROCPRIM_400000_NS6detail17trampoline_kernelINS0_14default_configENS1_35radix_sort_onesweep_config_selectorIttEEZZNS1_29radix_sort_onesweep_iterationIS3_Lb0EN6thrust23THRUST_200600_302600_NS6detail15normal_iteratorINS8_10device_ptrItEEEESD_SD_SD_jNS0_19identity_decomposerENS1_16block_id_wrapperIjLb0EEEEE10hipError_tT1_PNSt15iterator_traitsISI_E10value_typeET2_T3_PNSJ_ISO_E10value_typeET4_T5_PST_SU_PNS1_23onesweep_lookback_stateEbbT6_jjT7_P12ihipStream_tbENKUlT_T0_SI_SN_E_clIPtSD_S15_SD_EEDaS11_S12_SI_SN_EUlS11_E_NS1_11comp_targetILNS1_3genE10ELNS1_11target_archE1201ELNS1_3gpuE5ELNS1_3repE0EEENS1_47radix_sort_onesweep_sort_config_static_selectorELNS0_4arch9wavefront6targetE1EEEvSI_
; %bb.0:
	.section	.rodata,"a",@progbits
	.p2align	6, 0x0
	.amdhsa_kernel _ZN7rocprim17ROCPRIM_400000_NS6detail17trampoline_kernelINS0_14default_configENS1_35radix_sort_onesweep_config_selectorIttEEZZNS1_29radix_sort_onesweep_iterationIS3_Lb0EN6thrust23THRUST_200600_302600_NS6detail15normal_iteratorINS8_10device_ptrItEEEESD_SD_SD_jNS0_19identity_decomposerENS1_16block_id_wrapperIjLb0EEEEE10hipError_tT1_PNSt15iterator_traitsISI_E10value_typeET2_T3_PNSJ_ISO_E10value_typeET4_T5_PST_SU_PNS1_23onesweep_lookback_stateEbbT6_jjT7_P12ihipStream_tbENKUlT_T0_SI_SN_E_clIPtSD_S15_SD_EEDaS11_S12_SI_SN_EUlS11_E_NS1_11comp_targetILNS1_3genE10ELNS1_11target_archE1201ELNS1_3gpuE5ELNS1_3repE0EEENS1_47radix_sort_onesweep_sort_config_static_selectorELNS0_4arch9wavefront6targetE1EEEvSI_
		.amdhsa_group_segment_fixed_size 0
		.amdhsa_private_segment_fixed_size 0
		.amdhsa_kernarg_size 88
		.amdhsa_user_sgpr_count 2
		.amdhsa_user_sgpr_dispatch_ptr 0
		.amdhsa_user_sgpr_queue_ptr 0
		.amdhsa_user_sgpr_kernarg_segment_ptr 1
		.amdhsa_user_sgpr_dispatch_id 0
		.amdhsa_user_sgpr_kernarg_preload_length 0
		.amdhsa_user_sgpr_kernarg_preload_offset 0
		.amdhsa_user_sgpr_private_segment_size 0
		.amdhsa_uses_dynamic_stack 0
		.amdhsa_enable_private_segment 0
		.amdhsa_system_sgpr_workgroup_id_x 1
		.amdhsa_system_sgpr_workgroup_id_y 0
		.amdhsa_system_sgpr_workgroup_id_z 0
		.amdhsa_system_sgpr_workgroup_info 0
		.amdhsa_system_vgpr_workitem_id 0
		.amdhsa_next_free_vgpr 1
		.amdhsa_next_free_sgpr 0
		.amdhsa_accum_offset 4
		.amdhsa_reserve_vcc 0
		.amdhsa_float_round_mode_32 0
		.amdhsa_float_round_mode_16_64 0
		.amdhsa_float_denorm_mode_32 3
		.amdhsa_float_denorm_mode_16_64 3
		.amdhsa_dx10_clamp 1
		.amdhsa_ieee_mode 1
		.amdhsa_fp16_overflow 0
		.amdhsa_tg_split 0
		.amdhsa_exception_fp_ieee_invalid_op 0
		.amdhsa_exception_fp_denorm_src 0
		.amdhsa_exception_fp_ieee_div_zero 0
		.amdhsa_exception_fp_ieee_overflow 0
		.amdhsa_exception_fp_ieee_underflow 0
		.amdhsa_exception_fp_ieee_inexact 0
		.amdhsa_exception_int_div_zero 0
	.end_amdhsa_kernel
	.section	.text._ZN7rocprim17ROCPRIM_400000_NS6detail17trampoline_kernelINS0_14default_configENS1_35radix_sort_onesweep_config_selectorIttEEZZNS1_29radix_sort_onesweep_iterationIS3_Lb0EN6thrust23THRUST_200600_302600_NS6detail15normal_iteratorINS8_10device_ptrItEEEESD_SD_SD_jNS0_19identity_decomposerENS1_16block_id_wrapperIjLb0EEEEE10hipError_tT1_PNSt15iterator_traitsISI_E10value_typeET2_T3_PNSJ_ISO_E10value_typeET4_T5_PST_SU_PNS1_23onesweep_lookback_stateEbbT6_jjT7_P12ihipStream_tbENKUlT_T0_SI_SN_E_clIPtSD_S15_SD_EEDaS11_S12_SI_SN_EUlS11_E_NS1_11comp_targetILNS1_3genE10ELNS1_11target_archE1201ELNS1_3gpuE5ELNS1_3repE0EEENS1_47radix_sort_onesweep_sort_config_static_selectorELNS0_4arch9wavefront6targetE1EEEvSI_,"axG",@progbits,_ZN7rocprim17ROCPRIM_400000_NS6detail17trampoline_kernelINS0_14default_configENS1_35radix_sort_onesweep_config_selectorIttEEZZNS1_29radix_sort_onesweep_iterationIS3_Lb0EN6thrust23THRUST_200600_302600_NS6detail15normal_iteratorINS8_10device_ptrItEEEESD_SD_SD_jNS0_19identity_decomposerENS1_16block_id_wrapperIjLb0EEEEE10hipError_tT1_PNSt15iterator_traitsISI_E10value_typeET2_T3_PNSJ_ISO_E10value_typeET4_T5_PST_SU_PNS1_23onesweep_lookback_stateEbbT6_jjT7_P12ihipStream_tbENKUlT_T0_SI_SN_E_clIPtSD_S15_SD_EEDaS11_S12_SI_SN_EUlS11_E_NS1_11comp_targetILNS1_3genE10ELNS1_11target_archE1201ELNS1_3gpuE5ELNS1_3repE0EEENS1_47radix_sort_onesweep_sort_config_static_selectorELNS0_4arch9wavefront6targetE1EEEvSI_,comdat
.Lfunc_end1025:
	.size	_ZN7rocprim17ROCPRIM_400000_NS6detail17trampoline_kernelINS0_14default_configENS1_35radix_sort_onesweep_config_selectorIttEEZZNS1_29radix_sort_onesweep_iterationIS3_Lb0EN6thrust23THRUST_200600_302600_NS6detail15normal_iteratorINS8_10device_ptrItEEEESD_SD_SD_jNS0_19identity_decomposerENS1_16block_id_wrapperIjLb0EEEEE10hipError_tT1_PNSt15iterator_traitsISI_E10value_typeET2_T3_PNSJ_ISO_E10value_typeET4_T5_PST_SU_PNS1_23onesweep_lookback_stateEbbT6_jjT7_P12ihipStream_tbENKUlT_T0_SI_SN_E_clIPtSD_S15_SD_EEDaS11_S12_SI_SN_EUlS11_E_NS1_11comp_targetILNS1_3genE10ELNS1_11target_archE1201ELNS1_3gpuE5ELNS1_3repE0EEENS1_47radix_sort_onesweep_sort_config_static_selectorELNS0_4arch9wavefront6targetE1EEEvSI_, .Lfunc_end1025-_ZN7rocprim17ROCPRIM_400000_NS6detail17trampoline_kernelINS0_14default_configENS1_35radix_sort_onesweep_config_selectorIttEEZZNS1_29radix_sort_onesweep_iterationIS3_Lb0EN6thrust23THRUST_200600_302600_NS6detail15normal_iteratorINS8_10device_ptrItEEEESD_SD_SD_jNS0_19identity_decomposerENS1_16block_id_wrapperIjLb0EEEEE10hipError_tT1_PNSt15iterator_traitsISI_E10value_typeET2_T3_PNSJ_ISO_E10value_typeET4_T5_PST_SU_PNS1_23onesweep_lookback_stateEbbT6_jjT7_P12ihipStream_tbENKUlT_T0_SI_SN_E_clIPtSD_S15_SD_EEDaS11_S12_SI_SN_EUlS11_E_NS1_11comp_targetILNS1_3genE10ELNS1_11target_archE1201ELNS1_3gpuE5ELNS1_3repE0EEENS1_47radix_sort_onesweep_sort_config_static_selectorELNS0_4arch9wavefront6targetE1EEEvSI_
                                        ; -- End function
	.set _ZN7rocprim17ROCPRIM_400000_NS6detail17trampoline_kernelINS0_14default_configENS1_35radix_sort_onesweep_config_selectorIttEEZZNS1_29radix_sort_onesweep_iterationIS3_Lb0EN6thrust23THRUST_200600_302600_NS6detail15normal_iteratorINS8_10device_ptrItEEEESD_SD_SD_jNS0_19identity_decomposerENS1_16block_id_wrapperIjLb0EEEEE10hipError_tT1_PNSt15iterator_traitsISI_E10value_typeET2_T3_PNSJ_ISO_E10value_typeET4_T5_PST_SU_PNS1_23onesweep_lookback_stateEbbT6_jjT7_P12ihipStream_tbENKUlT_T0_SI_SN_E_clIPtSD_S15_SD_EEDaS11_S12_SI_SN_EUlS11_E_NS1_11comp_targetILNS1_3genE10ELNS1_11target_archE1201ELNS1_3gpuE5ELNS1_3repE0EEENS1_47radix_sort_onesweep_sort_config_static_selectorELNS0_4arch9wavefront6targetE1EEEvSI_.num_vgpr, 0
	.set _ZN7rocprim17ROCPRIM_400000_NS6detail17trampoline_kernelINS0_14default_configENS1_35radix_sort_onesweep_config_selectorIttEEZZNS1_29radix_sort_onesweep_iterationIS3_Lb0EN6thrust23THRUST_200600_302600_NS6detail15normal_iteratorINS8_10device_ptrItEEEESD_SD_SD_jNS0_19identity_decomposerENS1_16block_id_wrapperIjLb0EEEEE10hipError_tT1_PNSt15iterator_traitsISI_E10value_typeET2_T3_PNSJ_ISO_E10value_typeET4_T5_PST_SU_PNS1_23onesweep_lookback_stateEbbT6_jjT7_P12ihipStream_tbENKUlT_T0_SI_SN_E_clIPtSD_S15_SD_EEDaS11_S12_SI_SN_EUlS11_E_NS1_11comp_targetILNS1_3genE10ELNS1_11target_archE1201ELNS1_3gpuE5ELNS1_3repE0EEENS1_47radix_sort_onesweep_sort_config_static_selectorELNS0_4arch9wavefront6targetE1EEEvSI_.num_agpr, 0
	.set _ZN7rocprim17ROCPRIM_400000_NS6detail17trampoline_kernelINS0_14default_configENS1_35radix_sort_onesweep_config_selectorIttEEZZNS1_29radix_sort_onesweep_iterationIS3_Lb0EN6thrust23THRUST_200600_302600_NS6detail15normal_iteratorINS8_10device_ptrItEEEESD_SD_SD_jNS0_19identity_decomposerENS1_16block_id_wrapperIjLb0EEEEE10hipError_tT1_PNSt15iterator_traitsISI_E10value_typeET2_T3_PNSJ_ISO_E10value_typeET4_T5_PST_SU_PNS1_23onesweep_lookback_stateEbbT6_jjT7_P12ihipStream_tbENKUlT_T0_SI_SN_E_clIPtSD_S15_SD_EEDaS11_S12_SI_SN_EUlS11_E_NS1_11comp_targetILNS1_3genE10ELNS1_11target_archE1201ELNS1_3gpuE5ELNS1_3repE0EEENS1_47radix_sort_onesweep_sort_config_static_selectorELNS0_4arch9wavefront6targetE1EEEvSI_.numbered_sgpr, 0
	.set _ZN7rocprim17ROCPRIM_400000_NS6detail17trampoline_kernelINS0_14default_configENS1_35radix_sort_onesweep_config_selectorIttEEZZNS1_29radix_sort_onesweep_iterationIS3_Lb0EN6thrust23THRUST_200600_302600_NS6detail15normal_iteratorINS8_10device_ptrItEEEESD_SD_SD_jNS0_19identity_decomposerENS1_16block_id_wrapperIjLb0EEEEE10hipError_tT1_PNSt15iterator_traitsISI_E10value_typeET2_T3_PNSJ_ISO_E10value_typeET4_T5_PST_SU_PNS1_23onesweep_lookback_stateEbbT6_jjT7_P12ihipStream_tbENKUlT_T0_SI_SN_E_clIPtSD_S15_SD_EEDaS11_S12_SI_SN_EUlS11_E_NS1_11comp_targetILNS1_3genE10ELNS1_11target_archE1201ELNS1_3gpuE5ELNS1_3repE0EEENS1_47radix_sort_onesweep_sort_config_static_selectorELNS0_4arch9wavefront6targetE1EEEvSI_.num_named_barrier, 0
	.set _ZN7rocprim17ROCPRIM_400000_NS6detail17trampoline_kernelINS0_14default_configENS1_35radix_sort_onesweep_config_selectorIttEEZZNS1_29radix_sort_onesweep_iterationIS3_Lb0EN6thrust23THRUST_200600_302600_NS6detail15normal_iteratorINS8_10device_ptrItEEEESD_SD_SD_jNS0_19identity_decomposerENS1_16block_id_wrapperIjLb0EEEEE10hipError_tT1_PNSt15iterator_traitsISI_E10value_typeET2_T3_PNSJ_ISO_E10value_typeET4_T5_PST_SU_PNS1_23onesweep_lookback_stateEbbT6_jjT7_P12ihipStream_tbENKUlT_T0_SI_SN_E_clIPtSD_S15_SD_EEDaS11_S12_SI_SN_EUlS11_E_NS1_11comp_targetILNS1_3genE10ELNS1_11target_archE1201ELNS1_3gpuE5ELNS1_3repE0EEENS1_47radix_sort_onesweep_sort_config_static_selectorELNS0_4arch9wavefront6targetE1EEEvSI_.private_seg_size, 0
	.set _ZN7rocprim17ROCPRIM_400000_NS6detail17trampoline_kernelINS0_14default_configENS1_35radix_sort_onesweep_config_selectorIttEEZZNS1_29radix_sort_onesweep_iterationIS3_Lb0EN6thrust23THRUST_200600_302600_NS6detail15normal_iteratorINS8_10device_ptrItEEEESD_SD_SD_jNS0_19identity_decomposerENS1_16block_id_wrapperIjLb0EEEEE10hipError_tT1_PNSt15iterator_traitsISI_E10value_typeET2_T3_PNSJ_ISO_E10value_typeET4_T5_PST_SU_PNS1_23onesweep_lookback_stateEbbT6_jjT7_P12ihipStream_tbENKUlT_T0_SI_SN_E_clIPtSD_S15_SD_EEDaS11_S12_SI_SN_EUlS11_E_NS1_11comp_targetILNS1_3genE10ELNS1_11target_archE1201ELNS1_3gpuE5ELNS1_3repE0EEENS1_47radix_sort_onesweep_sort_config_static_selectorELNS0_4arch9wavefront6targetE1EEEvSI_.uses_vcc, 0
	.set _ZN7rocprim17ROCPRIM_400000_NS6detail17trampoline_kernelINS0_14default_configENS1_35radix_sort_onesweep_config_selectorIttEEZZNS1_29radix_sort_onesweep_iterationIS3_Lb0EN6thrust23THRUST_200600_302600_NS6detail15normal_iteratorINS8_10device_ptrItEEEESD_SD_SD_jNS0_19identity_decomposerENS1_16block_id_wrapperIjLb0EEEEE10hipError_tT1_PNSt15iterator_traitsISI_E10value_typeET2_T3_PNSJ_ISO_E10value_typeET4_T5_PST_SU_PNS1_23onesweep_lookback_stateEbbT6_jjT7_P12ihipStream_tbENKUlT_T0_SI_SN_E_clIPtSD_S15_SD_EEDaS11_S12_SI_SN_EUlS11_E_NS1_11comp_targetILNS1_3genE10ELNS1_11target_archE1201ELNS1_3gpuE5ELNS1_3repE0EEENS1_47radix_sort_onesweep_sort_config_static_selectorELNS0_4arch9wavefront6targetE1EEEvSI_.uses_flat_scratch, 0
	.set _ZN7rocprim17ROCPRIM_400000_NS6detail17trampoline_kernelINS0_14default_configENS1_35radix_sort_onesweep_config_selectorIttEEZZNS1_29radix_sort_onesweep_iterationIS3_Lb0EN6thrust23THRUST_200600_302600_NS6detail15normal_iteratorINS8_10device_ptrItEEEESD_SD_SD_jNS0_19identity_decomposerENS1_16block_id_wrapperIjLb0EEEEE10hipError_tT1_PNSt15iterator_traitsISI_E10value_typeET2_T3_PNSJ_ISO_E10value_typeET4_T5_PST_SU_PNS1_23onesweep_lookback_stateEbbT6_jjT7_P12ihipStream_tbENKUlT_T0_SI_SN_E_clIPtSD_S15_SD_EEDaS11_S12_SI_SN_EUlS11_E_NS1_11comp_targetILNS1_3genE10ELNS1_11target_archE1201ELNS1_3gpuE5ELNS1_3repE0EEENS1_47radix_sort_onesweep_sort_config_static_selectorELNS0_4arch9wavefront6targetE1EEEvSI_.has_dyn_sized_stack, 0
	.set _ZN7rocprim17ROCPRIM_400000_NS6detail17trampoline_kernelINS0_14default_configENS1_35radix_sort_onesweep_config_selectorIttEEZZNS1_29radix_sort_onesweep_iterationIS3_Lb0EN6thrust23THRUST_200600_302600_NS6detail15normal_iteratorINS8_10device_ptrItEEEESD_SD_SD_jNS0_19identity_decomposerENS1_16block_id_wrapperIjLb0EEEEE10hipError_tT1_PNSt15iterator_traitsISI_E10value_typeET2_T3_PNSJ_ISO_E10value_typeET4_T5_PST_SU_PNS1_23onesweep_lookback_stateEbbT6_jjT7_P12ihipStream_tbENKUlT_T0_SI_SN_E_clIPtSD_S15_SD_EEDaS11_S12_SI_SN_EUlS11_E_NS1_11comp_targetILNS1_3genE10ELNS1_11target_archE1201ELNS1_3gpuE5ELNS1_3repE0EEENS1_47radix_sort_onesweep_sort_config_static_selectorELNS0_4arch9wavefront6targetE1EEEvSI_.has_recursion, 0
	.set _ZN7rocprim17ROCPRIM_400000_NS6detail17trampoline_kernelINS0_14default_configENS1_35radix_sort_onesweep_config_selectorIttEEZZNS1_29radix_sort_onesweep_iterationIS3_Lb0EN6thrust23THRUST_200600_302600_NS6detail15normal_iteratorINS8_10device_ptrItEEEESD_SD_SD_jNS0_19identity_decomposerENS1_16block_id_wrapperIjLb0EEEEE10hipError_tT1_PNSt15iterator_traitsISI_E10value_typeET2_T3_PNSJ_ISO_E10value_typeET4_T5_PST_SU_PNS1_23onesweep_lookback_stateEbbT6_jjT7_P12ihipStream_tbENKUlT_T0_SI_SN_E_clIPtSD_S15_SD_EEDaS11_S12_SI_SN_EUlS11_E_NS1_11comp_targetILNS1_3genE10ELNS1_11target_archE1201ELNS1_3gpuE5ELNS1_3repE0EEENS1_47radix_sort_onesweep_sort_config_static_selectorELNS0_4arch9wavefront6targetE1EEEvSI_.has_indirect_call, 0
	.section	.AMDGPU.csdata,"",@progbits
; Kernel info:
; codeLenInByte = 0
; TotalNumSgprs: 6
; NumVgprs: 0
; NumAgprs: 0
; TotalNumVgprs: 0
; ScratchSize: 0
; MemoryBound: 0
; FloatMode: 240
; IeeeMode: 1
; LDSByteSize: 0 bytes/workgroup (compile time only)
; SGPRBlocks: 0
; VGPRBlocks: 0
; NumSGPRsForWavesPerEU: 6
; NumVGPRsForWavesPerEU: 1
; AccumOffset: 4
; Occupancy: 8
; WaveLimiterHint : 0
; COMPUTE_PGM_RSRC2:SCRATCH_EN: 0
; COMPUTE_PGM_RSRC2:USER_SGPR: 2
; COMPUTE_PGM_RSRC2:TRAP_HANDLER: 0
; COMPUTE_PGM_RSRC2:TGID_X_EN: 1
; COMPUTE_PGM_RSRC2:TGID_Y_EN: 0
; COMPUTE_PGM_RSRC2:TGID_Z_EN: 0
; COMPUTE_PGM_RSRC2:TIDIG_COMP_CNT: 0
; COMPUTE_PGM_RSRC3_GFX90A:ACCUM_OFFSET: 0
; COMPUTE_PGM_RSRC3_GFX90A:TG_SPLIT: 0
	.section	.text._ZN7rocprim17ROCPRIM_400000_NS6detail17trampoline_kernelINS0_14default_configENS1_35radix_sort_onesweep_config_selectorIttEEZZNS1_29radix_sort_onesweep_iterationIS3_Lb0EN6thrust23THRUST_200600_302600_NS6detail15normal_iteratorINS8_10device_ptrItEEEESD_SD_SD_jNS0_19identity_decomposerENS1_16block_id_wrapperIjLb0EEEEE10hipError_tT1_PNSt15iterator_traitsISI_E10value_typeET2_T3_PNSJ_ISO_E10value_typeET4_T5_PST_SU_PNS1_23onesweep_lookback_stateEbbT6_jjT7_P12ihipStream_tbENKUlT_T0_SI_SN_E_clIPtSD_S15_SD_EEDaS11_S12_SI_SN_EUlS11_E_NS1_11comp_targetILNS1_3genE9ELNS1_11target_archE1100ELNS1_3gpuE3ELNS1_3repE0EEENS1_47radix_sort_onesweep_sort_config_static_selectorELNS0_4arch9wavefront6targetE1EEEvSI_,"axG",@progbits,_ZN7rocprim17ROCPRIM_400000_NS6detail17trampoline_kernelINS0_14default_configENS1_35radix_sort_onesweep_config_selectorIttEEZZNS1_29radix_sort_onesweep_iterationIS3_Lb0EN6thrust23THRUST_200600_302600_NS6detail15normal_iteratorINS8_10device_ptrItEEEESD_SD_SD_jNS0_19identity_decomposerENS1_16block_id_wrapperIjLb0EEEEE10hipError_tT1_PNSt15iterator_traitsISI_E10value_typeET2_T3_PNSJ_ISO_E10value_typeET4_T5_PST_SU_PNS1_23onesweep_lookback_stateEbbT6_jjT7_P12ihipStream_tbENKUlT_T0_SI_SN_E_clIPtSD_S15_SD_EEDaS11_S12_SI_SN_EUlS11_E_NS1_11comp_targetILNS1_3genE9ELNS1_11target_archE1100ELNS1_3gpuE3ELNS1_3repE0EEENS1_47radix_sort_onesweep_sort_config_static_selectorELNS0_4arch9wavefront6targetE1EEEvSI_,comdat
	.protected	_ZN7rocprim17ROCPRIM_400000_NS6detail17trampoline_kernelINS0_14default_configENS1_35radix_sort_onesweep_config_selectorIttEEZZNS1_29radix_sort_onesweep_iterationIS3_Lb0EN6thrust23THRUST_200600_302600_NS6detail15normal_iteratorINS8_10device_ptrItEEEESD_SD_SD_jNS0_19identity_decomposerENS1_16block_id_wrapperIjLb0EEEEE10hipError_tT1_PNSt15iterator_traitsISI_E10value_typeET2_T3_PNSJ_ISO_E10value_typeET4_T5_PST_SU_PNS1_23onesweep_lookback_stateEbbT6_jjT7_P12ihipStream_tbENKUlT_T0_SI_SN_E_clIPtSD_S15_SD_EEDaS11_S12_SI_SN_EUlS11_E_NS1_11comp_targetILNS1_3genE9ELNS1_11target_archE1100ELNS1_3gpuE3ELNS1_3repE0EEENS1_47radix_sort_onesweep_sort_config_static_selectorELNS0_4arch9wavefront6targetE1EEEvSI_ ; -- Begin function _ZN7rocprim17ROCPRIM_400000_NS6detail17trampoline_kernelINS0_14default_configENS1_35radix_sort_onesweep_config_selectorIttEEZZNS1_29radix_sort_onesweep_iterationIS3_Lb0EN6thrust23THRUST_200600_302600_NS6detail15normal_iteratorINS8_10device_ptrItEEEESD_SD_SD_jNS0_19identity_decomposerENS1_16block_id_wrapperIjLb0EEEEE10hipError_tT1_PNSt15iterator_traitsISI_E10value_typeET2_T3_PNSJ_ISO_E10value_typeET4_T5_PST_SU_PNS1_23onesweep_lookback_stateEbbT6_jjT7_P12ihipStream_tbENKUlT_T0_SI_SN_E_clIPtSD_S15_SD_EEDaS11_S12_SI_SN_EUlS11_E_NS1_11comp_targetILNS1_3genE9ELNS1_11target_archE1100ELNS1_3gpuE3ELNS1_3repE0EEENS1_47radix_sort_onesweep_sort_config_static_selectorELNS0_4arch9wavefront6targetE1EEEvSI_
	.globl	_ZN7rocprim17ROCPRIM_400000_NS6detail17trampoline_kernelINS0_14default_configENS1_35radix_sort_onesweep_config_selectorIttEEZZNS1_29radix_sort_onesweep_iterationIS3_Lb0EN6thrust23THRUST_200600_302600_NS6detail15normal_iteratorINS8_10device_ptrItEEEESD_SD_SD_jNS0_19identity_decomposerENS1_16block_id_wrapperIjLb0EEEEE10hipError_tT1_PNSt15iterator_traitsISI_E10value_typeET2_T3_PNSJ_ISO_E10value_typeET4_T5_PST_SU_PNS1_23onesweep_lookback_stateEbbT6_jjT7_P12ihipStream_tbENKUlT_T0_SI_SN_E_clIPtSD_S15_SD_EEDaS11_S12_SI_SN_EUlS11_E_NS1_11comp_targetILNS1_3genE9ELNS1_11target_archE1100ELNS1_3gpuE3ELNS1_3repE0EEENS1_47radix_sort_onesweep_sort_config_static_selectorELNS0_4arch9wavefront6targetE1EEEvSI_
	.p2align	8
	.type	_ZN7rocprim17ROCPRIM_400000_NS6detail17trampoline_kernelINS0_14default_configENS1_35radix_sort_onesweep_config_selectorIttEEZZNS1_29radix_sort_onesweep_iterationIS3_Lb0EN6thrust23THRUST_200600_302600_NS6detail15normal_iteratorINS8_10device_ptrItEEEESD_SD_SD_jNS0_19identity_decomposerENS1_16block_id_wrapperIjLb0EEEEE10hipError_tT1_PNSt15iterator_traitsISI_E10value_typeET2_T3_PNSJ_ISO_E10value_typeET4_T5_PST_SU_PNS1_23onesweep_lookback_stateEbbT6_jjT7_P12ihipStream_tbENKUlT_T0_SI_SN_E_clIPtSD_S15_SD_EEDaS11_S12_SI_SN_EUlS11_E_NS1_11comp_targetILNS1_3genE9ELNS1_11target_archE1100ELNS1_3gpuE3ELNS1_3repE0EEENS1_47radix_sort_onesweep_sort_config_static_selectorELNS0_4arch9wavefront6targetE1EEEvSI_,@function
_ZN7rocprim17ROCPRIM_400000_NS6detail17trampoline_kernelINS0_14default_configENS1_35radix_sort_onesweep_config_selectorIttEEZZNS1_29radix_sort_onesweep_iterationIS3_Lb0EN6thrust23THRUST_200600_302600_NS6detail15normal_iteratorINS8_10device_ptrItEEEESD_SD_SD_jNS0_19identity_decomposerENS1_16block_id_wrapperIjLb0EEEEE10hipError_tT1_PNSt15iterator_traitsISI_E10value_typeET2_T3_PNSJ_ISO_E10value_typeET4_T5_PST_SU_PNS1_23onesweep_lookback_stateEbbT6_jjT7_P12ihipStream_tbENKUlT_T0_SI_SN_E_clIPtSD_S15_SD_EEDaS11_S12_SI_SN_EUlS11_E_NS1_11comp_targetILNS1_3genE9ELNS1_11target_archE1100ELNS1_3gpuE3ELNS1_3repE0EEENS1_47radix_sort_onesweep_sort_config_static_selectorELNS0_4arch9wavefront6targetE1EEEvSI_: ; @_ZN7rocprim17ROCPRIM_400000_NS6detail17trampoline_kernelINS0_14default_configENS1_35radix_sort_onesweep_config_selectorIttEEZZNS1_29radix_sort_onesweep_iterationIS3_Lb0EN6thrust23THRUST_200600_302600_NS6detail15normal_iteratorINS8_10device_ptrItEEEESD_SD_SD_jNS0_19identity_decomposerENS1_16block_id_wrapperIjLb0EEEEE10hipError_tT1_PNSt15iterator_traitsISI_E10value_typeET2_T3_PNSJ_ISO_E10value_typeET4_T5_PST_SU_PNS1_23onesweep_lookback_stateEbbT6_jjT7_P12ihipStream_tbENKUlT_T0_SI_SN_E_clIPtSD_S15_SD_EEDaS11_S12_SI_SN_EUlS11_E_NS1_11comp_targetILNS1_3genE9ELNS1_11target_archE1100ELNS1_3gpuE3ELNS1_3repE0EEENS1_47radix_sort_onesweep_sort_config_static_selectorELNS0_4arch9wavefront6targetE1EEEvSI_
; %bb.0:
	.section	.rodata,"a",@progbits
	.p2align	6, 0x0
	.amdhsa_kernel _ZN7rocprim17ROCPRIM_400000_NS6detail17trampoline_kernelINS0_14default_configENS1_35radix_sort_onesweep_config_selectorIttEEZZNS1_29radix_sort_onesweep_iterationIS3_Lb0EN6thrust23THRUST_200600_302600_NS6detail15normal_iteratorINS8_10device_ptrItEEEESD_SD_SD_jNS0_19identity_decomposerENS1_16block_id_wrapperIjLb0EEEEE10hipError_tT1_PNSt15iterator_traitsISI_E10value_typeET2_T3_PNSJ_ISO_E10value_typeET4_T5_PST_SU_PNS1_23onesweep_lookback_stateEbbT6_jjT7_P12ihipStream_tbENKUlT_T0_SI_SN_E_clIPtSD_S15_SD_EEDaS11_S12_SI_SN_EUlS11_E_NS1_11comp_targetILNS1_3genE9ELNS1_11target_archE1100ELNS1_3gpuE3ELNS1_3repE0EEENS1_47radix_sort_onesweep_sort_config_static_selectorELNS0_4arch9wavefront6targetE1EEEvSI_
		.amdhsa_group_segment_fixed_size 0
		.amdhsa_private_segment_fixed_size 0
		.amdhsa_kernarg_size 88
		.amdhsa_user_sgpr_count 2
		.amdhsa_user_sgpr_dispatch_ptr 0
		.amdhsa_user_sgpr_queue_ptr 0
		.amdhsa_user_sgpr_kernarg_segment_ptr 1
		.amdhsa_user_sgpr_dispatch_id 0
		.amdhsa_user_sgpr_kernarg_preload_length 0
		.amdhsa_user_sgpr_kernarg_preload_offset 0
		.amdhsa_user_sgpr_private_segment_size 0
		.amdhsa_uses_dynamic_stack 0
		.amdhsa_enable_private_segment 0
		.amdhsa_system_sgpr_workgroup_id_x 1
		.amdhsa_system_sgpr_workgroup_id_y 0
		.amdhsa_system_sgpr_workgroup_id_z 0
		.amdhsa_system_sgpr_workgroup_info 0
		.amdhsa_system_vgpr_workitem_id 0
		.amdhsa_next_free_vgpr 1
		.amdhsa_next_free_sgpr 0
		.amdhsa_accum_offset 4
		.amdhsa_reserve_vcc 0
		.amdhsa_float_round_mode_32 0
		.amdhsa_float_round_mode_16_64 0
		.amdhsa_float_denorm_mode_32 3
		.amdhsa_float_denorm_mode_16_64 3
		.amdhsa_dx10_clamp 1
		.amdhsa_ieee_mode 1
		.amdhsa_fp16_overflow 0
		.amdhsa_tg_split 0
		.amdhsa_exception_fp_ieee_invalid_op 0
		.amdhsa_exception_fp_denorm_src 0
		.amdhsa_exception_fp_ieee_div_zero 0
		.amdhsa_exception_fp_ieee_overflow 0
		.amdhsa_exception_fp_ieee_underflow 0
		.amdhsa_exception_fp_ieee_inexact 0
		.amdhsa_exception_int_div_zero 0
	.end_amdhsa_kernel
	.section	.text._ZN7rocprim17ROCPRIM_400000_NS6detail17trampoline_kernelINS0_14default_configENS1_35radix_sort_onesweep_config_selectorIttEEZZNS1_29radix_sort_onesweep_iterationIS3_Lb0EN6thrust23THRUST_200600_302600_NS6detail15normal_iteratorINS8_10device_ptrItEEEESD_SD_SD_jNS0_19identity_decomposerENS1_16block_id_wrapperIjLb0EEEEE10hipError_tT1_PNSt15iterator_traitsISI_E10value_typeET2_T3_PNSJ_ISO_E10value_typeET4_T5_PST_SU_PNS1_23onesweep_lookback_stateEbbT6_jjT7_P12ihipStream_tbENKUlT_T0_SI_SN_E_clIPtSD_S15_SD_EEDaS11_S12_SI_SN_EUlS11_E_NS1_11comp_targetILNS1_3genE9ELNS1_11target_archE1100ELNS1_3gpuE3ELNS1_3repE0EEENS1_47radix_sort_onesweep_sort_config_static_selectorELNS0_4arch9wavefront6targetE1EEEvSI_,"axG",@progbits,_ZN7rocprim17ROCPRIM_400000_NS6detail17trampoline_kernelINS0_14default_configENS1_35radix_sort_onesweep_config_selectorIttEEZZNS1_29radix_sort_onesweep_iterationIS3_Lb0EN6thrust23THRUST_200600_302600_NS6detail15normal_iteratorINS8_10device_ptrItEEEESD_SD_SD_jNS0_19identity_decomposerENS1_16block_id_wrapperIjLb0EEEEE10hipError_tT1_PNSt15iterator_traitsISI_E10value_typeET2_T3_PNSJ_ISO_E10value_typeET4_T5_PST_SU_PNS1_23onesweep_lookback_stateEbbT6_jjT7_P12ihipStream_tbENKUlT_T0_SI_SN_E_clIPtSD_S15_SD_EEDaS11_S12_SI_SN_EUlS11_E_NS1_11comp_targetILNS1_3genE9ELNS1_11target_archE1100ELNS1_3gpuE3ELNS1_3repE0EEENS1_47radix_sort_onesweep_sort_config_static_selectorELNS0_4arch9wavefront6targetE1EEEvSI_,comdat
.Lfunc_end1026:
	.size	_ZN7rocprim17ROCPRIM_400000_NS6detail17trampoline_kernelINS0_14default_configENS1_35radix_sort_onesweep_config_selectorIttEEZZNS1_29radix_sort_onesweep_iterationIS3_Lb0EN6thrust23THRUST_200600_302600_NS6detail15normal_iteratorINS8_10device_ptrItEEEESD_SD_SD_jNS0_19identity_decomposerENS1_16block_id_wrapperIjLb0EEEEE10hipError_tT1_PNSt15iterator_traitsISI_E10value_typeET2_T3_PNSJ_ISO_E10value_typeET4_T5_PST_SU_PNS1_23onesweep_lookback_stateEbbT6_jjT7_P12ihipStream_tbENKUlT_T0_SI_SN_E_clIPtSD_S15_SD_EEDaS11_S12_SI_SN_EUlS11_E_NS1_11comp_targetILNS1_3genE9ELNS1_11target_archE1100ELNS1_3gpuE3ELNS1_3repE0EEENS1_47radix_sort_onesweep_sort_config_static_selectorELNS0_4arch9wavefront6targetE1EEEvSI_, .Lfunc_end1026-_ZN7rocprim17ROCPRIM_400000_NS6detail17trampoline_kernelINS0_14default_configENS1_35radix_sort_onesweep_config_selectorIttEEZZNS1_29radix_sort_onesweep_iterationIS3_Lb0EN6thrust23THRUST_200600_302600_NS6detail15normal_iteratorINS8_10device_ptrItEEEESD_SD_SD_jNS0_19identity_decomposerENS1_16block_id_wrapperIjLb0EEEEE10hipError_tT1_PNSt15iterator_traitsISI_E10value_typeET2_T3_PNSJ_ISO_E10value_typeET4_T5_PST_SU_PNS1_23onesweep_lookback_stateEbbT6_jjT7_P12ihipStream_tbENKUlT_T0_SI_SN_E_clIPtSD_S15_SD_EEDaS11_S12_SI_SN_EUlS11_E_NS1_11comp_targetILNS1_3genE9ELNS1_11target_archE1100ELNS1_3gpuE3ELNS1_3repE0EEENS1_47radix_sort_onesweep_sort_config_static_selectorELNS0_4arch9wavefront6targetE1EEEvSI_
                                        ; -- End function
	.set _ZN7rocprim17ROCPRIM_400000_NS6detail17trampoline_kernelINS0_14default_configENS1_35radix_sort_onesweep_config_selectorIttEEZZNS1_29radix_sort_onesweep_iterationIS3_Lb0EN6thrust23THRUST_200600_302600_NS6detail15normal_iteratorINS8_10device_ptrItEEEESD_SD_SD_jNS0_19identity_decomposerENS1_16block_id_wrapperIjLb0EEEEE10hipError_tT1_PNSt15iterator_traitsISI_E10value_typeET2_T3_PNSJ_ISO_E10value_typeET4_T5_PST_SU_PNS1_23onesweep_lookback_stateEbbT6_jjT7_P12ihipStream_tbENKUlT_T0_SI_SN_E_clIPtSD_S15_SD_EEDaS11_S12_SI_SN_EUlS11_E_NS1_11comp_targetILNS1_3genE9ELNS1_11target_archE1100ELNS1_3gpuE3ELNS1_3repE0EEENS1_47radix_sort_onesweep_sort_config_static_selectorELNS0_4arch9wavefront6targetE1EEEvSI_.num_vgpr, 0
	.set _ZN7rocprim17ROCPRIM_400000_NS6detail17trampoline_kernelINS0_14default_configENS1_35radix_sort_onesweep_config_selectorIttEEZZNS1_29radix_sort_onesweep_iterationIS3_Lb0EN6thrust23THRUST_200600_302600_NS6detail15normal_iteratorINS8_10device_ptrItEEEESD_SD_SD_jNS0_19identity_decomposerENS1_16block_id_wrapperIjLb0EEEEE10hipError_tT1_PNSt15iterator_traitsISI_E10value_typeET2_T3_PNSJ_ISO_E10value_typeET4_T5_PST_SU_PNS1_23onesweep_lookback_stateEbbT6_jjT7_P12ihipStream_tbENKUlT_T0_SI_SN_E_clIPtSD_S15_SD_EEDaS11_S12_SI_SN_EUlS11_E_NS1_11comp_targetILNS1_3genE9ELNS1_11target_archE1100ELNS1_3gpuE3ELNS1_3repE0EEENS1_47radix_sort_onesweep_sort_config_static_selectorELNS0_4arch9wavefront6targetE1EEEvSI_.num_agpr, 0
	.set _ZN7rocprim17ROCPRIM_400000_NS6detail17trampoline_kernelINS0_14default_configENS1_35radix_sort_onesweep_config_selectorIttEEZZNS1_29radix_sort_onesweep_iterationIS3_Lb0EN6thrust23THRUST_200600_302600_NS6detail15normal_iteratorINS8_10device_ptrItEEEESD_SD_SD_jNS0_19identity_decomposerENS1_16block_id_wrapperIjLb0EEEEE10hipError_tT1_PNSt15iterator_traitsISI_E10value_typeET2_T3_PNSJ_ISO_E10value_typeET4_T5_PST_SU_PNS1_23onesweep_lookback_stateEbbT6_jjT7_P12ihipStream_tbENKUlT_T0_SI_SN_E_clIPtSD_S15_SD_EEDaS11_S12_SI_SN_EUlS11_E_NS1_11comp_targetILNS1_3genE9ELNS1_11target_archE1100ELNS1_3gpuE3ELNS1_3repE0EEENS1_47radix_sort_onesweep_sort_config_static_selectorELNS0_4arch9wavefront6targetE1EEEvSI_.numbered_sgpr, 0
	.set _ZN7rocprim17ROCPRIM_400000_NS6detail17trampoline_kernelINS0_14default_configENS1_35radix_sort_onesweep_config_selectorIttEEZZNS1_29radix_sort_onesweep_iterationIS3_Lb0EN6thrust23THRUST_200600_302600_NS6detail15normal_iteratorINS8_10device_ptrItEEEESD_SD_SD_jNS0_19identity_decomposerENS1_16block_id_wrapperIjLb0EEEEE10hipError_tT1_PNSt15iterator_traitsISI_E10value_typeET2_T3_PNSJ_ISO_E10value_typeET4_T5_PST_SU_PNS1_23onesweep_lookback_stateEbbT6_jjT7_P12ihipStream_tbENKUlT_T0_SI_SN_E_clIPtSD_S15_SD_EEDaS11_S12_SI_SN_EUlS11_E_NS1_11comp_targetILNS1_3genE9ELNS1_11target_archE1100ELNS1_3gpuE3ELNS1_3repE0EEENS1_47radix_sort_onesweep_sort_config_static_selectorELNS0_4arch9wavefront6targetE1EEEvSI_.num_named_barrier, 0
	.set _ZN7rocprim17ROCPRIM_400000_NS6detail17trampoline_kernelINS0_14default_configENS1_35radix_sort_onesweep_config_selectorIttEEZZNS1_29radix_sort_onesweep_iterationIS3_Lb0EN6thrust23THRUST_200600_302600_NS6detail15normal_iteratorINS8_10device_ptrItEEEESD_SD_SD_jNS0_19identity_decomposerENS1_16block_id_wrapperIjLb0EEEEE10hipError_tT1_PNSt15iterator_traitsISI_E10value_typeET2_T3_PNSJ_ISO_E10value_typeET4_T5_PST_SU_PNS1_23onesweep_lookback_stateEbbT6_jjT7_P12ihipStream_tbENKUlT_T0_SI_SN_E_clIPtSD_S15_SD_EEDaS11_S12_SI_SN_EUlS11_E_NS1_11comp_targetILNS1_3genE9ELNS1_11target_archE1100ELNS1_3gpuE3ELNS1_3repE0EEENS1_47radix_sort_onesweep_sort_config_static_selectorELNS0_4arch9wavefront6targetE1EEEvSI_.private_seg_size, 0
	.set _ZN7rocprim17ROCPRIM_400000_NS6detail17trampoline_kernelINS0_14default_configENS1_35radix_sort_onesweep_config_selectorIttEEZZNS1_29radix_sort_onesweep_iterationIS3_Lb0EN6thrust23THRUST_200600_302600_NS6detail15normal_iteratorINS8_10device_ptrItEEEESD_SD_SD_jNS0_19identity_decomposerENS1_16block_id_wrapperIjLb0EEEEE10hipError_tT1_PNSt15iterator_traitsISI_E10value_typeET2_T3_PNSJ_ISO_E10value_typeET4_T5_PST_SU_PNS1_23onesweep_lookback_stateEbbT6_jjT7_P12ihipStream_tbENKUlT_T0_SI_SN_E_clIPtSD_S15_SD_EEDaS11_S12_SI_SN_EUlS11_E_NS1_11comp_targetILNS1_3genE9ELNS1_11target_archE1100ELNS1_3gpuE3ELNS1_3repE0EEENS1_47radix_sort_onesweep_sort_config_static_selectorELNS0_4arch9wavefront6targetE1EEEvSI_.uses_vcc, 0
	.set _ZN7rocprim17ROCPRIM_400000_NS6detail17trampoline_kernelINS0_14default_configENS1_35radix_sort_onesweep_config_selectorIttEEZZNS1_29radix_sort_onesweep_iterationIS3_Lb0EN6thrust23THRUST_200600_302600_NS6detail15normal_iteratorINS8_10device_ptrItEEEESD_SD_SD_jNS0_19identity_decomposerENS1_16block_id_wrapperIjLb0EEEEE10hipError_tT1_PNSt15iterator_traitsISI_E10value_typeET2_T3_PNSJ_ISO_E10value_typeET4_T5_PST_SU_PNS1_23onesweep_lookback_stateEbbT6_jjT7_P12ihipStream_tbENKUlT_T0_SI_SN_E_clIPtSD_S15_SD_EEDaS11_S12_SI_SN_EUlS11_E_NS1_11comp_targetILNS1_3genE9ELNS1_11target_archE1100ELNS1_3gpuE3ELNS1_3repE0EEENS1_47radix_sort_onesweep_sort_config_static_selectorELNS0_4arch9wavefront6targetE1EEEvSI_.uses_flat_scratch, 0
	.set _ZN7rocprim17ROCPRIM_400000_NS6detail17trampoline_kernelINS0_14default_configENS1_35radix_sort_onesweep_config_selectorIttEEZZNS1_29radix_sort_onesweep_iterationIS3_Lb0EN6thrust23THRUST_200600_302600_NS6detail15normal_iteratorINS8_10device_ptrItEEEESD_SD_SD_jNS0_19identity_decomposerENS1_16block_id_wrapperIjLb0EEEEE10hipError_tT1_PNSt15iterator_traitsISI_E10value_typeET2_T3_PNSJ_ISO_E10value_typeET4_T5_PST_SU_PNS1_23onesweep_lookback_stateEbbT6_jjT7_P12ihipStream_tbENKUlT_T0_SI_SN_E_clIPtSD_S15_SD_EEDaS11_S12_SI_SN_EUlS11_E_NS1_11comp_targetILNS1_3genE9ELNS1_11target_archE1100ELNS1_3gpuE3ELNS1_3repE0EEENS1_47radix_sort_onesweep_sort_config_static_selectorELNS0_4arch9wavefront6targetE1EEEvSI_.has_dyn_sized_stack, 0
	.set _ZN7rocprim17ROCPRIM_400000_NS6detail17trampoline_kernelINS0_14default_configENS1_35radix_sort_onesweep_config_selectorIttEEZZNS1_29radix_sort_onesweep_iterationIS3_Lb0EN6thrust23THRUST_200600_302600_NS6detail15normal_iteratorINS8_10device_ptrItEEEESD_SD_SD_jNS0_19identity_decomposerENS1_16block_id_wrapperIjLb0EEEEE10hipError_tT1_PNSt15iterator_traitsISI_E10value_typeET2_T3_PNSJ_ISO_E10value_typeET4_T5_PST_SU_PNS1_23onesweep_lookback_stateEbbT6_jjT7_P12ihipStream_tbENKUlT_T0_SI_SN_E_clIPtSD_S15_SD_EEDaS11_S12_SI_SN_EUlS11_E_NS1_11comp_targetILNS1_3genE9ELNS1_11target_archE1100ELNS1_3gpuE3ELNS1_3repE0EEENS1_47radix_sort_onesweep_sort_config_static_selectorELNS0_4arch9wavefront6targetE1EEEvSI_.has_recursion, 0
	.set _ZN7rocprim17ROCPRIM_400000_NS6detail17trampoline_kernelINS0_14default_configENS1_35radix_sort_onesweep_config_selectorIttEEZZNS1_29radix_sort_onesweep_iterationIS3_Lb0EN6thrust23THRUST_200600_302600_NS6detail15normal_iteratorINS8_10device_ptrItEEEESD_SD_SD_jNS0_19identity_decomposerENS1_16block_id_wrapperIjLb0EEEEE10hipError_tT1_PNSt15iterator_traitsISI_E10value_typeET2_T3_PNSJ_ISO_E10value_typeET4_T5_PST_SU_PNS1_23onesweep_lookback_stateEbbT6_jjT7_P12ihipStream_tbENKUlT_T0_SI_SN_E_clIPtSD_S15_SD_EEDaS11_S12_SI_SN_EUlS11_E_NS1_11comp_targetILNS1_3genE9ELNS1_11target_archE1100ELNS1_3gpuE3ELNS1_3repE0EEENS1_47radix_sort_onesweep_sort_config_static_selectorELNS0_4arch9wavefront6targetE1EEEvSI_.has_indirect_call, 0
	.section	.AMDGPU.csdata,"",@progbits
; Kernel info:
; codeLenInByte = 0
; TotalNumSgprs: 6
; NumVgprs: 0
; NumAgprs: 0
; TotalNumVgprs: 0
; ScratchSize: 0
; MemoryBound: 0
; FloatMode: 240
; IeeeMode: 1
; LDSByteSize: 0 bytes/workgroup (compile time only)
; SGPRBlocks: 0
; VGPRBlocks: 0
; NumSGPRsForWavesPerEU: 6
; NumVGPRsForWavesPerEU: 1
; AccumOffset: 4
; Occupancy: 8
; WaveLimiterHint : 0
; COMPUTE_PGM_RSRC2:SCRATCH_EN: 0
; COMPUTE_PGM_RSRC2:USER_SGPR: 2
; COMPUTE_PGM_RSRC2:TRAP_HANDLER: 0
; COMPUTE_PGM_RSRC2:TGID_X_EN: 1
; COMPUTE_PGM_RSRC2:TGID_Y_EN: 0
; COMPUTE_PGM_RSRC2:TGID_Z_EN: 0
; COMPUTE_PGM_RSRC2:TIDIG_COMP_CNT: 0
; COMPUTE_PGM_RSRC3_GFX90A:ACCUM_OFFSET: 0
; COMPUTE_PGM_RSRC3_GFX90A:TG_SPLIT: 0
	.section	.text._ZN7rocprim17ROCPRIM_400000_NS6detail17trampoline_kernelINS0_14default_configENS1_35radix_sort_onesweep_config_selectorIttEEZZNS1_29radix_sort_onesweep_iterationIS3_Lb0EN6thrust23THRUST_200600_302600_NS6detail15normal_iteratorINS8_10device_ptrItEEEESD_SD_SD_jNS0_19identity_decomposerENS1_16block_id_wrapperIjLb0EEEEE10hipError_tT1_PNSt15iterator_traitsISI_E10value_typeET2_T3_PNSJ_ISO_E10value_typeET4_T5_PST_SU_PNS1_23onesweep_lookback_stateEbbT6_jjT7_P12ihipStream_tbENKUlT_T0_SI_SN_E_clIPtSD_S15_SD_EEDaS11_S12_SI_SN_EUlS11_E_NS1_11comp_targetILNS1_3genE8ELNS1_11target_archE1030ELNS1_3gpuE2ELNS1_3repE0EEENS1_47radix_sort_onesweep_sort_config_static_selectorELNS0_4arch9wavefront6targetE1EEEvSI_,"axG",@progbits,_ZN7rocprim17ROCPRIM_400000_NS6detail17trampoline_kernelINS0_14default_configENS1_35radix_sort_onesweep_config_selectorIttEEZZNS1_29radix_sort_onesweep_iterationIS3_Lb0EN6thrust23THRUST_200600_302600_NS6detail15normal_iteratorINS8_10device_ptrItEEEESD_SD_SD_jNS0_19identity_decomposerENS1_16block_id_wrapperIjLb0EEEEE10hipError_tT1_PNSt15iterator_traitsISI_E10value_typeET2_T3_PNSJ_ISO_E10value_typeET4_T5_PST_SU_PNS1_23onesweep_lookback_stateEbbT6_jjT7_P12ihipStream_tbENKUlT_T0_SI_SN_E_clIPtSD_S15_SD_EEDaS11_S12_SI_SN_EUlS11_E_NS1_11comp_targetILNS1_3genE8ELNS1_11target_archE1030ELNS1_3gpuE2ELNS1_3repE0EEENS1_47radix_sort_onesweep_sort_config_static_selectorELNS0_4arch9wavefront6targetE1EEEvSI_,comdat
	.protected	_ZN7rocprim17ROCPRIM_400000_NS6detail17trampoline_kernelINS0_14default_configENS1_35radix_sort_onesweep_config_selectorIttEEZZNS1_29radix_sort_onesweep_iterationIS3_Lb0EN6thrust23THRUST_200600_302600_NS6detail15normal_iteratorINS8_10device_ptrItEEEESD_SD_SD_jNS0_19identity_decomposerENS1_16block_id_wrapperIjLb0EEEEE10hipError_tT1_PNSt15iterator_traitsISI_E10value_typeET2_T3_PNSJ_ISO_E10value_typeET4_T5_PST_SU_PNS1_23onesweep_lookback_stateEbbT6_jjT7_P12ihipStream_tbENKUlT_T0_SI_SN_E_clIPtSD_S15_SD_EEDaS11_S12_SI_SN_EUlS11_E_NS1_11comp_targetILNS1_3genE8ELNS1_11target_archE1030ELNS1_3gpuE2ELNS1_3repE0EEENS1_47radix_sort_onesweep_sort_config_static_selectorELNS0_4arch9wavefront6targetE1EEEvSI_ ; -- Begin function _ZN7rocprim17ROCPRIM_400000_NS6detail17trampoline_kernelINS0_14default_configENS1_35radix_sort_onesweep_config_selectorIttEEZZNS1_29radix_sort_onesweep_iterationIS3_Lb0EN6thrust23THRUST_200600_302600_NS6detail15normal_iteratorINS8_10device_ptrItEEEESD_SD_SD_jNS0_19identity_decomposerENS1_16block_id_wrapperIjLb0EEEEE10hipError_tT1_PNSt15iterator_traitsISI_E10value_typeET2_T3_PNSJ_ISO_E10value_typeET4_T5_PST_SU_PNS1_23onesweep_lookback_stateEbbT6_jjT7_P12ihipStream_tbENKUlT_T0_SI_SN_E_clIPtSD_S15_SD_EEDaS11_S12_SI_SN_EUlS11_E_NS1_11comp_targetILNS1_3genE8ELNS1_11target_archE1030ELNS1_3gpuE2ELNS1_3repE0EEENS1_47radix_sort_onesweep_sort_config_static_selectorELNS0_4arch9wavefront6targetE1EEEvSI_
	.globl	_ZN7rocprim17ROCPRIM_400000_NS6detail17trampoline_kernelINS0_14default_configENS1_35radix_sort_onesweep_config_selectorIttEEZZNS1_29radix_sort_onesweep_iterationIS3_Lb0EN6thrust23THRUST_200600_302600_NS6detail15normal_iteratorINS8_10device_ptrItEEEESD_SD_SD_jNS0_19identity_decomposerENS1_16block_id_wrapperIjLb0EEEEE10hipError_tT1_PNSt15iterator_traitsISI_E10value_typeET2_T3_PNSJ_ISO_E10value_typeET4_T5_PST_SU_PNS1_23onesweep_lookback_stateEbbT6_jjT7_P12ihipStream_tbENKUlT_T0_SI_SN_E_clIPtSD_S15_SD_EEDaS11_S12_SI_SN_EUlS11_E_NS1_11comp_targetILNS1_3genE8ELNS1_11target_archE1030ELNS1_3gpuE2ELNS1_3repE0EEENS1_47radix_sort_onesweep_sort_config_static_selectorELNS0_4arch9wavefront6targetE1EEEvSI_
	.p2align	8
	.type	_ZN7rocprim17ROCPRIM_400000_NS6detail17trampoline_kernelINS0_14default_configENS1_35radix_sort_onesweep_config_selectorIttEEZZNS1_29radix_sort_onesweep_iterationIS3_Lb0EN6thrust23THRUST_200600_302600_NS6detail15normal_iteratorINS8_10device_ptrItEEEESD_SD_SD_jNS0_19identity_decomposerENS1_16block_id_wrapperIjLb0EEEEE10hipError_tT1_PNSt15iterator_traitsISI_E10value_typeET2_T3_PNSJ_ISO_E10value_typeET4_T5_PST_SU_PNS1_23onesweep_lookback_stateEbbT6_jjT7_P12ihipStream_tbENKUlT_T0_SI_SN_E_clIPtSD_S15_SD_EEDaS11_S12_SI_SN_EUlS11_E_NS1_11comp_targetILNS1_3genE8ELNS1_11target_archE1030ELNS1_3gpuE2ELNS1_3repE0EEENS1_47radix_sort_onesweep_sort_config_static_selectorELNS0_4arch9wavefront6targetE1EEEvSI_,@function
_ZN7rocprim17ROCPRIM_400000_NS6detail17trampoline_kernelINS0_14default_configENS1_35radix_sort_onesweep_config_selectorIttEEZZNS1_29radix_sort_onesweep_iterationIS3_Lb0EN6thrust23THRUST_200600_302600_NS6detail15normal_iteratorINS8_10device_ptrItEEEESD_SD_SD_jNS0_19identity_decomposerENS1_16block_id_wrapperIjLb0EEEEE10hipError_tT1_PNSt15iterator_traitsISI_E10value_typeET2_T3_PNSJ_ISO_E10value_typeET4_T5_PST_SU_PNS1_23onesweep_lookback_stateEbbT6_jjT7_P12ihipStream_tbENKUlT_T0_SI_SN_E_clIPtSD_S15_SD_EEDaS11_S12_SI_SN_EUlS11_E_NS1_11comp_targetILNS1_3genE8ELNS1_11target_archE1030ELNS1_3gpuE2ELNS1_3repE0EEENS1_47radix_sort_onesweep_sort_config_static_selectorELNS0_4arch9wavefront6targetE1EEEvSI_: ; @_ZN7rocprim17ROCPRIM_400000_NS6detail17trampoline_kernelINS0_14default_configENS1_35radix_sort_onesweep_config_selectorIttEEZZNS1_29radix_sort_onesweep_iterationIS3_Lb0EN6thrust23THRUST_200600_302600_NS6detail15normal_iteratorINS8_10device_ptrItEEEESD_SD_SD_jNS0_19identity_decomposerENS1_16block_id_wrapperIjLb0EEEEE10hipError_tT1_PNSt15iterator_traitsISI_E10value_typeET2_T3_PNSJ_ISO_E10value_typeET4_T5_PST_SU_PNS1_23onesweep_lookback_stateEbbT6_jjT7_P12ihipStream_tbENKUlT_T0_SI_SN_E_clIPtSD_S15_SD_EEDaS11_S12_SI_SN_EUlS11_E_NS1_11comp_targetILNS1_3genE8ELNS1_11target_archE1030ELNS1_3gpuE2ELNS1_3repE0EEENS1_47radix_sort_onesweep_sort_config_static_selectorELNS0_4arch9wavefront6targetE1EEEvSI_
; %bb.0:
	.section	.rodata,"a",@progbits
	.p2align	6, 0x0
	.amdhsa_kernel _ZN7rocprim17ROCPRIM_400000_NS6detail17trampoline_kernelINS0_14default_configENS1_35radix_sort_onesweep_config_selectorIttEEZZNS1_29radix_sort_onesweep_iterationIS3_Lb0EN6thrust23THRUST_200600_302600_NS6detail15normal_iteratorINS8_10device_ptrItEEEESD_SD_SD_jNS0_19identity_decomposerENS1_16block_id_wrapperIjLb0EEEEE10hipError_tT1_PNSt15iterator_traitsISI_E10value_typeET2_T3_PNSJ_ISO_E10value_typeET4_T5_PST_SU_PNS1_23onesweep_lookback_stateEbbT6_jjT7_P12ihipStream_tbENKUlT_T0_SI_SN_E_clIPtSD_S15_SD_EEDaS11_S12_SI_SN_EUlS11_E_NS1_11comp_targetILNS1_3genE8ELNS1_11target_archE1030ELNS1_3gpuE2ELNS1_3repE0EEENS1_47radix_sort_onesweep_sort_config_static_selectorELNS0_4arch9wavefront6targetE1EEEvSI_
		.amdhsa_group_segment_fixed_size 0
		.amdhsa_private_segment_fixed_size 0
		.amdhsa_kernarg_size 88
		.amdhsa_user_sgpr_count 2
		.amdhsa_user_sgpr_dispatch_ptr 0
		.amdhsa_user_sgpr_queue_ptr 0
		.amdhsa_user_sgpr_kernarg_segment_ptr 1
		.amdhsa_user_sgpr_dispatch_id 0
		.amdhsa_user_sgpr_kernarg_preload_length 0
		.amdhsa_user_sgpr_kernarg_preload_offset 0
		.amdhsa_user_sgpr_private_segment_size 0
		.amdhsa_uses_dynamic_stack 0
		.amdhsa_enable_private_segment 0
		.amdhsa_system_sgpr_workgroup_id_x 1
		.amdhsa_system_sgpr_workgroup_id_y 0
		.amdhsa_system_sgpr_workgroup_id_z 0
		.amdhsa_system_sgpr_workgroup_info 0
		.amdhsa_system_vgpr_workitem_id 0
		.amdhsa_next_free_vgpr 1
		.amdhsa_next_free_sgpr 0
		.amdhsa_accum_offset 4
		.amdhsa_reserve_vcc 0
		.amdhsa_float_round_mode_32 0
		.amdhsa_float_round_mode_16_64 0
		.amdhsa_float_denorm_mode_32 3
		.amdhsa_float_denorm_mode_16_64 3
		.amdhsa_dx10_clamp 1
		.amdhsa_ieee_mode 1
		.amdhsa_fp16_overflow 0
		.amdhsa_tg_split 0
		.amdhsa_exception_fp_ieee_invalid_op 0
		.amdhsa_exception_fp_denorm_src 0
		.amdhsa_exception_fp_ieee_div_zero 0
		.amdhsa_exception_fp_ieee_overflow 0
		.amdhsa_exception_fp_ieee_underflow 0
		.amdhsa_exception_fp_ieee_inexact 0
		.amdhsa_exception_int_div_zero 0
	.end_amdhsa_kernel
	.section	.text._ZN7rocprim17ROCPRIM_400000_NS6detail17trampoline_kernelINS0_14default_configENS1_35radix_sort_onesweep_config_selectorIttEEZZNS1_29radix_sort_onesweep_iterationIS3_Lb0EN6thrust23THRUST_200600_302600_NS6detail15normal_iteratorINS8_10device_ptrItEEEESD_SD_SD_jNS0_19identity_decomposerENS1_16block_id_wrapperIjLb0EEEEE10hipError_tT1_PNSt15iterator_traitsISI_E10value_typeET2_T3_PNSJ_ISO_E10value_typeET4_T5_PST_SU_PNS1_23onesweep_lookback_stateEbbT6_jjT7_P12ihipStream_tbENKUlT_T0_SI_SN_E_clIPtSD_S15_SD_EEDaS11_S12_SI_SN_EUlS11_E_NS1_11comp_targetILNS1_3genE8ELNS1_11target_archE1030ELNS1_3gpuE2ELNS1_3repE0EEENS1_47radix_sort_onesweep_sort_config_static_selectorELNS0_4arch9wavefront6targetE1EEEvSI_,"axG",@progbits,_ZN7rocprim17ROCPRIM_400000_NS6detail17trampoline_kernelINS0_14default_configENS1_35radix_sort_onesweep_config_selectorIttEEZZNS1_29radix_sort_onesweep_iterationIS3_Lb0EN6thrust23THRUST_200600_302600_NS6detail15normal_iteratorINS8_10device_ptrItEEEESD_SD_SD_jNS0_19identity_decomposerENS1_16block_id_wrapperIjLb0EEEEE10hipError_tT1_PNSt15iterator_traitsISI_E10value_typeET2_T3_PNSJ_ISO_E10value_typeET4_T5_PST_SU_PNS1_23onesweep_lookback_stateEbbT6_jjT7_P12ihipStream_tbENKUlT_T0_SI_SN_E_clIPtSD_S15_SD_EEDaS11_S12_SI_SN_EUlS11_E_NS1_11comp_targetILNS1_3genE8ELNS1_11target_archE1030ELNS1_3gpuE2ELNS1_3repE0EEENS1_47radix_sort_onesweep_sort_config_static_selectorELNS0_4arch9wavefront6targetE1EEEvSI_,comdat
.Lfunc_end1027:
	.size	_ZN7rocprim17ROCPRIM_400000_NS6detail17trampoline_kernelINS0_14default_configENS1_35radix_sort_onesweep_config_selectorIttEEZZNS1_29radix_sort_onesweep_iterationIS3_Lb0EN6thrust23THRUST_200600_302600_NS6detail15normal_iteratorINS8_10device_ptrItEEEESD_SD_SD_jNS0_19identity_decomposerENS1_16block_id_wrapperIjLb0EEEEE10hipError_tT1_PNSt15iterator_traitsISI_E10value_typeET2_T3_PNSJ_ISO_E10value_typeET4_T5_PST_SU_PNS1_23onesweep_lookback_stateEbbT6_jjT7_P12ihipStream_tbENKUlT_T0_SI_SN_E_clIPtSD_S15_SD_EEDaS11_S12_SI_SN_EUlS11_E_NS1_11comp_targetILNS1_3genE8ELNS1_11target_archE1030ELNS1_3gpuE2ELNS1_3repE0EEENS1_47radix_sort_onesweep_sort_config_static_selectorELNS0_4arch9wavefront6targetE1EEEvSI_, .Lfunc_end1027-_ZN7rocprim17ROCPRIM_400000_NS6detail17trampoline_kernelINS0_14default_configENS1_35radix_sort_onesweep_config_selectorIttEEZZNS1_29radix_sort_onesweep_iterationIS3_Lb0EN6thrust23THRUST_200600_302600_NS6detail15normal_iteratorINS8_10device_ptrItEEEESD_SD_SD_jNS0_19identity_decomposerENS1_16block_id_wrapperIjLb0EEEEE10hipError_tT1_PNSt15iterator_traitsISI_E10value_typeET2_T3_PNSJ_ISO_E10value_typeET4_T5_PST_SU_PNS1_23onesweep_lookback_stateEbbT6_jjT7_P12ihipStream_tbENKUlT_T0_SI_SN_E_clIPtSD_S15_SD_EEDaS11_S12_SI_SN_EUlS11_E_NS1_11comp_targetILNS1_3genE8ELNS1_11target_archE1030ELNS1_3gpuE2ELNS1_3repE0EEENS1_47radix_sort_onesweep_sort_config_static_selectorELNS0_4arch9wavefront6targetE1EEEvSI_
                                        ; -- End function
	.set _ZN7rocprim17ROCPRIM_400000_NS6detail17trampoline_kernelINS0_14default_configENS1_35radix_sort_onesweep_config_selectorIttEEZZNS1_29radix_sort_onesweep_iterationIS3_Lb0EN6thrust23THRUST_200600_302600_NS6detail15normal_iteratorINS8_10device_ptrItEEEESD_SD_SD_jNS0_19identity_decomposerENS1_16block_id_wrapperIjLb0EEEEE10hipError_tT1_PNSt15iterator_traitsISI_E10value_typeET2_T3_PNSJ_ISO_E10value_typeET4_T5_PST_SU_PNS1_23onesweep_lookback_stateEbbT6_jjT7_P12ihipStream_tbENKUlT_T0_SI_SN_E_clIPtSD_S15_SD_EEDaS11_S12_SI_SN_EUlS11_E_NS1_11comp_targetILNS1_3genE8ELNS1_11target_archE1030ELNS1_3gpuE2ELNS1_3repE0EEENS1_47radix_sort_onesweep_sort_config_static_selectorELNS0_4arch9wavefront6targetE1EEEvSI_.num_vgpr, 0
	.set _ZN7rocprim17ROCPRIM_400000_NS6detail17trampoline_kernelINS0_14default_configENS1_35radix_sort_onesweep_config_selectorIttEEZZNS1_29radix_sort_onesweep_iterationIS3_Lb0EN6thrust23THRUST_200600_302600_NS6detail15normal_iteratorINS8_10device_ptrItEEEESD_SD_SD_jNS0_19identity_decomposerENS1_16block_id_wrapperIjLb0EEEEE10hipError_tT1_PNSt15iterator_traitsISI_E10value_typeET2_T3_PNSJ_ISO_E10value_typeET4_T5_PST_SU_PNS1_23onesweep_lookback_stateEbbT6_jjT7_P12ihipStream_tbENKUlT_T0_SI_SN_E_clIPtSD_S15_SD_EEDaS11_S12_SI_SN_EUlS11_E_NS1_11comp_targetILNS1_3genE8ELNS1_11target_archE1030ELNS1_3gpuE2ELNS1_3repE0EEENS1_47radix_sort_onesweep_sort_config_static_selectorELNS0_4arch9wavefront6targetE1EEEvSI_.num_agpr, 0
	.set _ZN7rocprim17ROCPRIM_400000_NS6detail17trampoline_kernelINS0_14default_configENS1_35radix_sort_onesweep_config_selectorIttEEZZNS1_29radix_sort_onesweep_iterationIS3_Lb0EN6thrust23THRUST_200600_302600_NS6detail15normal_iteratorINS8_10device_ptrItEEEESD_SD_SD_jNS0_19identity_decomposerENS1_16block_id_wrapperIjLb0EEEEE10hipError_tT1_PNSt15iterator_traitsISI_E10value_typeET2_T3_PNSJ_ISO_E10value_typeET4_T5_PST_SU_PNS1_23onesweep_lookback_stateEbbT6_jjT7_P12ihipStream_tbENKUlT_T0_SI_SN_E_clIPtSD_S15_SD_EEDaS11_S12_SI_SN_EUlS11_E_NS1_11comp_targetILNS1_3genE8ELNS1_11target_archE1030ELNS1_3gpuE2ELNS1_3repE0EEENS1_47radix_sort_onesweep_sort_config_static_selectorELNS0_4arch9wavefront6targetE1EEEvSI_.numbered_sgpr, 0
	.set _ZN7rocprim17ROCPRIM_400000_NS6detail17trampoline_kernelINS0_14default_configENS1_35radix_sort_onesweep_config_selectorIttEEZZNS1_29radix_sort_onesweep_iterationIS3_Lb0EN6thrust23THRUST_200600_302600_NS6detail15normal_iteratorINS8_10device_ptrItEEEESD_SD_SD_jNS0_19identity_decomposerENS1_16block_id_wrapperIjLb0EEEEE10hipError_tT1_PNSt15iterator_traitsISI_E10value_typeET2_T3_PNSJ_ISO_E10value_typeET4_T5_PST_SU_PNS1_23onesweep_lookback_stateEbbT6_jjT7_P12ihipStream_tbENKUlT_T0_SI_SN_E_clIPtSD_S15_SD_EEDaS11_S12_SI_SN_EUlS11_E_NS1_11comp_targetILNS1_3genE8ELNS1_11target_archE1030ELNS1_3gpuE2ELNS1_3repE0EEENS1_47radix_sort_onesweep_sort_config_static_selectorELNS0_4arch9wavefront6targetE1EEEvSI_.num_named_barrier, 0
	.set _ZN7rocprim17ROCPRIM_400000_NS6detail17trampoline_kernelINS0_14default_configENS1_35radix_sort_onesweep_config_selectorIttEEZZNS1_29radix_sort_onesweep_iterationIS3_Lb0EN6thrust23THRUST_200600_302600_NS6detail15normal_iteratorINS8_10device_ptrItEEEESD_SD_SD_jNS0_19identity_decomposerENS1_16block_id_wrapperIjLb0EEEEE10hipError_tT1_PNSt15iterator_traitsISI_E10value_typeET2_T3_PNSJ_ISO_E10value_typeET4_T5_PST_SU_PNS1_23onesweep_lookback_stateEbbT6_jjT7_P12ihipStream_tbENKUlT_T0_SI_SN_E_clIPtSD_S15_SD_EEDaS11_S12_SI_SN_EUlS11_E_NS1_11comp_targetILNS1_3genE8ELNS1_11target_archE1030ELNS1_3gpuE2ELNS1_3repE0EEENS1_47radix_sort_onesweep_sort_config_static_selectorELNS0_4arch9wavefront6targetE1EEEvSI_.private_seg_size, 0
	.set _ZN7rocprim17ROCPRIM_400000_NS6detail17trampoline_kernelINS0_14default_configENS1_35radix_sort_onesweep_config_selectorIttEEZZNS1_29radix_sort_onesweep_iterationIS3_Lb0EN6thrust23THRUST_200600_302600_NS6detail15normal_iteratorINS8_10device_ptrItEEEESD_SD_SD_jNS0_19identity_decomposerENS1_16block_id_wrapperIjLb0EEEEE10hipError_tT1_PNSt15iterator_traitsISI_E10value_typeET2_T3_PNSJ_ISO_E10value_typeET4_T5_PST_SU_PNS1_23onesweep_lookback_stateEbbT6_jjT7_P12ihipStream_tbENKUlT_T0_SI_SN_E_clIPtSD_S15_SD_EEDaS11_S12_SI_SN_EUlS11_E_NS1_11comp_targetILNS1_3genE8ELNS1_11target_archE1030ELNS1_3gpuE2ELNS1_3repE0EEENS1_47radix_sort_onesweep_sort_config_static_selectorELNS0_4arch9wavefront6targetE1EEEvSI_.uses_vcc, 0
	.set _ZN7rocprim17ROCPRIM_400000_NS6detail17trampoline_kernelINS0_14default_configENS1_35radix_sort_onesweep_config_selectorIttEEZZNS1_29radix_sort_onesweep_iterationIS3_Lb0EN6thrust23THRUST_200600_302600_NS6detail15normal_iteratorINS8_10device_ptrItEEEESD_SD_SD_jNS0_19identity_decomposerENS1_16block_id_wrapperIjLb0EEEEE10hipError_tT1_PNSt15iterator_traitsISI_E10value_typeET2_T3_PNSJ_ISO_E10value_typeET4_T5_PST_SU_PNS1_23onesweep_lookback_stateEbbT6_jjT7_P12ihipStream_tbENKUlT_T0_SI_SN_E_clIPtSD_S15_SD_EEDaS11_S12_SI_SN_EUlS11_E_NS1_11comp_targetILNS1_3genE8ELNS1_11target_archE1030ELNS1_3gpuE2ELNS1_3repE0EEENS1_47radix_sort_onesweep_sort_config_static_selectorELNS0_4arch9wavefront6targetE1EEEvSI_.uses_flat_scratch, 0
	.set _ZN7rocprim17ROCPRIM_400000_NS6detail17trampoline_kernelINS0_14default_configENS1_35radix_sort_onesweep_config_selectorIttEEZZNS1_29radix_sort_onesweep_iterationIS3_Lb0EN6thrust23THRUST_200600_302600_NS6detail15normal_iteratorINS8_10device_ptrItEEEESD_SD_SD_jNS0_19identity_decomposerENS1_16block_id_wrapperIjLb0EEEEE10hipError_tT1_PNSt15iterator_traitsISI_E10value_typeET2_T3_PNSJ_ISO_E10value_typeET4_T5_PST_SU_PNS1_23onesweep_lookback_stateEbbT6_jjT7_P12ihipStream_tbENKUlT_T0_SI_SN_E_clIPtSD_S15_SD_EEDaS11_S12_SI_SN_EUlS11_E_NS1_11comp_targetILNS1_3genE8ELNS1_11target_archE1030ELNS1_3gpuE2ELNS1_3repE0EEENS1_47radix_sort_onesweep_sort_config_static_selectorELNS0_4arch9wavefront6targetE1EEEvSI_.has_dyn_sized_stack, 0
	.set _ZN7rocprim17ROCPRIM_400000_NS6detail17trampoline_kernelINS0_14default_configENS1_35radix_sort_onesweep_config_selectorIttEEZZNS1_29radix_sort_onesweep_iterationIS3_Lb0EN6thrust23THRUST_200600_302600_NS6detail15normal_iteratorINS8_10device_ptrItEEEESD_SD_SD_jNS0_19identity_decomposerENS1_16block_id_wrapperIjLb0EEEEE10hipError_tT1_PNSt15iterator_traitsISI_E10value_typeET2_T3_PNSJ_ISO_E10value_typeET4_T5_PST_SU_PNS1_23onesweep_lookback_stateEbbT6_jjT7_P12ihipStream_tbENKUlT_T0_SI_SN_E_clIPtSD_S15_SD_EEDaS11_S12_SI_SN_EUlS11_E_NS1_11comp_targetILNS1_3genE8ELNS1_11target_archE1030ELNS1_3gpuE2ELNS1_3repE0EEENS1_47radix_sort_onesweep_sort_config_static_selectorELNS0_4arch9wavefront6targetE1EEEvSI_.has_recursion, 0
	.set _ZN7rocprim17ROCPRIM_400000_NS6detail17trampoline_kernelINS0_14default_configENS1_35radix_sort_onesweep_config_selectorIttEEZZNS1_29radix_sort_onesweep_iterationIS3_Lb0EN6thrust23THRUST_200600_302600_NS6detail15normal_iteratorINS8_10device_ptrItEEEESD_SD_SD_jNS0_19identity_decomposerENS1_16block_id_wrapperIjLb0EEEEE10hipError_tT1_PNSt15iterator_traitsISI_E10value_typeET2_T3_PNSJ_ISO_E10value_typeET4_T5_PST_SU_PNS1_23onesweep_lookback_stateEbbT6_jjT7_P12ihipStream_tbENKUlT_T0_SI_SN_E_clIPtSD_S15_SD_EEDaS11_S12_SI_SN_EUlS11_E_NS1_11comp_targetILNS1_3genE8ELNS1_11target_archE1030ELNS1_3gpuE2ELNS1_3repE0EEENS1_47radix_sort_onesweep_sort_config_static_selectorELNS0_4arch9wavefront6targetE1EEEvSI_.has_indirect_call, 0
	.section	.AMDGPU.csdata,"",@progbits
; Kernel info:
; codeLenInByte = 0
; TotalNumSgprs: 6
; NumVgprs: 0
; NumAgprs: 0
; TotalNumVgprs: 0
; ScratchSize: 0
; MemoryBound: 0
; FloatMode: 240
; IeeeMode: 1
; LDSByteSize: 0 bytes/workgroup (compile time only)
; SGPRBlocks: 0
; VGPRBlocks: 0
; NumSGPRsForWavesPerEU: 6
; NumVGPRsForWavesPerEU: 1
; AccumOffset: 4
; Occupancy: 8
; WaveLimiterHint : 0
; COMPUTE_PGM_RSRC2:SCRATCH_EN: 0
; COMPUTE_PGM_RSRC2:USER_SGPR: 2
; COMPUTE_PGM_RSRC2:TRAP_HANDLER: 0
; COMPUTE_PGM_RSRC2:TGID_X_EN: 1
; COMPUTE_PGM_RSRC2:TGID_Y_EN: 0
; COMPUTE_PGM_RSRC2:TGID_Z_EN: 0
; COMPUTE_PGM_RSRC2:TIDIG_COMP_CNT: 0
; COMPUTE_PGM_RSRC3_GFX90A:ACCUM_OFFSET: 0
; COMPUTE_PGM_RSRC3_GFX90A:TG_SPLIT: 0
	.section	.text._ZN7rocprim17ROCPRIM_400000_NS6detail17trampoline_kernelINS0_14default_configENS1_22reduce_config_selectorIN6thrust23THRUST_200600_302600_NS5tupleIblNS6_9null_typeES8_S8_S8_S8_S8_S8_S8_EEEEZNS1_11reduce_implILb1ES3_NS6_12zip_iteratorINS7_INS6_11hip_rocprim26transform_input_iterator_tIbNSD_35transform_pair_of_input_iterators_tIbNS6_6detail15normal_iteratorINS6_10device_ptrIKtEEEESL_NS6_8equal_toItEEEENSG_9not_fun_tINSD_8identityEEEEENSD_19counting_iterator_tIlEES8_S8_S8_S8_S8_S8_S8_S8_EEEEPS9_S9_NSD_9__find_if7functorIS9_EEEE10hipError_tPvRmT1_T2_T3_mT4_P12ihipStream_tbEUlT_E0_NS1_11comp_targetILNS1_3genE0ELNS1_11target_archE4294967295ELNS1_3gpuE0ELNS1_3repE0EEENS1_30default_config_static_selectorELNS0_4arch9wavefront6targetE1EEEvS14_,"axG",@progbits,_ZN7rocprim17ROCPRIM_400000_NS6detail17trampoline_kernelINS0_14default_configENS1_22reduce_config_selectorIN6thrust23THRUST_200600_302600_NS5tupleIblNS6_9null_typeES8_S8_S8_S8_S8_S8_S8_EEEEZNS1_11reduce_implILb1ES3_NS6_12zip_iteratorINS7_INS6_11hip_rocprim26transform_input_iterator_tIbNSD_35transform_pair_of_input_iterators_tIbNS6_6detail15normal_iteratorINS6_10device_ptrIKtEEEESL_NS6_8equal_toItEEEENSG_9not_fun_tINSD_8identityEEEEENSD_19counting_iterator_tIlEES8_S8_S8_S8_S8_S8_S8_S8_EEEEPS9_S9_NSD_9__find_if7functorIS9_EEEE10hipError_tPvRmT1_T2_T3_mT4_P12ihipStream_tbEUlT_E0_NS1_11comp_targetILNS1_3genE0ELNS1_11target_archE4294967295ELNS1_3gpuE0ELNS1_3repE0EEENS1_30default_config_static_selectorELNS0_4arch9wavefront6targetE1EEEvS14_,comdat
	.protected	_ZN7rocprim17ROCPRIM_400000_NS6detail17trampoline_kernelINS0_14default_configENS1_22reduce_config_selectorIN6thrust23THRUST_200600_302600_NS5tupleIblNS6_9null_typeES8_S8_S8_S8_S8_S8_S8_EEEEZNS1_11reduce_implILb1ES3_NS6_12zip_iteratorINS7_INS6_11hip_rocprim26transform_input_iterator_tIbNSD_35transform_pair_of_input_iterators_tIbNS6_6detail15normal_iteratorINS6_10device_ptrIKtEEEESL_NS6_8equal_toItEEEENSG_9not_fun_tINSD_8identityEEEEENSD_19counting_iterator_tIlEES8_S8_S8_S8_S8_S8_S8_S8_EEEEPS9_S9_NSD_9__find_if7functorIS9_EEEE10hipError_tPvRmT1_T2_T3_mT4_P12ihipStream_tbEUlT_E0_NS1_11comp_targetILNS1_3genE0ELNS1_11target_archE4294967295ELNS1_3gpuE0ELNS1_3repE0EEENS1_30default_config_static_selectorELNS0_4arch9wavefront6targetE1EEEvS14_ ; -- Begin function _ZN7rocprim17ROCPRIM_400000_NS6detail17trampoline_kernelINS0_14default_configENS1_22reduce_config_selectorIN6thrust23THRUST_200600_302600_NS5tupleIblNS6_9null_typeES8_S8_S8_S8_S8_S8_S8_EEEEZNS1_11reduce_implILb1ES3_NS6_12zip_iteratorINS7_INS6_11hip_rocprim26transform_input_iterator_tIbNSD_35transform_pair_of_input_iterators_tIbNS6_6detail15normal_iteratorINS6_10device_ptrIKtEEEESL_NS6_8equal_toItEEEENSG_9not_fun_tINSD_8identityEEEEENSD_19counting_iterator_tIlEES8_S8_S8_S8_S8_S8_S8_S8_EEEEPS9_S9_NSD_9__find_if7functorIS9_EEEE10hipError_tPvRmT1_T2_T3_mT4_P12ihipStream_tbEUlT_E0_NS1_11comp_targetILNS1_3genE0ELNS1_11target_archE4294967295ELNS1_3gpuE0ELNS1_3repE0EEENS1_30default_config_static_selectorELNS0_4arch9wavefront6targetE1EEEvS14_
	.globl	_ZN7rocprim17ROCPRIM_400000_NS6detail17trampoline_kernelINS0_14default_configENS1_22reduce_config_selectorIN6thrust23THRUST_200600_302600_NS5tupleIblNS6_9null_typeES8_S8_S8_S8_S8_S8_S8_EEEEZNS1_11reduce_implILb1ES3_NS6_12zip_iteratorINS7_INS6_11hip_rocprim26transform_input_iterator_tIbNSD_35transform_pair_of_input_iterators_tIbNS6_6detail15normal_iteratorINS6_10device_ptrIKtEEEESL_NS6_8equal_toItEEEENSG_9not_fun_tINSD_8identityEEEEENSD_19counting_iterator_tIlEES8_S8_S8_S8_S8_S8_S8_S8_EEEEPS9_S9_NSD_9__find_if7functorIS9_EEEE10hipError_tPvRmT1_T2_T3_mT4_P12ihipStream_tbEUlT_E0_NS1_11comp_targetILNS1_3genE0ELNS1_11target_archE4294967295ELNS1_3gpuE0ELNS1_3repE0EEENS1_30default_config_static_selectorELNS0_4arch9wavefront6targetE1EEEvS14_
	.p2align	8
	.type	_ZN7rocprim17ROCPRIM_400000_NS6detail17trampoline_kernelINS0_14default_configENS1_22reduce_config_selectorIN6thrust23THRUST_200600_302600_NS5tupleIblNS6_9null_typeES8_S8_S8_S8_S8_S8_S8_EEEEZNS1_11reduce_implILb1ES3_NS6_12zip_iteratorINS7_INS6_11hip_rocprim26transform_input_iterator_tIbNSD_35transform_pair_of_input_iterators_tIbNS6_6detail15normal_iteratorINS6_10device_ptrIKtEEEESL_NS6_8equal_toItEEEENSG_9not_fun_tINSD_8identityEEEEENSD_19counting_iterator_tIlEES8_S8_S8_S8_S8_S8_S8_S8_EEEEPS9_S9_NSD_9__find_if7functorIS9_EEEE10hipError_tPvRmT1_T2_T3_mT4_P12ihipStream_tbEUlT_E0_NS1_11comp_targetILNS1_3genE0ELNS1_11target_archE4294967295ELNS1_3gpuE0ELNS1_3repE0EEENS1_30default_config_static_selectorELNS0_4arch9wavefront6targetE1EEEvS14_,@function
_ZN7rocprim17ROCPRIM_400000_NS6detail17trampoline_kernelINS0_14default_configENS1_22reduce_config_selectorIN6thrust23THRUST_200600_302600_NS5tupleIblNS6_9null_typeES8_S8_S8_S8_S8_S8_S8_EEEEZNS1_11reduce_implILb1ES3_NS6_12zip_iteratorINS7_INS6_11hip_rocprim26transform_input_iterator_tIbNSD_35transform_pair_of_input_iterators_tIbNS6_6detail15normal_iteratorINS6_10device_ptrIKtEEEESL_NS6_8equal_toItEEEENSG_9not_fun_tINSD_8identityEEEEENSD_19counting_iterator_tIlEES8_S8_S8_S8_S8_S8_S8_S8_EEEEPS9_S9_NSD_9__find_if7functorIS9_EEEE10hipError_tPvRmT1_T2_T3_mT4_P12ihipStream_tbEUlT_E0_NS1_11comp_targetILNS1_3genE0ELNS1_11target_archE4294967295ELNS1_3gpuE0ELNS1_3repE0EEENS1_30default_config_static_selectorELNS0_4arch9wavefront6targetE1EEEvS14_: ; @_ZN7rocprim17ROCPRIM_400000_NS6detail17trampoline_kernelINS0_14default_configENS1_22reduce_config_selectorIN6thrust23THRUST_200600_302600_NS5tupleIblNS6_9null_typeES8_S8_S8_S8_S8_S8_S8_EEEEZNS1_11reduce_implILb1ES3_NS6_12zip_iteratorINS7_INS6_11hip_rocprim26transform_input_iterator_tIbNSD_35transform_pair_of_input_iterators_tIbNS6_6detail15normal_iteratorINS6_10device_ptrIKtEEEESL_NS6_8equal_toItEEEENSG_9not_fun_tINSD_8identityEEEEENSD_19counting_iterator_tIlEES8_S8_S8_S8_S8_S8_S8_S8_EEEEPS9_S9_NSD_9__find_if7functorIS9_EEEE10hipError_tPvRmT1_T2_T3_mT4_P12ihipStream_tbEUlT_E0_NS1_11comp_targetILNS1_3genE0ELNS1_11target_archE4294967295ELNS1_3gpuE0ELNS1_3repE0EEENS1_30default_config_static_selectorELNS0_4arch9wavefront6targetE1EEEvS14_
; %bb.0:
	s_load_dwordx8 s[8:15], s[0:1], 0x20
	s_load_dwordx4 s[4:7], s[0:1], 0x0
	s_load_dwordx4 s[16:19], s[0:1], 0x40
	s_mov_b32 s27, 0
	s_mov_b32 s3, s27
	s_waitcnt lgkmcnt(0)
	s_lshl_b64 s[20:21], s[10:11], 1
	s_add_u32 s22, s4, s20
	s_addc_u32 s23, s5, s21
	s_add_u32 s24, s6, s20
	s_addc_u32 s25, s7, s21
	s_lshl_b32 s26, s2, 8
	s_lshr_b64 s[4:5], s[12:13], 8
	s_lshl_b64 s[6:7], s[26:27], 1
	s_add_u32 s20, s22, s6
	s_addc_u32 s21, s23, s7
	s_add_u32 s22, s24, s6
	s_addc_u32 s23, s25, s7
	;; [unrolled: 2-line block ×4, first 2 shown]
	s_cmp_lg_u64 s[4:5], s[2:3]
	v_lshlrev_b32_e32 v10, 1, v0
	v_mbcnt_lo_u32_b32 v9, -1, 0
	s_cbranch_scc0 .LBB1028_10
; %bb.1:
	global_load_ushort v5, v10, s[22:23]
	global_load_ushort v8, v10, s[22:23] offset:256
	global_load_ushort v11, v10, s[20:21] offset:256
	global_load_ushort v12, v10, s[20:21]
	v_mov_b32_e32 v1, 0
	s_mov_b64 s[4:5], 0x80
	v_lshl_add_u64 v[2:3], s[24:25], 0, v[0:1]
	v_lshl_add_u64 v[6:7], v[2:3], 0, s[4:5]
	v_mbcnt_hi_u32_b32 v4, -1, v9
	v_lshlrev_b32_e32 v1, 2, v4
	v_or_b32_e32 v13, 0xfc, v1
	s_waitcnt vmcnt(1)
	v_cmp_ne_u16_e32 vcc, v11, v8
	s_waitcnt vmcnt(0)
	v_cmp_ne_u16_e64 s[4:5], v12, v5
	s_nop 1
	v_cndmask_b32_e64 v3, v7, v3, s[4:5]
	v_cndmask_b32_e64 v2, v6, v2, s[4:5]
	s_or_b64 s[4:5], s[4:5], vcc
	v_cndmask_b32_e64 v5, 0, 1, s[4:5]
	v_mov_b32_dpp v7, v3 quad_perm:[1,0,3,2] row_mask:0xf bank_mask:0xf bound_ctrl:1
	v_mov_b32_dpp v6, v2 quad_perm:[1,0,3,2] row_mask:0xf bank_mask:0xf bound_ctrl:1
	;; [unrolled: 1-line block ×3, first 2 shown]
	v_cmp_lt_i64_e32 vcc, v[2:3], v[6:7]
	v_and_b32_e32 v8, 1, v8
	s_and_b64 vcc, s[4:5], vcc
	v_cndmask_b32_e32 v6, v6, v2, vcc
	v_cndmask_b32_e32 v7, v7, v3, vcc
	v_cmp_eq_u32_e32 vcc, 1, v8
	s_nop 1
	v_cndmask_b32_e64 v5, v5, 1, vcc
	v_cndmask_b32_e32 v3, v3, v7, vcc
	v_cndmask_b32_e32 v2, v2, v6, vcc
	v_mov_b32_dpp v8, v5 quad_perm:[2,3,0,1] row_mask:0xf bank_mask:0xf bound_ctrl:1
	v_and_b32_e32 v8, 1, v8
	v_mov_b32_dpp v6, v2 quad_perm:[2,3,0,1] row_mask:0xf bank_mask:0xf bound_ctrl:1
	v_mov_b32_dpp v7, v3 quad_perm:[2,3,0,1] row_mask:0xf bank_mask:0xf bound_ctrl:1
	v_and_b32_e32 v11, 1, v5
	v_cmp_eq_u32_e64 s[6:7], 1, v8
	v_cmp_eq_u32_e32 vcc, 1, v11
	v_cmp_lt_i64_e64 s[4:5], v[2:3], v[6:7]
	v_cndmask_b32_e64 v5, v5, 1, s[6:7]
	s_and_b64 vcc, vcc, s[4:5]
	v_cndmask_b32_e32 v6, v6, v2, vcc
	v_mov_b32_dpp v8, v5 row_ror:4 row_mask:0xf bank_mask:0xf bound_ctrl:1
	v_cndmask_b32_e32 v7, v7, v3, vcc
	v_and_b32_e32 v8, 1, v8
	v_cndmask_b32_e64 v2, v2, v6, s[6:7]
	v_cndmask_b32_e64 v3, v3, v7, s[6:7]
	v_cmp_eq_u32_e64 s[4:5], 1, v8
	v_and_b32_e32 v11, 1, v5
	v_mov_b32_dpp v6, v2 row_ror:4 row_mask:0xf bank_mask:0xf bound_ctrl:1
	v_mov_b32_dpp v7, v3 row_ror:4 row_mask:0xf bank_mask:0xf bound_ctrl:1
	v_cndmask_b32_e64 v5, v5, 1, s[4:5]
	v_cmp_eq_u32_e32 vcc, 1, v11
	v_cmp_lt_i64_e64 s[6:7], v[2:3], v[6:7]
	v_mov_b32_dpp v8, v5 row_ror:8 row_mask:0xf bank_mask:0xf bound_ctrl:1
	s_and_b64 vcc, vcc, s[6:7]
	v_and_b32_e32 v8, 1, v8
	v_cndmask_b32_e32 v6, v6, v2, vcc
	v_cndmask_b32_e32 v7, v7, v3, vcc
	v_cmp_eq_u32_e32 vcc, 1, v8
	v_and_b32_e32 v11, 1, v5
	v_cndmask_b32_e64 v2, v2, v6, s[4:5]
	v_cndmask_b32_e64 v5, v5, 1, vcc
	v_cndmask_b32_e64 v3, v3, v7, s[4:5]
	v_mov_b32_dpp v6, v2 row_ror:8 row_mask:0xf bank_mask:0xf bound_ctrl:1
	v_mov_b32_dpp v8, v5 row_bcast:15 row_mask:0xf bank_mask:0xf bound_ctrl:1
	v_mov_b32_dpp v7, v3 row_ror:8 row_mask:0xf bank_mask:0xf bound_ctrl:1
	v_cmp_eq_u32_e64 s[6:7], 1, v11
	v_and_b32_e32 v8, 1, v8
	v_cmp_lt_i64_e64 s[8:9], v[2:3], v[6:7]
	v_cmp_eq_u32_e64 s[10:11], 1, v8
	s_and_b64 s[6:7], s[6:7], s[8:9]
	v_and_b32_e32 v11, 1, v5
	v_cndmask_b32_e64 v5, v5, 1, s[10:11]
	v_cndmask_b32_e64 v6, v6, v2, s[6:7]
	;; [unrolled: 1-line block ×3, first 2 shown]
	v_mov_b32_dpp v8, v5 row_bcast:31 row_mask:0xf bank_mask:0xf bound_ctrl:1
	v_cndmask_b32_e32 v2, v2, v6, vcc
	v_cndmask_b32_e32 v3, v3, v7, vcc
	v_and_b32_e32 v8, 1, v8
	v_mov_b32_dpp v6, v2 row_bcast:15 row_mask:0xf bank_mask:0xf bound_ctrl:1
	v_mov_b32_dpp v7, v3 row_bcast:15 row_mask:0xf bank_mask:0xf bound_ctrl:1
	v_cmp_eq_u32_e64 s[4:5], 1, v11
	v_cmp_eq_u32_e32 vcc, 1, v8
	v_cmp_lt_i64_e64 s[8:9], v[2:3], v[6:7]
	v_and_b32_e32 v11, 1, v5
	v_cndmask_b32_e64 v5, v5, 1, vcc
	s_and_b64 s[4:5], s[4:5], s[8:9]
	ds_bpermute_b32 v8, v13, v5
	v_cndmask_b32_e64 v5, v6, v2, s[4:5]
	v_cndmask_b32_e64 v6, v7, v3, s[4:5]
	;; [unrolled: 1-line block ×4, first 2 shown]
	v_cmp_eq_u32_e64 s[6:7], 1, v11
	v_mov_b32_dpp v6, v2 row_bcast:31 row_mask:0xf bank_mask:0xf bound_ctrl:1
	v_mov_b32_dpp v7, v3 row_bcast:31 row_mask:0xf bank_mask:0xf bound_ctrl:1
	v_cmp_lt_i64_e64 s[4:5], v[2:3], v[6:7]
	s_and_b64 s[4:5], s[6:7], s[4:5]
	s_nop 0
	v_cndmask_b32_e64 v5, v6, v2, s[4:5]
	v_cndmask_b32_e64 v6, v7, v3, s[4:5]
	v_cndmask_b32_e32 v2, v2, v5, vcc
	v_cndmask_b32_e32 v3, v3, v6, vcc
	ds_bpermute_b32 v2, v13, v2
	ds_bpermute_b32 v3, v13, v3
	v_cmp_eq_u32_e32 vcc, 0, v4
	s_and_saveexec_b64 s[4:5], vcc
	s_cbranch_execz .LBB1028_3
; %bb.2:
	v_lshrrev_b32_e32 v5, 2, v0
	v_and_b32_e32 v5, 16, v5
	s_waitcnt lgkmcnt(2)
	ds_write_b8 v5, v8
	s_waitcnt lgkmcnt(1)
	ds_write_b64 v5, v[2:3] offset:8
.LBB1028_3:
	s_or_b64 exec, exec, s[4:5]
	v_cmp_gt_u32_e32 vcc, 64, v0
	s_waitcnt lgkmcnt(0)
	s_barrier
	s_and_saveexec_b64 s[4:5], vcc
	s_cbranch_execz .LBB1028_9
; %bb.4:
	v_and_b32_e32 v2, 1, v4
	v_lshlrev_b32_e32 v2, 4, v2
	ds_read_u8 v11, v2
	ds_read_b64 v[4:5], v2 offset:8
	v_or_b32_e32 v3, 4, v1
	s_waitcnt lgkmcnt(1)
	v_and_b32_e32 v2, 0xff, v11
	ds_bpermute_b32 v1, v3, v2
	s_waitcnt lgkmcnt(1)
	ds_bpermute_b32 v6, v3, v4
	ds_bpermute_b32 v7, v3, v5
	s_waitcnt lgkmcnt(2)
	v_and_b32_e32 v2, v11, v1
	v_and_b32_e32 v2, 1, v2
	v_cmp_eq_u32_e32 vcc, 1, v2
                                        ; implicit-def: $vgpr2_vgpr3
	s_and_saveexec_b64 s[6:7], vcc
	s_xor_b64 s[6:7], exec, s[6:7]
	s_cbranch_execz .LBB1028_6
; %bb.5:
	s_waitcnt lgkmcnt(0)
	v_cmp_lt_i64_e32 vcc, v[6:7], v[4:5]
                                        ; implicit-def: $vgpr11
                                        ; implicit-def: $vgpr1
	s_nop 1
	v_cndmask_b32_e32 v3, v5, v7, vcc
	v_cndmask_b32_e32 v2, v4, v6, vcc
                                        ; implicit-def: $vgpr6_vgpr7
                                        ; implicit-def: $vgpr4_vgpr5
.LBB1028_6:
	s_or_saveexec_b64 s[6:7], s[6:7]
	v_mov_b32_e32 v8, 1
	s_xor_b64 exec, exec, s[6:7]
	s_cbranch_execz .LBB1028_8
; %bb.7:
	v_and_b32_e32 v2, 1, v11
	v_cmp_eq_u32_e32 vcc, 1, v2
	s_waitcnt lgkmcnt(0)
	s_nop 0
	v_cndmask_b32_e32 v3, v7, v5, vcc
	v_cndmask_b32_e32 v2, v6, v4, vcc
	v_cndmask_b32_e64 v8, v1, 1, vcc
.LBB1028_8:
	s_or_b64 exec, exec, s[6:7]
.LBB1028_9:
	s_or_b64 exec, exec, s[4:5]
	s_load_dword s10, s[0:1], 0x50
	s_load_dwordx2 s[8:9], s[0:1], 0x58
	s_branch .LBB1028_62
.LBB1028_10:
                                        ; implicit-def: $vgpr2_vgpr3
                                        ; implicit-def: $vgpr8
	s_load_dword s10, s[0:1], 0x50
	s_load_dwordx2 s[8:9], s[0:1], 0x58
	s_cbranch_execz .LBB1028_62
; %bb.11:
	s_sub_i32 s11, s12, s26
	v_cmp_gt_u32_e32 vcc, s11, v0
	s_waitcnt lgkmcnt(0)
	v_mov_b32_e32 v7, 0
	v_mov_b64_e32 v[4:5], 0
	v_mov_b64_e32 v[2:3], 0
	v_mov_b32_e32 v1, 0
	s_and_saveexec_b64 s[0:1], vcc
	s_cbranch_execz .LBB1028_13
; %bb.12:
	global_load_ushort v6, v10, s[20:21]
	global_load_ushort v8, v10, s[22:23]
	v_mov_b32_e32 v1, 0
	v_lshl_add_u64 v[2:3], s[24:25], 0, v[0:1]
	s_waitcnt vmcnt(0)
	v_cmp_ne_u16_e32 vcc, v6, v8
	s_nop 1
	v_cndmask_b32_e64 v1, 0, 1, vcc
.LBB1028_13:
	s_or_b64 exec, exec, s[0:1]
	v_or_b32_e32 v6, 0x80, v0
	v_cmp_gt_u32_e32 vcc, s11, v6
	s_and_saveexec_b64 s[4:5], vcc
	s_cbranch_execz .LBB1028_15
; %bb.14:
	global_load_ushort v8, v10, s[20:21] offset:256
	global_load_ushort v11, v10, s[22:23] offset:256
	v_mov_b32_e32 v7, 0
	v_lshl_add_u64 v[4:5], s[24:25], 0, v[6:7]
	s_waitcnt vmcnt(0)
	v_cmp_ne_u16_e64 s[0:1], v8, v11
	s_nop 1
	v_cndmask_b32_e64 v7, 0, 1, s[0:1]
.LBB1028_15:
	s_or_b64 exec, exec, s[4:5]
	v_and_b32_e32 v8, 0xffff, v7
	v_and_b32_e32 v7, 1, v7
	;; [unrolled: 1-line block ×3, first 2 shown]
	v_cmp_eq_u32_e64 s[0:1], 1, v7
	v_and_b32_e32 v1, 1, v1
	v_cmp_lt_i64_e64 s[4:5], v[4:5], v[2:3]
	v_cmp_eq_u32_e64 s[6:7], 1, v1
	s_and_b64 s[0:1], s[0:1], s[4:5]
	v_cndmask_b32_e64 v7, v3, v5, s[0:1]
	v_cndmask_b32_e64 v1, v8, 1, s[6:7]
	;; [unrolled: 1-line block ×4, first 2 shown]
	v_cndmask_b32_e32 v8, v6, v1, vcc
	v_mbcnt_hi_u32_b32 v1, -1, v9
	v_cndmask_b32_e64 v5, v5, v7, s[6:7]
	v_and_b32_e32 v6, 63, v1
	v_cndmask_b32_e32 v3, v3, v5, vcc
	v_cndmask_b32_e32 v2, v2, v4, vcc
	v_cmp_ne_u32_e32 vcc, 63, v6
	s_min_u32 s6, s11, 0x80
	v_and_b32_e32 v7, 64, v0
	v_addc_co_u32_e32 v4, vcc, 0, v1, vcc
	v_lshlrev_b32_e32 v5, 2, v4
	ds_bpermute_b32 v9, v5, v8
	ds_bpermute_b32 v4, v5, v2
	;; [unrolled: 1-line block ×3, first 2 shown]
	v_sub_u32_e64 v7, s6, v7 clamp
	v_add_u32_e32 v10, 1, v6
	v_cmp_lt_u32_e32 vcc, v10, v7
	s_and_saveexec_b64 s[0:1], vcc
	s_cbranch_execz .LBB1028_21
; %bb.16:
	s_waitcnt lgkmcnt(2)
	v_and_b32_e32 v10, v9, v8
	v_cmp_ne_u32_e32 vcc, 0, v10
	s_and_saveexec_b64 s[4:5], vcc
	s_xor_b64 s[4:5], exec, s[4:5]
	s_cbranch_execz .LBB1028_18
; %bb.17:
	s_waitcnt lgkmcnt(0)
	v_cmp_lt_i64_e32 vcc, v[4:5], v[2:3]
                                        ; implicit-def: $vgpr8
                                        ; implicit-def: $vgpr9
	s_nop 1
	v_cndmask_b32_e32 v3, v3, v5, vcc
	v_cndmask_b32_e32 v2, v2, v4, vcc
                                        ; implicit-def: $vgpr4_vgpr5
.LBB1028_18:
	s_or_saveexec_b64 s[4:5], s[4:5]
	v_mov_b32_e32 v10, 1
	s_xor_b64 exec, exec, s[4:5]
	s_cbranch_execz .LBB1028_20
; %bb.19:
	v_and_b32_e32 v8, 1, v8
	v_cmp_eq_u32_e32 vcc, 1, v8
	s_waitcnt lgkmcnt(1)
	s_nop 0
	v_cndmask_b32_e32 v2, v4, v2, vcc
	v_and_b32_e32 v4, 0xff, v9
	s_waitcnt lgkmcnt(0)
	v_cndmask_b32_e32 v3, v5, v3, vcc
	v_cndmask_b32_e64 v10, v4, 1, vcc
.LBB1028_20:
	s_or_b64 exec, exec, s[4:5]
	v_mov_b32_e32 v8, v10
.LBB1028_21:
	s_or_b64 exec, exec, s[0:1]
	v_cmp_gt_u32_e32 vcc, 62, v6
	v_add_u32_e32 v10, 2, v6
	s_waitcnt lgkmcnt(1)
	v_cndmask_b32_e64 v4, 0, 2, vcc
	s_waitcnt lgkmcnt(0)
	v_add_lshl_u32 v5, v4, v1, 2
	ds_bpermute_b32 v9, v5, v8
	ds_bpermute_b32 v4, v5, v2
	ds_bpermute_b32 v5, v5, v3
	v_cmp_lt_u32_e32 vcc, v10, v7
	s_and_saveexec_b64 s[0:1], vcc
	s_cbranch_execz .LBB1028_27
; %bb.22:
	s_waitcnt lgkmcnt(2)
	v_and_b32_e32 v10, v8, v9
	v_and_b32_e32 v10, 1, v10
	v_cmp_eq_u32_e32 vcc, 1, v10
	s_and_saveexec_b64 s[4:5], vcc
	s_xor_b64 s[4:5], exec, s[4:5]
	s_cbranch_execz .LBB1028_24
; %bb.23:
	s_waitcnt lgkmcnt(0)
	v_cmp_lt_i64_e32 vcc, v[4:5], v[2:3]
                                        ; implicit-def: $vgpr8
                                        ; implicit-def: $vgpr9
	s_nop 1
	v_cndmask_b32_e32 v3, v3, v5, vcc
	v_cndmask_b32_e32 v2, v2, v4, vcc
                                        ; implicit-def: $vgpr4_vgpr5
.LBB1028_24:
	s_or_saveexec_b64 s[4:5], s[4:5]
	v_mov_b32_e32 v10, 1
	s_xor_b64 exec, exec, s[4:5]
	s_cbranch_execz .LBB1028_26
; %bb.25:
	v_and_b32_e32 v8, 1, v8
	v_cmp_eq_u32_e32 vcc, 1, v8
	s_waitcnt lgkmcnt(1)
	s_nop 0
	v_cndmask_b32_e32 v2, v4, v2, vcc
	v_and_b32_e32 v4, 0xff, v9
	s_waitcnt lgkmcnt(0)
	v_cndmask_b32_e32 v3, v5, v3, vcc
	v_cndmask_b32_e64 v10, v4, 1, vcc
.LBB1028_26:
	s_or_b64 exec, exec, s[4:5]
	v_mov_b32_e32 v8, v10
.LBB1028_27:
	s_or_b64 exec, exec, s[0:1]
	v_cmp_gt_u32_e32 vcc, 60, v6
	v_add_u32_e32 v10, 4, v6
	s_waitcnt lgkmcnt(1)
	v_cndmask_b32_e64 v4, 0, 4, vcc
	s_waitcnt lgkmcnt(0)
	v_add_lshl_u32 v5, v4, v1, 2
	ds_bpermute_b32 v9, v5, v8
	ds_bpermute_b32 v4, v5, v2
	ds_bpermute_b32 v5, v5, v3
	v_cmp_lt_u32_e32 vcc, v10, v7
	s_and_saveexec_b64 s[0:1], vcc
	s_cbranch_execz .LBB1028_33
; %bb.28:
	s_waitcnt lgkmcnt(2)
	v_and_b32_e32 v10, v8, v9
	v_and_b32_e32 v10, 1, v10
	v_cmp_eq_u32_e32 vcc, 1, v10
	s_and_saveexec_b64 s[4:5], vcc
	s_xor_b64 s[4:5], exec, s[4:5]
	s_cbranch_execz .LBB1028_30
; %bb.29:
	s_waitcnt lgkmcnt(0)
	v_cmp_lt_i64_e32 vcc, v[4:5], v[2:3]
                                        ; implicit-def: $vgpr8
                                        ; implicit-def: $vgpr9
	s_nop 1
	v_cndmask_b32_e32 v3, v3, v5, vcc
	v_cndmask_b32_e32 v2, v2, v4, vcc
                                        ; implicit-def: $vgpr4_vgpr5
.LBB1028_30:
	s_or_saveexec_b64 s[4:5], s[4:5]
	v_mov_b32_e32 v10, 1
	s_xor_b64 exec, exec, s[4:5]
	s_cbranch_execz .LBB1028_32
; %bb.31:
	v_and_b32_e32 v8, 1, v8
	v_cmp_eq_u32_e32 vcc, 1, v8
	s_waitcnt lgkmcnt(1)
	s_nop 0
	v_cndmask_b32_e32 v2, v4, v2, vcc
	v_and_b32_e32 v4, 0xff, v9
	s_waitcnt lgkmcnt(0)
	v_cndmask_b32_e32 v3, v5, v3, vcc
	v_cndmask_b32_e64 v10, v4, 1, vcc
.LBB1028_32:
	s_or_b64 exec, exec, s[4:5]
	v_mov_b32_e32 v8, v10
.LBB1028_33:
	;; [unrolled: 49-line block ×4, first 2 shown]
	s_or_b64 exec, exec, s[0:1]
	s_waitcnt lgkmcnt(2)
	v_lshlrev_b32_e32 v9, 2, v1
	s_waitcnt lgkmcnt(0)
	v_or_b32_e32 v5, 0x80, v9
	ds_bpermute_b32 v10, v5, v8
	ds_bpermute_b32 v4, v5, v2
	;; [unrolled: 1-line block ×3, first 2 shown]
	v_add_u32_e32 v6, 32, v6
	v_cmp_lt_u32_e32 vcc, v6, v7
	v_mov_b32_e32 v6, v8
	s_and_saveexec_b64 s[0:1], vcc
	s_cbranch_execz .LBB1028_51
; %bb.46:
	s_waitcnt lgkmcnt(2)
	v_and_b32_e32 v6, v8, v10
	v_and_b32_e32 v6, 1, v6
	v_cmp_eq_u32_e32 vcc, 1, v6
	s_and_saveexec_b64 s[4:5], vcc
	s_xor_b64 s[4:5], exec, s[4:5]
	s_cbranch_execz .LBB1028_48
; %bb.47:
	s_waitcnt lgkmcnt(0)
	v_cmp_lt_i64_e32 vcc, v[4:5], v[2:3]
                                        ; implicit-def: $vgpr8
                                        ; implicit-def: $vgpr10
	s_nop 1
	v_cndmask_b32_e32 v3, v3, v5, vcc
	v_cndmask_b32_e32 v2, v2, v4, vcc
                                        ; implicit-def: $vgpr4_vgpr5
.LBB1028_48:
	s_or_saveexec_b64 s[4:5], s[4:5]
	v_mov_b32_e32 v6, 1
	s_xor_b64 exec, exec, s[4:5]
	s_cbranch_execz .LBB1028_50
; %bb.49:
	v_and_b32_e32 v6, 1, v8
	v_cmp_eq_u32_e32 vcc, 1, v6
	s_nop 1
	v_cndmask_b32_e64 v6, v10, 1, vcc
	s_waitcnt lgkmcnt(0)
	v_cndmask_b32_e32 v3, v5, v3, vcc
	v_cndmask_b32_e32 v2, v4, v2, vcc
.LBB1028_50:
	s_or_b64 exec, exec, s[4:5]
	v_and_b32_e32 v8, 0xff, v6
.LBB1028_51:
	s_or_b64 exec, exec, s[0:1]
	v_cmp_eq_u32_e32 vcc, 0, v1
	s_and_saveexec_b64 s[0:1], vcc
	s_cbranch_execz .LBB1028_53
; %bb.52:
	s_waitcnt lgkmcnt(1)
	v_lshrrev_b32_e32 v4, 2, v0
	v_and_b32_e32 v4, 16, v4
	ds_write_b8 v4, v6 offset:32
	ds_write_b64 v4, v[2:3] offset:40
.LBB1028_53:
	s_or_b64 exec, exec, s[0:1]
	v_cmp_gt_u32_e32 vcc, 2, v0
	s_waitcnt lgkmcnt(0)
	s_barrier
	s_and_saveexec_b64 s[0:1], vcc
	s_cbranch_execz .LBB1028_61
; %bb.54:
	v_lshlrev_b32_e32 v2, 4, v1
	ds_read_u8 v6, v2 offset:32
	ds_read_b64 v[2:3], v2 offset:40
	v_or_b32_e32 v5, 4, v9
	s_add_i32 s6, s6, 63
	v_and_b32_e32 v1, 1, v1
	s_waitcnt lgkmcnt(1)
	v_and_b32_e32 v8, 0xff, v6
	s_waitcnt lgkmcnt(0)
	ds_bpermute_b32 v4, v5, v2
	ds_bpermute_b32 v7, v5, v8
	;; [unrolled: 1-line block ×3, first 2 shown]
	s_lshr_b32 s4, s6, 6
	v_add_u32_e32 v1, 1, v1
	v_cmp_gt_u32_e32 vcc, s4, v1
	s_and_saveexec_b64 s[4:5], vcc
	s_cbranch_execz .LBB1028_60
; %bb.55:
	s_waitcnt lgkmcnt(1)
	v_and_b32_e32 v1, v8, v7
	v_and_b32_e32 v1, 1, v1
	v_cmp_eq_u32_e32 vcc, 1, v1
	s_and_saveexec_b64 s[6:7], vcc
	s_xor_b64 s[6:7], exec, s[6:7]
	s_cbranch_execz .LBB1028_57
; %bb.56:
	s_waitcnt lgkmcnt(0)
	v_cmp_lt_i64_e32 vcc, v[4:5], v[2:3]
                                        ; implicit-def: $vgpr6
                                        ; implicit-def: $vgpr7
	s_nop 1
	v_cndmask_b32_e32 v3, v3, v5, vcc
	v_cndmask_b32_e32 v2, v2, v4, vcc
                                        ; implicit-def: $vgpr4_vgpr5
.LBB1028_57:
	s_or_saveexec_b64 s[6:7], s[6:7]
	v_mov_b32_e32 v8, 1
	s_xor_b64 exec, exec, s[6:7]
	s_cbranch_execz .LBB1028_59
; %bb.58:
	v_and_b32_e32 v1, 1, v6
	v_cmp_eq_u32_e32 vcc, 1, v1
	s_waitcnt lgkmcnt(0)
	s_nop 0
	v_cndmask_b32_e32 v3, v5, v3, vcc
	v_cndmask_b32_e32 v2, v4, v2, vcc
	v_cndmask_b32_e64 v8, v7, 1, vcc
.LBB1028_59:
	s_or_b64 exec, exec, s[6:7]
.LBB1028_60:
	s_or_b64 exec, exec, s[4:5]
.LBB1028_61:
	s_or_b64 exec, exec, s[0:1]
.LBB1028_62:
	v_cmp_eq_u32_e32 vcc, 0, v0
	s_and_saveexec_b64 s[0:1], vcc
	s_cbranch_execnz .LBB1028_64
; %bb.63:
	s_endpgm
.LBB1028_64:
	s_mul_i32 s0, s18, s17
	s_mul_hi_u32 s1, s18, s16
	s_add_i32 s0, s1, s0
	s_mul_i32 s1, s19, s16
	s_add_i32 s1, s0, s1
	s_mul_i32 s0, s18, s16
	s_lshl_b64 s[0:1], s[0:1], 4
	s_add_u32 s4, s14, s0
	s_addc_u32 s5, s15, s1
	s_cmp_eq_u64 s[12:13], 0
	s_waitcnt lgkmcnt(0)
	v_mov_b32_e32 v0, s9
	s_cselect_b64 vcc, -1, 0
	v_cndmask_b32_e32 v1, v3, v0, vcc
	v_mov_b32_e32 v0, s8
	s_lshl_b64 s[0:1], s[2:3], 4
	v_cndmask_b32_e32 v0, v2, v0, vcc
	v_mov_b32_e32 v2, s10
	s_add_u32 s0, s4, s0
	v_cndmask_b32_e32 v2, v8, v2, vcc
	s_addc_u32 s1, s5, s1
	v_mov_b32_e32 v3, 0
	global_store_byte v3, v2, s[0:1]
	global_store_dwordx2 v3, v[0:1], s[0:1] offset:8
	s_endpgm
	.section	.rodata,"a",@progbits
	.p2align	6, 0x0
	.amdhsa_kernel _ZN7rocprim17ROCPRIM_400000_NS6detail17trampoline_kernelINS0_14default_configENS1_22reduce_config_selectorIN6thrust23THRUST_200600_302600_NS5tupleIblNS6_9null_typeES8_S8_S8_S8_S8_S8_S8_EEEEZNS1_11reduce_implILb1ES3_NS6_12zip_iteratorINS7_INS6_11hip_rocprim26transform_input_iterator_tIbNSD_35transform_pair_of_input_iterators_tIbNS6_6detail15normal_iteratorINS6_10device_ptrIKtEEEESL_NS6_8equal_toItEEEENSG_9not_fun_tINSD_8identityEEEEENSD_19counting_iterator_tIlEES8_S8_S8_S8_S8_S8_S8_S8_EEEEPS9_S9_NSD_9__find_if7functorIS9_EEEE10hipError_tPvRmT1_T2_T3_mT4_P12ihipStream_tbEUlT_E0_NS1_11comp_targetILNS1_3genE0ELNS1_11target_archE4294967295ELNS1_3gpuE0ELNS1_3repE0EEENS1_30default_config_static_selectorELNS0_4arch9wavefront6targetE1EEEvS14_
		.amdhsa_group_segment_fixed_size 64
		.amdhsa_private_segment_fixed_size 0
		.amdhsa_kernarg_size 104
		.amdhsa_user_sgpr_count 2
		.amdhsa_user_sgpr_dispatch_ptr 0
		.amdhsa_user_sgpr_queue_ptr 0
		.amdhsa_user_sgpr_kernarg_segment_ptr 1
		.amdhsa_user_sgpr_dispatch_id 0
		.amdhsa_user_sgpr_kernarg_preload_length 0
		.amdhsa_user_sgpr_kernarg_preload_offset 0
		.amdhsa_user_sgpr_private_segment_size 0
		.amdhsa_uses_dynamic_stack 0
		.amdhsa_enable_private_segment 0
		.amdhsa_system_sgpr_workgroup_id_x 1
		.amdhsa_system_sgpr_workgroup_id_y 0
		.amdhsa_system_sgpr_workgroup_id_z 0
		.amdhsa_system_sgpr_workgroup_info 0
		.amdhsa_system_vgpr_workitem_id 0
		.amdhsa_next_free_vgpr 14
		.amdhsa_next_free_sgpr 28
		.amdhsa_accum_offset 16
		.amdhsa_reserve_vcc 1
		.amdhsa_float_round_mode_32 0
		.amdhsa_float_round_mode_16_64 0
		.amdhsa_float_denorm_mode_32 3
		.amdhsa_float_denorm_mode_16_64 3
		.amdhsa_dx10_clamp 1
		.amdhsa_ieee_mode 1
		.amdhsa_fp16_overflow 0
		.amdhsa_tg_split 0
		.amdhsa_exception_fp_ieee_invalid_op 0
		.amdhsa_exception_fp_denorm_src 0
		.amdhsa_exception_fp_ieee_div_zero 0
		.amdhsa_exception_fp_ieee_overflow 0
		.amdhsa_exception_fp_ieee_underflow 0
		.amdhsa_exception_fp_ieee_inexact 0
		.amdhsa_exception_int_div_zero 0
	.end_amdhsa_kernel
	.section	.text._ZN7rocprim17ROCPRIM_400000_NS6detail17trampoline_kernelINS0_14default_configENS1_22reduce_config_selectorIN6thrust23THRUST_200600_302600_NS5tupleIblNS6_9null_typeES8_S8_S8_S8_S8_S8_S8_EEEEZNS1_11reduce_implILb1ES3_NS6_12zip_iteratorINS7_INS6_11hip_rocprim26transform_input_iterator_tIbNSD_35transform_pair_of_input_iterators_tIbNS6_6detail15normal_iteratorINS6_10device_ptrIKtEEEESL_NS6_8equal_toItEEEENSG_9not_fun_tINSD_8identityEEEEENSD_19counting_iterator_tIlEES8_S8_S8_S8_S8_S8_S8_S8_EEEEPS9_S9_NSD_9__find_if7functorIS9_EEEE10hipError_tPvRmT1_T2_T3_mT4_P12ihipStream_tbEUlT_E0_NS1_11comp_targetILNS1_3genE0ELNS1_11target_archE4294967295ELNS1_3gpuE0ELNS1_3repE0EEENS1_30default_config_static_selectorELNS0_4arch9wavefront6targetE1EEEvS14_,"axG",@progbits,_ZN7rocprim17ROCPRIM_400000_NS6detail17trampoline_kernelINS0_14default_configENS1_22reduce_config_selectorIN6thrust23THRUST_200600_302600_NS5tupleIblNS6_9null_typeES8_S8_S8_S8_S8_S8_S8_EEEEZNS1_11reduce_implILb1ES3_NS6_12zip_iteratorINS7_INS6_11hip_rocprim26transform_input_iterator_tIbNSD_35transform_pair_of_input_iterators_tIbNS6_6detail15normal_iteratorINS6_10device_ptrIKtEEEESL_NS6_8equal_toItEEEENSG_9not_fun_tINSD_8identityEEEEENSD_19counting_iterator_tIlEES8_S8_S8_S8_S8_S8_S8_S8_EEEEPS9_S9_NSD_9__find_if7functorIS9_EEEE10hipError_tPvRmT1_T2_T3_mT4_P12ihipStream_tbEUlT_E0_NS1_11comp_targetILNS1_3genE0ELNS1_11target_archE4294967295ELNS1_3gpuE0ELNS1_3repE0EEENS1_30default_config_static_selectorELNS0_4arch9wavefront6targetE1EEEvS14_,comdat
.Lfunc_end1028:
	.size	_ZN7rocprim17ROCPRIM_400000_NS6detail17trampoline_kernelINS0_14default_configENS1_22reduce_config_selectorIN6thrust23THRUST_200600_302600_NS5tupleIblNS6_9null_typeES8_S8_S8_S8_S8_S8_S8_EEEEZNS1_11reduce_implILb1ES3_NS6_12zip_iteratorINS7_INS6_11hip_rocprim26transform_input_iterator_tIbNSD_35transform_pair_of_input_iterators_tIbNS6_6detail15normal_iteratorINS6_10device_ptrIKtEEEESL_NS6_8equal_toItEEEENSG_9not_fun_tINSD_8identityEEEEENSD_19counting_iterator_tIlEES8_S8_S8_S8_S8_S8_S8_S8_EEEEPS9_S9_NSD_9__find_if7functorIS9_EEEE10hipError_tPvRmT1_T2_T3_mT4_P12ihipStream_tbEUlT_E0_NS1_11comp_targetILNS1_3genE0ELNS1_11target_archE4294967295ELNS1_3gpuE0ELNS1_3repE0EEENS1_30default_config_static_selectorELNS0_4arch9wavefront6targetE1EEEvS14_, .Lfunc_end1028-_ZN7rocprim17ROCPRIM_400000_NS6detail17trampoline_kernelINS0_14default_configENS1_22reduce_config_selectorIN6thrust23THRUST_200600_302600_NS5tupleIblNS6_9null_typeES8_S8_S8_S8_S8_S8_S8_EEEEZNS1_11reduce_implILb1ES3_NS6_12zip_iteratorINS7_INS6_11hip_rocprim26transform_input_iterator_tIbNSD_35transform_pair_of_input_iterators_tIbNS6_6detail15normal_iteratorINS6_10device_ptrIKtEEEESL_NS6_8equal_toItEEEENSG_9not_fun_tINSD_8identityEEEEENSD_19counting_iterator_tIlEES8_S8_S8_S8_S8_S8_S8_S8_EEEEPS9_S9_NSD_9__find_if7functorIS9_EEEE10hipError_tPvRmT1_T2_T3_mT4_P12ihipStream_tbEUlT_E0_NS1_11comp_targetILNS1_3genE0ELNS1_11target_archE4294967295ELNS1_3gpuE0ELNS1_3repE0EEENS1_30default_config_static_selectorELNS0_4arch9wavefront6targetE1EEEvS14_
                                        ; -- End function
	.set _ZN7rocprim17ROCPRIM_400000_NS6detail17trampoline_kernelINS0_14default_configENS1_22reduce_config_selectorIN6thrust23THRUST_200600_302600_NS5tupleIblNS6_9null_typeES8_S8_S8_S8_S8_S8_S8_EEEEZNS1_11reduce_implILb1ES3_NS6_12zip_iteratorINS7_INS6_11hip_rocprim26transform_input_iterator_tIbNSD_35transform_pair_of_input_iterators_tIbNS6_6detail15normal_iteratorINS6_10device_ptrIKtEEEESL_NS6_8equal_toItEEEENSG_9not_fun_tINSD_8identityEEEEENSD_19counting_iterator_tIlEES8_S8_S8_S8_S8_S8_S8_S8_EEEEPS9_S9_NSD_9__find_if7functorIS9_EEEE10hipError_tPvRmT1_T2_T3_mT4_P12ihipStream_tbEUlT_E0_NS1_11comp_targetILNS1_3genE0ELNS1_11target_archE4294967295ELNS1_3gpuE0ELNS1_3repE0EEENS1_30default_config_static_selectorELNS0_4arch9wavefront6targetE1EEEvS14_.num_vgpr, 14
	.set _ZN7rocprim17ROCPRIM_400000_NS6detail17trampoline_kernelINS0_14default_configENS1_22reduce_config_selectorIN6thrust23THRUST_200600_302600_NS5tupleIblNS6_9null_typeES8_S8_S8_S8_S8_S8_S8_EEEEZNS1_11reduce_implILb1ES3_NS6_12zip_iteratorINS7_INS6_11hip_rocprim26transform_input_iterator_tIbNSD_35transform_pair_of_input_iterators_tIbNS6_6detail15normal_iteratorINS6_10device_ptrIKtEEEESL_NS6_8equal_toItEEEENSG_9not_fun_tINSD_8identityEEEEENSD_19counting_iterator_tIlEES8_S8_S8_S8_S8_S8_S8_S8_EEEEPS9_S9_NSD_9__find_if7functorIS9_EEEE10hipError_tPvRmT1_T2_T3_mT4_P12ihipStream_tbEUlT_E0_NS1_11comp_targetILNS1_3genE0ELNS1_11target_archE4294967295ELNS1_3gpuE0ELNS1_3repE0EEENS1_30default_config_static_selectorELNS0_4arch9wavefront6targetE1EEEvS14_.num_agpr, 0
	.set _ZN7rocprim17ROCPRIM_400000_NS6detail17trampoline_kernelINS0_14default_configENS1_22reduce_config_selectorIN6thrust23THRUST_200600_302600_NS5tupleIblNS6_9null_typeES8_S8_S8_S8_S8_S8_S8_EEEEZNS1_11reduce_implILb1ES3_NS6_12zip_iteratorINS7_INS6_11hip_rocprim26transform_input_iterator_tIbNSD_35transform_pair_of_input_iterators_tIbNS6_6detail15normal_iteratorINS6_10device_ptrIKtEEEESL_NS6_8equal_toItEEEENSG_9not_fun_tINSD_8identityEEEEENSD_19counting_iterator_tIlEES8_S8_S8_S8_S8_S8_S8_S8_EEEEPS9_S9_NSD_9__find_if7functorIS9_EEEE10hipError_tPvRmT1_T2_T3_mT4_P12ihipStream_tbEUlT_E0_NS1_11comp_targetILNS1_3genE0ELNS1_11target_archE4294967295ELNS1_3gpuE0ELNS1_3repE0EEENS1_30default_config_static_selectorELNS0_4arch9wavefront6targetE1EEEvS14_.numbered_sgpr, 28
	.set _ZN7rocprim17ROCPRIM_400000_NS6detail17trampoline_kernelINS0_14default_configENS1_22reduce_config_selectorIN6thrust23THRUST_200600_302600_NS5tupleIblNS6_9null_typeES8_S8_S8_S8_S8_S8_S8_EEEEZNS1_11reduce_implILb1ES3_NS6_12zip_iteratorINS7_INS6_11hip_rocprim26transform_input_iterator_tIbNSD_35transform_pair_of_input_iterators_tIbNS6_6detail15normal_iteratorINS6_10device_ptrIKtEEEESL_NS6_8equal_toItEEEENSG_9not_fun_tINSD_8identityEEEEENSD_19counting_iterator_tIlEES8_S8_S8_S8_S8_S8_S8_S8_EEEEPS9_S9_NSD_9__find_if7functorIS9_EEEE10hipError_tPvRmT1_T2_T3_mT4_P12ihipStream_tbEUlT_E0_NS1_11comp_targetILNS1_3genE0ELNS1_11target_archE4294967295ELNS1_3gpuE0ELNS1_3repE0EEENS1_30default_config_static_selectorELNS0_4arch9wavefront6targetE1EEEvS14_.num_named_barrier, 0
	.set _ZN7rocprim17ROCPRIM_400000_NS6detail17trampoline_kernelINS0_14default_configENS1_22reduce_config_selectorIN6thrust23THRUST_200600_302600_NS5tupleIblNS6_9null_typeES8_S8_S8_S8_S8_S8_S8_EEEEZNS1_11reduce_implILb1ES3_NS6_12zip_iteratorINS7_INS6_11hip_rocprim26transform_input_iterator_tIbNSD_35transform_pair_of_input_iterators_tIbNS6_6detail15normal_iteratorINS6_10device_ptrIKtEEEESL_NS6_8equal_toItEEEENSG_9not_fun_tINSD_8identityEEEEENSD_19counting_iterator_tIlEES8_S8_S8_S8_S8_S8_S8_S8_EEEEPS9_S9_NSD_9__find_if7functorIS9_EEEE10hipError_tPvRmT1_T2_T3_mT4_P12ihipStream_tbEUlT_E0_NS1_11comp_targetILNS1_3genE0ELNS1_11target_archE4294967295ELNS1_3gpuE0ELNS1_3repE0EEENS1_30default_config_static_selectorELNS0_4arch9wavefront6targetE1EEEvS14_.private_seg_size, 0
	.set _ZN7rocprim17ROCPRIM_400000_NS6detail17trampoline_kernelINS0_14default_configENS1_22reduce_config_selectorIN6thrust23THRUST_200600_302600_NS5tupleIblNS6_9null_typeES8_S8_S8_S8_S8_S8_S8_EEEEZNS1_11reduce_implILb1ES3_NS6_12zip_iteratorINS7_INS6_11hip_rocprim26transform_input_iterator_tIbNSD_35transform_pair_of_input_iterators_tIbNS6_6detail15normal_iteratorINS6_10device_ptrIKtEEEESL_NS6_8equal_toItEEEENSG_9not_fun_tINSD_8identityEEEEENSD_19counting_iterator_tIlEES8_S8_S8_S8_S8_S8_S8_S8_EEEEPS9_S9_NSD_9__find_if7functorIS9_EEEE10hipError_tPvRmT1_T2_T3_mT4_P12ihipStream_tbEUlT_E0_NS1_11comp_targetILNS1_3genE0ELNS1_11target_archE4294967295ELNS1_3gpuE0ELNS1_3repE0EEENS1_30default_config_static_selectorELNS0_4arch9wavefront6targetE1EEEvS14_.uses_vcc, 1
	.set _ZN7rocprim17ROCPRIM_400000_NS6detail17trampoline_kernelINS0_14default_configENS1_22reduce_config_selectorIN6thrust23THRUST_200600_302600_NS5tupleIblNS6_9null_typeES8_S8_S8_S8_S8_S8_S8_EEEEZNS1_11reduce_implILb1ES3_NS6_12zip_iteratorINS7_INS6_11hip_rocprim26transform_input_iterator_tIbNSD_35transform_pair_of_input_iterators_tIbNS6_6detail15normal_iteratorINS6_10device_ptrIKtEEEESL_NS6_8equal_toItEEEENSG_9not_fun_tINSD_8identityEEEEENSD_19counting_iterator_tIlEES8_S8_S8_S8_S8_S8_S8_S8_EEEEPS9_S9_NSD_9__find_if7functorIS9_EEEE10hipError_tPvRmT1_T2_T3_mT4_P12ihipStream_tbEUlT_E0_NS1_11comp_targetILNS1_3genE0ELNS1_11target_archE4294967295ELNS1_3gpuE0ELNS1_3repE0EEENS1_30default_config_static_selectorELNS0_4arch9wavefront6targetE1EEEvS14_.uses_flat_scratch, 0
	.set _ZN7rocprim17ROCPRIM_400000_NS6detail17trampoline_kernelINS0_14default_configENS1_22reduce_config_selectorIN6thrust23THRUST_200600_302600_NS5tupleIblNS6_9null_typeES8_S8_S8_S8_S8_S8_S8_EEEEZNS1_11reduce_implILb1ES3_NS6_12zip_iteratorINS7_INS6_11hip_rocprim26transform_input_iterator_tIbNSD_35transform_pair_of_input_iterators_tIbNS6_6detail15normal_iteratorINS6_10device_ptrIKtEEEESL_NS6_8equal_toItEEEENSG_9not_fun_tINSD_8identityEEEEENSD_19counting_iterator_tIlEES8_S8_S8_S8_S8_S8_S8_S8_EEEEPS9_S9_NSD_9__find_if7functorIS9_EEEE10hipError_tPvRmT1_T2_T3_mT4_P12ihipStream_tbEUlT_E0_NS1_11comp_targetILNS1_3genE0ELNS1_11target_archE4294967295ELNS1_3gpuE0ELNS1_3repE0EEENS1_30default_config_static_selectorELNS0_4arch9wavefront6targetE1EEEvS14_.has_dyn_sized_stack, 0
	.set _ZN7rocprim17ROCPRIM_400000_NS6detail17trampoline_kernelINS0_14default_configENS1_22reduce_config_selectorIN6thrust23THRUST_200600_302600_NS5tupleIblNS6_9null_typeES8_S8_S8_S8_S8_S8_S8_EEEEZNS1_11reduce_implILb1ES3_NS6_12zip_iteratorINS7_INS6_11hip_rocprim26transform_input_iterator_tIbNSD_35transform_pair_of_input_iterators_tIbNS6_6detail15normal_iteratorINS6_10device_ptrIKtEEEESL_NS6_8equal_toItEEEENSG_9not_fun_tINSD_8identityEEEEENSD_19counting_iterator_tIlEES8_S8_S8_S8_S8_S8_S8_S8_EEEEPS9_S9_NSD_9__find_if7functorIS9_EEEE10hipError_tPvRmT1_T2_T3_mT4_P12ihipStream_tbEUlT_E0_NS1_11comp_targetILNS1_3genE0ELNS1_11target_archE4294967295ELNS1_3gpuE0ELNS1_3repE0EEENS1_30default_config_static_selectorELNS0_4arch9wavefront6targetE1EEEvS14_.has_recursion, 0
	.set _ZN7rocprim17ROCPRIM_400000_NS6detail17trampoline_kernelINS0_14default_configENS1_22reduce_config_selectorIN6thrust23THRUST_200600_302600_NS5tupleIblNS6_9null_typeES8_S8_S8_S8_S8_S8_S8_EEEEZNS1_11reduce_implILb1ES3_NS6_12zip_iteratorINS7_INS6_11hip_rocprim26transform_input_iterator_tIbNSD_35transform_pair_of_input_iterators_tIbNS6_6detail15normal_iteratorINS6_10device_ptrIKtEEEESL_NS6_8equal_toItEEEENSG_9not_fun_tINSD_8identityEEEEENSD_19counting_iterator_tIlEES8_S8_S8_S8_S8_S8_S8_S8_EEEEPS9_S9_NSD_9__find_if7functorIS9_EEEE10hipError_tPvRmT1_T2_T3_mT4_P12ihipStream_tbEUlT_E0_NS1_11comp_targetILNS1_3genE0ELNS1_11target_archE4294967295ELNS1_3gpuE0ELNS1_3repE0EEENS1_30default_config_static_selectorELNS0_4arch9wavefront6targetE1EEEvS14_.has_indirect_call, 0
	.section	.AMDGPU.csdata,"",@progbits
; Kernel info:
; codeLenInByte = 2864
; TotalNumSgprs: 34
; NumVgprs: 14
; NumAgprs: 0
; TotalNumVgprs: 14
; ScratchSize: 0
; MemoryBound: 0
; FloatMode: 240
; IeeeMode: 1
; LDSByteSize: 64 bytes/workgroup (compile time only)
; SGPRBlocks: 4
; VGPRBlocks: 1
; NumSGPRsForWavesPerEU: 34
; NumVGPRsForWavesPerEU: 14
; AccumOffset: 16
; Occupancy: 8
; WaveLimiterHint : 0
; COMPUTE_PGM_RSRC2:SCRATCH_EN: 0
; COMPUTE_PGM_RSRC2:USER_SGPR: 2
; COMPUTE_PGM_RSRC2:TRAP_HANDLER: 0
; COMPUTE_PGM_RSRC2:TGID_X_EN: 1
; COMPUTE_PGM_RSRC2:TGID_Y_EN: 0
; COMPUTE_PGM_RSRC2:TGID_Z_EN: 0
; COMPUTE_PGM_RSRC2:TIDIG_COMP_CNT: 0
; COMPUTE_PGM_RSRC3_GFX90A:ACCUM_OFFSET: 3
; COMPUTE_PGM_RSRC3_GFX90A:TG_SPLIT: 0
	.section	.text._ZN7rocprim17ROCPRIM_400000_NS6detail17trampoline_kernelINS0_14default_configENS1_22reduce_config_selectorIN6thrust23THRUST_200600_302600_NS5tupleIblNS6_9null_typeES8_S8_S8_S8_S8_S8_S8_EEEEZNS1_11reduce_implILb1ES3_NS6_12zip_iteratorINS7_INS6_11hip_rocprim26transform_input_iterator_tIbNSD_35transform_pair_of_input_iterators_tIbNS6_6detail15normal_iteratorINS6_10device_ptrIKtEEEESL_NS6_8equal_toItEEEENSG_9not_fun_tINSD_8identityEEEEENSD_19counting_iterator_tIlEES8_S8_S8_S8_S8_S8_S8_S8_EEEEPS9_S9_NSD_9__find_if7functorIS9_EEEE10hipError_tPvRmT1_T2_T3_mT4_P12ihipStream_tbEUlT_E0_NS1_11comp_targetILNS1_3genE5ELNS1_11target_archE942ELNS1_3gpuE9ELNS1_3repE0EEENS1_30default_config_static_selectorELNS0_4arch9wavefront6targetE1EEEvS14_,"axG",@progbits,_ZN7rocprim17ROCPRIM_400000_NS6detail17trampoline_kernelINS0_14default_configENS1_22reduce_config_selectorIN6thrust23THRUST_200600_302600_NS5tupleIblNS6_9null_typeES8_S8_S8_S8_S8_S8_S8_EEEEZNS1_11reduce_implILb1ES3_NS6_12zip_iteratorINS7_INS6_11hip_rocprim26transform_input_iterator_tIbNSD_35transform_pair_of_input_iterators_tIbNS6_6detail15normal_iteratorINS6_10device_ptrIKtEEEESL_NS6_8equal_toItEEEENSG_9not_fun_tINSD_8identityEEEEENSD_19counting_iterator_tIlEES8_S8_S8_S8_S8_S8_S8_S8_EEEEPS9_S9_NSD_9__find_if7functorIS9_EEEE10hipError_tPvRmT1_T2_T3_mT4_P12ihipStream_tbEUlT_E0_NS1_11comp_targetILNS1_3genE5ELNS1_11target_archE942ELNS1_3gpuE9ELNS1_3repE0EEENS1_30default_config_static_selectorELNS0_4arch9wavefront6targetE1EEEvS14_,comdat
	.protected	_ZN7rocprim17ROCPRIM_400000_NS6detail17trampoline_kernelINS0_14default_configENS1_22reduce_config_selectorIN6thrust23THRUST_200600_302600_NS5tupleIblNS6_9null_typeES8_S8_S8_S8_S8_S8_S8_EEEEZNS1_11reduce_implILb1ES3_NS6_12zip_iteratorINS7_INS6_11hip_rocprim26transform_input_iterator_tIbNSD_35transform_pair_of_input_iterators_tIbNS6_6detail15normal_iteratorINS6_10device_ptrIKtEEEESL_NS6_8equal_toItEEEENSG_9not_fun_tINSD_8identityEEEEENSD_19counting_iterator_tIlEES8_S8_S8_S8_S8_S8_S8_S8_EEEEPS9_S9_NSD_9__find_if7functorIS9_EEEE10hipError_tPvRmT1_T2_T3_mT4_P12ihipStream_tbEUlT_E0_NS1_11comp_targetILNS1_3genE5ELNS1_11target_archE942ELNS1_3gpuE9ELNS1_3repE0EEENS1_30default_config_static_selectorELNS0_4arch9wavefront6targetE1EEEvS14_ ; -- Begin function _ZN7rocprim17ROCPRIM_400000_NS6detail17trampoline_kernelINS0_14default_configENS1_22reduce_config_selectorIN6thrust23THRUST_200600_302600_NS5tupleIblNS6_9null_typeES8_S8_S8_S8_S8_S8_S8_EEEEZNS1_11reduce_implILb1ES3_NS6_12zip_iteratorINS7_INS6_11hip_rocprim26transform_input_iterator_tIbNSD_35transform_pair_of_input_iterators_tIbNS6_6detail15normal_iteratorINS6_10device_ptrIKtEEEESL_NS6_8equal_toItEEEENSG_9not_fun_tINSD_8identityEEEEENSD_19counting_iterator_tIlEES8_S8_S8_S8_S8_S8_S8_S8_EEEEPS9_S9_NSD_9__find_if7functorIS9_EEEE10hipError_tPvRmT1_T2_T3_mT4_P12ihipStream_tbEUlT_E0_NS1_11comp_targetILNS1_3genE5ELNS1_11target_archE942ELNS1_3gpuE9ELNS1_3repE0EEENS1_30default_config_static_selectorELNS0_4arch9wavefront6targetE1EEEvS14_
	.globl	_ZN7rocprim17ROCPRIM_400000_NS6detail17trampoline_kernelINS0_14default_configENS1_22reduce_config_selectorIN6thrust23THRUST_200600_302600_NS5tupleIblNS6_9null_typeES8_S8_S8_S8_S8_S8_S8_EEEEZNS1_11reduce_implILb1ES3_NS6_12zip_iteratorINS7_INS6_11hip_rocprim26transform_input_iterator_tIbNSD_35transform_pair_of_input_iterators_tIbNS6_6detail15normal_iteratorINS6_10device_ptrIKtEEEESL_NS6_8equal_toItEEEENSG_9not_fun_tINSD_8identityEEEEENSD_19counting_iterator_tIlEES8_S8_S8_S8_S8_S8_S8_S8_EEEEPS9_S9_NSD_9__find_if7functorIS9_EEEE10hipError_tPvRmT1_T2_T3_mT4_P12ihipStream_tbEUlT_E0_NS1_11comp_targetILNS1_3genE5ELNS1_11target_archE942ELNS1_3gpuE9ELNS1_3repE0EEENS1_30default_config_static_selectorELNS0_4arch9wavefront6targetE1EEEvS14_
	.p2align	8
	.type	_ZN7rocprim17ROCPRIM_400000_NS6detail17trampoline_kernelINS0_14default_configENS1_22reduce_config_selectorIN6thrust23THRUST_200600_302600_NS5tupleIblNS6_9null_typeES8_S8_S8_S8_S8_S8_S8_EEEEZNS1_11reduce_implILb1ES3_NS6_12zip_iteratorINS7_INS6_11hip_rocprim26transform_input_iterator_tIbNSD_35transform_pair_of_input_iterators_tIbNS6_6detail15normal_iteratorINS6_10device_ptrIKtEEEESL_NS6_8equal_toItEEEENSG_9not_fun_tINSD_8identityEEEEENSD_19counting_iterator_tIlEES8_S8_S8_S8_S8_S8_S8_S8_EEEEPS9_S9_NSD_9__find_if7functorIS9_EEEE10hipError_tPvRmT1_T2_T3_mT4_P12ihipStream_tbEUlT_E0_NS1_11comp_targetILNS1_3genE5ELNS1_11target_archE942ELNS1_3gpuE9ELNS1_3repE0EEENS1_30default_config_static_selectorELNS0_4arch9wavefront6targetE1EEEvS14_,@function
_ZN7rocprim17ROCPRIM_400000_NS6detail17trampoline_kernelINS0_14default_configENS1_22reduce_config_selectorIN6thrust23THRUST_200600_302600_NS5tupleIblNS6_9null_typeES8_S8_S8_S8_S8_S8_S8_EEEEZNS1_11reduce_implILb1ES3_NS6_12zip_iteratorINS7_INS6_11hip_rocprim26transform_input_iterator_tIbNSD_35transform_pair_of_input_iterators_tIbNS6_6detail15normal_iteratorINS6_10device_ptrIKtEEEESL_NS6_8equal_toItEEEENSG_9not_fun_tINSD_8identityEEEEENSD_19counting_iterator_tIlEES8_S8_S8_S8_S8_S8_S8_S8_EEEEPS9_S9_NSD_9__find_if7functorIS9_EEEE10hipError_tPvRmT1_T2_T3_mT4_P12ihipStream_tbEUlT_E0_NS1_11comp_targetILNS1_3genE5ELNS1_11target_archE942ELNS1_3gpuE9ELNS1_3repE0EEENS1_30default_config_static_selectorELNS0_4arch9wavefront6targetE1EEEvS14_: ; @_ZN7rocprim17ROCPRIM_400000_NS6detail17trampoline_kernelINS0_14default_configENS1_22reduce_config_selectorIN6thrust23THRUST_200600_302600_NS5tupleIblNS6_9null_typeES8_S8_S8_S8_S8_S8_S8_EEEEZNS1_11reduce_implILb1ES3_NS6_12zip_iteratorINS7_INS6_11hip_rocprim26transform_input_iterator_tIbNSD_35transform_pair_of_input_iterators_tIbNS6_6detail15normal_iteratorINS6_10device_ptrIKtEEEESL_NS6_8equal_toItEEEENSG_9not_fun_tINSD_8identityEEEEENSD_19counting_iterator_tIlEES8_S8_S8_S8_S8_S8_S8_S8_EEEEPS9_S9_NSD_9__find_if7functorIS9_EEEE10hipError_tPvRmT1_T2_T3_mT4_P12ihipStream_tbEUlT_E0_NS1_11comp_targetILNS1_3genE5ELNS1_11target_archE942ELNS1_3gpuE9ELNS1_3repE0EEENS1_30default_config_static_selectorELNS0_4arch9wavefront6targetE1EEEvS14_
; %bb.0:
	.section	.rodata,"a",@progbits
	.p2align	6, 0x0
	.amdhsa_kernel _ZN7rocprim17ROCPRIM_400000_NS6detail17trampoline_kernelINS0_14default_configENS1_22reduce_config_selectorIN6thrust23THRUST_200600_302600_NS5tupleIblNS6_9null_typeES8_S8_S8_S8_S8_S8_S8_EEEEZNS1_11reduce_implILb1ES3_NS6_12zip_iteratorINS7_INS6_11hip_rocprim26transform_input_iterator_tIbNSD_35transform_pair_of_input_iterators_tIbNS6_6detail15normal_iteratorINS6_10device_ptrIKtEEEESL_NS6_8equal_toItEEEENSG_9not_fun_tINSD_8identityEEEEENSD_19counting_iterator_tIlEES8_S8_S8_S8_S8_S8_S8_S8_EEEEPS9_S9_NSD_9__find_if7functorIS9_EEEE10hipError_tPvRmT1_T2_T3_mT4_P12ihipStream_tbEUlT_E0_NS1_11comp_targetILNS1_3genE5ELNS1_11target_archE942ELNS1_3gpuE9ELNS1_3repE0EEENS1_30default_config_static_selectorELNS0_4arch9wavefront6targetE1EEEvS14_
		.amdhsa_group_segment_fixed_size 0
		.amdhsa_private_segment_fixed_size 0
		.amdhsa_kernarg_size 104
		.amdhsa_user_sgpr_count 2
		.amdhsa_user_sgpr_dispatch_ptr 0
		.amdhsa_user_sgpr_queue_ptr 0
		.amdhsa_user_sgpr_kernarg_segment_ptr 1
		.amdhsa_user_sgpr_dispatch_id 0
		.amdhsa_user_sgpr_kernarg_preload_length 0
		.amdhsa_user_sgpr_kernarg_preload_offset 0
		.amdhsa_user_sgpr_private_segment_size 0
		.amdhsa_uses_dynamic_stack 0
		.amdhsa_enable_private_segment 0
		.amdhsa_system_sgpr_workgroup_id_x 1
		.amdhsa_system_sgpr_workgroup_id_y 0
		.amdhsa_system_sgpr_workgroup_id_z 0
		.amdhsa_system_sgpr_workgroup_info 0
		.amdhsa_system_vgpr_workitem_id 0
		.amdhsa_next_free_vgpr 1
		.amdhsa_next_free_sgpr 0
		.amdhsa_accum_offset 4
		.amdhsa_reserve_vcc 0
		.amdhsa_float_round_mode_32 0
		.amdhsa_float_round_mode_16_64 0
		.amdhsa_float_denorm_mode_32 3
		.amdhsa_float_denorm_mode_16_64 3
		.amdhsa_dx10_clamp 1
		.amdhsa_ieee_mode 1
		.amdhsa_fp16_overflow 0
		.amdhsa_tg_split 0
		.amdhsa_exception_fp_ieee_invalid_op 0
		.amdhsa_exception_fp_denorm_src 0
		.amdhsa_exception_fp_ieee_div_zero 0
		.amdhsa_exception_fp_ieee_overflow 0
		.amdhsa_exception_fp_ieee_underflow 0
		.amdhsa_exception_fp_ieee_inexact 0
		.amdhsa_exception_int_div_zero 0
	.end_amdhsa_kernel
	.section	.text._ZN7rocprim17ROCPRIM_400000_NS6detail17trampoline_kernelINS0_14default_configENS1_22reduce_config_selectorIN6thrust23THRUST_200600_302600_NS5tupleIblNS6_9null_typeES8_S8_S8_S8_S8_S8_S8_EEEEZNS1_11reduce_implILb1ES3_NS6_12zip_iteratorINS7_INS6_11hip_rocprim26transform_input_iterator_tIbNSD_35transform_pair_of_input_iterators_tIbNS6_6detail15normal_iteratorINS6_10device_ptrIKtEEEESL_NS6_8equal_toItEEEENSG_9not_fun_tINSD_8identityEEEEENSD_19counting_iterator_tIlEES8_S8_S8_S8_S8_S8_S8_S8_EEEEPS9_S9_NSD_9__find_if7functorIS9_EEEE10hipError_tPvRmT1_T2_T3_mT4_P12ihipStream_tbEUlT_E0_NS1_11comp_targetILNS1_3genE5ELNS1_11target_archE942ELNS1_3gpuE9ELNS1_3repE0EEENS1_30default_config_static_selectorELNS0_4arch9wavefront6targetE1EEEvS14_,"axG",@progbits,_ZN7rocprim17ROCPRIM_400000_NS6detail17trampoline_kernelINS0_14default_configENS1_22reduce_config_selectorIN6thrust23THRUST_200600_302600_NS5tupleIblNS6_9null_typeES8_S8_S8_S8_S8_S8_S8_EEEEZNS1_11reduce_implILb1ES3_NS6_12zip_iteratorINS7_INS6_11hip_rocprim26transform_input_iterator_tIbNSD_35transform_pair_of_input_iterators_tIbNS6_6detail15normal_iteratorINS6_10device_ptrIKtEEEESL_NS6_8equal_toItEEEENSG_9not_fun_tINSD_8identityEEEEENSD_19counting_iterator_tIlEES8_S8_S8_S8_S8_S8_S8_S8_EEEEPS9_S9_NSD_9__find_if7functorIS9_EEEE10hipError_tPvRmT1_T2_T3_mT4_P12ihipStream_tbEUlT_E0_NS1_11comp_targetILNS1_3genE5ELNS1_11target_archE942ELNS1_3gpuE9ELNS1_3repE0EEENS1_30default_config_static_selectorELNS0_4arch9wavefront6targetE1EEEvS14_,comdat
.Lfunc_end1029:
	.size	_ZN7rocprim17ROCPRIM_400000_NS6detail17trampoline_kernelINS0_14default_configENS1_22reduce_config_selectorIN6thrust23THRUST_200600_302600_NS5tupleIblNS6_9null_typeES8_S8_S8_S8_S8_S8_S8_EEEEZNS1_11reduce_implILb1ES3_NS6_12zip_iteratorINS7_INS6_11hip_rocprim26transform_input_iterator_tIbNSD_35transform_pair_of_input_iterators_tIbNS6_6detail15normal_iteratorINS6_10device_ptrIKtEEEESL_NS6_8equal_toItEEEENSG_9not_fun_tINSD_8identityEEEEENSD_19counting_iterator_tIlEES8_S8_S8_S8_S8_S8_S8_S8_EEEEPS9_S9_NSD_9__find_if7functorIS9_EEEE10hipError_tPvRmT1_T2_T3_mT4_P12ihipStream_tbEUlT_E0_NS1_11comp_targetILNS1_3genE5ELNS1_11target_archE942ELNS1_3gpuE9ELNS1_3repE0EEENS1_30default_config_static_selectorELNS0_4arch9wavefront6targetE1EEEvS14_, .Lfunc_end1029-_ZN7rocprim17ROCPRIM_400000_NS6detail17trampoline_kernelINS0_14default_configENS1_22reduce_config_selectorIN6thrust23THRUST_200600_302600_NS5tupleIblNS6_9null_typeES8_S8_S8_S8_S8_S8_S8_EEEEZNS1_11reduce_implILb1ES3_NS6_12zip_iteratorINS7_INS6_11hip_rocprim26transform_input_iterator_tIbNSD_35transform_pair_of_input_iterators_tIbNS6_6detail15normal_iteratorINS6_10device_ptrIKtEEEESL_NS6_8equal_toItEEEENSG_9not_fun_tINSD_8identityEEEEENSD_19counting_iterator_tIlEES8_S8_S8_S8_S8_S8_S8_S8_EEEEPS9_S9_NSD_9__find_if7functorIS9_EEEE10hipError_tPvRmT1_T2_T3_mT4_P12ihipStream_tbEUlT_E0_NS1_11comp_targetILNS1_3genE5ELNS1_11target_archE942ELNS1_3gpuE9ELNS1_3repE0EEENS1_30default_config_static_selectorELNS0_4arch9wavefront6targetE1EEEvS14_
                                        ; -- End function
	.set _ZN7rocprim17ROCPRIM_400000_NS6detail17trampoline_kernelINS0_14default_configENS1_22reduce_config_selectorIN6thrust23THRUST_200600_302600_NS5tupleIblNS6_9null_typeES8_S8_S8_S8_S8_S8_S8_EEEEZNS1_11reduce_implILb1ES3_NS6_12zip_iteratorINS7_INS6_11hip_rocprim26transform_input_iterator_tIbNSD_35transform_pair_of_input_iterators_tIbNS6_6detail15normal_iteratorINS6_10device_ptrIKtEEEESL_NS6_8equal_toItEEEENSG_9not_fun_tINSD_8identityEEEEENSD_19counting_iterator_tIlEES8_S8_S8_S8_S8_S8_S8_S8_EEEEPS9_S9_NSD_9__find_if7functorIS9_EEEE10hipError_tPvRmT1_T2_T3_mT4_P12ihipStream_tbEUlT_E0_NS1_11comp_targetILNS1_3genE5ELNS1_11target_archE942ELNS1_3gpuE9ELNS1_3repE0EEENS1_30default_config_static_selectorELNS0_4arch9wavefront6targetE1EEEvS14_.num_vgpr, 0
	.set _ZN7rocprim17ROCPRIM_400000_NS6detail17trampoline_kernelINS0_14default_configENS1_22reduce_config_selectorIN6thrust23THRUST_200600_302600_NS5tupleIblNS6_9null_typeES8_S8_S8_S8_S8_S8_S8_EEEEZNS1_11reduce_implILb1ES3_NS6_12zip_iteratorINS7_INS6_11hip_rocprim26transform_input_iterator_tIbNSD_35transform_pair_of_input_iterators_tIbNS6_6detail15normal_iteratorINS6_10device_ptrIKtEEEESL_NS6_8equal_toItEEEENSG_9not_fun_tINSD_8identityEEEEENSD_19counting_iterator_tIlEES8_S8_S8_S8_S8_S8_S8_S8_EEEEPS9_S9_NSD_9__find_if7functorIS9_EEEE10hipError_tPvRmT1_T2_T3_mT4_P12ihipStream_tbEUlT_E0_NS1_11comp_targetILNS1_3genE5ELNS1_11target_archE942ELNS1_3gpuE9ELNS1_3repE0EEENS1_30default_config_static_selectorELNS0_4arch9wavefront6targetE1EEEvS14_.num_agpr, 0
	.set _ZN7rocprim17ROCPRIM_400000_NS6detail17trampoline_kernelINS0_14default_configENS1_22reduce_config_selectorIN6thrust23THRUST_200600_302600_NS5tupleIblNS6_9null_typeES8_S8_S8_S8_S8_S8_S8_EEEEZNS1_11reduce_implILb1ES3_NS6_12zip_iteratorINS7_INS6_11hip_rocprim26transform_input_iterator_tIbNSD_35transform_pair_of_input_iterators_tIbNS6_6detail15normal_iteratorINS6_10device_ptrIKtEEEESL_NS6_8equal_toItEEEENSG_9not_fun_tINSD_8identityEEEEENSD_19counting_iterator_tIlEES8_S8_S8_S8_S8_S8_S8_S8_EEEEPS9_S9_NSD_9__find_if7functorIS9_EEEE10hipError_tPvRmT1_T2_T3_mT4_P12ihipStream_tbEUlT_E0_NS1_11comp_targetILNS1_3genE5ELNS1_11target_archE942ELNS1_3gpuE9ELNS1_3repE0EEENS1_30default_config_static_selectorELNS0_4arch9wavefront6targetE1EEEvS14_.numbered_sgpr, 0
	.set _ZN7rocprim17ROCPRIM_400000_NS6detail17trampoline_kernelINS0_14default_configENS1_22reduce_config_selectorIN6thrust23THRUST_200600_302600_NS5tupleIblNS6_9null_typeES8_S8_S8_S8_S8_S8_S8_EEEEZNS1_11reduce_implILb1ES3_NS6_12zip_iteratorINS7_INS6_11hip_rocprim26transform_input_iterator_tIbNSD_35transform_pair_of_input_iterators_tIbNS6_6detail15normal_iteratorINS6_10device_ptrIKtEEEESL_NS6_8equal_toItEEEENSG_9not_fun_tINSD_8identityEEEEENSD_19counting_iterator_tIlEES8_S8_S8_S8_S8_S8_S8_S8_EEEEPS9_S9_NSD_9__find_if7functorIS9_EEEE10hipError_tPvRmT1_T2_T3_mT4_P12ihipStream_tbEUlT_E0_NS1_11comp_targetILNS1_3genE5ELNS1_11target_archE942ELNS1_3gpuE9ELNS1_3repE0EEENS1_30default_config_static_selectorELNS0_4arch9wavefront6targetE1EEEvS14_.num_named_barrier, 0
	.set _ZN7rocprim17ROCPRIM_400000_NS6detail17trampoline_kernelINS0_14default_configENS1_22reduce_config_selectorIN6thrust23THRUST_200600_302600_NS5tupleIblNS6_9null_typeES8_S8_S8_S8_S8_S8_S8_EEEEZNS1_11reduce_implILb1ES3_NS6_12zip_iteratorINS7_INS6_11hip_rocprim26transform_input_iterator_tIbNSD_35transform_pair_of_input_iterators_tIbNS6_6detail15normal_iteratorINS6_10device_ptrIKtEEEESL_NS6_8equal_toItEEEENSG_9not_fun_tINSD_8identityEEEEENSD_19counting_iterator_tIlEES8_S8_S8_S8_S8_S8_S8_S8_EEEEPS9_S9_NSD_9__find_if7functorIS9_EEEE10hipError_tPvRmT1_T2_T3_mT4_P12ihipStream_tbEUlT_E0_NS1_11comp_targetILNS1_3genE5ELNS1_11target_archE942ELNS1_3gpuE9ELNS1_3repE0EEENS1_30default_config_static_selectorELNS0_4arch9wavefront6targetE1EEEvS14_.private_seg_size, 0
	.set _ZN7rocprim17ROCPRIM_400000_NS6detail17trampoline_kernelINS0_14default_configENS1_22reduce_config_selectorIN6thrust23THRUST_200600_302600_NS5tupleIblNS6_9null_typeES8_S8_S8_S8_S8_S8_S8_EEEEZNS1_11reduce_implILb1ES3_NS6_12zip_iteratorINS7_INS6_11hip_rocprim26transform_input_iterator_tIbNSD_35transform_pair_of_input_iterators_tIbNS6_6detail15normal_iteratorINS6_10device_ptrIKtEEEESL_NS6_8equal_toItEEEENSG_9not_fun_tINSD_8identityEEEEENSD_19counting_iterator_tIlEES8_S8_S8_S8_S8_S8_S8_S8_EEEEPS9_S9_NSD_9__find_if7functorIS9_EEEE10hipError_tPvRmT1_T2_T3_mT4_P12ihipStream_tbEUlT_E0_NS1_11comp_targetILNS1_3genE5ELNS1_11target_archE942ELNS1_3gpuE9ELNS1_3repE0EEENS1_30default_config_static_selectorELNS0_4arch9wavefront6targetE1EEEvS14_.uses_vcc, 0
	.set _ZN7rocprim17ROCPRIM_400000_NS6detail17trampoline_kernelINS0_14default_configENS1_22reduce_config_selectorIN6thrust23THRUST_200600_302600_NS5tupleIblNS6_9null_typeES8_S8_S8_S8_S8_S8_S8_EEEEZNS1_11reduce_implILb1ES3_NS6_12zip_iteratorINS7_INS6_11hip_rocprim26transform_input_iterator_tIbNSD_35transform_pair_of_input_iterators_tIbNS6_6detail15normal_iteratorINS6_10device_ptrIKtEEEESL_NS6_8equal_toItEEEENSG_9not_fun_tINSD_8identityEEEEENSD_19counting_iterator_tIlEES8_S8_S8_S8_S8_S8_S8_S8_EEEEPS9_S9_NSD_9__find_if7functorIS9_EEEE10hipError_tPvRmT1_T2_T3_mT4_P12ihipStream_tbEUlT_E0_NS1_11comp_targetILNS1_3genE5ELNS1_11target_archE942ELNS1_3gpuE9ELNS1_3repE0EEENS1_30default_config_static_selectorELNS0_4arch9wavefront6targetE1EEEvS14_.uses_flat_scratch, 0
	.set _ZN7rocprim17ROCPRIM_400000_NS6detail17trampoline_kernelINS0_14default_configENS1_22reduce_config_selectorIN6thrust23THRUST_200600_302600_NS5tupleIblNS6_9null_typeES8_S8_S8_S8_S8_S8_S8_EEEEZNS1_11reduce_implILb1ES3_NS6_12zip_iteratorINS7_INS6_11hip_rocprim26transform_input_iterator_tIbNSD_35transform_pair_of_input_iterators_tIbNS6_6detail15normal_iteratorINS6_10device_ptrIKtEEEESL_NS6_8equal_toItEEEENSG_9not_fun_tINSD_8identityEEEEENSD_19counting_iterator_tIlEES8_S8_S8_S8_S8_S8_S8_S8_EEEEPS9_S9_NSD_9__find_if7functorIS9_EEEE10hipError_tPvRmT1_T2_T3_mT4_P12ihipStream_tbEUlT_E0_NS1_11comp_targetILNS1_3genE5ELNS1_11target_archE942ELNS1_3gpuE9ELNS1_3repE0EEENS1_30default_config_static_selectorELNS0_4arch9wavefront6targetE1EEEvS14_.has_dyn_sized_stack, 0
	.set _ZN7rocprim17ROCPRIM_400000_NS6detail17trampoline_kernelINS0_14default_configENS1_22reduce_config_selectorIN6thrust23THRUST_200600_302600_NS5tupleIblNS6_9null_typeES8_S8_S8_S8_S8_S8_S8_EEEEZNS1_11reduce_implILb1ES3_NS6_12zip_iteratorINS7_INS6_11hip_rocprim26transform_input_iterator_tIbNSD_35transform_pair_of_input_iterators_tIbNS6_6detail15normal_iteratorINS6_10device_ptrIKtEEEESL_NS6_8equal_toItEEEENSG_9not_fun_tINSD_8identityEEEEENSD_19counting_iterator_tIlEES8_S8_S8_S8_S8_S8_S8_S8_EEEEPS9_S9_NSD_9__find_if7functorIS9_EEEE10hipError_tPvRmT1_T2_T3_mT4_P12ihipStream_tbEUlT_E0_NS1_11comp_targetILNS1_3genE5ELNS1_11target_archE942ELNS1_3gpuE9ELNS1_3repE0EEENS1_30default_config_static_selectorELNS0_4arch9wavefront6targetE1EEEvS14_.has_recursion, 0
	.set _ZN7rocprim17ROCPRIM_400000_NS6detail17trampoline_kernelINS0_14default_configENS1_22reduce_config_selectorIN6thrust23THRUST_200600_302600_NS5tupleIblNS6_9null_typeES8_S8_S8_S8_S8_S8_S8_EEEEZNS1_11reduce_implILb1ES3_NS6_12zip_iteratorINS7_INS6_11hip_rocprim26transform_input_iterator_tIbNSD_35transform_pair_of_input_iterators_tIbNS6_6detail15normal_iteratorINS6_10device_ptrIKtEEEESL_NS6_8equal_toItEEEENSG_9not_fun_tINSD_8identityEEEEENSD_19counting_iterator_tIlEES8_S8_S8_S8_S8_S8_S8_S8_EEEEPS9_S9_NSD_9__find_if7functorIS9_EEEE10hipError_tPvRmT1_T2_T3_mT4_P12ihipStream_tbEUlT_E0_NS1_11comp_targetILNS1_3genE5ELNS1_11target_archE942ELNS1_3gpuE9ELNS1_3repE0EEENS1_30default_config_static_selectorELNS0_4arch9wavefront6targetE1EEEvS14_.has_indirect_call, 0
	.section	.AMDGPU.csdata,"",@progbits
; Kernel info:
; codeLenInByte = 0
; TotalNumSgprs: 6
; NumVgprs: 0
; NumAgprs: 0
; TotalNumVgprs: 0
; ScratchSize: 0
; MemoryBound: 0
; FloatMode: 240
; IeeeMode: 1
; LDSByteSize: 0 bytes/workgroup (compile time only)
; SGPRBlocks: 0
; VGPRBlocks: 0
; NumSGPRsForWavesPerEU: 6
; NumVGPRsForWavesPerEU: 1
; AccumOffset: 4
; Occupancy: 8
; WaveLimiterHint : 0
; COMPUTE_PGM_RSRC2:SCRATCH_EN: 0
; COMPUTE_PGM_RSRC2:USER_SGPR: 2
; COMPUTE_PGM_RSRC2:TRAP_HANDLER: 0
; COMPUTE_PGM_RSRC2:TGID_X_EN: 1
; COMPUTE_PGM_RSRC2:TGID_Y_EN: 0
; COMPUTE_PGM_RSRC2:TGID_Z_EN: 0
; COMPUTE_PGM_RSRC2:TIDIG_COMP_CNT: 0
; COMPUTE_PGM_RSRC3_GFX90A:ACCUM_OFFSET: 0
; COMPUTE_PGM_RSRC3_GFX90A:TG_SPLIT: 0
	.section	.text._ZN7rocprim17ROCPRIM_400000_NS6detail17trampoline_kernelINS0_14default_configENS1_22reduce_config_selectorIN6thrust23THRUST_200600_302600_NS5tupleIblNS6_9null_typeES8_S8_S8_S8_S8_S8_S8_EEEEZNS1_11reduce_implILb1ES3_NS6_12zip_iteratorINS7_INS6_11hip_rocprim26transform_input_iterator_tIbNSD_35transform_pair_of_input_iterators_tIbNS6_6detail15normal_iteratorINS6_10device_ptrIKtEEEESL_NS6_8equal_toItEEEENSG_9not_fun_tINSD_8identityEEEEENSD_19counting_iterator_tIlEES8_S8_S8_S8_S8_S8_S8_S8_EEEEPS9_S9_NSD_9__find_if7functorIS9_EEEE10hipError_tPvRmT1_T2_T3_mT4_P12ihipStream_tbEUlT_E0_NS1_11comp_targetILNS1_3genE4ELNS1_11target_archE910ELNS1_3gpuE8ELNS1_3repE0EEENS1_30default_config_static_selectorELNS0_4arch9wavefront6targetE1EEEvS14_,"axG",@progbits,_ZN7rocprim17ROCPRIM_400000_NS6detail17trampoline_kernelINS0_14default_configENS1_22reduce_config_selectorIN6thrust23THRUST_200600_302600_NS5tupleIblNS6_9null_typeES8_S8_S8_S8_S8_S8_S8_EEEEZNS1_11reduce_implILb1ES3_NS6_12zip_iteratorINS7_INS6_11hip_rocprim26transform_input_iterator_tIbNSD_35transform_pair_of_input_iterators_tIbNS6_6detail15normal_iteratorINS6_10device_ptrIKtEEEESL_NS6_8equal_toItEEEENSG_9not_fun_tINSD_8identityEEEEENSD_19counting_iterator_tIlEES8_S8_S8_S8_S8_S8_S8_S8_EEEEPS9_S9_NSD_9__find_if7functorIS9_EEEE10hipError_tPvRmT1_T2_T3_mT4_P12ihipStream_tbEUlT_E0_NS1_11comp_targetILNS1_3genE4ELNS1_11target_archE910ELNS1_3gpuE8ELNS1_3repE0EEENS1_30default_config_static_selectorELNS0_4arch9wavefront6targetE1EEEvS14_,comdat
	.protected	_ZN7rocprim17ROCPRIM_400000_NS6detail17trampoline_kernelINS0_14default_configENS1_22reduce_config_selectorIN6thrust23THRUST_200600_302600_NS5tupleIblNS6_9null_typeES8_S8_S8_S8_S8_S8_S8_EEEEZNS1_11reduce_implILb1ES3_NS6_12zip_iteratorINS7_INS6_11hip_rocprim26transform_input_iterator_tIbNSD_35transform_pair_of_input_iterators_tIbNS6_6detail15normal_iteratorINS6_10device_ptrIKtEEEESL_NS6_8equal_toItEEEENSG_9not_fun_tINSD_8identityEEEEENSD_19counting_iterator_tIlEES8_S8_S8_S8_S8_S8_S8_S8_EEEEPS9_S9_NSD_9__find_if7functorIS9_EEEE10hipError_tPvRmT1_T2_T3_mT4_P12ihipStream_tbEUlT_E0_NS1_11comp_targetILNS1_3genE4ELNS1_11target_archE910ELNS1_3gpuE8ELNS1_3repE0EEENS1_30default_config_static_selectorELNS0_4arch9wavefront6targetE1EEEvS14_ ; -- Begin function _ZN7rocprim17ROCPRIM_400000_NS6detail17trampoline_kernelINS0_14default_configENS1_22reduce_config_selectorIN6thrust23THRUST_200600_302600_NS5tupleIblNS6_9null_typeES8_S8_S8_S8_S8_S8_S8_EEEEZNS1_11reduce_implILb1ES3_NS6_12zip_iteratorINS7_INS6_11hip_rocprim26transform_input_iterator_tIbNSD_35transform_pair_of_input_iterators_tIbNS6_6detail15normal_iteratorINS6_10device_ptrIKtEEEESL_NS6_8equal_toItEEEENSG_9not_fun_tINSD_8identityEEEEENSD_19counting_iterator_tIlEES8_S8_S8_S8_S8_S8_S8_S8_EEEEPS9_S9_NSD_9__find_if7functorIS9_EEEE10hipError_tPvRmT1_T2_T3_mT4_P12ihipStream_tbEUlT_E0_NS1_11comp_targetILNS1_3genE4ELNS1_11target_archE910ELNS1_3gpuE8ELNS1_3repE0EEENS1_30default_config_static_selectorELNS0_4arch9wavefront6targetE1EEEvS14_
	.globl	_ZN7rocprim17ROCPRIM_400000_NS6detail17trampoline_kernelINS0_14default_configENS1_22reduce_config_selectorIN6thrust23THRUST_200600_302600_NS5tupleIblNS6_9null_typeES8_S8_S8_S8_S8_S8_S8_EEEEZNS1_11reduce_implILb1ES3_NS6_12zip_iteratorINS7_INS6_11hip_rocprim26transform_input_iterator_tIbNSD_35transform_pair_of_input_iterators_tIbNS6_6detail15normal_iteratorINS6_10device_ptrIKtEEEESL_NS6_8equal_toItEEEENSG_9not_fun_tINSD_8identityEEEEENSD_19counting_iterator_tIlEES8_S8_S8_S8_S8_S8_S8_S8_EEEEPS9_S9_NSD_9__find_if7functorIS9_EEEE10hipError_tPvRmT1_T2_T3_mT4_P12ihipStream_tbEUlT_E0_NS1_11comp_targetILNS1_3genE4ELNS1_11target_archE910ELNS1_3gpuE8ELNS1_3repE0EEENS1_30default_config_static_selectorELNS0_4arch9wavefront6targetE1EEEvS14_
	.p2align	8
	.type	_ZN7rocprim17ROCPRIM_400000_NS6detail17trampoline_kernelINS0_14default_configENS1_22reduce_config_selectorIN6thrust23THRUST_200600_302600_NS5tupleIblNS6_9null_typeES8_S8_S8_S8_S8_S8_S8_EEEEZNS1_11reduce_implILb1ES3_NS6_12zip_iteratorINS7_INS6_11hip_rocprim26transform_input_iterator_tIbNSD_35transform_pair_of_input_iterators_tIbNS6_6detail15normal_iteratorINS6_10device_ptrIKtEEEESL_NS6_8equal_toItEEEENSG_9not_fun_tINSD_8identityEEEEENSD_19counting_iterator_tIlEES8_S8_S8_S8_S8_S8_S8_S8_EEEEPS9_S9_NSD_9__find_if7functorIS9_EEEE10hipError_tPvRmT1_T2_T3_mT4_P12ihipStream_tbEUlT_E0_NS1_11comp_targetILNS1_3genE4ELNS1_11target_archE910ELNS1_3gpuE8ELNS1_3repE0EEENS1_30default_config_static_selectorELNS0_4arch9wavefront6targetE1EEEvS14_,@function
_ZN7rocprim17ROCPRIM_400000_NS6detail17trampoline_kernelINS0_14default_configENS1_22reduce_config_selectorIN6thrust23THRUST_200600_302600_NS5tupleIblNS6_9null_typeES8_S8_S8_S8_S8_S8_S8_EEEEZNS1_11reduce_implILb1ES3_NS6_12zip_iteratorINS7_INS6_11hip_rocprim26transform_input_iterator_tIbNSD_35transform_pair_of_input_iterators_tIbNS6_6detail15normal_iteratorINS6_10device_ptrIKtEEEESL_NS6_8equal_toItEEEENSG_9not_fun_tINSD_8identityEEEEENSD_19counting_iterator_tIlEES8_S8_S8_S8_S8_S8_S8_S8_EEEEPS9_S9_NSD_9__find_if7functorIS9_EEEE10hipError_tPvRmT1_T2_T3_mT4_P12ihipStream_tbEUlT_E0_NS1_11comp_targetILNS1_3genE4ELNS1_11target_archE910ELNS1_3gpuE8ELNS1_3repE0EEENS1_30default_config_static_selectorELNS0_4arch9wavefront6targetE1EEEvS14_: ; @_ZN7rocprim17ROCPRIM_400000_NS6detail17trampoline_kernelINS0_14default_configENS1_22reduce_config_selectorIN6thrust23THRUST_200600_302600_NS5tupleIblNS6_9null_typeES8_S8_S8_S8_S8_S8_S8_EEEEZNS1_11reduce_implILb1ES3_NS6_12zip_iteratorINS7_INS6_11hip_rocprim26transform_input_iterator_tIbNSD_35transform_pair_of_input_iterators_tIbNS6_6detail15normal_iteratorINS6_10device_ptrIKtEEEESL_NS6_8equal_toItEEEENSG_9not_fun_tINSD_8identityEEEEENSD_19counting_iterator_tIlEES8_S8_S8_S8_S8_S8_S8_S8_EEEEPS9_S9_NSD_9__find_if7functorIS9_EEEE10hipError_tPvRmT1_T2_T3_mT4_P12ihipStream_tbEUlT_E0_NS1_11comp_targetILNS1_3genE4ELNS1_11target_archE910ELNS1_3gpuE8ELNS1_3repE0EEENS1_30default_config_static_selectorELNS0_4arch9wavefront6targetE1EEEvS14_
; %bb.0:
	.section	.rodata,"a",@progbits
	.p2align	6, 0x0
	.amdhsa_kernel _ZN7rocprim17ROCPRIM_400000_NS6detail17trampoline_kernelINS0_14default_configENS1_22reduce_config_selectorIN6thrust23THRUST_200600_302600_NS5tupleIblNS6_9null_typeES8_S8_S8_S8_S8_S8_S8_EEEEZNS1_11reduce_implILb1ES3_NS6_12zip_iteratorINS7_INS6_11hip_rocprim26transform_input_iterator_tIbNSD_35transform_pair_of_input_iterators_tIbNS6_6detail15normal_iteratorINS6_10device_ptrIKtEEEESL_NS6_8equal_toItEEEENSG_9not_fun_tINSD_8identityEEEEENSD_19counting_iterator_tIlEES8_S8_S8_S8_S8_S8_S8_S8_EEEEPS9_S9_NSD_9__find_if7functorIS9_EEEE10hipError_tPvRmT1_T2_T3_mT4_P12ihipStream_tbEUlT_E0_NS1_11comp_targetILNS1_3genE4ELNS1_11target_archE910ELNS1_3gpuE8ELNS1_3repE0EEENS1_30default_config_static_selectorELNS0_4arch9wavefront6targetE1EEEvS14_
		.amdhsa_group_segment_fixed_size 0
		.amdhsa_private_segment_fixed_size 0
		.amdhsa_kernarg_size 104
		.amdhsa_user_sgpr_count 2
		.amdhsa_user_sgpr_dispatch_ptr 0
		.amdhsa_user_sgpr_queue_ptr 0
		.amdhsa_user_sgpr_kernarg_segment_ptr 1
		.amdhsa_user_sgpr_dispatch_id 0
		.amdhsa_user_sgpr_kernarg_preload_length 0
		.amdhsa_user_sgpr_kernarg_preload_offset 0
		.amdhsa_user_sgpr_private_segment_size 0
		.amdhsa_uses_dynamic_stack 0
		.amdhsa_enable_private_segment 0
		.amdhsa_system_sgpr_workgroup_id_x 1
		.amdhsa_system_sgpr_workgroup_id_y 0
		.amdhsa_system_sgpr_workgroup_id_z 0
		.amdhsa_system_sgpr_workgroup_info 0
		.amdhsa_system_vgpr_workitem_id 0
		.amdhsa_next_free_vgpr 1
		.amdhsa_next_free_sgpr 0
		.amdhsa_accum_offset 4
		.amdhsa_reserve_vcc 0
		.amdhsa_float_round_mode_32 0
		.amdhsa_float_round_mode_16_64 0
		.amdhsa_float_denorm_mode_32 3
		.amdhsa_float_denorm_mode_16_64 3
		.amdhsa_dx10_clamp 1
		.amdhsa_ieee_mode 1
		.amdhsa_fp16_overflow 0
		.amdhsa_tg_split 0
		.amdhsa_exception_fp_ieee_invalid_op 0
		.amdhsa_exception_fp_denorm_src 0
		.amdhsa_exception_fp_ieee_div_zero 0
		.amdhsa_exception_fp_ieee_overflow 0
		.amdhsa_exception_fp_ieee_underflow 0
		.amdhsa_exception_fp_ieee_inexact 0
		.amdhsa_exception_int_div_zero 0
	.end_amdhsa_kernel
	.section	.text._ZN7rocprim17ROCPRIM_400000_NS6detail17trampoline_kernelINS0_14default_configENS1_22reduce_config_selectorIN6thrust23THRUST_200600_302600_NS5tupleIblNS6_9null_typeES8_S8_S8_S8_S8_S8_S8_EEEEZNS1_11reduce_implILb1ES3_NS6_12zip_iteratorINS7_INS6_11hip_rocprim26transform_input_iterator_tIbNSD_35transform_pair_of_input_iterators_tIbNS6_6detail15normal_iteratorINS6_10device_ptrIKtEEEESL_NS6_8equal_toItEEEENSG_9not_fun_tINSD_8identityEEEEENSD_19counting_iterator_tIlEES8_S8_S8_S8_S8_S8_S8_S8_EEEEPS9_S9_NSD_9__find_if7functorIS9_EEEE10hipError_tPvRmT1_T2_T3_mT4_P12ihipStream_tbEUlT_E0_NS1_11comp_targetILNS1_3genE4ELNS1_11target_archE910ELNS1_3gpuE8ELNS1_3repE0EEENS1_30default_config_static_selectorELNS0_4arch9wavefront6targetE1EEEvS14_,"axG",@progbits,_ZN7rocprim17ROCPRIM_400000_NS6detail17trampoline_kernelINS0_14default_configENS1_22reduce_config_selectorIN6thrust23THRUST_200600_302600_NS5tupleIblNS6_9null_typeES8_S8_S8_S8_S8_S8_S8_EEEEZNS1_11reduce_implILb1ES3_NS6_12zip_iteratorINS7_INS6_11hip_rocprim26transform_input_iterator_tIbNSD_35transform_pair_of_input_iterators_tIbNS6_6detail15normal_iteratorINS6_10device_ptrIKtEEEESL_NS6_8equal_toItEEEENSG_9not_fun_tINSD_8identityEEEEENSD_19counting_iterator_tIlEES8_S8_S8_S8_S8_S8_S8_S8_EEEEPS9_S9_NSD_9__find_if7functorIS9_EEEE10hipError_tPvRmT1_T2_T3_mT4_P12ihipStream_tbEUlT_E0_NS1_11comp_targetILNS1_3genE4ELNS1_11target_archE910ELNS1_3gpuE8ELNS1_3repE0EEENS1_30default_config_static_selectorELNS0_4arch9wavefront6targetE1EEEvS14_,comdat
.Lfunc_end1030:
	.size	_ZN7rocprim17ROCPRIM_400000_NS6detail17trampoline_kernelINS0_14default_configENS1_22reduce_config_selectorIN6thrust23THRUST_200600_302600_NS5tupleIblNS6_9null_typeES8_S8_S8_S8_S8_S8_S8_EEEEZNS1_11reduce_implILb1ES3_NS6_12zip_iteratorINS7_INS6_11hip_rocprim26transform_input_iterator_tIbNSD_35transform_pair_of_input_iterators_tIbNS6_6detail15normal_iteratorINS6_10device_ptrIKtEEEESL_NS6_8equal_toItEEEENSG_9not_fun_tINSD_8identityEEEEENSD_19counting_iterator_tIlEES8_S8_S8_S8_S8_S8_S8_S8_EEEEPS9_S9_NSD_9__find_if7functorIS9_EEEE10hipError_tPvRmT1_T2_T3_mT4_P12ihipStream_tbEUlT_E0_NS1_11comp_targetILNS1_3genE4ELNS1_11target_archE910ELNS1_3gpuE8ELNS1_3repE0EEENS1_30default_config_static_selectorELNS0_4arch9wavefront6targetE1EEEvS14_, .Lfunc_end1030-_ZN7rocprim17ROCPRIM_400000_NS6detail17trampoline_kernelINS0_14default_configENS1_22reduce_config_selectorIN6thrust23THRUST_200600_302600_NS5tupleIblNS6_9null_typeES8_S8_S8_S8_S8_S8_S8_EEEEZNS1_11reduce_implILb1ES3_NS6_12zip_iteratorINS7_INS6_11hip_rocprim26transform_input_iterator_tIbNSD_35transform_pair_of_input_iterators_tIbNS6_6detail15normal_iteratorINS6_10device_ptrIKtEEEESL_NS6_8equal_toItEEEENSG_9not_fun_tINSD_8identityEEEEENSD_19counting_iterator_tIlEES8_S8_S8_S8_S8_S8_S8_S8_EEEEPS9_S9_NSD_9__find_if7functorIS9_EEEE10hipError_tPvRmT1_T2_T3_mT4_P12ihipStream_tbEUlT_E0_NS1_11comp_targetILNS1_3genE4ELNS1_11target_archE910ELNS1_3gpuE8ELNS1_3repE0EEENS1_30default_config_static_selectorELNS0_4arch9wavefront6targetE1EEEvS14_
                                        ; -- End function
	.set _ZN7rocprim17ROCPRIM_400000_NS6detail17trampoline_kernelINS0_14default_configENS1_22reduce_config_selectorIN6thrust23THRUST_200600_302600_NS5tupleIblNS6_9null_typeES8_S8_S8_S8_S8_S8_S8_EEEEZNS1_11reduce_implILb1ES3_NS6_12zip_iteratorINS7_INS6_11hip_rocprim26transform_input_iterator_tIbNSD_35transform_pair_of_input_iterators_tIbNS6_6detail15normal_iteratorINS6_10device_ptrIKtEEEESL_NS6_8equal_toItEEEENSG_9not_fun_tINSD_8identityEEEEENSD_19counting_iterator_tIlEES8_S8_S8_S8_S8_S8_S8_S8_EEEEPS9_S9_NSD_9__find_if7functorIS9_EEEE10hipError_tPvRmT1_T2_T3_mT4_P12ihipStream_tbEUlT_E0_NS1_11comp_targetILNS1_3genE4ELNS1_11target_archE910ELNS1_3gpuE8ELNS1_3repE0EEENS1_30default_config_static_selectorELNS0_4arch9wavefront6targetE1EEEvS14_.num_vgpr, 0
	.set _ZN7rocprim17ROCPRIM_400000_NS6detail17trampoline_kernelINS0_14default_configENS1_22reduce_config_selectorIN6thrust23THRUST_200600_302600_NS5tupleIblNS6_9null_typeES8_S8_S8_S8_S8_S8_S8_EEEEZNS1_11reduce_implILb1ES3_NS6_12zip_iteratorINS7_INS6_11hip_rocprim26transform_input_iterator_tIbNSD_35transform_pair_of_input_iterators_tIbNS6_6detail15normal_iteratorINS6_10device_ptrIKtEEEESL_NS6_8equal_toItEEEENSG_9not_fun_tINSD_8identityEEEEENSD_19counting_iterator_tIlEES8_S8_S8_S8_S8_S8_S8_S8_EEEEPS9_S9_NSD_9__find_if7functorIS9_EEEE10hipError_tPvRmT1_T2_T3_mT4_P12ihipStream_tbEUlT_E0_NS1_11comp_targetILNS1_3genE4ELNS1_11target_archE910ELNS1_3gpuE8ELNS1_3repE0EEENS1_30default_config_static_selectorELNS0_4arch9wavefront6targetE1EEEvS14_.num_agpr, 0
	.set _ZN7rocprim17ROCPRIM_400000_NS6detail17trampoline_kernelINS0_14default_configENS1_22reduce_config_selectorIN6thrust23THRUST_200600_302600_NS5tupleIblNS6_9null_typeES8_S8_S8_S8_S8_S8_S8_EEEEZNS1_11reduce_implILb1ES3_NS6_12zip_iteratorINS7_INS6_11hip_rocprim26transform_input_iterator_tIbNSD_35transform_pair_of_input_iterators_tIbNS6_6detail15normal_iteratorINS6_10device_ptrIKtEEEESL_NS6_8equal_toItEEEENSG_9not_fun_tINSD_8identityEEEEENSD_19counting_iterator_tIlEES8_S8_S8_S8_S8_S8_S8_S8_EEEEPS9_S9_NSD_9__find_if7functorIS9_EEEE10hipError_tPvRmT1_T2_T3_mT4_P12ihipStream_tbEUlT_E0_NS1_11comp_targetILNS1_3genE4ELNS1_11target_archE910ELNS1_3gpuE8ELNS1_3repE0EEENS1_30default_config_static_selectorELNS0_4arch9wavefront6targetE1EEEvS14_.numbered_sgpr, 0
	.set _ZN7rocprim17ROCPRIM_400000_NS6detail17trampoline_kernelINS0_14default_configENS1_22reduce_config_selectorIN6thrust23THRUST_200600_302600_NS5tupleIblNS6_9null_typeES8_S8_S8_S8_S8_S8_S8_EEEEZNS1_11reduce_implILb1ES3_NS6_12zip_iteratorINS7_INS6_11hip_rocprim26transform_input_iterator_tIbNSD_35transform_pair_of_input_iterators_tIbNS6_6detail15normal_iteratorINS6_10device_ptrIKtEEEESL_NS6_8equal_toItEEEENSG_9not_fun_tINSD_8identityEEEEENSD_19counting_iterator_tIlEES8_S8_S8_S8_S8_S8_S8_S8_EEEEPS9_S9_NSD_9__find_if7functorIS9_EEEE10hipError_tPvRmT1_T2_T3_mT4_P12ihipStream_tbEUlT_E0_NS1_11comp_targetILNS1_3genE4ELNS1_11target_archE910ELNS1_3gpuE8ELNS1_3repE0EEENS1_30default_config_static_selectorELNS0_4arch9wavefront6targetE1EEEvS14_.num_named_barrier, 0
	.set _ZN7rocprim17ROCPRIM_400000_NS6detail17trampoline_kernelINS0_14default_configENS1_22reduce_config_selectorIN6thrust23THRUST_200600_302600_NS5tupleIblNS6_9null_typeES8_S8_S8_S8_S8_S8_S8_EEEEZNS1_11reduce_implILb1ES3_NS6_12zip_iteratorINS7_INS6_11hip_rocprim26transform_input_iterator_tIbNSD_35transform_pair_of_input_iterators_tIbNS6_6detail15normal_iteratorINS6_10device_ptrIKtEEEESL_NS6_8equal_toItEEEENSG_9not_fun_tINSD_8identityEEEEENSD_19counting_iterator_tIlEES8_S8_S8_S8_S8_S8_S8_S8_EEEEPS9_S9_NSD_9__find_if7functorIS9_EEEE10hipError_tPvRmT1_T2_T3_mT4_P12ihipStream_tbEUlT_E0_NS1_11comp_targetILNS1_3genE4ELNS1_11target_archE910ELNS1_3gpuE8ELNS1_3repE0EEENS1_30default_config_static_selectorELNS0_4arch9wavefront6targetE1EEEvS14_.private_seg_size, 0
	.set _ZN7rocprim17ROCPRIM_400000_NS6detail17trampoline_kernelINS0_14default_configENS1_22reduce_config_selectorIN6thrust23THRUST_200600_302600_NS5tupleIblNS6_9null_typeES8_S8_S8_S8_S8_S8_S8_EEEEZNS1_11reduce_implILb1ES3_NS6_12zip_iteratorINS7_INS6_11hip_rocprim26transform_input_iterator_tIbNSD_35transform_pair_of_input_iterators_tIbNS6_6detail15normal_iteratorINS6_10device_ptrIKtEEEESL_NS6_8equal_toItEEEENSG_9not_fun_tINSD_8identityEEEEENSD_19counting_iterator_tIlEES8_S8_S8_S8_S8_S8_S8_S8_EEEEPS9_S9_NSD_9__find_if7functorIS9_EEEE10hipError_tPvRmT1_T2_T3_mT4_P12ihipStream_tbEUlT_E0_NS1_11comp_targetILNS1_3genE4ELNS1_11target_archE910ELNS1_3gpuE8ELNS1_3repE0EEENS1_30default_config_static_selectorELNS0_4arch9wavefront6targetE1EEEvS14_.uses_vcc, 0
	.set _ZN7rocprim17ROCPRIM_400000_NS6detail17trampoline_kernelINS0_14default_configENS1_22reduce_config_selectorIN6thrust23THRUST_200600_302600_NS5tupleIblNS6_9null_typeES8_S8_S8_S8_S8_S8_S8_EEEEZNS1_11reduce_implILb1ES3_NS6_12zip_iteratorINS7_INS6_11hip_rocprim26transform_input_iterator_tIbNSD_35transform_pair_of_input_iterators_tIbNS6_6detail15normal_iteratorINS6_10device_ptrIKtEEEESL_NS6_8equal_toItEEEENSG_9not_fun_tINSD_8identityEEEEENSD_19counting_iterator_tIlEES8_S8_S8_S8_S8_S8_S8_S8_EEEEPS9_S9_NSD_9__find_if7functorIS9_EEEE10hipError_tPvRmT1_T2_T3_mT4_P12ihipStream_tbEUlT_E0_NS1_11comp_targetILNS1_3genE4ELNS1_11target_archE910ELNS1_3gpuE8ELNS1_3repE0EEENS1_30default_config_static_selectorELNS0_4arch9wavefront6targetE1EEEvS14_.uses_flat_scratch, 0
	.set _ZN7rocprim17ROCPRIM_400000_NS6detail17trampoline_kernelINS0_14default_configENS1_22reduce_config_selectorIN6thrust23THRUST_200600_302600_NS5tupleIblNS6_9null_typeES8_S8_S8_S8_S8_S8_S8_EEEEZNS1_11reduce_implILb1ES3_NS6_12zip_iteratorINS7_INS6_11hip_rocprim26transform_input_iterator_tIbNSD_35transform_pair_of_input_iterators_tIbNS6_6detail15normal_iteratorINS6_10device_ptrIKtEEEESL_NS6_8equal_toItEEEENSG_9not_fun_tINSD_8identityEEEEENSD_19counting_iterator_tIlEES8_S8_S8_S8_S8_S8_S8_S8_EEEEPS9_S9_NSD_9__find_if7functorIS9_EEEE10hipError_tPvRmT1_T2_T3_mT4_P12ihipStream_tbEUlT_E0_NS1_11comp_targetILNS1_3genE4ELNS1_11target_archE910ELNS1_3gpuE8ELNS1_3repE0EEENS1_30default_config_static_selectorELNS0_4arch9wavefront6targetE1EEEvS14_.has_dyn_sized_stack, 0
	.set _ZN7rocprim17ROCPRIM_400000_NS6detail17trampoline_kernelINS0_14default_configENS1_22reduce_config_selectorIN6thrust23THRUST_200600_302600_NS5tupleIblNS6_9null_typeES8_S8_S8_S8_S8_S8_S8_EEEEZNS1_11reduce_implILb1ES3_NS6_12zip_iteratorINS7_INS6_11hip_rocprim26transform_input_iterator_tIbNSD_35transform_pair_of_input_iterators_tIbNS6_6detail15normal_iteratorINS6_10device_ptrIKtEEEESL_NS6_8equal_toItEEEENSG_9not_fun_tINSD_8identityEEEEENSD_19counting_iterator_tIlEES8_S8_S8_S8_S8_S8_S8_S8_EEEEPS9_S9_NSD_9__find_if7functorIS9_EEEE10hipError_tPvRmT1_T2_T3_mT4_P12ihipStream_tbEUlT_E0_NS1_11comp_targetILNS1_3genE4ELNS1_11target_archE910ELNS1_3gpuE8ELNS1_3repE0EEENS1_30default_config_static_selectorELNS0_4arch9wavefront6targetE1EEEvS14_.has_recursion, 0
	.set _ZN7rocprim17ROCPRIM_400000_NS6detail17trampoline_kernelINS0_14default_configENS1_22reduce_config_selectorIN6thrust23THRUST_200600_302600_NS5tupleIblNS6_9null_typeES8_S8_S8_S8_S8_S8_S8_EEEEZNS1_11reduce_implILb1ES3_NS6_12zip_iteratorINS7_INS6_11hip_rocprim26transform_input_iterator_tIbNSD_35transform_pair_of_input_iterators_tIbNS6_6detail15normal_iteratorINS6_10device_ptrIKtEEEESL_NS6_8equal_toItEEEENSG_9not_fun_tINSD_8identityEEEEENSD_19counting_iterator_tIlEES8_S8_S8_S8_S8_S8_S8_S8_EEEEPS9_S9_NSD_9__find_if7functorIS9_EEEE10hipError_tPvRmT1_T2_T3_mT4_P12ihipStream_tbEUlT_E0_NS1_11comp_targetILNS1_3genE4ELNS1_11target_archE910ELNS1_3gpuE8ELNS1_3repE0EEENS1_30default_config_static_selectorELNS0_4arch9wavefront6targetE1EEEvS14_.has_indirect_call, 0
	.section	.AMDGPU.csdata,"",@progbits
; Kernel info:
; codeLenInByte = 0
; TotalNumSgprs: 6
; NumVgprs: 0
; NumAgprs: 0
; TotalNumVgprs: 0
; ScratchSize: 0
; MemoryBound: 0
; FloatMode: 240
; IeeeMode: 1
; LDSByteSize: 0 bytes/workgroup (compile time only)
; SGPRBlocks: 0
; VGPRBlocks: 0
; NumSGPRsForWavesPerEU: 6
; NumVGPRsForWavesPerEU: 1
; AccumOffset: 4
; Occupancy: 8
; WaveLimiterHint : 0
; COMPUTE_PGM_RSRC2:SCRATCH_EN: 0
; COMPUTE_PGM_RSRC2:USER_SGPR: 2
; COMPUTE_PGM_RSRC2:TRAP_HANDLER: 0
; COMPUTE_PGM_RSRC2:TGID_X_EN: 1
; COMPUTE_PGM_RSRC2:TGID_Y_EN: 0
; COMPUTE_PGM_RSRC2:TGID_Z_EN: 0
; COMPUTE_PGM_RSRC2:TIDIG_COMP_CNT: 0
; COMPUTE_PGM_RSRC3_GFX90A:ACCUM_OFFSET: 0
; COMPUTE_PGM_RSRC3_GFX90A:TG_SPLIT: 0
	.section	.text._ZN7rocprim17ROCPRIM_400000_NS6detail17trampoline_kernelINS0_14default_configENS1_22reduce_config_selectorIN6thrust23THRUST_200600_302600_NS5tupleIblNS6_9null_typeES8_S8_S8_S8_S8_S8_S8_EEEEZNS1_11reduce_implILb1ES3_NS6_12zip_iteratorINS7_INS6_11hip_rocprim26transform_input_iterator_tIbNSD_35transform_pair_of_input_iterators_tIbNS6_6detail15normal_iteratorINS6_10device_ptrIKtEEEESL_NS6_8equal_toItEEEENSG_9not_fun_tINSD_8identityEEEEENSD_19counting_iterator_tIlEES8_S8_S8_S8_S8_S8_S8_S8_EEEEPS9_S9_NSD_9__find_if7functorIS9_EEEE10hipError_tPvRmT1_T2_T3_mT4_P12ihipStream_tbEUlT_E0_NS1_11comp_targetILNS1_3genE3ELNS1_11target_archE908ELNS1_3gpuE7ELNS1_3repE0EEENS1_30default_config_static_selectorELNS0_4arch9wavefront6targetE1EEEvS14_,"axG",@progbits,_ZN7rocprim17ROCPRIM_400000_NS6detail17trampoline_kernelINS0_14default_configENS1_22reduce_config_selectorIN6thrust23THRUST_200600_302600_NS5tupleIblNS6_9null_typeES8_S8_S8_S8_S8_S8_S8_EEEEZNS1_11reduce_implILb1ES3_NS6_12zip_iteratorINS7_INS6_11hip_rocprim26transform_input_iterator_tIbNSD_35transform_pair_of_input_iterators_tIbNS6_6detail15normal_iteratorINS6_10device_ptrIKtEEEESL_NS6_8equal_toItEEEENSG_9not_fun_tINSD_8identityEEEEENSD_19counting_iterator_tIlEES8_S8_S8_S8_S8_S8_S8_S8_EEEEPS9_S9_NSD_9__find_if7functorIS9_EEEE10hipError_tPvRmT1_T2_T3_mT4_P12ihipStream_tbEUlT_E0_NS1_11comp_targetILNS1_3genE3ELNS1_11target_archE908ELNS1_3gpuE7ELNS1_3repE0EEENS1_30default_config_static_selectorELNS0_4arch9wavefront6targetE1EEEvS14_,comdat
	.protected	_ZN7rocprim17ROCPRIM_400000_NS6detail17trampoline_kernelINS0_14default_configENS1_22reduce_config_selectorIN6thrust23THRUST_200600_302600_NS5tupleIblNS6_9null_typeES8_S8_S8_S8_S8_S8_S8_EEEEZNS1_11reduce_implILb1ES3_NS6_12zip_iteratorINS7_INS6_11hip_rocprim26transform_input_iterator_tIbNSD_35transform_pair_of_input_iterators_tIbNS6_6detail15normal_iteratorINS6_10device_ptrIKtEEEESL_NS6_8equal_toItEEEENSG_9not_fun_tINSD_8identityEEEEENSD_19counting_iterator_tIlEES8_S8_S8_S8_S8_S8_S8_S8_EEEEPS9_S9_NSD_9__find_if7functorIS9_EEEE10hipError_tPvRmT1_T2_T3_mT4_P12ihipStream_tbEUlT_E0_NS1_11comp_targetILNS1_3genE3ELNS1_11target_archE908ELNS1_3gpuE7ELNS1_3repE0EEENS1_30default_config_static_selectorELNS0_4arch9wavefront6targetE1EEEvS14_ ; -- Begin function _ZN7rocprim17ROCPRIM_400000_NS6detail17trampoline_kernelINS0_14default_configENS1_22reduce_config_selectorIN6thrust23THRUST_200600_302600_NS5tupleIblNS6_9null_typeES8_S8_S8_S8_S8_S8_S8_EEEEZNS1_11reduce_implILb1ES3_NS6_12zip_iteratorINS7_INS6_11hip_rocprim26transform_input_iterator_tIbNSD_35transform_pair_of_input_iterators_tIbNS6_6detail15normal_iteratorINS6_10device_ptrIKtEEEESL_NS6_8equal_toItEEEENSG_9not_fun_tINSD_8identityEEEEENSD_19counting_iterator_tIlEES8_S8_S8_S8_S8_S8_S8_S8_EEEEPS9_S9_NSD_9__find_if7functorIS9_EEEE10hipError_tPvRmT1_T2_T3_mT4_P12ihipStream_tbEUlT_E0_NS1_11comp_targetILNS1_3genE3ELNS1_11target_archE908ELNS1_3gpuE7ELNS1_3repE0EEENS1_30default_config_static_selectorELNS0_4arch9wavefront6targetE1EEEvS14_
	.globl	_ZN7rocprim17ROCPRIM_400000_NS6detail17trampoline_kernelINS0_14default_configENS1_22reduce_config_selectorIN6thrust23THRUST_200600_302600_NS5tupleIblNS6_9null_typeES8_S8_S8_S8_S8_S8_S8_EEEEZNS1_11reduce_implILb1ES3_NS6_12zip_iteratorINS7_INS6_11hip_rocprim26transform_input_iterator_tIbNSD_35transform_pair_of_input_iterators_tIbNS6_6detail15normal_iteratorINS6_10device_ptrIKtEEEESL_NS6_8equal_toItEEEENSG_9not_fun_tINSD_8identityEEEEENSD_19counting_iterator_tIlEES8_S8_S8_S8_S8_S8_S8_S8_EEEEPS9_S9_NSD_9__find_if7functorIS9_EEEE10hipError_tPvRmT1_T2_T3_mT4_P12ihipStream_tbEUlT_E0_NS1_11comp_targetILNS1_3genE3ELNS1_11target_archE908ELNS1_3gpuE7ELNS1_3repE0EEENS1_30default_config_static_selectorELNS0_4arch9wavefront6targetE1EEEvS14_
	.p2align	8
	.type	_ZN7rocprim17ROCPRIM_400000_NS6detail17trampoline_kernelINS0_14default_configENS1_22reduce_config_selectorIN6thrust23THRUST_200600_302600_NS5tupleIblNS6_9null_typeES8_S8_S8_S8_S8_S8_S8_EEEEZNS1_11reduce_implILb1ES3_NS6_12zip_iteratorINS7_INS6_11hip_rocprim26transform_input_iterator_tIbNSD_35transform_pair_of_input_iterators_tIbNS6_6detail15normal_iteratorINS6_10device_ptrIKtEEEESL_NS6_8equal_toItEEEENSG_9not_fun_tINSD_8identityEEEEENSD_19counting_iterator_tIlEES8_S8_S8_S8_S8_S8_S8_S8_EEEEPS9_S9_NSD_9__find_if7functorIS9_EEEE10hipError_tPvRmT1_T2_T3_mT4_P12ihipStream_tbEUlT_E0_NS1_11comp_targetILNS1_3genE3ELNS1_11target_archE908ELNS1_3gpuE7ELNS1_3repE0EEENS1_30default_config_static_selectorELNS0_4arch9wavefront6targetE1EEEvS14_,@function
_ZN7rocprim17ROCPRIM_400000_NS6detail17trampoline_kernelINS0_14default_configENS1_22reduce_config_selectorIN6thrust23THRUST_200600_302600_NS5tupleIblNS6_9null_typeES8_S8_S8_S8_S8_S8_S8_EEEEZNS1_11reduce_implILb1ES3_NS6_12zip_iteratorINS7_INS6_11hip_rocprim26transform_input_iterator_tIbNSD_35transform_pair_of_input_iterators_tIbNS6_6detail15normal_iteratorINS6_10device_ptrIKtEEEESL_NS6_8equal_toItEEEENSG_9not_fun_tINSD_8identityEEEEENSD_19counting_iterator_tIlEES8_S8_S8_S8_S8_S8_S8_S8_EEEEPS9_S9_NSD_9__find_if7functorIS9_EEEE10hipError_tPvRmT1_T2_T3_mT4_P12ihipStream_tbEUlT_E0_NS1_11comp_targetILNS1_3genE3ELNS1_11target_archE908ELNS1_3gpuE7ELNS1_3repE0EEENS1_30default_config_static_selectorELNS0_4arch9wavefront6targetE1EEEvS14_: ; @_ZN7rocprim17ROCPRIM_400000_NS6detail17trampoline_kernelINS0_14default_configENS1_22reduce_config_selectorIN6thrust23THRUST_200600_302600_NS5tupleIblNS6_9null_typeES8_S8_S8_S8_S8_S8_S8_EEEEZNS1_11reduce_implILb1ES3_NS6_12zip_iteratorINS7_INS6_11hip_rocprim26transform_input_iterator_tIbNSD_35transform_pair_of_input_iterators_tIbNS6_6detail15normal_iteratorINS6_10device_ptrIKtEEEESL_NS6_8equal_toItEEEENSG_9not_fun_tINSD_8identityEEEEENSD_19counting_iterator_tIlEES8_S8_S8_S8_S8_S8_S8_S8_EEEEPS9_S9_NSD_9__find_if7functorIS9_EEEE10hipError_tPvRmT1_T2_T3_mT4_P12ihipStream_tbEUlT_E0_NS1_11comp_targetILNS1_3genE3ELNS1_11target_archE908ELNS1_3gpuE7ELNS1_3repE0EEENS1_30default_config_static_selectorELNS0_4arch9wavefront6targetE1EEEvS14_
; %bb.0:
	.section	.rodata,"a",@progbits
	.p2align	6, 0x0
	.amdhsa_kernel _ZN7rocprim17ROCPRIM_400000_NS6detail17trampoline_kernelINS0_14default_configENS1_22reduce_config_selectorIN6thrust23THRUST_200600_302600_NS5tupleIblNS6_9null_typeES8_S8_S8_S8_S8_S8_S8_EEEEZNS1_11reduce_implILb1ES3_NS6_12zip_iteratorINS7_INS6_11hip_rocprim26transform_input_iterator_tIbNSD_35transform_pair_of_input_iterators_tIbNS6_6detail15normal_iteratorINS6_10device_ptrIKtEEEESL_NS6_8equal_toItEEEENSG_9not_fun_tINSD_8identityEEEEENSD_19counting_iterator_tIlEES8_S8_S8_S8_S8_S8_S8_S8_EEEEPS9_S9_NSD_9__find_if7functorIS9_EEEE10hipError_tPvRmT1_T2_T3_mT4_P12ihipStream_tbEUlT_E0_NS1_11comp_targetILNS1_3genE3ELNS1_11target_archE908ELNS1_3gpuE7ELNS1_3repE0EEENS1_30default_config_static_selectorELNS0_4arch9wavefront6targetE1EEEvS14_
		.amdhsa_group_segment_fixed_size 0
		.amdhsa_private_segment_fixed_size 0
		.amdhsa_kernarg_size 104
		.amdhsa_user_sgpr_count 2
		.amdhsa_user_sgpr_dispatch_ptr 0
		.amdhsa_user_sgpr_queue_ptr 0
		.amdhsa_user_sgpr_kernarg_segment_ptr 1
		.amdhsa_user_sgpr_dispatch_id 0
		.amdhsa_user_sgpr_kernarg_preload_length 0
		.amdhsa_user_sgpr_kernarg_preload_offset 0
		.amdhsa_user_sgpr_private_segment_size 0
		.amdhsa_uses_dynamic_stack 0
		.amdhsa_enable_private_segment 0
		.amdhsa_system_sgpr_workgroup_id_x 1
		.amdhsa_system_sgpr_workgroup_id_y 0
		.amdhsa_system_sgpr_workgroup_id_z 0
		.amdhsa_system_sgpr_workgroup_info 0
		.amdhsa_system_vgpr_workitem_id 0
		.amdhsa_next_free_vgpr 1
		.amdhsa_next_free_sgpr 0
		.amdhsa_accum_offset 4
		.amdhsa_reserve_vcc 0
		.amdhsa_float_round_mode_32 0
		.amdhsa_float_round_mode_16_64 0
		.amdhsa_float_denorm_mode_32 3
		.amdhsa_float_denorm_mode_16_64 3
		.amdhsa_dx10_clamp 1
		.amdhsa_ieee_mode 1
		.amdhsa_fp16_overflow 0
		.amdhsa_tg_split 0
		.amdhsa_exception_fp_ieee_invalid_op 0
		.amdhsa_exception_fp_denorm_src 0
		.amdhsa_exception_fp_ieee_div_zero 0
		.amdhsa_exception_fp_ieee_overflow 0
		.amdhsa_exception_fp_ieee_underflow 0
		.amdhsa_exception_fp_ieee_inexact 0
		.amdhsa_exception_int_div_zero 0
	.end_amdhsa_kernel
	.section	.text._ZN7rocprim17ROCPRIM_400000_NS6detail17trampoline_kernelINS0_14default_configENS1_22reduce_config_selectorIN6thrust23THRUST_200600_302600_NS5tupleIblNS6_9null_typeES8_S8_S8_S8_S8_S8_S8_EEEEZNS1_11reduce_implILb1ES3_NS6_12zip_iteratorINS7_INS6_11hip_rocprim26transform_input_iterator_tIbNSD_35transform_pair_of_input_iterators_tIbNS6_6detail15normal_iteratorINS6_10device_ptrIKtEEEESL_NS6_8equal_toItEEEENSG_9not_fun_tINSD_8identityEEEEENSD_19counting_iterator_tIlEES8_S8_S8_S8_S8_S8_S8_S8_EEEEPS9_S9_NSD_9__find_if7functorIS9_EEEE10hipError_tPvRmT1_T2_T3_mT4_P12ihipStream_tbEUlT_E0_NS1_11comp_targetILNS1_3genE3ELNS1_11target_archE908ELNS1_3gpuE7ELNS1_3repE0EEENS1_30default_config_static_selectorELNS0_4arch9wavefront6targetE1EEEvS14_,"axG",@progbits,_ZN7rocprim17ROCPRIM_400000_NS6detail17trampoline_kernelINS0_14default_configENS1_22reduce_config_selectorIN6thrust23THRUST_200600_302600_NS5tupleIblNS6_9null_typeES8_S8_S8_S8_S8_S8_S8_EEEEZNS1_11reduce_implILb1ES3_NS6_12zip_iteratorINS7_INS6_11hip_rocprim26transform_input_iterator_tIbNSD_35transform_pair_of_input_iterators_tIbNS6_6detail15normal_iteratorINS6_10device_ptrIKtEEEESL_NS6_8equal_toItEEEENSG_9not_fun_tINSD_8identityEEEEENSD_19counting_iterator_tIlEES8_S8_S8_S8_S8_S8_S8_S8_EEEEPS9_S9_NSD_9__find_if7functorIS9_EEEE10hipError_tPvRmT1_T2_T3_mT4_P12ihipStream_tbEUlT_E0_NS1_11comp_targetILNS1_3genE3ELNS1_11target_archE908ELNS1_3gpuE7ELNS1_3repE0EEENS1_30default_config_static_selectorELNS0_4arch9wavefront6targetE1EEEvS14_,comdat
.Lfunc_end1031:
	.size	_ZN7rocprim17ROCPRIM_400000_NS6detail17trampoline_kernelINS0_14default_configENS1_22reduce_config_selectorIN6thrust23THRUST_200600_302600_NS5tupleIblNS6_9null_typeES8_S8_S8_S8_S8_S8_S8_EEEEZNS1_11reduce_implILb1ES3_NS6_12zip_iteratorINS7_INS6_11hip_rocprim26transform_input_iterator_tIbNSD_35transform_pair_of_input_iterators_tIbNS6_6detail15normal_iteratorINS6_10device_ptrIKtEEEESL_NS6_8equal_toItEEEENSG_9not_fun_tINSD_8identityEEEEENSD_19counting_iterator_tIlEES8_S8_S8_S8_S8_S8_S8_S8_EEEEPS9_S9_NSD_9__find_if7functorIS9_EEEE10hipError_tPvRmT1_T2_T3_mT4_P12ihipStream_tbEUlT_E0_NS1_11comp_targetILNS1_3genE3ELNS1_11target_archE908ELNS1_3gpuE7ELNS1_3repE0EEENS1_30default_config_static_selectorELNS0_4arch9wavefront6targetE1EEEvS14_, .Lfunc_end1031-_ZN7rocprim17ROCPRIM_400000_NS6detail17trampoline_kernelINS0_14default_configENS1_22reduce_config_selectorIN6thrust23THRUST_200600_302600_NS5tupleIblNS6_9null_typeES8_S8_S8_S8_S8_S8_S8_EEEEZNS1_11reduce_implILb1ES3_NS6_12zip_iteratorINS7_INS6_11hip_rocprim26transform_input_iterator_tIbNSD_35transform_pair_of_input_iterators_tIbNS6_6detail15normal_iteratorINS6_10device_ptrIKtEEEESL_NS6_8equal_toItEEEENSG_9not_fun_tINSD_8identityEEEEENSD_19counting_iterator_tIlEES8_S8_S8_S8_S8_S8_S8_S8_EEEEPS9_S9_NSD_9__find_if7functorIS9_EEEE10hipError_tPvRmT1_T2_T3_mT4_P12ihipStream_tbEUlT_E0_NS1_11comp_targetILNS1_3genE3ELNS1_11target_archE908ELNS1_3gpuE7ELNS1_3repE0EEENS1_30default_config_static_selectorELNS0_4arch9wavefront6targetE1EEEvS14_
                                        ; -- End function
	.set _ZN7rocprim17ROCPRIM_400000_NS6detail17trampoline_kernelINS0_14default_configENS1_22reduce_config_selectorIN6thrust23THRUST_200600_302600_NS5tupleIblNS6_9null_typeES8_S8_S8_S8_S8_S8_S8_EEEEZNS1_11reduce_implILb1ES3_NS6_12zip_iteratorINS7_INS6_11hip_rocprim26transform_input_iterator_tIbNSD_35transform_pair_of_input_iterators_tIbNS6_6detail15normal_iteratorINS6_10device_ptrIKtEEEESL_NS6_8equal_toItEEEENSG_9not_fun_tINSD_8identityEEEEENSD_19counting_iterator_tIlEES8_S8_S8_S8_S8_S8_S8_S8_EEEEPS9_S9_NSD_9__find_if7functorIS9_EEEE10hipError_tPvRmT1_T2_T3_mT4_P12ihipStream_tbEUlT_E0_NS1_11comp_targetILNS1_3genE3ELNS1_11target_archE908ELNS1_3gpuE7ELNS1_3repE0EEENS1_30default_config_static_selectorELNS0_4arch9wavefront6targetE1EEEvS14_.num_vgpr, 0
	.set _ZN7rocprim17ROCPRIM_400000_NS6detail17trampoline_kernelINS0_14default_configENS1_22reduce_config_selectorIN6thrust23THRUST_200600_302600_NS5tupleIblNS6_9null_typeES8_S8_S8_S8_S8_S8_S8_EEEEZNS1_11reduce_implILb1ES3_NS6_12zip_iteratorINS7_INS6_11hip_rocprim26transform_input_iterator_tIbNSD_35transform_pair_of_input_iterators_tIbNS6_6detail15normal_iteratorINS6_10device_ptrIKtEEEESL_NS6_8equal_toItEEEENSG_9not_fun_tINSD_8identityEEEEENSD_19counting_iterator_tIlEES8_S8_S8_S8_S8_S8_S8_S8_EEEEPS9_S9_NSD_9__find_if7functorIS9_EEEE10hipError_tPvRmT1_T2_T3_mT4_P12ihipStream_tbEUlT_E0_NS1_11comp_targetILNS1_3genE3ELNS1_11target_archE908ELNS1_3gpuE7ELNS1_3repE0EEENS1_30default_config_static_selectorELNS0_4arch9wavefront6targetE1EEEvS14_.num_agpr, 0
	.set _ZN7rocprim17ROCPRIM_400000_NS6detail17trampoline_kernelINS0_14default_configENS1_22reduce_config_selectorIN6thrust23THRUST_200600_302600_NS5tupleIblNS6_9null_typeES8_S8_S8_S8_S8_S8_S8_EEEEZNS1_11reduce_implILb1ES3_NS6_12zip_iteratorINS7_INS6_11hip_rocprim26transform_input_iterator_tIbNSD_35transform_pair_of_input_iterators_tIbNS6_6detail15normal_iteratorINS6_10device_ptrIKtEEEESL_NS6_8equal_toItEEEENSG_9not_fun_tINSD_8identityEEEEENSD_19counting_iterator_tIlEES8_S8_S8_S8_S8_S8_S8_S8_EEEEPS9_S9_NSD_9__find_if7functorIS9_EEEE10hipError_tPvRmT1_T2_T3_mT4_P12ihipStream_tbEUlT_E0_NS1_11comp_targetILNS1_3genE3ELNS1_11target_archE908ELNS1_3gpuE7ELNS1_3repE0EEENS1_30default_config_static_selectorELNS0_4arch9wavefront6targetE1EEEvS14_.numbered_sgpr, 0
	.set _ZN7rocprim17ROCPRIM_400000_NS6detail17trampoline_kernelINS0_14default_configENS1_22reduce_config_selectorIN6thrust23THRUST_200600_302600_NS5tupleIblNS6_9null_typeES8_S8_S8_S8_S8_S8_S8_EEEEZNS1_11reduce_implILb1ES3_NS6_12zip_iteratorINS7_INS6_11hip_rocprim26transform_input_iterator_tIbNSD_35transform_pair_of_input_iterators_tIbNS6_6detail15normal_iteratorINS6_10device_ptrIKtEEEESL_NS6_8equal_toItEEEENSG_9not_fun_tINSD_8identityEEEEENSD_19counting_iterator_tIlEES8_S8_S8_S8_S8_S8_S8_S8_EEEEPS9_S9_NSD_9__find_if7functorIS9_EEEE10hipError_tPvRmT1_T2_T3_mT4_P12ihipStream_tbEUlT_E0_NS1_11comp_targetILNS1_3genE3ELNS1_11target_archE908ELNS1_3gpuE7ELNS1_3repE0EEENS1_30default_config_static_selectorELNS0_4arch9wavefront6targetE1EEEvS14_.num_named_barrier, 0
	.set _ZN7rocprim17ROCPRIM_400000_NS6detail17trampoline_kernelINS0_14default_configENS1_22reduce_config_selectorIN6thrust23THRUST_200600_302600_NS5tupleIblNS6_9null_typeES8_S8_S8_S8_S8_S8_S8_EEEEZNS1_11reduce_implILb1ES3_NS6_12zip_iteratorINS7_INS6_11hip_rocprim26transform_input_iterator_tIbNSD_35transform_pair_of_input_iterators_tIbNS6_6detail15normal_iteratorINS6_10device_ptrIKtEEEESL_NS6_8equal_toItEEEENSG_9not_fun_tINSD_8identityEEEEENSD_19counting_iterator_tIlEES8_S8_S8_S8_S8_S8_S8_S8_EEEEPS9_S9_NSD_9__find_if7functorIS9_EEEE10hipError_tPvRmT1_T2_T3_mT4_P12ihipStream_tbEUlT_E0_NS1_11comp_targetILNS1_3genE3ELNS1_11target_archE908ELNS1_3gpuE7ELNS1_3repE0EEENS1_30default_config_static_selectorELNS0_4arch9wavefront6targetE1EEEvS14_.private_seg_size, 0
	.set _ZN7rocprim17ROCPRIM_400000_NS6detail17trampoline_kernelINS0_14default_configENS1_22reduce_config_selectorIN6thrust23THRUST_200600_302600_NS5tupleIblNS6_9null_typeES8_S8_S8_S8_S8_S8_S8_EEEEZNS1_11reduce_implILb1ES3_NS6_12zip_iteratorINS7_INS6_11hip_rocprim26transform_input_iterator_tIbNSD_35transform_pair_of_input_iterators_tIbNS6_6detail15normal_iteratorINS6_10device_ptrIKtEEEESL_NS6_8equal_toItEEEENSG_9not_fun_tINSD_8identityEEEEENSD_19counting_iterator_tIlEES8_S8_S8_S8_S8_S8_S8_S8_EEEEPS9_S9_NSD_9__find_if7functorIS9_EEEE10hipError_tPvRmT1_T2_T3_mT4_P12ihipStream_tbEUlT_E0_NS1_11comp_targetILNS1_3genE3ELNS1_11target_archE908ELNS1_3gpuE7ELNS1_3repE0EEENS1_30default_config_static_selectorELNS0_4arch9wavefront6targetE1EEEvS14_.uses_vcc, 0
	.set _ZN7rocprim17ROCPRIM_400000_NS6detail17trampoline_kernelINS0_14default_configENS1_22reduce_config_selectorIN6thrust23THRUST_200600_302600_NS5tupleIblNS6_9null_typeES8_S8_S8_S8_S8_S8_S8_EEEEZNS1_11reduce_implILb1ES3_NS6_12zip_iteratorINS7_INS6_11hip_rocprim26transform_input_iterator_tIbNSD_35transform_pair_of_input_iterators_tIbNS6_6detail15normal_iteratorINS6_10device_ptrIKtEEEESL_NS6_8equal_toItEEEENSG_9not_fun_tINSD_8identityEEEEENSD_19counting_iterator_tIlEES8_S8_S8_S8_S8_S8_S8_S8_EEEEPS9_S9_NSD_9__find_if7functorIS9_EEEE10hipError_tPvRmT1_T2_T3_mT4_P12ihipStream_tbEUlT_E0_NS1_11comp_targetILNS1_3genE3ELNS1_11target_archE908ELNS1_3gpuE7ELNS1_3repE0EEENS1_30default_config_static_selectorELNS0_4arch9wavefront6targetE1EEEvS14_.uses_flat_scratch, 0
	.set _ZN7rocprim17ROCPRIM_400000_NS6detail17trampoline_kernelINS0_14default_configENS1_22reduce_config_selectorIN6thrust23THRUST_200600_302600_NS5tupleIblNS6_9null_typeES8_S8_S8_S8_S8_S8_S8_EEEEZNS1_11reduce_implILb1ES3_NS6_12zip_iteratorINS7_INS6_11hip_rocprim26transform_input_iterator_tIbNSD_35transform_pair_of_input_iterators_tIbNS6_6detail15normal_iteratorINS6_10device_ptrIKtEEEESL_NS6_8equal_toItEEEENSG_9not_fun_tINSD_8identityEEEEENSD_19counting_iterator_tIlEES8_S8_S8_S8_S8_S8_S8_S8_EEEEPS9_S9_NSD_9__find_if7functorIS9_EEEE10hipError_tPvRmT1_T2_T3_mT4_P12ihipStream_tbEUlT_E0_NS1_11comp_targetILNS1_3genE3ELNS1_11target_archE908ELNS1_3gpuE7ELNS1_3repE0EEENS1_30default_config_static_selectorELNS0_4arch9wavefront6targetE1EEEvS14_.has_dyn_sized_stack, 0
	.set _ZN7rocprim17ROCPRIM_400000_NS6detail17trampoline_kernelINS0_14default_configENS1_22reduce_config_selectorIN6thrust23THRUST_200600_302600_NS5tupleIblNS6_9null_typeES8_S8_S8_S8_S8_S8_S8_EEEEZNS1_11reduce_implILb1ES3_NS6_12zip_iteratorINS7_INS6_11hip_rocprim26transform_input_iterator_tIbNSD_35transform_pair_of_input_iterators_tIbNS6_6detail15normal_iteratorINS6_10device_ptrIKtEEEESL_NS6_8equal_toItEEEENSG_9not_fun_tINSD_8identityEEEEENSD_19counting_iterator_tIlEES8_S8_S8_S8_S8_S8_S8_S8_EEEEPS9_S9_NSD_9__find_if7functorIS9_EEEE10hipError_tPvRmT1_T2_T3_mT4_P12ihipStream_tbEUlT_E0_NS1_11comp_targetILNS1_3genE3ELNS1_11target_archE908ELNS1_3gpuE7ELNS1_3repE0EEENS1_30default_config_static_selectorELNS0_4arch9wavefront6targetE1EEEvS14_.has_recursion, 0
	.set _ZN7rocprim17ROCPRIM_400000_NS6detail17trampoline_kernelINS0_14default_configENS1_22reduce_config_selectorIN6thrust23THRUST_200600_302600_NS5tupleIblNS6_9null_typeES8_S8_S8_S8_S8_S8_S8_EEEEZNS1_11reduce_implILb1ES3_NS6_12zip_iteratorINS7_INS6_11hip_rocprim26transform_input_iterator_tIbNSD_35transform_pair_of_input_iterators_tIbNS6_6detail15normal_iteratorINS6_10device_ptrIKtEEEESL_NS6_8equal_toItEEEENSG_9not_fun_tINSD_8identityEEEEENSD_19counting_iterator_tIlEES8_S8_S8_S8_S8_S8_S8_S8_EEEEPS9_S9_NSD_9__find_if7functorIS9_EEEE10hipError_tPvRmT1_T2_T3_mT4_P12ihipStream_tbEUlT_E0_NS1_11comp_targetILNS1_3genE3ELNS1_11target_archE908ELNS1_3gpuE7ELNS1_3repE0EEENS1_30default_config_static_selectorELNS0_4arch9wavefront6targetE1EEEvS14_.has_indirect_call, 0
	.section	.AMDGPU.csdata,"",@progbits
; Kernel info:
; codeLenInByte = 0
; TotalNumSgprs: 6
; NumVgprs: 0
; NumAgprs: 0
; TotalNumVgprs: 0
; ScratchSize: 0
; MemoryBound: 0
; FloatMode: 240
; IeeeMode: 1
; LDSByteSize: 0 bytes/workgroup (compile time only)
; SGPRBlocks: 0
; VGPRBlocks: 0
; NumSGPRsForWavesPerEU: 6
; NumVGPRsForWavesPerEU: 1
; AccumOffset: 4
; Occupancy: 8
; WaveLimiterHint : 0
; COMPUTE_PGM_RSRC2:SCRATCH_EN: 0
; COMPUTE_PGM_RSRC2:USER_SGPR: 2
; COMPUTE_PGM_RSRC2:TRAP_HANDLER: 0
; COMPUTE_PGM_RSRC2:TGID_X_EN: 1
; COMPUTE_PGM_RSRC2:TGID_Y_EN: 0
; COMPUTE_PGM_RSRC2:TGID_Z_EN: 0
; COMPUTE_PGM_RSRC2:TIDIG_COMP_CNT: 0
; COMPUTE_PGM_RSRC3_GFX90A:ACCUM_OFFSET: 0
; COMPUTE_PGM_RSRC3_GFX90A:TG_SPLIT: 0
	.section	.text._ZN7rocprim17ROCPRIM_400000_NS6detail17trampoline_kernelINS0_14default_configENS1_22reduce_config_selectorIN6thrust23THRUST_200600_302600_NS5tupleIblNS6_9null_typeES8_S8_S8_S8_S8_S8_S8_EEEEZNS1_11reduce_implILb1ES3_NS6_12zip_iteratorINS7_INS6_11hip_rocprim26transform_input_iterator_tIbNSD_35transform_pair_of_input_iterators_tIbNS6_6detail15normal_iteratorINS6_10device_ptrIKtEEEESL_NS6_8equal_toItEEEENSG_9not_fun_tINSD_8identityEEEEENSD_19counting_iterator_tIlEES8_S8_S8_S8_S8_S8_S8_S8_EEEEPS9_S9_NSD_9__find_if7functorIS9_EEEE10hipError_tPvRmT1_T2_T3_mT4_P12ihipStream_tbEUlT_E0_NS1_11comp_targetILNS1_3genE2ELNS1_11target_archE906ELNS1_3gpuE6ELNS1_3repE0EEENS1_30default_config_static_selectorELNS0_4arch9wavefront6targetE1EEEvS14_,"axG",@progbits,_ZN7rocprim17ROCPRIM_400000_NS6detail17trampoline_kernelINS0_14default_configENS1_22reduce_config_selectorIN6thrust23THRUST_200600_302600_NS5tupleIblNS6_9null_typeES8_S8_S8_S8_S8_S8_S8_EEEEZNS1_11reduce_implILb1ES3_NS6_12zip_iteratorINS7_INS6_11hip_rocprim26transform_input_iterator_tIbNSD_35transform_pair_of_input_iterators_tIbNS6_6detail15normal_iteratorINS6_10device_ptrIKtEEEESL_NS6_8equal_toItEEEENSG_9not_fun_tINSD_8identityEEEEENSD_19counting_iterator_tIlEES8_S8_S8_S8_S8_S8_S8_S8_EEEEPS9_S9_NSD_9__find_if7functorIS9_EEEE10hipError_tPvRmT1_T2_T3_mT4_P12ihipStream_tbEUlT_E0_NS1_11comp_targetILNS1_3genE2ELNS1_11target_archE906ELNS1_3gpuE6ELNS1_3repE0EEENS1_30default_config_static_selectorELNS0_4arch9wavefront6targetE1EEEvS14_,comdat
	.protected	_ZN7rocprim17ROCPRIM_400000_NS6detail17trampoline_kernelINS0_14default_configENS1_22reduce_config_selectorIN6thrust23THRUST_200600_302600_NS5tupleIblNS6_9null_typeES8_S8_S8_S8_S8_S8_S8_EEEEZNS1_11reduce_implILb1ES3_NS6_12zip_iteratorINS7_INS6_11hip_rocprim26transform_input_iterator_tIbNSD_35transform_pair_of_input_iterators_tIbNS6_6detail15normal_iteratorINS6_10device_ptrIKtEEEESL_NS6_8equal_toItEEEENSG_9not_fun_tINSD_8identityEEEEENSD_19counting_iterator_tIlEES8_S8_S8_S8_S8_S8_S8_S8_EEEEPS9_S9_NSD_9__find_if7functorIS9_EEEE10hipError_tPvRmT1_T2_T3_mT4_P12ihipStream_tbEUlT_E0_NS1_11comp_targetILNS1_3genE2ELNS1_11target_archE906ELNS1_3gpuE6ELNS1_3repE0EEENS1_30default_config_static_selectorELNS0_4arch9wavefront6targetE1EEEvS14_ ; -- Begin function _ZN7rocprim17ROCPRIM_400000_NS6detail17trampoline_kernelINS0_14default_configENS1_22reduce_config_selectorIN6thrust23THRUST_200600_302600_NS5tupleIblNS6_9null_typeES8_S8_S8_S8_S8_S8_S8_EEEEZNS1_11reduce_implILb1ES3_NS6_12zip_iteratorINS7_INS6_11hip_rocprim26transform_input_iterator_tIbNSD_35transform_pair_of_input_iterators_tIbNS6_6detail15normal_iteratorINS6_10device_ptrIKtEEEESL_NS6_8equal_toItEEEENSG_9not_fun_tINSD_8identityEEEEENSD_19counting_iterator_tIlEES8_S8_S8_S8_S8_S8_S8_S8_EEEEPS9_S9_NSD_9__find_if7functorIS9_EEEE10hipError_tPvRmT1_T2_T3_mT4_P12ihipStream_tbEUlT_E0_NS1_11comp_targetILNS1_3genE2ELNS1_11target_archE906ELNS1_3gpuE6ELNS1_3repE0EEENS1_30default_config_static_selectorELNS0_4arch9wavefront6targetE1EEEvS14_
	.globl	_ZN7rocprim17ROCPRIM_400000_NS6detail17trampoline_kernelINS0_14default_configENS1_22reduce_config_selectorIN6thrust23THRUST_200600_302600_NS5tupleIblNS6_9null_typeES8_S8_S8_S8_S8_S8_S8_EEEEZNS1_11reduce_implILb1ES3_NS6_12zip_iteratorINS7_INS6_11hip_rocprim26transform_input_iterator_tIbNSD_35transform_pair_of_input_iterators_tIbNS6_6detail15normal_iteratorINS6_10device_ptrIKtEEEESL_NS6_8equal_toItEEEENSG_9not_fun_tINSD_8identityEEEEENSD_19counting_iterator_tIlEES8_S8_S8_S8_S8_S8_S8_S8_EEEEPS9_S9_NSD_9__find_if7functorIS9_EEEE10hipError_tPvRmT1_T2_T3_mT4_P12ihipStream_tbEUlT_E0_NS1_11comp_targetILNS1_3genE2ELNS1_11target_archE906ELNS1_3gpuE6ELNS1_3repE0EEENS1_30default_config_static_selectorELNS0_4arch9wavefront6targetE1EEEvS14_
	.p2align	8
	.type	_ZN7rocprim17ROCPRIM_400000_NS6detail17trampoline_kernelINS0_14default_configENS1_22reduce_config_selectorIN6thrust23THRUST_200600_302600_NS5tupleIblNS6_9null_typeES8_S8_S8_S8_S8_S8_S8_EEEEZNS1_11reduce_implILb1ES3_NS6_12zip_iteratorINS7_INS6_11hip_rocprim26transform_input_iterator_tIbNSD_35transform_pair_of_input_iterators_tIbNS6_6detail15normal_iteratorINS6_10device_ptrIKtEEEESL_NS6_8equal_toItEEEENSG_9not_fun_tINSD_8identityEEEEENSD_19counting_iterator_tIlEES8_S8_S8_S8_S8_S8_S8_S8_EEEEPS9_S9_NSD_9__find_if7functorIS9_EEEE10hipError_tPvRmT1_T2_T3_mT4_P12ihipStream_tbEUlT_E0_NS1_11comp_targetILNS1_3genE2ELNS1_11target_archE906ELNS1_3gpuE6ELNS1_3repE0EEENS1_30default_config_static_selectorELNS0_4arch9wavefront6targetE1EEEvS14_,@function
_ZN7rocprim17ROCPRIM_400000_NS6detail17trampoline_kernelINS0_14default_configENS1_22reduce_config_selectorIN6thrust23THRUST_200600_302600_NS5tupleIblNS6_9null_typeES8_S8_S8_S8_S8_S8_S8_EEEEZNS1_11reduce_implILb1ES3_NS6_12zip_iteratorINS7_INS6_11hip_rocprim26transform_input_iterator_tIbNSD_35transform_pair_of_input_iterators_tIbNS6_6detail15normal_iteratorINS6_10device_ptrIKtEEEESL_NS6_8equal_toItEEEENSG_9not_fun_tINSD_8identityEEEEENSD_19counting_iterator_tIlEES8_S8_S8_S8_S8_S8_S8_S8_EEEEPS9_S9_NSD_9__find_if7functorIS9_EEEE10hipError_tPvRmT1_T2_T3_mT4_P12ihipStream_tbEUlT_E0_NS1_11comp_targetILNS1_3genE2ELNS1_11target_archE906ELNS1_3gpuE6ELNS1_3repE0EEENS1_30default_config_static_selectorELNS0_4arch9wavefront6targetE1EEEvS14_: ; @_ZN7rocprim17ROCPRIM_400000_NS6detail17trampoline_kernelINS0_14default_configENS1_22reduce_config_selectorIN6thrust23THRUST_200600_302600_NS5tupleIblNS6_9null_typeES8_S8_S8_S8_S8_S8_S8_EEEEZNS1_11reduce_implILb1ES3_NS6_12zip_iteratorINS7_INS6_11hip_rocprim26transform_input_iterator_tIbNSD_35transform_pair_of_input_iterators_tIbNS6_6detail15normal_iteratorINS6_10device_ptrIKtEEEESL_NS6_8equal_toItEEEENSG_9not_fun_tINSD_8identityEEEEENSD_19counting_iterator_tIlEES8_S8_S8_S8_S8_S8_S8_S8_EEEEPS9_S9_NSD_9__find_if7functorIS9_EEEE10hipError_tPvRmT1_T2_T3_mT4_P12ihipStream_tbEUlT_E0_NS1_11comp_targetILNS1_3genE2ELNS1_11target_archE906ELNS1_3gpuE6ELNS1_3repE0EEENS1_30default_config_static_selectorELNS0_4arch9wavefront6targetE1EEEvS14_
; %bb.0:
	.section	.rodata,"a",@progbits
	.p2align	6, 0x0
	.amdhsa_kernel _ZN7rocprim17ROCPRIM_400000_NS6detail17trampoline_kernelINS0_14default_configENS1_22reduce_config_selectorIN6thrust23THRUST_200600_302600_NS5tupleIblNS6_9null_typeES8_S8_S8_S8_S8_S8_S8_EEEEZNS1_11reduce_implILb1ES3_NS6_12zip_iteratorINS7_INS6_11hip_rocprim26transform_input_iterator_tIbNSD_35transform_pair_of_input_iterators_tIbNS6_6detail15normal_iteratorINS6_10device_ptrIKtEEEESL_NS6_8equal_toItEEEENSG_9not_fun_tINSD_8identityEEEEENSD_19counting_iterator_tIlEES8_S8_S8_S8_S8_S8_S8_S8_EEEEPS9_S9_NSD_9__find_if7functorIS9_EEEE10hipError_tPvRmT1_T2_T3_mT4_P12ihipStream_tbEUlT_E0_NS1_11comp_targetILNS1_3genE2ELNS1_11target_archE906ELNS1_3gpuE6ELNS1_3repE0EEENS1_30default_config_static_selectorELNS0_4arch9wavefront6targetE1EEEvS14_
		.amdhsa_group_segment_fixed_size 0
		.amdhsa_private_segment_fixed_size 0
		.amdhsa_kernarg_size 104
		.amdhsa_user_sgpr_count 2
		.amdhsa_user_sgpr_dispatch_ptr 0
		.amdhsa_user_sgpr_queue_ptr 0
		.amdhsa_user_sgpr_kernarg_segment_ptr 1
		.amdhsa_user_sgpr_dispatch_id 0
		.amdhsa_user_sgpr_kernarg_preload_length 0
		.amdhsa_user_sgpr_kernarg_preload_offset 0
		.amdhsa_user_sgpr_private_segment_size 0
		.amdhsa_uses_dynamic_stack 0
		.amdhsa_enable_private_segment 0
		.amdhsa_system_sgpr_workgroup_id_x 1
		.amdhsa_system_sgpr_workgroup_id_y 0
		.amdhsa_system_sgpr_workgroup_id_z 0
		.amdhsa_system_sgpr_workgroup_info 0
		.amdhsa_system_vgpr_workitem_id 0
		.amdhsa_next_free_vgpr 1
		.amdhsa_next_free_sgpr 0
		.amdhsa_accum_offset 4
		.amdhsa_reserve_vcc 0
		.amdhsa_float_round_mode_32 0
		.amdhsa_float_round_mode_16_64 0
		.amdhsa_float_denorm_mode_32 3
		.amdhsa_float_denorm_mode_16_64 3
		.amdhsa_dx10_clamp 1
		.amdhsa_ieee_mode 1
		.amdhsa_fp16_overflow 0
		.amdhsa_tg_split 0
		.amdhsa_exception_fp_ieee_invalid_op 0
		.amdhsa_exception_fp_denorm_src 0
		.amdhsa_exception_fp_ieee_div_zero 0
		.amdhsa_exception_fp_ieee_overflow 0
		.amdhsa_exception_fp_ieee_underflow 0
		.amdhsa_exception_fp_ieee_inexact 0
		.amdhsa_exception_int_div_zero 0
	.end_amdhsa_kernel
	.section	.text._ZN7rocprim17ROCPRIM_400000_NS6detail17trampoline_kernelINS0_14default_configENS1_22reduce_config_selectorIN6thrust23THRUST_200600_302600_NS5tupleIblNS6_9null_typeES8_S8_S8_S8_S8_S8_S8_EEEEZNS1_11reduce_implILb1ES3_NS6_12zip_iteratorINS7_INS6_11hip_rocprim26transform_input_iterator_tIbNSD_35transform_pair_of_input_iterators_tIbNS6_6detail15normal_iteratorINS6_10device_ptrIKtEEEESL_NS6_8equal_toItEEEENSG_9not_fun_tINSD_8identityEEEEENSD_19counting_iterator_tIlEES8_S8_S8_S8_S8_S8_S8_S8_EEEEPS9_S9_NSD_9__find_if7functorIS9_EEEE10hipError_tPvRmT1_T2_T3_mT4_P12ihipStream_tbEUlT_E0_NS1_11comp_targetILNS1_3genE2ELNS1_11target_archE906ELNS1_3gpuE6ELNS1_3repE0EEENS1_30default_config_static_selectorELNS0_4arch9wavefront6targetE1EEEvS14_,"axG",@progbits,_ZN7rocprim17ROCPRIM_400000_NS6detail17trampoline_kernelINS0_14default_configENS1_22reduce_config_selectorIN6thrust23THRUST_200600_302600_NS5tupleIblNS6_9null_typeES8_S8_S8_S8_S8_S8_S8_EEEEZNS1_11reduce_implILb1ES3_NS6_12zip_iteratorINS7_INS6_11hip_rocprim26transform_input_iterator_tIbNSD_35transform_pair_of_input_iterators_tIbNS6_6detail15normal_iteratorINS6_10device_ptrIKtEEEESL_NS6_8equal_toItEEEENSG_9not_fun_tINSD_8identityEEEEENSD_19counting_iterator_tIlEES8_S8_S8_S8_S8_S8_S8_S8_EEEEPS9_S9_NSD_9__find_if7functorIS9_EEEE10hipError_tPvRmT1_T2_T3_mT4_P12ihipStream_tbEUlT_E0_NS1_11comp_targetILNS1_3genE2ELNS1_11target_archE906ELNS1_3gpuE6ELNS1_3repE0EEENS1_30default_config_static_selectorELNS0_4arch9wavefront6targetE1EEEvS14_,comdat
.Lfunc_end1032:
	.size	_ZN7rocprim17ROCPRIM_400000_NS6detail17trampoline_kernelINS0_14default_configENS1_22reduce_config_selectorIN6thrust23THRUST_200600_302600_NS5tupleIblNS6_9null_typeES8_S8_S8_S8_S8_S8_S8_EEEEZNS1_11reduce_implILb1ES3_NS6_12zip_iteratorINS7_INS6_11hip_rocprim26transform_input_iterator_tIbNSD_35transform_pair_of_input_iterators_tIbNS6_6detail15normal_iteratorINS6_10device_ptrIKtEEEESL_NS6_8equal_toItEEEENSG_9not_fun_tINSD_8identityEEEEENSD_19counting_iterator_tIlEES8_S8_S8_S8_S8_S8_S8_S8_EEEEPS9_S9_NSD_9__find_if7functorIS9_EEEE10hipError_tPvRmT1_T2_T3_mT4_P12ihipStream_tbEUlT_E0_NS1_11comp_targetILNS1_3genE2ELNS1_11target_archE906ELNS1_3gpuE6ELNS1_3repE0EEENS1_30default_config_static_selectorELNS0_4arch9wavefront6targetE1EEEvS14_, .Lfunc_end1032-_ZN7rocprim17ROCPRIM_400000_NS6detail17trampoline_kernelINS0_14default_configENS1_22reduce_config_selectorIN6thrust23THRUST_200600_302600_NS5tupleIblNS6_9null_typeES8_S8_S8_S8_S8_S8_S8_EEEEZNS1_11reduce_implILb1ES3_NS6_12zip_iteratorINS7_INS6_11hip_rocprim26transform_input_iterator_tIbNSD_35transform_pair_of_input_iterators_tIbNS6_6detail15normal_iteratorINS6_10device_ptrIKtEEEESL_NS6_8equal_toItEEEENSG_9not_fun_tINSD_8identityEEEEENSD_19counting_iterator_tIlEES8_S8_S8_S8_S8_S8_S8_S8_EEEEPS9_S9_NSD_9__find_if7functorIS9_EEEE10hipError_tPvRmT1_T2_T3_mT4_P12ihipStream_tbEUlT_E0_NS1_11comp_targetILNS1_3genE2ELNS1_11target_archE906ELNS1_3gpuE6ELNS1_3repE0EEENS1_30default_config_static_selectorELNS0_4arch9wavefront6targetE1EEEvS14_
                                        ; -- End function
	.set _ZN7rocprim17ROCPRIM_400000_NS6detail17trampoline_kernelINS0_14default_configENS1_22reduce_config_selectorIN6thrust23THRUST_200600_302600_NS5tupleIblNS6_9null_typeES8_S8_S8_S8_S8_S8_S8_EEEEZNS1_11reduce_implILb1ES3_NS6_12zip_iteratorINS7_INS6_11hip_rocprim26transform_input_iterator_tIbNSD_35transform_pair_of_input_iterators_tIbNS6_6detail15normal_iteratorINS6_10device_ptrIKtEEEESL_NS6_8equal_toItEEEENSG_9not_fun_tINSD_8identityEEEEENSD_19counting_iterator_tIlEES8_S8_S8_S8_S8_S8_S8_S8_EEEEPS9_S9_NSD_9__find_if7functorIS9_EEEE10hipError_tPvRmT1_T2_T3_mT4_P12ihipStream_tbEUlT_E0_NS1_11comp_targetILNS1_3genE2ELNS1_11target_archE906ELNS1_3gpuE6ELNS1_3repE0EEENS1_30default_config_static_selectorELNS0_4arch9wavefront6targetE1EEEvS14_.num_vgpr, 0
	.set _ZN7rocprim17ROCPRIM_400000_NS6detail17trampoline_kernelINS0_14default_configENS1_22reduce_config_selectorIN6thrust23THRUST_200600_302600_NS5tupleIblNS6_9null_typeES8_S8_S8_S8_S8_S8_S8_EEEEZNS1_11reduce_implILb1ES3_NS6_12zip_iteratorINS7_INS6_11hip_rocprim26transform_input_iterator_tIbNSD_35transform_pair_of_input_iterators_tIbNS6_6detail15normal_iteratorINS6_10device_ptrIKtEEEESL_NS6_8equal_toItEEEENSG_9not_fun_tINSD_8identityEEEEENSD_19counting_iterator_tIlEES8_S8_S8_S8_S8_S8_S8_S8_EEEEPS9_S9_NSD_9__find_if7functorIS9_EEEE10hipError_tPvRmT1_T2_T3_mT4_P12ihipStream_tbEUlT_E0_NS1_11comp_targetILNS1_3genE2ELNS1_11target_archE906ELNS1_3gpuE6ELNS1_3repE0EEENS1_30default_config_static_selectorELNS0_4arch9wavefront6targetE1EEEvS14_.num_agpr, 0
	.set _ZN7rocprim17ROCPRIM_400000_NS6detail17trampoline_kernelINS0_14default_configENS1_22reduce_config_selectorIN6thrust23THRUST_200600_302600_NS5tupleIblNS6_9null_typeES8_S8_S8_S8_S8_S8_S8_EEEEZNS1_11reduce_implILb1ES3_NS6_12zip_iteratorINS7_INS6_11hip_rocprim26transform_input_iterator_tIbNSD_35transform_pair_of_input_iterators_tIbNS6_6detail15normal_iteratorINS6_10device_ptrIKtEEEESL_NS6_8equal_toItEEEENSG_9not_fun_tINSD_8identityEEEEENSD_19counting_iterator_tIlEES8_S8_S8_S8_S8_S8_S8_S8_EEEEPS9_S9_NSD_9__find_if7functorIS9_EEEE10hipError_tPvRmT1_T2_T3_mT4_P12ihipStream_tbEUlT_E0_NS1_11comp_targetILNS1_3genE2ELNS1_11target_archE906ELNS1_3gpuE6ELNS1_3repE0EEENS1_30default_config_static_selectorELNS0_4arch9wavefront6targetE1EEEvS14_.numbered_sgpr, 0
	.set _ZN7rocprim17ROCPRIM_400000_NS6detail17trampoline_kernelINS0_14default_configENS1_22reduce_config_selectorIN6thrust23THRUST_200600_302600_NS5tupleIblNS6_9null_typeES8_S8_S8_S8_S8_S8_S8_EEEEZNS1_11reduce_implILb1ES3_NS6_12zip_iteratorINS7_INS6_11hip_rocprim26transform_input_iterator_tIbNSD_35transform_pair_of_input_iterators_tIbNS6_6detail15normal_iteratorINS6_10device_ptrIKtEEEESL_NS6_8equal_toItEEEENSG_9not_fun_tINSD_8identityEEEEENSD_19counting_iterator_tIlEES8_S8_S8_S8_S8_S8_S8_S8_EEEEPS9_S9_NSD_9__find_if7functorIS9_EEEE10hipError_tPvRmT1_T2_T3_mT4_P12ihipStream_tbEUlT_E0_NS1_11comp_targetILNS1_3genE2ELNS1_11target_archE906ELNS1_3gpuE6ELNS1_3repE0EEENS1_30default_config_static_selectorELNS0_4arch9wavefront6targetE1EEEvS14_.num_named_barrier, 0
	.set _ZN7rocprim17ROCPRIM_400000_NS6detail17trampoline_kernelINS0_14default_configENS1_22reduce_config_selectorIN6thrust23THRUST_200600_302600_NS5tupleIblNS6_9null_typeES8_S8_S8_S8_S8_S8_S8_EEEEZNS1_11reduce_implILb1ES3_NS6_12zip_iteratorINS7_INS6_11hip_rocprim26transform_input_iterator_tIbNSD_35transform_pair_of_input_iterators_tIbNS6_6detail15normal_iteratorINS6_10device_ptrIKtEEEESL_NS6_8equal_toItEEEENSG_9not_fun_tINSD_8identityEEEEENSD_19counting_iterator_tIlEES8_S8_S8_S8_S8_S8_S8_S8_EEEEPS9_S9_NSD_9__find_if7functorIS9_EEEE10hipError_tPvRmT1_T2_T3_mT4_P12ihipStream_tbEUlT_E0_NS1_11comp_targetILNS1_3genE2ELNS1_11target_archE906ELNS1_3gpuE6ELNS1_3repE0EEENS1_30default_config_static_selectorELNS0_4arch9wavefront6targetE1EEEvS14_.private_seg_size, 0
	.set _ZN7rocprim17ROCPRIM_400000_NS6detail17trampoline_kernelINS0_14default_configENS1_22reduce_config_selectorIN6thrust23THRUST_200600_302600_NS5tupleIblNS6_9null_typeES8_S8_S8_S8_S8_S8_S8_EEEEZNS1_11reduce_implILb1ES3_NS6_12zip_iteratorINS7_INS6_11hip_rocprim26transform_input_iterator_tIbNSD_35transform_pair_of_input_iterators_tIbNS6_6detail15normal_iteratorINS6_10device_ptrIKtEEEESL_NS6_8equal_toItEEEENSG_9not_fun_tINSD_8identityEEEEENSD_19counting_iterator_tIlEES8_S8_S8_S8_S8_S8_S8_S8_EEEEPS9_S9_NSD_9__find_if7functorIS9_EEEE10hipError_tPvRmT1_T2_T3_mT4_P12ihipStream_tbEUlT_E0_NS1_11comp_targetILNS1_3genE2ELNS1_11target_archE906ELNS1_3gpuE6ELNS1_3repE0EEENS1_30default_config_static_selectorELNS0_4arch9wavefront6targetE1EEEvS14_.uses_vcc, 0
	.set _ZN7rocprim17ROCPRIM_400000_NS6detail17trampoline_kernelINS0_14default_configENS1_22reduce_config_selectorIN6thrust23THRUST_200600_302600_NS5tupleIblNS6_9null_typeES8_S8_S8_S8_S8_S8_S8_EEEEZNS1_11reduce_implILb1ES3_NS6_12zip_iteratorINS7_INS6_11hip_rocprim26transform_input_iterator_tIbNSD_35transform_pair_of_input_iterators_tIbNS6_6detail15normal_iteratorINS6_10device_ptrIKtEEEESL_NS6_8equal_toItEEEENSG_9not_fun_tINSD_8identityEEEEENSD_19counting_iterator_tIlEES8_S8_S8_S8_S8_S8_S8_S8_EEEEPS9_S9_NSD_9__find_if7functorIS9_EEEE10hipError_tPvRmT1_T2_T3_mT4_P12ihipStream_tbEUlT_E0_NS1_11comp_targetILNS1_3genE2ELNS1_11target_archE906ELNS1_3gpuE6ELNS1_3repE0EEENS1_30default_config_static_selectorELNS0_4arch9wavefront6targetE1EEEvS14_.uses_flat_scratch, 0
	.set _ZN7rocprim17ROCPRIM_400000_NS6detail17trampoline_kernelINS0_14default_configENS1_22reduce_config_selectorIN6thrust23THRUST_200600_302600_NS5tupleIblNS6_9null_typeES8_S8_S8_S8_S8_S8_S8_EEEEZNS1_11reduce_implILb1ES3_NS6_12zip_iteratorINS7_INS6_11hip_rocprim26transform_input_iterator_tIbNSD_35transform_pair_of_input_iterators_tIbNS6_6detail15normal_iteratorINS6_10device_ptrIKtEEEESL_NS6_8equal_toItEEEENSG_9not_fun_tINSD_8identityEEEEENSD_19counting_iterator_tIlEES8_S8_S8_S8_S8_S8_S8_S8_EEEEPS9_S9_NSD_9__find_if7functorIS9_EEEE10hipError_tPvRmT1_T2_T3_mT4_P12ihipStream_tbEUlT_E0_NS1_11comp_targetILNS1_3genE2ELNS1_11target_archE906ELNS1_3gpuE6ELNS1_3repE0EEENS1_30default_config_static_selectorELNS0_4arch9wavefront6targetE1EEEvS14_.has_dyn_sized_stack, 0
	.set _ZN7rocprim17ROCPRIM_400000_NS6detail17trampoline_kernelINS0_14default_configENS1_22reduce_config_selectorIN6thrust23THRUST_200600_302600_NS5tupleIblNS6_9null_typeES8_S8_S8_S8_S8_S8_S8_EEEEZNS1_11reduce_implILb1ES3_NS6_12zip_iteratorINS7_INS6_11hip_rocprim26transform_input_iterator_tIbNSD_35transform_pair_of_input_iterators_tIbNS6_6detail15normal_iteratorINS6_10device_ptrIKtEEEESL_NS6_8equal_toItEEEENSG_9not_fun_tINSD_8identityEEEEENSD_19counting_iterator_tIlEES8_S8_S8_S8_S8_S8_S8_S8_EEEEPS9_S9_NSD_9__find_if7functorIS9_EEEE10hipError_tPvRmT1_T2_T3_mT4_P12ihipStream_tbEUlT_E0_NS1_11comp_targetILNS1_3genE2ELNS1_11target_archE906ELNS1_3gpuE6ELNS1_3repE0EEENS1_30default_config_static_selectorELNS0_4arch9wavefront6targetE1EEEvS14_.has_recursion, 0
	.set _ZN7rocprim17ROCPRIM_400000_NS6detail17trampoline_kernelINS0_14default_configENS1_22reduce_config_selectorIN6thrust23THRUST_200600_302600_NS5tupleIblNS6_9null_typeES8_S8_S8_S8_S8_S8_S8_EEEEZNS1_11reduce_implILb1ES3_NS6_12zip_iteratorINS7_INS6_11hip_rocprim26transform_input_iterator_tIbNSD_35transform_pair_of_input_iterators_tIbNS6_6detail15normal_iteratorINS6_10device_ptrIKtEEEESL_NS6_8equal_toItEEEENSG_9not_fun_tINSD_8identityEEEEENSD_19counting_iterator_tIlEES8_S8_S8_S8_S8_S8_S8_S8_EEEEPS9_S9_NSD_9__find_if7functorIS9_EEEE10hipError_tPvRmT1_T2_T3_mT4_P12ihipStream_tbEUlT_E0_NS1_11comp_targetILNS1_3genE2ELNS1_11target_archE906ELNS1_3gpuE6ELNS1_3repE0EEENS1_30default_config_static_selectorELNS0_4arch9wavefront6targetE1EEEvS14_.has_indirect_call, 0
	.section	.AMDGPU.csdata,"",@progbits
; Kernel info:
; codeLenInByte = 0
; TotalNumSgprs: 6
; NumVgprs: 0
; NumAgprs: 0
; TotalNumVgprs: 0
; ScratchSize: 0
; MemoryBound: 0
; FloatMode: 240
; IeeeMode: 1
; LDSByteSize: 0 bytes/workgroup (compile time only)
; SGPRBlocks: 0
; VGPRBlocks: 0
; NumSGPRsForWavesPerEU: 6
; NumVGPRsForWavesPerEU: 1
; AccumOffset: 4
; Occupancy: 8
; WaveLimiterHint : 0
; COMPUTE_PGM_RSRC2:SCRATCH_EN: 0
; COMPUTE_PGM_RSRC2:USER_SGPR: 2
; COMPUTE_PGM_RSRC2:TRAP_HANDLER: 0
; COMPUTE_PGM_RSRC2:TGID_X_EN: 1
; COMPUTE_PGM_RSRC2:TGID_Y_EN: 0
; COMPUTE_PGM_RSRC2:TGID_Z_EN: 0
; COMPUTE_PGM_RSRC2:TIDIG_COMP_CNT: 0
; COMPUTE_PGM_RSRC3_GFX90A:ACCUM_OFFSET: 0
; COMPUTE_PGM_RSRC3_GFX90A:TG_SPLIT: 0
	.section	.text._ZN7rocprim17ROCPRIM_400000_NS6detail17trampoline_kernelINS0_14default_configENS1_22reduce_config_selectorIN6thrust23THRUST_200600_302600_NS5tupleIblNS6_9null_typeES8_S8_S8_S8_S8_S8_S8_EEEEZNS1_11reduce_implILb1ES3_NS6_12zip_iteratorINS7_INS6_11hip_rocprim26transform_input_iterator_tIbNSD_35transform_pair_of_input_iterators_tIbNS6_6detail15normal_iteratorINS6_10device_ptrIKtEEEESL_NS6_8equal_toItEEEENSG_9not_fun_tINSD_8identityEEEEENSD_19counting_iterator_tIlEES8_S8_S8_S8_S8_S8_S8_S8_EEEEPS9_S9_NSD_9__find_if7functorIS9_EEEE10hipError_tPvRmT1_T2_T3_mT4_P12ihipStream_tbEUlT_E0_NS1_11comp_targetILNS1_3genE10ELNS1_11target_archE1201ELNS1_3gpuE5ELNS1_3repE0EEENS1_30default_config_static_selectorELNS0_4arch9wavefront6targetE1EEEvS14_,"axG",@progbits,_ZN7rocprim17ROCPRIM_400000_NS6detail17trampoline_kernelINS0_14default_configENS1_22reduce_config_selectorIN6thrust23THRUST_200600_302600_NS5tupleIblNS6_9null_typeES8_S8_S8_S8_S8_S8_S8_EEEEZNS1_11reduce_implILb1ES3_NS6_12zip_iteratorINS7_INS6_11hip_rocprim26transform_input_iterator_tIbNSD_35transform_pair_of_input_iterators_tIbNS6_6detail15normal_iteratorINS6_10device_ptrIKtEEEESL_NS6_8equal_toItEEEENSG_9not_fun_tINSD_8identityEEEEENSD_19counting_iterator_tIlEES8_S8_S8_S8_S8_S8_S8_S8_EEEEPS9_S9_NSD_9__find_if7functorIS9_EEEE10hipError_tPvRmT1_T2_T3_mT4_P12ihipStream_tbEUlT_E0_NS1_11comp_targetILNS1_3genE10ELNS1_11target_archE1201ELNS1_3gpuE5ELNS1_3repE0EEENS1_30default_config_static_selectorELNS0_4arch9wavefront6targetE1EEEvS14_,comdat
	.protected	_ZN7rocprim17ROCPRIM_400000_NS6detail17trampoline_kernelINS0_14default_configENS1_22reduce_config_selectorIN6thrust23THRUST_200600_302600_NS5tupleIblNS6_9null_typeES8_S8_S8_S8_S8_S8_S8_EEEEZNS1_11reduce_implILb1ES3_NS6_12zip_iteratorINS7_INS6_11hip_rocprim26transform_input_iterator_tIbNSD_35transform_pair_of_input_iterators_tIbNS6_6detail15normal_iteratorINS6_10device_ptrIKtEEEESL_NS6_8equal_toItEEEENSG_9not_fun_tINSD_8identityEEEEENSD_19counting_iterator_tIlEES8_S8_S8_S8_S8_S8_S8_S8_EEEEPS9_S9_NSD_9__find_if7functorIS9_EEEE10hipError_tPvRmT1_T2_T3_mT4_P12ihipStream_tbEUlT_E0_NS1_11comp_targetILNS1_3genE10ELNS1_11target_archE1201ELNS1_3gpuE5ELNS1_3repE0EEENS1_30default_config_static_selectorELNS0_4arch9wavefront6targetE1EEEvS14_ ; -- Begin function _ZN7rocprim17ROCPRIM_400000_NS6detail17trampoline_kernelINS0_14default_configENS1_22reduce_config_selectorIN6thrust23THRUST_200600_302600_NS5tupleIblNS6_9null_typeES8_S8_S8_S8_S8_S8_S8_EEEEZNS1_11reduce_implILb1ES3_NS6_12zip_iteratorINS7_INS6_11hip_rocprim26transform_input_iterator_tIbNSD_35transform_pair_of_input_iterators_tIbNS6_6detail15normal_iteratorINS6_10device_ptrIKtEEEESL_NS6_8equal_toItEEEENSG_9not_fun_tINSD_8identityEEEEENSD_19counting_iterator_tIlEES8_S8_S8_S8_S8_S8_S8_S8_EEEEPS9_S9_NSD_9__find_if7functorIS9_EEEE10hipError_tPvRmT1_T2_T3_mT4_P12ihipStream_tbEUlT_E0_NS1_11comp_targetILNS1_3genE10ELNS1_11target_archE1201ELNS1_3gpuE5ELNS1_3repE0EEENS1_30default_config_static_selectorELNS0_4arch9wavefront6targetE1EEEvS14_
	.globl	_ZN7rocprim17ROCPRIM_400000_NS6detail17trampoline_kernelINS0_14default_configENS1_22reduce_config_selectorIN6thrust23THRUST_200600_302600_NS5tupleIblNS6_9null_typeES8_S8_S8_S8_S8_S8_S8_EEEEZNS1_11reduce_implILb1ES3_NS6_12zip_iteratorINS7_INS6_11hip_rocprim26transform_input_iterator_tIbNSD_35transform_pair_of_input_iterators_tIbNS6_6detail15normal_iteratorINS6_10device_ptrIKtEEEESL_NS6_8equal_toItEEEENSG_9not_fun_tINSD_8identityEEEEENSD_19counting_iterator_tIlEES8_S8_S8_S8_S8_S8_S8_S8_EEEEPS9_S9_NSD_9__find_if7functorIS9_EEEE10hipError_tPvRmT1_T2_T3_mT4_P12ihipStream_tbEUlT_E0_NS1_11comp_targetILNS1_3genE10ELNS1_11target_archE1201ELNS1_3gpuE5ELNS1_3repE0EEENS1_30default_config_static_selectorELNS0_4arch9wavefront6targetE1EEEvS14_
	.p2align	8
	.type	_ZN7rocprim17ROCPRIM_400000_NS6detail17trampoline_kernelINS0_14default_configENS1_22reduce_config_selectorIN6thrust23THRUST_200600_302600_NS5tupleIblNS6_9null_typeES8_S8_S8_S8_S8_S8_S8_EEEEZNS1_11reduce_implILb1ES3_NS6_12zip_iteratorINS7_INS6_11hip_rocprim26transform_input_iterator_tIbNSD_35transform_pair_of_input_iterators_tIbNS6_6detail15normal_iteratorINS6_10device_ptrIKtEEEESL_NS6_8equal_toItEEEENSG_9not_fun_tINSD_8identityEEEEENSD_19counting_iterator_tIlEES8_S8_S8_S8_S8_S8_S8_S8_EEEEPS9_S9_NSD_9__find_if7functorIS9_EEEE10hipError_tPvRmT1_T2_T3_mT4_P12ihipStream_tbEUlT_E0_NS1_11comp_targetILNS1_3genE10ELNS1_11target_archE1201ELNS1_3gpuE5ELNS1_3repE0EEENS1_30default_config_static_selectorELNS0_4arch9wavefront6targetE1EEEvS14_,@function
_ZN7rocprim17ROCPRIM_400000_NS6detail17trampoline_kernelINS0_14default_configENS1_22reduce_config_selectorIN6thrust23THRUST_200600_302600_NS5tupleIblNS6_9null_typeES8_S8_S8_S8_S8_S8_S8_EEEEZNS1_11reduce_implILb1ES3_NS6_12zip_iteratorINS7_INS6_11hip_rocprim26transform_input_iterator_tIbNSD_35transform_pair_of_input_iterators_tIbNS6_6detail15normal_iteratorINS6_10device_ptrIKtEEEESL_NS6_8equal_toItEEEENSG_9not_fun_tINSD_8identityEEEEENSD_19counting_iterator_tIlEES8_S8_S8_S8_S8_S8_S8_S8_EEEEPS9_S9_NSD_9__find_if7functorIS9_EEEE10hipError_tPvRmT1_T2_T3_mT4_P12ihipStream_tbEUlT_E0_NS1_11comp_targetILNS1_3genE10ELNS1_11target_archE1201ELNS1_3gpuE5ELNS1_3repE0EEENS1_30default_config_static_selectorELNS0_4arch9wavefront6targetE1EEEvS14_: ; @_ZN7rocprim17ROCPRIM_400000_NS6detail17trampoline_kernelINS0_14default_configENS1_22reduce_config_selectorIN6thrust23THRUST_200600_302600_NS5tupleIblNS6_9null_typeES8_S8_S8_S8_S8_S8_S8_EEEEZNS1_11reduce_implILb1ES3_NS6_12zip_iteratorINS7_INS6_11hip_rocprim26transform_input_iterator_tIbNSD_35transform_pair_of_input_iterators_tIbNS6_6detail15normal_iteratorINS6_10device_ptrIKtEEEESL_NS6_8equal_toItEEEENSG_9not_fun_tINSD_8identityEEEEENSD_19counting_iterator_tIlEES8_S8_S8_S8_S8_S8_S8_S8_EEEEPS9_S9_NSD_9__find_if7functorIS9_EEEE10hipError_tPvRmT1_T2_T3_mT4_P12ihipStream_tbEUlT_E0_NS1_11comp_targetILNS1_3genE10ELNS1_11target_archE1201ELNS1_3gpuE5ELNS1_3repE0EEENS1_30default_config_static_selectorELNS0_4arch9wavefront6targetE1EEEvS14_
; %bb.0:
	.section	.rodata,"a",@progbits
	.p2align	6, 0x0
	.amdhsa_kernel _ZN7rocprim17ROCPRIM_400000_NS6detail17trampoline_kernelINS0_14default_configENS1_22reduce_config_selectorIN6thrust23THRUST_200600_302600_NS5tupleIblNS6_9null_typeES8_S8_S8_S8_S8_S8_S8_EEEEZNS1_11reduce_implILb1ES3_NS6_12zip_iteratorINS7_INS6_11hip_rocprim26transform_input_iterator_tIbNSD_35transform_pair_of_input_iterators_tIbNS6_6detail15normal_iteratorINS6_10device_ptrIKtEEEESL_NS6_8equal_toItEEEENSG_9not_fun_tINSD_8identityEEEEENSD_19counting_iterator_tIlEES8_S8_S8_S8_S8_S8_S8_S8_EEEEPS9_S9_NSD_9__find_if7functorIS9_EEEE10hipError_tPvRmT1_T2_T3_mT4_P12ihipStream_tbEUlT_E0_NS1_11comp_targetILNS1_3genE10ELNS1_11target_archE1201ELNS1_3gpuE5ELNS1_3repE0EEENS1_30default_config_static_selectorELNS0_4arch9wavefront6targetE1EEEvS14_
		.amdhsa_group_segment_fixed_size 0
		.amdhsa_private_segment_fixed_size 0
		.amdhsa_kernarg_size 104
		.amdhsa_user_sgpr_count 2
		.amdhsa_user_sgpr_dispatch_ptr 0
		.amdhsa_user_sgpr_queue_ptr 0
		.amdhsa_user_sgpr_kernarg_segment_ptr 1
		.amdhsa_user_sgpr_dispatch_id 0
		.amdhsa_user_sgpr_kernarg_preload_length 0
		.amdhsa_user_sgpr_kernarg_preload_offset 0
		.amdhsa_user_sgpr_private_segment_size 0
		.amdhsa_uses_dynamic_stack 0
		.amdhsa_enable_private_segment 0
		.amdhsa_system_sgpr_workgroup_id_x 1
		.amdhsa_system_sgpr_workgroup_id_y 0
		.amdhsa_system_sgpr_workgroup_id_z 0
		.amdhsa_system_sgpr_workgroup_info 0
		.amdhsa_system_vgpr_workitem_id 0
		.amdhsa_next_free_vgpr 1
		.amdhsa_next_free_sgpr 0
		.amdhsa_accum_offset 4
		.amdhsa_reserve_vcc 0
		.amdhsa_float_round_mode_32 0
		.amdhsa_float_round_mode_16_64 0
		.amdhsa_float_denorm_mode_32 3
		.amdhsa_float_denorm_mode_16_64 3
		.amdhsa_dx10_clamp 1
		.amdhsa_ieee_mode 1
		.amdhsa_fp16_overflow 0
		.amdhsa_tg_split 0
		.amdhsa_exception_fp_ieee_invalid_op 0
		.amdhsa_exception_fp_denorm_src 0
		.amdhsa_exception_fp_ieee_div_zero 0
		.amdhsa_exception_fp_ieee_overflow 0
		.amdhsa_exception_fp_ieee_underflow 0
		.amdhsa_exception_fp_ieee_inexact 0
		.amdhsa_exception_int_div_zero 0
	.end_amdhsa_kernel
	.section	.text._ZN7rocprim17ROCPRIM_400000_NS6detail17trampoline_kernelINS0_14default_configENS1_22reduce_config_selectorIN6thrust23THRUST_200600_302600_NS5tupleIblNS6_9null_typeES8_S8_S8_S8_S8_S8_S8_EEEEZNS1_11reduce_implILb1ES3_NS6_12zip_iteratorINS7_INS6_11hip_rocprim26transform_input_iterator_tIbNSD_35transform_pair_of_input_iterators_tIbNS6_6detail15normal_iteratorINS6_10device_ptrIKtEEEESL_NS6_8equal_toItEEEENSG_9not_fun_tINSD_8identityEEEEENSD_19counting_iterator_tIlEES8_S8_S8_S8_S8_S8_S8_S8_EEEEPS9_S9_NSD_9__find_if7functorIS9_EEEE10hipError_tPvRmT1_T2_T3_mT4_P12ihipStream_tbEUlT_E0_NS1_11comp_targetILNS1_3genE10ELNS1_11target_archE1201ELNS1_3gpuE5ELNS1_3repE0EEENS1_30default_config_static_selectorELNS0_4arch9wavefront6targetE1EEEvS14_,"axG",@progbits,_ZN7rocprim17ROCPRIM_400000_NS6detail17trampoline_kernelINS0_14default_configENS1_22reduce_config_selectorIN6thrust23THRUST_200600_302600_NS5tupleIblNS6_9null_typeES8_S8_S8_S8_S8_S8_S8_EEEEZNS1_11reduce_implILb1ES3_NS6_12zip_iteratorINS7_INS6_11hip_rocprim26transform_input_iterator_tIbNSD_35transform_pair_of_input_iterators_tIbNS6_6detail15normal_iteratorINS6_10device_ptrIKtEEEESL_NS6_8equal_toItEEEENSG_9not_fun_tINSD_8identityEEEEENSD_19counting_iterator_tIlEES8_S8_S8_S8_S8_S8_S8_S8_EEEEPS9_S9_NSD_9__find_if7functorIS9_EEEE10hipError_tPvRmT1_T2_T3_mT4_P12ihipStream_tbEUlT_E0_NS1_11comp_targetILNS1_3genE10ELNS1_11target_archE1201ELNS1_3gpuE5ELNS1_3repE0EEENS1_30default_config_static_selectorELNS0_4arch9wavefront6targetE1EEEvS14_,comdat
.Lfunc_end1033:
	.size	_ZN7rocprim17ROCPRIM_400000_NS6detail17trampoline_kernelINS0_14default_configENS1_22reduce_config_selectorIN6thrust23THRUST_200600_302600_NS5tupleIblNS6_9null_typeES8_S8_S8_S8_S8_S8_S8_EEEEZNS1_11reduce_implILb1ES3_NS6_12zip_iteratorINS7_INS6_11hip_rocprim26transform_input_iterator_tIbNSD_35transform_pair_of_input_iterators_tIbNS6_6detail15normal_iteratorINS6_10device_ptrIKtEEEESL_NS6_8equal_toItEEEENSG_9not_fun_tINSD_8identityEEEEENSD_19counting_iterator_tIlEES8_S8_S8_S8_S8_S8_S8_S8_EEEEPS9_S9_NSD_9__find_if7functorIS9_EEEE10hipError_tPvRmT1_T2_T3_mT4_P12ihipStream_tbEUlT_E0_NS1_11comp_targetILNS1_3genE10ELNS1_11target_archE1201ELNS1_3gpuE5ELNS1_3repE0EEENS1_30default_config_static_selectorELNS0_4arch9wavefront6targetE1EEEvS14_, .Lfunc_end1033-_ZN7rocprim17ROCPRIM_400000_NS6detail17trampoline_kernelINS0_14default_configENS1_22reduce_config_selectorIN6thrust23THRUST_200600_302600_NS5tupleIblNS6_9null_typeES8_S8_S8_S8_S8_S8_S8_EEEEZNS1_11reduce_implILb1ES3_NS6_12zip_iteratorINS7_INS6_11hip_rocprim26transform_input_iterator_tIbNSD_35transform_pair_of_input_iterators_tIbNS6_6detail15normal_iteratorINS6_10device_ptrIKtEEEESL_NS6_8equal_toItEEEENSG_9not_fun_tINSD_8identityEEEEENSD_19counting_iterator_tIlEES8_S8_S8_S8_S8_S8_S8_S8_EEEEPS9_S9_NSD_9__find_if7functorIS9_EEEE10hipError_tPvRmT1_T2_T3_mT4_P12ihipStream_tbEUlT_E0_NS1_11comp_targetILNS1_3genE10ELNS1_11target_archE1201ELNS1_3gpuE5ELNS1_3repE0EEENS1_30default_config_static_selectorELNS0_4arch9wavefront6targetE1EEEvS14_
                                        ; -- End function
	.set _ZN7rocprim17ROCPRIM_400000_NS6detail17trampoline_kernelINS0_14default_configENS1_22reduce_config_selectorIN6thrust23THRUST_200600_302600_NS5tupleIblNS6_9null_typeES8_S8_S8_S8_S8_S8_S8_EEEEZNS1_11reduce_implILb1ES3_NS6_12zip_iteratorINS7_INS6_11hip_rocprim26transform_input_iterator_tIbNSD_35transform_pair_of_input_iterators_tIbNS6_6detail15normal_iteratorINS6_10device_ptrIKtEEEESL_NS6_8equal_toItEEEENSG_9not_fun_tINSD_8identityEEEEENSD_19counting_iterator_tIlEES8_S8_S8_S8_S8_S8_S8_S8_EEEEPS9_S9_NSD_9__find_if7functorIS9_EEEE10hipError_tPvRmT1_T2_T3_mT4_P12ihipStream_tbEUlT_E0_NS1_11comp_targetILNS1_3genE10ELNS1_11target_archE1201ELNS1_3gpuE5ELNS1_3repE0EEENS1_30default_config_static_selectorELNS0_4arch9wavefront6targetE1EEEvS14_.num_vgpr, 0
	.set _ZN7rocprim17ROCPRIM_400000_NS6detail17trampoline_kernelINS0_14default_configENS1_22reduce_config_selectorIN6thrust23THRUST_200600_302600_NS5tupleIblNS6_9null_typeES8_S8_S8_S8_S8_S8_S8_EEEEZNS1_11reduce_implILb1ES3_NS6_12zip_iteratorINS7_INS6_11hip_rocprim26transform_input_iterator_tIbNSD_35transform_pair_of_input_iterators_tIbNS6_6detail15normal_iteratorINS6_10device_ptrIKtEEEESL_NS6_8equal_toItEEEENSG_9not_fun_tINSD_8identityEEEEENSD_19counting_iterator_tIlEES8_S8_S8_S8_S8_S8_S8_S8_EEEEPS9_S9_NSD_9__find_if7functorIS9_EEEE10hipError_tPvRmT1_T2_T3_mT4_P12ihipStream_tbEUlT_E0_NS1_11comp_targetILNS1_3genE10ELNS1_11target_archE1201ELNS1_3gpuE5ELNS1_3repE0EEENS1_30default_config_static_selectorELNS0_4arch9wavefront6targetE1EEEvS14_.num_agpr, 0
	.set _ZN7rocprim17ROCPRIM_400000_NS6detail17trampoline_kernelINS0_14default_configENS1_22reduce_config_selectorIN6thrust23THRUST_200600_302600_NS5tupleIblNS6_9null_typeES8_S8_S8_S8_S8_S8_S8_EEEEZNS1_11reduce_implILb1ES3_NS6_12zip_iteratorINS7_INS6_11hip_rocprim26transform_input_iterator_tIbNSD_35transform_pair_of_input_iterators_tIbNS6_6detail15normal_iteratorINS6_10device_ptrIKtEEEESL_NS6_8equal_toItEEEENSG_9not_fun_tINSD_8identityEEEEENSD_19counting_iterator_tIlEES8_S8_S8_S8_S8_S8_S8_S8_EEEEPS9_S9_NSD_9__find_if7functorIS9_EEEE10hipError_tPvRmT1_T2_T3_mT4_P12ihipStream_tbEUlT_E0_NS1_11comp_targetILNS1_3genE10ELNS1_11target_archE1201ELNS1_3gpuE5ELNS1_3repE0EEENS1_30default_config_static_selectorELNS0_4arch9wavefront6targetE1EEEvS14_.numbered_sgpr, 0
	.set _ZN7rocprim17ROCPRIM_400000_NS6detail17trampoline_kernelINS0_14default_configENS1_22reduce_config_selectorIN6thrust23THRUST_200600_302600_NS5tupleIblNS6_9null_typeES8_S8_S8_S8_S8_S8_S8_EEEEZNS1_11reduce_implILb1ES3_NS6_12zip_iteratorINS7_INS6_11hip_rocprim26transform_input_iterator_tIbNSD_35transform_pair_of_input_iterators_tIbNS6_6detail15normal_iteratorINS6_10device_ptrIKtEEEESL_NS6_8equal_toItEEEENSG_9not_fun_tINSD_8identityEEEEENSD_19counting_iterator_tIlEES8_S8_S8_S8_S8_S8_S8_S8_EEEEPS9_S9_NSD_9__find_if7functorIS9_EEEE10hipError_tPvRmT1_T2_T3_mT4_P12ihipStream_tbEUlT_E0_NS1_11comp_targetILNS1_3genE10ELNS1_11target_archE1201ELNS1_3gpuE5ELNS1_3repE0EEENS1_30default_config_static_selectorELNS0_4arch9wavefront6targetE1EEEvS14_.num_named_barrier, 0
	.set _ZN7rocprim17ROCPRIM_400000_NS6detail17trampoline_kernelINS0_14default_configENS1_22reduce_config_selectorIN6thrust23THRUST_200600_302600_NS5tupleIblNS6_9null_typeES8_S8_S8_S8_S8_S8_S8_EEEEZNS1_11reduce_implILb1ES3_NS6_12zip_iteratorINS7_INS6_11hip_rocprim26transform_input_iterator_tIbNSD_35transform_pair_of_input_iterators_tIbNS6_6detail15normal_iteratorINS6_10device_ptrIKtEEEESL_NS6_8equal_toItEEEENSG_9not_fun_tINSD_8identityEEEEENSD_19counting_iterator_tIlEES8_S8_S8_S8_S8_S8_S8_S8_EEEEPS9_S9_NSD_9__find_if7functorIS9_EEEE10hipError_tPvRmT1_T2_T3_mT4_P12ihipStream_tbEUlT_E0_NS1_11comp_targetILNS1_3genE10ELNS1_11target_archE1201ELNS1_3gpuE5ELNS1_3repE0EEENS1_30default_config_static_selectorELNS0_4arch9wavefront6targetE1EEEvS14_.private_seg_size, 0
	.set _ZN7rocprim17ROCPRIM_400000_NS6detail17trampoline_kernelINS0_14default_configENS1_22reduce_config_selectorIN6thrust23THRUST_200600_302600_NS5tupleIblNS6_9null_typeES8_S8_S8_S8_S8_S8_S8_EEEEZNS1_11reduce_implILb1ES3_NS6_12zip_iteratorINS7_INS6_11hip_rocprim26transform_input_iterator_tIbNSD_35transform_pair_of_input_iterators_tIbNS6_6detail15normal_iteratorINS6_10device_ptrIKtEEEESL_NS6_8equal_toItEEEENSG_9not_fun_tINSD_8identityEEEEENSD_19counting_iterator_tIlEES8_S8_S8_S8_S8_S8_S8_S8_EEEEPS9_S9_NSD_9__find_if7functorIS9_EEEE10hipError_tPvRmT1_T2_T3_mT4_P12ihipStream_tbEUlT_E0_NS1_11comp_targetILNS1_3genE10ELNS1_11target_archE1201ELNS1_3gpuE5ELNS1_3repE0EEENS1_30default_config_static_selectorELNS0_4arch9wavefront6targetE1EEEvS14_.uses_vcc, 0
	.set _ZN7rocprim17ROCPRIM_400000_NS6detail17trampoline_kernelINS0_14default_configENS1_22reduce_config_selectorIN6thrust23THRUST_200600_302600_NS5tupleIblNS6_9null_typeES8_S8_S8_S8_S8_S8_S8_EEEEZNS1_11reduce_implILb1ES3_NS6_12zip_iteratorINS7_INS6_11hip_rocprim26transform_input_iterator_tIbNSD_35transform_pair_of_input_iterators_tIbNS6_6detail15normal_iteratorINS6_10device_ptrIKtEEEESL_NS6_8equal_toItEEEENSG_9not_fun_tINSD_8identityEEEEENSD_19counting_iterator_tIlEES8_S8_S8_S8_S8_S8_S8_S8_EEEEPS9_S9_NSD_9__find_if7functorIS9_EEEE10hipError_tPvRmT1_T2_T3_mT4_P12ihipStream_tbEUlT_E0_NS1_11comp_targetILNS1_3genE10ELNS1_11target_archE1201ELNS1_3gpuE5ELNS1_3repE0EEENS1_30default_config_static_selectorELNS0_4arch9wavefront6targetE1EEEvS14_.uses_flat_scratch, 0
	.set _ZN7rocprim17ROCPRIM_400000_NS6detail17trampoline_kernelINS0_14default_configENS1_22reduce_config_selectorIN6thrust23THRUST_200600_302600_NS5tupleIblNS6_9null_typeES8_S8_S8_S8_S8_S8_S8_EEEEZNS1_11reduce_implILb1ES3_NS6_12zip_iteratorINS7_INS6_11hip_rocprim26transform_input_iterator_tIbNSD_35transform_pair_of_input_iterators_tIbNS6_6detail15normal_iteratorINS6_10device_ptrIKtEEEESL_NS6_8equal_toItEEEENSG_9not_fun_tINSD_8identityEEEEENSD_19counting_iterator_tIlEES8_S8_S8_S8_S8_S8_S8_S8_EEEEPS9_S9_NSD_9__find_if7functorIS9_EEEE10hipError_tPvRmT1_T2_T3_mT4_P12ihipStream_tbEUlT_E0_NS1_11comp_targetILNS1_3genE10ELNS1_11target_archE1201ELNS1_3gpuE5ELNS1_3repE0EEENS1_30default_config_static_selectorELNS0_4arch9wavefront6targetE1EEEvS14_.has_dyn_sized_stack, 0
	.set _ZN7rocprim17ROCPRIM_400000_NS6detail17trampoline_kernelINS0_14default_configENS1_22reduce_config_selectorIN6thrust23THRUST_200600_302600_NS5tupleIblNS6_9null_typeES8_S8_S8_S8_S8_S8_S8_EEEEZNS1_11reduce_implILb1ES3_NS6_12zip_iteratorINS7_INS6_11hip_rocprim26transform_input_iterator_tIbNSD_35transform_pair_of_input_iterators_tIbNS6_6detail15normal_iteratorINS6_10device_ptrIKtEEEESL_NS6_8equal_toItEEEENSG_9not_fun_tINSD_8identityEEEEENSD_19counting_iterator_tIlEES8_S8_S8_S8_S8_S8_S8_S8_EEEEPS9_S9_NSD_9__find_if7functorIS9_EEEE10hipError_tPvRmT1_T2_T3_mT4_P12ihipStream_tbEUlT_E0_NS1_11comp_targetILNS1_3genE10ELNS1_11target_archE1201ELNS1_3gpuE5ELNS1_3repE0EEENS1_30default_config_static_selectorELNS0_4arch9wavefront6targetE1EEEvS14_.has_recursion, 0
	.set _ZN7rocprim17ROCPRIM_400000_NS6detail17trampoline_kernelINS0_14default_configENS1_22reduce_config_selectorIN6thrust23THRUST_200600_302600_NS5tupleIblNS6_9null_typeES8_S8_S8_S8_S8_S8_S8_EEEEZNS1_11reduce_implILb1ES3_NS6_12zip_iteratorINS7_INS6_11hip_rocprim26transform_input_iterator_tIbNSD_35transform_pair_of_input_iterators_tIbNS6_6detail15normal_iteratorINS6_10device_ptrIKtEEEESL_NS6_8equal_toItEEEENSG_9not_fun_tINSD_8identityEEEEENSD_19counting_iterator_tIlEES8_S8_S8_S8_S8_S8_S8_S8_EEEEPS9_S9_NSD_9__find_if7functorIS9_EEEE10hipError_tPvRmT1_T2_T3_mT4_P12ihipStream_tbEUlT_E0_NS1_11comp_targetILNS1_3genE10ELNS1_11target_archE1201ELNS1_3gpuE5ELNS1_3repE0EEENS1_30default_config_static_selectorELNS0_4arch9wavefront6targetE1EEEvS14_.has_indirect_call, 0
	.section	.AMDGPU.csdata,"",@progbits
; Kernel info:
; codeLenInByte = 0
; TotalNumSgprs: 6
; NumVgprs: 0
; NumAgprs: 0
; TotalNumVgprs: 0
; ScratchSize: 0
; MemoryBound: 0
; FloatMode: 240
; IeeeMode: 1
; LDSByteSize: 0 bytes/workgroup (compile time only)
; SGPRBlocks: 0
; VGPRBlocks: 0
; NumSGPRsForWavesPerEU: 6
; NumVGPRsForWavesPerEU: 1
; AccumOffset: 4
; Occupancy: 8
; WaveLimiterHint : 0
; COMPUTE_PGM_RSRC2:SCRATCH_EN: 0
; COMPUTE_PGM_RSRC2:USER_SGPR: 2
; COMPUTE_PGM_RSRC2:TRAP_HANDLER: 0
; COMPUTE_PGM_RSRC2:TGID_X_EN: 1
; COMPUTE_PGM_RSRC2:TGID_Y_EN: 0
; COMPUTE_PGM_RSRC2:TGID_Z_EN: 0
; COMPUTE_PGM_RSRC2:TIDIG_COMP_CNT: 0
; COMPUTE_PGM_RSRC3_GFX90A:ACCUM_OFFSET: 0
; COMPUTE_PGM_RSRC3_GFX90A:TG_SPLIT: 0
	.section	.text._ZN7rocprim17ROCPRIM_400000_NS6detail17trampoline_kernelINS0_14default_configENS1_22reduce_config_selectorIN6thrust23THRUST_200600_302600_NS5tupleIblNS6_9null_typeES8_S8_S8_S8_S8_S8_S8_EEEEZNS1_11reduce_implILb1ES3_NS6_12zip_iteratorINS7_INS6_11hip_rocprim26transform_input_iterator_tIbNSD_35transform_pair_of_input_iterators_tIbNS6_6detail15normal_iteratorINS6_10device_ptrIKtEEEESL_NS6_8equal_toItEEEENSG_9not_fun_tINSD_8identityEEEEENSD_19counting_iterator_tIlEES8_S8_S8_S8_S8_S8_S8_S8_EEEEPS9_S9_NSD_9__find_if7functorIS9_EEEE10hipError_tPvRmT1_T2_T3_mT4_P12ihipStream_tbEUlT_E0_NS1_11comp_targetILNS1_3genE10ELNS1_11target_archE1200ELNS1_3gpuE4ELNS1_3repE0EEENS1_30default_config_static_selectorELNS0_4arch9wavefront6targetE1EEEvS14_,"axG",@progbits,_ZN7rocprim17ROCPRIM_400000_NS6detail17trampoline_kernelINS0_14default_configENS1_22reduce_config_selectorIN6thrust23THRUST_200600_302600_NS5tupleIblNS6_9null_typeES8_S8_S8_S8_S8_S8_S8_EEEEZNS1_11reduce_implILb1ES3_NS6_12zip_iteratorINS7_INS6_11hip_rocprim26transform_input_iterator_tIbNSD_35transform_pair_of_input_iterators_tIbNS6_6detail15normal_iteratorINS6_10device_ptrIKtEEEESL_NS6_8equal_toItEEEENSG_9not_fun_tINSD_8identityEEEEENSD_19counting_iterator_tIlEES8_S8_S8_S8_S8_S8_S8_S8_EEEEPS9_S9_NSD_9__find_if7functorIS9_EEEE10hipError_tPvRmT1_T2_T3_mT4_P12ihipStream_tbEUlT_E0_NS1_11comp_targetILNS1_3genE10ELNS1_11target_archE1200ELNS1_3gpuE4ELNS1_3repE0EEENS1_30default_config_static_selectorELNS0_4arch9wavefront6targetE1EEEvS14_,comdat
	.protected	_ZN7rocprim17ROCPRIM_400000_NS6detail17trampoline_kernelINS0_14default_configENS1_22reduce_config_selectorIN6thrust23THRUST_200600_302600_NS5tupleIblNS6_9null_typeES8_S8_S8_S8_S8_S8_S8_EEEEZNS1_11reduce_implILb1ES3_NS6_12zip_iteratorINS7_INS6_11hip_rocprim26transform_input_iterator_tIbNSD_35transform_pair_of_input_iterators_tIbNS6_6detail15normal_iteratorINS6_10device_ptrIKtEEEESL_NS6_8equal_toItEEEENSG_9not_fun_tINSD_8identityEEEEENSD_19counting_iterator_tIlEES8_S8_S8_S8_S8_S8_S8_S8_EEEEPS9_S9_NSD_9__find_if7functorIS9_EEEE10hipError_tPvRmT1_T2_T3_mT4_P12ihipStream_tbEUlT_E0_NS1_11comp_targetILNS1_3genE10ELNS1_11target_archE1200ELNS1_3gpuE4ELNS1_3repE0EEENS1_30default_config_static_selectorELNS0_4arch9wavefront6targetE1EEEvS14_ ; -- Begin function _ZN7rocprim17ROCPRIM_400000_NS6detail17trampoline_kernelINS0_14default_configENS1_22reduce_config_selectorIN6thrust23THRUST_200600_302600_NS5tupleIblNS6_9null_typeES8_S8_S8_S8_S8_S8_S8_EEEEZNS1_11reduce_implILb1ES3_NS6_12zip_iteratorINS7_INS6_11hip_rocprim26transform_input_iterator_tIbNSD_35transform_pair_of_input_iterators_tIbNS6_6detail15normal_iteratorINS6_10device_ptrIKtEEEESL_NS6_8equal_toItEEEENSG_9not_fun_tINSD_8identityEEEEENSD_19counting_iterator_tIlEES8_S8_S8_S8_S8_S8_S8_S8_EEEEPS9_S9_NSD_9__find_if7functorIS9_EEEE10hipError_tPvRmT1_T2_T3_mT4_P12ihipStream_tbEUlT_E0_NS1_11comp_targetILNS1_3genE10ELNS1_11target_archE1200ELNS1_3gpuE4ELNS1_3repE0EEENS1_30default_config_static_selectorELNS0_4arch9wavefront6targetE1EEEvS14_
	.globl	_ZN7rocprim17ROCPRIM_400000_NS6detail17trampoline_kernelINS0_14default_configENS1_22reduce_config_selectorIN6thrust23THRUST_200600_302600_NS5tupleIblNS6_9null_typeES8_S8_S8_S8_S8_S8_S8_EEEEZNS1_11reduce_implILb1ES3_NS6_12zip_iteratorINS7_INS6_11hip_rocprim26transform_input_iterator_tIbNSD_35transform_pair_of_input_iterators_tIbNS6_6detail15normal_iteratorINS6_10device_ptrIKtEEEESL_NS6_8equal_toItEEEENSG_9not_fun_tINSD_8identityEEEEENSD_19counting_iterator_tIlEES8_S8_S8_S8_S8_S8_S8_S8_EEEEPS9_S9_NSD_9__find_if7functorIS9_EEEE10hipError_tPvRmT1_T2_T3_mT4_P12ihipStream_tbEUlT_E0_NS1_11comp_targetILNS1_3genE10ELNS1_11target_archE1200ELNS1_3gpuE4ELNS1_3repE0EEENS1_30default_config_static_selectorELNS0_4arch9wavefront6targetE1EEEvS14_
	.p2align	8
	.type	_ZN7rocprim17ROCPRIM_400000_NS6detail17trampoline_kernelINS0_14default_configENS1_22reduce_config_selectorIN6thrust23THRUST_200600_302600_NS5tupleIblNS6_9null_typeES8_S8_S8_S8_S8_S8_S8_EEEEZNS1_11reduce_implILb1ES3_NS6_12zip_iteratorINS7_INS6_11hip_rocprim26transform_input_iterator_tIbNSD_35transform_pair_of_input_iterators_tIbNS6_6detail15normal_iteratorINS6_10device_ptrIKtEEEESL_NS6_8equal_toItEEEENSG_9not_fun_tINSD_8identityEEEEENSD_19counting_iterator_tIlEES8_S8_S8_S8_S8_S8_S8_S8_EEEEPS9_S9_NSD_9__find_if7functorIS9_EEEE10hipError_tPvRmT1_T2_T3_mT4_P12ihipStream_tbEUlT_E0_NS1_11comp_targetILNS1_3genE10ELNS1_11target_archE1200ELNS1_3gpuE4ELNS1_3repE0EEENS1_30default_config_static_selectorELNS0_4arch9wavefront6targetE1EEEvS14_,@function
_ZN7rocprim17ROCPRIM_400000_NS6detail17trampoline_kernelINS0_14default_configENS1_22reduce_config_selectorIN6thrust23THRUST_200600_302600_NS5tupleIblNS6_9null_typeES8_S8_S8_S8_S8_S8_S8_EEEEZNS1_11reduce_implILb1ES3_NS6_12zip_iteratorINS7_INS6_11hip_rocprim26transform_input_iterator_tIbNSD_35transform_pair_of_input_iterators_tIbNS6_6detail15normal_iteratorINS6_10device_ptrIKtEEEESL_NS6_8equal_toItEEEENSG_9not_fun_tINSD_8identityEEEEENSD_19counting_iterator_tIlEES8_S8_S8_S8_S8_S8_S8_S8_EEEEPS9_S9_NSD_9__find_if7functorIS9_EEEE10hipError_tPvRmT1_T2_T3_mT4_P12ihipStream_tbEUlT_E0_NS1_11comp_targetILNS1_3genE10ELNS1_11target_archE1200ELNS1_3gpuE4ELNS1_3repE0EEENS1_30default_config_static_selectorELNS0_4arch9wavefront6targetE1EEEvS14_: ; @_ZN7rocprim17ROCPRIM_400000_NS6detail17trampoline_kernelINS0_14default_configENS1_22reduce_config_selectorIN6thrust23THRUST_200600_302600_NS5tupleIblNS6_9null_typeES8_S8_S8_S8_S8_S8_S8_EEEEZNS1_11reduce_implILb1ES3_NS6_12zip_iteratorINS7_INS6_11hip_rocprim26transform_input_iterator_tIbNSD_35transform_pair_of_input_iterators_tIbNS6_6detail15normal_iteratorINS6_10device_ptrIKtEEEESL_NS6_8equal_toItEEEENSG_9not_fun_tINSD_8identityEEEEENSD_19counting_iterator_tIlEES8_S8_S8_S8_S8_S8_S8_S8_EEEEPS9_S9_NSD_9__find_if7functorIS9_EEEE10hipError_tPvRmT1_T2_T3_mT4_P12ihipStream_tbEUlT_E0_NS1_11comp_targetILNS1_3genE10ELNS1_11target_archE1200ELNS1_3gpuE4ELNS1_3repE0EEENS1_30default_config_static_selectorELNS0_4arch9wavefront6targetE1EEEvS14_
; %bb.0:
	.section	.rodata,"a",@progbits
	.p2align	6, 0x0
	.amdhsa_kernel _ZN7rocprim17ROCPRIM_400000_NS6detail17trampoline_kernelINS0_14default_configENS1_22reduce_config_selectorIN6thrust23THRUST_200600_302600_NS5tupleIblNS6_9null_typeES8_S8_S8_S8_S8_S8_S8_EEEEZNS1_11reduce_implILb1ES3_NS6_12zip_iteratorINS7_INS6_11hip_rocprim26transform_input_iterator_tIbNSD_35transform_pair_of_input_iterators_tIbNS6_6detail15normal_iteratorINS6_10device_ptrIKtEEEESL_NS6_8equal_toItEEEENSG_9not_fun_tINSD_8identityEEEEENSD_19counting_iterator_tIlEES8_S8_S8_S8_S8_S8_S8_S8_EEEEPS9_S9_NSD_9__find_if7functorIS9_EEEE10hipError_tPvRmT1_T2_T3_mT4_P12ihipStream_tbEUlT_E0_NS1_11comp_targetILNS1_3genE10ELNS1_11target_archE1200ELNS1_3gpuE4ELNS1_3repE0EEENS1_30default_config_static_selectorELNS0_4arch9wavefront6targetE1EEEvS14_
		.amdhsa_group_segment_fixed_size 0
		.amdhsa_private_segment_fixed_size 0
		.amdhsa_kernarg_size 104
		.amdhsa_user_sgpr_count 2
		.amdhsa_user_sgpr_dispatch_ptr 0
		.amdhsa_user_sgpr_queue_ptr 0
		.amdhsa_user_sgpr_kernarg_segment_ptr 1
		.amdhsa_user_sgpr_dispatch_id 0
		.amdhsa_user_sgpr_kernarg_preload_length 0
		.amdhsa_user_sgpr_kernarg_preload_offset 0
		.amdhsa_user_sgpr_private_segment_size 0
		.amdhsa_uses_dynamic_stack 0
		.amdhsa_enable_private_segment 0
		.amdhsa_system_sgpr_workgroup_id_x 1
		.amdhsa_system_sgpr_workgroup_id_y 0
		.amdhsa_system_sgpr_workgroup_id_z 0
		.amdhsa_system_sgpr_workgroup_info 0
		.amdhsa_system_vgpr_workitem_id 0
		.amdhsa_next_free_vgpr 1
		.amdhsa_next_free_sgpr 0
		.amdhsa_accum_offset 4
		.amdhsa_reserve_vcc 0
		.amdhsa_float_round_mode_32 0
		.amdhsa_float_round_mode_16_64 0
		.amdhsa_float_denorm_mode_32 3
		.amdhsa_float_denorm_mode_16_64 3
		.amdhsa_dx10_clamp 1
		.amdhsa_ieee_mode 1
		.amdhsa_fp16_overflow 0
		.amdhsa_tg_split 0
		.amdhsa_exception_fp_ieee_invalid_op 0
		.amdhsa_exception_fp_denorm_src 0
		.amdhsa_exception_fp_ieee_div_zero 0
		.amdhsa_exception_fp_ieee_overflow 0
		.amdhsa_exception_fp_ieee_underflow 0
		.amdhsa_exception_fp_ieee_inexact 0
		.amdhsa_exception_int_div_zero 0
	.end_amdhsa_kernel
	.section	.text._ZN7rocprim17ROCPRIM_400000_NS6detail17trampoline_kernelINS0_14default_configENS1_22reduce_config_selectorIN6thrust23THRUST_200600_302600_NS5tupleIblNS6_9null_typeES8_S8_S8_S8_S8_S8_S8_EEEEZNS1_11reduce_implILb1ES3_NS6_12zip_iteratorINS7_INS6_11hip_rocprim26transform_input_iterator_tIbNSD_35transform_pair_of_input_iterators_tIbNS6_6detail15normal_iteratorINS6_10device_ptrIKtEEEESL_NS6_8equal_toItEEEENSG_9not_fun_tINSD_8identityEEEEENSD_19counting_iterator_tIlEES8_S8_S8_S8_S8_S8_S8_S8_EEEEPS9_S9_NSD_9__find_if7functorIS9_EEEE10hipError_tPvRmT1_T2_T3_mT4_P12ihipStream_tbEUlT_E0_NS1_11comp_targetILNS1_3genE10ELNS1_11target_archE1200ELNS1_3gpuE4ELNS1_3repE0EEENS1_30default_config_static_selectorELNS0_4arch9wavefront6targetE1EEEvS14_,"axG",@progbits,_ZN7rocprim17ROCPRIM_400000_NS6detail17trampoline_kernelINS0_14default_configENS1_22reduce_config_selectorIN6thrust23THRUST_200600_302600_NS5tupleIblNS6_9null_typeES8_S8_S8_S8_S8_S8_S8_EEEEZNS1_11reduce_implILb1ES3_NS6_12zip_iteratorINS7_INS6_11hip_rocprim26transform_input_iterator_tIbNSD_35transform_pair_of_input_iterators_tIbNS6_6detail15normal_iteratorINS6_10device_ptrIKtEEEESL_NS6_8equal_toItEEEENSG_9not_fun_tINSD_8identityEEEEENSD_19counting_iterator_tIlEES8_S8_S8_S8_S8_S8_S8_S8_EEEEPS9_S9_NSD_9__find_if7functorIS9_EEEE10hipError_tPvRmT1_T2_T3_mT4_P12ihipStream_tbEUlT_E0_NS1_11comp_targetILNS1_3genE10ELNS1_11target_archE1200ELNS1_3gpuE4ELNS1_3repE0EEENS1_30default_config_static_selectorELNS0_4arch9wavefront6targetE1EEEvS14_,comdat
.Lfunc_end1034:
	.size	_ZN7rocprim17ROCPRIM_400000_NS6detail17trampoline_kernelINS0_14default_configENS1_22reduce_config_selectorIN6thrust23THRUST_200600_302600_NS5tupleIblNS6_9null_typeES8_S8_S8_S8_S8_S8_S8_EEEEZNS1_11reduce_implILb1ES3_NS6_12zip_iteratorINS7_INS6_11hip_rocprim26transform_input_iterator_tIbNSD_35transform_pair_of_input_iterators_tIbNS6_6detail15normal_iteratorINS6_10device_ptrIKtEEEESL_NS6_8equal_toItEEEENSG_9not_fun_tINSD_8identityEEEEENSD_19counting_iterator_tIlEES8_S8_S8_S8_S8_S8_S8_S8_EEEEPS9_S9_NSD_9__find_if7functorIS9_EEEE10hipError_tPvRmT1_T2_T3_mT4_P12ihipStream_tbEUlT_E0_NS1_11comp_targetILNS1_3genE10ELNS1_11target_archE1200ELNS1_3gpuE4ELNS1_3repE0EEENS1_30default_config_static_selectorELNS0_4arch9wavefront6targetE1EEEvS14_, .Lfunc_end1034-_ZN7rocprim17ROCPRIM_400000_NS6detail17trampoline_kernelINS0_14default_configENS1_22reduce_config_selectorIN6thrust23THRUST_200600_302600_NS5tupleIblNS6_9null_typeES8_S8_S8_S8_S8_S8_S8_EEEEZNS1_11reduce_implILb1ES3_NS6_12zip_iteratorINS7_INS6_11hip_rocprim26transform_input_iterator_tIbNSD_35transform_pair_of_input_iterators_tIbNS6_6detail15normal_iteratorINS6_10device_ptrIKtEEEESL_NS6_8equal_toItEEEENSG_9not_fun_tINSD_8identityEEEEENSD_19counting_iterator_tIlEES8_S8_S8_S8_S8_S8_S8_S8_EEEEPS9_S9_NSD_9__find_if7functorIS9_EEEE10hipError_tPvRmT1_T2_T3_mT4_P12ihipStream_tbEUlT_E0_NS1_11comp_targetILNS1_3genE10ELNS1_11target_archE1200ELNS1_3gpuE4ELNS1_3repE0EEENS1_30default_config_static_selectorELNS0_4arch9wavefront6targetE1EEEvS14_
                                        ; -- End function
	.set _ZN7rocprim17ROCPRIM_400000_NS6detail17trampoline_kernelINS0_14default_configENS1_22reduce_config_selectorIN6thrust23THRUST_200600_302600_NS5tupleIblNS6_9null_typeES8_S8_S8_S8_S8_S8_S8_EEEEZNS1_11reduce_implILb1ES3_NS6_12zip_iteratorINS7_INS6_11hip_rocprim26transform_input_iterator_tIbNSD_35transform_pair_of_input_iterators_tIbNS6_6detail15normal_iteratorINS6_10device_ptrIKtEEEESL_NS6_8equal_toItEEEENSG_9not_fun_tINSD_8identityEEEEENSD_19counting_iterator_tIlEES8_S8_S8_S8_S8_S8_S8_S8_EEEEPS9_S9_NSD_9__find_if7functorIS9_EEEE10hipError_tPvRmT1_T2_T3_mT4_P12ihipStream_tbEUlT_E0_NS1_11comp_targetILNS1_3genE10ELNS1_11target_archE1200ELNS1_3gpuE4ELNS1_3repE0EEENS1_30default_config_static_selectorELNS0_4arch9wavefront6targetE1EEEvS14_.num_vgpr, 0
	.set _ZN7rocprim17ROCPRIM_400000_NS6detail17trampoline_kernelINS0_14default_configENS1_22reduce_config_selectorIN6thrust23THRUST_200600_302600_NS5tupleIblNS6_9null_typeES8_S8_S8_S8_S8_S8_S8_EEEEZNS1_11reduce_implILb1ES3_NS6_12zip_iteratorINS7_INS6_11hip_rocprim26transform_input_iterator_tIbNSD_35transform_pair_of_input_iterators_tIbNS6_6detail15normal_iteratorINS6_10device_ptrIKtEEEESL_NS6_8equal_toItEEEENSG_9not_fun_tINSD_8identityEEEEENSD_19counting_iterator_tIlEES8_S8_S8_S8_S8_S8_S8_S8_EEEEPS9_S9_NSD_9__find_if7functorIS9_EEEE10hipError_tPvRmT1_T2_T3_mT4_P12ihipStream_tbEUlT_E0_NS1_11comp_targetILNS1_3genE10ELNS1_11target_archE1200ELNS1_3gpuE4ELNS1_3repE0EEENS1_30default_config_static_selectorELNS0_4arch9wavefront6targetE1EEEvS14_.num_agpr, 0
	.set _ZN7rocprim17ROCPRIM_400000_NS6detail17trampoline_kernelINS0_14default_configENS1_22reduce_config_selectorIN6thrust23THRUST_200600_302600_NS5tupleIblNS6_9null_typeES8_S8_S8_S8_S8_S8_S8_EEEEZNS1_11reduce_implILb1ES3_NS6_12zip_iteratorINS7_INS6_11hip_rocprim26transform_input_iterator_tIbNSD_35transform_pair_of_input_iterators_tIbNS6_6detail15normal_iteratorINS6_10device_ptrIKtEEEESL_NS6_8equal_toItEEEENSG_9not_fun_tINSD_8identityEEEEENSD_19counting_iterator_tIlEES8_S8_S8_S8_S8_S8_S8_S8_EEEEPS9_S9_NSD_9__find_if7functorIS9_EEEE10hipError_tPvRmT1_T2_T3_mT4_P12ihipStream_tbEUlT_E0_NS1_11comp_targetILNS1_3genE10ELNS1_11target_archE1200ELNS1_3gpuE4ELNS1_3repE0EEENS1_30default_config_static_selectorELNS0_4arch9wavefront6targetE1EEEvS14_.numbered_sgpr, 0
	.set _ZN7rocprim17ROCPRIM_400000_NS6detail17trampoline_kernelINS0_14default_configENS1_22reduce_config_selectorIN6thrust23THRUST_200600_302600_NS5tupleIblNS6_9null_typeES8_S8_S8_S8_S8_S8_S8_EEEEZNS1_11reduce_implILb1ES3_NS6_12zip_iteratorINS7_INS6_11hip_rocprim26transform_input_iterator_tIbNSD_35transform_pair_of_input_iterators_tIbNS6_6detail15normal_iteratorINS6_10device_ptrIKtEEEESL_NS6_8equal_toItEEEENSG_9not_fun_tINSD_8identityEEEEENSD_19counting_iterator_tIlEES8_S8_S8_S8_S8_S8_S8_S8_EEEEPS9_S9_NSD_9__find_if7functorIS9_EEEE10hipError_tPvRmT1_T2_T3_mT4_P12ihipStream_tbEUlT_E0_NS1_11comp_targetILNS1_3genE10ELNS1_11target_archE1200ELNS1_3gpuE4ELNS1_3repE0EEENS1_30default_config_static_selectorELNS0_4arch9wavefront6targetE1EEEvS14_.num_named_barrier, 0
	.set _ZN7rocprim17ROCPRIM_400000_NS6detail17trampoline_kernelINS0_14default_configENS1_22reduce_config_selectorIN6thrust23THRUST_200600_302600_NS5tupleIblNS6_9null_typeES8_S8_S8_S8_S8_S8_S8_EEEEZNS1_11reduce_implILb1ES3_NS6_12zip_iteratorINS7_INS6_11hip_rocprim26transform_input_iterator_tIbNSD_35transform_pair_of_input_iterators_tIbNS6_6detail15normal_iteratorINS6_10device_ptrIKtEEEESL_NS6_8equal_toItEEEENSG_9not_fun_tINSD_8identityEEEEENSD_19counting_iterator_tIlEES8_S8_S8_S8_S8_S8_S8_S8_EEEEPS9_S9_NSD_9__find_if7functorIS9_EEEE10hipError_tPvRmT1_T2_T3_mT4_P12ihipStream_tbEUlT_E0_NS1_11comp_targetILNS1_3genE10ELNS1_11target_archE1200ELNS1_3gpuE4ELNS1_3repE0EEENS1_30default_config_static_selectorELNS0_4arch9wavefront6targetE1EEEvS14_.private_seg_size, 0
	.set _ZN7rocprim17ROCPRIM_400000_NS6detail17trampoline_kernelINS0_14default_configENS1_22reduce_config_selectorIN6thrust23THRUST_200600_302600_NS5tupleIblNS6_9null_typeES8_S8_S8_S8_S8_S8_S8_EEEEZNS1_11reduce_implILb1ES3_NS6_12zip_iteratorINS7_INS6_11hip_rocprim26transform_input_iterator_tIbNSD_35transform_pair_of_input_iterators_tIbNS6_6detail15normal_iteratorINS6_10device_ptrIKtEEEESL_NS6_8equal_toItEEEENSG_9not_fun_tINSD_8identityEEEEENSD_19counting_iterator_tIlEES8_S8_S8_S8_S8_S8_S8_S8_EEEEPS9_S9_NSD_9__find_if7functorIS9_EEEE10hipError_tPvRmT1_T2_T3_mT4_P12ihipStream_tbEUlT_E0_NS1_11comp_targetILNS1_3genE10ELNS1_11target_archE1200ELNS1_3gpuE4ELNS1_3repE0EEENS1_30default_config_static_selectorELNS0_4arch9wavefront6targetE1EEEvS14_.uses_vcc, 0
	.set _ZN7rocprim17ROCPRIM_400000_NS6detail17trampoline_kernelINS0_14default_configENS1_22reduce_config_selectorIN6thrust23THRUST_200600_302600_NS5tupleIblNS6_9null_typeES8_S8_S8_S8_S8_S8_S8_EEEEZNS1_11reduce_implILb1ES3_NS6_12zip_iteratorINS7_INS6_11hip_rocprim26transform_input_iterator_tIbNSD_35transform_pair_of_input_iterators_tIbNS6_6detail15normal_iteratorINS6_10device_ptrIKtEEEESL_NS6_8equal_toItEEEENSG_9not_fun_tINSD_8identityEEEEENSD_19counting_iterator_tIlEES8_S8_S8_S8_S8_S8_S8_S8_EEEEPS9_S9_NSD_9__find_if7functorIS9_EEEE10hipError_tPvRmT1_T2_T3_mT4_P12ihipStream_tbEUlT_E0_NS1_11comp_targetILNS1_3genE10ELNS1_11target_archE1200ELNS1_3gpuE4ELNS1_3repE0EEENS1_30default_config_static_selectorELNS0_4arch9wavefront6targetE1EEEvS14_.uses_flat_scratch, 0
	.set _ZN7rocprim17ROCPRIM_400000_NS6detail17trampoline_kernelINS0_14default_configENS1_22reduce_config_selectorIN6thrust23THRUST_200600_302600_NS5tupleIblNS6_9null_typeES8_S8_S8_S8_S8_S8_S8_EEEEZNS1_11reduce_implILb1ES3_NS6_12zip_iteratorINS7_INS6_11hip_rocprim26transform_input_iterator_tIbNSD_35transform_pair_of_input_iterators_tIbNS6_6detail15normal_iteratorINS6_10device_ptrIKtEEEESL_NS6_8equal_toItEEEENSG_9not_fun_tINSD_8identityEEEEENSD_19counting_iterator_tIlEES8_S8_S8_S8_S8_S8_S8_S8_EEEEPS9_S9_NSD_9__find_if7functorIS9_EEEE10hipError_tPvRmT1_T2_T3_mT4_P12ihipStream_tbEUlT_E0_NS1_11comp_targetILNS1_3genE10ELNS1_11target_archE1200ELNS1_3gpuE4ELNS1_3repE0EEENS1_30default_config_static_selectorELNS0_4arch9wavefront6targetE1EEEvS14_.has_dyn_sized_stack, 0
	.set _ZN7rocprim17ROCPRIM_400000_NS6detail17trampoline_kernelINS0_14default_configENS1_22reduce_config_selectorIN6thrust23THRUST_200600_302600_NS5tupleIblNS6_9null_typeES8_S8_S8_S8_S8_S8_S8_EEEEZNS1_11reduce_implILb1ES3_NS6_12zip_iteratorINS7_INS6_11hip_rocprim26transform_input_iterator_tIbNSD_35transform_pair_of_input_iterators_tIbNS6_6detail15normal_iteratorINS6_10device_ptrIKtEEEESL_NS6_8equal_toItEEEENSG_9not_fun_tINSD_8identityEEEEENSD_19counting_iterator_tIlEES8_S8_S8_S8_S8_S8_S8_S8_EEEEPS9_S9_NSD_9__find_if7functorIS9_EEEE10hipError_tPvRmT1_T2_T3_mT4_P12ihipStream_tbEUlT_E0_NS1_11comp_targetILNS1_3genE10ELNS1_11target_archE1200ELNS1_3gpuE4ELNS1_3repE0EEENS1_30default_config_static_selectorELNS0_4arch9wavefront6targetE1EEEvS14_.has_recursion, 0
	.set _ZN7rocprim17ROCPRIM_400000_NS6detail17trampoline_kernelINS0_14default_configENS1_22reduce_config_selectorIN6thrust23THRUST_200600_302600_NS5tupleIblNS6_9null_typeES8_S8_S8_S8_S8_S8_S8_EEEEZNS1_11reduce_implILb1ES3_NS6_12zip_iteratorINS7_INS6_11hip_rocprim26transform_input_iterator_tIbNSD_35transform_pair_of_input_iterators_tIbNS6_6detail15normal_iteratorINS6_10device_ptrIKtEEEESL_NS6_8equal_toItEEEENSG_9not_fun_tINSD_8identityEEEEENSD_19counting_iterator_tIlEES8_S8_S8_S8_S8_S8_S8_S8_EEEEPS9_S9_NSD_9__find_if7functorIS9_EEEE10hipError_tPvRmT1_T2_T3_mT4_P12ihipStream_tbEUlT_E0_NS1_11comp_targetILNS1_3genE10ELNS1_11target_archE1200ELNS1_3gpuE4ELNS1_3repE0EEENS1_30default_config_static_selectorELNS0_4arch9wavefront6targetE1EEEvS14_.has_indirect_call, 0
	.section	.AMDGPU.csdata,"",@progbits
; Kernel info:
; codeLenInByte = 0
; TotalNumSgprs: 6
; NumVgprs: 0
; NumAgprs: 0
; TotalNumVgprs: 0
; ScratchSize: 0
; MemoryBound: 0
; FloatMode: 240
; IeeeMode: 1
; LDSByteSize: 0 bytes/workgroup (compile time only)
; SGPRBlocks: 0
; VGPRBlocks: 0
; NumSGPRsForWavesPerEU: 6
; NumVGPRsForWavesPerEU: 1
; AccumOffset: 4
; Occupancy: 8
; WaveLimiterHint : 0
; COMPUTE_PGM_RSRC2:SCRATCH_EN: 0
; COMPUTE_PGM_RSRC2:USER_SGPR: 2
; COMPUTE_PGM_RSRC2:TRAP_HANDLER: 0
; COMPUTE_PGM_RSRC2:TGID_X_EN: 1
; COMPUTE_PGM_RSRC2:TGID_Y_EN: 0
; COMPUTE_PGM_RSRC2:TGID_Z_EN: 0
; COMPUTE_PGM_RSRC2:TIDIG_COMP_CNT: 0
; COMPUTE_PGM_RSRC3_GFX90A:ACCUM_OFFSET: 0
; COMPUTE_PGM_RSRC3_GFX90A:TG_SPLIT: 0
	.section	.text._ZN7rocprim17ROCPRIM_400000_NS6detail17trampoline_kernelINS0_14default_configENS1_22reduce_config_selectorIN6thrust23THRUST_200600_302600_NS5tupleIblNS6_9null_typeES8_S8_S8_S8_S8_S8_S8_EEEEZNS1_11reduce_implILb1ES3_NS6_12zip_iteratorINS7_INS6_11hip_rocprim26transform_input_iterator_tIbNSD_35transform_pair_of_input_iterators_tIbNS6_6detail15normal_iteratorINS6_10device_ptrIKtEEEESL_NS6_8equal_toItEEEENSG_9not_fun_tINSD_8identityEEEEENSD_19counting_iterator_tIlEES8_S8_S8_S8_S8_S8_S8_S8_EEEEPS9_S9_NSD_9__find_if7functorIS9_EEEE10hipError_tPvRmT1_T2_T3_mT4_P12ihipStream_tbEUlT_E0_NS1_11comp_targetILNS1_3genE9ELNS1_11target_archE1100ELNS1_3gpuE3ELNS1_3repE0EEENS1_30default_config_static_selectorELNS0_4arch9wavefront6targetE1EEEvS14_,"axG",@progbits,_ZN7rocprim17ROCPRIM_400000_NS6detail17trampoline_kernelINS0_14default_configENS1_22reduce_config_selectorIN6thrust23THRUST_200600_302600_NS5tupleIblNS6_9null_typeES8_S8_S8_S8_S8_S8_S8_EEEEZNS1_11reduce_implILb1ES3_NS6_12zip_iteratorINS7_INS6_11hip_rocprim26transform_input_iterator_tIbNSD_35transform_pair_of_input_iterators_tIbNS6_6detail15normal_iteratorINS6_10device_ptrIKtEEEESL_NS6_8equal_toItEEEENSG_9not_fun_tINSD_8identityEEEEENSD_19counting_iterator_tIlEES8_S8_S8_S8_S8_S8_S8_S8_EEEEPS9_S9_NSD_9__find_if7functorIS9_EEEE10hipError_tPvRmT1_T2_T3_mT4_P12ihipStream_tbEUlT_E0_NS1_11comp_targetILNS1_3genE9ELNS1_11target_archE1100ELNS1_3gpuE3ELNS1_3repE0EEENS1_30default_config_static_selectorELNS0_4arch9wavefront6targetE1EEEvS14_,comdat
	.protected	_ZN7rocprim17ROCPRIM_400000_NS6detail17trampoline_kernelINS0_14default_configENS1_22reduce_config_selectorIN6thrust23THRUST_200600_302600_NS5tupleIblNS6_9null_typeES8_S8_S8_S8_S8_S8_S8_EEEEZNS1_11reduce_implILb1ES3_NS6_12zip_iteratorINS7_INS6_11hip_rocprim26transform_input_iterator_tIbNSD_35transform_pair_of_input_iterators_tIbNS6_6detail15normal_iteratorINS6_10device_ptrIKtEEEESL_NS6_8equal_toItEEEENSG_9not_fun_tINSD_8identityEEEEENSD_19counting_iterator_tIlEES8_S8_S8_S8_S8_S8_S8_S8_EEEEPS9_S9_NSD_9__find_if7functorIS9_EEEE10hipError_tPvRmT1_T2_T3_mT4_P12ihipStream_tbEUlT_E0_NS1_11comp_targetILNS1_3genE9ELNS1_11target_archE1100ELNS1_3gpuE3ELNS1_3repE0EEENS1_30default_config_static_selectorELNS0_4arch9wavefront6targetE1EEEvS14_ ; -- Begin function _ZN7rocprim17ROCPRIM_400000_NS6detail17trampoline_kernelINS0_14default_configENS1_22reduce_config_selectorIN6thrust23THRUST_200600_302600_NS5tupleIblNS6_9null_typeES8_S8_S8_S8_S8_S8_S8_EEEEZNS1_11reduce_implILb1ES3_NS6_12zip_iteratorINS7_INS6_11hip_rocprim26transform_input_iterator_tIbNSD_35transform_pair_of_input_iterators_tIbNS6_6detail15normal_iteratorINS6_10device_ptrIKtEEEESL_NS6_8equal_toItEEEENSG_9not_fun_tINSD_8identityEEEEENSD_19counting_iterator_tIlEES8_S8_S8_S8_S8_S8_S8_S8_EEEEPS9_S9_NSD_9__find_if7functorIS9_EEEE10hipError_tPvRmT1_T2_T3_mT4_P12ihipStream_tbEUlT_E0_NS1_11comp_targetILNS1_3genE9ELNS1_11target_archE1100ELNS1_3gpuE3ELNS1_3repE0EEENS1_30default_config_static_selectorELNS0_4arch9wavefront6targetE1EEEvS14_
	.globl	_ZN7rocprim17ROCPRIM_400000_NS6detail17trampoline_kernelINS0_14default_configENS1_22reduce_config_selectorIN6thrust23THRUST_200600_302600_NS5tupleIblNS6_9null_typeES8_S8_S8_S8_S8_S8_S8_EEEEZNS1_11reduce_implILb1ES3_NS6_12zip_iteratorINS7_INS6_11hip_rocprim26transform_input_iterator_tIbNSD_35transform_pair_of_input_iterators_tIbNS6_6detail15normal_iteratorINS6_10device_ptrIKtEEEESL_NS6_8equal_toItEEEENSG_9not_fun_tINSD_8identityEEEEENSD_19counting_iterator_tIlEES8_S8_S8_S8_S8_S8_S8_S8_EEEEPS9_S9_NSD_9__find_if7functorIS9_EEEE10hipError_tPvRmT1_T2_T3_mT4_P12ihipStream_tbEUlT_E0_NS1_11comp_targetILNS1_3genE9ELNS1_11target_archE1100ELNS1_3gpuE3ELNS1_3repE0EEENS1_30default_config_static_selectorELNS0_4arch9wavefront6targetE1EEEvS14_
	.p2align	8
	.type	_ZN7rocprim17ROCPRIM_400000_NS6detail17trampoline_kernelINS0_14default_configENS1_22reduce_config_selectorIN6thrust23THRUST_200600_302600_NS5tupleIblNS6_9null_typeES8_S8_S8_S8_S8_S8_S8_EEEEZNS1_11reduce_implILb1ES3_NS6_12zip_iteratorINS7_INS6_11hip_rocprim26transform_input_iterator_tIbNSD_35transform_pair_of_input_iterators_tIbNS6_6detail15normal_iteratorINS6_10device_ptrIKtEEEESL_NS6_8equal_toItEEEENSG_9not_fun_tINSD_8identityEEEEENSD_19counting_iterator_tIlEES8_S8_S8_S8_S8_S8_S8_S8_EEEEPS9_S9_NSD_9__find_if7functorIS9_EEEE10hipError_tPvRmT1_T2_T3_mT4_P12ihipStream_tbEUlT_E0_NS1_11comp_targetILNS1_3genE9ELNS1_11target_archE1100ELNS1_3gpuE3ELNS1_3repE0EEENS1_30default_config_static_selectorELNS0_4arch9wavefront6targetE1EEEvS14_,@function
_ZN7rocprim17ROCPRIM_400000_NS6detail17trampoline_kernelINS0_14default_configENS1_22reduce_config_selectorIN6thrust23THRUST_200600_302600_NS5tupleIblNS6_9null_typeES8_S8_S8_S8_S8_S8_S8_EEEEZNS1_11reduce_implILb1ES3_NS6_12zip_iteratorINS7_INS6_11hip_rocprim26transform_input_iterator_tIbNSD_35transform_pair_of_input_iterators_tIbNS6_6detail15normal_iteratorINS6_10device_ptrIKtEEEESL_NS6_8equal_toItEEEENSG_9not_fun_tINSD_8identityEEEEENSD_19counting_iterator_tIlEES8_S8_S8_S8_S8_S8_S8_S8_EEEEPS9_S9_NSD_9__find_if7functorIS9_EEEE10hipError_tPvRmT1_T2_T3_mT4_P12ihipStream_tbEUlT_E0_NS1_11comp_targetILNS1_3genE9ELNS1_11target_archE1100ELNS1_3gpuE3ELNS1_3repE0EEENS1_30default_config_static_selectorELNS0_4arch9wavefront6targetE1EEEvS14_: ; @_ZN7rocprim17ROCPRIM_400000_NS6detail17trampoline_kernelINS0_14default_configENS1_22reduce_config_selectorIN6thrust23THRUST_200600_302600_NS5tupleIblNS6_9null_typeES8_S8_S8_S8_S8_S8_S8_EEEEZNS1_11reduce_implILb1ES3_NS6_12zip_iteratorINS7_INS6_11hip_rocprim26transform_input_iterator_tIbNSD_35transform_pair_of_input_iterators_tIbNS6_6detail15normal_iteratorINS6_10device_ptrIKtEEEESL_NS6_8equal_toItEEEENSG_9not_fun_tINSD_8identityEEEEENSD_19counting_iterator_tIlEES8_S8_S8_S8_S8_S8_S8_S8_EEEEPS9_S9_NSD_9__find_if7functorIS9_EEEE10hipError_tPvRmT1_T2_T3_mT4_P12ihipStream_tbEUlT_E0_NS1_11comp_targetILNS1_3genE9ELNS1_11target_archE1100ELNS1_3gpuE3ELNS1_3repE0EEENS1_30default_config_static_selectorELNS0_4arch9wavefront6targetE1EEEvS14_
; %bb.0:
	.section	.rodata,"a",@progbits
	.p2align	6, 0x0
	.amdhsa_kernel _ZN7rocprim17ROCPRIM_400000_NS6detail17trampoline_kernelINS0_14default_configENS1_22reduce_config_selectorIN6thrust23THRUST_200600_302600_NS5tupleIblNS6_9null_typeES8_S8_S8_S8_S8_S8_S8_EEEEZNS1_11reduce_implILb1ES3_NS6_12zip_iteratorINS7_INS6_11hip_rocprim26transform_input_iterator_tIbNSD_35transform_pair_of_input_iterators_tIbNS6_6detail15normal_iteratorINS6_10device_ptrIKtEEEESL_NS6_8equal_toItEEEENSG_9not_fun_tINSD_8identityEEEEENSD_19counting_iterator_tIlEES8_S8_S8_S8_S8_S8_S8_S8_EEEEPS9_S9_NSD_9__find_if7functorIS9_EEEE10hipError_tPvRmT1_T2_T3_mT4_P12ihipStream_tbEUlT_E0_NS1_11comp_targetILNS1_3genE9ELNS1_11target_archE1100ELNS1_3gpuE3ELNS1_3repE0EEENS1_30default_config_static_selectorELNS0_4arch9wavefront6targetE1EEEvS14_
		.amdhsa_group_segment_fixed_size 0
		.amdhsa_private_segment_fixed_size 0
		.amdhsa_kernarg_size 104
		.amdhsa_user_sgpr_count 2
		.amdhsa_user_sgpr_dispatch_ptr 0
		.amdhsa_user_sgpr_queue_ptr 0
		.amdhsa_user_sgpr_kernarg_segment_ptr 1
		.amdhsa_user_sgpr_dispatch_id 0
		.amdhsa_user_sgpr_kernarg_preload_length 0
		.amdhsa_user_sgpr_kernarg_preload_offset 0
		.amdhsa_user_sgpr_private_segment_size 0
		.amdhsa_uses_dynamic_stack 0
		.amdhsa_enable_private_segment 0
		.amdhsa_system_sgpr_workgroup_id_x 1
		.amdhsa_system_sgpr_workgroup_id_y 0
		.amdhsa_system_sgpr_workgroup_id_z 0
		.amdhsa_system_sgpr_workgroup_info 0
		.amdhsa_system_vgpr_workitem_id 0
		.amdhsa_next_free_vgpr 1
		.amdhsa_next_free_sgpr 0
		.amdhsa_accum_offset 4
		.amdhsa_reserve_vcc 0
		.amdhsa_float_round_mode_32 0
		.amdhsa_float_round_mode_16_64 0
		.amdhsa_float_denorm_mode_32 3
		.amdhsa_float_denorm_mode_16_64 3
		.amdhsa_dx10_clamp 1
		.amdhsa_ieee_mode 1
		.amdhsa_fp16_overflow 0
		.amdhsa_tg_split 0
		.amdhsa_exception_fp_ieee_invalid_op 0
		.amdhsa_exception_fp_denorm_src 0
		.amdhsa_exception_fp_ieee_div_zero 0
		.amdhsa_exception_fp_ieee_overflow 0
		.amdhsa_exception_fp_ieee_underflow 0
		.amdhsa_exception_fp_ieee_inexact 0
		.amdhsa_exception_int_div_zero 0
	.end_amdhsa_kernel
	.section	.text._ZN7rocprim17ROCPRIM_400000_NS6detail17trampoline_kernelINS0_14default_configENS1_22reduce_config_selectorIN6thrust23THRUST_200600_302600_NS5tupleIblNS6_9null_typeES8_S8_S8_S8_S8_S8_S8_EEEEZNS1_11reduce_implILb1ES3_NS6_12zip_iteratorINS7_INS6_11hip_rocprim26transform_input_iterator_tIbNSD_35transform_pair_of_input_iterators_tIbNS6_6detail15normal_iteratorINS6_10device_ptrIKtEEEESL_NS6_8equal_toItEEEENSG_9not_fun_tINSD_8identityEEEEENSD_19counting_iterator_tIlEES8_S8_S8_S8_S8_S8_S8_S8_EEEEPS9_S9_NSD_9__find_if7functorIS9_EEEE10hipError_tPvRmT1_T2_T3_mT4_P12ihipStream_tbEUlT_E0_NS1_11comp_targetILNS1_3genE9ELNS1_11target_archE1100ELNS1_3gpuE3ELNS1_3repE0EEENS1_30default_config_static_selectorELNS0_4arch9wavefront6targetE1EEEvS14_,"axG",@progbits,_ZN7rocprim17ROCPRIM_400000_NS6detail17trampoline_kernelINS0_14default_configENS1_22reduce_config_selectorIN6thrust23THRUST_200600_302600_NS5tupleIblNS6_9null_typeES8_S8_S8_S8_S8_S8_S8_EEEEZNS1_11reduce_implILb1ES3_NS6_12zip_iteratorINS7_INS6_11hip_rocprim26transform_input_iterator_tIbNSD_35transform_pair_of_input_iterators_tIbNS6_6detail15normal_iteratorINS6_10device_ptrIKtEEEESL_NS6_8equal_toItEEEENSG_9not_fun_tINSD_8identityEEEEENSD_19counting_iterator_tIlEES8_S8_S8_S8_S8_S8_S8_S8_EEEEPS9_S9_NSD_9__find_if7functorIS9_EEEE10hipError_tPvRmT1_T2_T3_mT4_P12ihipStream_tbEUlT_E0_NS1_11comp_targetILNS1_3genE9ELNS1_11target_archE1100ELNS1_3gpuE3ELNS1_3repE0EEENS1_30default_config_static_selectorELNS0_4arch9wavefront6targetE1EEEvS14_,comdat
.Lfunc_end1035:
	.size	_ZN7rocprim17ROCPRIM_400000_NS6detail17trampoline_kernelINS0_14default_configENS1_22reduce_config_selectorIN6thrust23THRUST_200600_302600_NS5tupleIblNS6_9null_typeES8_S8_S8_S8_S8_S8_S8_EEEEZNS1_11reduce_implILb1ES3_NS6_12zip_iteratorINS7_INS6_11hip_rocprim26transform_input_iterator_tIbNSD_35transform_pair_of_input_iterators_tIbNS6_6detail15normal_iteratorINS6_10device_ptrIKtEEEESL_NS6_8equal_toItEEEENSG_9not_fun_tINSD_8identityEEEEENSD_19counting_iterator_tIlEES8_S8_S8_S8_S8_S8_S8_S8_EEEEPS9_S9_NSD_9__find_if7functorIS9_EEEE10hipError_tPvRmT1_T2_T3_mT4_P12ihipStream_tbEUlT_E0_NS1_11comp_targetILNS1_3genE9ELNS1_11target_archE1100ELNS1_3gpuE3ELNS1_3repE0EEENS1_30default_config_static_selectorELNS0_4arch9wavefront6targetE1EEEvS14_, .Lfunc_end1035-_ZN7rocprim17ROCPRIM_400000_NS6detail17trampoline_kernelINS0_14default_configENS1_22reduce_config_selectorIN6thrust23THRUST_200600_302600_NS5tupleIblNS6_9null_typeES8_S8_S8_S8_S8_S8_S8_EEEEZNS1_11reduce_implILb1ES3_NS6_12zip_iteratorINS7_INS6_11hip_rocprim26transform_input_iterator_tIbNSD_35transform_pair_of_input_iterators_tIbNS6_6detail15normal_iteratorINS6_10device_ptrIKtEEEESL_NS6_8equal_toItEEEENSG_9not_fun_tINSD_8identityEEEEENSD_19counting_iterator_tIlEES8_S8_S8_S8_S8_S8_S8_S8_EEEEPS9_S9_NSD_9__find_if7functorIS9_EEEE10hipError_tPvRmT1_T2_T3_mT4_P12ihipStream_tbEUlT_E0_NS1_11comp_targetILNS1_3genE9ELNS1_11target_archE1100ELNS1_3gpuE3ELNS1_3repE0EEENS1_30default_config_static_selectorELNS0_4arch9wavefront6targetE1EEEvS14_
                                        ; -- End function
	.set _ZN7rocprim17ROCPRIM_400000_NS6detail17trampoline_kernelINS0_14default_configENS1_22reduce_config_selectorIN6thrust23THRUST_200600_302600_NS5tupleIblNS6_9null_typeES8_S8_S8_S8_S8_S8_S8_EEEEZNS1_11reduce_implILb1ES3_NS6_12zip_iteratorINS7_INS6_11hip_rocprim26transform_input_iterator_tIbNSD_35transform_pair_of_input_iterators_tIbNS6_6detail15normal_iteratorINS6_10device_ptrIKtEEEESL_NS6_8equal_toItEEEENSG_9not_fun_tINSD_8identityEEEEENSD_19counting_iterator_tIlEES8_S8_S8_S8_S8_S8_S8_S8_EEEEPS9_S9_NSD_9__find_if7functorIS9_EEEE10hipError_tPvRmT1_T2_T3_mT4_P12ihipStream_tbEUlT_E0_NS1_11comp_targetILNS1_3genE9ELNS1_11target_archE1100ELNS1_3gpuE3ELNS1_3repE0EEENS1_30default_config_static_selectorELNS0_4arch9wavefront6targetE1EEEvS14_.num_vgpr, 0
	.set _ZN7rocprim17ROCPRIM_400000_NS6detail17trampoline_kernelINS0_14default_configENS1_22reduce_config_selectorIN6thrust23THRUST_200600_302600_NS5tupleIblNS6_9null_typeES8_S8_S8_S8_S8_S8_S8_EEEEZNS1_11reduce_implILb1ES3_NS6_12zip_iteratorINS7_INS6_11hip_rocprim26transform_input_iterator_tIbNSD_35transform_pair_of_input_iterators_tIbNS6_6detail15normal_iteratorINS6_10device_ptrIKtEEEESL_NS6_8equal_toItEEEENSG_9not_fun_tINSD_8identityEEEEENSD_19counting_iterator_tIlEES8_S8_S8_S8_S8_S8_S8_S8_EEEEPS9_S9_NSD_9__find_if7functorIS9_EEEE10hipError_tPvRmT1_T2_T3_mT4_P12ihipStream_tbEUlT_E0_NS1_11comp_targetILNS1_3genE9ELNS1_11target_archE1100ELNS1_3gpuE3ELNS1_3repE0EEENS1_30default_config_static_selectorELNS0_4arch9wavefront6targetE1EEEvS14_.num_agpr, 0
	.set _ZN7rocprim17ROCPRIM_400000_NS6detail17trampoline_kernelINS0_14default_configENS1_22reduce_config_selectorIN6thrust23THRUST_200600_302600_NS5tupleIblNS6_9null_typeES8_S8_S8_S8_S8_S8_S8_EEEEZNS1_11reduce_implILb1ES3_NS6_12zip_iteratorINS7_INS6_11hip_rocprim26transform_input_iterator_tIbNSD_35transform_pair_of_input_iterators_tIbNS6_6detail15normal_iteratorINS6_10device_ptrIKtEEEESL_NS6_8equal_toItEEEENSG_9not_fun_tINSD_8identityEEEEENSD_19counting_iterator_tIlEES8_S8_S8_S8_S8_S8_S8_S8_EEEEPS9_S9_NSD_9__find_if7functorIS9_EEEE10hipError_tPvRmT1_T2_T3_mT4_P12ihipStream_tbEUlT_E0_NS1_11comp_targetILNS1_3genE9ELNS1_11target_archE1100ELNS1_3gpuE3ELNS1_3repE0EEENS1_30default_config_static_selectorELNS0_4arch9wavefront6targetE1EEEvS14_.numbered_sgpr, 0
	.set _ZN7rocprim17ROCPRIM_400000_NS6detail17trampoline_kernelINS0_14default_configENS1_22reduce_config_selectorIN6thrust23THRUST_200600_302600_NS5tupleIblNS6_9null_typeES8_S8_S8_S8_S8_S8_S8_EEEEZNS1_11reduce_implILb1ES3_NS6_12zip_iteratorINS7_INS6_11hip_rocprim26transform_input_iterator_tIbNSD_35transform_pair_of_input_iterators_tIbNS6_6detail15normal_iteratorINS6_10device_ptrIKtEEEESL_NS6_8equal_toItEEEENSG_9not_fun_tINSD_8identityEEEEENSD_19counting_iterator_tIlEES8_S8_S8_S8_S8_S8_S8_S8_EEEEPS9_S9_NSD_9__find_if7functorIS9_EEEE10hipError_tPvRmT1_T2_T3_mT4_P12ihipStream_tbEUlT_E0_NS1_11comp_targetILNS1_3genE9ELNS1_11target_archE1100ELNS1_3gpuE3ELNS1_3repE0EEENS1_30default_config_static_selectorELNS0_4arch9wavefront6targetE1EEEvS14_.num_named_barrier, 0
	.set _ZN7rocprim17ROCPRIM_400000_NS6detail17trampoline_kernelINS0_14default_configENS1_22reduce_config_selectorIN6thrust23THRUST_200600_302600_NS5tupleIblNS6_9null_typeES8_S8_S8_S8_S8_S8_S8_EEEEZNS1_11reduce_implILb1ES3_NS6_12zip_iteratorINS7_INS6_11hip_rocprim26transform_input_iterator_tIbNSD_35transform_pair_of_input_iterators_tIbNS6_6detail15normal_iteratorINS6_10device_ptrIKtEEEESL_NS6_8equal_toItEEEENSG_9not_fun_tINSD_8identityEEEEENSD_19counting_iterator_tIlEES8_S8_S8_S8_S8_S8_S8_S8_EEEEPS9_S9_NSD_9__find_if7functorIS9_EEEE10hipError_tPvRmT1_T2_T3_mT4_P12ihipStream_tbEUlT_E0_NS1_11comp_targetILNS1_3genE9ELNS1_11target_archE1100ELNS1_3gpuE3ELNS1_3repE0EEENS1_30default_config_static_selectorELNS0_4arch9wavefront6targetE1EEEvS14_.private_seg_size, 0
	.set _ZN7rocprim17ROCPRIM_400000_NS6detail17trampoline_kernelINS0_14default_configENS1_22reduce_config_selectorIN6thrust23THRUST_200600_302600_NS5tupleIblNS6_9null_typeES8_S8_S8_S8_S8_S8_S8_EEEEZNS1_11reduce_implILb1ES3_NS6_12zip_iteratorINS7_INS6_11hip_rocprim26transform_input_iterator_tIbNSD_35transform_pair_of_input_iterators_tIbNS6_6detail15normal_iteratorINS6_10device_ptrIKtEEEESL_NS6_8equal_toItEEEENSG_9not_fun_tINSD_8identityEEEEENSD_19counting_iterator_tIlEES8_S8_S8_S8_S8_S8_S8_S8_EEEEPS9_S9_NSD_9__find_if7functorIS9_EEEE10hipError_tPvRmT1_T2_T3_mT4_P12ihipStream_tbEUlT_E0_NS1_11comp_targetILNS1_3genE9ELNS1_11target_archE1100ELNS1_3gpuE3ELNS1_3repE0EEENS1_30default_config_static_selectorELNS0_4arch9wavefront6targetE1EEEvS14_.uses_vcc, 0
	.set _ZN7rocprim17ROCPRIM_400000_NS6detail17trampoline_kernelINS0_14default_configENS1_22reduce_config_selectorIN6thrust23THRUST_200600_302600_NS5tupleIblNS6_9null_typeES8_S8_S8_S8_S8_S8_S8_EEEEZNS1_11reduce_implILb1ES3_NS6_12zip_iteratorINS7_INS6_11hip_rocprim26transform_input_iterator_tIbNSD_35transform_pair_of_input_iterators_tIbNS6_6detail15normal_iteratorINS6_10device_ptrIKtEEEESL_NS6_8equal_toItEEEENSG_9not_fun_tINSD_8identityEEEEENSD_19counting_iterator_tIlEES8_S8_S8_S8_S8_S8_S8_S8_EEEEPS9_S9_NSD_9__find_if7functorIS9_EEEE10hipError_tPvRmT1_T2_T3_mT4_P12ihipStream_tbEUlT_E0_NS1_11comp_targetILNS1_3genE9ELNS1_11target_archE1100ELNS1_3gpuE3ELNS1_3repE0EEENS1_30default_config_static_selectorELNS0_4arch9wavefront6targetE1EEEvS14_.uses_flat_scratch, 0
	.set _ZN7rocprim17ROCPRIM_400000_NS6detail17trampoline_kernelINS0_14default_configENS1_22reduce_config_selectorIN6thrust23THRUST_200600_302600_NS5tupleIblNS6_9null_typeES8_S8_S8_S8_S8_S8_S8_EEEEZNS1_11reduce_implILb1ES3_NS6_12zip_iteratorINS7_INS6_11hip_rocprim26transform_input_iterator_tIbNSD_35transform_pair_of_input_iterators_tIbNS6_6detail15normal_iteratorINS6_10device_ptrIKtEEEESL_NS6_8equal_toItEEEENSG_9not_fun_tINSD_8identityEEEEENSD_19counting_iterator_tIlEES8_S8_S8_S8_S8_S8_S8_S8_EEEEPS9_S9_NSD_9__find_if7functorIS9_EEEE10hipError_tPvRmT1_T2_T3_mT4_P12ihipStream_tbEUlT_E0_NS1_11comp_targetILNS1_3genE9ELNS1_11target_archE1100ELNS1_3gpuE3ELNS1_3repE0EEENS1_30default_config_static_selectorELNS0_4arch9wavefront6targetE1EEEvS14_.has_dyn_sized_stack, 0
	.set _ZN7rocprim17ROCPRIM_400000_NS6detail17trampoline_kernelINS0_14default_configENS1_22reduce_config_selectorIN6thrust23THRUST_200600_302600_NS5tupleIblNS6_9null_typeES8_S8_S8_S8_S8_S8_S8_EEEEZNS1_11reduce_implILb1ES3_NS6_12zip_iteratorINS7_INS6_11hip_rocprim26transform_input_iterator_tIbNSD_35transform_pair_of_input_iterators_tIbNS6_6detail15normal_iteratorINS6_10device_ptrIKtEEEESL_NS6_8equal_toItEEEENSG_9not_fun_tINSD_8identityEEEEENSD_19counting_iterator_tIlEES8_S8_S8_S8_S8_S8_S8_S8_EEEEPS9_S9_NSD_9__find_if7functorIS9_EEEE10hipError_tPvRmT1_T2_T3_mT4_P12ihipStream_tbEUlT_E0_NS1_11comp_targetILNS1_3genE9ELNS1_11target_archE1100ELNS1_3gpuE3ELNS1_3repE0EEENS1_30default_config_static_selectorELNS0_4arch9wavefront6targetE1EEEvS14_.has_recursion, 0
	.set _ZN7rocprim17ROCPRIM_400000_NS6detail17trampoline_kernelINS0_14default_configENS1_22reduce_config_selectorIN6thrust23THRUST_200600_302600_NS5tupleIblNS6_9null_typeES8_S8_S8_S8_S8_S8_S8_EEEEZNS1_11reduce_implILb1ES3_NS6_12zip_iteratorINS7_INS6_11hip_rocprim26transform_input_iterator_tIbNSD_35transform_pair_of_input_iterators_tIbNS6_6detail15normal_iteratorINS6_10device_ptrIKtEEEESL_NS6_8equal_toItEEEENSG_9not_fun_tINSD_8identityEEEEENSD_19counting_iterator_tIlEES8_S8_S8_S8_S8_S8_S8_S8_EEEEPS9_S9_NSD_9__find_if7functorIS9_EEEE10hipError_tPvRmT1_T2_T3_mT4_P12ihipStream_tbEUlT_E0_NS1_11comp_targetILNS1_3genE9ELNS1_11target_archE1100ELNS1_3gpuE3ELNS1_3repE0EEENS1_30default_config_static_selectorELNS0_4arch9wavefront6targetE1EEEvS14_.has_indirect_call, 0
	.section	.AMDGPU.csdata,"",@progbits
; Kernel info:
; codeLenInByte = 0
; TotalNumSgprs: 6
; NumVgprs: 0
; NumAgprs: 0
; TotalNumVgprs: 0
; ScratchSize: 0
; MemoryBound: 0
; FloatMode: 240
; IeeeMode: 1
; LDSByteSize: 0 bytes/workgroup (compile time only)
; SGPRBlocks: 0
; VGPRBlocks: 0
; NumSGPRsForWavesPerEU: 6
; NumVGPRsForWavesPerEU: 1
; AccumOffset: 4
; Occupancy: 8
; WaveLimiterHint : 0
; COMPUTE_PGM_RSRC2:SCRATCH_EN: 0
; COMPUTE_PGM_RSRC2:USER_SGPR: 2
; COMPUTE_PGM_RSRC2:TRAP_HANDLER: 0
; COMPUTE_PGM_RSRC2:TGID_X_EN: 1
; COMPUTE_PGM_RSRC2:TGID_Y_EN: 0
; COMPUTE_PGM_RSRC2:TGID_Z_EN: 0
; COMPUTE_PGM_RSRC2:TIDIG_COMP_CNT: 0
; COMPUTE_PGM_RSRC3_GFX90A:ACCUM_OFFSET: 0
; COMPUTE_PGM_RSRC3_GFX90A:TG_SPLIT: 0
	.section	.text._ZN7rocprim17ROCPRIM_400000_NS6detail17trampoline_kernelINS0_14default_configENS1_22reduce_config_selectorIN6thrust23THRUST_200600_302600_NS5tupleIblNS6_9null_typeES8_S8_S8_S8_S8_S8_S8_EEEEZNS1_11reduce_implILb1ES3_NS6_12zip_iteratorINS7_INS6_11hip_rocprim26transform_input_iterator_tIbNSD_35transform_pair_of_input_iterators_tIbNS6_6detail15normal_iteratorINS6_10device_ptrIKtEEEESL_NS6_8equal_toItEEEENSG_9not_fun_tINSD_8identityEEEEENSD_19counting_iterator_tIlEES8_S8_S8_S8_S8_S8_S8_S8_EEEEPS9_S9_NSD_9__find_if7functorIS9_EEEE10hipError_tPvRmT1_T2_T3_mT4_P12ihipStream_tbEUlT_E0_NS1_11comp_targetILNS1_3genE8ELNS1_11target_archE1030ELNS1_3gpuE2ELNS1_3repE0EEENS1_30default_config_static_selectorELNS0_4arch9wavefront6targetE1EEEvS14_,"axG",@progbits,_ZN7rocprim17ROCPRIM_400000_NS6detail17trampoline_kernelINS0_14default_configENS1_22reduce_config_selectorIN6thrust23THRUST_200600_302600_NS5tupleIblNS6_9null_typeES8_S8_S8_S8_S8_S8_S8_EEEEZNS1_11reduce_implILb1ES3_NS6_12zip_iteratorINS7_INS6_11hip_rocprim26transform_input_iterator_tIbNSD_35transform_pair_of_input_iterators_tIbNS6_6detail15normal_iteratorINS6_10device_ptrIKtEEEESL_NS6_8equal_toItEEEENSG_9not_fun_tINSD_8identityEEEEENSD_19counting_iterator_tIlEES8_S8_S8_S8_S8_S8_S8_S8_EEEEPS9_S9_NSD_9__find_if7functorIS9_EEEE10hipError_tPvRmT1_T2_T3_mT4_P12ihipStream_tbEUlT_E0_NS1_11comp_targetILNS1_3genE8ELNS1_11target_archE1030ELNS1_3gpuE2ELNS1_3repE0EEENS1_30default_config_static_selectorELNS0_4arch9wavefront6targetE1EEEvS14_,comdat
	.protected	_ZN7rocprim17ROCPRIM_400000_NS6detail17trampoline_kernelINS0_14default_configENS1_22reduce_config_selectorIN6thrust23THRUST_200600_302600_NS5tupleIblNS6_9null_typeES8_S8_S8_S8_S8_S8_S8_EEEEZNS1_11reduce_implILb1ES3_NS6_12zip_iteratorINS7_INS6_11hip_rocprim26transform_input_iterator_tIbNSD_35transform_pair_of_input_iterators_tIbNS6_6detail15normal_iteratorINS6_10device_ptrIKtEEEESL_NS6_8equal_toItEEEENSG_9not_fun_tINSD_8identityEEEEENSD_19counting_iterator_tIlEES8_S8_S8_S8_S8_S8_S8_S8_EEEEPS9_S9_NSD_9__find_if7functorIS9_EEEE10hipError_tPvRmT1_T2_T3_mT4_P12ihipStream_tbEUlT_E0_NS1_11comp_targetILNS1_3genE8ELNS1_11target_archE1030ELNS1_3gpuE2ELNS1_3repE0EEENS1_30default_config_static_selectorELNS0_4arch9wavefront6targetE1EEEvS14_ ; -- Begin function _ZN7rocprim17ROCPRIM_400000_NS6detail17trampoline_kernelINS0_14default_configENS1_22reduce_config_selectorIN6thrust23THRUST_200600_302600_NS5tupleIblNS6_9null_typeES8_S8_S8_S8_S8_S8_S8_EEEEZNS1_11reduce_implILb1ES3_NS6_12zip_iteratorINS7_INS6_11hip_rocprim26transform_input_iterator_tIbNSD_35transform_pair_of_input_iterators_tIbNS6_6detail15normal_iteratorINS6_10device_ptrIKtEEEESL_NS6_8equal_toItEEEENSG_9not_fun_tINSD_8identityEEEEENSD_19counting_iterator_tIlEES8_S8_S8_S8_S8_S8_S8_S8_EEEEPS9_S9_NSD_9__find_if7functorIS9_EEEE10hipError_tPvRmT1_T2_T3_mT4_P12ihipStream_tbEUlT_E0_NS1_11comp_targetILNS1_3genE8ELNS1_11target_archE1030ELNS1_3gpuE2ELNS1_3repE0EEENS1_30default_config_static_selectorELNS0_4arch9wavefront6targetE1EEEvS14_
	.globl	_ZN7rocprim17ROCPRIM_400000_NS6detail17trampoline_kernelINS0_14default_configENS1_22reduce_config_selectorIN6thrust23THRUST_200600_302600_NS5tupleIblNS6_9null_typeES8_S8_S8_S8_S8_S8_S8_EEEEZNS1_11reduce_implILb1ES3_NS6_12zip_iteratorINS7_INS6_11hip_rocprim26transform_input_iterator_tIbNSD_35transform_pair_of_input_iterators_tIbNS6_6detail15normal_iteratorINS6_10device_ptrIKtEEEESL_NS6_8equal_toItEEEENSG_9not_fun_tINSD_8identityEEEEENSD_19counting_iterator_tIlEES8_S8_S8_S8_S8_S8_S8_S8_EEEEPS9_S9_NSD_9__find_if7functorIS9_EEEE10hipError_tPvRmT1_T2_T3_mT4_P12ihipStream_tbEUlT_E0_NS1_11comp_targetILNS1_3genE8ELNS1_11target_archE1030ELNS1_3gpuE2ELNS1_3repE0EEENS1_30default_config_static_selectorELNS0_4arch9wavefront6targetE1EEEvS14_
	.p2align	8
	.type	_ZN7rocprim17ROCPRIM_400000_NS6detail17trampoline_kernelINS0_14default_configENS1_22reduce_config_selectorIN6thrust23THRUST_200600_302600_NS5tupleIblNS6_9null_typeES8_S8_S8_S8_S8_S8_S8_EEEEZNS1_11reduce_implILb1ES3_NS6_12zip_iteratorINS7_INS6_11hip_rocprim26transform_input_iterator_tIbNSD_35transform_pair_of_input_iterators_tIbNS6_6detail15normal_iteratorINS6_10device_ptrIKtEEEESL_NS6_8equal_toItEEEENSG_9not_fun_tINSD_8identityEEEEENSD_19counting_iterator_tIlEES8_S8_S8_S8_S8_S8_S8_S8_EEEEPS9_S9_NSD_9__find_if7functorIS9_EEEE10hipError_tPvRmT1_T2_T3_mT4_P12ihipStream_tbEUlT_E0_NS1_11comp_targetILNS1_3genE8ELNS1_11target_archE1030ELNS1_3gpuE2ELNS1_3repE0EEENS1_30default_config_static_selectorELNS0_4arch9wavefront6targetE1EEEvS14_,@function
_ZN7rocprim17ROCPRIM_400000_NS6detail17trampoline_kernelINS0_14default_configENS1_22reduce_config_selectorIN6thrust23THRUST_200600_302600_NS5tupleIblNS6_9null_typeES8_S8_S8_S8_S8_S8_S8_EEEEZNS1_11reduce_implILb1ES3_NS6_12zip_iteratorINS7_INS6_11hip_rocprim26transform_input_iterator_tIbNSD_35transform_pair_of_input_iterators_tIbNS6_6detail15normal_iteratorINS6_10device_ptrIKtEEEESL_NS6_8equal_toItEEEENSG_9not_fun_tINSD_8identityEEEEENSD_19counting_iterator_tIlEES8_S8_S8_S8_S8_S8_S8_S8_EEEEPS9_S9_NSD_9__find_if7functorIS9_EEEE10hipError_tPvRmT1_T2_T3_mT4_P12ihipStream_tbEUlT_E0_NS1_11comp_targetILNS1_3genE8ELNS1_11target_archE1030ELNS1_3gpuE2ELNS1_3repE0EEENS1_30default_config_static_selectorELNS0_4arch9wavefront6targetE1EEEvS14_: ; @_ZN7rocprim17ROCPRIM_400000_NS6detail17trampoline_kernelINS0_14default_configENS1_22reduce_config_selectorIN6thrust23THRUST_200600_302600_NS5tupleIblNS6_9null_typeES8_S8_S8_S8_S8_S8_S8_EEEEZNS1_11reduce_implILb1ES3_NS6_12zip_iteratorINS7_INS6_11hip_rocprim26transform_input_iterator_tIbNSD_35transform_pair_of_input_iterators_tIbNS6_6detail15normal_iteratorINS6_10device_ptrIKtEEEESL_NS6_8equal_toItEEEENSG_9not_fun_tINSD_8identityEEEEENSD_19counting_iterator_tIlEES8_S8_S8_S8_S8_S8_S8_S8_EEEEPS9_S9_NSD_9__find_if7functorIS9_EEEE10hipError_tPvRmT1_T2_T3_mT4_P12ihipStream_tbEUlT_E0_NS1_11comp_targetILNS1_3genE8ELNS1_11target_archE1030ELNS1_3gpuE2ELNS1_3repE0EEENS1_30default_config_static_selectorELNS0_4arch9wavefront6targetE1EEEvS14_
; %bb.0:
	.section	.rodata,"a",@progbits
	.p2align	6, 0x0
	.amdhsa_kernel _ZN7rocprim17ROCPRIM_400000_NS6detail17trampoline_kernelINS0_14default_configENS1_22reduce_config_selectorIN6thrust23THRUST_200600_302600_NS5tupleIblNS6_9null_typeES8_S8_S8_S8_S8_S8_S8_EEEEZNS1_11reduce_implILb1ES3_NS6_12zip_iteratorINS7_INS6_11hip_rocprim26transform_input_iterator_tIbNSD_35transform_pair_of_input_iterators_tIbNS6_6detail15normal_iteratorINS6_10device_ptrIKtEEEESL_NS6_8equal_toItEEEENSG_9not_fun_tINSD_8identityEEEEENSD_19counting_iterator_tIlEES8_S8_S8_S8_S8_S8_S8_S8_EEEEPS9_S9_NSD_9__find_if7functorIS9_EEEE10hipError_tPvRmT1_T2_T3_mT4_P12ihipStream_tbEUlT_E0_NS1_11comp_targetILNS1_3genE8ELNS1_11target_archE1030ELNS1_3gpuE2ELNS1_3repE0EEENS1_30default_config_static_selectorELNS0_4arch9wavefront6targetE1EEEvS14_
		.amdhsa_group_segment_fixed_size 0
		.amdhsa_private_segment_fixed_size 0
		.amdhsa_kernarg_size 104
		.amdhsa_user_sgpr_count 2
		.amdhsa_user_sgpr_dispatch_ptr 0
		.amdhsa_user_sgpr_queue_ptr 0
		.amdhsa_user_sgpr_kernarg_segment_ptr 1
		.amdhsa_user_sgpr_dispatch_id 0
		.amdhsa_user_sgpr_kernarg_preload_length 0
		.amdhsa_user_sgpr_kernarg_preload_offset 0
		.amdhsa_user_sgpr_private_segment_size 0
		.amdhsa_uses_dynamic_stack 0
		.amdhsa_enable_private_segment 0
		.amdhsa_system_sgpr_workgroup_id_x 1
		.amdhsa_system_sgpr_workgroup_id_y 0
		.amdhsa_system_sgpr_workgroup_id_z 0
		.amdhsa_system_sgpr_workgroup_info 0
		.amdhsa_system_vgpr_workitem_id 0
		.amdhsa_next_free_vgpr 1
		.amdhsa_next_free_sgpr 0
		.amdhsa_accum_offset 4
		.amdhsa_reserve_vcc 0
		.amdhsa_float_round_mode_32 0
		.amdhsa_float_round_mode_16_64 0
		.amdhsa_float_denorm_mode_32 3
		.amdhsa_float_denorm_mode_16_64 3
		.amdhsa_dx10_clamp 1
		.amdhsa_ieee_mode 1
		.amdhsa_fp16_overflow 0
		.amdhsa_tg_split 0
		.amdhsa_exception_fp_ieee_invalid_op 0
		.amdhsa_exception_fp_denorm_src 0
		.amdhsa_exception_fp_ieee_div_zero 0
		.amdhsa_exception_fp_ieee_overflow 0
		.amdhsa_exception_fp_ieee_underflow 0
		.amdhsa_exception_fp_ieee_inexact 0
		.amdhsa_exception_int_div_zero 0
	.end_amdhsa_kernel
	.section	.text._ZN7rocprim17ROCPRIM_400000_NS6detail17trampoline_kernelINS0_14default_configENS1_22reduce_config_selectorIN6thrust23THRUST_200600_302600_NS5tupleIblNS6_9null_typeES8_S8_S8_S8_S8_S8_S8_EEEEZNS1_11reduce_implILb1ES3_NS6_12zip_iteratorINS7_INS6_11hip_rocprim26transform_input_iterator_tIbNSD_35transform_pair_of_input_iterators_tIbNS6_6detail15normal_iteratorINS6_10device_ptrIKtEEEESL_NS6_8equal_toItEEEENSG_9not_fun_tINSD_8identityEEEEENSD_19counting_iterator_tIlEES8_S8_S8_S8_S8_S8_S8_S8_EEEEPS9_S9_NSD_9__find_if7functorIS9_EEEE10hipError_tPvRmT1_T2_T3_mT4_P12ihipStream_tbEUlT_E0_NS1_11comp_targetILNS1_3genE8ELNS1_11target_archE1030ELNS1_3gpuE2ELNS1_3repE0EEENS1_30default_config_static_selectorELNS0_4arch9wavefront6targetE1EEEvS14_,"axG",@progbits,_ZN7rocprim17ROCPRIM_400000_NS6detail17trampoline_kernelINS0_14default_configENS1_22reduce_config_selectorIN6thrust23THRUST_200600_302600_NS5tupleIblNS6_9null_typeES8_S8_S8_S8_S8_S8_S8_EEEEZNS1_11reduce_implILb1ES3_NS6_12zip_iteratorINS7_INS6_11hip_rocprim26transform_input_iterator_tIbNSD_35transform_pair_of_input_iterators_tIbNS6_6detail15normal_iteratorINS6_10device_ptrIKtEEEESL_NS6_8equal_toItEEEENSG_9not_fun_tINSD_8identityEEEEENSD_19counting_iterator_tIlEES8_S8_S8_S8_S8_S8_S8_S8_EEEEPS9_S9_NSD_9__find_if7functorIS9_EEEE10hipError_tPvRmT1_T2_T3_mT4_P12ihipStream_tbEUlT_E0_NS1_11comp_targetILNS1_3genE8ELNS1_11target_archE1030ELNS1_3gpuE2ELNS1_3repE0EEENS1_30default_config_static_selectorELNS0_4arch9wavefront6targetE1EEEvS14_,comdat
.Lfunc_end1036:
	.size	_ZN7rocprim17ROCPRIM_400000_NS6detail17trampoline_kernelINS0_14default_configENS1_22reduce_config_selectorIN6thrust23THRUST_200600_302600_NS5tupleIblNS6_9null_typeES8_S8_S8_S8_S8_S8_S8_EEEEZNS1_11reduce_implILb1ES3_NS6_12zip_iteratorINS7_INS6_11hip_rocprim26transform_input_iterator_tIbNSD_35transform_pair_of_input_iterators_tIbNS6_6detail15normal_iteratorINS6_10device_ptrIKtEEEESL_NS6_8equal_toItEEEENSG_9not_fun_tINSD_8identityEEEEENSD_19counting_iterator_tIlEES8_S8_S8_S8_S8_S8_S8_S8_EEEEPS9_S9_NSD_9__find_if7functorIS9_EEEE10hipError_tPvRmT1_T2_T3_mT4_P12ihipStream_tbEUlT_E0_NS1_11comp_targetILNS1_3genE8ELNS1_11target_archE1030ELNS1_3gpuE2ELNS1_3repE0EEENS1_30default_config_static_selectorELNS0_4arch9wavefront6targetE1EEEvS14_, .Lfunc_end1036-_ZN7rocprim17ROCPRIM_400000_NS6detail17trampoline_kernelINS0_14default_configENS1_22reduce_config_selectorIN6thrust23THRUST_200600_302600_NS5tupleIblNS6_9null_typeES8_S8_S8_S8_S8_S8_S8_EEEEZNS1_11reduce_implILb1ES3_NS6_12zip_iteratorINS7_INS6_11hip_rocprim26transform_input_iterator_tIbNSD_35transform_pair_of_input_iterators_tIbNS6_6detail15normal_iteratorINS6_10device_ptrIKtEEEESL_NS6_8equal_toItEEEENSG_9not_fun_tINSD_8identityEEEEENSD_19counting_iterator_tIlEES8_S8_S8_S8_S8_S8_S8_S8_EEEEPS9_S9_NSD_9__find_if7functorIS9_EEEE10hipError_tPvRmT1_T2_T3_mT4_P12ihipStream_tbEUlT_E0_NS1_11comp_targetILNS1_3genE8ELNS1_11target_archE1030ELNS1_3gpuE2ELNS1_3repE0EEENS1_30default_config_static_selectorELNS0_4arch9wavefront6targetE1EEEvS14_
                                        ; -- End function
	.set _ZN7rocprim17ROCPRIM_400000_NS6detail17trampoline_kernelINS0_14default_configENS1_22reduce_config_selectorIN6thrust23THRUST_200600_302600_NS5tupleIblNS6_9null_typeES8_S8_S8_S8_S8_S8_S8_EEEEZNS1_11reduce_implILb1ES3_NS6_12zip_iteratorINS7_INS6_11hip_rocprim26transform_input_iterator_tIbNSD_35transform_pair_of_input_iterators_tIbNS6_6detail15normal_iteratorINS6_10device_ptrIKtEEEESL_NS6_8equal_toItEEEENSG_9not_fun_tINSD_8identityEEEEENSD_19counting_iterator_tIlEES8_S8_S8_S8_S8_S8_S8_S8_EEEEPS9_S9_NSD_9__find_if7functorIS9_EEEE10hipError_tPvRmT1_T2_T3_mT4_P12ihipStream_tbEUlT_E0_NS1_11comp_targetILNS1_3genE8ELNS1_11target_archE1030ELNS1_3gpuE2ELNS1_3repE0EEENS1_30default_config_static_selectorELNS0_4arch9wavefront6targetE1EEEvS14_.num_vgpr, 0
	.set _ZN7rocprim17ROCPRIM_400000_NS6detail17trampoline_kernelINS0_14default_configENS1_22reduce_config_selectorIN6thrust23THRUST_200600_302600_NS5tupleIblNS6_9null_typeES8_S8_S8_S8_S8_S8_S8_EEEEZNS1_11reduce_implILb1ES3_NS6_12zip_iteratorINS7_INS6_11hip_rocprim26transform_input_iterator_tIbNSD_35transform_pair_of_input_iterators_tIbNS6_6detail15normal_iteratorINS6_10device_ptrIKtEEEESL_NS6_8equal_toItEEEENSG_9not_fun_tINSD_8identityEEEEENSD_19counting_iterator_tIlEES8_S8_S8_S8_S8_S8_S8_S8_EEEEPS9_S9_NSD_9__find_if7functorIS9_EEEE10hipError_tPvRmT1_T2_T3_mT4_P12ihipStream_tbEUlT_E0_NS1_11comp_targetILNS1_3genE8ELNS1_11target_archE1030ELNS1_3gpuE2ELNS1_3repE0EEENS1_30default_config_static_selectorELNS0_4arch9wavefront6targetE1EEEvS14_.num_agpr, 0
	.set _ZN7rocprim17ROCPRIM_400000_NS6detail17trampoline_kernelINS0_14default_configENS1_22reduce_config_selectorIN6thrust23THRUST_200600_302600_NS5tupleIblNS6_9null_typeES8_S8_S8_S8_S8_S8_S8_EEEEZNS1_11reduce_implILb1ES3_NS6_12zip_iteratorINS7_INS6_11hip_rocprim26transform_input_iterator_tIbNSD_35transform_pair_of_input_iterators_tIbNS6_6detail15normal_iteratorINS6_10device_ptrIKtEEEESL_NS6_8equal_toItEEEENSG_9not_fun_tINSD_8identityEEEEENSD_19counting_iterator_tIlEES8_S8_S8_S8_S8_S8_S8_S8_EEEEPS9_S9_NSD_9__find_if7functorIS9_EEEE10hipError_tPvRmT1_T2_T3_mT4_P12ihipStream_tbEUlT_E0_NS1_11comp_targetILNS1_3genE8ELNS1_11target_archE1030ELNS1_3gpuE2ELNS1_3repE0EEENS1_30default_config_static_selectorELNS0_4arch9wavefront6targetE1EEEvS14_.numbered_sgpr, 0
	.set _ZN7rocprim17ROCPRIM_400000_NS6detail17trampoline_kernelINS0_14default_configENS1_22reduce_config_selectorIN6thrust23THRUST_200600_302600_NS5tupleIblNS6_9null_typeES8_S8_S8_S8_S8_S8_S8_EEEEZNS1_11reduce_implILb1ES3_NS6_12zip_iteratorINS7_INS6_11hip_rocprim26transform_input_iterator_tIbNSD_35transform_pair_of_input_iterators_tIbNS6_6detail15normal_iteratorINS6_10device_ptrIKtEEEESL_NS6_8equal_toItEEEENSG_9not_fun_tINSD_8identityEEEEENSD_19counting_iterator_tIlEES8_S8_S8_S8_S8_S8_S8_S8_EEEEPS9_S9_NSD_9__find_if7functorIS9_EEEE10hipError_tPvRmT1_T2_T3_mT4_P12ihipStream_tbEUlT_E0_NS1_11comp_targetILNS1_3genE8ELNS1_11target_archE1030ELNS1_3gpuE2ELNS1_3repE0EEENS1_30default_config_static_selectorELNS0_4arch9wavefront6targetE1EEEvS14_.num_named_barrier, 0
	.set _ZN7rocprim17ROCPRIM_400000_NS6detail17trampoline_kernelINS0_14default_configENS1_22reduce_config_selectorIN6thrust23THRUST_200600_302600_NS5tupleIblNS6_9null_typeES8_S8_S8_S8_S8_S8_S8_EEEEZNS1_11reduce_implILb1ES3_NS6_12zip_iteratorINS7_INS6_11hip_rocprim26transform_input_iterator_tIbNSD_35transform_pair_of_input_iterators_tIbNS6_6detail15normal_iteratorINS6_10device_ptrIKtEEEESL_NS6_8equal_toItEEEENSG_9not_fun_tINSD_8identityEEEEENSD_19counting_iterator_tIlEES8_S8_S8_S8_S8_S8_S8_S8_EEEEPS9_S9_NSD_9__find_if7functorIS9_EEEE10hipError_tPvRmT1_T2_T3_mT4_P12ihipStream_tbEUlT_E0_NS1_11comp_targetILNS1_3genE8ELNS1_11target_archE1030ELNS1_3gpuE2ELNS1_3repE0EEENS1_30default_config_static_selectorELNS0_4arch9wavefront6targetE1EEEvS14_.private_seg_size, 0
	.set _ZN7rocprim17ROCPRIM_400000_NS6detail17trampoline_kernelINS0_14default_configENS1_22reduce_config_selectorIN6thrust23THRUST_200600_302600_NS5tupleIblNS6_9null_typeES8_S8_S8_S8_S8_S8_S8_EEEEZNS1_11reduce_implILb1ES3_NS6_12zip_iteratorINS7_INS6_11hip_rocprim26transform_input_iterator_tIbNSD_35transform_pair_of_input_iterators_tIbNS6_6detail15normal_iteratorINS6_10device_ptrIKtEEEESL_NS6_8equal_toItEEEENSG_9not_fun_tINSD_8identityEEEEENSD_19counting_iterator_tIlEES8_S8_S8_S8_S8_S8_S8_S8_EEEEPS9_S9_NSD_9__find_if7functorIS9_EEEE10hipError_tPvRmT1_T2_T3_mT4_P12ihipStream_tbEUlT_E0_NS1_11comp_targetILNS1_3genE8ELNS1_11target_archE1030ELNS1_3gpuE2ELNS1_3repE0EEENS1_30default_config_static_selectorELNS0_4arch9wavefront6targetE1EEEvS14_.uses_vcc, 0
	.set _ZN7rocprim17ROCPRIM_400000_NS6detail17trampoline_kernelINS0_14default_configENS1_22reduce_config_selectorIN6thrust23THRUST_200600_302600_NS5tupleIblNS6_9null_typeES8_S8_S8_S8_S8_S8_S8_EEEEZNS1_11reduce_implILb1ES3_NS6_12zip_iteratorINS7_INS6_11hip_rocprim26transform_input_iterator_tIbNSD_35transform_pair_of_input_iterators_tIbNS6_6detail15normal_iteratorINS6_10device_ptrIKtEEEESL_NS6_8equal_toItEEEENSG_9not_fun_tINSD_8identityEEEEENSD_19counting_iterator_tIlEES8_S8_S8_S8_S8_S8_S8_S8_EEEEPS9_S9_NSD_9__find_if7functorIS9_EEEE10hipError_tPvRmT1_T2_T3_mT4_P12ihipStream_tbEUlT_E0_NS1_11comp_targetILNS1_3genE8ELNS1_11target_archE1030ELNS1_3gpuE2ELNS1_3repE0EEENS1_30default_config_static_selectorELNS0_4arch9wavefront6targetE1EEEvS14_.uses_flat_scratch, 0
	.set _ZN7rocprim17ROCPRIM_400000_NS6detail17trampoline_kernelINS0_14default_configENS1_22reduce_config_selectorIN6thrust23THRUST_200600_302600_NS5tupleIblNS6_9null_typeES8_S8_S8_S8_S8_S8_S8_EEEEZNS1_11reduce_implILb1ES3_NS6_12zip_iteratorINS7_INS6_11hip_rocprim26transform_input_iterator_tIbNSD_35transform_pair_of_input_iterators_tIbNS6_6detail15normal_iteratorINS6_10device_ptrIKtEEEESL_NS6_8equal_toItEEEENSG_9not_fun_tINSD_8identityEEEEENSD_19counting_iterator_tIlEES8_S8_S8_S8_S8_S8_S8_S8_EEEEPS9_S9_NSD_9__find_if7functorIS9_EEEE10hipError_tPvRmT1_T2_T3_mT4_P12ihipStream_tbEUlT_E0_NS1_11comp_targetILNS1_3genE8ELNS1_11target_archE1030ELNS1_3gpuE2ELNS1_3repE0EEENS1_30default_config_static_selectorELNS0_4arch9wavefront6targetE1EEEvS14_.has_dyn_sized_stack, 0
	.set _ZN7rocprim17ROCPRIM_400000_NS6detail17trampoline_kernelINS0_14default_configENS1_22reduce_config_selectorIN6thrust23THRUST_200600_302600_NS5tupleIblNS6_9null_typeES8_S8_S8_S8_S8_S8_S8_EEEEZNS1_11reduce_implILb1ES3_NS6_12zip_iteratorINS7_INS6_11hip_rocprim26transform_input_iterator_tIbNSD_35transform_pair_of_input_iterators_tIbNS6_6detail15normal_iteratorINS6_10device_ptrIKtEEEESL_NS6_8equal_toItEEEENSG_9not_fun_tINSD_8identityEEEEENSD_19counting_iterator_tIlEES8_S8_S8_S8_S8_S8_S8_S8_EEEEPS9_S9_NSD_9__find_if7functorIS9_EEEE10hipError_tPvRmT1_T2_T3_mT4_P12ihipStream_tbEUlT_E0_NS1_11comp_targetILNS1_3genE8ELNS1_11target_archE1030ELNS1_3gpuE2ELNS1_3repE0EEENS1_30default_config_static_selectorELNS0_4arch9wavefront6targetE1EEEvS14_.has_recursion, 0
	.set _ZN7rocprim17ROCPRIM_400000_NS6detail17trampoline_kernelINS0_14default_configENS1_22reduce_config_selectorIN6thrust23THRUST_200600_302600_NS5tupleIblNS6_9null_typeES8_S8_S8_S8_S8_S8_S8_EEEEZNS1_11reduce_implILb1ES3_NS6_12zip_iteratorINS7_INS6_11hip_rocprim26transform_input_iterator_tIbNSD_35transform_pair_of_input_iterators_tIbNS6_6detail15normal_iteratorINS6_10device_ptrIKtEEEESL_NS6_8equal_toItEEEENSG_9not_fun_tINSD_8identityEEEEENSD_19counting_iterator_tIlEES8_S8_S8_S8_S8_S8_S8_S8_EEEEPS9_S9_NSD_9__find_if7functorIS9_EEEE10hipError_tPvRmT1_T2_T3_mT4_P12ihipStream_tbEUlT_E0_NS1_11comp_targetILNS1_3genE8ELNS1_11target_archE1030ELNS1_3gpuE2ELNS1_3repE0EEENS1_30default_config_static_selectorELNS0_4arch9wavefront6targetE1EEEvS14_.has_indirect_call, 0
	.section	.AMDGPU.csdata,"",@progbits
; Kernel info:
; codeLenInByte = 0
; TotalNumSgprs: 6
; NumVgprs: 0
; NumAgprs: 0
; TotalNumVgprs: 0
; ScratchSize: 0
; MemoryBound: 0
; FloatMode: 240
; IeeeMode: 1
; LDSByteSize: 0 bytes/workgroup (compile time only)
; SGPRBlocks: 0
; VGPRBlocks: 0
; NumSGPRsForWavesPerEU: 6
; NumVGPRsForWavesPerEU: 1
; AccumOffset: 4
; Occupancy: 8
; WaveLimiterHint : 0
; COMPUTE_PGM_RSRC2:SCRATCH_EN: 0
; COMPUTE_PGM_RSRC2:USER_SGPR: 2
; COMPUTE_PGM_RSRC2:TRAP_HANDLER: 0
; COMPUTE_PGM_RSRC2:TGID_X_EN: 1
; COMPUTE_PGM_RSRC2:TGID_Y_EN: 0
; COMPUTE_PGM_RSRC2:TGID_Z_EN: 0
; COMPUTE_PGM_RSRC2:TIDIG_COMP_CNT: 0
; COMPUTE_PGM_RSRC3_GFX90A:ACCUM_OFFSET: 0
; COMPUTE_PGM_RSRC3_GFX90A:TG_SPLIT: 0
	.section	.text._ZN7rocprim17ROCPRIM_400000_NS6detail17trampoline_kernelINS0_14default_configENS1_22reduce_config_selectorIN6thrust23THRUST_200600_302600_NS5tupleIblNS6_9null_typeES8_S8_S8_S8_S8_S8_S8_EEEEZNS1_11reduce_implILb1ES3_NS6_12zip_iteratorINS7_INS6_11hip_rocprim26transform_input_iterator_tIbNSD_35transform_pair_of_input_iterators_tIbNS6_6detail15normal_iteratorINS6_10device_ptrIKtEEEESL_NS6_8equal_toItEEEENSG_9not_fun_tINSD_8identityEEEEENSD_19counting_iterator_tIlEES8_S8_S8_S8_S8_S8_S8_S8_EEEEPS9_S9_NSD_9__find_if7functorIS9_EEEE10hipError_tPvRmT1_T2_T3_mT4_P12ihipStream_tbEUlT_E1_NS1_11comp_targetILNS1_3genE0ELNS1_11target_archE4294967295ELNS1_3gpuE0ELNS1_3repE0EEENS1_30default_config_static_selectorELNS0_4arch9wavefront6targetE1EEEvS14_,"axG",@progbits,_ZN7rocprim17ROCPRIM_400000_NS6detail17trampoline_kernelINS0_14default_configENS1_22reduce_config_selectorIN6thrust23THRUST_200600_302600_NS5tupleIblNS6_9null_typeES8_S8_S8_S8_S8_S8_S8_EEEEZNS1_11reduce_implILb1ES3_NS6_12zip_iteratorINS7_INS6_11hip_rocprim26transform_input_iterator_tIbNSD_35transform_pair_of_input_iterators_tIbNS6_6detail15normal_iteratorINS6_10device_ptrIKtEEEESL_NS6_8equal_toItEEEENSG_9not_fun_tINSD_8identityEEEEENSD_19counting_iterator_tIlEES8_S8_S8_S8_S8_S8_S8_S8_EEEEPS9_S9_NSD_9__find_if7functorIS9_EEEE10hipError_tPvRmT1_T2_T3_mT4_P12ihipStream_tbEUlT_E1_NS1_11comp_targetILNS1_3genE0ELNS1_11target_archE4294967295ELNS1_3gpuE0ELNS1_3repE0EEENS1_30default_config_static_selectorELNS0_4arch9wavefront6targetE1EEEvS14_,comdat
	.protected	_ZN7rocprim17ROCPRIM_400000_NS6detail17trampoline_kernelINS0_14default_configENS1_22reduce_config_selectorIN6thrust23THRUST_200600_302600_NS5tupleIblNS6_9null_typeES8_S8_S8_S8_S8_S8_S8_EEEEZNS1_11reduce_implILb1ES3_NS6_12zip_iteratorINS7_INS6_11hip_rocprim26transform_input_iterator_tIbNSD_35transform_pair_of_input_iterators_tIbNS6_6detail15normal_iteratorINS6_10device_ptrIKtEEEESL_NS6_8equal_toItEEEENSG_9not_fun_tINSD_8identityEEEEENSD_19counting_iterator_tIlEES8_S8_S8_S8_S8_S8_S8_S8_EEEEPS9_S9_NSD_9__find_if7functorIS9_EEEE10hipError_tPvRmT1_T2_T3_mT4_P12ihipStream_tbEUlT_E1_NS1_11comp_targetILNS1_3genE0ELNS1_11target_archE4294967295ELNS1_3gpuE0ELNS1_3repE0EEENS1_30default_config_static_selectorELNS0_4arch9wavefront6targetE1EEEvS14_ ; -- Begin function _ZN7rocprim17ROCPRIM_400000_NS6detail17trampoline_kernelINS0_14default_configENS1_22reduce_config_selectorIN6thrust23THRUST_200600_302600_NS5tupleIblNS6_9null_typeES8_S8_S8_S8_S8_S8_S8_EEEEZNS1_11reduce_implILb1ES3_NS6_12zip_iteratorINS7_INS6_11hip_rocprim26transform_input_iterator_tIbNSD_35transform_pair_of_input_iterators_tIbNS6_6detail15normal_iteratorINS6_10device_ptrIKtEEEESL_NS6_8equal_toItEEEENSG_9not_fun_tINSD_8identityEEEEENSD_19counting_iterator_tIlEES8_S8_S8_S8_S8_S8_S8_S8_EEEEPS9_S9_NSD_9__find_if7functorIS9_EEEE10hipError_tPvRmT1_T2_T3_mT4_P12ihipStream_tbEUlT_E1_NS1_11comp_targetILNS1_3genE0ELNS1_11target_archE4294967295ELNS1_3gpuE0ELNS1_3repE0EEENS1_30default_config_static_selectorELNS0_4arch9wavefront6targetE1EEEvS14_
	.globl	_ZN7rocprim17ROCPRIM_400000_NS6detail17trampoline_kernelINS0_14default_configENS1_22reduce_config_selectorIN6thrust23THRUST_200600_302600_NS5tupleIblNS6_9null_typeES8_S8_S8_S8_S8_S8_S8_EEEEZNS1_11reduce_implILb1ES3_NS6_12zip_iteratorINS7_INS6_11hip_rocprim26transform_input_iterator_tIbNSD_35transform_pair_of_input_iterators_tIbNS6_6detail15normal_iteratorINS6_10device_ptrIKtEEEESL_NS6_8equal_toItEEEENSG_9not_fun_tINSD_8identityEEEEENSD_19counting_iterator_tIlEES8_S8_S8_S8_S8_S8_S8_S8_EEEEPS9_S9_NSD_9__find_if7functorIS9_EEEE10hipError_tPvRmT1_T2_T3_mT4_P12ihipStream_tbEUlT_E1_NS1_11comp_targetILNS1_3genE0ELNS1_11target_archE4294967295ELNS1_3gpuE0ELNS1_3repE0EEENS1_30default_config_static_selectorELNS0_4arch9wavefront6targetE1EEEvS14_
	.p2align	8
	.type	_ZN7rocprim17ROCPRIM_400000_NS6detail17trampoline_kernelINS0_14default_configENS1_22reduce_config_selectorIN6thrust23THRUST_200600_302600_NS5tupleIblNS6_9null_typeES8_S8_S8_S8_S8_S8_S8_EEEEZNS1_11reduce_implILb1ES3_NS6_12zip_iteratorINS7_INS6_11hip_rocprim26transform_input_iterator_tIbNSD_35transform_pair_of_input_iterators_tIbNS6_6detail15normal_iteratorINS6_10device_ptrIKtEEEESL_NS6_8equal_toItEEEENSG_9not_fun_tINSD_8identityEEEEENSD_19counting_iterator_tIlEES8_S8_S8_S8_S8_S8_S8_S8_EEEEPS9_S9_NSD_9__find_if7functorIS9_EEEE10hipError_tPvRmT1_T2_T3_mT4_P12ihipStream_tbEUlT_E1_NS1_11comp_targetILNS1_3genE0ELNS1_11target_archE4294967295ELNS1_3gpuE0ELNS1_3repE0EEENS1_30default_config_static_selectorELNS0_4arch9wavefront6targetE1EEEvS14_,@function
_ZN7rocprim17ROCPRIM_400000_NS6detail17trampoline_kernelINS0_14default_configENS1_22reduce_config_selectorIN6thrust23THRUST_200600_302600_NS5tupleIblNS6_9null_typeES8_S8_S8_S8_S8_S8_S8_EEEEZNS1_11reduce_implILb1ES3_NS6_12zip_iteratorINS7_INS6_11hip_rocprim26transform_input_iterator_tIbNSD_35transform_pair_of_input_iterators_tIbNS6_6detail15normal_iteratorINS6_10device_ptrIKtEEEESL_NS6_8equal_toItEEEENSG_9not_fun_tINSD_8identityEEEEENSD_19counting_iterator_tIlEES8_S8_S8_S8_S8_S8_S8_S8_EEEEPS9_S9_NSD_9__find_if7functorIS9_EEEE10hipError_tPvRmT1_T2_T3_mT4_P12ihipStream_tbEUlT_E1_NS1_11comp_targetILNS1_3genE0ELNS1_11target_archE4294967295ELNS1_3gpuE0ELNS1_3repE0EEENS1_30default_config_static_selectorELNS0_4arch9wavefront6targetE1EEEvS14_: ; @_ZN7rocprim17ROCPRIM_400000_NS6detail17trampoline_kernelINS0_14default_configENS1_22reduce_config_selectorIN6thrust23THRUST_200600_302600_NS5tupleIblNS6_9null_typeES8_S8_S8_S8_S8_S8_S8_EEEEZNS1_11reduce_implILb1ES3_NS6_12zip_iteratorINS7_INS6_11hip_rocprim26transform_input_iterator_tIbNSD_35transform_pair_of_input_iterators_tIbNS6_6detail15normal_iteratorINS6_10device_ptrIKtEEEESL_NS6_8equal_toItEEEENSG_9not_fun_tINSD_8identityEEEEENSD_19counting_iterator_tIlEES8_S8_S8_S8_S8_S8_S8_S8_EEEEPS9_S9_NSD_9__find_if7functorIS9_EEEE10hipError_tPvRmT1_T2_T3_mT4_P12ihipStream_tbEUlT_E1_NS1_11comp_targetILNS1_3genE0ELNS1_11target_archE4294967295ELNS1_3gpuE0ELNS1_3repE0EEENS1_30default_config_static_selectorELNS0_4arch9wavefront6targetE1EEEvS14_
; %bb.0:
	s_load_dword s40, s[0:1], 0x4
	s_load_dwordx4 s[24:27], s[0:1], 0x8
	s_load_dwordx4 s[20:23], s[0:1], 0x28
	s_load_dword s33, s[0:1], 0x40
	s_load_dwordx2 s[18:19], s[0:1], 0x48
	s_waitcnt lgkmcnt(0)
	s_cmp_lt_i32 s40, 4
	s_cbranch_scc1 .LBB1037_13
; %bb.1:
	s_cmp_gt_i32 s40, 7
	s_cbranch_scc0 .LBB1037_14
; %bb.2:
	s_cmp_eq_u32 s40, 8
	s_mov_b64 s[28:29], 0
	s_cbranch_scc0 .LBB1037_15
; %bb.3:
	s_mov_b32 s3, 0
	s_lshl_b32 s38, s2, 10
	s_mov_b32 s39, s3
	s_lshr_b64 s[4:5], s[22:23], 10
	s_lshl_b64 s[6:7], s[38:39], 1
	s_add_u32 s30, s24, s6
	s_addc_u32 s31, s25, s7
	s_add_u32 s34, s26, s6
	s_addc_u32 s35, s27, s7
	;; [unrolled: 2-line block ×3, first 2 shown]
	s_cmp_lg_u64 s[4:5], s[2:3]
	s_cbranch_scc0 .LBB1037_28
; %bb.4:
	v_lshlrev_b32_e32 v1, 1, v0
	global_load_ushort v5, v1, s[34:35] offset:256
	global_load_ushort v6, v1, s[34:35] offset:512
	;; [unrolled: 1-line block ×14, first 2 shown]
	global_load_ushort v20, v1, s[30:31]
	global_load_ushort v21, v1, s[34:35]
	v_mov_b32_e32 v1, 0
	v_mov_b32_e32 v22, 0x100
	;; [unrolled: 1-line block ×3, first 2 shown]
	v_lshl_add_u64 v[2:3], s[36:37], 0, v[0:1]
	v_mov_b32_e32 v7, v1
	v_mov_b32_e32 v24, 0x200
	;; [unrolled: 1-line block ×6, first 2 shown]
	v_mbcnt_lo_u32_b32 v4, -1, 0
	v_mbcnt_hi_u32_b32 v4, -1, v4
	s_waitcnt vmcnt(10)
	v_cmp_ne_u16_e32 vcc, v11, v6
	s_waitcnt vmcnt(9)
	v_cmp_ne_u16_e64 s[4:5], v12, v8
	s_waitcnt vmcnt(8)
	v_cmp_ne_u16_e64 s[6:7], v13, v9
	;; [unrolled: 2-line block ×5, first 2 shown]
	v_cndmask_b32_e64 v1, v22, v23, s[10:11]
	s_nop 0
	v_cndmask_b32_e64 v5, v24, v25, s[12:13]
	s_waitcnt vmcnt(2)
	v_cmp_ne_u16_e64 s[14:15], v19, v18
	s_waitcnt vmcnt(0)
	v_cmp_ne_u16_e64 s[16:17], v20, v21
	s_or_b64 s[10:11], s[16:17], s[10:11]
	s_or_b64 vcc, s[10:11], vcc
	v_cndmask_b32_e64 v1, v1, 0, s[16:17]
	s_or_b64 s[10:11], vcc, s[12:13]
	v_cndmask_b32_e32 v1, v5, v1, vcc
	s_or_b64 vcc, s[10:11], s[4:5]
	v_cndmask_b32_e64 v6, v26, v27, s[14:15]
	s_or_b64 s[4:5], vcc, s[14:15]
	v_cndmask_b32_e32 v1, v6, v1, vcc
	s_or_b64 vcc, s[4:5], s[6:7]
	v_cndmask_b32_e32 v6, v28, v1, vcc
	v_lshl_add_u64 v[2:3], v[2:3], 0, v[6:7]
	s_or_b64 s[4:5], vcc, s[8:9]
	v_cndmask_b32_e64 v1, 0, 1, s[4:5]
	v_mov_b32_dpp v6, v2 quad_perm:[1,0,3,2] row_mask:0xf bank_mask:0xf bound_ctrl:1
	v_mov_b32_dpp v7, v3 quad_perm:[1,0,3,2] row_mask:0xf bank_mask:0xf bound_ctrl:1
	;; [unrolled: 1-line block ×3, first 2 shown]
	v_cmp_lt_i64_e32 vcc, v[2:3], v[6:7]
	v_and_b32_e32 v5, 1, v5
	s_and_b64 vcc, s[4:5], vcc
	v_cndmask_b32_e32 v6, v6, v2, vcc
	v_cndmask_b32_e32 v7, v7, v3, vcc
	v_cmp_eq_u32_e32 vcc, 1, v5
	s_nop 1
	v_cndmask_b32_e32 v3, v3, v7, vcc
	v_cndmask_b32_e32 v2, v2, v6, vcc
	v_cndmask_b32_e64 v1, v1, 1, vcc
	v_mov_b32_dpp v7, v3 quad_perm:[2,3,0,1] row_mask:0xf bank_mask:0xf bound_ctrl:1
	v_mov_b32_dpp v6, v2 quad_perm:[2,3,0,1] row_mask:0xf bank_mask:0xf bound_ctrl:1
	;; [unrolled: 1-line block ×3, first 2 shown]
	v_and_b32_e32 v8, 1, v1
	v_and_b32_e32 v5, 1, v5
	v_cmp_eq_u32_e32 vcc, 1, v8
	v_cmp_lt_i64_e64 s[4:5], v[2:3], v[6:7]
	v_cmp_eq_u32_e64 s[6:7], 1, v5
	s_and_b64 vcc, vcc, s[4:5]
	v_cndmask_b32_e32 v5, v6, v2, vcc
	v_cndmask_b32_e64 v1, v1, 1, s[6:7]
	v_cndmask_b32_e32 v6, v7, v3, vcc
	v_cndmask_b32_e64 v2, v2, v5, s[6:7]
	v_and_b32_e32 v7, 1, v1
	v_cndmask_b32_e64 v3, v3, v6, s[6:7]
	v_mov_b32_dpp v6, v2 row_ror:4 row_mask:0xf bank_mask:0xf bound_ctrl:1
	v_cmp_eq_u32_e32 vcc, 1, v7
	v_mov_b32_dpp v7, v3 row_ror:4 row_mask:0xf bank_mask:0xf bound_ctrl:1
	v_mov_b32_dpp v5, v1 row_ror:4 row_mask:0xf bank_mask:0xf bound_ctrl:1
	v_cmp_lt_i64_e64 s[6:7], v[2:3], v[6:7]
	v_and_b32_e32 v5, 1, v5
	s_and_b64 vcc, vcc, s[6:7]
	v_cmp_eq_u32_e64 s[4:5], 1, v5
	v_cndmask_b32_e32 v6, v6, v2, vcc
	v_cndmask_b32_e32 v7, v7, v3, vcc
	v_cndmask_b32_e64 v1, v1, 1, s[4:5]
	v_cndmask_b32_e64 v2, v2, v6, s[4:5]
	;; [unrolled: 1-line block ×3, first 2 shown]
	v_and_b32_e32 v8, 1, v1
	v_mov_b32_dpp v6, v2 row_ror:8 row_mask:0xf bank_mask:0xf bound_ctrl:1
	v_mov_b32_dpp v7, v3 row_ror:8 row_mask:0xf bank_mask:0xf bound_ctrl:1
	;; [unrolled: 1-line block ×3, first 2 shown]
	v_cmp_eq_u32_e64 s[6:7], 1, v8
	v_cmp_lt_i64_e64 s[4:5], v[2:3], v[6:7]
	v_and_b32_e32 v5, 1, v5
	s_and_b64 s[4:5], s[6:7], s[4:5]
	v_cmp_eq_u32_e32 vcc, 1, v5
	v_cndmask_b32_e64 v6, v6, v2, s[4:5]
	v_cndmask_b32_e64 v7, v7, v3, s[4:5]
	v_cndmask_b32_e64 v1, v1, 1, vcc
	v_cndmask_b32_e32 v2, v2, v6, vcc
	v_cndmask_b32_e32 v3, v3, v7, vcc
	v_and_b32_e32 v8, 1, v1
	v_mov_b32_dpp v6, v2 row_bcast:15 row_mask:0xf bank_mask:0xf bound_ctrl:1
	v_mov_b32_dpp v7, v3 row_bcast:15 row_mask:0xf bank_mask:0xf bound_ctrl:1
	v_mov_b32_dpp v5, v1 row_bcast:15 row_mask:0xf bank_mask:0xf bound_ctrl:1
	v_cmp_eq_u32_e32 vcc, 1, v8
	v_cmp_lt_i64_e64 s[4:5], v[2:3], v[6:7]
	v_and_b32_e32 v5, 1, v5
	s_and_b64 vcc, vcc, s[4:5]
	v_cmp_eq_u32_e64 s[6:7], 1, v5
	v_cndmask_b32_e32 v5, v6, v2, vcc
	v_cndmask_b32_e32 v6, v7, v3, vcc
	v_cndmask_b32_e64 v1, v1, 1, s[6:7]
	v_cndmask_b32_e64 v3, v3, v6, s[6:7]
	;; [unrolled: 1-line block ×3, first 2 shown]
	v_and_b32_e32 v8, 1, v1
	v_mov_b32_dpp v7, v3 row_bcast:31 row_mask:0xf bank_mask:0xf bound_ctrl:1
	v_mov_b32_dpp v6, v2 row_bcast:31 row_mask:0xf bank_mask:0xf bound_ctrl:1
	;; [unrolled: 1-line block ×3, first 2 shown]
	v_cmp_eq_u32_e32 vcc, 1, v8
	v_cmp_lt_i64_e64 s[4:5], v[2:3], v[6:7]
	v_and_b32_e32 v5, 1, v5
	s_and_b64 vcc, vcc, s[4:5]
	v_cmp_eq_u32_e64 s[6:7], 1, v5
	v_cndmask_b32_e32 v5, v6, v2, vcc
	v_cndmask_b32_e32 v6, v7, v3, vcc
	v_cndmask_b32_e64 v3, v3, v6, s[6:7]
	v_lshlrev_b32_e32 v6, 2, v4
	v_cndmask_b32_e64 v1, v1, 1, s[6:7]
	v_cndmask_b32_e64 v2, v2, v5, s[6:7]
	v_or_b32_e32 v5, 0xfc, v6
	ds_bpermute_b32 v1, v5, v1
	ds_bpermute_b32 v2, v5, v2
	;; [unrolled: 1-line block ×3, first 2 shown]
	v_cmp_eq_u32_e32 vcc, 0, v4
	s_and_saveexec_b64 s[4:5], vcc
	s_cbranch_execz .LBB1037_6
; %bb.5:
	v_lshrrev_b32_e32 v5, 2, v0
	v_and_b32_e32 v5, 16, v5
	s_waitcnt lgkmcnt(2)
	ds_write_b8 v5, v1 offset:96
	s_waitcnt lgkmcnt(1)
	ds_write_b64 v5, v[2:3] offset:104
.LBB1037_6:
	s_or_b64 exec, exec, s[4:5]
	v_cmp_gt_u32_e32 vcc, 64, v0
	s_waitcnt lgkmcnt(0)
	s_barrier
	s_and_saveexec_b64 s[4:5], vcc
	s_cbranch_execz .LBB1037_12
; %bb.7:
	v_and_b32_e32 v1, 1, v4
	v_lshlrev_b32_e32 v1, 4, v1
	ds_read_u8 v8, v1 offset:96
	ds_read_b64 v[4:5], v1 offset:104
	v_or_b32_e32 v2, 4, v6
	s_waitcnt lgkmcnt(1)
	v_and_b32_e32 v1, 0xff, v8
	ds_bpermute_b32 v9, v2, v1
	s_waitcnt lgkmcnt(1)
	ds_bpermute_b32 v6, v2, v4
	ds_bpermute_b32 v7, v2, v5
                                        ; implicit-def: $vgpr2_vgpr3
	s_waitcnt lgkmcnt(2)
	v_and_b32_e32 v1, v8, v9
	v_and_b32_e32 v1, 1, v1
	v_cmp_eq_u32_e32 vcc, 1, v1
	s_and_saveexec_b64 s[6:7], vcc
	s_xor_b64 s[6:7], exec, s[6:7]
	s_cbranch_execz .LBB1037_9
; %bb.8:
	s_waitcnt lgkmcnt(0)
	v_cmp_lt_i64_e32 vcc, v[6:7], v[4:5]
                                        ; implicit-def: $vgpr8
                                        ; implicit-def: $vgpr9
	s_nop 1
	v_cndmask_b32_e32 v3, v5, v7, vcc
	v_cndmask_b32_e32 v2, v4, v6, vcc
                                        ; implicit-def: $vgpr6_vgpr7
                                        ; implicit-def: $vgpr4_vgpr5
.LBB1037_9:
	s_or_saveexec_b64 s[6:7], s[6:7]
	v_mov_b32_e32 v1, 1
	s_xor_b64 exec, exec, s[6:7]
	s_cbranch_execz .LBB1037_11
; %bb.10:
	v_and_b32_e32 v1, 1, v8
	v_cmp_eq_u32_e32 vcc, 1, v1
	s_waitcnt lgkmcnt(0)
	s_nop 0
	v_cndmask_b32_e32 v3, v7, v5, vcc
	v_cndmask_b32_e32 v2, v6, v4, vcc
	v_cndmask_b32_e64 v1, v9, 1, vcc
.LBB1037_11:
	s_or_b64 exec, exec, s[6:7]
.LBB1037_12:
	s_or_b64 exec, exec, s[4:5]
	s_branch .LBB1037_145
.LBB1037_13:
	s_mov_b64 s[12:13], 0
                                        ; implicit-def: $vgpr4_vgpr5
                                        ; implicit-def: $vgpr6
                                        ; implicit-def: $vgpr2_vgpr3
	s_cbranch_execnz .LBB1037_219
	s_branch .LBB1037_306
.LBB1037_14:
	s_mov_b64 s[28:29], -1
.LBB1037_15:
	s_mov_b64 s[12:13], 0
                                        ; implicit-def: $vgpr4_vgpr5
                                        ; implicit-def: $vgpr6
                                        ; implicit-def: $vgpr2_vgpr3
	s_and_b64 vcc, exec, s[28:29]
	s_cbranch_vccz .LBB1037_150
.LBB1037_16:
	s_cmp_eq_u32 s40, 4
	s_cbranch_scc0 .LBB1037_27
; %bb.17:
	s_mov_b32 s3, 0
	s_lshl_b32 s30, s2, 9
	s_mov_b32 s31, s3
	s_lshr_b64 s[4:5], s[22:23], 9
	s_lshl_b64 s[6:7], s[30:31], 1
	s_add_u32 s14, s24, s6
	s_addc_u32 s15, s25, s7
	s_add_u32 s16, s26, s6
	s_addc_u32 s17, s27, s7
	;; [unrolled: 2-line block ×3, first 2 shown]
	s_cmp_lg_u64 s[4:5], s[2:3]
	s_cbranch_scc0 .LBB1037_51
; %bb.18:
	v_lshlrev_b32_e32 v1, 1, v0
	s_waitcnt lgkmcnt(0)
	global_load_ushort v5, v1, s[16:17] offset:256
	global_load_ushort v7, v1, s[14:15] offset:512
	;; [unrolled: 1-line block ×6, first 2 shown]
	global_load_ushort v13, v1, s[16:17]
	global_load_ushort v14, v1, s[14:15]
	v_mov_b32_e32 v1, 0
	v_mov_b32_e32 v15, 0x100
	;; [unrolled: 1-line block ×3, first 2 shown]
	v_lshl_add_u64 v[2:3], s[28:29], 0, v[0:1]
	v_mov_b32_e32 v9, v1
	v_mov_b32_e32 v17, 0x180
	v_mbcnt_lo_u32_b32 v4, -1, 0
	v_mbcnt_hi_u32_b32 v4, -1, v4
	v_lshlrev_b32_e32 v6, 2, v4
	v_or_b32_e32 v18, 0xfc, v6
	s_waitcnt vmcnt(5)
	v_cmp_ne_u16_e32 vcc, v7, v8
	s_waitcnt vmcnt(3)
	v_cmp_ne_u16_e64 s[4:5], v11, v10
	s_waitcnt vmcnt(2)
	v_cmp_ne_u16_e64 s[6:7], v12, v5
	;; [unrolled: 2-line block ×3, first 2 shown]
	v_cndmask_b32_e64 v1, v15, v16, s[6:7]
	s_or_b64 s[6:7], s[8:9], s[6:7]
	v_cndmask_b32_e64 v1, v1, 0, s[8:9]
	s_or_b64 vcc, s[6:7], vcc
	v_cndmask_b32_e32 v8, v17, v1, vcc
	v_lshl_add_u64 v[2:3], v[2:3], 0, v[8:9]
	s_or_b64 s[4:5], vcc, s[4:5]
	v_cndmask_b32_e64 v1, 0, 1, s[4:5]
	v_mov_b32_dpp v8, v2 quad_perm:[1,0,3,2] row_mask:0xf bank_mask:0xf bound_ctrl:1
	v_mov_b32_dpp v9, v3 quad_perm:[1,0,3,2] row_mask:0xf bank_mask:0xf bound_ctrl:1
	;; [unrolled: 1-line block ×3, first 2 shown]
	v_cmp_lt_i64_e32 vcc, v[2:3], v[8:9]
	v_and_b32_e32 v5, 1, v5
	s_and_b64 vcc, s[4:5], vcc
	v_cndmask_b32_e32 v7, v8, v2, vcc
	v_cndmask_b32_e32 v8, v9, v3, vcc
	v_cmp_eq_u32_e32 vcc, 1, v5
	s_nop 1
	v_cndmask_b32_e32 v3, v3, v8, vcc
	v_cndmask_b32_e32 v2, v2, v7, vcc
	v_cndmask_b32_e64 v1, v1, 1, vcc
	v_mov_b32_dpp v9, v3 quad_perm:[2,3,0,1] row_mask:0xf bank_mask:0xf bound_ctrl:1
	v_mov_b32_dpp v8, v2 quad_perm:[2,3,0,1] row_mask:0xf bank_mask:0xf bound_ctrl:1
	;; [unrolled: 1-line block ×3, first 2 shown]
	v_and_b32_e32 v7, 1, v1
	v_and_b32_e32 v5, 1, v5
	v_cmp_eq_u32_e32 vcc, 1, v7
	v_cmp_lt_i64_e64 s[4:5], v[2:3], v[8:9]
	v_cmp_eq_u32_e64 s[6:7], 1, v5
	s_and_b64 vcc, vcc, s[4:5]
	v_cndmask_b32_e32 v5, v8, v2, vcc
	v_cndmask_b32_e64 v1, v1, 1, s[6:7]
	v_cndmask_b32_e64 v2, v2, v5, s[6:7]
	v_cndmask_b32_e32 v7, v9, v3, vcc
	v_mov_b32_dpp v5, v1 row_ror:4 row_mask:0xf bank_mask:0xf bound_ctrl:1
	v_and_b32_e32 v5, 1, v5
	v_and_b32_e32 v9, 1, v1
	v_cndmask_b32_e64 v3, v3, v7, s[6:7]
	v_cmp_eq_u32_e64 s[4:5], 1, v5
	v_mov_b32_dpp v8, v2 row_ror:4 row_mask:0xf bank_mask:0xf bound_ctrl:1
	v_cmp_eq_u32_e32 vcc, 1, v9
	v_mov_b32_dpp v9, v3 row_ror:4 row_mask:0xf bank_mask:0xf bound_ctrl:1
	v_cndmask_b32_e64 v1, v1, 1, s[4:5]
	v_cmp_lt_i64_e64 s[6:7], v[2:3], v[8:9]
	v_and_b32_e32 v7, 1, v1
	v_mov_b32_dpp v5, v1 row_ror:8 row_mask:0xf bank_mask:0xf bound_ctrl:1
	s_and_b64 vcc, vcc, s[6:7]
	v_and_b32_e32 v5, 1, v5
	v_cndmask_b32_e32 v8, v8, v2, vcc
	v_cmp_eq_u32_e64 s[6:7], 1, v7
	v_cndmask_b32_e32 v7, v9, v3, vcc
	v_cmp_eq_u32_e32 vcc, 1, v5
	v_cndmask_b32_e64 v2, v2, v8, s[4:5]
	v_cndmask_b32_e64 v3, v3, v7, s[4:5]
	v_cndmask_b32_e64 v1, v1, 1, vcc
	v_mov_b32_dpp v8, v2 row_ror:8 row_mask:0xf bank_mask:0xf bound_ctrl:1
	v_mov_b32_dpp v9, v3 row_ror:8 row_mask:0xf bank_mask:0xf bound_ctrl:1
	v_mov_b32_dpp v5, v1 row_bcast:15 row_mask:0xf bank_mask:0xf bound_ctrl:1
	v_and_b32_e32 v5, 1, v5
	v_cmp_lt_i64_e64 s[8:9], v[2:3], v[8:9]
	v_cmp_eq_u32_e64 s[10:11], 1, v5
	s_and_b64 s[6:7], s[6:7], s[8:9]
	v_and_b32_e32 v7, 1, v1
	v_cndmask_b32_e64 v1, v1, 1, s[10:11]
	v_cndmask_b32_e64 v5, v8, v2, s[6:7]
	;; [unrolled: 1-line block ×3, first 2 shown]
	v_and_b32_e32 v8, 1, v1
	v_cndmask_b32_e32 v2, v2, v5, vcc
	v_cndmask_b32_e32 v3, v3, v9, vcc
	v_cmp_eq_u32_e64 s[6:7], 1, v8
	v_mov_b32_dpp v8, v2 row_bcast:15 row_mask:0xf bank_mask:0xf bound_ctrl:1
	v_mov_b32_dpp v9, v3 row_bcast:15 row_mask:0xf bank_mask:0xf bound_ctrl:1
	v_cmp_eq_u32_e64 s[4:5], 1, v7
	v_mov_b32_dpp v7, v1 row_bcast:31 row_mask:0xf bank_mask:0xf bound_ctrl:1
	v_cmp_lt_i64_e64 s[8:9], v[2:3], v[8:9]
	v_and_b32_e32 v5, 1, v7
	s_and_b64 s[4:5], s[4:5], s[8:9]
	v_cmp_eq_u32_e32 vcc, 1, v5
	v_cndmask_b32_e64 v5, v8, v2, s[4:5]
	v_cndmask_b32_e64 v7, v9, v3, s[4:5]
	;; [unrolled: 1-line block ×4, first 2 shown]
	v_cndmask_b32_e64 v1, v1, 1, vcc
	v_mov_b32_dpp v8, v2 row_bcast:31 row_mask:0xf bank_mask:0xf bound_ctrl:1
	v_mov_b32_dpp v9, v3 row_bcast:31 row_mask:0xf bank_mask:0xf bound_ctrl:1
	v_cmp_lt_i64_e64 s[4:5], v[2:3], v[8:9]
	s_and_b64 s[4:5], s[6:7], s[4:5]
	ds_bpermute_b32 v1, v18, v1
	v_cndmask_b32_e64 v5, v8, v2, s[4:5]
	v_cndmask_b32_e64 v7, v9, v3, s[4:5]
	v_cndmask_b32_e32 v2, v2, v5, vcc
	v_cndmask_b32_e32 v3, v3, v7, vcc
	ds_bpermute_b32 v2, v18, v2
	ds_bpermute_b32 v3, v18, v3
	v_cmp_eq_u32_e32 vcc, 0, v4
	s_and_saveexec_b64 s[4:5], vcc
	s_cbranch_execz .LBB1037_20
; %bb.19:
	v_lshrrev_b32_e32 v5, 2, v0
	v_and_b32_e32 v5, 16, v5
	s_waitcnt lgkmcnt(2)
	ds_write_b8 v5, v1 offset:64
	s_waitcnt lgkmcnt(1)
	ds_write_b64 v5, v[2:3] offset:72
.LBB1037_20:
	s_or_b64 exec, exec, s[4:5]
	v_cmp_gt_u32_e32 vcc, 64, v0
	s_waitcnt lgkmcnt(0)
	s_barrier
	s_and_saveexec_b64 s[4:5], vcc
	s_cbranch_execz .LBB1037_26
; %bb.21:
	v_and_b32_e32 v1, 1, v4
	v_lshlrev_b32_e32 v1, 4, v1
	ds_read_u8 v8, v1 offset:64
	ds_read_b64 v[4:5], v1 offset:72
	v_or_b32_e32 v2, 4, v6
	s_waitcnt lgkmcnt(1)
	v_and_b32_e32 v1, 0xff, v8
	ds_bpermute_b32 v9, v2, v1
	s_waitcnt lgkmcnt(1)
	ds_bpermute_b32 v6, v2, v4
	ds_bpermute_b32 v7, v2, v5
                                        ; implicit-def: $vgpr2_vgpr3
	s_waitcnt lgkmcnt(2)
	v_and_b32_e32 v1, v8, v9
	v_and_b32_e32 v1, 1, v1
	v_cmp_eq_u32_e32 vcc, 1, v1
	s_and_saveexec_b64 s[6:7], vcc
	s_xor_b64 s[6:7], exec, s[6:7]
	s_cbranch_execz .LBB1037_23
; %bb.22:
	s_waitcnt lgkmcnt(0)
	v_cmp_lt_i64_e32 vcc, v[6:7], v[4:5]
                                        ; implicit-def: $vgpr8
                                        ; implicit-def: $vgpr9
	s_nop 1
	v_cndmask_b32_e32 v3, v5, v7, vcc
	v_cndmask_b32_e32 v2, v4, v6, vcc
                                        ; implicit-def: $vgpr6_vgpr7
                                        ; implicit-def: $vgpr4_vgpr5
.LBB1037_23:
	s_or_saveexec_b64 s[6:7], s[6:7]
	v_mov_b32_e32 v1, 1
	s_xor_b64 exec, exec, s[6:7]
	s_cbranch_execz .LBB1037_25
; %bb.24:
	v_and_b32_e32 v1, 1, v8
	v_cmp_eq_u32_e32 vcc, 1, v1
	s_waitcnt lgkmcnt(0)
	s_nop 0
	v_cndmask_b32_e32 v3, v7, v5, vcc
	v_cndmask_b32_e32 v2, v6, v4, vcc
	v_cndmask_b32_e64 v1, v9, 1, vcc
.LBB1037_25:
	s_or_b64 exec, exec, s[6:7]
.LBB1037_26:
	s_or_b64 exec, exec, s[4:5]
	s_branch .LBB1037_214
.LBB1037_27:
                                        ; implicit-def: $vgpr4_vgpr5
                                        ; implicit-def: $vgpr6
                                        ; implicit-def: $vgpr2_vgpr3
	s_branch .LBB1037_306
.LBB1037_28:
                                        ; implicit-def: $vgpr2_vgpr3
                                        ; implicit-def: $vgpr1
	s_cbranch_execz .LBB1037_145
; %bb.29:
	s_sub_i32 s41, s22, s38
	v_cmp_gt_u32_e32 vcc, s41, v0
	v_mov_b32_e32 v26, 0
	v_mov_b64_e32 v[16:17], 0
	v_mov_b64_e32 v[2:3], 0
	v_mov_b32_e32 v1, 0
	s_and_saveexec_b64 s[4:5], vcc
	s_cbranch_execz .LBB1037_31
; %bb.30:
	v_lshlrev_b32_e32 v1, 1, v0
	global_load_ushort v4, v1, s[30:31]
	global_load_ushort v5, v1, s[34:35]
	v_mov_b32_e32 v1, 0
	v_lshl_add_u64 v[2:3], s[36:37], 0, v[0:1]
	s_waitcnt vmcnt(0)
	v_cmp_ne_u16_e32 vcc, v4, v5
	s_nop 1
	v_cndmask_b32_e64 v1, 0, 1, vcc
.LBB1037_31:
	s_or_b64 exec, exec, s[4:5]
	v_or_b32_e32 v4, 0x80, v0
	v_cmp_gt_u32_e64 s[14:15], s41, v4
	s_and_saveexec_b64 s[4:5], s[14:15]
	s_cbranch_execz .LBB1037_33
; %bb.32:
	v_lshlrev_b32_e32 v5, 1, v0
	s_waitcnt lgkmcnt(1)
	global_load_ushort v6, v5, s[30:31] offset:256
	s_waitcnt lgkmcnt(0)
	global_load_ushort v7, v5, s[34:35] offset:256
	v_mov_b32_e32 v5, 0
	v_lshl_add_u64 v[16:17], s[36:37], 0, v[4:5]
	s_waitcnt vmcnt(0)
	v_cmp_ne_u16_e32 vcc, v6, v7
	s_nop 1
	v_cndmask_b32_e64 v26, 0, 1, vcc
.LBB1037_33:
	s_or_b64 exec, exec, s[4:5]
	v_or_b32_e32 v4, 0x100, v0
	v_cmp_gt_u32_e64 s[12:13], s41, v4
	v_mov_b32_e32 v24, 0
	v_mov_b64_e32 v[12:13], 0
	v_mov_b64_e32 v[14:15], 0
	v_mov_b32_e32 v25, 0
	s_and_saveexec_b64 s[4:5], s[12:13]
	s_cbranch_execz .LBB1037_35
; %bb.34:
	v_lshlrev_b32_e32 v5, 1, v0
	s_waitcnt lgkmcnt(1)
	global_load_ushort v6, v5, s[30:31] offset:512
	s_waitcnt lgkmcnt(0)
	global_load_ushort v7, v5, s[34:35] offset:512
	v_mov_b32_e32 v5, 0
	v_lshl_add_u64 v[14:15], s[36:37], 0, v[4:5]
	s_waitcnt vmcnt(0)
	v_cmp_ne_u16_e32 vcc, v6, v7
	s_nop 1
	v_cndmask_b32_e64 v25, 0, 1, vcc
.LBB1037_35:
	s_or_b64 exec, exec, s[4:5]
	v_or_b32_e32 v4, 0x180, v0
	v_cmp_gt_u32_e64 s[10:11], s41, v4
	s_and_saveexec_b64 s[4:5], s[10:11]
	s_cbranch_execz .LBB1037_37
; %bb.36:
	v_lshlrev_b32_e32 v5, 1, v0
	s_waitcnt lgkmcnt(1)
	global_load_ushort v6, v5, s[30:31] offset:768
	s_waitcnt lgkmcnt(0)
	global_load_ushort v7, v5, s[34:35] offset:768
	v_mov_b32_e32 v5, 0
	v_lshl_add_u64 v[12:13], s[36:37], 0, v[4:5]
	s_waitcnt vmcnt(0)
	v_cmp_ne_u16_e32 vcc, v6, v7
	s_nop 1
	v_cndmask_b32_e64 v24, 0, 1, vcc
.LBB1037_37:
	s_or_b64 exec, exec, s[4:5]
	v_or_b32_e32 v4, 0x200, v0
	v_cmp_gt_u32_e64 s[8:9], s41, v4
	v_mov_b32_e32 v22, 0
	v_mov_b64_e32 v[8:9], 0
	v_mov_b64_e32 v[10:11], 0
	v_mov_b32_e32 v23, 0
	s_and_saveexec_b64 s[4:5], s[8:9]
	s_cbranch_execz .LBB1037_39
; %bb.38:
	v_lshlrev_b32_e32 v5, 1, v0
	s_waitcnt lgkmcnt(1)
	global_load_ushort v6, v5, s[30:31] offset:1024
	s_waitcnt lgkmcnt(0)
	global_load_ushort v7, v5, s[34:35] offset:1024
	v_mov_b32_e32 v5, 0
	v_lshl_add_u64 v[10:11], s[36:37], 0, v[4:5]
	s_waitcnt vmcnt(0)
	v_cmp_ne_u16_e32 vcc, v6, v7
	s_nop 1
	v_cndmask_b32_e64 v23, 0, 1, vcc
.LBB1037_39:
	s_or_b64 exec, exec, s[4:5]
	v_or_b32_e32 v4, 0x280, v0
	v_cmp_gt_u32_e64 s[6:7], s41, v4
	s_and_saveexec_b64 s[4:5], s[6:7]
	s_cbranch_execz .LBB1037_41
; %bb.40:
	v_lshlrev_b32_e32 v5, 1, v0
	s_waitcnt lgkmcnt(1)
	global_load_ushort v6, v5, s[30:31] offset:1280
	s_waitcnt lgkmcnt(0)
	global_load_ushort v7, v5, s[34:35] offset:1280
	v_mov_b32_e32 v5, 0
	v_lshl_add_u64 v[8:9], s[36:37], 0, v[4:5]
	s_waitcnt vmcnt(0)
	v_cmp_ne_u16_e32 vcc, v6, v7
	s_nop 1
	v_cndmask_b32_e64 v22, 0, 1, vcc
.LBB1037_41:
	s_or_b64 exec, exec, s[4:5]
	v_or_b32_e32 v18, 0x300, v0
	v_cmp_gt_u32_e64 s[4:5], s41, v18
	v_mov_b64_e32 v[4:5], 0
	v_mov_b32_e32 v20, 0
	v_mov_b32_e32 v21, 0
	s_waitcnt lgkmcnt(0)
	v_mov_b64_e32 v[6:7], 0
	s_and_saveexec_b64 s[16:17], s[4:5]
	s_cbranch_execz .LBB1037_43
; %bb.42:
	v_lshlrev_b32_e32 v6, 1, v0
	global_load_ushort v21, v6, s[30:31] offset:1536
	global_load_ushort v27, v6, s[34:35] offset:1536
	v_mov_b32_e32 v19, 0
	v_lshl_add_u64 v[6:7], s[36:37], 0, v[18:19]
	s_waitcnt vmcnt(0)
	v_cmp_ne_u16_e32 vcc, v21, v27
	s_nop 1
	v_cndmask_b32_e64 v21, 0, 1, vcc
.LBB1037_43:
	s_or_b64 exec, exec, s[16:17]
	v_or_b32_e32 v18, 0x380, v0
	v_cmp_gt_u32_e32 vcc, s41, v18
	s_and_saveexec_b64 s[38:39], vcc
	s_cbranch_execnz .LBB1037_62
; %bb.44:
	s_or_b64 exec, exec, s[38:39]
	s_and_saveexec_b64 s[30:31], s[14:15]
	s_cbranch_execnz .LBB1037_63
.LBB1037_45:
	s_or_b64 exec, exec, s[30:31]
	s_and_saveexec_b64 s[16:17], s[12:13]
	s_cbranch_execnz .LBB1037_68
.LBB1037_46:
	s_or_b64 exec, exec, s[16:17]
	s_and_saveexec_b64 s[14:15], s[10:11]
	s_cbranch_execnz .LBB1037_73
.LBB1037_47:
	s_or_b64 exec, exec, s[14:15]
	s_and_saveexec_b64 s[12:13], s[8:9]
	s_cbranch_execnz .LBB1037_78
.LBB1037_48:
	s_or_b64 exec, exec, s[12:13]
	s_and_saveexec_b64 s[10:11], s[6:7]
	s_cbranch_execnz .LBB1037_83
.LBB1037_49:
	s_or_b64 exec, exec, s[10:11]
	s_and_saveexec_b64 s[8:9], s[4:5]
	s_cbranch_execnz .LBB1037_88
.LBB1037_50:
	s_or_b64 exec, exec, s[8:9]
	s_and_saveexec_b64 s[6:7], vcc
	s_cbranch_execnz .LBB1037_93
	s_branch .LBB1037_98
.LBB1037_51:
                                        ; implicit-def: $vgpr2_vgpr3
                                        ; implicit-def: $vgpr1
	s_cbranch_execz .LBB1037_214
; %bb.52:
	s_sub_i32 s30, s22, s30
	v_cmp_gt_u32_e32 vcc, s30, v0
	v_mov_b32_e32 v14, 0
	s_waitcnt lgkmcnt(1)
	v_mov_b64_e32 v[8:9], 0
	v_mov_b64_e32 v[2:3], 0
	v_mov_b32_e32 v1, 0
	s_and_saveexec_b64 s[4:5], vcc
	s_cbranch_execz .LBB1037_54
; %bb.53:
	v_lshlrev_b32_e32 v1, 1, v0
	global_load_ushort v4, v1, s[14:15]
	s_waitcnt lgkmcnt(0)
	global_load_ushort v5, v1, s[16:17]
	v_mov_b32_e32 v1, 0
	v_lshl_add_u64 v[2:3], s[28:29], 0, v[0:1]
	s_waitcnt vmcnt(0)
	v_cmp_ne_u16_e32 vcc, v4, v5
	s_nop 1
	v_cndmask_b32_e64 v1, 0, 1, vcc
.LBB1037_54:
	s_or_b64 exec, exec, s[4:5]
	v_or_b32_e32 v4, 0x80, v0
	v_cmp_gt_u32_e64 s[6:7], s30, v4
	s_and_saveexec_b64 s[4:5], s[6:7]
	s_cbranch_execz .LBB1037_56
; %bb.55:
	s_waitcnt lgkmcnt(0)
	v_lshlrev_b32_e32 v5, 1, v0
	global_load_ushort v6, v5, s[14:15] offset:256
	global_load_ushort v7, v5, s[16:17] offset:256
	v_mov_b32_e32 v5, 0
	v_lshl_add_u64 v[8:9], s[28:29], 0, v[4:5]
	s_waitcnt vmcnt(0)
	v_cmp_ne_u16_e32 vcc, v6, v7
	s_nop 1
	v_cndmask_b32_e64 v14, 0, 1, vcc
.LBB1037_56:
	s_or_b64 exec, exec, s[4:5]
	v_or_b32_e32 v10, 0x100, v0
	v_cmp_gt_u32_e64 s[4:5], s30, v10
	v_mov_b32_e32 v12, 0
	s_waitcnt lgkmcnt(0)
	v_mov_b64_e32 v[4:5], 0
	v_mov_b64_e32 v[6:7], 0
	v_mov_b32_e32 v13, 0
	s_and_saveexec_b64 s[8:9], s[4:5]
	s_cbranch_execz .LBB1037_58
; %bb.57:
	v_lshlrev_b32_e32 v6, 1, v0
	global_load_ushort v13, v6, s[14:15] offset:512
	global_load_ushort v15, v6, s[16:17] offset:512
	v_mov_b32_e32 v11, 0
	v_lshl_add_u64 v[6:7], s[28:29], 0, v[10:11]
	s_waitcnt vmcnt(0)
	v_cmp_ne_u16_e32 vcc, v13, v15
	s_nop 1
	v_cndmask_b32_e64 v13, 0, 1, vcc
.LBB1037_58:
	s_or_b64 exec, exec, s[8:9]
	v_or_b32_e32 v10, 0x180, v0
	v_cmp_gt_u32_e32 vcc, s30, v10
	s_and_saveexec_b64 s[10:11], vcc
	s_cbranch_execnz .LBB1037_151
; %bb.59:
	s_or_b64 exec, exec, s[10:11]
	s_and_saveexec_b64 s[10:11], s[6:7]
	s_cbranch_execnz .LBB1037_152
.LBB1037_60:
	s_or_b64 exec, exec, s[10:11]
	s_and_saveexec_b64 s[8:9], s[4:5]
	s_cbranch_execnz .LBB1037_157
.LBB1037_61:
	s_or_b64 exec, exec, s[8:9]
	s_and_saveexec_b64 s[6:7], vcc
	s_cbranch_execnz .LBB1037_162
	s_branch .LBB1037_167
.LBB1037_62:
	v_lshlrev_b32_e32 v4, 1, v0
	global_load_ushort v20, v4, s[30:31] offset:1792
	global_load_ushort v27, v4, s[34:35] offset:1792
	v_mov_b32_e32 v19, 0
	v_lshl_add_u64 v[4:5], s[36:37], 0, v[18:19]
	s_waitcnt vmcnt(0)
	v_cmp_ne_u16_e64 s[16:17], v20, v27
	s_nop 1
	v_cndmask_b32_e64 v20, 0, 1, s[16:17]
	s_or_b64 exec, exec, s[38:39]
	s_and_saveexec_b64 s[30:31], s[14:15]
	s_cbranch_execz .LBB1037_45
.LBB1037_63:
	v_and_b32_e32 v1, 1, v1
	v_cmp_eq_u32_e64 s[14:15], 1, v1
	v_and_b32_e32 v1, 1, v26
	v_cmp_eq_u32_e64 s[16:17], 1, v1
	s_and_b64 s[16:17], s[14:15], s[16:17]
	s_xor_b64 s[16:17], s[16:17], -1
                                        ; implicit-def: $vgpr1
	s_and_saveexec_b64 s[34:35], s[16:17]
	s_xor_b64 s[16:17], exec, s[34:35]
; %bb.64:
	v_and_b32_e32 v1, 0xffff, v26
	v_cndmask_b32_e64 v1, v1, 1, s[14:15]
	v_cndmask_b32_e64 v3, v17, v3, s[14:15]
	;; [unrolled: 1-line block ×3, first 2 shown]
                                        ; implicit-def: $vgpr16_vgpr17
; %bb.65:
	s_andn2_saveexec_b64 s[16:17], s[16:17]
; %bb.66:
	v_cmp_lt_i64_e64 s[14:15], v[16:17], v[2:3]
	v_mov_b32_e32 v1, 1
	s_nop 0
	v_cndmask_b32_e64 v3, v3, v17, s[14:15]
	v_cndmask_b32_e64 v2, v2, v16, s[14:15]
; %bb.67:
	s_or_b64 exec, exec, s[16:17]
	s_or_b64 exec, exec, s[30:31]
	s_and_saveexec_b64 s[16:17], s[12:13]
	s_cbranch_execz .LBB1037_46
.LBB1037_68:
	v_and_b32_e32 v1, 1, v1
	v_cmp_eq_u32_e64 s[12:13], 1, v1
	v_and_b32_e32 v1, 1, v25
	v_cmp_eq_u32_e64 s[14:15], 1, v1
	s_and_b64 s[14:15], s[12:13], s[14:15]
	s_xor_b64 s[14:15], s[14:15], -1
                                        ; implicit-def: $vgpr1
	s_and_saveexec_b64 s[30:31], s[14:15]
	s_xor_b64 s[14:15], exec, s[30:31]
; %bb.69:
	v_and_b32_e32 v1, 0xffff, v25
	v_cndmask_b32_e64 v1, v1, 1, s[12:13]
	v_cndmask_b32_e64 v3, v15, v3, s[12:13]
	v_cndmask_b32_e64 v2, v14, v2, s[12:13]
                                        ; implicit-def: $vgpr14_vgpr15
; %bb.70:
	s_andn2_saveexec_b64 s[14:15], s[14:15]
; %bb.71:
	v_cmp_lt_i64_e64 s[12:13], v[14:15], v[2:3]
	v_mov_b32_e32 v1, 1
	s_nop 0
	v_cndmask_b32_e64 v3, v3, v15, s[12:13]
	v_cndmask_b32_e64 v2, v2, v14, s[12:13]
; %bb.72:
	s_or_b64 exec, exec, s[14:15]
	s_or_b64 exec, exec, s[16:17]
	s_and_saveexec_b64 s[14:15], s[10:11]
	s_cbranch_execz .LBB1037_47
.LBB1037_73:
	v_and_b32_e32 v1, 1, v1
	v_cmp_eq_u32_e64 s[10:11], 1, v1
	v_and_b32_e32 v1, 1, v24
	v_cmp_eq_u32_e64 s[12:13], 1, v1
	s_and_b64 s[12:13], s[10:11], s[12:13]
	s_xor_b64 s[12:13], s[12:13], -1
                                        ; implicit-def: $vgpr1
	s_and_saveexec_b64 s[16:17], s[12:13]
	s_xor_b64 s[12:13], exec, s[16:17]
; %bb.74:
	v_and_b32_e32 v1, 0xffff, v24
	v_cndmask_b32_e64 v1, v1, 1, s[10:11]
	v_cndmask_b32_e64 v3, v13, v3, s[10:11]
	;; [unrolled: 1-line block ×3, first 2 shown]
                                        ; implicit-def: $vgpr12_vgpr13
; %bb.75:
	s_andn2_saveexec_b64 s[12:13], s[12:13]
; %bb.76:
	v_cmp_lt_i64_e64 s[10:11], v[12:13], v[2:3]
	v_mov_b32_e32 v1, 1
	s_nop 0
	v_cndmask_b32_e64 v3, v3, v13, s[10:11]
	v_cndmask_b32_e64 v2, v2, v12, s[10:11]
; %bb.77:
	s_or_b64 exec, exec, s[12:13]
	s_or_b64 exec, exec, s[14:15]
	s_and_saveexec_b64 s[12:13], s[8:9]
	s_cbranch_execz .LBB1037_48
.LBB1037_78:
	v_and_b32_e32 v1, 1, v1
	v_cmp_eq_u32_e64 s[8:9], 1, v1
	v_and_b32_e32 v1, 1, v23
	v_cmp_eq_u32_e64 s[10:11], 1, v1
	s_and_b64 s[10:11], s[8:9], s[10:11]
	s_xor_b64 s[10:11], s[10:11], -1
                                        ; implicit-def: $vgpr1
	s_and_saveexec_b64 s[14:15], s[10:11]
	s_xor_b64 s[10:11], exec, s[14:15]
; %bb.79:
	v_and_b32_e32 v1, 0xffff, v23
	v_cndmask_b32_e64 v1, v1, 1, s[8:9]
	v_cndmask_b32_e64 v3, v11, v3, s[8:9]
	;; [unrolled: 1-line block ×3, first 2 shown]
                                        ; implicit-def: $vgpr10_vgpr11
; %bb.80:
	s_andn2_saveexec_b64 s[10:11], s[10:11]
; %bb.81:
	v_cmp_lt_i64_e64 s[8:9], v[10:11], v[2:3]
	v_mov_b32_e32 v1, 1
	s_nop 0
	v_cndmask_b32_e64 v3, v3, v11, s[8:9]
	v_cndmask_b32_e64 v2, v2, v10, s[8:9]
; %bb.82:
	s_or_b64 exec, exec, s[10:11]
	s_or_b64 exec, exec, s[12:13]
	s_and_saveexec_b64 s[10:11], s[6:7]
	s_cbranch_execz .LBB1037_49
.LBB1037_83:
	v_and_b32_e32 v1, 1, v1
	v_cmp_eq_u32_e64 s[6:7], 1, v1
	v_and_b32_e32 v1, 1, v22
	v_cmp_eq_u32_e64 s[8:9], 1, v1
	s_and_b64 s[8:9], s[6:7], s[8:9]
	s_xor_b64 s[8:9], s[8:9], -1
                                        ; implicit-def: $vgpr1
	s_and_saveexec_b64 s[12:13], s[8:9]
	s_xor_b64 s[8:9], exec, s[12:13]
; %bb.84:
	v_and_b32_e32 v1, 0xffff, v22
	v_cndmask_b32_e64 v1, v1, 1, s[6:7]
	v_cndmask_b32_e64 v3, v9, v3, s[6:7]
	;; [unrolled: 1-line block ×3, first 2 shown]
                                        ; implicit-def: $vgpr8_vgpr9
; %bb.85:
	s_andn2_saveexec_b64 s[8:9], s[8:9]
; %bb.86:
	v_cmp_lt_i64_e64 s[6:7], v[8:9], v[2:3]
	v_mov_b32_e32 v1, 1
	s_nop 0
	v_cndmask_b32_e64 v3, v3, v9, s[6:7]
	v_cndmask_b32_e64 v2, v2, v8, s[6:7]
; %bb.87:
	s_or_b64 exec, exec, s[8:9]
	s_or_b64 exec, exec, s[10:11]
	s_and_saveexec_b64 s[8:9], s[4:5]
	s_cbranch_execz .LBB1037_50
.LBB1037_88:
	v_and_b32_e32 v1, 1, v1
	v_cmp_eq_u32_e64 s[4:5], 1, v1
	v_and_b32_e32 v1, 1, v21
	v_cmp_eq_u32_e64 s[6:7], 1, v1
	s_and_b64 s[6:7], s[4:5], s[6:7]
	s_xor_b64 s[6:7], s[6:7], -1
                                        ; implicit-def: $vgpr1
	s_and_saveexec_b64 s[10:11], s[6:7]
	s_xor_b64 s[6:7], exec, s[10:11]
; %bb.89:
	v_and_b32_e32 v1, 0xffff, v21
	v_cndmask_b32_e64 v1, v1, 1, s[4:5]
	v_cndmask_b32_e64 v3, v7, v3, s[4:5]
	;; [unrolled: 1-line block ×3, first 2 shown]
                                        ; implicit-def: $vgpr6_vgpr7
; %bb.90:
	s_andn2_saveexec_b64 s[6:7], s[6:7]
; %bb.91:
	v_cmp_lt_i64_e64 s[4:5], v[6:7], v[2:3]
	v_mov_b32_e32 v1, 1
	s_nop 0
	v_cndmask_b32_e64 v3, v3, v7, s[4:5]
	v_cndmask_b32_e64 v2, v2, v6, s[4:5]
; %bb.92:
	s_or_b64 exec, exec, s[6:7]
	s_or_b64 exec, exec, s[8:9]
	s_and_saveexec_b64 s[6:7], vcc
	s_cbranch_execz .LBB1037_98
.LBB1037_93:
	v_and_b32_e32 v1, 1, v1
	v_cmp_eq_u32_e32 vcc, 1, v1
	v_and_b32_e32 v1, 1, v20
	v_cmp_eq_u32_e64 s[4:5], 1, v1
	s_and_b64 s[4:5], vcc, s[4:5]
	s_xor_b64 s[4:5], s[4:5], -1
                                        ; implicit-def: $vgpr1
	s_and_saveexec_b64 s[8:9], s[4:5]
	s_xor_b64 s[4:5], exec, s[8:9]
; %bb.94:
	v_and_b32_e32 v1, 0xffff, v20
	v_cndmask_b32_e64 v1, v1, 1, vcc
	v_cndmask_b32_e32 v3, v5, v3, vcc
	v_cndmask_b32_e32 v2, v4, v2, vcc
                                        ; implicit-def: $vgpr4_vgpr5
; %bb.95:
	s_andn2_saveexec_b64 s[4:5], s[4:5]
; %bb.96:
	v_cmp_lt_i64_e32 vcc, v[4:5], v[2:3]
	v_mov_b32_e32 v1, 1
	s_nop 0
	v_cndmask_b32_e32 v3, v3, v5, vcc
	v_cndmask_b32_e32 v2, v2, v4, vcc
; %bb.97:
	s_or_b64 exec, exec, s[4:5]
.LBB1037_98:
	s_or_b64 exec, exec, s[6:7]
	v_mbcnt_lo_u32_b32 v4, -1, 0
	v_mbcnt_hi_u32_b32 v6, -1, v4
	v_and_b32_e32 v7, 63, v6
	v_cmp_ne_u32_e32 vcc, 63, v7
	s_min_u32 s8, s41, 0x80
	v_and_b32_e32 v8, 64, v0
	v_addc_co_u32_e32 v4, vcc, 0, v6, vcc
	v_lshlrev_b32_e32 v5, 2, v4
	ds_bpermute_b32 v9, v5, v1
	ds_bpermute_b32 v4, v5, v2
	;; [unrolled: 1-line block ×3, first 2 shown]
	v_sub_u32_e64 v8, s8, v8 clamp
	v_add_u32_e32 v10, 1, v7
	v_cmp_lt_u32_e32 vcc, v10, v8
	s_and_saveexec_b64 s[4:5], vcc
	s_xor_b64 s[4:5], exec, s[4:5]
	s_cbranch_execz .LBB1037_104
; %bb.99:
	s_waitcnt lgkmcnt(2)
	v_and_b32_e32 v10, v9, v1
	v_cmp_ne_u32_e32 vcc, 0, v10
	s_and_saveexec_b64 s[6:7], vcc
	s_xor_b64 s[6:7], exec, s[6:7]
	s_cbranch_execz .LBB1037_101
; %bb.100:
	s_waitcnt lgkmcnt(0)
	v_cmp_lt_i64_e32 vcc, v[4:5], v[2:3]
                                        ; implicit-def: $vgpr1
                                        ; implicit-def: $vgpr9
	s_nop 1
	v_cndmask_b32_e32 v3, v3, v5, vcc
	v_cndmask_b32_e32 v2, v2, v4, vcc
                                        ; implicit-def: $vgpr4_vgpr5
.LBB1037_101:
	s_or_saveexec_b64 s[6:7], s[6:7]
	v_mov_b32_e32 v10, 1
	s_xor_b64 exec, exec, s[6:7]
	s_cbranch_execz .LBB1037_103
; %bb.102:
	v_and_b32_e32 v1, 1, v1
	v_cmp_eq_u32_e32 vcc, 1, v1
	v_and_b32_e32 v1, 0xff, v9
	s_waitcnt lgkmcnt(0)
	v_cndmask_b32_e32 v3, v5, v3, vcc
	v_cndmask_b32_e32 v2, v4, v2, vcc
	v_cndmask_b32_e64 v10, v1, 1, vcc
.LBB1037_103:
	s_or_b64 exec, exec, s[6:7]
	v_mov_b32_e32 v1, v10
.LBB1037_104:
	s_or_b64 exec, exec, s[4:5]
	v_cmp_gt_u32_e32 vcc, 62, v7
	v_add_u32_e32 v10, 2, v7
	s_waitcnt lgkmcnt(1)
	v_cndmask_b32_e64 v4, 0, 2, vcc
	s_waitcnt lgkmcnt(0)
	v_add_lshl_u32 v5, v4, v6, 2
	ds_bpermute_b32 v9, v5, v1
	ds_bpermute_b32 v4, v5, v2
	ds_bpermute_b32 v5, v5, v3
	v_cmp_lt_u32_e32 vcc, v10, v8
	s_and_saveexec_b64 s[4:5], vcc
	s_cbranch_execz .LBB1037_110
; %bb.105:
	s_waitcnt lgkmcnt(2)
	v_and_b32_e32 v10, v1, v9
	v_and_b32_e32 v10, 1, v10
	v_cmp_eq_u32_e32 vcc, 1, v10
	s_and_saveexec_b64 s[6:7], vcc
	s_xor_b64 s[6:7], exec, s[6:7]
	s_cbranch_execz .LBB1037_107
; %bb.106:
	s_waitcnt lgkmcnt(0)
	v_cmp_lt_i64_e32 vcc, v[4:5], v[2:3]
                                        ; implicit-def: $vgpr1
                                        ; implicit-def: $vgpr9
	s_nop 1
	v_cndmask_b32_e32 v3, v3, v5, vcc
	v_cndmask_b32_e32 v2, v2, v4, vcc
                                        ; implicit-def: $vgpr4_vgpr5
.LBB1037_107:
	s_or_saveexec_b64 s[6:7], s[6:7]
	v_mov_b32_e32 v10, 1
	s_xor_b64 exec, exec, s[6:7]
	s_cbranch_execz .LBB1037_109
; %bb.108:
	v_and_b32_e32 v1, 1, v1
	v_cmp_eq_u32_e32 vcc, 1, v1
	v_and_b32_e32 v1, 0xff, v9
	s_waitcnt lgkmcnt(0)
	v_cndmask_b32_e32 v3, v5, v3, vcc
	v_cndmask_b32_e32 v2, v4, v2, vcc
	v_cndmask_b32_e64 v10, v1, 1, vcc
.LBB1037_109:
	s_or_b64 exec, exec, s[6:7]
	v_mov_b32_e32 v1, v10
.LBB1037_110:
	s_or_b64 exec, exec, s[4:5]
	v_cmp_gt_u32_e32 vcc, 60, v7
	v_add_u32_e32 v10, 4, v7
	s_waitcnt lgkmcnt(1)
	v_cndmask_b32_e64 v4, 0, 4, vcc
	s_waitcnt lgkmcnt(0)
	v_add_lshl_u32 v5, v4, v6, 2
	ds_bpermute_b32 v9, v5, v1
	ds_bpermute_b32 v4, v5, v2
	ds_bpermute_b32 v5, v5, v3
	v_cmp_lt_u32_e32 vcc, v10, v8
	s_and_saveexec_b64 s[4:5], vcc
	s_cbranch_execz .LBB1037_116
; %bb.111:
	s_waitcnt lgkmcnt(2)
	v_and_b32_e32 v10, v1, v9
	v_and_b32_e32 v10, 1, v10
	v_cmp_eq_u32_e32 vcc, 1, v10
	s_and_saveexec_b64 s[6:7], vcc
	s_xor_b64 s[6:7], exec, s[6:7]
	s_cbranch_execz .LBB1037_113
; %bb.112:
	s_waitcnt lgkmcnt(0)
	v_cmp_lt_i64_e32 vcc, v[4:5], v[2:3]
                                        ; implicit-def: $vgpr1
                                        ; implicit-def: $vgpr9
	s_nop 1
	v_cndmask_b32_e32 v3, v3, v5, vcc
	v_cndmask_b32_e32 v2, v2, v4, vcc
                                        ; implicit-def: $vgpr4_vgpr5
.LBB1037_113:
	s_or_saveexec_b64 s[6:7], s[6:7]
	v_mov_b32_e32 v10, 1
	s_xor_b64 exec, exec, s[6:7]
	s_cbranch_execz .LBB1037_115
; %bb.114:
	v_and_b32_e32 v1, 1, v1
	v_cmp_eq_u32_e32 vcc, 1, v1
	v_and_b32_e32 v1, 0xff, v9
	s_waitcnt lgkmcnt(0)
	v_cndmask_b32_e32 v3, v5, v3, vcc
	v_cndmask_b32_e32 v2, v4, v2, vcc
	v_cndmask_b32_e64 v10, v1, 1, vcc
.LBB1037_115:
	s_or_b64 exec, exec, s[6:7]
	v_mov_b32_e32 v1, v10
.LBB1037_116:
	;; [unrolled: 47-line block ×4, first 2 shown]
	s_or_b64 exec, exec, s[4:5]
	s_waitcnt lgkmcnt(2)
	v_lshlrev_b32_e32 v9, 2, v6
	s_waitcnt lgkmcnt(0)
	v_or_b32_e32 v5, 0x80, v9
	ds_bpermute_b32 v10, v5, v1
	ds_bpermute_b32 v4, v5, v2
	;; [unrolled: 1-line block ×3, first 2 shown]
	v_add_u32_e32 v7, 32, v7
	v_cmp_lt_u32_e32 vcc, v7, v8
	v_mov_b32_e32 v7, v1
	s_and_saveexec_b64 s[4:5], vcc
	s_cbranch_execz .LBB1037_134
; %bb.129:
	s_waitcnt lgkmcnt(2)
	v_and_b32_e32 v7, v1, v10
	v_and_b32_e32 v7, 1, v7
	v_cmp_eq_u32_e32 vcc, 1, v7
	s_and_saveexec_b64 s[6:7], vcc
	s_xor_b64 s[6:7], exec, s[6:7]
	s_cbranch_execz .LBB1037_131
; %bb.130:
	s_waitcnt lgkmcnt(0)
	v_cmp_lt_i64_e32 vcc, v[4:5], v[2:3]
                                        ; implicit-def: $vgpr1
                                        ; implicit-def: $vgpr10
	s_nop 1
	v_cndmask_b32_e32 v3, v3, v5, vcc
	v_cndmask_b32_e32 v2, v2, v4, vcc
                                        ; implicit-def: $vgpr4_vgpr5
.LBB1037_131:
	s_or_saveexec_b64 s[6:7], s[6:7]
	v_mov_b32_e32 v7, 1
	s_xor_b64 exec, exec, s[6:7]
	s_cbranch_execz .LBB1037_133
; %bb.132:
	v_and_b32_e32 v1, 1, v1
	v_cmp_eq_u32_e32 vcc, 1, v1
	s_nop 1
	v_cndmask_b32_e64 v7, v10, 1, vcc
	s_waitcnt lgkmcnt(0)
	v_cndmask_b32_e32 v3, v5, v3, vcc
	v_cndmask_b32_e32 v2, v4, v2, vcc
.LBB1037_133:
	s_or_b64 exec, exec, s[6:7]
	v_and_b32_e32 v1, 0xff, v7
.LBB1037_134:
	s_or_b64 exec, exec, s[4:5]
	v_cmp_eq_u32_e32 vcc, 0, v6
	s_and_saveexec_b64 s[4:5], vcc
	s_cbranch_execz .LBB1037_136
; %bb.135:
	s_waitcnt lgkmcnt(1)
	v_lshrrev_b32_e32 v4, 2, v0
	v_and_b32_e32 v4, 16, v4
	ds_write_b8 v4, v7 offset:128
	ds_write_b64 v4, v[2:3] offset:136
.LBB1037_136:
	s_or_b64 exec, exec, s[4:5]
	v_cmp_gt_u32_e32 vcc, 2, v0
	s_waitcnt lgkmcnt(0)
	s_barrier
	s_and_saveexec_b64 s[4:5], vcc
	s_cbranch_execz .LBB1037_144
; %bb.137:
	v_lshlrev_b32_e32 v1, 4, v6
	ds_read_u8 v7, v1 offset:128
	ds_read_b64 v[2:3], v1 offset:136
	v_or_b32_e32 v5, 4, v9
	s_add_i32 s8, s8, 63
	v_and_b32_e32 v6, 1, v6
	s_waitcnt lgkmcnt(1)
	v_and_b32_e32 v1, 0xff, v7
	s_waitcnt lgkmcnt(0)
	ds_bpermute_b32 v4, v5, v2
	ds_bpermute_b32 v8, v5, v1
	;; [unrolled: 1-line block ×3, first 2 shown]
	s_lshr_b32 s6, s8, 6
	v_add_u32_e32 v6, 1, v6
	v_cmp_gt_u32_e32 vcc, s6, v6
	s_and_saveexec_b64 s[6:7], vcc
	s_cbranch_execz .LBB1037_143
; %bb.138:
	s_waitcnt lgkmcnt(1)
	v_and_b32_e32 v1, v1, v8
	v_and_b32_e32 v1, 1, v1
	v_cmp_eq_u32_e32 vcc, 1, v1
	s_and_saveexec_b64 s[8:9], vcc
	s_xor_b64 s[8:9], exec, s[8:9]
	s_cbranch_execz .LBB1037_140
; %bb.139:
	s_waitcnt lgkmcnt(0)
	v_cmp_lt_i64_e32 vcc, v[4:5], v[2:3]
                                        ; implicit-def: $vgpr7
                                        ; implicit-def: $vgpr8
	s_nop 1
	v_cndmask_b32_e32 v3, v3, v5, vcc
	v_cndmask_b32_e32 v2, v2, v4, vcc
                                        ; implicit-def: $vgpr4_vgpr5
.LBB1037_140:
	s_or_saveexec_b64 s[8:9], s[8:9]
	v_mov_b32_e32 v1, 1
	s_xor_b64 exec, exec, s[8:9]
	s_cbranch_execz .LBB1037_142
; %bb.141:
	v_and_b32_e32 v1, 1, v7
	v_cmp_eq_u32_e32 vcc, 1, v1
	s_waitcnt lgkmcnt(0)
	s_nop 0
	v_cndmask_b32_e32 v3, v5, v3, vcc
	v_cndmask_b32_e32 v2, v4, v2, vcc
	v_cndmask_b32_e64 v1, v8, 1, vcc
.LBB1037_142:
	s_or_b64 exec, exec, s[8:9]
.LBB1037_143:
	s_or_b64 exec, exec, s[6:7]
.LBB1037_144:
	s_or_b64 exec, exec, s[4:5]
.LBB1037_145:
	v_cmp_eq_u32_e32 vcc, 0, v0
	s_mov_b64 s[12:13], 0
                                        ; implicit-def: $vgpr4_vgpr5
                                        ; implicit-def: $vgpr6
	s_and_saveexec_b64 s[4:5], vcc
	s_xor_b64 s[8:9], exec, s[4:5]
	s_cbranch_execz .LBB1037_149
; %bb.146:
	s_cmp_eq_u64 s[22:23], 0
	s_waitcnt lgkmcnt(0)
	v_mov_b64_e32 v[4:5], s[18:19]
	v_mov_b32_e32 v6, s33
	s_cbranch_scc1 .LBB1037_148
; %bb.147:
	s_bitcmp1_b32 s33, 0
	v_and_b32_e32 v4, 1, v1
	v_cmp_eq_u32_e32 vcc, 1, v4
	v_cmp_gt_i64_e64 s[4:5], s[18:19], v[2:3]
	s_cselect_b64 s[6:7], -1, 0
	v_cndmask_b32_e64 v6, v1, 1, s[6:7]
	v_mov_b32_e32 v1, s18
	s_and_b64 vcc, vcc, s[4:5]
	v_mov_b32_e32 v4, s19
	v_cndmask_b32_e32 v1, v1, v2, vcc
	v_cndmask_b32_e32 v4, v4, v3, vcc
	v_cndmask_b32_e64 v5, v3, v4, s[6:7]
	v_cndmask_b32_e64 v4, v2, v1, s[6:7]
.LBB1037_148:
	s_mov_b64 s[12:13], exec
.LBB1037_149:
	s_or_b64 exec, exec, s[8:9]
	v_mov_b64_e32 v[2:3], s[2:3]
	s_and_b64 vcc, exec, s[28:29]
	s_cbranch_vccnz .LBB1037_16
.LBB1037_150:
	s_branch .LBB1037_306
.LBB1037_151:
	v_lshlrev_b32_e32 v4, 1, v0
	global_load_ushort v12, v4, s[14:15] offset:768
	global_load_ushort v15, v4, s[16:17] offset:768
	v_mov_b32_e32 v11, 0
	v_lshl_add_u64 v[4:5], s[28:29], 0, v[10:11]
	s_waitcnt vmcnt(0)
	v_cmp_ne_u16_e64 s[8:9], v12, v15
	s_nop 1
	v_cndmask_b32_e64 v12, 0, 1, s[8:9]
	s_or_b64 exec, exec, s[10:11]
	s_and_saveexec_b64 s[10:11], s[6:7]
	s_cbranch_execz .LBB1037_60
.LBB1037_152:
	v_and_b32_e32 v1, 1, v1
	v_cmp_eq_u32_e64 s[6:7], 1, v1
	v_and_b32_e32 v1, 1, v14
	v_cmp_eq_u32_e64 s[8:9], 1, v1
	s_and_b64 s[8:9], s[6:7], s[8:9]
	s_xor_b64 s[8:9], s[8:9], -1
                                        ; implicit-def: $vgpr1
	s_and_saveexec_b64 s[14:15], s[8:9]
	s_xor_b64 s[8:9], exec, s[14:15]
; %bb.153:
	v_and_b32_e32 v1, 0xffff, v14
	v_cndmask_b32_e64 v1, v1, 1, s[6:7]
	v_cndmask_b32_e64 v3, v9, v3, s[6:7]
	;; [unrolled: 1-line block ×3, first 2 shown]
                                        ; implicit-def: $vgpr8_vgpr9
; %bb.154:
	s_andn2_saveexec_b64 s[8:9], s[8:9]
; %bb.155:
	v_cmp_lt_i64_e64 s[6:7], v[8:9], v[2:3]
	v_mov_b32_e32 v1, 1
	s_nop 0
	v_cndmask_b32_e64 v3, v3, v9, s[6:7]
	v_cndmask_b32_e64 v2, v2, v8, s[6:7]
; %bb.156:
	s_or_b64 exec, exec, s[8:9]
	s_or_b64 exec, exec, s[10:11]
	s_and_saveexec_b64 s[8:9], s[4:5]
	s_cbranch_execz .LBB1037_61
.LBB1037_157:
	v_and_b32_e32 v1, 1, v1
	v_cmp_eq_u32_e64 s[4:5], 1, v1
	v_and_b32_e32 v1, 1, v13
	v_cmp_eq_u32_e64 s[6:7], 1, v1
	s_and_b64 s[6:7], s[4:5], s[6:7]
	s_xor_b64 s[6:7], s[6:7], -1
                                        ; implicit-def: $vgpr1
	s_and_saveexec_b64 s[10:11], s[6:7]
	s_xor_b64 s[6:7], exec, s[10:11]
; %bb.158:
	v_and_b32_e32 v1, 0xffff, v13
	v_cndmask_b32_e64 v1, v1, 1, s[4:5]
	v_cndmask_b32_e64 v3, v7, v3, s[4:5]
	;; [unrolled: 1-line block ×3, first 2 shown]
                                        ; implicit-def: $vgpr6_vgpr7
; %bb.159:
	s_andn2_saveexec_b64 s[6:7], s[6:7]
; %bb.160:
	v_cmp_lt_i64_e64 s[4:5], v[6:7], v[2:3]
	v_mov_b32_e32 v1, 1
	s_nop 0
	v_cndmask_b32_e64 v3, v3, v7, s[4:5]
	v_cndmask_b32_e64 v2, v2, v6, s[4:5]
; %bb.161:
	s_or_b64 exec, exec, s[6:7]
	s_or_b64 exec, exec, s[8:9]
	s_and_saveexec_b64 s[6:7], vcc
	s_cbranch_execz .LBB1037_167
.LBB1037_162:
	v_and_b32_e32 v1, 1, v1
	v_cmp_eq_u32_e32 vcc, 1, v1
	v_and_b32_e32 v1, 1, v12
	v_cmp_eq_u32_e64 s[4:5], 1, v1
	s_and_b64 s[4:5], vcc, s[4:5]
	s_xor_b64 s[4:5], s[4:5], -1
                                        ; implicit-def: $vgpr1
	s_and_saveexec_b64 s[8:9], s[4:5]
	s_xor_b64 s[4:5], exec, s[8:9]
; %bb.163:
	v_and_b32_e32 v1, 0xffff, v12
	v_cndmask_b32_e64 v1, v1, 1, vcc
	v_cndmask_b32_e32 v3, v5, v3, vcc
	v_cndmask_b32_e32 v2, v4, v2, vcc
                                        ; implicit-def: $vgpr4_vgpr5
; %bb.164:
	s_andn2_saveexec_b64 s[4:5], s[4:5]
; %bb.165:
	v_cmp_lt_i64_e32 vcc, v[4:5], v[2:3]
	v_mov_b32_e32 v1, 1
	s_nop 0
	v_cndmask_b32_e32 v3, v3, v5, vcc
	v_cndmask_b32_e32 v2, v2, v4, vcc
; %bb.166:
	s_or_b64 exec, exec, s[4:5]
.LBB1037_167:
	s_or_b64 exec, exec, s[6:7]
	v_mbcnt_lo_u32_b32 v4, -1, 0
	v_mbcnt_hi_u32_b32 v6, -1, v4
	v_and_b32_e32 v7, 63, v6
	v_cmp_ne_u32_e32 vcc, 63, v7
	s_min_u32 s8, s30, 0x80
	v_and_b32_e32 v8, 64, v0
	v_addc_co_u32_e32 v4, vcc, 0, v6, vcc
	v_lshlrev_b32_e32 v5, 2, v4
	ds_bpermute_b32 v9, v5, v1
	ds_bpermute_b32 v4, v5, v2
	ds_bpermute_b32 v5, v5, v3
	v_sub_u32_e64 v8, s8, v8 clamp
	v_add_u32_e32 v10, 1, v7
	v_cmp_lt_u32_e32 vcc, v10, v8
	s_and_saveexec_b64 s[4:5], vcc
	s_xor_b64 s[4:5], exec, s[4:5]
	s_cbranch_execz .LBB1037_173
; %bb.168:
	s_waitcnt lgkmcnt(2)
	v_and_b32_e32 v10, v9, v1
	v_cmp_ne_u32_e32 vcc, 0, v10
	s_and_saveexec_b64 s[6:7], vcc
	s_xor_b64 s[6:7], exec, s[6:7]
	s_cbranch_execz .LBB1037_170
; %bb.169:
	s_waitcnt lgkmcnt(0)
	v_cmp_lt_i64_e32 vcc, v[4:5], v[2:3]
                                        ; implicit-def: $vgpr1
                                        ; implicit-def: $vgpr9
	s_nop 1
	v_cndmask_b32_e32 v3, v3, v5, vcc
	v_cndmask_b32_e32 v2, v2, v4, vcc
                                        ; implicit-def: $vgpr4_vgpr5
.LBB1037_170:
	s_or_saveexec_b64 s[6:7], s[6:7]
	v_mov_b32_e32 v10, 1
	s_xor_b64 exec, exec, s[6:7]
	s_cbranch_execz .LBB1037_172
; %bb.171:
	v_and_b32_e32 v1, 1, v1
	v_cmp_eq_u32_e32 vcc, 1, v1
	v_and_b32_e32 v1, 0xff, v9
	s_waitcnt lgkmcnt(0)
	v_cndmask_b32_e32 v3, v5, v3, vcc
	v_cndmask_b32_e32 v2, v4, v2, vcc
	v_cndmask_b32_e64 v10, v1, 1, vcc
.LBB1037_172:
	s_or_b64 exec, exec, s[6:7]
	v_mov_b32_e32 v1, v10
.LBB1037_173:
	s_or_b64 exec, exec, s[4:5]
	v_cmp_gt_u32_e32 vcc, 62, v7
	v_add_u32_e32 v10, 2, v7
	s_waitcnt lgkmcnt(1)
	v_cndmask_b32_e64 v4, 0, 2, vcc
	s_waitcnt lgkmcnt(0)
	v_add_lshl_u32 v5, v4, v6, 2
	ds_bpermute_b32 v9, v5, v1
	ds_bpermute_b32 v4, v5, v2
	ds_bpermute_b32 v5, v5, v3
	v_cmp_lt_u32_e32 vcc, v10, v8
	s_and_saveexec_b64 s[4:5], vcc
	s_cbranch_execz .LBB1037_179
; %bb.174:
	s_waitcnt lgkmcnt(2)
	v_and_b32_e32 v10, v1, v9
	v_and_b32_e32 v10, 1, v10
	v_cmp_eq_u32_e32 vcc, 1, v10
	s_and_saveexec_b64 s[6:7], vcc
	s_xor_b64 s[6:7], exec, s[6:7]
	s_cbranch_execz .LBB1037_176
; %bb.175:
	s_waitcnt lgkmcnt(0)
	v_cmp_lt_i64_e32 vcc, v[4:5], v[2:3]
                                        ; implicit-def: $vgpr1
                                        ; implicit-def: $vgpr9
	s_nop 1
	v_cndmask_b32_e32 v3, v3, v5, vcc
	v_cndmask_b32_e32 v2, v2, v4, vcc
                                        ; implicit-def: $vgpr4_vgpr5
.LBB1037_176:
	s_or_saveexec_b64 s[6:7], s[6:7]
	v_mov_b32_e32 v10, 1
	s_xor_b64 exec, exec, s[6:7]
	s_cbranch_execz .LBB1037_178
; %bb.177:
	v_and_b32_e32 v1, 1, v1
	v_cmp_eq_u32_e32 vcc, 1, v1
	v_and_b32_e32 v1, 0xff, v9
	s_waitcnt lgkmcnt(0)
	v_cndmask_b32_e32 v3, v5, v3, vcc
	v_cndmask_b32_e32 v2, v4, v2, vcc
	v_cndmask_b32_e64 v10, v1, 1, vcc
.LBB1037_178:
	s_or_b64 exec, exec, s[6:7]
	v_mov_b32_e32 v1, v10
.LBB1037_179:
	s_or_b64 exec, exec, s[4:5]
	v_cmp_gt_u32_e32 vcc, 60, v7
	v_add_u32_e32 v10, 4, v7
	s_waitcnt lgkmcnt(1)
	v_cndmask_b32_e64 v4, 0, 4, vcc
	s_waitcnt lgkmcnt(0)
	v_add_lshl_u32 v5, v4, v6, 2
	ds_bpermute_b32 v9, v5, v1
	ds_bpermute_b32 v4, v5, v2
	ds_bpermute_b32 v5, v5, v3
	v_cmp_lt_u32_e32 vcc, v10, v8
	s_and_saveexec_b64 s[4:5], vcc
	s_cbranch_execz .LBB1037_185
; %bb.180:
	s_waitcnt lgkmcnt(2)
	v_and_b32_e32 v10, v1, v9
	v_and_b32_e32 v10, 1, v10
	v_cmp_eq_u32_e32 vcc, 1, v10
	s_and_saveexec_b64 s[6:7], vcc
	s_xor_b64 s[6:7], exec, s[6:7]
	s_cbranch_execz .LBB1037_182
; %bb.181:
	s_waitcnt lgkmcnt(0)
	v_cmp_lt_i64_e32 vcc, v[4:5], v[2:3]
                                        ; implicit-def: $vgpr1
                                        ; implicit-def: $vgpr9
	s_nop 1
	v_cndmask_b32_e32 v3, v3, v5, vcc
	v_cndmask_b32_e32 v2, v2, v4, vcc
                                        ; implicit-def: $vgpr4_vgpr5
.LBB1037_182:
	s_or_saveexec_b64 s[6:7], s[6:7]
	v_mov_b32_e32 v10, 1
	s_xor_b64 exec, exec, s[6:7]
	s_cbranch_execz .LBB1037_184
; %bb.183:
	v_and_b32_e32 v1, 1, v1
	v_cmp_eq_u32_e32 vcc, 1, v1
	v_and_b32_e32 v1, 0xff, v9
	s_waitcnt lgkmcnt(0)
	v_cndmask_b32_e32 v3, v5, v3, vcc
	v_cndmask_b32_e32 v2, v4, v2, vcc
	v_cndmask_b32_e64 v10, v1, 1, vcc
.LBB1037_184:
	s_or_b64 exec, exec, s[6:7]
	v_mov_b32_e32 v1, v10
.LBB1037_185:
	;; [unrolled: 47-line block ×4, first 2 shown]
	s_or_b64 exec, exec, s[4:5]
	s_waitcnt lgkmcnt(2)
	v_lshlrev_b32_e32 v9, 2, v6
	s_waitcnt lgkmcnt(0)
	v_or_b32_e32 v5, 0x80, v9
	ds_bpermute_b32 v10, v5, v1
	ds_bpermute_b32 v4, v5, v2
	;; [unrolled: 1-line block ×3, first 2 shown]
	v_add_u32_e32 v7, 32, v7
	v_cmp_lt_u32_e32 vcc, v7, v8
	v_mov_b32_e32 v7, v1
	s_and_saveexec_b64 s[4:5], vcc
	s_cbranch_execz .LBB1037_203
; %bb.198:
	s_waitcnt lgkmcnt(2)
	v_and_b32_e32 v7, v1, v10
	v_and_b32_e32 v7, 1, v7
	v_cmp_eq_u32_e32 vcc, 1, v7
	s_and_saveexec_b64 s[6:7], vcc
	s_xor_b64 s[6:7], exec, s[6:7]
	s_cbranch_execz .LBB1037_200
; %bb.199:
	s_waitcnt lgkmcnt(0)
	v_cmp_lt_i64_e32 vcc, v[4:5], v[2:3]
                                        ; implicit-def: $vgpr1
                                        ; implicit-def: $vgpr10
	s_nop 1
	v_cndmask_b32_e32 v3, v3, v5, vcc
	v_cndmask_b32_e32 v2, v2, v4, vcc
                                        ; implicit-def: $vgpr4_vgpr5
.LBB1037_200:
	s_or_saveexec_b64 s[6:7], s[6:7]
	v_mov_b32_e32 v7, 1
	s_xor_b64 exec, exec, s[6:7]
	s_cbranch_execz .LBB1037_202
; %bb.201:
	v_and_b32_e32 v1, 1, v1
	v_cmp_eq_u32_e32 vcc, 1, v1
	s_nop 1
	v_cndmask_b32_e64 v7, v10, 1, vcc
	s_waitcnt lgkmcnt(0)
	v_cndmask_b32_e32 v3, v5, v3, vcc
	v_cndmask_b32_e32 v2, v4, v2, vcc
.LBB1037_202:
	s_or_b64 exec, exec, s[6:7]
	v_and_b32_e32 v1, 0xff, v7
.LBB1037_203:
	s_or_b64 exec, exec, s[4:5]
	v_cmp_eq_u32_e32 vcc, 0, v6
	s_and_saveexec_b64 s[4:5], vcc
	s_cbranch_execz .LBB1037_205
; %bb.204:
	s_waitcnt lgkmcnt(1)
	v_lshrrev_b32_e32 v4, 2, v0
	v_and_b32_e32 v4, 16, v4
	ds_write_b8 v4, v7 offset:128
	ds_write_b64 v4, v[2:3] offset:136
.LBB1037_205:
	s_or_b64 exec, exec, s[4:5]
	v_cmp_gt_u32_e32 vcc, 2, v0
	s_waitcnt lgkmcnt(0)
	s_barrier
	s_and_saveexec_b64 s[4:5], vcc
	s_cbranch_execz .LBB1037_213
; %bb.206:
	v_lshlrev_b32_e32 v1, 4, v6
	ds_read_u8 v7, v1 offset:128
	ds_read_b64 v[2:3], v1 offset:136
	v_or_b32_e32 v5, 4, v9
	s_add_i32 s8, s8, 63
	v_and_b32_e32 v6, 1, v6
	s_waitcnt lgkmcnt(1)
	v_and_b32_e32 v1, 0xff, v7
	s_waitcnt lgkmcnt(0)
	ds_bpermute_b32 v4, v5, v2
	ds_bpermute_b32 v8, v5, v1
	;; [unrolled: 1-line block ×3, first 2 shown]
	s_lshr_b32 s6, s8, 6
	v_add_u32_e32 v6, 1, v6
	v_cmp_gt_u32_e32 vcc, s6, v6
	s_and_saveexec_b64 s[6:7], vcc
	s_cbranch_execz .LBB1037_212
; %bb.207:
	s_waitcnt lgkmcnt(1)
	v_and_b32_e32 v1, v1, v8
	v_and_b32_e32 v1, 1, v1
	v_cmp_eq_u32_e32 vcc, 1, v1
	s_and_saveexec_b64 s[8:9], vcc
	s_xor_b64 s[8:9], exec, s[8:9]
	s_cbranch_execz .LBB1037_209
; %bb.208:
	s_waitcnt lgkmcnt(0)
	v_cmp_lt_i64_e32 vcc, v[4:5], v[2:3]
                                        ; implicit-def: $vgpr7
                                        ; implicit-def: $vgpr8
	s_nop 1
	v_cndmask_b32_e32 v3, v3, v5, vcc
	v_cndmask_b32_e32 v2, v2, v4, vcc
                                        ; implicit-def: $vgpr4_vgpr5
.LBB1037_209:
	s_or_saveexec_b64 s[8:9], s[8:9]
	v_mov_b32_e32 v1, 1
	s_xor_b64 exec, exec, s[8:9]
	s_cbranch_execz .LBB1037_211
; %bb.210:
	v_and_b32_e32 v1, 1, v7
	v_cmp_eq_u32_e32 vcc, 1, v1
	s_waitcnt lgkmcnt(0)
	s_nop 0
	v_cndmask_b32_e32 v3, v5, v3, vcc
	v_cndmask_b32_e32 v2, v4, v2, vcc
	v_cndmask_b32_e64 v1, v8, 1, vcc
.LBB1037_211:
	s_or_b64 exec, exec, s[8:9]
.LBB1037_212:
	s_or_b64 exec, exec, s[6:7]
.LBB1037_213:
	s_or_b64 exec, exec, s[4:5]
.LBB1037_214:
	v_cmp_eq_u32_e32 vcc, 0, v0
                                        ; implicit-def: $vgpr4_vgpr5
                                        ; implicit-def: $vgpr6
	s_and_saveexec_b64 s[4:5], vcc
	s_xor_b64 s[8:9], exec, s[4:5]
	s_cbranch_execz .LBB1037_218
; %bb.215:
	s_cmp_eq_u64 s[22:23], 0
	s_waitcnt lgkmcnt(0)
	v_mov_b64_e32 v[4:5], s[18:19]
	v_mov_b32_e32 v6, s33
	s_cbranch_scc1 .LBB1037_217
; %bb.216:
	s_bitcmp1_b32 s33, 0
	v_and_b32_e32 v4, 1, v1
	v_cmp_eq_u32_e32 vcc, 1, v4
	v_cmp_gt_i64_e64 s[4:5], s[18:19], v[2:3]
	s_cselect_b64 s[6:7], -1, 0
	v_cndmask_b32_e64 v6, v1, 1, s[6:7]
	v_mov_b32_e32 v1, s18
	s_and_b64 vcc, vcc, s[4:5]
	v_mov_b32_e32 v4, s19
	v_cndmask_b32_e32 v1, v1, v2, vcc
	v_cndmask_b32_e32 v4, v4, v3, vcc
	v_cndmask_b32_e64 v5, v3, v4, s[6:7]
	v_cndmask_b32_e64 v4, v2, v1, s[6:7]
.LBB1037_217:
	s_or_b64 s[12:13], s[12:13], exec
.LBB1037_218:
	s_or_b64 exec, exec, s[8:9]
	v_mov_b64_e32 v[2:3], s[2:3]
	s_branch .LBB1037_306
.LBB1037_219:
	s_cmp_gt_i32 s40, 1
	s_cbranch_scc0 .LBB1037_231
; %bb.220:
	s_cmp_eq_u32 s40, 2
	s_cbranch_scc0 .LBB1037_232
; %bb.221:
	s_mov_b32 s3, 0
	s_lshl_b32 s30, s2, 8
	s_mov_b32 s31, s3
	s_lshr_b64 s[4:5], s[22:23], 8
	s_lshl_b64 s[6:7], s[30:31], 1
	s_add_u32 s14, s24, s6
	s_addc_u32 s15, s25, s7
	s_add_u32 s16, s26, s6
	s_addc_u32 s17, s27, s7
	;; [unrolled: 2-line block ×3, first 2 shown]
	s_cmp_lg_u64 s[4:5], s[2:3]
	s_cbranch_scc0 .LBB1037_233
; %bb.222:
	v_lshlrev_b32_e32 v1, 1, v0
	s_waitcnt lgkmcnt(0)
	global_load_ushort v7, v1, s[16:17]
	global_load_ushort v8, v1, s[16:17] offset:256
	global_load_ushort v9, v1, s[14:15] offset:256
	global_load_ushort v10, v1, s[14:15]
	v_mov_b32_e32 v1, 0
	s_mov_b64 s[4:5], 0x80
	v_mbcnt_lo_u32_b32 v4, -1, 0
	v_lshl_add_u64 v[2:3], s[28:29], 0, v[0:1]
	v_mbcnt_hi_u32_b32 v1, -1, v4
	v_lshl_add_u64 v[4:5], v[2:3], 0, s[4:5]
	v_lshlrev_b32_e32 v6, 2, v1
	v_or_b32_e32 v11, 0xfc, v6
	s_waitcnt vmcnt(1)
	v_cmp_ne_u16_e32 vcc, v9, v8
	s_waitcnt vmcnt(0)
	v_cmp_ne_u16_e64 s[4:5], v10, v7
	s_nop 1
	v_cndmask_b32_e64 v3, v5, v3, s[4:5]
	v_cndmask_b32_e64 v2, v4, v2, s[4:5]
	s_or_b64 s[4:5], s[4:5], vcc
	v_cndmask_b32_e64 v7, 0, 1, s[4:5]
	v_mov_b32_dpp v5, v3 quad_perm:[1,0,3,2] row_mask:0xf bank_mask:0xf bound_ctrl:1
	v_mov_b32_dpp v4, v2 quad_perm:[1,0,3,2] row_mask:0xf bank_mask:0xf bound_ctrl:1
	v_mov_b32_dpp v8, v7 quad_perm:[1,0,3,2] row_mask:0xf bank_mask:0xf bound_ctrl:1
	v_cmp_lt_i64_e32 vcc, v[2:3], v[4:5]
	v_and_b32_e32 v8, 1, v8
	s_and_b64 vcc, s[4:5], vcc
	v_cndmask_b32_e32 v4, v4, v2, vcc
	v_cndmask_b32_e32 v5, v5, v3, vcc
	v_cmp_eq_u32_e32 vcc, 1, v8
	s_nop 1
	v_cndmask_b32_e32 v3, v3, v5, vcc
	v_cndmask_b32_e32 v2, v2, v4, vcc
	v_cndmask_b32_e64 v7, v7, 1, vcc
	v_mov_b32_dpp v5, v3 quad_perm:[2,3,0,1] row_mask:0xf bank_mask:0xf bound_ctrl:1
	v_mov_b32_dpp v4, v2 quad_perm:[2,3,0,1] row_mask:0xf bank_mask:0xf bound_ctrl:1
	v_and_b32_e32 v9, 1, v7
	v_mov_b32_dpp v8, v7 quad_perm:[2,3,0,1] row_mask:0xf bank_mask:0xf bound_ctrl:1
	v_cmp_eq_u32_e32 vcc, 1, v9
	v_cmp_lt_i64_e64 s[4:5], v[2:3], v[4:5]
	v_and_b32_e32 v8, 1, v8
	s_and_b64 vcc, vcc, s[4:5]
	v_cmp_eq_u32_e64 s[6:7], 1, v8
	v_cndmask_b32_e32 v4, v4, v2, vcc
	v_cndmask_b32_e32 v5, v5, v3, vcc
	v_cndmask_b32_e64 v7, v7, 1, s[6:7]
	v_cndmask_b32_e64 v2, v2, v4, s[6:7]
	v_cndmask_b32_e64 v3, v3, v5, s[6:7]
	v_and_b32_e32 v9, 1, v7
	v_mov_b32_dpp v4, v2 row_ror:4 row_mask:0xf bank_mask:0xf bound_ctrl:1
	v_mov_b32_dpp v5, v3 row_ror:4 row_mask:0xf bank_mask:0xf bound_ctrl:1
	;; [unrolled: 1-line block ×3, first 2 shown]
	v_cmp_eq_u32_e32 vcc, 1, v9
	v_cmp_lt_i64_e64 s[6:7], v[2:3], v[4:5]
	v_and_b32_e32 v8, 1, v8
	s_and_b64 vcc, vcc, s[6:7]
	v_cmp_eq_u32_e64 s[4:5], 1, v8
	v_cndmask_b32_e32 v4, v4, v2, vcc
	v_cndmask_b32_e32 v5, v5, v3, vcc
	v_cndmask_b32_e64 v7, v7, 1, s[4:5]
	v_cndmask_b32_e64 v2, v2, v4, s[4:5]
	;; [unrolled: 1-line block ×3, first 2 shown]
	v_and_b32_e32 v9, 1, v7
	v_mov_b32_dpp v4, v2 row_ror:8 row_mask:0xf bank_mask:0xf bound_ctrl:1
	v_mov_b32_dpp v5, v3 row_ror:8 row_mask:0xf bank_mask:0xf bound_ctrl:1
	;; [unrolled: 1-line block ×3, first 2 shown]
	v_cmp_eq_u32_e64 s[6:7], 1, v9
	v_cmp_lt_i64_e64 s[8:9], v[2:3], v[4:5]
	v_and_b32_e32 v8, 1, v8
	s_and_b64 s[6:7], s[6:7], s[8:9]
	v_cmp_eq_u32_e32 vcc, 1, v8
	v_cndmask_b32_e64 v4, v4, v2, s[6:7]
	v_cndmask_b32_e64 v5, v5, v3, s[6:7]
	v_cndmask_b32_e64 v7, v7, 1, vcc
	v_cndmask_b32_e32 v2, v2, v4, vcc
	v_cndmask_b32_e32 v3, v3, v5, vcc
	v_and_b32_e32 v9, 1, v7
	v_mov_b32_dpp v4, v2 row_bcast:15 row_mask:0xf bank_mask:0xf bound_ctrl:1
	v_mov_b32_dpp v5, v3 row_bcast:15 row_mask:0xf bank_mask:0xf bound_ctrl:1
	;; [unrolled: 1-line block ×3, first 2 shown]
	v_cmp_eq_u32_e64 s[4:5], 1, v9
	v_cmp_lt_i64_e64 s[8:9], v[2:3], v[4:5]
	v_and_b32_e32 v8, 1, v8
	s_and_b64 s[4:5], s[4:5], s[8:9]
	v_cmp_eq_u32_e64 s[10:11], 1, v8
	v_cndmask_b32_e64 v4, v4, v2, s[4:5]
	v_cndmask_b32_e64 v5, v5, v3, s[4:5]
	;; [unrolled: 1-line block ×5, first 2 shown]
	v_and_b32_e32 v9, 1, v7
	v_mov_b32_dpp v4, v2 row_bcast:31 row_mask:0xf bank_mask:0xf bound_ctrl:1
	v_mov_b32_dpp v5, v3 row_bcast:31 row_mask:0xf bank_mask:0xf bound_ctrl:1
	;; [unrolled: 1-line block ×3, first 2 shown]
	v_cmp_eq_u32_e64 s[6:7], 1, v9
	v_cmp_lt_i64_e64 s[4:5], v[2:3], v[4:5]
	v_and_b32_e32 v8, 1, v8
	s_and_b64 s[4:5], s[6:7], s[4:5]
	v_cmp_eq_u32_e32 vcc, 1, v8
	v_cndmask_b32_e64 v4, v4, v2, s[4:5]
	v_cndmask_b32_e64 v5, v5, v3, s[4:5]
	v_cndmask_b32_e64 v7, v7, 1, vcc
	v_cndmask_b32_e32 v2, v2, v4, vcc
	v_cndmask_b32_e32 v3, v3, v5, vcc
	ds_bpermute_b32 v8, v11, v7
	ds_bpermute_b32 v2, v11, v2
	;; [unrolled: 1-line block ×3, first 2 shown]
	v_cmp_eq_u32_e32 vcc, 0, v1
	s_and_saveexec_b64 s[4:5], vcc
	s_cbranch_execz .LBB1037_224
; %bb.223:
	v_lshrrev_b32_e32 v4, 2, v0
	v_and_b32_e32 v4, 16, v4
	s_waitcnt lgkmcnt(2)
	ds_write_b8 v4, v8 offset:32
	s_waitcnt lgkmcnt(1)
	ds_write_b64 v4, v[2:3] offset:40
.LBB1037_224:
	s_or_b64 exec, exec, s[4:5]
	v_cmp_gt_u32_e32 vcc, 64, v0
	s_waitcnt lgkmcnt(0)
	s_barrier
	s_and_saveexec_b64 s[4:5], vcc
	s_cbranch_execz .LBB1037_230
; %bb.225:
	v_and_b32_e32 v1, 1, v1
	v_lshlrev_b32_e32 v2, 4, v1
	ds_read_u8 v1, v2 offset:32
	ds_read_b64 v[4:5], v2 offset:40
	v_or_b32_e32 v3, 4, v6
	s_waitcnt lgkmcnt(1)
	v_and_b32_e32 v2, 0xff, v1
	ds_bpermute_b32 v9, v3, v2
	s_waitcnt lgkmcnt(1)
	ds_bpermute_b32 v6, v3, v4
	ds_bpermute_b32 v7, v3, v5
	s_waitcnt lgkmcnt(2)
	v_and_b32_e32 v2, v1, v9
	v_and_b32_e32 v2, 1, v2
	v_cmp_eq_u32_e32 vcc, 1, v2
                                        ; implicit-def: $vgpr2_vgpr3
	s_and_saveexec_b64 s[6:7], vcc
	s_xor_b64 s[6:7], exec, s[6:7]
	s_cbranch_execz .LBB1037_227
; %bb.226:
	s_waitcnt lgkmcnt(0)
	v_cmp_lt_i64_e32 vcc, v[6:7], v[4:5]
                                        ; implicit-def: $vgpr1
                                        ; implicit-def: $vgpr9
	s_nop 1
	v_cndmask_b32_e32 v3, v5, v7, vcc
	v_cndmask_b32_e32 v2, v4, v6, vcc
                                        ; implicit-def: $vgpr6_vgpr7
                                        ; implicit-def: $vgpr4_vgpr5
.LBB1037_227:
	s_or_saveexec_b64 s[6:7], s[6:7]
	v_mov_b32_e32 v8, 1
	s_xor_b64 exec, exec, s[6:7]
	s_cbranch_execz .LBB1037_229
; %bb.228:
	v_and_b32_e32 v1, 1, v1
	v_cmp_eq_u32_e32 vcc, 1, v1
	s_waitcnt lgkmcnt(0)
	s_nop 0
	v_cndmask_b32_e32 v3, v7, v5, vcc
	v_cndmask_b32_e32 v2, v6, v4, vcc
	v_cndmask_b32_e64 v8, v9, 1, vcc
.LBB1037_229:
	s_or_b64 exec, exec, s[6:7]
.LBB1037_230:
	s_or_b64 exec, exec, s[4:5]
	s_branch .LBB1037_285
.LBB1037_231:
                                        ; implicit-def: $vgpr4_vgpr5
                                        ; implicit-def: $vgpr6
                                        ; implicit-def: $vgpr2_vgpr3
	s_cbranch_execnz .LBB1037_290
	s_branch .LBB1037_306
.LBB1037_232:
                                        ; implicit-def: $vgpr4_vgpr5
                                        ; implicit-def: $vgpr6
                                        ; implicit-def: $vgpr2_vgpr3
	s_branch .LBB1037_306
.LBB1037_233:
                                        ; implicit-def: $vgpr2_vgpr3
                                        ; implicit-def: $vgpr8
	s_cbranch_execz .LBB1037_285
; %bb.234:
	s_sub_i32 s10, s22, s30
	v_cmp_gt_u32_e32 vcc, s10, v0
	s_waitcnt lgkmcnt(0)
	v_mov_b32_e32 v7, 0
	v_mov_b64_e32 v[4:5], 0
	v_mov_b64_e32 v[2:3], 0
	v_mov_b32_e32 v1, 0
	s_and_saveexec_b64 s[4:5], vcc
	s_cbranch_execz .LBB1037_236
; %bb.235:
	v_lshlrev_b32_e32 v1, 1, v0
	global_load_ushort v6, v1, s[14:15]
	global_load_ushort v8, v1, s[16:17]
	v_mov_b32_e32 v1, 0
	v_lshl_add_u64 v[2:3], s[28:29], 0, v[0:1]
	s_waitcnt vmcnt(0)
	v_cmp_ne_u16_e32 vcc, v6, v8
	s_nop 1
	v_cndmask_b32_e64 v1, 0, 1, vcc
.LBB1037_236:
	s_or_b64 exec, exec, s[4:5]
	v_or_b32_e32 v6, 0x80, v0
	v_cmp_gt_u32_e32 vcc, s10, v6
	s_and_saveexec_b64 s[6:7], vcc
	s_cbranch_execz .LBB1037_238
; %bb.237:
	v_lshlrev_b32_e32 v4, 1, v0
	global_load_ushort v8, v4, s[14:15] offset:256
	global_load_ushort v9, v4, s[16:17] offset:256
	v_mov_b32_e32 v7, 0
	v_lshl_add_u64 v[4:5], s[28:29], 0, v[6:7]
	s_waitcnt vmcnt(0)
	v_cmp_ne_u16_e64 s[4:5], v8, v9
	s_nop 1
	v_cndmask_b32_e64 v7, 0, 1, s[4:5]
.LBB1037_238:
	s_or_b64 exec, exec, s[6:7]
	v_and_b32_e32 v8, 0xffff, v7
	v_and_b32_e32 v7, 1, v7
	v_and_b32_e32 v6, 0xffff, v1
	v_cmp_eq_u32_e64 s[4:5], 1, v7
	v_and_b32_e32 v1, 1, v1
	v_cmp_lt_i64_e64 s[6:7], v[4:5], v[2:3]
	v_cmp_eq_u32_e64 s[8:9], 1, v1
	s_and_b64 s[4:5], s[4:5], s[6:7]
	v_cndmask_b32_e64 v7, v3, v5, s[4:5]
	v_cndmask_b32_e64 v1, v8, 1, s[8:9]
	;; [unrolled: 1-line block ×4, first 2 shown]
	v_cndmask_b32_e32 v8, v6, v1, vcc
	v_mbcnt_lo_u32_b32 v1, -1, 0
	v_mbcnt_hi_u32_b32 v1, -1, v1
	v_cndmask_b32_e64 v5, v5, v7, s[8:9]
	v_and_b32_e32 v6, 63, v1
	v_cndmask_b32_e32 v3, v3, v5, vcc
	v_cndmask_b32_e32 v2, v2, v4, vcc
	v_cmp_ne_u32_e32 vcc, 63, v6
	s_min_u32 s8, s10, 0x80
	v_and_b32_e32 v7, 64, v0
	v_addc_co_u32_e32 v4, vcc, 0, v1, vcc
	v_lshlrev_b32_e32 v5, 2, v4
	ds_bpermute_b32 v9, v5, v8
	ds_bpermute_b32 v4, v5, v2
	;; [unrolled: 1-line block ×3, first 2 shown]
	v_sub_u32_e64 v7, s8, v7 clamp
	v_add_u32_e32 v10, 1, v6
	v_cmp_lt_u32_e32 vcc, v10, v7
	s_and_saveexec_b64 s[4:5], vcc
	s_cbranch_execz .LBB1037_244
; %bb.239:
	s_waitcnt lgkmcnt(2)
	v_and_b32_e32 v10, v9, v8
	v_cmp_ne_u32_e32 vcc, 0, v10
	s_and_saveexec_b64 s[6:7], vcc
	s_xor_b64 s[6:7], exec, s[6:7]
	s_cbranch_execz .LBB1037_241
; %bb.240:
	s_waitcnt lgkmcnt(0)
	v_cmp_lt_i64_e32 vcc, v[4:5], v[2:3]
                                        ; implicit-def: $vgpr8
                                        ; implicit-def: $vgpr9
	s_nop 1
	v_cndmask_b32_e32 v3, v3, v5, vcc
	v_cndmask_b32_e32 v2, v2, v4, vcc
                                        ; implicit-def: $vgpr4_vgpr5
.LBB1037_241:
	s_or_saveexec_b64 s[6:7], s[6:7]
	v_mov_b32_e32 v10, 1
	s_xor_b64 exec, exec, s[6:7]
	s_cbranch_execz .LBB1037_243
; %bb.242:
	v_and_b32_e32 v8, 1, v8
	v_cmp_eq_u32_e32 vcc, 1, v8
	s_waitcnt lgkmcnt(1)
	s_nop 0
	v_cndmask_b32_e32 v2, v4, v2, vcc
	v_and_b32_e32 v4, 0xff, v9
	s_waitcnt lgkmcnt(0)
	v_cndmask_b32_e32 v3, v5, v3, vcc
	v_cndmask_b32_e64 v10, v4, 1, vcc
.LBB1037_243:
	s_or_b64 exec, exec, s[6:7]
	v_mov_b32_e32 v8, v10
.LBB1037_244:
	s_or_b64 exec, exec, s[4:5]
	v_cmp_gt_u32_e32 vcc, 62, v6
	v_add_u32_e32 v10, 2, v6
	s_waitcnt lgkmcnt(1)
	v_cndmask_b32_e64 v4, 0, 2, vcc
	s_waitcnt lgkmcnt(0)
	v_add_lshl_u32 v5, v4, v1, 2
	ds_bpermute_b32 v9, v5, v8
	ds_bpermute_b32 v4, v5, v2
	ds_bpermute_b32 v5, v5, v3
	v_cmp_lt_u32_e32 vcc, v10, v7
	s_and_saveexec_b64 s[4:5], vcc
	s_cbranch_execz .LBB1037_250
; %bb.245:
	s_waitcnt lgkmcnt(2)
	v_and_b32_e32 v10, v8, v9
	v_and_b32_e32 v10, 1, v10
	v_cmp_eq_u32_e32 vcc, 1, v10
	s_and_saveexec_b64 s[6:7], vcc
	s_xor_b64 s[6:7], exec, s[6:7]
	s_cbranch_execz .LBB1037_247
; %bb.246:
	s_waitcnt lgkmcnt(0)
	v_cmp_lt_i64_e32 vcc, v[4:5], v[2:3]
                                        ; implicit-def: $vgpr8
                                        ; implicit-def: $vgpr9
	s_nop 1
	v_cndmask_b32_e32 v3, v3, v5, vcc
	v_cndmask_b32_e32 v2, v2, v4, vcc
                                        ; implicit-def: $vgpr4_vgpr5
.LBB1037_247:
	s_or_saveexec_b64 s[6:7], s[6:7]
	v_mov_b32_e32 v10, 1
	s_xor_b64 exec, exec, s[6:7]
	s_cbranch_execz .LBB1037_249
; %bb.248:
	v_and_b32_e32 v8, 1, v8
	v_cmp_eq_u32_e32 vcc, 1, v8
	s_waitcnt lgkmcnt(1)
	s_nop 0
	v_cndmask_b32_e32 v2, v4, v2, vcc
	v_and_b32_e32 v4, 0xff, v9
	s_waitcnt lgkmcnt(0)
	v_cndmask_b32_e32 v3, v5, v3, vcc
	v_cndmask_b32_e64 v10, v4, 1, vcc
.LBB1037_249:
	s_or_b64 exec, exec, s[6:7]
	v_mov_b32_e32 v8, v10
.LBB1037_250:
	s_or_b64 exec, exec, s[4:5]
	v_cmp_gt_u32_e32 vcc, 60, v6
	v_add_u32_e32 v10, 4, v6
	s_waitcnt lgkmcnt(1)
	v_cndmask_b32_e64 v4, 0, 4, vcc
	s_waitcnt lgkmcnt(0)
	v_add_lshl_u32 v5, v4, v1, 2
	ds_bpermute_b32 v9, v5, v8
	ds_bpermute_b32 v4, v5, v2
	ds_bpermute_b32 v5, v5, v3
	v_cmp_lt_u32_e32 vcc, v10, v7
	s_and_saveexec_b64 s[4:5], vcc
	s_cbranch_execz .LBB1037_256
; %bb.251:
	s_waitcnt lgkmcnt(2)
	v_and_b32_e32 v10, v8, v9
	v_and_b32_e32 v10, 1, v10
	v_cmp_eq_u32_e32 vcc, 1, v10
	s_and_saveexec_b64 s[6:7], vcc
	s_xor_b64 s[6:7], exec, s[6:7]
	s_cbranch_execz .LBB1037_253
; %bb.252:
	s_waitcnt lgkmcnt(0)
	v_cmp_lt_i64_e32 vcc, v[4:5], v[2:3]
                                        ; implicit-def: $vgpr8
                                        ; implicit-def: $vgpr9
	s_nop 1
	v_cndmask_b32_e32 v3, v3, v5, vcc
	v_cndmask_b32_e32 v2, v2, v4, vcc
                                        ; implicit-def: $vgpr4_vgpr5
.LBB1037_253:
	s_or_saveexec_b64 s[6:7], s[6:7]
	v_mov_b32_e32 v10, 1
	s_xor_b64 exec, exec, s[6:7]
	s_cbranch_execz .LBB1037_255
; %bb.254:
	v_and_b32_e32 v8, 1, v8
	v_cmp_eq_u32_e32 vcc, 1, v8
	s_waitcnt lgkmcnt(1)
	s_nop 0
	v_cndmask_b32_e32 v2, v4, v2, vcc
	v_and_b32_e32 v4, 0xff, v9
	s_waitcnt lgkmcnt(0)
	v_cndmask_b32_e32 v3, v5, v3, vcc
	v_cndmask_b32_e64 v10, v4, 1, vcc
.LBB1037_255:
	s_or_b64 exec, exec, s[6:7]
	v_mov_b32_e32 v8, v10
.LBB1037_256:
	s_or_b64 exec, exec, s[4:5]
	v_cmp_gt_u32_e32 vcc, 56, v6
	v_add_u32_e32 v10, 8, v6
	s_waitcnt lgkmcnt(1)
	v_cndmask_b32_e64 v4, 0, 8, vcc
	s_waitcnt lgkmcnt(0)
	v_add_lshl_u32 v5, v4, v1, 2
	ds_bpermute_b32 v9, v5, v8
	ds_bpermute_b32 v4, v5, v2
	ds_bpermute_b32 v5, v5, v3
	v_cmp_lt_u32_e32 vcc, v10, v7
	s_and_saveexec_b64 s[4:5], vcc
	s_cbranch_execz .LBB1037_262
; %bb.257:
	s_waitcnt lgkmcnt(2)
	v_and_b32_e32 v10, v8, v9
	v_and_b32_e32 v10, 1, v10
	v_cmp_eq_u32_e32 vcc, 1, v10
	s_and_saveexec_b64 s[6:7], vcc
	s_xor_b64 s[6:7], exec, s[6:7]
	s_cbranch_execz .LBB1037_259
; %bb.258:
	s_waitcnt lgkmcnt(0)
	v_cmp_lt_i64_e32 vcc, v[4:5], v[2:3]
                                        ; implicit-def: $vgpr8
                                        ; implicit-def: $vgpr9
	s_nop 1
	v_cndmask_b32_e32 v3, v3, v5, vcc
	v_cndmask_b32_e32 v2, v2, v4, vcc
                                        ; implicit-def: $vgpr4_vgpr5
.LBB1037_259:
	s_or_saveexec_b64 s[6:7], s[6:7]
	v_mov_b32_e32 v10, 1
	s_xor_b64 exec, exec, s[6:7]
	s_cbranch_execz .LBB1037_261
; %bb.260:
	v_and_b32_e32 v8, 1, v8
	v_cmp_eq_u32_e32 vcc, 1, v8
	s_waitcnt lgkmcnt(1)
	s_nop 0
	v_cndmask_b32_e32 v2, v4, v2, vcc
	v_and_b32_e32 v4, 0xff, v9
	s_waitcnt lgkmcnt(0)
	v_cndmask_b32_e32 v3, v5, v3, vcc
	v_cndmask_b32_e64 v10, v4, 1, vcc
.LBB1037_261:
	s_or_b64 exec, exec, s[6:7]
	v_mov_b32_e32 v8, v10
.LBB1037_262:
	s_or_b64 exec, exec, s[4:5]
	v_cmp_gt_u32_e32 vcc, 48, v6
	v_add_u32_e32 v10, 16, v6
	s_waitcnt lgkmcnt(1)
	v_cndmask_b32_e64 v4, 0, 16, vcc
	s_waitcnt lgkmcnt(0)
	v_add_lshl_u32 v5, v4, v1, 2
	ds_bpermute_b32 v9, v5, v8
	ds_bpermute_b32 v4, v5, v2
	ds_bpermute_b32 v5, v5, v3
	v_cmp_lt_u32_e32 vcc, v10, v7
	s_and_saveexec_b64 s[4:5], vcc
	s_cbranch_execz .LBB1037_268
; %bb.263:
	s_waitcnt lgkmcnt(2)
	v_and_b32_e32 v10, v8, v9
	v_and_b32_e32 v10, 1, v10
	v_cmp_eq_u32_e32 vcc, 1, v10
	s_and_saveexec_b64 s[6:7], vcc
	s_xor_b64 s[6:7], exec, s[6:7]
	s_cbranch_execz .LBB1037_265
; %bb.264:
	s_waitcnt lgkmcnt(0)
	v_cmp_lt_i64_e32 vcc, v[4:5], v[2:3]
                                        ; implicit-def: $vgpr8
                                        ; implicit-def: $vgpr9
	s_nop 1
	v_cndmask_b32_e32 v3, v3, v5, vcc
	v_cndmask_b32_e32 v2, v2, v4, vcc
                                        ; implicit-def: $vgpr4_vgpr5
.LBB1037_265:
	s_or_saveexec_b64 s[6:7], s[6:7]
	v_mov_b32_e32 v10, 1
	s_xor_b64 exec, exec, s[6:7]
	s_cbranch_execz .LBB1037_267
; %bb.266:
	v_and_b32_e32 v8, 1, v8
	v_cmp_eq_u32_e32 vcc, 1, v8
	s_waitcnt lgkmcnt(1)
	s_nop 0
	v_cndmask_b32_e32 v2, v4, v2, vcc
	v_and_b32_e32 v4, 0xff, v9
	s_waitcnt lgkmcnt(0)
	v_cndmask_b32_e32 v3, v5, v3, vcc
	v_cndmask_b32_e64 v10, v4, 1, vcc
.LBB1037_267:
	s_or_b64 exec, exec, s[6:7]
	v_mov_b32_e32 v8, v10
.LBB1037_268:
	s_or_b64 exec, exec, s[4:5]
	s_waitcnt lgkmcnt(2)
	v_lshlrev_b32_e32 v9, 2, v1
	s_waitcnt lgkmcnt(0)
	v_or_b32_e32 v5, 0x80, v9
	ds_bpermute_b32 v10, v5, v8
	ds_bpermute_b32 v4, v5, v2
	ds_bpermute_b32 v5, v5, v3
	v_add_u32_e32 v6, 32, v6
	v_cmp_lt_u32_e32 vcc, v6, v7
	v_mov_b32_e32 v6, v8
	s_and_saveexec_b64 s[4:5], vcc
	s_cbranch_execz .LBB1037_274
; %bb.269:
	s_waitcnt lgkmcnt(2)
	v_and_b32_e32 v6, v8, v10
	v_and_b32_e32 v6, 1, v6
	v_cmp_eq_u32_e32 vcc, 1, v6
	s_and_saveexec_b64 s[6:7], vcc
	s_xor_b64 s[6:7], exec, s[6:7]
	s_cbranch_execz .LBB1037_271
; %bb.270:
	s_waitcnt lgkmcnt(0)
	v_cmp_lt_i64_e32 vcc, v[4:5], v[2:3]
                                        ; implicit-def: $vgpr8
                                        ; implicit-def: $vgpr10
	s_nop 1
	v_cndmask_b32_e32 v3, v3, v5, vcc
	v_cndmask_b32_e32 v2, v2, v4, vcc
                                        ; implicit-def: $vgpr4_vgpr5
.LBB1037_271:
	s_or_saveexec_b64 s[6:7], s[6:7]
	v_mov_b32_e32 v6, 1
	s_xor_b64 exec, exec, s[6:7]
	s_cbranch_execz .LBB1037_273
; %bb.272:
	v_and_b32_e32 v6, 1, v8
	v_cmp_eq_u32_e32 vcc, 1, v6
	s_nop 1
	v_cndmask_b32_e64 v6, v10, 1, vcc
	s_waitcnt lgkmcnt(0)
	v_cndmask_b32_e32 v3, v5, v3, vcc
	v_cndmask_b32_e32 v2, v4, v2, vcc
.LBB1037_273:
	s_or_b64 exec, exec, s[6:7]
	v_and_b32_e32 v8, 0xff, v6
.LBB1037_274:
	s_or_b64 exec, exec, s[4:5]
	v_cmp_eq_u32_e32 vcc, 0, v1
	s_and_saveexec_b64 s[4:5], vcc
	s_cbranch_execz .LBB1037_276
; %bb.275:
	s_waitcnt lgkmcnt(1)
	v_lshrrev_b32_e32 v4, 2, v0
	v_and_b32_e32 v4, 16, v4
	ds_write_b8 v4, v6 offset:128
	ds_write_b64 v4, v[2:3] offset:136
.LBB1037_276:
	s_or_b64 exec, exec, s[4:5]
	v_cmp_gt_u32_e32 vcc, 2, v0
	s_waitcnt lgkmcnt(0)
	s_barrier
	s_and_saveexec_b64 s[4:5], vcc
	s_cbranch_execz .LBB1037_284
; %bb.277:
	v_lshlrev_b32_e32 v2, 4, v1
	ds_read_u8 v6, v2 offset:128
	ds_read_b64 v[2:3], v2 offset:136
	v_or_b32_e32 v5, 4, v9
	s_add_i32 s8, s8, 63
	v_and_b32_e32 v1, 1, v1
	s_waitcnt lgkmcnt(1)
	v_and_b32_e32 v8, 0xff, v6
	s_waitcnt lgkmcnt(0)
	ds_bpermute_b32 v4, v5, v2
	ds_bpermute_b32 v7, v5, v8
	;; [unrolled: 1-line block ×3, first 2 shown]
	s_lshr_b32 s6, s8, 6
	v_add_u32_e32 v1, 1, v1
	v_cmp_gt_u32_e32 vcc, s6, v1
	s_and_saveexec_b64 s[6:7], vcc
	s_cbranch_execz .LBB1037_283
; %bb.278:
	s_waitcnt lgkmcnt(1)
	v_and_b32_e32 v1, v8, v7
	v_and_b32_e32 v1, 1, v1
	v_cmp_eq_u32_e32 vcc, 1, v1
	s_and_saveexec_b64 s[8:9], vcc
	s_xor_b64 s[8:9], exec, s[8:9]
	s_cbranch_execz .LBB1037_280
; %bb.279:
	s_waitcnt lgkmcnt(0)
	v_cmp_lt_i64_e32 vcc, v[4:5], v[2:3]
                                        ; implicit-def: $vgpr6
                                        ; implicit-def: $vgpr7
	s_nop 1
	v_cndmask_b32_e32 v3, v3, v5, vcc
	v_cndmask_b32_e32 v2, v2, v4, vcc
                                        ; implicit-def: $vgpr4_vgpr5
.LBB1037_280:
	s_or_saveexec_b64 s[8:9], s[8:9]
	v_mov_b32_e32 v8, 1
	s_xor_b64 exec, exec, s[8:9]
	s_cbranch_execz .LBB1037_282
; %bb.281:
	v_and_b32_e32 v1, 1, v6
	v_cmp_eq_u32_e32 vcc, 1, v1
	s_waitcnt lgkmcnt(0)
	s_nop 0
	v_cndmask_b32_e32 v3, v5, v3, vcc
	v_cndmask_b32_e32 v2, v4, v2, vcc
	v_cndmask_b32_e64 v8, v7, 1, vcc
.LBB1037_282:
	s_or_b64 exec, exec, s[8:9]
.LBB1037_283:
	s_or_b64 exec, exec, s[6:7]
.LBB1037_284:
	s_or_b64 exec, exec, s[4:5]
.LBB1037_285:
	v_cmp_eq_u32_e32 vcc, 0, v0
                                        ; implicit-def: $vgpr4_vgpr5
                                        ; implicit-def: $vgpr6
	s_and_saveexec_b64 s[4:5], vcc
	s_xor_b64 s[8:9], exec, s[4:5]
	s_cbranch_execz .LBB1037_289
; %bb.286:
	s_cmp_eq_u64 s[22:23], 0
	s_waitcnt lgkmcnt(0)
	v_mov_b64_e32 v[4:5], s[18:19]
	v_mov_b32_e32 v6, s33
	s_cbranch_scc1 .LBB1037_288
; %bb.287:
	v_and_b32_e32 v1, 1, v8
	s_bitcmp1_b32 s33, 0
	v_cmp_eq_u32_e32 vcc, 1, v1
	v_cmp_gt_i64_e64 s[4:5], s[18:19], v[2:3]
	s_cselect_b64 s[6:7], -1, 0
	v_mov_b32_e32 v1, s18
	s_and_b64 vcc, vcc, s[4:5]
	v_mov_b32_e32 v4, s19
	v_cndmask_b32_e32 v1, v1, v2, vcc
	v_cndmask_b32_e32 v4, v4, v3, vcc
	v_cndmask_b32_e64 v6, v8, 1, s[6:7]
	v_cndmask_b32_e64 v5, v3, v4, s[6:7]
	;; [unrolled: 1-line block ×3, first 2 shown]
.LBB1037_288:
	s_or_b64 s[12:13], s[12:13], exec
.LBB1037_289:
	s_or_b64 exec, exec, s[8:9]
	v_mov_b64_e32 v[2:3], s[2:3]
	s_branch .LBB1037_306
.LBB1037_290:
	s_cmp_eq_u32 s40, 1
	s_cbranch_scc0 .LBB1037_305
; %bb.291:
	s_mov_b32 s9, 0
	s_lshl_b32 s8, s2, 7
	s_mov_b32 s3, s9
	s_lshr_b64 s[4:5], s[22:23], 7
	s_cmp_lg_u64 s[4:5], s[2:3]
	s_cbranch_scc0 .LBB1037_309
; %bb.292:
	s_lshl_b64 s[4:5], s[8:9], 1
	s_add_u32 s6, s24, s4
	s_addc_u32 s7, s25, s5
	s_add_u32 s4, s26, s4
	v_lshlrev_b32_e32 v1, 1, v0
	s_addc_u32 s5, s27, s5
	s_waitcnt lgkmcnt(1)
	global_load_ushort v6, v1, s[6:7]
	s_waitcnt lgkmcnt(0)
	global_load_ushort v7, v1, s[4:5]
	s_add_u32 s4, s20, s8
	v_mov_b32_e32 v1, 0
	s_addc_u32 s5, s21, 0
	v_lshl_add_u64 v[2:3], s[4:5], 0, v[0:1]
                                        ; implicit-def: $vgpr8
	s_waitcnt vmcnt(0)
	v_cmp_ne_u16_e64 s[4:5], v6, v7
	v_mov_b32_dpp v4, v2 quad_perm:[1,0,3,2] row_mask:0xf bank_mask:0xf bound_ctrl:1
	v_mov_b32_dpp v5, v3 quad_perm:[1,0,3,2] row_mask:0xf bank_mask:0xf bound_ctrl:1
	v_cndmask_b32_e64 v1, 0, 1, s[4:5]
	v_cmp_lt_i64_e32 vcc, v[2:3], v[4:5]
	s_and_b64 vcc, s[4:5], vcc
	v_mov_b32_dpp v1, v1 quad_perm:[1,0,3,2] row_mask:0xf bank_mask:0xf bound_ctrl:1
	v_and_b32_e32 v1, 1, v1
	v_cndmask_b32_e32 v4, v4, v2, vcc
	v_cndmask_b32_e32 v5, v5, v3, vcc
	v_cmp_eq_u32_e32 vcc, 1, v1
	s_or_b64 s[4:5], vcc, s[4:5]
	v_cndmask_b32_e64 v1, 0, 1, s[4:5]
	v_cndmask_b32_e32 v5, v3, v5, vcc
	v_cndmask_b32_e32 v4, v2, v4, vcc
	v_mov_b32_dpp v1, v1 quad_perm:[2,3,0,1] row_mask:0xf bank_mask:0xf bound_ctrl:1
	v_and_b32_e32 v1, 1, v1
	v_cmp_eq_u32_e32 vcc, 1, v1
	s_and_b64 s[6:7], vcc, s[4:5]
	v_mov_b32_dpp v6, v4 quad_perm:[2,3,0,1] row_mask:0xf bank_mask:0xf bound_ctrl:1
	v_mov_b32_dpp v7, v5 quad_perm:[2,3,0,1] row_mask:0xf bank_mask:0xf bound_ctrl:1
	s_xor_b64 s[6:7], s[6:7], -1
                                        ; implicit-def: $vgpr2_vgpr3
	s_and_saveexec_b64 s[10:11], s[6:7]
	s_xor_b64 s[6:7], exec, s[10:11]
; %bb.293:
	s_or_b64 s[4:5], vcc, s[4:5]
	v_cndmask_b32_e32 v3, v5, v7, vcc
	v_cndmask_b32_e32 v2, v4, v6, vcc
	v_cndmask_b32_e64 v8, 0, 1, s[4:5]
                                        ; implicit-def: $vgpr4_vgpr5
                                        ; implicit-def: $vgpr6_vgpr7
; %bb.294:
	s_andn2_saveexec_b64 s[4:5], s[6:7]
; %bb.295:
	v_cmp_lt_i64_e32 vcc, v[4:5], v[6:7]
	v_mov_b32_e32 v8, 1
	s_nop 0
	v_cndmask_b32_e32 v3, v7, v5, vcc
	v_cndmask_b32_e32 v2, v6, v4, vcc
; %bb.296:
	s_or_b64 exec, exec, s[4:5]
	s_nop 0
	v_mov_b32_dpp v4, v2 row_ror:4 row_mask:0xf bank_mask:0xf bound_ctrl:1
	v_mov_b32_dpp v5, v3 row_ror:4 row_mask:0xf bank_mask:0xf bound_ctrl:1
	v_and_b32_e32 v7, 1, v8
	v_mov_b32_dpp v6, v8 row_ror:4 row_mask:0xf bank_mask:0xf bound_ctrl:1
	v_cmp_eq_u32_e32 vcc, 1, v7
	v_cmp_lt_i64_e64 s[4:5], v[2:3], v[4:5]
	v_and_b32_e32 v6, 1, v6
	s_and_b64 vcc, vcc, s[4:5]
	v_cmp_eq_u32_e64 s[6:7], 1, v6
	v_cndmask_b32_e32 v4, v4, v2, vcc
	v_cndmask_b32_e32 v5, v5, v3, vcc
	v_cndmask_b32_e64 v6, v8, 1, s[6:7]
	v_cndmask_b32_e64 v3, v3, v5, s[6:7]
	v_cndmask_b32_e64 v2, v2, v4, s[6:7]
	v_and_b32_e32 v8, 1, v6
	v_mov_b32_dpp v5, v3 row_ror:8 row_mask:0xf bank_mask:0xf bound_ctrl:1
	v_mov_b32_dpp v4, v2 row_ror:8 row_mask:0xf bank_mask:0xf bound_ctrl:1
	;; [unrolled: 1-line block ×3, first 2 shown]
	v_cmp_eq_u32_e32 vcc, 1, v8
	v_cmp_lt_i64_e64 s[4:5], v[2:3], v[4:5]
	v_and_b32_e32 v7, 1, v7
	s_and_b64 vcc, vcc, s[4:5]
	v_cmp_eq_u32_e64 s[6:7], 1, v7
	v_cndmask_b32_e32 v4, v4, v2, vcc
	v_cndmask_b32_e32 v5, v5, v3, vcc
	v_cndmask_b32_e64 v6, v6, 1, s[6:7]
	v_cndmask_b32_e64 v3, v3, v5, s[6:7]
	v_cndmask_b32_e64 v2, v2, v4, s[6:7]
	v_and_b32_e32 v8, 1, v6
	v_mov_b32_dpp v5, v3 row_bcast:15 row_mask:0xf bank_mask:0xf bound_ctrl:1
	v_mov_b32_dpp v4, v2 row_bcast:15 row_mask:0xf bank_mask:0xf bound_ctrl:1
	;; [unrolled: 1-line block ×3, first 2 shown]
	v_cmp_eq_u32_e32 vcc, 1, v8
	v_cmp_lt_i64_e64 s[4:5], v[2:3], v[4:5]
	v_and_b32_e32 v7, 1, v7
	s_and_b64 vcc, vcc, s[4:5]
	v_cmp_eq_u32_e64 s[6:7], 1, v7
	v_cndmask_b32_e32 v4, v4, v2, vcc
	v_cndmask_b32_e32 v5, v5, v3, vcc
	v_cndmask_b32_e64 v6, v6, 1, s[6:7]
	v_cndmask_b32_e64 v3, v3, v5, s[6:7]
	v_cndmask_b32_e64 v2, v2, v4, s[6:7]
	v_mov_b32_dpp v7, v6 row_bcast:31 row_mask:0xf bank_mask:0xf bound_ctrl:1
	v_mov_b32_dpp v5, v3 row_bcast:31 row_mask:0xf bank_mask:0xf bound_ctrl:1
	;; [unrolled: 1-line block ×3, first 2 shown]
	v_and_b32_e32 v8, 1, v6
	v_mbcnt_lo_u32_b32 v1, -1, 0
	v_and_b32_e32 v7, 1, v7
	v_cmp_eq_u32_e32 vcc, 1, v8
	v_cmp_lt_i64_e64 s[4:5], v[2:3], v[4:5]
	v_mbcnt_hi_u32_b32 v1, -1, v1
	v_cmp_eq_u32_e64 s[6:7], 1, v7
	s_and_b64 vcc, vcc, s[4:5]
	v_cndmask_b32_e32 v4, v4, v2, vcc
	v_cndmask_b32_e64 v7, v6, 1, s[6:7]
	v_cndmask_b32_e32 v5, v5, v3, vcc
	v_lshlrev_b32_e32 v6, 2, v1
	v_cndmask_b32_e64 v3, v3, v5, s[6:7]
	v_cndmask_b32_e64 v2, v2, v4, s[6:7]
	v_or_b32_e32 v4, 0xfc, v6
	ds_bpermute_b32 v8, v4, v7
	ds_bpermute_b32 v2, v4, v2
	;; [unrolled: 1-line block ×3, first 2 shown]
	v_cmp_eq_u32_e32 vcc, 0, v1
	s_and_saveexec_b64 s[4:5], vcc
	s_cbranch_execz .LBB1037_298
; %bb.297:
	v_lshrrev_b32_e32 v4, 2, v0
	v_and_b32_e32 v4, 16, v4
	s_waitcnt lgkmcnt(2)
	ds_write_b8 v4, v8
	s_waitcnt lgkmcnt(1)
	ds_write_b64 v4, v[2:3] offset:8
.LBB1037_298:
	s_or_b64 exec, exec, s[4:5]
	v_cmp_gt_u32_e32 vcc, 64, v0
	s_waitcnt lgkmcnt(0)
	s_barrier
	s_and_saveexec_b64 s[4:5], vcc
	s_cbranch_execz .LBB1037_304
; %bb.299:
	v_and_b32_e32 v1, 1, v1
	v_lshlrev_b32_e32 v2, 4, v1
	ds_read_u8 v1, v2
	ds_read_b64 v[4:5], v2 offset:8
	v_or_b32_e32 v3, 4, v6
	s_waitcnt lgkmcnt(1)
	v_and_b32_e32 v2, 0xff, v1
	ds_bpermute_b32 v9, v3, v2
	s_waitcnt lgkmcnt(1)
	ds_bpermute_b32 v6, v3, v4
	ds_bpermute_b32 v7, v3, v5
	s_waitcnt lgkmcnt(2)
	v_and_b32_e32 v2, v1, v9
	v_and_b32_e32 v2, 1, v2
	v_cmp_eq_u32_e32 vcc, 1, v2
                                        ; implicit-def: $vgpr2_vgpr3
	s_and_saveexec_b64 s[6:7], vcc
	s_xor_b64 s[6:7], exec, s[6:7]
	s_cbranch_execz .LBB1037_301
; %bb.300:
	s_waitcnt lgkmcnt(0)
	v_cmp_lt_i64_e32 vcc, v[6:7], v[4:5]
                                        ; implicit-def: $vgpr1
                                        ; implicit-def: $vgpr9
	s_nop 1
	v_cndmask_b32_e32 v3, v5, v7, vcc
	v_cndmask_b32_e32 v2, v4, v6, vcc
                                        ; implicit-def: $vgpr6_vgpr7
                                        ; implicit-def: $vgpr4_vgpr5
.LBB1037_301:
	s_or_saveexec_b64 s[6:7], s[6:7]
	v_mov_b32_e32 v8, 1
	s_xor_b64 exec, exec, s[6:7]
	s_cbranch_execz .LBB1037_303
; %bb.302:
	v_and_b32_e32 v1, 1, v1
	v_cmp_eq_u32_e32 vcc, 1, v1
	s_waitcnt lgkmcnt(0)
	s_nop 0
	v_cndmask_b32_e32 v3, v7, v5, vcc
	v_cndmask_b32_e32 v2, v6, v4, vcc
	v_cndmask_b32_e64 v8, v9, 1, vcc
.LBB1037_303:
	s_or_b64 exec, exec, s[6:7]
.LBB1037_304:
	s_or_b64 exec, exec, s[4:5]
	s_branch .LBB1037_359
.LBB1037_305:
                                        ; implicit-def: $vgpr4_vgpr5
                                        ; implicit-def: $vgpr6
                                        ; implicit-def: $vgpr2_vgpr3
.LBB1037_306:
	s_and_saveexec_b64 s[2:3], s[12:13]
	s_cbranch_execz .LBB1037_308
.LBB1037_307:
	s_load_dwordx2 s[0:1], s[0:1], 0x38
	v_lshlrev_b64 v[0:1], 4, v[2:3]
	s_waitcnt lgkmcnt(0)
	v_lshl_add_u64 v[0:1], s[0:1], 0, v[0:1]
	global_store_byte v[0:1], v6, off
	global_store_dwordx2 v[0:1], v[4:5], off offset:8
.LBB1037_308:
	s_endpgm
.LBB1037_309:
                                        ; implicit-def: $vgpr2_vgpr3
                                        ; implicit-def: $vgpr8
	s_cbranch_execz .LBB1037_359
; %bb.310:
	s_sub_i32 s6, s22, s8
	v_cmp_gt_u32_e32 vcc, s6, v0
	v_mov_b32_e32 v9, 0
	v_mov_b64_e32 v[2:3], 0
	s_and_saveexec_b64 s[4:5], vcc
	s_cbranch_execz .LBB1037_312
; %bb.311:
	s_lshl_b64 s[10:11], s[8:9], 1
	s_add_u32 s14, s26, s10
	s_addc_u32 s15, s27, s11
	s_add_u32 s10, s24, s10
	s_addc_u32 s11, s25, s11
	v_lshlrev_b32_e32 v1, 1, v0
	s_waitcnt lgkmcnt(2)
	global_load_ushort v4, v1, s[10:11]
	s_waitcnt lgkmcnt(0)
	global_load_ushort v5, v1, s[14:15]
	s_add_u32 s8, s20, s8
	v_mov_b32_e32 v1, 0
	s_addc_u32 s9, s21, 0
	v_lshl_add_u64 v[2:3], s[8:9], 0, v[0:1]
	s_waitcnt vmcnt(0)
	v_cmp_ne_u16_e32 vcc, v4, v5
	s_nop 1
	v_cndmask_b32_e64 v9, 0, 1, vcc
.LBB1037_312:
	s_or_b64 exec, exec, s[4:5]
	v_mbcnt_lo_u32_b32 v1, -1, 0
	v_mbcnt_hi_u32_b32 v1, -1, v1
	s_waitcnt lgkmcnt(1)
	v_and_b32_e32 v6, 63, v1
	v_cmp_ne_u32_e32 vcc, 63, v6
	v_and_b32_e32 v8, 0xffff, v9
	s_min_u32 s8, s6, 0x80
	v_addc_co_u32_e32 v4, vcc, 0, v1, vcc
	s_waitcnt lgkmcnt(0)
	v_lshlrev_b32_e32 v5, 2, v4
	ds_bpermute_b32 v10, v5, v8
	ds_bpermute_b32 v4, v5, v2
	;; [unrolled: 1-line block ×3, first 2 shown]
	v_and_b32_e32 v7, 64, v0
	v_sub_u32_e64 v7, s8, v7 clamp
	v_add_u32_e32 v11, 1, v6
	v_cmp_lt_u32_e32 vcc, v11, v7
	s_and_saveexec_b64 s[4:5], vcc
	s_cbranch_execz .LBB1037_318
; %bb.313:
	s_waitcnt lgkmcnt(2)
	v_and_b32_e32 v8, v10, v8
	v_and_b32_e32 v8, 1, v8
	v_cmp_eq_u32_e32 vcc, 1, v8
	s_and_saveexec_b64 s[6:7], vcc
	s_xor_b64 s[6:7], exec, s[6:7]
	s_cbranch_execz .LBB1037_315
; %bb.314:
	s_waitcnt lgkmcnt(0)
	v_cmp_lt_i64_e32 vcc, v[4:5], v[2:3]
                                        ; implicit-def: $vgpr9
                                        ; implicit-def: $vgpr10
	s_nop 1
	v_cndmask_b32_e32 v3, v3, v5, vcc
	v_cndmask_b32_e32 v2, v2, v4, vcc
                                        ; implicit-def: $vgpr4_vgpr5
.LBB1037_315:
	s_or_saveexec_b64 s[6:7], s[6:7]
	v_mov_b32_e32 v8, 1
	s_xor_b64 exec, exec, s[6:7]
	s_cbranch_execz .LBB1037_317
; %bb.316:
	v_and_b32_e32 v8, 1, v9
	v_cmp_eq_u32_e32 vcc, 1, v8
	s_waitcnt lgkmcnt(1)
	s_nop 0
	v_cndmask_b32_e32 v2, v4, v2, vcc
	v_and_b32_e32 v4, 0xff, v10
	s_waitcnt lgkmcnt(0)
	v_cndmask_b32_e32 v3, v5, v3, vcc
	v_cndmask_b32_e64 v8, v4, 1, vcc
.LBB1037_317:
	s_or_b64 exec, exec, s[6:7]
.LBB1037_318:
	s_or_b64 exec, exec, s[4:5]
	v_cmp_gt_u32_e32 vcc, 62, v6
	s_waitcnt lgkmcnt(2)
	v_add_u32_e32 v10, 2, v6
	s_waitcnt lgkmcnt(1)
	v_cndmask_b32_e64 v4, 0, 2, vcc
	s_waitcnt lgkmcnt(0)
	v_add_lshl_u32 v5, v4, v1, 2
	ds_bpermute_b32 v9, v5, v8
	ds_bpermute_b32 v4, v5, v2
	ds_bpermute_b32 v5, v5, v3
	v_cmp_lt_u32_e32 vcc, v10, v7
	s_and_saveexec_b64 s[4:5], vcc
	s_cbranch_execz .LBB1037_324
; %bb.319:
	s_waitcnt lgkmcnt(2)
	v_and_b32_e32 v10, v8, v9
	v_and_b32_e32 v10, 1, v10
	v_cmp_eq_u32_e32 vcc, 1, v10
	s_and_saveexec_b64 s[6:7], vcc
	s_xor_b64 s[6:7], exec, s[6:7]
	s_cbranch_execz .LBB1037_321
; %bb.320:
	s_waitcnt lgkmcnt(0)
	v_cmp_lt_i64_e32 vcc, v[4:5], v[2:3]
                                        ; implicit-def: $vgpr8
                                        ; implicit-def: $vgpr9
	s_nop 1
	v_cndmask_b32_e32 v3, v3, v5, vcc
	v_cndmask_b32_e32 v2, v2, v4, vcc
                                        ; implicit-def: $vgpr4_vgpr5
.LBB1037_321:
	s_or_saveexec_b64 s[6:7], s[6:7]
	v_mov_b32_e32 v10, 1
	s_xor_b64 exec, exec, s[6:7]
	s_cbranch_execz .LBB1037_323
; %bb.322:
	v_and_b32_e32 v8, 1, v8
	v_cmp_eq_u32_e32 vcc, 1, v8
	s_waitcnt lgkmcnt(1)
	s_nop 0
	v_cndmask_b32_e32 v2, v4, v2, vcc
	v_and_b32_e32 v4, 0xff, v9
	s_waitcnt lgkmcnt(0)
	v_cndmask_b32_e32 v3, v5, v3, vcc
	v_cndmask_b32_e64 v10, v4, 1, vcc
.LBB1037_323:
	s_or_b64 exec, exec, s[6:7]
	v_mov_b32_e32 v8, v10
.LBB1037_324:
	s_or_b64 exec, exec, s[4:5]
	v_cmp_gt_u32_e32 vcc, 60, v6
	v_add_u32_e32 v10, 4, v6
	s_waitcnt lgkmcnt(1)
	v_cndmask_b32_e64 v4, 0, 4, vcc
	s_waitcnt lgkmcnt(0)
	v_add_lshl_u32 v5, v4, v1, 2
	ds_bpermute_b32 v9, v5, v8
	ds_bpermute_b32 v4, v5, v2
	ds_bpermute_b32 v5, v5, v3
	v_cmp_lt_u32_e32 vcc, v10, v7
	s_and_saveexec_b64 s[4:5], vcc
	s_cbranch_execz .LBB1037_330
; %bb.325:
	s_waitcnt lgkmcnt(2)
	v_and_b32_e32 v10, v8, v9
	v_and_b32_e32 v10, 1, v10
	v_cmp_eq_u32_e32 vcc, 1, v10
	s_and_saveexec_b64 s[6:7], vcc
	s_xor_b64 s[6:7], exec, s[6:7]
	s_cbranch_execz .LBB1037_327
; %bb.326:
	s_waitcnt lgkmcnt(0)
	v_cmp_lt_i64_e32 vcc, v[4:5], v[2:3]
                                        ; implicit-def: $vgpr8
                                        ; implicit-def: $vgpr9
	s_nop 1
	v_cndmask_b32_e32 v3, v3, v5, vcc
	v_cndmask_b32_e32 v2, v2, v4, vcc
                                        ; implicit-def: $vgpr4_vgpr5
.LBB1037_327:
	s_or_saveexec_b64 s[6:7], s[6:7]
	v_mov_b32_e32 v10, 1
	s_xor_b64 exec, exec, s[6:7]
	s_cbranch_execz .LBB1037_329
; %bb.328:
	v_and_b32_e32 v8, 1, v8
	v_cmp_eq_u32_e32 vcc, 1, v8
	s_waitcnt lgkmcnt(1)
	s_nop 0
	v_cndmask_b32_e32 v2, v4, v2, vcc
	v_and_b32_e32 v4, 0xff, v9
	s_waitcnt lgkmcnt(0)
	v_cndmask_b32_e32 v3, v5, v3, vcc
	v_cndmask_b32_e64 v10, v4, 1, vcc
.LBB1037_329:
	s_or_b64 exec, exec, s[6:7]
	v_mov_b32_e32 v8, v10
.LBB1037_330:
	s_or_b64 exec, exec, s[4:5]
	v_cmp_gt_u32_e32 vcc, 56, v6
	;; [unrolled: 49-line block ×3, first 2 shown]
	v_add_u32_e32 v10, 16, v6
	s_waitcnt lgkmcnt(1)
	v_cndmask_b32_e64 v4, 0, 16, vcc
	s_waitcnt lgkmcnt(0)
	v_add_lshl_u32 v5, v4, v1, 2
	ds_bpermute_b32 v9, v5, v8
	ds_bpermute_b32 v4, v5, v2
	;; [unrolled: 1-line block ×3, first 2 shown]
	v_cmp_lt_u32_e32 vcc, v10, v7
	s_and_saveexec_b64 s[4:5], vcc
	s_cbranch_execz .LBB1037_342
; %bb.337:
	s_waitcnt lgkmcnt(2)
	v_and_b32_e32 v10, v8, v9
	v_and_b32_e32 v10, 1, v10
	v_cmp_eq_u32_e32 vcc, 1, v10
	s_and_saveexec_b64 s[6:7], vcc
	s_xor_b64 s[6:7], exec, s[6:7]
	s_cbranch_execz .LBB1037_339
; %bb.338:
	s_waitcnt lgkmcnt(0)
	v_cmp_lt_i64_e32 vcc, v[4:5], v[2:3]
                                        ; implicit-def: $vgpr8
                                        ; implicit-def: $vgpr9
	s_nop 1
	v_cndmask_b32_e32 v3, v3, v5, vcc
	v_cndmask_b32_e32 v2, v2, v4, vcc
                                        ; implicit-def: $vgpr4_vgpr5
.LBB1037_339:
	s_or_saveexec_b64 s[6:7], s[6:7]
	v_mov_b32_e32 v10, 1
	s_xor_b64 exec, exec, s[6:7]
	s_cbranch_execz .LBB1037_341
; %bb.340:
	v_and_b32_e32 v8, 1, v8
	v_cmp_eq_u32_e32 vcc, 1, v8
	s_waitcnt lgkmcnt(1)
	s_nop 0
	v_cndmask_b32_e32 v2, v4, v2, vcc
	v_and_b32_e32 v4, 0xff, v9
	s_waitcnt lgkmcnt(0)
	v_cndmask_b32_e32 v3, v5, v3, vcc
	v_cndmask_b32_e64 v10, v4, 1, vcc
.LBB1037_341:
	s_or_b64 exec, exec, s[6:7]
	v_mov_b32_e32 v8, v10
.LBB1037_342:
	s_or_b64 exec, exec, s[4:5]
	s_waitcnt lgkmcnt(2)
	v_lshlrev_b32_e32 v9, 2, v1
	s_waitcnt lgkmcnt(0)
	v_or_b32_e32 v5, 0x80, v9
	ds_bpermute_b32 v10, v5, v8
	ds_bpermute_b32 v4, v5, v2
	;; [unrolled: 1-line block ×3, first 2 shown]
	v_add_u32_e32 v6, 32, v6
	v_cmp_lt_u32_e32 vcc, v6, v7
	v_mov_b32_e32 v6, v8
	s_and_saveexec_b64 s[4:5], vcc
	s_cbranch_execz .LBB1037_348
; %bb.343:
	s_waitcnt lgkmcnt(2)
	v_and_b32_e32 v6, v8, v10
	v_and_b32_e32 v6, 1, v6
	v_cmp_eq_u32_e32 vcc, 1, v6
	s_and_saveexec_b64 s[6:7], vcc
	s_xor_b64 s[6:7], exec, s[6:7]
	s_cbranch_execz .LBB1037_345
; %bb.344:
	s_waitcnt lgkmcnt(0)
	v_cmp_lt_i64_e32 vcc, v[4:5], v[2:3]
                                        ; implicit-def: $vgpr8
                                        ; implicit-def: $vgpr10
	s_nop 1
	v_cndmask_b32_e32 v3, v3, v5, vcc
	v_cndmask_b32_e32 v2, v2, v4, vcc
                                        ; implicit-def: $vgpr4_vgpr5
.LBB1037_345:
	s_or_saveexec_b64 s[6:7], s[6:7]
	v_mov_b32_e32 v6, 1
	s_xor_b64 exec, exec, s[6:7]
	s_cbranch_execz .LBB1037_347
; %bb.346:
	v_and_b32_e32 v6, 1, v8
	v_cmp_eq_u32_e32 vcc, 1, v6
	s_nop 1
	v_cndmask_b32_e64 v6, v10, 1, vcc
	s_waitcnt lgkmcnt(0)
	v_cndmask_b32_e32 v3, v5, v3, vcc
	v_cndmask_b32_e32 v2, v4, v2, vcc
.LBB1037_347:
	s_or_b64 exec, exec, s[6:7]
	v_and_b32_e32 v8, 0xff, v6
.LBB1037_348:
	s_or_b64 exec, exec, s[4:5]
	v_cmp_eq_u32_e32 vcc, 0, v1
	s_and_saveexec_b64 s[4:5], vcc
	s_cbranch_execz .LBB1037_350
; %bb.349:
	s_waitcnt lgkmcnt(1)
	v_lshrrev_b32_e32 v4, 2, v0
	v_and_b32_e32 v4, 16, v4
	ds_write_b8 v4, v6 offset:128
	ds_write_b64 v4, v[2:3] offset:136
.LBB1037_350:
	s_or_b64 exec, exec, s[4:5]
	v_cmp_gt_u32_e32 vcc, 2, v0
	s_waitcnt lgkmcnt(0)
	s_barrier
	s_and_saveexec_b64 s[4:5], vcc
	s_cbranch_execz .LBB1037_358
; %bb.351:
	v_lshlrev_b32_e32 v2, 4, v1
	ds_read_u8 v6, v2 offset:128
	ds_read_b64 v[2:3], v2 offset:136
	v_or_b32_e32 v5, 4, v9
	s_add_i32 s8, s8, 63
	v_and_b32_e32 v1, 1, v1
	s_waitcnt lgkmcnt(1)
	v_and_b32_e32 v8, 0xff, v6
	s_waitcnt lgkmcnt(0)
	ds_bpermute_b32 v4, v5, v2
	ds_bpermute_b32 v7, v5, v8
	;; [unrolled: 1-line block ×3, first 2 shown]
	s_lshr_b32 s6, s8, 6
	v_add_u32_e32 v1, 1, v1
	v_cmp_gt_u32_e32 vcc, s6, v1
	s_and_saveexec_b64 s[6:7], vcc
	s_cbranch_execz .LBB1037_357
; %bb.352:
	s_waitcnt lgkmcnt(1)
	v_and_b32_e32 v1, v8, v7
	v_and_b32_e32 v1, 1, v1
	v_cmp_eq_u32_e32 vcc, 1, v1
	s_and_saveexec_b64 s[8:9], vcc
	s_xor_b64 s[8:9], exec, s[8:9]
	s_cbranch_execz .LBB1037_354
; %bb.353:
	s_waitcnt lgkmcnt(0)
	v_cmp_lt_i64_e32 vcc, v[4:5], v[2:3]
                                        ; implicit-def: $vgpr6
                                        ; implicit-def: $vgpr7
	s_nop 1
	v_cndmask_b32_e32 v3, v3, v5, vcc
	v_cndmask_b32_e32 v2, v2, v4, vcc
                                        ; implicit-def: $vgpr4_vgpr5
.LBB1037_354:
	s_or_saveexec_b64 s[8:9], s[8:9]
	v_mov_b32_e32 v8, 1
	s_xor_b64 exec, exec, s[8:9]
	s_cbranch_execz .LBB1037_356
; %bb.355:
	v_and_b32_e32 v1, 1, v6
	v_cmp_eq_u32_e32 vcc, 1, v1
	s_waitcnt lgkmcnt(0)
	s_nop 0
	v_cndmask_b32_e32 v3, v5, v3, vcc
	v_cndmask_b32_e32 v2, v4, v2, vcc
	v_cndmask_b32_e64 v8, v7, 1, vcc
.LBB1037_356:
	s_or_b64 exec, exec, s[8:9]
.LBB1037_357:
	s_or_b64 exec, exec, s[6:7]
.LBB1037_358:
	s_or_b64 exec, exec, s[4:5]
.LBB1037_359:
	v_cmp_eq_u32_e32 vcc, 0, v0
                                        ; implicit-def: $vgpr4_vgpr5
                                        ; implicit-def: $vgpr6
	s_and_saveexec_b64 s[8:9], vcc
	s_cbranch_execz .LBB1037_363
; %bb.360:
	s_cmp_eq_u64 s[22:23], 0
	s_waitcnt lgkmcnt(0)
	v_mov_b64_e32 v[4:5], s[18:19]
	v_mov_b32_e32 v6, s33
	s_cbranch_scc1 .LBB1037_362
; %bb.361:
	v_and_b32_e32 v0, 1, v8
	s_bitcmp1_b32 s33, 0
	v_cmp_eq_u32_e32 vcc, 1, v0
	v_cmp_gt_i64_e64 s[4:5], s[18:19], v[2:3]
	s_cselect_b64 s[6:7], -1, 0
	v_mov_b32_e32 v0, s18
	s_and_b64 vcc, vcc, s[4:5]
	v_mov_b32_e32 v1, s19
	v_cndmask_b32_e32 v0, v0, v2, vcc
	v_cndmask_b32_e32 v1, v1, v3, vcc
	v_cndmask_b32_e64 v6, v8, 1, s[6:7]
	v_cndmask_b32_e64 v5, v3, v1, s[6:7]
	;; [unrolled: 1-line block ×3, first 2 shown]
.LBB1037_362:
	s_or_b64 s[12:13], s[12:13], exec
.LBB1037_363:
	s_or_b64 exec, exec, s[8:9]
	v_mov_b64_e32 v[2:3], s[2:3]
	s_and_saveexec_b64 s[2:3], s[12:13]
	s_cbranch_execnz .LBB1037_307
	s_branch .LBB1037_308
	.section	.rodata,"a",@progbits
	.p2align	6, 0x0
	.amdhsa_kernel _ZN7rocprim17ROCPRIM_400000_NS6detail17trampoline_kernelINS0_14default_configENS1_22reduce_config_selectorIN6thrust23THRUST_200600_302600_NS5tupleIblNS6_9null_typeES8_S8_S8_S8_S8_S8_S8_EEEEZNS1_11reduce_implILb1ES3_NS6_12zip_iteratorINS7_INS6_11hip_rocprim26transform_input_iterator_tIbNSD_35transform_pair_of_input_iterators_tIbNS6_6detail15normal_iteratorINS6_10device_ptrIKtEEEESL_NS6_8equal_toItEEEENSG_9not_fun_tINSD_8identityEEEEENSD_19counting_iterator_tIlEES8_S8_S8_S8_S8_S8_S8_S8_EEEEPS9_S9_NSD_9__find_if7functorIS9_EEEE10hipError_tPvRmT1_T2_T3_mT4_P12ihipStream_tbEUlT_E1_NS1_11comp_targetILNS1_3genE0ELNS1_11target_archE4294967295ELNS1_3gpuE0ELNS1_3repE0EEENS1_30default_config_static_selectorELNS0_4arch9wavefront6targetE1EEEvS14_
		.amdhsa_group_segment_fixed_size 160
		.amdhsa_private_segment_fixed_size 0
		.amdhsa_kernarg_size 88
		.amdhsa_user_sgpr_count 2
		.amdhsa_user_sgpr_dispatch_ptr 0
		.amdhsa_user_sgpr_queue_ptr 0
		.amdhsa_user_sgpr_kernarg_segment_ptr 1
		.amdhsa_user_sgpr_dispatch_id 0
		.amdhsa_user_sgpr_kernarg_preload_length 0
		.amdhsa_user_sgpr_kernarg_preload_offset 0
		.amdhsa_user_sgpr_private_segment_size 0
		.amdhsa_uses_dynamic_stack 0
		.amdhsa_enable_private_segment 0
		.amdhsa_system_sgpr_workgroup_id_x 1
		.amdhsa_system_sgpr_workgroup_id_y 0
		.amdhsa_system_sgpr_workgroup_id_z 0
		.amdhsa_system_sgpr_workgroup_info 0
		.amdhsa_system_vgpr_workitem_id 0
		.amdhsa_next_free_vgpr 29
		.amdhsa_next_free_sgpr 42
		.amdhsa_accum_offset 32
		.amdhsa_reserve_vcc 1
		.amdhsa_float_round_mode_32 0
		.amdhsa_float_round_mode_16_64 0
		.amdhsa_float_denorm_mode_32 3
		.amdhsa_float_denorm_mode_16_64 3
		.amdhsa_dx10_clamp 1
		.amdhsa_ieee_mode 1
		.amdhsa_fp16_overflow 0
		.amdhsa_tg_split 0
		.amdhsa_exception_fp_ieee_invalid_op 0
		.amdhsa_exception_fp_denorm_src 0
		.amdhsa_exception_fp_ieee_div_zero 0
		.amdhsa_exception_fp_ieee_overflow 0
		.amdhsa_exception_fp_ieee_underflow 0
		.amdhsa_exception_fp_ieee_inexact 0
		.amdhsa_exception_int_div_zero 0
	.end_amdhsa_kernel
	.section	.text._ZN7rocprim17ROCPRIM_400000_NS6detail17trampoline_kernelINS0_14default_configENS1_22reduce_config_selectorIN6thrust23THRUST_200600_302600_NS5tupleIblNS6_9null_typeES8_S8_S8_S8_S8_S8_S8_EEEEZNS1_11reduce_implILb1ES3_NS6_12zip_iteratorINS7_INS6_11hip_rocprim26transform_input_iterator_tIbNSD_35transform_pair_of_input_iterators_tIbNS6_6detail15normal_iteratorINS6_10device_ptrIKtEEEESL_NS6_8equal_toItEEEENSG_9not_fun_tINSD_8identityEEEEENSD_19counting_iterator_tIlEES8_S8_S8_S8_S8_S8_S8_S8_EEEEPS9_S9_NSD_9__find_if7functorIS9_EEEE10hipError_tPvRmT1_T2_T3_mT4_P12ihipStream_tbEUlT_E1_NS1_11comp_targetILNS1_3genE0ELNS1_11target_archE4294967295ELNS1_3gpuE0ELNS1_3repE0EEENS1_30default_config_static_selectorELNS0_4arch9wavefront6targetE1EEEvS14_,"axG",@progbits,_ZN7rocprim17ROCPRIM_400000_NS6detail17trampoline_kernelINS0_14default_configENS1_22reduce_config_selectorIN6thrust23THRUST_200600_302600_NS5tupleIblNS6_9null_typeES8_S8_S8_S8_S8_S8_S8_EEEEZNS1_11reduce_implILb1ES3_NS6_12zip_iteratorINS7_INS6_11hip_rocprim26transform_input_iterator_tIbNSD_35transform_pair_of_input_iterators_tIbNS6_6detail15normal_iteratorINS6_10device_ptrIKtEEEESL_NS6_8equal_toItEEEENSG_9not_fun_tINSD_8identityEEEEENSD_19counting_iterator_tIlEES8_S8_S8_S8_S8_S8_S8_S8_EEEEPS9_S9_NSD_9__find_if7functorIS9_EEEE10hipError_tPvRmT1_T2_T3_mT4_P12ihipStream_tbEUlT_E1_NS1_11comp_targetILNS1_3genE0ELNS1_11target_archE4294967295ELNS1_3gpuE0ELNS1_3repE0EEENS1_30default_config_static_selectorELNS0_4arch9wavefront6targetE1EEEvS14_,comdat
.Lfunc_end1037:
	.size	_ZN7rocprim17ROCPRIM_400000_NS6detail17trampoline_kernelINS0_14default_configENS1_22reduce_config_selectorIN6thrust23THRUST_200600_302600_NS5tupleIblNS6_9null_typeES8_S8_S8_S8_S8_S8_S8_EEEEZNS1_11reduce_implILb1ES3_NS6_12zip_iteratorINS7_INS6_11hip_rocprim26transform_input_iterator_tIbNSD_35transform_pair_of_input_iterators_tIbNS6_6detail15normal_iteratorINS6_10device_ptrIKtEEEESL_NS6_8equal_toItEEEENSG_9not_fun_tINSD_8identityEEEEENSD_19counting_iterator_tIlEES8_S8_S8_S8_S8_S8_S8_S8_EEEEPS9_S9_NSD_9__find_if7functorIS9_EEEE10hipError_tPvRmT1_T2_T3_mT4_P12ihipStream_tbEUlT_E1_NS1_11comp_targetILNS1_3genE0ELNS1_11target_archE4294967295ELNS1_3gpuE0ELNS1_3repE0EEENS1_30default_config_static_selectorELNS0_4arch9wavefront6targetE1EEEvS14_, .Lfunc_end1037-_ZN7rocprim17ROCPRIM_400000_NS6detail17trampoline_kernelINS0_14default_configENS1_22reduce_config_selectorIN6thrust23THRUST_200600_302600_NS5tupleIblNS6_9null_typeES8_S8_S8_S8_S8_S8_S8_EEEEZNS1_11reduce_implILb1ES3_NS6_12zip_iteratorINS7_INS6_11hip_rocprim26transform_input_iterator_tIbNSD_35transform_pair_of_input_iterators_tIbNS6_6detail15normal_iteratorINS6_10device_ptrIKtEEEESL_NS6_8equal_toItEEEENSG_9not_fun_tINSD_8identityEEEEENSD_19counting_iterator_tIlEES8_S8_S8_S8_S8_S8_S8_S8_EEEEPS9_S9_NSD_9__find_if7functorIS9_EEEE10hipError_tPvRmT1_T2_T3_mT4_P12ihipStream_tbEUlT_E1_NS1_11comp_targetILNS1_3genE0ELNS1_11target_archE4294967295ELNS1_3gpuE0ELNS1_3repE0EEENS1_30default_config_static_selectorELNS0_4arch9wavefront6targetE1EEEvS14_
                                        ; -- End function
	.set _ZN7rocprim17ROCPRIM_400000_NS6detail17trampoline_kernelINS0_14default_configENS1_22reduce_config_selectorIN6thrust23THRUST_200600_302600_NS5tupleIblNS6_9null_typeES8_S8_S8_S8_S8_S8_S8_EEEEZNS1_11reduce_implILb1ES3_NS6_12zip_iteratorINS7_INS6_11hip_rocprim26transform_input_iterator_tIbNSD_35transform_pair_of_input_iterators_tIbNS6_6detail15normal_iteratorINS6_10device_ptrIKtEEEESL_NS6_8equal_toItEEEENSG_9not_fun_tINSD_8identityEEEEENSD_19counting_iterator_tIlEES8_S8_S8_S8_S8_S8_S8_S8_EEEEPS9_S9_NSD_9__find_if7functorIS9_EEEE10hipError_tPvRmT1_T2_T3_mT4_P12ihipStream_tbEUlT_E1_NS1_11comp_targetILNS1_3genE0ELNS1_11target_archE4294967295ELNS1_3gpuE0ELNS1_3repE0EEENS1_30default_config_static_selectorELNS0_4arch9wavefront6targetE1EEEvS14_.num_vgpr, 29
	.set _ZN7rocprim17ROCPRIM_400000_NS6detail17trampoline_kernelINS0_14default_configENS1_22reduce_config_selectorIN6thrust23THRUST_200600_302600_NS5tupleIblNS6_9null_typeES8_S8_S8_S8_S8_S8_S8_EEEEZNS1_11reduce_implILb1ES3_NS6_12zip_iteratorINS7_INS6_11hip_rocprim26transform_input_iterator_tIbNSD_35transform_pair_of_input_iterators_tIbNS6_6detail15normal_iteratorINS6_10device_ptrIKtEEEESL_NS6_8equal_toItEEEENSG_9not_fun_tINSD_8identityEEEEENSD_19counting_iterator_tIlEES8_S8_S8_S8_S8_S8_S8_S8_EEEEPS9_S9_NSD_9__find_if7functorIS9_EEEE10hipError_tPvRmT1_T2_T3_mT4_P12ihipStream_tbEUlT_E1_NS1_11comp_targetILNS1_3genE0ELNS1_11target_archE4294967295ELNS1_3gpuE0ELNS1_3repE0EEENS1_30default_config_static_selectorELNS0_4arch9wavefront6targetE1EEEvS14_.num_agpr, 0
	.set _ZN7rocprim17ROCPRIM_400000_NS6detail17trampoline_kernelINS0_14default_configENS1_22reduce_config_selectorIN6thrust23THRUST_200600_302600_NS5tupleIblNS6_9null_typeES8_S8_S8_S8_S8_S8_S8_EEEEZNS1_11reduce_implILb1ES3_NS6_12zip_iteratorINS7_INS6_11hip_rocprim26transform_input_iterator_tIbNSD_35transform_pair_of_input_iterators_tIbNS6_6detail15normal_iteratorINS6_10device_ptrIKtEEEESL_NS6_8equal_toItEEEENSG_9not_fun_tINSD_8identityEEEEENSD_19counting_iterator_tIlEES8_S8_S8_S8_S8_S8_S8_S8_EEEEPS9_S9_NSD_9__find_if7functorIS9_EEEE10hipError_tPvRmT1_T2_T3_mT4_P12ihipStream_tbEUlT_E1_NS1_11comp_targetILNS1_3genE0ELNS1_11target_archE4294967295ELNS1_3gpuE0ELNS1_3repE0EEENS1_30default_config_static_selectorELNS0_4arch9wavefront6targetE1EEEvS14_.numbered_sgpr, 42
	.set _ZN7rocprim17ROCPRIM_400000_NS6detail17trampoline_kernelINS0_14default_configENS1_22reduce_config_selectorIN6thrust23THRUST_200600_302600_NS5tupleIblNS6_9null_typeES8_S8_S8_S8_S8_S8_S8_EEEEZNS1_11reduce_implILb1ES3_NS6_12zip_iteratorINS7_INS6_11hip_rocprim26transform_input_iterator_tIbNSD_35transform_pair_of_input_iterators_tIbNS6_6detail15normal_iteratorINS6_10device_ptrIKtEEEESL_NS6_8equal_toItEEEENSG_9not_fun_tINSD_8identityEEEEENSD_19counting_iterator_tIlEES8_S8_S8_S8_S8_S8_S8_S8_EEEEPS9_S9_NSD_9__find_if7functorIS9_EEEE10hipError_tPvRmT1_T2_T3_mT4_P12ihipStream_tbEUlT_E1_NS1_11comp_targetILNS1_3genE0ELNS1_11target_archE4294967295ELNS1_3gpuE0ELNS1_3repE0EEENS1_30default_config_static_selectorELNS0_4arch9wavefront6targetE1EEEvS14_.num_named_barrier, 0
	.set _ZN7rocprim17ROCPRIM_400000_NS6detail17trampoline_kernelINS0_14default_configENS1_22reduce_config_selectorIN6thrust23THRUST_200600_302600_NS5tupleIblNS6_9null_typeES8_S8_S8_S8_S8_S8_S8_EEEEZNS1_11reduce_implILb1ES3_NS6_12zip_iteratorINS7_INS6_11hip_rocprim26transform_input_iterator_tIbNSD_35transform_pair_of_input_iterators_tIbNS6_6detail15normal_iteratorINS6_10device_ptrIKtEEEESL_NS6_8equal_toItEEEENSG_9not_fun_tINSD_8identityEEEEENSD_19counting_iterator_tIlEES8_S8_S8_S8_S8_S8_S8_S8_EEEEPS9_S9_NSD_9__find_if7functorIS9_EEEE10hipError_tPvRmT1_T2_T3_mT4_P12ihipStream_tbEUlT_E1_NS1_11comp_targetILNS1_3genE0ELNS1_11target_archE4294967295ELNS1_3gpuE0ELNS1_3repE0EEENS1_30default_config_static_selectorELNS0_4arch9wavefront6targetE1EEEvS14_.private_seg_size, 0
	.set _ZN7rocprim17ROCPRIM_400000_NS6detail17trampoline_kernelINS0_14default_configENS1_22reduce_config_selectorIN6thrust23THRUST_200600_302600_NS5tupleIblNS6_9null_typeES8_S8_S8_S8_S8_S8_S8_EEEEZNS1_11reduce_implILb1ES3_NS6_12zip_iteratorINS7_INS6_11hip_rocprim26transform_input_iterator_tIbNSD_35transform_pair_of_input_iterators_tIbNS6_6detail15normal_iteratorINS6_10device_ptrIKtEEEESL_NS6_8equal_toItEEEENSG_9not_fun_tINSD_8identityEEEEENSD_19counting_iterator_tIlEES8_S8_S8_S8_S8_S8_S8_S8_EEEEPS9_S9_NSD_9__find_if7functorIS9_EEEE10hipError_tPvRmT1_T2_T3_mT4_P12ihipStream_tbEUlT_E1_NS1_11comp_targetILNS1_3genE0ELNS1_11target_archE4294967295ELNS1_3gpuE0ELNS1_3repE0EEENS1_30default_config_static_selectorELNS0_4arch9wavefront6targetE1EEEvS14_.uses_vcc, 1
	.set _ZN7rocprim17ROCPRIM_400000_NS6detail17trampoline_kernelINS0_14default_configENS1_22reduce_config_selectorIN6thrust23THRUST_200600_302600_NS5tupleIblNS6_9null_typeES8_S8_S8_S8_S8_S8_S8_EEEEZNS1_11reduce_implILb1ES3_NS6_12zip_iteratorINS7_INS6_11hip_rocprim26transform_input_iterator_tIbNSD_35transform_pair_of_input_iterators_tIbNS6_6detail15normal_iteratorINS6_10device_ptrIKtEEEESL_NS6_8equal_toItEEEENSG_9not_fun_tINSD_8identityEEEEENSD_19counting_iterator_tIlEES8_S8_S8_S8_S8_S8_S8_S8_EEEEPS9_S9_NSD_9__find_if7functorIS9_EEEE10hipError_tPvRmT1_T2_T3_mT4_P12ihipStream_tbEUlT_E1_NS1_11comp_targetILNS1_3genE0ELNS1_11target_archE4294967295ELNS1_3gpuE0ELNS1_3repE0EEENS1_30default_config_static_selectorELNS0_4arch9wavefront6targetE1EEEvS14_.uses_flat_scratch, 0
	.set _ZN7rocprim17ROCPRIM_400000_NS6detail17trampoline_kernelINS0_14default_configENS1_22reduce_config_selectorIN6thrust23THRUST_200600_302600_NS5tupleIblNS6_9null_typeES8_S8_S8_S8_S8_S8_S8_EEEEZNS1_11reduce_implILb1ES3_NS6_12zip_iteratorINS7_INS6_11hip_rocprim26transform_input_iterator_tIbNSD_35transform_pair_of_input_iterators_tIbNS6_6detail15normal_iteratorINS6_10device_ptrIKtEEEESL_NS6_8equal_toItEEEENSG_9not_fun_tINSD_8identityEEEEENSD_19counting_iterator_tIlEES8_S8_S8_S8_S8_S8_S8_S8_EEEEPS9_S9_NSD_9__find_if7functorIS9_EEEE10hipError_tPvRmT1_T2_T3_mT4_P12ihipStream_tbEUlT_E1_NS1_11comp_targetILNS1_3genE0ELNS1_11target_archE4294967295ELNS1_3gpuE0ELNS1_3repE0EEENS1_30default_config_static_selectorELNS0_4arch9wavefront6targetE1EEEvS14_.has_dyn_sized_stack, 0
	.set _ZN7rocprim17ROCPRIM_400000_NS6detail17trampoline_kernelINS0_14default_configENS1_22reduce_config_selectorIN6thrust23THRUST_200600_302600_NS5tupleIblNS6_9null_typeES8_S8_S8_S8_S8_S8_S8_EEEEZNS1_11reduce_implILb1ES3_NS6_12zip_iteratorINS7_INS6_11hip_rocprim26transform_input_iterator_tIbNSD_35transform_pair_of_input_iterators_tIbNS6_6detail15normal_iteratorINS6_10device_ptrIKtEEEESL_NS6_8equal_toItEEEENSG_9not_fun_tINSD_8identityEEEEENSD_19counting_iterator_tIlEES8_S8_S8_S8_S8_S8_S8_S8_EEEEPS9_S9_NSD_9__find_if7functorIS9_EEEE10hipError_tPvRmT1_T2_T3_mT4_P12ihipStream_tbEUlT_E1_NS1_11comp_targetILNS1_3genE0ELNS1_11target_archE4294967295ELNS1_3gpuE0ELNS1_3repE0EEENS1_30default_config_static_selectorELNS0_4arch9wavefront6targetE1EEEvS14_.has_recursion, 0
	.set _ZN7rocprim17ROCPRIM_400000_NS6detail17trampoline_kernelINS0_14default_configENS1_22reduce_config_selectorIN6thrust23THRUST_200600_302600_NS5tupleIblNS6_9null_typeES8_S8_S8_S8_S8_S8_S8_EEEEZNS1_11reduce_implILb1ES3_NS6_12zip_iteratorINS7_INS6_11hip_rocprim26transform_input_iterator_tIbNSD_35transform_pair_of_input_iterators_tIbNS6_6detail15normal_iteratorINS6_10device_ptrIKtEEEESL_NS6_8equal_toItEEEENSG_9not_fun_tINSD_8identityEEEEENSD_19counting_iterator_tIlEES8_S8_S8_S8_S8_S8_S8_S8_EEEEPS9_S9_NSD_9__find_if7functorIS9_EEEE10hipError_tPvRmT1_T2_T3_mT4_P12ihipStream_tbEUlT_E1_NS1_11comp_targetILNS1_3genE0ELNS1_11target_archE4294967295ELNS1_3gpuE0ELNS1_3repE0EEENS1_30default_config_static_selectorELNS0_4arch9wavefront6targetE1EEEvS14_.has_indirect_call, 0
	.section	.AMDGPU.csdata,"",@progbits
; Kernel info:
; codeLenInByte = 13308
; TotalNumSgprs: 48
; NumVgprs: 29
; NumAgprs: 0
; TotalNumVgprs: 29
; ScratchSize: 0
; MemoryBound: 0
; FloatMode: 240
; IeeeMode: 1
; LDSByteSize: 160 bytes/workgroup (compile time only)
; SGPRBlocks: 5
; VGPRBlocks: 3
; NumSGPRsForWavesPerEU: 48
; NumVGPRsForWavesPerEU: 29
; AccumOffset: 32
; Occupancy: 8
; WaveLimiterHint : 0
; COMPUTE_PGM_RSRC2:SCRATCH_EN: 0
; COMPUTE_PGM_RSRC2:USER_SGPR: 2
; COMPUTE_PGM_RSRC2:TRAP_HANDLER: 0
; COMPUTE_PGM_RSRC2:TGID_X_EN: 1
; COMPUTE_PGM_RSRC2:TGID_Y_EN: 0
; COMPUTE_PGM_RSRC2:TGID_Z_EN: 0
; COMPUTE_PGM_RSRC2:TIDIG_COMP_CNT: 0
; COMPUTE_PGM_RSRC3_GFX90A:ACCUM_OFFSET: 7
; COMPUTE_PGM_RSRC3_GFX90A:TG_SPLIT: 0
	.section	.text._ZN7rocprim17ROCPRIM_400000_NS6detail17trampoline_kernelINS0_14default_configENS1_22reduce_config_selectorIN6thrust23THRUST_200600_302600_NS5tupleIblNS6_9null_typeES8_S8_S8_S8_S8_S8_S8_EEEEZNS1_11reduce_implILb1ES3_NS6_12zip_iteratorINS7_INS6_11hip_rocprim26transform_input_iterator_tIbNSD_35transform_pair_of_input_iterators_tIbNS6_6detail15normal_iteratorINS6_10device_ptrIKtEEEESL_NS6_8equal_toItEEEENSG_9not_fun_tINSD_8identityEEEEENSD_19counting_iterator_tIlEES8_S8_S8_S8_S8_S8_S8_S8_EEEEPS9_S9_NSD_9__find_if7functorIS9_EEEE10hipError_tPvRmT1_T2_T3_mT4_P12ihipStream_tbEUlT_E1_NS1_11comp_targetILNS1_3genE5ELNS1_11target_archE942ELNS1_3gpuE9ELNS1_3repE0EEENS1_30default_config_static_selectorELNS0_4arch9wavefront6targetE1EEEvS14_,"axG",@progbits,_ZN7rocprim17ROCPRIM_400000_NS6detail17trampoline_kernelINS0_14default_configENS1_22reduce_config_selectorIN6thrust23THRUST_200600_302600_NS5tupleIblNS6_9null_typeES8_S8_S8_S8_S8_S8_S8_EEEEZNS1_11reduce_implILb1ES3_NS6_12zip_iteratorINS7_INS6_11hip_rocprim26transform_input_iterator_tIbNSD_35transform_pair_of_input_iterators_tIbNS6_6detail15normal_iteratorINS6_10device_ptrIKtEEEESL_NS6_8equal_toItEEEENSG_9not_fun_tINSD_8identityEEEEENSD_19counting_iterator_tIlEES8_S8_S8_S8_S8_S8_S8_S8_EEEEPS9_S9_NSD_9__find_if7functorIS9_EEEE10hipError_tPvRmT1_T2_T3_mT4_P12ihipStream_tbEUlT_E1_NS1_11comp_targetILNS1_3genE5ELNS1_11target_archE942ELNS1_3gpuE9ELNS1_3repE0EEENS1_30default_config_static_selectorELNS0_4arch9wavefront6targetE1EEEvS14_,comdat
	.protected	_ZN7rocprim17ROCPRIM_400000_NS6detail17trampoline_kernelINS0_14default_configENS1_22reduce_config_selectorIN6thrust23THRUST_200600_302600_NS5tupleIblNS6_9null_typeES8_S8_S8_S8_S8_S8_S8_EEEEZNS1_11reduce_implILb1ES3_NS6_12zip_iteratorINS7_INS6_11hip_rocprim26transform_input_iterator_tIbNSD_35transform_pair_of_input_iterators_tIbNS6_6detail15normal_iteratorINS6_10device_ptrIKtEEEESL_NS6_8equal_toItEEEENSG_9not_fun_tINSD_8identityEEEEENSD_19counting_iterator_tIlEES8_S8_S8_S8_S8_S8_S8_S8_EEEEPS9_S9_NSD_9__find_if7functorIS9_EEEE10hipError_tPvRmT1_T2_T3_mT4_P12ihipStream_tbEUlT_E1_NS1_11comp_targetILNS1_3genE5ELNS1_11target_archE942ELNS1_3gpuE9ELNS1_3repE0EEENS1_30default_config_static_selectorELNS0_4arch9wavefront6targetE1EEEvS14_ ; -- Begin function _ZN7rocprim17ROCPRIM_400000_NS6detail17trampoline_kernelINS0_14default_configENS1_22reduce_config_selectorIN6thrust23THRUST_200600_302600_NS5tupleIblNS6_9null_typeES8_S8_S8_S8_S8_S8_S8_EEEEZNS1_11reduce_implILb1ES3_NS6_12zip_iteratorINS7_INS6_11hip_rocprim26transform_input_iterator_tIbNSD_35transform_pair_of_input_iterators_tIbNS6_6detail15normal_iteratorINS6_10device_ptrIKtEEEESL_NS6_8equal_toItEEEENSG_9not_fun_tINSD_8identityEEEEENSD_19counting_iterator_tIlEES8_S8_S8_S8_S8_S8_S8_S8_EEEEPS9_S9_NSD_9__find_if7functorIS9_EEEE10hipError_tPvRmT1_T2_T3_mT4_P12ihipStream_tbEUlT_E1_NS1_11comp_targetILNS1_3genE5ELNS1_11target_archE942ELNS1_3gpuE9ELNS1_3repE0EEENS1_30default_config_static_selectorELNS0_4arch9wavefront6targetE1EEEvS14_
	.globl	_ZN7rocprim17ROCPRIM_400000_NS6detail17trampoline_kernelINS0_14default_configENS1_22reduce_config_selectorIN6thrust23THRUST_200600_302600_NS5tupleIblNS6_9null_typeES8_S8_S8_S8_S8_S8_S8_EEEEZNS1_11reduce_implILb1ES3_NS6_12zip_iteratorINS7_INS6_11hip_rocprim26transform_input_iterator_tIbNSD_35transform_pair_of_input_iterators_tIbNS6_6detail15normal_iteratorINS6_10device_ptrIKtEEEESL_NS6_8equal_toItEEEENSG_9not_fun_tINSD_8identityEEEEENSD_19counting_iterator_tIlEES8_S8_S8_S8_S8_S8_S8_S8_EEEEPS9_S9_NSD_9__find_if7functorIS9_EEEE10hipError_tPvRmT1_T2_T3_mT4_P12ihipStream_tbEUlT_E1_NS1_11comp_targetILNS1_3genE5ELNS1_11target_archE942ELNS1_3gpuE9ELNS1_3repE0EEENS1_30default_config_static_selectorELNS0_4arch9wavefront6targetE1EEEvS14_
	.p2align	8
	.type	_ZN7rocprim17ROCPRIM_400000_NS6detail17trampoline_kernelINS0_14default_configENS1_22reduce_config_selectorIN6thrust23THRUST_200600_302600_NS5tupleIblNS6_9null_typeES8_S8_S8_S8_S8_S8_S8_EEEEZNS1_11reduce_implILb1ES3_NS6_12zip_iteratorINS7_INS6_11hip_rocprim26transform_input_iterator_tIbNSD_35transform_pair_of_input_iterators_tIbNS6_6detail15normal_iteratorINS6_10device_ptrIKtEEEESL_NS6_8equal_toItEEEENSG_9not_fun_tINSD_8identityEEEEENSD_19counting_iterator_tIlEES8_S8_S8_S8_S8_S8_S8_S8_EEEEPS9_S9_NSD_9__find_if7functorIS9_EEEE10hipError_tPvRmT1_T2_T3_mT4_P12ihipStream_tbEUlT_E1_NS1_11comp_targetILNS1_3genE5ELNS1_11target_archE942ELNS1_3gpuE9ELNS1_3repE0EEENS1_30default_config_static_selectorELNS0_4arch9wavefront6targetE1EEEvS14_,@function
_ZN7rocprim17ROCPRIM_400000_NS6detail17trampoline_kernelINS0_14default_configENS1_22reduce_config_selectorIN6thrust23THRUST_200600_302600_NS5tupleIblNS6_9null_typeES8_S8_S8_S8_S8_S8_S8_EEEEZNS1_11reduce_implILb1ES3_NS6_12zip_iteratorINS7_INS6_11hip_rocprim26transform_input_iterator_tIbNSD_35transform_pair_of_input_iterators_tIbNS6_6detail15normal_iteratorINS6_10device_ptrIKtEEEESL_NS6_8equal_toItEEEENSG_9not_fun_tINSD_8identityEEEEENSD_19counting_iterator_tIlEES8_S8_S8_S8_S8_S8_S8_S8_EEEEPS9_S9_NSD_9__find_if7functorIS9_EEEE10hipError_tPvRmT1_T2_T3_mT4_P12ihipStream_tbEUlT_E1_NS1_11comp_targetILNS1_3genE5ELNS1_11target_archE942ELNS1_3gpuE9ELNS1_3repE0EEENS1_30default_config_static_selectorELNS0_4arch9wavefront6targetE1EEEvS14_: ; @_ZN7rocprim17ROCPRIM_400000_NS6detail17trampoline_kernelINS0_14default_configENS1_22reduce_config_selectorIN6thrust23THRUST_200600_302600_NS5tupleIblNS6_9null_typeES8_S8_S8_S8_S8_S8_S8_EEEEZNS1_11reduce_implILb1ES3_NS6_12zip_iteratorINS7_INS6_11hip_rocprim26transform_input_iterator_tIbNSD_35transform_pair_of_input_iterators_tIbNS6_6detail15normal_iteratorINS6_10device_ptrIKtEEEESL_NS6_8equal_toItEEEENSG_9not_fun_tINSD_8identityEEEEENSD_19counting_iterator_tIlEES8_S8_S8_S8_S8_S8_S8_S8_EEEEPS9_S9_NSD_9__find_if7functorIS9_EEEE10hipError_tPvRmT1_T2_T3_mT4_P12ihipStream_tbEUlT_E1_NS1_11comp_targetILNS1_3genE5ELNS1_11target_archE942ELNS1_3gpuE9ELNS1_3repE0EEENS1_30default_config_static_selectorELNS0_4arch9wavefront6targetE1EEEvS14_
; %bb.0:
	.section	.rodata,"a",@progbits
	.p2align	6, 0x0
	.amdhsa_kernel _ZN7rocprim17ROCPRIM_400000_NS6detail17trampoline_kernelINS0_14default_configENS1_22reduce_config_selectorIN6thrust23THRUST_200600_302600_NS5tupleIblNS6_9null_typeES8_S8_S8_S8_S8_S8_S8_EEEEZNS1_11reduce_implILb1ES3_NS6_12zip_iteratorINS7_INS6_11hip_rocprim26transform_input_iterator_tIbNSD_35transform_pair_of_input_iterators_tIbNS6_6detail15normal_iteratorINS6_10device_ptrIKtEEEESL_NS6_8equal_toItEEEENSG_9not_fun_tINSD_8identityEEEEENSD_19counting_iterator_tIlEES8_S8_S8_S8_S8_S8_S8_S8_EEEEPS9_S9_NSD_9__find_if7functorIS9_EEEE10hipError_tPvRmT1_T2_T3_mT4_P12ihipStream_tbEUlT_E1_NS1_11comp_targetILNS1_3genE5ELNS1_11target_archE942ELNS1_3gpuE9ELNS1_3repE0EEENS1_30default_config_static_selectorELNS0_4arch9wavefront6targetE1EEEvS14_
		.amdhsa_group_segment_fixed_size 0
		.amdhsa_private_segment_fixed_size 0
		.amdhsa_kernarg_size 88
		.amdhsa_user_sgpr_count 2
		.amdhsa_user_sgpr_dispatch_ptr 0
		.amdhsa_user_sgpr_queue_ptr 0
		.amdhsa_user_sgpr_kernarg_segment_ptr 1
		.amdhsa_user_sgpr_dispatch_id 0
		.amdhsa_user_sgpr_kernarg_preload_length 0
		.amdhsa_user_sgpr_kernarg_preload_offset 0
		.amdhsa_user_sgpr_private_segment_size 0
		.amdhsa_uses_dynamic_stack 0
		.amdhsa_enable_private_segment 0
		.amdhsa_system_sgpr_workgroup_id_x 1
		.amdhsa_system_sgpr_workgroup_id_y 0
		.amdhsa_system_sgpr_workgroup_id_z 0
		.amdhsa_system_sgpr_workgroup_info 0
		.amdhsa_system_vgpr_workitem_id 0
		.amdhsa_next_free_vgpr 1
		.amdhsa_next_free_sgpr 0
		.amdhsa_accum_offset 4
		.amdhsa_reserve_vcc 0
		.amdhsa_float_round_mode_32 0
		.amdhsa_float_round_mode_16_64 0
		.amdhsa_float_denorm_mode_32 3
		.amdhsa_float_denorm_mode_16_64 3
		.amdhsa_dx10_clamp 1
		.amdhsa_ieee_mode 1
		.amdhsa_fp16_overflow 0
		.amdhsa_tg_split 0
		.amdhsa_exception_fp_ieee_invalid_op 0
		.amdhsa_exception_fp_denorm_src 0
		.amdhsa_exception_fp_ieee_div_zero 0
		.amdhsa_exception_fp_ieee_overflow 0
		.amdhsa_exception_fp_ieee_underflow 0
		.amdhsa_exception_fp_ieee_inexact 0
		.amdhsa_exception_int_div_zero 0
	.end_amdhsa_kernel
	.section	.text._ZN7rocprim17ROCPRIM_400000_NS6detail17trampoline_kernelINS0_14default_configENS1_22reduce_config_selectorIN6thrust23THRUST_200600_302600_NS5tupleIblNS6_9null_typeES8_S8_S8_S8_S8_S8_S8_EEEEZNS1_11reduce_implILb1ES3_NS6_12zip_iteratorINS7_INS6_11hip_rocprim26transform_input_iterator_tIbNSD_35transform_pair_of_input_iterators_tIbNS6_6detail15normal_iteratorINS6_10device_ptrIKtEEEESL_NS6_8equal_toItEEEENSG_9not_fun_tINSD_8identityEEEEENSD_19counting_iterator_tIlEES8_S8_S8_S8_S8_S8_S8_S8_EEEEPS9_S9_NSD_9__find_if7functorIS9_EEEE10hipError_tPvRmT1_T2_T3_mT4_P12ihipStream_tbEUlT_E1_NS1_11comp_targetILNS1_3genE5ELNS1_11target_archE942ELNS1_3gpuE9ELNS1_3repE0EEENS1_30default_config_static_selectorELNS0_4arch9wavefront6targetE1EEEvS14_,"axG",@progbits,_ZN7rocprim17ROCPRIM_400000_NS6detail17trampoline_kernelINS0_14default_configENS1_22reduce_config_selectorIN6thrust23THRUST_200600_302600_NS5tupleIblNS6_9null_typeES8_S8_S8_S8_S8_S8_S8_EEEEZNS1_11reduce_implILb1ES3_NS6_12zip_iteratorINS7_INS6_11hip_rocprim26transform_input_iterator_tIbNSD_35transform_pair_of_input_iterators_tIbNS6_6detail15normal_iteratorINS6_10device_ptrIKtEEEESL_NS6_8equal_toItEEEENSG_9not_fun_tINSD_8identityEEEEENSD_19counting_iterator_tIlEES8_S8_S8_S8_S8_S8_S8_S8_EEEEPS9_S9_NSD_9__find_if7functorIS9_EEEE10hipError_tPvRmT1_T2_T3_mT4_P12ihipStream_tbEUlT_E1_NS1_11comp_targetILNS1_3genE5ELNS1_11target_archE942ELNS1_3gpuE9ELNS1_3repE0EEENS1_30default_config_static_selectorELNS0_4arch9wavefront6targetE1EEEvS14_,comdat
.Lfunc_end1038:
	.size	_ZN7rocprim17ROCPRIM_400000_NS6detail17trampoline_kernelINS0_14default_configENS1_22reduce_config_selectorIN6thrust23THRUST_200600_302600_NS5tupleIblNS6_9null_typeES8_S8_S8_S8_S8_S8_S8_EEEEZNS1_11reduce_implILb1ES3_NS6_12zip_iteratorINS7_INS6_11hip_rocprim26transform_input_iterator_tIbNSD_35transform_pair_of_input_iterators_tIbNS6_6detail15normal_iteratorINS6_10device_ptrIKtEEEESL_NS6_8equal_toItEEEENSG_9not_fun_tINSD_8identityEEEEENSD_19counting_iterator_tIlEES8_S8_S8_S8_S8_S8_S8_S8_EEEEPS9_S9_NSD_9__find_if7functorIS9_EEEE10hipError_tPvRmT1_T2_T3_mT4_P12ihipStream_tbEUlT_E1_NS1_11comp_targetILNS1_3genE5ELNS1_11target_archE942ELNS1_3gpuE9ELNS1_3repE0EEENS1_30default_config_static_selectorELNS0_4arch9wavefront6targetE1EEEvS14_, .Lfunc_end1038-_ZN7rocprim17ROCPRIM_400000_NS6detail17trampoline_kernelINS0_14default_configENS1_22reduce_config_selectorIN6thrust23THRUST_200600_302600_NS5tupleIblNS6_9null_typeES8_S8_S8_S8_S8_S8_S8_EEEEZNS1_11reduce_implILb1ES3_NS6_12zip_iteratorINS7_INS6_11hip_rocprim26transform_input_iterator_tIbNSD_35transform_pair_of_input_iterators_tIbNS6_6detail15normal_iteratorINS6_10device_ptrIKtEEEESL_NS6_8equal_toItEEEENSG_9not_fun_tINSD_8identityEEEEENSD_19counting_iterator_tIlEES8_S8_S8_S8_S8_S8_S8_S8_EEEEPS9_S9_NSD_9__find_if7functorIS9_EEEE10hipError_tPvRmT1_T2_T3_mT4_P12ihipStream_tbEUlT_E1_NS1_11comp_targetILNS1_3genE5ELNS1_11target_archE942ELNS1_3gpuE9ELNS1_3repE0EEENS1_30default_config_static_selectorELNS0_4arch9wavefront6targetE1EEEvS14_
                                        ; -- End function
	.set _ZN7rocprim17ROCPRIM_400000_NS6detail17trampoline_kernelINS0_14default_configENS1_22reduce_config_selectorIN6thrust23THRUST_200600_302600_NS5tupleIblNS6_9null_typeES8_S8_S8_S8_S8_S8_S8_EEEEZNS1_11reduce_implILb1ES3_NS6_12zip_iteratorINS7_INS6_11hip_rocprim26transform_input_iterator_tIbNSD_35transform_pair_of_input_iterators_tIbNS6_6detail15normal_iteratorINS6_10device_ptrIKtEEEESL_NS6_8equal_toItEEEENSG_9not_fun_tINSD_8identityEEEEENSD_19counting_iterator_tIlEES8_S8_S8_S8_S8_S8_S8_S8_EEEEPS9_S9_NSD_9__find_if7functorIS9_EEEE10hipError_tPvRmT1_T2_T3_mT4_P12ihipStream_tbEUlT_E1_NS1_11comp_targetILNS1_3genE5ELNS1_11target_archE942ELNS1_3gpuE9ELNS1_3repE0EEENS1_30default_config_static_selectorELNS0_4arch9wavefront6targetE1EEEvS14_.num_vgpr, 0
	.set _ZN7rocprim17ROCPRIM_400000_NS6detail17trampoline_kernelINS0_14default_configENS1_22reduce_config_selectorIN6thrust23THRUST_200600_302600_NS5tupleIblNS6_9null_typeES8_S8_S8_S8_S8_S8_S8_EEEEZNS1_11reduce_implILb1ES3_NS6_12zip_iteratorINS7_INS6_11hip_rocprim26transform_input_iterator_tIbNSD_35transform_pair_of_input_iterators_tIbNS6_6detail15normal_iteratorINS6_10device_ptrIKtEEEESL_NS6_8equal_toItEEEENSG_9not_fun_tINSD_8identityEEEEENSD_19counting_iterator_tIlEES8_S8_S8_S8_S8_S8_S8_S8_EEEEPS9_S9_NSD_9__find_if7functorIS9_EEEE10hipError_tPvRmT1_T2_T3_mT4_P12ihipStream_tbEUlT_E1_NS1_11comp_targetILNS1_3genE5ELNS1_11target_archE942ELNS1_3gpuE9ELNS1_3repE0EEENS1_30default_config_static_selectorELNS0_4arch9wavefront6targetE1EEEvS14_.num_agpr, 0
	.set _ZN7rocprim17ROCPRIM_400000_NS6detail17trampoline_kernelINS0_14default_configENS1_22reduce_config_selectorIN6thrust23THRUST_200600_302600_NS5tupleIblNS6_9null_typeES8_S8_S8_S8_S8_S8_S8_EEEEZNS1_11reduce_implILb1ES3_NS6_12zip_iteratorINS7_INS6_11hip_rocprim26transform_input_iterator_tIbNSD_35transform_pair_of_input_iterators_tIbNS6_6detail15normal_iteratorINS6_10device_ptrIKtEEEESL_NS6_8equal_toItEEEENSG_9not_fun_tINSD_8identityEEEEENSD_19counting_iterator_tIlEES8_S8_S8_S8_S8_S8_S8_S8_EEEEPS9_S9_NSD_9__find_if7functorIS9_EEEE10hipError_tPvRmT1_T2_T3_mT4_P12ihipStream_tbEUlT_E1_NS1_11comp_targetILNS1_3genE5ELNS1_11target_archE942ELNS1_3gpuE9ELNS1_3repE0EEENS1_30default_config_static_selectorELNS0_4arch9wavefront6targetE1EEEvS14_.numbered_sgpr, 0
	.set _ZN7rocprim17ROCPRIM_400000_NS6detail17trampoline_kernelINS0_14default_configENS1_22reduce_config_selectorIN6thrust23THRUST_200600_302600_NS5tupleIblNS6_9null_typeES8_S8_S8_S8_S8_S8_S8_EEEEZNS1_11reduce_implILb1ES3_NS6_12zip_iteratorINS7_INS6_11hip_rocprim26transform_input_iterator_tIbNSD_35transform_pair_of_input_iterators_tIbNS6_6detail15normal_iteratorINS6_10device_ptrIKtEEEESL_NS6_8equal_toItEEEENSG_9not_fun_tINSD_8identityEEEEENSD_19counting_iterator_tIlEES8_S8_S8_S8_S8_S8_S8_S8_EEEEPS9_S9_NSD_9__find_if7functorIS9_EEEE10hipError_tPvRmT1_T2_T3_mT4_P12ihipStream_tbEUlT_E1_NS1_11comp_targetILNS1_3genE5ELNS1_11target_archE942ELNS1_3gpuE9ELNS1_3repE0EEENS1_30default_config_static_selectorELNS0_4arch9wavefront6targetE1EEEvS14_.num_named_barrier, 0
	.set _ZN7rocprim17ROCPRIM_400000_NS6detail17trampoline_kernelINS0_14default_configENS1_22reduce_config_selectorIN6thrust23THRUST_200600_302600_NS5tupleIblNS6_9null_typeES8_S8_S8_S8_S8_S8_S8_EEEEZNS1_11reduce_implILb1ES3_NS6_12zip_iteratorINS7_INS6_11hip_rocprim26transform_input_iterator_tIbNSD_35transform_pair_of_input_iterators_tIbNS6_6detail15normal_iteratorINS6_10device_ptrIKtEEEESL_NS6_8equal_toItEEEENSG_9not_fun_tINSD_8identityEEEEENSD_19counting_iterator_tIlEES8_S8_S8_S8_S8_S8_S8_S8_EEEEPS9_S9_NSD_9__find_if7functorIS9_EEEE10hipError_tPvRmT1_T2_T3_mT4_P12ihipStream_tbEUlT_E1_NS1_11comp_targetILNS1_3genE5ELNS1_11target_archE942ELNS1_3gpuE9ELNS1_3repE0EEENS1_30default_config_static_selectorELNS0_4arch9wavefront6targetE1EEEvS14_.private_seg_size, 0
	.set _ZN7rocprim17ROCPRIM_400000_NS6detail17trampoline_kernelINS0_14default_configENS1_22reduce_config_selectorIN6thrust23THRUST_200600_302600_NS5tupleIblNS6_9null_typeES8_S8_S8_S8_S8_S8_S8_EEEEZNS1_11reduce_implILb1ES3_NS6_12zip_iteratorINS7_INS6_11hip_rocprim26transform_input_iterator_tIbNSD_35transform_pair_of_input_iterators_tIbNS6_6detail15normal_iteratorINS6_10device_ptrIKtEEEESL_NS6_8equal_toItEEEENSG_9not_fun_tINSD_8identityEEEEENSD_19counting_iterator_tIlEES8_S8_S8_S8_S8_S8_S8_S8_EEEEPS9_S9_NSD_9__find_if7functorIS9_EEEE10hipError_tPvRmT1_T2_T3_mT4_P12ihipStream_tbEUlT_E1_NS1_11comp_targetILNS1_3genE5ELNS1_11target_archE942ELNS1_3gpuE9ELNS1_3repE0EEENS1_30default_config_static_selectorELNS0_4arch9wavefront6targetE1EEEvS14_.uses_vcc, 0
	.set _ZN7rocprim17ROCPRIM_400000_NS6detail17trampoline_kernelINS0_14default_configENS1_22reduce_config_selectorIN6thrust23THRUST_200600_302600_NS5tupleIblNS6_9null_typeES8_S8_S8_S8_S8_S8_S8_EEEEZNS1_11reduce_implILb1ES3_NS6_12zip_iteratorINS7_INS6_11hip_rocprim26transform_input_iterator_tIbNSD_35transform_pair_of_input_iterators_tIbNS6_6detail15normal_iteratorINS6_10device_ptrIKtEEEESL_NS6_8equal_toItEEEENSG_9not_fun_tINSD_8identityEEEEENSD_19counting_iterator_tIlEES8_S8_S8_S8_S8_S8_S8_S8_EEEEPS9_S9_NSD_9__find_if7functorIS9_EEEE10hipError_tPvRmT1_T2_T3_mT4_P12ihipStream_tbEUlT_E1_NS1_11comp_targetILNS1_3genE5ELNS1_11target_archE942ELNS1_3gpuE9ELNS1_3repE0EEENS1_30default_config_static_selectorELNS0_4arch9wavefront6targetE1EEEvS14_.uses_flat_scratch, 0
	.set _ZN7rocprim17ROCPRIM_400000_NS6detail17trampoline_kernelINS0_14default_configENS1_22reduce_config_selectorIN6thrust23THRUST_200600_302600_NS5tupleIblNS6_9null_typeES8_S8_S8_S8_S8_S8_S8_EEEEZNS1_11reduce_implILb1ES3_NS6_12zip_iteratorINS7_INS6_11hip_rocprim26transform_input_iterator_tIbNSD_35transform_pair_of_input_iterators_tIbNS6_6detail15normal_iteratorINS6_10device_ptrIKtEEEESL_NS6_8equal_toItEEEENSG_9not_fun_tINSD_8identityEEEEENSD_19counting_iterator_tIlEES8_S8_S8_S8_S8_S8_S8_S8_EEEEPS9_S9_NSD_9__find_if7functorIS9_EEEE10hipError_tPvRmT1_T2_T3_mT4_P12ihipStream_tbEUlT_E1_NS1_11comp_targetILNS1_3genE5ELNS1_11target_archE942ELNS1_3gpuE9ELNS1_3repE0EEENS1_30default_config_static_selectorELNS0_4arch9wavefront6targetE1EEEvS14_.has_dyn_sized_stack, 0
	.set _ZN7rocprim17ROCPRIM_400000_NS6detail17trampoline_kernelINS0_14default_configENS1_22reduce_config_selectorIN6thrust23THRUST_200600_302600_NS5tupleIblNS6_9null_typeES8_S8_S8_S8_S8_S8_S8_EEEEZNS1_11reduce_implILb1ES3_NS6_12zip_iteratorINS7_INS6_11hip_rocprim26transform_input_iterator_tIbNSD_35transform_pair_of_input_iterators_tIbNS6_6detail15normal_iteratorINS6_10device_ptrIKtEEEESL_NS6_8equal_toItEEEENSG_9not_fun_tINSD_8identityEEEEENSD_19counting_iterator_tIlEES8_S8_S8_S8_S8_S8_S8_S8_EEEEPS9_S9_NSD_9__find_if7functorIS9_EEEE10hipError_tPvRmT1_T2_T3_mT4_P12ihipStream_tbEUlT_E1_NS1_11comp_targetILNS1_3genE5ELNS1_11target_archE942ELNS1_3gpuE9ELNS1_3repE0EEENS1_30default_config_static_selectorELNS0_4arch9wavefront6targetE1EEEvS14_.has_recursion, 0
	.set _ZN7rocprim17ROCPRIM_400000_NS6detail17trampoline_kernelINS0_14default_configENS1_22reduce_config_selectorIN6thrust23THRUST_200600_302600_NS5tupleIblNS6_9null_typeES8_S8_S8_S8_S8_S8_S8_EEEEZNS1_11reduce_implILb1ES3_NS6_12zip_iteratorINS7_INS6_11hip_rocprim26transform_input_iterator_tIbNSD_35transform_pair_of_input_iterators_tIbNS6_6detail15normal_iteratorINS6_10device_ptrIKtEEEESL_NS6_8equal_toItEEEENSG_9not_fun_tINSD_8identityEEEEENSD_19counting_iterator_tIlEES8_S8_S8_S8_S8_S8_S8_S8_EEEEPS9_S9_NSD_9__find_if7functorIS9_EEEE10hipError_tPvRmT1_T2_T3_mT4_P12ihipStream_tbEUlT_E1_NS1_11comp_targetILNS1_3genE5ELNS1_11target_archE942ELNS1_3gpuE9ELNS1_3repE0EEENS1_30default_config_static_selectorELNS0_4arch9wavefront6targetE1EEEvS14_.has_indirect_call, 0
	.section	.AMDGPU.csdata,"",@progbits
; Kernel info:
; codeLenInByte = 0
; TotalNumSgprs: 6
; NumVgprs: 0
; NumAgprs: 0
; TotalNumVgprs: 0
; ScratchSize: 0
; MemoryBound: 0
; FloatMode: 240
; IeeeMode: 1
; LDSByteSize: 0 bytes/workgroup (compile time only)
; SGPRBlocks: 0
; VGPRBlocks: 0
; NumSGPRsForWavesPerEU: 6
; NumVGPRsForWavesPerEU: 1
; AccumOffset: 4
; Occupancy: 8
; WaveLimiterHint : 0
; COMPUTE_PGM_RSRC2:SCRATCH_EN: 0
; COMPUTE_PGM_RSRC2:USER_SGPR: 2
; COMPUTE_PGM_RSRC2:TRAP_HANDLER: 0
; COMPUTE_PGM_RSRC2:TGID_X_EN: 1
; COMPUTE_PGM_RSRC2:TGID_Y_EN: 0
; COMPUTE_PGM_RSRC2:TGID_Z_EN: 0
; COMPUTE_PGM_RSRC2:TIDIG_COMP_CNT: 0
; COMPUTE_PGM_RSRC3_GFX90A:ACCUM_OFFSET: 0
; COMPUTE_PGM_RSRC3_GFX90A:TG_SPLIT: 0
	.section	.text._ZN7rocprim17ROCPRIM_400000_NS6detail17trampoline_kernelINS0_14default_configENS1_22reduce_config_selectorIN6thrust23THRUST_200600_302600_NS5tupleIblNS6_9null_typeES8_S8_S8_S8_S8_S8_S8_EEEEZNS1_11reduce_implILb1ES3_NS6_12zip_iteratorINS7_INS6_11hip_rocprim26transform_input_iterator_tIbNSD_35transform_pair_of_input_iterators_tIbNS6_6detail15normal_iteratorINS6_10device_ptrIKtEEEESL_NS6_8equal_toItEEEENSG_9not_fun_tINSD_8identityEEEEENSD_19counting_iterator_tIlEES8_S8_S8_S8_S8_S8_S8_S8_EEEEPS9_S9_NSD_9__find_if7functorIS9_EEEE10hipError_tPvRmT1_T2_T3_mT4_P12ihipStream_tbEUlT_E1_NS1_11comp_targetILNS1_3genE4ELNS1_11target_archE910ELNS1_3gpuE8ELNS1_3repE0EEENS1_30default_config_static_selectorELNS0_4arch9wavefront6targetE1EEEvS14_,"axG",@progbits,_ZN7rocprim17ROCPRIM_400000_NS6detail17trampoline_kernelINS0_14default_configENS1_22reduce_config_selectorIN6thrust23THRUST_200600_302600_NS5tupleIblNS6_9null_typeES8_S8_S8_S8_S8_S8_S8_EEEEZNS1_11reduce_implILb1ES3_NS6_12zip_iteratorINS7_INS6_11hip_rocprim26transform_input_iterator_tIbNSD_35transform_pair_of_input_iterators_tIbNS6_6detail15normal_iteratorINS6_10device_ptrIKtEEEESL_NS6_8equal_toItEEEENSG_9not_fun_tINSD_8identityEEEEENSD_19counting_iterator_tIlEES8_S8_S8_S8_S8_S8_S8_S8_EEEEPS9_S9_NSD_9__find_if7functorIS9_EEEE10hipError_tPvRmT1_T2_T3_mT4_P12ihipStream_tbEUlT_E1_NS1_11comp_targetILNS1_3genE4ELNS1_11target_archE910ELNS1_3gpuE8ELNS1_3repE0EEENS1_30default_config_static_selectorELNS0_4arch9wavefront6targetE1EEEvS14_,comdat
	.protected	_ZN7rocprim17ROCPRIM_400000_NS6detail17trampoline_kernelINS0_14default_configENS1_22reduce_config_selectorIN6thrust23THRUST_200600_302600_NS5tupleIblNS6_9null_typeES8_S8_S8_S8_S8_S8_S8_EEEEZNS1_11reduce_implILb1ES3_NS6_12zip_iteratorINS7_INS6_11hip_rocprim26transform_input_iterator_tIbNSD_35transform_pair_of_input_iterators_tIbNS6_6detail15normal_iteratorINS6_10device_ptrIKtEEEESL_NS6_8equal_toItEEEENSG_9not_fun_tINSD_8identityEEEEENSD_19counting_iterator_tIlEES8_S8_S8_S8_S8_S8_S8_S8_EEEEPS9_S9_NSD_9__find_if7functorIS9_EEEE10hipError_tPvRmT1_T2_T3_mT4_P12ihipStream_tbEUlT_E1_NS1_11comp_targetILNS1_3genE4ELNS1_11target_archE910ELNS1_3gpuE8ELNS1_3repE0EEENS1_30default_config_static_selectorELNS0_4arch9wavefront6targetE1EEEvS14_ ; -- Begin function _ZN7rocprim17ROCPRIM_400000_NS6detail17trampoline_kernelINS0_14default_configENS1_22reduce_config_selectorIN6thrust23THRUST_200600_302600_NS5tupleIblNS6_9null_typeES8_S8_S8_S8_S8_S8_S8_EEEEZNS1_11reduce_implILb1ES3_NS6_12zip_iteratorINS7_INS6_11hip_rocprim26transform_input_iterator_tIbNSD_35transform_pair_of_input_iterators_tIbNS6_6detail15normal_iteratorINS6_10device_ptrIKtEEEESL_NS6_8equal_toItEEEENSG_9not_fun_tINSD_8identityEEEEENSD_19counting_iterator_tIlEES8_S8_S8_S8_S8_S8_S8_S8_EEEEPS9_S9_NSD_9__find_if7functorIS9_EEEE10hipError_tPvRmT1_T2_T3_mT4_P12ihipStream_tbEUlT_E1_NS1_11comp_targetILNS1_3genE4ELNS1_11target_archE910ELNS1_3gpuE8ELNS1_3repE0EEENS1_30default_config_static_selectorELNS0_4arch9wavefront6targetE1EEEvS14_
	.globl	_ZN7rocprim17ROCPRIM_400000_NS6detail17trampoline_kernelINS0_14default_configENS1_22reduce_config_selectorIN6thrust23THRUST_200600_302600_NS5tupleIblNS6_9null_typeES8_S8_S8_S8_S8_S8_S8_EEEEZNS1_11reduce_implILb1ES3_NS6_12zip_iteratorINS7_INS6_11hip_rocprim26transform_input_iterator_tIbNSD_35transform_pair_of_input_iterators_tIbNS6_6detail15normal_iteratorINS6_10device_ptrIKtEEEESL_NS6_8equal_toItEEEENSG_9not_fun_tINSD_8identityEEEEENSD_19counting_iterator_tIlEES8_S8_S8_S8_S8_S8_S8_S8_EEEEPS9_S9_NSD_9__find_if7functorIS9_EEEE10hipError_tPvRmT1_T2_T3_mT4_P12ihipStream_tbEUlT_E1_NS1_11comp_targetILNS1_3genE4ELNS1_11target_archE910ELNS1_3gpuE8ELNS1_3repE0EEENS1_30default_config_static_selectorELNS0_4arch9wavefront6targetE1EEEvS14_
	.p2align	8
	.type	_ZN7rocprim17ROCPRIM_400000_NS6detail17trampoline_kernelINS0_14default_configENS1_22reduce_config_selectorIN6thrust23THRUST_200600_302600_NS5tupleIblNS6_9null_typeES8_S8_S8_S8_S8_S8_S8_EEEEZNS1_11reduce_implILb1ES3_NS6_12zip_iteratorINS7_INS6_11hip_rocprim26transform_input_iterator_tIbNSD_35transform_pair_of_input_iterators_tIbNS6_6detail15normal_iteratorINS6_10device_ptrIKtEEEESL_NS6_8equal_toItEEEENSG_9not_fun_tINSD_8identityEEEEENSD_19counting_iterator_tIlEES8_S8_S8_S8_S8_S8_S8_S8_EEEEPS9_S9_NSD_9__find_if7functorIS9_EEEE10hipError_tPvRmT1_T2_T3_mT4_P12ihipStream_tbEUlT_E1_NS1_11comp_targetILNS1_3genE4ELNS1_11target_archE910ELNS1_3gpuE8ELNS1_3repE0EEENS1_30default_config_static_selectorELNS0_4arch9wavefront6targetE1EEEvS14_,@function
_ZN7rocprim17ROCPRIM_400000_NS6detail17trampoline_kernelINS0_14default_configENS1_22reduce_config_selectorIN6thrust23THRUST_200600_302600_NS5tupleIblNS6_9null_typeES8_S8_S8_S8_S8_S8_S8_EEEEZNS1_11reduce_implILb1ES3_NS6_12zip_iteratorINS7_INS6_11hip_rocprim26transform_input_iterator_tIbNSD_35transform_pair_of_input_iterators_tIbNS6_6detail15normal_iteratorINS6_10device_ptrIKtEEEESL_NS6_8equal_toItEEEENSG_9not_fun_tINSD_8identityEEEEENSD_19counting_iterator_tIlEES8_S8_S8_S8_S8_S8_S8_S8_EEEEPS9_S9_NSD_9__find_if7functorIS9_EEEE10hipError_tPvRmT1_T2_T3_mT4_P12ihipStream_tbEUlT_E1_NS1_11comp_targetILNS1_3genE4ELNS1_11target_archE910ELNS1_3gpuE8ELNS1_3repE0EEENS1_30default_config_static_selectorELNS0_4arch9wavefront6targetE1EEEvS14_: ; @_ZN7rocprim17ROCPRIM_400000_NS6detail17trampoline_kernelINS0_14default_configENS1_22reduce_config_selectorIN6thrust23THRUST_200600_302600_NS5tupleIblNS6_9null_typeES8_S8_S8_S8_S8_S8_S8_EEEEZNS1_11reduce_implILb1ES3_NS6_12zip_iteratorINS7_INS6_11hip_rocprim26transform_input_iterator_tIbNSD_35transform_pair_of_input_iterators_tIbNS6_6detail15normal_iteratorINS6_10device_ptrIKtEEEESL_NS6_8equal_toItEEEENSG_9not_fun_tINSD_8identityEEEEENSD_19counting_iterator_tIlEES8_S8_S8_S8_S8_S8_S8_S8_EEEEPS9_S9_NSD_9__find_if7functorIS9_EEEE10hipError_tPvRmT1_T2_T3_mT4_P12ihipStream_tbEUlT_E1_NS1_11comp_targetILNS1_3genE4ELNS1_11target_archE910ELNS1_3gpuE8ELNS1_3repE0EEENS1_30default_config_static_selectorELNS0_4arch9wavefront6targetE1EEEvS14_
; %bb.0:
	.section	.rodata,"a",@progbits
	.p2align	6, 0x0
	.amdhsa_kernel _ZN7rocprim17ROCPRIM_400000_NS6detail17trampoline_kernelINS0_14default_configENS1_22reduce_config_selectorIN6thrust23THRUST_200600_302600_NS5tupleIblNS6_9null_typeES8_S8_S8_S8_S8_S8_S8_EEEEZNS1_11reduce_implILb1ES3_NS6_12zip_iteratorINS7_INS6_11hip_rocprim26transform_input_iterator_tIbNSD_35transform_pair_of_input_iterators_tIbNS6_6detail15normal_iteratorINS6_10device_ptrIKtEEEESL_NS6_8equal_toItEEEENSG_9not_fun_tINSD_8identityEEEEENSD_19counting_iterator_tIlEES8_S8_S8_S8_S8_S8_S8_S8_EEEEPS9_S9_NSD_9__find_if7functorIS9_EEEE10hipError_tPvRmT1_T2_T3_mT4_P12ihipStream_tbEUlT_E1_NS1_11comp_targetILNS1_3genE4ELNS1_11target_archE910ELNS1_3gpuE8ELNS1_3repE0EEENS1_30default_config_static_selectorELNS0_4arch9wavefront6targetE1EEEvS14_
		.amdhsa_group_segment_fixed_size 0
		.amdhsa_private_segment_fixed_size 0
		.amdhsa_kernarg_size 88
		.amdhsa_user_sgpr_count 2
		.amdhsa_user_sgpr_dispatch_ptr 0
		.amdhsa_user_sgpr_queue_ptr 0
		.amdhsa_user_sgpr_kernarg_segment_ptr 1
		.amdhsa_user_sgpr_dispatch_id 0
		.amdhsa_user_sgpr_kernarg_preload_length 0
		.amdhsa_user_sgpr_kernarg_preload_offset 0
		.amdhsa_user_sgpr_private_segment_size 0
		.amdhsa_uses_dynamic_stack 0
		.amdhsa_enable_private_segment 0
		.amdhsa_system_sgpr_workgroup_id_x 1
		.amdhsa_system_sgpr_workgroup_id_y 0
		.amdhsa_system_sgpr_workgroup_id_z 0
		.amdhsa_system_sgpr_workgroup_info 0
		.amdhsa_system_vgpr_workitem_id 0
		.amdhsa_next_free_vgpr 1
		.amdhsa_next_free_sgpr 0
		.amdhsa_accum_offset 4
		.amdhsa_reserve_vcc 0
		.amdhsa_float_round_mode_32 0
		.amdhsa_float_round_mode_16_64 0
		.amdhsa_float_denorm_mode_32 3
		.amdhsa_float_denorm_mode_16_64 3
		.amdhsa_dx10_clamp 1
		.amdhsa_ieee_mode 1
		.amdhsa_fp16_overflow 0
		.amdhsa_tg_split 0
		.amdhsa_exception_fp_ieee_invalid_op 0
		.amdhsa_exception_fp_denorm_src 0
		.amdhsa_exception_fp_ieee_div_zero 0
		.amdhsa_exception_fp_ieee_overflow 0
		.amdhsa_exception_fp_ieee_underflow 0
		.amdhsa_exception_fp_ieee_inexact 0
		.amdhsa_exception_int_div_zero 0
	.end_amdhsa_kernel
	.section	.text._ZN7rocprim17ROCPRIM_400000_NS6detail17trampoline_kernelINS0_14default_configENS1_22reduce_config_selectorIN6thrust23THRUST_200600_302600_NS5tupleIblNS6_9null_typeES8_S8_S8_S8_S8_S8_S8_EEEEZNS1_11reduce_implILb1ES3_NS6_12zip_iteratorINS7_INS6_11hip_rocprim26transform_input_iterator_tIbNSD_35transform_pair_of_input_iterators_tIbNS6_6detail15normal_iteratorINS6_10device_ptrIKtEEEESL_NS6_8equal_toItEEEENSG_9not_fun_tINSD_8identityEEEEENSD_19counting_iterator_tIlEES8_S8_S8_S8_S8_S8_S8_S8_EEEEPS9_S9_NSD_9__find_if7functorIS9_EEEE10hipError_tPvRmT1_T2_T3_mT4_P12ihipStream_tbEUlT_E1_NS1_11comp_targetILNS1_3genE4ELNS1_11target_archE910ELNS1_3gpuE8ELNS1_3repE0EEENS1_30default_config_static_selectorELNS0_4arch9wavefront6targetE1EEEvS14_,"axG",@progbits,_ZN7rocprim17ROCPRIM_400000_NS6detail17trampoline_kernelINS0_14default_configENS1_22reduce_config_selectorIN6thrust23THRUST_200600_302600_NS5tupleIblNS6_9null_typeES8_S8_S8_S8_S8_S8_S8_EEEEZNS1_11reduce_implILb1ES3_NS6_12zip_iteratorINS7_INS6_11hip_rocprim26transform_input_iterator_tIbNSD_35transform_pair_of_input_iterators_tIbNS6_6detail15normal_iteratorINS6_10device_ptrIKtEEEESL_NS6_8equal_toItEEEENSG_9not_fun_tINSD_8identityEEEEENSD_19counting_iterator_tIlEES8_S8_S8_S8_S8_S8_S8_S8_EEEEPS9_S9_NSD_9__find_if7functorIS9_EEEE10hipError_tPvRmT1_T2_T3_mT4_P12ihipStream_tbEUlT_E1_NS1_11comp_targetILNS1_3genE4ELNS1_11target_archE910ELNS1_3gpuE8ELNS1_3repE0EEENS1_30default_config_static_selectorELNS0_4arch9wavefront6targetE1EEEvS14_,comdat
.Lfunc_end1039:
	.size	_ZN7rocprim17ROCPRIM_400000_NS6detail17trampoline_kernelINS0_14default_configENS1_22reduce_config_selectorIN6thrust23THRUST_200600_302600_NS5tupleIblNS6_9null_typeES8_S8_S8_S8_S8_S8_S8_EEEEZNS1_11reduce_implILb1ES3_NS6_12zip_iteratorINS7_INS6_11hip_rocprim26transform_input_iterator_tIbNSD_35transform_pair_of_input_iterators_tIbNS6_6detail15normal_iteratorINS6_10device_ptrIKtEEEESL_NS6_8equal_toItEEEENSG_9not_fun_tINSD_8identityEEEEENSD_19counting_iterator_tIlEES8_S8_S8_S8_S8_S8_S8_S8_EEEEPS9_S9_NSD_9__find_if7functorIS9_EEEE10hipError_tPvRmT1_T2_T3_mT4_P12ihipStream_tbEUlT_E1_NS1_11comp_targetILNS1_3genE4ELNS1_11target_archE910ELNS1_3gpuE8ELNS1_3repE0EEENS1_30default_config_static_selectorELNS0_4arch9wavefront6targetE1EEEvS14_, .Lfunc_end1039-_ZN7rocprim17ROCPRIM_400000_NS6detail17trampoline_kernelINS0_14default_configENS1_22reduce_config_selectorIN6thrust23THRUST_200600_302600_NS5tupleIblNS6_9null_typeES8_S8_S8_S8_S8_S8_S8_EEEEZNS1_11reduce_implILb1ES3_NS6_12zip_iteratorINS7_INS6_11hip_rocprim26transform_input_iterator_tIbNSD_35transform_pair_of_input_iterators_tIbNS6_6detail15normal_iteratorINS6_10device_ptrIKtEEEESL_NS6_8equal_toItEEEENSG_9not_fun_tINSD_8identityEEEEENSD_19counting_iterator_tIlEES8_S8_S8_S8_S8_S8_S8_S8_EEEEPS9_S9_NSD_9__find_if7functorIS9_EEEE10hipError_tPvRmT1_T2_T3_mT4_P12ihipStream_tbEUlT_E1_NS1_11comp_targetILNS1_3genE4ELNS1_11target_archE910ELNS1_3gpuE8ELNS1_3repE0EEENS1_30default_config_static_selectorELNS0_4arch9wavefront6targetE1EEEvS14_
                                        ; -- End function
	.set _ZN7rocprim17ROCPRIM_400000_NS6detail17trampoline_kernelINS0_14default_configENS1_22reduce_config_selectorIN6thrust23THRUST_200600_302600_NS5tupleIblNS6_9null_typeES8_S8_S8_S8_S8_S8_S8_EEEEZNS1_11reduce_implILb1ES3_NS6_12zip_iteratorINS7_INS6_11hip_rocprim26transform_input_iterator_tIbNSD_35transform_pair_of_input_iterators_tIbNS6_6detail15normal_iteratorINS6_10device_ptrIKtEEEESL_NS6_8equal_toItEEEENSG_9not_fun_tINSD_8identityEEEEENSD_19counting_iterator_tIlEES8_S8_S8_S8_S8_S8_S8_S8_EEEEPS9_S9_NSD_9__find_if7functorIS9_EEEE10hipError_tPvRmT1_T2_T3_mT4_P12ihipStream_tbEUlT_E1_NS1_11comp_targetILNS1_3genE4ELNS1_11target_archE910ELNS1_3gpuE8ELNS1_3repE0EEENS1_30default_config_static_selectorELNS0_4arch9wavefront6targetE1EEEvS14_.num_vgpr, 0
	.set _ZN7rocprim17ROCPRIM_400000_NS6detail17trampoline_kernelINS0_14default_configENS1_22reduce_config_selectorIN6thrust23THRUST_200600_302600_NS5tupleIblNS6_9null_typeES8_S8_S8_S8_S8_S8_S8_EEEEZNS1_11reduce_implILb1ES3_NS6_12zip_iteratorINS7_INS6_11hip_rocprim26transform_input_iterator_tIbNSD_35transform_pair_of_input_iterators_tIbNS6_6detail15normal_iteratorINS6_10device_ptrIKtEEEESL_NS6_8equal_toItEEEENSG_9not_fun_tINSD_8identityEEEEENSD_19counting_iterator_tIlEES8_S8_S8_S8_S8_S8_S8_S8_EEEEPS9_S9_NSD_9__find_if7functorIS9_EEEE10hipError_tPvRmT1_T2_T3_mT4_P12ihipStream_tbEUlT_E1_NS1_11comp_targetILNS1_3genE4ELNS1_11target_archE910ELNS1_3gpuE8ELNS1_3repE0EEENS1_30default_config_static_selectorELNS0_4arch9wavefront6targetE1EEEvS14_.num_agpr, 0
	.set _ZN7rocprim17ROCPRIM_400000_NS6detail17trampoline_kernelINS0_14default_configENS1_22reduce_config_selectorIN6thrust23THRUST_200600_302600_NS5tupleIblNS6_9null_typeES8_S8_S8_S8_S8_S8_S8_EEEEZNS1_11reduce_implILb1ES3_NS6_12zip_iteratorINS7_INS6_11hip_rocprim26transform_input_iterator_tIbNSD_35transform_pair_of_input_iterators_tIbNS6_6detail15normal_iteratorINS6_10device_ptrIKtEEEESL_NS6_8equal_toItEEEENSG_9not_fun_tINSD_8identityEEEEENSD_19counting_iterator_tIlEES8_S8_S8_S8_S8_S8_S8_S8_EEEEPS9_S9_NSD_9__find_if7functorIS9_EEEE10hipError_tPvRmT1_T2_T3_mT4_P12ihipStream_tbEUlT_E1_NS1_11comp_targetILNS1_3genE4ELNS1_11target_archE910ELNS1_3gpuE8ELNS1_3repE0EEENS1_30default_config_static_selectorELNS0_4arch9wavefront6targetE1EEEvS14_.numbered_sgpr, 0
	.set _ZN7rocprim17ROCPRIM_400000_NS6detail17trampoline_kernelINS0_14default_configENS1_22reduce_config_selectorIN6thrust23THRUST_200600_302600_NS5tupleIblNS6_9null_typeES8_S8_S8_S8_S8_S8_S8_EEEEZNS1_11reduce_implILb1ES3_NS6_12zip_iteratorINS7_INS6_11hip_rocprim26transform_input_iterator_tIbNSD_35transform_pair_of_input_iterators_tIbNS6_6detail15normal_iteratorINS6_10device_ptrIKtEEEESL_NS6_8equal_toItEEEENSG_9not_fun_tINSD_8identityEEEEENSD_19counting_iterator_tIlEES8_S8_S8_S8_S8_S8_S8_S8_EEEEPS9_S9_NSD_9__find_if7functorIS9_EEEE10hipError_tPvRmT1_T2_T3_mT4_P12ihipStream_tbEUlT_E1_NS1_11comp_targetILNS1_3genE4ELNS1_11target_archE910ELNS1_3gpuE8ELNS1_3repE0EEENS1_30default_config_static_selectorELNS0_4arch9wavefront6targetE1EEEvS14_.num_named_barrier, 0
	.set _ZN7rocprim17ROCPRIM_400000_NS6detail17trampoline_kernelINS0_14default_configENS1_22reduce_config_selectorIN6thrust23THRUST_200600_302600_NS5tupleIblNS6_9null_typeES8_S8_S8_S8_S8_S8_S8_EEEEZNS1_11reduce_implILb1ES3_NS6_12zip_iteratorINS7_INS6_11hip_rocprim26transform_input_iterator_tIbNSD_35transform_pair_of_input_iterators_tIbNS6_6detail15normal_iteratorINS6_10device_ptrIKtEEEESL_NS6_8equal_toItEEEENSG_9not_fun_tINSD_8identityEEEEENSD_19counting_iterator_tIlEES8_S8_S8_S8_S8_S8_S8_S8_EEEEPS9_S9_NSD_9__find_if7functorIS9_EEEE10hipError_tPvRmT1_T2_T3_mT4_P12ihipStream_tbEUlT_E1_NS1_11comp_targetILNS1_3genE4ELNS1_11target_archE910ELNS1_3gpuE8ELNS1_3repE0EEENS1_30default_config_static_selectorELNS0_4arch9wavefront6targetE1EEEvS14_.private_seg_size, 0
	.set _ZN7rocprim17ROCPRIM_400000_NS6detail17trampoline_kernelINS0_14default_configENS1_22reduce_config_selectorIN6thrust23THRUST_200600_302600_NS5tupleIblNS6_9null_typeES8_S8_S8_S8_S8_S8_S8_EEEEZNS1_11reduce_implILb1ES3_NS6_12zip_iteratorINS7_INS6_11hip_rocprim26transform_input_iterator_tIbNSD_35transform_pair_of_input_iterators_tIbNS6_6detail15normal_iteratorINS6_10device_ptrIKtEEEESL_NS6_8equal_toItEEEENSG_9not_fun_tINSD_8identityEEEEENSD_19counting_iterator_tIlEES8_S8_S8_S8_S8_S8_S8_S8_EEEEPS9_S9_NSD_9__find_if7functorIS9_EEEE10hipError_tPvRmT1_T2_T3_mT4_P12ihipStream_tbEUlT_E1_NS1_11comp_targetILNS1_3genE4ELNS1_11target_archE910ELNS1_3gpuE8ELNS1_3repE0EEENS1_30default_config_static_selectorELNS0_4arch9wavefront6targetE1EEEvS14_.uses_vcc, 0
	.set _ZN7rocprim17ROCPRIM_400000_NS6detail17trampoline_kernelINS0_14default_configENS1_22reduce_config_selectorIN6thrust23THRUST_200600_302600_NS5tupleIblNS6_9null_typeES8_S8_S8_S8_S8_S8_S8_EEEEZNS1_11reduce_implILb1ES3_NS6_12zip_iteratorINS7_INS6_11hip_rocprim26transform_input_iterator_tIbNSD_35transform_pair_of_input_iterators_tIbNS6_6detail15normal_iteratorINS6_10device_ptrIKtEEEESL_NS6_8equal_toItEEEENSG_9not_fun_tINSD_8identityEEEEENSD_19counting_iterator_tIlEES8_S8_S8_S8_S8_S8_S8_S8_EEEEPS9_S9_NSD_9__find_if7functorIS9_EEEE10hipError_tPvRmT1_T2_T3_mT4_P12ihipStream_tbEUlT_E1_NS1_11comp_targetILNS1_3genE4ELNS1_11target_archE910ELNS1_3gpuE8ELNS1_3repE0EEENS1_30default_config_static_selectorELNS0_4arch9wavefront6targetE1EEEvS14_.uses_flat_scratch, 0
	.set _ZN7rocprim17ROCPRIM_400000_NS6detail17trampoline_kernelINS0_14default_configENS1_22reduce_config_selectorIN6thrust23THRUST_200600_302600_NS5tupleIblNS6_9null_typeES8_S8_S8_S8_S8_S8_S8_EEEEZNS1_11reduce_implILb1ES3_NS6_12zip_iteratorINS7_INS6_11hip_rocprim26transform_input_iterator_tIbNSD_35transform_pair_of_input_iterators_tIbNS6_6detail15normal_iteratorINS6_10device_ptrIKtEEEESL_NS6_8equal_toItEEEENSG_9not_fun_tINSD_8identityEEEEENSD_19counting_iterator_tIlEES8_S8_S8_S8_S8_S8_S8_S8_EEEEPS9_S9_NSD_9__find_if7functorIS9_EEEE10hipError_tPvRmT1_T2_T3_mT4_P12ihipStream_tbEUlT_E1_NS1_11comp_targetILNS1_3genE4ELNS1_11target_archE910ELNS1_3gpuE8ELNS1_3repE0EEENS1_30default_config_static_selectorELNS0_4arch9wavefront6targetE1EEEvS14_.has_dyn_sized_stack, 0
	.set _ZN7rocprim17ROCPRIM_400000_NS6detail17trampoline_kernelINS0_14default_configENS1_22reduce_config_selectorIN6thrust23THRUST_200600_302600_NS5tupleIblNS6_9null_typeES8_S8_S8_S8_S8_S8_S8_EEEEZNS1_11reduce_implILb1ES3_NS6_12zip_iteratorINS7_INS6_11hip_rocprim26transform_input_iterator_tIbNSD_35transform_pair_of_input_iterators_tIbNS6_6detail15normal_iteratorINS6_10device_ptrIKtEEEESL_NS6_8equal_toItEEEENSG_9not_fun_tINSD_8identityEEEEENSD_19counting_iterator_tIlEES8_S8_S8_S8_S8_S8_S8_S8_EEEEPS9_S9_NSD_9__find_if7functorIS9_EEEE10hipError_tPvRmT1_T2_T3_mT4_P12ihipStream_tbEUlT_E1_NS1_11comp_targetILNS1_3genE4ELNS1_11target_archE910ELNS1_3gpuE8ELNS1_3repE0EEENS1_30default_config_static_selectorELNS0_4arch9wavefront6targetE1EEEvS14_.has_recursion, 0
	.set _ZN7rocprim17ROCPRIM_400000_NS6detail17trampoline_kernelINS0_14default_configENS1_22reduce_config_selectorIN6thrust23THRUST_200600_302600_NS5tupleIblNS6_9null_typeES8_S8_S8_S8_S8_S8_S8_EEEEZNS1_11reduce_implILb1ES3_NS6_12zip_iteratorINS7_INS6_11hip_rocprim26transform_input_iterator_tIbNSD_35transform_pair_of_input_iterators_tIbNS6_6detail15normal_iteratorINS6_10device_ptrIKtEEEESL_NS6_8equal_toItEEEENSG_9not_fun_tINSD_8identityEEEEENSD_19counting_iterator_tIlEES8_S8_S8_S8_S8_S8_S8_S8_EEEEPS9_S9_NSD_9__find_if7functorIS9_EEEE10hipError_tPvRmT1_T2_T3_mT4_P12ihipStream_tbEUlT_E1_NS1_11comp_targetILNS1_3genE4ELNS1_11target_archE910ELNS1_3gpuE8ELNS1_3repE0EEENS1_30default_config_static_selectorELNS0_4arch9wavefront6targetE1EEEvS14_.has_indirect_call, 0
	.section	.AMDGPU.csdata,"",@progbits
; Kernel info:
; codeLenInByte = 0
; TotalNumSgprs: 6
; NumVgprs: 0
; NumAgprs: 0
; TotalNumVgprs: 0
; ScratchSize: 0
; MemoryBound: 0
; FloatMode: 240
; IeeeMode: 1
; LDSByteSize: 0 bytes/workgroup (compile time only)
; SGPRBlocks: 0
; VGPRBlocks: 0
; NumSGPRsForWavesPerEU: 6
; NumVGPRsForWavesPerEU: 1
; AccumOffset: 4
; Occupancy: 8
; WaveLimiterHint : 0
; COMPUTE_PGM_RSRC2:SCRATCH_EN: 0
; COMPUTE_PGM_RSRC2:USER_SGPR: 2
; COMPUTE_PGM_RSRC2:TRAP_HANDLER: 0
; COMPUTE_PGM_RSRC2:TGID_X_EN: 1
; COMPUTE_PGM_RSRC2:TGID_Y_EN: 0
; COMPUTE_PGM_RSRC2:TGID_Z_EN: 0
; COMPUTE_PGM_RSRC2:TIDIG_COMP_CNT: 0
; COMPUTE_PGM_RSRC3_GFX90A:ACCUM_OFFSET: 0
; COMPUTE_PGM_RSRC3_GFX90A:TG_SPLIT: 0
	.section	.text._ZN7rocprim17ROCPRIM_400000_NS6detail17trampoline_kernelINS0_14default_configENS1_22reduce_config_selectorIN6thrust23THRUST_200600_302600_NS5tupleIblNS6_9null_typeES8_S8_S8_S8_S8_S8_S8_EEEEZNS1_11reduce_implILb1ES3_NS6_12zip_iteratorINS7_INS6_11hip_rocprim26transform_input_iterator_tIbNSD_35transform_pair_of_input_iterators_tIbNS6_6detail15normal_iteratorINS6_10device_ptrIKtEEEESL_NS6_8equal_toItEEEENSG_9not_fun_tINSD_8identityEEEEENSD_19counting_iterator_tIlEES8_S8_S8_S8_S8_S8_S8_S8_EEEEPS9_S9_NSD_9__find_if7functorIS9_EEEE10hipError_tPvRmT1_T2_T3_mT4_P12ihipStream_tbEUlT_E1_NS1_11comp_targetILNS1_3genE3ELNS1_11target_archE908ELNS1_3gpuE7ELNS1_3repE0EEENS1_30default_config_static_selectorELNS0_4arch9wavefront6targetE1EEEvS14_,"axG",@progbits,_ZN7rocprim17ROCPRIM_400000_NS6detail17trampoline_kernelINS0_14default_configENS1_22reduce_config_selectorIN6thrust23THRUST_200600_302600_NS5tupleIblNS6_9null_typeES8_S8_S8_S8_S8_S8_S8_EEEEZNS1_11reduce_implILb1ES3_NS6_12zip_iteratorINS7_INS6_11hip_rocprim26transform_input_iterator_tIbNSD_35transform_pair_of_input_iterators_tIbNS6_6detail15normal_iteratorINS6_10device_ptrIKtEEEESL_NS6_8equal_toItEEEENSG_9not_fun_tINSD_8identityEEEEENSD_19counting_iterator_tIlEES8_S8_S8_S8_S8_S8_S8_S8_EEEEPS9_S9_NSD_9__find_if7functorIS9_EEEE10hipError_tPvRmT1_T2_T3_mT4_P12ihipStream_tbEUlT_E1_NS1_11comp_targetILNS1_3genE3ELNS1_11target_archE908ELNS1_3gpuE7ELNS1_3repE0EEENS1_30default_config_static_selectorELNS0_4arch9wavefront6targetE1EEEvS14_,comdat
	.protected	_ZN7rocprim17ROCPRIM_400000_NS6detail17trampoline_kernelINS0_14default_configENS1_22reduce_config_selectorIN6thrust23THRUST_200600_302600_NS5tupleIblNS6_9null_typeES8_S8_S8_S8_S8_S8_S8_EEEEZNS1_11reduce_implILb1ES3_NS6_12zip_iteratorINS7_INS6_11hip_rocprim26transform_input_iterator_tIbNSD_35transform_pair_of_input_iterators_tIbNS6_6detail15normal_iteratorINS6_10device_ptrIKtEEEESL_NS6_8equal_toItEEEENSG_9not_fun_tINSD_8identityEEEEENSD_19counting_iterator_tIlEES8_S8_S8_S8_S8_S8_S8_S8_EEEEPS9_S9_NSD_9__find_if7functorIS9_EEEE10hipError_tPvRmT1_T2_T3_mT4_P12ihipStream_tbEUlT_E1_NS1_11comp_targetILNS1_3genE3ELNS1_11target_archE908ELNS1_3gpuE7ELNS1_3repE0EEENS1_30default_config_static_selectorELNS0_4arch9wavefront6targetE1EEEvS14_ ; -- Begin function _ZN7rocprim17ROCPRIM_400000_NS6detail17trampoline_kernelINS0_14default_configENS1_22reduce_config_selectorIN6thrust23THRUST_200600_302600_NS5tupleIblNS6_9null_typeES8_S8_S8_S8_S8_S8_S8_EEEEZNS1_11reduce_implILb1ES3_NS6_12zip_iteratorINS7_INS6_11hip_rocprim26transform_input_iterator_tIbNSD_35transform_pair_of_input_iterators_tIbNS6_6detail15normal_iteratorINS6_10device_ptrIKtEEEESL_NS6_8equal_toItEEEENSG_9not_fun_tINSD_8identityEEEEENSD_19counting_iterator_tIlEES8_S8_S8_S8_S8_S8_S8_S8_EEEEPS9_S9_NSD_9__find_if7functorIS9_EEEE10hipError_tPvRmT1_T2_T3_mT4_P12ihipStream_tbEUlT_E1_NS1_11comp_targetILNS1_3genE3ELNS1_11target_archE908ELNS1_3gpuE7ELNS1_3repE0EEENS1_30default_config_static_selectorELNS0_4arch9wavefront6targetE1EEEvS14_
	.globl	_ZN7rocprim17ROCPRIM_400000_NS6detail17trampoline_kernelINS0_14default_configENS1_22reduce_config_selectorIN6thrust23THRUST_200600_302600_NS5tupleIblNS6_9null_typeES8_S8_S8_S8_S8_S8_S8_EEEEZNS1_11reduce_implILb1ES3_NS6_12zip_iteratorINS7_INS6_11hip_rocprim26transform_input_iterator_tIbNSD_35transform_pair_of_input_iterators_tIbNS6_6detail15normal_iteratorINS6_10device_ptrIKtEEEESL_NS6_8equal_toItEEEENSG_9not_fun_tINSD_8identityEEEEENSD_19counting_iterator_tIlEES8_S8_S8_S8_S8_S8_S8_S8_EEEEPS9_S9_NSD_9__find_if7functorIS9_EEEE10hipError_tPvRmT1_T2_T3_mT4_P12ihipStream_tbEUlT_E1_NS1_11comp_targetILNS1_3genE3ELNS1_11target_archE908ELNS1_3gpuE7ELNS1_3repE0EEENS1_30default_config_static_selectorELNS0_4arch9wavefront6targetE1EEEvS14_
	.p2align	8
	.type	_ZN7rocprim17ROCPRIM_400000_NS6detail17trampoline_kernelINS0_14default_configENS1_22reduce_config_selectorIN6thrust23THRUST_200600_302600_NS5tupleIblNS6_9null_typeES8_S8_S8_S8_S8_S8_S8_EEEEZNS1_11reduce_implILb1ES3_NS6_12zip_iteratorINS7_INS6_11hip_rocprim26transform_input_iterator_tIbNSD_35transform_pair_of_input_iterators_tIbNS6_6detail15normal_iteratorINS6_10device_ptrIKtEEEESL_NS6_8equal_toItEEEENSG_9not_fun_tINSD_8identityEEEEENSD_19counting_iterator_tIlEES8_S8_S8_S8_S8_S8_S8_S8_EEEEPS9_S9_NSD_9__find_if7functorIS9_EEEE10hipError_tPvRmT1_T2_T3_mT4_P12ihipStream_tbEUlT_E1_NS1_11comp_targetILNS1_3genE3ELNS1_11target_archE908ELNS1_3gpuE7ELNS1_3repE0EEENS1_30default_config_static_selectorELNS0_4arch9wavefront6targetE1EEEvS14_,@function
_ZN7rocprim17ROCPRIM_400000_NS6detail17trampoline_kernelINS0_14default_configENS1_22reduce_config_selectorIN6thrust23THRUST_200600_302600_NS5tupleIblNS6_9null_typeES8_S8_S8_S8_S8_S8_S8_EEEEZNS1_11reduce_implILb1ES3_NS6_12zip_iteratorINS7_INS6_11hip_rocprim26transform_input_iterator_tIbNSD_35transform_pair_of_input_iterators_tIbNS6_6detail15normal_iteratorINS6_10device_ptrIKtEEEESL_NS6_8equal_toItEEEENSG_9not_fun_tINSD_8identityEEEEENSD_19counting_iterator_tIlEES8_S8_S8_S8_S8_S8_S8_S8_EEEEPS9_S9_NSD_9__find_if7functorIS9_EEEE10hipError_tPvRmT1_T2_T3_mT4_P12ihipStream_tbEUlT_E1_NS1_11comp_targetILNS1_3genE3ELNS1_11target_archE908ELNS1_3gpuE7ELNS1_3repE0EEENS1_30default_config_static_selectorELNS0_4arch9wavefront6targetE1EEEvS14_: ; @_ZN7rocprim17ROCPRIM_400000_NS6detail17trampoline_kernelINS0_14default_configENS1_22reduce_config_selectorIN6thrust23THRUST_200600_302600_NS5tupleIblNS6_9null_typeES8_S8_S8_S8_S8_S8_S8_EEEEZNS1_11reduce_implILb1ES3_NS6_12zip_iteratorINS7_INS6_11hip_rocprim26transform_input_iterator_tIbNSD_35transform_pair_of_input_iterators_tIbNS6_6detail15normal_iteratorINS6_10device_ptrIKtEEEESL_NS6_8equal_toItEEEENSG_9not_fun_tINSD_8identityEEEEENSD_19counting_iterator_tIlEES8_S8_S8_S8_S8_S8_S8_S8_EEEEPS9_S9_NSD_9__find_if7functorIS9_EEEE10hipError_tPvRmT1_T2_T3_mT4_P12ihipStream_tbEUlT_E1_NS1_11comp_targetILNS1_3genE3ELNS1_11target_archE908ELNS1_3gpuE7ELNS1_3repE0EEENS1_30default_config_static_selectorELNS0_4arch9wavefront6targetE1EEEvS14_
; %bb.0:
	.section	.rodata,"a",@progbits
	.p2align	6, 0x0
	.amdhsa_kernel _ZN7rocprim17ROCPRIM_400000_NS6detail17trampoline_kernelINS0_14default_configENS1_22reduce_config_selectorIN6thrust23THRUST_200600_302600_NS5tupleIblNS6_9null_typeES8_S8_S8_S8_S8_S8_S8_EEEEZNS1_11reduce_implILb1ES3_NS6_12zip_iteratorINS7_INS6_11hip_rocprim26transform_input_iterator_tIbNSD_35transform_pair_of_input_iterators_tIbNS6_6detail15normal_iteratorINS6_10device_ptrIKtEEEESL_NS6_8equal_toItEEEENSG_9not_fun_tINSD_8identityEEEEENSD_19counting_iterator_tIlEES8_S8_S8_S8_S8_S8_S8_S8_EEEEPS9_S9_NSD_9__find_if7functorIS9_EEEE10hipError_tPvRmT1_T2_T3_mT4_P12ihipStream_tbEUlT_E1_NS1_11comp_targetILNS1_3genE3ELNS1_11target_archE908ELNS1_3gpuE7ELNS1_3repE0EEENS1_30default_config_static_selectorELNS0_4arch9wavefront6targetE1EEEvS14_
		.amdhsa_group_segment_fixed_size 0
		.amdhsa_private_segment_fixed_size 0
		.amdhsa_kernarg_size 88
		.amdhsa_user_sgpr_count 2
		.amdhsa_user_sgpr_dispatch_ptr 0
		.amdhsa_user_sgpr_queue_ptr 0
		.amdhsa_user_sgpr_kernarg_segment_ptr 1
		.amdhsa_user_sgpr_dispatch_id 0
		.amdhsa_user_sgpr_kernarg_preload_length 0
		.amdhsa_user_sgpr_kernarg_preload_offset 0
		.amdhsa_user_sgpr_private_segment_size 0
		.amdhsa_uses_dynamic_stack 0
		.amdhsa_enable_private_segment 0
		.amdhsa_system_sgpr_workgroup_id_x 1
		.amdhsa_system_sgpr_workgroup_id_y 0
		.amdhsa_system_sgpr_workgroup_id_z 0
		.amdhsa_system_sgpr_workgroup_info 0
		.amdhsa_system_vgpr_workitem_id 0
		.amdhsa_next_free_vgpr 1
		.amdhsa_next_free_sgpr 0
		.amdhsa_accum_offset 4
		.amdhsa_reserve_vcc 0
		.amdhsa_float_round_mode_32 0
		.amdhsa_float_round_mode_16_64 0
		.amdhsa_float_denorm_mode_32 3
		.amdhsa_float_denorm_mode_16_64 3
		.amdhsa_dx10_clamp 1
		.amdhsa_ieee_mode 1
		.amdhsa_fp16_overflow 0
		.amdhsa_tg_split 0
		.amdhsa_exception_fp_ieee_invalid_op 0
		.amdhsa_exception_fp_denorm_src 0
		.amdhsa_exception_fp_ieee_div_zero 0
		.amdhsa_exception_fp_ieee_overflow 0
		.amdhsa_exception_fp_ieee_underflow 0
		.amdhsa_exception_fp_ieee_inexact 0
		.amdhsa_exception_int_div_zero 0
	.end_amdhsa_kernel
	.section	.text._ZN7rocprim17ROCPRIM_400000_NS6detail17trampoline_kernelINS0_14default_configENS1_22reduce_config_selectorIN6thrust23THRUST_200600_302600_NS5tupleIblNS6_9null_typeES8_S8_S8_S8_S8_S8_S8_EEEEZNS1_11reduce_implILb1ES3_NS6_12zip_iteratorINS7_INS6_11hip_rocprim26transform_input_iterator_tIbNSD_35transform_pair_of_input_iterators_tIbNS6_6detail15normal_iteratorINS6_10device_ptrIKtEEEESL_NS6_8equal_toItEEEENSG_9not_fun_tINSD_8identityEEEEENSD_19counting_iterator_tIlEES8_S8_S8_S8_S8_S8_S8_S8_EEEEPS9_S9_NSD_9__find_if7functorIS9_EEEE10hipError_tPvRmT1_T2_T3_mT4_P12ihipStream_tbEUlT_E1_NS1_11comp_targetILNS1_3genE3ELNS1_11target_archE908ELNS1_3gpuE7ELNS1_3repE0EEENS1_30default_config_static_selectorELNS0_4arch9wavefront6targetE1EEEvS14_,"axG",@progbits,_ZN7rocprim17ROCPRIM_400000_NS6detail17trampoline_kernelINS0_14default_configENS1_22reduce_config_selectorIN6thrust23THRUST_200600_302600_NS5tupleIblNS6_9null_typeES8_S8_S8_S8_S8_S8_S8_EEEEZNS1_11reduce_implILb1ES3_NS6_12zip_iteratorINS7_INS6_11hip_rocprim26transform_input_iterator_tIbNSD_35transform_pair_of_input_iterators_tIbNS6_6detail15normal_iteratorINS6_10device_ptrIKtEEEESL_NS6_8equal_toItEEEENSG_9not_fun_tINSD_8identityEEEEENSD_19counting_iterator_tIlEES8_S8_S8_S8_S8_S8_S8_S8_EEEEPS9_S9_NSD_9__find_if7functorIS9_EEEE10hipError_tPvRmT1_T2_T3_mT4_P12ihipStream_tbEUlT_E1_NS1_11comp_targetILNS1_3genE3ELNS1_11target_archE908ELNS1_3gpuE7ELNS1_3repE0EEENS1_30default_config_static_selectorELNS0_4arch9wavefront6targetE1EEEvS14_,comdat
.Lfunc_end1040:
	.size	_ZN7rocprim17ROCPRIM_400000_NS6detail17trampoline_kernelINS0_14default_configENS1_22reduce_config_selectorIN6thrust23THRUST_200600_302600_NS5tupleIblNS6_9null_typeES8_S8_S8_S8_S8_S8_S8_EEEEZNS1_11reduce_implILb1ES3_NS6_12zip_iteratorINS7_INS6_11hip_rocprim26transform_input_iterator_tIbNSD_35transform_pair_of_input_iterators_tIbNS6_6detail15normal_iteratorINS6_10device_ptrIKtEEEESL_NS6_8equal_toItEEEENSG_9not_fun_tINSD_8identityEEEEENSD_19counting_iterator_tIlEES8_S8_S8_S8_S8_S8_S8_S8_EEEEPS9_S9_NSD_9__find_if7functorIS9_EEEE10hipError_tPvRmT1_T2_T3_mT4_P12ihipStream_tbEUlT_E1_NS1_11comp_targetILNS1_3genE3ELNS1_11target_archE908ELNS1_3gpuE7ELNS1_3repE0EEENS1_30default_config_static_selectorELNS0_4arch9wavefront6targetE1EEEvS14_, .Lfunc_end1040-_ZN7rocprim17ROCPRIM_400000_NS6detail17trampoline_kernelINS0_14default_configENS1_22reduce_config_selectorIN6thrust23THRUST_200600_302600_NS5tupleIblNS6_9null_typeES8_S8_S8_S8_S8_S8_S8_EEEEZNS1_11reduce_implILb1ES3_NS6_12zip_iteratorINS7_INS6_11hip_rocprim26transform_input_iterator_tIbNSD_35transform_pair_of_input_iterators_tIbNS6_6detail15normal_iteratorINS6_10device_ptrIKtEEEESL_NS6_8equal_toItEEEENSG_9not_fun_tINSD_8identityEEEEENSD_19counting_iterator_tIlEES8_S8_S8_S8_S8_S8_S8_S8_EEEEPS9_S9_NSD_9__find_if7functorIS9_EEEE10hipError_tPvRmT1_T2_T3_mT4_P12ihipStream_tbEUlT_E1_NS1_11comp_targetILNS1_3genE3ELNS1_11target_archE908ELNS1_3gpuE7ELNS1_3repE0EEENS1_30default_config_static_selectorELNS0_4arch9wavefront6targetE1EEEvS14_
                                        ; -- End function
	.set _ZN7rocprim17ROCPRIM_400000_NS6detail17trampoline_kernelINS0_14default_configENS1_22reduce_config_selectorIN6thrust23THRUST_200600_302600_NS5tupleIblNS6_9null_typeES8_S8_S8_S8_S8_S8_S8_EEEEZNS1_11reduce_implILb1ES3_NS6_12zip_iteratorINS7_INS6_11hip_rocprim26transform_input_iterator_tIbNSD_35transform_pair_of_input_iterators_tIbNS6_6detail15normal_iteratorINS6_10device_ptrIKtEEEESL_NS6_8equal_toItEEEENSG_9not_fun_tINSD_8identityEEEEENSD_19counting_iterator_tIlEES8_S8_S8_S8_S8_S8_S8_S8_EEEEPS9_S9_NSD_9__find_if7functorIS9_EEEE10hipError_tPvRmT1_T2_T3_mT4_P12ihipStream_tbEUlT_E1_NS1_11comp_targetILNS1_3genE3ELNS1_11target_archE908ELNS1_3gpuE7ELNS1_3repE0EEENS1_30default_config_static_selectorELNS0_4arch9wavefront6targetE1EEEvS14_.num_vgpr, 0
	.set _ZN7rocprim17ROCPRIM_400000_NS6detail17trampoline_kernelINS0_14default_configENS1_22reduce_config_selectorIN6thrust23THRUST_200600_302600_NS5tupleIblNS6_9null_typeES8_S8_S8_S8_S8_S8_S8_EEEEZNS1_11reduce_implILb1ES3_NS6_12zip_iteratorINS7_INS6_11hip_rocprim26transform_input_iterator_tIbNSD_35transform_pair_of_input_iterators_tIbNS6_6detail15normal_iteratorINS6_10device_ptrIKtEEEESL_NS6_8equal_toItEEEENSG_9not_fun_tINSD_8identityEEEEENSD_19counting_iterator_tIlEES8_S8_S8_S8_S8_S8_S8_S8_EEEEPS9_S9_NSD_9__find_if7functorIS9_EEEE10hipError_tPvRmT1_T2_T3_mT4_P12ihipStream_tbEUlT_E1_NS1_11comp_targetILNS1_3genE3ELNS1_11target_archE908ELNS1_3gpuE7ELNS1_3repE0EEENS1_30default_config_static_selectorELNS0_4arch9wavefront6targetE1EEEvS14_.num_agpr, 0
	.set _ZN7rocprim17ROCPRIM_400000_NS6detail17trampoline_kernelINS0_14default_configENS1_22reduce_config_selectorIN6thrust23THRUST_200600_302600_NS5tupleIblNS6_9null_typeES8_S8_S8_S8_S8_S8_S8_EEEEZNS1_11reduce_implILb1ES3_NS6_12zip_iteratorINS7_INS6_11hip_rocprim26transform_input_iterator_tIbNSD_35transform_pair_of_input_iterators_tIbNS6_6detail15normal_iteratorINS6_10device_ptrIKtEEEESL_NS6_8equal_toItEEEENSG_9not_fun_tINSD_8identityEEEEENSD_19counting_iterator_tIlEES8_S8_S8_S8_S8_S8_S8_S8_EEEEPS9_S9_NSD_9__find_if7functorIS9_EEEE10hipError_tPvRmT1_T2_T3_mT4_P12ihipStream_tbEUlT_E1_NS1_11comp_targetILNS1_3genE3ELNS1_11target_archE908ELNS1_3gpuE7ELNS1_3repE0EEENS1_30default_config_static_selectorELNS0_4arch9wavefront6targetE1EEEvS14_.numbered_sgpr, 0
	.set _ZN7rocprim17ROCPRIM_400000_NS6detail17trampoline_kernelINS0_14default_configENS1_22reduce_config_selectorIN6thrust23THRUST_200600_302600_NS5tupleIblNS6_9null_typeES8_S8_S8_S8_S8_S8_S8_EEEEZNS1_11reduce_implILb1ES3_NS6_12zip_iteratorINS7_INS6_11hip_rocprim26transform_input_iterator_tIbNSD_35transform_pair_of_input_iterators_tIbNS6_6detail15normal_iteratorINS6_10device_ptrIKtEEEESL_NS6_8equal_toItEEEENSG_9not_fun_tINSD_8identityEEEEENSD_19counting_iterator_tIlEES8_S8_S8_S8_S8_S8_S8_S8_EEEEPS9_S9_NSD_9__find_if7functorIS9_EEEE10hipError_tPvRmT1_T2_T3_mT4_P12ihipStream_tbEUlT_E1_NS1_11comp_targetILNS1_3genE3ELNS1_11target_archE908ELNS1_3gpuE7ELNS1_3repE0EEENS1_30default_config_static_selectorELNS0_4arch9wavefront6targetE1EEEvS14_.num_named_barrier, 0
	.set _ZN7rocprim17ROCPRIM_400000_NS6detail17trampoline_kernelINS0_14default_configENS1_22reduce_config_selectorIN6thrust23THRUST_200600_302600_NS5tupleIblNS6_9null_typeES8_S8_S8_S8_S8_S8_S8_EEEEZNS1_11reduce_implILb1ES3_NS6_12zip_iteratorINS7_INS6_11hip_rocprim26transform_input_iterator_tIbNSD_35transform_pair_of_input_iterators_tIbNS6_6detail15normal_iteratorINS6_10device_ptrIKtEEEESL_NS6_8equal_toItEEEENSG_9not_fun_tINSD_8identityEEEEENSD_19counting_iterator_tIlEES8_S8_S8_S8_S8_S8_S8_S8_EEEEPS9_S9_NSD_9__find_if7functorIS9_EEEE10hipError_tPvRmT1_T2_T3_mT4_P12ihipStream_tbEUlT_E1_NS1_11comp_targetILNS1_3genE3ELNS1_11target_archE908ELNS1_3gpuE7ELNS1_3repE0EEENS1_30default_config_static_selectorELNS0_4arch9wavefront6targetE1EEEvS14_.private_seg_size, 0
	.set _ZN7rocprim17ROCPRIM_400000_NS6detail17trampoline_kernelINS0_14default_configENS1_22reduce_config_selectorIN6thrust23THRUST_200600_302600_NS5tupleIblNS6_9null_typeES8_S8_S8_S8_S8_S8_S8_EEEEZNS1_11reduce_implILb1ES3_NS6_12zip_iteratorINS7_INS6_11hip_rocprim26transform_input_iterator_tIbNSD_35transform_pair_of_input_iterators_tIbNS6_6detail15normal_iteratorINS6_10device_ptrIKtEEEESL_NS6_8equal_toItEEEENSG_9not_fun_tINSD_8identityEEEEENSD_19counting_iterator_tIlEES8_S8_S8_S8_S8_S8_S8_S8_EEEEPS9_S9_NSD_9__find_if7functorIS9_EEEE10hipError_tPvRmT1_T2_T3_mT4_P12ihipStream_tbEUlT_E1_NS1_11comp_targetILNS1_3genE3ELNS1_11target_archE908ELNS1_3gpuE7ELNS1_3repE0EEENS1_30default_config_static_selectorELNS0_4arch9wavefront6targetE1EEEvS14_.uses_vcc, 0
	.set _ZN7rocprim17ROCPRIM_400000_NS6detail17trampoline_kernelINS0_14default_configENS1_22reduce_config_selectorIN6thrust23THRUST_200600_302600_NS5tupleIblNS6_9null_typeES8_S8_S8_S8_S8_S8_S8_EEEEZNS1_11reduce_implILb1ES3_NS6_12zip_iteratorINS7_INS6_11hip_rocprim26transform_input_iterator_tIbNSD_35transform_pair_of_input_iterators_tIbNS6_6detail15normal_iteratorINS6_10device_ptrIKtEEEESL_NS6_8equal_toItEEEENSG_9not_fun_tINSD_8identityEEEEENSD_19counting_iterator_tIlEES8_S8_S8_S8_S8_S8_S8_S8_EEEEPS9_S9_NSD_9__find_if7functorIS9_EEEE10hipError_tPvRmT1_T2_T3_mT4_P12ihipStream_tbEUlT_E1_NS1_11comp_targetILNS1_3genE3ELNS1_11target_archE908ELNS1_3gpuE7ELNS1_3repE0EEENS1_30default_config_static_selectorELNS0_4arch9wavefront6targetE1EEEvS14_.uses_flat_scratch, 0
	.set _ZN7rocprim17ROCPRIM_400000_NS6detail17trampoline_kernelINS0_14default_configENS1_22reduce_config_selectorIN6thrust23THRUST_200600_302600_NS5tupleIblNS6_9null_typeES8_S8_S8_S8_S8_S8_S8_EEEEZNS1_11reduce_implILb1ES3_NS6_12zip_iteratorINS7_INS6_11hip_rocprim26transform_input_iterator_tIbNSD_35transform_pair_of_input_iterators_tIbNS6_6detail15normal_iteratorINS6_10device_ptrIKtEEEESL_NS6_8equal_toItEEEENSG_9not_fun_tINSD_8identityEEEEENSD_19counting_iterator_tIlEES8_S8_S8_S8_S8_S8_S8_S8_EEEEPS9_S9_NSD_9__find_if7functorIS9_EEEE10hipError_tPvRmT1_T2_T3_mT4_P12ihipStream_tbEUlT_E1_NS1_11comp_targetILNS1_3genE3ELNS1_11target_archE908ELNS1_3gpuE7ELNS1_3repE0EEENS1_30default_config_static_selectorELNS0_4arch9wavefront6targetE1EEEvS14_.has_dyn_sized_stack, 0
	.set _ZN7rocprim17ROCPRIM_400000_NS6detail17trampoline_kernelINS0_14default_configENS1_22reduce_config_selectorIN6thrust23THRUST_200600_302600_NS5tupleIblNS6_9null_typeES8_S8_S8_S8_S8_S8_S8_EEEEZNS1_11reduce_implILb1ES3_NS6_12zip_iteratorINS7_INS6_11hip_rocprim26transform_input_iterator_tIbNSD_35transform_pair_of_input_iterators_tIbNS6_6detail15normal_iteratorINS6_10device_ptrIKtEEEESL_NS6_8equal_toItEEEENSG_9not_fun_tINSD_8identityEEEEENSD_19counting_iterator_tIlEES8_S8_S8_S8_S8_S8_S8_S8_EEEEPS9_S9_NSD_9__find_if7functorIS9_EEEE10hipError_tPvRmT1_T2_T3_mT4_P12ihipStream_tbEUlT_E1_NS1_11comp_targetILNS1_3genE3ELNS1_11target_archE908ELNS1_3gpuE7ELNS1_3repE0EEENS1_30default_config_static_selectorELNS0_4arch9wavefront6targetE1EEEvS14_.has_recursion, 0
	.set _ZN7rocprim17ROCPRIM_400000_NS6detail17trampoline_kernelINS0_14default_configENS1_22reduce_config_selectorIN6thrust23THRUST_200600_302600_NS5tupleIblNS6_9null_typeES8_S8_S8_S8_S8_S8_S8_EEEEZNS1_11reduce_implILb1ES3_NS6_12zip_iteratorINS7_INS6_11hip_rocprim26transform_input_iterator_tIbNSD_35transform_pair_of_input_iterators_tIbNS6_6detail15normal_iteratorINS6_10device_ptrIKtEEEESL_NS6_8equal_toItEEEENSG_9not_fun_tINSD_8identityEEEEENSD_19counting_iterator_tIlEES8_S8_S8_S8_S8_S8_S8_S8_EEEEPS9_S9_NSD_9__find_if7functorIS9_EEEE10hipError_tPvRmT1_T2_T3_mT4_P12ihipStream_tbEUlT_E1_NS1_11comp_targetILNS1_3genE3ELNS1_11target_archE908ELNS1_3gpuE7ELNS1_3repE0EEENS1_30default_config_static_selectorELNS0_4arch9wavefront6targetE1EEEvS14_.has_indirect_call, 0
	.section	.AMDGPU.csdata,"",@progbits
; Kernel info:
; codeLenInByte = 0
; TotalNumSgprs: 6
; NumVgprs: 0
; NumAgprs: 0
; TotalNumVgprs: 0
; ScratchSize: 0
; MemoryBound: 0
; FloatMode: 240
; IeeeMode: 1
; LDSByteSize: 0 bytes/workgroup (compile time only)
; SGPRBlocks: 0
; VGPRBlocks: 0
; NumSGPRsForWavesPerEU: 6
; NumVGPRsForWavesPerEU: 1
; AccumOffset: 4
; Occupancy: 8
; WaveLimiterHint : 0
; COMPUTE_PGM_RSRC2:SCRATCH_EN: 0
; COMPUTE_PGM_RSRC2:USER_SGPR: 2
; COMPUTE_PGM_RSRC2:TRAP_HANDLER: 0
; COMPUTE_PGM_RSRC2:TGID_X_EN: 1
; COMPUTE_PGM_RSRC2:TGID_Y_EN: 0
; COMPUTE_PGM_RSRC2:TGID_Z_EN: 0
; COMPUTE_PGM_RSRC2:TIDIG_COMP_CNT: 0
; COMPUTE_PGM_RSRC3_GFX90A:ACCUM_OFFSET: 0
; COMPUTE_PGM_RSRC3_GFX90A:TG_SPLIT: 0
	.section	.text._ZN7rocprim17ROCPRIM_400000_NS6detail17trampoline_kernelINS0_14default_configENS1_22reduce_config_selectorIN6thrust23THRUST_200600_302600_NS5tupleIblNS6_9null_typeES8_S8_S8_S8_S8_S8_S8_EEEEZNS1_11reduce_implILb1ES3_NS6_12zip_iteratorINS7_INS6_11hip_rocprim26transform_input_iterator_tIbNSD_35transform_pair_of_input_iterators_tIbNS6_6detail15normal_iteratorINS6_10device_ptrIKtEEEESL_NS6_8equal_toItEEEENSG_9not_fun_tINSD_8identityEEEEENSD_19counting_iterator_tIlEES8_S8_S8_S8_S8_S8_S8_S8_EEEEPS9_S9_NSD_9__find_if7functorIS9_EEEE10hipError_tPvRmT1_T2_T3_mT4_P12ihipStream_tbEUlT_E1_NS1_11comp_targetILNS1_3genE2ELNS1_11target_archE906ELNS1_3gpuE6ELNS1_3repE0EEENS1_30default_config_static_selectorELNS0_4arch9wavefront6targetE1EEEvS14_,"axG",@progbits,_ZN7rocprim17ROCPRIM_400000_NS6detail17trampoline_kernelINS0_14default_configENS1_22reduce_config_selectorIN6thrust23THRUST_200600_302600_NS5tupleIblNS6_9null_typeES8_S8_S8_S8_S8_S8_S8_EEEEZNS1_11reduce_implILb1ES3_NS6_12zip_iteratorINS7_INS6_11hip_rocprim26transform_input_iterator_tIbNSD_35transform_pair_of_input_iterators_tIbNS6_6detail15normal_iteratorINS6_10device_ptrIKtEEEESL_NS6_8equal_toItEEEENSG_9not_fun_tINSD_8identityEEEEENSD_19counting_iterator_tIlEES8_S8_S8_S8_S8_S8_S8_S8_EEEEPS9_S9_NSD_9__find_if7functorIS9_EEEE10hipError_tPvRmT1_T2_T3_mT4_P12ihipStream_tbEUlT_E1_NS1_11comp_targetILNS1_3genE2ELNS1_11target_archE906ELNS1_3gpuE6ELNS1_3repE0EEENS1_30default_config_static_selectorELNS0_4arch9wavefront6targetE1EEEvS14_,comdat
	.protected	_ZN7rocprim17ROCPRIM_400000_NS6detail17trampoline_kernelINS0_14default_configENS1_22reduce_config_selectorIN6thrust23THRUST_200600_302600_NS5tupleIblNS6_9null_typeES8_S8_S8_S8_S8_S8_S8_EEEEZNS1_11reduce_implILb1ES3_NS6_12zip_iteratorINS7_INS6_11hip_rocprim26transform_input_iterator_tIbNSD_35transform_pair_of_input_iterators_tIbNS6_6detail15normal_iteratorINS6_10device_ptrIKtEEEESL_NS6_8equal_toItEEEENSG_9not_fun_tINSD_8identityEEEEENSD_19counting_iterator_tIlEES8_S8_S8_S8_S8_S8_S8_S8_EEEEPS9_S9_NSD_9__find_if7functorIS9_EEEE10hipError_tPvRmT1_T2_T3_mT4_P12ihipStream_tbEUlT_E1_NS1_11comp_targetILNS1_3genE2ELNS1_11target_archE906ELNS1_3gpuE6ELNS1_3repE0EEENS1_30default_config_static_selectorELNS0_4arch9wavefront6targetE1EEEvS14_ ; -- Begin function _ZN7rocprim17ROCPRIM_400000_NS6detail17trampoline_kernelINS0_14default_configENS1_22reduce_config_selectorIN6thrust23THRUST_200600_302600_NS5tupleIblNS6_9null_typeES8_S8_S8_S8_S8_S8_S8_EEEEZNS1_11reduce_implILb1ES3_NS6_12zip_iteratorINS7_INS6_11hip_rocprim26transform_input_iterator_tIbNSD_35transform_pair_of_input_iterators_tIbNS6_6detail15normal_iteratorINS6_10device_ptrIKtEEEESL_NS6_8equal_toItEEEENSG_9not_fun_tINSD_8identityEEEEENSD_19counting_iterator_tIlEES8_S8_S8_S8_S8_S8_S8_S8_EEEEPS9_S9_NSD_9__find_if7functorIS9_EEEE10hipError_tPvRmT1_T2_T3_mT4_P12ihipStream_tbEUlT_E1_NS1_11comp_targetILNS1_3genE2ELNS1_11target_archE906ELNS1_3gpuE6ELNS1_3repE0EEENS1_30default_config_static_selectorELNS0_4arch9wavefront6targetE1EEEvS14_
	.globl	_ZN7rocprim17ROCPRIM_400000_NS6detail17trampoline_kernelINS0_14default_configENS1_22reduce_config_selectorIN6thrust23THRUST_200600_302600_NS5tupleIblNS6_9null_typeES8_S8_S8_S8_S8_S8_S8_EEEEZNS1_11reduce_implILb1ES3_NS6_12zip_iteratorINS7_INS6_11hip_rocprim26transform_input_iterator_tIbNSD_35transform_pair_of_input_iterators_tIbNS6_6detail15normal_iteratorINS6_10device_ptrIKtEEEESL_NS6_8equal_toItEEEENSG_9not_fun_tINSD_8identityEEEEENSD_19counting_iterator_tIlEES8_S8_S8_S8_S8_S8_S8_S8_EEEEPS9_S9_NSD_9__find_if7functorIS9_EEEE10hipError_tPvRmT1_T2_T3_mT4_P12ihipStream_tbEUlT_E1_NS1_11comp_targetILNS1_3genE2ELNS1_11target_archE906ELNS1_3gpuE6ELNS1_3repE0EEENS1_30default_config_static_selectorELNS0_4arch9wavefront6targetE1EEEvS14_
	.p2align	8
	.type	_ZN7rocprim17ROCPRIM_400000_NS6detail17trampoline_kernelINS0_14default_configENS1_22reduce_config_selectorIN6thrust23THRUST_200600_302600_NS5tupleIblNS6_9null_typeES8_S8_S8_S8_S8_S8_S8_EEEEZNS1_11reduce_implILb1ES3_NS6_12zip_iteratorINS7_INS6_11hip_rocprim26transform_input_iterator_tIbNSD_35transform_pair_of_input_iterators_tIbNS6_6detail15normal_iteratorINS6_10device_ptrIKtEEEESL_NS6_8equal_toItEEEENSG_9not_fun_tINSD_8identityEEEEENSD_19counting_iterator_tIlEES8_S8_S8_S8_S8_S8_S8_S8_EEEEPS9_S9_NSD_9__find_if7functorIS9_EEEE10hipError_tPvRmT1_T2_T3_mT4_P12ihipStream_tbEUlT_E1_NS1_11comp_targetILNS1_3genE2ELNS1_11target_archE906ELNS1_3gpuE6ELNS1_3repE0EEENS1_30default_config_static_selectorELNS0_4arch9wavefront6targetE1EEEvS14_,@function
_ZN7rocprim17ROCPRIM_400000_NS6detail17trampoline_kernelINS0_14default_configENS1_22reduce_config_selectorIN6thrust23THRUST_200600_302600_NS5tupleIblNS6_9null_typeES8_S8_S8_S8_S8_S8_S8_EEEEZNS1_11reduce_implILb1ES3_NS6_12zip_iteratorINS7_INS6_11hip_rocprim26transform_input_iterator_tIbNSD_35transform_pair_of_input_iterators_tIbNS6_6detail15normal_iteratorINS6_10device_ptrIKtEEEESL_NS6_8equal_toItEEEENSG_9not_fun_tINSD_8identityEEEEENSD_19counting_iterator_tIlEES8_S8_S8_S8_S8_S8_S8_S8_EEEEPS9_S9_NSD_9__find_if7functorIS9_EEEE10hipError_tPvRmT1_T2_T3_mT4_P12ihipStream_tbEUlT_E1_NS1_11comp_targetILNS1_3genE2ELNS1_11target_archE906ELNS1_3gpuE6ELNS1_3repE0EEENS1_30default_config_static_selectorELNS0_4arch9wavefront6targetE1EEEvS14_: ; @_ZN7rocprim17ROCPRIM_400000_NS6detail17trampoline_kernelINS0_14default_configENS1_22reduce_config_selectorIN6thrust23THRUST_200600_302600_NS5tupleIblNS6_9null_typeES8_S8_S8_S8_S8_S8_S8_EEEEZNS1_11reduce_implILb1ES3_NS6_12zip_iteratorINS7_INS6_11hip_rocprim26transform_input_iterator_tIbNSD_35transform_pair_of_input_iterators_tIbNS6_6detail15normal_iteratorINS6_10device_ptrIKtEEEESL_NS6_8equal_toItEEEENSG_9not_fun_tINSD_8identityEEEEENSD_19counting_iterator_tIlEES8_S8_S8_S8_S8_S8_S8_S8_EEEEPS9_S9_NSD_9__find_if7functorIS9_EEEE10hipError_tPvRmT1_T2_T3_mT4_P12ihipStream_tbEUlT_E1_NS1_11comp_targetILNS1_3genE2ELNS1_11target_archE906ELNS1_3gpuE6ELNS1_3repE0EEENS1_30default_config_static_selectorELNS0_4arch9wavefront6targetE1EEEvS14_
; %bb.0:
	.section	.rodata,"a",@progbits
	.p2align	6, 0x0
	.amdhsa_kernel _ZN7rocprim17ROCPRIM_400000_NS6detail17trampoline_kernelINS0_14default_configENS1_22reduce_config_selectorIN6thrust23THRUST_200600_302600_NS5tupleIblNS6_9null_typeES8_S8_S8_S8_S8_S8_S8_EEEEZNS1_11reduce_implILb1ES3_NS6_12zip_iteratorINS7_INS6_11hip_rocprim26transform_input_iterator_tIbNSD_35transform_pair_of_input_iterators_tIbNS6_6detail15normal_iteratorINS6_10device_ptrIKtEEEESL_NS6_8equal_toItEEEENSG_9not_fun_tINSD_8identityEEEEENSD_19counting_iterator_tIlEES8_S8_S8_S8_S8_S8_S8_S8_EEEEPS9_S9_NSD_9__find_if7functorIS9_EEEE10hipError_tPvRmT1_T2_T3_mT4_P12ihipStream_tbEUlT_E1_NS1_11comp_targetILNS1_3genE2ELNS1_11target_archE906ELNS1_3gpuE6ELNS1_3repE0EEENS1_30default_config_static_selectorELNS0_4arch9wavefront6targetE1EEEvS14_
		.amdhsa_group_segment_fixed_size 0
		.amdhsa_private_segment_fixed_size 0
		.amdhsa_kernarg_size 88
		.amdhsa_user_sgpr_count 2
		.amdhsa_user_sgpr_dispatch_ptr 0
		.amdhsa_user_sgpr_queue_ptr 0
		.amdhsa_user_sgpr_kernarg_segment_ptr 1
		.amdhsa_user_sgpr_dispatch_id 0
		.amdhsa_user_sgpr_kernarg_preload_length 0
		.amdhsa_user_sgpr_kernarg_preload_offset 0
		.amdhsa_user_sgpr_private_segment_size 0
		.amdhsa_uses_dynamic_stack 0
		.amdhsa_enable_private_segment 0
		.amdhsa_system_sgpr_workgroup_id_x 1
		.amdhsa_system_sgpr_workgroup_id_y 0
		.amdhsa_system_sgpr_workgroup_id_z 0
		.amdhsa_system_sgpr_workgroup_info 0
		.amdhsa_system_vgpr_workitem_id 0
		.amdhsa_next_free_vgpr 1
		.amdhsa_next_free_sgpr 0
		.amdhsa_accum_offset 4
		.amdhsa_reserve_vcc 0
		.amdhsa_float_round_mode_32 0
		.amdhsa_float_round_mode_16_64 0
		.amdhsa_float_denorm_mode_32 3
		.amdhsa_float_denorm_mode_16_64 3
		.amdhsa_dx10_clamp 1
		.amdhsa_ieee_mode 1
		.amdhsa_fp16_overflow 0
		.amdhsa_tg_split 0
		.amdhsa_exception_fp_ieee_invalid_op 0
		.amdhsa_exception_fp_denorm_src 0
		.amdhsa_exception_fp_ieee_div_zero 0
		.amdhsa_exception_fp_ieee_overflow 0
		.amdhsa_exception_fp_ieee_underflow 0
		.amdhsa_exception_fp_ieee_inexact 0
		.amdhsa_exception_int_div_zero 0
	.end_amdhsa_kernel
	.section	.text._ZN7rocprim17ROCPRIM_400000_NS6detail17trampoline_kernelINS0_14default_configENS1_22reduce_config_selectorIN6thrust23THRUST_200600_302600_NS5tupleIblNS6_9null_typeES8_S8_S8_S8_S8_S8_S8_EEEEZNS1_11reduce_implILb1ES3_NS6_12zip_iteratorINS7_INS6_11hip_rocprim26transform_input_iterator_tIbNSD_35transform_pair_of_input_iterators_tIbNS6_6detail15normal_iteratorINS6_10device_ptrIKtEEEESL_NS6_8equal_toItEEEENSG_9not_fun_tINSD_8identityEEEEENSD_19counting_iterator_tIlEES8_S8_S8_S8_S8_S8_S8_S8_EEEEPS9_S9_NSD_9__find_if7functorIS9_EEEE10hipError_tPvRmT1_T2_T3_mT4_P12ihipStream_tbEUlT_E1_NS1_11comp_targetILNS1_3genE2ELNS1_11target_archE906ELNS1_3gpuE6ELNS1_3repE0EEENS1_30default_config_static_selectorELNS0_4arch9wavefront6targetE1EEEvS14_,"axG",@progbits,_ZN7rocprim17ROCPRIM_400000_NS6detail17trampoline_kernelINS0_14default_configENS1_22reduce_config_selectorIN6thrust23THRUST_200600_302600_NS5tupleIblNS6_9null_typeES8_S8_S8_S8_S8_S8_S8_EEEEZNS1_11reduce_implILb1ES3_NS6_12zip_iteratorINS7_INS6_11hip_rocprim26transform_input_iterator_tIbNSD_35transform_pair_of_input_iterators_tIbNS6_6detail15normal_iteratorINS6_10device_ptrIKtEEEESL_NS6_8equal_toItEEEENSG_9not_fun_tINSD_8identityEEEEENSD_19counting_iterator_tIlEES8_S8_S8_S8_S8_S8_S8_S8_EEEEPS9_S9_NSD_9__find_if7functorIS9_EEEE10hipError_tPvRmT1_T2_T3_mT4_P12ihipStream_tbEUlT_E1_NS1_11comp_targetILNS1_3genE2ELNS1_11target_archE906ELNS1_3gpuE6ELNS1_3repE0EEENS1_30default_config_static_selectorELNS0_4arch9wavefront6targetE1EEEvS14_,comdat
.Lfunc_end1041:
	.size	_ZN7rocprim17ROCPRIM_400000_NS6detail17trampoline_kernelINS0_14default_configENS1_22reduce_config_selectorIN6thrust23THRUST_200600_302600_NS5tupleIblNS6_9null_typeES8_S8_S8_S8_S8_S8_S8_EEEEZNS1_11reduce_implILb1ES3_NS6_12zip_iteratorINS7_INS6_11hip_rocprim26transform_input_iterator_tIbNSD_35transform_pair_of_input_iterators_tIbNS6_6detail15normal_iteratorINS6_10device_ptrIKtEEEESL_NS6_8equal_toItEEEENSG_9not_fun_tINSD_8identityEEEEENSD_19counting_iterator_tIlEES8_S8_S8_S8_S8_S8_S8_S8_EEEEPS9_S9_NSD_9__find_if7functorIS9_EEEE10hipError_tPvRmT1_T2_T3_mT4_P12ihipStream_tbEUlT_E1_NS1_11comp_targetILNS1_3genE2ELNS1_11target_archE906ELNS1_3gpuE6ELNS1_3repE0EEENS1_30default_config_static_selectorELNS0_4arch9wavefront6targetE1EEEvS14_, .Lfunc_end1041-_ZN7rocprim17ROCPRIM_400000_NS6detail17trampoline_kernelINS0_14default_configENS1_22reduce_config_selectorIN6thrust23THRUST_200600_302600_NS5tupleIblNS6_9null_typeES8_S8_S8_S8_S8_S8_S8_EEEEZNS1_11reduce_implILb1ES3_NS6_12zip_iteratorINS7_INS6_11hip_rocprim26transform_input_iterator_tIbNSD_35transform_pair_of_input_iterators_tIbNS6_6detail15normal_iteratorINS6_10device_ptrIKtEEEESL_NS6_8equal_toItEEEENSG_9not_fun_tINSD_8identityEEEEENSD_19counting_iterator_tIlEES8_S8_S8_S8_S8_S8_S8_S8_EEEEPS9_S9_NSD_9__find_if7functorIS9_EEEE10hipError_tPvRmT1_T2_T3_mT4_P12ihipStream_tbEUlT_E1_NS1_11comp_targetILNS1_3genE2ELNS1_11target_archE906ELNS1_3gpuE6ELNS1_3repE0EEENS1_30default_config_static_selectorELNS0_4arch9wavefront6targetE1EEEvS14_
                                        ; -- End function
	.set _ZN7rocprim17ROCPRIM_400000_NS6detail17trampoline_kernelINS0_14default_configENS1_22reduce_config_selectorIN6thrust23THRUST_200600_302600_NS5tupleIblNS6_9null_typeES8_S8_S8_S8_S8_S8_S8_EEEEZNS1_11reduce_implILb1ES3_NS6_12zip_iteratorINS7_INS6_11hip_rocprim26transform_input_iterator_tIbNSD_35transform_pair_of_input_iterators_tIbNS6_6detail15normal_iteratorINS6_10device_ptrIKtEEEESL_NS6_8equal_toItEEEENSG_9not_fun_tINSD_8identityEEEEENSD_19counting_iterator_tIlEES8_S8_S8_S8_S8_S8_S8_S8_EEEEPS9_S9_NSD_9__find_if7functorIS9_EEEE10hipError_tPvRmT1_T2_T3_mT4_P12ihipStream_tbEUlT_E1_NS1_11comp_targetILNS1_3genE2ELNS1_11target_archE906ELNS1_3gpuE6ELNS1_3repE0EEENS1_30default_config_static_selectorELNS0_4arch9wavefront6targetE1EEEvS14_.num_vgpr, 0
	.set _ZN7rocprim17ROCPRIM_400000_NS6detail17trampoline_kernelINS0_14default_configENS1_22reduce_config_selectorIN6thrust23THRUST_200600_302600_NS5tupleIblNS6_9null_typeES8_S8_S8_S8_S8_S8_S8_EEEEZNS1_11reduce_implILb1ES3_NS6_12zip_iteratorINS7_INS6_11hip_rocprim26transform_input_iterator_tIbNSD_35transform_pair_of_input_iterators_tIbNS6_6detail15normal_iteratorINS6_10device_ptrIKtEEEESL_NS6_8equal_toItEEEENSG_9not_fun_tINSD_8identityEEEEENSD_19counting_iterator_tIlEES8_S8_S8_S8_S8_S8_S8_S8_EEEEPS9_S9_NSD_9__find_if7functorIS9_EEEE10hipError_tPvRmT1_T2_T3_mT4_P12ihipStream_tbEUlT_E1_NS1_11comp_targetILNS1_3genE2ELNS1_11target_archE906ELNS1_3gpuE6ELNS1_3repE0EEENS1_30default_config_static_selectorELNS0_4arch9wavefront6targetE1EEEvS14_.num_agpr, 0
	.set _ZN7rocprim17ROCPRIM_400000_NS6detail17trampoline_kernelINS0_14default_configENS1_22reduce_config_selectorIN6thrust23THRUST_200600_302600_NS5tupleIblNS6_9null_typeES8_S8_S8_S8_S8_S8_S8_EEEEZNS1_11reduce_implILb1ES3_NS6_12zip_iteratorINS7_INS6_11hip_rocprim26transform_input_iterator_tIbNSD_35transform_pair_of_input_iterators_tIbNS6_6detail15normal_iteratorINS6_10device_ptrIKtEEEESL_NS6_8equal_toItEEEENSG_9not_fun_tINSD_8identityEEEEENSD_19counting_iterator_tIlEES8_S8_S8_S8_S8_S8_S8_S8_EEEEPS9_S9_NSD_9__find_if7functorIS9_EEEE10hipError_tPvRmT1_T2_T3_mT4_P12ihipStream_tbEUlT_E1_NS1_11comp_targetILNS1_3genE2ELNS1_11target_archE906ELNS1_3gpuE6ELNS1_3repE0EEENS1_30default_config_static_selectorELNS0_4arch9wavefront6targetE1EEEvS14_.numbered_sgpr, 0
	.set _ZN7rocprim17ROCPRIM_400000_NS6detail17trampoline_kernelINS0_14default_configENS1_22reduce_config_selectorIN6thrust23THRUST_200600_302600_NS5tupleIblNS6_9null_typeES8_S8_S8_S8_S8_S8_S8_EEEEZNS1_11reduce_implILb1ES3_NS6_12zip_iteratorINS7_INS6_11hip_rocprim26transform_input_iterator_tIbNSD_35transform_pair_of_input_iterators_tIbNS6_6detail15normal_iteratorINS6_10device_ptrIKtEEEESL_NS6_8equal_toItEEEENSG_9not_fun_tINSD_8identityEEEEENSD_19counting_iterator_tIlEES8_S8_S8_S8_S8_S8_S8_S8_EEEEPS9_S9_NSD_9__find_if7functorIS9_EEEE10hipError_tPvRmT1_T2_T3_mT4_P12ihipStream_tbEUlT_E1_NS1_11comp_targetILNS1_3genE2ELNS1_11target_archE906ELNS1_3gpuE6ELNS1_3repE0EEENS1_30default_config_static_selectorELNS0_4arch9wavefront6targetE1EEEvS14_.num_named_barrier, 0
	.set _ZN7rocprim17ROCPRIM_400000_NS6detail17trampoline_kernelINS0_14default_configENS1_22reduce_config_selectorIN6thrust23THRUST_200600_302600_NS5tupleIblNS6_9null_typeES8_S8_S8_S8_S8_S8_S8_EEEEZNS1_11reduce_implILb1ES3_NS6_12zip_iteratorINS7_INS6_11hip_rocprim26transform_input_iterator_tIbNSD_35transform_pair_of_input_iterators_tIbNS6_6detail15normal_iteratorINS6_10device_ptrIKtEEEESL_NS6_8equal_toItEEEENSG_9not_fun_tINSD_8identityEEEEENSD_19counting_iterator_tIlEES8_S8_S8_S8_S8_S8_S8_S8_EEEEPS9_S9_NSD_9__find_if7functorIS9_EEEE10hipError_tPvRmT1_T2_T3_mT4_P12ihipStream_tbEUlT_E1_NS1_11comp_targetILNS1_3genE2ELNS1_11target_archE906ELNS1_3gpuE6ELNS1_3repE0EEENS1_30default_config_static_selectorELNS0_4arch9wavefront6targetE1EEEvS14_.private_seg_size, 0
	.set _ZN7rocprim17ROCPRIM_400000_NS6detail17trampoline_kernelINS0_14default_configENS1_22reduce_config_selectorIN6thrust23THRUST_200600_302600_NS5tupleIblNS6_9null_typeES8_S8_S8_S8_S8_S8_S8_EEEEZNS1_11reduce_implILb1ES3_NS6_12zip_iteratorINS7_INS6_11hip_rocprim26transform_input_iterator_tIbNSD_35transform_pair_of_input_iterators_tIbNS6_6detail15normal_iteratorINS6_10device_ptrIKtEEEESL_NS6_8equal_toItEEEENSG_9not_fun_tINSD_8identityEEEEENSD_19counting_iterator_tIlEES8_S8_S8_S8_S8_S8_S8_S8_EEEEPS9_S9_NSD_9__find_if7functorIS9_EEEE10hipError_tPvRmT1_T2_T3_mT4_P12ihipStream_tbEUlT_E1_NS1_11comp_targetILNS1_3genE2ELNS1_11target_archE906ELNS1_3gpuE6ELNS1_3repE0EEENS1_30default_config_static_selectorELNS0_4arch9wavefront6targetE1EEEvS14_.uses_vcc, 0
	.set _ZN7rocprim17ROCPRIM_400000_NS6detail17trampoline_kernelINS0_14default_configENS1_22reduce_config_selectorIN6thrust23THRUST_200600_302600_NS5tupleIblNS6_9null_typeES8_S8_S8_S8_S8_S8_S8_EEEEZNS1_11reduce_implILb1ES3_NS6_12zip_iteratorINS7_INS6_11hip_rocprim26transform_input_iterator_tIbNSD_35transform_pair_of_input_iterators_tIbNS6_6detail15normal_iteratorINS6_10device_ptrIKtEEEESL_NS6_8equal_toItEEEENSG_9not_fun_tINSD_8identityEEEEENSD_19counting_iterator_tIlEES8_S8_S8_S8_S8_S8_S8_S8_EEEEPS9_S9_NSD_9__find_if7functorIS9_EEEE10hipError_tPvRmT1_T2_T3_mT4_P12ihipStream_tbEUlT_E1_NS1_11comp_targetILNS1_3genE2ELNS1_11target_archE906ELNS1_3gpuE6ELNS1_3repE0EEENS1_30default_config_static_selectorELNS0_4arch9wavefront6targetE1EEEvS14_.uses_flat_scratch, 0
	.set _ZN7rocprim17ROCPRIM_400000_NS6detail17trampoline_kernelINS0_14default_configENS1_22reduce_config_selectorIN6thrust23THRUST_200600_302600_NS5tupleIblNS6_9null_typeES8_S8_S8_S8_S8_S8_S8_EEEEZNS1_11reduce_implILb1ES3_NS6_12zip_iteratorINS7_INS6_11hip_rocprim26transform_input_iterator_tIbNSD_35transform_pair_of_input_iterators_tIbNS6_6detail15normal_iteratorINS6_10device_ptrIKtEEEESL_NS6_8equal_toItEEEENSG_9not_fun_tINSD_8identityEEEEENSD_19counting_iterator_tIlEES8_S8_S8_S8_S8_S8_S8_S8_EEEEPS9_S9_NSD_9__find_if7functorIS9_EEEE10hipError_tPvRmT1_T2_T3_mT4_P12ihipStream_tbEUlT_E1_NS1_11comp_targetILNS1_3genE2ELNS1_11target_archE906ELNS1_3gpuE6ELNS1_3repE0EEENS1_30default_config_static_selectorELNS0_4arch9wavefront6targetE1EEEvS14_.has_dyn_sized_stack, 0
	.set _ZN7rocprim17ROCPRIM_400000_NS6detail17trampoline_kernelINS0_14default_configENS1_22reduce_config_selectorIN6thrust23THRUST_200600_302600_NS5tupleIblNS6_9null_typeES8_S8_S8_S8_S8_S8_S8_EEEEZNS1_11reduce_implILb1ES3_NS6_12zip_iteratorINS7_INS6_11hip_rocprim26transform_input_iterator_tIbNSD_35transform_pair_of_input_iterators_tIbNS6_6detail15normal_iteratorINS6_10device_ptrIKtEEEESL_NS6_8equal_toItEEEENSG_9not_fun_tINSD_8identityEEEEENSD_19counting_iterator_tIlEES8_S8_S8_S8_S8_S8_S8_S8_EEEEPS9_S9_NSD_9__find_if7functorIS9_EEEE10hipError_tPvRmT1_T2_T3_mT4_P12ihipStream_tbEUlT_E1_NS1_11comp_targetILNS1_3genE2ELNS1_11target_archE906ELNS1_3gpuE6ELNS1_3repE0EEENS1_30default_config_static_selectorELNS0_4arch9wavefront6targetE1EEEvS14_.has_recursion, 0
	.set _ZN7rocprim17ROCPRIM_400000_NS6detail17trampoline_kernelINS0_14default_configENS1_22reduce_config_selectorIN6thrust23THRUST_200600_302600_NS5tupleIblNS6_9null_typeES8_S8_S8_S8_S8_S8_S8_EEEEZNS1_11reduce_implILb1ES3_NS6_12zip_iteratorINS7_INS6_11hip_rocprim26transform_input_iterator_tIbNSD_35transform_pair_of_input_iterators_tIbNS6_6detail15normal_iteratorINS6_10device_ptrIKtEEEESL_NS6_8equal_toItEEEENSG_9not_fun_tINSD_8identityEEEEENSD_19counting_iterator_tIlEES8_S8_S8_S8_S8_S8_S8_S8_EEEEPS9_S9_NSD_9__find_if7functorIS9_EEEE10hipError_tPvRmT1_T2_T3_mT4_P12ihipStream_tbEUlT_E1_NS1_11comp_targetILNS1_3genE2ELNS1_11target_archE906ELNS1_3gpuE6ELNS1_3repE0EEENS1_30default_config_static_selectorELNS0_4arch9wavefront6targetE1EEEvS14_.has_indirect_call, 0
	.section	.AMDGPU.csdata,"",@progbits
; Kernel info:
; codeLenInByte = 0
; TotalNumSgprs: 6
; NumVgprs: 0
; NumAgprs: 0
; TotalNumVgprs: 0
; ScratchSize: 0
; MemoryBound: 0
; FloatMode: 240
; IeeeMode: 1
; LDSByteSize: 0 bytes/workgroup (compile time only)
; SGPRBlocks: 0
; VGPRBlocks: 0
; NumSGPRsForWavesPerEU: 6
; NumVGPRsForWavesPerEU: 1
; AccumOffset: 4
; Occupancy: 8
; WaveLimiterHint : 0
; COMPUTE_PGM_RSRC2:SCRATCH_EN: 0
; COMPUTE_PGM_RSRC2:USER_SGPR: 2
; COMPUTE_PGM_RSRC2:TRAP_HANDLER: 0
; COMPUTE_PGM_RSRC2:TGID_X_EN: 1
; COMPUTE_PGM_RSRC2:TGID_Y_EN: 0
; COMPUTE_PGM_RSRC2:TGID_Z_EN: 0
; COMPUTE_PGM_RSRC2:TIDIG_COMP_CNT: 0
; COMPUTE_PGM_RSRC3_GFX90A:ACCUM_OFFSET: 0
; COMPUTE_PGM_RSRC3_GFX90A:TG_SPLIT: 0
	.section	.text._ZN7rocprim17ROCPRIM_400000_NS6detail17trampoline_kernelINS0_14default_configENS1_22reduce_config_selectorIN6thrust23THRUST_200600_302600_NS5tupleIblNS6_9null_typeES8_S8_S8_S8_S8_S8_S8_EEEEZNS1_11reduce_implILb1ES3_NS6_12zip_iteratorINS7_INS6_11hip_rocprim26transform_input_iterator_tIbNSD_35transform_pair_of_input_iterators_tIbNS6_6detail15normal_iteratorINS6_10device_ptrIKtEEEESL_NS6_8equal_toItEEEENSG_9not_fun_tINSD_8identityEEEEENSD_19counting_iterator_tIlEES8_S8_S8_S8_S8_S8_S8_S8_EEEEPS9_S9_NSD_9__find_if7functorIS9_EEEE10hipError_tPvRmT1_T2_T3_mT4_P12ihipStream_tbEUlT_E1_NS1_11comp_targetILNS1_3genE10ELNS1_11target_archE1201ELNS1_3gpuE5ELNS1_3repE0EEENS1_30default_config_static_selectorELNS0_4arch9wavefront6targetE1EEEvS14_,"axG",@progbits,_ZN7rocprim17ROCPRIM_400000_NS6detail17trampoline_kernelINS0_14default_configENS1_22reduce_config_selectorIN6thrust23THRUST_200600_302600_NS5tupleIblNS6_9null_typeES8_S8_S8_S8_S8_S8_S8_EEEEZNS1_11reduce_implILb1ES3_NS6_12zip_iteratorINS7_INS6_11hip_rocprim26transform_input_iterator_tIbNSD_35transform_pair_of_input_iterators_tIbNS6_6detail15normal_iteratorINS6_10device_ptrIKtEEEESL_NS6_8equal_toItEEEENSG_9not_fun_tINSD_8identityEEEEENSD_19counting_iterator_tIlEES8_S8_S8_S8_S8_S8_S8_S8_EEEEPS9_S9_NSD_9__find_if7functorIS9_EEEE10hipError_tPvRmT1_T2_T3_mT4_P12ihipStream_tbEUlT_E1_NS1_11comp_targetILNS1_3genE10ELNS1_11target_archE1201ELNS1_3gpuE5ELNS1_3repE0EEENS1_30default_config_static_selectorELNS0_4arch9wavefront6targetE1EEEvS14_,comdat
	.protected	_ZN7rocprim17ROCPRIM_400000_NS6detail17trampoline_kernelINS0_14default_configENS1_22reduce_config_selectorIN6thrust23THRUST_200600_302600_NS5tupleIblNS6_9null_typeES8_S8_S8_S8_S8_S8_S8_EEEEZNS1_11reduce_implILb1ES3_NS6_12zip_iteratorINS7_INS6_11hip_rocprim26transform_input_iterator_tIbNSD_35transform_pair_of_input_iterators_tIbNS6_6detail15normal_iteratorINS6_10device_ptrIKtEEEESL_NS6_8equal_toItEEEENSG_9not_fun_tINSD_8identityEEEEENSD_19counting_iterator_tIlEES8_S8_S8_S8_S8_S8_S8_S8_EEEEPS9_S9_NSD_9__find_if7functorIS9_EEEE10hipError_tPvRmT1_T2_T3_mT4_P12ihipStream_tbEUlT_E1_NS1_11comp_targetILNS1_3genE10ELNS1_11target_archE1201ELNS1_3gpuE5ELNS1_3repE0EEENS1_30default_config_static_selectorELNS0_4arch9wavefront6targetE1EEEvS14_ ; -- Begin function _ZN7rocprim17ROCPRIM_400000_NS6detail17trampoline_kernelINS0_14default_configENS1_22reduce_config_selectorIN6thrust23THRUST_200600_302600_NS5tupleIblNS6_9null_typeES8_S8_S8_S8_S8_S8_S8_EEEEZNS1_11reduce_implILb1ES3_NS6_12zip_iteratorINS7_INS6_11hip_rocprim26transform_input_iterator_tIbNSD_35transform_pair_of_input_iterators_tIbNS6_6detail15normal_iteratorINS6_10device_ptrIKtEEEESL_NS6_8equal_toItEEEENSG_9not_fun_tINSD_8identityEEEEENSD_19counting_iterator_tIlEES8_S8_S8_S8_S8_S8_S8_S8_EEEEPS9_S9_NSD_9__find_if7functorIS9_EEEE10hipError_tPvRmT1_T2_T3_mT4_P12ihipStream_tbEUlT_E1_NS1_11comp_targetILNS1_3genE10ELNS1_11target_archE1201ELNS1_3gpuE5ELNS1_3repE0EEENS1_30default_config_static_selectorELNS0_4arch9wavefront6targetE1EEEvS14_
	.globl	_ZN7rocprim17ROCPRIM_400000_NS6detail17trampoline_kernelINS0_14default_configENS1_22reduce_config_selectorIN6thrust23THRUST_200600_302600_NS5tupleIblNS6_9null_typeES8_S8_S8_S8_S8_S8_S8_EEEEZNS1_11reduce_implILb1ES3_NS6_12zip_iteratorINS7_INS6_11hip_rocprim26transform_input_iterator_tIbNSD_35transform_pair_of_input_iterators_tIbNS6_6detail15normal_iteratorINS6_10device_ptrIKtEEEESL_NS6_8equal_toItEEEENSG_9not_fun_tINSD_8identityEEEEENSD_19counting_iterator_tIlEES8_S8_S8_S8_S8_S8_S8_S8_EEEEPS9_S9_NSD_9__find_if7functorIS9_EEEE10hipError_tPvRmT1_T2_T3_mT4_P12ihipStream_tbEUlT_E1_NS1_11comp_targetILNS1_3genE10ELNS1_11target_archE1201ELNS1_3gpuE5ELNS1_3repE0EEENS1_30default_config_static_selectorELNS0_4arch9wavefront6targetE1EEEvS14_
	.p2align	8
	.type	_ZN7rocprim17ROCPRIM_400000_NS6detail17trampoline_kernelINS0_14default_configENS1_22reduce_config_selectorIN6thrust23THRUST_200600_302600_NS5tupleIblNS6_9null_typeES8_S8_S8_S8_S8_S8_S8_EEEEZNS1_11reduce_implILb1ES3_NS6_12zip_iteratorINS7_INS6_11hip_rocprim26transform_input_iterator_tIbNSD_35transform_pair_of_input_iterators_tIbNS6_6detail15normal_iteratorINS6_10device_ptrIKtEEEESL_NS6_8equal_toItEEEENSG_9not_fun_tINSD_8identityEEEEENSD_19counting_iterator_tIlEES8_S8_S8_S8_S8_S8_S8_S8_EEEEPS9_S9_NSD_9__find_if7functorIS9_EEEE10hipError_tPvRmT1_T2_T3_mT4_P12ihipStream_tbEUlT_E1_NS1_11comp_targetILNS1_3genE10ELNS1_11target_archE1201ELNS1_3gpuE5ELNS1_3repE0EEENS1_30default_config_static_selectorELNS0_4arch9wavefront6targetE1EEEvS14_,@function
_ZN7rocprim17ROCPRIM_400000_NS6detail17trampoline_kernelINS0_14default_configENS1_22reduce_config_selectorIN6thrust23THRUST_200600_302600_NS5tupleIblNS6_9null_typeES8_S8_S8_S8_S8_S8_S8_EEEEZNS1_11reduce_implILb1ES3_NS6_12zip_iteratorINS7_INS6_11hip_rocprim26transform_input_iterator_tIbNSD_35transform_pair_of_input_iterators_tIbNS6_6detail15normal_iteratorINS6_10device_ptrIKtEEEESL_NS6_8equal_toItEEEENSG_9not_fun_tINSD_8identityEEEEENSD_19counting_iterator_tIlEES8_S8_S8_S8_S8_S8_S8_S8_EEEEPS9_S9_NSD_9__find_if7functorIS9_EEEE10hipError_tPvRmT1_T2_T3_mT4_P12ihipStream_tbEUlT_E1_NS1_11comp_targetILNS1_3genE10ELNS1_11target_archE1201ELNS1_3gpuE5ELNS1_3repE0EEENS1_30default_config_static_selectorELNS0_4arch9wavefront6targetE1EEEvS14_: ; @_ZN7rocprim17ROCPRIM_400000_NS6detail17trampoline_kernelINS0_14default_configENS1_22reduce_config_selectorIN6thrust23THRUST_200600_302600_NS5tupleIblNS6_9null_typeES8_S8_S8_S8_S8_S8_S8_EEEEZNS1_11reduce_implILb1ES3_NS6_12zip_iteratorINS7_INS6_11hip_rocprim26transform_input_iterator_tIbNSD_35transform_pair_of_input_iterators_tIbNS6_6detail15normal_iteratorINS6_10device_ptrIKtEEEESL_NS6_8equal_toItEEEENSG_9not_fun_tINSD_8identityEEEEENSD_19counting_iterator_tIlEES8_S8_S8_S8_S8_S8_S8_S8_EEEEPS9_S9_NSD_9__find_if7functorIS9_EEEE10hipError_tPvRmT1_T2_T3_mT4_P12ihipStream_tbEUlT_E1_NS1_11comp_targetILNS1_3genE10ELNS1_11target_archE1201ELNS1_3gpuE5ELNS1_3repE0EEENS1_30default_config_static_selectorELNS0_4arch9wavefront6targetE1EEEvS14_
; %bb.0:
	.section	.rodata,"a",@progbits
	.p2align	6, 0x0
	.amdhsa_kernel _ZN7rocprim17ROCPRIM_400000_NS6detail17trampoline_kernelINS0_14default_configENS1_22reduce_config_selectorIN6thrust23THRUST_200600_302600_NS5tupleIblNS6_9null_typeES8_S8_S8_S8_S8_S8_S8_EEEEZNS1_11reduce_implILb1ES3_NS6_12zip_iteratorINS7_INS6_11hip_rocprim26transform_input_iterator_tIbNSD_35transform_pair_of_input_iterators_tIbNS6_6detail15normal_iteratorINS6_10device_ptrIKtEEEESL_NS6_8equal_toItEEEENSG_9not_fun_tINSD_8identityEEEEENSD_19counting_iterator_tIlEES8_S8_S8_S8_S8_S8_S8_S8_EEEEPS9_S9_NSD_9__find_if7functorIS9_EEEE10hipError_tPvRmT1_T2_T3_mT4_P12ihipStream_tbEUlT_E1_NS1_11comp_targetILNS1_3genE10ELNS1_11target_archE1201ELNS1_3gpuE5ELNS1_3repE0EEENS1_30default_config_static_selectorELNS0_4arch9wavefront6targetE1EEEvS14_
		.amdhsa_group_segment_fixed_size 0
		.amdhsa_private_segment_fixed_size 0
		.amdhsa_kernarg_size 88
		.amdhsa_user_sgpr_count 2
		.amdhsa_user_sgpr_dispatch_ptr 0
		.amdhsa_user_sgpr_queue_ptr 0
		.amdhsa_user_sgpr_kernarg_segment_ptr 1
		.amdhsa_user_sgpr_dispatch_id 0
		.amdhsa_user_sgpr_kernarg_preload_length 0
		.amdhsa_user_sgpr_kernarg_preload_offset 0
		.amdhsa_user_sgpr_private_segment_size 0
		.amdhsa_uses_dynamic_stack 0
		.amdhsa_enable_private_segment 0
		.amdhsa_system_sgpr_workgroup_id_x 1
		.amdhsa_system_sgpr_workgroup_id_y 0
		.amdhsa_system_sgpr_workgroup_id_z 0
		.amdhsa_system_sgpr_workgroup_info 0
		.amdhsa_system_vgpr_workitem_id 0
		.amdhsa_next_free_vgpr 1
		.amdhsa_next_free_sgpr 0
		.amdhsa_accum_offset 4
		.amdhsa_reserve_vcc 0
		.amdhsa_float_round_mode_32 0
		.amdhsa_float_round_mode_16_64 0
		.amdhsa_float_denorm_mode_32 3
		.amdhsa_float_denorm_mode_16_64 3
		.amdhsa_dx10_clamp 1
		.amdhsa_ieee_mode 1
		.amdhsa_fp16_overflow 0
		.amdhsa_tg_split 0
		.amdhsa_exception_fp_ieee_invalid_op 0
		.amdhsa_exception_fp_denorm_src 0
		.amdhsa_exception_fp_ieee_div_zero 0
		.amdhsa_exception_fp_ieee_overflow 0
		.amdhsa_exception_fp_ieee_underflow 0
		.amdhsa_exception_fp_ieee_inexact 0
		.amdhsa_exception_int_div_zero 0
	.end_amdhsa_kernel
	.section	.text._ZN7rocprim17ROCPRIM_400000_NS6detail17trampoline_kernelINS0_14default_configENS1_22reduce_config_selectorIN6thrust23THRUST_200600_302600_NS5tupleIblNS6_9null_typeES8_S8_S8_S8_S8_S8_S8_EEEEZNS1_11reduce_implILb1ES3_NS6_12zip_iteratorINS7_INS6_11hip_rocprim26transform_input_iterator_tIbNSD_35transform_pair_of_input_iterators_tIbNS6_6detail15normal_iteratorINS6_10device_ptrIKtEEEESL_NS6_8equal_toItEEEENSG_9not_fun_tINSD_8identityEEEEENSD_19counting_iterator_tIlEES8_S8_S8_S8_S8_S8_S8_S8_EEEEPS9_S9_NSD_9__find_if7functorIS9_EEEE10hipError_tPvRmT1_T2_T3_mT4_P12ihipStream_tbEUlT_E1_NS1_11comp_targetILNS1_3genE10ELNS1_11target_archE1201ELNS1_3gpuE5ELNS1_3repE0EEENS1_30default_config_static_selectorELNS0_4arch9wavefront6targetE1EEEvS14_,"axG",@progbits,_ZN7rocprim17ROCPRIM_400000_NS6detail17trampoline_kernelINS0_14default_configENS1_22reduce_config_selectorIN6thrust23THRUST_200600_302600_NS5tupleIblNS6_9null_typeES8_S8_S8_S8_S8_S8_S8_EEEEZNS1_11reduce_implILb1ES3_NS6_12zip_iteratorINS7_INS6_11hip_rocprim26transform_input_iterator_tIbNSD_35transform_pair_of_input_iterators_tIbNS6_6detail15normal_iteratorINS6_10device_ptrIKtEEEESL_NS6_8equal_toItEEEENSG_9not_fun_tINSD_8identityEEEEENSD_19counting_iterator_tIlEES8_S8_S8_S8_S8_S8_S8_S8_EEEEPS9_S9_NSD_9__find_if7functorIS9_EEEE10hipError_tPvRmT1_T2_T3_mT4_P12ihipStream_tbEUlT_E1_NS1_11comp_targetILNS1_3genE10ELNS1_11target_archE1201ELNS1_3gpuE5ELNS1_3repE0EEENS1_30default_config_static_selectorELNS0_4arch9wavefront6targetE1EEEvS14_,comdat
.Lfunc_end1042:
	.size	_ZN7rocprim17ROCPRIM_400000_NS6detail17trampoline_kernelINS0_14default_configENS1_22reduce_config_selectorIN6thrust23THRUST_200600_302600_NS5tupleIblNS6_9null_typeES8_S8_S8_S8_S8_S8_S8_EEEEZNS1_11reduce_implILb1ES3_NS6_12zip_iteratorINS7_INS6_11hip_rocprim26transform_input_iterator_tIbNSD_35transform_pair_of_input_iterators_tIbNS6_6detail15normal_iteratorINS6_10device_ptrIKtEEEESL_NS6_8equal_toItEEEENSG_9not_fun_tINSD_8identityEEEEENSD_19counting_iterator_tIlEES8_S8_S8_S8_S8_S8_S8_S8_EEEEPS9_S9_NSD_9__find_if7functorIS9_EEEE10hipError_tPvRmT1_T2_T3_mT4_P12ihipStream_tbEUlT_E1_NS1_11comp_targetILNS1_3genE10ELNS1_11target_archE1201ELNS1_3gpuE5ELNS1_3repE0EEENS1_30default_config_static_selectorELNS0_4arch9wavefront6targetE1EEEvS14_, .Lfunc_end1042-_ZN7rocprim17ROCPRIM_400000_NS6detail17trampoline_kernelINS0_14default_configENS1_22reduce_config_selectorIN6thrust23THRUST_200600_302600_NS5tupleIblNS6_9null_typeES8_S8_S8_S8_S8_S8_S8_EEEEZNS1_11reduce_implILb1ES3_NS6_12zip_iteratorINS7_INS6_11hip_rocprim26transform_input_iterator_tIbNSD_35transform_pair_of_input_iterators_tIbNS6_6detail15normal_iteratorINS6_10device_ptrIKtEEEESL_NS6_8equal_toItEEEENSG_9not_fun_tINSD_8identityEEEEENSD_19counting_iterator_tIlEES8_S8_S8_S8_S8_S8_S8_S8_EEEEPS9_S9_NSD_9__find_if7functorIS9_EEEE10hipError_tPvRmT1_T2_T3_mT4_P12ihipStream_tbEUlT_E1_NS1_11comp_targetILNS1_3genE10ELNS1_11target_archE1201ELNS1_3gpuE5ELNS1_3repE0EEENS1_30default_config_static_selectorELNS0_4arch9wavefront6targetE1EEEvS14_
                                        ; -- End function
	.set _ZN7rocprim17ROCPRIM_400000_NS6detail17trampoline_kernelINS0_14default_configENS1_22reduce_config_selectorIN6thrust23THRUST_200600_302600_NS5tupleIblNS6_9null_typeES8_S8_S8_S8_S8_S8_S8_EEEEZNS1_11reduce_implILb1ES3_NS6_12zip_iteratorINS7_INS6_11hip_rocprim26transform_input_iterator_tIbNSD_35transform_pair_of_input_iterators_tIbNS6_6detail15normal_iteratorINS6_10device_ptrIKtEEEESL_NS6_8equal_toItEEEENSG_9not_fun_tINSD_8identityEEEEENSD_19counting_iterator_tIlEES8_S8_S8_S8_S8_S8_S8_S8_EEEEPS9_S9_NSD_9__find_if7functorIS9_EEEE10hipError_tPvRmT1_T2_T3_mT4_P12ihipStream_tbEUlT_E1_NS1_11comp_targetILNS1_3genE10ELNS1_11target_archE1201ELNS1_3gpuE5ELNS1_3repE0EEENS1_30default_config_static_selectorELNS0_4arch9wavefront6targetE1EEEvS14_.num_vgpr, 0
	.set _ZN7rocprim17ROCPRIM_400000_NS6detail17trampoline_kernelINS0_14default_configENS1_22reduce_config_selectorIN6thrust23THRUST_200600_302600_NS5tupleIblNS6_9null_typeES8_S8_S8_S8_S8_S8_S8_EEEEZNS1_11reduce_implILb1ES3_NS6_12zip_iteratorINS7_INS6_11hip_rocprim26transform_input_iterator_tIbNSD_35transform_pair_of_input_iterators_tIbNS6_6detail15normal_iteratorINS6_10device_ptrIKtEEEESL_NS6_8equal_toItEEEENSG_9not_fun_tINSD_8identityEEEEENSD_19counting_iterator_tIlEES8_S8_S8_S8_S8_S8_S8_S8_EEEEPS9_S9_NSD_9__find_if7functorIS9_EEEE10hipError_tPvRmT1_T2_T3_mT4_P12ihipStream_tbEUlT_E1_NS1_11comp_targetILNS1_3genE10ELNS1_11target_archE1201ELNS1_3gpuE5ELNS1_3repE0EEENS1_30default_config_static_selectorELNS0_4arch9wavefront6targetE1EEEvS14_.num_agpr, 0
	.set _ZN7rocprim17ROCPRIM_400000_NS6detail17trampoline_kernelINS0_14default_configENS1_22reduce_config_selectorIN6thrust23THRUST_200600_302600_NS5tupleIblNS6_9null_typeES8_S8_S8_S8_S8_S8_S8_EEEEZNS1_11reduce_implILb1ES3_NS6_12zip_iteratorINS7_INS6_11hip_rocprim26transform_input_iterator_tIbNSD_35transform_pair_of_input_iterators_tIbNS6_6detail15normal_iteratorINS6_10device_ptrIKtEEEESL_NS6_8equal_toItEEEENSG_9not_fun_tINSD_8identityEEEEENSD_19counting_iterator_tIlEES8_S8_S8_S8_S8_S8_S8_S8_EEEEPS9_S9_NSD_9__find_if7functorIS9_EEEE10hipError_tPvRmT1_T2_T3_mT4_P12ihipStream_tbEUlT_E1_NS1_11comp_targetILNS1_3genE10ELNS1_11target_archE1201ELNS1_3gpuE5ELNS1_3repE0EEENS1_30default_config_static_selectorELNS0_4arch9wavefront6targetE1EEEvS14_.numbered_sgpr, 0
	.set _ZN7rocprim17ROCPRIM_400000_NS6detail17trampoline_kernelINS0_14default_configENS1_22reduce_config_selectorIN6thrust23THRUST_200600_302600_NS5tupleIblNS6_9null_typeES8_S8_S8_S8_S8_S8_S8_EEEEZNS1_11reduce_implILb1ES3_NS6_12zip_iteratorINS7_INS6_11hip_rocprim26transform_input_iterator_tIbNSD_35transform_pair_of_input_iterators_tIbNS6_6detail15normal_iteratorINS6_10device_ptrIKtEEEESL_NS6_8equal_toItEEEENSG_9not_fun_tINSD_8identityEEEEENSD_19counting_iterator_tIlEES8_S8_S8_S8_S8_S8_S8_S8_EEEEPS9_S9_NSD_9__find_if7functorIS9_EEEE10hipError_tPvRmT1_T2_T3_mT4_P12ihipStream_tbEUlT_E1_NS1_11comp_targetILNS1_3genE10ELNS1_11target_archE1201ELNS1_3gpuE5ELNS1_3repE0EEENS1_30default_config_static_selectorELNS0_4arch9wavefront6targetE1EEEvS14_.num_named_barrier, 0
	.set _ZN7rocprim17ROCPRIM_400000_NS6detail17trampoline_kernelINS0_14default_configENS1_22reduce_config_selectorIN6thrust23THRUST_200600_302600_NS5tupleIblNS6_9null_typeES8_S8_S8_S8_S8_S8_S8_EEEEZNS1_11reduce_implILb1ES3_NS6_12zip_iteratorINS7_INS6_11hip_rocprim26transform_input_iterator_tIbNSD_35transform_pair_of_input_iterators_tIbNS6_6detail15normal_iteratorINS6_10device_ptrIKtEEEESL_NS6_8equal_toItEEEENSG_9not_fun_tINSD_8identityEEEEENSD_19counting_iterator_tIlEES8_S8_S8_S8_S8_S8_S8_S8_EEEEPS9_S9_NSD_9__find_if7functorIS9_EEEE10hipError_tPvRmT1_T2_T3_mT4_P12ihipStream_tbEUlT_E1_NS1_11comp_targetILNS1_3genE10ELNS1_11target_archE1201ELNS1_3gpuE5ELNS1_3repE0EEENS1_30default_config_static_selectorELNS0_4arch9wavefront6targetE1EEEvS14_.private_seg_size, 0
	.set _ZN7rocprim17ROCPRIM_400000_NS6detail17trampoline_kernelINS0_14default_configENS1_22reduce_config_selectorIN6thrust23THRUST_200600_302600_NS5tupleIblNS6_9null_typeES8_S8_S8_S8_S8_S8_S8_EEEEZNS1_11reduce_implILb1ES3_NS6_12zip_iteratorINS7_INS6_11hip_rocprim26transform_input_iterator_tIbNSD_35transform_pair_of_input_iterators_tIbNS6_6detail15normal_iteratorINS6_10device_ptrIKtEEEESL_NS6_8equal_toItEEEENSG_9not_fun_tINSD_8identityEEEEENSD_19counting_iterator_tIlEES8_S8_S8_S8_S8_S8_S8_S8_EEEEPS9_S9_NSD_9__find_if7functorIS9_EEEE10hipError_tPvRmT1_T2_T3_mT4_P12ihipStream_tbEUlT_E1_NS1_11comp_targetILNS1_3genE10ELNS1_11target_archE1201ELNS1_3gpuE5ELNS1_3repE0EEENS1_30default_config_static_selectorELNS0_4arch9wavefront6targetE1EEEvS14_.uses_vcc, 0
	.set _ZN7rocprim17ROCPRIM_400000_NS6detail17trampoline_kernelINS0_14default_configENS1_22reduce_config_selectorIN6thrust23THRUST_200600_302600_NS5tupleIblNS6_9null_typeES8_S8_S8_S8_S8_S8_S8_EEEEZNS1_11reduce_implILb1ES3_NS6_12zip_iteratorINS7_INS6_11hip_rocprim26transform_input_iterator_tIbNSD_35transform_pair_of_input_iterators_tIbNS6_6detail15normal_iteratorINS6_10device_ptrIKtEEEESL_NS6_8equal_toItEEEENSG_9not_fun_tINSD_8identityEEEEENSD_19counting_iterator_tIlEES8_S8_S8_S8_S8_S8_S8_S8_EEEEPS9_S9_NSD_9__find_if7functorIS9_EEEE10hipError_tPvRmT1_T2_T3_mT4_P12ihipStream_tbEUlT_E1_NS1_11comp_targetILNS1_3genE10ELNS1_11target_archE1201ELNS1_3gpuE5ELNS1_3repE0EEENS1_30default_config_static_selectorELNS0_4arch9wavefront6targetE1EEEvS14_.uses_flat_scratch, 0
	.set _ZN7rocprim17ROCPRIM_400000_NS6detail17trampoline_kernelINS0_14default_configENS1_22reduce_config_selectorIN6thrust23THRUST_200600_302600_NS5tupleIblNS6_9null_typeES8_S8_S8_S8_S8_S8_S8_EEEEZNS1_11reduce_implILb1ES3_NS6_12zip_iteratorINS7_INS6_11hip_rocprim26transform_input_iterator_tIbNSD_35transform_pair_of_input_iterators_tIbNS6_6detail15normal_iteratorINS6_10device_ptrIKtEEEESL_NS6_8equal_toItEEEENSG_9not_fun_tINSD_8identityEEEEENSD_19counting_iterator_tIlEES8_S8_S8_S8_S8_S8_S8_S8_EEEEPS9_S9_NSD_9__find_if7functorIS9_EEEE10hipError_tPvRmT1_T2_T3_mT4_P12ihipStream_tbEUlT_E1_NS1_11comp_targetILNS1_3genE10ELNS1_11target_archE1201ELNS1_3gpuE5ELNS1_3repE0EEENS1_30default_config_static_selectorELNS0_4arch9wavefront6targetE1EEEvS14_.has_dyn_sized_stack, 0
	.set _ZN7rocprim17ROCPRIM_400000_NS6detail17trampoline_kernelINS0_14default_configENS1_22reduce_config_selectorIN6thrust23THRUST_200600_302600_NS5tupleIblNS6_9null_typeES8_S8_S8_S8_S8_S8_S8_EEEEZNS1_11reduce_implILb1ES3_NS6_12zip_iteratorINS7_INS6_11hip_rocprim26transform_input_iterator_tIbNSD_35transform_pair_of_input_iterators_tIbNS6_6detail15normal_iteratorINS6_10device_ptrIKtEEEESL_NS6_8equal_toItEEEENSG_9not_fun_tINSD_8identityEEEEENSD_19counting_iterator_tIlEES8_S8_S8_S8_S8_S8_S8_S8_EEEEPS9_S9_NSD_9__find_if7functorIS9_EEEE10hipError_tPvRmT1_T2_T3_mT4_P12ihipStream_tbEUlT_E1_NS1_11comp_targetILNS1_3genE10ELNS1_11target_archE1201ELNS1_3gpuE5ELNS1_3repE0EEENS1_30default_config_static_selectorELNS0_4arch9wavefront6targetE1EEEvS14_.has_recursion, 0
	.set _ZN7rocprim17ROCPRIM_400000_NS6detail17trampoline_kernelINS0_14default_configENS1_22reduce_config_selectorIN6thrust23THRUST_200600_302600_NS5tupleIblNS6_9null_typeES8_S8_S8_S8_S8_S8_S8_EEEEZNS1_11reduce_implILb1ES3_NS6_12zip_iteratorINS7_INS6_11hip_rocprim26transform_input_iterator_tIbNSD_35transform_pair_of_input_iterators_tIbNS6_6detail15normal_iteratorINS6_10device_ptrIKtEEEESL_NS6_8equal_toItEEEENSG_9not_fun_tINSD_8identityEEEEENSD_19counting_iterator_tIlEES8_S8_S8_S8_S8_S8_S8_S8_EEEEPS9_S9_NSD_9__find_if7functorIS9_EEEE10hipError_tPvRmT1_T2_T3_mT4_P12ihipStream_tbEUlT_E1_NS1_11comp_targetILNS1_3genE10ELNS1_11target_archE1201ELNS1_3gpuE5ELNS1_3repE0EEENS1_30default_config_static_selectorELNS0_4arch9wavefront6targetE1EEEvS14_.has_indirect_call, 0
	.section	.AMDGPU.csdata,"",@progbits
; Kernel info:
; codeLenInByte = 0
; TotalNumSgprs: 6
; NumVgprs: 0
; NumAgprs: 0
; TotalNumVgprs: 0
; ScratchSize: 0
; MemoryBound: 0
; FloatMode: 240
; IeeeMode: 1
; LDSByteSize: 0 bytes/workgroup (compile time only)
; SGPRBlocks: 0
; VGPRBlocks: 0
; NumSGPRsForWavesPerEU: 6
; NumVGPRsForWavesPerEU: 1
; AccumOffset: 4
; Occupancy: 8
; WaveLimiterHint : 0
; COMPUTE_PGM_RSRC2:SCRATCH_EN: 0
; COMPUTE_PGM_RSRC2:USER_SGPR: 2
; COMPUTE_PGM_RSRC2:TRAP_HANDLER: 0
; COMPUTE_PGM_RSRC2:TGID_X_EN: 1
; COMPUTE_PGM_RSRC2:TGID_Y_EN: 0
; COMPUTE_PGM_RSRC2:TGID_Z_EN: 0
; COMPUTE_PGM_RSRC2:TIDIG_COMP_CNT: 0
; COMPUTE_PGM_RSRC3_GFX90A:ACCUM_OFFSET: 0
; COMPUTE_PGM_RSRC3_GFX90A:TG_SPLIT: 0
	.section	.text._ZN7rocprim17ROCPRIM_400000_NS6detail17trampoline_kernelINS0_14default_configENS1_22reduce_config_selectorIN6thrust23THRUST_200600_302600_NS5tupleIblNS6_9null_typeES8_S8_S8_S8_S8_S8_S8_EEEEZNS1_11reduce_implILb1ES3_NS6_12zip_iteratorINS7_INS6_11hip_rocprim26transform_input_iterator_tIbNSD_35transform_pair_of_input_iterators_tIbNS6_6detail15normal_iteratorINS6_10device_ptrIKtEEEESL_NS6_8equal_toItEEEENSG_9not_fun_tINSD_8identityEEEEENSD_19counting_iterator_tIlEES8_S8_S8_S8_S8_S8_S8_S8_EEEEPS9_S9_NSD_9__find_if7functorIS9_EEEE10hipError_tPvRmT1_T2_T3_mT4_P12ihipStream_tbEUlT_E1_NS1_11comp_targetILNS1_3genE10ELNS1_11target_archE1200ELNS1_3gpuE4ELNS1_3repE0EEENS1_30default_config_static_selectorELNS0_4arch9wavefront6targetE1EEEvS14_,"axG",@progbits,_ZN7rocprim17ROCPRIM_400000_NS6detail17trampoline_kernelINS0_14default_configENS1_22reduce_config_selectorIN6thrust23THRUST_200600_302600_NS5tupleIblNS6_9null_typeES8_S8_S8_S8_S8_S8_S8_EEEEZNS1_11reduce_implILb1ES3_NS6_12zip_iteratorINS7_INS6_11hip_rocprim26transform_input_iterator_tIbNSD_35transform_pair_of_input_iterators_tIbNS6_6detail15normal_iteratorINS6_10device_ptrIKtEEEESL_NS6_8equal_toItEEEENSG_9not_fun_tINSD_8identityEEEEENSD_19counting_iterator_tIlEES8_S8_S8_S8_S8_S8_S8_S8_EEEEPS9_S9_NSD_9__find_if7functorIS9_EEEE10hipError_tPvRmT1_T2_T3_mT4_P12ihipStream_tbEUlT_E1_NS1_11comp_targetILNS1_3genE10ELNS1_11target_archE1200ELNS1_3gpuE4ELNS1_3repE0EEENS1_30default_config_static_selectorELNS0_4arch9wavefront6targetE1EEEvS14_,comdat
	.protected	_ZN7rocprim17ROCPRIM_400000_NS6detail17trampoline_kernelINS0_14default_configENS1_22reduce_config_selectorIN6thrust23THRUST_200600_302600_NS5tupleIblNS6_9null_typeES8_S8_S8_S8_S8_S8_S8_EEEEZNS1_11reduce_implILb1ES3_NS6_12zip_iteratorINS7_INS6_11hip_rocprim26transform_input_iterator_tIbNSD_35transform_pair_of_input_iterators_tIbNS6_6detail15normal_iteratorINS6_10device_ptrIKtEEEESL_NS6_8equal_toItEEEENSG_9not_fun_tINSD_8identityEEEEENSD_19counting_iterator_tIlEES8_S8_S8_S8_S8_S8_S8_S8_EEEEPS9_S9_NSD_9__find_if7functorIS9_EEEE10hipError_tPvRmT1_T2_T3_mT4_P12ihipStream_tbEUlT_E1_NS1_11comp_targetILNS1_3genE10ELNS1_11target_archE1200ELNS1_3gpuE4ELNS1_3repE0EEENS1_30default_config_static_selectorELNS0_4arch9wavefront6targetE1EEEvS14_ ; -- Begin function _ZN7rocprim17ROCPRIM_400000_NS6detail17trampoline_kernelINS0_14default_configENS1_22reduce_config_selectorIN6thrust23THRUST_200600_302600_NS5tupleIblNS6_9null_typeES8_S8_S8_S8_S8_S8_S8_EEEEZNS1_11reduce_implILb1ES3_NS6_12zip_iteratorINS7_INS6_11hip_rocprim26transform_input_iterator_tIbNSD_35transform_pair_of_input_iterators_tIbNS6_6detail15normal_iteratorINS6_10device_ptrIKtEEEESL_NS6_8equal_toItEEEENSG_9not_fun_tINSD_8identityEEEEENSD_19counting_iterator_tIlEES8_S8_S8_S8_S8_S8_S8_S8_EEEEPS9_S9_NSD_9__find_if7functorIS9_EEEE10hipError_tPvRmT1_T2_T3_mT4_P12ihipStream_tbEUlT_E1_NS1_11comp_targetILNS1_3genE10ELNS1_11target_archE1200ELNS1_3gpuE4ELNS1_3repE0EEENS1_30default_config_static_selectorELNS0_4arch9wavefront6targetE1EEEvS14_
	.globl	_ZN7rocprim17ROCPRIM_400000_NS6detail17trampoline_kernelINS0_14default_configENS1_22reduce_config_selectorIN6thrust23THRUST_200600_302600_NS5tupleIblNS6_9null_typeES8_S8_S8_S8_S8_S8_S8_EEEEZNS1_11reduce_implILb1ES3_NS6_12zip_iteratorINS7_INS6_11hip_rocprim26transform_input_iterator_tIbNSD_35transform_pair_of_input_iterators_tIbNS6_6detail15normal_iteratorINS6_10device_ptrIKtEEEESL_NS6_8equal_toItEEEENSG_9not_fun_tINSD_8identityEEEEENSD_19counting_iterator_tIlEES8_S8_S8_S8_S8_S8_S8_S8_EEEEPS9_S9_NSD_9__find_if7functorIS9_EEEE10hipError_tPvRmT1_T2_T3_mT4_P12ihipStream_tbEUlT_E1_NS1_11comp_targetILNS1_3genE10ELNS1_11target_archE1200ELNS1_3gpuE4ELNS1_3repE0EEENS1_30default_config_static_selectorELNS0_4arch9wavefront6targetE1EEEvS14_
	.p2align	8
	.type	_ZN7rocprim17ROCPRIM_400000_NS6detail17trampoline_kernelINS0_14default_configENS1_22reduce_config_selectorIN6thrust23THRUST_200600_302600_NS5tupleIblNS6_9null_typeES8_S8_S8_S8_S8_S8_S8_EEEEZNS1_11reduce_implILb1ES3_NS6_12zip_iteratorINS7_INS6_11hip_rocprim26transform_input_iterator_tIbNSD_35transform_pair_of_input_iterators_tIbNS6_6detail15normal_iteratorINS6_10device_ptrIKtEEEESL_NS6_8equal_toItEEEENSG_9not_fun_tINSD_8identityEEEEENSD_19counting_iterator_tIlEES8_S8_S8_S8_S8_S8_S8_S8_EEEEPS9_S9_NSD_9__find_if7functorIS9_EEEE10hipError_tPvRmT1_T2_T3_mT4_P12ihipStream_tbEUlT_E1_NS1_11comp_targetILNS1_3genE10ELNS1_11target_archE1200ELNS1_3gpuE4ELNS1_3repE0EEENS1_30default_config_static_selectorELNS0_4arch9wavefront6targetE1EEEvS14_,@function
_ZN7rocprim17ROCPRIM_400000_NS6detail17trampoline_kernelINS0_14default_configENS1_22reduce_config_selectorIN6thrust23THRUST_200600_302600_NS5tupleIblNS6_9null_typeES8_S8_S8_S8_S8_S8_S8_EEEEZNS1_11reduce_implILb1ES3_NS6_12zip_iteratorINS7_INS6_11hip_rocprim26transform_input_iterator_tIbNSD_35transform_pair_of_input_iterators_tIbNS6_6detail15normal_iteratorINS6_10device_ptrIKtEEEESL_NS6_8equal_toItEEEENSG_9not_fun_tINSD_8identityEEEEENSD_19counting_iterator_tIlEES8_S8_S8_S8_S8_S8_S8_S8_EEEEPS9_S9_NSD_9__find_if7functorIS9_EEEE10hipError_tPvRmT1_T2_T3_mT4_P12ihipStream_tbEUlT_E1_NS1_11comp_targetILNS1_3genE10ELNS1_11target_archE1200ELNS1_3gpuE4ELNS1_3repE0EEENS1_30default_config_static_selectorELNS0_4arch9wavefront6targetE1EEEvS14_: ; @_ZN7rocprim17ROCPRIM_400000_NS6detail17trampoline_kernelINS0_14default_configENS1_22reduce_config_selectorIN6thrust23THRUST_200600_302600_NS5tupleIblNS6_9null_typeES8_S8_S8_S8_S8_S8_S8_EEEEZNS1_11reduce_implILb1ES3_NS6_12zip_iteratorINS7_INS6_11hip_rocprim26transform_input_iterator_tIbNSD_35transform_pair_of_input_iterators_tIbNS6_6detail15normal_iteratorINS6_10device_ptrIKtEEEESL_NS6_8equal_toItEEEENSG_9not_fun_tINSD_8identityEEEEENSD_19counting_iterator_tIlEES8_S8_S8_S8_S8_S8_S8_S8_EEEEPS9_S9_NSD_9__find_if7functorIS9_EEEE10hipError_tPvRmT1_T2_T3_mT4_P12ihipStream_tbEUlT_E1_NS1_11comp_targetILNS1_3genE10ELNS1_11target_archE1200ELNS1_3gpuE4ELNS1_3repE0EEENS1_30default_config_static_selectorELNS0_4arch9wavefront6targetE1EEEvS14_
; %bb.0:
	.section	.rodata,"a",@progbits
	.p2align	6, 0x0
	.amdhsa_kernel _ZN7rocprim17ROCPRIM_400000_NS6detail17trampoline_kernelINS0_14default_configENS1_22reduce_config_selectorIN6thrust23THRUST_200600_302600_NS5tupleIblNS6_9null_typeES8_S8_S8_S8_S8_S8_S8_EEEEZNS1_11reduce_implILb1ES3_NS6_12zip_iteratorINS7_INS6_11hip_rocprim26transform_input_iterator_tIbNSD_35transform_pair_of_input_iterators_tIbNS6_6detail15normal_iteratorINS6_10device_ptrIKtEEEESL_NS6_8equal_toItEEEENSG_9not_fun_tINSD_8identityEEEEENSD_19counting_iterator_tIlEES8_S8_S8_S8_S8_S8_S8_S8_EEEEPS9_S9_NSD_9__find_if7functorIS9_EEEE10hipError_tPvRmT1_T2_T3_mT4_P12ihipStream_tbEUlT_E1_NS1_11comp_targetILNS1_3genE10ELNS1_11target_archE1200ELNS1_3gpuE4ELNS1_3repE0EEENS1_30default_config_static_selectorELNS0_4arch9wavefront6targetE1EEEvS14_
		.amdhsa_group_segment_fixed_size 0
		.amdhsa_private_segment_fixed_size 0
		.amdhsa_kernarg_size 88
		.amdhsa_user_sgpr_count 2
		.amdhsa_user_sgpr_dispatch_ptr 0
		.amdhsa_user_sgpr_queue_ptr 0
		.amdhsa_user_sgpr_kernarg_segment_ptr 1
		.amdhsa_user_sgpr_dispatch_id 0
		.amdhsa_user_sgpr_kernarg_preload_length 0
		.amdhsa_user_sgpr_kernarg_preload_offset 0
		.amdhsa_user_sgpr_private_segment_size 0
		.amdhsa_uses_dynamic_stack 0
		.amdhsa_enable_private_segment 0
		.amdhsa_system_sgpr_workgroup_id_x 1
		.amdhsa_system_sgpr_workgroup_id_y 0
		.amdhsa_system_sgpr_workgroup_id_z 0
		.amdhsa_system_sgpr_workgroup_info 0
		.amdhsa_system_vgpr_workitem_id 0
		.amdhsa_next_free_vgpr 1
		.amdhsa_next_free_sgpr 0
		.amdhsa_accum_offset 4
		.amdhsa_reserve_vcc 0
		.amdhsa_float_round_mode_32 0
		.amdhsa_float_round_mode_16_64 0
		.amdhsa_float_denorm_mode_32 3
		.amdhsa_float_denorm_mode_16_64 3
		.amdhsa_dx10_clamp 1
		.amdhsa_ieee_mode 1
		.amdhsa_fp16_overflow 0
		.amdhsa_tg_split 0
		.amdhsa_exception_fp_ieee_invalid_op 0
		.amdhsa_exception_fp_denorm_src 0
		.amdhsa_exception_fp_ieee_div_zero 0
		.amdhsa_exception_fp_ieee_overflow 0
		.amdhsa_exception_fp_ieee_underflow 0
		.amdhsa_exception_fp_ieee_inexact 0
		.amdhsa_exception_int_div_zero 0
	.end_amdhsa_kernel
	.section	.text._ZN7rocprim17ROCPRIM_400000_NS6detail17trampoline_kernelINS0_14default_configENS1_22reduce_config_selectorIN6thrust23THRUST_200600_302600_NS5tupleIblNS6_9null_typeES8_S8_S8_S8_S8_S8_S8_EEEEZNS1_11reduce_implILb1ES3_NS6_12zip_iteratorINS7_INS6_11hip_rocprim26transform_input_iterator_tIbNSD_35transform_pair_of_input_iterators_tIbNS6_6detail15normal_iteratorINS6_10device_ptrIKtEEEESL_NS6_8equal_toItEEEENSG_9not_fun_tINSD_8identityEEEEENSD_19counting_iterator_tIlEES8_S8_S8_S8_S8_S8_S8_S8_EEEEPS9_S9_NSD_9__find_if7functorIS9_EEEE10hipError_tPvRmT1_T2_T3_mT4_P12ihipStream_tbEUlT_E1_NS1_11comp_targetILNS1_3genE10ELNS1_11target_archE1200ELNS1_3gpuE4ELNS1_3repE0EEENS1_30default_config_static_selectorELNS0_4arch9wavefront6targetE1EEEvS14_,"axG",@progbits,_ZN7rocprim17ROCPRIM_400000_NS6detail17trampoline_kernelINS0_14default_configENS1_22reduce_config_selectorIN6thrust23THRUST_200600_302600_NS5tupleIblNS6_9null_typeES8_S8_S8_S8_S8_S8_S8_EEEEZNS1_11reduce_implILb1ES3_NS6_12zip_iteratorINS7_INS6_11hip_rocprim26transform_input_iterator_tIbNSD_35transform_pair_of_input_iterators_tIbNS6_6detail15normal_iteratorINS6_10device_ptrIKtEEEESL_NS6_8equal_toItEEEENSG_9not_fun_tINSD_8identityEEEEENSD_19counting_iterator_tIlEES8_S8_S8_S8_S8_S8_S8_S8_EEEEPS9_S9_NSD_9__find_if7functorIS9_EEEE10hipError_tPvRmT1_T2_T3_mT4_P12ihipStream_tbEUlT_E1_NS1_11comp_targetILNS1_3genE10ELNS1_11target_archE1200ELNS1_3gpuE4ELNS1_3repE0EEENS1_30default_config_static_selectorELNS0_4arch9wavefront6targetE1EEEvS14_,comdat
.Lfunc_end1043:
	.size	_ZN7rocprim17ROCPRIM_400000_NS6detail17trampoline_kernelINS0_14default_configENS1_22reduce_config_selectorIN6thrust23THRUST_200600_302600_NS5tupleIblNS6_9null_typeES8_S8_S8_S8_S8_S8_S8_EEEEZNS1_11reduce_implILb1ES3_NS6_12zip_iteratorINS7_INS6_11hip_rocprim26transform_input_iterator_tIbNSD_35transform_pair_of_input_iterators_tIbNS6_6detail15normal_iteratorINS6_10device_ptrIKtEEEESL_NS6_8equal_toItEEEENSG_9not_fun_tINSD_8identityEEEEENSD_19counting_iterator_tIlEES8_S8_S8_S8_S8_S8_S8_S8_EEEEPS9_S9_NSD_9__find_if7functorIS9_EEEE10hipError_tPvRmT1_T2_T3_mT4_P12ihipStream_tbEUlT_E1_NS1_11comp_targetILNS1_3genE10ELNS1_11target_archE1200ELNS1_3gpuE4ELNS1_3repE0EEENS1_30default_config_static_selectorELNS0_4arch9wavefront6targetE1EEEvS14_, .Lfunc_end1043-_ZN7rocprim17ROCPRIM_400000_NS6detail17trampoline_kernelINS0_14default_configENS1_22reduce_config_selectorIN6thrust23THRUST_200600_302600_NS5tupleIblNS6_9null_typeES8_S8_S8_S8_S8_S8_S8_EEEEZNS1_11reduce_implILb1ES3_NS6_12zip_iteratorINS7_INS6_11hip_rocprim26transform_input_iterator_tIbNSD_35transform_pair_of_input_iterators_tIbNS6_6detail15normal_iteratorINS6_10device_ptrIKtEEEESL_NS6_8equal_toItEEEENSG_9not_fun_tINSD_8identityEEEEENSD_19counting_iterator_tIlEES8_S8_S8_S8_S8_S8_S8_S8_EEEEPS9_S9_NSD_9__find_if7functorIS9_EEEE10hipError_tPvRmT1_T2_T3_mT4_P12ihipStream_tbEUlT_E1_NS1_11comp_targetILNS1_3genE10ELNS1_11target_archE1200ELNS1_3gpuE4ELNS1_3repE0EEENS1_30default_config_static_selectorELNS0_4arch9wavefront6targetE1EEEvS14_
                                        ; -- End function
	.set _ZN7rocprim17ROCPRIM_400000_NS6detail17trampoline_kernelINS0_14default_configENS1_22reduce_config_selectorIN6thrust23THRUST_200600_302600_NS5tupleIblNS6_9null_typeES8_S8_S8_S8_S8_S8_S8_EEEEZNS1_11reduce_implILb1ES3_NS6_12zip_iteratorINS7_INS6_11hip_rocprim26transform_input_iterator_tIbNSD_35transform_pair_of_input_iterators_tIbNS6_6detail15normal_iteratorINS6_10device_ptrIKtEEEESL_NS6_8equal_toItEEEENSG_9not_fun_tINSD_8identityEEEEENSD_19counting_iterator_tIlEES8_S8_S8_S8_S8_S8_S8_S8_EEEEPS9_S9_NSD_9__find_if7functorIS9_EEEE10hipError_tPvRmT1_T2_T3_mT4_P12ihipStream_tbEUlT_E1_NS1_11comp_targetILNS1_3genE10ELNS1_11target_archE1200ELNS1_3gpuE4ELNS1_3repE0EEENS1_30default_config_static_selectorELNS0_4arch9wavefront6targetE1EEEvS14_.num_vgpr, 0
	.set _ZN7rocprim17ROCPRIM_400000_NS6detail17trampoline_kernelINS0_14default_configENS1_22reduce_config_selectorIN6thrust23THRUST_200600_302600_NS5tupleIblNS6_9null_typeES8_S8_S8_S8_S8_S8_S8_EEEEZNS1_11reduce_implILb1ES3_NS6_12zip_iteratorINS7_INS6_11hip_rocprim26transform_input_iterator_tIbNSD_35transform_pair_of_input_iterators_tIbNS6_6detail15normal_iteratorINS6_10device_ptrIKtEEEESL_NS6_8equal_toItEEEENSG_9not_fun_tINSD_8identityEEEEENSD_19counting_iterator_tIlEES8_S8_S8_S8_S8_S8_S8_S8_EEEEPS9_S9_NSD_9__find_if7functorIS9_EEEE10hipError_tPvRmT1_T2_T3_mT4_P12ihipStream_tbEUlT_E1_NS1_11comp_targetILNS1_3genE10ELNS1_11target_archE1200ELNS1_3gpuE4ELNS1_3repE0EEENS1_30default_config_static_selectorELNS0_4arch9wavefront6targetE1EEEvS14_.num_agpr, 0
	.set _ZN7rocprim17ROCPRIM_400000_NS6detail17trampoline_kernelINS0_14default_configENS1_22reduce_config_selectorIN6thrust23THRUST_200600_302600_NS5tupleIblNS6_9null_typeES8_S8_S8_S8_S8_S8_S8_EEEEZNS1_11reduce_implILb1ES3_NS6_12zip_iteratorINS7_INS6_11hip_rocprim26transform_input_iterator_tIbNSD_35transform_pair_of_input_iterators_tIbNS6_6detail15normal_iteratorINS6_10device_ptrIKtEEEESL_NS6_8equal_toItEEEENSG_9not_fun_tINSD_8identityEEEEENSD_19counting_iterator_tIlEES8_S8_S8_S8_S8_S8_S8_S8_EEEEPS9_S9_NSD_9__find_if7functorIS9_EEEE10hipError_tPvRmT1_T2_T3_mT4_P12ihipStream_tbEUlT_E1_NS1_11comp_targetILNS1_3genE10ELNS1_11target_archE1200ELNS1_3gpuE4ELNS1_3repE0EEENS1_30default_config_static_selectorELNS0_4arch9wavefront6targetE1EEEvS14_.numbered_sgpr, 0
	.set _ZN7rocprim17ROCPRIM_400000_NS6detail17trampoline_kernelINS0_14default_configENS1_22reduce_config_selectorIN6thrust23THRUST_200600_302600_NS5tupleIblNS6_9null_typeES8_S8_S8_S8_S8_S8_S8_EEEEZNS1_11reduce_implILb1ES3_NS6_12zip_iteratorINS7_INS6_11hip_rocprim26transform_input_iterator_tIbNSD_35transform_pair_of_input_iterators_tIbNS6_6detail15normal_iteratorINS6_10device_ptrIKtEEEESL_NS6_8equal_toItEEEENSG_9not_fun_tINSD_8identityEEEEENSD_19counting_iterator_tIlEES8_S8_S8_S8_S8_S8_S8_S8_EEEEPS9_S9_NSD_9__find_if7functorIS9_EEEE10hipError_tPvRmT1_T2_T3_mT4_P12ihipStream_tbEUlT_E1_NS1_11comp_targetILNS1_3genE10ELNS1_11target_archE1200ELNS1_3gpuE4ELNS1_3repE0EEENS1_30default_config_static_selectorELNS0_4arch9wavefront6targetE1EEEvS14_.num_named_barrier, 0
	.set _ZN7rocprim17ROCPRIM_400000_NS6detail17trampoline_kernelINS0_14default_configENS1_22reduce_config_selectorIN6thrust23THRUST_200600_302600_NS5tupleIblNS6_9null_typeES8_S8_S8_S8_S8_S8_S8_EEEEZNS1_11reduce_implILb1ES3_NS6_12zip_iteratorINS7_INS6_11hip_rocprim26transform_input_iterator_tIbNSD_35transform_pair_of_input_iterators_tIbNS6_6detail15normal_iteratorINS6_10device_ptrIKtEEEESL_NS6_8equal_toItEEEENSG_9not_fun_tINSD_8identityEEEEENSD_19counting_iterator_tIlEES8_S8_S8_S8_S8_S8_S8_S8_EEEEPS9_S9_NSD_9__find_if7functorIS9_EEEE10hipError_tPvRmT1_T2_T3_mT4_P12ihipStream_tbEUlT_E1_NS1_11comp_targetILNS1_3genE10ELNS1_11target_archE1200ELNS1_3gpuE4ELNS1_3repE0EEENS1_30default_config_static_selectorELNS0_4arch9wavefront6targetE1EEEvS14_.private_seg_size, 0
	.set _ZN7rocprim17ROCPRIM_400000_NS6detail17trampoline_kernelINS0_14default_configENS1_22reduce_config_selectorIN6thrust23THRUST_200600_302600_NS5tupleIblNS6_9null_typeES8_S8_S8_S8_S8_S8_S8_EEEEZNS1_11reduce_implILb1ES3_NS6_12zip_iteratorINS7_INS6_11hip_rocprim26transform_input_iterator_tIbNSD_35transform_pair_of_input_iterators_tIbNS6_6detail15normal_iteratorINS6_10device_ptrIKtEEEESL_NS6_8equal_toItEEEENSG_9not_fun_tINSD_8identityEEEEENSD_19counting_iterator_tIlEES8_S8_S8_S8_S8_S8_S8_S8_EEEEPS9_S9_NSD_9__find_if7functorIS9_EEEE10hipError_tPvRmT1_T2_T3_mT4_P12ihipStream_tbEUlT_E1_NS1_11comp_targetILNS1_3genE10ELNS1_11target_archE1200ELNS1_3gpuE4ELNS1_3repE0EEENS1_30default_config_static_selectorELNS0_4arch9wavefront6targetE1EEEvS14_.uses_vcc, 0
	.set _ZN7rocprim17ROCPRIM_400000_NS6detail17trampoline_kernelINS0_14default_configENS1_22reduce_config_selectorIN6thrust23THRUST_200600_302600_NS5tupleIblNS6_9null_typeES8_S8_S8_S8_S8_S8_S8_EEEEZNS1_11reduce_implILb1ES3_NS6_12zip_iteratorINS7_INS6_11hip_rocprim26transform_input_iterator_tIbNSD_35transform_pair_of_input_iterators_tIbNS6_6detail15normal_iteratorINS6_10device_ptrIKtEEEESL_NS6_8equal_toItEEEENSG_9not_fun_tINSD_8identityEEEEENSD_19counting_iterator_tIlEES8_S8_S8_S8_S8_S8_S8_S8_EEEEPS9_S9_NSD_9__find_if7functorIS9_EEEE10hipError_tPvRmT1_T2_T3_mT4_P12ihipStream_tbEUlT_E1_NS1_11comp_targetILNS1_3genE10ELNS1_11target_archE1200ELNS1_3gpuE4ELNS1_3repE0EEENS1_30default_config_static_selectorELNS0_4arch9wavefront6targetE1EEEvS14_.uses_flat_scratch, 0
	.set _ZN7rocprim17ROCPRIM_400000_NS6detail17trampoline_kernelINS0_14default_configENS1_22reduce_config_selectorIN6thrust23THRUST_200600_302600_NS5tupleIblNS6_9null_typeES8_S8_S8_S8_S8_S8_S8_EEEEZNS1_11reduce_implILb1ES3_NS6_12zip_iteratorINS7_INS6_11hip_rocprim26transform_input_iterator_tIbNSD_35transform_pair_of_input_iterators_tIbNS6_6detail15normal_iteratorINS6_10device_ptrIKtEEEESL_NS6_8equal_toItEEEENSG_9not_fun_tINSD_8identityEEEEENSD_19counting_iterator_tIlEES8_S8_S8_S8_S8_S8_S8_S8_EEEEPS9_S9_NSD_9__find_if7functorIS9_EEEE10hipError_tPvRmT1_T2_T3_mT4_P12ihipStream_tbEUlT_E1_NS1_11comp_targetILNS1_3genE10ELNS1_11target_archE1200ELNS1_3gpuE4ELNS1_3repE0EEENS1_30default_config_static_selectorELNS0_4arch9wavefront6targetE1EEEvS14_.has_dyn_sized_stack, 0
	.set _ZN7rocprim17ROCPRIM_400000_NS6detail17trampoline_kernelINS0_14default_configENS1_22reduce_config_selectorIN6thrust23THRUST_200600_302600_NS5tupleIblNS6_9null_typeES8_S8_S8_S8_S8_S8_S8_EEEEZNS1_11reduce_implILb1ES3_NS6_12zip_iteratorINS7_INS6_11hip_rocprim26transform_input_iterator_tIbNSD_35transform_pair_of_input_iterators_tIbNS6_6detail15normal_iteratorINS6_10device_ptrIKtEEEESL_NS6_8equal_toItEEEENSG_9not_fun_tINSD_8identityEEEEENSD_19counting_iterator_tIlEES8_S8_S8_S8_S8_S8_S8_S8_EEEEPS9_S9_NSD_9__find_if7functorIS9_EEEE10hipError_tPvRmT1_T2_T3_mT4_P12ihipStream_tbEUlT_E1_NS1_11comp_targetILNS1_3genE10ELNS1_11target_archE1200ELNS1_3gpuE4ELNS1_3repE0EEENS1_30default_config_static_selectorELNS0_4arch9wavefront6targetE1EEEvS14_.has_recursion, 0
	.set _ZN7rocprim17ROCPRIM_400000_NS6detail17trampoline_kernelINS0_14default_configENS1_22reduce_config_selectorIN6thrust23THRUST_200600_302600_NS5tupleIblNS6_9null_typeES8_S8_S8_S8_S8_S8_S8_EEEEZNS1_11reduce_implILb1ES3_NS6_12zip_iteratorINS7_INS6_11hip_rocprim26transform_input_iterator_tIbNSD_35transform_pair_of_input_iterators_tIbNS6_6detail15normal_iteratorINS6_10device_ptrIKtEEEESL_NS6_8equal_toItEEEENSG_9not_fun_tINSD_8identityEEEEENSD_19counting_iterator_tIlEES8_S8_S8_S8_S8_S8_S8_S8_EEEEPS9_S9_NSD_9__find_if7functorIS9_EEEE10hipError_tPvRmT1_T2_T3_mT4_P12ihipStream_tbEUlT_E1_NS1_11comp_targetILNS1_3genE10ELNS1_11target_archE1200ELNS1_3gpuE4ELNS1_3repE0EEENS1_30default_config_static_selectorELNS0_4arch9wavefront6targetE1EEEvS14_.has_indirect_call, 0
	.section	.AMDGPU.csdata,"",@progbits
; Kernel info:
; codeLenInByte = 0
; TotalNumSgprs: 6
; NumVgprs: 0
; NumAgprs: 0
; TotalNumVgprs: 0
; ScratchSize: 0
; MemoryBound: 0
; FloatMode: 240
; IeeeMode: 1
; LDSByteSize: 0 bytes/workgroup (compile time only)
; SGPRBlocks: 0
; VGPRBlocks: 0
; NumSGPRsForWavesPerEU: 6
; NumVGPRsForWavesPerEU: 1
; AccumOffset: 4
; Occupancy: 8
; WaveLimiterHint : 0
; COMPUTE_PGM_RSRC2:SCRATCH_EN: 0
; COMPUTE_PGM_RSRC2:USER_SGPR: 2
; COMPUTE_PGM_RSRC2:TRAP_HANDLER: 0
; COMPUTE_PGM_RSRC2:TGID_X_EN: 1
; COMPUTE_PGM_RSRC2:TGID_Y_EN: 0
; COMPUTE_PGM_RSRC2:TGID_Z_EN: 0
; COMPUTE_PGM_RSRC2:TIDIG_COMP_CNT: 0
; COMPUTE_PGM_RSRC3_GFX90A:ACCUM_OFFSET: 0
; COMPUTE_PGM_RSRC3_GFX90A:TG_SPLIT: 0
	.section	.text._ZN7rocprim17ROCPRIM_400000_NS6detail17trampoline_kernelINS0_14default_configENS1_22reduce_config_selectorIN6thrust23THRUST_200600_302600_NS5tupleIblNS6_9null_typeES8_S8_S8_S8_S8_S8_S8_EEEEZNS1_11reduce_implILb1ES3_NS6_12zip_iteratorINS7_INS6_11hip_rocprim26transform_input_iterator_tIbNSD_35transform_pair_of_input_iterators_tIbNS6_6detail15normal_iteratorINS6_10device_ptrIKtEEEESL_NS6_8equal_toItEEEENSG_9not_fun_tINSD_8identityEEEEENSD_19counting_iterator_tIlEES8_S8_S8_S8_S8_S8_S8_S8_EEEEPS9_S9_NSD_9__find_if7functorIS9_EEEE10hipError_tPvRmT1_T2_T3_mT4_P12ihipStream_tbEUlT_E1_NS1_11comp_targetILNS1_3genE9ELNS1_11target_archE1100ELNS1_3gpuE3ELNS1_3repE0EEENS1_30default_config_static_selectorELNS0_4arch9wavefront6targetE1EEEvS14_,"axG",@progbits,_ZN7rocprim17ROCPRIM_400000_NS6detail17trampoline_kernelINS0_14default_configENS1_22reduce_config_selectorIN6thrust23THRUST_200600_302600_NS5tupleIblNS6_9null_typeES8_S8_S8_S8_S8_S8_S8_EEEEZNS1_11reduce_implILb1ES3_NS6_12zip_iteratorINS7_INS6_11hip_rocprim26transform_input_iterator_tIbNSD_35transform_pair_of_input_iterators_tIbNS6_6detail15normal_iteratorINS6_10device_ptrIKtEEEESL_NS6_8equal_toItEEEENSG_9not_fun_tINSD_8identityEEEEENSD_19counting_iterator_tIlEES8_S8_S8_S8_S8_S8_S8_S8_EEEEPS9_S9_NSD_9__find_if7functorIS9_EEEE10hipError_tPvRmT1_T2_T3_mT4_P12ihipStream_tbEUlT_E1_NS1_11comp_targetILNS1_3genE9ELNS1_11target_archE1100ELNS1_3gpuE3ELNS1_3repE0EEENS1_30default_config_static_selectorELNS0_4arch9wavefront6targetE1EEEvS14_,comdat
	.protected	_ZN7rocprim17ROCPRIM_400000_NS6detail17trampoline_kernelINS0_14default_configENS1_22reduce_config_selectorIN6thrust23THRUST_200600_302600_NS5tupleIblNS6_9null_typeES8_S8_S8_S8_S8_S8_S8_EEEEZNS1_11reduce_implILb1ES3_NS6_12zip_iteratorINS7_INS6_11hip_rocprim26transform_input_iterator_tIbNSD_35transform_pair_of_input_iterators_tIbNS6_6detail15normal_iteratorINS6_10device_ptrIKtEEEESL_NS6_8equal_toItEEEENSG_9not_fun_tINSD_8identityEEEEENSD_19counting_iterator_tIlEES8_S8_S8_S8_S8_S8_S8_S8_EEEEPS9_S9_NSD_9__find_if7functorIS9_EEEE10hipError_tPvRmT1_T2_T3_mT4_P12ihipStream_tbEUlT_E1_NS1_11comp_targetILNS1_3genE9ELNS1_11target_archE1100ELNS1_3gpuE3ELNS1_3repE0EEENS1_30default_config_static_selectorELNS0_4arch9wavefront6targetE1EEEvS14_ ; -- Begin function _ZN7rocprim17ROCPRIM_400000_NS6detail17trampoline_kernelINS0_14default_configENS1_22reduce_config_selectorIN6thrust23THRUST_200600_302600_NS5tupleIblNS6_9null_typeES8_S8_S8_S8_S8_S8_S8_EEEEZNS1_11reduce_implILb1ES3_NS6_12zip_iteratorINS7_INS6_11hip_rocprim26transform_input_iterator_tIbNSD_35transform_pair_of_input_iterators_tIbNS6_6detail15normal_iteratorINS6_10device_ptrIKtEEEESL_NS6_8equal_toItEEEENSG_9not_fun_tINSD_8identityEEEEENSD_19counting_iterator_tIlEES8_S8_S8_S8_S8_S8_S8_S8_EEEEPS9_S9_NSD_9__find_if7functorIS9_EEEE10hipError_tPvRmT1_T2_T3_mT4_P12ihipStream_tbEUlT_E1_NS1_11comp_targetILNS1_3genE9ELNS1_11target_archE1100ELNS1_3gpuE3ELNS1_3repE0EEENS1_30default_config_static_selectorELNS0_4arch9wavefront6targetE1EEEvS14_
	.globl	_ZN7rocprim17ROCPRIM_400000_NS6detail17trampoline_kernelINS0_14default_configENS1_22reduce_config_selectorIN6thrust23THRUST_200600_302600_NS5tupleIblNS6_9null_typeES8_S8_S8_S8_S8_S8_S8_EEEEZNS1_11reduce_implILb1ES3_NS6_12zip_iteratorINS7_INS6_11hip_rocprim26transform_input_iterator_tIbNSD_35transform_pair_of_input_iterators_tIbNS6_6detail15normal_iteratorINS6_10device_ptrIKtEEEESL_NS6_8equal_toItEEEENSG_9not_fun_tINSD_8identityEEEEENSD_19counting_iterator_tIlEES8_S8_S8_S8_S8_S8_S8_S8_EEEEPS9_S9_NSD_9__find_if7functorIS9_EEEE10hipError_tPvRmT1_T2_T3_mT4_P12ihipStream_tbEUlT_E1_NS1_11comp_targetILNS1_3genE9ELNS1_11target_archE1100ELNS1_3gpuE3ELNS1_3repE0EEENS1_30default_config_static_selectorELNS0_4arch9wavefront6targetE1EEEvS14_
	.p2align	8
	.type	_ZN7rocprim17ROCPRIM_400000_NS6detail17trampoline_kernelINS0_14default_configENS1_22reduce_config_selectorIN6thrust23THRUST_200600_302600_NS5tupleIblNS6_9null_typeES8_S8_S8_S8_S8_S8_S8_EEEEZNS1_11reduce_implILb1ES3_NS6_12zip_iteratorINS7_INS6_11hip_rocprim26transform_input_iterator_tIbNSD_35transform_pair_of_input_iterators_tIbNS6_6detail15normal_iteratorINS6_10device_ptrIKtEEEESL_NS6_8equal_toItEEEENSG_9not_fun_tINSD_8identityEEEEENSD_19counting_iterator_tIlEES8_S8_S8_S8_S8_S8_S8_S8_EEEEPS9_S9_NSD_9__find_if7functorIS9_EEEE10hipError_tPvRmT1_T2_T3_mT4_P12ihipStream_tbEUlT_E1_NS1_11comp_targetILNS1_3genE9ELNS1_11target_archE1100ELNS1_3gpuE3ELNS1_3repE0EEENS1_30default_config_static_selectorELNS0_4arch9wavefront6targetE1EEEvS14_,@function
_ZN7rocprim17ROCPRIM_400000_NS6detail17trampoline_kernelINS0_14default_configENS1_22reduce_config_selectorIN6thrust23THRUST_200600_302600_NS5tupleIblNS6_9null_typeES8_S8_S8_S8_S8_S8_S8_EEEEZNS1_11reduce_implILb1ES3_NS6_12zip_iteratorINS7_INS6_11hip_rocprim26transform_input_iterator_tIbNSD_35transform_pair_of_input_iterators_tIbNS6_6detail15normal_iteratorINS6_10device_ptrIKtEEEESL_NS6_8equal_toItEEEENSG_9not_fun_tINSD_8identityEEEEENSD_19counting_iterator_tIlEES8_S8_S8_S8_S8_S8_S8_S8_EEEEPS9_S9_NSD_9__find_if7functorIS9_EEEE10hipError_tPvRmT1_T2_T3_mT4_P12ihipStream_tbEUlT_E1_NS1_11comp_targetILNS1_3genE9ELNS1_11target_archE1100ELNS1_3gpuE3ELNS1_3repE0EEENS1_30default_config_static_selectorELNS0_4arch9wavefront6targetE1EEEvS14_: ; @_ZN7rocprim17ROCPRIM_400000_NS6detail17trampoline_kernelINS0_14default_configENS1_22reduce_config_selectorIN6thrust23THRUST_200600_302600_NS5tupleIblNS6_9null_typeES8_S8_S8_S8_S8_S8_S8_EEEEZNS1_11reduce_implILb1ES3_NS6_12zip_iteratorINS7_INS6_11hip_rocprim26transform_input_iterator_tIbNSD_35transform_pair_of_input_iterators_tIbNS6_6detail15normal_iteratorINS6_10device_ptrIKtEEEESL_NS6_8equal_toItEEEENSG_9not_fun_tINSD_8identityEEEEENSD_19counting_iterator_tIlEES8_S8_S8_S8_S8_S8_S8_S8_EEEEPS9_S9_NSD_9__find_if7functorIS9_EEEE10hipError_tPvRmT1_T2_T3_mT4_P12ihipStream_tbEUlT_E1_NS1_11comp_targetILNS1_3genE9ELNS1_11target_archE1100ELNS1_3gpuE3ELNS1_3repE0EEENS1_30default_config_static_selectorELNS0_4arch9wavefront6targetE1EEEvS14_
; %bb.0:
	.section	.rodata,"a",@progbits
	.p2align	6, 0x0
	.amdhsa_kernel _ZN7rocprim17ROCPRIM_400000_NS6detail17trampoline_kernelINS0_14default_configENS1_22reduce_config_selectorIN6thrust23THRUST_200600_302600_NS5tupleIblNS6_9null_typeES8_S8_S8_S8_S8_S8_S8_EEEEZNS1_11reduce_implILb1ES3_NS6_12zip_iteratorINS7_INS6_11hip_rocprim26transform_input_iterator_tIbNSD_35transform_pair_of_input_iterators_tIbNS6_6detail15normal_iteratorINS6_10device_ptrIKtEEEESL_NS6_8equal_toItEEEENSG_9not_fun_tINSD_8identityEEEEENSD_19counting_iterator_tIlEES8_S8_S8_S8_S8_S8_S8_S8_EEEEPS9_S9_NSD_9__find_if7functorIS9_EEEE10hipError_tPvRmT1_T2_T3_mT4_P12ihipStream_tbEUlT_E1_NS1_11comp_targetILNS1_3genE9ELNS1_11target_archE1100ELNS1_3gpuE3ELNS1_3repE0EEENS1_30default_config_static_selectorELNS0_4arch9wavefront6targetE1EEEvS14_
		.amdhsa_group_segment_fixed_size 0
		.amdhsa_private_segment_fixed_size 0
		.amdhsa_kernarg_size 88
		.amdhsa_user_sgpr_count 2
		.amdhsa_user_sgpr_dispatch_ptr 0
		.amdhsa_user_sgpr_queue_ptr 0
		.amdhsa_user_sgpr_kernarg_segment_ptr 1
		.amdhsa_user_sgpr_dispatch_id 0
		.amdhsa_user_sgpr_kernarg_preload_length 0
		.amdhsa_user_sgpr_kernarg_preload_offset 0
		.amdhsa_user_sgpr_private_segment_size 0
		.amdhsa_uses_dynamic_stack 0
		.amdhsa_enable_private_segment 0
		.amdhsa_system_sgpr_workgroup_id_x 1
		.amdhsa_system_sgpr_workgroup_id_y 0
		.amdhsa_system_sgpr_workgroup_id_z 0
		.amdhsa_system_sgpr_workgroup_info 0
		.amdhsa_system_vgpr_workitem_id 0
		.amdhsa_next_free_vgpr 1
		.amdhsa_next_free_sgpr 0
		.amdhsa_accum_offset 4
		.amdhsa_reserve_vcc 0
		.amdhsa_float_round_mode_32 0
		.amdhsa_float_round_mode_16_64 0
		.amdhsa_float_denorm_mode_32 3
		.amdhsa_float_denorm_mode_16_64 3
		.amdhsa_dx10_clamp 1
		.amdhsa_ieee_mode 1
		.amdhsa_fp16_overflow 0
		.amdhsa_tg_split 0
		.amdhsa_exception_fp_ieee_invalid_op 0
		.amdhsa_exception_fp_denorm_src 0
		.amdhsa_exception_fp_ieee_div_zero 0
		.amdhsa_exception_fp_ieee_overflow 0
		.amdhsa_exception_fp_ieee_underflow 0
		.amdhsa_exception_fp_ieee_inexact 0
		.amdhsa_exception_int_div_zero 0
	.end_amdhsa_kernel
	.section	.text._ZN7rocprim17ROCPRIM_400000_NS6detail17trampoline_kernelINS0_14default_configENS1_22reduce_config_selectorIN6thrust23THRUST_200600_302600_NS5tupleIblNS6_9null_typeES8_S8_S8_S8_S8_S8_S8_EEEEZNS1_11reduce_implILb1ES3_NS6_12zip_iteratorINS7_INS6_11hip_rocprim26transform_input_iterator_tIbNSD_35transform_pair_of_input_iterators_tIbNS6_6detail15normal_iteratorINS6_10device_ptrIKtEEEESL_NS6_8equal_toItEEEENSG_9not_fun_tINSD_8identityEEEEENSD_19counting_iterator_tIlEES8_S8_S8_S8_S8_S8_S8_S8_EEEEPS9_S9_NSD_9__find_if7functorIS9_EEEE10hipError_tPvRmT1_T2_T3_mT4_P12ihipStream_tbEUlT_E1_NS1_11comp_targetILNS1_3genE9ELNS1_11target_archE1100ELNS1_3gpuE3ELNS1_3repE0EEENS1_30default_config_static_selectorELNS0_4arch9wavefront6targetE1EEEvS14_,"axG",@progbits,_ZN7rocprim17ROCPRIM_400000_NS6detail17trampoline_kernelINS0_14default_configENS1_22reduce_config_selectorIN6thrust23THRUST_200600_302600_NS5tupleIblNS6_9null_typeES8_S8_S8_S8_S8_S8_S8_EEEEZNS1_11reduce_implILb1ES3_NS6_12zip_iteratorINS7_INS6_11hip_rocprim26transform_input_iterator_tIbNSD_35transform_pair_of_input_iterators_tIbNS6_6detail15normal_iteratorINS6_10device_ptrIKtEEEESL_NS6_8equal_toItEEEENSG_9not_fun_tINSD_8identityEEEEENSD_19counting_iterator_tIlEES8_S8_S8_S8_S8_S8_S8_S8_EEEEPS9_S9_NSD_9__find_if7functorIS9_EEEE10hipError_tPvRmT1_T2_T3_mT4_P12ihipStream_tbEUlT_E1_NS1_11comp_targetILNS1_3genE9ELNS1_11target_archE1100ELNS1_3gpuE3ELNS1_3repE0EEENS1_30default_config_static_selectorELNS0_4arch9wavefront6targetE1EEEvS14_,comdat
.Lfunc_end1044:
	.size	_ZN7rocprim17ROCPRIM_400000_NS6detail17trampoline_kernelINS0_14default_configENS1_22reduce_config_selectorIN6thrust23THRUST_200600_302600_NS5tupleIblNS6_9null_typeES8_S8_S8_S8_S8_S8_S8_EEEEZNS1_11reduce_implILb1ES3_NS6_12zip_iteratorINS7_INS6_11hip_rocprim26transform_input_iterator_tIbNSD_35transform_pair_of_input_iterators_tIbNS6_6detail15normal_iteratorINS6_10device_ptrIKtEEEESL_NS6_8equal_toItEEEENSG_9not_fun_tINSD_8identityEEEEENSD_19counting_iterator_tIlEES8_S8_S8_S8_S8_S8_S8_S8_EEEEPS9_S9_NSD_9__find_if7functorIS9_EEEE10hipError_tPvRmT1_T2_T3_mT4_P12ihipStream_tbEUlT_E1_NS1_11comp_targetILNS1_3genE9ELNS1_11target_archE1100ELNS1_3gpuE3ELNS1_3repE0EEENS1_30default_config_static_selectorELNS0_4arch9wavefront6targetE1EEEvS14_, .Lfunc_end1044-_ZN7rocprim17ROCPRIM_400000_NS6detail17trampoline_kernelINS0_14default_configENS1_22reduce_config_selectorIN6thrust23THRUST_200600_302600_NS5tupleIblNS6_9null_typeES8_S8_S8_S8_S8_S8_S8_EEEEZNS1_11reduce_implILb1ES3_NS6_12zip_iteratorINS7_INS6_11hip_rocprim26transform_input_iterator_tIbNSD_35transform_pair_of_input_iterators_tIbNS6_6detail15normal_iteratorINS6_10device_ptrIKtEEEESL_NS6_8equal_toItEEEENSG_9not_fun_tINSD_8identityEEEEENSD_19counting_iterator_tIlEES8_S8_S8_S8_S8_S8_S8_S8_EEEEPS9_S9_NSD_9__find_if7functorIS9_EEEE10hipError_tPvRmT1_T2_T3_mT4_P12ihipStream_tbEUlT_E1_NS1_11comp_targetILNS1_3genE9ELNS1_11target_archE1100ELNS1_3gpuE3ELNS1_3repE0EEENS1_30default_config_static_selectorELNS0_4arch9wavefront6targetE1EEEvS14_
                                        ; -- End function
	.set _ZN7rocprim17ROCPRIM_400000_NS6detail17trampoline_kernelINS0_14default_configENS1_22reduce_config_selectorIN6thrust23THRUST_200600_302600_NS5tupleIblNS6_9null_typeES8_S8_S8_S8_S8_S8_S8_EEEEZNS1_11reduce_implILb1ES3_NS6_12zip_iteratorINS7_INS6_11hip_rocprim26transform_input_iterator_tIbNSD_35transform_pair_of_input_iterators_tIbNS6_6detail15normal_iteratorINS6_10device_ptrIKtEEEESL_NS6_8equal_toItEEEENSG_9not_fun_tINSD_8identityEEEEENSD_19counting_iterator_tIlEES8_S8_S8_S8_S8_S8_S8_S8_EEEEPS9_S9_NSD_9__find_if7functorIS9_EEEE10hipError_tPvRmT1_T2_T3_mT4_P12ihipStream_tbEUlT_E1_NS1_11comp_targetILNS1_3genE9ELNS1_11target_archE1100ELNS1_3gpuE3ELNS1_3repE0EEENS1_30default_config_static_selectorELNS0_4arch9wavefront6targetE1EEEvS14_.num_vgpr, 0
	.set _ZN7rocprim17ROCPRIM_400000_NS6detail17trampoline_kernelINS0_14default_configENS1_22reduce_config_selectorIN6thrust23THRUST_200600_302600_NS5tupleIblNS6_9null_typeES8_S8_S8_S8_S8_S8_S8_EEEEZNS1_11reduce_implILb1ES3_NS6_12zip_iteratorINS7_INS6_11hip_rocprim26transform_input_iterator_tIbNSD_35transform_pair_of_input_iterators_tIbNS6_6detail15normal_iteratorINS6_10device_ptrIKtEEEESL_NS6_8equal_toItEEEENSG_9not_fun_tINSD_8identityEEEEENSD_19counting_iterator_tIlEES8_S8_S8_S8_S8_S8_S8_S8_EEEEPS9_S9_NSD_9__find_if7functorIS9_EEEE10hipError_tPvRmT1_T2_T3_mT4_P12ihipStream_tbEUlT_E1_NS1_11comp_targetILNS1_3genE9ELNS1_11target_archE1100ELNS1_3gpuE3ELNS1_3repE0EEENS1_30default_config_static_selectorELNS0_4arch9wavefront6targetE1EEEvS14_.num_agpr, 0
	.set _ZN7rocprim17ROCPRIM_400000_NS6detail17trampoline_kernelINS0_14default_configENS1_22reduce_config_selectorIN6thrust23THRUST_200600_302600_NS5tupleIblNS6_9null_typeES8_S8_S8_S8_S8_S8_S8_EEEEZNS1_11reduce_implILb1ES3_NS6_12zip_iteratorINS7_INS6_11hip_rocprim26transform_input_iterator_tIbNSD_35transform_pair_of_input_iterators_tIbNS6_6detail15normal_iteratorINS6_10device_ptrIKtEEEESL_NS6_8equal_toItEEEENSG_9not_fun_tINSD_8identityEEEEENSD_19counting_iterator_tIlEES8_S8_S8_S8_S8_S8_S8_S8_EEEEPS9_S9_NSD_9__find_if7functorIS9_EEEE10hipError_tPvRmT1_T2_T3_mT4_P12ihipStream_tbEUlT_E1_NS1_11comp_targetILNS1_3genE9ELNS1_11target_archE1100ELNS1_3gpuE3ELNS1_3repE0EEENS1_30default_config_static_selectorELNS0_4arch9wavefront6targetE1EEEvS14_.numbered_sgpr, 0
	.set _ZN7rocprim17ROCPRIM_400000_NS6detail17trampoline_kernelINS0_14default_configENS1_22reduce_config_selectorIN6thrust23THRUST_200600_302600_NS5tupleIblNS6_9null_typeES8_S8_S8_S8_S8_S8_S8_EEEEZNS1_11reduce_implILb1ES3_NS6_12zip_iteratorINS7_INS6_11hip_rocprim26transform_input_iterator_tIbNSD_35transform_pair_of_input_iterators_tIbNS6_6detail15normal_iteratorINS6_10device_ptrIKtEEEESL_NS6_8equal_toItEEEENSG_9not_fun_tINSD_8identityEEEEENSD_19counting_iterator_tIlEES8_S8_S8_S8_S8_S8_S8_S8_EEEEPS9_S9_NSD_9__find_if7functorIS9_EEEE10hipError_tPvRmT1_T2_T3_mT4_P12ihipStream_tbEUlT_E1_NS1_11comp_targetILNS1_3genE9ELNS1_11target_archE1100ELNS1_3gpuE3ELNS1_3repE0EEENS1_30default_config_static_selectorELNS0_4arch9wavefront6targetE1EEEvS14_.num_named_barrier, 0
	.set _ZN7rocprim17ROCPRIM_400000_NS6detail17trampoline_kernelINS0_14default_configENS1_22reduce_config_selectorIN6thrust23THRUST_200600_302600_NS5tupleIblNS6_9null_typeES8_S8_S8_S8_S8_S8_S8_EEEEZNS1_11reduce_implILb1ES3_NS6_12zip_iteratorINS7_INS6_11hip_rocprim26transform_input_iterator_tIbNSD_35transform_pair_of_input_iterators_tIbNS6_6detail15normal_iteratorINS6_10device_ptrIKtEEEESL_NS6_8equal_toItEEEENSG_9not_fun_tINSD_8identityEEEEENSD_19counting_iterator_tIlEES8_S8_S8_S8_S8_S8_S8_S8_EEEEPS9_S9_NSD_9__find_if7functorIS9_EEEE10hipError_tPvRmT1_T2_T3_mT4_P12ihipStream_tbEUlT_E1_NS1_11comp_targetILNS1_3genE9ELNS1_11target_archE1100ELNS1_3gpuE3ELNS1_3repE0EEENS1_30default_config_static_selectorELNS0_4arch9wavefront6targetE1EEEvS14_.private_seg_size, 0
	.set _ZN7rocprim17ROCPRIM_400000_NS6detail17trampoline_kernelINS0_14default_configENS1_22reduce_config_selectorIN6thrust23THRUST_200600_302600_NS5tupleIblNS6_9null_typeES8_S8_S8_S8_S8_S8_S8_EEEEZNS1_11reduce_implILb1ES3_NS6_12zip_iteratorINS7_INS6_11hip_rocprim26transform_input_iterator_tIbNSD_35transform_pair_of_input_iterators_tIbNS6_6detail15normal_iteratorINS6_10device_ptrIKtEEEESL_NS6_8equal_toItEEEENSG_9not_fun_tINSD_8identityEEEEENSD_19counting_iterator_tIlEES8_S8_S8_S8_S8_S8_S8_S8_EEEEPS9_S9_NSD_9__find_if7functorIS9_EEEE10hipError_tPvRmT1_T2_T3_mT4_P12ihipStream_tbEUlT_E1_NS1_11comp_targetILNS1_3genE9ELNS1_11target_archE1100ELNS1_3gpuE3ELNS1_3repE0EEENS1_30default_config_static_selectorELNS0_4arch9wavefront6targetE1EEEvS14_.uses_vcc, 0
	.set _ZN7rocprim17ROCPRIM_400000_NS6detail17trampoline_kernelINS0_14default_configENS1_22reduce_config_selectorIN6thrust23THRUST_200600_302600_NS5tupleIblNS6_9null_typeES8_S8_S8_S8_S8_S8_S8_EEEEZNS1_11reduce_implILb1ES3_NS6_12zip_iteratorINS7_INS6_11hip_rocprim26transform_input_iterator_tIbNSD_35transform_pair_of_input_iterators_tIbNS6_6detail15normal_iteratorINS6_10device_ptrIKtEEEESL_NS6_8equal_toItEEEENSG_9not_fun_tINSD_8identityEEEEENSD_19counting_iterator_tIlEES8_S8_S8_S8_S8_S8_S8_S8_EEEEPS9_S9_NSD_9__find_if7functorIS9_EEEE10hipError_tPvRmT1_T2_T3_mT4_P12ihipStream_tbEUlT_E1_NS1_11comp_targetILNS1_3genE9ELNS1_11target_archE1100ELNS1_3gpuE3ELNS1_3repE0EEENS1_30default_config_static_selectorELNS0_4arch9wavefront6targetE1EEEvS14_.uses_flat_scratch, 0
	.set _ZN7rocprim17ROCPRIM_400000_NS6detail17trampoline_kernelINS0_14default_configENS1_22reduce_config_selectorIN6thrust23THRUST_200600_302600_NS5tupleIblNS6_9null_typeES8_S8_S8_S8_S8_S8_S8_EEEEZNS1_11reduce_implILb1ES3_NS6_12zip_iteratorINS7_INS6_11hip_rocprim26transform_input_iterator_tIbNSD_35transform_pair_of_input_iterators_tIbNS6_6detail15normal_iteratorINS6_10device_ptrIKtEEEESL_NS6_8equal_toItEEEENSG_9not_fun_tINSD_8identityEEEEENSD_19counting_iterator_tIlEES8_S8_S8_S8_S8_S8_S8_S8_EEEEPS9_S9_NSD_9__find_if7functorIS9_EEEE10hipError_tPvRmT1_T2_T3_mT4_P12ihipStream_tbEUlT_E1_NS1_11comp_targetILNS1_3genE9ELNS1_11target_archE1100ELNS1_3gpuE3ELNS1_3repE0EEENS1_30default_config_static_selectorELNS0_4arch9wavefront6targetE1EEEvS14_.has_dyn_sized_stack, 0
	.set _ZN7rocprim17ROCPRIM_400000_NS6detail17trampoline_kernelINS0_14default_configENS1_22reduce_config_selectorIN6thrust23THRUST_200600_302600_NS5tupleIblNS6_9null_typeES8_S8_S8_S8_S8_S8_S8_EEEEZNS1_11reduce_implILb1ES3_NS6_12zip_iteratorINS7_INS6_11hip_rocprim26transform_input_iterator_tIbNSD_35transform_pair_of_input_iterators_tIbNS6_6detail15normal_iteratorINS6_10device_ptrIKtEEEESL_NS6_8equal_toItEEEENSG_9not_fun_tINSD_8identityEEEEENSD_19counting_iterator_tIlEES8_S8_S8_S8_S8_S8_S8_S8_EEEEPS9_S9_NSD_9__find_if7functorIS9_EEEE10hipError_tPvRmT1_T2_T3_mT4_P12ihipStream_tbEUlT_E1_NS1_11comp_targetILNS1_3genE9ELNS1_11target_archE1100ELNS1_3gpuE3ELNS1_3repE0EEENS1_30default_config_static_selectorELNS0_4arch9wavefront6targetE1EEEvS14_.has_recursion, 0
	.set _ZN7rocprim17ROCPRIM_400000_NS6detail17trampoline_kernelINS0_14default_configENS1_22reduce_config_selectorIN6thrust23THRUST_200600_302600_NS5tupleIblNS6_9null_typeES8_S8_S8_S8_S8_S8_S8_EEEEZNS1_11reduce_implILb1ES3_NS6_12zip_iteratorINS7_INS6_11hip_rocprim26transform_input_iterator_tIbNSD_35transform_pair_of_input_iterators_tIbNS6_6detail15normal_iteratorINS6_10device_ptrIKtEEEESL_NS6_8equal_toItEEEENSG_9not_fun_tINSD_8identityEEEEENSD_19counting_iterator_tIlEES8_S8_S8_S8_S8_S8_S8_S8_EEEEPS9_S9_NSD_9__find_if7functorIS9_EEEE10hipError_tPvRmT1_T2_T3_mT4_P12ihipStream_tbEUlT_E1_NS1_11comp_targetILNS1_3genE9ELNS1_11target_archE1100ELNS1_3gpuE3ELNS1_3repE0EEENS1_30default_config_static_selectorELNS0_4arch9wavefront6targetE1EEEvS14_.has_indirect_call, 0
	.section	.AMDGPU.csdata,"",@progbits
; Kernel info:
; codeLenInByte = 0
; TotalNumSgprs: 6
; NumVgprs: 0
; NumAgprs: 0
; TotalNumVgprs: 0
; ScratchSize: 0
; MemoryBound: 0
; FloatMode: 240
; IeeeMode: 1
; LDSByteSize: 0 bytes/workgroup (compile time only)
; SGPRBlocks: 0
; VGPRBlocks: 0
; NumSGPRsForWavesPerEU: 6
; NumVGPRsForWavesPerEU: 1
; AccumOffset: 4
; Occupancy: 8
; WaveLimiterHint : 0
; COMPUTE_PGM_RSRC2:SCRATCH_EN: 0
; COMPUTE_PGM_RSRC2:USER_SGPR: 2
; COMPUTE_PGM_RSRC2:TRAP_HANDLER: 0
; COMPUTE_PGM_RSRC2:TGID_X_EN: 1
; COMPUTE_PGM_RSRC2:TGID_Y_EN: 0
; COMPUTE_PGM_RSRC2:TGID_Z_EN: 0
; COMPUTE_PGM_RSRC2:TIDIG_COMP_CNT: 0
; COMPUTE_PGM_RSRC3_GFX90A:ACCUM_OFFSET: 0
; COMPUTE_PGM_RSRC3_GFX90A:TG_SPLIT: 0
	.section	.text._ZN7rocprim17ROCPRIM_400000_NS6detail17trampoline_kernelINS0_14default_configENS1_22reduce_config_selectorIN6thrust23THRUST_200600_302600_NS5tupleIblNS6_9null_typeES8_S8_S8_S8_S8_S8_S8_EEEEZNS1_11reduce_implILb1ES3_NS6_12zip_iteratorINS7_INS6_11hip_rocprim26transform_input_iterator_tIbNSD_35transform_pair_of_input_iterators_tIbNS6_6detail15normal_iteratorINS6_10device_ptrIKtEEEESL_NS6_8equal_toItEEEENSG_9not_fun_tINSD_8identityEEEEENSD_19counting_iterator_tIlEES8_S8_S8_S8_S8_S8_S8_S8_EEEEPS9_S9_NSD_9__find_if7functorIS9_EEEE10hipError_tPvRmT1_T2_T3_mT4_P12ihipStream_tbEUlT_E1_NS1_11comp_targetILNS1_3genE8ELNS1_11target_archE1030ELNS1_3gpuE2ELNS1_3repE0EEENS1_30default_config_static_selectorELNS0_4arch9wavefront6targetE1EEEvS14_,"axG",@progbits,_ZN7rocprim17ROCPRIM_400000_NS6detail17trampoline_kernelINS0_14default_configENS1_22reduce_config_selectorIN6thrust23THRUST_200600_302600_NS5tupleIblNS6_9null_typeES8_S8_S8_S8_S8_S8_S8_EEEEZNS1_11reduce_implILb1ES3_NS6_12zip_iteratorINS7_INS6_11hip_rocprim26transform_input_iterator_tIbNSD_35transform_pair_of_input_iterators_tIbNS6_6detail15normal_iteratorINS6_10device_ptrIKtEEEESL_NS6_8equal_toItEEEENSG_9not_fun_tINSD_8identityEEEEENSD_19counting_iterator_tIlEES8_S8_S8_S8_S8_S8_S8_S8_EEEEPS9_S9_NSD_9__find_if7functorIS9_EEEE10hipError_tPvRmT1_T2_T3_mT4_P12ihipStream_tbEUlT_E1_NS1_11comp_targetILNS1_3genE8ELNS1_11target_archE1030ELNS1_3gpuE2ELNS1_3repE0EEENS1_30default_config_static_selectorELNS0_4arch9wavefront6targetE1EEEvS14_,comdat
	.protected	_ZN7rocprim17ROCPRIM_400000_NS6detail17trampoline_kernelINS0_14default_configENS1_22reduce_config_selectorIN6thrust23THRUST_200600_302600_NS5tupleIblNS6_9null_typeES8_S8_S8_S8_S8_S8_S8_EEEEZNS1_11reduce_implILb1ES3_NS6_12zip_iteratorINS7_INS6_11hip_rocprim26transform_input_iterator_tIbNSD_35transform_pair_of_input_iterators_tIbNS6_6detail15normal_iteratorINS6_10device_ptrIKtEEEESL_NS6_8equal_toItEEEENSG_9not_fun_tINSD_8identityEEEEENSD_19counting_iterator_tIlEES8_S8_S8_S8_S8_S8_S8_S8_EEEEPS9_S9_NSD_9__find_if7functorIS9_EEEE10hipError_tPvRmT1_T2_T3_mT4_P12ihipStream_tbEUlT_E1_NS1_11comp_targetILNS1_3genE8ELNS1_11target_archE1030ELNS1_3gpuE2ELNS1_3repE0EEENS1_30default_config_static_selectorELNS0_4arch9wavefront6targetE1EEEvS14_ ; -- Begin function _ZN7rocprim17ROCPRIM_400000_NS6detail17trampoline_kernelINS0_14default_configENS1_22reduce_config_selectorIN6thrust23THRUST_200600_302600_NS5tupleIblNS6_9null_typeES8_S8_S8_S8_S8_S8_S8_EEEEZNS1_11reduce_implILb1ES3_NS6_12zip_iteratorINS7_INS6_11hip_rocprim26transform_input_iterator_tIbNSD_35transform_pair_of_input_iterators_tIbNS6_6detail15normal_iteratorINS6_10device_ptrIKtEEEESL_NS6_8equal_toItEEEENSG_9not_fun_tINSD_8identityEEEEENSD_19counting_iterator_tIlEES8_S8_S8_S8_S8_S8_S8_S8_EEEEPS9_S9_NSD_9__find_if7functorIS9_EEEE10hipError_tPvRmT1_T2_T3_mT4_P12ihipStream_tbEUlT_E1_NS1_11comp_targetILNS1_3genE8ELNS1_11target_archE1030ELNS1_3gpuE2ELNS1_3repE0EEENS1_30default_config_static_selectorELNS0_4arch9wavefront6targetE1EEEvS14_
	.globl	_ZN7rocprim17ROCPRIM_400000_NS6detail17trampoline_kernelINS0_14default_configENS1_22reduce_config_selectorIN6thrust23THRUST_200600_302600_NS5tupleIblNS6_9null_typeES8_S8_S8_S8_S8_S8_S8_EEEEZNS1_11reduce_implILb1ES3_NS6_12zip_iteratorINS7_INS6_11hip_rocprim26transform_input_iterator_tIbNSD_35transform_pair_of_input_iterators_tIbNS6_6detail15normal_iteratorINS6_10device_ptrIKtEEEESL_NS6_8equal_toItEEEENSG_9not_fun_tINSD_8identityEEEEENSD_19counting_iterator_tIlEES8_S8_S8_S8_S8_S8_S8_S8_EEEEPS9_S9_NSD_9__find_if7functorIS9_EEEE10hipError_tPvRmT1_T2_T3_mT4_P12ihipStream_tbEUlT_E1_NS1_11comp_targetILNS1_3genE8ELNS1_11target_archE1030ELNS1_3gpuE2ELNS1_3repE0EEENS1_30default_config_static_selectorELNS0_4arch9wavefront6targetE1EEEvS14_
	.p2align	8
	.type	_ZN7rocprim17ROCPRIM_400000_NS6detail17trampoline_kernelINS0_14default_configENS1_22reduce_config_selectorIN6thrust23THRUST_200600_302600_NS5tupleIblNS6_9null_typeES8_S8_S8_S8_S8_S8_S8_EEEEZNS1_11reduce_implILb1ES3_NS6_12zip_iteratorINS7_INS6_11hip_rocprim26transform_input_iterator_tIbNSD_35transform_pair_of_input_iterators_tIbNS6_6detail15normal_iteratorINS6_10device_ptrIKtEEEESL_NS6_8equal_toItEEEENSG_9not_fun_tINSD_8identityEEEEENSD_19counting_iterator_tIlEES8_S8_S8_S8_S8_S8_S8_S8_EEEEPS9_S9_NSD_9__find_if7functorIS9_EEEE10hipError_tPvRmT1_T2_T3_mT4_P12ihipStream_tbEUlT_E1_NS1_11comp_targetILNS1_3genE8ELNS1_11target_archE1030ELNS1_3gpuE2ELNS1_3repE0EEENS1_30default_config_static_selectorELNS0_4arch9wavefront6targetE1EEEvS14_,@function
_ZN7rocprim17ROCPRIM_400000_NS6detail17trampoline_kernelINS0_14default_configENS1_22reduce_config_selectorIN6thrust23THRUST_200600_302600_NS5tupleIblNS6_9null_typeES8_S8_S8_S8_S8_S8_S8_EEEEZNS1_11reduce_implILb1ES3_NS6_12zip_iteratorINS7_INS6_11hip_rocprim26transform_input_iterator_tIbNSD_35transform_pair_of_input_iterators_tIbNS6_6detail15normal_iteratorINS6_10device_ptrIKtEEEESL_NS6_8equal_toItEEEENSG_9not_fun_tINSD_8identityEEEEENSD_19counting_iterator_tIlEES8_S8_S8_S8_S8_S8_S8_S8_EEEEPS9_S9_NSD_9__find_if7functorIS9_EEEE10hipError_tPvRmT1_T2_T3_mT4_P12ihipStream_tbEUlT_E1_NS1_11comp_targetILNS1_3genE8ELNS1_11target_archE1030ELNS1_3gpuE2ELNS1_3repE0EEENS1_30default_config_static_selectorELNS0_4arch9wavefront6targetE1EEEvS14_: ; @_ZN7rocprim17ROCPRIM_400000_NS6detail17trampoline_kernelINS0_14default_configENS1_22reduce_config_selectorIN6thrust23THRUST_200600_302600_NS5tupleIblNS6_9null_typeES8_S8_S8_S8_S8_S8_S8_EEEEZNS1_11reduce_implILb1ES3_NS6_12zip_iteratorINS7_INS6_11hip_rocprim26transform_input_iterator_tIbNSD_35transform_pair_of_input_iterators_tIbNS6_6detail15normal_iteratorINS6_10device_ptrIKtEEEESL_NS6_8equal_toItEEEENSG_9not_fun_tINSD_8identityEEEEENSD_19counting_iterator_tIlEES8_S8_S8_S8_S8_S8_S8_S8_EEEEPS9_S9_NSD_9__find_if7functorIS9_EEEE10hipError_tPvRmT1_T2_T3_mT4_P12ihipStream_tbEUlT_E1_NS1_11comp_targetILNS1_3genE8ELNS1_11target_archE1030ELNS1_3gpuE2ELNS1_3repE0EEENS1_30default_config_static_selectorELNS0_4arch9wavefront6targetE1EEEvS14_
; %bb.0:
	.section	.rodata,"a",@progbits
	.p2align	6, 0x0
	.amdhsa_kernel _ZN7rocprim17ROCPRIM_400000_NS6detail17trampoline_kernelINS0_14default_configENS1_22reduce_config_selectorIN6thrust23THRUST_200600_302600_NS5tupleIblNS6_9null_typeES8_S8_S8_S8_S8_S8_S8_EEEEZNS1_11reduce_implILb1ES3_NS6_12zip_iteratorINS7_INS6_11hip_rocprim26transform_input_iterator_tIbNSD_35transform_pair_of_input_iterators_tIbNS6_6detail15normal_iteratorINS6_10device_ptrIKtEEEESL_NS6_8equal_toItEEEENSG_9not_fun_tINSD_8identityEEEEENSD_19counting_iterator_tIlEES8_S8_S8_S8_S8_S8_S8_S8_EEEEPS9_S9_NSD_9__find_if7functorIS9_EEEE10hipError_tPvRmT1_T2_T3_mT4_P12ihipStream_tbEUlT_E1_NS1_11comp_targetILNS1_3genE8ELNS1_11target_archE1030ELNS1_3gpuE2ELNS1_3repE0EEENS1_30default_config_static_selectorELNS0_4arch9wavefront6targetE1EEEvS14_
		.amdhsa_group_segment_fixed_size 0
		.amdhsa_private_segment_fixed_size 0
		.amdhsa_kernarg_size 88
		.amdhsa_user_sgpr_count 2
		.amdhsa_user_sgpr_dispatch_ptr 0
		.amdhsa_user_sgpr_queue_ptr 0
		.amdhsa_user_sgpr_kernarg_segment_ptr 1
		.amdhsa_user_sgpr_dispatch_id 0
		.amdhsa_user_sgpr_kernarg_preload_length 0
		.amdhsa_user_sgpr_kernarg_preload_offset 0
		.amdhsa_user_sgpr_private_segment_size 0
		.amdhsa_uses_dynamic_stack 0
		.amdhsa_enable_private_segment 0
		.amdhsa_system_sgpr_workgroup_id_x 1
		.amdhsa_system_sgpr_workgroup_id_y 0
		.amdhsa_system_sgpr_workgroup_id_z 0
		.amdhsa_system_sgpr_workgroup_info 0
		.amdhsa_system_vgpr_workitem_id 0
		.amdhsa_next_free_vgpr 1
		.amdhsa_next_free_sgpr 0
		.amdhsa_accum_offset 4
		.amdhsa_reserve_vcc 0
		.amdhsa_float_round_mode_32 0
		.amdhsa_float_round_mode_16_64 0
		.amdhsa_float_denorm_mode_32 3
		.amdhsa_float_denorm_mode_16_64 3
		.amdhsa_dx10_clamp 1
		.amdhsa_ieee_mode 1
		.amdhsa_fp16_overflow 0
		.amdhsa_tg_split 0
		.amdhsa_exception_fp_ieee_invalid_op 0
		.amdhsa_exception_fp_denorm_src 0
		.amdhsa_exception_fp_ieee_div_zero 0
		.amdhsa_exception_fp_ieee_overflow 0
		.amdhsa_exception_fp_ieee_underflow 0
		.amdhsa_exception_fp_ieee_inexact 0
		.amdhsa_exception_int_div_zero 0
	.end_amdhsa_kernel
	.section	.text._ZN7rocprim17ROCPRIM_400000_NS6detail17trampoline_kernelINS0_14default_configENS1_22reduce_config_selectorIN6thrust23THRUST_200600_302600_NS5tupleIblNS6_9null_typeES8_S8_S8_S8_S8_S8_S8_EEEEZNS1_11reduce_implILb1ES3_NS6_12zip_iteratorINS7_INS6_11hip_rocprim26transform_input_iterator_tIbNSD_35transform_pair_of_input_iterators_tIbNS6_6detail15normal_iteratorINS6_10device_ptrIKtEEEESL_NS6_8equal_toItEEEENSG_9not_fun_tINSD_8identityEEEEENSD_19counting_iterator_tIlEES8_S8_S8_S8_S8_S8_S8_S8_EEEEPS9_S9_NSD_9__find_if7functorIS9_EEEE10hipError_tPvRmT1_T2_T3_mT4_P12ihipStream_tbEUlT_E1_NS1_11comp_targetILNS1_3genE8ELNS1_11target_archE1030ELNS1_3gpuE2ELNS1_3repE0EEENS1_30default_config_static_selectorELNS0_4arch9wavefront6targetE1EEEvS14_,"axG",@progbits,_ZN7rocprim17ROCPRIM_400000_NS6detail17trampoline_kernelINS0_14default_configENS1_22reduce_config_selectorIN6thrust23THRUST_200600_302600_NS5tupleIblNS6_9null_typeES8_S8_S8_S8_S8_S8_S8_EEEEZNS1_11reduce_implILb1ES3_NS6_12zip_iteratorINS7_INS6_11hip_rocprim26transform_input_iterator_tIbNSD_35transform_pair_of_input_iterators_tIbNS6_6detail15normal_iteratorINS6_10device_ptrIKtEEEESL_NS6_8equal_toItEEEENSG_9not_fun_tINSD_8identityEEEEENSD_19counting_iterator_tIlEES8_S8_S8_S8_S8_S8_S8_S8_EEEEPS9_S9_NSD_9__find_if7functorIS9_EEEE10hipError_tPvRmT1_T2_T3_mT4_P12ihipStream_tbEUlT_E1_NS1_11comp_targetILNS1_3genE8ELNS1_11target_archE1030ELNS1_3gpuE2ELNS1_3repE0EEENS1_30default_config_static_selectorELNS0_4arch9wavefront6targetE1EEEvS14_,comdat
.Lfunc_end1045:
	.size	_ZN7rocprim17ROCPRIM_400000_NS6detail17trampoline_kernelINS0_14default_configENS1_22reduce_config_selectorIN6thrust23THRUST_200600_302600_NS5tupleIblNS6_9null_typeES8_S8_S8_S8_S8_S8_S8_EEEEZNS1_11reduce_implILb1ES3_NS6_12zip_iteratorINS7_INS6_11hip_rocprim26transform_input_iterator_tIbNSD_35transform_pair_of_input_iterators_tIbNS6_6detail15normal_iteratorINS6_10device_ptrIKtEEEESL_NS6_8equal_toItEEEENSG_9not_fun_tINSD_8identityEEEEENSD_19counting_iterator_tIlEES8_S8_S8_S8_S8_S8_S8_S8_EEEEPS9_S9_NSD_9__find_if7functorIS9_EEEE10hipError_tPvRmT1_T2_T3_mT4_P12ihipStream_tbEUlT_E1_NS1_11comp_targetILNS1_3genE8ELNS1_11target_archE1030ELNS1_3gpuE2ELNS1_3repE0EEENS1_30default_config_static_selectorELNS0_4arch9wavefront6targetE1EEEvS14_, .Lfunc_end1045-_ZN7rocprim17ROCPRIM_400000_NS6detail17trampoline_kernelINS0_14default_configENS1_22reduce_config_selectorIN6thrust23THRUST_200600_302600_NS5tupleIblNS6_9null_typeES8_S8_S8_S8_S8_S8_S8_EEEEZNS1_11reduce_implILb1ES3_NS6_12zip_iteratorINS7_INS6_11hip_rocprim26transform_input_iterator_tIbNSD_35transform_pair_of_input_iterators_tIbNS6_6detail15normal_iteratorINS6_10device_ptrIKtEEEESL_NS6_8equal_toItEEEENSG_9not_fun_tINSD_8identityEEEEENSD_19counting_iterator_tIlEES8_S8_S8_S8_S8_S8_S8_S8_EEEEPS9_S9_NSD_9__find_if7functorIS9_EEEE10hipError_tPvRmT1_T2_T3_mT4_P12ihipStream_tbEUlT_E1_NS1_11comp_targetILNS1_3genE8ELNS1_11target_archE1030ELNS1_3gpuE2ELNS1_3repE0EEENS1_30default_config_static_selectorELNS0_4arch9wavefront6targetE1EEEvS14_
                                        ; -- End function
	.set _ZN7rocprim17ROCPRIM_400000_NS6detail17trampoline_kernelINS0_14default_configENS1_22reduce_config_selectorIN6thrust23THRUST_200600_302600_NS5tupleIblNS6_9null_typeES8_S8_S8_S8_S8_S8_S8_EEEEZNS1_11reduce_implILb1ES3_NS6_12zip_iteratorINS7_INS6_11hip_rocprim26transform_input_iterator_tIbNSD_35transform_pair_of_input_iterators_tIbNS6_6detail15normal_iteratorINS6_10device_ptrIKtEEEESL_NS6_8equal_toItEEEENSG_9not_fun_tINSD_8identityEEEEENSD_19counting_iterator_tIlEES8_S8_S8_S8_S8_S8_S8_S8_EEEEPS9_S9_NSD_9__find_if7functorIS9_EEEE10hipError_tPvRmT1_T2_T3_mT4_P12ihipStream_tbEUlT_E1_NS1_11comp_targetILNS1_3genE8ELNS1_11target_archE1030ELNS1_3gpuE2ELNS1_3repE0EEENS1_30default_config_static_selectorELNS0_4arch9wavefront6targetE1EEEvS14_.num_vgpr, 0
	.set _ZN7rocprim17ROCPRIM_400000_NS6detail17trampoline_kernelINS0_14default_configENS1_22reduce_config_selectorIN6thrust23THRUST_200600_302600_NS5tupleIblNS6_9null_typeES8_S8_S8_S8_S8_S8_S8_EEEEZNS1_11reduce_implILb1ES3_NS6_12zip_iteratorINS7_INS6_11hip_rocprim26transform_input_iterator_tIbNSD_35transform_pair_of_input_iterators_tIbNS6_6detail15normal_iteratorINS6_10device_ptrIKtEEEESL_NS6_8equal_toItEEEENSG_9not_fun_tINSD_8identityEEEEENSD_19counting_iterator_tIlEES8_S8_S8_S8_S8_S8_S8_S8_EEEEPS9_S9_NSD_9__find_if7functorIS9_EEEE10hipError_tPvRmT1_T2_T3_mT4_P12ihipStream_tbEUlT_E1_NS1_11comp_targetILNS1_3genE8ELNS1_11target_archE1030ELNS1_3gpuE2ELNS1_3repE0EEENS1_30default_config_static_selectorELNS0_4arch9wavefront6targetE1EEEvS14_.num_agpr, 0
	.set _ZN7rocprim17ROCPRIM_400000_NS6detail17trampoline_kernelINS0_14default_configENS1_22reduce_config_selectorIN6thrust23THRUST_200600_302600_NS5tupleIblNS6_9null_typeES8_S8_S8_S8_S8_S8_S8_EEEEZNS1_11reduce_implILb1ES3_NS6_12zip_iteratorINS7_INS6_11hip_rocprim26transform_input_iterator_tIbNSD_35transform_pair_of_input_iterators_tIbNS6_6detail15normal_iteratorINS6_10device_ptrIKtEEEESL_NS6_8equal_toItEEEENSG_9not_fun_tINSD_8identityEEEEENSD_19counting_iterator_tIlEES8_S8_S8_S8_S8_S8_S8_S8_EEEEPS9_S9_NSD_9__find_if7functorIS9_EEEE10hipError_tPvRmT1_T2_T3_mT4_P12ihipStream_tbEUlT_E1_NS1_11comp_targetILNS1_3genE8ELNS1_11target_archE1030ELNS1_3gpuE2ELNS1_3repE0EEENS1_30default_config_static_selectorELNS0_4arch9wavefront6targetE1EEEvS14_.numbered_sgpr, 0
	.set _ZN7rocprim17ROCPRIM_400000_NS6detail17trampoline_kernelINS0_14default_configENS1_22reduce_config_selectorIN6thrust23THRUST_200600_302600_NS5tupleIblNS6_9null_typeES8_S8_S8_S8_S8_S8_S8_EEEEZNS1_11reduce_implILb1ES3_NS6_12zip_iteratorINS7_INS6_11hip_rocprim26transform_input_iterator_tIbNSD_35transform_pair_of_input_iterators_tIbNS6_6detail15normal_iteratorINS6_10device_ptrIKtEEEESL_NS6_8equal_toItEEEENSG_9not_fun_tINSD_8identityEEEEENSD_19counting_iterator_tIlEES8_S8_S8_S8_S8_S8_S8_S8_EEEEPS9_S9_NSD_9__find_if7functorIS9_EEEE10hipError_tPvRmT1_T2_T3_mT4_P12ihipStream_tbEUlT_E1_NS1_11comp_targetILNS1_3genE8ELNS1_11target_archE1030ELNS1_3gpuE2ELNS1_3repE0EEENS1_30default_config_static_selectorELNS0_4arch9wavefront6targetE1EEEvS14_.num_named_barrier, 0
	.set _ZN7rocprim17ROCPRIM_400000_NS6detail17trampoline_kernelINS0_14default_configENS1_22reduce_config_selectorIN6thrust23THRUST_200600_302600_NS5tupleIblNS6_9null_typeES8_S8_S8_S8_S8_S8_S8_EEEEZNS1_11reduce_implILb1ES3_NS6_12zip_iteratorINS7_INS6_11hip_rocprim26transform_input_iterator_tIbNSD_35transform_pair_of_input_iterators_tIbNS6_6detail15normal_iteratorINS6_10device_ptrIKtEEEESL_NS6_8equal_toItEEEENSG_9not_fun_tINSD_8identityEEEEENSD_19counting_iterator_tIlEES8_S8_S8_S8_S8_S8_S8_S8_EEEEPS9_S9_NSD_9__find_if7functorIS9_EEEE10hipError_tPvRmT1_T2_T3_mT4_P12ihipStream_tbEUlT_E1_NS1_11comp_targetILNS1_3genE8ELNS1_11target_archE1030ELNS1_3gpuE2ELNS1_3repE0EEENS1_30default_config_static_selectorELNS0_4arch9wavefront6targetE1EEEvS14_.private_seg_size, 0
	.set _ZN7rocprim17ROCPRIM_400000_NS6detail17trampoline_kernelINS0_14default_configENS1_22reduce_config_selectorIN6thrust23THRUST_200600_302600_NS5tupleIblNS6_9null_typeES8_S8_S8_S8_S8_S8_S8_EEEEZNS1_11reduce_implILb1ES3_NS6_12zip_iteratorINS7_INS6_11hip_rocprim26transform_input_iterator_tIbNSD_35transform_pair_of_input_iterators_tIbNS6_6detail15normal_iteratorINS6_10device_ptrIKtEEEESL_NS6_8equal_toItEEEENSG_9not_fun_tINSD_8identityEEEEENSD_19counting_iterator_tIlEES8_S8_S8_S8_S8_S8_S8_S8_EEEEPS9_S9_NSD_9__find_if7functorIS9_EEEE10hipError_tPvRmT1_T2_T3_mT4_P12ihipStream_tbEUlT_E1_NS1_11comp_targetILNS1_3genE8ELNS1_11target_archE1030ELNS1_3gpuE2ELNS1_3repE0EEENS1_30default_config_static_selectorELNS0_4arch9wavefront6targetE1EEEvS14_.uses_vcc, 0
	.set _ZN7rocprim17ROCPRIM_400000_NS6detail17trampoline_kernelINS0_14default_configENS1_22reduce_config_selectorIN6thrust23THRUST_200600_302600_NS5tupleIblNS6_9null_typeES8_S8_S8_S8_S8_S8_S8_EEEEZNS1_11reduce_implILb1ES3_NS6_12zip_iteratorINS7_INS6_11hip_rocprim26transform_input_iterator_tIbNSD_35transform_pair_of_input_iterators_tIbNS6_6detail15normal_iteratorINS6_10device_ptrIKtEEEESL_NS6_8equal_toItEEEENSG_9not_fun_tINSD_8identityEEEEENSD_19counting_iterator_tIlEES8_S8_S8_S8_S8_S8_S8_S8_EEEEPS9_S9_NSD_9__find_if7functorIS9_EEEE10hipError_tPvRmT1_T2_T3_mT4_P12ihipStream_tbEUlT_E1_NS1_11comp_targetILNS1_3genE8ELNS1_11target_archE1030ELNS1_3gpuE2ELNS1_3repE0EEENS1_30default_config_static_selectorELNS0_4arch9wavefront6targetE1EEEvS14_.uses_flat_scratch, 0
	.set _ZN7rocprim17ROCPRIM_400000_NS6detail17trampoline_kernelINS0_14default_configENS1_22reduce_config_selectorIN6thrust23THRUST_200600_302600_NS5tupleIblNS6_9null_typeES8_S8_S8_S8_S8_S8_S8_EEEEZNS1_11reduce_implILb1ES3_NS6_12zip_iteratorINS7_INS6_11hip_rocprim26transform_input_iterator_tIbNSD_35transform_pair_of_input_iterators_tIbNS6_6detail15normal_iteratorINS6_10device_ptrIKtEEEESL_NS6_8equal_toItEEEENSG_9not_fun_tINSD_8identityEEEEENSD_19counting_iterator_tIlEES8_S8_S8_S8_S8_S8_S8_S8_EEEEPS9_S9_NSD_9__find_if7functorIS9_EEEE10hipError_tPvRmT1_T2_T3_mT4_P12ihipStream_tbEUlT_E1_NS1_11comp_targetILNS1_3genE8ELNS1_11target_archE1030ELNS1_3gpuE2ELNS1_3repE0EEENS1_30default_config_static_selectorELNS0_4arch9wavefront6targetE1EEEvS14_.has_dyn_sized_stack, 0
	.set _ZN7rocprim17ROCPRIM_400000_NS6detail17trampoline_kernelINS0_14default_configENS1_22reduce_config_selectorIN6thrust23THRUST_200600_302600_NS5tupleIblNS6_9null_typeES8_S8_S8_S8_S8_S8_S8_EEEEZNS1_11reduce_implILb1ES3_NS6_12zip_iteratorINS7_INS6_11hip_rocprim26transform_input_iterator_tIbNSD_35transform_pair_of_input_iterators_tIbNS6_6detail15normal_iteratorINS6_10device_ptrIKtEEEESL_NS6_8equal_toItEEEENSG_9not_fun_tINSD_8identityEEEEENSD_19counting_iterator_tIlEES8_S8_S8_S8_S8_S8_S8_S8_EEEEPS9_S9_NSD_9__find_if7functorIS9_EEEE10hipError_tPvRmT1_T2_T3_mT4_P12ihipStream_tbEUlT_E1_NS1_11comp_targetILNS1_3genE8ELNS1_11target_archE1030ELNS1_3gpuE2ELNS1_3repE0EEENS1_30default_config_static_selectorELNS0_4arch9wavefront6targetE1EEEvS14_.has_recursion, 0
	.set _ZN7rocprim17ROCPRIM_400000_NS6detail17trampoline_kernelINS0_14default_configENS1_22reduce_config_selectorIN6thrust23THRUST_200600_302600_NS5tupleIblNS6_9null_typeES8_S8_S8_S8_S8_S8_S8_EEEEZNS1_11reduce_implILb1ES3_NS6_12zip_iteratorINS7_INS6_11hip_rocprim26transform_input_iterator_tIbNSD_35transform_pair_of_input_iterators_tIbNS6_6detail15normal_iteratorINS6_10device_ptrIKtEEEESL_NS6_8equal_toItEEEENSG_9not_fun_tINSD_8identityEEEEENSD_19counting_iterator_tIlEES8_S8_S8_S8_S8_S8_S8_S8_EEEEPS9_S9_NSD_9__find_if7functorIS9_EEEE10hipError_tPvRmT1_T2_T3_mT4_P12ihipStream_tbEUlT_E1_NS1_11comp_targetILNS1_3genE8ELNS1_11target_archE1030ELNS1_3gpuE2ELNS1_3repE0EEENS1_30default_config_static_selectorELNS0_4arch9wavefront6targetE1EEEvS14_.has_indirect_call, 0
	.section	.AMDGPU.csdata,"",@progbits
; Kernel info:
; codeLenInByte = 0
; TotalNumSgprs: 6
; NumVgprs: 0
; NumAgprs: 0
; TotalNumVgprs: 0
; ScratchSize: 0
; MemoryBound: 0
; FloatMode: 240
; IeeeMode: 1
; LDSByteSize: 0 bytes/workgroup (compile time only)
; SGPRBlocks: 0
; VGPRBlocks: 0
; NumSGPRsForWavesPerEU: 6
; NumVGPRsForWavesPerEU: 1
; AccumOffset: 4
; Occupancy: 8
; WaveLimiterHint : 0
; COMPUTE_PGM_RSRC2:SCRATCH_EN: 0
; COMPUTE_PGM_RSRC2:USER_SGPR: 2
; COMPUTE_PGM_RSRC2:TRAP_HANDLER: 0
; COMPUTE_PGM_RSRC2:TGID_X_EN: 1
; COMPUTE_PGM_RSRC2:TGID_Y_EN: 0
; COMPUTE_PGM_RSRC2:TGID_Z_EN: 0
; COMPUTE_PGM_RSRC2:TIDIG_COMP_CNT: 0
; COMPUTE_PGM_RSRC3_GFX90A:ACCUM_OFFSET: 0
; COMPUTE_PGM_RSRC3_GFX90A:TG_SPLIT: 0
	.section	.text._ZN6thrust23THRUST_200600_302600_NS11hip_rocprim14__parallel_for6kernelILj256ENS1_20__uninitialized_fill7functorINS0_10device_ptrIxEExEEmLj1EEEvT0_T1_SA_,"axG",@progbits,_ZN6thrust23THRUST_200600_302600_NS11hip_rocprim14__parallel_for6kernelILj256ENS1_20__uninitialized_fill7functorINS0_10device_ptrIxEExEEmLj1EEEvT0_T1_SA_,comdat
	.protected	_ZN6thrust23THRUST_200600_302600_NS11hip_rocprim14__parallel_for6kernelILj256ENS1_20__uninitialized_fill7functorINS0_10device_ptrIxEExEEmLj1EEEvT0_T1_SA_ ; -- Begin function _ZN6thrust23THRUST_200600_302600_NS11hip_rocprim14__parallel_for6kernelILj256ENS1_20__uninitialized_fill7functorINS0_10device_ptrIxEExEEmLj1EEEvT0_T1_SA_
	.globl	_ZN6thrust23THRUST_200600_302600_NS11hip_rocprim14__parallel_for6kernelILj256ENS1_20__uninitialized_fill7functorINS0_10device_ptrIxEExEEmLj1EEEvT0_T1_SA_
	.p2align	8
	.type	_ZN6thrust23THRUST_200600_302600_NS11hip_rocprim14__parallel_for6kernelILj256ENS1_20__uninitialized_fill7functorINS0_10device_ptrIxEExEEmLj1EEEvT0_T1_SA_,@function
_ZN6thrust23THRUST_200600_302600_NS11hip_rocprim14__parallel_for6kernelILj256ENS1_20__uninitialized_fill7functorINS0_10device_ptrIxEExEEmLj1EEEvT0_T1_SA_: ; @_ZN6thrust23THRUST_200600_302600_NS11hip_rocprim14__parallel_for6kernelILj256ENS1_20__uninitialized_fill7functorINS0_10device_ptrIxEExEEmLj1EEEvT0_T1_SA_
; %bb.0:
	s_load_dwordx8 s[4:11], s[0:1], 0x0
	s_lshl_b32 s0, s2, 8
	v_mov_b64_e32 v[2:3], 0xff
	s_mov_b64 s[2:3], -1
	s_waitcnt lgkmcnt(0)
	s_add_u32 s0, s10, s0
	s_addc_u32 s1, s11, 0
	s_sub_u32 s8, s8, s0
	s_subb_u32 s9, s9, s1
	v_cmp_gt_u64_e32 vcc, s[8:9], v[2:3]
	s_cbranch_vccz .LBB1046_3
; %bb.1:
	s_andn2_b64 vcc, exec, s[2:3]
	s_cbranch_vccz .LBB1046_6
.LBB1046_2:
	s_endpgm
.LBB1046_3:
	v_cmp_gt_u32_e32 vcc, s8, v0
	s_and_saveexec_b64 s[2:3], vcc
	s_cbranch_execz .LBB1046_5
; %bb.4:
	s_lshl_b64 s[8:9], s[0:1], 3
	s_add_u32 s8, s4, s8
	s_addc_u32 s9, s5, s9
	v_lshlrev_b32_e32 v2, 3, v0
	v_mov_b32_e32 v3, 0
	v_lshl_add_u64 v[2:3], s[8:9], 0, v[2:3]
	v_mov_b64_e32 v[4:5], s[6:7]
	flat_store_dwordx2 v[2:3], v[4:5]
.LBB1046_5:
	s_or_b64 exec, exec, s[2:3]
	s_cbranch_execnz .LBB1046_2
.LBB1046_6:
	s_lshl_b64 s[0:1], s[0:1], 3
	s_add_u32 s0, s4, s0
	s_addc_u32 s1, s5, s1
	v_lshlrev_b32_e32 v0, 3, v0
	v_mov_b32_e32 v1, 0
	v_lshl_add_u64 v[0:1], s[0:1], 0, v[0:1]
	v_mov_b64_e32 v[2:3], s[6:7]
	flat_store_dwordx2 v[0:1], v[2:3]
	s_endpgm
	.section	.rodata,"a",@progbits
	.p2align	6, 0x0
	.amdhsa_kernel _ZN6thrust23THRUST_200600_302600_NS11hip_rocprim14__parallel_for6kernelILj256ENS1_20__uninitialized_fill7functorINS0_10device_ptrIxEExEEmLj1EEEvT0_T1_SA_
		.amdhsa_group_segment_fixed_size 0
		.amdhsa_private_segment_fixed_size 0
		.amdhsa_kernarg_size 32
		.amdhsa_user_sgpr_count 2
		.amdhsa_user_sgpr_dispatch_ptr 0
		.amdhsa_user_sgpr_queue_ptr 0
		.amdhsa_user_sgpr_kernarg_segment_ptr 1
		.amdhsa_user_sgpr_dispatch_id 0
		.amdhsa_user_sgpr_kernarg_preload_length 0
		.amdhsa_user_sgpr_kernarg_preload_offset 0
		.amdhsa_user_sgpr_private_segment_size 0
		.amdhsa_uses_dynamic_stack 0
		.amdhsa_enable_private_segment 0
		.amdhsa_system_sgpr_workgroup_id_x 1
		.amdhsa_system_sgpr_workgroup_id_y 0
		.amdhsa_system_sgpr_workgroup_id_z 0
		.amdhsa_system_sgpr_workgroup_info 0
		.amdhsa_system_vgpr_workitem_id 0
		.amdhsa_next_free_vgpr 6
		.amdhsa_next_free_sgpr 12
		.amdhsa_accum_offset 8
		.amdhsa_reserve_vcc 1
		.amdhsa_float_round_mode_32 0
		.amdhsa_float_round_mode_16_64 0
		.amdhsa_float_denorm_mode_32 3
		.amdhsa_float_denorm_mode_16_64 3
		.amdhsa_dx10_clamp 1
		.amdhsa_ieee_mode 1
		.amdhsa_fp16_overflow 0
		.amdhsa_tg_split 0
		.amdhsa_exception_fp_ieee_invalid_op 0
		.amdhsa_exception_fp_denorm_src 0
		.amdhsa_exception_fp_ieee_div_zero 0
		.amdhsa_exception_fp_ieee_overflow 0
		.amdhsa_exception_fp_ieee_underflow 0
		.amdhsa_exception_fp_ieee_inexact 0
		.amdhsa_exception_int_div_zero 0
	.end_amdhsa_kernel
	.section	.text._ZN6thrust23THRUST_200600_302600_NS11hip_rocprim14__parallel_for6kernelILj256ENS1_20__uninitialized_fill7functorINS0_10device_ptrIxEExEEmLj1EEEvT0_T1_SA_,"axG",@progbits,_ZN6thrust23THRUST_200600_302600_NS11hip_rocprim14__parallel_for6kernelILj256ENS1_20__uninitialized_fill7functorINS0_10device_ptrIxEExEEmLj1EEEvT0_T1_SA_,comdat
.Lfunc_end1046:
	.size	_ZN6thrust23THRUST_200600_302600_NS11hip_rocprim14__parallel_for6kernelILj256ENS1_20__uninitialized_fill7functorINS0_10device_ptrIxEExEEmLj1EEEvT0_T1_SA_, .Lfunc_end1046-_ZN6thrust23THRUST_200600_302600_NS11hip_rocprim14__parallel_for6kernelILj256ENS1_20__uninitialized_fill7functorINS0_10device_ptrIxEExEEmLj1EEEvT0_T1_SA_
                                        ; -- End function
	.set _ZN6thrust23THRUST_200600_302600_NS11hip_rocprim14__parallel_for6kernelILj256ENS1_20__uninitialized_fill7functorINS0_10device_ptrIxEExEEmLj1EEEvT0_T1_SA_.num_vgpr, 6
	.set _ZN6thrust23THRUST_200600_302600_NS11hip_rocprim14__parallel_for6kernelILj256ENS1_20__uninitialized_fill7functorINS0_10device_ptrIxEExEEmLj1EEEvT0_T1_SA_.num_agpr, 0
	.set _ZN6thrust23THRUST_200600_302600_NS11hip_rocprim14__parallel_for6kernelILj256ENS1_20__uninitialized_fill7functorINS0_10device_ptrIxEExEEmLj1EEEvT0_T1_SA_.numbered_sgpr, 12
	.set _ZN6thrust23THRUST_200600_302600_NS11hip_rocprim14__parallel_for6kernelILj256ENS1_20__uninitialized_fill7functorINS0_10device_ptrIxEExEEmLj1EEEvT0_T1_SA_.num_named_barrier, 0
	.set _ZN6thrust23THRUST_200600_302600_NS11hip_rocprim14__parallel_for6kernelILj256ENS1_20__uninitialized_fill7functorINS0_10device_ptrIxEExEEmLj1EEEvT0_T1_SA_.private_seg_size, 0
	.set _ZN6thrust23THRUST_200600_302600_NS11hip_rocprim14__parallel_for6kernelILj256ENS1_20__uninitialized_fill7functorINS0_10device_ptrIxEExEEmLj1EEEvT0_T1_SA_.uses_vcc, 1
	.set _ZN6thrust23THRUST_200600_302600_NS11hip_rocprim14__parallel_for6kernelILj256ENS1_20__uninitialized_fill7functorINS0_10device_ptrIxEExEEmLj1EEEvT0_T1_SA_.uses_flat_scratch, 0
	.set _ZN6thrust23THRUST_200600_302600_NS11hip_rocprim14__parallel_for6kernelILj256ENS1_20__uninitialized_fill7functorINS0_10device_ptrIxEExEEmLj1EEEvT0_T1_SA_.has_dyn_sized_stack, 0
	.set _ZN6thrust23THRUST_200600_302600_NS11hip_rocprim14__parallel_for6kernelILj256ENS1_20__uninitialized_fill7functorINS0_10device_ptrIxEExEEmLj1EEEvT0_T1_SA_.has_recursion, 0
	.set _ZN6thrust23THRUST_200600_302600_NS11hip_rocprim14__parallel_for6kernelILj256ENS1_20__uninitialized_fill7functorINS0_10device_ptrIxEExEEmLj1EEEvT0_T1_SA_.has_indirect_call, 0
	.section	.AMDGPU.csdata,"",@progbits
; Kernel info:
; codeLenInByte = 168
; TotalNumSgprs: 18
; NumVgprs: 6
; NumAgprs: 0
; TotalNumVgprs: 6
; ScratchSize: 0
; MemoryBound: 0
; FloatMode: 240
; IeeeMode: 1
; LDSByteSize: 0 bytes/workgroup (compile time only)
; SGPRBlocks: 2
; VGPRBlocks: 0
; NumSGPRsForWavesPerEU: 18
; NumVGPRsForWavesPerEU: 6
; AccumOffset: 8
; Occupancy: 8
; WaveLimiterHint : 0
; COMPUTE_PGM_RSRC2:SCRATCH_EN: 0
; COMPUTE_PGM_RSRC2:USER_SGPR: 2
; COMPUTE_PGM_RSRC2:TRAP_HANDLER: 0
; COMPUTE_PGM_RSRC2:TGID_X_EN: 1
; COMPUTE_PGM_RSRC2:TGID_Y_EN: 0
; COMPUTE_PGM_RSRC2:TGID_Z_EN: 0
; COMPUTE_PGM_RSRC2:TIDIG_COMP_CNT: 0
; COMPUTE_PGM_RSRC3_GFX90A:ACCUM_OFFSET: 1
; COMPUTE_PGM_RSRC3_GFX90A:TG_SPLIT: 0
	.section	.text._ZN7rocprim17ROCPRIM_400000_NS6detail17trampoline_kernelINS0_13kernel_configILj256ELj4ELj4294967295EEENS1_37radix_sort_block_sort_config_selectorIxxEEZNS1_21radix_sort_block_sortIS4_Lb0EN6thrust23THRUST_200600_302600_NS6detail15normal_iteratorINS9_10device_ptrIxEEEESE_SE_SE_NS0_19identity_decomposerEEE10hipError_tT1_T2_T3_T4_jRjT5_jjP12ihipStream_tbEUlT_E_NS1_11comp_targetILNS1_3genE0ELNS1_11target_archE4294967295ELNS1_3gpuE0ELNS1_3repE0EEENS1_44radix_sort_block_sort_config_static_selectorELNS0_4arch9wavefront6targetE1EEEvSH_,"axG",@progbits,_ZN7rocprim17ROCPRIM_400000_NS6detail17trampoline_kernelINS0_13kernel_configILj256ELj4ELj4294967295EEENS1_37radix_sort_block_sort_config_selectorIxxEEZNS1_21radix_sort_block_sortIS4_Lb0EN6thrust23THRUST_200600_302600_NS6detail15normal_iteratorINS9_10device_ptrIxEEEESE_SE_SE_NS0_19identity_decomposerEEE10hipError_tT1_T2_T3_T4_jRjT5_jjP12ihipStream_tbEUlT_E_NS1_11comp_targetILNS1_3genE0ELNS1_11target_archE4294967295ELNS1_3gpuE0ELNS1_3repE0EEENS1_44radix_sort_block_sort_config_static_selectorELNS0_4arch9wavefront6targetE1EEEvSH_,comdat
	.protected	_ZN7rocprim17ROCPRIM_400000_NS6detail17trampoline_kernelINS0_13kernel_configILj256ELj4ELj4294967295EEENS1_37radix_sort_block_sort_config_selectorIxxEEZNS1_21radix_sort_block_sortIS4_Lb0EN6thrust23THRUST_200600_302600_NS6detail15normal_iteratorINS9_10device_ptrIxEEEESE_SE_SE_NS0_19identity_decomposerEEE10hipError_tT1_T2_T3_T4_jRjT5_jjP12ihipStream_tbEUlT_E_NS1_11comp_targetILNS1_3genE0ELNS1_11target_archE4294967295ELNS1_3gpuE0ELNS1_3repE0EEENS1_44radix_sort_block_sort_config_static_selectorELNS0_4arch9wavefront6targetE1EEEvSH_ ; -- Begin function _ZN7rocprim17ROCPRIM_400000_NS6detail17trampoline_kernelINS0_13kernel_configILj256ELj4ELj4294967295EEENS1_37radix_sort_block_sort_config_selectorIxxEEZNS1_21radix_sort_block_sortIS4_Lb0EN6thrust23THRUST_200600_302600_NS6detail15normal_iteratorINS9_10device_ptrIxEEEESE_SE_SE_NS0_19identity_decomposerEEE10hipError_tT1_T2_T3_T4_jRjT5_jjP12ihipStream_tbEUlT_E_NS1_11comp_targetILNS1_3genE0ELNS1_11target_archE4294967295ELNS1_3gpuE0ELNS1_3repE0EEENS1_44radix_sort_block_sort_config_static_selectorELNS0_4arch9wavefront6targetE1EEEvSH_
	.globl	_ZN7rocprim17ROCPRIM_400000_NS6detail17trampoline_kernelINS0_13kernel_configILj256ELj4ELj4294967295EEENS1_37radix_sort_block_sort_config_selectorIxxEEZNS1_21radix_sort_block_sortIS4_Lb0EN6thrust23THRUST_200600_302600_NS6detail15normal_iteratorINS9_10device_ptrIxEEEESE_SE_SE_NS0_19identity_decomposerEEE10hipError_tT1_T2_T3_T4_jRjT5_jjP12ihipStream_tbEUlT_E_NS1_11comp_targetILNS1_3genE0ELNS1_11target_archE4294967295ELNS1_3gpuE0ELNS1_3repE0EEENS1_44radix_sort_block_sort_config_static_selectorELNS0_4arch9wavefront6targetE1EEEvSH_
	.p2align	8
	.type	_ZN7rocprim17ROCPRIM_400000_NS6detail17trampoline_kernelINS0_13kernel_configILj256ELj4ELj4294967295EEENS1_37radix_sort_block_sort_config_selectorIxxEEZNS1_21radix_sort_block_sortIS4_Lb0EN6thrust23THRUST_200600_302600_NS6detail15normal_iteratorINS9_10device_ptrIxEEEESE_SE_SE_NS0_19identity_decomposerEEE10hipError_tT1_T2_T3_T4_jRjT5_jjP12ihipStream_tbEUlT_E_NS1_11comp_targetILNS1_3genE0ELNS1_11target_archE4294967295ELNS1_3gpuE0ELNS1_3repE0EEENS1_44radix_sort_block_sort_config_static_selectorELNS0_4arch9wavefront6targetE1EEEvSH_,@function
_ZN7rocprim17ROCPRIM_400000_NS6detail17trampoline_kernelINS0_13kernel_configILj256ELj4ELj4294967295EEENS1_37radix_sort_block_sort_config_selectorIxxEEZNS1_21radix_sort_block_sortIS4_Lb0EN6thrust23THRUST_200600_302600_NS6detail15normal_iteratorINS9_10device_ptrIxEEEESE_SE_SE_NS0_19identity_decomposerEEE10hipError_tT1_T2_T3_T4_jRjT5_jjP12ihipStream_tbEUlT_E_NS1_11comp_targetILNS1_3genE0ELNS1_11target_archE4294967295ELNS1_3gpuE0ELNS1_3repE0EEENS1_44radix_sort_block_sort_config_static_selectorELNS0_4arch9wavefront6targetE1EEEvSH_: ; @_ZN7rocprim17ROCPRIM_400000_NS6detail17trampoline_kernelINS0_13kernel_configILj256ELj4ELj4294967295EEENS1_37radix_sort_block_sort_config_selectorIxxEEZNS1_21radix_sort_block_sortIS4_Lb0EN6thrust23THRUST_200600_302600_NS6detail15normal_iteratorINS9_10device_ptrIxEEEESE_SE_SE_NS0_19identity_decomposerEEE10hipError_tT1_T2_T3_T4_jRjT5_jjP12ihipStream_tbEUlT_E_NS1_11comp_targetILNS1_3genE0ELNS1_11target_archE4294967295ELNS1_3gpuE0ELNS1_3repE0EEENS1_44radix_sort_block_sort_config_static_selectorELNS0_4arch9wavefront6targetE1EEEvSH_
; %bb.0:
	s_load_dword s8, s[0:1], 0x20
	s_load_dwordx8 s[36:43], s[0:1], 0x0
	s_lshl_b32 s4, s2, 10
	s_mov_b32 s5, 0
	v_mbcnt_lo_u32_b32 v1, -1, 0
	s_waitcnt lgkmcnt(0)
	s_lshr_b32 s3, s8, 10
	s_cmp_lg_u32 s2, s3
	v_and_b32_e32 v16, 0x3ff, v0
	s_cselect_b64 s[30:31], -1, 0
	s_lshl_b64 s[28:29], s[4:5], 3
	v_mbcnt_hi_u32_b32 v18, -1, v1
	s_add_u32 s6, s36, s28
	v_and_b32_e32 v1, 63, v18
	v_lshlrev_b32_e32 v2, 2, v16
	s_addc_u32 s7, s37, s29
	v_and_b32_e32 v17, 0x300, v2
	v_mov_b32_e32 v13, 0
	v_lshlrev_b32_e32 v12, 3, v1
	v_lshl_add_u64 v[2:3], s[6:7], 0, v[12:13]
	v_lshlrev_b32_e32 v10, 3, v17
	v_mov_b32_e32 v11, v13
	s_cmp_eq_u32 s2, s3
	v_lshl_add_u64 v[14:15], v[2:3], 0, v[10:11]
	s_cbranch_scc1 .LBB1047_2
; %bb.1:
	s_add_u32 s2, s40, s28
	s_addc_u32 s3, s41, s29
	v_lshl_add_u64 v[20:21], s[2:3], 0, v[12:13]
	global_load_dwordx2 v[2:3], v[14:15], off
	global_load_dwordx2 v[4:5], v[14:15], off offset:512
	global_load_dwordx2 v[6:7], v[14:15], off offset:1024
	;; [unrolled: 1-line block ×3, first 2 shown]
	v_lshl_add_u64 v[20:21], v[20:21], 0, v[10:11]
	global_load_dwordx2 v[42:43], v[20:21], off
	global_load_dwordx2 v[44:45], v[20:21], off offset:512
	global_load_dwordx2 v[46:47], v[20:21], off offset:1024
	s_mov_b64 s[6:7], -1
	s_load_dwordx2 s[34:35], s[0:1], 0x28
	s_sub_i32 s33, s8, s4
	s_cbranch_execz .LBB1047_3
	s_branch .LBB1047_16
.LBB1047_2:
	s_mov_b64 s[6:7], 0
                                        ; implicit-def: $vgpr2_vgpr3_vgpr4_vgpr5_vgpr6_vgpr7_vgpr8_vgpr9
                                        ; implicit-def: $vgpr42_vgpr43
                                        ; implicit-def: $vgpr46_vgpr47
	s_load_dwordx2 s[34:35], s[0:1], 0x28
	s_sub_i32 s33, s8, s4
.LBB1047_3:
	v_or_b32_e32 v11, v1, v17
	s_waitcnt vmcnt(6)
	v_mov_b32_e32 v2, -1
	v_bfrev_b32_e32 v3, -2
	v_cmp_gt_u32_e32 vcc, s33, v11
	s_waitcnt vmcnt(5)
	v_mov_b32_e32 v4, v2
	v_mov_b32_e32 v5, v3
	s_waitcnt vmcnt(4)
	v_mov_b32_e32 v6, v2
	v_mov_b32_e32 v7, v3
	;; [unrolled: 3-line block ×3, first 2 shown]
	s_and_saveexec_b64 s[2:3], vcc
	s_cbranch_execz .LBB1047_5
; %bb.4:
	global_load_dwordx2 v[20:21], v[14:15], off
	v_mov_b32_e32 v22, v2
	v_mov_b32_e32 v23, v3
	;; [unrolled: 1-line block ×6, first 2 shown]
	s_waitcnt vmcnt(0)
	v_mov_b64_e32 v[2:3], v[20:21]
	v_mov_b64_e32 v[4:5], v[22:23]
	;; [unrolled: 1-line block ×4, first 2 shown]
.LBB1047_5:
	s_or_b64 exec, exec, s[2:3]
	v_or_b32_e32 v13, 64, v11
	v_cmp_gt_u32_e64 s[2:3], s33, v13
	s_and_saveexec_b64 s[4:5], s[2:3]
	s_cbranch_execz .LBB1047_7
; %bb.6:
	global_load_dwordx2 v[4:5], v[14:15], off offset:512
.LBB1047_7:
	s_or_b64 exec, exec, s[4:5]
	v_or_b32_e32 v13, 0x80, v11
	v_cmp_gt_u32_e64 s[4:5], s33, v13
	s_and_saveexec_b64 s[6:7], s[4:5]
	s_cbranch_execz .LBB1047_9
; %bb.8:
	global_load_dwordx2 v[6:7], v[14:15], off offset:1024
.LBB1047_9:
	;; [unrolled: 8-line block ×3, first 2 shown]
	s_or_b64 exec, exec, s[8:9]
	s_add_u32 s8, s40, s28
	s_addc_u32 s9, s41, s29
	v_mov_b32_e32 v13, 0
	v_lshl_add_u64 v[14:15], s[8:9], 0, v[12:13]
	v_mov_b32_e32 v11, v13
	v_lshl_add_u64 v[14:15], v[14:15], 0, v[10:11]
                                        ; implicit-def: $vgpr42_vgpr43
	s_and_saveexec_b64 s[8:9], vcc
	s_cbranch_execnz .LBB1047_55
; %bb.12:
	s_or_b64 exec, exec, s[8:9]
	s_and_saveexec_b64 s[8:9], s[2:3]
	s_cbranch_execnz .LBB1047_56
.LBB1047_13:
	s_or_b64 exec, exec, s[8:9]
                                        ; implicit-def: $vgpr46_vgpr47
	s_and_saveexec_b64 s[2:3], s[4:5]
	s_cbranch_execz .LBB1047_15
.LBB1047_14:
	global_load_dwordx2 v[46:47], v[14:15], off offset:1024
.LBB1047_15:
	s_or_b64 exec, exec, s[2:3]
.LBB1047_16:
	s_and_saveexec_b64 s[2:3], s[6:7]
	s_cbranch_execz .LBB1047_18
; %bb.17:
	s_add_u32 s4, s40, s28
	s_addc_u32 s5, s41, s29
	v_mov_b32_e32 v13, 0
	v_lshl_add_u64 v[14:15], s[4:5], 0, v[12:13]
	v_mov_b32_e32 v11, v13
	v_lshl_add_u64 v[12:13], v[14:15], 0, v[10:11]
	global_load_dwordx2 v[48:49], v[12:13], off offset:1536
.LBB1047_18:
	s_or_b64 exec, exec, s[2:3]
	s_load_dword s2, s[0:1], 0x3c
	s_waitcnt lgkmcnt(0)
	s_add_i32 s36, s35, s34
	s_getpc_b64 s[0:1]
	s_add_u32 s0, s0, _ZN7rocprim17ROCPRIM_400000_NS16block_radix_sortIxLj256ELj4ExLj1ELj1ELj0ELNS0_26block_radix_rank_algorithmE1ELNS0_18block_padding_hintE2ELNS0_4arch9wavefront6targetE1EE19radix_bits_per_passE@rel32@lo+4
	s_addc_u32 s1, s1, _ZN7rocprim17ROCPRIM_400000_NS16block_radix_sortIxLj256ELj4ExLj1ELj1ELj0ELNS0_26block_radix_rank_algorithmE1ELNS0_18block_padding_hintE2ELNS0_4arch9wavefront6targetE1EE19radix_bits_per_passE@rel32@hi+12
	s_load_dword s37, s[0:1], 0x0
	v_bfe_u32 v11, v0, 10, 10
	s_lshr_b32 s0, s2, 16
	v_bfe_u32 v0, v0, 20, 10
	s_and_b32 s1, s2, 0xffff
	v_mad_u32_u24 v0, v0, s0, v11
	v_mad_u64_u32 v[12:13], s[0:1], v0, s1, v[16:17]
	v_lshrrev_b32_e32 v0, 4, v12
	v_and_b32_e32 v34, 0xffffffc, v0
	v_and_b32_e32 v0, 15, v18
	v_cmp_eq_u32_e64 s[0:1], 0, v0
	v_cmp_lt_u32_e64 s[2:3], 1, v0
	v_cmp_lt_u32_e64 s[4:5], 3, v0
	;; [unrolled: 1-line block ×3, first 2 shown]
	v_and_b32_e32 v0, 16, v18
	v_cmp_eq_u32_e64 s[8:9], 0, v0
	v_and_b32_e32 v0, 0x3c0, v16
	v_min_u32_e32 v0, 0xc0, v0
	v_or_b32_e32 v0, 63, v0
	v_cmp_eq_u32_e64 s[12:13], v16, v0
	v_subrev_co_u32_e64 v0, s[18:19], 1, v18
	v_and_b32_e32 v11, 64, v18
	v_cmp_lt_i32_e32 vcc, v0, v11
	s_mov_b32 s26, 0
	v_lshlrev_b32_e32 v17, 4, v16
	v_cndmask_b32_e32 v0, v0, v18, vcc
	v_lshlrev_b32_e32 v35, 2, v0
	v_lshrrev_b32_e32 v0, 4, v16
	v_and_b32_e32 v36, 60, v0
	v_mul_i32_i24_e32 v0, -12, v16
	v_and_b32_e32 v11, 3, v18
	s_mov_b32 s27, s26
	s_mov_b32 s40, s26
	;; [unrolled: 1-line block ×3, first 2 shown]
	s_waitcnt vmcnt(6)
	v_xor_b32_e32 v3, 0x80000000, v3
	s_waitcnt vmcnt(0)
	v_xor_b32_e32 v5, 0x80000000, v5
	v_xor_b32_e32 v7, 0x80000000, v7
	;; [unrolled: 1-line block ×3, first 2 shown]
	v_cmp_lt_u32_e64 s[10:11], 31, v18
	v_cmp_gt_u32_e64 s[14:15], 4, v16
	v_cmp_lt_u32_e64 s[16:17], 63, v16
	v_cmp_eq_u32_e64 s[20:21], 0, v16
	v_cmp_eq_u32_e64 s[22:23], 0, v11
	v_cmp_lt_u32_e64 s[24:25], 1, v11
	v_add_u32_e32 v37, -4, v36
	v_lshl_add_u32 v38, v1, 3, v10
	v_mov_b64_e32 v[10:11], s[26:27]
	v_mov_b64_e32 v[12:13], s[40:41]
	v_mov_b32_e32 v15, 0
	v_add_u32_e32 v39, v17, v0
	s_branch .LBB1047_20
.LBB1047_19:                            ;   in Loop: Header=BB1047_20 Depth=1
	s_andn2_b64 vcc, exec, s[26:27]
	s_cbranch_vccz .LBB1047_36
.LBB1047_20:                            ; =>This Inner Loop Header: Depth=1
	v_mov_b64_e32 v[32:33], v[2:3]
	s_waitcnt lgkmcnt(0)
	s_min_u32 s26, s37, s35
	s_lshl_b32 s40, -1, s26
	v_lshrrev_b64 v[0:1], s34, v[32:33]
	v_bitop3_b32 v2, v0, s40, v0 bitop3:0x30
	v_and_b32_e32 v14, 1, v2
	v_lshl_add_u64 v[0:1], v[14:15], 0, -1
	v_cmp_ne_u32_e32 vcc, 0, v14
	v_mov_b64_e32 v[30:31], v[4:5]
	v_lshlrev_b32_e32 v3, 4, v2
	v_xor_b32_e32 v1, vcc_hi, v1
	v_xor_b32_e32 v0, vcc_lo, v0
	v_and_b32_e32 v4, exec_hi, v1
	v_and_b32_e32 v5, exec_lo, v0
	v_lshlrev_b32_e32 v1, 30, v2
	v_mov_b32_e32 v0, v15
	v_cmp_gt_i64_e32 vcc, 0, v[0:1]
	v_not_b32_e32 v0, v1
	v_ashrrev_i32_e32 v0, 31, v0
	v_xor_b32_e32 v1, vcc_hi, v0
	v_xor_b32_e32 v0, vcc_lo, v0
	v_and_b32_e32 v4, v4, v1
	v_and_b32_e32 v5, v5, v0
	v_lshlrev_b32_e32 v1, 29, v2
	v_mov_b32_e32 v0, v15
	v_cmp_gt_i64_e32 vcc, 0, v[0:1]
	v_not_b32_e32 v0, v1
	v_ashrrev_i32_e32 v0, 31, v0
	v_xor_b32_e32 v1, vcc_hi, v0
	v_xor_b32_e32 v0, vcc_lo, v0
	v_and_b32_e32 v4, v4, v1
	v_and_b32_e32 v5, v5, v0
	;; [unrolled: 9-line block ×7, first 2 shown]
	v_mbcnt_lo_u32_b32 v2, v0, 0
	v_mbcnt_hi_u32_b32 v4, v1, v2
	v_cmp_eq_u32_e32 vcc, 0, v4
	v_cmp_ne_u64_e64 s[26:27], 0, v[0:1]
	v_mov_b64_e32 v[26:27], v[8:9]
	v_mov_b64_e32 v[28:29], v[6:7]
	;; [unrolled: 1-line block ×6, first 2 shown]
	s_and_b64 s[44:45], s[26:27], vcc
	v_add_u32_e32 v5, v34, v3
	ds_write2_b64 v17, v[10:11], v[12:13] offset0:2 offset1:3
	s_waitcnt lgkmcnt(0)
	s_barrier
	; wave barrier
	s_and_saveexec_b64 s[26:27], s[44:45]
; %bb.21:                               ;   in Loop: Header=BB1047_20 Depth=1
	v_bcnt_u32_b32 v0, v0, 0
	v_bcnt_u32_b32 v0, v1, v0
	ds_write_b32 v5, v0 offset:16
; %bb.22:                               ;   in Loop: Header=BB1047_20 Depth=1
	s_or_b64 exec, exec, s[26:27]
	s_not_b32 s40, s40
	v_lshrrev_b64 v[0:1], s34, v[30:31]
	v_and_b32_e32 v2, s40, v0
	v_lshlrev_b32_e32 v0, 4, v2
	v_and_b32_e32 v14, 1, v2
	v_add_u32_e32 v7, v34, v0
	v_lshl_add_u64 v[0:1], v[14:15], 0, -1
	v_cmp_ne_u32_e32 vcc, 0, v14
	; wave barrier
	s_nop 1
	v_xor_b32_e32 v1, vcc_hi, v1
	v_xor_b32_e32 v0, vcc_lo, v0
	v_and_b32_e32 v3, exec_hi, v1
	v_and_b32_e32 v8, exec_lo, v0
	v_lshlrev_b32_e32 v1, 30, v2
	v_mov_b32_e32 v0, v15
	v_cmp_gt_i64_e32 vcc, 0, v[0:1]
	v_not_b32_e32 v0, v1
	v_ashrrev_i32_e32 v0, 31, v0
	v_xor_b32_e32 v1, vcc_hi, v0
	v_xor_b32_e32 v0, vcc_lo, v0
	v_and_b32_e32 v3, v3, v1
	v_and_b32_e32 v8, v8, v0
	v_lshlrev_b32_e32 v1, 29, v2
	v_mov_b32_e32 v0, v15
	v_cmp_gt_i64_e32 vcc, 0, v[0:1]
	v_not_b32_e32 v0, v1
	v_ashrrev_i32_e32 v0, 31, v0
	v_xor_b32_e32 v1, vcc_hi, v0
	v_xor_b32_e32 v0, vcc_lo, v0
	v_and_b32_e32 v3, v3, v1
	v_and_b32_e32 v8, v8, v0
	v_lshlrev_b32_e32 v1, 28, v2
	v_mov_b32_e32 v0, v15
	v_cmp_gt_i64_e32 vcc, 0, v[0:1]
	v_not_b32_e32 v0, v1
	v_ashrrev_i32_e32 v0, 31, v0
	v_xor_b32_e32 v1, vcc_hi, v0
	v_xor_b32_e32 v0, vcc_lo, v0
	v_and_b32_e32 v3, v3, v1
	v_and_b32_e32 v8, v8, v0
	v_lshlrev_b32_e32 v1, 27, v2
	v_mov_b32_e32 v0, v15
	v_cmp_gt_i64_e32 vcc, 0, v[0:1]
	v_not_b32_e32 v0, v1
	v_ashrrev_i32_e32 v0, 31, v0
	v_xor_b32_e32 v1, vcc_hi, v0
	v_xor_b32_e32 v0, vcc_lo, v0
	v_and_b32_e32 v3, v3, v1
	v_and_b32_e32 v8, v8, v0
	v_lshlrev_b32_e32 v1, 26, v2
	v_mov_b32_e32 v0, v15
	v_cmp_gt_i64_e32 vcc, 0, v[0:1]
	v_not_b32_e32 v0, v1
	v_ashrrev_i32_e32 v0, 31, v0
	v_xor_b32_e32 v1, vcc_hi, v0
	v_xor_b32_e32 v0, vcc_lo, v0
	v_and_b32_e32 v3, v3, v1
	v_and_b32_e32 v8, v8, v0
	v_lshlrev_b32_e32 v1, 25, v2
	v_mov_b32_e32 v0, v15
	v_cmp_gt_i64_e32 vcc, 0, v[0:1]
	v_not_b32_e32 v0, v1
	v_ashrrev_i32_e32 v0, 31, v0
	v_xor_b32_e32 v1, vcc_hi, v0
	v_xor_b32_e32 v0, vcc_lo, v0
	v_and_b32_e32 v3, v3, v1
	v_and_b32_e32 v8, v8, v0
	v_lshlrev_b32_e32 v1, 24, v2
	v_mov_b32_e32 v0, v15
	v_cmp_gt_i64_e32 vcc, 0, v[0:1]
	v_not_b32_e32 v0, v1
	v_ashrrev_i32_e32 v0, 31, v0
	v_xor_b32_e32 v1, vcc_hi, v0
	v_xor_b32_e32 v0, vcc_lo, v0
	ds_read_b32 v6, v7 offset:16
	v_and_b32_e32 v0, v8, v0
	v_and_b32_e32 v1, v3, v1
	v_mbcnt_lo_u32_b32 v2, v0, 0
	v_mbcnt_hi_u32_b32 v8, v1, v2
	v_cmp_eq_u32_e32 vcc, 0, v8
	v_cmp_ne_u64_e64 s[26:27], 0, v[0:1]
	s_and_b64 s[44:45], s[26:27], vcc
	; wave barrier
	s_and_saveexec_b64 s[26:27], s[44:45]
	s_cbranch_execz .LBB1047_24
; %bb.23:                               ;   in Loop: Header=BB1047_20 Depth=1
	v_bcnt_u32_b32 v0, v0, 0
	v_bcnt_u32_b32 v0, v1, v0
	s_waitcnt lgkmcnt(0)
	v_add_u32_e32 v0, v6, v0
	ds_write_b32 v7, v0 offset:16
.LBB1047_24:                            ;   in Loop: Header=BB1047_20 Depth=1
	s_or_b64 exec, exec, s[26:27]
	v_lshrrev_b64 v[0:1], s34, v[28:29]
	v_and_b32_e32 v2, s40, v0
	v_lshlrev_b32_e32 v0, 4, v2
	v_and_b32_e32 v14, 1, v2
	v_add_u32_e32 v40, v34, v0
	v_lshl_add_u64 v[0:1], v[14:15], 0, -1
	v_cmp_ne_u32_e32 vcc, 0, v14
	; wave barrier
	s_nop 1
	v_xor_b32_e32 v1, vcc_hi, v1
	v_xor_b32_e32 v0, vcc_lo, v0
	v_and_b32_e32 v3, exec_hi, v1
	v_and_b32_e32 v14, exec_lo, v0
	v_lshlrev_b32_e32 v1, 30, v2
	v_mov_b32_e32 v0, v15
	v_cmp_gt_i64_e32 vcc, 0, v[0:1]
	v_not_b32_e32 v0, v1
	v_ashrrev_i32_e32 v0, 31, v0
	v_xor_b32_e32 v1, vcc_hi, v0
	v_xor_b32_e32 v0, vcc_lo, v0
	v_and_b32_e32 v3, v3, v1
	v_and_b32_e32 v14, v14, v0
	v_lshlrev_b32_e32 v1, 29, v2
	v_mov_b32_e32 v0, v15
	v_cmp_gt_i64_e32 vcc, 0, v[0:1]
	v_not_b32_e32 v0, v1
	v_ashrrev_i32_e32 v0, 31, v0
	v_xor_b32_e32 v1, vcc_hi, v0
	v_xor_b32_e32 v0, vcc_lo, v0
	v_and_b32_e32 v3, v3, v1
	v_and_b32_e32 v14, v14, v0
	;; [unrolled: 9-line block ×6, first 2 shown]
	v_lshlrev_b32_e32 v1, 24, v2
	v_mov_b32_e32 v0, v15
	v_cmp_gt_i64_e32 vcc, 0, v[0:1]
	v_not_b32_e32 v0, v1
	v_ashrrev_i32_e32 v0, 31, v0
	v_xor_b32_e32 v1, vcc_hi, v0
	v_xor_b32_e32 v0, vcc_lo, v0
	ds_read_b32 v9, v40 offset:16
	v_and_b32_e32 v0, v14, v0
	v_and_b32_e32 v1, v3, v1
	v_mbcnt_lo_u32_b32 v2, v0, 0
	v_mbcnt_hi_u32_b32 v41, v1, v2
	v_cmp_eq_u32_e32 vcc, 0, v41
	v_cmp_ne_u64_e64 s[26:27], 0, v[0:1]
	s_and_b64 s[44:45], s[26:27], vcc
	; wave barrier
	s_and_saveexec_b64 s[26:27], s[44:45]
	s_cbranch_execz .LBB1047_26
; %bb.25:                               ;   in Loop: Header=BB1047_20 Depth=1
	v_bcnt_u32_b32 v0, v0, 0
	v_bcnt_u32_b32 v0, v1, v0
	s_waitcnt lgkmcnt(0)
	v_add_u32_e32 v0, v9, v0
	ds_write_b32 v40, v0 offset:16
.LBB1047_26:                            ;   in Loop: Header=BB1047_20 Depth=1
	s_or_b64 exec, exec, s[26:27]
	v_lshrrev_b64 v[0:1], s34, v[26:27]
	v_and_b32_e32 v2, s40, v0
	v_lshlrev_b32_e32 v0, 4, v2
	v_and_b32_e32 v14, 1, v2
	v_add_u32_e32 v43, v34, v0
	v_lshl_add_u64 v[0:1], v[14:15], 0, -1
	v_cmp_ne_u32_e32 vcc, 0, v14
	; wave barrier
	s_nop 1
	v_xor_b32_e32 v1, vcc_hi, v1
	v_xor_b32_e32 v0, vcc_lo, v0
	v_and_b32_e32 v3, exec_hi, v1
	v_and_b32_e32 v14, exec_lo, v0
	v_lshlrev_b32_e32 v1, 30, v2
	v_mov_b32_e32 v0, v15
	v_cmp_gt_i64_e32 vcc, 0, v[0:1]
	v_not_b32_e32 v0, v1
	v_ashrrev_i32_e32 v0, 31, v0
	v_xor_b32_e32 v1, vcc_hi, v0
	v_xor_b32_e32 v0, vcc_lo, v0
	v_and_b32_e32 v3, v3, v1
	v_and_b32_e32 v14, v14, v0
	v_lshlrev_b32_e32 v1, 29, v2
	v_mov_b32_e32 v0, v15
	v_cmp_gt_i64_e32 vcc, 0, v[0:1]
	v_not_b32_e32 v0, v1
	v_ashrrev_i32_e32 v0, 31, v0
	v_xor_b32_e32 v1, vcc_hi, v0
	v_xor_b32_e32 v0, vcc_lo, v0
	v_and_b32_e32 v3, v3, v1
	v_and_b32_e32 v14, v14, v0
	v_lshlrev_b32_e32 v1, 28, v2
	v_mov_b32_e32 v0, v15
	v_cmp_gt_i64_e32 vcc, 0, v[0:1]
	v_not_b32_e32 v0, v1
	v_ashrrev_i32_e32 v0, 31, v0
	v_xor_b32_e32 v1, vcc_hi, v0
	v_xor_b32_e32 v0, vcc_lo, v0
	v_and_b32_e32 v3, v3, v1
	v_and_b32_e32 v14, v14, v0
	v_lshlrev_b32_e32 v1, 27, v2
	v_mov_b32_e32 v0, v15
	v_cmp_gt_i64_e32 vcc, 0, v[0:1]
	v_not_b32_e32 v0, v1
	v_ashrrev_i32_e32 v0, 31, v0
	v_xor_b32_e32 v1, vcc_hi, v0
	v_xor_b32_e32 v0, vcc_lo, v0
	v_and_b32_e32 v3, v3, v1
	v_and_b32_e32 v14, v14, v0
	v_lshlrev_b32_e32 v1, 26, v2
	v_mov_b32_e32 v0, v15
	v_cmp_gt_i64_e32 vcc, 0, v[0:1]
	v_not_b32_e32 v0, v1
	v_ashrrev_i32_e32 v0, 31, v0
	v_xor_b32_e32 v1, vcc_hi, v0
	v_xor_b32_e32 v0, vcc_lo, v0
	v_and_b32_e32 v3, v3, v1
	v_and_b32_e32 v14, v14, v0
	v_lshlrev_b32_e32 v1, 25, v2
	v_mov_b32_e32 v0, v15
	v_cmp_gt_i64_e32 vcc, 0, v[0:1]
	v_not_b32_e32 v0, v1
	v_ashrrev_i32_e32 v0, 31, v0
	v_xor_b32_e32 v1, vcc_hi, v0
	v_xor_b32_e32 v0, vcc_lo, v0
	v_and_b32_e32 v3, v3, v1
	v_and_b32_e32 v14, v14, v0
	v_lshlrev_b32_e32 v1, 24, v2
	v_mov_b32_e32 v0, v15
	v_cmp_gt_i64_e32 vcc, 0, v[0:1]
	v_not_b32_e32 v0, v1
	v_ashrrev_i32_e32 v0, 31, v0
	v_xor_b32_e32 v1, vcc_hi, v0
	v_xor_b32_e32 v0, vcc_lo, v0
	ds_read_b32 v42, v43 offset:16
	v_and_b32_e32 v0, v14, v0
	v_and_b32_e32 v1, v3, v1
	v_mbcnt_lo_u32_b32 v2, v0, 0
	v_mbcnt_hi_u32_b32 v14, v1, v2
	v_cmp_eq_u32_e32 vcc, 0, v14
	v_cmp_ne_u64_e64 s[26:27], 0, v[0:1]
	s_and_b64 s[40:41], s[26:27], vcc
	; wave barrier
	s_and_saveexec_b64 s[26:27], s[40:41]
	s_cbranch_execz .LBB1047_28
; %bb.27:                               ;   in Loop: Header=BB1047_20 Depth=1
	v_bcnt_u32_b32 v0, v0, 0
	v_bcnt_u32_b32 v0, v1, v0
	s_waitcnt lgkmcnt(0)
	v_add_u32_e32 v0, v42, v0
	ds_write_b32 v43, v0 offset:16
.LBB1047_28:                            ;   in Loop: Header=BB1047_20 Depth=1
	s_or_b64 exec, exec, s[26:27]
	; wave barrier
	s_waitcnt lgkmcnt(0)
	s_barrier
	ds_read2_b64 v[0:3], v17 offset0:2 offset1:3
	s_waitcnt lgkmcnt(0)
	v_add_u32_e32 v44, v1, v0
	v_add3_u32 v3, v44, v2, v3
	s_nop 1
	v_mov_b32_dpp v44, v3 row_shr:1 row_mask:0xf bank_mask:0xf
	v_cndmask_b32_e64 v44, v44, 0, s[0:1]
	v_add_u32_e32 v3, v44, v3
	s_nop 1
	v_mov_b32_dpp v44, v3 row_shr:2 row_mask:0xf bank_mask:0xf
	v_cndmask_b32_e64 v44, 0, v44, s[2:3]
	v_add_u32_e32 v3, v3, v44
	;; [unrolled: 4-line block ×4, first 2 shown]
	s_nop 1
	v_mov_b32_dpp v44, v3 row_bcast:15 row_mask:0xf bank_mask:0xf
	v_cndmask_b32_e64 v44, v44, 0, s[8:9]
	v_add_u32_e32 v3, v3, v44
	s_nop 1
	v_mov_b32_dpp v44, v3 row_bcast:31 row_mask:0xf bank_mask:0xf
	v_cndmask_b32_e64 v44, 0, v44, s[10:11]
	v_add_u32_e32 v3, v3, v44
	s_and_saveexec_b64 s[26:27], s[12:13]
; %bb.29:                               ;   in Loop: Header=BB1047_20 Depth=1
	ds_write_b32 v36, v3
; %bb.30:                               ;   in Loop: Header=BB1047_20 Depth=1
	s_or_b64 exec, exec, s[26:27]
	s_waitcnt lgkmcnt(0)
	s_barrier
	s_and_saveexec_b64 s[26:27], s[14:15]
	s_cbranch_execz .LBB1047_32
; %bb.31:                               ;   in Loop: Header=BB1047_20 Depth=1
	ds_read_b32 v44, v39
	s_waitcnt lgkmcnt(0)
	s_nop 0
	v_mov_b32_dpp v45, v44 row_shr:1 row_mask:0xf bank_mask:0xf
	v_cndmask_b32_e64 v45, v45, 0, s[22:23]
	v_add_u32_e32 v44, v45, v44
	s_nop 1
	v_mov_b32_dpp v45, v44 row_shr:2 row_mask:0xf bank_mask:0xf
	v_cndmask_b32_e64 v45, 0, v45, s[24:25]
	v_add_u32_e32 v44, v44, v45
	ds_write_b32 v39, v44
.LBB1047_32:                            ;   in Loop: Header=BB1047_20 Depth=1
	s_or_b64 exec, exec, s[26:27]
	v_mov_b32_e32 v44, 0
	s_waitcnt lgkmcnt(0)
	s_barrier
	s_and_saveexec_b64 s[26:27], s[16:17]
; %bb.33:                               ;   in Loop: Header=BB1047_20 Depth=1
	ds_read_b32 v44, v37
; %bb.34:                               ;   in Loop: Header=BB1047_20 Depth=1
	s_or_b64 exec, exec, s[26:27]
	s_waitcnt lgkmcnt(0)
	v_add_u32_e32 v3, v44, v3
	ds_bpermute_b32 v3, v35, v3
	v_lshlrev_b32_e32 v4, 3, v4
	s_add_i32 s34, s34, 8
	s_cmp_ge_u32 s34, s36
	s_mov_b64 s[26:27], -1
	s_waitcnt lgkmcnt(0)
	v_cndmask_b32_e64 v3, v3, v44, s[18:19]
	v_cndmask_b32_e64 v44, v3, 0, s[20:21]
	v_add_u32_e32 v45, v44, v0
	v_add_u32_e32 v0, v45, v1
	;; [unrolled: 1-line block ×3, first 2 shown]
	ds_write2_b64 v17, v[44:45], v[0:1] offset0:2 offset1:3
	s_waitcnt lgkmcnt(0)
	s_barrier
	ds_read_b32 v0, v5 offset:16
	ds_read_b32 v1, v7 offset:16
	;; [unrolled: 1-line block ×4, first 2 shown]
	v_lshlrev_b32_e32 v5, 3, v6
	s_waitcnt lgkmcnt(3)
	v_lshl_add_u32 v0, v0, 3, v4
	v_lshlrev_b32_e32 v4, 3, v8
	s_waitcnt lgkmcnt(2)
	v_lshlrev_b32_e32 v1, 3, v1
	v_add3_u32 v1, v4, v5, v1
	v_lshlrev_b32_e32 v4, 3, v41
	v_lshlrev_b32_e32 v5, 3, v9
	s_waitcnt lgkmcnt(1)
	v_lshlrev_b32_e32 v2, 3, v2
	v_add3_u32 v40, v4, v5, v2
	v_lshlrev_b32_e32 v2, 3, v14
	v_lshlrev_b32_e32 v4, 3, v42
	s_waitcnt lgkmcnt(0)
	v_lshlrev_b32_e32 v3, 3, v3
	v_add3_u32 v41, v2, v4, v3
                                        ; implicit-def: $vgpr8_vgpr9
                                        ; implicit-def: $vgpr42_vgpr43
                                        ; implicit-def: $vgpr46_vgpr47
	s_cbranch_scc1 .LBB1047_19
; %bb.35:                               ;   in Loop: Header=BB1047_20 Depth=1
	s_barrier
	ds_write_b64 v0, v[32:33]
	ds_write_b64 v1, v[30:31]
	ds_write_b64 v40, v[28:29]
	ds_write_b64 v41, v[26:27]
	s_waitcnt lgkmcnt(0)
	s_barrier
	ds_read2st64_b64 v[2:5], v38 offset1:1
	ds_read2st64_b64 v[6:9], v38 offset0:2 offset1:3
	s_waitcnt lgkmcnt(0)
	s_barrier
	ds_write_b64 v0, v[24:25]
	ds_write_b64 v1, v[22:23]
	;; [unrolled: 1-line block ×4, first 2 shown]
	s_waitcnt lgkmcnt(0)
	s_barrier
	ds_read2st64_b64 v[42:45], v38 offset1:1
	ds_read2st64_b64 v[46:49], v38 offset0:2 offset1:3
	s_add_i32 s35, s35, -8
	s_mov_b64 s[26:27], 0
	s_waitcnt lgkmcnt(0)
	s_barrier
	s_branch .LBB1047_19
.LBB1047_36:
	s_barrier
	ds_write_b64 v0, v[32:33]
	ds_write_b64 v1, v[30:31]
	;; [unrolled: 1-line block ×4, first 2 shown]
	v_lshlrev_b32_e32 v26, 3, v16
	s_waitcnt lgkmcnt(0)
	s_barrier
	ds_read2st64_b64 v[12:15], v26 offset1:4
	ds_read2st64_b64 v[8:11], v26 offset0:8 offset1:12
	s_waitcnt lgkmcnt(0)
	s_barrier
	ds_write_b64 v0, v[24:25]
	ds_write_b64 v1, v[22:23]
	;; [unrolled: 1-line block ×4, first 2 shown]
	s_waitcnt lgkmcnt(0)
	s_barrier
	ds_read2st64_b64 v[4:7], v26 offset1:4
	ds_read2st64_b64 v[0:3], v26 offset0:8 offset1:12
	s_add_u32 s0, s38, s28
	s_addc_u32 s1, s39, s29
	v_mov_b32_e32 v27, 0
	v_xor_b32_e32 v13, 0x80000000, v13
	v_xor_b32_e32 v15, 0x80000000, v15
	;; [unrolled: 1-line block ×4, first 2 shown]
	s_andn2_b64 vcc, exec, s[30:31]
	v_lshl_add_u64 v[18:19], s[0:1], 0, v[26:27]
	s_cbranch_vccnz .LBB1047_38
; %bb.37:
	v_add_co_u32_e32 v20, vcc, 0x1000, v18
	s_add_u32 s0, s42, s28
	s_nop 0
	v_addc_co_u32_e32 v21, vcc, 0, v19, vcc
	s_addc_u32 s1, s43, s29
	global_store_dwordx2 v[18:19], v[12:13], off
	global_store_dwordx2 v[18:19], v[14:15], off offset:2048
	global_store_dwordx2 v[20:21], v[8:9], off
	global_store_dwordx2 v[20:21], v[10:11], off offset:2048
	v_lshl_add_u64 v[20:21], s[0:1], 0, v[26:27]
	v_add_co_u32_e32 v20, vcc, 0x1000, v20
	s_waitcnt lgkmcnt(1)
	global_store_dwordx2 v26, v[4:5], s[0:1]
	global_store_dwordx2 v26, v[6:7], s[0:1] offset:2048
	v_addc_co_u32_e32 v21, vcc, 0, v21, vcc
	s_mov_b64 s[6:7], -1
	s_waitcnt lgkmcnt(0)
	global_store_dwordx2 v[20:21], v[0:1], off
	s_cbranch_execz .LBB1047_39
	s_branch .LBB1047_52
.LBB1047_38:
	s_mov_b64 s[6:7], 0
.LBB1047_39:
	v_cmp_gt_u32_e64 s[0:1], s33, v16
	s_and_saveexec_b64 s[2:3], s[0:1]
	s_cbranch_execz .LBB1047_41
; %bb.40:
	global_store_dwordx2 v[18:19], v[12:13], off
.LBB1047_41:
	s_or_b64 exec, exec, s[2:3]
	v_add_u32_e32 v12, 0x100, v16
	v_cmp_gt_u32_e64 s[2:3], s33, v12
	s_and_saveexec_b64 s[4:5], s[2:3]
	s_cbranch_execz .LBB1047_43
; %bb.42:
	global_store_dwordx2 v[18:19], v[14:15], off offset:2048
.LBB1047_43:
	s_or_b64 exec, exec, s[4:5]
	v_add_u32_e32 v12, 0x200, v16
	v_cmp_gt_u32_e64 s[4:5], s33, v12
	s_and_saveexec_b64 s[6:7], s[4:5]
	s_cbranch_execz .LBB1047_45
; %bb.44:
	v_add_co_u32_e32 v12, vcc, 0x1000, v18
	s_nop 1
	v_addc_co_u32_e32 v13, vcc, 0, v19, vcc
	global_store_dwordx2 v[12:13], v[8:9], off
.LBB1047_45:
	s_or_b64 exec, exec, s[6:7]
	v_add_u32_e32 v8, 0x300, v16
	v_cmp_gt_u32_e64 s[6:7], s33, v8
	s_and_saveexec_b64 s[8:9], s[6:7]
	s_cbranch_execz .LBB1047_47
; %bb.46:
	v_add_co_u32_e32 v8, vcc, 0x1000, v18
	s_nop 1
	v_addc_co_u32_e32 v9, vcc, 0, v19, vcc
	global_store_dwordx2 v[8:9], v[10:11], off offset:2048
.LBB1047_47:
	s_or_b64 exec, exec, s[8:9]
	s_add_u32 s8, s42, s28
	s_addc_u32 s9, s43, s29
	v_mov_b32_e32 v27, 0
	v_lshl_add_u64 v[8:9], s[8:9], 0, v[26:27]
	s_and_saveexec_b64 s[8:9], s[0:1]
	s_cbranch_execnz .LBB1047_57
; %bb.48:
	s_or_b64 exec, exec, s[8:9]
	s_and_saveexec_b64 s[0:1], s[2:3]
	s_cbranch_execnz .LBB1047_58
.LBB1047_49:
	s_or_b64 exec, exec, s[0:1]
	s_and_saveexec_b64 s[0:1], s[4:5]
	s_cbranch_execz .LBB1047_51
.LBB1047_50:
	s_waitcnt lgkmcnt(1)
	v_add_co_u32_e32 v4, vcc, 0x1000, v8
	s_nop 1
	v_addc_co_u32_e32 v5, vcc, 0, v9, vcc
	s_waitcnt lgkmcnt(0)
	global_store_dwordx2 v[4:5], v[0:1], off
.LBB1047_51:
	s_or_b64 exec, exec, s[0:1]
.LBB1047_52:
	s_and_saveexec_b64 s[0:1], s[6:7]
	s_cbranch_execnz .LBB1047_54
; %bb.53:
	s_endpgm
.LBB1047_54:
	s_add_u32 s0, s42, s28
	s_addc_u32 s1, s43, s29
	v_mov_b32_e32 v27, 0
	s_waitcnt lgkmcnt(0)
	v_lshl_add_u64 v[0:1], s[0:1], 0, v[26:27]
	v_add_co_u32_e32 v0, vcc, 0x1000, v0
	s_nop 1
	v_addc_co_u32_e32 v1, vcc, 0, v1, vcc
	global_store_dwordx2 v[0:1], v[2:3], off offset:2048
	s_endpgm
.LBB1047_55:
	global_load_dwordx2 v[42:43], v[14:15], off
	s_or_b64 exec, exec, s[8:9]
	s_and_saveexec_b64 s[8:9], s[2:3]
	s_cbranch_execz .LBB1047_13
.LBB1047_56:
	global_load_dwordx2 v[44:45], v[14:15], off offset:512
	s_or_b64 exec, exec, s[8:9]
                                        ; implicit-def: $vgpr46_vgpr47
	s_and_saveexec_b64 s[2:3], s[4:5]
	s_cbranch_execnz .LBB1047_14
	s_branch .LBB1047_15
.LBB1047_57:
	s_waitcnt lgkmcnt(1)
	global_store_dwordx2 v[8:9], v[4:5], off
	s_or_b64 exec, exec, s[8:9]
	s_and_saveexec_b64 s[0:1], s[2:3]
	s_cbranch_execz .LBB1047_49
.LBB1047_58:
	s_waitcnt lgkmcnt(1)
	global_store_dwordx2 v[8:9], v[6:7], off offset:2048
	s_or_b64 exec, exec, s[0:1]
	s_and_saveexec_b64 s[0:1], s[4:5]
	s_cbranch_execnz .LBB1047_50
	s_branch .LBB1047_51
	.section	.rodata,"a",@progbits
	.p2align	6, 0x0
	.amdhsa_kernel _ZN7rocprim17ROCPRIM_400000_NS6detail17trampoline_kernelINS0_13kernel_configILj256ELj4ELj4294967295EEENS1_37radix_sort_block_sort_config_selectorIxxEEZNS1_21radix_sort_block_sortIS4_Lb0EN6thrust23THRUST_200600_302600_NS6detail15normal_iteratorINS9_10device_ptrIxEEEESE_SE_SE_NS0_19identity_decomposerEEE10hipError_tT1_T2_T3_T4_jRjT5_jjP12ihipStream_tbEUlT_E_NS1_11comp_targetILNS1_3genE0ELNS1_11target_archE4294967295ELNS1_3gpuE0ELNS1_3repE0EEENS1_44radix_sort_block_sort_config_static_selectorELNS0_4arch9wavefront6targetE1EEEvSH_
		.amdhsa_group_segment_fixed_size 8192
		.amdhsa_private_segment_fixed_size 0
		.amdhsa_kernarg_size 304
		.amdhsa_user_sgpr_count 2
		.amdhsa_user_sgpr_dispatch_ptr 0
		.amdhsa_user_sgpr_queue_ptr 0
		.amdhsa_user_sgpr_kernarg_segment_ptr 1
		.amdhsa_user_sgpr_dispatch_id 0
		.amdhsa_user_sgpr_kernarg_preload_length 0
		.amdhsa_user_sgpr_kernarg_preload_offset 0
		.amdhsa_user_sgpr_private_segment_size 0
		.amdhsa_uses_dynamic_stack 0
		.amdhsa_enable_private_segment 0
		.amdhsa_system_sgpr_workgroup_id_x 1
		.amdhsa_system_sgpr_workgroup_id_y 0
		.amdhsa_system_sgpr_workgroup_id_z 0
		.amdhsa_system_sgpr_workgroup_info 0
		.amdhsa_system_vgpr_workitem_id 2
		.amdhsa_next_free_vgpr 50
		.amdhsa_next_free_sgpr 46
		.amdhsa_accum_offset 52
		.amdhsa_reserve_vcc 1
		.amdhsa_float_round_mode_32 0
		.amdhsa_float_round_mode_16_64 0
		.amdhsa_float_denorm_mode_32 3
		.amdhsa_float_denorm_mode_16_64 3
		.amdhsa_dx10_clamp 1
		.amdhsa_ieee_mode 1
		.amdhsa_fp16_overflow 0
		.amdhsa_tg_split 0
		.amdhsa_exception_fp_ieee_invalid_op 0
		.amdhsa_exception_fp_denorm_src 0
		.amdhsa_exception_fp_ieee_div_zero 0
		.amdhsa_exception_fp_ieee_overflow 0
		.amdhsa_exception_fp_ieee_underflow 0
		.amdhsa_exception_fp_ieee_inexact 0
		.amdhsa_exception_int_div_zero 0
	.end_amdhsa_kernel
	.section	.text._ZN7rocprim17ROCPRIM_400000_NS6detail17trampoline_kernelINS0_13kernel_configILj256ELj4ELj4294967295EEENS1_37radix_sort_block_sort_config_selectorIxxEEZNS1_21radix_sort_block_sortIS4_Lb0EN6thrust23THRUST_200600_302600_NS6detail15normal_iteratorINS9_10device_ptrIxEEEESE_SE_SE_NS0_19identity_decomposerEEE10hipError_tT1_T2_T3_T4_jRjT5_jjP12ihipStream_tbEUlT_E_NS1_11comp_targetILNS1_3genE0ELNS1_11target_archE4294967295ELNS1_3gpuE0ELNS1_3repE0EEENS1_44radix_sort_block_sort_config_static_selectorELNS0_4arch9wavefront6targetE1EEEvSH_,"axG",@progbits,_ZN7rocprim17ROCPRIM_400000_NS6detail17trampoline_kernelINS0_13kernel_configILj256ELj4ELj4294967295EEENS1_37radix_sort_block_sort_config_selectorIxxEEZNS1_21radix_sort_block_sortIS4_Lb0EN6thrust23THRUST_200600_302600_NS6detail15normal_iteratorINS9_10device_ptrIxEEEESE_SE_SE_NS0_19identity_decomposerEEE10hipError_tT1_T2_T3_T4_jRjT5_jjP12ihipStream_tbEUlT_E_NS1_11comp_targetILNS1_3genE0ELNS1_11target_archE4294967295ELNS1_3gpuE0ELNS1_3repE0EEENS1_44radix_sort_block_sort_config_static_selectorELNS0_4arch9wavefront6targetE1EEEvSH_,comdat
.Lfunc_end1047:
	.size	_ZN7rocprim17ROCPRIM_400000_NS6detail17trampoline_kernelINS0_13kernel_configILj256ELj4ELj4294967295EEENS1_37radix_sort_block_sort_config_selectorIxxEEZNS1_21radix_sort_block_sortIS4_Lb0EN6thrust23THRUST_200600_302600_NS6detail15normal_iteratorINS9_10device_ptrIxEEEESE_SE_SE_NS0_19identity_decomposerEEE10hipError_tT1_T2_T3_T4_jRjT5_jjP12ihipStream_tbEUlT_E_NS1_11comp_targetILNS1_3genE0ELNS1_11target_archE4294967295ELNS1_3gpuE0ELNS1_3repE0EEENS1_44radix_sort_block_sort_config_static_selectorELNS0_4arch9wavefront6targetE1EEEvSH_, .Lfunc_end1047-_ZN7rocprim17ROCPRIM_400000_NS6detail17trampoline_kernelINS0_13kernel_configILj256ELj4ELj4294967295EEENS1_37radix_sort_block_sort_config_selectorIxxEEZNS1_21radix_sort_block_sortIS4_Lb0EN6thrust23THRUST_200600_302600_NS6detail15normal_iteratorINS9_10device_ptrIxEEEESE_SE_SE_NS0_19identity_decomposerEEE10hipError_tT1_T2_T3_T4_jRjT5_jjP12ihipStream_tbEUlT_E_NS1_11comp_targetILNS1_3genE0ELNS1_11target_archE4294967295ELNS1_3gpuE0ELNS1_3repE0EEENS1_44radix_sort_block_sort_config_static_selectorELNS0_4arch9wavefront6targetE1EEEvSH_
                                        ; -- End function
	.set _ZN7rocprim17ROCPRIM_400000_NS6detail17trampoline_kernelINS0_13kernel_configILj256ELj4ELj4294967295EEENS1_37radix_sort_block_sort_config_selectorIxxEEZNS1_21radix_sort_block_sortIS4_Lb0EN6thrust23THRUST_200600_302600_NS6detail15normal_iteratorINS9_10device_ptrIxEEEESE_SE_SE_NS0_19identity_decomposerEEE10hipError_tT1_T2_T3_T4_jRjT5_jjP12ihipStream_tbEUlT_E_NS1_11comp_targetILNS1_3genE0ELNS1_11target_archE4294967295ELNS1_3gpuE0ELNS1_3repE0EEENS1_44radix_sort_block_sort_config_static_selectorELNS0_4arch9wavefront6targetE1EEEvSH_.num_vgpr, 50
	.set _ZN7rocprim17ROCPRIM_400000_NS6detail17trampoline_kernelINS0_13kernel_configILj256ELj4ELj4294967295EEENS1_37radix_sort_block_sort_config_selectorIxxEEZNS1_21radix_sort_block_sortIS4_Lb0EN6thrust23THRUST_200600_302600_NS6detail15normal_iteratorINS9_10device_ptrIxEEEESE_SE_SE_NS0_19identity_decomposerEEE10hipError_tT1_T2_T3_T4_jRjT5_jjP12ihipStream_tbEUlT_E_NS1_11comp_targetILNS1_3genE0ELNS1_11target_archE4294967295ELNS1_3gpuE0ELNS1_3repE0EEENS1_44radix_sort_block_sort_config_static_selectorELNS0_4arch9wavefront6targetE1EEEvSH_.num_agpr, 0
	.set _ZN7rocprim17ROCPRIM_400000_NS6detail17trampoline_kernelINS0_13kernel_configILj256ELj4ELj4294967295EEENS1_37radix_sort_block_sort_config_selectorIxxEEZNS1_21radix_sort_block_sortIS4_Lb0EN6thrust23THRUST_200600_302600_NS6detail15normal_iteratorINS9_10device_ptrIxEEEESE_SE_SE_NS0_19identity_decomposerEEE10hipError_tT1_T2_T3_T4_jRjT5_jjP12ihipStream_tbEUlT_E_NS1_11comp_targetILNS1_3genE0ELNS1_11target_archE4294967295ELNS1_3gpuE0ELNS1_3repE0EEENS1_44radix_sort_block_sort_config_static_selectorELNS0_4arch9wavefront6targetE1EEEvSH_.numbered_sgpr, 46
	.set _ZN7rocprim17ROCPRIM_400000_NS6detail17trampoline_kernelINS0_13kernel_configILj256ELj4ELj4294967295EEENS1_37radix_sort_block_sort_config_selectorIxxEEZNS1_21radix_sort_block_sortIS4_Lb0EN6thrust23THRUST_200600_302600_NS6detail15normal_iteratorINS9_10device_ptrIxEEEESE_SE_SE_NS0_19identity_decomposerEEE10hipError_tT1_T2_T3_T4_jRjT5_jjP12ihipStream_tbEUlT_E_NS1_11comp_targetILNS1_3genE0ELNS1_11target_archE4294967295ELNS1_3gpuE0ELNS1_3repE0EEENS1_44radix_sort_block_sort_config_static_selectorELNS0_4arch9wavefront6targetE1EEEvSH_.num_named_barrier, 0
	.set _ZN7rocprim17ROCPRIM_400000_NS6detail17trampoline_kernelINS0_13kernel_configILj256ELj4ELj4294967295EEENS1_37radix_sort_block_sort_config_selectorIxxEEZNS1_21radix_sort_block_sortIS4_Lb0EN6thrust23THRUST_200600_302600_NS6detail15normal_iteratorINS9_10device_ptrIxEEEESE_SE_SE_NS0_19identity_decomposerEEE10hipError_tT1_T2_T3_T4_jRjT5_jjP12ihipStream_tbEUlT_E_NS1_11comp_targetILNS1_3genE0ELNS1_11target_archE4294967295ELNS1_3gpuE0ELNS1_3repE0EEENS1_44radix_sort_block_sort_config_static_selectorELNS0_4arch9wavefront6targetE1EEEvSH_.private_seg_size, 0
	.set _ZN7rocprim17ROCPRIM_400000_NS6detail17trampoline_kernelINS0_13kernel_configILj256ELj4ELj4294967295EEENS1_37radix_sort_block_sort_config_selectorIxxEEZNS1_21radix_sort_block_sortIS4_Lb0EN6thrust23THRUST_200600_302600_NS6detail15normal_iteratorINS9_10device_ptrIxEEEESE_SE_SE_NS0_19identity_decomposerEEE10hipError_tT1_T2_T3_T4_jRjT5_jjP12ihipStream_tbEUlT_E_NS1_11comp_targetILNS1_3genE0ELNS1_11target_archE4294967295ELNS1_3gpuE0ELNS1_3repE0EEENS1_44radix_sort_block_sort_config_static_selectorELNS0_4arch9wavefront6targetE1EEEvSH_.uses_vcc, 1
	.set _ZN7rocprim17ROCPRIM_400000_NS6detail17trampoline_kernelINS0_13kernel_configILj256ELj4ELj4294967295EEENS1_37radix_sort_block_sort_config_selectorIxxEEZNS1_21radix_sort_block_sortIS4_Lb0EN6thrust23THRUST_200600_302600_NS6detail15normal_iteratorINS9_10device_ptrIxEEEESE_SE_SE_NS0_19identity_decomposerEEE10hipError_tT1_T2_T3_T4_jRjT5_jjP12ihipStream_tbEUlT_E_NS1_11comp_targetILNS1_3genE0ELNS1_11target_archE4294967295ELNS1_3gpuE0ELNS1_3repE0EEENS1_44radix_sort_block_sort_config_static_selectorELNS0_4arch9wavefront6targetE1EEEvSH_.uses_flat_scratch, 0
	.set _ZN7rocprim17ROCPRIM_400000_NS6detail17trampoline_kernelINS0_13kernel_configILj256ELj4ELj4294967295EEENS1_37radix_sort_block_sort_config_selectorIxxEEZNS1_21radix_sort_block_sortIS4_Lb0EN6thrust23THRUST_200600_302600_NS6detail15normal_iteratorINS9_10device_ptrIxEEEESE_SE_SE_NS0_19identity_decomposerEEE10hipError_tT1_T2_T3_T4_jRjT5_jjP12ihipStream_tbEUlT_E_NS1_11comp_targetILNS1_3genE0ELNS1_11target_archE4294967295ELNS1_3gpuE0ELNS1_3repE0EEENS1_44radix_sort_block_sort_config_static_selectorELNS0_4arch9wavefront6targetE1EEEvSH_.has_dyn_sized_stack, 0
	.set _ZN7rocprim17ROCPRIM_400000_NS6detail17trampoline_kernelINS0_13kernel_configILj256ELj4ELj4294967295EEENS1_37radix_sort_block_sort_config_selectorIxxEEZNS1_21radix_sort_block_sortIS4_Lb0EN6thrust23THRUST_200600_302600_NS6detail15normal_iteratorINS9_10device_ptrIxEEEESE_SE_SE_NS0_19identity_decomposerEEE10hipError_tT1_T2_T3_T4_jRjT5_jjP12ihipStream_tbEUlT_E_NS1_11comp_targetILNS1_3genE0ELNS1_11target_archE4294967295ELNS1_3gpuE0ELNS1_3repE0EEENS1_44radix_sort_block_sort_config_static_selectorELNS0_4arch9wavefront6targetE1EEEvSH_.has_recursion, 0
	.set _ZN7rocprim17ROCPRIM_400000_NS6detail17trampoline_kernelINS0_13kernel_configILj256ELj4ELj4294967295EEENS1_37radix_sort_block_sort_config_selectorIxxEEZNS1_21radix_sort_block_sortIS4_Lb0EN6thrust23THRUST_200600_302600_NS6detail15normal_iteratorINS9_10device_ptrIxEEEESE_SE_SE_NS0_19identity_decomposerEEE10hipError_tT1_T2_T3_T4_jRjT5_jjP12ihipStream_tbEUlT_E_NS1_11comp_targetILNS1_3genE0ELNS1_11target_archE4294967295ELNS1_3gpuE0ELNS1_3repE0EEENS1_44radix_sort_block_sort_config_static_selectorELNS0_4arch9wavefront6targetE1EEEvSH_.has_indirect_call, 0
	.section	.AMDGPU.csdata,"",@progbits
; Kernel info:
; codeLenInByte = 3960
; TotalNumSgprs: 52
; NumVgprs: 50
; NumAgprs: 0
; TotalNumVgprs: 50
; ScratchSize: 0
; MemoryBound: 1
; FloatMode: 240
; IeeeMode: 1
; LDSByteSize: 8192 bytes/workgroup (compile time only)
; SGPRBlocks: 6
; VGPRBlocks: 6
; NumSGPRsForWavesPerEU: 52
; NumVGPRsForWavesPerEU: 50
; AccumOffset: 52
; Occupancy: 8
; WaveLimiterHint : 1
; COMPUTE_PGM_RSRC2:SCRATCH_EN: 0
; COMPUTE_PGM_RSRC2:USER_SGPR: 2
; COMPUTE_PGM_RSRC2:TRAP_HANDLER: 0
; COMPUTE_PGM_RSRC2:TGID_X_EN: 1
; COMPUTE_PGM_RSRC2:TGID_Y_EN: 0
; COMPUTE_PGM_RSRC2:TGID_Z_EN: 0
; COMPUTE_PGM_RSRC2:TIDIG_COMP_CNT: 2
; COMPUTE_PGM_RSRC3_GFX90A:ACCUM_OFFSET: 12
; COMPUTE_PGM_RSRC3_GFX90A:TG_SPLIT: 0
	.section	.text._ZN7rocprim17ROCPRIM_400000_NS6detail17trampoline_kernelINS0_13kernel_configILj256ELj4ELj4294967295EEENS1_37radix_sort_block_sort_config_selectorIxxEEZNS1_21radix_sort_block_sortIS4_Lb0EN6thrust23THRUST_200600_302600_NS6detail15normal_iteratorINS9_10device_ptrIxEEEESE_SE_SE_NS0_19identity_decomposerEEE10hipError_tT1_T2_T3_T4_jRjT5_jjP12ihipStream_tbEUlT_E_NS1_11comp_targetILNS1_3genE5ELNS1_11target_archE942ELNS1_3gpuE9ELNS1_3repE0EEENS1_44radix_sort_block_sort_config_static_selectorELNS0_4arch9wavefront6targetE1EEEvSH_,"axG",@progbits,_ZN7rocprim17ROCPRIM_400000_NS6detail17trampoline_kernelINS0_13kernel_configILj256ELj4ELj4294967295EEENS1_37radix_sort_block_sort_config_selectorIxxEEZNS1_21radix_sort_block_sortIS4_Lb0EN6thrust23THRUST_200600_302600_NS6detail15normal_iteratorINS9_10device_ptrIxEEEESE_SE_SE_NS0_19identity_decomposerEEE10hipError_tT1_T2_T3_T4_jRjT5_jjP12ihipStream_tbEUlT_E_NS1_11comp_targetILNS1_3genE5ELNS1_11target_archE942ELNS1_3gpuE9ELNS1_3repE0EEENS1_44radix_sort_block_sort_config_static_selectorELNS0_4arch9wavefront6targetE1EEEvSH_,comdat
	.protected	_ZN7rocprim17ROCPRIM_400000_NS6detail17trampoline_kernelINS0_13kernel_configILj256ELj4ELj4294967295EEENS1_37radix_sort_block_sort_config_selectorIxxEEZNS1_21radix_sort_block_sortIS4_Lb0EN6thrust23THRUST_200600_302600_NS6detail15normal_iteratorINS9_10device_ptrIxEEEESE_SE_SE_NS0_19identity_decomposerEEE10hipError_tT1_T2_T3_T4_jRjT5_jjP12ihipStream_tbEUlT_E_NS1_11comp_targetILNS1_3genE5ELNS1_11target_archE942ELNS1_3gpuE9ELNS1_3repE0EEENS1_44radix_sort_block_sort_config_static_selectorELNS0_4arch9wavefront6targetE1EEEvSH_ ; -- Begin function _ZN7rocprim17ROCPRIM_400000_NS6detail17trampoline_kernelINS0_13kernel_configILj256ELj4ELj4294967295EEENS1_37radix_sort_block_sort_config_selectorIxxEEZNS1_21radix_sort_block_sortIS4_Lb0EN6thrust23THRUST_200600_302600_NS6detail15normal_iteratorINS9_10device_ptrIxEEEESE_SE_SE_NS0_19identity_decomposerEEE10hipError_tT1_T2_T3_T4_jRjT5_jjP12ihipStream_tbEUlT_E_NS1_11comp_targetILNS1_3genE5ELNS1_11target_archE942ELNS1_3gpuE9ELNS1_3repE0EEENS1_44radix_sort_block_sort_config_static_selectorELNS0_4arch9wavefront6targetE1EEEvSH_
	.globl	_ZN7rocprim17ROCPRIM_400000_NS6detail17trampoline_kernelINS0_13kernel_configILj256ELj4ELj4294967295EEENS1_37radix_sort_block_sort_config_selectorIxxEEZNS1_21radix_sort_block_sortIS4_Lb0EN6thrust23THRUST_200600_302600_NS6detail15normal_iteratorINS9_10device_ptrIxEEEESE_SE_SE_NS0_19identity_decomposerEEE10hipError_tT1_T2_T3_T4_jRjT5_jjP12ihipStream_tbEUlT_E_NS1_11comp_targetILNS1_3genE5ELNS1_11target_archE942ELNS1_3gpuE9ELNS1_3repE0EEENS1_44radix_sort_block_sort_config_static_selectorELNS0_4arch9wavefront6targetE1EEEvSH_
	.p2align	8
	.type	_ZN7rocprim17ROCPRIM_400000_NS6detail17trampoline_kernelINS0_13kernel_configILj256ELj4ELj4294967295EEENS1_37radix_sort_block_sort_config_selectorIxxEEZNS1_21radix_sort_block_sortIS4_Lb0EN6thrust23THRUST_200600_302600_NS6detail15normal_iteratorINS9_10device_ptrIxEEEESE_SE_SE_NS0_19identity_decomposerEEE10hipError_tT1_T2_T3_T4_jRjT5_jjP12ihipStream_tbEUlT_E_NS1_11comp_targetILNS1_3genE5ELNS1_11target_archE942ELNS1_3gpuE9ELNS1_3repE0EEENS1_44radix_sort_block_sort_config_static_selectorELNS0_4arch9wavefront6targetE1EEEvSH_,@function
_ZN7rocprim17ROCPRIM_400000_NS6detail17trampoline_kernelINS0_13kernel_configILj256ELj4ELj4294967295EEENS1_37radix_sort_block_sort_config_selectorIxxEEZNS1_21radix_sort_block_sortIS4_Lb0EN6thrust23THRUST_200600_302600_NS6detail15normal_iteratorINS9_10device_ptrIxEEEESE_SE_SE_NS0_19identity_decomposerEEE10hipError_tT1_T2_T3_T4_jRjT5_jjP12ihipStream_tbEUlT_E_NS1_11comp_targetILNS1_3genE5ELNS1_11target_archE942ELNS1_3gpuE9ELNS1_3repE0EEENS1_44radix_sort_block_sort_config_static_selectorELNS0_4arch9wavefront6targetE1EEEvSH_: ; @_ZN7rocprim17ROCPRIM_400000_NS6detail17trampoline_kernelINS0_13kernel_configILj256ELj4ELj4294967295EEENS1_37radix_sort_block_sort_config_selectorIxxEEZNS1_21radix_sort_block_sortIS4_Lb0EN6thrust23THRUST_200600_302600_NS6detail15normal_iteratorINS9_10device_ptrIxEEEESE_SE_SE_NS0_19identity_decomposerEEE10hipError_tT1_T2_T3_T4_jRjT5_jjP12ihipStream_tbEUlT_E_NS1_11comp_targetILNS1_3genE5ELNS1_11target_archE942ELNS1_3gpuE9ELNS1_3repE0EEENS1_44radix_sort_block_sort_config_static_selectorELNS0_4arch9wavefront6targetE1EEEvSH_
; %bb.0:
	.section	.rodata,"a",@progbits
	.p2align	6, 0x0
	.amdhsa_kernel _ZN7rocprim17ROCPRIM_400000_NS6detail17trampoline_kernelINS0_13kernel_configILj256ELj4ELj4294967295EEENS1_37radix_sort_block_sort_config_selectorIxxEEZNS1_21radix_sort_block_sortIS4_Lb0EN6thrust23THRUST_200600_302600_NS6detail15normal_iteratorINS9_10device_ptrIxEEEESE_SE_SE_NS0_19identity_decomposerEEE10hipError_tT1_T2_T3_T4_jRjT5_jjP12ihipStream_tbEUlT_E_NS1_11comp_targetILNS1_3genE5ELNS1_11target_archE942ELNS1_3gpuE9ELNS1_3repE0EEENS1_44radix_sort_block_sort_config_static_selectorELNS0_4arch9wavefront6targetE1EEEvSH_
		.amdhsa_group_segment_fixed_size 0
		.amdhsa_private_segment_fixed_size 0
		.amdhsa_kernarg_size 48
		.amdhsa_user_sgpr_count 2
		.amdhsa_user_sgpr_dispatch_ptr 0
		.amdhsa_user_sgpr_queue_ptr 0
		.amdhsa_user_sgpr_kernarg_segment_ptr 1
		.amdhsa_user_sgpr_dispatch_id 0
		.amdhsa_user_sgpr_kernarg_preload_length 0
		.amdhsa_user_sgpr_kernarg_preload_offset 0
		.amdhsa_user_sgpr_private_segment_size 0
		.amdhsa_uses_dynamic_stack 0
		.amdhsa_enable_private_segment 0
		.amdhsa_system_sgpr_workgroup_id_x 1
		.amdhsa_system_sgpr_workgroup_id_y 0
		.amdhsa_system_sgpr_workgroup_id_z 0
		.amdhsa_system_sgpr_workgroup_info 0
		.amdhsa_system_vgpr_workitem_id 0
		.amdhsa_next_free_vgpr 1
		.amdhsa_next_free_sgpr 0
		.amdhsa_accum_offset 4
		.amdhsa_reserve_vcc 0
		.amdhsa_float_round_mode_32 0
		.amdhsa_float_round_mode_16_64 0
		.amdhsa_float_denorm_mode_32 3
		.amdhsa_float_denorm_mode_16_64 3
		.amdhsa_dx10_clamp 1
		.amdhsa_ieee_mode 1
		.amdhsa_fp16_overflow 0
		.amdhsa_tg_split 0
		.amdhsa_exception_fp_ieee_invalid_op 0
		.amdhsa_exception_fp_denorm_src 0
		.amdhsa_exception_fp_ieee_div_zero 0
		.amdhsa_exception_fp_ieee_overflow 0
		.amdhsa_exception_fp_ieee_underflow 0
		.amdhsa_exception_fp_ieee_inexact 0
		.amdhsa_exception_int_div_zero 0
	.end_amdhsa_kernel
	.section	.text._ZN7rocprim17ROCPRIM_400000_NS6detail17trampoline_kernelINS0_13kernel_configILj256ELj4ELj4294967295EEENS1_37radix_sort_block_sort_config_selectorIxxEEZNS1_21radix_sort_block_sortIS4_Lb0EN6thrust23THRUST_200600_302600_NS6detail15normal_iteratorINS9_10device_ptrIxEEEESE_SE_SE_NS0_19identity_decomposerEEE10hipError_tT1_T2_T3_T4_jRjT5_jjP12ihipStream_tbEUlT_E_NS1_11comp_targetILNS1_3genE5ELNS1_11target_archE942ELNS1_3gpuE9ELNS1_3repE0EEENS1_44radix_sort_block_sort_config_static_selectorELNS0_4arch9wavefront6targetE1EEEvSH_,"axG",@progbits,_ZN7rocprim17ROCPRIM_400000_NS6detail17trampoline_kernelINS0_13kernel_configILj256ELj4ELj4294967295EEENS1_37radix_sort_block_sort_config_selectorIxxEEZNS1_21radix_sort_block_sortIS4_Lb0EN6thrust23THRUST_200600_302600_NS6detail15normal_iteratorINS9_10device_ptrIxEEEESE_SE_SE_NS0_19identity_decomposerEEE10hipError_tT1_T2_T3_T4_jRjT5_jjP12ihipStream_tbEUlT_E_NS1_11comp_targetILNS1_3genE5ELNS1_11target_archE942ELNS1_3gpuE9ELNS1_3repE0EEENS1_44radix_sort_block_sort_config_static_selectorELNS0_4arch9wavefront6targetE1EEEvSH_,comdat
.Lfunc_end1048:
	.size	_ZN7rocprim17ROCPRIM_400000_NS6detail17trampoline_kernelINS0_13kernel_configILj256ELj4ELj4294967295EEENS1_37radix_sort_block_sort_config_selectorIxxEEZNS1_21radix_sort_block_sortIS4_Lb0EN6thrust23THRUST_200600_302600_NS6detail15normal_iteratorINS9_10device_ptrIxEEEESE_SE_SE_NS0_19identity_decomposerEEE10hipError_tT1_T2_T3_T4_jRjT5_jjP12ihipStream_tbEUlT_E_NS1_11comp_targetILNS1_3genE5ELNS1_11target_archE942ELNS1_3gpuE9ELNS1_3repE0EEENS1_44radix_sort_block_sort_config_static_selectorELNS0_4arch9wavefront6targetE1EEEvSH_, .Lfunc_end1048-_ZN7rocprim17ROCPRIM_400000_NS6detail17trampoline_kernelINS0_13kernel_configILj256ELj4ELj4294967295EEENS1_37radix_sort_block_sort_config_selectorIxxEEZNS1_21radix_sort_block_sortIS4_Lb0EN6thrust23THRUST_200600_302600_NS6detail15normal_iteratorINS9_10device_ptrIxEEEESE_SE_SE_NS0_19identity_decomposerEEE10hipError_tT1_T2_T3_T4_jRjT5_jjP12ihipStream_tbEUlT_E_NS1_11comp_targetILNS1_3genE5ELNS1_11target_archE942ELNS1_3gpuE9ELNS1_3repE0EEENS1_44radix_sort_block_sort_config_static_selectorELNS0_4arch9wavefront6targetE1EEEvSH_
                                        ; -- End function
	.set _ZN7rocprim17ROCPRIM_400000_NS6detail17trampoline_kernelINS0_13kernel_configILj256ELj4ELj4294967295EEENS1_37radix_sort_block_sort_config_selectorIxxEEZNS1_21radix_sort_block_sortIS4_Lb0EN6thrust23THRUST_200600_302600_NS6detail15normal_iteratorINS9_10device_ptrIxEEEESE_SE_SE_NS0_19identity_decomposerEEE10hipError_tT1_T2_T3_T4_jRjT5_jjP12ihipStream_tbEUlT_E_NS1_11comp_targetILNS1_3genE5ELNS1_11target_archE942ELNS1_3gpuE9ELNS1_3repE0EEENS1_44radix_sort_block_sort_config_static_selectorELNS0_4arch9wavefront6targetE1EEEvSH_.num_vgpr, 0
	.set _ZN7rocprim17ROCPRIM_400000_NS6detail17trampoline_kernelINS0_13kernel_configILj256ELj4ELj4294967295EEENS1_37radix_sort_block_sort_config_selectorIxxEEZNS1_21radix_sort_block_sortIS4_Lb0EN6thrust23THRUST_200600_302600_NS6detail15normal_iteratorINS9_10device_ptrIxEEEESE_SE_SE_NS0_19identity_decomposerEEE10hipError_tT1_T2_T3_T4_jRjT5_jjP12ihipStream_tbEUlT_E_NS1_11comp_targetILNS1_3genE5ELNS1_11target_archE942ELNS1_3gpuE9ELNS1_3repE0EEENS1_44radix_sort_block_sort_config_static_selectorELNS0_4arch9wavefront6targetE1EEEvSH_.num_agpr, 0
	.set _ZN7rocprim17ROCPRIM_400000_NS6detail17trampoline_kernelINS0_13kernel_configILj256ELj4ELj4294967295EEENS1_37radix_sort_block_sort_config_selectorIxxEEZNS1_21radix_sort_block_sortIS4_Lb0EN6thrust23THRUST_200600_302600_NS6detail15normal_iteratorINS9_10device_ptrIxEEEESE_SE_SE_NS0_19identity_decomposerEEE10hipError_tT1_T2_T3_T4_jRjT5_jjP12ihipStream_tbEUlT_E_NS1_11comp_targetILNS1_3genE5ELNS1_11target_archE942ELNS1_3gpuE9ELNS1_3repE0EEENS1_44radix_sort_block_sort_config_static_selectorELNS0_4arch9wavefront6targetE1EEEvSH_.numbered_sgpr, 0
	.set _ZN7rocprim17ROCPRIM_400000_NS6detail17trampoline_kernelINS0_13kernel_configILj256ELj4ELj4294967295EEENS1_37radix_sort_block_sort_config_selectorIxxEEZNS1_21radix_sort_block_sortIS4_Lb0EN6thrust23THRUST_200600_302600_NS6detail15normal_iteratorINS9_10device_ptrIxEEEESE_SE_SE_NS0_19identity_decomposerEEE10hipError_tT1_T2_T3_T4_jRjT5_jjP12ihipStream_tbEUlT_E_NS1_11comp_targetILNS1_3genE5ELNS1_11target_archE942ELNS1_3gpuE9ELNS1_3repE0EEENS1_44radix_sort_block_sort_config_static_selectorELNS0_4arch9wavefront6targetE1EEEvSH_.num_named_barrier, 0
	.set _ZN7rocprim17ROCPRIM_400000_NS6detail17trampoline_kernelINS0_13kernel_configILj256ELj4ELj4294967295EEENS1_37radix_sort_block_sort_config_selectorIxxEEZNS1_21radix_sort_block_sortIS4_Lb0EN6thrust23THRUST_200600_302600_NS6detail15normal_iteratorINS9_10device_ptrIxEEEESE_SE_SE_NS0_19identity_decomposerEEE10hipError_tT1_T2_T3_T4_jRjT5_jjP12ihipStream_tbEUlT_E_NS1_11comp_targetILNS1_3genE5ELNS1_11target_archE942ELNS1_3gpuE9ELNS1_3repE0EEENS1_44radix_sort_block_sort_config_static_selectorELNS0_4arch9wavefront6targetE1EEEvSH_.private_seg_size, 0
	.set _ZN7rocprim17ROCPRIM_400000_NS6detail17trampoline_kernelINS0_13kernel_configILj256ELj4ELj4294967295EEENS1_37radix_sort_block_sort_config_selectorIxxEEZNS1_21radix_sort_block_sortIS4_Lb0EN6thrust23THRUST_200600_302600_NS6detail15normal_iteratorINS9_10device_ptrIxEEEESE_SE_SE_NS0_19identity_decomposerEEE10hipError_tT1_T2_T3_T4_jRjT5_jjP12ihipStream_tbEUlT_E_NS1_11comp_targetILNS1_3genE5ELNS1_11target_archE942ELNS1_3gpuE9ELNS1_3repE0EEENS1_44radix_sort_block_sort_config_static_selectorELNS0_4arch9wavefront6targetE1EEEvSH_.uses_vcc, 0
	.set _ZN7rocprim17ROCPRIM_400000_NS6detail17trampoline_kernelINS0_13kernel_configILj256ELj4ELj4294967295EEENS1_37radix_sort_block_sort_config_selectorIxxEEZNS1_21radix_sort_block_sortIS4_Lb0EN6thrust23THRUST_200600_302600_NS6detail15normal_iteratorINS9_10device_ptrIxEEEESE_SE_SE_NS0_19identity_decomposerEEE10hipError_tT1_T2_T3_T4_jRjT5_jjP12ihipStream_tbEUlT_E_NS1_11comp_targetILNS1_3genE5ELNS1_11target_archE942ELNS1_3gpuE9ELNS1_3repE0EEENS1_44radix_sort_block_sort_config_static_selectorELNS0_4arch9wavefront6targetE1EEEvSH_.uses_flat_scratch, 0
	.set _ZN7rocprim17ROCPRIM_400000_NS6detail17trampoline_kernelINS0_13kernel_configILj256ELj4ELj4294967295EEENS1_37radix_sort_block_sort_config_selectorIxxEEZNS1_21radix_sort_block_sortIS4_Lb0EN6thrust23THRUST_200600_302600_NS6detail15normal_iteratorINS9_10device_ptrIxEEEESE_SE_SE_NS0_19identity_decomposerEEE10hipError_tT1_T2_T3_T4_jRjT5_jjP12ihipStream_tbEUlT_E_NS1_11comp_targetILNS1_3genE5ELNS1_11target_archE942ELNS1_3gpuE9ELNS1_3repE0EEENS1_44radix_sort_block_sort_config_static_selectorELNS0_4arch9wavefront6targetE1EEEvSH_.has_dyn_sized_stack, 0
	.set _ZN7rocprim17ROCPRIM_400000_NS6detail17trampoline_kernelINS0_13kernel_configILj256ELj4ELj4294967295EEENS1_37radix_sort_block_sort_config_selectorIxxEEZNS1_21radix_sort_block_sortIS4_Lb0EN6thrust23THRUST_200600_302600_NS6detail15normal_iteratorINS9_10device_ptrIxEEEESE_SE_SE_NS0_19identity_decomposerEEE10hipError_tT1_T2_T3_T4_jRjT5_jjP12ihipStream_tbEUlT_E_NS1_11comp_targetILNS1_3genE5ELNS1_11target_archE942ELNS1_3gpuE9ELNS1_3repE0EEENS1_44radix_sort_block_sort_config_static_selectorELNS0_4arch9wavefront6targetE1EEEvSH_.has_recursion, 0
	.set _ZN7rocprim17ROCPRIM_400000_NS6detail17trampoline_kernelINS0_13kernel_configILj256ELj4ELj4294967295EEENS1_37radix_sort_block_sort_config_selectorIxxEEZNS1_21radix_sort_block_sortIS4_Lb0EN6thrust23THRUST_200600_302600_NS6detail15normal_iteratorINS9_10device_ptrIxEEEESE_SE_SE_NS0_19identity_decomposerEEE10hipError_tT1_T2_T3_T4_jRjT5_jjP12ihipStream_tbEUlT_E_NS1_11comp_targetILNS1_3genE5ELNS1_11target_archE942ELNS1_3gpuE9ELNS1_3repE0EEENS1_44radix_sort_block_sort_config_static_selectorELNS0_4arch9wavefront6targetE1EEEvSH_.has_indirect_call, 0
	.section	.AMDGPU.csdata,"",@progbits
; Kernel info:
; codeLenInByte = 0
; TotalNumSgprs: 6
; NumVgprs: 0
; NumAgprs: 0
; TotalNumVgprs: 0
; ScratchSize: 0
; MemoryBound: 0
; FloatMode: 240
; IeeeMode: 1
; LDSByteSize: 0 bytes/workgroup (compile time only)
; SGPRBlocks: 0
; VGPRBlocks: 0
; NumSGPRsForWavesPerEU: 6
; NumVGPRsForWavesPerEU: 1
; AccumOffset: 4
; Occupancy: 8
; WaveLimiterHint : 0
; COMPUTE_PGM_RSRC2:SCRATCH_EN: 0
; COMPUTE_PGM_RSRC2:USER_SGPR: 2
; COMPUTE_PGM_RSRC2:TRAP_HANDLER: 0
; COMPUTE_PGM_RSRC2:TGID_X_EN: 1
; COMPUTE_PGM_RSRC2:TGID_Y_EN: 0
; COMPUTE_PGM_RSRC2:TGID_Z_EN: 0
; COMPUTE_PGM_RSRC2:TIDIG_COMP_CNT: 0
; COMPUTE_PGM_RSRC3_GFX90A:ACCUM_OFFSET: 0
; COMPUTE_PGM_RSRC3_GFX90A:TG_SPLIT: 0
	.section	.text._ZN7rocprim17ROCPRIM_400000_NS6detail17trampoline_kernelINS0_13kernel_configILj256ELj4ELj4294967295EEENS1_37radix_sort_block_sort_config_selectorIxxEEZNS1_21radix_sort_block_sortIS4_Lb0EN6thrust23THRUST_200600_302600_NS6detail15normal_iteratorINS9_10device_ptrIxEEEESE_SE_SE_NS0_19identity_decomposerEEE10hipError_tT1_T2_T3_T4_jRjT5_jjP12ihipStream_tbEUlT_E_NS1_11comp_targetILNS1_3genE4ELNS1_11target_archE910ELNS1_3gpuE8ELNS1_3repE0EEENS1_44radix_sort_block_sort_config_static_selectorELNS0_4arch9wavefront6targetE1EEEvSH_,"axG",@progbits,_ZN7rocprim17ROCPRIM_400000_NS6detail17trampoline_kernelINS0_13kernel_configILj256ELj4ELj4294967295EEENS1_37radix_sort_block_sort_config_selectorIxxEEZNS1_21radix_sort_block_sortIS4_Lb0EN6thrust23THRUST_200600_302600_NS6detail15normal_iteratorINS9_10device_ptrIxEEEESE_SE_SE_NS0_19identity_decomposerEEE10hipError_tT1_T2_T3_T4_jRjT5_jjP12ihipStream_tbEUlT_E_NS1_11comp_targetILNS1_3genE4ELNS1_11target_archE910ELNS1_3gpuE8ELNS1_3repE0EEENS1_44radix_sort_block_sort_config_static_selectorELNS0_4arch9wavefront6targetE1EEEvSH_,comdat
	.protected	_ZN7rocprim17ROCPRIM_400000_NS6detail17trampoline_kernelINS0_13kernel_configILj256ELj4ELj4294967295EEENS1_37radix_sort_block_sort_config_selectorIxxEEZNS1_21radix_sort_block_sortIS4_Lb0EN6thrust23THRUST_200600_302600_NS6detail15normal_iteratorINS9_10device_ptrIxEEEESE_SE_SE_NS0_19identity_decomposerEEE10hipError_tT1_T2_T3_T4_jRjT5_jjP12ihipStream_tbEUlT_E_NS1_11comp_targetILNS1_3genE4ELNS1_11target_archE910ELNS1_3gpuE8ELNS1_3repE0EEENS1_44radix_sort_block_sort_config_static_selectorELNS0_4arch9wavefront6targetE1EEEvSH_ ; -- Begin function _ZN7rocprim17ROCPRIM_400000_NS6detail17trampoline_kernelINS0_13kernel_configILj256ELj4ELj4294967295EEENS1_37radix_sort_block_sort_config_selectorIxxEEZNS1_21radix_sort_block_sortIS4_Lb0EN6thrust23THRUST_200600_302600_NS6detail15normal_iteratorINS9_10device_ptrIxEEEESE_SE_SE_NS0_19identity_decomposerEEE10hipError_tT1_T2_T3_T4_jRjT5_jjP12ihipStream_tbEUlT_E_NS1_11comp_targetILNS1_3genE4ELNS1_11target_archE910ELNS1_3gpuE8ELNS1_3repE0EEENS1_44radix_sort_block_sort_config_static_selectorELNS0_4arch9wavefront6targetE1EEEvSH_
	.globl	_ZN7rocprim17ROCPRIM_400000_NS6detail17trampoline_kernelINS0_13kernel_configILj256ELj4ELj4294967295EEENS1_37radix_sort_block_sort_config_selectorIxxEEZNS1_21radix_sort_block_sortIS4_Lb0EN6thrust23THRUST_200600_302600_NS6detail15normal_iteratorINS9_10device_ptrIxEEEESE_SE_SE_NS0_19identity_decomposerEEE10hipError_tT1_T2_T3_T4_jRjT5_jjP12ihipStream_tbEUlT_E_NS1_11comp_targetILNS1_3genE4ELNS1_11target_archE910ELNS1_3gpuE8ELNS1_3repE0EEENS1_44radix_sort_block_sort_config_static_selectorELNS0_4arch9wavefront6targetE1EEEvSH_
	.p2align	8
	.type	_ZN7rocprim17ROCPRIM_400000_NS6detail17trampoline_kernelINS0_13kernel_configILj256ELj4ELj4294967295EEENS1_37radix_sort_block_sort_config_selectorIxxEEZNS1_21radix_sort_block_sortIS4_Lb0EN6thrust23THRUST_200600_302600_NS6detail15normal_iteratorINS9_10device_ptrIxEEEESE_SE_SE_NS0_19identity_decomposerEEE10hipError_tT1_T2_T3_T4_jRjT5_jjP12ihipStream_tbEUlT_E_NS1_11comp_targetILNS1_3genE4ELNS1_11target_archE910ELNS1_3gpuE8ELNS1_3repE0EEENS1_44radix_sort_block_sort_config_static_selectorELNS0_4arch9wavefront6targetE1EEEvSH_,@function
_ZN7rocprim17ROCPRIM_400000_NS6detail17trampoline_kernelINS0_13kernel_configILj256ELj4ELj4294967295EEENS1_37radix_sort_block_sort_config_selectorIxxEEZNS1_21radix_sort_block_sortIS4_Lb0EN6thrust23THRUST_200600_302600_NS6detail15normal_iteratorINS9_10device_ptrIxEEEESE_SE_SE_NS0_19identity_decomposerEEE10hipError_tT1_T2_T3_T4_jRjT5_jjP12ihipStream_tbEUlT_E_NS1_11comp_targetILNS1_3genE4ELNS1_11target_archE910ELNS1_3gpuE8ELNS1_3repE0EEENS1_44radix_sort_block_sort_config_static_selectorELNS0_4arch9wavefront6targetE1EEEvSH_: ; @_ZN7rocprim17ROCPRIM_400000_NS6detail17trampoline_kernelINS0_13kernel_configILj256ELj4ELj4294967295EEENS1_37radix_sort_block_sort_config_selectorIxxEEZNS1_21radix_sort_block_sortIS4_Lb0EN6thrust23THRUST_200600_302600_NS6detail15normal_iteratorINS9_10device_ptrIxEEEESE_SE_SE_NS0_19identity_decomposerEEE10hipError_tT1_T2_T3_T4_jRjT5_jjP12ihipStream_tbEUlT_E_NS1_11comp_targetILNS1_3genE4ELNS1_11target_archE910ELNS1_3gpuE8ELNS1_3repE0EEENS1_44radix_sort_block_sort_config_static_selectorELNS0_4arch9wavefront6targetE1EEEvSH_
; %bb.0:
	.section	.rodata,"a",@progbits
	.p2align	6, 0x0
	.amdhsa_kernel _ZN7rocprim17ROCPRIM_400000_NS6detail17trampoline_kernelINS0_13kernel_configILj256ELj4ELj4294967295EEENS1_37radix_sort_block_sort_config_selectorIxxEEZNS1_21radix_sort_block_sortIS4_Lb0EN6thrust23THRUST_200600_302600_NS6detail15normal_iteratorINS9_10device_ptrIxEEEESE_SE_SE_NS0_19identity_decomposerEEE10hipError_tT1_T2_T3_T4_jRjT5_jjP12ihipStream_tbEUlT_E_NS1_11comp_targetILNS1_3genE4ELNS1_11target_archE910ELNS1_3gpuE8ELNS1_3repE0EEENS1_44radix_sort_block_sort_config_static_selectorELNS0_4arch9wavefront6targetE1EEEvSH_
		.amdhsa_group_segment_fixed_size 0
		.amdhsa_private_segment_fixed_size 0
		.amdhsa_kernarg_size 48
		.amdhsa_user_sgpr_count 2
		.amdhsa_user_sgpr_dispatch_ptr 0
		.amdhsa_user_sgpr_queue_ptr 0
		.amdhsa_user_sgpr_kernarg_segment_ptr 1
		.amdhsa_user_sgpr_dispatch_id 0
		.amdhsa_user_sgpr_kernarg_preload_length 0
		.amdhsa_user_sgpr_kernarg_preload_offset 0
		.amdhsa_user_sgpr_private_segment_size 0
		.amdhsa_uses_dynamic_stack 0
		.amdhsa_enable_private_segment 0
		.amdhsa_system_sgpr_workgroup_id_x 1
		.amdhsa_system_sgpr_workgroup_id_y 0
		.amdhsa_system_sgpr_workgroup_id_z 0
		.amdhsa_system_sgpr_workgroup_info 0
		.amdhsa_system_vgpr_workitem_id 0
		.amdhsa_next_free_vgpr 1
		.amdhsa_next_free_sgpr 0
		.amdhsa_accum_offset 4
		.amdhsa_reserve_vcc 0
		.amdhsa_float_round_mode_32 0
		.amdhsa_float_round_mode_16_64 0
		.amdhsa_float_denorm_mode_32 3
		.amdhsa_float_denorm_mode_16_64 3
		.amdhsa_dx10_clamp 1
		.amdhsa_ieee_mode 1
		.amdhsa_fp16_overflow 0
		.amdhsa_tg_split 0
		.amdhsa_exception_fp_ieee_invalid_op 0
		.amdhsa_exception_fp_denorm_src 0
		.amdhsa_exception_fp_ieee_div_zero 0
		.amdhsa_exception_fp_ieee_overflow 0
		.amdhsa_exception_fp_ieee_underflow 0
		.amdhsa_exception_fp_ieee_inexact 0
		.amdhsa_exception_int_div_zero 0
	.end_amdhsa_kernel
	.section	.text._ZN7rocprim17ROCPRIM_400000_NS6detail17trampoline_kernelINS0_13kernel_configILj256ELj4ELj4294967295EEENS1_37radix_sort_block_sort_config_selectorIxxEEZNS1_21radix_sort_block_sortIS4_Lb0EN6thrust23THRUST_200600_302600_NS6detail15normal_iteratorINS9_10device_ptrIxEEEESE_SE_SE_NS0_19identity_decomposerEEE10hipError_tT1_T2_T3_T4_jRjT5_jjP12ihipStream_tbEUlT_E_NS1_11comp_targetILNS1_3genE4ELNS1_11target_archE910ELNS1_3gpuE8ELNS1_3repE0EEENS1_44radix_sort_block_sort_config_static_selectorELNS0_4arch9wavefront6targetE1EEEvSH_,"axG",@progbits,_ZN7rocprim17ROCPRIM_400000_NS6detail17trampoline_kernelINS0_13kernel_configILj256ELj4ELj4294967295EEENS1_37radix_sort_block_sort_config_selectorIxxEEZNS1_21radix_sort_block_sortIS4_Lb0EN6thrust23THRUST_200600_302600_NS6detail15normal_iteratorINS9_10device_ptrIxEEEESE_SE_SE_NS0_19identity_decomposerEEE10hipError_tT1_T2_T3_T4_jRjT5_jjP12ihipStream_tbEUlT_E_NS1_11comp_targetILNS1_3genE4ELNS1_11target_archE910ELNS1_3gpuE8ELNS1_3repE0EEENS1_44radix_sort_block_sort_config_static_selectorELNS0_4arch9wavefront6targetE1EEEvSH_,comdat
.Lfunc_end1049:
	.size	_ZN7rocprim17ROCPRIM_400000_NS6detail17trampoline_kernelINS0_13kernel_configILj256ELj4ELj4294967295EEENS1_37radix_sort_block_sort_config_selectorIxxEEZNS1_21radix_sort_block_sortIS4_Lb0EN6thrust23THRUST_200600_302600_NS6detail15normal_iteratorINS9_10device_ptrIxEEEESE_SE_SE_NS0_19identity_decomposerEEE10hipError_tT1_T2_T3_T4_jRjT5_jjP12ihipStream_tbEUlT_E_NS1_11comp_targetILNS1_3genE4ELNS1_11target_archE910ELNS1_3gpuE8ELNS1_3repE0EEENS1_44radix_sort_block_sort_config_static_selectorELNS0_4arch9wavefront6targetE1EEEvSH_, .Lfunc_end1049-_ZN7rocprim17ROCPRIM_400000_NS6detail17trampoline_kernelINS0_13kernel_configILj256ELj4ELj4294967295EEENS1_37radix_sort_block_sort_config_selectorIxxEEZNS1_21radix_sort_block_sortIS4_Lb0EN6thrust23THRUST_200600_302600_NS6detail15normal_iteratorINS9_10device_ptrIxEEEESE_SE_SE_NS0_19identity_decomposerEEE10hipError_tT1_T2_T3_T4_jRjT5_jjP12ihipStream_tbEUlT_E_NS1_11comp_targetILNS1_3genE4ELNS1_11target_archE910ELNS1_3gpuE8ELNS1_3repE0EEENS1_44radix_sort_block_sort_config_static_selectorELNS0_4arch9wavefront6targetE1EEEvSH_
                                        ; -- End function
	.set _ZN7rocprim17ROCPRIM_400000_NS6detail17trampoline_kernelINS0_13kernel_configILj256ELj4ELj4294967295EEENS1_37radix_sort_block_sort_config_selectorIxxEEZNS1_21radix_sort_block_sortIS4_Lb0EN6thrust23THRUST_200600_302600_NS6detail15normal_iteratorINS9_10device_ptrIxEEEESE_SE_SE_NS0_19identity_decomposerEEE10hipError_tT1_T2_T3_T4_jRjT5_jjP12ihipStream_tbEUlT_E_NS1_11comp_targetILNS1_3genE4ELNS1_11target_archE910ELNS1_3gpuE8ELNS1_3repE0EEENS1_44radix_sort_block_sort_config_static_selectorELNS0_4arch9wavefront6targetE1EEEvSH_.num_vgpr, 0
	.set _ZN7rocprim17ROCPRIM_400000_NS6detail17trampoline_kernelINS0_13kernel_configILj256ELj4ELj4294967295EEENS1_37radix_sort_block_sort_config_selectorIxxEEZNS1_21radix_sort_block_sortIS4_Lb0EN6thrust23THRUST_200600_302600_NS6detail15normal_iteratorINS9_10device_ptrIxEEEESE_SE_SE_NS0_19identity_decomposerEEE10hipError_tT1_T2_T3_T4_jRjT5_jjP12ihipStream_tbEUlT_E_NS1_11comp_targetILNS1_3genE4ELNS1_11target_archE910ELNS1_3gpuE8ELNS1_3repE0EEENS1_44radix_sort_block_sort_config_static_selectorELNS0_4arch9wavefront6targetE1EEEvSH_.num_agpr, 0
	.set _ZN7rocprim17ROCPRIM_400000_NS6detail17trampoline_kernelINS0_13kernel_configILj256ELj4ELj4294967295EEENS1_37radix_sort_block_sort_config_selectorIxxEEZNS1_21radix_sort_block_sortIS4_Lb0EN6thrust23THRUST_200600_302600_NS6detail15normal_iteratorINS9_10device_ptrIxEEEESE_SE_SE_NS0_19identity_decomposerEEE10hipError_tT1_T2_T3_T4_jRjT5_jjP12ihipStream_tbEUlT_E_NS1_11comp_targetILNS1_3genE4ELNS1_11target_archE910ELNS1_3gpuE8ELNS1_3repE0EEENS1_44radix_sort_block_sort_config_static_selectorELNS0_4arch9wavefront6targetE1EEEvSH_.numbered_sgpr, 0
	.set _ZN7rocprim17ROCPRIM_400000_NS6detail17trampoline_kernelINS0_13kernel_configILj256ELj4ELj4294967295EEENS1_37radix_sort_block_sort_config_selectorIxxEEZNS1_21radix_sort_block_sortIS4_Lb0EN6thrust23THRUST_200600_302600_NS6detail15normal_iteratorINS9_10device_ptrIxEEEESE_SE_SE_NS0_19identity_decomposerEEE10hipError_tT1_T2_T3_T4_jRjT5_jjP12ihipStream_tbEUlT_E_NS1_11comp_targetILNS1_3genE4ELNS1_11target_archE910ELNS1_3gpuE8ELNS1_3repE0EEENS1_44radix_sort_block_sort_config_static_selectorELNS0_4arch9wavefront6targetE1EEEvSH_.num_named_barrier, 0
	.set _ZN7rocprim17ROCPRIM_400000_NS6detail17trampoline_kernelINS0_13kernel_configILj256ELj4ELj4294967295EEENS1_37radix_sort_block_sort_config_selectorIxxEEZNS1_21radix_sort_block_sortIS4_Lb0EN6thrust23THRUST_200600_302600_NS6detail15normal_iteratorINS9_10device_ptrIxEEEESE_SE_SE_NS0_19identity_decomposerEEE10hipError_tT1_T2_T3_T4_jRjT5_jjP12ihipStream_tbEUlT_E_NS1_11comp_targetILNS1_3genE4ELNS1_11target_archE910ELNS1_3gpuE8ELNS1_3repE0EEENS1_44radix_sort_block_sort_config_static_selectorELNS0_4arch9wavefront6targetE1EEEvSH_.private_seg_size, 0
	.set _ZN7rocprim17ROCPRIM_400000_NS6detail17trampoline_kernelINS0_13kernel_configILj256ELj4ELj4294967295EEENS1_37radix_sort_block_sort_config_selectorIxxEEZNS1_21radix_sort_block_sortIS4_Lb0EN6thrust23THRUST_200600_302600_NS6detail15normal_iteratorINS9_10device_ptrIxEEEESE_SE_SE_NS0_19identity_decomposerEEE10hipError_tT1_T2_T3_T4_jRjT5_jjP12ihipStream_tbEUlT_E_NS1_11comp_targetILNS1_3genE4ELNS1_11target_archE910ELNS1_3gpuE8ELNS1_3repE0EEENS1_44radix_sort_block_sort_config_static_selectorELNS0_4arch9wavefront6targetE1EEEvSH_.uses_vcc, 0
	.set _ZN7rocprim17ROCPRIM_400000_NS6detail17trampoline_kernelINS0_13kernel_configILj256ELj4ELj4294967295EEENS1_37radix_sort_block_sort_config_selectorIxxEEZNS1_21radix_sort_block_sortIS4_Lb0EN6thrust23THRUST_200600_302600_NS6detail15normal_iteratorINS9_10device_ptrIxEEEESE_SE_SE_NS0_19identity_decomposerEEE10hipError_tT1_T2_T3_T4_jRjT5_jjP12ihipStream_tbEUlT_E_NS1_11comp_targetILNS1_3genE4ELNS1_11target_archE910ELNS1_3gpuE8ELNS1_3repE0EEENS1_44radix_sort_block_sort_config_static_selectorELNS0_4arch9wavefront6targetE1EEEvSH_.uses_flat_scratch, 0
	.set _ZN7rocprim17ROCPRIM_400000_NS6detail17trampoline_kernelINS0_13kernel_configILj256ELj4ELj4294967295EEENS1_37radix_sort_block_sort_config_selectorIxxEEZNS1_21radix_sort_block_sortIS4_Lb0EN6thrust23THRUST_200600_302600_NS6detail15normal_iteratorINS9_10device_ptrIxEEEESE_SE_SE_NS0_19identity_decomposerEEE10hipError_tT1_T2_T3_T4_jRjT5_jjP12ihipStream_tbEUlT_E_NS1_11comp_targetILNS1_3genE4ELNS1_11target_archE910ELNS1_3gpuE8ELNS1_3repE0EEENS1_44radix_sort_block_sort_config_static_selectorELNS0_4arch9wavefront6targetE1EEEvSH_.has_dyn_sized_stack, 0
	.set _ZN7rocprim17ROCPRIM_400000_NS6detail17trampoline_kernelINS0_13kernel_configILj256ELj4ELj4294967295EEENS1_37radix_sort_block_sort_config_selectorIxxEEZNS1_21radix_sort_block_sortIS4_Lb0EN6thrust23THRUST_200600_302600_NS6detail15normal_iteratorINS9_10device_ptrIxEEEESE_SE_SE_NS0_19identity_decomposerEEE10hipError_tT1_T2_T3_T4_jRjT5_jjP12ihipStream_tbEUlT_E_NS1_11comp_targetILNS1_3genE4ELNS1_11target_archE910ELNS1_3gpuE8ELNS1_3repE0EEENS1_44radix_sort_block_sort_config_static_selectorELNS0_4arch9wavefront6targetE1EEEvSH_.has_recursion, 0
	.set _ZN7rocprim17ROCPRIM_400000_NS6detail17trampoline_kernelINS0_13kernel_configILj256ELj4ELj4294967295EEENS1_37radix_sort_block_sort_config_selectorIxxEEZNS1_21radix_sort_block_sortIS4_Lb0EN6thrust23THRUST_200600_302600_NS6detail15normal_iteratorINS9_10device_ptrIxEEEESE_SE_SE_NS0_19identity_decomposerEEE10hipError_tT1_T2_T3_T4_jRjT5_jjP12ihipStream_tbEUlT_E_NS1_11comp_targetILNS1_3genE4ELNS1_11target_archE910ELNS1_3gpuE8ELNS1_3repE0EEENS1_44radix_sort_block_sort_config_static_selectorELNS0_4arch9wavefront6targetE1EEEvSH_.has_indirect_call, 0
	.section	.AMDGPU.csdata,"",@progbits
; Kernel info:
; codeLenInByte = 0
; TotalNumSgprs: 6
; NumVgprs: 0
; NumAgprs: 0
; TotalNumVgprs: 0
; ScratchSize: 0
; MemoryBound: 0
; FloatMode: 240
; IeeeMode: 1
; LDSByteSize: 0 bytes/workgroup (compile time only)
; SGPRBlocks: 0
; VGPRBlocks: 0
; NumSGPRsForWavesPerEU: 6
; NumVGPRsForWavesPerEU: 1
; AccumOffset: 4
; Occupancy: 8
; WaveLimiterHint : 0
; COMPUTE_PGM_RSRC2:SCRATCH_EN: 0
; COMPUTE_PGM_RSRC2:USER_SGPR: 2
; COMPUTE_PGM_RSRC2:TRAP_HANDLER: 0
; COMPUTE_PGM_RSRC2:TGID_X_EN: 1
; COMPUTE_PGM_RSRC2:TGID_Y_EN: 0
; COMPUTE_PGM_RSRC2:TGID_Z_EN: 0
; COMPUTE_PGM_RSRC2:TIDIG_COMP_CNT: 0
; COMPUTE_PGM_RSRC3_GFX90A:ACCUM_OFFSET: 0
; COMPUTE_PGM_RSRC3_GFX90A:TG_SPLIT: 0
	.section	.text._ZN7rocprim17ROCPRIM_400000_NS6detail17trampoline_kernelINS0_13kernel_configILj256ELj4ELj4294967295EEENS1_37radix_sort_block_sort_config_selectorIxxEEZNS1_21radix_sort_block_sortIS4_Lb0EN6thrust23THRUST_200600_302600_NS6detail15normal_iteratorINS9_10device_ptrIxEEEESE_SE_SE_NS0_19identity_decomposerEEE10hipError_tT1_T2_T3_T4_jRjT5_jjP12ihipStream_tbEUlT_E_NS1_11comp_targetILNS1_3genE3ELNS1_11target_archE908ELNS1_3gpuE7ELNS1_3repE0EEENS1_44radix_sort_block_sort_config_static_selectorELNS0_4arch9wavefront6targetE1EEEvSH_,"axG",@progbits,_ZN7rocprim17ROCPRIM_400000_NS6detail17trampoline_kernelINS0_13kernel_configILj256ELj4ELj4294967295EEENS1_37radix_sort_block_sort_config_selectorIxxEEZNS1_21radix_sort_block_sortIS4_Lb0EN6thrust23THRUST_200600_302600_NS6detail15normal_iteratorINS9_10device_ptrIxEEEESE_SE_SE_NS0_19identity_decomposerEEE10hipError_tT1_T2_T3_T4_jRjT5_jjP12ihipStream_tbEUlT_E_NS1_11comp_targetILNS1_3genE3ELNS1_11target_archE908ELNS1_3gpuE7ELNS1_3repE0EEENS1_44radix_sort_block_sort_config_static_selectorELNS0_4arch9wavefront6targetE1EEEvSH_,comdat
	.protected	_ZN7rocprim17ROCPRIM_400000_NS6detail17trampoline_kernelINS0_13kernel_configILj256ELj4ELj4294967295EEENS1_37radix_sort_block_sort_config_selectorIxxEEZNS1_21radix_sort_block_sortIS4_Lb0EN6thrust23THRUST_200600_302600_NS6detail15normal_iteratorINS9_10device_ptrIxEEEESE_SE_SE_NS0_19identity_decomposerEEE10hipError_tT1_T2_T3_T4_jRjT5_jjP12ihipStream_tbEUlT_E_NS1_11comp_targetILNS1_3genE3ELNS1_11target_archE908ELNS1_3gpuE7ELNS1_3repE0EEENS1_44radix_sort_block_sort_config_static_selectorELNS0_4arch9wavefront6targetE1EEEvSH_ ; -- Begin function _ZN7rocprim17ROCPRIM_400000_NS6detail17trampoline_kernelINS0_13kernel_configILj256ELj4ELj4294967295EEENS1_37radix_sort_block_sort_config_selectorIxxEEZNS1_21radix_sort_block_sortIS4_Lb0EN6thrust23THRUST_200600_302600_NS6detail15normal_iteratorINS9_10device_ptrIxEEEESE_SE_SE_NS0_19identity_decomposerEEE10hipError_tT1_T2_T3_T4_jRjT5_jjP12ihipStream_tbEUlT_E_NS1_11comp_targetILNS1_3genE3ELNS1_11target_archE908ELNS1_3gpuE7ELNS1_3repE0EEENS1_44radix_sort_block_sort_config_static_selectorELNS0_4arch9wavefront6targetE1EEEvSH_
	.globl	_ZN7rocprim17ROCPRIM_400000_NS6detail17trampoline_kernelINS0_13kernel_configILj256ELj4ELj4294967295EEENS1_37radix_sort_block_sort_config_selectorIxxEEZNS1_21radix_sort_block_sortIS4_Lb0EN6thrust23THRUST_200600_302600_NS6detail15normal_iteratorINS9_10device_ptrIxEEEESE_SE_SE_NS0_19identity_decomposerEEE10hipError_tT1_T2_T3_T4_jRjT5_jjP12ihipStream_tbEUlT_E_NS1_11comp_targetILNS1_3genE3ELNS1_11target_archE908ELNS1_3gpuE7ELNS1_3repE0EEENS1_44radix_sort_block_sort_config_static_selectorELNS0_4arch9wavefront6targetE1EEEvSH_
	.p2align	8
	.type	_ZN7rocprim17ROCPRIM_400000_NS6detail17trampoline_kernelINS0_13kernel_configILj256ELj4ELj4294967295EEENS1_37radix_sort_block_sort_config_selectorIxxEEZNS1_21radix_sort_block_sortIS4_Lb0EN6thrust23THRUST_200600_302600_NS6detail15normal_iteratorINS9_10device_ptrIxEEEESE_SE_SE_NS0_19identity_decomposerEEE10hipError_tT1_T2_T3_T4_jRjT5_jjP12ihipStream_tbEUlT_E_NS1_11comp_targetILNS1_3genE3ELNS1_11target_archE908ELNS1_3gpuE7ELNS1_3repE0EEENS1_44radix_sort_block_sort_config_static_selectorELNS0_4arch9wavefront6targetE1EEEvSH_,@function
_ZN7rocprim17ROCPRIM_400000_NS6detail17trampoline_kernelINS0_13kernel_configILj256ELj4ELj4294967295EEENS1_37radix_sort_block_sort_config_selectorIxxEEZNS1_21radix_sort_block_sortIS4_Lb0EN6thrust23THRUST_200600_302600_NS6detail15normal_iteratorINS9_10device_ptrIxEEEESE_SE_SE_NS0_19identity_decomposerEEE10hipError_tT1_T2_T3_T4_jRjT5_jjP12ihipStream_tbEUlT_E_NS1_11comp_targetILNS1_3genE3ELNS1_11target_archE908ELNS1_3gpuE7ELNS1_3repE0EEENS1_44radix_sort_block_sort_config_static_selectorELNS0_4arch9wavefront6targetE1EEEvSH_: ; @_ZN7rocprim17ROCPRIM_400000_NS6detail17trampoline_kernelINS0_13kernel_configILj256ELj4ELj4294967295EEENS1_37radix_sort_block_sort_config_selectorIxxEEZNS1_21radix_sort_block_sortIS4_Lb0EN6thrust23THRUST_200600_302600_NS6detail15normal_iteratorINS9_10device_ptrIxEEEESE_SE_SE_NS0_19identity_decomposerEEE10hipError_tT1_T2_T3_T4_jRjT5_jjP12ihipStream_tbEUlT_E_NS1_11comp_targetILNS1_3genE3ELNS1_11target_archE908ELNS1_3gpuE7ELNS1_3repE0EEENS1_44radix_sort_block_sort_config_static_selectorELNS0_4arch9wavefront6targetE1EEEvSH_
; %bb.0:
	.section	.rodata,"a",@progbits
	.p2align	6, 0x0
	.amdhsa_kernel _ZN7rocprim17ROCPRIM_400000_NS6detail17trampoline_kernelINS0_13kernel_configILj256ELj4ELj4294967295EEENS1_37radix_sort_block_sort_config_selectorIxxEEZNS1_21radix_sort_block_sortIS4_Lb0EN6thrust23THRUST_200600_302600_NS6detail15normal_iteratorINS9_10device_ptrIxEEEESE_SE_SE_NS0_19identity_decomposerEEE10hipError_tT1_T2_T3_T4_jRjT5_jjP12ihipStream_tbEUlT_E_NS1_11comp_targetILNS1_3genE3ELNS1_11target_archE908ELNS1_3gpuE7ELNS1_3repE0EEENS1_44radix_sort_block_sort_config_static_selectorELNS0_4arch9wavefront6targetE1EEEvSH_
		.amdhsa_group_segment_fixed_size 0
		.amdhsa_private_segment_fixed_size 0
		.amdhsa_kernarg_size 48
		.amdhsa_user_sgpr_count 2
		.amdhsa_user_sgpr_dispatch_ptr 0
		.amdhsa_user_sgpr_queue_ptr 0
		.amdhsa_user_sgpr_kernarg_segment_ptr 1
		.amdhsa_user_sgpr_dispatch_id 0
		.amdhsa_user_sgpr_kernarg_preload_length 0
		.amdhsa_user_sgpr_kernarg_preload_offset 0
		.amdhsa_user_sgpr_private_segment_size 0
		.amdhsa_uses_dynamic_stack 0
		.amdhsa_enable_private_segment 0
		.amdhsa_system_sgpr_workgroup_id_x 1
		.amdhsa_system_sgpr_workgroup_id_y 0
		.amdhsa_system_sgpr_workgroup_id_z 0
		.amdhsa_system_sgpr_workgroup_info 0
		.amdhsa_system_vgpr_workitem_id 0
		.amdhsa_next_free_vgpr 1
		.amdhsa_next_free_sgpr 0
		.amdhsa_accum_offset 4
		.amdhsa_reserve_vcc 0
		.amdhsa_float_round_mode_32 0
		.amdhsa_float_round_mode_16_64 0
		.amdhsa_float_denorm_mode_32 3
		.amdhsa_float_denorm_mode_16_64 3
		.amdhsa_dx10_clamp 1
		.amdhsa_ieee_mode 1
		.amdhsa_fp16_overflow 0
		.amdhsa_tg_split 0
		.amdhsa_exception_fp_ieee_invalid_op 0
		.amdhsa_exception_fp_denorm_src 0
		.amdhsa_exception_fp_ieee_div_zero 0
		.amdhsa_exception_fp_ieee_overflow 0
		.amdhsa_exception_fp_ieee_underflow 0
		.amdhsa_exception_fp_ieee_inexact 0
		.amdhsa_exception_int_div_zero 0
	.end_amdhsa_kernel
	.section	.text._ZN7rocprim17ROCPRIM_400000_NS6detail17trampoline_kernelINS0_13kernel_configILj256ELj4ELj4294967295EEENS1_37radix_sort_block_sort_config_selectorIxxEEZNS1_21radix_sort_block_sortIS4_Lb0EN6thrust23THRUST_200600_302600_NS6detail15normal_iteratorINS9_10device_ptrIxEEEESE_SE_SE_NS0_19identity_decomposerEEE10hipError_tT1_T2_T3_T4_jRjT5_jjP12ihipStream_tbEUlT_E_NS1_11comp_targetILNS1_3genE3ELNS1_11target_archE908ELNS1_3gpuE7ELNS1_3repE0EEENS1_44radix_sort_block_sort_config_static_selectorELNS0_4arch9wavefront6targetE1EEEvSH_,"axG",@progbits,_ZN7rocprim17ROCPRIM_400000_NS6detail17trampoline_kernelINS0_13kernel_configILj256ELj4ELj4294967295EEENS1_37radix_sort_block_sort_config_selectorIxxEEZNS1_21radix_sort_block_sortIS4_Lb0EN6thrust23THRUST_200600_302600_NS6detail15normal_iteratorINS9_10device_ptrIxEEEESE_SE_SE_NS0_19identity_decomposerEEE10hipError_tT1_T2_T3_T4_jRjT5_jjP12ihipStream_tbEUlT_E_NS1_11comp_targetILNS1_3genE3ELNS1_11target_archE908ELNS1_3gpuE7ELNS1_3repE0EEENS1_44radix_sort_block_sort_config_static_selectorELNS0_4arch9wavefront6targetE1EEEvSH_,comdat
.Lfunc_end1050:
	.size	_ZN7rocprim17ROCPRIM_400000_NS6detail17trampoline_kernelINS0_13kernel_configILj256ELj4ELj4294967295EEENS1_37radix_sort_block_sort_config_selectorIxxEEZNS1_21radix_sort_block_sortIS4_Lb0EN6thrust23THRUST_200600_302600_NS6detail15normal_iteratorINS9_10device_ptrIxEEEESE_SE_SE_NS0_19identity_decomposerEEE10hipError_tT1_T2_T3_T4_jRjT5_jjP12ihipStream_tbEUlT_E_NS1_11comp_targetILNS1_3genE3ELNS1_11target_archE908ELNS1_3gpuE7ELNS1_3repE0EEENS1_44radix_sort_block_sort_config_static_selectorELNS0_4arch9wavefront6targetE1EEEvSH_, .Lfunc_end1050-_ZN7rocprim17ROCPRIM_400000_NS6detail17trampoline_kernelINS0_13kernel_configILj256ELj4ELj4294967295EEENS1_37radix_sort_block_sort_config_selectorIxxEEZNS1_21radix_sort_block_sortIS4_Lb0EN6thrust23THRUST_200600_302600_NS6detail15normal_iteratorINS9_10device_ptrIxEEEESE_SE_SE_NS0_19identity_decomposerEEE10hipError_tT1_T2_T3_T4_jRjT5_jjP12ihipStream_tbEUlT_E_NS1_11comp_targetILNS1_3genE3ELNS1_11target_archE908ELNS1_3gpuE7ELNS1_3repE0EEENS1_44radix_sort_block_sort_config_static_selectorELNS0_4arch9wavefront6targetE1EEEvSH_
                                        ; -- End function
	.set _ZN7rocprim17ROCPRIM_400000_NS6detail17trampoline_kernelINS0_13kernel_configILj256ELj4ELj4294967295EEENS1_37radix_sort_block_sort_config_selectorIxxEEZNS1_21radix_sort_block_sortIS4_Lb0EN6thrust23THRUST_200600_302600_NS6detail15normal_iteratorINS9_10device_ptrIxEEEESE_SE_SE_NS0_19identity_decomposerEEE10hipError_tT1_T2_T3_T4_jRjT5_jjP12ihipStream_tbEUlT_E_NS1_11comp_targetILNS1_3genE3ELNS1_11target_archE908ELNS1_3gpuE7ELNS1_3repE0EEENS1_44radix_sort_block_sort_config_static_selectorELNS0_4arch9wavefront6targetE1EEEvSH_.num_vgpr, 0
	.set _ZN7rocprim17ROCPRIM_400000_NS6detail17trampoline_kernelINS0_13kernel_configILj256ELj4ELj4294967295EEENS1_37radix_sort_block_sort_config_selectorIxxEEZNS1_21radix_sort_block_sortIS4_Lb0EN6thrust23THRUST_200600_302600_NS6detail15normal_iteratorINS9_10device_ptrIxEEEESE_SE_SE_NS0_19identity_decomposerEEE10hipError_tT1_T2_T3_T4_jRjT5_jjP12ihipStream_tbEUlT_E_NS1_11comp_targetILNS1_3genE3ELNS1_11target_archE908ELNS1_3gpuE7ELNS1_3repE0EEENS1_44radix_sort_block_sort_config_static_selectorELNS0_4arch9wavefront6targetE1EEEvSH_.num_agpr, 0
	.set _ZN7rocprim17ROCPRIM_400000_NS6detail17trampoline_kernelINS0_13kernel_configILj256ELj4ELj4294967295EEENS1_37radix_sort_block_sort_config_selectorIxxEEZNS1_21radix_sort_block_sortIS4_Lb0EN6thrust23THRUST_200600_302600_NS6detail15normal_iteratorINS9_10device_ptrIxEEEESE_SE_SE_NS0_19identity_decomposerEEE10hipError_tT1_T2_T3_T4_jRjT5_jjP12ihipStream_tbEUlT_E_NS1_11comp_targetILNS1_3genE3ELNS1_11target_archE908ELNS1_3gpuE7ELNS1_3repE0EEENS1_44radix_sort_block_sort_config_static_selectorELNS0_4arch9wavefront6targetE1EEEvSH_.numbered_sgpr, 0
	.set _ZN7rocprim17ROCPRIM_400000_NS6detail17trampoline_kernelINS0_13kernel_configILj256ELj4ELj4294967295EEENS1_37radix_sort_block_sort_config_selectorIxxEEZNS1_21radix_sort_block_sortIS4_Lb0EN6thrust23THRUST_200600_302600_NS6detail15normal_iteratorINS9_10device_ptrIxEEEESE_SE_SE_NS0_19identity_decomposerEEE10hipError_tT1_T2_T3_T4_jRjT5_jjP12ihipStream_tbEUlT_E_NS1_11comp_targetILNS1_3genE3ELNS1_11target_archE908ELNS1_3gpuE7ELNS1_3repE0EEENS1_44radix_sort_block_sort_config_static_selectorELNS0_4arch9wavefront6targetE1EEEvSH_.num_named_barrier, 0
	.set _ZN7rocprim17ROCPRIM_400000_NS6detail17trampoline_kernelINS0_13kernel_configILj256ELj4ELj4294967295EEENS1_37radix_sort_block_sort_config_selectorIxxEEZNS1_21radix_sort_block_sortIS4_Lb0EN6thrust23THRUST_200600_302600_NS6detail15normal_iteratorINS9_10device_ptrIxEEEESE_SE_SE_NS0_19identity_decomposerEEE10hipError_tT1_T2_T3_T4_jRjT5_jjP12ihipStream_tbEUlT_E_NS1_11comp_targetILNS1_3genE3ELNS1_11target_archE908ELNS1_3gpuE7ELNS1_3repE0EEENS1_44radix_sort_block_sort_config_static_selectorELNS0_4arch9wavefront6targetE1EEEvSH_.private_seg_size, 0
	.set _ZN7rocprim17ROCPRIM_400000_NS6detail17trampoline_kernelINS0_13kernel_configILj256ELj4ELj4294967295EEENS1_37radix_sort_block_sort_config_selectorIxxEEZNS1_21radix_sort_block_sortIS4_Lb0EN6thrust23THRUST_200600_302600_NS6detail15normal_iteratorINS9_10device_ptrIxEEEESE_SE_SE_NS0_19identity_decomposerEEE10hipError_tT1_T2_T3_T4_jRjT5_jjP12ihipStream_tbEUlT_E_NS1_11comp_targetILNS1_3genE3ELNS1_11target_archE908ELNS1_3gpuE7ELNS1_3repE0EEENS1_44radix_sort_block_sort_config_static_selectorELNS0_4arch9wavefront6targetE1EEEvSH_.uses_vcc, 0
	.set _ZN7rocprim17ROCPRIM_400000_NS6detail17trampoline_kernelINS0_13kernel_configILj256ELj4ELj4294967295EEENS1_37radix_sort_block_sort_config_selectorIxxEEZNS1_21radix_sort_block_sortIS4_Lb0EN6thrust23THRUST_200600_302600_NS6detail15normal_iteratorINS9_10device_ptrIxEEEESE_SE_SE_NS0_19identity_decomposerEEE10hipError_tT1_T2_T3_T4_jRjT5_jjP12ihipStream_tbEUlT_E_NS1_11comp_targetILNS1_3genE3ELNS1_11target_archE908ELNS1_3gpuE7ELNS1_3repE0EEENS1_44radix_sort_block_sort_config_static_selectorELNS0_4arch9wavefront6targetE1EEEvSH_.uses_flat_scratch, 0
	.set _ZN7rocprim17ROCPRIM_400000_NS6detail17trampoline_kernelINS0_13kernel_configILj256ELj4ELj4294967295EEENS1_37radix_sort_block_sort_config_selectorIxxEEZNS1_21radix_sort_block_sortIS4_Lb0EN6thrust23THRUST_200600_302600_NS6detail15normal_iteratorINS9_10device_ptrIxEEEESE_SE_SE_NS0_19identity_decomposerEEE10hipError_tT1_T2_T3_T4_jRjT5_jjP12ihipStream_tbEUlT_E_NS1_11comp_targetILNS1_3genE3ELNS1_11target_archE908ELNS1_3gpuE7ELNS1_3repE0EEENS1_44radix_sort_block_sort_config_static_selectorELNS0_4arch9wavefront6targetE1EEEvSH_.has_dyn_sized_stack, 0
	.set _ZN7rocprim17ROCPRIM_400000_NS6detail17trampoline_kernelINS0_13kernel_configILj256ELj4ELj4294967295EEENS1_37radix_sort_block_sort_config_selectorIxxEEZNS1_21radix_sort_block_sortIS4_Lb0EN6thrust23THRUST_200600_302600_NS6detail15normal_iteratorINS9_10device_ptrIxEEEESE_SE_SE_NS0_19identity_decomposerEEE10hipError_tT1_T2_T3_T4_jRjT5_jjP12ihipStream_tbEUlT_E_NS1_11comp_targetILNS1_3genE3ELNS1_11target_archE908ELNS1_3gpuE7ELNS1_3repE0EEENS1_44radix_sort_block_sort_config_static_selectorELNS0_4arch9wavefront6targetE1EEEvSH_.has_recursion, 0
	.set _ZN7rocprim17ROCPRIM_400000_NS6detail17trampoline_kernelINS0_13kernel_configILj256ELj4ELj4294967295EEENS1_37radix_sort_block_sort_config_selectorIxxEEZNS1_21radix_sort_block_sortIS4_Lb0EN6thrust23THRUST_200600_302600_NS6detail15normal_iteratorINS9_10device_ptrIxEEEESE_SE_SE_NS0_19identity_decomposerEEE10hipError_tT1_T2_T3_T4_jRjT5_jjP12ihipStream_tbEUlT_E_NS1_11comp_targetILNS1_3genE3ELNS1_11target_archE908ELNS1_3gpuE7ELNS1_3repE0EEENS1_44radix_sort_block_sort_config_static_selectorELNS0_4arch9wavefront6targetE1EEEvSH_.has_indirect_call, 0
	.section	.AMDGPU.csdata,"",@progbits
; Kernel info:
; codeLenInByte = 0
; TotalNumSgprs: 6
; NumVgprs: 0
; NumAgprs: 0
; TotalNumVgprs: 0
; ScratchSize: 0
; MemoryBound: 0
; FloatMode: 240
; IeeeMode: 1
; LDSByteSize: 0 bytes/workgroup (compile time only)
; SGPRBlocks: 0
; VGPRBlocks: 0
; NumSGPRsForWavesPerEU: 6
; NumVGPRsForWavesPerEU: 1
; AccumOffset: 4
; Occupancy: 8
; WaveLimiterHint : 0
; COMPUTE_PGM_RSRC2:SCRATCH_EN: 0
; COMPUTE_PGM_RSRC2:USER_SGPR: 2
; COMPUTE_PGM_RSRC2:TRAP_HANDLER: 0
; COMPUTE_PGM_RSRC2:TGID_X_EN: 1
; COMPUTE_PGM_RSRC2:TGID_Y_EN: 0
; COMPUTE_PGM_RSRC2:TGID_Z_EN: 0
; COMPUTE_PGM_RSRC2:TIDIG_COMP_CNT: 0
; COMPUTE_PGM_RSRC3_GFX90A:ACCUM_OFFSET: 0
; COMPUTE_PGM_RSRC3_GFX90A:TG_SPLIT: 0
	.section	.text._ZN7rocprim17ROCPRIM_400000_NS6detail17trampoline_kernelINS0_13kernel_configILj256ELj4ELj4294967295EEENS1_37radix_sort_block_sort_config_selectorIxxEEZNS1_21radix_sort_block_sortIS4_Lb0EN6thrust23THRUST_200600_302600_NS6detail15normal_iteratorINS9_10device_ptrIxEEEESE_SE_SE_NS0_19identity_decomposerEEE10hipError_tT1_T2_T3_T4_jRjT5_jjP12ihipStream_tbEUlT_E_NS1_11comp_targetILNS1_3genE2ELNS1_11target_archE906ELNS1_3gpuE6ELNS1_3repE0EEENS1_44radix_sort_block_sort_config_static_selectorELNS0_4arch9wavefront6targetE1EEEvSH_,"axG",@progbits,_ZN7rocprim17ROCPRIM_400000_NS6detail17trampoline_kernelINS0_13kernel_configILj256ELj4ELj4294967295EEENS1_37radix_sort_block_sort_config_selectorIxxEEZNS1_21radix_sort_block_sortIS4_Lb0EN6thrust23THRUST_200600_302600_NS6detail15normal_iteratorINS9_10device_ptrIxEEEESE_SE_SE_NS0_19identity_decomposerEEE10hipError_tT1_T2_T3_T4_jRjT5_jjP12ihipStream_tbEUlT_E_NS1_11comp_targetILNS1_3genE2ELNS1_11target_archE906ELNS1_3gpuE6ELNS1_3repE0EEENS1_44radix_sort_block_sort_config_static_selectorELNS0_4arch9wavefront6targetE1EEEvSH_,comdat
	.protected	_ZN7rocprim17ROCPRIM_400000_NS6detail17trampoline_kernelINS0_13kernel_configILj256ELj4ELj4294967295EEENS1_37radix_sort_block_sort_config_selectorIxxEEZNS1_21radix_sort_block_sortIS4_Lb0EN6thrust23THRUST_200600_302600_NS6detail15normal_iteratorINS9_10device_ptrIxEEEESE_SE_SE_NS0_19identity_decomposerEEE10hipError_tT1_T2_T3_T4_jRjT5_jjP12ihipStream_tbEUlT_E_NS1_11comp_targetILNS1_3genE2ELNS1_11target_archE906ELNS1_3gpuE6ELNS1_3repE0EEENS1_44radix_sort_block_sort_config_static_selectorELNS0_4arch9wavefront6targetE1EEEvSH_ ; -- Begin function _ZN7rocprim17ROCPRIM_400000_NS6detail17trampoline_kernelINS0_13kernel_configILj256ELj4ELj4294967295EEENS1_37radix_sort_block_sort_config_selectorIxxEEZNS1_21radix_sort_block_sortIS4_Lb0EN6thrust23THRUST_200600_302600_NS6detail15normal_iteratorINS9_10device_ptrIxEEEESE_SE_SE_NS0_19identity_decomposerEEE10hipError_tT1_T2_T3_T4_jRjT5_jjP12ihipStream_tbEUlT_E_NS1_11comp_targetILNS1_3genE2ELNS1_11target_archE906ELNS1_3gpuE6ELNS1_3repE0EEENS1_44radix_sort_block_sort_config_static_selectorELNS0_4arch9wavefront6targetE1EEEvSH_
	.globl	_ZN7rocprim17ROCPRIM_400000_NS6detail17trampoline_kernelINS0_13kernel_configILj256ELj4ELj4294967295EEENS1_37radix_sort_block_sort_config_selectorIxxEEZNS1_21radix_sort_block_sortIS4_Lb0EN6thrust23THRUST_200600_302600_NS6detail15normal_iteratorINS9_10device_ptrIxEEEESE_SE_SE_NS0_19identity_decomposerEEE10hipError_tT1_T2_T3_T4_jRjT5_jjP12ihipStream_tbEUlT_E_NS1_11comp_targetILNS1_3genE2ELNS1_11target_archE906ELNS1_3gpuE6ELNS1_3repE0EEENS1_44radix_sort_block_sort_config_static_selectorELNS0_4arch9wavefront6targetE1EEEvSH_
	.p2align	8
	.type	_ZN7rocprim17ROCPRIM_400000_NS6detail17trampoline_kernelINS0_13kernel_configILj256ELj4ELj4294967295EEENS1_37radix_sort_block_sort_config_selectorIxxEEZNS1_21radix_sort_block_sortIS4_Lb0EN6thrust23THRUST_200600_302600_NS6detail15normal_iteratorINS9_10device_ptrIxEEEESE_SE_SE_NS0_19identity_decomposerEEE10hipError_tT1_T2_T3_T4_jRjT5_jjP12ihipStream_tbEUlT_E_NS1_11comp_targetILNS1_3genE2ELNS1_11target_archE906ELNS1_3gpuE6ELNS1_3repE0EEENS1_44radix_sort_block_sort_config_static_selectorELNS0_4arch9wavefront6targetE1EEEvSH_,@function
_ZN7rocprim17ROCPRIM_400000_NS6detail17trampoline_kernelINS0_13kernel_configILj256ELj4ELj4294967295EEENS1_37radix_sort_block_sort_config_selectorIxxEEZNS1_21radix_sort_block_sortIS4_Lb0EN6thrust23THRUST_200600_302600_NS6detail15normal_iteratorINS9_10device_ptrIxEEEESE_SE_SE_NS0_19identity_decomposerEEE10hipError_tT1_T2_T3_T4_jRjT5_jjP12ihipStream_tbEUlT_E_NS1_11comp_targetILNS1_3genE2ELNS1_11target_archE906ELNS1_3gpuE6ELNS1_3repE0EEENS1_44radix_sort_block_sort_config_static_selectorELNS0_4arch9wavefront6targetE1EEEvSH_: ; @_ZN7rocprim17ROCPRIM_400000_NS6detail17trampoline_kernelINS0_13kernel_configILj256ELj4ELj4294967295EEENS1_37radix_sort_block_sort_config_selectorIxxEEZNS1_21radix_sort_block_sortIS4_Lb0EN6thrust23THRUST_200600_302600_NS6detail15normal_iteratorINS9_10device_ptrIxEEEESE_SE_SE_NS0_19identity_decomposerEEE10hipError_tT1_T2_T3_T4_jRjT5_jjP12ihipStream_tbEUlT_E_NS1_11comp_targetILNS1_3genE2ELNS1_11target_archE906ELNS1_3gpuE6ELNS1_3repE0EEENS1_44radix_sort_block_sort_config_static_selectorELNS0_4arch9wavefront6targetE1EEEvSH_
; %bb.0:
	.section	.rodata,"a",@progbits
	.p2align	6, 0x0
	.amdhsa_kernel _ZN7rocprim17ROCPRIM_400000_NS6detail17trampoline_kernelINS0_13kernel_configILj256ELj4ELj4294967295EEENS1_37radix_sort_block_sort_config_selectorIxxEEZNS1_21radix_sort_block_sortIS4_Lb0EN6thrust23THRUST_200600_302600_NS6detail15normal_iteratorINS9_10device_ptrIxEEEESE_SE_SE_NS0_19identity_decomposerEEE10hipError_tT1_T2_T3_T4_jRjT5_jjP12ihipStream_tbEUlT_E_NS1_11comp_targetILNS1_3genE2ELNS1_11target_archE906ELNS1_3gpuE6ELNS1_3repE0EEENS1_44radix_sort_block_sort_config_static_selectorELNS0_4arch9wavefront6targetE1EEEvSH_
		.amdhsa_group_segment_fixed_size 0
		.amdhsa_private_segment_fixed_size 0
		.amdhsa_kernarg_size 48
		.amdhsa_user_sgpr_count 2
		.amdhsa_user_sgpr_dispatch_ptr 0
		.amdhsa_user_sgpr_queue_ptr 0
		.amdhsa_user_sgpr_kernarg_segment_ptr 1
		.amdhsa_user_sgpr_dispatch_id 0
		.amdhsa_user_sgpr_kernarg_preload_length 0
		.amdhsa_user_sgpr_kernarg_preload_offset 0
		.amdhsa_user_sgpr_private_segment_size 0
		.amdhsa_uses_dynamic_stack 0
		.amdhsa_enable_private_segment 0
		.amdhsa_system_sgpr_workgroup_id_x 1
		.amdhsa_system_sgpr_workgroup_id_y 0
		.amdhsa_system_sgpr_workgroup_id_z 0
		.amdhsa_system_sgpr_workgroup_info 0
		.amdhsa_system_vgpr_workitem_id 0
		.amdhsa_next_free_vgpr 1
		.amdhsa_next_free_sgpr 0
		.amdhsa_accum_offset 4
		.amdhsa_reserve_vcc 0
		.amdhsa_float_round_mode_32 0
		.amdhsa_float_round_mode_16_64 0
		.amdhsa_float_denorm_mode_32 3
		.amdhsa_float_denorm_mode_16_64 3
		.amdhsa_dx10_clamp 1
		.amdhsa_ieee_mode 1
		.amdhsa_fp16_overflow 0
		.amdhsa_tg_split 0
		.amdhsa_exception_fp_ieee_invalid_op 0
		.amdhsa_exception_fp_denorm_src 0
		.amdhsa_exception_fp_ieee_div_zero 0
		.amdhsa_exception_fp_ieee_overflow 0
		.amdhsa_exception_fp_ieee_underflow 0
		.amdhsa_exception_fp_ieee_inexact 0
		.amdhsa_exception_int_div_zero 0
	.end_amdhsa_kernel
	.section	.text._ZN7rocprim17ROCPRIM_400000_NS6detail17trampoline_kernelINS0_13kernel_configILj256ELj4ELj4294967295EEENS1_37radix_sort_block_sort_config_selectorIxxEEZNS1_21radix_sort_block_sortIS4_Lb0EN6thrust23THRUST_200600_302600_NS6detail15normal_iteratorINS9_10device_ptrIxEEEESE_SE_SE_NS0_19identity_decomposerEEE10hipError_tT1_T2_T3_T4_jRjT5_jjP12ihipStream_tbEUlT_E_NS1_11comp_targetILNS1_3genE2ELNS1_11target_archE906ELNS1_3gpuE6ELNS1_3repE0EEENS1_44radix_sort_block_sort_config_static_selectorELNS0_4arch9wavefront6targetE1EEEvSH_,"axG",@progbits,_ZN7rocprim17ROCPRIM_400000_NS6detail17trampoline_kernelINS0_13kernel_configILj256ELj4ELj4294967295EEENS1_37radix_sort_block_sort_config_selectorIxxEEZNS1_21radix_sort_block_sortIS4_Lb0EN6thrust23THRUST_200600_302600_NS6detail15normal_iteratorINS9_10device_ptrIxEEEESE_SE_SE_NS0_19identity_decomposerEEE10hipError_tT1_T2_T3_T4_jRjT5_jjP12ihipStream_tbEUlT_E_NS1_11comp_targetILNS1_3genE2ELNS1_11target_archE906ELNS1_3gpuE6ELNS1_3repE0EEENS1_44radix_sort_block_sort_config_static_selectorELNS0_4arch9wavefront6targetE1EEEvSH_,comdat
.Lfunc_end1051:
	.size	_ZN7rocprim17ROCPRIM_400000_NS6detail17trampoline_kernelINS0_13kernel_configILj256ELj4ELj4294967295EEENS1_37radix_sort_block_sort_config_selectorIxxEEZNS1_21radix_sort_block_sortIS4_Lb0EN6thrust23THRUST_200600_302600_NS6detail15normal_iteratorINS9_10device_ptrIxEEEESE_SE_SE_NS0_19identity_decomposerEEE10hipError_tT1_T2_T3_T4_jRjT5_jjP12ihipStream_tbEUlT_E_NS1_11comp_targetILNS1_3genE2ELNS1_11target_archE906ELNS1_3gpuE6ELNS1_3repE0EEENS1_44radix_sort_block_sort_config_static_selectorELNS0_4arch9wavefront6targetE1EEEvSH_, .Lfunc_end1051-_ZN7rocprim17ROCPRIM_400000_NS6detail17trampoline_kernelINS0_13kernel_configILj256ELj4ELj4294967295EEENS1_37radix_sort_block_sort_config_selectorIxxEEZNS1_21radix_sort_block_sortIS4_Lb0EN6thrust23THRUST_200600_302600_NS6detail15normal_iteratorINS9_10device_ptrIxEEEESE_SE_SE_NS0_19identity_decomposerEEE10hipError_tT1_T2_T3_T4_jRjT5_jjP12ihipStream_tbEUlT_E_NS1_11comp_targetILNS1_3genE2ELNS1_11target_archE906ELNS1_3gpuE6ELNS1_3repE0EEENS1_44radix_sort_block_sort_config_static_selectorELNS0_4arch9wavefront6targetE1EEEvSH_
                                        ; -- End function
	.set _ZN7rocprim17ROCPRIM_400000_NS6detail17trampoline_kernelINS0_13kernel_configILj256ELj4ELj4294967295EEENS1_37radix_sort_block_sort_config_selectorIxxEEZNS1_21radix_sort_block_sortIS4_Lb0EN6thrust23THRUST_200600_302600_NS6detail15normal_iteratorINS9_10device_ptrIxEEEESE_SE_SE_NS0_19identity_decomposerEEE10hipError_tT1_T2_T3_T4_jRjT5_jjP12ihipStream_tbEUlT_E_NS1_11comp_targetILNS1_3genE2ELNS1_11target_archE906ELNS1_3gpuE6ELNS1_3repE0EEENS1_44radix_sort_block_sort_config_static_selectorELNS0_4arch9wavefront6targetE1EEEvSH_.num_vgpr, 0
	.set _ZN7rocprim17ROCPRIM_400000_NS6detail17trampoline_kernelINS0_13kernel_configILj256ELj4ELj4294967295EEENS1_37radix_sort_block_sort_config_selectorIxxEEZNS1_21radix_sort_block_sortIS4_Lb0EN6thrust23THRUST_200600_302600_NS6detail15normal_iteratorINS9_10device_ptrIxEEEESE_SE_SE_NS0_19identity_decomposerEEE10hipError_tT1_T2_T3_T4_jRjT5_jjP12ihipStream_tbEUlT_E_NS1_11comp_targetILNS1_3genE2ELNS1_11target_archE906ELNS1_3gpuE6ELNS1_3repE0EEENS1_44radix_sort_block_sort_config_static_selectorELNS0_4arch9wavefront6targetE1EEEvSH_.num_agpr, 0
	.set _ZN7rocprim17ROCPRIM_400000_NS6detail17trampoline_kernelINS0_13kernel_configILj256ELj4ELj4294967295EEENS1_37radix_sort_block_sort_config_selectorIxxEEZNS1_21radix_sort_block_sortIS4_Lb0EN6thrust23THRUST_200600_302600_NS6detail15normal_iteratorINS9_10device_ptrIxEEEESE_SE_SE_NS0_19identity_decomposerEEE10hipError_tT1_T2_T3_T4_jRjT5_jjP12ihipStream_tbEUlT_E_NS1_11comp_targetILNS1_3genE2ELNS1_11target_archE906ELNS1_3gpuE6ELNS1_3repE0EEENS1_44radix_sort_block_sort_config_static_selectorELNS0_4arch9wavefront6targetE1EEEvSH_.numbered_sgpr, 0
	.set _ZN7rocprim17ROCPRIM_400000_NS6detail17trampoline_kernelINS0_13kernel_configILj256ELj4ELj4294967295EEENS1_37radix_sort_block_sort_config_selectorIxxEEZNS1_21radix_sort_block_sortIS4_Lb0EN6thrust23THRUST_200600_302600_NS6detail15normal_iteratorINS9_10device_ptrIxEEEESE_SE_SE_NS0_19identity_decomposerEEE10hipError_tT1_T2_T3_T4_jRjT5_jjP12ihipStream_tbEUlT_E_NS1_11comp_targetILNS1_3genE2ELNS1_11target_archE906ELNS1_3gpuE6ELNS1_3repE0EEENS1_44radix_sort_block_sort_config_static_selectorELNS0_4arch9wavefront6targetE1EEEvSH_.num_named_barrier, 0
	.set _ZN7rocprim17ROCPRIM_400000_NS6detail17trampoline_kernelINS0_13kernel_configILj256ELj4ELj4294967295EEENS1_37radix_sort_block_sort_config_selectorIxxEEZNS1_21radix_sort_block_sortIS4_Lb0EN6thrust23THRUST_200600_302600_NS6detail15normal_iteratorINS9_10device_ptrIxEEEESE_SE_SE_NS0_19identity_decomposerEEE10hipError_tT1_T2_T3_T4_jRjT5_jjP12ihipStream_tbEUlT_E_NS1_11comp_targetILNS1_3genE2ELNS1_11target_archE906ELNS1_3gpuE6ELNS1_3repE0EEENS1_44radix_sort_block_sort_config_static_selectorELNS0_4arch9wavefront6targetE1EEEvSH_.private_seg_size, 0
	.set _ZN7rocprim17ROCPRIM_400000_NS6detail17trampoline_kernelINS0_13kernel_configILj256ELj4ELj4294967295EEENS1_37radix_sort_block_sort_config_selectorIxxEEZNS1_21radix_sort_block_sortIS4_Lb0EN6thrust23THRUST_200600_302600_NS6detail15normal_iteratorINS9_10device_ptrIxEEEESE_SE_SE_NS0_19identity_decomposerEEE10hipError_tT1_T2_T3_T4_jRjT5_jjP12ihipStream_tbEUlT_E_NS1_11comp_targetILNS1_3genE2ELNS1_11target_archE906ELNS1_3gpuE6ELNS1_3repE0EEENS1_44radix_sort_block_sort_config_static_selectorELNS0_4arch9wavefront6targetE1EEEvSH_.uses_vcc, 0
	.set _ZN7rocprim17ROCPRIM_400000_NS6detail17trampoline_kernelINS0_13kernel_configILj256ELj4ELj4294967295EEENS1_37radix_sort_block_sort_config_selectorIxxEEZNS1_21radix_sort_block_sortIS4_Lb0EN6thrust23THRUST_200600_302600_NS6detail15normal_iteratorINS9_10device_ptrIxEEEESE_SE_SE_NS0_19identity_decomposerEEE10hipError_tT1_T2_T3_T4_jRjT5_jjP12ihipStream_tbEUlT_E_NS1_11comp_targetILNS1_3genE2ELNS1_11target_archE906ELNS1_3gpuE6ELNS1_3repE0EEENS1_44radix_sort_block_sort_config_static_selectorELNS0_4arch9wavefront6targetE1EEEvSH_.uses_flat_scratch, 0
	.set _ZN7rocprim17ROCPRIM_400000_NS6detail17trampoline_kernelINS0_13kernel_configILj256ELj4ELj4294967295EEENS1_37radix_sort_block_sort_config_selectorIxxEEZNS1_21radix_sort_block_sortIS4_Lb0EN6thrust23THRUST_200600_302600_NS6detail15normal_iteratorINS9_10device_ptrIxEEEESE_SE_SE_NS0_19identity_decomposerEEE10hipError_tT1_T2_T3_T4_jRjT5_jjP12ihipStream_tbEUlT_E_NS1_11comp_targetILNS1_3genE2ELNS1_11target_archE906ELNS1_3gpuE6ELNS1_3repE0EEENS1_44radix_sort_block_sort_config_static_selectorELNS0_4arch9wavefront6targetE1EEEvSH_.has_dyn_sized_stack, 0
	.set _ZN7rocprim17ROCPRIM_400000_NS6detail17trampoline_kernelINS0_13kernel_configILj256ELj4ELj4294967295EEENS1_37radix_sort_block_sort_config_selectorIxxEEZNS1_21radix_sort_block_sortIS4_Lb0EN6thrust23THRUST_200600_302600_NS6detail15normal_iteratorINS9_10device_ptrIxEEEESE_SE_SE_NS0_19identity_decomposerEEE10hipError_tT1_T2_T3_T4_jRjT5_jjP12ihipStream_tbEUlT_E_NS1_11comp_targetILNS1_3genE2ELNS1_11target_archE906ELNS1_3gpuE6ELNS1_3repE0EEENS1_44radix_sort_block_sort_config_static_selectorELNS0_4arch9wavefront6targetE1EEEvSH_.has_recursion, 0
	.set _ZN7rocprim17ROCPRIM_400000_NS6detail17trampoline_kernelINS0_13kernel_configILj256ELj4ELj4294967295EEENS1_37radix_sort_block_sort_config_selectorIxxEEZNS1_21radix_sort_block_sortIS4_Lb0EN6thrust23THRUST_200600_302600_NS6detail15normal_iteratorINS9_10device_ptrIxEEEESE_SE_SE_NS0_19identity_decomposerEEE10hipError_tT1_T2_T3_T4_jRjT5_jjP12ihipStream_tbEUlT_E_NS1_11comp_targetILNS1_3genE2ELNS1_11target_archE906ELNS1_3gpuE6ELNS1_3repE0EEENS1_44radix_sort_block_sort_config_static_selectorELNS0_4arch9wavefront6targetE1EEEvSH_.has_indirect_call, 0
	.section	.AMDGPU.csdata,"",@progbits
; Kernel info:
; codeLenInByte = 0
; TotalNumSgprs: 6
; NumVgprs: 0
; NumAgprs: 0
; TotalNumVgprs: 0
; ScratchSize: 0
; MemoryBound: 0
; FloatMode: 240
; IeeeMode: 1
; LDSByteSize: 0 bytes/workgroup (compile time only)
; SGPRBlocks: 0
; VGPRBlocks: 0
; NumSGPRsForWavesPerEU: 6
; NumVGPRsForWavesPerEU: 1
; AccumOffset: 4
; Occupancy: 8
; WaveLimiterHint : 0
; COMPUTE_PGM_RSRC2:SCRATCH_EN: 0
; COMPUTE_PGM_RSRC2:USER_SGPR: 2
; COMPUTE_PGM_RSRC2:TRAP_HANDLER: 0
; COMPUTE_PGM_RSRC2:TGID_X_EN: 1
; COMPUTE_PGM_RSRC2:TGID_Y_EN: 0
; COMPUTE_PGM_RSRC2:TGID_Z_EN: 0
; COMPUTE_PGM_RSRC2:TIDIG_COMP_CNT: 0
; COMPUTE_PGM_RSRC3_GFX90A:ACCUM_OFFSET: 0
; COMPUTE_PGM_RSRC3_GFX90A:TG_SPLIT: 0
	.section	.text._ZN7rocprim17ROCPRIM_400000_NS6detail17trampoline_kernelINS0_13kernel_configILj256ELj4ELj4294967295EEENS1_37radix_sort_block_sort_config_selectorIxxEEZNS1_21radix_sort_block_sortIS4_Lb0EN6thrust23THRUST_200600_302600_NS6detail15normal_iteratorINS9_10device_ptrIxEEEESE_SE_SE_NS0_19identity_decomposerEEE10hipError_tT1_T2_T3_T4_jRjT5_jjP12ihipStream_tbEUlT_E_NS1_11comp_targetILNS1_3genE10ELNS1_11target_archE1201ELNS1_3gpuE5ELNS1_3repE0EEENS1_44radix_sort_block_sort_config_static_selectorELNS0_4arch9wavefront6targetE1EEEvSH_,"axG",@progbits,_ZN7rocprim17ROCPRIM_400000_NS6detail17trampoline_kernelINS0_13kernel_configILj256ELj4ELj4294967295EEENS1_37radix_sort_block_sort_config_selectorIxxEEZNS1_21radix_sort_block_sortIS4_Lb0EN6thrust23THRUST_200600_302600_NS6detail15normal_iteratorINS9_10device_ptrIxEEEESE_SE_SE_NS0_19identity_decomposerEEE10hipError_tT1_T2_T3_T4_jRjT5_jjP12ihipStream_tbEUlT_E_NS1_11comp_targetILNS1_3genE10ELNS1_11target_archE1201ELNS1_3gpuE5ELNS1_3repE0EEENS1_44radix_sort_block_sort_config_static_selectorELNS0_4arch9wavefront6targetE1EEEvSH_,comdat
	.protected	_ZN7rocprim17ROCPRIM_400000_NS6detail17trampoline_kernelINS0_13kernel_configILj256ELj4ELj4294967295EEENS1_37radix_sort_block_sort_config_selectorIxxEEZNS1_21radix_sort_block_sortIS4_Lb0EN6thrust23THRUST_200600_302600_NS6detail15normal_iteratorINS9_10device_ptrIxEEEESE_SE_SE_NS0_19identity_decomposerEEE10hipError_tT1_T2_T3_T4_jRjT5_jjP12ihipStream_tbEUlT_E_NS1_11comp_targetILNS1_3genE10ELNS1_11target_archE1201ELNS1_3gpuE5ELNS1_3repE0EEENS1_44radix_sort_block_sort_config_static_selectorELNS0_4arch9wavefront6targetE1EEEvSH_ ; -- Begin function _ZN7rocprim17ROCPRIM_400000_NS6detail17trampoline_kernelINS0_13kernel_configILj256ELj4ELj4294967295EEENS1_37radix_sort_block_sort_config_selectorIxxEEZNS1_21radix_sort_block_sortIS4_Lb0EN6thrust23THRUST_200600_302600_NS6detail15normal_iteratorINS9_10device_ptrIxEEEESE_SE_SE_NS0_19identity_decomposerEEE10hipError_tT1_T2_T3_T4_jRjT5_jjP12ihipStream_tbEUlT_E_NS1_11comp_targetILNS1_3genE10ELNS1_11target_archE1201ELNS1_3gpuE5ELNS1_3repE0EEENS1_44radix_sort_block_sort_config_static_selectorELNS0_4arch9wavefront6targetE1EEEvSH_
	.globl	_ZN7rocprim17ROCPRIM_400000_NS6detail17trampoline_kernelINS0_13kernel_configILj256ELj4ELj4294967295EEENS1_37radix_sort_block_sort_config_selectorIxxEEZNS1_21radix_sort_block_sortIS4_Lb0EN6thrust23THRUST_200600_302600_NS6detail15normal_iteratorINS9_10device_ptrIxEEEESE_SE_SE_NS0_19identity_decomposerEEE10hipError_tT1_T2_T3_T4_jRjT5_jjP12ihipStream_tbEUlT_E_NS1_11comp_targetILNS1_3genE10ELNS1_11target_archE1201ELNS1_3gpuE5ELNS1_3repE0EEENS1_44radix_sort_block_sort_config_static_selectorELNS0_4arch9wavefront6targetE1EEEvSH_
	.p2align	8
	.type	_ZN7rocprim17ROCPRIM_400000_NS6detail17trampoline_kernelINS0_13kernel_configILj256ELj4ELj4294967295EEENS1_37radix_sort_block_sort_config_selectorIxxEEZNS1_21radix_sort_block_sortIS4_Lb0EN6thrust23THRUST_200600_302600_NS6detail15normal_iteratorINS9_10device_ptrIxEEEESE_SE_SE_NS0_19identity_decomposerEEE10hipError_tT1_T2_T3_T4_jRjT5_jjP12ihipStream_tbEUlT_E_NS1_11comp_targetILNS1_3genE10ELNS1_11target_archE1201ELNS1_3gpuE5ELNS1_3repE0EEENS1_44radix_sort_block_sort_config_static_selectorELNS0_4arch9wavefront6targetE1EEEvSH_,@function
_ZN7rocprim17ROCPRIM_400000_NS6detail17trampoline_kernelINS0_13kernel_configILj256ELj4ELj4294967295EEENS1_37radix_sort_block_sort_config_selectorIxxEEZNS1_21radix_sort_block_sortIS4_Lb0EN6thrust23THRUST_200600_302600_NS6detail15normal_iteratorINS9_10device_ptrIxEEEESE_SE_SE_NS0_19identity_decomposerEEE10hipError_tT1_T2_T3_T4_jRjT5_jjP12ihipStream_tbEUlT_E_NS1_11comp_targetILNS1_3genE10ELNS1_11target_archE1201ELNS1_3gpuE5ELNS1_3repE0EEENS1_44radix_sort_block_sort_config_static_selectorELNS0_4arch9wavefront6targetE1EEEvSH_: ; @_ZN7rocprim17ROCPRIM_400000_NS6detail17trampoline_kernelINS0_13kernel_configILj256ELj4ELj4294967295EEENS1_37radix_sort_block_sort_config_selectorIxxEEZNS1_21radix_sort_block_sortIS4_Lb0EN6thrust23THRUST_200600_302600_NS6detail15normal_iteratorINS9_10device_ptrIxEEEESE_SE_SE_NS0_19identity_decomposerEEE10hipError_tT1_T2_T3_T4_jRjT5_jjP12ihipStream_tbEUlT_E_NS1_11comp_targetILNS1_3genE10ELNS1_11target_archE1201ELNS1_3gpuE5ELNS1_3repE0EEENS1_44radix_sort_block_sort_config_static_selectorELNS0_4arch9wavefront6targetE1EEEvSH_
; %bb.0:
	.section	.rodata,"a",@progbits
	.p2align	6, 0x0
	.amdhsa_kernel _ZN7rocprim17ROCPRIM_400000_NS6detail17trampoline_kernelINS0_13kernel_configILj256ELj4ELj4294967295EEENS1_37radix_sort_block_sort_config_selectorIxxEEZNS1_21radix_sort_block_sortIS4_Lb0EN6thrust23THRUST_200600_302600_NS6detail15normal_iteratorINS9_10device_ptrIxEEEESE_SE_SE_NS0_19identity_decomposerEEE10hipError_tT1_T2_T3_T4_jRjT5_jjP12ihipStream_tbEUlT_E_NS1_11comp_targetILNS1_3genE10ELNS1_11target_archE1201ELNS1_3gpuE5ELNS1_3repE0EEENS1_44radix_sort_block_sort_config_static_selectorELNS0_4arch9wavefront6targetE1EEEvSH_
		.amdhsa_group_segment_fixed_size 0
		.amdhsa_private_segment_fixed_size 0
		.amdhsa_kernarg_size 48
		.amdhsa_user_sgpr_count 2
		.amdhsa_user_sgpr_dispatch_ptr 0
		.amdhsa_user_sgpr_queue_ptr 0
		.amdhsa_user_sgpr_kernarg_segment_ptr 1
		.amdhsa_user_sgpr_dispatch_id 0
		.amdhsa_user_sgpr_kernarg_preload_length 0
		.amdhsa_user_sgpr_kernarg_preload_offset 0
		.amdhsa_user_sgpr_private_segment_size 0
		.amdhsa_uses_dynamic_stack 0
		.amdhsa_enable_private_segment 0
		.amdhsa_system_sgpr_workgroup_id_x 1
		.amdhsa_system_sgpr_workgroup_id_y 0
		.amdhsa_system_sgpr_workgroup_id_z 0
		.amdhsa_system_sgpr_workgroup_info 0
		.amdhsa_system_vgpr_workitem_id 0
		.amdhsa_next_free_vgpr 1
		.amdhsa_next_free_sgpr 0
		.amdhsa_accum_offset 4
		.amdhsa_reserve_vcc 0
		.amdhsa_float_round_mode_32 0
		.amdhsa_float_round_mode_16_64 0
		.amdhsa_float_denorm_mode_32 3
		.amdhsa_float_denorm_mode_16_64 3
		.amdhsa_dx10_clamp 1
		.amdhsa_ieee_mode 1
		.amdhsa_fp16_overflow 0
		.amdhsa_tg_split 0
		.amdhsa_exception_fp_ieee_invalid_op 0
		.amdhsa_exception_fp_denorm_src 0
		.amdhsa_exception_fp_ieee_div_zero 0
		.amdhsa_exception_fp_ieee_overflow 0
		.amdhsa_exception_fp_ieee_underflow 0
		.amdhsa_exception_fp_ieee_inexact 0
		.amdhsa_exception_int_div_zero 0
	.end_amdhsa_kernel
	.section	.text._ZN7rocprim17ROCPRIM_400000_NS6detail17trampoline_kernelINS0_13kernel_configILj256ELj4ELj4294967295EEENS1_37radix_sort_block_sort_config_selectorIxxEEZNS1_21radix_sort_block_sortIS4_Lb0EN6thrust23THRUST_200600_302600_NS6detail15normal_iteratorINS9_10device_ptrIxEEEESE_SE_SE_NS0_19identity_decomposerEEE10hipError_tT1_T2_T3_T4_jRjT5_jjP12ihipStream_tbEUlT_E_NS1_11comp_targetILNS1_3genE10ELNS1_11target_archE1201ELNS1_3gpuE5ELNS1_3repE0EEENS1_44radix_sort_block_sort_config_static_selectorELNS0_4arch9wavefront6targetE1EEEvSH_,"axG",@progbits,_ZN7rocprim17ROCPRIM_400000_NS6detail17trampoline_kernelINS0_13kernel_configILj256ELj4ELj4294967295EEENS1_37radix_sort_block_sort_config_selectorIxxEEZNS1_21radix_sort_block_sortIS4_Lb0EN6thrust23THRUST_200600_302600_NS6detail15normal_iteratorINS9_10device_ptrIxEEEESE_SE_SE_NS0_19identity_decomposerEEE10hipError_tT1_T2_T3_T4_jRjT5_jjP12ihipStream_tbEUlT_E_NS1_11comp_targetILNS1_3genE10ELNS1_11target_archE1201ELNS1_3gpuE5ELNS1_3repE0EEENS1_44radix_sort_block_sort_config_static_selectorELNS0_4arch9wavefront6targetE1EEEvSH_,comdat
.Lfunc_end1052:
	.size	_ZN7rocprim17ROCPRIM_400000_NS6detail17trampoline_kernelINS0_13kernel_configILj256ELj4ELj4294967295EEENS1_37radix_sort_block_sort_config_selectorIxxEEZNS1_21radix_sort_block_sortIS4_Lb0EN6thrust23THRUST_200600_302600_NS6detail15normal_iteratorINS9_10device_ptrIxEEEESE_SE_SE_NS0_19identity_decomposerEEE10hipError_tT1_T2_T3_T4_jRjT5_jjP12ihipStream_tbEUlT_E_NS1_11comp_targetILNS1_3genE10ELNS1_11target_archE1201ELNS1_3gpuE5ELNS1_3repE0EEENS1_44radix_sort_block_sort_config_static_selectorELNS0_4arch9wavefront6targetE1EEEvSH_, .Lfunc_end1052-_ZN7rocprim17ROCPRIM_400000_NS6detail17trampoline_kernelINS0_13kernel_configILj256ELj4ELj4294967295EEENS1_37radix_sort_block_sort_config_selectorIxxEEZNS1_21radix_sort_block_sortIS4_Lb0EN6thrust23THRUST_200600_302600_NS6detail15normal_iteratorINS9_10device_ptrIxEEEESE_SE_SE_NS0_19identity_decomposerEEE10hipError_tT1_T2_T3_T4_jRjT5_jjP12ihipStream_tbEUlT_E_NS1_11comp_targetILNS1_3genE10ELNS1_11target_archE1201ELNS1_3gpuE5ELNS1_3repE0EEENS1_44radix_sort_block_sort_config_static_selectorELNS0_4arch9wavefront6targetE1EEEvSH_
                                        ; -- End function
	.set _ZN7rocprim17ROCPRIM_400000_NS6detail17trampoline_kernelINS0_13kernel_configILj256ELj4ELj4294967295EEENS1_37radix_sort_block_sort_config_selectorIxxEEZNS1_21radix_sort_block_sortIS4_Lb0EN6thrust23THRUST_200600_302600_NS6detail15normal_iteratorINS9_10device_ptrIxEEEESE_SE_SE_NS0_19identity_decomposerEEE10hipError_tT1_T2_T3_T4_jRjT5_jjP12ihipStream_tbEUlT_E_NS1_11comp_targetILNS1_3genE10ELNS1_11target_archE1201ELNS1_3gpuE5ELNS1_3repE0EEENS1_44radix_sort_block_sort_config_static_selectorELNS0_4arch9wavefront6targetE1EEEvSH_.num_vgpr, 0
	.set _ZN7rocprim17ROCPRIM_400000_NS6detail17trampoline_kernelINS0_13kernel_configILj256ELj4ELj4294967295EEENS1_37radix_sort_block_sort_config_selectorIxxEEZNS1_21radix_sort_block_sortIS4_Lb0EN6thrust23THRUST_200600_302600_NS6detail15normal_iteratorINS9_10device_ptrIxEEEESE_SE_SE_NS0_19identity_decomposerEEE10hipError_tT1_T2_T3_T4_jRjT5_jjP12ihipStream_tbEUlT_E_NS1_11comp_targetILNS1_3genE10ELNS1_11target_archE1201ELNS1_3gpuE5ELNS1_3repE0EEENS1_44radix_sort_block_sort_config_static_selectorELNS0_4arch9wavefront6targetE1EEEvSH_.num_agpr, 0
	.set _ZN7rocprim17ROCPRIM_400000_NS6detail17trampoline_kernelINS0_13kernel_configILj256ELj4ELj4294967295EEENS1_37radix_sort_block_sort_config_selectorIxxEEZNS1_21radix_sort_block_sortIS4_Lb0EN6thrust23THRUST_200600_302600_NS6detail15normal_iteratorINS9_10device_ptrIxEEEESE_SE_SE_NS0_19identity_decomposerEEE10hipError_tT1_T2_T3_T4_jRjT5_jjP12ihipStream_tbEUlT_E_NS1_11comp_targetILNS1_3genE10ELNS1_11target_archE1201ELNS1_3gpuE5ELNS1_3repE0EEENS1_44radix_sort_block_sort_config_static_selectorELNS0_4arch9wavefront6targetE1EEEvSH_.numbered_sgpr, 0
	.set _ZN7rocprim17ROCPRIM_400000_NS6detail17trampoline_kernelINS0_13kernel_configILj256ELj4ELj4294967295EEENS1_37radix_sort_block_sort_config_selectorIxxEEZNS1_21radix_sort_block_sortIS4_Lb0EN6thrust23THRUST_200600_302600_NS6detail15normal_iteratorINS9_10device_ptrIxEEEESE_SE_SE_NS0_19identity_decomposerEEE10hipError_tT1_T2_T3_T4_jRjT5_jjP12ihipStream_tbEUlT_E_NS1_11comp_targetILNS1_3genE10ELNS1_11target_archE1201ELNS1_3gpuE5ELNS1_3repE0EEENS1_44radix_sort_block_sort_config_static_selectorELNS0_4arch9wavefront6targetE1EEEvSH_.num_named_barrier, 0
	.set _ZN7rocprim17ROCPRIM_400000_NS6detail17trampoline_kernelINS0_13kernel_configILj256ELj4ELj4294967295EEENS1_37radix_sort_block_sort_config_selectorIxxEEZNS1_21radix_sort_block_sortIS4_Lb0EN6thrust23THRUST_200600_302600_NS6detail15normal_iteratorINS9_10device_ptrIxEEEESE_SE_SE_NS0_19identity_decomposerEEE10hipError_tT1_T2_T3_T4_jRjT5_jjP12ihipStream_tbEUlT_E_NS1_11comp_targetILNS1_3genE10ELNS1_11target_archE1201ELNS1_3gpuE5ELNS1_3repE0EEENS1_44radix_sort_block_sort_config_static_selectorELNS0_4arch9wavefront6targetE1EEEvSH_.private_seg_size, 0
	.set _ZN7rocprim17ROCPRIM_400000_NS6detail17trampoline_kernelINS0_13kernel_configILj256ELj4ELj4294967295EEENS1_37radix_sort_block_sort_config_selectorIxxEEZNS1_21radix_sort_block_sortIS4_Lb0EN6thrust23THRUST_200600_302600_NS6detail15normal_iteratorINS9_10device_ptrIxEEEESE_SE_SE_NS0_19identity_decomposerEEE10hipError_tT1_T2_T3_T4_jRjT5_jjP12ihipStream_tbEUlT_E_NS1_11comp_targetILNS1_3genE10ELNS1_11target_archE1201ELNS1_3gpuE5ELNS1_3repE0EEENS1_44radix_sort_block_sort_config_static_selectorELNS0_4arch9wavefront6targetE1EEEvSH_.uses_vcc, 0
	.set _ZN7rocprim17ROCPRIM_400000_NS6detail17trampoline_kernelINS0_13kernel_configILj256ELj4ELj4294967295EEENS1_37radix_sort_block_sort_config_selectorIxxEEZNS1_21radix_sort_block_sortIS4_Lb0EN6thrust23THRUST_200600_302600_NS6detail15normal_iteratorINS9_10device_ptrIxEEEESE_SE_SE_NS0_19identity_decomposerEEE10hipError_tT1_T2_T3_T4_jRjT5_jjP12ihipStream_tbEUlT_E_NS1_11comp_targetILNS1_3genE10ELNS1_11target_archE1201ELNS1_3gpuE5ELNS1_3repE0EEENS1_44radix_sort_block_sort_config_static_selectorELNS0_4arch9wavefront6targetE1EEEvSH_.uses_flat_scratch, 0
	.set _ZN7rocprim17ROCPRIM_400000_NS6detail17trampoline_kernelINS0_13kernel_configILj256ELj4ELj4294967295EEENS1_37radix_sort_block_sort_config_selectorIxxEEZNS1_21radix_sort_block_sortIS4_Lb0EN6thrust23THRUST_200600_302600_NS6detail15normal_iteratorINS9_10device_ptrIxEEEESE_SE_SE_NS0_19identity_decomposerEEE10hipError_tT1_T2_T3_T4_jRjT5_jjP12ihipStream_tbEUlT_E_NS1_11comp_targetILNS1_3genE10ELNS1_11target_archE1201ELNS1_3gpuE5ELNS1_3repE0EEENS1_44radix_sort_block_sort_config_static_selectorELNS0_4arch9wavefront6targetE1EEEvSH_.has_dyn_sized_stack, 0
	.set _ZN7rocprim17ROCPRIM_400000_NS6detail17trampoline_kernelINS0_13kernel_configILj256ELj4ELj4294967295EEENS1_37radix_sort_block_sort_config_selectorIxxEEZNS1_21radix_sort_block_sortIS4_Lb0EN6thrust23THRUST_200600_302600_NS6detail15normal_iteratorINS9_10device_ptrIxEEEESE_SE_SE_NS0_19identity_decomposerEEE10hipError_tT1_T2_T3_T4_jRjT5_jjP12ihipStream_tbEUlT_E_NS1_11comp_targetILNS1_3genE10ELNS1_11target_archE1201ELNS1_3gpuE5ELNS1_3repE0EEENS1_44radix_sort_block_sort_config_static_selectorELNS0_4arch9wavefront6targetE1EEEvSH_.has_recursion, 0
	.set _ZN7rocprim17ROCPRIM_400000_NS6detail17trampoline_kernelINS0_13kernel_configILj256ELj4ELj4294967295EEENS1_37radix_sort_block_sort_config_selectorIxxEEZNS1_21radix_sort_block_sortIS4_Lb0EN6thrust23THRUST_200600_302600_NS6detail15normal_iteratorINS9_10device_ptrIxEEEESE_SE_SE_NS0_19identity_decomposerEEE10hipError_tT1_T2_T3_T4_jRjT5_jjP12ihipStream_tbEUlT_E_NS1_11comp_targetILNS1_3genE10ELNS1_11target_archE1201ELNS1_3gpuE5ELNS1_3repE0EEENS1_44radix_sort_block_sort_config_static_selectorELNS0_4arch9wavefront6targetE1EEEvSH_.has_indirect_call, 0
	.section	.AMDGPU.csdata,"",@progbits
; Kernel info:
; codeLenInByte = 0
; TotalNumSgprs: 6
; NumVgprs: 0
; NumAgprs: 0
; TotalNumVgprs: 0
; ScratchSize: 0
; MemoryBound: 0
; FloatMode: 240
; IeeeMode: 1
; LDSByteSize: 0 bytes/workgroup (compile time only)
; SGPRBlocks: 0
; VGPRBlocks: 0
; NumSGPRsForWavesPerEU: 6
; NumVGPRsForWavesPerEU: 1
; AccumOffset: 4
; Occupancy: 8
; WaveLimiterHint : 0
; COMPUTE_PGM_RSRC2:SCRATCH_EN: 0
; COMPUTE_PGM_RSRC2:USER_SGPR: 2
; COMPUTE_PGM_RSRC2:TRAP_HANDLER: 0
; COMPUTE_PGM_RSRC2:TGID_X_EN: 1
; COMPUTE_PGM_RSRC2:TGID_Y_EN: 0
; COMPUTE_PGM_RSRC2:TGID_Z_EN: 0
; COMPUTE_PGM_RSRC2:TIDIG_COMP_CNT: 0
; COMPUTE_PGM_RSRC3_GFX90A:ACCUM_OFFSET: 0
; COMPUTE_PGM_RSRC3_GFX90A:TG_SPLIT: 0
	.section	.text._ZN7rocprim17ROCPRIM_400000_NS6detail17trampoline_kernelINS0_13kernel_configILj256ELj4ELj4294967295EEENS1_37radix_sort_block_sort_config_selectorIxxEEZNS1_21radix_sort_block_sortIS4_Lb0EN6thrust23THRUST_200600_302600_NS6detail15normal_iteratorINS9_10device_ptrIxEEEESE_SE_SE_NS0_19identity_decomposerEEE10hipError_tT1_T2_T3_T4_jRjT5_jjP12ihipStream_tbEUlT_E_NS1_11comp_targetILNS1_3genE10ELNS1_11target_archE1200ELNS1_3gpuE4ELNS1_3repE0EEENS1_44radix_sort_block_sort_config_static_selectorELNS0_4arch9wavefront6targetE1EEEvSH_,"axG",@progbits,_ZN7rocprim17ROCPRIM_400000_NS6detail17trampoline_kernelINS0_13kernel_configILj256ELj4ELj4294967295EEENS1_37radix_sort_block_sort_config_selectorIxxEEZNS1_21radix_sort_block_sortIS4_Lb0EN6thrust23THRUST_200600_302600_NS6detail15normal_iteratorINS9_10device_ptrIxEEEESE_SE_SE_NS0_19identity_decomposerEEE10hipError_tT1_T2_T3_T4_jRjT5_jjP12ihipStream_tbEUlT_E_NS1_11comp_targetILNS1_3genE10ELNS1_11target_archE1200ELNS1_3gpuE4ELNS1_3repE0EEENS1_44radix_sort_block_sort_config_static_selectorELNS0_4arch9wavefront6targetE1EEEvSH_,comdat
	.protected	_ZN7rocprim17ROCPRIM_400000_NS6detail17trampoline_kernelINS0_13kernel_configILj256ELj4ELj4294967295EEENS1_37radix_sort_block_sort_config_selectorIxxEEZNS1_21radix_sort_block_sortIS4_Lb0EN6thrust23THRUST_200600_302600_NS6detail15normal_iteratorINS9_10device_ptrIxEEEESE_SE_SE_NS0_19identity_decomposerEEE10hipError_tT1_T2_T3_T4_jRjT5_jjP12ihipStream_tbEUlT_E_NS1_11comp_targetILNS1_3genE10ELNS1_11target_archE1200ELNS1_3gpuE4ELNS1_3repE0EEENS1_44radix_sort_block_sort_config_static_selectorELNS0_4arch9wavefront6targetE1EEEvSH_ ; -- Begin function _ZN7rocprim17ROCPRIM_400000_NS6detail17trampoline_kernelINS0_13kernel_configILj256ELj4ELj4294967295EEENS1_37radix_sort_block_sort_config_selectorIxxEEZNS1_21radix_sort_block_sortIS4_Lb0EN6thrust23THRUST_200600_302600_NS6detail15normal_iteratorINS9_10device_ptrIxEEEESE_SE_SE_NS0_19identity_decomposerEEE10hipError_tT1_T2_T3_T4_jRjT5_jjP12ihipStream_tbEUlT_E_NS1_11comp_targetILNS1_3genE10ELNS1_11target_archE1200ELNS1_3gpuE4ELNS1_3repE0EEENS1_44radix_sort_block_sort_config_static_selectorELNS0_4arch9wavefront6targetE1EEEvSH_
	.globl	_ZN7rocprim17ROCPRIM_400000_NS6detail17trampoline_kernelINS0_13kernel_configILj256ELj4ELj4294967295EEENS1_37radix_sort_block_sort_config_selectorIxxEEZNS1_21radix_sort_block_sortIS4_Lb0EN6thrust23THRUST_200600_302600_NS6detail15normal_iteratorINS9_10device_ptrIxEEEESE_SE_SE_NS0_19identity_decomposerEEE10hipError_tT1_T2_T3_T4_jRjT5_jjP12ihipStream_tbEUlT_E_NS1_11comp_targetILNS1_3genE10ELNS1_11target_archE1200ELNS1_3gpuE4ELNS1_3repE0EEENS1_44radix_sort_block_sort_config_static_selectorELNS0_4arch9wavefront6targetE1EEEvSH_
	.p2align	8
	.type	_ZN7rocprim17ROCPRIM_400000_NS6detail17trampoline_kernelINS0_13kernel_configILj256ELj4ELj4294967295EEENS1_37radix_sort_block_sort_config_selectorIxxEEZNS1_21radix_sort_block_sortIS4_Lb0EN6thrust23THRUST_200600_302600_NS6detail15normal_iteratorINS9_10device_ptrIxEEEESE_SE_SE_NS0_19identity_decomposerEEE10hipError_tT1_T2_T3_T4_jRjT5_jjP12ihipStream_tbEUlT_E_NS1_11comp_targetILNS1_3genE10ELNS1_11target_archE1200ELNS1_3gpuE4ELNS1_3repE0EEENS1_44radix_sort_block_sort_config_static_selectorELNS0_4arch9wavefront6targetE1EEEvSH_,@function
_ZN7rocprim17ROCPRIM_400000_NS6detail17trampoline_kernelINS0_13kernel_configILj256ELj4ELj4294967295EEENS1_37radix_sort_block_sort_config_selectorIxxEEZNS1_21radix_sort_block_sortIS4_Lb0EN6thrust23THRUST_200600_302600_NS6detail15normal_iteratorINS9_10device_ptrIxEEEESE_SE_SE_NS0_19identity_decomposerEEE10hipError_tT1_T2_T3_T4_jRjT5_jjP12ihipStream_tbEUlT_E_NS1_11comp_targetILNS1_3genE10ELNS1_11target_archE1200ELNS1_3gpuE4ELNS1_3repE0EEENS1_44radix_sort_block_sort_config_static_selectorELNS0_4arch9wavefront6targetE1EEEvSH_: ; @_ZN7rocprim17ROCPRIM_400000_NS6detail17trampoline_kernelINS0_13kernel_configILj256ELj4ELj4294967295EEENS1_37radix_sort_block_sort_config_selectorIxxEEZNS1_21radix_sort_block_sortIS4_Lb0EN6thrust23THRUST_200600_302600_NS6detail15normal_iteratorINS9_10device_ptrIxEEEESE_SE_SE_NS0_19identity_decomposerEEE10hipError_tT1_T2_T3_T4_jRjT5_jjP12ihipStream_tbEUlT_E_NS1_11comp_targetILNS1_3genE10ELNS1_11target_archE1200ELNS1_3gpuE4ELNS1_3repE0EEENS1_44radix_sort_block_sort_config_static_selectorELNS0_4arch9wavefront6targetE1EEEvSH_
; %bb.0:
	.section	.rodata,"a",@progbits
	.p2align	6, 0x0
	.amdhsa_kernel _ZN7rocprim17ROCPRIM_400000_NS6detail17trampoline_kernelINS0_13kernel_configILj256ELj4ELj4294967295EEENS1_37radix_sort_block_sort_config_selectorIxxEEZNS1_21radix_sort_block_sortIS4_Lb0EN6thrust23THRUST_200600_302600_NS6detail15normal_iteratorINS9_10device_ptrIxEEEESE_SE_SE_NS0_19identity_decomposerEEE10hipError_tT1_T2_T3_T4_jRjT5_jjP12ihipStream_tbEUlT_E_NS1_11comp_targetILNS1_3genE10ELNS1_11target_archE1200ELNS1_3gpuE4ELNS1_3repE0EEENS1_44radix_sort_block_sort_config_static_selectorELNS0_4arch9wavefront6targetE1EEEvSH_
		.amdhsa_group_segment_fixed_size 0
		.amdhsa_private_segment_fixed_size 0
		.amdhsa_kernarg_size 48
		.amdhsa_user_sgpr_count 2
		.amdhsa_user_sgpr_dispatch_ptr 0
		.amdhsa_user_sgpr_queue_ptr 0
		.amdhsa_user_sgpr_kernarg_segment_ptr 1
		.amdhsa_user_sgpr_dispatch_id 0
		.amdhsa_user_sgpr_kernarg_preload_length 0
		.amdhsa_user_sgpr_kernarg_preload_offset 0
		.amdhsa_user_sgpr_private_segment_size 0
		.amdhsa_uses_dynamic_stack 0
		.amdhsa_enable_private_segment 0
		.amdhsa_system_sgpr_workgroup_id_x 1
		.amdhsa_system_sgpr_workgroup_id_y 0
		.amdhsa_system_sgpr_workgroup_id_z 0
		.amdhsa_system_sgpr_workgroup_info 0
		.amdhsa_system_vgpr_workitem_id 0
		.amdhsa_next_free_vgpr 1
		.amdhsa_next_free_sgpr 0
		.amdhsa_accum_offset 4
		.amdhsa_reserve_vcc 0
		.amdhsa_float_round_mode_32 0
		.amdhsa_float_round_mode_16_64 0
		.amdhsa_float_denorm_mode_32 3
		.amdhsa_float_denorm_mode_16_64 3
		.amdhsa_dx10_clamp 1
		.amdhsa_ieee_mode 1
		.amdhsa_fp16_overflow 0
		.amdhsa_tg_split 0
		.amdhsa_exception_fp_ieee_invalid_op 0
		.amdhsa_exception_fp_denorm_src 0
		.amdhsa_exception_fp_ieee_div_zero 0
		.amdhsa_exception_fp_ieee_overflow 0
		.amdhsa_exception_fp_ieee_underflow 0
		.amdhsa_exception_fp_ieee_inexact 0
		.amdhsa_exception_int_div_zero 0
	.end_amdhsa_kernel
	.section	.text._ZN7rocprim17ROCPRIM_400000_NS6detail17trampoline_kernelINS0_13kernel_configILj256ELj4ELj4294967295EEENS1_37radix_sort_block_sort_config_selectorIxxEEZNS1_21radix_sort_block_sortIS4_Lb0EN6thrust23THRUST_200600_302600_NS6detail15normal_iteratorINS9_10device_ptrIxEEEESE_SE_SE_NS0_19identity_decomposerEEE10hipError_tT1_T2_T3_T4_jRjT5_jjP12ihipStream_tbEUlT_E_NS1_11comp_targetILNS1_3genE10ELNS1_11target_archE1200ELNS1_3gpuE4ELNS1_3repE0EEENS1_44radix_sort_block_sort_config_static_selectorELNS0_4arch9wavefront6targetE1EEEvSH_,"axG",@progbits,_ZN7rocprim17ROCPRIM_400000_NS6detail17trampoline_kernelINS0_13kernel_configILj256ELj4ELj4294967295EEENS1_37radix_sort_block_sort_config_selectorIxxEEZNS1_21radix_sort_block_sortIS4_Lb0EN6thrust23THRUST_200600_302600_NS6detail15normal_iteratorINS9_10device_ptrIxEEEESE_SE_SE_NS0_19identity_decomposerEEE10hipError_tT1_T2_T3_T4_jRjT5_jjP12ihipStream_tbEUlT_E_NS1_11comp_targetILNS1_3genE10ELNS1_11target_archE1200ELNS1_3gpuE4ELNS1_3repE0EEENS1_44radix_sort_block_sort_config_static_selectorELNS0_4arch9wavefront6targetE1EEEvSH_,comdat
.Lfunc_end1053:
	.size	_ZN7rocprim17ROCPRIM_400000_NS6detail17trampoline_kernelINS0_13kernel_configILj256ELj4ELj4294967295EEENS1_37radix_sort_block_sort_config_selectorIxxEEZNS1_21radix_sort_block_sortIS4_Lb0EN6thrust23THRUST_200600_302600_NS6detail15normal_iteratorINS9_10device_ptrIxEEEESE_SE_SE_NS0_19identity_decomposerEEE10hipError_tT1_T2_T3_T4_jRjT5_jjP12ihipStream_tbEUlT_E_NS1_11comp_targetILNS1_3genE10ELNS1_11target_archE1200ELNS1_3gpuE4ELNS1_3repE0EEENS1_44radix_sort_block_sort_config_static_selectorELNS0_4arch9wavefront6targetE1EEEvSH_, .Lfunc_end1053-_ZN7rocprim17ROCPRIM_400000_NS6detail17trampoline_kernelINS0_13kernel_configILj256ELj4ELj4294967295EEENS1_37radix_sort_block_sort_config_selectorIxxEEZNS1_21radix_sort_block_sortIS4_Lb0EN6thrust23THRUST_200600_302600_NS6detail15normal_iteratorINS9_10device_ptrIxEEEESE_SE_SE_NS0_19identity_decomposerEEE10hipError_tT1_T2_T3_T4_jRjT5_jjP12ihipStream_tbEUlT_E_NS1_11comp_targetILNS1_3genE10ELNS1_11target_archE1200ELNS1_3gpuE4ELNS1_3repE0EEENS1_44radix_sort_block_sort_config_static_selectorELNS0_4arch9wavefront6targetE1EEEvSH_
                                        ; -- End function
	.set _ZN7rocprim17ROCPRIM_400000_NS6detail17trampoline_kernelINS0_13kernel_configILj256ELj4ELj4294967295EEENS1_37radix_sort_block_sort_config_selectorIxxEEZNS1_21radix_sort_block_sortIS4_Lb0EN6thrust23THRUST_200600_302600_NS6detail15normal_iteratorINS9_10device_ptrIxEEEESE_SE_SE_NS0_19identity_decomposerEEE10hipError_tT1_T2_T3_T4_jRjT5_jjP12ihipStream_tbEUlT_E_NS1_11comp_targetILNS1_3genE10ELNS1_11target_archE1200ELNS1_3gpuE4ELNS1_3repE0EEENS1_44radix_sort_block_sort_config_static_selectorELNS0_4arch9wavefront6targetE1EEEvSH_.num_vgpr, 0
	.set _ZN7rocprim17ROCPRIM_400000_NS6detail17trampoline_kernelINS0_13kernel_configILj256ELj4ELj4294967295EEENS1_37radix_sort_block_sort_config_selectorIxxEEZNS1_21radix_sort_block_sortIS4_Lb0EN6thrust23THRUST_200600_302600_NS6detail15normal_iteratorINS9_10device_ptrIxEEEESE_SE_SE_NS0_19identity_decomposerEEE10hipError_tT1_T2_T3_T4_jRjT5_jjP12ihipStream_tbEUlT_E_NS1_11comp_targetILNS1_3genE10ELNS1_11target_archE1200ELNS1_3gpuE4ELNS1_3repE0EEENS1_44radix_sort_block_sort_config_static_selectorELNS0_4arch9wavefront6targetE1EEEvSH_.num_agpr, 0
	.set _ZN7rocprim17ROCPRIM_400000_NS6detail17trampoline_kernelINS0_13kernel_configILj256ELj4ELj4294967295EEENS1_37radix_sort_block_sort_config_selectorIxxEEZNS1_21radix_sort_block_sortIS4_Lb0EN6thrust23THRUST_200600_302600_NS6detail15normal_iteratorINS9_10device_ptrIxEEEESE_SE_SE_NS0_19identity_decomposerEEE10hipError_tT1_T2_T3_T4_jRjT5_jjP12ihipStream_tbEUlT_E_NS1_11comp_targetILNS1_3genE10ELNS1_11target_archE1200ELNS1_3gpuE4ELNS1_3repE0EEENS1_44radix_sort_block_sort_config_static_selectorELNS0_4arch9wavefront6targetE1EEEvSH_.numbered_sgpr, 0
	.set _ZN7rocprim17ROCPRIM_400000_NS6detail17trampoline_kernelINS0_13kernel_configILj256ELj4ELj4294967295EEENS1_37radix_sort_block_sort_config_selectorIxxEEZNS1_21radix_sort_block_sortIS4_Lb0EN6thrust23THRUST_200600_302600_NS6detail15normal_iteratorINS9_10device_ptrIxEEEESE_SE_SE_NS0_19identity_decomposerEEE10hipError_tT1_T2_T3_T4_jRjT5_jjP12ihipStream_tbEUlT_E_NS1_11comp_targetILNS1_3genE10ELNS1_11target_archE1200ELNS1_3gpuE4ELNS1_3repE0EEENS1_44radix_sort_block_sort_config_static_selectorELNS0_4arch9wavefront6targetE1EEEvSH_.num_named_barrier, 0
	.set _ZN7rocprim17ROCPRIM_400000_NS6detail17trampoline_kernelINS0_13kernel_configILj256ELj4ELj4294967295EEENS1_37radix_sort_block_sort_config_selectorIxxEEZNS1_21radix_sort_block_sortIS4_Lb0EN6thrust23THRUST_200600_302600_NS6detail15normal_iteratorINS9_10device_ptrIxEEEESE_SE_SE_NS0_19identity_decomposerEEE10hipError_tT1_T2_T3_T4_jRjT5_jjP12ihipStream_tbEUlT_E_NS1_11comp_targetILNS1_3genE10ELNS1_11target_archE1200ELNS1_3gpuE4ELNS1_3repE0EEENS1_44radix_sort_block_sort_config_static_selectorELNS0_4arch9wavefront6targetE1EEEvSH_.private_seg_size, 0
	.set _ZN7rocprim17ROCPRIM_400000_NS6detail17trampoline_kernelINS0_13kernel_configILj256ELj4ELj4294967295EEENS1_37radix_sort_block_sort_config_selectorIxxEEZNS1_21radix_sort_block_sortIS4_Lb0EN6thrust23THRUST_200600_302600_NS6detail15normal_iteratorINS9_10device_ptrIxEEEESE_SE_SE_NS0_19identity_decomposerEEE10hipError_tT1_T2_T3_T4_jRjT5_jjP12ihipStream_tbEUlT_E_NS1_11comp_targetILNS1_3genE10ELNS1_11target_archE1200ELNS1_3gpuE4ELNS1_3repE0EEENS1_44radix_sort_block_sort_config_static_selectorELNS0_4arch9wavefront6targetE1EEEvSH_.uses_vcc, 0
	.set _ZN7rocprim17ROCPRIM_400000_NS6detail17trampoline_kernelINS0_13kernel_configILj256ELj4ELj4294967295EEENS1_37radix_sort_block_sort_config_selectorIxxEEZNS1_21radix_sort_block_sortIS4_Lb0EN6thrust23THRUST_200600_302600_NS6detail15normal_iteratorINS9_10device_ptrIxEEEESE_SE_SE_NS0_19identity_decomposerEEE10hipError_tT1_T2_T3_T4_jRjT5_jjP12ihipStream_tbEUlT_E_NS1_11comp_targetILNS1_3genE10ELNS1_11target_archE1200ELNS1_3gpuE4ELNS1_3repE0EEENS1_44radix_sort_block_sort_config_static_selectorELNS0_4arch9wavefront6targetE1EEEvSH_.uses_flat_scratch, 0
	.set _ZN7rocprim17ROCPRIM_400000_NS6detail17trampoline_kernelINS0_13kernel_configILj256ELj4ELj4294967295EEENS1_37radix_sort_block_sort_config_selectorIxxEEZNS1_21radix_sort_block_sortIS4_Lb0EN6thrust23THRUST_200600_302600_NS6detail15normal_iteratorINS9_10device_ptrIxEEEESE_SE_SE_NS0_19identity_decomposerEEE10hipError_tT1_T2_T3_T4_jRjT5_jjP12ihipStream_tbEUlT_E_NS1_11comp_targetILNS1_3genE10ELNS1_11target_archE1200ELNS1_3gpuE4ELNS1_3repE0EEENS1_44radix_sort_block_sort_config_static_selectorELNS0_4arch9wavefront6targetE1EEEvSH_.has_dyn_sized_stack, 0
	.set _ZN7rocprim17ROCPRIM_400000_NS6detail17trampoline_kernelINS0_13kernel_configILj256ELj4ELj4294967295EEENS1_37radix_sort_block_sort_config_selectorIxxEEZNS1_21radix_sort_block_sortIS4_Lb0EN6thrust23THRUST_200600_302600_NS6detail15normal_iteratorINS9_10device_ptrIxEEEESE_SE_SE_NS0_19identity_decomposerEEE10hipError_tT1_T2_T3_T4_jRjT5_jjP12ihipStream_tbEUlT_E_NS1_11comp_targetILNS1_3genE10ELNS1_11target_archE1200ELNS1_3gpuE4ELNS1_3repE0EEENS1_44radix_sort_block_sort_config_static_selectorELNS0_4arch9wavefront6targetE1EEEvSH_.has_recursion, 0
	.set _ZN7rocprim17ROCPRIM_400000_NS6detail17trampoline_kernelINS0_13kernel_configILj256ELj4ELj4294967295EEENS1_37radix_sort_block_sort_config_selectorIxxEEZNS1_21radix_sort_block_sortIS4_Lb0EN6thrust23THRUST_200600_302600_NS6detail15normal_iteratorINS9_10device_ptrIxEEEESE_SE_SE_NS0_19identity_decomposerEEE10hipError_tT1_T2_T3_T4_jRjT5_jjP12ihipStream_tbEUlT_E_NS1_11comp_targetILNS1_3genE10ELNS1_11target_archE1200ELNS1_3gpuE4ELNS1_3repE0EEENS1_44radix_sort_block_sort_config_static_selectorELNS0_4arch9wavefront6targetE1EEEvSH_.has_indirect_call, 0
	.section	.AMDGPU.csdata,"",@progbits
; Kernel info:
; codeLenInByte = 0
; TotalNumSgprs: 6
; NumVgprs: 0
; NumAgprs: 0
; TotalNumVgprs: 0
; ScratchSize: 0
; MemoryBound: 0
; FloatMode: 240
; IeeeMode: 1
; LDSByteSize: 0 bytes/workgroup (compile time only)
; SGPRBlocks: 0
; VGPRBlocks: 0
; NumSGPRsForWavesPerEU: 6
; NumVGPRsForWavesPerEU: 1
; AccumOffset: 4
; Occupancy: 8
; WaveLimiterHint : 0
; COMPUTE_PGM_RSRC2:SCRATCH_EN: 0
; COMPUTE_PGM_RSRC2:USER_SGPR: 2
; COMPUTE_PGM_RSRC2:TRAP_HANDLER: 0
; COMPUTE_PGM_RSRC2:TGID_X_EN: 1
; COMPUTE_PGM_RSRC2:TGID_Y_EN: 0
; COMPUTE_PGM_RSRC2:TGID_Z_EN: 0
; COMPUTE_PGM_RSRC2:TIDIG_COMP_CNT: 0
; COMPUTE_PGM_RSRC3_GFX90A:ACCUM_OFFSET: 0
; COMPUTE_PGM_RSRC3_GFX90A:TG_SPLIT: 0
	.section	.text._ZN7rocprim17ROCPRIM_400000_NS6detail17trampoline_kernelINS0_13kernel_configILj256ELj4ELj4294967295EEENS1_37radix_sort_block_sort_config_selectorIxxEEZNS1_21radix_sort_block_sortIS4_Lb0EN6thrust23THRUST_200600_302600_NS6detail15normal_iteratorINS9_10device_ptrIxEEEESE_SE_SE_NS0_19identity_decomposerEEE10hipError_tT1_T2_T3_T4_jRjT5_jjP12ihipStream_tbEUlT_E_NS1_11comp_targetILNS1_3genE9ELNS1_11target_archE1100ELNS1_3gpuE3ELNS1_3repE0EEENS1_44radix_sort_block_sort_config_static_selectorELNS0_4arch9wavefront6targetE1EEEvSH_,"axG",@progbits,_ZN7rocprim17ROCPRIM_400000_NS6detail17trampoline_kernelINS0_13kernel_configILj256ELj4ELj4294967295EEENS1_37radix_sort_block_sort_config_selectorIxxEEZNS1_21radix_sort_block_sortIS4_Lb0EN6thrust23THRUST_200600_302600_NS6detail15normal_iteratorINS9_10device_ptrIxEEEESE_SE_SE_NS0_19identity_decomposerEEE10hipError_tT1_T2_T3_T4_jRjT5_jjP12ihipStream_tbEUlT_E_NS1_11comp_targetILNS1_3genE9ELNS1_11target_archE1100ELNS1_3gpuE3ELNS1_3repE0EEENS1_44radix_sort_block_sort_config_static_selectorELNS0_4arch9wavefront6targetE1EEEvSH_,comdat
	.protected	_ZN7rocprim17ROCPRIM_400000_NS6detail17trampoline_kernelINS0_13kernel_configILj256ELj4ELj4294967295EEENS1_37radix_sort_block_sort_config_selectorIxxEEZNS1_21radix_sort_block_sortIS4_Lb0EN6thrust23THRUST_200600_302600_NS6detail15normal_iteratorINS9_10device_ptrIxEEEESE_SE_SE_NS0_19identity_decomposerEEE10hipError_tT1_T2_T3_T4_jRjT5_jjP12ihipStream_tbEUlT_E_NS1_11comp_targetILNS1_3genE9ELNS1_11target_archE1100ELNS1_3gpuE3ELNS1_3repE0EEENS1_44radix_sort_block_sort_config_static_selectorELNS0_4arch9wavefront6targetE1EEEvSH_ ; -- Begin function _ZN7rocprim17ROCPRIM_400000_NS6detail17trampoline_kernelINS0_13kernel_configILj256ELj4ELj4294967295EEENS1_37radix_sort_block_sort_config_selectorIxxEEZNS1_21radix_sort_block_sortIS4_Lb0EN6thrust23THRUST_200600_302600_NS6detail15normal_iteratorINS9_10device_ptrIxEEEESE_SE_SE_NS0_19identity_decomposerEEE10hipError_tT1_T2_T3_T4_jRjT5_jjP12ihipStream_tbEUlT_E_NS1_11comp_targetILNS1_3genE9ELNS1_11target_archE1100ELNS1_3gpuE3ELNS1_3repE0EEENS1_44radix_sort_block_sort_config_static_selectorELNS0_4arch9wavefront6targetE1EEEvSH_
	.globl	_ZN7rocprim17ROCPRIM_400000_NS6detail17trampoline_kernelINS0_13kernel_configILj256ELj4ELj4294967295EEENS1_37radix_sort_block_sort_config_selectorIxxEEZNS1_21radix_sort_block_sortIS4_Lb0EN6thrust23THRUST_200600_302600_NS6detail15normal_iteratorINS9_10device_ptrIxEEEESE_SE_SE_NS0_19identity_decomposerEEE10hipError_tT1_T2_T3_T4_jRjT5_jjP12ihipStream_tbEUlT_E_NS1_11comp_targetILNS1_3genE9ELNS1_11target_archE1100ELNS1_3gpuE3ELNS1_3repE0EEENS1_44radix_sort_block_sort_config_static_selectorELNS0_4arch9wavefront6targetE1EEEvSH_
	.p2align	8
	.type	_ZN7rocprim17ROCPRIM_400000_NS6detail17trampoline_kernelINS0_13kernel_configILj256ELj4ELj4294967295EEENS1_37radix_sort_block_sort_config_selectorIxxEEZNS1_21radix_sort_block_sortIS4_Lb0EN6thrust23THRUST_200600_302600_NS6detail15normal_iteratorINS9_10device_ptrIxEEEESE_SE_SE_NS0_19identity_decomposerEEE10hipError_tT1_T2_T3_T4_jRjT5_jjP12ihipStream_tbEUlT_E_NS1_11comp_targetILNS1_3genE9ELNS1_11target_archE1100ELNS1_3gpuE3ELNS1_3repE0EEENS1_44radix_sort_block_sort_config_static_selectorELNS0_4arch9wavefront6targetE1EEEvSH_,@function
_ZN7rocprim17ROCPRIM_400000_NS6detail17trampoline_kernelINS0_13kernel_configILj256ELj4ELj4294967295EEENS1_37radix_sort_block_sort_config_selectorIxxEEZNS1_21radix_sort_block_sortIS4_Lb0EN6thrust23THRUST_200600_302600_NS6detail15normal_iteratorINS9_10device_ptrIxEEEESE_SE_SE_NS0_19identity_decomposerEEE10hipError_tT1_T2_T3_T4_jRjT5_jjP12ihipStream_tbEUlT_E_NS1_11comp_targetILNS1_3genE9ELNS1_11target_archE1100ELNS1_3gpuE3ELNS1_3repE0EEENS1_44radix_sort_block_sort_config_static_selectorELNS0_4arch9wavefront6targetE1EEEvSH_: ; @_ZN7rocprim17ROCPRIM_400000_NS6detail17trampoline_kernelINS0_13kernel_configILj256ELj4ELj4294967295EEENS1_37radix_sort_block_sort_config_selectorIxxEEZNS1_21radix_sort_block_sortIS4_Lb0EN6thrust23THRUST_200600_302600_NS6detail15normal_iteratorINS9_10device_ptrIxEEEESE_SE_SE_NS0_19identity_decomposerEEE10hipError_tT1_T2_T3_T4_jRjT5_jjP12ihipStream_tbEUlT_E_NS1_11comp_targetILNS1_3genE9ELNS1_11target_archE1100ELNS1_3gpuE3ELNS1_3repE0EEENS1_44radix_sort_block_sort_config_static_selectorELNS0_4arch9wavefront6targetE1EEEvSH_
; %bb.0:
	.section	.rodata,"a",@progbits
	.p2align	6, 0x0
	.amdhsa_kernel _ZN7rocprim17ROCPRIM_400000_NS6detail17trampoline_kernelINS0_13kernel_configILj256ELj4ELj4294967295EEENS1_37radix_sort_block_sort_config_selectorIxxEEZNS1_21radix_sort_block_sortIS4_Lb0EN6thrust23THRUST_200600_302600_NS6detail15normal_iteratorINS9_10device_ptrIxEEEESE_SE_SE_NS0_19identity_decomposerEEE10hipError_tT1_T2_T3_T4_jRjT5_jjP12ihipStream_tbEUlT_E_NS1_11comp_targetILNS1_3genE9ELNS1_11target_archE1100ELNS1_3gpuE3ELNS1_3repE0EEENS1_44radix_sort_block_sort_config_static_selectorELNS0_4arch9wavefront6targetE1EEEvSH_
		.amdhsa_group_segment_fixed_size 0
		.amdhsa_private_segment_fixed_size 0
		.amdhsa_kernarg_size 48
		.amdhsa_user_sgpr_count 2
		.amdhsa_user_sgpr_dispatch_ptr 0
		.amdhsa_user_sgpr_queue_ptr 0
		.amdhsa_user_sgpr_kernarg_segment_ptr 1
		.amdhsa_user_sgpr_dispatch_id 0
		.amdhsa_user_sgpr_kernarg_preload_length 0
		.amdhsa_user_sgpr_kernarg_preload_offset 0
		.amdhsa_user_sgpr_private_segment_size 0
		.amdhsa_uses_dynamic_stack 0
		.amdhsa_enable_private_segment 0
		.amdhsa_system_sgpr_workgroup_id_x 1
		.amdhsa_system_sgpr_workgroup_id_y 0
		.amdhsa_system_sgpr_workgroup_id_z 0
		.amdhsa_system_sgpr_workgroup_info 0
		.amdhsa_system_vgpr_workitem_id 0
		.amdhsa_next_free_vgpr 1
		.amdhsa_next_free_sgpr 0
		.amdhsa_accum_offset 4
		.amdhsa_reserve_vcc 0
		.amdhsa_float_round_mode_32 0
		.amdhsa_float_round_mode_16_64 0
		.amdhsa_float_denorm_mode_32 3
		.amdhsa_float_denorm_mode_16_64 3
		.amdhsa_dx10_clamp 1
		.amdhsa_ieee_mode 1
		.amdhsa_fp16_overflow 0
		.amdhsa_tg_split 0
		.amdhsa_exception_fp_ieee_invalid_op 0
		.amdhsa_exception_fp_denorm_src 0
		.amdhsa_exception_fp_ieee_div_zero 0
		.amdhsa_exception_fp_ieee_overflow 0
		.amdhsa_exception_fp_ieee_underflow 0
		.amdhsa_exception_fp_ieee_inexact 0
		.amdhsa_exception_int_div_zero 0
	.end_amdhsa_kernel
	.section	.text._ZN7rocprim17ROCPRIM_400000_NS6detail17trampoline_kernelINS0_13kernel_configILj256ELj4ELj4294967295EEENS1_37radix_sort_block_sort_config_selectorIxxEEZNS1_21radix_sort_block_sortIS4_Lb0EN6thrust23THRUST_200600_302600_NS6detail15normal_iteratorINS9_10device_ptrIxEEEESE_SE_SE_NS0_19identity_decomposerEEE10hipError_tT1_T2_T3_T4_jRjT5_jjP12ihipStream_tbEUlT_E_NS1_11comp_targetILNS1_3genE9ELNS1_11target_archE1100ELNS1_3gpuE3ELNS1_3repE0EEENS1_44radix_sort_block_sort_config_static_selectorELNS0_4arch9wavefront6targetE1EEEvSH_,"axG",@progbits,_ZN7rocprim17ROCPRIM_400000_NS6detail17trampoline_kernelINS0_13kernel_configILj256ELj4ELj4294967295EEENS1_37radix_sort_block_sort_config_selectorIxxEEZNS1_21radix_sort_block_sortIS4_Lb0EN6thrust23THRUST_200600_302600_NS6detail15normal_iteratorINS9_10device_ptrIxEEEESE_SE_SE_NS0_19identity_decomposerEEE10hipError_tT1_T2_T3_T4_jRjT5_jjP12ihipStream_tbEUlT_E_NS1_11comp_targetILNS1_3genE9ELNS1_11target_archE1100ELNS1_3gpuE3ELNS1_3repE0EEENS1_44radix_sort_block_sort_config_static_selectorELNS0_4arch9wavefront6targetE1EEEvSH_,comdat
.Lfunc_end1054:
	.size	_ZN7rocprim17ROCPRIM_400000_NS6detail17trampoline_kernelINS0_13kernel_configILj256ELj4ELj4294967295EEENS1_37radix_sort_block_sort_config_selectorIxxEEZNS1_21radix_sort_block_sortIS4_Lb0EN6thrust23THRUST_200600_302600_NS6detail15normal_iteratorINS9_10device_ptrIxEEEESE_SE_SE_NS0_19identity_decomposerEEE10hipError_tT1_T2_T3_T4_jRjT5_jjP12ihipStream_tbEUlT_E_NS1_11comp_targetILNS1_3genE9ELNS1_11target_archE1100ELNS1_3gpuE3ELNS1_3repE0EEENS1_44radix_sort_block_sort_config_static_selectorELNS0_4arch9wavefront6targetE1EEEvSH_, .Lfunc_end1054-_ZN7rocprim17ROCPRIM_400000_NS6detail17trampoline_kernelINS0_13kernel_configILj256ELj4ELj4294967295EEENS1_37radix_sort_block_sort_config_selectorIxxEEZNS1_21radix_sort_block_sortIS4_Lb0EN6thrust23THRUST_200600_302600_NS6detail15normal_iteratorINS9_10device_ptrIxEEEESE_SE_SE_NS0_19identity_decomposerEEE10hipError_tT1_T2_T3_T4_jRjT5_jjP12ihipStream_tbEUlT_E_NS1_11comp_targetILNS1_3genE9ELNS1_11target_archE1100ELNS1_3gpuE3ELNS1_3repE0EEENS1_44radix_sort_block_sort_config_static_selectorELNS0_4arch9wavefront6targetE1EEEvSH_
                                        ; -- End function
	.set _ZN7rocprim17ROCPRIM_400000_NS6detail17trampoline_kernelINS0_13kernel_configILj256ELj4ELj4294967295EEENS1_37radix_sort_block_sort_config_selectorIxxEEZNS1_21radix_sort_block_sortIS4_Lb0EN6thrust23THRUST_200600_302600_NS6detail15normal_iteratorINS9_10device_ptrIxEEEESE_SE_SE_NS0_19identity_decomposerEEE10hipError_tT1_T2_T3_T4_jRjT5_jjP12ihipStream_tbEUlT_E_NS1_11comp_targetILNS1_3genE9ELNS1_11target_archE1100ELNS1_3gpuE3ELNS1_3repE0EEENS1_44radix_sort_block_sort_config_static_selectorELNS0_4arch9wavefront6targetE1EEEvSH_.num_vgpr, 0
	.set _ZN7rocprim17ROCPRIM_400000_NS6detail17trampoline_kernelINS0_13kernel_configILj256ELj4ELj4294967295EEENS1_37radix_sort_block_sort_config_selectorIxxEEZNS1_21radix_sort_block_sortIS4_Lb0EN6thrust23THRUST_200600_302600_NS6detail15normal_iteratorINS9_10device_ptrIxEEEESE_SE_SE_NS0_19identity_decomposerEEE10hipError_tT1_T2_T3_T4_jRjT5_jjP12ihipStream_tbEUlT_E_NS1_11comp_targetILNS1_3genE9ELNS1_11target_archE1100ELNS1_3gpuE3ELNS1_3repE0EEENS1_44radix_sort_block_sort_config_static_selectorELNS0_4arch9wavefront6targetE1EEEvSH_.num_agpr, 0
	.set _ZN7rocprim17ROCPRIM_400000_NS6detail17trampoline_kernelINS0_13kernel_configILj256ELj4ELj4294967295EEENS1_37radix_sort_block_sort_config_selectorIxxEEZNS1_21radix_sort_block_sortIS4_Lb0EN6thrust23THRUST_200600_302600_NS6detail15normal_iteratorINS9_10device_ptrIxEEEESE_SE_SE_NS0_19identity_decomposerEEE10hipError_tT1_T2_T3_T4_jRjT5_jjP12ihipStream_tbEUlT_E_NS1_11comp_targetILNS1_3genE9ELNS1_11target_archE1100ELNS1_3gpuE3ELNS1_3repE0EEENS1_44radix_sort_block_sort_config_static_selectorELNS0_4arch9wavefront6targetE1EEEvSH_.numbered_sgpr, 0
	.set _ZN7rocprim17ROCPRIM_400000_NS6detail17trampoline_kernelINS0_13kernel_configILj256ELj4ELj4294967295EEENS1_37radix_sort_block_sort_config_selectorIxxEEZNS1_21radix_sort_block_sortIS4_Lb0EN6thrust23THRUST_200600_302600_NS6detail15normal_iteratorINS9_10device_ptrIxEEEESE_SE_SE_NS0_19identity_decomposerEEE10hipError_tT1_T2_T3_T4_jRjT5_jjP12ihipStream_tbEUlT_E_NS1_11comp_targetILNS1_3genE9ELNS1_11target_archE1100ELNS1_3gpuE3ELNS1_3repE0EEENS1_44radix_sort_block_sort_config_static_selectorELNS0_4arch9wavefront6targetE1EEEvSH_.num_named_barrier, 0
	.set _ZN7rocprim17ROCPRIM_400000_NS6detail17trampoline_kernelINS0_13kernel_configILj256ELj4ELj4294967295EEENS1_37radix_sort_block_sort_config_selectorIxxEEZNS1_21radix_sort_block_sortIS4_Lb0EN6thrust23THRUST_200600_302600_NS6detail15normal_iteratorINS9_10device_ptrIxEEEESE_SE_SE_NS0_19identity_decomposerEEE10hipError_tT1_T2_T3_T4_jRjT5_jjP12ihipStream_tbEUlT_E_NS1_11comp_targetILNS1_3genE9ELNS1_11target_archE1100ELNS1_3gpuE3ELNS1_3repE0EEENS1_44radix_sort_block_sort_config_static_selectorELNS0_4arch9wavefront6targetE1EEEvSH_.private_seg_size, 0
	.set _ZN7rocprim17ROCPRIM_400000_NS6detail17trampoline_kernelINS0_13kernel_configILj256ELj4ELj4294967295EEENS1_37radix_sort_block_sort_config_selectorIxxEEZNS1_21radix_sort_block_sortIS4_Lb0EN6thrust23THRUST_200600_302600_NS6detail15normal_iteratorINS9_10device_ptrIxEEEESE_SE_SE_NS0_19identity_decomposerEEE10hipError_tT1_T2_T3_T4_jRjT5_jjP12ihipStream_tbEUlT_E_NS1_11comp_targetILNS1_3genE9ELNS1_11target_archE1100ELNS1_3gpuE3ELNS1_3repE0EEENS1_44radix_sort_block_sort_config_static_selectorELNS0_4arch9wavefront6targetE1EEEvSH_.uses_vcc, 0
	.set _ZN7rocprim17ROCPRIM_400000_NS6detail17trampoline_kernelINS0_13kernel_configILj256ELj4ELj4294967295EEENS1_37radix_sort_block_sort_config_selectorIxxEEZNS1_21radix_sort_block_sortIS4_Lb0EN6thrust23THRUST_200600_302600_NS6detail15normal_iteratorINS9_10device_ptrIxEEEESE_SE_SE_NS0_19identity_decomposerEEE10hipError_tT1_T2_T3_T4_jRjT5_jjP12ihipStream_tbEUlT_E_NS1_11comp_targetILNS1_3genE9ELNS1_11target_archE1100ELNS1_3gpuE3ELNS1_3repE0EEENS1_44radix_sort_block_sort_config_static_selectorELNS0_4arch9wavefront6targetE1EEEvSH_.uses_flat_scratch, 0
	.set _ZN7rocprim17ROCPRIM_400000_NS6detail17trampoline_kernelINS0_13kernel_configILj256ELj4ELj4294967295EEENS1_37radix_sort_block_sort_config_selectorIxxEEZNS1_21radix_sort_block_sortIS4_Lb0EN6thrust23THRUST_200600_302600_NS6detail15normal_iteratorINS9_10device_ptrIxEEEESE_SE_SE_NS0_19identity_decomposerEEE10hipError_tT1_T2_T3_T4_jRjT5_jjP12ihipStream_tbEUlT_E_NS1_11comp_targetILNS1_3genE9ELNS1_11target_archE1100ELNS1_3gpuE3ELNS1_3repE0EEENS1_44radix_sort_block_sort_config_static_selectorELNS0_4arch9wavefront6targetE1EEEvSH_.has_dyn_sized_stack, 0
	.set _ZN7rocprim17ROCPRIM_400000_NS6detail17trampoline_kernelINS0_13kernel_configILj256ELj4ELj4294967295EEENS1_37radix_sort_block_sort_config_selectorIxxEEZNS1_21radix_sort_block_sortIS4_Lb0EN6thrust23THRUST_200600_302600_NS6detail15normal_iteratorINS9_10device_ptrIxEEEESE_SE_SE_NS0_19identity_decomposerEEE10hipError_tT1_T2_T3_T4_jRjT5_jjP12ihipStream_tbEUlT_E_NS1_11comp_targetILNS1_3genE9ELNS1_11target_archE1100ELNS1_3gpuE3ELNS1_3repE0EEENS1_44radix_sort_block_sort_config_static_selectorELNS0_4arch9wavefront6targetE1EEEvSH_.has_recursion, 0
	.set _ZN7rocprim17ROCPRIM_400000_NS6detail17trampoline_kernelINS0_13kernel_configILj256ELj4ELj4294967295EEENS1_37radix_sort_block_sort_config_selectorIxxEEZNS1_21radix_sort_block_sortIS4_Lb0EN6thrust23THRUST_200600_302600_NS6detail15normal_iteratorINS9_10device_ptrIxEEEESE_SE_SE_NS0_19identity_decomposerEEE10hipError_tT1_T2_T3_T4_jRjT5_jjP12ihipStream_tbEUlT_E_NS1_11comp_targetILNS1_3genE9ELNS1_11target_archE1100ELNS1_3gpuE3ELNS1_3repE0EEENS1_44radix_sort_block_sort_config_static_selectorELNS0_4arch9wavefront6targetE1EEEvSH_.has_indirect_call, 0
	.section	.AMDGPU.csdata,"",@progbits
; Kernel info:
; codeLenInByte = 0
; TotalNumSgprs: 6
; NumVgprs: 0
; NumAgprs: 0
; TotalNumVgprs: 0
; ScratchSize: 0
; MemoryBound: 0
; FloatMode: 240
; IeeeMode: 1
; LDSByteSize: 0 bytes/workgroup (compile time only)
; SGPRBlocks: 0
; VGPRBlocks: 0
; NumSGPRsForWavesPerEU: 6
; NumVGPRsForWavesPerEU: 1
; AccumOffset: 4
; Occupancy: 8
; WaveLimiterHint : 0
; COMPUTE_PGM_RSRC2:SCRATCH_EN: 0
; COMPUTE_PGM_RSRC2:USER_SGPR: 2
; COMPUTE_PGM_RSRC2:TRAP_HANDLER: 0
; COMPUTE_PGM_RSRC2:TGID_X_EN: 1
; COMPUTE_PGM_RSRC2:TGID_Y_EN: 0
; COMPUTE_PGM_RSRC2:TGID_Z_EN: 0
; COMPUTE_PGM_RSRC2:TIDIG_COMP_CNT: 0
; COMPUTE_PGM_RSRC3_GFX90A:ACCUM_OFFSET: 0
; COMPUTE_PGM_RSRC3_GFX90A:TG_SPLIT: 0
	.section	.text._ZN7rocprim17ROCPRIM_400000_NS6detail17trampoline_kernelINS0_13kernel_configILj256ELj4ELj4294967295EEENS1_37radix_sort_block_sort_config_selectorIxxEEZNS1_21radix_sort_block_sortIS4_Lb0EN6thrust23THRUST_200600_302600_NS6detail15normal_iteratorINS9_10device_ptrIxEEEESE_SE_SE_NS0_19identity_decomposerEEE10hipError_tT1_T2_T3_T4_jRjT5_jjP12ihipStream_tbEUlT_E_NS1_11comp_targetILNS1_3genE8ELNS1_11target_archE1030ELNS1_3gpuE2ELNS1_3repE0EEENS1_44radix_sort_block_sort_config_static_selectorELNS0_4arch9wavefront6targetE1EEEvSH_,"axG",@progbits,_ZN7rocprim17ROCPRIM_400000_NS6detail17trampoline_kernelINS0_13kernel_configILj256ELj4ELj4294967295EEENS1_37radix_sort_block_sort_config_selectorIxxEEZNS1_21radix_sort_block_sortIS4_Lb0EN6thrust23THRUST_200600_302600_NS6detail15normal_iteratorINS9_10device_ptrIxEEEESE_SE_SE_NS0_19identity_decomposerEEE10hipError_tT1_T2_T3_T4_jRjT5_jjP12ihipStream_tbEUlT_E_NS1_11comp_targetILNS1_3genE8ELNS1_11target_archE1030ELNS1_3gpuE2ELNS1_3repE0EEENS1_44radix_sort_block_sort_config_static_selectorELNS0_4arch9wavefront6targetE1EEEvSH_,comdat
	.protected	_ZN7rocprim17ROCPRIM_400000_NS6detail17trampoline_kernelINS0_13kernel_configILj256ELj4ELj4294967295EEENS1_37radix_sort_block_sort_config_selectorIxxEEZNS1_21radix_sort_block_sortIS4_Lb0EN6thrust23THRUST_200600_302600_NS6detail15normal_iteratorINS9_10device_ptrIxEEEESE_SE_SE_NS0_19identity_decomposerEEE10hipError_tT1_T2_T3_T4_jRjT5_jjP12ihipStream_tbEUlT_E_NS1_11comp_targetILNS1_3genE8ELNS1_11target_archE1030ELNS1_3gpuE2ELNS1_3repE0EEENS1_44radix_sort_block_sort_config_static_selectorELNS0_4arch9wavefront6targetE1EEEvSH_ ; -- Begin function _ZN7rocprim17ROCPRIM_400000_NS6detail17trampoline_kernelINS0_13kernel_configILj256ELj4ELj4294967295EEENS1_37radix_sort_block_sort_config_selectorIxxEEZNS1_21radix_sort_block_sortIS4_Lb0EN6thrust23THRUST_200600_302600_NS6detail15normal_iteratorINS9_10device_ptrIxEEEESE_SE_SE_NS0_19identity_decomposerEEE10hipError_tT1_T2_T3_T4_jRjT5_jjP12ihipStream_tbEUlT_E_NS1_11comp_targetILNS1_3genE8ELNS1_11target_archE1030ELNS1_3gpuE2ELNS1_3repE0EEENS1_44radix_sort_block_sort_config_static_selectorELNS0_4arch9wavefront6targetE1EEEvSH_
	.globl	_ZN7rocprim17ROCPRIM_400000_NS6detail17trampoline_kernelINS0_13kernel_configILj256ELj4ELj4294967295EEENS1_37radix_sort_block_sort_config_selectorIxxEEZNS1_21radix_sort_block_sortIS4_Lb0EN6thrust23THRUST_200600_302600_NS6detail15normal_iteratorINS9_10device_ptrIxEEEESE_SE_SE_NS0_19identity_decomposerEEE10hipError_tT1_T2_T3_T4_jRjT5_jjP12ihipStream_tbEUlT_E_NS1_11comp_targetILNS1_3genE8ELNS1_11target_archE1030ELNS1_3gpuE2ELNS1_3repE0EEENS1_44radix_sort_block_sort_config_static_selectorELNS0_4arch9wavefront6targetE1EEEvSH_
	.p2align	8
	.type	_ZN7rocprim17ROCPRIM_400000_NS6detail17trampoline_kernelINS0_13kernel_configILj256ELj4ELj4294967295EEENS1_37radix_sort_block_sort_config_selectorIxxEEZNS1_21radix_sort_block_sortIS4_Lb0EN6thrust23THRUST_200600_302600_NS6detail15normal_iteratorINS9_10device_ptrIxEEEESE_SE_SE_NS0_19identity_decomposerEEE10hipError_tT1_T2_T3_T4_jRjT5_jjP12ihipStream_tbEUlT_E_NS1_11comp_targetILNS1_3genE8ELNS1_11target_archE1030ELNS1_3gpuE2ELNS1_3repE0EEENS1_44radix_sort_block_sort_config_static_selectorELNS0_4arch9wavefront6targetE1EEEvSH_,@function
_ZN7rocprim17ROCPRIM_400000_NS6detail17trampoline_kernelINS0_13kernel_configILj256ELj4ELj4294967295EEENS1_37radix_sort_block_sort_config_selectorIxxEEZNS1_21radix_sort_block_sortIS4_Lb0EN6thrust23THRUST_200600_302600_NS6detail15normal_iteratorINS9_10device_ptrIxEEEESE_SE_SE_NS0_19identity_decomposerEEE10hipError_tT1_T2_T3_T4_jRjT5_jjP12ihipStream_tbEUlT_E_NS1_11comp_targetILNS1_3genE8ELNS1_11target_archE1030ELNS1_3gpuE2ELNS1_3repE0EEENS1_44radix_sort_block_sort_config_static_selectorELNS0_4arch9wavefront6targetE1EEEvSH_: ; @_ZN7rocprim17ROCPRIM_400000_NS6detail17trampoline_kernelINS0_13kernel_configILj256ELj4ELj4294967295EEENS1_37radix_sort_block_sort_config_selectorIxxEEZNS1_21radix_sort_block_sortIS4_Lb0EN6thrust23THRUST_200600_302600_NS6detail15normal_iteratorINS9_10device_ptrIxEEEESE_SE_SE_NS0_19identity_decomposerEEE10hipError_tT1_T2_T3_T4_jRjT5_jjP12ihipStream_tbEUlT_E_NS1_11comp_targetILNS1_3genE8ELNS1_11target_archE1030ELNS1_3gpuE2ELNS1_3repE0EEENS1_44radix_sort_block_sort_config_static_selectorELNS0_4arch9wavefront6targetE1EEEvSH_
; %bb.0:
	.section	.rodata,"a",@progbits
	.p2align	6, 0x0
	.amdhsa_kernel _ZN7rocprim17ROCPRIM_400000_NS6detail17trampoline_kernelINS0_13kernel_configILj256ELj4ELj4294967295EEENS1_37radix_sort_block_sort_config_selectorIxxEEZNS1_21radix_sort_block_sortIS4_Lb0EN6thrust23THRUST_200600_302600_NS6detail15normal_iteratorINS9_10device_ptrIxEEEESE_SE_SE_NS0_19identity_decomposerEEE10hipError_tT1_T2_T3_T4_jRjT5_jjP12ihipStream_tbEUlT_E_NS1_11comp_targetILNS1_3genE8ELNS1_11target_archE1030ELNS1_3gpuE2ELNS1_3repE0EEENS1_44radix_sort_block_sort_config_static_selectorELNS0_4arch9wavefront6targetE1EEEvSH_
		.amdhsa_group_segment_fixed_size 0
		.amdhsa_private_segment_fixed_size 0
		.amdhsa_kernarg_size 48
		.amdhsa_user_sgpr_count 2
		.amdhsa_user_sgpr_dispatch_ptr 0
		.amdhsa_user_sgpr_queue_ptr 0
		.amdhsa_user_sgpr_kernarg_segment_ptr 1
		.amdhsa_user_sgpr_dispatch_id 0
		.amdhsa_user_sgpr_kernarg_preload_length 0
		.amdhsa_user_sgpr_kernarg_preload_offset 0
		.amdhsa_user_sgpr_private_segment_size 0
		.amdhsa_uses_dynamic_stack 0
		.amdhsa_enable_private_segment 0
		.amdhsa_system_sgpr_workgroup_id_x 1
		.amdhsa_system_sgpr_workgroup_id_y 0
		.amdhsa_system_sgpr_workgroup_id_z 0
		.amdhsa_system_sgpr_workgroup_info 0
		.amdhsa_system_vgpr_workitem_id 0
		.amdhsa_next_free_vgpr 1
		.amdhsa_next_free_sgpr 0
		.amdhsa_accum_offset 4
		.amdhsa_reserve_vcc 0
		.amdhsa_float_round_mode_32 0
		.amdhsa_float_round_mode_16_64 0
		.amdhsa_float_denorm_mode_32 3
		.amdhsa_float_denorm_mode_16_64 3
		.amdhsa_dx10_clamp 1
		.amdhsa_ieee_mode 1
		.amdhsa_fp16_overflow 0
		.amdhsa_tg_split 0
		.amdhsa_exception_fp_ieee_invalid_op 0
		.amdhsa_exception_fp_denorm_src 0
		.amdhsa_exception_fp_ieee_div_zero 0
		.amdhsa_exception_fp_ieee_overflow 0
		.amdhsa_exception_fp_ieee_underflow 0
		.amdhsa_exception_fp_ieee_inexact 0
		.amdhsa_exception_int_div_zero 0
	.end_amdhsa_kernel
	.section	.text._ZN7rocprim17ROCPRIM_400000_NS6detail17trampoline_kernelINS0_13kernel_configILj256ELj4ELj4294967295EEENS1_37radix_sort_block_sort_config_selectorIxxEEZNS1_21radix_sort_block_sortIS4_Lb0EN6thrust23THRUST_200600_302600_NS6detail15normal_iteratorINS9_10device_ptrIxEEEESE_SE_SE_NS0_19identity_decomposerEEE10hipError_tT1_T2_T3_T4_jRjT5_jjP12ihipStream_tbEUlT_E_NS1_11comp_targetILNS1_3genE8ELNS1_11target_archE1030ELNS1_3gpuE2ELNS1_3repE0EEENS1_44radix_sort_block_sort_config_static_selectorELNS0_4arch9wavefront6targetE1EEEvSH_,"axG",@progbits,_ZN7rocprim17ROCPRIM_400000_NS6detail17trampoline_kernelINS0_13kernel_configILj256ELj4ELj4294967295EEENS1_37radix_sort_block_sort_config_selectorIxxEEZNS1_21radix_sort_block_sortIS4_Lb0EN6thrust23THRUST_200600_302600_NS6detail15normal_iteratorINS9_10device_ptrIxEEEESE_SE_SE_NS0_19identity_decomposerEEE10hipError_tT1_T2_T3_T4_jRjT5_jjP12ihipStream_tbEUlT_E_NS1_11comp_targetILNS1_3genE8ELNS1_11target_archE1030ELNS1_3gpuE2ELNS1_3repE0EEENS1_44radix_sort_block_sort_config_static_selectorELNS0_4arch9wavefront6targetE1EEEvSH_,comdat
.Lfunc_end1055:
	.size	_ZN7rocprim17ROCPRIM_400000_NS6detail17trampoline_kernelINS0_13kernel_configILj256ELj4ELj4294967295EEENS1_37radix_sort_block_sort_config_selectorIxxEEZNS1_21radix_sort_block_sortIS4_Lb0EN6thrust23THRUST_200600_302600_NS6detail15normal_iteratorINS9_10device_ptrIxEEEESE_SE_SE_NS0_19identity_decomposerEEE10hipError_tT1_T2_T3_T4_jRjT5_jjP12ihipStream_tbEUlT_E_NS1_11comp_targetILNS1_3genE8ELNS1_11target_archE1030ELNS1_3gpuE2ELNS1_3repE0EEENS1_44radix_sort_block_sort_config_static_selectorELNS0_4arch9wavefront6targetE1EEEvSH_, .Lfunc_end1055-_ZN7rocprim17ROCPRIM_400000_NS6detail17trampoline_kernelINS0_13kernel_configILj256ELj4ELj4294967295EEENS1_37radix_sort_block_sort_config_selectorIxxEEZNS1_21radix_sort_block_sortIS4_Lb0EN6thrust23THRUST_200600_302600_NS6detail15normal_iteratorINS9_10device_ptrIxEEEESE_SE_SE_NS0_19identity_decomposerEEE10hipError_tT1_T2_T3_T4_jRjT5_jjP12ihipStream_tbEUlT_E_NS1_11comp_targetILNS1_3genE8ELNS1_11target_archE1030ELNS1_3gpuE2ELNS1_3repE0EEENS1_44radix_sort_block_sort_config_static_selectorELNS0_4arch9wavefront6targetE1EEEvSH_
                                        ; -- End function
	.set _ZN7rocprim17ROCPRIM_400000_NS6detail17trampoline_kernelINS0_13kernel_configILj256ELj4ELj4294967295EEENS1_37radix_sort_block_sort_config_selectorIxxEEZNS1_21radix_sort_block_sortIS4_Lb0EN6thrust23THRUST_200600_302600_NS6detail15normal_iteratorINS9_10device_ptrIxEEEESE_SE_SE_NS0_19identity_decomposerEEE10hipError_tT1_T2_T3_T4_jRjT5_jjP12ihipStream_tbEUlT_E_NS1_11comp_targetILNS1_3genE8ELNS1_11target_archE1030ELNS1_3gpuE2ELNS1_3repE0EEENS1_44radix_sort_block_sort_config_static_selectorELNS0_4arch9wavefront6targetE1EEEvSH_.num_vgpr, 0
	.set _ZN7rocprim17ROCPRIM_400000_NS6detail17trampoline_kernelINS0_13kernel_configILj256ELj4ELj4294967295EEENS1_37radix_sort_block_sort_config_selectorIxxEEZNS1_21radix_sort_block_sortIS4_Lb0EN6thrust23THRUST_200600_302600_NS6detail15normal_iteratorINS9_10device_ptrIxEEEESE_SE_SE_NS0_19identity_decomposerEEE10hipError_tT1_T2_T3_T4_jRjT5_jjP12ihipStream_tbEUlT_E_NS1_11comp_targetILNS1_3genE8ELNS1_11target_archE1030ELNS1_3gpuE2ELNS1_3repE0EEENS1_44radix_sort_block_sort_config_static_selectorELNS0_4arch9wavefront6targetE1EEEvSH_.num_agpr, 0
	.set _ZN7rocprim17ROCPRIM_400000_NS6detail17trampoline_kernelINS0_13kernel_configILj256ELj4ELj4294967295EEENS1_37radix_sort_block_sort_config_selectorIxxEEZNS1_21radix_sort_block_sortIS4_Lb0EN6thrust23THRUST_200600_302600_NS6detail15normal_iteratorINS9_10device_ptrIxEEEESE_SE_SE_NS0_19identity_decomposerEEE10hipError_tT1_T2_T3_T4_jRjT5_jjP12ihipStream_tbEUlT_E_NS1_11comp_targetILNS1_3genE8ELNS1_11target_archE1030ELNS1_3gpuE2ELNS1_3repE0EEENS1_44radix_sort_block_sort_config_static_selectorELNS0_4arch9wavefront6targetE1EEEvSH_.numbered_sgpr, 0
	.set _ZN7rocprim17ROCPRIM_400000_NS6detail17trampoline_kernelINS0_13kernel_configILj256ELj4ELj4294967295EEENS1_37radix_sort_block_sort_config_selectorIxxEEZNS1_21radix_sort_block_sortIS4_Lb0EN6thrust23THRUST_200600_302600_NS6detail15normal_iteratorINS9_10device_ptrIxEEEESE_SE_SE_NS0_19identity_decomposerEEE10hipError_tT1_T2_T3_T4_jRjT5_jjP12ihipStream_tbEUlT_E_NS1_11comp_targetILNS1_3genE8ELNS1_11target_archE1030ELNS1_3gpuE2ELNS1_3repE0EEENS1_44radix_sort_block_sort_config_static_selectorELNS0_4arch9wavefront6targetE1EEEvSH_.num_named_barrier, 0
	.set _ZN7rocprim17ROCPRIM_400000_NS6detail17trampoline_kernelINS0_13kernel_configILj256ELj4ELj4294967295EEENS1_37radix_sort_block_sort_config_selectorIxxEEZNS1_21radix_sort_block_sortIS4_Lb0EN6thrust23THRUST_200600_302600_NS6detail15normal_iteratorINS9_10device_ptrIxEEEESE_SE_SE_NS0_19identity_decomposerEEE10hipError_tT1_T2_T3_T4_jRjT5_jjP12ihipStream_tbEUlT_E_NS1_11comp_targetILNS1_3genE8ELNS1_11target_archE1030ELNS1_3gpuE2ELNS1_3repE0EEENS1_44radix_sort_block_sort_config_static_selectorELNS0_4arch9wavefront6targetE1EEEvSH_.private_seg_size, 0
	.set _ZN7rocprim17ROCPRIM_400000_NS6detail17trampoline_kernelINS0_13kernel_configILj256ELj4ELj4294967295EEENS1_37radix_sort_block_sort_config_selectorIxxEEZNS1_21radix_sort_block_sortIS4_Lb0EN6thrust23THRUST_200600_302600_NS6detail15normal_iteratorINS9_10device_ptrIxEEEESE_SE_SE_NS0_19identity_decomposerEEE10hipError_tT1_T2_T3_T4_jRjT5_jjP12ihipStream_tbEUlT_E_NS1_11comp_targetILNS1_3genE8ELNS1_11target_archE1030ELNS1_3gpuE2ELNS1_3repE0EEENS1_44radix_sort_block_sort_config_static_selectorELNS0_4arch9wavefront6targetE1EEEvSH_.uses_vcc, 0
	.set _ZN7rocprim17ROCPRIM_400000_NS6detail17trampoline_kernelINS0_13kernel_configILj256ELj4ELj4294967295EEENS1_37radix_sort_block_sort_config_selectorIxxEEZNS1_21radix_sort_block_sortIS4_Lb0EN6thrust23THRUST_200600_302600_NS6detail15normal_iteratorINS9_10device_ptrIxEEEESE_SE_SE_NS0_19identity_decomposerEEE10hipError_tT1_T2_T3_T4_jRjT5_jjP12ihipStream_tbEUlT_E_NS1_11comp_targetILNS1_3genE8ELNS1_11target_archE1030ELNS1_3gpuE2ELNS1_3repE0EEENS1_44radix_sort_block_sort_config_static_selectorELNS0_4arch9wavefront6targetE1EEEvSH_.uses_flat_scratch, 0
	.set _ZN7rocprim17ROCPRIM_400000_NS6detail17trampoline_kernelINS0_13kernel_configILj256ELj4ELj4294967295EEENS1_37radix_sort_block_sort_config_selectorIxxEEZNS1_21radix_sort_block_sortIS4_Lb0EN6thrust23THRUST_200600_302600_NS6detail15normal_iteratorINS9_10device_ptrIxEEEESE_SE_SE_NS0_19identity_decomposerEEE10hipError_tT1_T2_T3_T4_jRjT5_jjP12ihipStream_tbEUlT_E_NS1_11comp_targetILNS1_3genE8ELNS1_11target_archE1030ELNS1_3gpuE2ELNS1_3repE0EEENS1_44radix_sort_block_sort_config_static_selectorELNS0_4arch9wavefront6targetE1EEEvSH_.has_dyn_sized_stack, 0
	.set _ZN7rocprim17ROCPRIM_400000_NS6detail17trampoline_kernelINS0_13kernel_configILj256ELj4ELj4294967295EEENS1_37radix_sort_block_sort_config_selectorIxxEEZNS1_21radix_sort_block_sortIS4_Lb0EN6thrust23THRUST_200600_302600_NS6detail15normal_iteratorINS9_10device_ptrIxEEEESE_SE_SE_NS0_19identity_decomposerEEE10hipError_tT1_T2_T3_T4_jRjT5_jjP12ihipStream_tbEUlT_E_NS1_11comp_targetILNS1_3genE8ELNS1_11target_archE1030ELNS1_3gpuE2ELNS1_3repE0EEENS1_44radix_sort_block_sort_config_static_selectorELNS0_4arch9wavefront6targetE1EEEvSH_.has_recursion, 0
	.set _ZN7rocprim17ROCPRIM_400000_NS6detail17trampoline_kernelINS0_13kernel_configILj256ELj4ELj4294967295EEENS1_37radix_sort_block_sort_config_selectorIxxEEZNS1_21radix_sort_block_sortIS4_Lb0EN6thrust23THRUST_200600_302600_NS6detail15normal_iteratorINS9_10device_ptrIxEEEESE_SE_SE_NS0_19identity_decomposerEEE10hipError_tT1_T2_T3_T4_jRjT5_jjP12ihipStream_tbEUlT_E_NS1_11comp_targetILNS1_3genE8ELNS1_11target_archE1030ELNS1_3gpuE2ELNS1_3repE0EEENS1_44radix_sort_block_sort_config_static_selectorELNS0_4arch9wavefront6targetE1EEEvSH_.has_indirect_call, 0
	.section	.AMDGPU.csdata,"",@progbits
; Kernel info:
; codeLenInByte = 0
; TotalNumSgprs: 6
; NumVgprs: 0
; NumAgprs: 0
; TotalNumVgprs: 0
; ScratchSize: 0
; MemoryBound: 0
; FloatMode: 240
; IeeeMode: 1
; LDSByteSize: 0 bytes/workgroup (compile time only)
; SGPRBlocks: 0
; VGPRBlocks: 0
; NumSGPRsForWavesPerEU: 6
; NumVGPRsForWavesPerEU: 1
; AccumOffset: 4
; Occupancy: 8
; WaveLimiterHint : 0
; COMPUTE_PGM_RSRC2:SCRATCH_EN: 0
; COMPUTE_PGM_RSRC2:USER_SGPR: 2
; COMPUTE_PGM_RSRC2:TRAP_HANDLER: 0
; COMPUTE_PGM_RSRC2:TGID_X_EN: 1
; COMPUTE_PGM_RSRC2:TGID_Y_EN: 0
; COMPUTE_PGM_RSRC2:TGID_Z_EN: 0
; COMPUTE_PGM_RSRC2:TIDIG_COMP_CNT: 0
; COMPUTE_PGM_RSRC3_GFX90A:ACCUM_OFFSET: 0
; COMPUTE_PGM_RSRC3_GFX90A:TG_SPLIT: 0
	.section	.text._ZN7rocprim17ROCPRIM_400000_NS6detail44device_merge_sort_compile_time_verifier_archINS1_11comp_targetILNS1_3genE0ELNS1_11target_archE4294967295ELNS1_3gpuE0ELNS1_3repE0EEES8_NS1_28merge_sort_block_sort_configILj256ELj4ELNS0_20block_sort_algorithmE0EEENS0_14default_configENS1_37merge_sort_block_sort_config_selectorIxxEENS1_38merge_sort_block_merge_config_selectorIxxEEEEvv,"axG",@progbits,_ZN7rocprim17ROCPRIM_400000_NS6detail44device_merge_sort_compile_time_verifier_archINS1_11comp_targetILNS1_3genE0ELNS1_11target_archE4294967295ELNS1_3gpuE0ELNS1_3repE0EEES8_NS1_28merge_sort_block_sort_configILj256ELj4ELNS0_20block_sort_algorithmE0EEENS0_14default_configENS1_37merge_sort_block_sort_config_selectorIxxEENS1_38merge_sort_block_merge_config_selectorIxxEEEEvv,comdat
	.protected	_ZN7rocprim17ROCPRIM_400000_NS6detail44device_merge_sort_compile_time_verifier_archINS1_11comp_targetILNS1_3genE0ELNS1_11target_archE4294967295ELNS1_3gpuE0ELNS1_3repE0EEES8_NS1_28merge_sort_block_sort_configILj256ELj4ELNS0_20block_sort_algorithmE0EEENS0_14default_configENS1_37merge_sort_block_sort_config_selectorIxxEENS1_38merge_sort_block_merge_config_selectorIxxEEEEvv ; -- Begin function _ZN7rocprim17ROCPRIM_400000_NS6detail44device_merge_sort_compile_time_verifier_archINS1_11comp_targetILNS1_3genE0ELNS1_11target_archE4294967295ELNS1_3gpuE0ELNS1_3repE0EEES8_NS1_28merge_sort_block_sort_configILj256ELj4ELNS0_20block_sort_algorithmE0EEENS0_14default_configENS1_37merge_sort_block_sort_config_selectorIxxEENS1_38merge_sort_block_merge_config_selectorIxxEEEEvv
	.globl	_ZN7rocprim17ROCPRIM_400000_NS6detail44device_merge_sort_compile_time_verifier_archINS1_11comp_targetILNS1_3genE0ELNS1_11target_archE4294967295ELNS1_3gpuE0ELNS1_3repE0EEES8_NS1_28merge_sort_block_sort_configILj256ELj4ELNS0_20block_sort_algorithmE0EEENS0_14default_configENS1_37merge_sort_block_sort_config_selectorIxxEENS1_38merge_sort_block_merge_config_selectorIxxEEEEvv
	.p2align	8
	.type	_ZN7rocprim17ROCPRIM_400000_NS6detail44device_merge_sort_compile_time_verifier_archINS1_11comp_targetILNS1_3genE0ELNS1_11target_archE4294967295ELNS1_3gpuE0ELNS1_3repE0EEES8_NS1_28merge_sort_block_sort_configILj256ELj4ELNS0_20block_sort_algorithmE0EEENS0_14default_configENS1_37merge_sort_block_sort_config_selectorIxxEENS1_38merge_sort_block_merge_config_selectorIxxEEEEvv,@function
_ZN7rocprim17ROCPRIM_400000_NS6detail44device_merge_sort_compile_time_verifier_archINS1_11comp_targetILNS1_3genE0ELNS1_11target_archE4294967295ELNS1_3gpuE0ELNS1_3repE0EEES8_NS1_28merge_sort_block_sort_configILj256ELj4ELNS0_20block_sort_algorithmE0EEENS0_14default_configENS1_37merge_sort_block_sort_config_selectorIxxEENS1_38merge_sort_block_merge_config_selectorIxxEEEEvv: ; @_ZN7rocprim17ROCPRIM_400000_NS6detail44device_merge_sort_compile_time_verifier_archINS1_11comp_targetILNS1_3genE0ELNS1_11target_archE4294967295ELNS1_3gpuE0ELNS1_3repE0EEES8_NS1_28merge_sort_block_sort_configILj256ELj4ELNS0_20block_sort_algorithmE0EEENS0_14default_configENS1_37merge_sort_block_sort_config_selectorIxxEENS1_38merge_sort_block_merge_config_selectorIxxEEEEvv
; %bb.0:
	s_endpgm
	.section	.rodata,"a",@progbits
	.p2align	6, 0x0
	.amdhsa_kernel _ZN7rocprim17ROCPRIM_400000_NS6detail44device_merge_sort_compile_time_verifier_archINS1_11comp_targetILNS1_3genE0ELNS1_11target_archE4294967295ELNS1_3gpuE0ELNS1_3repE0EEES8_NS1_28merge_sort_block_sort_configILj256ELj4ELNS0_20block_sort_algorithmE0EEENS0_14default_configENS1_37merge_sort_block_sort_config_selectorIxxEENS1_38merge_sort_block_merge_config_selectorIxxEEEEvv
		.amdhsa_group_segment_fixed_size 0
		.amdhsa_private_segment_fixed_size 0
		.amdhsa_kernarg_size 0
		.amdhsa_user_sgpr_count 0
		.amdhsa_user_sgpr_dispatch_ptr 0
		.amdhsa_user_sgpr_queue_ptr 0
		.amdhsa_user_sgpr_kernarg_segment_ptr 0
		.amdhsa_user_sgpr_dispatch_id 0
		.amdhsa_user_sgpr_kernarg_preload_length 0
		.amdhsa_user_sgpr_kernarg_preload_offset 0
		.amdhsa_user_sgpr_private_segment_size 0
		.amdhsa_uses_dynamic_stack 0
		.amdhsa_enable_private_segment 0
		.amdhsa_system_sgpr_workgroup_id_x 1
		.amdhsa_system_sgpr_workgroup_id_y 0
		.amdhsa_system_sgpr_workgroup_id_z 0
		.amdhsa_system_sgpr_workgroup_info 0
		.amdhsa_system_vgpr_workitem_id 0
		.amdhsa_next_free_vgpr 1
		.amdhsa_next_free_sgpr 0
		.amdhsa_accum_offset 4
		.amdhsa_reserve_vcc 0
		.amdhsa_float_round_mode_32 0
		.amdhsa_float_round_mode_16_64 0
		.amdhsa_float_denorm_mode_32 3
		.amdhsa_float_denorm_mode_16_64 3
		.amdhsa_dx10_clamp 1
		.amdhsa_ieee_mode 1
		.amdhsa_fp16_overflow 0
		.amdhsa_tg_split 0
		.amdhsa_exception_fp_ieee_invalid_op 0
		.amdhsa_exception_fp_denorm_src 0
		.amdhsa_exception_fp_ieee_div_zero 0
		.amdhsa_exception_fp_ieee_overflow 0
		.amdhsa_exception_fp_ieee_underflow 0
		.amdhsa_exception_fp_ieee_inexact 0
		.amdhsa_exception_int_div_zero 0
	.end_amdhsa_kernel
	.section	.text._ZN7rocprim17ROCPRIM_400000_NS6detail44device_merge_sort_compile_time_verifier_archINS1_11comp_targetILNS1_3genE0ELNS1_11target_archE4294967295ELNS1_3gpuE0ELNS1_3repE0EEES8_NS1_28merge_sort_block_sort_configILj256ELj4ELNS0_20block_sort_algorithmE0EEENS0_14default_configENS1_37merge_sort_block_sort_config_selectorIxxEENS1_38merge_sort_block_merge_config_selectorIxxEEEEvv,"axG",@progbits,_ZN7rocprim17ROCPRIM_400000_NS6detail44device_merge_sort_compile_time_verifier_archINS1_11comp_targetILNS1_3genE0ELNS1_11target_archE4294967295ELNS1_3gpuE0ELNS1_3repE0EEES8_NS1_28merge_sort_block_sort_configILj256ELj4ELNS0_20block_sort_algorithmE0EEENS0_14default_configENS1_37merge_sort_block_sort_config_selectorIxxEENS1_38merge_sort_block_merge_config_selectorIxxEEEEvv,comdat
.Lfunc_end1056:
	.size	_ZN7rocprim17ROCPRIM_400000_NS6detail44device_merge_sort_compile_time_verifier_archINS1_11comp_targetILNS1_3genE0ELNS1_11target_archE4294967295ELNS1_3gpuE0ELNS1_3repE0EEES8_NS1_28merge_sort_block_sort_configILj256ELj4ELNS0_20block_sort_algorithmE0EEENS0_14default_configENS1_37merge_sort_block_sort_config_selectorIxxEENS1_38merge_sort_block_merge_config_selectorIxxEEEEvv, .Lfunc_end1056-_ZN7rocprim17ROCPRIM_400000_NS6detail44device_merge_sort_compile_time_verifier_archINS1_11comp_targetILNS1_3genE0ELNS1_11target_archE4294967295ELNS1_3gpuE0ELNS1_3repE0EEES8_NS1_28merge_sort_block_sort_configILj256ELj4ELNS0_20block_sort_algorithmE0EEENS0_14default_configENS1_37merge_sort_block_sort_config_selectorIxxEENS1_38merge_sort_block_merge_config_selectorIxxEEEEvv
                                        ; -- End function
	.set _ZN7rocprim17ROCPRIM_400000_NS6detail44device_merge_sort_compile_time_verifier_archINS1_11comp_targetILNS1_3genE0ELNS1_11target_archE4294967295ELNS1_3gpuE0ELNS1_3repE0EEES8_NS1_28merge_sort_block_sort_configILj256ELj4ELNS0_20block_sort_algorithmE0EEENS0_14default_configENS1_37merge_sort_block_sort_config_selectorIxxEENS1_38merge_sort_block_merge_config_selectorIxxEEEEvv.num_vgpr, 0
	.set _ZN7rocprim17ROCPRIM_400000_NS6detail44device_merge_sort_compile_time_verifier_archINS1_11comp_targetILNS1_3genE0ELNS1_11target_archE4294967295ELNS1_3gpuE0ELNS1_3repE0EEES8_NS1_28merge_sort_block_sort_configILj256ELj4ELNS0_20block_sort_algorithmE0EEENS0_14default_configENS1_37merge_sort_block_sort_config_selectorIxxEENS1_38merge_sort_block_merge_config_selectorIxxEEEEvv.num_agpr, 0
	.set _ZN7rocprim17ROCPRIM_400000_NS6detail44device_merge_sort_compile_time_verifier_archINS1_11comp_targetILNS1_3genE0ELNS1_11target_archE4294967295ELNS1_3gpuE0ELNS1_3repE0EEES8_NS1_28merge_sort_block_sort_configILj256ELj4ELNS0_20block_sort_algorithmE0EEENS0_14default_configENS1_37merge_sort_block_sort_config_selectorIxxEENS1_38merge_sort_block_merge_config_selectorIxxEEEEvv.numbered_sgpr, 0
	.set _ZN7rocprim17ROCPRIM_400000_NS6detail44device_merge_sort_compile_time_verifier_archINS1_11comp_targetILNS1_3genE0ELNS1_11target_archE4294967295ELNS1_3gpuE0ELNS1_3repE0EEES8_NS1_28merge_sort_block_sort_configILj256ELj4ELNS0_20block_sort_algorithmE0EEENS0_14default_configENS1_37merge_sort_block_sort_config_selectorIxxEENS1_38merge_sort_block_merge_config_selectorIxxEEEEvv.num_named_barrier, 0
	.set _ZN7rocprim17ROCPRIM_400000_NS6detail44device_merge_sort_compile_time_verifier_archINS1_11comp_targetILNS1_3genE0ELNS1_11target_archE4294967295ELNS1_3gpuE0ELNS1_3repE0EEES8_NS1_28merge_sort_block_sort_configILj256ELj4ELNS0_20block_sort_algorithmE0EEENS0_14default_configENS1_37merge_sort_block_sort_config_selectorIxxEENS1_38merge_sort_block_merge_config_selectorIxxEEEEvv.private_seg_size, 0
	.set _ZN7rocprim17ROCPRIM_400000_NS6detail44device_merge_sort_compile_time_verifier_archINS1_11comp_targetILNS1_3genE0ELNS1_11target_archE4294967295ELNS1_3gpuE0ELNS1_3repE0EEES8_NS1_28merge_sort_block_sort_configILj256ELj4ELNS0_20block_sort_algorithmE0EEENS0_14default_configENS1_37merge_sort_block_sort_config_selectorIxxEENS1_38merge_sort_block_merge_config_selectorIxxEEEEvv.uses_vcc, 0
	.set _ZN7rocprim17ROCPRIM_400000_NS6detail44device_merge_sort_compile_time_verifier_archINS1_11comp_targetILNS1_3genE0ELNS1_11target_archE4294967295ELNS1_3gpuE0ELNS1_3repE0EEES8_NS1_28merge_sort_block_sort_configILj256ELj4ELNS0_20block_sort_algorithmE0EEENS0_14default_configENS1_37merge_sort_block_sort_config_selectorIxxEENS1_38merge_sort_block_merge_config_selectorIxxEEEEvv.uses_flat_scratch, 0
	.set _ZN7rocprim17ROCPRIM_400000_NS6detail44device_merge_sort_compile_time_verifier_archINS1_11comp_targetILNS1_3genE0ELNS1_11target_archE4294967295ELNS1_3gpuE0ELNS1_3repE0EEES8_NS1_28merge_sort_block_sort_configILj256ELj4ELNS0_20block_sort_algorithmE0EEENS0_14default_configENS1_37merge_sort_block_sort_config_selectorIxxEENS1_38merge_sort_block_merge_config_selectorIxxEEEEvv.has_dyn_sized_stack, 0
	.set _ZN7rocprim17ROCPRIM_400000_NS6detail44device_merge_sort_compile_time_verifier_archINS1_11comp_targetILNS1_3genE0ELNS1_11target_archE4294967295ELNS1_3gpuE0ELNS1_3repE0EEES8_NS1_28merge_sort_block_sort_configILj256ELj4ELNS0_20block_sort_algorithmE0EEENS0_14default_configENS1_37merge_sort_block_sort_config_selectorIxxEENS1_38merge_sort_block_merge_config_selectorIxxEEEEvv.has_recursion, 0
	.set _ZN7rocprim17ROCPRIM_400000_NS6detail44device_merge_sort_compile_time_verifier_archINS1_11comp_targetILNS1_3genE0ELNS1_11target_archE4294967295ELNS1_3gpuE0ELNS1_3repE0EEES8_NS1_28merge_sort_block_sort_configILj256ELj4ELNS0_20block_sort_algorithmE0EEENS0_14default_configENS1_37merge_sort_block_sort_config_selectorIxxEENS1_38merge_sort_block_merge_config_selectorIxxEEEEvv.has_indirect_call, 0
	.section	.AMDGPU.csdata,"",@progbits
; Kernel info:
; codeLenInByte = 4
; TotalNumSgprs: 6
; NumVgprs: 0
; NumAgprs: 0
; TotalNumVgprs: 0
; ScratchSize: 0
; MemoryBound: 0
; FloatMode: 240
; IeeeMode: 1
; LDSByteSize: 0 bytes/workgroup (compile time only)
; SGPRBlocks: 0
; VGPRBlocks: 0
; NumSGPRsForWavesPerEU: 6
; NumVGPRsForWavesPerEU: 1
; AccumOffset: 4
; Occupancy: 8
; WaveLimiterHint : 0
; COMPUTE_PGM_RSRC2:SCRATCH_EN: 0
; COMPUTE_PGM_RSRC2:USER_SGPR: 0
; COMPUTE_PGM_RSRC2:TRAP_HANDLER: 0
; COMPUTE_PGM_RSRC2:TGID_X_EN: 1
; COMPUTE_PGM_RSRC2:TGID_Y_EN: 0
; COMPUTE_PGM_RSRC2:TGID_Z_EN: 0
; COMPUTE_PGM_RSRC2:TIDIG_COMP_CNT: 0
; COMPUTE_PGM_RSRC3_GFX90A:ACCUM_OFFSET: 0
; COMPUTE_PGM_RSRC3_GFX90A:TG_SPLIT: 0
	.section	.text._ZN7rocprim17ROCPRIM_400000_NS6detail44device_merge_sort_compile_time_verifier_archINS1_11comp_targetILNS1_3genE5ELNS1_11target_archE942ELNS1_3gpuE9ELNS1_3repE0EEES8_NS1_28merge_sort_block_sort_configILj256ELj4ELNS0_20block_sort_algorithmE0EEENS0_14default_configENS1_37merge_sort_block_sort_config_selectorIxxEENS1_38merge_sort_block_merge_config_selectorIxxEEEEvv,"axG",@progbits,_ZN7rocprim17ROCPRIM_400000_NS6detail44device_merge_sort_compile_time_verifier_archINS1_11comp_targetILNS1_3genE5ELNS1_11target_archE942ELNS1_3gpuE9ELNS1_3repE0EEES8_NS1_28merge_sort_block_sort_configILj256ELj4ELNS0_20block_sort_algorithmE0EEENS0_14default_configENS1_37merge_sort_block_sort_config_selectorIxxEENS1_38merge_sort_block_merge_config_selectorIxxEEEEvv,comdat
	.protected	_ZN7rocprim17ROCPRIM_400000_NS6detail44device_merge_sort_compile_time_verifier_archINS1_11comp_targetILNS1_3genE5ELNS1_11target_archE942ELNS1_3gpuE9ELNS1_3repE0EEES8_NS1_28merge_sort_block_sort_configILj256ELj4ELNS0_20block_sort_algorithmE0EEENS0_14default_configENS1_37merge_sort_block_sort_config_selectorIxxEENS1_38merge_sort_block_merge_config_selectorIxxEEEEvv ; -- Begin function _ZN7rocprim17ROCPRIM_400000_NS6detail44device_merge_sort_compile_time_verifier_archINS1_11comp_targetILNS1_3genE5ELNS1_11target_archE942ELNS1_3gpuE9ELNS1_3repE0EEES8_NS1_28merge_sort_block_sort_configILj256ELj4ELNS0_20block_sort_algorithmE0EEENS0_14default_configENS1_37merge_sort_block_sort_config_selectorIxxEENS1_38merge_sort_block_merge_config_selectorIxxEEEEvv
	.globl	_ZN7rocprim17ROCPRIM_400000_NS6detail44device_merge_sort_compile_time_verifier_archINS1_11comp_targetILNS1_3genE5ELNS1_11target_archE942ELNS1_3gpuE9ELNS1_3repE0EEES8_NS1_28merge_sort_block_sort_configILj256ELj4ELNS0_20block_sort_algorithmE0EEENS0_14default_configENS1_37merge_sort_block_sort_config_selectorIxxEENS1_38merge_sort_block_merge_config_selectorIxxEEEEvv
	.p2align	8
	.type	_ZN7rocprim17ROCPRIM_400000_NS6detail44device_merge_sort_compile_time_verifier_archINS1_11comp_targetILNS1_3genE5ELNS1_11target_archE942ELNS1_3gpuE9ELNS1_3repE0EEES8_NS1_28merge_sort_block_sort_configILj256ELj4ELNS0_20block_sort_algorithmE0EEENS0_14default_configENS1_37merge_sort_block_sort_config_selectorIxxEENS1_38merge_sort_block_merge_config_selectorIxxEEEEvv,@function
_ZN7rocprim17ROCPRIM_400000_NS6detail44device_merge_sort_compile_time_verifier_archINS1_11comp_targetILNS1_3genE5ELNS1_11target_archE942ELNS1_3gpuE9ELNS1_3repE0EEES8_NS1_28merge_sort_block_sort_configILj256ELj4ELNS0_20block_sort_algorithmE0EEENS0_14default_configENS1_37merge_sort_block_sort_config_selectorIxxEENS1_38merge_sort_block_merge_config_selectorIxxEEEEvv: ; @_ZN7rocprim17ROCPRIM_400000_NS6detail44device_merge_sort_compile_time_verifier_archINS1_11comp_targetILNS1_3genE5ELNS1_11target_archE942ELNS1_3gpuE9ELNS1_3repE0EEES8_NS1_28merge_sort_block_sort_configILj256ELj4ELNS0_20block_sort_algorithmE0EEENS0_14default_configENS1_37merge_sort_block_sort_config_selectorIxxEENS1_38merge_sort_block_merge_config_selectorIxxEEEEvv
; %bb.0:
	s_endpgm
	.section	.rodata,"a",@progbits
	.p2align	6, 0x0
	.amdhsa_kernel _ZN7rocprim17ROCPRIM_400000_NS6detail44device_merge_sort_compile_time_verifier_archINS1_11comp_targetILNS1_3genE5ELNS1_11target_archE942ELNS1_3gpuE9ELNS1_3repE0EEES8_NS1_28merge_sort_block_sort_configILj256ELj4ELNS0_20block_sort_algorithmE0EEENS0_14default_configENS1_37merge_sort_block_sort_config_selectorIxxEENS1_38merge_sort_block_merge_config_selectorIxxEEEEvv
		.amdhsa_group_segment_fixed_size 0
		.amdhsa_private_segment_fixed_size 0
		.amdhsa_kernarg_size 0
		.amdhsa_user_sgpr_count 0
		.amdhsa_user_sgpr_dispatch_ptr 0
		.amdhsa_user_sgpr_queue_ptr 0
		.amdhsa_user_sgpr_kernarg_segment_ptr 0
		.amdhsa_user_sgpr_dispatch_id 0
		.amdhsa_user_sgpr_kernarg_preload_length 0
		.amdhsa_user_sgpr_kernarg_preload_offset 0
		.amdhsa_user_sgpr_private_segment_size 0
		.amdhsa_uses_dynamic_stack 0
		.amdhsa_enable_private_segment 0
		.amdhsa_system_sgpr_workgroup_id_x 1
		.amdhsa_system_sgpr_workgroup_id_y 0
		.amdhsa_system_sgpr_workgroup_id_z 0
		.amdhsa_system_sgpr_workgroup_info 0
		.amdhsa_system_vgpr_workitem_id 0
		.amdhsa_next_free_vgpr 1
		.amdhsa_next_free_sgpr 0
		.amdhsa_accum_offset 4
		.amdhsa_reserve_vcc 0
		.amdhsa_float_round_mode_32 0
		.amdhsa_float_round_mode_16_64 0
		.amdhsa_float_denorm_mode_32 3
		.amdhsa_float_denorm_mode_16_64 3
		.amdhsa_dx10_clamp 1
		.amdhsa_ieee_mode 1
		.amdhsa_fp16_overflow 0
		.amdhsa_tg_split 0
		.amdhsa_exception_fp_ieee_invalid_op 0
		.amdhsa_exception_fp_denorm_src 0
		.amdhsa_exception_fp_ieee_div_zero 0
		.amdhsa_exception_fp_ieee_overflow 0
		.amdhsa_exception_fp_ieee_underflow 0
		.amdhsa_exception_fp_ieee_inexact 0
		.amdhsa_exception_int_div_zero 0
	.end_amdhsa_kernel
	.section	.text._ZN7rocprim17ROCPRIM_400000_NS6detail44device_merge_sort_compile_time_verifier_archINS1_11comp_targetILNS1_3genE5ELNS1_11target_archE942ELNS1_3gpuE9ELNS1_3repE0EEES8_NS1_28merge_sort_block_sort_configILj256ELj4ELNS0_20block_sort_algorithmE0EEENS0_14default_configENS1_37merge_sort_block_sort_config_selectorIxxEENS1_38merge_sort_block_merge_config_selectorIxxEEEEvv,"axG",@progbits,_ZN7rocprim17ROCPRIM_400000_NS6detail44device_merge_sort_compile_time_verifier_archINS1_11comp_targetILNS1_3genE5ELNS1_11target_archE942ELNS1_3gpuE9ELNS1_3repE0EEES8_NS1_28merge_sort_block_sort_configILj256ELj4ELNS0_20block_sort_algorithmE0EEENS0_14default_configENS1_37merge_sort_block_sort_config_selectorIxxEENS1_38merge_sort_block_merge_config_selectorIxxEEEEvv,comdat
.Lfunc_end1057:
	.size	_ZN7rocprim17ROCPRIM_400000_NS6detail44device_merge_sort_compile_time_verifier_archINS1_11comp_targetILNS1_3genE5ELNS1_11target_archE942ELNS1_3gpuE9ELNS1_3repE0EEES8_NS1_28merge_sort_block_sort_configILj256ELj4ELNS0_20block_sort_algorithmE0EEENS0_14default_configENS1_37merge_sort_block_sort_config_selectorIxxEENS1_38merge_sort_block_merge_config_selectorIxxEEEEvv, .Lfunc_end1057-_ZN7rocprim17ROCPRIM_400000_NS6detail44device_merge_sort_compile_time_verifier_archINS1_11comp_targetILNS1_3genE5ELNS1_11target_archE942ELNS1_3gpuE9ELNS1_3repE0EEES8_NS1_28merge_sort_block_sort_configILj256ELj4ELNS0_20block_sort_algorithmE0EEENS0_14default_configENS1_37merge_sort_block_sort_config_selectorIxxEENS1_38merge_sort_block_merge_config_selectorIxxEEEEvv
                                        ; -- End function
	.set _ZN7rocprim17ROCPRIM_400000_NS6detail44device_merge_sort_compile_time_verifier_archINS1_11comp_targetILNS1_3genE5ELNS1_11target_archE942ELNS1_3gpuE9ELNS1_3repE0EEES8_NS1_28merge_sort_block_sort_configILj256ELj4ELNS0_20block_sort_algorithmE0EEENS0_14default_configENS1_37merge_sort_block_sort_config_selectorIxxEENS1_38merge_sort_block_merge_config_selectorIxxEEEEvv.num_vgpr, 0
	.set _ZN7rocprim17ROCPRIM_400000_NS6detail44device_merge_sort_compile_time_verifier_archINS1_11comp_targetILNS1_3genE5ELNS1_11target_archE942ELNS1_3gpuE9ELNS1_3repE0EEES8_NS1_28merge_sort_block_sort_configILj256ELj4ELNS0_20block_sort_algorithmE0EEENS0_14default_configENS1_37merge_sort_block_sort_config_selectorIxxEENS1_38merge_sort_block_merge_config_selectorIxxEEEEvv.num_agpr, 0
	.set _ZN7rocprim17ROCPRIM_400000_NS6detail44device_merge_sort_compile_time_verifier_archINS1_11comp_targetILNS1_3genE5ELNS1_11target_archE942ELNS1_3gpuE9ELNS1_3repE0EEES8_NS1_28merge_sort_block_sort_configILj256ELj4ELNS0_20block_sort_algorithmE0EEENS0_14default_configENS1_37merge_sort_block_sort_config_selectorIxxEENS1_38merge_sort_block_merge_config_selectorIxxEEEEvv.numbered_sgpr, 0
	.set _ZN7rocprim17ROCPRIM_400000_NS6detail44device_merge_sort_compile_time_verifier_archINS1_11comp_targetILNS1_3genE5ELNS1_11target_archE942ELNS1_3gpuE9ELNS1_3repE0EEES8_NS1_28merge_sort_block_sort_configILj256ELj4ELNS0_20block_sort_algorithmE0EEENS0_14default_configENS1_37merge_sort_block_sort_config_selectorIxxEENS1_38merge_sort_block_merge_config_selectorIxxEEEEvv.num_named_barrier, 0
	.set _ZN7rocprim17ROCPRIM_400000_NS6detail44device_merge_sort_compile_time_verifier_archINS1_11comp_targetILNS1_3genE5ELNS1_11target_archE942ELNS1_3gpuE9ELNS1_3repE0EEES8_NS1_28merge_sort_block_sort_configILj256ELj4ELNS0_20block_sort_algorithmE0EEENS0_14default_configENS1_37merge_sort_block_sort_config_selectorIxxEENS1_38merge_sort_block_merge_config_selectorIxxEEEEvv.private_seg_size, 0
	.set _ZN7rocprim17ROCPRIM_400000_NS6detail44device_merge_sort_compile_time_verifier_archINS1_11comp_targetILNS1_3genE5ELNS1_11target_archE942ELNS1_3gpuE9ELNS1_3repE0EEES8_NS1_28merge_sort_block_sort_configILj256ELj4ELNS0_20block_sort_algorithmE0EEENS0_14default_configENS1_37merge_sort_block_sort_config_selectorIxxEENS1_38merge_sort_block_merge_config_selectorIxxEEEEvv.uses_vcc, 0
	.set _ZN7rocprim17ROCPRIM_400000_NS6detail44device_merge_sort_compile_time_verifier_archINS1_11comp_targetILNS1_3genE5ELNS1_11target_archE942ELNS1_3gpuE9ELNS1_3repE0EEES8_NS1_28merge_sort_block_sort_configILj256ELj4ELNS0_20block_sort_algorithmE0EEENS0_14default_configENS1_37merge_sort_block_sort_config_selectorIxxEENS1_38merge_sort_block_merge_config_selectorIxxEEEEvv.uses_flat_scratch, 0
	.set _ZN7rocprim17ROCPRIM_400000_NS6detail44device_merge_sort_compile_time_verifier_archINS1_11comp_targetILNS1_3genE5ELNS1_11target_archE942ELNS1_3gpuE9ELNS1_3repE0EEES8_NS1_28merge_sort_block_sort_configILj256ELj4ELNS0_20block_sort_algorithmE0EEENS0_14default_configENS1_37merge_sort_block_sort_config_selectorIxxEENS1_38merge_sort_block_merge_config_selectorIxxEEEEvv.has_dyn_sized_stack, 0
	.set _ZN7rocprim17ROCPRIM_400000_NS6detail44device_merge_sort_compile_time_verifier_archINS1_11comp_targetILNS1_3genE5ELNS1_11target_archE942ELNS1_3gpuE9ELNS1_3repE0EEES8_NS1_28merge_sort_block_sort_configILj256ELj4ELNS0_20block_sort_algorithmE0EEENS0_14default_configENS1_37merge_sort_block_sort_config_selectorIxxEENS1_38merge_sort_block_merge_config_selectorIxxEEEEvv.has_recursion, 0
	.set _ZN7rocprim17ROCPRIM_400000_NS6detail44device_merge_sort_compile_time_verifier_archINS1_11comp_targetILNS1_3genE5ELNS1_11target_archE942ELNS1_3gpuE9ELNS1_3repE0EEES8_NS1_28merge_sort_block_sort_configILj256ELj4ELNS0_20block_sort_algorithmE0EEENS0_14default_configENS1_37merge_sort_block_sort_config_selectorIxxEENS1_38merge_sort_block_merge_config_selectorIxxEEEEvv.has_indirect_call, 0
	.section	.AMDGPU.csdata,"",@progbits
; Kernel info:
; codeLenInByte = 4
; TotalNumSgprs: 6
; NumVgprs: 0
; NumAgprs: 0
; TotalNumVgprs: 0
; ScratchSize: 0
; MemoryBound: 0
; FloatMode: 240
; IeeeMode: 1
; LDSByteSize: 0 bytes/workgroup (compile time only)
; SGPRBlocks: 0
; VGPRBlocks: 0
; NumSGPRsForWavesPerEU: 6
; NumVGPRsForWavesPerEU: 1
; AccumOffset: 4
; Occupancy: 8
; WaveLimiterHint : 0
; COMPUTE_PGM_RSRC2:SCRATCH_EN: 0
; COMPUTE_PGM_RSRC2:USER_SGPR: 0
; COMPUTE_PGM_RSRC2:TRAP_HANDLER: 0
; COMPUTE_PGM_RSRC2:TGID_X_EN: 1
; COMPUTE_PGM_RSRC2:TGID_Y_EN: 0
; COMPUTE_PGM_RSRC2:TGID_Z_EN: 0
; COMPUTE_PGM_RSRC2:TIDIG_COMP_CNT: 0
; COMPUTE_PGM_RSRC3_GFX90A:ACCUM_OFFSET: 0
; COMPUTE_PGM_RSRC3_GFX90A:TG_SPLIT: 0
	.section	.text._ZN7rocprim17ROCPRIM_400000_NS6detail44device_merge_sort_compile_time_verifier_archINS1_11comp_targetILNS1_3genE4ELNS1_11target_archE910ELNS1_3gpuE8ELNS1_3repE0EEES8_NS1_28merge_sort_block_sort_configILj256ELj4ELNS0_20block_sort_algorithmE0EEENS0_14default_configENS1_37merge_sort_block_sort_config_selectorIxxEENS1_38merge_sort_block_merge_config_selectorIxxEEEEvv,"axG",@progbits,_ZN7rocprim17ROCPRIM_400000_NS6detail44device_merge_sort_compile_time_verifier_archINS1_11comp_targetILNS1_3genE4ELNS1_11target_archE910ELNS1_3gpuE8ELNS1_3repE0EEES8_NS1_28merge_sort_block_sort_configILj256ELj4ELNS0_20block_sort_algorithmE0EEENS0_14default_configENS1_37merge_sort_block_sort_config_selectorIxxEENS1_38merge_sort_block_merge_config_selectorIxxEEEEvv,comdat
	.protected	_ZN7rocprim17ROCPRIM_400000_NS6detail44device_merge_sort_compile_time_verifier_archINS1_11comp_targetILNS1_3genE4ELNS1_11target_archE910ELNS1_3gpuE8ELNS1_3repE0EEES8_NS1_28merge_sort_block_sort_configILj256ELj4ELNS0_20block_sort_algorithmE0EEENS0_14default_configENS1_37merge_sort_block_sort_config_selectorIxxEENS1_38merge_sort_block_merge_config_selectorIxxEEEEvv ; -- Begin function _ZN7rocprim17ROCPRIM_400000_NS6detail44device_merge_sort_compile_time_verifier_archINS1_11comp_targetILNS1_3genE4ELNS1_11target_archE910ELNS1_3gpuE8ELNS1_3repE0EEES8_NS1_28merge_sort_block_sort_configILj256ELj4ELNS0_20block_sort_algorithmE0EEENS0_14default_configENS1_37merge_sort_block_sort_config_selectorIxxEENS1_38merge_sort_block_merge_config_selectorIxxEEEEvv
	.globl	_ZN7rocprim17ROCPRIM_400000_NS6detail44device_merge_sort_compile_time_verifier_archINS1_11comp_targetILNS1_3genE4ELNS1_11target_archE910ELNS1_3gpuE8ELNS1_3repE0EEES8_NS1_28merge_sort_block_sort_configILj256ELj4ELNS0_20block_sort_algorithmE0EEENS0_14default_configENS1_37merge_sort_block_sort_config_selectorIxxEENS1_38merge_sort_block_merge_config_selectorIxxEEEEvv
	.p2align	8
	.type	_ZN7rocprim17ROCPRIM_400000_NS6detail44device_merge_sort_compile_time_verifier_archINS1_11comp_targetILNS1_3genE4ELNS1_11target_archE910ELNS1_3gpuE8ELNS1_3repE0EEES8_NS1_28merge_sort_block_sort_configILj256ELj4ELNS0_20block_sort_algorithmE0EEENS0_14default_configENS1_37merge_sort_block_sort_config_selectorIxxEENS1_38merge_sort_block_merge_config_selectorIxxEEEEvv,@function
_ZN7rocprim17ROCPRIM_400000_NS6detail44device_merge_sort_compile_time_verifier_archINS1_11comp_targetILNS1_3genE4ELNS1_11target_archE910ELNS1_3gpuE8ELNS1_3repE0EEES8_NS1_28merge_sort_block_sort_configILj256ELj4ELNS0_20block_sort_algorithmE0EEENS0_14default_configENS1_37merge_sort_block_sort_config_selectorIxxEENS1_38merge_sort_block_merge_config_selectorIxxEEEEvv: ; @_ZN7rocprim17ROCPRIM_400000_NS6detail44device_merge_sort_compile_time_verifier_archINS1_11comp_targetILNS1_3genE4ELNS1_11target_archE910ELNS1_3gpuE8ELNS1_3repE0EEES8_NS1_28merge_sort_block_sort_configILj256ELj4ELNS0_20block_sort_algorithmE0EEENS0_14default_configENS1_37merge_sort_block_sort_config_selectorIxxEENS1_38merge_sort_block_merge_config_selectorIxxEEEEvv
; %bb.0:
	s_endpgm
	.section	.rodata,"a",@progbits
	.p2align	6, 0x0
	.amdhsa_kernel _ZN7rocprim17ROCPRIM_400000_NS6detail44device_merge_sort_compile_time_verifier_archINS1_11comp_targetILNS1_3genE4ELNS1_11target_archE910ELNS1_3gpuE8ELNS1_3repE0EEES8_NS1_28merge_sort_block_sort_configILj256ELj4ELNS0_20block_sort_algorithmE0EEENS0_14default_configENS1_37merge_sort_block_sort_config_selectorIxxEENS1_38merge_sort_block_merge_config_selectorIxxEEEEvv
		.amdhsa_group_segment_fixed_size 0
		.amdhsa_private_segment_fixed_size 0
		.amdhsa_kernarg_size 0
		.amdhsa_user_sgpr_count 0
		.amdhsa_user_sgpr_dispatch_ptr 0
		.amdhsa_user_sgpr_queue_ptr 0
		.amdhsa_user_sgpr_kernarg_segment_ptr 0
		.amdhsa_user_sgpr_dispatch_id 0
		.amdhsa_user_sgpr_kernarg_preload_length 0
		.amdhsa_user_sgpr_kernarg_preload_offset 0
		.amdhsa_user_sgpr_private_segment_size 0
		.amdhsa_uses_dynamic_stack 0
		.amdhsa_enable_private_segment 0
		.amdhsa_system_sgpr_workgroup_id_x 1
		.amdhsa_system_sgpr_workgroup_id_y 0
		.amdhsa_system_sgpr_workgroup_id_z 0
		.amdhsa_system_sgpr_workgroup_info 0
		.amdhsa_system_vgpr_workitem_id 0
		.amdhsa_next_free_vgpr 1
		.amdhsa_next_free_sgpr 0
		.amdhsa_accum_offset 4
		.amdhsa_reserve_vcc 0
		.amdhsa_float_round_mode_32 0
		.amdhsa_float_round_mode_16_64 0
		.amdhsa_float_denorm_mode_32 3
		.amdhsa_float_denorm_mode_16_64 3
		.amdhsa_dx10_clamp 1
		.amdhsa_ieee_mode 1
		.amdhsa_fp16_overflow 0
		.amdhsa_tg_split 0
		.amdhsa_exception_fp_ieee_invalid_op 0
		.amdhsa_exception_fp_denorm_src 0
		.amdhsa_exception_fp_ieee_div_zero 0
		.amdhsa_exception_fp_ieee_overflow 0
		.amdhsa_exception_fp_ieee_underflow 0
		.amdhsa_exception_fp_ieee_inexact 0
		.amdhsa_exception_int_div_zero 0
	.end_amdhsa_kernel
	.section	.text._ZN7rocprim17ROCPRIM_400000_NS6detail44device_merge_sort_compile_time_verifier_archINS1_11comp_targetILNS1_3genE4ELNS1_11target_archE910ELNS1_3gpuE8ELNS1_3repE0EEES8_NS1_28merge_sort_block_sort_configILj256ELj4ELNS0_20block_sort_algorithmE0EEENS0_14default_configENS1_37merge_sort_block_sort_config_selectorIxxEENS1_38merge_sort_block_merge_config_selectorIxxEEEEvv,"axG",@progbits,_ZN7rocprim17ROCPRIM_400000_NS6detail44device_merge_sort_compile_time_verifier_archINS1_11comp_targetILNS1_3genE4ELNS1_11target_archE910ELNS1_3gpuE8ELNS1_3repE0EEES8_NS1_28merge_sort_block_sort_configILj256ELj4ELNS0_20block_sort_algorithmE0EEENS0_14default_configENS1_37merge_sort_block_sort_config_selectorIxxEENS1_38merge_sort_block_merge_config_selectorIxxEEEEvv,comdat
.Lfunc_end1058:
	.size	_ZN7rocprim17ROCPRIM_400000_NS6detail44device_merge_sort_compile_time_verifier_archINS1_11comp_targetILNS1_3genE4ELNS1_11target_archE910ELNS1_3gpuE8ELNS1_3repE0EEES8_NS1_28merge_sort_block_sort_configILj256ELj4ELNS0_20block_sort_algorithmE0EEENS0_14default_configENS1_37merge_sort_block_sort_config_selectorIxxEENS1_38merge_sort_block_merge_config_selectorIxxEEEEvv, .Lfunc_end1058-_ZN7rocprim17ROCPRIM_400000_NS6detail44device_merge_sort_compile_time_verifier_archINS1_11comp_targetILNS1_3genE4ELNS1_11target_archE910ELNS1_3gpuE8ELNS1_3repE0EEES8_NS1_28merge_sort_block_sort_configILj256ELj4ELNS0_20block_sort_algorithmE0EEENS0_14default_configENS1_37merge_sort_block_sort_config_selectorIxxEENS1_38merge_sort_block_merge_config_selectorIxxEEEEvv
                                        ; -- End function
	.set _ZN7rocprim17ROCPRIM_400000_NS6detail44device_merge_sort_compile_time_verifier_archINS1_11comp_targetILNS1_3genE4ELNS1_11target_archE910ELNS1_3gpuE8ELNS1_3repE0EEES8_NS1_28merge_sort_block_sort_configILj256ELj4ELNS0_20block_sort_algorithmE0EEENS0_14default_configENS1_37merge_sort_block_sort_config_selectorIxxEENS1_38merge_sort_block_merge_config_selectorIxxEEEEvv.num_vgpr, 0
	.set _ZN7rocprim17ROCPRIM_400000_NS6detail44device_merge_sort_compile_time_verifier_archINS1_11comp_targetILNS1_3genE4ELNS1_11target_archE910ELNS1_3gpuE8ELNS1_3repE0EEES8_NS1_28merge_sort_block_sort_configILj256ELj4ELNS0_20block_sort_algorithmE0EEENS0_14default_configENS1_37merge_sort_block_sort_config_selectorIxxEENS1_38merge_sort_block_merge_config_selectorIxxEEEEvv.num_agpr, 0
	.set _ZN7rocprim17ROCPRIM_400000_NS6detail44device_merge_sort_compile_time_verifier_archINS1_11comp_targetILNS1_3genE4ELNS1_11target_archE910ELNS1_3gpuE8ELNS1_3repE0EEES8_NS1_28merge_sort_block_sort_configILj256ELj4ELNS0_20block_sort_algorithmE0EEENS0_14default_configENS1_37merge_sort_block_sort_config_selectorIxxEENS1_38merge_sort_block_merge_config_selectorIxxEEEEvv.numbered_sgpr, 0
	.set _ZN7rocprim17ROCPRIM_400000_NS6detail44device_merge_sort_compile_time_verifier_archINS1_11comp_targetILNS1_3genE4ELNS1_11target_archE910ELNS1_3gpuE8ELNS1_3repE0EEES8_NS1_28merge_sort_block_sort_configILj256ELj4ELNS0_20block_sort_algorithmE0EEENS0_14default_configENS1_37merge_sort_block_sort_config_selectorIxxEENS1_38merge_sort_block_merge_config_selectorIxxEEEEvv.num_named_barrier, 0
	.set _ZN7rocprim17ROCPRIM_400000_NS6detail44device_merge_sort_compile_time_verifier_archINS1_11comp_targetILNS1_3genE4ELNS1_11target_archE910ELNS1_3gpuE8ELNS1_3repE0EEES8_NS1_28merge_sort_block_sort_configILj256ELj4ELNS0_20block_sort_algorithmE0EEENS0_14default_configENS1_37merge_sort_block_sort_config_selectorIxxEENS1_38merge_sort_block_merge_config_selectorIxxEEEEvv.private_seg_size, 0
	.set _ZN7rocprim17ROCPRIM_400000_NS6detail44device_merge_sort_compile_time_verifier_archINS1_11comp_targetILNS1_3genE4ELNS1_11target_archE910ELNS1_3gpuE8ELNS1_3repE0EEES8_NS1_28merge_sort_block_sort_configILj256ELj4ELNS0_20block_sort_algorithmE0EEENS0_14default_configENS1_37merge_sort_block_sort_config_selectorIxxEENS1_38merge_sort_block_merge_config_selectorIxxEEEEvv.uses_vcc, 0
	.set _ZN7rocprim17ROCPRIM_400000_NS6detail44device_merge_sort_compile_time_verifier_archINS1_11comp_targetILNS1_3genE4ELNS1_11target_archE910ELNS1_3gpuE8ELNS1_3repE0EEES8_NS1_28merge_sort_block_sort_configILj256ELj4ELNS0_20block_sort_algorithmE0EEENS0_14default_configENS1_37merge_sort_block_sort_config_selectorIxxEENS1_38merge_sort_block_merge_config_selectorIxxEEEEvv.uses_flat_scratch, 0
	.set _ZN7rocprim17ROCPRIM_400000_NS6detail44device_merge_sort_compile_time_verifier_archINS1_11comp_targetILNS1_3genE4ELNS1_11target_archE910ELNS1_3gpuE8ELNS1_3repE0EEES8_NS1_28merge_sort_block_sort_configILj256ELj4ELNS0_20block_sort_algorithmE0EEENS0_14default_configENS1_37merge_sort_block_sort_config_selectorIxxEENS1_38merge_sort_block_merge_config_selectorIxxEEEEvv.has_dyn_sized_stack, 0
	.set _ZN7rocprim17ROCPRIM_400000_NS6detail44device_merge_sort_compile_time_verifier_archINS1_11comp_targetILNS1_3genE4ELNS1_11target_archE910ELNS1_3gpuE8ELNS1_3repE0EEES8_NS1_28merge_sort_block_sort_configILj256ELj4ELNS0_20block_sort_algorithmE0EEENS0_14default_configENS1_37merge_sort_block_sort_config_selectorIxxEENS1_38merge_sort_block_merge_config_selectorIxxEEEEvv.has_recursion, 0
	.set _ZN7rocprim17ROCPRIM_400000_NS6detail44device_merge_sort_compile_time_verifier_archINS1_11comp_targetILNS1_3genE4ELNS1_11target_archE910ELNS1_3gpuE8ELNS1_3repE0EEES8_NS1_28merge_sort_block_sort_configILj256ELj4ELNS0_20block_sort_algorithmE0EEENS0_14default_configENS1_37merge_sort_block_sort_config_selectorIxxEENS1_38merge_sort_block_merge_config_selectorIxxEEEEvv.has_indirect_call, 0
	.section	.AMDGPU.csdata,"",@progbits
; Kernel info:
; codeLenInByte = 4
; TotalNumSgprs: 6
; NumVgprs: 0
; NumAgprs: 0
; TotalNumVgprs: 0
; ScratchSize: 0
; MemoryBound: 0
; FloatMode: 240
; IeeeMode: 1
; LDSByteSize: 0 bytes/workgroup (compile time only)
; SGPRBlocks: 0
; VGPRBlocks: 0
; NumSGPRsForWavesPerEU: 6
; NumVGPRsForWavesPerEU: 1
; AccumOffset: 4
; Occupancy: 8
; WaveLimiterHint : 0
; COMPUTE_PGM_RSRC2:SCRATCH_EN: 0
; COMPUTE_PGM_RSRC2:USER_SGPR: 0
; COMPUTE_PGM_RSRC2:TRAP_HANDLER: 0
; COMPUTE_PGM_RSRC2:TGID_X_EN: 1
; COMPUTE_PGM_RSRC2:TGID_Y_EN: 0
; COMPUTE_PGM_RSRC2:TGID_Z_EN: 0
; COMPUTE_PGM_RSRC2:TIDIG_COMP_CNT: 0
; COMPUTE_PGM_RSRC3_GFX90A:ACCUM_OFFSET: 0
; COMPUTE_PGM_RSRC3_GFX90A:TG_SPLIT: 0
	.section	.text._ZN7rocprim17ROCPRIM_400000_NS6detail44device_merge_sort_compile_time_verifier_archINS1_11comp_targetILNS1_3genE3ELNS1_11target_archE908ELNS1_3gpuE7ELNS1_3repE0EEES8_NS1_28merge_sort_block_sort_configILj256ELj4ELNS0_20block_sort_algorithmE0EEENS0_14default_configENS1_37merge_sort_block_sort_config_selectorIxxEENS1_38merge_sort_block_merge_config_selectorIxxEEEEvv,"axG",@progbits,_ZN7rocprim17ROCPRIM_400000_NS6detail44device_merge_sort_compile_time_verifier_archINS1_11comp_targetILNS1_3genE3ELNS1_11target_archE908ELNS1_3gpuE7ELNS1_3repE0EEES8_NS1_28merge_sort_block_sort_configILj256ELj4ELNS0_20block_sort_algorithmE0EEENS0_14default_configENS1_37merge_sort_block_sort_config_selectorIxxEENS1_38merge_sort_block_merge_config_selectorIxxEEEEvv,comdat
	.protected	_ZN7rocprim17ROCPRIM_400000_NS6detail44device_merge_sort_compile_time_verifier_archINS1_11comp_targetILNS1_3genE3ELNS1_11target_archE908ELNS1_3gpuE7ELNS1_3repE0EEES8_NS1_28merge_sort_block_sort_configILj256ELj4ELNS0_20block_sort_algorithmE0EEENS0_14default_configENS1_37merge_sort_block_sort_config_selectorIxxEENS1_38merge_sort_block_merge_config_selectorIxxEEEEvv ; -- Begin function _ZN7rocprim17ROCPRIM_400000_NS6detail44device_merge_sort_compile_time_verifier_archINS1_11comp_targetILNS1_3genE3ELNS1_11target_archE908ELNS1_3gpuE7ELNS1_3repE0EEES8_NS1_28merge_sort_block_sort_configILj256ELj4ELNS0_20block_sort_algorithmE0EEENS0_14default_configENS1_37merge_sort_block_sort_config_selectorIxxEENS1_38merge_sort_block_merge_config_selectorIxxEEEEvv
	.globl	_ZN7rocprim17ROCPRIM_400000_NS6detail44device_merge_sort_compile_time_verifier_archINS1_11comp_targetILNS1_3genE3ELNS1_11target_archE908ELNS1_3gpuE7ELNS1_3repE0EEES8_NS1_28merge_sort_block_sort_configILj256ELj4ELNS0_20block_sort_algorithmE0EEENS0_14default_configENS1_37merge_sort_block_sort_config_selectorIxxEENS1_38merge_sort_block_merge_config_selectorIxxEEEEvv
	.p2align	8
	.type	_ZN7rocprim17ROCPRIM_400000_NS6detail44device_merge_sort_compile_time_verifier_archINS1_11comp_targetILNS1_3genE3ELNS1_11target_archE908ELNS1_3gpuE7ELNS1_3repE0EEES8_NS1_28merge_sort_block_sort_configILj256ELj4ELNS0_20block_sort_algorithmE0EEENS0_14default_configENS1_37merge_sort_block_sort_config_selectorIxxEENS1_38merge_sort_block_merge_config_selectorIxxEEEEvv,@function
_ZN7rocprim17ROCPRIM_400000_NS6detail44device_merge_sort_compile_time_verifier_archINS1_11comp_targetILNS1_3genE3ELNS1_11target_archE908ELNS1_3gpuE7ELNS1_3repE0EEES8_NS1_28merge_sort_block_sort_configILj256ELj4ELNS0_20block_sort_algorithmE0EEENS0_14default_configENS1_37merge_sort_block_sort_config_selectorIxxEENS1_38merge_sort_block_merge_config_selectorIxxEEEEvv: ; @_ZN7rocprim17ROCPRIM_400000_NS6detail44device_merge_sort_compile_time_verifier_archINS1_11comp_targetILNS1_3genE3ELNS1_11target_archE908ELNS1_3gpuE7ELNS1_3repE0EEES8_NS1_28merge_sort_block_sort_configILj256ELj4ELNS0_20block_sort_algorithmE0EEENS0_14default_configENS1_37merge_sort_block_sort_config_selectorIxxEENS1_38merge_sort_block_merge_config_selectorIxxEEEEvv
; %bb.0:
	s_endpgm
	.section	.rodata,"a",@progbits
	.p2align	6, 0x0
	.amdhsa_kernel _ZN7rocprim17ROCPRIM_400000_NS6detail44device_merge_sort_compile_time_verifier_archINS1_11comp_targetILNS1_3genE3ELNS1_11target_archE908ELNS1_3gpuE7ELNS1_3repE0EEES8_NS1_28merge_sort_block_sort_configILj256ELj4ELNS0_20block_sort_algorithmE0EEENS0_14default_configENS1_37merge_sort_block_sort_config_selectorIxxEENS1_38merge_sort_block_merge_config_selectorIxxEEEEvv
		.amdhsa_group_segment_fixed_size 0
		.amdhsa_private_segment_fixed_size 0
		.amdhsa_kernarg_size 0
		.amdhsa_user_sgpr_count 0
		.amdhsa_user_sgpr_dispatch_ptr 0
		.amdhsa_user_sgpr_queue_ptr 0
		.amdhsa_user_sgpr_kernarg_segment_ptr 0
		.amdhsa_user_sgpr_dispatch_id 0
		.amdhsa_user_sgpr_kernarg_preload_length 0
		.amdhsa_user_sgpr_kernarg_preload_offset 0
		.amdhsa_user_sgpr_private_segment_size 0
		.amdhsa_uses_dynamic_stack 0
		.amdhsa_enable_private_segment 0
		.amdhsa_system_sgpr_workgroup_id_x 1
		.amdhsa_system_sgpr_workgroup_id_y 0
		.amdhsa_system_sgpr_workgroup_id_z 0
		.amdhsa_system_sgpr_workgroup_info 0
		.amdhsa_system_vgpr_workitem_id 0
		.amdhsa_next_free_vgpr 1
		.amdhsa_next_free_sgpr 0
		.amdhsa_accum_offset 4
		.amdhsa_reserve_vcc 0
		.amdhsa_float_round_mode_32 0
		.amdhsa_float_round_mode_16_64 0
		.amdhsa_float_denorm_mode_32 3
		.amdhsa_float_denorm_mode_16_64 3
		.amdhsa_dx10_clamp 1
		.amdhsa_ieee_mode 1
		.amdhsa_fp16_overflow 0
		.amdhsa_tg_split 0
		.amdhsa_exception_fp_ieee_invalid_op 0
		.amdhsa_exception_fp_denorm_src 0
		.amdhsa_exception_fp_ieee_div_zero 0
		.amdhsa_exception_fp_ieee_overflow 0
		.amdhsa_exception_fp_ieee_underflow 0
		.amdhsa_exception_fp_ieee_inexact 0
		.amdhsa_exception_int_div_zero 0
	.end_amdhsa_kernel
	.section	.text._ZN7rocprim17ROCPRIM_400000_NS6detail44device_merge_sort_compile_time_verifier_archINS1_11comp_targetILNS1_3genE3ELNS1_11target_archE908ELNS1_3gpuE7ELNS1_3repE0EEES8_NS1_28merge_sort_block_sort_configILj256ELj4ELNS0_20block_sort_algorithmE0EEENS0_14default_configENS1_37merge_sort_block_sort_config_selectorIxxEENS1_38merge_sort_block_merge_config_selectorIxxEEEEvv,"axG",@progbits,_ZN7rocprim17ROCPRIM_400000_NS6detail44device_merge_sort_compile_time_verifier_archINS1_11comp_targetILNS1_3genE3ELNS1_11target_archE908ELNS1_3gpuE7ELNS1_3repE0EEES8_NS1_28merge_sort_block_sort_configILj256ELj4ELNS0_20block_sort_algorithmE0EEENS0_14default_configENS1_37merge_sort_block_sort_config_selectorIxxEENS1_38merge_sort_block_merge_config_selectorIxxEEEEvv,comdat
.Lfunc_end1059:
	.size	_ZN7rocprim17ROCPRIM_400000_NS6detail44device_merge_sort_compile_time_verifier_archINS1_11comp_targetILNS1_3genE3ELNS1_11target_archE908ELNS1_3gpuE7ELNS1_3repE0EEES8_NS1_28merge_sort_block_sort_configILj256ELj4ELNS0_20block_sort_algorithmE0EEENS0_14default_configENS1_37merge_sort_block_sort_config_selectorIxxEENS1_38merge_sort_block_merge_config_selectorIxxEEEEvv, .Lfunc_end1059-_ZN7rocprim17ROCPRIM_400000_NS6detail44device_merge_sort_compile_time_verifier_archINS1_11comp_targetILNS1_3genE3ELNS1_11target_archE908ELNS1_3gpuE7ELNS1_3repE0EEES8_NS1_28merge_sort_block_sort_configILj256ELj4ELNS0_20block_sort_algorithmE0EEENS0_14default_configENS1_37merge_sort_block_sort_config_selectorIxxEENS1_38merge_sort_block_merge_config_selectorIxxEEEEvv
                                        ; -- End function
	.set _ZN7rocprim17ROCPRIM_400000_NS6detail44device_merge_sort_compile_time_verifier_archINS1_11comp_targetILNS1_3genE3ELNS1_11target_archE908ELNS1_3gpuE7ELNS1_3repE0EEES8_NS1_28merge_sort_block_sort_configILj256ELj4ELNS0_20block_sort_algorithmE0EEENS0_14default_configENS1_37merge_sort_block_sort_config_selectorIxxEENS1_38merge_sort_block_merge_config_selectorIxxEEEEvv.num_vgpr, 0
	.set _ZN7rocprim17ROCPRIM_400000_NS6detail44device_merge_sort_compile_time_verifier_archINS1_11comp_targetILNS1_3genE3ELNS1_11target_archE908ELNS1_3gpuE7ELNS1_3repE0EEES8_NS1_28merge_sort_block_sort_configILj256ELj4ELNS0_20block_sort_algorithmE0EEENS0_14default_configENS1_37merge_sort_block_sort_config_selectorIxxEENS1_38merge_sort_block_merge_config_selectorIxxEEEEvv.num_agpr, 0
	.set _ZN7rocprim17ROCPRIM_400000_NS6detail44device_merge_sort_compile_time_verifier_archINS1_11comp_targetILNS1_3genE3ELNS1_11target_archE908ELNS1_3gpuE7ELNS1_3repE0EEES8_NS1_28merge_sort_block_sort_configILj256ELj4ELNS0_20block_sort_algorithmE0EEENS0_14default_configENS1_37merge_sort_block_sort_config_selectorIxxEENS1_38merge_sort_block_merge_config_selectorIxxEEEEvv.numbered_sgpr, 0
	.set _ZN7rocprim17ROCPRIM_400000_NS6detail44device_merge_sort_compile_time_verifier_archINS1_11comp_targetILNS1_3genE3ELNS1_11target_archE908ELNS1_3gpuE7ELNS1_3repE0EEES8_NS1_28merge_sort_block_sort_configILj256ELj4ELNS0_20block_sort_algorithmE0EEENS0_14default_configENS1_37merge_sort_block_sort_config_selectorIxxEENS1_38merge_sort_block_merge_config_selectorIxxEEEEvv.num_named_barrier, 0
	.set _ZN7rocprim17ROCPRIM_400000_NS6detail44device_merge_sort_compile_time_verifier_archINS1_11comp_targetILNS1_3genE3ELNS1_11target_archE908ELNS1_3gpuE7ELNS1_3repE0EEES8_NS1_28merge_sort_block_sort_configILj256ELj4ELNS0_20block_sort_algorithmE0EEENS0_14default_configENS1_37merge_sort_block_sort_config_selectorIxxEENS1_38merge_sort_block_merge_config_selectorIxxEEEEvv.private_seg_size, 0
	.set _ZN7rocprim17ROCPRIM_400000_NS6detail44device_merge_sort_compile_time_verifier_archINS1_11comp_targetILNS1_3genE3ELNS1_11target_archE908ELNS1_3gpuE7ELNS1_3repE0EEES8_NS1_28merge_sort_block_sort_configILj256ELj4ELNS0_20block_sort_algorithmE0EEENS0_14default_configENS1_37merge_sort_block_sort_config_selectorIxxEENS1_38merge_sort_block_merge_config_selectorIxxEEEEvv.uses_vcc, 0
	.set _ZN7rocprim17ROCPRIM_400000_NS6detail44device_merge_sort_compile_time_verifier_archINS1_11comp_targetILNS1_3genE3ELNS1_11target_archE908ELNS1_3gpuE7ELNS1_3repE0EEES8_NS1_28merge_sort_block_sort_configILj256ELj4ELNS0_20block_sort_algorithmE0EEENS0_14default_configENS1_37merge_sort_block_sort_config_selectorIxxEENS1_38merge_sort_block_merge_config_selectorIxxEEEEvv.uses_flat_scratch, 0
	.set _ZN7rocprim17ROCPRIM_400000_NS6detail44device_merge_sort_compile_time_verifier_archINS1_11comp_targetILNS1_3genE3ELNS1_11target_archE908ELNS1_3gpuE7ELNS1_3repE0EEES8_NS1_28merge_sort_block_sort_configILj256ELj4ELNS0_20block_sort_algorithmE0EEENS0_14default_configENS1_37merge_sort_block_sort_config_selectorIxxEENS1_38merge_sort_block_merge_config_selectorIxxEEEEvv.has_dyn_sized_stack, 0
	.set _ZN7rocprim17ROCPRIM_400000_NS6detail44device_merge_sort_compile_time_verifier_archINS1_11comp_targetILNS1_3genE3ELNS1_11target_archE908ELNS1_3gpuE7ELNS1_3repE0EEES8_NS1_28merge_sort_block_sort_configILj256ELj4ELNS0_20block_sort_algorithmE0EEENS0_14default_configENS1_37merge_sort_block_sort_config_selectorIxxEENS1_38merge_sort_block_merge_config_selectorIxxEEEEvv.has_recursion, 0
	.set _ZN7rocprim17ROCPRIM_400000_NS6detail44device_merge_sort_compile_time_verifier_archINS1_11comp_targetILNS1_3genE3ELNS1_11target_archE908ELNS1_3gpuE7ELNS1_3repE0EEES8_NS1_28merge_sort_block_sort_configILj256ELj4ELNS0_20block_sort_algorithmE0EEENS0_14default_configENS1_37merge_sort_block_sort_config_selectorIxxEENS1_38merge_sort_block_merge_config_selectorIxxEEEEvv.has_indirect_call, 0
	.section	.AMDGPU.csdata,"",@progbits
; Kernel info:
; codeLenInByte = 4
; TotalNumSgprs: 6
; NumVgprs: 0
; NumAgprs: 0
; TotalNumVgprs: 0
; ScratchSize: 0
; MemoryBound: 0
; FloatMode: 240
; IeeeMode: 1
; LDSByteSize: 0 bytes/workgroup (compile time only)
; SGPRBlocks: 0
; VGPRBlocks: 0
; NumSGPRsForWavesPerEU: 6
; NumVGPRsForWavesPerEU: 1
; AccumOffset: 4
; Occupancy: 8
; WaveLimiterHint : 0
; COMPUTE_PGM_RSRC2:SCRATCH_EN: 0
; COMPUTE_PGM_RSRC2:USER_SGPR: 0
; COMPUTE_PGM_RSRC2:TRAP_HANDLER: 0
; COMPUTE_PGM_RSRC2:TGID_X_EN: 1
; COMPUTE_PGM_RSRC2:TGID_Y_EN: 0
; COMPUTE_PGM_RSRC2:TGID_Z_EN: 0
; COMPUTE_PGM_RSRC2:TIDIG_COMP_CNT: 0
; COMPUTE_PGM_RSRC3_GFX90A:ACCUM_OFFSET: 0
; COMPUTE_PGM_RSRC3_GFX90A:TG_SPLIT: 0
	.section	.text._ZN7rocprim17ROCPRIM_400000_NS6detail44device_merge_sort_compile_time_verifier_archINS1_11comp_targetILNS1_3genE2ELNS1_11target_archE906ELNS1_3gpuE6ELNS1_3repE0EEES8_NS1_28merge_sort_block_sort_configILj256ELj4ELNS0_20block_sort_algorithmE0EEENS0_14default_configENS1_37merge_sort_block_sort_config_selectorIxxEENS1_38merge_sort_block_merge_config_selectorIxxEEEEvv,"axG",@progbits,_ZN7rocprim17ROCPRIM_400000_NS6detail44device_merge_sort_compile_time_verifier_archINS1_11comp_targetILNS1_3genE2ELNS1_11target_archE906ELNS1_3gpuE6ELNS1_3repE0EEES8_NS1_28merge_sort_block_sort_configILj256ELj4ELNS0_20block_sort_algorithmE0EEENS0_14default_configENS1_37merge_sort_block_sort_config_selectorIxxEENS1_38merge_sort_block_merge_config_selectorIxxEEEEvv,comdat
	.protected	_ZN7rocprim17ROCPRIM_400000_NS6detail44device_merge_sort_compile_time_verifier_archINS1_11comp_targetILNS1_3genE2ELNS1_11target_archE906ELNS1_3gpuE6ELNS1_3repE0EEES8_NS1_28merge_sort_block_sort_configILj256ELj4ELNS0_20block_sort_algorithmE0EEENS0_14default_configENS1_37merge_sort_block_sort_config_selectorIxxEENS1_38merge_sort_block_merge_config_selectorIxxEEEEvv ; -- Begin function _ZN7rocprim17ROCPRIM_400000_NS6detail44device_merge_sort_compile_time_verifier_archINS1_11comp_targetILNS1_3genE2ELNS1_11target_archE906ELNS1_3gpuE6ELNS1_3repE0EEES8_NS1_28merge_sort_block_sort_configILj256ELj4ELNS0_20block_sort_algorithmE0EEENS0_14default_configENS1_37merge_sort_block_sort_config_selectorIxxEENS1_38merge_sort_block_merge_config_selectorIxxEEEEvv
	.globl	_ZN7rocprim17ROCPRIM_400000_NS6detail44device_merge_sort_compile_time_verifier_archINS1_11comp_targetILNS1_3genE2ELNS1_11target_archE906ELNS1_3gpuE6ELNS1_3repE0EEES8_NS1_28merge_sort_block_sort_configILj256ELj4ELNS0_20block_sort_algorithmE0EEENS0_14default_configENS1_37merge_sort_block_sort_config_selectorIxxEENS1_38merge_sort_block_merge_config_selectorIxxEEEEvv
	.p2align	8
	.type	_ZN7rocprim17ROCPRIM_400000_NS6detail44device_merge_sort_compile_time_verifier_archINS1_11comp_targetILNS1_3genE2ELNS1_11target_archE906ELNS1_3gpuE6ELNS1_3repE0EEES8_NS1_28merge_sort_block_sort_configILj256ELj4ELNS0_20block_sort_algorithmE0EEENS0_14default_configENS1_37merge_sort_block_sort_config_selectorIxxEENS1_38merge_sort_block_merge_config_selectorIxxEEEEvv,@function
_ZN7rocprim17ROCPRIM_400000_NS6detail44device_merge_sort_compile_time_verifier_archINS1_11comp_targetILNS1_3genE2ELNS1_11target_archE906ELNS1_3gpuE6ELNS1_3repE0EEES8_NS1_28merge_sort_block_sort_configILj256ELj4ELNS0_20block_sort_algorithmE0EEENS0_14default_configENS1_37merge_sort_block_sort_config_selectorIxxEENS1_38merge_sort_block_merge_config_selectorIxxEEEEvv: ; @_ZN7rocprim17ROCPRIM_400000_NS6detail44device_merge_sort_compile_time_verifier_archINS1_11comp_targetILNS1_3genE2ELNS1_11target_archE906ELNS1_3gpuE6ELNS1_3repE0EEES8_NS1_28merge_sort_block_sort_configILj256ELj4ELNS0_20block_sort_algorithmE0EEENS0_14default_configENS1_37merge_sort_block_sort_config_selectorIxxEENS1_38merge_sort_block_merge_config_selectorIxxEEEEvv
; %bb.0:
	s_endpgm
	.section	.rodata,"a",@progbits
	.p2align	6, 0x0
	.amdhsa_kernel _ZN7rocprim17ROCPRIM_400000_NS6detail44device_merge_sort_compile_time_verifier_archINS1_11comp_targetILNS1_3genE2ELNS1_11target_archE906ELNS1_3gpuE6ELNS1_3repE0EEES8_NS1_28merge_sort_block_sort_configILj256ELj4ELNS0_20block_sort_algorithmE0EEENS0_14default_configENS1_37merge_sort_block_sort_config_selectorIxxEENS1_38merge_sort_block_merge_config_selectorIxxEEEEvv
		.amdhsa_group_segment_fixed_size 0
		.amdhsa_private_segment_fixed_size 0
		.amdhsa_kernarg_size 0
		.amdhsa_user_sgpr_count 0
		.amdhsa_user_sgpr_dispatch_ptr 0
		.amdhsa_user_sgpr_queue_ptr 0
		.amdhsa_user_sgpr_kernarg_segment_ptr 0
		.amdhsa_user_sgpr_dispatch_id 0
		.amdhsa_user_sgpr_kernarg_preload_length 0
		.amdhsa_user_sgpr_kernarg_preload_offset 0
		.amdhsa_user_sgpr_private_segment_size 0
		.amdhsa_uses_dynamic_stack 0
		.amdhsa_enable_private_segment 0
		.amdhsa_system_sgpr_workgroup_id_x 1
		.amdhsa_system_sgpr_workgroup_id_y 0
		.amdhsa_system_sgpr_workgroup_id_z 0
		.amdhsa_system_sgpr_workgroup_info 0
		.amdhsa_system_vgpr_workitem_id 0
		.amdhsa_next_free_vgpr 1
		.amdhsa_next_free_sgpr 0
		.amdhsa_accum_offset 4
		.amdhsa_reserve_vcc 0
		.amdhsa_float_round_mode_32 0
		.amdhsa_float_round_mode_16_64 0
		.amdhsa_float_denorm_mode_32 3
		.amdhsa_float_denorm_mode_16_64 3
		.amdhsa_dx10_clamp 1
		.amdhsa_ieee_mode 1
		.amdhsa_fp16_overflow 0
		.amdhsa_tg_split 0
		.amdhsa_exception_fp_ieee_invalid_op 0
		.amdhsa_exception_fp_denorm_src 0
		.amdhsa_exception_fp_ieee_div_zero 0
		.amdhsa_exception_fp_ieee_overflow 0
		.amdhsa_exception_fp_ieee_underflow 0
		.amdhsa_exception_fp_ieee_inexact 0
		.amdhsa_exception_int_div_zero 0
	.end_amdhsa_kernel
	.section	.text._ZN7rocprim17ROCPRIM_400000_NS6detail44device_merge_sort_compile_time_verifier_archINS1_11comp_targetILNS1_3genE2ELNS1_11target_archE906ELNS1_3gpuE6ELNS1_3repE0EEES8_NS1_28merge_sort_block_sort_configILj256ELj4ELNS0_20block_sort_algorithmE0EEENS0_14default_configENS1_37merge_sort_block_sort_config_selectorIxxEENS1_38merge_sort_block_merge_config_selectorIxxEEEEvv,"axG",@progbits,_ZN7rocprim17ROCPRIM_400000_NS6detail44device_merge_sort_compile_time_verifier_archINS1_11comp_targetILNS1_3genE2ELNS1_11target_archE906ELNS1_3gpuE6ELNS1_3repE0EEES8_NS1_28merge_sort_block_sort_configILj256ELj4ELNS0_20block_sort_algorithmE0EEENS0_14default_configENS1_37merge_sort_block_sort_config_selectorIxxEENS1_38merge_sort_block_merge_config_selectorIxxEEEEvv,comdat
.Lfunc_end1060:
	.size	_ZN7rocprim17ROCPRIM_400000_NS6detail44device_merge_sort_compile_time_verifier_archINS1_11comp_targetILNS1_3genE2ELNS1_11target_archE906ELNS1_3gpuE6ELNS1_3repE0EEES8_NS1_28merge_sort_block_sort_configILj256ELj4ELNS0_20block_sort_algorithmE0EEENS0_14default_configENS1_37merge_sort_block_sort_config_selectorIxxEENS1_38merge_sort_block_merge_config_selectorIxxEEEEvv, .Lfunc_end1060-_ZN7rocprim17ROCPRIM_400000_NS6detail44device_merge_sort_compile_time_verifier_archINS1_11comp_targetILNS1_3genE2ELNS1_11target_archE906ELNS1_3gpuE6ELNS1_3repE0EEES8_NS1_28merge_sort_block_sort_configILj256ELj4ELNS0_20block_sort_algorithmE0EEENS0_14default_configENS1_37merge_sort_block_sort_config_selectorIxxEENS1_38merge_sort_block_merge_config_selectorIxxEEEEvv
                                        ; -- End function
	.set _ZN7rocprim17ROCPRIM_400000_NS6detail44device_merge_sort_compile_time_verifier_archINS1_11comp_targetILNS1_3genE2ELNS1_11target_archE906ELNS1_3gpuE6ELNS1_3repE0EEES8_NS1_28merge_sort_block_sort_configILj256ELj4ELNS0_20block_sort_algorithmE0EEENS0_14default_configENS1_37merge_sort_block_sort_config_selectorIxxEENS1_38merge_sort_block_merge_config_selectorIxxEEEEvv.num_vgpr, 0
	.set _ZN7rocprim17ROCPRIM_400000_NS6detail44device_merge_sort_compile_time_verifier_archINS1_11comp_targetILNS1_3genE2ELNS1_11target_archE906ELNS1_3gpuE6ELNS1_3repE0EEES8_NS1_28merge_sort_block_sort_configILj256ELj4ELNS0_20block_sort_algorithmE0EEENS0_14default_configENS1_37merge_sort_block_sort_config_selectorIxxEENS1_38merge_sort_block_merge_config_selectorIxxEEEEvv.num_agpr, 0
	.set _ZN7rocprim17ROCPRIM_400000_NS6detail44device_merge_sort_compile_time_verifier_archINS1_11comp_targetILNS1_3genE2ELNS1_11target_archE906ELNS1_3gpuE6ELNS1_3repE0EEES8_NS1_28merge_sort_block_sort_configILj256ELj4ELNS0_20block_sort_algorithmE0EEENS0_14default_configENS1_37merge_sort_block_sort_config_selectorIxxEENS1_38merge_sort_block_merge_config_selectorIxxEEEEvv.numbered_sgpr, 0
	.set _ZN7rocprim17ROCPRIM_400000_NS6detail44device_merge_sort_compile_time_verifier_archINS1_11comp_targetILNS1_3genE2ELNS1_11target_archE906ELNS1_3gpuE6ELNS1_3repE0EEES8_NS1_28merge_sort_block_sort_configILj256ELj4ELNS0_20block_sort_algorithmE0EEENS0_14default_configENS1_37merge_sort_block_sort_config_selectorIxxEENS1_38merge_sort_block_merge_config_selectorIxxEEEEvv.num_named_barrier, 0
	.set _ZN7rocprim17ROCPRIM_400000_NS6detail44device_merge_sort_compile_time_verifier_archINS1_11comp_targetILNS1_3genE2ELNS1_11target_archE906ELNS1_3gpuE6ELNS1_3repE0EEES8_NS1_28merge_sort_block_sort_configILj256ELj4ELNS0_20block_sort_algorithmE0EEENS0_14default_configENS1_37merge_sort_block_sort_config_selectorIxxEENS1_38merge_sort_block_merge_config_selectorIxxEEEEvv.private_seg_size, 0
	.set _ZN7rocprim17ROCPRIM_400000_NS6detail44device_merge_sort_compile_time_verifier_archINS1_11comp_targetILNS1_3genE2ELNS1_11target_archE906ELNS1_3gpuE6ELNS1_3repE0EEES8_NS1_28merge_sort_block_sort_configILj256ELj4ELNS0_20block_sort_algorithmE0EEENS0_14default_configENS1_37merge_sort_block_sort_config_selectorIxxEENS1_38merge_sort_block_merge_config_selectorIxxEEEEvv.uses_vcc, 0
	.set _ZN7rocprim17ROCPRIM_400000_NS6detail44device_merge_sort_compile_time_verifier_archINS1_11comp_targetILNS1_3genE2ELNS1_11target_archE906ELNS1_3gpuE6ELNS1_3repE0EEES8_NS1_28merge_sort_block_sort_configILj256ELj4ELNS0_20block_sort_algorithmE0EEENS0_14default_configENS1_37merge_sort_block_sort_config_selectorIxxEENS1_38merge_sort_block_merge_config_selectorIxxEEEEvv.uses_flat_scratch, 0
	.set _ZN7rocprim17ROCPRIM_400000_NS6detail44device_merge_sort_compile_time_verifier_archINS1_11comp_targetILNS1_3genE2ELNS1_11target_archE906ELNS1_3gpuE6ELNS1_3repE0EEES8_NS1_28merge_sort_block_sort_configILj256ELj4ELNS0_20block_sort_algorithmE0EEENS0_14default_configENS1_37merge_sort_block_sort_config_selectorIxxEENS1_38merge_sort_block_merge_config_selectorIxxEEEEvv.has_dyn_sized_stack, 0
	.set _ZN7rocprim17ROCPRIM_400000_NS6detail44device_merge_sort_compile_time_verifier_archINS1_11comp_targetILNS1_3genE2ELNS1_11target_archE906ELNS1_3gpuE6ELNS1_3repE0EEES8_NS1_28merge_sort_block_sort_configILj256ELj4ELNS0_20block_sort_algorithmE0EEENS0_14default_configENS1_37merge_sort_block_sort_config_selectorIxxEENS1_38merge_sort_block_merge_config_selectorIxxEEEEvv.has_recursion, 0
	.set _ZN7rocprim17ROCPRIM_400000_NS6detail44device_merge_sort_compile_time_verifier_archINS1_11comp_targetILNS1_3genE2ELNS1_11target_archE906ELNS1_3gpuE6ELNS1_3repE0EEES8_NS1_28merge_sort_block_sort_configILj256ELj4ELNS0_20block_sort_algorithmE0EEENS0_14default_configENS1_37merge_sort_block_sort_config_selectorIxxEENS1_38merge_sort_block_merge_config_selectorIxxEEEEvv.has_indirect_call, 0
	.section	.AMDGPU.csdata,"",@progbits
; Kernel info:
; codeLenInByte = 4
; TotalNumSgprs: 6
; NumVgprs: 0
; NumAgprs: 0
; TotalNumVgprs: 0
; ScratchSize: 0
; MemoryBound: 0
; FloatMode: 240
; IeeeMode: 1
; LDSByteSize: 0 bytes/workgroup (compile time only)
; SGPRBlocks: 0
; VGPRBlocks: 0
; NumSGPRsForWavesPerEU: 6
; NumVGPRsForWavesPerEU: 1
; AccumOffset: 4
; Occupancy: 8
; WaveLimiterHint : 0
; COMPUTE_PGM_RSRC2:SCRATCH_EN: 0
; COMPUTE_PGM_RSRC2:USER_SGPR: 0
; COMPUTE_PGM_RSRC2:TRAP_HANDLER: 0
; COMPUTE_PGM_RSRC2:TGID_X_EN: 1
; COMPUTE_PGM_RSRC2:TGID_Y_EN: 0
; COMPUTE_PGM_RSRC2:TGID_Z_EN: 0
; COMPUTE_PGM_RSRC2:TIDIG_COMP_CNT: 0
; COMPUTE_PGM_RSRC3_GFX90A:ACCUM_OFFSET: 0
; COMPUTE_PGM_RSRC3_GFX90A:TG_SPLIT: 0
	.section	.text._ZN7rocprim17ROCPRIM_400000_NS6detail44device_merge_sort_compile_time_verifier_archINS1_11comp_targetILNS1_3genE10ELNS1_11target_archE1201ELNS1_3gpuE5ELNS1_3repE0EEES8_NS1_28merge_sort_block_sort_configILj256ELj4ELNS0_20block_sort_algorithmE0EEENS0_14default_configENS1_37merge_sort_block_sort_config_selectorIxxEENS1_38merge_sort_block_merge_config_selectorIxxEEEEvv,"axG",@progbits,_ZN7rocprim17ROCPRIM_400000_NS6detail44device_merge_sort_compile_time_verifier_archINS1_11comp_targetILNS1_3genE10ELNS1_11target_archE1201ELNS1_3gpuE5ELNS1_3repE0EEES8_NS1_28merge_sort_block_sort_configILj256ELj4ELNS0_20block_sort_algorithmE0EEENS0_14default_configENS1_37merge_sort_block_sort_config_selectorIxxEENS1_38merge_sort_block_merge_config_selectorIxxEEEEvv,comdat
	.protected	_ZN7rocprim17ROCPRIM_400000_NS6detail44device_merge_sort_compile_time_verifier_archINS1_11comp_targetILNS1_3genE10ELNS1_11target_archE1201ELNS1_3gpuE5ELNS1_3repE0EEES8_NS1_28merge_sort_block_sort_configILj256ELj4ELNS0_20block_sort_algorithmE0EEENS0_14default_configENS1_37merge_sort_block_sort_config_selectorIxxEENS1_38merge_sort_block_merge_config_selectorIxxEEEEvv ; -- Begin function _ZN7rocprim17ROCPRIM_400000_NS6detail44device_merge_sort_compile_time_verifier_archINS1_11comp_targetILNS1_3genE10ELNS1_11target_archE1201ELNS1_3gpuE5ELNS1_3repE0EEES8_NS1_28merge_sort_block_sort_configILj256ELj4ELNS0_20block_sort_algorithmE0EEENS0_14default_configENS1_37merge_sort_block_sort_config_selectorIxxEENS1_38merge_sort_block_merge_config_selectorIxxEEEEvv
	.globl	_ZN7rocprim17ROCPRIM_400000_NS6detail44device_merge_sort_compile_time_verifier_archINS1_11comp_targetILNS1_3genE10ELNS1_11target_archE1201ELNS1_3gpuE5ELNS1_3repE0EEES8_NS1_28merge_sort_block_sort_configILj256ELj4ELNS0_20block_sort_algorithmE0EEENS0_14default_configENS1_37merge_sort_block_sort_config_selectorIxxEENS1_38merge_sort_block_merge_config_selectorIxxEEEEvv
	.p2align	8
	.type	_ZN7rocprim17ROCPRIM_400000_NS6detail44device_merge_sort_compile_time_verifier_archINS1_11comp_targetILNS1_3genE10ELNS1_11target_archE1201ELNS1_3gpuE5ELNS1_3repE0EEES8_NS1_28merge_sort_block_sort_configILj256ELj4ELNS0_20block_sort_algorithmE0EEENS0_14default_configENS1_37merge_sort_block_sort_config_selectorIxxEENS1_38merge_sort_block_merge_config_selectorIxxEEEEvv,@function
_ZN7rocprim17ROCPRIM_400000_NS6detail44device_merge_sort_compile_time_verifier_archINS1_11comp_targetILNS1_3genE10ELNS1_11target_archE1201ELNS1_3gpuE5ELNS1_3repE0EEES8_NS1_28merge_sort_block_sort_configILj256ELj4ELNS0_20block_sort_algorithmE0EEENS0_14default_configENS1_37merge_sort_block_sort_config_selectorIxxEENS1_38merge_sort_block_merge_config_selectorIxxEEEEvv: ; @_ZN7rocprim17ROCPRIM_400000_NS6detail44device_merge_sort_compile_time_verifier_archINS1_11comp_targetILNS1_3genE10ELNS1_11target_archE1201ELNS1_3gpuE5ELNS1_3repE0EEES8_NS1_28merge_sort_block_sort_configILj256ELj4ELNS0_20block_sort_algorithmE0EEENS0_14default_configENS1_37merge_sort_block_sort_config_selectorIxxEENS1_38merge_sort_block_merge_config_selectorIxxEEEEvv
; %bb.0:
	s_endpgm
	.section	.rodata,"a",@progbits
	.p2align	6, 0x0
	.amdhsa_kernel _ZN7rocprim17ROCPRIM_400000_NS6detail44device_merge_sort_compile_time_verifier_archINS1_11comp_targetILNS1_3genE10ELNS1_11target_archE1201ELNS1_3gpuE5ELNS1_3repE0EEES8_NS1_28merge_sort_block_sort_configILj256ELj4ELNS0_20block_sort_algorithmE0EEENS0_14default_configENS1_37merge_sort_block_sort_config_selectorIxxEENS1_38merge_sort_block_merge_config_selectorIxxEEEEvv
		.amdhsa_group_segment_fixed_size 0
		.amdhsa_private_segment_fixed_size 0
		.amdhsa_kernarg_size 0
		.amdhsa_user_sgpr_count 0
		.amdhsa_user_sgpr_dispatch_ptr 0
		.amdhsa_user_sgpr_queue_ptr 0
		.amdhsa_user_sgpr_kernarg_segment_ptr 0
		.amdhsa_user_sgpr_dispatch_id 0
		.amdhsa_user_sgpr_kernarg_preload_length 0
		.amdhsa_user_sgpr_kernarg_preload_offset 0
		.amdhsa_user_sgpr_private_segment_size 0
		.amdhsa_uses_dynamic_stack 0
		.amdhsa_enable_private_segment 0
		.amdhsa_system_sgpr_workgroup_id_x 1
		.amdhsa_system_sgpr_workgroup_id_y 0
		.amdhsa_system_sgpr_workgroup_id_z 0
		.amdhsa_system_sgpr_workgroup_info 0
		.amdhsa_system_vgpr_workitem_id 0
		.amdhsa_next_free_vgpr 1
		.amdhsa_next_free_sgpr 0
		.amdhsa_accum_offset 4
		.amdhsa_reserve_vcc 0
		.amdhsa_float_round_mode_32 0
		.amdhsa_float_round_mode_16_64 0
		.amdhsa_float_denorm_mode_32 3
		.amdhsa_float_denorm_mode_16_64 3
		.amdhsa_dx10_clamp 1
		.amdhsa_ieee_mode 1
		.amdhsa_fp16_overflow 0
		.amdhsa_tg_split 0
		.amdhsa_exception_fp_ieee_invalid_op 0
		.amdhsa_exception_fp_denorm_src 0
		.amdhsa_exception_fp_ieee_div_zero 0
		.amdhsa_exception_fp_ieee_overflow 0
		.amdhsa_exception_fp_ieee_underflow 0
		.amdhsa_exception_fp_ieee_inexact 0
		.amdhsa_exception_int_div_zero 0
	.end_amdhsa_kernel
	.section	.text._ZN7rocprim17ROCPRIM_400000_NS6detail44device_merge_sort_compile_time_verifier_archINS1_11comp_targetILNS1_3genE10ELNS1_11target_archE1201ELNS1_3gpuE5ELNS1_3repE0EEES8_NS1_28merge_sort_block_sort_configILj256ELj4ELNS0_20block_sort_algorithmE0EEENS0_14default_configENS1_37merge_sort_block_sort_config_selectorIxxEENS1_38merge_sort_block_merge_config_selectorIxxEEEEvv,"axG",@progbits,_ZN7rocprim17ROCPRIM_400000_NS6detail44device_merge_sort_compile_time_verifier_archINS1_11comp_targetILNS1_3genE10ELNS1_11target_archE1201ELNS1_3gpuE5ELNS1_3repE0EEES8_NS1_28merge_sort_block_sort_configILj256ELj4ELNS0_20block_sort_algorithmE0EEENS0_14default_configENS1_37merge_sort_block_sort_config_selectorIxxEENS1_38merge_sort_block_merge_config_selectorIxxEEEEvv,comdat
.Lfunc_end1061:
	.size	_ZN7rocprim17ROCPRIM_400000_NS6detail44device_merge_sort_compile_time_verifier_archINS1_11comp_targetILNS1_3genE10ELNS1_11target_archE1201ELNS1_3gpuE5ELNS1_3repE0EEES8_NS1_28merge_sort_block_sort_configILj256ELj4ELNS0_20block_sort_algorithmE0EEENS0_14default_configENS1_37merge_sort_block_sort_config_selectorIxxEENS1_38merge_sort_block_merge_config_selectorIxxEEEEvv, .Lfunc_end1061-_ZN7rocprim17ROCPRIM_400000_NS6detail44device_merge_sort_compile_time_verifier_archINS1_11comp_targetILNS1_3genE10ELNS1_11target_archE1201ELNS1_3gpuE5ELNS1_3repE0EEES8_NS1_28merge_sort_block_sort_configILj256ELj4ELNS0_20block_sort_algorithmE0EEENS0_14default_configENS1_37merge_sort_block_sort_config_selectorIxxEENS1_38merge_sort_block_merge_config_selectorIxxEEEEvv
                                        ; -- End function
	.set _ZN7rocprim17ROCPRIM_400000_NS6detail44device_merge_sort_compile_time_verifier_archINS1_11comp_targetILNS1_3genE10ELNS1_11target_archE1201ELNS1_3gpuE5ELNS1_3repE0EEES8_NS1_28merge_sort_block_sort_configILj256ELj4ELNS0_20block_sort_algorithmE0EEENS0_14default_configENS1_37merge_sort_block_sort_config_selectorIxxEENS1_38merge_sort_block_merge_config_selectorIxxEEEEvv.num_vgpr, 0
	.set _ZN7rocprim17ROCPRIM_400000_NS6detail44device_merge_sort_compile_time_verifier_archINS1_11comp_targetILNS1_3genE10ELNS1_11target_archE1201ELNS1_3gpuE5ELNS1_3repE0EEES8_NS1_28merge_sort_block_sort_configILj256ELj4ELNS0_20block_sort_algorithmE0EEENS0_14default_configENS1_37merge_sort_block_sort_config_selectorIxxEENS1_38merge_sort_block_merge_config_selectorIxxEEEEvv.num_agpr, 0
	.set _ZN7rocprim17ROCPRIM_400000_NS6detail44device_merge_sort_compile_time_verifier_archINS1_11comp_targetILNS1_3genE10ELNS1_11target_archE1201ELNS1_3gpuE5ELNS1_3repE0EEES8_NS1_28merge_sort_block_sort_configILj256ELj4ELNS0_20block_sort_algorithmE0EEENS0_14default_configENS1_37merge_sort_block_sort_config_selectorIxxEENS1_38merge_sort_block_merge_config_selectorIxxEEEEvv.numbered_sgpr, 0
	.set _ZN7rocprim17ROCPRIM_400000_NS6detail44device_merge_sort_compile_time_verifier_archINS1_11comp_targetILNS1_3genE10ELNS1_11target_archE1201ELNS1_3gpuE5ELNS1_3repE0EEES8_NS1_28merge_sort_block_sort_configILj256ELj4ELNS0_20block_sort_algorithmE0EEENS0_14default_configENS1_37merge_sort_block_sort_config_selectorIxxEENS1_38merge_sort_block_merge_config_selectorIxxEEEEvv.num_named_barrier, 0
	.set _ZN7rocprim17ROCPRIM_400000_NS6detail44device_merge_sort_compile_time_verifier_archINS1_11comp_targetILNS1_3genE10ELNS1_11target_archE1201ELNS1_3gpuE5ELNS1_3repE0EEES8_NS1_28merge_sort_block_sort_configILj256ELj4ELNS0_20block_sort_algorithmE0EEENS0_14default_configENS1_37merge_sort_block_sort_config_selectorIxxEENS1_38merge_sort_block_merge_config_selectorIxxEEEEvv.private_seg_size, 0
	.set _ZN7rocprim17ROCPRIM_400000_NS6detail44device_merge_sort_compile_time_verifier_archINS1_11comp_targetILNS1_3genE10ELNS1_11target_archE1201ELNS1_3gpuE5ELNS1_3repE0EEES8_NS1_28merge_sort_block_sort_configILj256ELj4ELNS0_20block_sort_algorithmE0EEENS0_14default_configENS1_37merge_sort_block_sort_config_selectorIxxEENS1_38merge_sort_block_merge_config_selectorIxxEEEEvv.uses_vcc, 0
	.set _ZN7rocprim17ROCPRIM_400000_NS6detail44device_merge_sort_compile_time_verifier_archINS1_11comp_targetILNS1_3genE10ELNS1_11target_archE1201ELNS1_3gpuE5ELNS1_3repE0EEES8_NS1_28merge_sort_block_sort_configILj256ELj4ELNS0_20block_sort_algorithmE0EEENS0_14default_configENS1_37merge_sort_block_sort_config_selectorIxxEENS1_38merge_sort_block_merge_config_selectorIxxEEEEvv.uses_flat_scratch, 0
	.set _ZN7rocprim17ROCPRIM_400000_NS6detail44device_merge_sort_compile_time_verifier_archINS1_11comp_targetILNS1_3genE10ELNS1_11target_archE1201ELNS1_3gpuE5ELNS1_3repE0EEES8_NS1_28merge_sort_block_sort_configILj256ELj4ELNS0_20block_sort_algorithmE0EEENS0_14default_configENS1_37merge_sort_block_sort_config_selectorIxxEENS1_38merge_sort_block_merge_config_selectorIxxEEEEvv.has_dyn_sized_stack, 0
	.set _ZN7rocprim17ROCPRIM_400000_NS6detail44device_merge_sort_compile_time_verifier_archINS1_11comp_targetILNS1_3genE10ELNS1_11target_archE1201ELNS1_3gpuE5ELNS1_3repE0EEES8_NS1_28merge_sort_block_sort_configILj256ELj4ELNS0_20block_sort_algorithmE0EEENS0_14default_configENS1_37merge_sort_block_sort_config_selectorIxxEENS1_38merge_sort_block_merge_config_selectorIxxEEEEvv.has_recursion, 0
	.set _ZN7rocprim17ROCPRIM_400000_NS6detail44device_merge_sort_compile_time_verifier_archINS1_11comp_targetILNS1_3genE10ELNS1_11target_archE1201ELNS1_3gpuE5ELNS1_3repE0EEES8_NS1_28merge_sort_block_sort_configILj256ELj4ELNS0_20block_sort_algorithmE0EEENS0_14default_configENS1_37merge_sort_block_sort_config_selectorIxxEENS1_38merge_sort_block_merge_config_selectorIxxEEEEvv.has_indirect_call, 0
	.section	.AMDGPU.csdata,"",@progbits
; Kernel info:
; codeLenInByte = 4
; TotalNumSgprs: 6
; NumVgprs: 0
; NumAgprs: 0
; TotalNumVgprs: 0
; ScratchSize: 0
; MemoryBound: 0
; FloatMode: 240
; IeeeMode: 1
; LDSByteSize: 0 bytes/workgroup (compile time only)
; SGPRBlocks: 0
; VGPRBlocks: 0
; NumSGPRsForWavesPerEU: 6
; NumVGPRsForWavesPerEU: 1
; AccumOffset: 4
; Occupancy: 8
; WaveLimiterHint : 0
; COMPUTE_PGM_RSRC2:SCRATCH_EN: 0
; COMPUTE_PGM_RSRC2:USER_SGPR: 0
; COMPUTE_PGM_RSRC2:TRAP_HANDLER: 0
; COMPUTE_PGM_RSRC2:TGID_X_EN: 1
; COMPUTE_PGM_RSRC2:TGID_Y_EN: 0
; COMPUTE_PGM_RSRC2:TGID_Z_EN: 0
; COMPUTE_PGM_RSRC2:TIDIG_COMP_CNT: 0
; COMPUTE_PGM_RSRC3_GFX90A:ACCUM_OFFSET: 0
; COMPUTE_PGM_RSRC3_GFX90A:TG_SPLIT: 0
	.section	.text._ZN7rocprim17ROCPRIM_400000_NS6detail44device_merge_sort_compile_time_verifier_archINS1_11comp_targetILNS1_3genE10ELNS1_11target_archE1200ELNS1_3gpuE4ELNS1_3repE0EEENS3_ILS4_10ELS5_1201ELS6_5ELS7_0EEENS1_28merge_sort_block_sort_configILj256ELj4ELNS0_20block_sort_algorithmE0EEENS0_14default_configENS1_37merge_sort_block_sort_config_selectorIxxEENS1_38merge_sort_block_merge_config_selectorIxxEEEEvv,"axG",@progbits,_ZN7rocprim17ROCPRIM_400000_NS6detail44device_merge_sort_compile_time_verifier_archINS1_11comp_targetILNS1_3genE10ELNS1_11target_archE1200ELNS1_3gpuE4ELNS1_3repE0EEENS3_ILS4_10ELS5_1201ELS6_5ELS7_0EEENS1_28merge_sort_block_sort_configILj256ELj4ELNS0_20block_sort_algorithmE0EEENS0_14default_configENS1_37merge_sort_block_sort_config_selectorIxxEENS1_38merge_sort_block_merge_config_selectorIxxEEEEvv,comdat
	.protected	_ZN7rocprim17ROCPRIM_400000_NS6detail44device_merge_sort_compile_time_verifier_archINS1_11comp_targetILNS1_3genE10ELNS1_11target_archE1200ELNS1_3gpuE4ELNS1_3repE0EEENS3_ILS4_10ELS5_1201ELS6_5ELS7_0EEENS1_28merge_sort_block_sort_configILj256ELj4ELNS0_20block_sort_algorithmE0EEENS0_14default_configENS1_37merge_sort_block_sort_config_selectorIxxEENS1_38merge_sort_block_merge_config_selectorIxxEEEEvv ; -- Begin function _ZN7rocprim17ROCPRIM_400000_NS6detail44device_merge_sort_compile_time_verifier_archINS1_11comp_targetILNS1_3genE10ELNS1_11target_archE1200ELNS1_3gpuE4ELNS1_3repE0EEENS3_ILS4_10ELS5_1201ELS6_5ELS7_0EEENS1_28merge_sort_block_sort_configILj256ELj4ELNS0_20block_sort_algorithmE0EEENS0_14default_configENS1_37merge_sort_block_sort_config_selectorIxxEENS1_38merge_sort_block_merge_config_selectorIxxEEEEvv
	.globl	_ZN7rocprim17ROCPRIM_400000_NS6detail44device_merge_sort_compile_time_verifier_archINS1_11comp_targetILNS1_3genE10ELNS1_11target_archE1200ELNS1_3gpuE4ELNS1_3repE0EEENS3_ILS4_10ELS5_1201ELS6_5ELS7_0EEENS1_28merge_sort_block_sort_configILj256ELj4ELNS0_20block_sort_algorithmE0EEENS0_14default_configENS1_37merge_sort_block_sort_config_selectorIxxEENS1_38merge_sort_block_merge_config_selectorIxxEEEEvv
	.p2align	8
	.type	_ZN7rocprim17ROCPRIM_400000_NS6detail44device_merge_sort_compile_time_verifier_archINS1_11comp_targetILNS1_3genE10ELNS1_11target_archE1200ELNS1_3gpuE4ELNS1_3repE0EEENS3_ILS4_10ELS5_1201ELS6_5ELS7_0EEENS1_28merge_sort_block_sort_configILj256ELj4ELNS0_20block_sort_algorithmE0EEENS0_14default_configENS1_37merge_sort_block_sort_config_selectorIxxEENS1_38merge_sort_block_merge_config_selectorIxxEEEEvv,@function
_ZN7rocprim17ROCPRIM_400000_NS6detail44device_merge_sort_compile_time_verifier_archINS1_11comp_targetILNS1_3genE10ELNS1_11target_archE1200ELNS1_3gpuE4ELNS1_3repE0EEENS3_ILS4_10ELS5_1201ELS6_5ELS7_0EEENS1_28merge_sort_block_sort_configILj256ELj4ELNS0_20block_sort_algorithmE0EEENS0_14default_configENS1_37merge_sort_block_sort_config_selectorIxxEENS1_38merge_sort_block_merge_config_selectorIxxEEEEvv: ; @_ZN7rocprim17ROCPRIM_400000_NS6detail44device_merge_sort_compile_time_verifier_archINS1_11comp_targetILNS1_3genE10ELNS1_11target_archE1200ELNS1_3gpuE4ELNS1_3repE0EEENS3_ILS4_10ELS5_1201ELS6_5ELS7_0EEENS1_28merge_sort_block_sort_configILj256ELj4ELNS0_20block_sort_algorithmE0EEENS0_14default_configENS1_37merge_sort_block_sort_config_selectorIxxEENS1_38merge_sort_block_merge_config_selectorIxxEEEEvv
; %bb.0:
	s_endpgm
	.section	.rodata,"a",@progbits
	.p2align	6, 0x0
	.amdhsa_kernel _ZN7rocprim17ROCPRIM_400000_NS6detail44device_merge_sort_compile_time_verifier_archINS1_11comp_targetILNS1_3genE10ELNS1_11target_archE1200ELNS1_3gpuE4ELNS1_3repE0EEENS3_ILS4_10ELS5_1201ELS6_5ELS7_0EEENS1_28merge_sort_block_sort_configILj256ELj4ELNS0_20block_sort_algorithmE0EEENS0_14default_configENS1_37merge_sort_block_sort_config_selectorIxxEENS1_38merge_sort_block_merge_config_selectorIxxEEEEvv
		.amdhsa_group_segment_fixed_size 0
		.amdhsa_private_segment_fixed_size 0
		.amdhsa_kernarg_size 0
		.amdhsa_user_sgpr_count 0
		.amdhsa_user_sgpr_dispatch_ptr 0
		.amdhsa_user_sgpr_queue_ptr 0
		.amdhsa_user_sgpr_kernarg_segment_ptr 0
		.amdhsa_user_sgpr_dispatch_id 0
		.amdhsa_user_sgpr_kernarg_preload_length 0
		.amdhsa_user_sgpr_kernarg_preload_offset 0
		.amdhsa_user_sgpr_private_segment_size 0
		.amdhsa_uses_dynamic_stack 0
		.amdhsa_enable_private_segment 0
		.amdhsa_system_sgpr_workgroup_id_x 1
		.amdhsa_system_sgpr_workgroup_id_y 0
		.amdhsa_system_sgpr_workgroup_id_z 0
		.amdhsa_system_sgpr_workgroup_info 0
		.amdhsa_system_vgpr_workitem_id 0
		.amdhsa_next_free_vgpr 1
		.amdhsa_next_free_sgpr 0
		.amdhsa_accum_offset 4
		.amdhsa_reserve_vcc 0
		.amdhsa_float_round_mode_32 0
		.amdhsa_float_round_mode_16_64 0
		.amdhsa_float_denorm_mode_32 3
		.amdhsa_float_denorm_mode_16_64 3
		.amdhsa_dx10_clamp 1
		.amdhsa_ieee_mode 1
		.amdhsa_fp16_overflow 0
		.amdhsa_tg_split 0
		.amdhsa_exception_fp_ieee_invalid_op 0
		.amdhsa_exception_fp_denorm_src 0
		.amdhsa_exception_fp_ieee_div_zero 0
		.amdhsa_exception_fp_ieee_overflow 0
		.amdhsa_exception_fp_ieee_underflow 0
		.amdhsa_exception_fp_ieee_inexact 0
		.amdhsa_exception_int_div_zero 0
	.end_amdhsa_kernel
	.section	.text._ZN7rocprim17ROCPRIM_400000_NS6detail44device_merge_sort_compile_time_verifier_archINS1_11comp_targetILNS1_3genE10ELNS1_11target_archE1200ELNS1_3gpuE4ELNS1_3repE0EEENS3_ILS4_10ELS5_1201ELS6_5ELS7_0EEENS1_28merge_sort_block_sort_configILj256ELj4ELNS0_20block_sort_algorithmE0EEENS0_14default_configENS1_37merge_sort_block_sort_config_selectorIxxEENS1_38merge_sort_block_merge_config_selectorIxxEEEEvv,"axG",@progbits,_ZN7rocprim17ROCPRIM_400000_NS6detail44device_merge_sort_compile_time_verifier_archINS1_11comp_targetILNS1_3genE10ELNS1_11target_archE1200ELNS1_3gpuE4ELNS1_3repE0EEENS3_ILS4_10ELS5_1201ELS6_5ELS7_0EEENS1_28merge_sort_block_sort_configILj256ELj4ELNS0_20block_sort_algorithmE0EEENS0_14default_configENS1_37merge_sort_block_sort_config_selectorIxxEENS1_38merge_sort_block_merge_config_selectorIxxEEEEvv,comdat
.Lfunc_end1062:
	.size	_ZN7rocprim17ROCPRIM_400000_NS6detail44device_merge_sort_compile_time_verifier_archINS1_11comp_targetILNS1_3genE10ELNS1_11target_archE1200ELNS1_3gpuE4ELNS1_3repE0EEENS3_ILS4_10ELS5_1201ELS6_5ELS7_0EEENS1_28merge_sort_block_sort_configILj256ELj4ELNS0_20block_sort_algorithmE0EEENS0_14default_configENS1_37merge_sort_block_sort_config_selectorIxxEENS1_38merge_sort_block_merge_config_selectorIxxEEEEvv, .Lfunc_end1062-_ZN7rocprim17ROCPRIM_400000_NS6detail44device_merge_sort_compile_time_verifier_archINS1_11comp_targetILNS1_3genE10ELNS1_11target_archE1200ELNS1_3gpuE4ELNS1_3repE0EEENS3_ILS4_10ELS5_1201ELS6_5ELS7_0EEENS1_28merge_sort_block_sort_configILj256ELj4ELNS0_20block_sort_algorithmE0EEENS0_14default_configENS1_37merge_sort_block_sort_config_selectorIxxEENS1_38merge_sort_block_merge_config_selectorIxxEEEEvv
                                        ; -- End function
	.set _ZN7rocprim17ROCPRIM_400000_NS6detail44device_merge_sort_compile_time_verifier_archINS1_11comp_targetILNS1_3genE10ELNS1_11target_archE1200ELNS1_3gpuE4ELNS1_3repE0EEENS3_ILS4_10ELS5_1201ELS6_5ELS7_0EEENS1_28merge_sort_block_sort_configILj256ELj4ELNS0_20block_sort_algorithmE0EEENS0_14default_configENS1_37merge_sort_block_sort_config_selectorIxxEENS1_38merge_sort_block_merge_config_selectorIxxEEEEvv.num_vgpr, 0
	.set _ZN7rocprim17ROCPRIM_400000_NS6detail44device_merge_sort_compile_time_verifier_archINS1_11comp_targetILNS1_3genE10ELNS1_11target_archE1200ELNS1_3gpuE4ELNS1_3repE0EEENS3_ILS4_10ELS5_1201ELS6_5ELS7_0EEENS1_28merge_sort_block_sort_configILj256ELj4ELNS0_20block_sort_algorithmE0EEENS0_14default_configENS1_37merge_sort_block_sort_config_selectorIxxEENS1_38merge_sort_block_merge_config_selectorIxxEEEEvv.num_agpr, 0
	.set _ZN7rocprim17ROCPRIM_400000_NS6detail44device_merge_sort_compile_time_verifier_archINS1_11comp_targetILNS1_3genE10ELNS1_11target_archE1200ELNS1_3gpuE4ELNS1_3repE0EEENS3_ILS4_10ELS5_1201ELS6_5ELS7_0EEENS1_28merge_sort_block_sort_configILj256ELj4ELNS0_20block_sort_algorithmE0EEENS0_14default_configENS1_37merge_sort_block_sort_config_selectorIxxEENS1_38merge_sort_block_merge_config_selectorIxxEEEEvv.numbered_sgpr, 0
	.set _ZN7rocprim17ROCPRIM_400000_NS6detail44device_merge_sort_compile_time_verifier_archINS1_11comp_targetILNS1_3genE10ELNS1_11target_archE1200ELNS1_3gpuE4ELNS1_3repE0EEENS3_ILS4_10ELS5_1201ELS6_5ELS7_0EEENS1_28merge_sort_block_sort_configILj256ELj4ELNS0_20block_sort_algorithmE0EEENS0_14default_configENS1_37merge_sort_block_sort_config_selectorIxxEENS1_38merge_sort_block_merge_config_selectorIxxEEEEvv.num_named_barrier, 0
	.set _ZN7rocprim17ROCPRIM_400000_NS6detail44device_merge_sort_compile_time_verifier_archINS1_11comp_targetILNS1_3genE10ELNS1_11target_archE1200ELNS1_3gpuE4ELNS1_3repE0EEENS3_ILS4_10ELS5_1201ELS6_5ELS7_0EEENS1_28merge_sort_block_sort_configILj256ELj4ELNS0_20block_sort_algorithmE0EEENS0_14default_configENS1_37merge_sort_block_sort_config_selectorIxxEENS1_38merge_sort_block_merge_config_selectorIxxEEEEvv.private_seg_size, 0
	.set _ZN7rocprim17ROCPRIM_400000_NS6detail44device_merge_sort_compile_time_verifier_archINS1_11comp_targetILNS1_3genE10ELNS1_11target_archE1200ELNS1_3gpuE4ELNS1_3repE0EEENS3_ILS4_10ELS5_1201ELS6_5ELS7_0EEENS1_28merge_sort_block_sort_configILj256ELj4ELNS0_20block_sort_algorithmE0EEENS0_14default_configENS1_37merge_sort_block_sort_config_selectorIxxEENS1_38merge_sort_block_merge_config_selectorIxxEEEEvv.uses_vcc, 0
	.set _ZN7rocprim17ROCPRIM_400000_NS6detail44device_merge_sort_compile_time_verifier_archINS1_11comp_targetILNS1_3genE10ELNS1_11target_archE1200ELNS1_3gpuE4ELNS1_3repE0EEENS3_ILS4_10ELS5_1201ELS6_5ELS7_0EEENS1_28merge_sort_block_sort_configILj256ELj4ELNS0_20block_sort_algorithmE0EEENS0_14default_configENS1_37merge_sort_block_sort_config_selectorIxxEENS1_38merge_sort_block_merge_config_selectorIxxEEEEvv.uses_flat_scratch, 0
	.set _ZN7rocprim17ROCPRIM_400000_NS6detail44device_merge_sort_compile_time_verifier_archINS1_11comp_targetILNS1_3genE10ELNS1_11target_archE1200ELNS1_3gpuE4ELNS1_3repE0EEENS3_ILS4_10ELS5_1201ELS6_5ELS7_0EEENS1_28merge_sort_block_sort_configILj256ELj4ELNS0_20block_sort_algorithmE0EEENS0_14default_configENS1_37merge_sort_block_sort_config_selectorIxxEENS1_38merge_sort_block_merge_config_selectorIxxEEEEvv.has_dyn_sized_stack, 0
	.set _ZN7rocprim17ROCPRIM_400000_NS6detail44device_merge_sort_compile_time_verifier_archINS1_11comp_targetILNS1_3genE10ELNS1_11target_archE1200ELNS1_3gpuE4ELNS1_3repE0EEENS3_ILS4_10ELS5_1201ELS6_5ELS7_0EEENS1_28merge_sort_block_sort_configILj256ELj4ELNS0_20block_sort_algorithmE0EEENS0_14default_configENS1_37merge_sort_block_sort_config_selectorIxxEENS1_38merge_sort_block_merge_config_selectorIxxEEEEvv.has_recursion, 0
	.set _ZN7rocprim17ROCPRIM_400000_NS6detail44device_merge_sort_compile_time_verifier_archINS1_11comp_targetILNS1_3genE10ELNS1_11target_archE1200ELNS1_3gpuE4ELNS1_3repE0EEENS3_ILS4_10ELS5_1201ELS6_5ELS7_0EEENS1_28merge_sort_block_sort_configILj256ELj4ELNS0_20block_sort_algorithmE0EEENS0_14default_configENS1_37merge_sort_block_sort_config_selectorIxxEENS1_38merge_sort_block_merge_config_selectorIxxEEEEvv.has_indirect_call, 0
	.section	.AMDGPU.csdata,"",@progbits
; Kernel info:
; codeLenInByte = 4
; TotalNumSgprs: 6
; NumVgprs: 0
; NumAgprs: 0
; TotalNumVgprs: 0
; ScratchSize: 0
; MemoryBound: 0
; FloatMode: 240
; IeeeMode: 1
; LDSByteSize: 0 bytes/workgroup (compile time only)
; SGPRBlocks: 0
; VGPRBlocks: 0
; NumSGPRsForWavesPerEU: 6
; NumVGPRsForWavesPerEU: 1
; AccumOffset: 4
; Occupancy: 8
; WaveLimiterHint : 0
; COMPUTE_PGM_RSRC2:SCRATCH_EN: 0
; COMPUTE_PGM_RSRC2:USER_SGPR: 0
; COMPUTE_PGM_RSRC2:TRAP_HANDLER: 0
; COMPUTE_PGM_RSRC2:TGID_X_EN: 1
; COMPUTE_PGM_RSRC2:TGID_Y_EN: 0
; COMPUTE_PGM_RSRC2:TGID_Z_EN: 0
; COMPUTE_PGM_RSRC2:TIDIG_COMP_CNT: 0
; COMPUTE_PGM_RSRC3_GFX90A:ACCUM_OFFSET: 0
; COMPUTE_PGM_RSRC3_GFX90A:TG_SPLIT: 0
	.section	.text._ZN7rocprim17ROCPRIM_400000_NS6detail44device_merge_sort_compile_time_verifier_archINS1_11comp_targetILNS1_3genE9ELNS1_11target_archE1100ELNS1_3gpuE3ELNS1_3repE0EEES8_NS1_28merge_sort_block_sort_configILj256ELj4ELNS0_20block_sort_algorithmE0EEENS0_14default_configENS1_37merge_sort_block_sort_config_selectorIxxEENS1_38merge_sort_block_merge_config_selectorIxxEEEEvv,"axG",@progbits,_ZN7rocprim17ROCPRIM_400000_NS6detail44device_merge_sort_compile_time_verifier_archINS1_11comp_targetILNS1_3genE9ELNS1_11target_archE1100ELNS1_3gpuE3ELNS1_3repE0EEES8_NS1_28merge_sort_block_sort_configILj256ELj4ELNS0_20block_sort_algorithmE0EEENS0_14default_configENS1_37merge_sort_block_sort_config_selectorIxxEENS1_38merge_sort_block_merge_config_selectorIxxEEEEvv,comdat
	.protected	_ZN7rocprim17ROCPRIM_400000_NS6detail44device_merge_sort_compile_time_verifier_archINS1_11comp_targetILNS1_3genE9ELNS1_11target_archE1100ELNS1_3gpuE3ELNS1_3repE0EEES8_NS1_28merge_sort_block_sort_configILj256ELj4ELNS0_20block_sort_algorithmE0EEENS0_14default_configENS1_37merge_sort_block_sort_config_selectorIxxEENS1_38merge_sort_block_merge_config_selectorIxxEEEEvv ; -- Begin function _ZN7rocprim17ROCPRIM_400000_NS6detail44device_merge_sort_compile_time_verifier_archINS1_11comp_targetILNS1_3genE9ELNS1_11target_archE1100ELNS1_3gpuE3ELNS1_3repE0EEES8_NS1_28merge_sort_block_sort_configILj256ELj4ELNS0_20block_sort_algorithmE0EEENS0_14default_configENS1_37merge_sort_block_sort_config_selectorIxxEENS1_38merge_sort_block_merge_config_selectorIxxEEEEvv
	.globl	_ZN7rocprim17ROCPRIM_400000_NS6detail44device_merge_sort_compile_time_verifier_archINS1_11comp_targetILNS1_3genE9ELNS1_11target_archE1100ELNS1_3gpuE3ELNS1_3repE0EEES8_NS1_28merge_sort_block_sort_configILj256ELj4ELNS0_20block_sort_algorithmE0EEENS0_14default_configENS1_37merge_sort_block_sort_config_selectorIxxEENS1_38merge_sort_block_merge_config_selectorIxxEEEEvv
	.p2align	8
	.type	_ZN7rocprim17ROCPRIM_400000_NS6detail44device_merge_sort_compile_time_verifier_archINS1_11comp_targetILNS1_3genE9ELNS1_11target_archE1100ELNS1_3gpuE3ELNS1_3repE0EEES8_NS1_28merge_sort_block_sort_configILj256ELj4ELNS0_20block_sort_algorithmE0EEENS0_14default_configENS1_37merge_sort_block_sort_config_selectorIxxEENS1_38merge_sort_block_merge_config_selectorIxxEEEEvv,@function
_ZN7rocprim17ROCPRIM_400000_NS6detail44device_merge_sort_compile_time_verifier_archINS1_11comp_targetILNS1_3genE9ELNS1_11target_archE1100ELNS1_3gpuE3ELNS1_3repE0EEES8_NS1_28merge_sort_block_sort_configILj256ELj4ELNS0_20block_sort_algorithmE0EEENS0_14default_configENS1_37merge_sort_block_sort_config_selectorIxxEENS1_38merge_sort_block_merge_config_selectorIxxEEEEvv: ; @_ZN7rocprim17ROCPRIM_400000_NS6detail44device_merge_sort_compile_time_verifier_archINS1_11comp_targetILNS1_3genE9ELNS1_11target_archE1100ELNS1_3gpuE3ELNS1_3repE0EEES8_NS1_28merge_sort_block_sort_configILj256ELj4ELNS0_20block_sort_algorithmE0EEENS0_14default_configENS1_37merge_sort_block_sort_config_selectorIxxEENS1_38merge_sort_block_merge_config_selectorIxxEEEEvv
; %bb.0:
	s_endpgm
	.section	.rodata,"a",@progbits
	.p2align	6, 0x0
	.amdhsa_kernel _ZN7rocprim17ROCPRIM_400000_NS6detail44device_merge_sort_compile_time_verifier_archINS1_11comp_targetILNS1_3genE9ELNS1_11target_archE1100ELNS1_3gpuE3ELNS1_3repE0EEES8_NS1_28merge_sort_block_sort_configILj256ELj4ELNS0_20block_sort_algorithmE0EEENS0_14default_configENS1_37merge_sort_block_sort_config_selectorIxxEENS1_38merge_sort_block_merge_config_selectorIxxEEEEvv
		.amdhsa_group_segment_fixed_size 0
		.amdhsa_private_segment_fixed_size 0
		.amdhsa_kernarg_size 0
		.amdhsa_user_sgpr_count 0
		.amdhsa_user_sgpr_dispatch_ptr 0
		.amdhsa_user_sgpr_queue_ptr 0
		.amdhsa_user_sgpr_kernarg_segment_ptr 0
		.amdhsa_user_sgpr_dispatch_id 0
		.amdhsa_user_sgpr_kernarg_preload_length 0
		.amdhsa_user_sgpr_kernarg_preload_offset 0
		.amdhsa_user_sgpr_private_segment_size 0
		.amdhsa_uses_dynamic_stack 0
		.amdhsa_enable_private_segment 0
		.amdhsa_system_sgpr_workgroup_id_x 1
		.amdhsa_system_sgpr_workgroup_id_y 0
		.amdhsa_system_sgpr_workgroup_id_z 0
		.amdhsa_system_sgpr_workgroup_info 0
		.amdhsa_system_vgpr_workitem_id 0
		.amdhsa_next_free_vgpr 1
		.amdhsa_next_free_sgpr 0
		.amdhsa_accum_offset 4
		.amdhsa_reserve_vcc 0
		.amdhsa_float_round_mode_32 0
		.amdhsa_float_round_mode_16_64 0
		.amdhsa_float_denorm_mode_32 3
		.amdhsa_float_denorm_mode_16_64 3
		.amdhsa_dx10_clamp 1
		.amdhsa_ieee_mode 1
		.amdhsa_fp16_overflow 0
		.amdhsa_tg_split 0
		.amdhsa_exception_fp_ieee_invalid_op 0
		.amdhsa_exception_fp_denorm_src 0
		.amdhsa_exception_fp_ieee_div_zero 0
		.amdhsa_exception_fp_ieee_overflow 0
		.amdhsa_exception_fp_ieee_underflow 0
		.amdhsa_exception_fp_ieee_inexact 0
		.amdhsa_exception_int_div_zero 0
	.end_amdhsa_kernel
	.section	.text._ZN7rocprim17ROCPRIM_400000_NS6detail44device_merge_sort_compile_time_verifier_archINS1_11comp_targetILNS1_3genE9ELNS1_11target_archE1100ELNS1_3gpuE3ELNS1_3repE0EEES8_NS1_28merge_sort_block_sort_configILj256ELj4ELNS0_20block_sort_algorithmE0EEENS0_14default_configENS1_37merge_sort_block_sort_config_selectorIxxEENS1_38merge_sort_block_merge_config_selectorIxxEEEEvv,"axG",@progbits,_ZN7rocprim17ROCPRIM_400000_NS6detail44device_merge_sort_compile_time_verifier_archINS1_11comp_targetILNS1_3genE9ELNS1_11target_archE1100ELNS1_3gpuE3ELNS1_3repE0EEES8_NS1_28merge_sort_block_sort_configILj256ELj4ELNS0_20block_sort_algorithmE0EEENS0_14default_configENS1_37merge_sort_block_sort_config_selectorIxxEENS1_38merge_sort_block_merge_config_selectorIxxEEEEvv,comdat
.Lfunc_end1063:
	.size	_ZN7rocprim17ROCPRIM_400000_NS6detail44device_merge_sort_compile_time_verifier_archINS1_11comp_targetILNS1_3genE9ELNS1_11target_archE1100ELNS1_3gpuE3ELNS1_3repE0EEES8_NS1_28merge_sort_block_sort_configILj256ELj4ELNS0_20block_sort_algorithmE0EEENS0_14default_configENS1_37merge_sort_block_sort_config_selectorIxxEENS1_38merge_sort_block_merge_config_selectorIxxEEEEvv, .Lfunc_end1063-_ZN7rocprim17ROCPRIM_400000_NS6detail44device_merge_sort_compile_time_verifier_archINS1_11comp_targetILNS1_3genE9ELNS1_11target_archE1100ELNS1_3gpuE3ELNS1_3repE0EEES8_NS1_28merge_sort_block_sort_configILj256ELj4ELNS0_20block_sort_algorithmE0EEENS0_14default_configENS1_37merge_sort_block_sort_config_selectorIxxEENS1_38merge_sort_block_merge_config_selectorIxxEEEEvv
                                        ; -- End function
	.set _ZN7rocprim17ROCPRIM_400000_NS6detail44device_merge_sort_compile_time_verifier_archINS1_11comp_targetILNS1_3genE9ELNS1_11target_archE1100ELNS1_3gpuE3ELNS1_3repE0EEES8_NS1_28merge_sort_block_sort_configILj256ELj4ELNS0_20block_sort_algorithmE0EEENS0_14default_configENS1_37merge_sort_block_sort_config_selectorIxxEENS1_38merge_sort_block_merge_config_selectorIxxEEEEvv.num_vgpr, 0
	.set _ZN7rocprim17ROCPRIM_400000_NS6detail44device_merge_sort_compile_time_verifier_archINS1_11comp_targetILNS1_3genE9ELNS1_11target_archE1100ELNS1_3gpuE3ELNS1_3repE0EEES8_NS1_28merge_sort_block_sort_configILj256ELj4ELNS0_20block_sort_algorithmE0EEENS0_14default_configENS1_37merge_sort_block_sort_config_selectorIxxEENS1_38merge_sort_block_merge_config_selectorIxxEEEEvv.num_agpr, 0
	.set _ZN7rocprim17ROCPRIM_400000_NS6detail44device_merge_sort_compile_time_verifier_archINS1_11comp_targetILNS1_3genE9ELNS1_11target_archE1100ELNS1_3gpuE3ELNS1_3repE0EEES8_NS1_28merge_sort_block_sort_configILj256ELj4ELNS0_20block_sort_algorithmE0EEENS0_14default_configENS1_37merge_sort_block_sort_config_selectorIxxEENS1_38merge_sort_block_merge_config_selectorIxxEEEEvv.numbered_sgpr, 0
	.set _ZN7rocprim17ROCPRIM_400000_NS6detail44device_merge_sort_compile_time_verifier_archINS1_11comp_targetILNS1_3genE9ELNS1_11target_archE1100ELNS1_3gpuE3ELNS1_3repE0EEES8_NS1_28merge_sort_block_sort_configILj256ELj4ELNS0_20block_sort_algorithmE0EEENS0_14default_configENS1_37merge_sort_block_sort_config_selectorIxxEENS1_38merge_sort_block_merge_config_selectorIxxEEEEvv.num_named_barrier, 0
	.set _ZN7rocprim17ROCPRIM_400000_NS6detail44device_merge_sort_compile_time_verifier_archINS1_11comp_targetILNS1_3genE9ELNS1_11target_archE1100ELNS1_3gpuE3ELNS1_3repE0EEES8_NS1_28merge_sort_block_sort_configILj256ELj4ELNS0_20block_sort_algorithmE0EEENS0_14default_configENS1_37merge_sort_block_sort_config_selectorIxxEENS1_38merge_sort_block_merge_config_selectorIxxEEEEvv.private_seg_size, 0
	.set _ZN7rocprim17ROCPRIM_400000_NS6detail44device_merge_sort_compile_time_verifier_archINS1_11comp_targetILNS1_3genE9ELNS1_11target_archE1100ELNS1_3gpuE3ELNS1_3repE0EEES8_NS1_28merge_sort_block_sort_configILj256ELj4ELNS0_20block_sort_algorithmE0EEENS0_14default_configENS1_37merge_sort_block_sort_config_selectorIxxEENS1_38merge_sort_block_merge_config_selectorIxxEEEEvv.uses_vcc, 0
	.set _ZN7rocprim17ROCPRIM_400000_NS6detail44device_merge_sort_compile_time_verifier_archINS1_11comp_targetILNS1_3genE9ELNS1_11target_archE1100ELNS1_3gpuE3ELNS1_3repE0EEES8_NS1_28merge_sort_block_sort_configILj256ELj4ELNS0_20block_sort_algorithmE0EEENS0_14default_configENS1_37merge_sort_block_sort_config_selectorIxxEENS1_38merge_sort_block_merge_config_selectorIxxEEEEvv.uses_flat_scratch, 0
	.set _ZN7rocprim17ROCPRIM_400000_NS6detail44device_merge_sort_compile_time_verifier_archINS1_11comp_targetILNS1_3genE9ELNS1_11target_archE1100ELNS1_3gpuE3ELNS1_3repE0EEES8_NS1_28merge_sort_block_sort_configILj256ELj4ELNS0_20block_sort_algorithmE0EEENS0_14default_configENS1_37merge_sort_block_sort_config_selectorIxxEENS1_38merge_sort_block_merge_config_selectorIxxEEEEvv.has_dyn_sized_stack, 0
	.set _ZN7rocprim17ROCPRIM_400000_NS6detail44device_merge_sort_compile_time_verifier_archINS1_11comp_targetILNS1_3genE9ELNS1_11target_archE1100ELNS1_3gpuE3ELNS1_3repE0EEES8_NS1_28merge_sort_block_sort_configILj256ELj4ELNS0_20block_sort_algorithmE0EEENS0_14default_configENS1_37merge_sort_block_sort_config_selectorIxxEENS1_38merge_sort_block_merge_config_selectorIxxEEEEvv.has_recursion, 0
	.set _ZN7rocprim17ROCPRIM_400000_NS6detail44device_merge_sort_compile_time_verifier_archINS1_11comp_targetILNS1_3genE9ELNS1_11target_archE1100ELNS1_3gpuE3ELNS1_3repE0EEES8_NS1_28merge_sort_block_sort_configILj256ELj4ELNS0_20block_sort_algorithmE0EEENS0_14default_configENS1_37merge_sort_block_sort_config_selectorIxxEENS1_38merge_sort_block_merge_config_selectorIxxEEEEvv.has_indirect_call, 0
	.section	.AMDGPU.csdata,"",@progbits
; Kernel info:
; codeLenInByte = 4
; TotalNumSgprs: 6
; NumVgprs: 0
; NumAgprs: 0
; TotalNumVgprs: 0
; ScratchSize: 0
; MemoryBound: 0
; FloatMode: 240
; IeeeMode: 1
; LDSByteSize: 0 bytes/workgroup (compile time only)
; SGPRBlocks: 0
; VGPRBlocks: 0
; NumSGPRsForWavesPerEU: 6
; NumVGPRsForWavesPerEU: 1
; AccumOffset: 4
; Occupancy: 8
; WaveLimiterHint : 0
; COMPUTE_PGM_RSRC2:SCRATCH_EN: 0
; COMPUTE_PGM_RSRC2:USER_SGPR: 0
; COMPUTE_PGM_RSRC2:TRAP_HANDLER: 0
; COMPUTE_PGM_RSRC2:TGID_X_EN: 1
; COMPUTE_PGM_RSRC2:TGID_Y_EN: 0
; COMPUTE_PGM_RSRC2:TGID_Z_EN: 0
; COMPUTE_PGM_RSRC2:TIDIG_COMP_CNT: 0
; COMPUTE_PGM_RSRC3_GFX90A:ACCUM_OFFSET: 0
; COMPUTE_PGM_RSRC3_GFX90A:TG_SPLIT: 0
	.section	.text._ZN7rocprim17ROCPRIM_400000_NS6detail44device_merge_sort_compile_time_verifier_archINS1_11comp_targetILNS1_3genE8ELNS1_11target_archE1030ELNS1_3gpuE2ELNS1_3repE0EEES8_NS1_28merge_sort_block_sort_configILj256ELj4ELNS0_20block_sort_algorithmE0EEENS0_14default_configENS1_37merge_sort_block_sort_config_selectorIxxEENS1_38merge_sort_block_merge_config_selectorIxxEEEEvv,"axG",@progbits,_ZN7rocprim17ROCPRIM_400000_NS6detail44device_merge_sort_compile_time_verifier_archINS1_11comp_targetILNS1_3genE8ELNS1_11target_archE1030ELNS1_3gpuE2ELNS1_3repE0EEES8_NS1_28merge_sort_block_sort_configILj256ELj4ELNS0_20block_sort_algorithmE0EEENS0_14default_configENS1_37merge_sort_block_sort_config_selectorIxxEENS1_38merge_sort_block_merge_config_selectorIxxEEEEvv,comdat
	.protected	_ZN7rocprim17ROCPRIM_400000_NS6detail44device_merge_sort_compile_time_verifier_archINS1_11comp_targetILNS1_3genE8ELNS1_11target_archE1030ELNS1_3gpuE2ELNS1_3repE0EEES8_NS1_28merge_sort_block_sort_configILj256ELj4ELNS0_20block_sort_algorithmE0EEENS0_14default_configENS1_37merge_sort_block_sort_config_selectorIxxEENS1_38merge_sort_block_merge_config_selectorIxxEEEEvv ; -- Begin function _ZN7rocprim17ROCPRIM_400000_NS6detail44device_merge_sort_compile_time_verifier_archINS1_11comp_targetILNS1_3genE8ELNS1_11target_archE1030ELNS1_3gpuE2ELNS1_3repE0EEES8_NS1_28merge_sort_block_sort_configILj256ELj4ELNS0_20block_sort_algorithmE0EEENS0_14default_configENS1_37merge_sort_block_sort_config_selectorIxxEENS1_38merge_sort_block_merge_config_selectorIxxEEEEvv
	.globl	_ZN7rocprim17ROCPRIM_400000_NS6detail44device_merge_sort_compile_time_verifier_archINS1_11comp_targetILNS1_3genE8ELNS1_11target_archE1030ELNS1_3gpuE2ELNS1_3repE0EEES8_NS1_28merge_sort_block_sort_configILj256ELj4ELNS0_20block_sort_algorithmE0EEENS0_14default_configENS1_37merge_sort_block_sort_config_selectorIxxEENS1_38merge_sort_block_merge_config_selectorIxxEEEEvv
	.p2align	8
	.type	_ZN7rocprim17ROCPRIM_400000_NS6detail44device_merge_sort_compile_time_verifier_archINS1_11comp_targetILNS1_3genE8ELNS1_11target_archE1030ELNS1_3gpuE2ELNS1_3repE0EEES8_NS1_28merge_sort_block_sort_configILj256ELj4ELNS0_20block_sort_algorithmE0EEENS0_14default_configENS1_37merge_sort_block_sort_config_selectorIxxEENS1_38merge_sort_block_merge_config_selectorIxxEEEEvv,@function
_ZN7rocprim17ROCPRIM_400000_NS6detail44device_merge_sort_compile_time_verifier_archINS1_11comp_targetILNS1_3genE8ELNS1_11target_archE1030ELNS1_3gpuE2ELNS1_3repE0EEES8_NS1_28merge_sort_block_sort_configILj256ELj4ELNS0_20block_sort_algorithmE0EEENS0_14default_configENS1_37merge_sort_block_sort_config_selectorIxxEENS1_38merge_sort_block_merge_config_selectorIxxEEEEvv: ; @_ZN7rocprim17ROCPRIM_400000_NS6detail44device_merge_sort_compile_time_verifier_archINS1_11comp_targetILNS1_3genE8ELNS1_11target_archE1030ELNS1_3gpuE2ELNS1_3repE0EEES8_NS1_28merge_sort_block_sort_configILj256ELj4ELNS0_20block_sort_algorithmE0EEENS0_14default_configENS1_37merge_sort_block_sort_config_selectorIxxEENS1_38merge_sort_block_merge_config_selectorIxxEEEEvv
; %bb.0:
	s_endpgm
	.section	.rodata,"a",@progbits
	.p2align	6, 0x0
	.amdhsa_kernel _ZN7rocprim17ROCPRIM_400000_NS6detail44device_merge_sort_compile_time_verifier_archINS1_11comp_targetILNS1_3genE8ELNS1_11target_archE1030ELNS1_3gpuE2ELNS1_3repE0EEES8_NS1_28merge_sort_block_sort_configILj256ELj4ELNS0_20block_sort_algorithmE0EEENS0_14default_configENS1_37merge_sort_block_sort_config_selectorIxxEENS1_38merge_sort_block_merge_config_selectorIxxEEEEvv
		.amdhsa_group_segment_fixed_size 0
		.amdhsa_private_segment_fixed_size 0
		.amdhsa_kernarg_size 0
		.amdhsa_user_sgpr_count 0
		.amdhsa_user_sgpr_dispatch_ptr 0
		.amdhsa_user_sgpr_queue_ptr 0
		.amdhsa_user_sgpr_kernarg_segment_ptr 0
		.amdhsa_user_sgpr_dispatch_id 0
		.amdhsa_user_sgpr_kernarg_preload_length 0
		.amdhsa_user_sgpr_kernarg_preload_offset 0
		.amdhsa_user_sgpr_private_segment_size 0
		.amdhsa_uses_dynamic_stack 0
		.amdhsa_enable_private_segment 0
		.amdhsa_system_sgpr_workgroup_id_x 1
		.amdhsa_system_sgpr_workgroup_id_y 0
		.amdhsa_system_sgpr_workgroup_id_z 0
		.amdhsa_system_sgpr_workgroup_info 0
		.amdhsa_system_vgpr_workitem_id 0
		.amdhsa_next_free_vgpr 1
		.amdhsa_next_free_sgpr 0
		.amdhsa_accum_offset 4
		.amdhsa_reserve_vcc 0
		.amdhsa_float_round_mode_32 0
		.amdhsa_float_round_mode_16_64 0
		.amdhsa_float_denorm_mode_32 3
		.amdhsa_float_denorm_mode_16_64 3
		.amdhsa_dx10_clamp 1
		.amdhsa_ieee_mode 1
		.amdhsa_fp16_overflow 0
		.amdhsa_tg_split 0
		.amdhsa_exception_fp_ieee_invalid_op 0
		.amdhsa_exception_fp_denorm_src 0
		.amdhsa_exception_fp_ieee_div_zero 0
		.amdhsa_exception_fp_ieee_overflow 0
		.amdhsa_exception_fp_ieee_underflow 0
		.amdhsa_exception_fp_ieee_inexact 0
		.amdhsa_exception_int_div_zero 0
	.end_amdhsa_kernel
	.section	.text._ZN7rocprim17ROCPRIM_400000_NS6detail44device_merge_sort_compile_time_verifier_archINS1_11comp_targetILNS1_3genE8ELNS1_11target_archE1030ELNS1_3gpuE2ELNS1_3repE0EEES8_NS1_28merge_sort_block_sort_configILj256ELj4ELNS0_20block_sort_algorithmE0EEENS0_14default_configENS1_37merge_sort_block_sort_config_selectorIxxEENS1_38merge_sort_block_merge_config_selectorIxxEEEEvv,"axG",@progbits,_ZN7rocprim17ROCPRIM_400000_NS6detail44device_merge_sort_compile_time_verifier_archINS1_11comp_targetILNS1_3genE8ELNS1_11target_archE1030ELNS1_3gpuE2ELNS1_3repE0EEES8_NS1_28merge_sort_block_sort_configILj256ELj4ELNS0_20block_sort_algorithmE0EEENS0_14default_configENS1_37merge_sort_block_sort_config_selectorIxxEENS1_38merge_sort_block_merge_config_selectorIxxEEEEvv,comdat
.Lfunc_end1064:
	.size	_ZN7rocprim17ROCPRIM_400000_NS6detail44device_merge_sort_compile_time_verifier_archINS1_11comp_targetILNS1_3genE8ELNS1_11target_archE1030ELNS1_3gpuE2ELNS1_3repE0EEES8_NS1_28merge_sort_block_sort_configILj256ELj4ELNS0_20block_sort_algorithmE0EEENS0_14default_configENS1_37merge_sort_block_sort_config_selectorIxxEENS1_38merge_sort_block_merge_config_selectorIxxEEEEvv, .Lfunc_end1064-_ZN7rocprim17ROCPRIM_400000_NS6detail44device_merge_sort_compile_time_verifier_archINS1_11comp_targetILNS1_3genE8ELNS1_11target_archE1030ELNS1_3gpuE2ELNS1_3repE0EEES8_NS1_28merge_sort_block_sort_configILj256ELj4ELNS0_20block_sort_algorithmE0EEENS0_14default_configENS1_37merge_sort_block_sort_config_selectorIxxEENS1_38merge_sort_block_merge_config_selectorIxxEEEEvv
                                        ; -- End function
	.set _ZN7rocprim17ROCPRIM_400000_NS6detail44device_merge_sort_compile_time_verifier_archINS1_11comp_targetILNS1_3genE8ELNS1_11target_archE1030ELNS1_3gpuE2ELNS1_3repE0EEES8_NS1_28merge_sort_block_sort_configILj256ELj4ELNS0_20block_sort_algorithmE0EEENS0_14default_configENS1_37merge_sort_block_sort_config_selectorIxxEENS1_38merge_sort_block_merge_config_selectorIxxEEEEvv.num_vgpr, 0
	.set _ZN7rocprim17ROCPRIM_400000_NS6detail44device_merge_sort_compile_time_verifier_archINS1_11comp_targetILNS1_3genE8ELNS1_11target_archE1030ELNS1_3gpuE2ELNS1_3repE0EEES8_NS1_28merge_sort_block_sort_configILj256ELj4ELNS0_20block_sort_algorithmE0EEENS0_14default_configENS1_37merge_sort_block_sort_config_selectorIxxEENS1_38merge_sort_block_merge_config_selectorIxxEEEEvv.num_agpr, 0
	.set _ZN7rocprim17ROCPRIM_400000_NS6detail44device_merge_sort_compile_time_verifier_archINS1_11comp_targetILNS1_3genE8ELNS1_11target_archE1030ELNS1_3gpuE2ELNS1_3repE0EEES8_NS1_28merge_sort_block_sort_configILj256ELj4ELNS0_20block_sort_algorithmE0EEENS0_14default_configENS1_37merge_sort_block_sort_config_selectorIxxEENS1_38merge_sort_block_merge_config_selectorIxxEEEEvv.numbered_sgpr, 0
	.set _ZN7rocprim17ROCPRIM_400000_NS6detail44device_merge_sort_compile_time_verifier_archINS1_11comp_targetILNS1_3genE8ELNS1_11target_archE1030ELNS1_3gpuE2ELNS1_3repE0EEES8_NS1_28merge_sort_block_sort_configILj256ELj4ELNS0_20block_sort_algorithmE0EEENS0_14default_configENS1_37merge_sort_block_sort_config_selectorIxxEENS1_38merge_sort_block_merge_config_selectorIxxEEEEvv.num_named_barrier, 0
	.set _ZN7rocprim17ROCPRIM_400000_NS6detail44device_merge_sort_compile_time_verifier_archINS1_11comp_targetILNS1_3genE8ELNS1_11target_archE1030ELNS1_3gpuE2ELNS1_3repE0EEES8_NS1_28merge_sort_block_sort_configILj256ELj4ELNS0_20block_sort_algorithmE0EEENS0_14default_configENS1_37merge_sort_block_sort_config_selectorIxxEENS1_38merge_sort_block_merge_config_selectorIxxEEEEvv.private_seg_size, 0
	.set _ZN7rocprim17ROCPRIM_400000_NS6detail44device_merge_sort_compile_time_verifier_archINS1_11comp_targetILNS1_3genE8ELNS1_11target_archE1030ELNS1_3gpuE2ELNS1_3repE0EEES8_NS1_28merge_sort_block_sort_configILj256ELj4ELNS0_20block_sort_algorithmE0EEENS0_14default_configENS1_37merge_sort_block_sort_config_selectorIxxEENS1_38merge_sort_block_merge_config_selectorIxxEEEEvv.uses_vcc, 0
	.set _ZN7rocprim17ROCPRIM_400000_NS6detail44device_merge_sort_compile_time_verifier_archINS1_11comp_targetILNS1_3genE8ELNS1_11target_archE1030ELNS1_3gpuE2ELNS1_3repE0EEES8_NS1_28merge_sort_block_sort_configILj256ELj4ELNS0_20block_sort_algorithmE0EEENS0_14default_configENS1_37merge_sort_block_sort_config_selectorIxxEENS1_38merge_sort_block_merge_config_selectorIxxEEEEvv.uses_flat_scratch, 0
	.set _ZN7rocprim17ROCPRIM_400000_NS6detail44device_merge_sort_compile_time_verifier_archINS1_11comp_targetILNS1_3genE8ELNS1_11target_archE1030ELNS1_3gpuE2ELNS1_3repE0EEES8_NS1_28merge_sort_block_sort_configILj256ELj4ELNS0_20block_sort_algorithmE0EEENS0_14default_configENS1_37merge_sort_block_sort_config_selectorIxxEENS1_38merge_sort_block_merge_config_selectorIxxEEEEvv.has_dyn_sized_stack, 0
	.set _ZN7rocprim17ROCPRIM_400000_NS6detail44device_merge_sort_compile_time_verifier_archINS1_11comp_targetILNS1_3genE8ELNS1_11target_archE1030ELNS1_3gpuE2ELNS1_3repE0EEES8_NS1_28merge_sort_block_sort_configILj256ELj4ELNS0_20block_sort_algorithmE0EEENS0_14default_configENS1_37merge_sort_block_sort_config_selectorIxxEENS1_38merge_sort_block_merge_config_selectorIxxEEEEvv.has_recursion, 0
	.set _ZN7rocprim17ROCPRIM_400000_NS6detail44device_merge_sort_compile_time_verifier_archINS1_11comp_targetILNS1_3genE8ELNS1_11target_archE1030ELNS1_3gpuE2ELNS1_3repE0EEES8_NS1_28merge_sort_block_sort_configILj256ELj4ELNS0_20block_sort_algorithmE0EEENS0_14default_configENS1_37merge_sort_block_sort_config_selectorIxxEENS1_38merge_sort_block_merge_config_selectorIxxEEEEvv.has_indirect_call, 0
	.section	.AMDGPU.csdata,"",@progbits
; Kernel info:
; codeLenInByte = 4
; TotalNumSgprs: 6
; NumVgprs: 0
; NumAgprs: 0
; TotalNumVgprs: 0
; ScratchSize: 0
; MemoryBound: 0
; FloatMode: 240
; IeeeMode: 1
; LDSByteSize: 0 bytes/workgroup (compile time only)
; SGPRBlocks: 0
; VGPRBlocks: 0
; NumSGPRsForWavesPerEU: 6
; NumVGPRsForWavesPerEU: 1
; AccumOffset: 4
; Occupancy: 8
; WaveLimiterHint : 0
; COMPUTE_PGM_RSRC2:SCRATCH_EN: 0
; COMPUTE_PGM_RSRC2:USER_SGPR: 0
; COMPUTE_PGM_RSRC2:TRAP_HANDLER: 0
; COMPUTE_PGM_RSRC2:TGID_X_EN: 1
; COMPUTE_PGM_RSRC2:TGID_Y_EN: 0
; COMPUTE_PGM_RSRC2:TGID_Z_EN: 0
; COMPUTE_PGM_RSRC2:TIDIG_COMP_CNT: 0
; COMPUTE_PGM_RSRC3_GFX90A:ACCUM_OFFSET: 0
; COMPUTE_PGM_RSRC3_GFX90A:TG_SPLIT: 0
	.section	.text._ZN7rocprim17ROCPRIM_400000_NS6detail17trampoline_kernelINS0_14default_configENS1_38merge_sort_block_merge_config_selectorIxxEEZZNS1_27merge_sort_block_merge_implIS3_N6thrust23THRUST_200600_302600_NS6detail15normal_iteratorINS8_10device_ptrIxEEEESD_jNS1_19radix_merge_compareILb0ELb0ExNS0_19identity_decomposerEEEEE10hipError_tT0_T1_T2_jT3_P12ihipStream_tbPNSt15iterator_traitsISI_E10value_typeEPNSO_ISJ_E10value_typeEPSK_NS1_7vsmem_tEENKUlT_SI_SJ_SK_E_clIPxSD_S10_SD_EESH_SX_SI_SJ_SK_EUlSX_E_NS1_11comp_targetILNS1_3genE0ELNS1_11target_archE4294967295ELNS1_3gpuE0ELNS1_3repE0EEENS1_48merge_mergepath_partition_config_static_selectorELNS0_4arch9wavefront6targetE1EEEvSJ_,"axG",@progbits,_ZN7rocprim17ROCPRIM_400000_NS6detail17trampoline_kernelINS0_14default_configENS1_38merge_sort_block_merge_config_selectorIxxEEZZNS1_27merge_sort_block_merge_implIS3_N6thrust23THRUST_200600_302600_NS6detail15normal_iteratorINS8_10device_ptrIxEEEESD_jNS1_19radix_merge_compareILb0ELb0ExNS0_19identity_decomposerEEEEE10hipError_tT0_T1_T2_jT3_P12ihipStream_tbPNSt15iterator_traitsISI_E10value_typeEPNSO_ISJ_E10value_typeEPSK_NS1_7vsmem_tEENKUlT_SI_SJ_SK_E_clIPxSD_S10_SD_EESH_SX_SI_SJ_SK_EUlSX_E_NS1_11comp_targetILNS1_3genE0ELNS1_11target_archE4294967295ELNS1_3gpuE0ELNS1_3repE0EEENS1_48merge_mergepath_partition_config_static_selectorELNS0_4arch9wavefront6targetE1EEEvSJ_,comdat
	.protected	_ZN7rocprim17ROCPRIM_400000_NS6detail17trampoline_kernelINS0_14default_configENS1_38merge_sort_block_merge_config_selectorIxxEEZZNS1_27merge_sort_block_merge_implIS3_N6thrust23THRUST_200600_302600_NS6detail15normal_iteratorINS8_10device_ptrIxEEEESD_jNS1_19radix_merge_compareILb0ELb0ExNS0_19identity_decomposerEEEEE10hipError_tT0_T1_T2_jT3_P12ihipStream_tbPNSt15iterator_traitsISI_E10value_typeEPNSO_ISJ_E10value_typeEPSK_NS1_7vsmem_tEENKUlT_SI_SJ_SK_E_clIPxSD_S10_SD_EESH_SX_SI_SJ_SK_EUlSX_E_NS1_11comp_targetILNS1_3genE0ELNS1_11target_archE4294967295ELNS1_3gpuE0ELNS1_3repE0EEENS1_48merge_mergepath_partition_config_static_selectorELNS0_4arch9wavefront6targetE1EEEvSJ_ ; -- Begin function _ZN7rocprim17ROCPRIM_400000_NS6detail17trampoline_kernelINS0_14default_configENS1_38merge_sort_block_merge_config_selectorIxxEEZZNS1_27merge_sort_block_merge_implIS3_N6thrust23THRUST_200600_302600_NS6detail15normal_iteratorINS8_10device_ptrIxEEEESD_jNS1_19radix_merge_compareILb0ELb0ExNS0_19identity_decomposerEEEEE10hipError_tT0_T1_T2_jT3_P12ihipStream_tbPNSt15iterator_traitsISI_E10value_typeEPNSO_ISJ_E10value_typeEPSK_NS1_7vsmem_tEENKUlT_SI_SJ_SK_E_clIPxSD_S10_SD_EESH_SX_SI_SJ_SK_EUlSX_E_NS1_11comp_targetILNS1_3genE0ELNS1_11target_archE4294967295ELNS1_3gpuE0ELNS1_3repE0EEENS1_48merge_mergepath_partition_config_static_selectorELNS0_4arch9wavefront6targetE1EEEvSJ_
	.globl	_ZN7rocprim17ROCPRIM_400000_NS6detail17trampoline_kernelINS0_14default_configENS1_38merge_sort_block_merge_config_selectorIxxEEZZNS1_27merge_sort_block_merge_implIS3_N6thrust23THRUST_200600_302600_NS6detail15normal_iteratorINS8_10device_ptrIxEEEESD_jNS1_19radix_merge_compareILb0ELb0ExNS0_19identity_decomposerEEEEE10hipError_tT0_T1_T2_jT3_P12ihipStream_tbPNSt15iterator_traitsISI_E10value_typeEPNSO_ISJ_E10value_typeEPSK_NS1_7vsmem_tEENKUlT_SI_SJ_SK_E_clIPxSD_S10_SD_EESH_SX_SI_SJ_SK_EUlSX_E_NS1_11comp_targetILNS1_3genE0ELNS1_11target_archE4294967295ELNS1_3gpuE0ELNS1_3repE0EEENS1_48merge_mergepath_partition_config_static_selectorELNS0_4arch9wavefront6targetE1EEEvSJ_
	.p2align	8
	.type	_ZN7rocprim17ROCPRIM_400000_NS6detail17trampoline_kernelINS0_14default_configENS1_38merge_sort_block_merge_config_selectorIxxEEZZNS1_27merge_sort_block_merge_implIS3_N6thrust23THRUST_200600_302600_NS6detail15normal_iteratorINS8_10device_ptrIxEEEESD_jNS1_19radix_merge_compareILb0ELb0ExNS0_19identity_decomposerEEEEE10hipError_tT0_T1_T2_jT3_P12ihipStream_tbPNSt15iterator_traitsISI_E10value_typeEPNSO_ISJ_E10value_typeEPSK_NS1_7vsmem_tEENKUlT_SI_SJ_SK_E_clIPxSD_S10_SD_EESH_SX_SI_SJ_SK_EUlSX_E_NS1_11comp_targetILNS1_3genE0ELNS1_11target_archE4294967295ELNS1_3gpuE0ELNS1_3repE0EEENS1_48merge_mergepath_partition_config_static_selectorELNS0_4arch9wavefront6targetE1EEEvSJ_,@function
_ZN7rocprim17ROCPRIM_400000_NS6detail17trampoline_kernelINS0_14default_configENS1_38merge_sort_block_merge_config_selectorIxxEEZZNS1_27merge_sort_block_merge_implIS3_N6thrust23THRUST_200600_302600_NS6detail15normal_iteratorINS8_10device_ptrIxEEEESD_jNS1_19radix_merge_compareILb0ELb0ExNS0_19identity_decomposerEEEEE10hipError_tT0_T1_T2_jT3_P12ihipStream_tbPNSt15iterator_traitsISI_E10value_typeEPNSO_ISJ_E10value_typeEPSK_NS1_7vsmem_tEENKUlT_SI_SJ_SK_E_clIPxSD_S10_SD_EESH_SX_SI_SJ_SK_EUlSX_E_NS1_11comp_targetILNS1_3genE0ELNS1_11target_archE4294967295ELNS1_3gpuE0ELNS1_3repE0EEENS1_48merge_mergepath_partition_config_static_selectorELNS0_4arch9wavefront6targetE1EEEvSJ_: ; @_ZN7rocprim17ROCPRIM_400000_NS6detail17trampoline_kernelINS0_14default_configENS1_38merge_sort_block_merge_config_selectorIxxEEZZNS1_27merge_sort_block_merge_implIS3_N6thrust23THRUST_200600_302600_NS6detail15normal_iteratorINS8_10device_ptrIxEEEESD_jNS1_19radix_merge_compareILb0ELb0ExNS0_19identity_decomposerEEEEE10hipError_tT0_T1_T2_jT3_P12ihipStream_tbPNSt15iterator_traitsISI_E10value_typeEPNSO_ISJ_E10value_typeEPSK_NS1_7vsmem_tEENKUlT_SI_SJ_SK_E_clIPxSD_S10_SD_EESH_SX_SI_SJ_SK_EUlSX_E_NS1_11comp_targetILNS1_3genE0ELNS1_11target_archE4294967295ELNS1_3gpuE0ELNS1_3repE0EEENS1_48merge_mergepath_partition_config_static_selectorELNS0_4arch9wavefront6targetE1EEEvSJ_
; %bb.0:
	s_load_dword s3, s[0:1], 0x0
	v_lshl_or_b32 v0, s2, 7, v0
	s_waitcnt lgkmcnt(0)
	v_cmp_gt_u32_e32 vcc, s3, v0
	s_and_saveexec_b64 s[2:3], vcc
	s_cbranch_execz .LBB1065_6
; %bb.1:
	s_load_dwordx2 s[4:5], s[0:1], 0x4
	s_load_dwordx2 s[2:3], s[0:1], 0x20
	s_waitcnt lgkmcnt(0)
	s_lshr_b32 s6, s4, 9
	s_and_b32 s6, s6, 0x7ffffe
	s_add_i32 s7, s6, -1
	s_sub_i32 s6, 0, s6
	v_and_b32_e32 v1, s6, v0
	v_lshlrev_b32_e32 v1, 10, v1
	v_min_u32_e32 v2, s5, v1
	v_add_u32_e32 v1, s4, v1
	v_min_u32_e32 v4, s5, v1
	v_add_u32_e32 v1, s4, v4
	v_and_b32_e32 v3, s7, v0
	v_min_u32_e32 v1, s5, v1
	v_sub_u32_e32 v5, v1, v2
	v_lshlrev_b32_e32 v3, 10, v3
	v_min_u32_e32 v10, v5, v3
	v_sub_u32_e32 v3, v4, v2
	v_sub_u32_e32 v1, v1, v4
	v_sub_u32_e64 v1, v10, v1 clamp
	v_min_u32_e32 v11, v10, v3
	v_cmp_lt_u32_e32 vcc, v1, v11
	s_and_saveexec_b64 s[4:5], vcc
	s_cbranch_execz .LBB1065_5
; %bb.2:
	s_load_dwordx2 s[0:1], s[0:1], 0x10
	v_mov_b32_e32 v5, 0
	v_mov_b32_e32 v3, v5
	s_waitcnt lgkmcnt(0)
	v_lshl_add_u64 v[6:7], v[2:3], 3, s[0:1]
	v_lshl_add_u64 v[8:9], v[4:5], 3, s[0:1]
	s_mov_b64 s[0:1], 0
.LBB1065_3:                             ; =>This Inner Loop Header: Depth=1
	v_add_u32_e32 v3, v11, v1
	v_lshrrev_b32_e32 v4, 1, v3
	v_mov_b32_e32 v13, v5
	v_xad_u32 v12, v4, -1, v10
	v_lshl_add_u64 v[14:15], v[4:5], 3, v[6:7]
	v_lshl_add_u64 v[12:13], v[12:13], 3, v[8:9]
	global_load_dwordx2 v[16:17], v[14:15], off
	global_load_dwordx2 v[18:19], v[12:13], off
	v_add_u32_e32 v3, 1, v4
	s_waitcnt vmcnt(0)
	v_cmp_gt_i64_e32 vcc, v[16:17], v[18:19]
	s_nop 1
	v_cndmask_b32_e32 v11, v11, v4, vcc
	v_cndmask_b32_e32 v1, v3, v1, vcc
	v_cmp_ge_u32_e32 vcc, v1, v11
	s_or_b64 s[0:1], vcc, s[0:1]
	s_andn2_b64 exec, exec, s[0:1]
	s_cbranch_execnz .LBB1065_3
; %bb.4:
	s_or_b64 exec, exec, s[0:1]
.LBB1065_5:
	s_or_b64 exec, exec, s[4:5]
	v_add_u32_e32 v2, v1, v2
	v_mov_b32_e32 v1, 0
	v_lshl_add_u64 v[0:1], v[0:1], 2, s[2:3]
	global_store_dword v[0:1], v2, off
.LBB1065_6:
	s_endpgm
	.section	.rodata,"a",@progbits
	.p2align	6, 0x0
	.amdhsa_kernel _ZN7rocprim17ROCPRIM_400000_NS6detail17trampoline_kernelINS0_14default_configENS1_38merge_sort_block_merge_config_selectorIxxEEZZNS1_27merge_sort_block_merge_implIS3_N6thrust23THRUST_200600_302600_NS6detail15normal_iteratorINS8_10device_ptrIxEEEESD_jNS1_19radix_merge_compareILb0ELb0ExNS0_19identity_decomposerEEEEE10hipError_tT0_T1_T2_jT3_P12ihipStream_tbPNSt15iterator_traitsISI_E10value_typeEPNSO_ISJ_E10value_typeEPSK_NS1_7vsmem_tEENKUlT_SI_SJ_SK_E_clIPxSD_S10_SD_EESH_SX_SI_SJ_SK_EUlSX_E_NS1_11comp_targetILNS1_3genE0ELNS1_11target_archE4294967295ELNS1_3gpuE0ELNS1_3repE0EEENS1_48merge_mergepath_partition_config_static_selectorELNS0_4arch9wavefront6targetE1EEEvSJ_
		.amdhsa_group_segment_fixed_size 0
		.amdhsa_private_segment_fixed_size 0
		.amdhsa_kernarg_size 40
		.amdhsa_user_sgpr_count 2
		.amdhsa_user_sgpr_dispatch_ptr 0
		.amdhsa_user_sgpr_queue_ptr 0
		.amdhsa_user_sgpr_kernarg_segment_ptr 1
		.amdhsa_user_sgpr_dispatch_id 0
		.amdhsa_user_sgpr_kernarg_preload_length 0
		.amdhsa_user_sgpr_kernarg_preload_offset 0
		.amdhsa_user_sgpr_private_segment_size 0
		.amdhsa_uses_dynamic_stack 0
		.amdhsa_enable_private_segment 0
		.amdhsa_system_sgpr_workgroup_id_x 1
		.amdhsa_system_sgpr_workgroup_id_y 0
		.amdhsa_system_sgpr_workgroup_id_z 0
		.amdhsa_system_sgpr_workgroup_info 0
		.amdhsa_system_vgpr_workitem_id 0
		.amdhsa_next_free_vgpr 20
		.amdhsa_next_free_sgpr 8
		.amdhsa_accum_offset 20
		.amdhsa_reserve_vcc 1
		.amdhsa_float_round_mode_32 0
		.amdhsa_float_round_mode_16_64 0
		.amdhsa_float_denorm_mode_32 3
		.amdhsa_float_denorm_mode_16_64 3
		.amdhsa_dx10_clamp 1
		.amdhsa_ieee_mode 1
		.amdhsa_fp16_overflow 0
		.amdhsa_tg_split 0
		.amdhsa_exception_fp_ieee_invalid_op 0
		.amdhsa_exception_fp_denorm_src 0
		.amdhsa_exception_fp_ieee_div_zero 0
		.amdhsa_exception_fp_ieee_overflow 0
		.amdhsa_exception_fp_ieee_underflow 0
		.amdhsa_exception_fp_ieee_inexact 0
		.amdhsa_exception_int_div_zero 0
	.end_amdhsa_kernel
	.section	.text._ZN7rocprim17ROCPRIM_400000_NS6detail17trampoline_kernelINS0_14default_configENS1_38merge_sort_block_merge_config_selectorIxxEEZZNS1_27merge_sort_block_merge_implIS3_N6thrust23THRUST_200600_302600_NS6detail15normal_iteratorINS8_10device_ptrIxEEEESD_jNS1_19radix_merge_compareILb0ELb0ExNS0_19identity_decomposerEEEEE10hipError_tT0_T1_T2_jT3_P12ihipStream_tbPNSt15iterator_traitsISI_E10value_typeEPNSO_ISJ_E10value_typeEPSK_NS1_7vsmem_tEENKUlT_SI_SJ_SK_E_clIPxSD_S10_SD_EESH_SX_SI_SJ_SK_EUlSX_E_NS1_11comp_targetILNS1_3genE0ELNS1_11target_archE4294967295ELNS1_3gpuE0ELNS1_3repE0EEENS1_48merge_mergepath_partition_config_static_selectorELNS0_4arch9wavefront6targetE1EEEvSJ_,"axG",@progbits,_ZN7rocprim17ROCPRIM_400000_NS6detail17trampoline_kernelINS0_14default_configENS1_38merge_sort_block_merge_config_selectorIxxEEZZNS1_27merge_sort_block_merge_implIS3_N6thrust23THRUST_200600_302600_NS6detail15normal_iteratorINS8_10device_ptrIxEEEESD_jNS1_19radix_merge_compareILb0ELb0ExNS0_19identity_decomposerEEEEE10hipError_tT0_T1_T2_jT3_P12ihipStream_tbPNSt15iterator_traitsISI_E10value_typeEPNSO_ISJ_E10value_typeEPSK_NS1_7vsmem_tEENKUlT_SI_SJ_SK_E_clIPxSD_S10_SD_EESH_SX_SI_SJ_SK_EUlSX_E_NS1_11comp_targetILNS1_3genE0ELNS1_11target_archE4294967295ELNS1_3gpuE0ELNS1_3repE0EEENS1_48merge_mergepath_partition_config_static_selectorELNS0_4arch9wavefront6targetE1EEEvSJ_,comdat
.Lfunc_end1065:
	.size	_ZN7rocprim17ROCPRIM_400000_NS6detail17trampoline_kernelINS0_14default_configENS1_38merge_sort_block_merge_config_selectorIxxEEZZNS1_27merge_sort_block_merge_implIS3_N6thrust23THRUST_200600_302600_NS6detail15normal_iteratorINS8_10device_ptrIxEEEESD_jNS1_19radix_merge_compareILb0ELb0ExNS0_19identity_decomposerEEEEE10hipError_tT0_T1_T2_jT3_P12ihipStream_tbPNSt15iterator_traitsISI_E10value_typeEPNSO_ISJ_E10value_typeEPSK_NS1_7vsmem_tEENKUlT_SI_SJ_SK_E_clIPxSD_S10_SD_EESH_SX_SI_SJ_SK_EUlSX_E_NS1_11comp_targetILNS1_3genE0ELNS1_11target_archE4294967295ELNS1_3gpuE0ELNS1_3repE0EEENS1_48merge_mergepath_partition_config_static_selectorELNS0_4arch9wavefront6targetE1EEEvSJ_, .Lfunc_end1065-_ZN7rocprim17ROCPRIM_400000_NS6detail17trampoline_kernelINS0_14default_configENS1_38merge_sort_block_merge_config_selectorIxxEEZZNS1_27merge_sort_block_merge_implIS3_N6thrust23THRUST_200600_302600_NS6detail15normal_iteratorINS8_10device_ptrIxEEEESD_jNS1_19radix_merge_compareILb0ELb0ExNS0_19identity_decomposerEEEEE10hipError_tT0_T1_T2_jT3_P12ihipStream_tbPNSt15iterator_traitsISI_E10value_typeEPNSO_ISJ_E10value_typeEPSK_NS1_7vsmem_tEENKUlT_SI_SJ_SK_E_clIPxSD_S10_SD_EESH_SX_SI_SJ_SK_EUlSX_E_NS1_11comp_targetILNS1_3genE0ELNS1_11target_archE4294967295ELNS1_3gpuE0ELNS1_3repE0EEENS1_48merge_mergepath_partition_config_static_selectorELNS0_4arch9wavefront6targetE1EEEvSJ_
                                        ; -- End function
	.set _ZN7rocprim17ROCPRIM_400000_NS6detail17trampoline_kernelINS0_14default_configENS1_38merge_sort_block_merge_config_selectorIxxEEZZNS1_27merge_sort_block_merge_implIS3_N6thrust23THRUST_200600_302600_NS6detail15normal_iteratorINS8_10device_ptrIxEEEESD_jNS1_19radix_merge_compareILb0ELb0ExNS0_19identity_decomposerEEEEE10hipError_tT0_T1_T2_jT3_P12ihipStream_tbPNSt15iterator_traitsISI_E10value_typeEPNSO_ISJ_E10value_typeEPSK_NS1_7vsmem_tEENKUlT_SI_SJ_SK_E_clIPxSD_S10_SD_EESH_SX_SI_SJ_SK_EUlSX_E_NS1_11comp_targetILNS1_3genE0ELNS1_11target_archE4294967295ELNS1_3gpuE0ELNS1_3repE0EEENS1_48merge_mergepath_partition_config_static_selectorELNS0_4arch9wavefront6targetE1EEEvSJ_.num_vgpr, 20
	.set _ZN7rocprim17ROCPRIM_400000_NS6detail17trampoline_kernelINS0_14default_configENS1_38merge_sort_block_merge_config_selectorIxxEEZZNS1_27merge_sort_block_merge_implIS3_N6thrust23THRUST_200600_302600_NS6detail15normal_iteratorINS8_10device_ptrIxEEEESD_jNS1_19radix_merge_compareILb0ELb0ExNS0_19identity_decomposerEEEEE10hipError_tT0_T1_T2_jT3_P12ihipStream_tbPNSt15iterator_traitsISI_E10value_typeEPNSO_ISJ_E10value_typeEPSK_NS1_7vsmem_tEENKUlT_SI_SJ_SK_E_clIPxSD_S10_SD_EESH_SX_SI_SJ_SK_EUlSX_E_NS1_11comp_targetILNS1_3genE0ELNS1_11target_archE4294967295ELNS1_3gpuE0ELNS1_3repE0EEENS1_48merge_mergepath_partition_config_static_selectorELNS0_4arch9wavefront6targetE1EEEvSJ_.num_agpr, 0
	.set _ZN7rocprim17ROCPRIM_400000_NS6detail17trampoline_kernelINS0_14default_configENS1_38merge_sort_block_merge_config_selectorIxxEEZZNS1_27merge_sort_block_merge_implIS3_N6thrust23THRUST_200600_302600_NS6detail15normal_iteratorINS8_10device_ptrIxEEEESD_jNS1_19radix_merge_compareILb0ELb0ExNS0_19identity_decomposerEEEEE10hipError_tT0_T1_T2_jT3_P12ihipStream_tbPNSt15iterator_traitsISI_E10value_typeEPNSO_ISJ_E10value_typeEPSK_NS1_7vsmem_tEENKUlT_SI_SJ_SK_E_clIPxSD_S10_SD_EESH_SX_SI_SJ_SK_EUlSX_E_NS1_11comp_targetILNS1_3genE0ELNS1_11target_archE4294967295ELNS1_3gpuE0ELNS1_3repE0EEENS1_48merge_mergepath_partition_config_static_selectorELNS0_4arch9wavefront6targetE1EEEvSJ_.numbered_sgpr, 8
	.set _ZN7rocprim17ROCPRIM_400000_NS6detail17trampoline_kernelINS0_14default_configENS1_38merge_sort_block_merge_config_selectorIxxEEZZNS1_27merge_sort_block_merge_implIS3_N6thrust23THRUST_200600_302600_NS6detail15normal_iteratorINS8_10device_ptrIxEEEESD_jNS1_19radix_merge_compareILb0ELb0ExNS0_19identity_decomposerEEEEE10hipError_tT0_T1_T2_jT3_P12ihipStream_tbPNSt15iterator_traitsISI_E10value_typeEPNSO_ISJ_E10value_typeEPSK_NS1_7vsmem_tEENKUlT_SI_SJ_SK_E_clIPxSD_S10_SD_EESH_SX_SI_SJ_SK_EUlSX_E_NS1_11comp_targetILNS1_3genE0ELNS1_11target_archE4294967295ELNS1_3gpuE0ELNS1_3repE0EEENS1_48merge_mergepath_partition_config_static_selectorELNS0_4arch9wavefront6targetE1EEEvSJ_.num_named_barrier, 0
	.set _ZN7rocprim17ROCPRIM_400000_NS6detail17trampoline_kernelINS0_14default_configENS1_38merge_sort_block_merge_config_selectorIxxEEZZNS1_27merge_sort_block_merge_implIS3_N6thrust23THRUST_200600_302600_NS6detail15normal_iteratorINS8_10device_ptrIxEEEESD_jNS1_19radix_merge_compareILb0ELb0ExNS0_19identity_decomposerEEEEE10hipError_tT0_T1_T2_jT3_P12ihipStream_tbPNSt15iterator_traitsISI_E10value_typeEPNSO_ISJ_E10value_typeEPSK_NS1_7vsmem_tEENKUlT_SI_SJ_SK_E_clIPxSD_S10_SD_EESH_SX_SI_SJ_SK_EUlSX_E_NS1_11comp_targetILNS1_3genE0ELNS1_11target_archE4294967295ELNS1_3gpuE0ELNS1_3repE0EEENS1_48merge_mergepath_partition_config_static_selectorELNS0_4arch9wavefront6targetE1EEEvSJ_.private_seg_size, 0
	.set _ZN7rocprim17ROCPRIM_400000_NS6detail17trampoline_kernelINS0_14default_configENS1_38merge_sort_block_merge_config_selectorIxxEEZZNS1_27merge_sort_block_merge_implIS3_N6thrust23THRUST_200600_302600_NS6detail15normal_iteratorINS8_10device_ptrIxEEEESD_jNS1_19radix_merge_compareILb0ELb0ExNS0_19identity_decomposerEEEEE10hipError_tT0_T1_T2_jT3_P12ihipStream_tbPNSt15iterator_traitsISI_E10value_typeEPNSO_ISJ_E10value_typeEPSK_NS1_7vsmem_tEENKUlT_SI_SJ_SK_E_clIPxSD_S10_SD_EESH_SX_SI_SJ_SK_EUlSX_E_NS1_11comp_targetILNS1_3genE0ELNS1_11target_archE4294967295ELNS1_3gpuE0ELNS1_3repE0EEENS1_48merge_mergepath_partition_config_static_selectorELNS0_4arch9wavefront6targetE1EEEvSJ_.uses_vcc, 1
	.set _ZN7rocprim17ROCPRIM_400000_NS6detail17trampoline_kernelINS0_14default_configENS1_38merge_sort_block_merge_config_selectorIxxEEZZNS1_27merge_sort_block_merge_implIS3_N6thrust23THRUST_200600_302600_NS6detail15normal_iteratorINS8_10device_ptrIxEEEESD_jNS1_19radix_merge_compareILb0ELb0ExNS0_19identity_decomposerEEEEE10hipError_tT0_T1_T2_jT3_P12ihipStream_tbPNSt15iterator_traitsISI_E10value_typeEPNSO_ISJ_E10value_typeEPSK_NS1_7vsmem_tEENKUlT_SI_SJ_SK_E_clIPxSD_S10_SD_EESH_SX_SI_SJ_SK_EUlSX_E_NS1_11comp_targetILNS1_3genE0ELNS1_11target_archE4294967295ELNS1_3gpuE0ELNS1_3repE0EEENS1_48merge_mergepath_partition_config_static_selectorELNS0_4arch9wavefront6targetE1EEEvSJ_.uses_flat_scratch, 0
	.set _ZN7rocprim17ROCPRIM_400000_NS6detail17trampoline_kernelINS0_14default_configENS1_38merge_sort_block_merge_config_selectorIxxEEZZNS1_27merge_sort_block_merge_implIS3_N6thrust23THRUST_200600_302600_NS6detail15normal_iteratorINS8_10device_ptrIxEEEESD_jNS1_19radix_merge_compareILb0ELb0ExNS0_19identity_decomposerEEEEE10hipError_tT0_T1_T2_jT3_P12ihipStream_tbPNSt15iterator_traitsISI_E10value_typeEPNSO_ISJ_E10value_typeEPSK_NS1_7vsmem_tEENKUlT_SI_SJ_SK_E_clIPxSD_S10_SD_EESH_SX_SI_SJ_SK_EUlSX_E_NS1_11comp_targetILNS1_3genE0ELNS1_11target_archE4294967295ELNS1_3gpuE0ELNS1_3repE0EEENS1_48merge_mergepath_partition_config_static_selectorELNS0_4arch9wavefront6targetE1EEEvSJ_.has_dyn_sized_stack, 0
	.set _ZN7rocprim17ROCPRIM_400000_NS6detail17trampoline_kernelINS0_14default_configENS1_38merge_sort_block_merge_config_selectorIxxEEZZNS1_27merge_sort_block_merge_implIS3_N6thrust23THRUST_200600_302600_NS6detail15normal_iteratorINS8_10device_ptrIxEEEESD_jNS1_19radix_merge_compareILb0ELb0ExNS0_19identity_decomposerEEEEE10hipError_tT0_T1_T2_jT3_P12ihipStream_tbPNSt15iterator_traitsISI_E10value_typeEPNSO_ISJ_E10value_typeEPSK_NS1_7vsmem_tEENKUlT_SI_SJ_SK_E_clIPxSD_S10_SD_EESH_SX_SI_SJ_SK_EUlSX_E_NS1_11comp_targetILNS1_3genE0ELNS1_11target_archE4294967295ELNS1_3gpuE0ELNS1_3repE0EEENS1_48merge_mergepath_partition_config_static_selectorELNS0_4arch9wavefront6targetE1EEEvSJ_.has_recursion, 0
	.set _ZN7rocprim17ROCPRIM_400000_NS6detail17trampoline_kernelINS0_14default_configENS1_38merge_sort_block_merge_config_selectorIxxEEZZNS1_27merge_sort_block_merge_implIS3_N6thrust23THRUST_200600_302600_NS6detail15normal_iteratorINS8_10device_ptrIxEEEESD_jNS1_19radix_merge_compareILb0ELb0ExNS0_19identity_decomposerEEEEE10hipError_tT0_T1_T2_jT3_P12ihipStream_tbPNSt15iterator_traitsISI_E10value_typeEPNSO_ISJ_E10value_typeEPSK_NS1_7vsmem_tEENKUlT_SI_SJ_SK_E_clIPxSD_S10_SD_EESH_SX_SI_SJ_SK_EUlSX_E_NS1_11comp_targetILNS1_3genE0ELNS1_11target_archE4294967295ELNS1_3gpuE0ELNS1_3repE0EEENS1_48merge_mergepath_partition_config_static_selectorELNS0_4arch9wavefront6targetE1EEEvSJ_.has_indirect_call, 0
	.section	.AMDGPU.csdata,"",@progbits
; Kernel info:
; codeLenInByte = 316
; TotalNumSgprs: 14
; NumVgprs: 20
; NumAgprs: 0
; TotalNumVgprs: 20
; ScratchSize: 0
; MemoryBound: 0
; FloatMode: 240
; IeeeMode: 1
; LDSByteSize: 0 bytes/workgroup (compile time only)
; SGPRBlocks: 1
; VGPRBlocks: 2
; NumSGPRsForWavesPerEU: 14
; NumVGPRsForWavesPerEU: 20
; AccumOffset: 20
; Occupancy: 8
; WaveLimiterHint : 0
; COMPUTE_PGM_RSRC2:SCRATCH_EN: 0
; COMPUTE_PGM_RSRC2:USER_SGPR: 2
; COMPUTE_PGM_RSRC2:TRAP_HANDLER: 0
; COMPUTE_PGM_RSRC2:TGID_X_EN: 1
; COMPUTE_PGM_RSRC2:TGID_Y_EN: 0
; COMPUTE_PGM_RSRC2:TGID_Z_EN: 0
; COMPUTE_PGM_RSRC2:TIDIG_COMP_CNT: 0
; COMPUTE_PGM_RSRC3_GFX90A:ACCUM_OFFSET: 4
; COMPUTE_PGM_RSRC3_GFX90A:TG_SPLIT: 0
	.section	.text._ZN7rocprim17ROCPRIM_400000_NS6detail17trampoline_kernelINS0_14default_configENS1_38merge_sort_block_merge_config_selectorIxxEEZZNS1_27merge_sort_block_merge_implIS3_N6thrust23THRUST_200600_302600_NS6detail15normal_iteratorINS8_10device_ptrIxEEEESD_jNS1_19radix_merge_compareILb0ELb0ExNS0_19identity_decomposerEEEEE10hipError_tT0_T1_T2_jT3_P12ihipStream_tbPNSt15iterator_traitsISI_E10value_typeEPNSO_ISJ_E10value_typeEPSK_NS1_7vsmem_tEENKUlT_SI_SJ_SK_E_clIPxSD_S10_SD_EESH_SX_SI_SJ_SK_EUlSX_E_NS1_11comp_targetILNS1_3genE10ELNS1_11target_archE1201ELNS1_3gpuE5ELNS1_3repE0EEENS1_48merge_mergepath_partition_config_static_selectorELNS0_4arch9wavefront6targetE1EEEvSJ_,"axG",@progbits,_ZN7rocprim17ROCPRIM_400000_NS6detail17trampoline_kernelINS0_14default_configENS1_38merge_sort_block_merge_config_selectorIxxEEZZNS1_27merge_sort_block_merge_implIS3_N6thrust23THRUST_200600_302600_NS6detail15normal_iteratorINS8_10device_ptrIxEEEESD_jNS1_19radix_merge_compareILb0ELb0ExNS0_19identity_decomposerEEEEE10hipError_tT0_T1_T2_jT3_P12ihipStream_tbPNSt15iterator_traitsISI_E10value_typeEPNSO_ISJ_E10value_typeEPSK_NS1_7vsmem_tEENKUlT_SI_SJ_SK_E_clIPxSD_S10_SD_EESH_SX_SI_SJ_SK_EUlSX_E_NS1_11comp_targetILNS1_3genE10ELNS1_11target_archE1201ELNS1_3gpuE5ELNS1_3repE0EEENS1_48merge_mergepath_partition_config_static_selectorELNS0_4arch9wavefront6targetE1EEEvSJ_,comdat
	.protected	_ZN7rocprim17ROCPRIM_400000_NS6detail17trampoline_kernelINS0_14default_configENS1_38merge_sort_block_merge_config_selectorIxxEEZZNS1_27merge_sort_block_merge_implIS3_N6thrust23THRUST_200600_302600_NS6detail15normal_iteratorINS8_10device_ptrIxEEEESD_jNS1_19radix_merge_compareILb0ELb0ExNS0_19identity_decomposerEEEEE10hipError_tT0_T1_T2_jT3_P12ihipStream_tbPNSt15iterator_traitsISI_E10value_typeEPNSO_ISJ_E10value_typeEPSK_NS1_7vsmem_tEENKUlT_SI_SJ_SK_E_clIPxSD_S10_SD_EESH_SX_SI_SJ_SK_EUlSX_E_NS1_11comp_targetILNS1_3genE10ELNS1_11target_archE1201ELNS1_3gpuE5ELNS1_3repE0EEENS1_48merge_mergepath_partition_config_static_selectorELNS0_4arch9wavefront6targetE1EEEvSJ_ ; -- Begin function _ZN7rocprim17ROCPRIM_400000_NS6detail17trampoline_kernelINS0_14default_configENS1_38merge_sort_block_merge_config_selectorIxxEEZZNS1_27merge_sort_block_merge_implIS3_N6thrust23THRUST_200600_302600_NS6detail15normal_iteratorINS8_10device_ptrIxEEEESD_jNS1_19radix_merge_compareILb0ELb0ExNS0_19identity_decomposerEEEEE10hipError_tT0_T1_T2_jT3_P12ihipStream_tbPNSt15iterator_traitsISI_E10value_typeEPNSO_ISJ_E10value_typeEPSK_NS1_7vsmem_tEENKUlT_SI_SJ_SK_E_clIPxSD_S10_SD_EESH_SX_SI_SJ_SK_EUlSX_E_NS1_11comp_targetILNS1_3genE10ELNS1_11target_archE1201ELNS1_3gpuE5ELNS1_3repE0EEENS1_48merge_mergepath_partition_config_static_selectorELNS0_4arch9wavefront6targetE1EEEvSJ_
	.globl	_ZN7rocprim17ROCPRIM_400000_NS6detail17trampoline_kernelINS0_14default_configENS1_38merge_sort_block_merge_config_selectorIxxEEZZNS1_27merge_sort_block_merge_implIS3_N6thrust23THRUST_200600_302600_NS6detail15normal_iteratorINS8_10device_ptrIxEEEESD_jNS1_19radix_merge_compareILb0ELb0ExNS0_19identity_decomposerEEEEE10hipError_tT0_T1_T2_jT3_P12ihipStream_tbPNSt15iterator_traitsISI_E10value_typeEPNSO_ISJ_E10value_typeEPSK_NS1_7vsmem_tEENKUlT_SI_SJ_SK_E_clIPxSD_S10_SD_EESH_SX_SI_SJ_SK_EUlSX_E_NS1_11comp_targetILNS1_3genE10ELNS1_11target_archE1201ELNS1_3gpuE5ELNS1_3repE0EEENS1_48merge_mergepath_partition_config_static_selectorELNS0_4arch9wavefront6targetE1EEEvSJ_
	.p2align	8
	.type	_ZN7rocprim17ROCPRIM_400000_NS6detail17trampoline_kernelINS0_14default_configENS1_38merge_sort_block_merge_config_selectorIxxEEZZNS1_27merge_sort_block_merge_implIS3_N6thrust23THRUST_200600_302600_NS6detail15normal_iteratorINS8_10device_ptrIxEEEESD_jNS1_19radix_merge_compareILb0ELb0ExNS0_19identity_decomposerEEEEE10hipError_tT0_T1_T2_jT3_P12ihipStream_tbPNSt15iterator_traitsISI_E10value_typeEPNSO_ISJ_E10value_typeEPSK_NS1_7vsmem_tEENKUlT_SI_SJ_SK_E_clIPxSD_S10_SD_EESH_SX_SI_SJ_SK_EUlSX_E_NS1_11comp_targetILNS1_3genE10ELNS1_11target_archE1201ELNS1_3gpuE5ELNS1_3repE0EEENS1_48merge_mergepath_partition_config_static_selectorELNS0_4arch9wavefront6targetE1EEEvSJ_,@function
_ZN7rocprim17ROCPRIM_400000_NS6detail17trampoline_kernelINS0_14default_configENS1_38merge_sort_block_merge_config_selectorIxxEEZZNS1_27merge_sort_block_merge_implIS3_N6thrust23THRUST_200600_302600_NS6detail15normal_iteratorINS8_10device_ptrIxEEEESD_jNS1_19radix_merge_compareILb0ELb0ExNS0_19identity_decomposerEEEEE10hipError_tT0_T1_T2_jT3_P12ihipStream_tbPNSt15iterator_traitsISI_E10value_typeEPNSO_ISJ_E10value_typeEPSK_NS1_7vsmem_tEENKUlT_SI_SJ_SK_E_clIPxSD_S10_SD_EESH_SX_SI_SJ_SK_EUlSX_E_NS1_11comp_targetILNS1_3genE10ELNS1_11target_archE1201ELNS1_3gpuE5ELNS1_3repE0EEENS1_48merge_mergepath_partition_config_static_selectorELNS0_4arch9wavefront6targetE1EEEvSJ_: ; @_ZN7rocprim17ROCPRIM_400000_NS6detail17trampoline_kernelINS0_14default_configENS1_38merge_sort_block_merge_config_selectorIxxEEZZNS1_27merge_sort_block_merge_implIS3_N6thrust23THRUST_200600_302600_NS6detail15normal_iteratorINS8_10device_ptrIxEEEESD_jNS1_19radix_merge_compareILb0ELb0ExNS0_19identity_decomposerEEEEE10hipError_tT0_T1_T2_jT3_P12ihipStream_tbPNSt15iterator_traitsISI_E10value_typeEPNSO_ISJ_E10value_typeEPSK_NS1_7vsmem_tEENKUlT_SI_SJ_SK_E_clIPxSD_S10_SD_EESH_SX_SI_SJ_SK_EUlSX_E_NS1_11comp_targetILNS1_3genE10ELNS1_11target_archE1201ELNS1_3gpuE5ELNS1_3repE0EEENS1_48merge_mergepath_partition_config_static_selectorELNS0_4arch9wavefront6targetE1EEEvSJ_
; %bb.0:
	.section	.rodata,"a",@progbits
	.p2align	6, 0x0
	.amdhsa_kernel _ZN7rocprim17ROCPRIM_400000_NS6detail17trampoline_kernelINS0_14default_configENS1_38merge_sort_block_merge_config_selectorIxxEEZZNS1_27merge_sort_block_merge_implIS3_N6thrust23THRUST_200600_302600_NS6detail15normal_iteratorINS8_10device_ptrIxEEEESD_jNS1_19radix_merge_compareILb0ELb0ExNS0_19identity_decomposerEEEEE10hipError_tT0_T1_T2_jT3_P12ihipStream_tbPNSt15iterator_traitsISI_E10value_typeEPNSO_ISJ_E10value_typeEPSK_NS1_7vsmem_tEENKUlT_SI_SJ_SK_E_clIPxSD_S10_SD_EESH_SX_SI_SJ_SK_EUlSX_E_NS1_11comp_targetILNS1_3genE10ELNS1_11target_archE1201ELNS1_3gpuE5ELNS1_3repE0EEENS1_48merge_mergepath_partition_config_static_selectorELNS0_4arch9wavefront6targetE1EEEvSJ_
		.amdhsa_group_segment_fixed_size 0
		.amdhsa_private_segment_fixed_size 0
		.amdhsa_kernarg_size 40
		.amdhsa_user_sgpr_count 2
		.amdhsa_user_sgpr_dispatch_ptr 0
		.amdhsa_user_sgpr_queue_ptr 0
		.amdhsa_user_sgpr_kernarg_segment_ptr 1
		.amdhsa_user_sgpr_dispatch_id 0
		.amdhsa_user_sgpr_kernarg_preload_length 0
		.amdhsa_user_sgpr_kernarg_preload_offset 0
		.amdhsa_user_sgpr_private_segment_size 0
		.amdhsa_uses_dynamic_stack 0
		.amdhsa_enable_private_segment 0
		.amdhsa_system_sgpr_workgroup_id_x 1
		.amdhsa_system_sgpr_workgroup_id_y 0
		.amdhsa_system_sgpr_workgroup_id_z 0
		.amdhsa_system_sgpr_workgroup_info 0
		.amdhsa_system_vgpr_workitem_id 0
		.amdhsa_next_free_vgpr 1
		.amdhsa_next_free_sgpr 0
		.amdhsa_accum_offset 4
		.amdhsa_reserve_vcc 0
		.amdhsa_float_round_mode_32 0
		.amdhsa_float_round_mode_16_64 0
		.amdhsa_float_denorm_mode_32 3
		.amdhsa_float_denorm_mode_16_64 3
		.amdhsa_dx10_clamp 1
		.amdhsa_ieee_mode 1
		.amdhsa_fp16_overflow 0
		.amdhsa_tg_split 0
		.amdhsa_exception_fp_ieee_invalid_op 0
		.amdhsa_exception_fp_denorm_src 0
		.amdhsa_exception_fp_ieee_div_zero 0
		.amdhsa_exception_fp_ieee_overflow 0
		.amdhsa_exception_fp_ieee_underflow 0
		.amdhsa_exception_fp_ieee_inexact 0
		.amdhsa_exception_int_div_zero 0
	.end_amdhsa_kernel
	.section	.text._ZN7rocprim17ROCPRIM_400000_NS6detail17trampoline_kernelINS0_14default_configENS1_38merge_sort_block_merge_config_selectorIxxEEZZNS1_27merge_sort_block_merge_implIS3_N6thrust23THRUST_200600_302600_NS6detail15normal_iteratorINS8_10device_ptrIxEEEESD_jNS1_19radix_merge_compareILb0ELb0ExNS0_19identity_decomposerEEEEE10hipError_tT0_T1_T2_jT3_P12ihipStream_tbPNSt15iterator_traitsISI_E10value_typeEPNSO_ISJ_E10value_typeEPSK_NS1_7vsmem_tEENKUlT_SI_SJ_SK_E_clIPxSD_S10_SD_EESH_SX_SI_SJ_SK_EUlSX_E_NS1_11comp_targetILNS1_3genE10ELNS1_11target_archE1201ELNS1_3gpuE5ELNS1_3repE0EEENS1_48merge_mergepath_partition_config_static_selectorELNS0_4arch9wavefront6targetE1EEEvSJ_,"axG",@progbits,_ZN7rocprim17ROCPRIM_400000_NS6detail17trampoline_kernelINS0_14default_configENS1_38merge_sort_block_merge_config_selectorIxxEEZZNS1_27merge_sort_block_merge_implIS3_N6thrust23THRUST_200600_302600_NS6detail15normal_iteratorINS8_10device_ptrIxEEEESD_jNS1_19radix_merge_compareILb0ELb0ExNS0_19identity_decomposerEEEEE10hipError_tT0_T1_T2_jT3_P12ihipStream_tbPNSt15iterator_traitsISI_E10value_typeEPNSO_ISJ_E10value_typeEPSK_NS1_7vsmem_tEENKUlT_SI_SJ_SK_E_clIPxSD_S10_SD_EESH_SX_SI_SJ_SK_EUlSX_E_NS1_11comp_targetILNS1_3genE10ELNS1_11target_archE1201ELNS1_3gpuE5ELNS1_3repE0EEENS1_48merge_mergepath_partition_config_static_selectorELNS0_4arch9wavefront6targetE1EEEvSJ_,comdat
.Lfunc_end1066:
	.size	_ZN7rocprim17ROCPRIM_400000_NS6detail17trampoline_kernelINS0_14default_configENS1_38merge_sort_block_merge_config_selectorIxxEEZZNS1_27merge_sort_block_merge_implIS3_N6thrust23THRUST_200600_302600_NS6detail15normal_iteratorINS8_10device_ptrIxEEEESD_jNS1_19radix_merge_compareILb0ELb0ExNS0_19identity_decomposerEEEEE10hipError_tT0_T1_T2_jT3_P12ihipStream_tbPNSt15iterator_traitsISI_E10value_typeEPNSO_ISJ_E10value_typeEPSK_NS1_7vsmem_tEENKUlT_SI_SJ_SK_E_clIPxSD_S10_SD_EESH_SX_SI_SJ_SK_EUlSX_E_NS1_11comp_targetILNS1_3genE10ELNS1_11target_archE1201ELNS1_3gpuE5ELNS1_3repE0EEENS1_48merge_mergepath_partition_config_static_selectorELNS0_4arch9wavefront6targetE1EEEvSJ_, .Lfunc_end1066-_ZN7rocprim17ROCPRIM_400000_NS6detail17trampoline_kernelINS0_14default_configENS1_38merge_sort_block_merge_config_selectorIxxEEZZNS1_27merge_sort_block_merge_implIS3_N6thrust23THRUST_200600_302600_NS6detail15normal_iteratorINS8_10device_ptrIxEEEESD_jNS1_19radix_merge_compareILb0ELb0ExNS0_19identity_decomposerEEEEE10hipError_tT0_T1_T2_jT3_P12ihipStream_tbPNSt15iterator_traitsISI_E10value_typeEPNSO_ISJ_E10value_typeEPSK_NS1_7vsmem_tEENKUlT_SI_SJ_SK_E_clIPxSD_S10_SD_EESH_SX_SI_SJ_SK_EUlSX_E_NS1_11comp_targetILNS1_3genE10ELNS1_11target_archE1201ELNS1_3gpuE5ELNS1_3repE0EEENS1_48merge_mergepath_partition_config_static_selectorELNS0_4arch9wavefront6targetE1EEEvSJ_
                                        ; -- End function
	.set _ZN7rocprim17ROCPRIM_400000_NS6detail17trampoline_kernelINS0_14default_configENS1_38merge_sort_block_merge_config_selectorIxxEEZZNS1_27merge_sort_block_merge_implIS3_N6thrust23THRUST_200600_302600_NS6detail15normal_iteratorINS8_10device_ptrIxEEEESD_jNS1_19radix_merge_compareILb0ELb0ExNS0_19identity_decomposerEEEEE10hipError_tT0_T1_T2_jT3_P12ihipStream_tbPNSt15iterator_traitsISI_E10value_typeEPNSO_ISJ_E10value_typeEPSK_NS1_7vsmem_tEENKUlT_SI_SJ_SK_E_clIPxSD_S10_SD_EESH_SX_SI_SJ_SK_EUlSX_E_NS1_11comp_targetILNS1_3genE10ELNS1_11target_archE1201ELNS1_3gpuE5ELNS1_3repE0EEENS1_48merge_mergepath_partition_config_static_selectorELNS0_4arch9wavefront6targetE1EEEvSJ_.num_vgpr, 0
	.set _ZN7rocprim17ROCPRIM_400000_NS6detail17trampoline_kernelINS0_14default_configENS1_38merge_sort_block_merge_config_selectorIxxEEZZNS1_27merge_sort_block_merge_implIS3_N6thrust23THRUST_200600_302600_NS6detail15normal_iteratorINS8_10device_ptrIxEEEESD_jNS1_19radix_merge_compareILb0ELb0ExNS0_19identity_decomposerEEEEE10hipError_tT0_T1_T2_jT3_P12ihipStream_tbPNSt15iterator_traitsISI_E10value_typeEPNSO_ISJ_E10value_typeEPSK_NS1_7vsmem_tEENKUlT_SI_SJ_SK_E_clIPxSD_S10_SD_EESH_SX_SI_SJ_SK_EUlSX_E_NS1_11comp_targetILNS1_3genE10ELNS1_11target_archE1201ELNS1_3gpuE5ELNS1_3repE0EEENS1_48merge_mergepath_partition_config_static_selectorELNS0_4arch9wavefront6targetE1EEEvSJ_.num_agpr, 0
	.set _ZN7rocprim17ROCPRIM_400000_NS6detail17trampoline_kernelINS0_14default_configENS1_38merge_sort_block_merge_config_selectorIxxEEZZNS1_27merge_sort_block_merge_implIS3_N6thrust23THRUST_200600_302600_NS6detail15normal_iteratorINS8_10device_ptrIxEEEESD_jNS1_19radix_merge_compareILb0ELb0ExNS0_19identity_decomposerEEEEE10hipError_tT0_T1_T2_jT3_P12ihipStream_tbPNSt15iterator_traitsISI_E10value_typeEPNSO_ISJ_E10value_typeEPSK_NS1_7vsmem_tEENKUlT_SI_SJ_SK_E_clIPxSD_S10_SD_EESH_SX_SI_SJ_SK_EUlSX_E_NS1_11comp_targetILNS1_3genE10ELNS1_11target_archE1201ELNS1_3gpuE5ELNS1_3repE0EEENS1_48merge_mergepath_partition_config_static_selectorELNS0_4arch9wavefront6targetE1EEEvSJ_.numbered_sgpr, 0
	.set _ZN7rocprim17ROCPRIM_400000_NS6detail17trampoline_kernelINS0_14default_configENS1_38merge_sort_block_merge_config_selectorIxxEEZZNS1_27merge_sort_block_merge_implIS3_N6thrust23THRUST_200600_302600_NS6detail15normal_iteratorINS8_10device_ptrIxEEEESD_jNS1_19radix_merge_compareILb0ELb0ExNS0_19identity_decomposerEEEEE10hipError_tT0_T1_T2_jT3_P12ihipStream_tbPNSt15iterator_traitsISI_E10value_typeEPNSO_ISJ_E10value_typeEPSK_NS1_7vsmem_tEENKUlT_SI_SJ_SK_E_clIPxSD_S10_SD_EESH_SX_SI_SJ_SK_EUlSX_E_NS1_11comp_targetILNS1_3genE10ELNS1_11target_archE1201ELNS1_3gpuE5ELNS1_3repE0EEENS1_48merge_mergepath_partition_config_static_selectorELNS0_4arch9wavefront6targetE1EEEvSJ_.num_named_barrier, 0
	.set _ZN7rocprim17ROCPRIM_400000_NS6detail17trampoline_kernelINS0_14default_configENS1_38merge_sort_block_merge_config_selectorIxxEEZZNS1_27merge_sort_block_merge_implIS3_N6thrust23THRUST_200600_302600_NS6detail15normal_iteratorINS8_10device_ptrIxEEEESD_jNS1_19radix_merge_compareILb0ELb0ExNS0_19identity_decomposerEEEEE10hipError_tT0_T1_T2_jT3_P12ihipStream_tbPNSt15iterator_traitsISI_E10value_typeEPNSO_ISJ_E10value_typeEPSK_NS1_7vsmem_tEENKUlT_SI_SJ_SK_E_clIPxSD_S10_SD_EESH_SX_SI_SJ_SK_EUlSX_E_NS1_11comp_targetILNS1_3genE10ELNS1_11target_archE1201ELNS1_3gpuE5ELNS1_3repE0EEENS1_48merge_mergepath_partition_config_static_selectorELNS0_4arch9wavefront6targetE1EEEvSJ_.private_seg_size, 0
	.set _ZN7rocprim17ROCPRIM_400000_NS6detail17trampoline_kernelINS0_14default_configENS1_38merge_sort_block_merge_config_selectorIxxEEZZNS1_27merge_sort_block_merge_implIS3_N6thrust23THRUST_200600_302600_NS6detail15normal_iteratorINS8_10device_ptrIxEEEESD_jNS1_19radix_merge_compareILb0ELb0ExNS0_19identity_decomposerEEEEE10hipError_tT0_T1_T2_jT3_P12ihipStream_tbPNSt15iterator_traitsISI_E10value_typeEPNSO_ISJ_E10value_typeEPSK_NS1_7vsmem_tEENKUlT_SI_SJ_SK_E_clIPxSD_S10_SD_EESH_SX_SI_SJ_SK_EUlSX_E_NS1_11comp_targetILNS1_3genE10ELNS1_11target_archE1201ELNS1_3gpuE5ELNS1_3repE0EEENS1_48merge_mergepath_partition_config_static_selectorELNS0_4arch9wavefront6targetE1EEEvSJ_.uses_vcc, 0
	.set _ZN7rocprim17ROCPRIM_400000_NS6detail17trampoline_kernelINS0_14default_configENS1_38merge_sort_block_merge_config_selectorIxxEEZZNS1_27merge_sort_block_merge_implIS3_N6thrust23THRUST_200600_302600_NS6detail15normal_iteratorINS8_10device_ptrIxEEEESD_jNS1_19radix_merge_compareILb0ELb0ExNS0_19identity_decomposerEEEEE10hipError_tT0_T1_T2_jT3_P12ihipStream_tbPNSt15iterator_traitsISI_E10value_typeEPNSO_ISJ_E10value_typeEPSK_NS1_7vsmem_tEENKUlT_SI_SJ_SK_E_clIPxSD_S10_SD_EESH_SX_SI_SJ_SK_EUlSX_E_NS1_11comp_targetILNS1_3genE10ELNS1_11target_archE1201ELNS1_3gpuE5ELNS1_3repE0EEENS1_48merge_mergepath_partition_config_static_selectorELNS0_4arch9wavefront6targetE1EEEvSJ_.uses_flat_scratch, 0
	.set _ZN7rocprim17ROCPRIM_400000_NS6detail17trampoline_kernelINS0_14default_configENS1_38merge_sort_block_merge_config_selectorIxxEEZZNS1_27merge_sort_block_merge_implIS3_N6thrust23THRUST_200600_302600_NS6detail15normal_iteratorINS8_10device_ptrIxEEEESD_jNS1_19radix_merge_compareILb0ELb0ExNS0_19identity_decomposerEEEEE10hipError_tT0_T1_T2_jT3_P12ihipStream_tbPNSt15iterator_traitsISI_E10value_typeEPNSO_ISJ_E10value_typeEPSK_NS1_7vsmem_tEENKUlT_SI_SJ_SK_E_clIPxSD_S10_SD_EESH_SX_SI_SJ_SK_EUlSX_E_NS1_11comp_targetILNS1_3genE10ELNS1_11target_archE1201ELNS1_3gpuE5ELNS1_3repE0EEENS1_48merge_mergepath_partition_config_static_selectorELNS0_4arch9wavefront6targetE1EEEvSJ_.has_dyn_sized_stack, 0
	.set _ZN7rocprim17ROCPRIM_400000_NS6detail17trampoline_kernelINS0_14default_configENS1_38merge_sort_block_merge_config_selectorIxxEEZZNS1_27merge_sort_block_merge_implIS3_N6thrust23THRUST_200600_302600_NS6detail15normal_iteratorINS8_10device_ptrIxEEEESD_jNS1_19radix_merge_compareILb0ELb0ExNS0_19identity_decomposerEEEEE10hipError_tT0_T1_T2_jT3_P12ihipStream_tbPNSt15iterator_traitsISI_E10value_typeEPNSO_ISJ_E10value_typeEPSK_NS1_7vsmem_tEENKUlT_SI_SJ_SK_E_clIPxSD_S10_SD_EESH_SX_SI_SJ_SK_EUlSX_E_NS1_11comp_targetILNS1_3genE10ELNS1_11target_archE1201ELNS1_3gpuE5ELNS1_3repE0EEENS1_48merge_mergepath_partition_config_static_selectorELNS0_4arch9wavefront6targetE1EEEvSJ_.has_recursion, 0
	.set _ZN7rocprim17ROCPRIM_400000_NS6detail17trampoline_kernelINS0_14default_configENS1_38merge_sort_block_merge_config_selectorIxxEEZZNS1_27merge_sort_block_merge_implIS3_N6thrust23THRUST_200600_302600_NS6detail15normal_iteratorINS8_10device_ptrIxEEEESD_jNS1_19radix_merge_compareILb0ELb0ExNS0_19identity_decomposerEEEEE10hipError_tT0_T1_T2_jT3_P12ihipStream_tbPNSt15iterator_traitsISI_E10value_typeEPNSO_ISJ_E10value_typeEPSK_NS1_7vsmem_tEENKUlT_SI_SJ_SK_E_clIPxSD_S10_SD_EESH_SX_SI_SJ_SK_EUlSX_E_NS1_11comp_targetILNS1_3genE10ELNS1_11target_archE1201ELNS1_3gpuE5ELNS1_3repE0EEENS1_48merge_mergepath_partition_config_static_selectorELNS0_4arch9wavefront6targetE1EEEvSJ_.has_indirect_call, 0
	.section	.AMDGPU.csdata,"",@progbits
; Kernel info:
; codeLenInByte = 0
; TotalNumSgprs: 6
; NumVgprs: 0
; NumAgprs: 0
; TotalNumVgprs: 0
; ScratchSize: 0
; MemoryBound: 0
; FloatMode: 240
; IeeeMode: 1
; LDSByteSize: 0 bytes/workgroup (compile time only)
; SGPRBlocks: 0
; VGPRBlocks: 0
; NumSGPRsForWavesPerEU: 6
; NumVGPRsForWavesPerEU: 1
; AccumOffset: 4
; Occupancy: 8
; WaveLimiterHint : 0
; COMPUTE_PGM_RSRC2:SCRATCH_EN: 0
; COMPUTE_PGM_RSRC2:USER_SGPR: 2
; COMPUTE_PGM_RSRC2:TRAP_HANDLER: 0
; COMPUTE_PGM_RSRC2:TGID_X_EN: 1
; COMPUTE_PGM_RSRC2:TGID_Y_EN: 0
; COMPUTE_PGM_RSRC2:TGID_Z_EN: 0
; COMPUTE_PGM_RSRC2:TIDIG_COMP_CNT: 0
; COMPUTE_PGM_RSRC3_GFX90A:ACCUM_OFFSET: 0
; COMPUTE_PGM_RSRC3_GFX90A:TG_SPLIT: 0
	.section	.text._ZN7rocprim17ROCPRIM_400000_NS6detail17trampoline_kernelINS0_14default_configENS1_38merge_sort_block_merge_config_selectorIxxEEZZNS1_27merge_sort_block_merge_implIS3_N6thrust23THRUST_200600_302600_NS6detail15normal_iteratorINS8_10device_ptrIxEEEESD_jNS1_19radix_merge_compareILb0ELb0ExNS0_19identity_decomposerEEEEE10hipError_tT0_T1_T2_jT3_P12ihipStream_tbPNSt15iterator_traitsISI_E10value_typeEPNSO_ISJ_E10value_typeEPSK_NS1_7vsmem_tEENKUlT_SI_SJ_SK_E_clIPxSD_S10_SD_EESH_SX_SI_SJ_SK_EUlSX_E_NS1_11comp_targetILNS1_3genE5ELNS1_11target_archE942ELNS1_3gpuE9ELNS1_3repE0EEENS1_48merge_mergepath_partition_config_static_selectorELNS0_4arch9wavefront6targetE1EEEvSJ_,"axG",@progbits,_ZN7rocprim17ROCPRIM_400000_NS6detail17trampoline_kernelINS0_14default_configENS1_38merge_sort_block_merge_config_selectorIxxEEZZNS1_27merge_sort_block_merge_implIS3_N6thrust23THRUST_200600_302600_NS6detail15normal_iteratorINS8_10device_ptrIxEEEESD_jNS1_19radix_merge_compareILb0ELb0ExNS0_19identity_decomposerEEEEE10hipError_tT0_T1_T2_jT3_P12ihipStream_tbPNSt15iterator_traitsISI_E10value_typeEPNSO_ISJ_E10value_typeEPSK_NS1_7vsmem_tEENKUlT_SI_SJ_SK_E_clIPxSD_S10_SD_EESH_SX_SI_SJ_SK_EUlSX_E_NS1_11comp_targetILNS1_3genE5ELNS1_11target_archE942ELNS1_3gpuE9ELNS1_3repE0EEENS1_48merge_mergepath_partition_config_static_selectorELNS0_4arch9wavefront6targetE1EEEvSJ_,comdat
	.protected	_ZN7rocprim17ROCPRIM_400000_NS6detail17trampoline_kernelINS0_14default_configENS1_38merge_sort_block_merge_config_selectorIxxEEZZNS1_27merge_sort_block_merge_implIS3_N6thrust23THRUST_200600_302600_NS6detail15normal_iteratorINS8_10device_ptrIxEEEESD_jNS1_19radix_merge_compareILb0ELb0ExNS0_19identity_decomposerEEEEE10hipError_tT0_T1_T2_jT3_P12ihipStream_tbPNSt15iterator_traitsISI_E10value_typeEPNSO_ISJ_E10value_typeEPSK_NS1_7vsmem_tEENKUlT_SI_SJ_SK_E_clIPxSD_S10_SD_EESH_SX_SI_SJ_SK_EUlSX_E_NS1_11comp_targetILNS1_3genE5ELNS1_11target_archE942ELNS1_3gpuE9ELNS1_3repE0EEENS1_48merge_mergepath_partition_config_static_selectorELNS0_4arch9wavefront6targetE1EEEvSJ_ ; -- Begin function _ZN7rocprim17ROCPRIM_400000_NS6detail17trampoline_kernelINS0_14default_configENS1_38merge_sort_block_merge_config_selectorIxxEEZZNS1_27merge_sort_block_merge_implIS3_N6thrust23THRUST_200600_302600_NS6detail15normal_iteratorINS8_10device_ptrIxEEEESD_jNS1_19radix_merge_compareILb0ELb0ExNS0_19identity_decomposerEEEEE10hipError_tT0_T1_T2_jT3_P12ihipStream_tbPNSt15iterator_traitsISI_E10value_typeEPNSO_ISJ_E10value_typeEPSK_NS1_7vsmem_tEENKUlT_SI_SJ_SK_E_clIPxSD_S10_SD_EESH_SX_SI_SJ_SK_EUlSX_E_NS1_11comp_targetILNS1_3genE5ELNS1_11target_archE942ELNS1_3gpuE9ELNS1_3repE0EEENS1_48merge_mergepath_partition_config_static_selectorELNS0_4arch9wavefront6targetE1EEEvSJ_
	.globl	_ZN7rocprim17ROCPRIM_400000_NS6detail17trampoline_kernelINS0_14default_configENS1_38merge_sort_block_merge_config_selectorIxxEEZZNS1_27merge_sort_block_merge_implIS3_N6thrust23THRUST_200600_302600_NS6detail15normal_iteratorINS8_10device_ptrIxEEEESD_jNS1_19radix_merge_compareILb0ELb0ExNS0_19identity_decomposerEEEEE10hipError_tT0_T1_T2_jT3_P12ihipStream_tbPNSt15iterator_traitsISI_E10value_typeEPNSO_ISJ_E10value_typeEPSK_NS1_7vsmem_tEENKUlT_SI_SJ_SK_E_clIPxSD_S10_SD_EESH_SX_SI_SJ_SK_EUlSX_E_NS1_11comp_targetILNS1_3genE5ELNS1_11target_archE942ELNS1_3gpuE9ELNS1_3repE0EEENS1_48merge_mergepath_partition_config_static_selectorELNS0_4arch9wavefront6targetE1EEEvSJ_
	.p2align	8
	.type	_ZN7rocprim17ROCPRIM_400000_NS6detail17trampoline_kernelINS0_14default_configENS1_38merge_sort_block_merge_config_selectorIxxEEZZNS1_27merge_sort_block_merge_implIS3_N6thrust23THRUST_200600_302600_NS6detail15normal_iteratorINS8_10device_ptrIxEEEESD_jNS1_19radix_merge_compareILb0ELb0ExNS0_19identity_decomposerEEEEE10hipError_tT0_T1_T2_jT3_P12ihipStream_tbPNSt15iterator_traitsISI_E10value_typeEPNSO_ISJ_E10value_typeEPSK_NS1_7vsmem_tEENKUlT_SI_SJ_SK_E_clIPxSD_S10_SD_EESH_SX_SI_SJ_SK_EUlSX_E_NS1_11comp_targetILNS1_3genE5ELNS1_11target_archE942ELNS1_3gpuE9ELNS1_3repE0EEENS1_48merge_mergepath_partition_config_static_selectorELNS0_4arch9wavefront6targetE1EEEvSJ_,@function
_ZN7rocprim17ROCPRIM_400000_NS6detail17trampoline_kernelINS0_14default_configENS1_38merge_sort_block_merge_config_selectorIxxEEZZNS1_27merge_sort_block_merge_implIS3_N6thrust23THRUST_200600_302600_NS6detail15normal_iteratorINS8_10device_ptrIxEEEESD_jNS1_19radix_merge_compareILb0ELb0ExNS0_19identity_decomposerEEEEE10hipError_tT0_T1_T2_jT3_P12ihipStream_tbPNSt15iterator_traitsISI_E10value_typeEPNSO_ISJ_E10value_typeEPSK_NS1_7vsmem_tEENKUlT_SI_SJ_SK_E_clIPxSD_S10_SD_EESH_SX_SI_SJ_SK_EUlSX_E_NS1_11comp_targetILNS1_3genE5ELNS1_11target_archE942ELNS1_3gpuE9ELNS1_3repE0EEENS1_48merge_mergepath_partition_config_static_selectorELNS0_4arch9wavefront6targetE1EEEvSJ_: ; @_ZN7rocprim17ROCPRIM_400000_NS6detail17trampoline_kernelINS0_14default_configENS1_38merge_sort_block_merge_config_selectorIxxEEZZNS1_27merge_sort_block_merge_implIS3_N6thrust23THRUST_200600_302600_NS6detail15normal_iteratorINS8_10device_ptrIxEEEESD_jNS1_19radix_merge_compareILb0ELb0ExNS0_19identity_decomposerEEEEE10hipError_tT0_T1_T2_jT3_P12ihipStream_tbPNSt15iterator_traitsISI_E10value_typeEPNSO_ISJ_E10value_typeEPSK_NS1_7vsmem_tEENKUlT_SI_SJ_SK_E_clIPxSD_S10_SD_EESH_SX_SI_SJ_SK_EUlSX_E_NS1_11comp_targetILNS1_3genE5ELNS1_11target_archE942ELNS1_3gpuE9ELNS1_3repE0EEENS1_48merge_mergepath_partition_config_static_selectorELNS0_4arch9wavefront6targetE1EEEvSJ_
; %bb.0:
	.section	.rodata,"a",@progbits
	.p2align	6, 0x0
	.amdhsa_kernel _ZN7rocprim17ROCPRIM_400000_NS6detail17trampoline_kernelINS0_14default_configENS1_38merge_sort_block_merge_config_selectorIxxEEZZNS1_27merge_sort_block_merge_implIS3_N6thrust23THRUST_200600_302600_NS6detail15normal_iteratorINS8_10device_ptrIxEEEESD_jNS1_19radix_merge_compareILb0ELb0ExNS0_19identity_decomposerEEEEE10hipError_tT0_T1_T2_jT3_P12ihipStream_tbPNSt15iterator_traitsISI_E10value_typeEPNSO_ISJ_E10value_typeEPSK_NS1_7vsmem_tEENKUlT_SI_SJ_SK_E_clIPxSD_S10_SD_EESH_SX_SI_SJ_SK_EUlSX_E_NS1_11comp_targetILNS1_3genE5ELNS1_11target_archE942ELNS1_3gpuE9ELNS1_3repE0EEENS1_48merge_mergepath_partition_config_static_selectorELNS0_4arch9wavefront6targetE1EEEvSJ_
		.amdhsa_group_segment_fixed_size 0
		.amdhsa_private_segment_fixed_size 0
		.amdhsa_kernarg_size 40
		.amdhsa_user_sgpr_count 2
		.amdhsa_user_sgpr_dispatch_ptr 0
		.amdhsa_user_sgpr_queue_ptr 0
		.amdhsa_user_sgpr_kernarg_segment_ptr 1
		.amdhsa_user_sgpr_dispatch_id 0
		.amdhsa_user_sgpr_kernarg_preload_length 0
		.amdhsa_user_sgpr_kernarg_preload_offset 0
		.amdhsa_user_sgpr_private_segment_size 0
		.amdhsa_uses_dynamic_stack 0
		.amdhsa_enable_private_segment 0
		.amdhsa_system_sgpr_workgroup_id_x 1
		.amdhsa_system_sgpr_workgroup_id_y 0
		.amdhsa_system_sgpr_workgroup_id_z 0
		.amdhsa_system_sgpr_workgroup_info 0
		.amdhsa_system_vgpr_workitem_id 0
		.amdhsa_next_free_vgpr 1
		.amdhsa_next_free_sgpr 0
		.amdhsa_accum_offset 4
		.amdhsa_reserve_vcc 0
		.amdhsa_float_round_mode_32 0
		.amdhsa_float_round_mode_16_64 0
		.amdhsa_float_denorm_mode_32 3
		.amdhsa_float_denorm_mode_16_64 3
		.amdhsa_dx10_clamp 1
		.amdhsa_ieee_mode 1
		.amdhsa_fp16_overflow 0
		.amdhsa_tg_split 0
		.amdhsa_exception_fp_ieee_invalid_op 0
		.amdhsa_exception_fp_denorm_src 0
		.amdhsa_exception_fp_ieee_div_zero 0
		.amdhsa_exception_fp_ieee_overflow 0
		.amdhsa_exception_fp_ieee_underflow 0
		.amdhsa_exception_fp_ieee_inexact 0
		.amdhsa_exception_int_div_zero 0
	.end_amdhsa_kernel
	.section	.text._ZN7rocprim17ROCPRIM_400000_NS6detail17trampoline_kernelINS0_14default_configENS1_38merge_sort_block_merge_config_selectorIxxEEZZNS1_27merge_sort_block_merge_implIS3_N6thrust23THRUST_200600_302600_NS6detail15normal_iteratorINS8_10device_ptrIxEEEESD_jNS1_19radix_merge_compareILb0ELb0ExNS0_19identity_decomposerEEEEE10hipError_tT0_T1_T2_jT3_P12ihipStream_tbPNSt15iterator_traitsISI_E10value_typeEPNSO_ISJ_E10value_typeEPSK_NS1_7vsmem_tEENKUlT_SI_SJ_SK_E_clIPxSD_S10_SD_EESH_SX_SI_SJ_SK_EUlSX_E_NS1_11comp_targetILNS1_3genE5ELNS1_11target_archE942ELNS1_3gpuE9ELNS1_3repE0EEENS1_48merge_mergepath_partition_config_static_selectorELNS0_4arch9wavefront6targetE1EEEvSJ_,"axG",@progbits,_ZN7rocprim17ROCPRIM_400000_NS6detail17trampoline_kernelINS0_14default_configENS1_38merge_sort_block_merge_config_selectorIxxEEZZNS1_27merge_sort_block_merge_implIS3_N6thrust23THRUST_200600_302600_NS6detail15normal_iteratorINS8_10device_ptrIxEEEESD_jNS1_19radix_merge_compareILb0ELb0ExNS0_19identity_decomposerEEEEE10hipError_tT0_T1_T2_jT3_P12ihipStream_tbPNSt15iterator_traitsISI_E10value_typeEPNSO_ISJ_E10value_typeEPSK_NS1_7vsmem_tEENKUlT_SI_SJ_SK_E_clIPxSD_S10_SD_EESH_SX_SI_SJ_SK_EUlSX_E_NS1_11comp_targetILNS1_3genE5ELNS1_11target_archE942ELNS1_3gpuE9ELNS1_3repE0EEENS1_48merge_mergepath_partition_config_static_selectorELNS0_4arch9wavefront6targetE1EEEvSJ_,comdat
.Lfunc_end1067:
	.size	_ZN7rocprim17ROCPRIM_400000_NS6detail17trampoline_kernelINS0_14default_configENS1_38merge_sort_block_merge_config_selectorIxxEEZZNS1_27merge_sort_block_merge_implIS3_N6thrust23THRUST_200600_302600_NS6detail15normal_iteratorINS8_10device_ptrIxEEEESD_jNS1_19radix_merge_compareILb0ELb0ExNS0_19identity_decomposerEEEEE10hipError_tT0_T1_T2_jT3_P12ihipStream_tbPNSt15iterator_traitsISI_E10value_typeEPNSO_ISJ_E10value_typeEPSK_NS1_7vsmem_tEENKUlT_SI_SJ_SK_E_clIPxSD_S10_SD_EESH_SX_SI_SJ_SK_EUlSX_E_NS1_11comp_targetILNS1_3genE5ELNS1_11target_archE942ELNS1_3gpuE9ELNS1_3repE0EEENS1_48merge_mergepath_partition_config_static_selectorELNS0_4arch9wavefront6targetE1EEEvSJ_, .Lfunc_end1067-_ZN7rocprim17ROCPRIM_400000_NS6detail17trampoline_kernelINS0_14default_configENS1_38merge_sort_block_merge_config_selectorIxxEEZZNS1_27merge_sort_block_merge_implIS3_N6thrust23THRUST_200600_302600_NS6detail15normal_iteratorINS8_10device_ptrIxEEEESD_jNS1_19radix_merge_compareILb0ELb0ExNS0_19identity_decomposerEEEEE10hipError_tT0_T1_T2_jT3_P12ihipStream_tbPNSt15iterator_traitsISI_E10value_typeEPNSO_ISJ_E10value_typeEPSK_NS1_7vsmem_tEENKUlT_SI_SJ_SK_E_clIPxSD_S10_SD_EESH_SX_SI_SJ_SK_EUlSX_E_NS1_11comp_targetILNS1_3genE5ELNS1_11target_archE942ELNS1_3gpuE9ELNS1_3repE0EEENS1_48merge_mergepath_partition_config_static_selectorELNS0_4arch9wavefront6targetE1EEEvSJ_
                                        ; -- End function
	.set _ZN7rocprim17ROCPRIM_400000_NS6detail17trampoline_kernelINS0_14default_configENS1_38merge_sort_block_merge_config_selectorIxxEEZZNS1_27merge_sort_block_merge_implIS3_N6thrust23THRUST_200600_302600_NS6detail15normal_iteratorINS8_10device_ptrIxEEEESD_jNS1_19radix_merge_compareILb0ELb0ExNS0_19identity_decomposerEEEEE10hipError_tT0_T1_T2_jT3_P12ihipStream_tbPNSt15iterator_traitsISI_E10value_typeEPNSO_ISJ_E10value_typeEPSK_NS1_7vsmem_tEENKUlT_SI_SJ_SK_E_clIPxSD_S10_SD_EESH_SX_SI_SJ_SK_EUlSX_E_NS1_11comp_targetILNS1_3genE5ELNS1_11target_archE942ELNS1_3gpuE9ELNS1_3repE0EEENS1_48merge_mergepath_partition_config_static_selectorELNS0_4arch9wavefront6targetE1EEEvSJ_.num_vgpr, 0
	.set _ZN7rocprim17ROCPRIM_400000_NS6detail17trampoline_kernelINS0_14default_configENS1_38merge_sort_block_merge_config_selectorIxxEEZZNS1_27merge_sort_block_merge_implIS3_N6thrust23THRUST_200600_302600_NS6detail15normal_iteratorINS8_10device_ptrIxEEEESD_jNS1_19radix_merge_compareILb0ELb0ExNS0_19identity_decomposerEEEEE10hipError_tT0_T1_T2_jT3_P12ihipStream_tbPNSt15iterator_traitsISI_E10value_typeEPNSO_ISJ_E10value_typeEPSK_NS1_7vsmem_tEENKUlT_SI_SJ_SK_E_clIPxSD_S10_SD_EESH_SX_SI_SJ_SK_EUlSX_E_NS1_11comp_targetILNS1_3genE5ELNS1_11target_archE942ELNS1_3gpuE9ELNS1_3repE0EEENS1_48merge_mergepath_partition_config_static_selectorELNS0_4arch9wavefront6targetE1EEEvSJ_.num_agpr, 0
	.set _ZN7rocprim17ROCPRIM_400000_NS6detail17trampoline_kernelINS0_14default_configENS1_38merge_sort_block_merge_config_selectorIxxEEZZNS1_27merge_sort_block_merge_implIS3_N6thrust23THRUST_200600_302600_NS6detail15normal_iteratorINS8_10device_ptrIxEEEESD_jNS1_19radix_merge_compareILb0ELb0ExNS0_19identity_decomposerEEEEE10hipError_tT0_T1_T2_jT3_P12ihipStream_tbPNSt15iterator_traitsISI_E10value_typeEPNSO_ISJ_E10value_typeEPSK_NS1_7vsmem_tEENKUlT_SI_SJ_SK_E_clIPxSD_S10_SD_EESH_SX_SI_SJ_SK_EUlSX_E_NS1_11comp_targetILNS1_3genE5ELNS1_11target_archE942ELNS1_3gpuE9ELNS1_3repE0EEENS1_48merge_mergepath_partition_config_static_selectorELNS0_4arch9wavefront6targetE1EEEvSJ_.numbered_sgpr, 0
	.set _ZN7rocprim17ROCPRIM_400000_NS6detail17trampoline_kernelINS0_14default_configENS1_38merge_sort_block_merge_config_selectorIxxEEZZNS1_27merge_sort_block_merge_implIS3_N6thrust23THRUST_200600_302600_NS6detail15normal_iteratorINS8_10device_ptrIxEEEESD_jNS1_19radix_merge_compareILb0ELb0ExNS0_19identity_decomposerEEEEE10hipError_tT0_T1_T2_jT3_P12ihipStream_tbPNSt15iterator_traitsISI_E10value_typeEPNSO_ISJ_E10value_typeEPSK_NS1_7vsmem_tEENKUlT_SI_SJ_SK_E_clIPxSD_S10_SD_EESH_SX_SI_SJ_SK_EUlSX_E_NS1_11comp_targetILNS1_3genE5ELNS1_11target_archE942ELNS1_3gpuE9ELNS1_3repE0EEENS1_48merge_mergepath_partition_config_static_selectorELNS0_4arch9wavefront6targetE1EEEvSJ_.num_named_barrier, 0
	.set _ZN7rocprim17ROCPRIM_400000_NS6detail17trampoline_kernelINS0_14default_configENS1_38merge_sort_block_merge_config_selectorIxxEEZZNS1_27merge_sort_block_merge_implIS3_N6thrust23THRUST_200600_302600_NS6detail15normal_iteratorINS8_10device_ptrIxEEEESD_jNS1_19radix_merge_compareILb0ELb0ExNS0_19identity_decomposerEEEEE10hipError_tT0_T1_T2_jT3_P12ihipStream_tbPNSt15iterator_traitsISI_E10value_typeEPNSO_ISJ_E10value_typeEPSK_NS1_7vsmem_tEENKUlT_SI_SJ_SK_E_clIPxSD_S10_SD_EESH_SX_SI_SJ_SK_EUlSX_E_NS1_11comp_targetILNS1_3genE5ELNS1_11target_archE942ELNS1_3gpuE9ELNS1_3repE0EEENS1_48merge_mergepath_partition_config_static_selectorELNS0_4arch9wavefront6targetE1EEEvSJ_.private_seg_size, 0
	.set _ZN7rocprim17ROCPRIM_400000_NS6detail17trampoline_kernelINS0_14default_configENS1_38merge_sort_block_merge_config_selectorIxxEEZZNS1_27merge_sort_block_merge_implIS3_N6thrust23THRUST_200600_302600_NS6detail15normal_iteratorINS8_10device_ptrIxEEEESD_jNS1_19radix_merge_compareILb0ELb0ExNS0_19identity_decomposerEEEEE10hipError_tT0_T1_T2_jT3_P12ihipStream_tbPNSt15iterator_traitsISI_E10value_typeEPNSO_ISJ_E10value_typeEPSK_NS1_7vsmem_tEENKUlT_SI_SJ_SK_E_clIPxSD_S10_SD_EESH_SX_SI_SJ_SK_EUlSX_E_NS1_11comp_targetILNS1_3genE5ELNS1_11target_archE942ELNS1_3gpuE9ELNS1_3repE0EEENS1_48merge_mergepath_partition_config_static_selectorELNS0_4arch9wavefront6targetE1EEEvSJ_.uses_vcc, 0
	.set _ZN7rocprim17ROCPRIM_400000_NS6detail17trampoline_kernelINS0_14default_configENS1_38merge_sort_block_merge_config_selectorIxxEEZZNS1_27merge_sort_block_merge_implIS3_N6thrust23THRUST_200600_302600_NS6detail15normal_iteratorINS8_10device_ptrIxEEEESD_jNS1_19radix_merge_compareILb0ELb0ExNS0_19identity_decomposerEEEEE10hipError_tT0_T1_T2_jT3_P12ihipStream_tbPNSt15iterator_traitsISI_E10value_typeEPNSO_ISJ_E10value_typeEPSK_NS1_7vsmem_tEENKUlT_SI_SJ_SK_E_clIPxSD_S10_SD_EESH_SX_SI_SJ_SK_EUlSX_E_NS1_11comp_targetILNS1_3genE5ELNS1_11target_archE942ELNS1_3gpuE9ELNS1_3repE0EEENS1_48merge_mergepath_partition_config_static_selectorELNS0_4arch9wavefront6targetE1EEEvSJ_.uses_flat_scratch, 0
	.set _ZN7rocprim17ROCPRIM_400000_NS6detail17trampoline_kernelINS0_14default_configENS1_38merge_sort_block_merge_config_selectorIxxEEZZNS1_27merge_sort_block_merge_implIS3_N6thrust23THRUST_200600_302600_NS6detail15normal_iteratorINS8_10device_ptrIxEEEESD_jNS1_19radix_merge_compareILb0ELb0ExNS0_19identity_decomposerEEEEE10hipError_tT0_T1_T2_jT3_P12ihipStream_tbPNSt15iterator_traitsISI_E10value_typeEPNSO_ISJ_E10value_typeEPSK_NS1_7vsmem_tEENKUlT_SI_SJ_SK_E_clIPxSD_S10_SD_EESH_SX_SI_SJ_SK_EUlSX_E_NS1_11comp_targetILNS1_3genE5ELNS1_11target_archE942ELNS1_3gpuE9ELNS1_3repE0EEENS1_48merge_mergepath_partition_config_static_selectorELNS0_4arch9wavefront6targetE1EEEvSJ_.has_dyn_sized_stack, 0
	.set _ZN7rocprim17ROCPRIM_400000_NS6detail17trampoline_kernelINS0_14default_configENS1_38merge_sort_block_merge_config_selectorIxxEEZZNS1_27merge_sort_block_merge_implIS3_N6thrust23THRUST_200600_302600_NS6detail15normal_iteratorINS8_10device_ptrIxEEEESD_jNS1_19radix_merge_compareILb0ELb0ExNS0_19identity_decomposerEEEEE10hipError_tT0_T1_T2_jT3_P12ihipStream_tbPNSt15iterator_traitsISI_E10value_typeEPNSO_ISJ_E10value_typeEPSK_NS1_7vsmem_tEENKUlT_SI_SJ_SK_E_clIPxSD_S10_SD_EESH_SX_SI_SJ_SK_EUlSX_E_NS1_11comp_targetILNS1_3genE5ELNS1_11target_archE942ELNS1_3gpuE9ELNS1_3repE0EEENS1_48merge_mergepath_partition_config_static_selectorELNS0_4arch9wavefront6targetE1EEEvSJ_.has_recursion, 0
	.set _ZN7rocprim17ROCPRIM_400000_NS6detail17trampoline_kernelINS0_14default_configENS1_38merge_sort_block_merge_config_selectorIxxEEZZNS1_27merge_sort_block_merge_implIS3_N6thrust23THRUST_200600_302600_NS6detail15normal_iteratorINS8_10device_ptrIxEEEESD_jNS1_19radix_merge_compareILb0ELb0ExNS0_19identity_decomposerEEEEE10hipError_tT0_T1_T2_jT3_P12ihipStream_tbPNSt15iterator_traitsISI_E10value_typeEPNSO_ISJ_E10value_typeEPSK_NS1_7vsmem_tEENKUlT_SI_SJ_SK_E_clIPxSD_S10_SD_EESH_SX_SI_SJ_SK_EUlSX_E_NS1_11comp_targetILNS1_3genE5ELNS1_11target_archE942ELNS1_3gpuE9ELNS1_3repE0EEENS1_48merge_mergepath_partition_config_static_selectorELNS0_4arch9wavefront6targetE1EEEvSJ_.has_indirect_call, 0
	.section	.AMDGPU.csdata,"",@progbits
; Kernel info:
; codeLenInByte = 0
; TotalNumSgprs: 6
; NumVgprs: 0
; NumAgprs: 0
; TotalNumVgprs: 0
; ScratchSize: 0
; MemoryBound: 0
; FloatMode: 240
; IeeeMode: 1
; LDSByteSize: 0 bytes/workgroup (compile time only)
; SGPRBlocks: 0
; VGPRBlocks: 0
; NumSGPRsForWavesPerEU: 6
; NumVGPRsForWavesPerEU: 1
; AccumOffset: 4
; Occupancy: 8
; WaveLimiterHint : 0
; COMPUTE_PGM_RSRC2:SCRATCH_EN: 0
; COMPUTE_PGM_RSRC2:USER_SGPR: 2
; COMPUTE_PGM_RSRC2:TRAP_HANDLER: 0
; COMPUTE_PGM_RSRC2:TGID_X_EN: 1
; COMPUTE_PGM_RSRC2:TGID_Y_EN: 0
; COMPUTE_PGM_RSRC2:TGID_Z_EN: 0
; COMPUTE_PGM_RSRC2:TIDIG_COMP_CNT: 0
; COMPUTE_PGM_RSRC3_GFX90A:ACCUM_OFFSET: 0
; COMPUTE_PGM_RSRC3_GFX90A:TG_SPLIT: 0
	.section	.text._ZN7rocprim17ROCPRIM_400000_NS6detail17trampoline_kernelINS0_14default_configENS1_38merge_sort_block_merge_config_selectorIxxEEZZNS1_27merge_sort_block_merge_implIS3_N6thrust23THRUST_200600_302600_NS6detail15normal_iteratorINS8_10device_ptrIxEEEESD_jNS1_19radix_merge_compareILb0ELb0ExNS0_19identity_decomposerEEEEE10hipError_tT0_T1_T2_jT3_P12ihipStream_tbPNSt15iterator_traitsISI_E10value_typeEPNSO_ISJ_E10value_typeEPSK_NS1_7vsmem_tEENKUlT_SI_SJ_SK_E_clIPxSD_S10_SD_EESH_SX_SI_SJ_SK_EUlSX_E_NS1_11comp_targetILNS1_3genE4ELNS1_11target_archE910ELNS1_3gpuE8ELNS1_3repE0EEENS1_48merge_mergepath_partition_config_static_selectorELNS0_4arch9wavefront6targetE1EEEvSJ_,"axG",@progbits,_ZN7rocprim17ROCPRIM_400000_NS6detail17trampoline_kernelINS0_14default_configENS1_38merge_sort_block_merge_config_selectorIxxEEZZNS1_27merge_sort_block_merge_implIS3_N6thrust23THRUST_200600_302600_NS6detail15normal_iteratorINS8_10device_ptrIxEEEESD_jNS1_19radix_merge_compareILb0ELb0ExNS0_19identity_decomposerEEEEE10hipError_tT0_T1_T2_jT3_P12ihipStream_tbPNSt15iterator_traitsISI_E10value_typeEPNSO_ISJ_E10value_typeEPSK_NS1_7vsmem_tEENKUlT_SI_SJ_SK_E_clIPxSD_S10_SD_EESH_SX_SI_SJ_SK_EUlSX_E_NS1_11comp_targetILNS1_3genE4ELNS1_11target_archE910ELNS1_3gpuE8ELNS1_3repE0EEENS1_48merge_mergepath_partition_config_static_selectorELNS0_4arch9wavefront6targetE1EEEvSJ_,comdat
	.protected	_ZN7rocprim17ROCPRIM_400000_NS6detail17trampoline_kernelINS0_14default_configENS1_38merge_sort_block_merge_config_selectorIxxEEZZNS1_27merge_sort_block_merge_implIS3_N6thrust23THRUST_200600_302600_NS6detail15normal_iteratorINS8_10device_ptrIxEEEESD_jNS1_19radix_merge_compareILb0ELb0ExNS0_19identity_decomposerEEEEE10hipError_tT0_T1_T2_jT3_P12ihipStream_tbPNSt15iterator_traitsISI_E10value_typeEPNSO_ISJ_E10value_typeEPSK_NS1_7vsmem_tEENKUlT_SI_SJ_SK_E_clIPxSD_S10_SD_EESH_SX_SI_SJ_SK_EUlSX_E_NS1_11comp_targetILNS1_3genE4ELNS1_11target_archE910ELNS1_3gpuE8ELNS1_3repE0EEENS1_48merge_mergepath_partition_config_static_selectorELNS0_4arch9wavefront6targetE1EEEvSJ_ ; -- Begin function _ZN7rocprim17ROCPRIM_400000_NS6detail17trampoline_kernelINS0_14default_configENS1_38merge_sort_block_merge_config_selectorIxxEEZZNS1_27merge_sort_block_merge_implIS3_N6thrust23THRUST_200600_302600_NS6detail15normal_iteratorINS8_10device_ptrIxEEEESD_jNS1_19radix_merge_compareILb0ELb0ExNS0_19identity_decomposerEEEEE10hipError_tT0_T1_T2_jT3_P12ihipStream_tbPNSt15iterator_traitsISI_E10value_typeEPNSO_ISJ_E10value_typeEPSK_NS1_7vsmem_tEENKUlT_SI_SJ_SK_E_clIPxSD_S10_SD_EESH_SX_SI_SJ_SK_EUlSX_E_NS1_11comp_targetILNS1_3genE4ELNS1_11target_archE910ELNS1_3gpuE8ELNS1_3repE0EEENS1_48merge_mergepath_partition_config_static_selectorELNS0_4arch9wavefront6targetE1EEEvSJ_
	.globl	_ZN7rocprim17ROCPRIM_400000_NS6detail17trampoline_kernelINS0_14default_configENS1_38merge_sort_block_merge_config_selectorIxxEEZZNS1_27merge_sort_block_merge_implIS3_N6thrust23THRUST_200600_302600_NS6detail15normal_iteratorINS8_10device_ptrIxEEEESD_jNS1_19radix_merge_compareILb0ELb0ExNS0_19identity_decomposerEEEEE10hipError_tT0_T1_T2_jT3_P12ihipStream_tbPNSt15iterator_traitsISI_E10value_typeEPNSO_ISJ_E10value_typeEPSK_NS1_7vsmem_tEENKUlT_SI_SJ_SK_E_clIPxSD_S10_SD_EESH_SX_SI_SJ_SK_EUlSX_E_NS1_11comp_targetILNS1_3genE4ELNS1_11target_archE910ELNS1_3gpuE8ELNS1_3repE0EEENS1_48merge_mergepath_partition_config_static_selectorELNS0_4arch9wavefront6targetE1EEEvSJ_
	.p2align	8
	.type	_ZN7rocprim17ROCPRIM_400000_NS6detail17trampoline_kernelINS0_14default_configENS1_38merge_sort_block_merge_config_selectorIxxEEZZNS1_27merge_sort_block_merge_implIS3_N6thrust23THRUST_200600_302600_NS6detail15normal_iteratorINS8_10device_ptrIxEEEESD_jNS1_19radix_merge_compareILb0ELb0ExNS0_19identity_decomposerEEEEE10hipError_tT0_T1_T2_jT3_P12ihipStream_tbPNSt15iterator_traitsISI_E10value_typeEPNSO_ISJ_E10value_typeEPSK_NS1_7vsmem_tEENKUlT_SI_SJ_SK_E_clIPxSD_S10_SD_EESH_SX_SI_SJ_SK_EUlSX_E_NS1_11comp_targetILNS1_3genE4ELNS1_11target_archE910ELNS1_3gpuE8ELNS1_3repE0EEENS1_48merge_mergepath_partition_config_static_selectorELNS0_4arch9wavefront6targetE1EEEvSJ_,@function
_ZN7rocprim17ROCPRIM_400000_NS6detail17trampoline_kernelINS0_14default_configENS1_38merge_sort_block_merge_config_selectorIxxEEZZNS1_27merge_sort_block_merge_implIS3_N6thrust23THRUST_200600_302600_NS6detail15normal_iteratorINS8_10device_ptrIxEEEESD_jNS1_19radix_merge_compareILb0ELb0ExNS0_19identity_decomposerEEEEE10hipError_tT0_T1_T2_jT3_P12ihipStream_tbPNSt15iterator_traitsISI_E10value_typeEPNSO_ISJ_E10value_typeEPSK_NS1_7vsmem_tEENKUlT_SI_SJ_SK_E_clIPxSD_S10_SD_EESH_SX_SI_SJ_SK_EUlSX_E_NS1_11comp_targetILNS1_3genE4ELNS1_11target_archE910ELNS1_3gpuE8ELNS1_3repE0EEENS1_48merge_mergepath_partition_config_static_selectorELNS0_4arch9wavefront6targetE1EEEvSJ_: ; @_ZN7rocprim17ROCPRIM_400000_NS6detail17trampoline_kernelINS0_14default_configENS1_38merge_sort_block_merge_config_selectorIxxEEZZNS1_27merge_sort_block_merge_implIS3_N6thrust23THRUST_200600_302600_NS6detail15normal_iteratorINS8_10device_ptrIxEEEESD_jNS1_19radix_merge_compareILb0ELb0ExNS0_19identity_decomposerEEEEE10hipError_tT0_T1_T2_jT3_P12ihipStream_tbPNSt15iterator_traitsISI_E10value_typeEPNSO_ISJ_E10value_typeEPSK_NS1_7vsmem_tEENKUlT_SI_SJ_SK_E_clIPxSD_S10_SD_EESH_SX_SI_SJ_SK_EUlSX_E_NS1_11comp_targetILNS1_3genE4ELNS1_11target_archE910ELNS1_3gpuE8ELNS1_3repE0EEENS1_48merge_mergepath_partition_config_static_selectorELNS0_4arch9wavefront6targetE1EEEvSJ_
; %bb.0:
	.section	.rodata,"a",@progbits
	.p2align	6, 0x0
	.amdhsa_kernel _ZN7rocprim17ROCPRIM_400000_NS6detail17trampoline_kernelINS0_14default_configENS1_38merge_sort_block_merge_config_selectorIxxEEZZNS1_27merge_sort_block_merge_implIS3_N6thrust23THRUST_200600_302600_NS6detail15normal_iteratorINS8_10device_ptrIxEEEESD_jNS1_19radix_merge_compareILb0ELb0ExNS0_19identity_decomposerEEEEE10hipError_tT0_T1_T2_jT3_P12ihipStream_tbPNSt15iterator_traitsISI_E10value_typeEPNSO_ISJ_E10value_typeEPSK_NS1_7vsmem_tEENKUlT_SI_SJ_SK_E_clIPxSD_S10_SD_EESH_SX_SI_SJ_SK_EUlSX_E_NS1_11comp_targetILNS1_3genE4ELNS1_11target_archE910ELNS1_3gpuE8ELNS1_3repE0EEENS1_48merge_mergepath_partition_config_static_selectorELNS0_4arch9wavefront6targetE1EEEvSJ_
		.amdhsa_group_segment_fixed_size 0
		.amdhsa_private_segment_fixed_size 0
		.amdhsa_kernarg_size 40
		.amdhsa_user_sgpr_count 2
		.amdhsa_user_sgpr_dispatch_ptr 0
		.amdhsa_user_sgpr_queue_ptr 0
		.amdhsa_user_sgpr_kernarg_segment_ptr 1
		.amdhsa_user_sgpr_dispatch_id 0
		.amdhsa_user_sgpr_kernarg_preload_length 0
		.amdhsa_user_sgpr_kernarg_preload_offset 0
		.amdhsa_user_sgpr_private_segment_size 0
		.amdhsa_uses_dynamic_stack 0
		.amdhsa_enable_private_segment 0
		.amdhsa_system_sgpr_workgroup_id_x 1
		.amdhsa_system_sgpr_workgroup_id_y 0
		.amdhsa_system_sgpr_workgroup_id_z 0
		.amdhsa_system_sgpr_workgroup_info 0
		.amdhsa_system_vgpr_workitem_id 0
		.amdhsa_next_free_vgpr 1
		.amdhsa_next_free_sgpr 0
		.amdhsa_accum_offset 4
		.amdhsa_reserve_vcc 0
		.amdhsa_float_round_mode_32 0
		.amdhsa_float_round_mode_16_64 0
		.amdhsa_float_denorm_mode_32 3
		.amdhsa_float_denorm_mode_16_64 3
		.amdhsa_dx10_clamp 1
		.amdhsa_ieee_mode 1
		.amdhsa_fp16_overflow 0
		.amdhsa_tg_split 0
		.amdhsa_exception_fp_ieee_invalid_op 0
		.amdhsa_exception_fp_denorm_src 0
		.amdhsa_exception_fp_ieee_div_zero 0
		.amdhsa_exception_fp_ieee_overflow 0
		.amdhsa_exception_fp_ieee_underflow 0
		.amdhsa_exception_fp_ieee_inexact 0
		.amdhsa_exception_int_div_zero 0
	.end_amdhsa_kernel
	.section	.text._ZN7rocprim17ROCPRIM_400000_NS6detail17trampoline_kernelINS0_14default_configENS1_38merge_sort_block_merge_config_selectorIxxEEZZNS1_27merge_sort_block_merge_implIS3_N6thrust23THRUST_200600_302600_NS6detail15normal_iteratorINS8_10device_ptrIxEEEESD_jNS1_19radix_merge_compareILb0ELb0ExNS0_19identity_decomposerEEEEE10hipError_tT0_T1_T2_jT3_P12ihipStream_tbPNSt15iterator_traitsISI_E10value_typeEPNSO_ISJ_E10value_typeEPSK_NS1_7vsmem_tEENKUlT_SI_SJ_SK_E_clIPxSD_S10_SD_EESH_SX_SI_SJ_SK_EUlSX_E_NS1_11comp_targetILNS1_3genE4ELNS1_11target_archE910ELNS1_3gpuE8ELNS1_3repE0EEENS1_48merge_mergepath_partition_config_static_selectorELNS0_4arch9wavefront6targetE1EEEvSJ_,"axG",@progbits,_ZN7rocprim17ROCPRIM_400000_NS6detail17trampoline_kernelINS0_14default_configENS1_38merge_sort_block_merge_config_selectorIxxEEZZNS1_27merge_sort_block_merge_implIS3_N6thrust23THRUST_200600_302600_NS6detail15normal_iteratorINS8_10device_ptrIxEEEESD_jNS1_19radix_merge_compareILb0ELb0ExNS0_19identity_decomposerEEEEE10hipError_tT0_T1_T2_jT3_P12ihipStream_tbPNSt15iterator_traitsISI_E10value_typeEPNSO_ISJ_E10value_typeEPSK_NS1_7vsmem_tEENKUlT_SI_SJ_SK_E_clIPxSD_S10_SD_EESH_SX_SI_SJ_SK_EUlSX_E_NS1_11comp_targetILNS1_3genE4ELNS1_11target_archE910ELNS1_3gpuE8ELNS1_3repE0EEENS1_48merge_mergepath_partition_config_static_selectorELNS0_4arch9wavefront6targetE1EEEvSJ_,comdat
.Lfunc_end1068:
	.size	_ZN7rocprim17ROCPRIM_400000_NS6detail17trampoline_kernelINS0_14default_configENS1_38merge_sort_block_merge_config_selectorIxxEEZZNS1_27merge_sort_block_merge_implIS3_N6thrust23THRUST_200600_302600_NS6detail15normal_iteratorINS8_10device_ptrIxEEEESD_jNS1_19radix_merge_compareILb0ELb0ExNS0_19identity_decomposerEEEEE10hipError_tT0_T1_T2_jT3_P12ihipStream_tbPNSt15iterator_traitsISI_E10value_typeEPNSO_ISJ_E10value_typeEPSK_NS1_7vsmem_tEENKUlT_SI_SJ_SK_E_clIPxSD_S10_SD_EESH_SX_SI_SJ_SK_EUlSX_E_NS1_11comp_targetILNS1_3genE4ELNS1_11target_archE910ELNS1_3gpuE8ELNS1_3repE0EEENS1_48merge_mergepath_partition_config_static_selectorELNS0_4arch9wavefront6targetE1EEEvSJ_, .Lfunc_end1068-_ZN7rocprim17ROCPRIM_400000_NS6detail17trampoline_kernelINS0_14default_configENS1_38merge_sort_block_merge_config_selectorIxxEEZZNS1_27merge_sort_block_merge_implIS3_N6thrust23THRUST_200600_302600_NS6detail15normal_iteratorINS8_10device_ptrIxEEEESD_jNS1_19radix_merge_compareILb0ELb0ExNS0_19identity_decomposerEEEEE10hipError_tT0_T1_T2_jT3_P12ihipStream_tbPNSt15iterator_traitsISI_E10value_typeEPNSO_ISJ_E10value_typeEPSK_NS1_7vsmem_tEENKUlT_SI_SJ_SK_E_clIPxSD_S10_SD_EESH_SX_SI_SJ_SK_EUlSX_E_NS1_11comp_targetILNS1_3genE4ELNS1_11target_archE910ELNS1_3gpuE8ELNS1_3repE0EEENS1_48merge_mergepath_partition_config_static_selectorELNS0_4arch9wavefront6targetE1EEEvSJ_
                                        ; -- End function
	.set _ZN7rocprim17ROCPRIM_400000_NS6detail17trampoline_kernelINS0_14default_configENS1_38merge_sort_block_merge_config_selectorIxxEEZZNS1_27merge_sort_block_merge_implIS3_N6thrust23THRUST_200600_302600_NS6detail15normal_iteratorINS8_10device_ptrIxEEEESD_jNS1_19radix_merge_compareILb0ELb0ExNS0_19identity_decomposerEEEEE10hipError_tT0_T1_T2_jT3_P12ihipStream_tbPNSt15iterator_traitsISI_E10value_typeEPNSO_ISJ_E10value_typeEPSK_NS1_7vsmem_tEENKUlT_SI_SJ_SK_E_clIPxSD_S10_SD_EESH_SX_SI_SJ_SK_EUlSX_E_NS1_11comp_targetILNS1_3genE4ELNS1_11target_archE910ELNS1_3gpuE8ELNS1_3repE0EEENS1_48merge_mergepath_partition_config_static_selectorELNS0_4arch9wavefront6targetE1EEEvSJ_.num_vgpr, 0
	.set _ZN7rocprim17ROCPRIM_400000_NS6detail17trampoline_kernelINS0_14default_configENS1_38merge_sort_block_merge_config_selectorIxxEEZZNS1_27merge_sort_block_merge_implIS3_N6thrust23THRUST_200600_302600_NS6detail15normal_iteratorINS8_10device_ptrIxEEEESD_jNS1_19radix_merge_compareILb0ELb0ExNS0_19identity_decomposerEEEEE10hipError_tT0_T1_T2_jT3_P12ihipStream_tbPNSt15iterator_traitsISI_E10value_typeEPNSO_ISJ_E10value_typeEPSK_NS1_7vsmem_tEENKUlT_SI_SJ_SK_E_clIPxSD_S10_SD_EESH_SX_SI_SJ_SK_EUlSX_E_NS1_11comp_targetILNS1_3genE4ELNS1_11target_archE910ELNS1_3gpuE8ELNS1_3repE0EEENS1_48merge_mergepath_partition_config_static_selectorELNS0_4arch9wavefront6targetE1EEEvSJ_.num_agpr, 0
	.set _ZN7rocprim17ROCPRIM_400000_NS6detail17trampoline_kernelINS0_14default_configENS1_38merge_sort_block_merge_config_selectorIxxEEZZNS1_27merge_sort_block_merge_implIS3_N6thrust23THRUST_200600_302600_NS6detail15normal_iteratorINS8_10device_ptrIxEEEESD_jNS1_19radix_merge_compareILb0ELb0ExNS0_19identity_decomposerEEEEE10hipError_tT0_T1_T2_jT3_P12ihipStream_tbPNSt15iterator_traitsISI_E10value_typeEPNSO_ISJ_E10value_typeEPSK_NS1_7vsmem_tEENKUlT_SI_SJ_SK_E_clIPxSD_S10_SD_EESH_SX_SI_SJ_SK_EUlSX_E_NS1_11comp_targetILNS1_3genE4ELNS1_11target_archE910ELNS1_3gpuE8ELNS1_3repE0EEENS1_48merge_mergepath_partition_config_static_selectorELNS0_4arch9wavefront6targetE1EEEvSJ_.numbered_sgpr, 0
	.set _ZN7rocprim17ROCPRIM_400000_NS6detail17trampoline_kernelINS0_14default_configENS1_38merge_sort_block_merge_config_selectorIxxEEZZNS1_27merge_sort_block_merge_implIS3_N6thrust23THRUST_200600_302600_NS6detail15normal_iteratorINS8_10device_ptrIxEEEESD_jNS1_19radix_merge_compareILb0ELb0ExNS0_19identity_decomposerEEEEE10hipError_tT0_T1_T2_jT3_P12ihipStream_tbPNSt15iterator_traitsISI_E10value_typeEPNSO_ISJ_E10value_typeEPSK_NS1_7vsmem_tEENKUlT_SI_SJ_SK_E_clIPxSD_S10_SD_EESH_SX_SI_SJ_SK_EUlSX_E_NS1_11comp_targetILNS1_3genE4ELNS1_11target_archE910ELNS1_3gpuE8ELNS1_3repE0EEENS1_48merge_mergepath_partition_config_static_selectorELNS0_4arch9wavefront6targetE1EEEvSJ_.num_named_barrier, 0
	.set _ZN7rocprim17ROCPRIM_400000_NS6detail17trampoline_kernelINS0_14default_configENS1_38merge_sort_block_merge_config_selectorIxxEEZZNS1_27merge_sort_block_merge_implIS3_N6thrust23THRUST_200600_302600_NS6detail15normal_iteratorINS8_10device_ptrIxEEEESD_jNS1_19radix_merge_compareILb0ELb0ExNS0_19identity_decomposerEEEEE10hipError_tT0_T1_T2_jT3_P12ihipStream_tbPNSt15iterator_traitsISI_E10value_typeEPNSO_ISJ_E10value_typeEPSK_NS1_7vsmem_tEENKUlT_SI_SJ_SK_E_clIPxSD_S10_SD_EESH_SX_SI_SJ_SK_EUlSX_E_NS1_11comp_targetILNS1_3genE4ELNS1_11target_archE910ELNS1_3gpuE8ELNS1_3repE0EEENS1_48merge_mergepath_partition_config_static_selectorELNS0_4arch9wavefront6targetE1EEEvSJ_.private_seg_size, 0
	.set _ZN7rocprim17ROCPRIM_400000_NS6detail17trampoline_kernelINS0_14default_configENS1_38merge_sort_block_merge_config_selectorIxxEEZZNS1_27merge_sort_block_merge_implIS3_N6thrust23THRUST_200600_302600_NS6detail15normal_iteratorINS8_10device_ptrIxEEEESD_jNS1_19radix_merge_compareILb0ELb0ExNS0_19identity_decomposerEEEEE10hipError_tT0_T1_T2_jT3_P12ihipStream_tbPNSt15iterator_traitsISI_E10value_typeEPNSO_ISJ_E10value_typeEPSK_NS1_7vsmem_tEENKUlT_SI_SJ_SK_E_clIPxSD_S10_SD_EESH_SX_SI_SJ_SK_EUlSX_E_NS1_11comp_targetILNS1_3genE4ELNS1_11target_archE910ELNS1_3gpuE8ELNS1_3repE0EEENS1_48merge_mergepath_partition_config_static_selectorELNS0_4arch9wavefront6targetE1EEEvSJ_.uses_vcc, 0
	.set _ZN7rocprim17ROCPRIM_400000_NS6detail17trampoline_kernelINS0_14default_configENS1_38merge_sort_block_merge_config_selectorIxxEEZZNS1_27merge_sort_block_merge_implIS3_N6thrust23THRUST_200600_302600_NS6detail15normal_iteratorINS8_10device_ptrIxEEEESD_jNS1_19radix_merge_compareILb0ELb0ExNS0_19identity_decomposerEEEEE10hipError_tT0_T1_T2_jT3_P12ihipStream_tbPNSt15iterator_traitsISI_E10value_typeEPNSO_ISJ_E10value_typeEPSK_NS1_7vsmem_tEENKUlT_SI_SJ_SK_E_clIPxSD_S10_SD_EESH_SX_SI_SJ_SK_EUlSX_E_NS1_11comp_targetILNS1_3genE4ELNS1_11target_archE910ELNS1_3gpuE8ELNS1_3repE0EEENS1_48merge_mergepath_partition_config_static_selectorELNS0_4arch9wavefront6targetE1EEEvSJ_.uses_flat_scratch, 0
	.set _ZN7rocprim17ROCPRIM_400000_NS6detail17trampoline_kernelINS0_14default_configENS1_38merge_sort_block_merge_config_selectorIxxEEZZNS1_27merge_sort_block_merge_implIS3_N6thrust23THRUST_200600_302600_NS6detail15normal_iteratorINS8_10device_ptrIxEEEESD_jNS1_19radix_merge_compareILb0ELb0ExNS0_19identity_decomposerEEEEE10hipError_tT0_T1_T2_jT3_P12ihipStream_tbPNSt15iterator_traitsISI_E10value_typeEPNSO_ISJ_E10value_typeEPSK_NS1_7vsmem_tEENKUlT_SI_SJ_SK_E_clIPxSD_S10_SD_EESH_SX_SI_SJ_SK_EUlSX_E_NS1_11comp_targetILNS1_3genE4ELNS1_11target_archE910ELNS1_3gpuE8ELNS1_3repE0EEENS1_48merge_mergepath_partition_config_static_selectorELNS0_4arch9wavefront6targetE1EEEvSJ_.has_dyn_sized_stack, 0
	.set _ZN7rocprim17ROCPRIM_400000_NS6detail17trampoline_kernelINS0_14default_configENS1_38merge_sort_block_merge_config_selectorIxxEEZZNS1_27merge_sort_block_merge_implIS3_N6thrust23THRUST_200600_302600_NS6detail15normal_iteratorINS8_10device_ptrIxEEEESD_jNS1_19radix_merge_compareILb0ELb0ExNS0_19identity_decomposerEEEEE10hipError_tT0_T1_T2_jT3_P12ihipStream_tbPNSt15iterator_traitsISI_E10value_typeEPNSO_ISJ_E10value_typeEPSK_NS1_7vsmem_tEENKUlT_SI_SJ_SK_E_clIPxSD_S10_SD_EESH_SX_SI_SJ_SK_EUlSX_E_NS1_11comp_targetILNS1_3genE4ELNS1_11target_archE910ELNS1_3gpuE8ELNS1_3repE0EEENS1_48merge_mergepath_partition_config_static_selectorELNS0_4arch9wavefront6targetE1EEEvSJ_.has_recursion, 0
	.set _ZN7rocprim17ROCPRIM_400000_NS6detail17trampoline_kernelINS0_14default_configENS1_38merge_sort_block_merge_config_selectorIxxEEZZNS1_27merge_sort_block_merge_implIS3_N6thrust23THRUST_200600_302600_NS6detail15normal_iteratorINS8_10device_ptrIxEEEESD_jNS1_19radix_merge_compareILb0ELb0ExNS0_19identity_decomposerEEEEE10hipError_tT0_T1_T2_jT3_P12ihipStream_tbPNSt15iterator_traitsISI_E10value_typeEPNSO_ISJ_E10value_typeEPSK_NS1_7vsmem_tEENKUlT_SI_SJ_SK_E_clIPxSD_S10_SD_EESH_SX_SI_SJ_SK_EUlSX_E_NS1_11comp_targetILNS1_3genE4ELNS1_11target_archE910ELNS1_3gpuE8ELNS1_3repE0EEENS1_48merge_mergepath_partition_config_static_selectorELNS0_4arch9wavefront6targetE1EEEvSJ_.has_indirect_call, 0
	.section	.AMDGPU.csdata,"",@progbits
; Kernel info:
; codeLenInByte = 0
; TotalNumSgprs: 6
; NumVgprs: 0
; NumAgprs: 0
; TotalNumVgprs: 0
; ScratchSize: 0
; MemoryBound: 0
; FloatMode: 240
; IeeeMode: 1
; LDSByteSize: 0 bytes/workgroup (compile time only)
; SGPRBlocks: 0
; VGPRBlocks: 0
; NumSGPRsForWavesPerEU: 6
; NumVGPRsForWavesPerEU: 1
; AccumOffset: 4
; Occupancy: 8
; WaveLimiterHint : 0
; COMPUTE_PGM_RSRC2:SCRATCH_EN: 0
; COMPUTE_PGM_RSRC2:USER_SGPR: 2
; COMPUTE_PGM_RSRC2:TRAP_HANDLER: 0
; COMPUTE_PGM_RSRC2:TGID_X_EN: 1
; COMPUTE_PGM_RSRC2:TGID_Y_EN: 0
; COMPUTE_PGM_RSRC2:TGID_Z_EN: 0
; COMPUTE_PGM_RSRC2:TIDIG_COMP_CNT: 0
; COMPUTE_PGM_RSRC3_GFX90A:ACCUM_OFFSET: 0
; COMPUTE_PGM_RSRC3_GFX90A:TG_SPLIT: 0
	.section	.text._ZN7rocprim17ROCPRIM_400000_NS6detail17trampoline_kernelINS0_14default_configENS1_38merge_sort_block_merge_config_selectorIxxEEZZNS1_27merge_sort_block_merge_implIS3_N6thrust23THRUST_200600_302600_NS6detail15normal_iteratorINS8_10device_ptrIxEEEESD_jNS1_19radix_merge_compareILb0ELb0ExNS0_19identity_decomposerEEEEE10hipError_tT0_T1_T2_jT3_P12ihipStream_tbPNSt15iterator_traitsISI_E10value_typeEPNSO_ISJ_E10value_typeEPSK_NS1_7vsmem_tEENKUlT_SI_SJ_SK_E_clIPxSD_S10_SD_EESH_SX_SI_SJ_SK_EUlSX_E_NS1_11comp_targetILNS1_3genE3ELNS1_11target_archE908ELNS1_3gpuE7ELNS1_3repE0EEENS1_48merge_mergepath_partition_config_static_selectorELNS0_4arch9wavefront6targetE1EEEvSJ_,"axG",@progbits,_ZN7rocprim17ROCPRIM_400000_NS6detail17trampoline_kernelINS0_14default_configENS1_38merge_sort_block_merge_config_selectorIxxEEZZNS1_27merge_sort_block_merge_implIS3_N6thrust23THRUST_200600_302600_NS6detail15normal_iteratorINS8_10device_ptrIxEEEESD_jNS1_19radix_merge_compareILb0ELb0ExNS0_19identity_decomposerEEEEE10hipError_tT0_T1_T2_jT3_P12ihipStream_tbPNSt15iterator_traitsISI_E10value_typeEPNSO_ISJ_E10value_typeEPSK_NS1_7vsmem_tEENKUlT_SI_SJ_SK_E_clIPxSD_S10_SD_EESH_SX_SI_SJ_SK_EUlSX_E_NS1_11comp_targetILNS1_3genE3ELNS1_11target_archE908ELNS1_3gpuE7ELNS1_3repE0EEENS1_48merge_mergepath_partition_config_static_selectorELNS0_4arch9wavefront6targetE1EEEvSJ_,comdat
	.protected	_ZN7rocprim17ROCPRIM_400000_NS6detail17trampoline_kernelINS0_14default_configENS1_38merge_sort_block_merge_config_selectorIxxEEZZNS1_27merge_sort_block_merge_implIS3_N6thrust23THRUST_200600_302600_NS6detail15normal_iteratorINS8_10device_ptrIxEEEESD_jNS1_19radix_merge_compareILb0ELb0ExNS0_19identity_decomposerEEEEE10hipError_tT0_T1_T2_jT3_P12ihipStream_tbPNSt15iterator_traitsISI_E10value_typeEPNSO_ISJ_E10value_typeEPSK_NS1_7vsmem_tEENKUlT_SI_SJ_SK_E_clIPxSD_S10_SD_EESH_SX_SI_SJ_SK_EUlSX_E_NS1_11comp_targetILNS1_3genE3ELNS1_11target_archE908ELNS1_3gpuE7ELNS1_3repE0EEENS1_48merge_mergepath_partition_config_static_selectorELNS0_4arch9wavefront6targetE1EEEvSJ_ ; -- Begin function _ZN7rocprim17ROCPRIM_400000_NS6detail17trampoline_kernelINS0_14default_configENS1_38merge_sort_block_merge_config_selectorIxxEEZZNS1_27merge_sort_block_merge_implIS3_N6thrust23THRUST_200600_302600_NS6detail15normal_iteratorINS8_10device_ptrIxEEEESD_jNS1_19radix_merge_compareILb0ELb0ExNS0_19identity_decomposerEEEEE10hipError_tT0_T1_T2_jT3_P12ihipStream_tbPNSt15iterator_traitsISI_E10value_typeEPNSO_ISJ_E10value_typeEPSK_NS1_7vsmem_tEENKUlT_SI_SJ_SK_E_clIPxSD_S10_SD_EESH_SX_SI_SJ_SK_EUlSX_E_NS1_11comp_targetILNS1_3genE3ELNS1_11target_archE908ELNS1_3gpuE7ELNS1_3repE0EEENS1_48merge_mergepath_partition_config_static_selectorELNS0_4arch9wavefront6targetE1EEEvSJ_
	.globl	_ZN7rocprim17ROCPRIM_400000_NS6detail17trampoline_kernelINS0_14default_configENS1_38merge_sort_block_merge_config_selectorIxxEEZZNS1_27merge_sort_block_merge_implIS3_N6thrust23THRUST_200600_302600_NS6detail15normal_iteratorINS8_10device_ptrIxEEEESD_jNS1_19radix_merge_compareILb0ELb0ExNS0_19identity_decomposerEEEEE10hipError_tT0_T1_T2_jT3_P12ihipStream_tbPNSt15iterator_traitsISI_E10value_typeEPNSO_ISJ_E10value_typeEPSK_NS1_7vsmem_tEENKUlT_SI_SJ_SK_E_clIPxSD_S10_SD_EESH_SX_SI_SJ_SK_EUlSX_E_NS1_11comp_targetILNS1_3genE3ELNS1_11target_archE908ELNS1_3gpuE7ELNS1_3repE0EEENS1_48merge_mergepath_partition_config_static_selectorELNS0_4arch9wavefront6targetE1EEEvSJ_
	.p2align	8
	.type	_ZN7rocprim17ROCPRIM_400000_NS6detail17trampoline_kernelINS0_14default_configENS1_38merge_sort_block_merge_config_selectorIxxEEZZNS1_27merge_sort_block_merge_implIS3_N6thrust23THRUST_200600_302600_NS6detail15normal_iteratorINS8_10device_ptrIxEEEESD_jNS1_19radix_merge_compareILb0ELb0ExNS0_19identity_decomposerEEEEE10hipError_tT0_T1_T2_jT3_P12ihipStream_tbPNSt15iterator_traitsISI_E10value_typeEPNSO_ISJ_E10value_typeEPSK_NS1_7vsmem_tEENKUlT_SI_SJ_SK_E_clIPxSD_S10_SD_EESH_SX_SI_SJ_SK_EUlSX_E_NS1_11comp_targetILNS1_3genE3ELNS1_11target_archE908ELNS1_3gpuE7ELNS1_3repE0EEENS1_48merge_mergepath_partition_config_static_selectorELNS0_4arch9wavefront6targetE1EEEvSJ_,@function
_ZN7rocprim17ROCPRIM_400000_NS6detail17trampoline_kernelINS0_14default_configENS1_38merge_sort_block_merge_config_selectorIxxEEZZNS1_27merge_sort_block_merge_implIS3_N6thrust23THRUST_200600_302600_NS6detail15normal_iteratorINS8_10device_ptrIxEEEESD_jNS1_19radix_merge_compareILb0ELb0ExNS0_19identity_decomposerEEEEE10hipError_tT0_T1_T2_jT3_P12ihipStream_tbPNSt15iterator_traitsISI_E10value_typeEPNSO_ISJ_E10value_typeEPSK_NS1_7vsmem_tEENKUlT_SI_SJ_SK_E_clIPxSD_S10_SD_EESH_SX_SI_SJ_SK_EUlSX_E_NS1_11comp_targetILNS1_3genE3ELNS1_11target_archE908ELNS1_3gpuE7ELNS1_3repE0EEENS1_48merge_mergepath_partition_config_static_selectorELNS0_4arch9wavefront6targetE1EEEvSJ_: ; @_ZN7rocprim17ROCPRIM_400000_NS6detail17trampoline_kernelINS0_14default_configENS1_38merge_sort_block_merge_config_selectorIxxEEZZNS1_27merge_sort_block_merge_implIS3_N6thrust23THRUST_200600_302600_NS6detail15normal_iteratorINS8_10device_ptrIxEEEESD_jNS1_19radix_merge_compareILb0ELb0ExNS0_19identity_decomposerEEEEE10hipError_tT0_T1_T2_jT3_P12ihipStream_tbPNSt15iterator_traitsISI_E10value_typeEPNSO_ISJ_E10value_typeEPSK_NS1_7vsmem_tEENKUlT_SI_SJ_SK_E_clIPxSD_S10_SD_EESH_SX_SI_SJ_SK_EUlSX_E_NS1_11comp_targetILNS1_3genE3ELNS1_11target_archE908ELNS1_3gpuE7ELNS1_3repE0EEENS1_48merge_mergepath_partition_config_static_selectorELNS0_4arch9wavefront6targetE1EEEvSJ_
; %bb.0:
	.section	.rodata,"a",@progbits
	.p2align	6, 0x0
	.amdhsa_kernel _ZN7rocprim17ROCPRIM_400000_NS6detail17trampoline_kernelINS0_14default_configENS1_38merge_sort_block_merge_config_selectorIxxEEZZNS1_27merge_sort_block_merge_implIS3_N6thrust23THRUST_200600_302600_NS6detail15normal_iteratorINS8_10device_ptrIxEEEESD_jNS1_19radix_merge_compareILb0ELb0ExNS0_19identity_decomposerEEEEE10hipError_tT0_T1_T2_jT3_P12ihipStream_tbPNSt15iterator_traitsISI_E10value_typeEPNSO_ISJ_E10value_typeEPSK_NS1_7vsmem_tEENKUlT_SI_SJ_SK_E_clIPxSD_S10_SD_EESH_SX_SI_SJ_SK_EUlSX_E_NS1_11comp_targetILNS1_3genE3ELNS1_11target_archE908ELNS1_3gpuE7ELNS1_3repE0EEENS1_48merge_mergepath_partition_config_static_selectorELNS0_4arch9wavefront6targetE1EEEvSJ_
		.amdhsa_group_segment_fixed_size 0
		.amdhsa_private_segment_fixed_size 0
		.amdhsa_kernarg_size 40
		.amdhsa_user_sgpr_count 2
		.amdhsa_user_sgpr_dispatch_ptr 0
		.amdhsa_user_sgpr_queue_ptr 0
		.amdhsa_user_sgpr_kernarg_segment_ptr 1
		.amdhsa_user_sgpr_dispatch_id 0
		.amdhsa_user_sgpr_kernarg_preload_length 0
		.amdhsa_user_sgpr_kernarg_preload_offset 0
		.amdhsa_user_sgpr_private_segment_size 0
		.amdhsa_uses_dynamic_stack 0
		.amdhsa_enable_private_segment 0
		.amdhsa_system_sgpr_workgroup_id_x 1
		.amdhsa_system_sgpr_workgroup_id_y 0
		.amdhsa_system_sgpr_workgroup_id_z 0
		.amdhsa_system_sgpr_workgroup_info 0
		.amdhsa_system_vgpr_workitem_id 0
		.amdhsa_next_free_vgpr 1
		.amdhsa_next_free_sgpr 0
		.amdhsa_accum_offset 4
		.amdhsa_reserve_vcc 0
		.amdhsa_float_round_mode_32 0
		.amdhsa_float_round_mode_16_64 0
		.amdhsa_float_denorm_mode_32 3
		.amdhsa_float_denorm_mode_16_64 3
		.amdhsa_dx10_clamp 1
		.amdhsa_ieee_mode 1
		.amdhsa_fp16_overflow 0
		.amdhsa_tg_split 0
		.amdhsa_exception_fp_ieee_invalid_op 0
		.amdhsa_exception_fp_denorm_src 0
		.amdhsa_exception_fp_ieee_div_zero 0
		.amdhsa_exception_fp_ieee_overflow 0
		.amdhsa_exception_fp_ieee_underflow 0
		.amdhsa_exception_fp_ieee_inexact 0
		.amdhsa_exception_int_div_zero 0
	.end_amdhsa_kernel
	.section	.text._ZN7rocprim17ROCPRIM_400000_NS6detail17trampoline_kernelINS0_14default_configENS1_38merge_sort_block_merge_config_selectorIxxEEZZNS1_27merge_sort_block_merge_implIS3_N6thrust23THRUST_200600_302600_NS6detail15normal_iteratorINS8_10device_ptrIxEEEESD_jNS1_19radix_merge_compareILb0ELb0ExNS0_19identity_decomposerEEEEE10hipError_tT0_T1_T2_jT3_P12ihipStream_tbPNSt15iterator_traitsISI_E10value_typeEPNSO_ISJ_E10value_typeEPSK_NS1_7vsmem_tEENKUlT_SI_SJ_SK_E_clIPxSD_S10_SD_EESH_SX_SI_SJ_SK_EUlSX_E_NS1_11comp_targetILNS1_3genE3ELNS1_11target_archE908ELNS1_3gpuE7ELNS1_3repE0EEENS1_48merge_mergepath_partition_config_static_selectorELNS0_4arch9wavefront6targetE1EEEvSJ_,"axG",@progbits,_ZN7rocprim17ROCPRIM_400000_NS6detail17trampoline_kernelINS0_14default_configENS1_38merge_sort_block_merge_config_selectorIxxEEZZNS1_27merge_sort_block_merge_implIS3_N6thrust23THRUST_200600_302600_NS6detail15normal_iteratorINS8_10device_ptrIxEEEESD_jNS1_19radix_merge_compareILb0ELb0ExNS0_19identity_decomposerEEEEE10hipError_tT0_T1_T2_jT3_P12ihipStream_tbPNSt15iterator_traitsISI_E10value_typeEPNSO_ISJ_E10value_typeEPSK_NS1_7vsmem_tEENKUlT_SI_SJ_SK_E_clIPxSD_S10_SD_EESH_SX_SI_SJ_SK_EUlSX_E_NS1_11comp_targetILNS1_3genE3ELNS1_11target_archE908ELNS1_3gpuE7ELNS1_3repE0EEENS1_48merge_mergepath_partition_config_static_selectorELNS0_4arch9wavefront6targetE1EEEvSJ_,comdat
.Lfunc_end1069:
	.size	_ZN7rocprim17ROCPRIM_400000_NS6detail17trampoline_kernelINS0_14default_configENS1_38merge_sort_block_merge_config_selectorIxxEEZZNS1_27merge_sort_block_merge_implIS3_N6thrust23THRUST_200600_302600_NS6detail15normal_iteratorINS8_10device_ptrIxEEEESD_jNS1_19radix_merge_compareILb0ELb0ExNS0_19identity_decomposerEEEEE10hipError_tT0_T1_T2_jT3_P12ihipStream_tbPNSt15iterator_traitsISI_E10value_typeEPNSO_ISJ_E10value_typeEPSK_NS1_7vsmem_tEENKUlT_SI_SJ_SK_E_clIPxSD_S10_SD_EESH_SX_SI_SJ_SK_EUlSX_E_NS1_11comp_targetILNS1_3genE3ELNS1_11target_archE908ELNS1_3gpuE7ELNS1_3repE0EEENS1_48merge_mergepath_partition_config_static_selectorELNS0_4arch9wavefront6targetE1EEEvSJ_, .Lfunc_end1069-_ZN7rocprim17ROCPRIM_400000_NS6detail17trampoline_kernelINS0_14default_configENS1_38merge_sort_block_merge_config_selectorIxxEEZZNS1_27merge_sort_block_merge_implIS3_N6thrust23THRUST_200600_302600_NS6detail15normal_iteratorINS8_10device_ptrIxEEEESD_jNS1_19radix_merge_compareILb0ELb0ExNS0_19identity_decomposerEEEEE10hipError_tT0_T1_T2_jT3_P12ihipStream_tbPNSt15iterator_traitsISI_E10value_typeEPNSO_ISJ_E10value_typeEPSK_NS1_7vsmem_tEENKUlT_SI_SJ_SK_E_clIPxSD_S10_SD_EESH_SX_SI_SJ_SK_EUlSX_E_NS1_11comp_targetILNS1_3genE3ELNS1_11target_archE908ELNS1_3gpuE7ELNS1_3repE0EEENS1_48merge_mergepath_partition_config_static_selectorELNS0_4arch9wavefront6targetE1EEEvSJ_
                                        ; -- End function
	.set _ZN7rocprim17ROCPRIM_400000_NS6detail17trampoline_kernelINS0_14default_configENS1_38merge_sort_block_merge_config_selectorIxxEEZZNS1_27merge_sort_block_merge_implIS3_N6thrust23THRUST_200600_302600_NS6detail15normal_iteratorINS8_10device_ptrIxEEEESD_jNS1_19radix_merge_compareILb0ELb0ExNS0_19identity_decomposerEEEEE10hipError_tT0_T1_T2_jT3_P12ihipStream_tbPNSt15iterator_traitsISI_E10value_typeEPNSO_ISJ_E10value_typeEPSK_NS1_7vsmem_tEENKUlT_SI_SJ_SK_E_clIPxSD_S10_SD_EESH_SX_SI_SJ_SK_EUlSX_E_NS1_11comp_targetILNS1_3genE3ELNS1_11target_archE908ELNS1_3gpuE7ELNS1_3repE0EEENS1_48merge_mergepath_partition_config_static_selectorELNS0_4arch9wavefront6targetE1EEEvSJ_.num_vgpr, 0
	.set _ZN7rocprim17ROCPRIM_400000_NS6detail17trampoline_kernelINS0_14default_configENS1_38merge_sort_block_merge_config_selectorIxxEEZZNS1_27merge_sort_block_merge_implIS3_N6thrust23THRUST_200600_302600_NS6detail15normal_iteratorINS8_10device_ptrIxEEEESD_jNS1_19radix_merge_compareILb0ELb0ExNS0_19identity_decomposerEEEEE10hipError_tT0_T1_T2_jT3_P12ihipStream_tbPNSt15iterator_traitsISI_E10value_typeEPNSO_ISJ_E10value_typeEPSK_NS1_7vsmem_tEENKUlT_SI_SJ_SK_E_clIPxSD_S10_SD_EESH_SX_SI_SJ_SK_EUlSX_E_NS1_11comp_targetILNS1_3genE3ELNS1_11target_archE908ELNS1_3gpuE7ELNS1_3repE0EEENS1_48merge_mergepath_partition_config_static_selectorELNS0_4arch9wavefront6targetE1EEEvSJ_.num_agpr, 0
	.set _ZN7rocprim17ROCPRIM_400000_NS6detail17trampoline_kernelINS0_14default_configENS1_38merge_sort_block_merge_config_selectorIxxEEZZNS1_27merge_sort_block_merge_implIS3_N6thrust23THRUST_200600_302600_NS6detail15normal_iteratorINS8_10device_ptrIxEEEESD_jNS1_19radix_merge_compareILb0ELb0ExNS0_19identity_decomposerEEEEE10hipError_tT0_T1_T2_jT3_P12ihipStream_tbPNSt15iterator_traitsISI_E10value_typeEPNSO_ISJ_E10value_typeEPSK_NS1_7vsmem_tEENKUlT_SI_SJ_SK_E_clIPxSD_S10_SD_EESH_SX_SI_SJ_SK_EUlSX_E_NS1_11comp_targetILNS1_3genE3ELNS1_11target_archE908ELNS1_3gpuE7ELNS1_3repE0EEENS1_48merge_mergepath_partition_config_static_selectorELNS0_4arch9wavefront6targetE1EEEvSJ_.numbered_sgpr, 0
	.set _ZN7rocprim17ROCPRIM_400000_NS6detail17trampoline_kernelINS0_14default_configENS1_38merge_sort_block_merge_config_selectorIxxEEZZNS1_27merge_sort_block_merge_implIS3_N6thrust23THRUST_200600_302600_NS6detail15normal_iteratorINS8_10device_ptrIxEEEESD_jNS1_19radix_merge_compareILb0ELb0ExNS0_19identity_decomposerEEEEE10hipError_tT0_T1_T2_jT3_P12ihipStream_tbPNSt15iterator_traitsISI_E10value_typeEPNSO_ISJ_E10value_typeEPSK_NS1_7vsmem_tEENKUlT_SI_SJ_SK_E_clIPxSD_S10_SD_EESH_SX_SI_SJ_SK_EUlSX_E_NS1_11comp_targetILNS1_3genE3ELNS1_11target_archE908ELNS1_3gpuE7ELNS1_3repE0EEENS1_48merge_mergepath_partition_config_static_selectorELNS0_4arch9wavefront6targetE1EEEvSJ_.num_named_barrier, 0
	.set _ZN7rocprim17ROCPRIM_400000_NS6detail17trampoline_kernelINS0_14default_configENS1_38merge_sort_block_merge_config_selectorIxxEEZZNS1_27merge_sort_block_merge_implIS3_N6thrust23THRUST_200600_302600_NS6detail15normal_iteratorINS8_10device_ptrIxEEEESD_jNS1_19radix_merge_compareILb0ELb0ExNS0_19identity_decomposerEEEEE10hipError_tT0_T1_T2_jT3_P12ihipStream_tbPNSt15iterator_traitsISI_E10value_typeEPNSO_ISJ_E10value_typeEPSK_NS1_7vsmem_tEENKUlT_SI_SJ_SK_E_clIPxSD_S10_SD_EESH_SX_SI_SJ_SK_EUlSX_E_NS1_11comp_targetILNS1_3genE3ELNS1_11target_archE908ELNS1_3gpuE7ELNS1_3repE0EEENS1_48merge_mergepath_partition_config_static_selectorELNS0_4arch9wavefront6targetE1EEEvSJ_.private_seg_size, 0
	.set _ZN7rocprim17ROCPRIM_400000_NS6detail17trampoline_kernelINS0_14default_configENS1_38merge_sort_block_merge_config_selectorIxxEEZZNS1_27merge_sort_block_merge_implIS3_N6thrust23THRUST_200600_302600_NS6detail15normal_iteratorINS8_10device_ptrIxEEEESD_jNS1_19radix_merge_compareILb0ELb0ExNS0_19identity_decomposerEEEEE10hipError_tT0_T1_T2_jT3_P12ihipStream_tbPNSt15iterator_traitsISI_E10value_typeEPNSO_ISJ_E10value_typeEPSK_NS1_7vsmem_tEENKUlT_SI_SJ_SK_E_clIPxSD_S10_SD_EESH_SX_SI_SJ_SK_EUlSX_E_NS1_11comp_targetILNS1_3genE3ELNS1_11target_archE908ELNS1_3gpuE7ELNS1_3repE0EEENS1_48merge_mergepath_partition_config_static_selectorELNS0_4arch9wavefront6targetE1EEEvSJ_.uses_vcc, 0
	.set _ZN7rocprim17ROCPRIM_400000_NS6detail17trampoline_kernelINS0_14default_configENS1_38merge_sort_block_merge_config_selectorIxxEEZZNS1_27merge_sort_block_merge_implIS3_N6thrust23THRUST_200600_302600_NS6detail15normal_iteratorINS8_10device_ptrIxEEEESD_jNS1_19radix_merge_compareILb0ELb0ExNS0_19identity_decomposerEEEEE10hipError_tT0_T1_T2_jT3_P12ihipStream_tbPNSt15iterator_traitsISI_E10value_typeEPNSO_ISJ_E10value_typeEPSK_NS1_7vsmem_tEENKUlT_SI_SJ_SK_E_clIPxSD_S10_SD_EESH_SX_SI_SJ_SK_EUlSX_E_NS1_11comp_targetILNS1_3genE3ELNS1_11target_archE908ELNS1_3gpuE7ELNS1_3repE0EEENS1_48merge_mergepath_partition_config_static_selectorELNS0_4arch9wavefront6targetE1EEEvSJ_.uses_flat_scratch, 0
	.set _ZN7rocprim17ROCPRIM_400000_NS6detail17trampoline_kernelINS0_14default_configENS1_38merge_sort_block_merge_config_selectorIxxEEZZNS1_27merge_sort_block_merge_implIS3_N6thrust23THRUST_200600_302600_NS6detail15normal_iteratorINS8_10device_ptrIxEEEESD_jNS1_19radix_merge_compareILb0ELb0ExNS0_19identity_decomposerEEEEE10hipError_tT0_T1_T2_jT3_P12ihipStream_tbPNSt15iterator_traitsISI_E10value_typeEPNSO_ISJ_E10value_typeEPSK_NS1_7vsmem_tEENKUlT_SI_SJ_SK_E_clIPxSD_S10_SD_EESH_SX_SI_SJ_SK_EUlSX_E_NS1_11comp_targetILNS1_3genE3ELNS1_11target_archE908ELNS1_3gpuE7ELNS1_3repE0EEENS1_48merge_mergepath_partition_config_static_selectorELNS0_4arch9wavefront6targetE1EEEvSJ_.has_dyn_sized_stack, 0
	.set _ZN7rocprim17ROCPRIM_400000_NS6detail17trampoline_kernelINS0_14default_configENS1_38merge_sort_block_merge_config_selectorIxxEEZZNS1_27merge_sort_block_merge_implIS3_N6thrust23THRUST_200600_302600_NS6detail15normal_iteratorINS8_10device_ptrIxEEEESD_jNS1_19radix_merge_compareILb0ELb0ExNS0_19identity_decomposerEEEEE10hipError_tT0_T1_T2_jT3_P12ihipStream_tbPNSt15iterator_traitsISI_E10value_typeEPNSO_ISJ_E10value_typeEPSK_NS1_7vsmem_tEENKUlT_SI_SJ_SK_E_clIPxSD_S10_SD_EESH_SX_SI_SJ_SK_EUlSX_E_NS1_11comp_targetILNS1_3genE3ELNS1_11target_archE908ELNS1_3gpuE7ELNS1_3repE0EEENS1_48merge_mergepath_partition_config_static_selectorELNS0_4arch9wavefront6targetE1EEEvSJ_.has_recursion, 0
	.set _ZN7rocprim17ROCPRIM_400000_NS6detail17trampoline_kernelINS0_14default_configENS1_38merge_sort_block_merge_config_selectorIxxEEZZNS1_27merge_sort_block_merge_implIS3_N6thrust23THRUST_200600_302600_NS6detail15normal_iteratorINS8_10device_ptrIxEEEESD_jNS1_19radix_merge_compareILb0ELb0ExNS0_19identity_decomposerEEEEE10hipError_tT0_T1_T2_jT3_P12ihipStream_tbPNSt15iterator_traitsISI_E10value_typeEPNSO_ISJ_E10value_typeEPSK_NS1_7vsmem_tEENKUlT_SI_SJ_SK_E_clIPxSD_S10_SD_EESH_SX_SI_SJ_SK_EUlSX_E_NS1_11comp_targetILNS1_3genE3ELNS1_11target_archE908ELNS1_3gpuE7ELNS1_3repE0EEENS1_48merge_mergepath_partition_config_static_selectorELNS0_4arch9wavefront6targetE1EEEvSJ_.has_indirect_call, 0
	.section	.AMDGPU.csdata,"",@progbits
; Kernel info:
; codeLenInByte = 0
; TotalNumSgprs: 6
; NumVgprs: 0
; NumAgprs: 0
; TotalNumVgprs: 0
; ScratchSize: 0
; MemoryBound: 0
; FloatMode: 240
; IeeeMode: 1
; LDSByteSize: 0 bytes/workgroup (compile time only)
; SGPRBlocks: 0
; VGPRBlocks: 0
; NumSGPRsForWavesPerEU: 6
; NumVGPRsForWavesPerEU: 1
; AccumOffset: 4
; Occupancy: 8
; WaveLimiterHint : 0
; COMPUTE_PGM_RSRC2:SCRATCH_EN: 0
; COMPUTE_PGM_RSRC2:USER_SGPR: 2
; COMPUTE_PGM_RSRC2:TRAP_HANDLER: 0
; COMPUTE_PGM_RSRC2:TGID_X_EN: 1
; COMPUTE_PGM_RSRC2:TGID_Y_EN: 0
; COMPUTE_PGM_RSRC2:TGID_Z_EN: 0
; COMPUTE_PGM_RSRC2:TIDIG_COMP_CNT: 0
; COMPUTE_PGM_RSRC3_GFX90A:ACCUM_OFFSET: 0
; COMPUTE_PGM_RSRC3_GFX90A:TG_SPLIT: 0
	.section	.text._ZN7rocprim17ROCPRIM_400000_NS6detail17trampoline_kernelINS0_14default_configENS1_38merge_sort_block_merge_config_selectorIxxEEZZNS1_27merge_sort_block_merge_implIS3_N6thrust23THRUST_200600_302600_NS6detail15normal_iteratorINS8_10device_ptrIxEEEESD_jNS1_19radix_merge_compareILb0ELb0ExNS0_19identity_decomposerEEEEE10hipError_tT0_T1_T2_jT3_P12ihipStream_tbPNSt15iterator_traitsISI_E10value_typeEPNSO_ISJ_E10value_typeEPSK_NS1_7vsmem_tEENKUlT_SI_SJ_SK_E_clIPxSD_S10_SD_EESH_SX_SI_SJ_SK_EUlSX_E_NS1_11comp_targetILNS1_3genE2ELNS1_11target_archE906ELNS1_3gpuE6ELNS1_3repE0EEENS1_48merge_mergepath_partition_config_static_selectorELNS0_4arch9wavefront6targetE1EEEvSJ_,"axG",@progbits,_ZN7rocprim17ROCPRIM_400000_NS6detail17trampoline_kernelINS0_14default_configENS1_38merge_sort_block_merge_config_selectorIxxEEZZNS1_27merge_sort_block_merge_implIS3_N6thrust23THRUST_200600_302600_NS6detail15normal_iteratorINS8_10device_ptrIxEEEESD_jNS1_19radix_merge_compareILb0ELb0ExNS0_19identity_decomposerEEEEE10hipError_tT0_T1_T2_jT3_P12ihipStream_tbPNSt15iterator_traitsISI_E10value_typeEPNSO_ISJ_E10value_typeEPSK_NS1_7vsmem_tEENKUlT_SI_SJ_SK_E_clIPxSD_S10_SD_EESH_SX_SI_SJ_SK_EUlSX_E_NS1_11comp_targetILNS1_3genE2ELNS1_11target_archE906ELNS1_3gpuE6ELNS1_3repE0EEENS1_48merge_mergepath_partition_config_static_selectorELNS0_4arch9wavefront6targetE1EEEvSJ_,comdat
	.protected	_ZN7rocprim17ROCPRIM_400000_NS6detail17trampoline_kernelINS0_14default_configENS1_38merge_sort_block_merge_config_selectorIxxEEZZNS1_27merge_sort_block_merge_implIS3_N6thrust23THRUST_200600_302600_NS6detail15normal_iteratorINS8_10device_ptrIxEEEESD_jNS1_19radix_merge_compareILb0ELb0ExNS0_19identity_decomposerEEEEE10hipError_tT0_T1_T2_jT3_P12ihipStream_tbPNSt15iterator_traitsISI_E10value_typeEPNSO_ISJ_E10value_typeEPSK_NS1_7vsmem_tEENKUlT_SI_SJ_SK_E_clIPxSD_S10_SD_EESH_SX_SI_SJ_SK_EUlSX_E_NS1_11comp_targetILNS1_3genE2ELNS1_11target_archE906ELNS1_3gpuE6ELNS1_3repE0EEENS1_48merge_mergepath_partition_config_static_selectorELNS0_4arch9wavefront6targetE1EEEvSJ_ ; -- Begin function _ZN7rocprim17ROCPRIM_400000_NS6detail17trampoline_kernelINS0_14default_configENS1_38merge_sort_block_merge_config_selectorIxxEEZZNS1_27merge_sort_block_merge_implIS3_N6thrust23THRUST_200600_302600_NS6detail15normal_iteratorINS8_10device_ptrIxEEEESD_jNS1_19radix_merge_compareILb0ELb0ExNS0_19identity_decomposerEEEEE10hipError_tT0_T1_T2_jT3_P12ihipStream_tbPNSt15iterator_traitsISI_E10value_typeEPNSO_ISJ_E10value_typeEPSK_NS1_7vsmem_tEENKUlT_SI_SJ_SK_E_clIPxSD_S10_SD_EESH_SX_SI_SJ_SK_EUlSX_E_NS1_11comp_targetILNS1_3genE2ELNS1_11target_archE906ELNS1_3gpuE6ELNS1_3repE0EEENS1_48merge_mergepath_partition_config_static_selectorELNS0_4arch9wavefront6targetE1EEEvSJ_
	.globl	_ZN7rocprim17ROCPRIM_400000_NS6detail17trampoline_kernelINS0_14default_configENS1_38merge_sort_block_merge_config_selectorIxxEEZZNS1_27merge_sort_block_merge_implIS3_N6thrust23THRUST_200600_302600_NS6detail15normal_iteratorINS8_10device_ptrIxEEEESD_jNS1_19radix_merge_compareILb0ELb0ExNS0_19identity_decomposerEEEEE10hipError_tT0_T1_T2_jT3_P12ihipStream_tbPNSt15iterator_traitsISI_E10value_typeEPNSO_ISJ_E10value_typeEPSK_NS1_7vsmem_tEENKUlT_SI_SJ_SK_E_clIPxSD_S10_SD_EESH_SX_SI_SJ_SK_EUlSX_E_NS1_11comp_targetILNS1_3genE2ELNS1_11target_archE906ELNS1_3gpuE6ELNS1_3repE0EEENS1_48merge_mergepath_partition_config_static_selectorELNS0_4arch9wavefront6targetE1EEEvSJ_
	.p2align	8
	.type	_ZN7rocprim17ROCPRIM_400000_NS6detail17trampoline_kernelINS0_14default_configENS1_38merge_sort_block_merge_config_selectorIxxEEZZNS1_27merge_sort_block_merge_implIS3_N6thrust23THRUST_200600_302600_NS6detail15normal_iteratorINS8_10device_ptrIxEEEESD_jNS1_19radix_merge_compareILb0ELb0ExNS0_19identity_decomposerEEEEE10hipError_tT0_T1_T2_jT3_P12ihipStream_tbPNSt15iterator_traitsISI_E10value_typeEPNSO_ISJ_E10value_typeEPSK_NS1_7vsmem_tEENKUlT_SI_SJ_SK_E_clIPxSD_S10_SD_EESH_SX_SI_SJ_SK_EUlSX_E_NS1_11comp_targetILNS1_3genE2ELNS1_11target_archE906ELNS1_3gpuE6ELNS1_3repE0EEENS1_48merge_mergepath_partition_config_static_selectorELNS0_4arch9wavefront6targetE1EEEvSJ_,@function
_ZN7rocprim17ROCPRIM_400000_NS6detail17trampoline_kernelINS0_14default_configENS1_38merge_sort_block_merge_config_selectorIxxEEZZNS1_27merge_sort_block_merge_implIS3_N6thrust23THRUST_200600_302600_NS6detail15normal_iteratorINS8_10device_ptrIxEEEESD_jNS1_19radix_merge_compareILb0ELb0ExNS0_19identity_decomposerEEEEE10hipError_tT0_T1_T2_jT3_P12ihipStream_tbPNSt15iterator_traitsISI_E10value_typeEPNSO_ISJ_E10value_typeEPSK_NS1_7vsmem_tEENKUlT_SI_SJ_SK_E_clIPxSD_S10_SD_EESH_SX_SI_SJ_SK_EUlSX_E_NS1_11comp_targetILNS1_3genE2ELNS1_11target_archE906ELNS1_3gpuE6ELNS1_3repE0EEENS1_48merge_mergepath_partition_config_static_selectorELNS0_4arch9wavefront6targetE1EEEvSJ_: ; @_ZN7rocprim17ROCPRIM_400000_NS6detail17trampoline_kernelINS0_14default_configENS1_38merge_sort_block_merge_config_selectorIxxEEZZNS1_27merge_sort_block_merge_implIS3_N6thrust23THRUST_200600_302600_NS6detail15normal_iteratorINS8_10device_ptrIxEEEESD_jNS1_19radix_merge_compareILb0ELb0ExNS0_19identity_decomposerEEEEE10hipError_tT0_T1_T2_jT3_P12ihipStream_tbPNSt15iterator_traitsISI_E10value_typeEPNSO_ISJ_E10value_typeEPSK_NS1_7vsmem_tEENKUlT_SI_SJ_SK_E_clIPxSD_S10_SD_EESH_SX_SI_SJ_SK_EUlSX_E_NS1_11comp_targetILNS1_3genE2ELNS1_11target_archE906ELNS1_3gpuE6ELNS1_3repE0EEENS1_48merge_mergepath_partition_config_static_selectorELNS0_4arch9wavefront6targetE1EEEvSJ_
; %bb.0:
	.section	.rodata,"a",@progbits
	.p2align	6, 0x0
	.amdhsa_kernel _ZN7rocprim17ROCPRIM_400000_NS6detail17trampoline_kernelINS0_14default_configENS1_38merge_sort_block_merge_config_selectorIxxEEZZNS1_27merge_sort_block_merge_implIS3_N6thrust23THRUST_200600_302600_NS6detail15normal_iteratorINS8_10device_ptrIxEEEESD_jNS1_19radix_merge_compareILb0ELb0ExNS0_19identity_decomposerEEEEE10hipError_tT0_T1_T2_jT3_P12ihipStream_tbPNSt15iterator_traitsISI_E10value_typeEPNSO_ISJ_E10value_typeEPSK_NS1_7vsmem_tEENKUlT_SI_SJ_SK_E_clIPxSD_S10_SD_EESH_SX_SI_SJ_SK_EUlSX_E_NS1_11comp_targetILNS1_3genE2ELNS1_11target_archE906ELNS1_3gpuE6ELNS1_3repE0EEENS1_48merge_mergepath_partition_config_static_selectorELNS0_4arch9wavefront6targetE1EEEvSJ_
		.amdhsa_group_segment_fixed_size 0
		.amdhsa_private_segment_fixed_size 0
		.amdhsa_kernarg_size 40
		.amdhsa_user_sgpr_count 2
		.amdhsa_user_sgpr_dispatch_ptr 0
		.amdhsa_user_sgpr_queue_ptr 0
		.amdhsa_user_sgpr_kernarg_segment_ptr 1
		.amdhsa_user_sgpr_dispatch_id 0
		.amdhsa_user_sgpr_kernarg_preload_length 0
		.amdhsa_user_sgpr_kernarg_preload_offset 0
		.amdhsa_user_sgpr_private_segment_size 0
		.amdhsa_uses_dynamic_stack 0
		.amdhsa_enable_private_segment 0
		.amdhsa_system_sgpr_workgroup_id_x 1
		.amdhsa_system_sgpr_workgroup_id_y 0
		.amdhsa_system_sgpr_workgroup_id_z 0
		.amdhsa_system_sgpr_workgroup_info 0
		.amdhsa_system_vgpr_workitem_id 0
		.amdhsa_next_free_vgpr 1
		.amdhsa_next_free_sgpr 0
		.amdhsa_accum_offset 4
		.amdhsa_reserve_vcc 0
		.amdhsa_float_round_mode_32 0
		.amdhsa_float_round_mode_16_64 0
		.amdhsa_float_denorm_mode_32 3
		.amdhsa_float_denorm_mode_16_64 3
		.amdhsa_dx10_clamp 1
		.amdhsa_ieee_mode 1
		.amdhsa_fp16_overflow 0
		.amdhsa_tg_split 0
		.amdhsa_exception_fp_ieee_invalid_op 0
		.amdhsa_exception_fp_denorm_src 0
		.amdhsa_exception_fp_ieee_div_zero 0
		.amdhsa_exception_fp_ieee_overflow 0
		.amdhsa_exception_fp_ieee_underflow 0
		.amdhsa_exception_fp_ieee_inexact 0
		.amdhsa_exception_int_div_zero 0
	.end_amdhsa_kernel
	.section	.text._ZN7rocprim17ROCPRIM_400000_NS6detail17trampoline_kernelINS0_14default_configENS1_38merge_sort_block_merge_config_selectorIxxEEZZNS1_27merge_sort_block_merge_implIS3_N6thrust23THRUST_200600_302600_NS6detail15normal_iteratorINS8_10device_ptrIxEEEESD_jNS1_19radix_merge_compareILb0ELb0ExNS0_19identity_decomposerEEEEE10hipError_tT0_T1_T2_jT3_P12ihipStream_tbPNSt15iterator_traitsISI_E10value_typeEPNSO_ISJ_E10value_typeEPSK_NS1_7vsmem_tEENKUlT_SI_SJ_SK_E_clIPxSD_S10_SD_EESH_SX_SI_SJ_SK_EUlSX_E_NS1_11comp_targetILNS1_3genE2ELNS1_11target_archE906ELNS1_3gpuE6ELNS1_3repE0EEENS1_48merge_mergepath_partition_config_static_selectorELNS0_4arch9wavefront6targetE1EEEvSJ_,"axG",@progbits,_ZN7rocprim17ROCPRIM_400000_NS6detail17trampoline_kernelINS0_14default_configENS1_38merge_sort_block_merge_config_selectorIxxEEZZNS1_27merge_sort_block_merge_implIS3_N6thrust23THRUST_200600_302600_NS6detail15normal_iteratorINS8_10device_ptrIxEEEESD_jNS1_19radix_merge_compareILb0ELb0ExNS0_19identity_decomposerEEEEE10hipError_tT0_T1_T2_jT3_P12ihipStream_tbPNSt15iterator_traitsISI_E10value_typeEPNSO_ISJ_E10value_typeEPSK_NS1_7vsmem_tEENKUlT_SI_SJ_SK_E_clIPxSD_S10_SD_EESH_SX_SI_SJ_SK_EUlSX_E_NS1_11comp_targetILNS1_3genE2ELNS1_11target_archE906ELNS1_3gpuE6ELNS1_3repE0EEENS1_48merge_mergepath_partition_config_static_selectorELNS0_4arch9wavefront6targetE1EEEvSJ_,comdat
.Lfunc_end1070:
	.size	_ZN7rocprim17ROCPRIM_400000_NS6detail17trampoline_kernelINS0_14default_configENS1_38merge_sort_block_merge_config_selectorIxxEEZZNS1_27merge_sort_block_merge_implIS3_N6thrust23THRUST_200600_302600_NS6detail15normal_iteratorINS8_10device_ptrIxEEEESD_jNS1_19radix_merge_compareILb0ELb0ExNS0_19identity_decomposerEEEEE10hipError_tT0_T1_T2_jT3_P12ihipStream_tbPNSt15iterator_traitsISI_E10value_typeEPNSO_ISJ_E10value_typeEPSK_NS1_7vsmem_tEENKUlT_SI_SJ_SK_E_clIPxSD_S10_SD_EESH_SX_SI_SJ_SK_EUlSX_E_NS1_11comp_targetILNS1_3genE2ELNS1_11target_archE906ELNS1_3gpuE6ELNS1_3repE0EEENS1_48merge_mergepath_partition_config_static_selectorELNS0_4arch9wavefront6targetE1EEEvSJ_, .Lfunc_end1070-_ZN7rocprim17ROCPRIM_400000_NS6detail17trampoline_kernelINS0_14default_configENS1_38merge_sort_block_merge_config_selectorIxxEEZZNS1_27merge_sort_block_merge_implIS3_N6thrust23THRUST_200600_302600_NS6detail15normal_iteratorINS8_10device_ptrIxEEEESD_jNS1_19radix_merge_compareILb0ELb0ExNS0_19identity_decomposerEEEEE10hipError_tT0_T1_T2_jT3_P12ihipStream_tbPNSt15iterator_traitsISI_E10value_typeEPNSO_ISJ_E10value_typeEPSK_NS1_7vsmem_tEENKUlT_SI_SJ_SK_E_clIPxSD_S10_SD_EESH_SX_SI_SJ_SK_EUlSX_E_NS1_11comp_targetILNS1_3genE2ELNS1_11target_archE906ELNS1_3gpuE6ELNS1_3repE0EEENS1_48merge_mergepath_partition_config_static_selectorELNS0_4arch9wavefront6targetE1EEEvSJ_
                                        ; -- End function
	.set _ZN7rocprim17ROCPRIM_400000_NS6detail17trampoline_kernelINS0_14default_configENS1_38merge_sort_block_merge_config_selectorIxxEEZZNS1_27merge_sort_block_merge_implIS3_N6thrust23THRUST_200600_302600_NS6detail15normal_iteratorINS8_10device_ptrIxEEEESD_jNS1_19radix_merge_compareILb0ELb0ExNS0_19identity_decomposerEEEEE10hipError_tT0_T1_T2_jT3_P12ihipStream_tbPNSt15iterator_traitsISI_E10value_typeEPNSO_ISJ_E10value_typeEPSK_NS1_7vsmem_tEENKUlT_SI_SJ_SK_E_clIPxSD_S10_SD_EESH_SX_SI_SJ_SK_EUlSX_E_NS1_11comp_targetILNS1_3genE2ELNS1_11target_archE906ELNS1_3gpuE6ELNS1_3repE0EEENS1_48merge_mergepath_partition_config_static_selectorELNS0_4arch9wavefront6targetE1EEEvSJ_.num_vgpr, 0
	.set _ZN7rocprim17ROCPRIM_400000_NS6detail17trampoline_kernelINS0_14default_configENS1_38merge_sort_block_merge_config_selectorIxxEEZZNS1_27merge_sort_block_merge_implIS3_N6thrust23THRUST_200600_302600_NS6detail15normal_iteratorINS8_10device_ptrIxEEEESD_jNS1_19radix_merge_compareILb0ELb0ExNS0_19identity_decomposerEEEEE10hipError_tT0_T1_T2_jT3_P12ihipStream_tbPNSt15iterator_traitsISI_E10value_typeEPNSO_ISJ_E10value_typeEPSK_NS1_7vsmem_tEENKUlT_SI_SJ_SK_E_clIPxSD_S10_SD_EESH_SX_SI_SJ_SK_EUlSX_E_NS1_11comp_targetILNS1_3genE2ELNS1_11target_archE906ELNS1_3gpuE6ELNS1_3repE0EEENS1_48merge_mergepath_partition_config_static_selectorELNS0_4arch9wavefront6targetE1EEEvSJ_.num_agpr, 0
	.set _ZN7rocprim17ROCPRIM_400000_NS6detail17trampoline_kernelINS0_14default_configENS1_38merge_sort_block_merge_config_selectorIxxEEZZNS1_27merge_sort_block_merge_implIS3_N6thrust23THRUST_200600_302600_NS6detail15normal_iteratorINS8_10device_ptrIxEEEESD_jNS1_19radix_merge_compareILb0ELb0ExNS0_19identity_decomposerEEEEE10hipError_tT0_T1_T2_jT3_P12ihipStream_tbPNSt15iterator_traitsISI_E10value_typeEPNSO_ISJ_E10value_typeEPSK_NS1_7vsmem_tEENKUlT_SI_SJ_SK_E_clIPxSD_S10_SD_EESH_SX_SI_SJ_SK_EUlSX_E_NS1_11comp_targetILNS1_3genE2ELNS1_11target_archE906ELNS1_3gpuE6ELNS1_3repE0EEENS1_48merge_mergepath_partition_config_static_selectorELNS0_4arch9wavefront6targetE1EEEvSJ_.numbered_sgpr, 0
	.set _ZN7rocprim17ROCPRIM_400000_NS6detail17trampoline_kernelINS0_14default_configENS1_38merge_sort_block_merge_config_selectorIxxEEZZNS1_27merge_sort_block_merge_implIS3_N6thrust23THRUST_200600_302600_NS6detail15normal_iteratorINS8_10device_ptrIxEEEESD_jNS1_19radix_merge_compareILb0ELb0ExNS0_19identity_decomposerEEEEE10hipError_tT0_T1_T2_jT3_P12ihipStream_tbPNSt15iterator_traitsISI_E10value_typeEPNSO_ISJ_E10value_typeEPSK_NS1_7vsmem_tEENKUlT_SI_SJ_SK_E_clIPxSD_S10_SD_EESH_SX_SI_SJ_SK_EUlSX_E_NS1_11comp_targetILNS1_3genE2ELNS1_11target_archE906ELNS1_3gpuE6ELNS1_3repE0EEENS1_48merge_mergepath_partition_config_static_selectorELNS0_4arch9wavefront6targetE1EEEvSJ_.num_named_barrier, 0
	.set _ZN7rocprim17ROCPRIM_400000_NS6detail17trampoline_kernelINS0_14default_configENS1_38merge_sort_block_merge_config_selectorIxxEEZZNS1_27merge_sort_block_merge_implIS3_N6thrust23THRUST_200600_302600_NS6detail15normal_iteratorINS8_10device_ptrIxEEEESD_jNS1_19radix_merge_compareILb0ELb0ExNS0_19identity_decomposerEEEEE10hipError_tT0_T1_T2_jT3_P12ihipStream_tbPNSt15iterator_traitsISI_E10value_typeEPNSO_ISJ_E10value_typeEPSK_NS1_7vsmem_tEENKUlT_SI_SJ_SK_E_clIPxSD_S10_SD_EESH_SX_SI_SJ_SK_EUlSX_E_NS1_11comp_targetILNS1_3genE2ELNS1_11target_archE906ELNS1_3gpuE6ELNS1_3repE0EEENS1_48merge_mergepath_partition_config_static_selectorELNS0_4arch9wavefront6targetE1EEEvSJ_.private_seg_size, 0
	.set _ZN7rocprim17ROCPRIM_400000_NS6detail17trampoline_kernelINS0_14default_configENS1_38merge_sort_block_merge_config_selectorIxxEEZZNS1_27merge_sort_block_merge_implIS3_N6thrust23THRUST_200600_302600_NS6detail15normal_iteratorINS8_10device_ptrIxEEEESD_jNS1_19radix_merge_compareILb0ELb0ExNS0_19identity_decomposerEEEEE10hipError_tT0_T1_T2_jT3_P12ihipStream_tbPNSt15iterator_traitsISI_E10value_typeEPNSO_ISJ_E10value_typeEPSK_NS1_7vsmem_tEENKUlT_SI_SJ_SK_E_clIPxSD_S10_SD_EESH_SX_SI_SJ_SK_EUlSX_E_NS1_11comp_targetILNS1_3genE2ELNS1_11target_archE906ELNS1_3gpuE6ELNS1_3repE0EEENS1_48merge_mergepath_partition_config_static_selectorELNS0_4arch9wavefront6targetE1EEEvSJ_.uses_vcc, 0
	.set _ZN7rocprim17ROCPRIM_400000_NS6detail17trampoline_kernelINS0_14default_configENS1_38merge_sort_block_merge_config_selectorIxxEEZZNS1_27merge_sort_block_merge_implIS3_N6thrust23THRUST_200600_302600_NS6detail15normal_iteratorINS8_10device_ptrIxEEEESD_jNS1_19radix_merge_compareILb0ELb0ExNS0_19identity_decomposerEEEEE10hipError_tT0_T1_T2_jT3_P12ihipStream_tbPNSt15iterator_traitsISI_E10value_typeEPNSO_ISJ_E10value_typeEPSK_NS1_7vsmem_tEENKUlT_SI_SJ_SK_E_clIPxSD_S10_SD_EESH_SX_SI_SJ_SK_EUlSX_E_NS1_11comp_targetILNS1_3genE2ELNS1_11target_archE906ELNS1_3gpuE6ELNS1_3repE0EEENS1_48merge_mergepath_partition_config_static_selectorELNS0_4arch9wavefront6targetE1EEEvSJ_.uses_flat_scratch, 0
	.set _ZN7rocprim17ROCPRIM_400000_NS6detail17trampoline_kernelINS0_14default_configENS1_38merge_sort_block_merge_config_selectorIxxEEZZNS1_27merge_sort_block_merge_implIS3_N6thrust23THRUST_200600_302600_NS6detail15normal_iteratorINS8_10device_ptrIxEEEESD_jNS1_19radix_merge_compareILb0ELb0ExNS0_19identity_decomposerEEEEE10hipError_tT0_T1_T2_jT3_P12ihipStream_tbPNSt15iterator_traitsISI_E10value_typeEPNSO_ISJ_E10value_typeEPSK_NS1_7vsmem_tEENKUlT_SI_SJ_SK_E_clIPxSD_S10_SD_EESH_SX_SI_SJ_SK_EUlSX_E_NS1_11comp_targetILNS1_3genE2ELNS1_11target_archE906ELNS1_3gpuE6ELNS1_3repE0EEENS1_48merge_mergepath_partition_config_static_selectorELNS0_4arch9wavefront6targetE1EEEvSJ_.has_dyn_sized_stack, 0
	.set _ZN7rocprim17ROCPRIM_400000_NS6detail17trampoline_kernelINS0_14default_configENS1_38merge_sort_block_merge_config_selectorIxxEEZZNS1_27merge_sort_block_merge_implIS3_N6thrust23THRUST_200600_302600_NS6detail15normal_iteratorINS8_10device_ptrIxEEEESD_jNS1_19radix_merge_compareILb0ELb0ExNS0_19identity_decomposerEEEEE10hipError_tT0_T1_T2_jT3_P12ihipStream_tbPNSt15iterator_traitsISI_E10value_typeEPNSO_ISJ_E10value_typeEPSK_NS1_7vsmem_tEENKUlT_SI_SJ_SK_E_clIPxSD_S10_SD_EESH_SX_SI_SJ_SK_EUlSX_E_NS1_11comp_targetILNS1_3genE2ELNS1_11target_archE906ELNS1_3gpuE6ELNS1_3repE0EEENS1_48merge_mergepath_partition_config_static_selectorELNS0_4arch9wavefront6targetE1EEEvSJ_.has_recursion, 0
	.set _ZN7rocprim17ROCPRIM_400000_NS6detail17trampoline_kernelINS0_14default_configENS1_38merge_sort_block_merge_config_selectorIxxEEZZNS1_27merge_sort_block_merge_implIS3_N6thrust23THRUST_200600_302600_NS6detail15normal_iteratorINS8_10device_ptrIxEEEESD_jNS1_19radix_merge_compareILb0ELb0ExNS0_19identity_decomposerEEEEE10hipError_tT0_T1_T2_jT3_P12ihipStream_tbPNSt15iterator_traitsISI_E10value_typeEPNSO_ISJ_E10value_typeEPSK_NS1_7vsmem_tEENKUlT_SI_SJ_SK_E_clIPxSD_S10_SD_EESH_SX_SI_SJ_SK_EUlSX_E_NS1_11comp_targetILNS1_3genE2ELNS1_11target_archE906ELNS1_3gpuE6ELNS1_3repE0EEENS1_48merge_mergepath_partition_config_static_selectorELNS0_4arch9wavefront6targetE1EEEvSJ_.has_indirect_call, 0
	.section	.AMDGPU.csdata,"",@progbits
; Kernel info:
; codeLenInByte = 0
; TotalNumSgprs: 6
; NumVgprs: 0
; NumAgprs: 0
; TotalNumVgprs: 0
; ScratchSize: 0
; MemoryBound: 0
; FloatMode: 240
; IeeeMode: 1
; LDSByteSize: 0 bytes/workgroup (compile time only)
; SGPRBlocks: 0
; VGPRBlocks: 0
; NumSGPRsForWavesPerEU: 6
; NumVGPRsForWavesPerEU: 1
; AccumOffset: 4
; Occupancy: 8
; WaveLimiterHint : 0
; COMPUTE_PGM_RSRC2:SCRATCH_EN: 0
; COMPUTE_PGM_RSRC2:USER_SGPR: 2
; COMPUTE_PGM_RSRC2:TRAP_HANDLER: 0
; COMPUTE_PGM_RSRC2:TGID_X_EN: 1
; COMPUTE_PGM_RSRC2:TGID_Y_EN: 0
; COMPUTE_PGM_RSRC2:TGID_Z_EN: 0
; COMPUTE_PGM_RSRC2:TIDIG_COMP_CNT: 0
; COMPUTE_PGM_RSRC3_GFX90A:ACCUM_OFFSET: 0
; COMPUTE_PGM_RSRC3_GFX90A:TG_SPLIT: 0
	.section	.text._ZN7rocprim17ROCPRIM_400000_NS6detail17trampoline_kernelINS0_14default_configENS1_38merge_sort_block_merge_config_selectorIxxEEZZNS1_27merge_sort_block_merge_implIS3_N6thrust23THRUST_200600_302600_NS6detail15normal_iteratorINS8_10device_ptrIxEEEESD_jNS1_19radix_merge_compareILb0ELb0ExNS0_19identity_decomposerEEEEE10hipError_tT0_T1_T2_jT3_P12ihipStream_tbPNSt15iterator_traitsISI_E10value_typeEPNSO_ISJ_E10value_typeEPSK_NS1_7vsmem_tEENKUlT_SI_SJ_SK_E_clIPxSD_S10_SD_EESH_SX_SI_SJ_SK_EUlSX_E_NS1_11comp_targetILNS1_3genE9ELNS1_11target_archE1100ELNS1_3gpuE3ELNS1_3repE0EEENS1_48merge_mergepath_partition_config_static_selectorELNS0_4arch9wavefront6targetE1EEEvSJ_,"axG",@progbits,_ZN7rocprim17ROCPRIM_400000_NS6detail17trampoline_kernelINS0_14default_configENS1_38merge_sort_block_merge_config_selectorIxxEEZZNS1_27merge_sort_block_merge_implIS3_N6thrust23THRUST_200600_302600_NS6detail15normal_iteratorINS8_10device_ptrIxEEEESD_jNS1_19radix_merge_compareILb0ELb0ExNS0_19identity_decomposerEEEEE10hipError_tT0_T1_T2_jT3_P12ihipStream_tbPNSt15iterator_traitsISI_E10value_typeEPNSO_ISJ_E10value_typeEPSK_NS1_7vsmem_tEENKUlT_SI_SJ_SK_E_clIPxSD_S10_SD_EESH_SX_SI_SJ_SK_EUlSX_E_NS1_11comp_targetILNS1_3genE9ELNS1_11target_archE1100ELNS1_3gpuE3ELNS1_3repE0EEENS1_48merge_mergepath_partition_config_static_selectorELNS0_4arch9wavefront6targetE1EEEvSJ_,comdat
	.protected	_ZN7rocprim17ROCPRIM_400000_NS6detail17trampoline_kernelINS0_14default_configENS1_38merge_sort_block_merge_config_selectorIxxEEZZNS1_27merge_sort_block_merge_implIS3_N6thrust23THRUST_200600_302600_NS6detail15normal_iteratorINS8_10device_ptrIxEEEESD_jNS1_19radix_merge_compareILb0ELb0ExNS0_19identity_decomposerEEEEE10hipError_tT0_T1_T2_jT3_P12ihipStream_tbPNSt15iterator_traitsISI_E10value_typeEPNSO_ISJ_E10value_typeEPSK_NS1_7vsmem_tEENKUlT_SI_SJ_SK_E_clIPxSD_S10_SD_EESH_SX_SI_SJ_SK_EUlSX_E_NS1_11comp_targetILNS1_3genE9ELNS1_11target_archE1100ELNS1_3gpuE3ELNS1_3repE0EEENS1_48merge_mergepath_partition_config_static_selectorELNS0_4arch9wavefront6targetE1EEEvSJ_ ; -- Begin function _ZN7rocprim17ROCPRIM_400000_NS6detail17trampoline_kernelINS0_14default_configENS1_38merge_sort_block_merge_config_selectorIxxEEZZNS1_27merge_sort_block_merge_implIS3_N6thrust23THRUST_200600_302600_NS6detail15normal_iteratorINS8_10device_ptrIxEEEESD_jNS1_19radix_merge_compareILb0ELb0ExNS0_19identity_decomposerEEEEE10hipError_tT0_T1_T2_jT3_P12ihipStream_tbPNSt15iterator_traitsISI_E10value_typeEPNSO_ISJ_E10value_typeEPSK_NS1_7vsmem_tEENKUlT_SI_SJ_SK_E_clIPxSD_S10_SD_EESH_SX_SI_SJ_SK_EUlSX_E_NS1_11comp_targetILNS1_3genE9ELNS1_11target_archE1100ELNS1_3gpuE3ELNS1_3repE0EEENS1_48merge_mergepath_partition_config_static_selectorELNS0_4arch9wavefront6targetE1EEEvSJ_
	.globl	_ZN7rocprim17ROCPRIM_400000_NS6detail17trampoline_kernelINS0_14default_configENS1_38merge_sort_block_merge_config_selectorIxxEEZZNS1_27merge_sort_block_merge_implIS3_N6thrust23THRUST_200600_302600_NS6detail15normal_iteratorINS8_10device_ptrIxEEEESD_jNS1_19radix_merge_compareILb0ELb0ExNS0_19identity_decomposerEEEEE10hipError_tT0_T1_T2_jT3_P12ihipStream_tbPNSt15iterator_traitsISI_E10value_typeEPNSO_ISJ_E10value_typeEPSK_NS1_7vsmem_tEENKUlT_SI_SJ_SK_E_clIPxSD_S10_SD_EESH_SX_SI_SJ_SK_EUlSX_E_NS1_11comp_targetILNS1_3genE9ELNS1_11target_archE1100ELNS1_3gpuE3ELNS1_3repE0EEENS1_48merge_mergepath_partition_config_static_selectorELNS0_4arch9wavefront6targetE1EEEvSJ_
	.p2align	8
	.type	_ZN7rocprim17ROCPRIM_400000_NS6detail17trampoline_kernelINS0_14default_configENS1_38merge_sort_block_merge_config_selectorIxxEEZZNS1_27merge_sort_block_merge_implIS3_N6thrust23THRUST_200600_302600_NS6detail15normal_iteratorINS8_10device_ptrIxEEEESD_jNS1_19radix_merge_compareILb0ELb0ExNS0_19identity_decomposerEEEEE10hipError_tT0_T1_T2_jT3_P12ihipStream_tbPNSt15iterator_traitsISI_E10value_typeEPNSO_ISJ_E10value_typeEPSK_NS1_7vsmem_tEENKUlT_SI_SJ_SK_E_clIPxSD_S10_SD_EESH_SX_SI_SJ_SK_EUlSX_E_NS1_11comp_targetILNS1_3genE9ELNS1_11target_archE1100ELNS1_3gpuE3ELNS1_3repE0EEENS1_48merge_mergepath_partition_config_static_selectorELNS0_4arch9wavefront6targetE1EEEvSJ_,@function
_ZN7rocprim17ROCPRIM_400000_NS6detail17trampoline_kernelINS0_14default_configENS1_38merge_sort_block_merge_config_selectorIxxEEZZNS1_27merge_sort_block_merge_implIS3_N6thrust23THRUST_200600_302600_NS6detail15normal_iteratorINS8_10device_ptrIxEEEESD_jNS1_19radix_merge_compareILb0ELb0ExNS0_19identity_decomposerEEEEE10hipError_tT0_T1_T2_jT3_P12ihipStream_tbPNSt15iterator_traitsISI_E10value_typeEPNSO_ISJ_E10value_typeEPSK_NS1_7vsmem_tEENKUlT_SI_SJ_SK_E_clIPxSD_S10_SD_EESH_SX_SI_SJ_SK_EUlSX_E_NS1_11comp_targetILNS1_3genE9ELNS1_11target_archE1100ELNS1_3gpuE3ELNS1_3repE0EEENS1_48merge_mergepath_partition_config_static_selectorELNS0_4arch9wavefront6targetE1EEEvSJ_: ; @_ZN7rocprim17ROCPRIM_400000_NS6detail17trampoline_kernelINS0_14default_configENS1_38merge_sort_block_merge_config_selectorIxxEEZZNS1_27merge_sort_block_merge_implIS3_N6thrust23THRUST_200600_302600_NS6detail15normal_iteratorINS8_10device_ptrIxEEEESD_jNS1_19radix_merge_compareILb0ELb0ExNS0_19identity_decomposerEEEEE10hipError_tT0_T1_T2_jT3_P12ihipStream_tbPNSt15iterator_traitsISI_E10value_typeEPNSO_ISJ_E10value_typeEPSK_NS1_7vsmem_tEENKUlT_SI_SJ_SK_E_clIPxSD_S10_SD_EESH_SX_SI_SJ_SK_EUlSX_E_NS1_11comp_targetILNS1_3genE9ELNS1_11target_archE1100ELNS1_3gpuE3ELNS1_3repE0EEENS1_48merge_mergepath_partition_config_static_selectorELNS0_4arch9wavefront6targetE1EEEvSJ_
; %bb.0:
	.section	.rodata,"a",@progbits
	.p2align	6, 0x0
	.amdhsa_kernel _ZN7rocprim17ROCPRIM_400000_NS6detail17trampoline_kernelINS0_14default_configENS1_38merge_sort_block_merge_config_selectorIxxEEZZNS1_27merge_sort_block_merge_implIS3_N6thrust23THRUST_200600_302600_NS6detail15normal_iteratorINS8_10device_ptrIxEEEESD_jNS1_19radix_merge_compareILb0ELb0ExNS0_19identity_decomposerEEEEE10hipError_tT0_T1_T2_jT3_P12ihipStream_tbPNSt15iterator_traitsISI_E10value_typeEPNSO_ISJ_E10value_typeEPSK_NS1_7vsmem_tEENKUlT_SI_SJ_SK_E_clIPxSD_S10_SD_EESH_SX_SI_SJ_SK_EUlSX_E_NS1_11comp_targetILNS1_3genE9ELNS1_11target_archE1100ELNS1_3gpuE3ELNS1_3repE0EEENS1_48merge_mergepath_partition_config_static_selectorELNS0_4arch9wavefront6targetE1EEEvSJ_
		.amdhsa_group_segment_fixed_size 0
		.amdhsa_private_segment_fixed_size 0
		.amdhsa_kernarg_size 40
		.amdhsa_user_sgpr_count 2
		.amdhsa_user_sgpr_dispatch_ptr 0
		.amdhsa_user_sgpr_queue_ptr 0
		.amdhsa_user_sgpr_kernarg_segment_ptr 1
		.amdhsa_user_sgpr_dispatch_id 0
		.amdhsa_user_sgpr_kernarg_preload_length 0
		.amdhsa_user_sgpr_kernarg_preload_offset 0
		.amdhsa_user_sgpr_private_segment_size 0
		.amdhsa_uses_dynamic_stack 0
		.amdhsa_enable_private_segment 0
		.amdhsa_system_sgpr_workgroup_id_x 1
		.amdhsa_system_sgpr_workgroup_id_y 0
		.amdhsa_system_sgpr_workgroup_id_z 0
		.amdhsa_system_sgpr_workgroup_info 0
		.amdhsa_system_vgpr_workitem_id 0
		.amdhsa_next_free_vgpr 1
		.amdhsa_next_free_sgpr 0
		.amdhsa_accum_offset 4
		.amdhsa_reserve_vcc 0
		.amdhsa_float_round_mode_32 0
		.amdhsa_float_round_mode_16_64 0
		.amdhsa_float_denorm_mode_32 3
		.amdhsa_float_denorm_mode_16_64 3
		.amdhsa_dx10_clamp 1
		.amdhsa_ieee_mode 1
		.amdhsa_fp16_overflow 0
		.amdhsa_tg_split 0
		.amdhsa_exception_fp_ieee_invalid_op 0
		.amdhsa_exception_fp_denorm_src 0
		.amdhsa_exception_fp_ieee_div_zero 0
		.amdhsa_exception_fp_ieee_overflow 0
		.amdhsa_exception_fp_ieee_underflow 0
		.amdhsa_exception_fp_ieee_inexact 0
		.amdhsa_exception_int_div_zero 0
	.end_amdhsa_kernel
	.section	.text._ZN7rocprim17ROCPRIM_400000_NS6detail17trampoline_kernelINS0_14default_configENS1_38merge_sort_block_merge_config_selectorIxxEEZZNS1_27merge_sort_block_merge_implIS3_N6thrust23THRUST_200600_302600_NS6detail15normal_iteratorINS8_10device_ptrIxEEEESD_jNS1_19radix_merge_compareILb0ELb0ExNS0_19identity_decomposerEEEEE10hipError_tT0_T1_T2_jT3_P12ihipStream_tbPNSt15iterator_traitsISI_E10value_typeEPNSO_ISJ_E10value_typeEPSK_NS1_7vsmem_tEENKUlT_SI_SJ_SK_E_clIPxSD_S10_SD_EESH_SX_SI_SJ_SK_EUlSX_E_NS1_11comp_targetILNS1_3genE9ELNS1_11target_archE1100ELNS1_3gpuE3ELNS1_3repE0EEENS1_48merge_mergepath_partition_config_static_selectorELNS0_4arch9wavefront6targetE1EEEvSJ_,"axG",@progbits,_ZN7rocprim17ROCPRIM_400000_NS6detail17trampoline_kernelINS0_14default_configENS1_38merge_sort_block_merge_config_selectorIxxEEZZNS1_27merge_sort_block_merge_implIS3_N6thrust23THRUST_200600_302600_NS6detail15normal_iteratorINS8_10device_ptrIxEEEESD_jNS1_19radix_merge_compareILb0ELb0ExNS0_19identity_decomposerEEEEE10hipError_tT0_T1_T2_jT3_P12ihipStream_tbPNSt15iterator_traitsISI_E10value_typeEPNSO_ISJ_E10value_typeEPSK_NS1_7vsmem_tEENKUlT_SI_SJ_SK_E_clIPxSD_S10_SD_EESH_SX_SI_SJ_SK_EUlSX_E_NS1_11comp_targetILNS1_3genE9ELNS1_11target_archE1100ELNS1_3gpuE3ELNS1_3repE0EEENS1_48merge_mergepath_partition_config_static_selectorELNS0_4arch9wavefront6targetE1EEEvSJ_,comdat
.Lfunc_end1071:
	.size	_ZN7rocprim17ROCPRIM_400000_NS6detail17trampoline_kernelINS0_14default_configENS1_38merge_sort_block_merge_config_selectorIxxEEZZNS1_27merge_sort_block_merge_implIS3_N6thrust23THRUST_200600_302600_NS6detail15normal_iteratorINS8_10device_ptrIxEEEESD_jNS1_19radix_merge_compareILb0ELb0ExNS0_19identity_decomposerEEEEE10hipError_tT0_T1_T2_jT3_P12ihipStream_tbPNSt15iterator_traitsISI_E10value_typeEPNSO_ISJ_E10value_typeEPSK_NS1_7vsmem_tEENKUlT_SI_SJ_SK_E_clIPxSD_S10_SD_EESH_SX_SI_SJ_SK_EUlSX_E_NS1_11comp_targetILNS1_3genE9ELNS1_11target_archE1100ELNS1_3gpuE3ELNS1_3repE0EEENS1_48merge_mergepath_partition_config_static_selectorELNS0_4arch9wavefront6targetE1EEEvSJ_, .Lfunc_end1071-_ZN7rocprim17ROCPRIM_400000_NS6detail17trampoline_kernelINS0_14default_configENS1_38merge_sort_block_merge_config_selectorIxxEEZZNS1_27merge_sort_block_merge_implIS3_N6thrust23THRUST_200600_302600_NS6detail15normal_iteratorINS8_10device_ptrIxEEEESD_jNS1_19radix_merge_compareILb0ELb0ExNS0_19identity_decomposerEEEEE10hipError_tT0_T1_T2_jT3_P12ihipStream_tbPNSt15iterator_traitsISI_E10value_typeEPNSO_ISJ_E10value_typeEPSK_NS1_7vsmem_tEENKUlT_SI_SJ_SK_E_clIPxSD_S10_SD_EESH_SX_SI_SJ_SK_EUlSX_E_NS1_11comp_targetILNS1_3genE9ELNS1_11target_archE1100ELNS1_3gpuE3ELNS1_3repE0EEENS1_48merge_mergepath_partition_config_static_selectorELNS0_4arch9wavefront6targetE1EEEvSJ_
                                        ; -- End function
	.set _ZN7rocprim17ROCPRIM_400000_NS6detail17trampoline_kernelINS0_14default_configENS1_38merge_sort_block_merge_config_selectorIxxEEZZNS1_27merge_sort_block_merge_implIS3_N6thrust23THRUST_200600_302600_NS6detail15normal_iteratorINS8_10device_ptrIxEEEESD_jNS1_19radix_merge_compareILb0ELb0ExNS0_19identity_decomposerEEEEE10hipError_tT0_T1_T2_jT3_P12ihipStream_tbPNSt15iterator_traitsISI_E10value_typeEPNSO_ISJ_E10value_typeEPSK_NS1_7vsmem_tEENKUlT_SI_SJ_SK_E_clIPxSD_S10_SD_EESH_SX_SI_SJ_SK_EUlSX_E_NS1_11comp_targetILNS1_3genE9ELNS1_11target_archE1100ELNS1_3gpuE3ELNS1_3repE0EEENS1_48merge_mergepath_partition_config_static_selectorELNS0_4arch9wavefront6targetE1EEEvSJ_.num_vgpr, 0
	.set _ZN7rocprim17ROCPRIM_400000_NS6detail17trampoline_kernelINS0_14default_configENS1_38merge_sort_block_merge_config_selectorIxxEEZZNS1_27merge_sort_block_merge_implIS3_N6thrust23THRUST_200600_302600_NS6detail15normal_iteratorINS8_10device_ptrIxEEEESD_jNS1_19radix_merge_compareILb0ELb0ExNS0_19identity_decomposerEEEEE10hipError_tT0_T1_T2_jT3_P12ihipStream_tbPNSt15iterator_traitsISI_E10value_typeEPNSO_ISJ_E10value_typeEPSK_NS1_7vsmem_tEENKUlT_SI_SJ_SK_E_clIPxSD_S10_SD_EESH_SX_SI_SJ_SK_EUlSX_E_NS1_11comp_targetILNS1_3genE9ELNS1_11target_archE1100ELNS1_3gpuE3ELNS1_3repE0EEENS1_48merge_mergepath_partition_config_static_selectorELNS0_4arch9wavefront6targetE1EEEvSJ_.num_agpr, 0
	.set _ZN7rocprim17ROCPRIM_400000_NS6detail17trampoline_kernelINS0_14default_configENS1_38merge_sort_block_merge_config_selectorIxxEEZZNS1_27merge_sort_block_merge_implIS3_N6thrust23THRUST_200600_302600_NS6detail15normal_iteratorINS8_10device_ptrIxEEEESD_jNS1_19radix_merge_compareILb0ELb0ExNS0_19identity_decomposerEEEEE10hipError_tT0_T1_T2_jT3_P12ihipStream_tbPNSt15iterator_traitsISI_E10value_typeEPNSO_ISJ_E10value_typeEPSK_NS1_7vsmem_tEENKUlT_SI_SJ_SK_E_clIPxSD_S10_SD_EESH_SX_SI_SJ_SK_EUlSX_E_NS1_11comp_targetILNS1_3genE9ELNS1_11target_archE1100ELNS1_3gpuE3ELNS1_3repE0EEENS1_48merge_mergepath_partition_config_static_selectorELNS0_4arch9wavefront6targetE1EEEvSJ_.numbered_sgpr, 0
	.set _ZN7rocprim17ROCPRIM_400000_NS6detail17trampoline_kernelINS0_14default_configENS1_38merge_sort_block_merge_config_selectorIxxEEZZNS1_27merge_sort_block_merge_implIS3_N6thrust23THRUST_200600_302600_NS6detail15normal_iteratorINS8_10device_ptrIxEEEESD_jNS1_19radix_merge_compareILb0ELb0ExNS0_19identity_decomposerEEEEE10hipError_tT0_T1_T2_jT3_P12ihipStream_tbPNSt15iterator_traitsISI_E10value_typeEPNSO_ISJ_E10value_typeEPSK_NS1_7vsmem_tEENKUlT_SI_SJ_SK_E_clIPxSD_S10_SD_EESH_SX_SI_SJ_SK_EUlSX_E_NS1_11comp_targetILNS1_3genE9ELNS1_11target_archE1100ELNS1_3gpuE3ELNS1_3repE0EEENS1_48merge_mergepath_partition_config_static_selectorELNS0_4arch9wavefront6targetE1EEEvSJ_.num_named_barrier, 0
	.set _ZN7rocprim17ROCPRIM_400000_NS6detail17trampoline_kernelINS0_14default_configENS1_38merge_sort_block_merge_config_selectorIxxEEZZNS1_27merge_sort_block_merge_implIS3_N6thrust23THRUST_200600_302600_NS6detail15normal_iteratorINS8_10device_ptrIxEEEESD_jNS1_19radix_merge_compareILb0ELb0ExNS0_19identity_decomposerEEEEE10hipError_tT0_T1_T2_jT3_P12ihipStream_tbPNSt15iterator_traitsISI_E10value_typeEPNSO_ISJ_E10value_typeEPSK_NS1_7vsmem_tEENKUlT_SI_SJ_SK_E_clIPxSD_S10_SD_EESH_SX_SI_SJ_SK_EUlSX_E_NS1_11comp_targetILNS1_3genE9ELNS1_11target_archE1100ELNS1_3gpuE3ELNS1_3repE0EEENS1_48merge_mergepath_partition_config_static_selectorELNS0_4arch9wavefront6targetE1EEEvSJ_.private_seg_size, 0
	.set _ZN7rocprim17ROCPRIM_400000_NS6detail17trampoline_kernelINS0_14default_configENS1_38merge_sort_block_merge_config_selectorIxxEEZZNS1_27merge_sort_block_merge_implIS3_N6thrust23THRUST_200600_302600_NS6detail15normal_iteratorINS8_10device_ptrIxEEEESD_jNS1_19radix_merge_compareILb0ELb0ExNS0_19identity_decomposerEEEEE10hipError_tT0_T1_T2_jT3_P12ihipStream_tbPNSt15iterator_traitsISI_E10value_typeEPNSO_ISJ_E10value_typeEPSK_NS1_7vsmem_tEENKUlT_SI_SJ_SK_E_clIPxSD_S10_SD_EESH_SX_SI_SJ_SK_EUlSX_E_NS1_11comp_targetILNS1_3genE9ELNS1_11target_archE1100ELNS1_3gpuE3ELNS1_3repE0EEENS1_48merge_mergepath_partition_config_static_selectorELNS0_4arch9wavefront6targetE1EEEvSJ_.uses_vcc, 0
	.set _ZN7rocprim17ROCPRIM_400000_NS6detail17trampoline_kernelINS0_14default_configENS1_38merge_sort_block_merge_config_selectorIxxEEZZNS1_27merge_sort_block_merge_implIS3_N6thrust23THRUST_200600_302600_NS6detail15normal_iteratorINS8_10device_ptrIxEEEESD_jNS1_19radix_merge_compareILb0ELb0ExNS0_19identity_decomposerEEEEE10hipError_tT0_T1_T2_jT3_P12ihipStream_tbPNSt15iterator_traitsISI_E10value_typeEPNSO_ISJ_E10value_typeEPSK_NS1_7vsmem_tEENKUlT_SI_SJ_SK_E_clIPxSD_S10_SD_EESH_SX_SI_SJ_SK_EUlSX_E_NS1_11comp_targetILNS1_3genE9ELNS1_11target_archE1100ELNS1_3gpuE3ELNS1_3repE0EEENS1_48merge_mergepath_partition_config_static_selectorELNS0_4arch9wavefront6targetE1EEEvSJ_.uses_flat_scratch, 0
	.set _ZN7rocprim17ROCPRIM_400000_NS6detail17trampoline_kernelINS0_14default_configENS1_38merge_sort_block_merge_config_selectorIxxEEZZNS1_27merge_sort_block_merge_implIS3_N6thrust23THRUST_200600_302600_NS6detail15normal_iteratorINS8_10device_ptrIxEEEESD_jNS1_19radix_merge_compareILb0ELb0ExNS0_19identity_decomposerEEEEE10hipError_tT0_T1_T2_jT3_P12ihipStream_tbPNSt15iterator_traitsISI_E10value_typeEPNSO_ISJ_E10value_typeEPSK_NS1_7vsmem_tEENKUlT_SI_SJ_SK_E_clIPxSD_S10_SD_EESH_SX_SI_SJ_SK_EUlSX_E_NS1_11comp_targetILNS1_3genE9ELNS1_11target_archE1100ELNS1_3gpuE3ELNS1_3repE0EEENS1_48merge_mergepath_partition_config_static_selectorELNS0_4arch9wavefront6targetE1EEEvSJ_.has_dyn_sized_stack, 0
	.set _ZN7rocprim17ROCPRIM_400000_NS6detail17trampoline_kernelINS0_14default_configENS1_38merge_sort_block_merge_config_selectorIxxEEZZNS1_27merge_sort_block_merge_implIS3_N6thrust23THRUST_200600_302600_NS6detail15normal_iteratorINS8_10device_ptrIxEEEESD_jNS1_19radix_merge_compareILb0ELb0ExNS0_19identity_decomposerEEEEE10hipError_tT0_T1_T2_jT3_P12ihipStream_tbPNSt15iterator_traitsISI_E10value_typeEPNSO_ISJ_E10value_typeEPSK_NS1_7vsmem_tEENKUlT_SI_SJ_SK_E_clIPxSD_S10_SD_EESH_SX_SI_SJ_SK_EUlSX_E_NS1_11comp_targetILNS1_3genE9ELNS1_11target_archE1100ELNS1_3gpuE3ELNS1_3repE0EEENS1_48merge_mergepath_partition_config_static_selectorELNS0_4arch9wavefront6targetE1EEEvSJ_.has_recursion, 0
	.set _ZN7rocprim17ROCPRIM_400000_NS6detail17trampoline_kernelINS0_14default_configENS1_38merge_sort_block_merge_config_selectorIxxEEZZNS1_27merge_sort_block_merge_implIS3_N6thrust23THRUST_200600_302600_NS6detail15normal_iteratorINS8_10device_ptrIxEEEESD_jNS1_19radix_merge_compareILb0ELb0ExNS0_19identity_decomposerEEEEE10hipError_tT0_T1_T2_jT3_P12ihipStream_tbPNSt15iterator_traitsISI_E10value_typeEPNSO_ISJ_E10value_typeEPSK_NS1_7vsmem_tEENKUlT_SI_SJ_SK_E_clIPxSD_S10_SD_EESH_SX_SI_SJ_SK_EUlSX_E_NS1_11comp_targetILNS1_3genE9ELNS1_11target_archE1100ELNS1_3gpuE3ELNS1_3repE0EEENS1_48merge_mergepath_partition_config_static_selectorELNS0_4arch9wavefront6targetE1EEEvSJ_.has_indirect_call, 0
	.section	.AMDGPU.csdata,"",@progbits
; Kernel info:
; codeLenInByte = 0
; TotalNumSgprs: 6
; NumVgprs: 0
; NumAgprs: 0
; TotalNumVgprs: 0
; ScratchSize: 0
; MemoryBound: 0
; FloatMode: 240
; IeeeMode: 1
; LDSByteSize: 0 bytes/workgroup (compile time only)
; SGPRBlocks: 0
; VGPRBlocks: 0
; NumSGPRsForWavesPerEU: 6
; NumVGPRsForWavesPerEU: 1
; AccumOffset: 4
; Occupancy: 8
; WaveLimiterHint : 0
; COMPUTE_PGM_RSRC2:SCRATCH_EN: 0
; COMPUTE_PGM_RSRC2:USER_SGPR: 2
; COMPUTE_PGM_RSRC2:TRAP_HANDLER: 0
; COMPUTE_PGM_RSRC2:TGID_X_EN: 1
; COMPUTE_PGM_RSRC2:TGID_Y_EN: 0
; COMPUTE_PGM_RSRC2:TGID_Z_EN: 0
; COMPUTE_PGM_RSRC2:TIDIG_COMP_CNT: 0
; COMPUTE_PGM_RSRC3_GFX90A:ACCUM_OFFSET: 0
; COMPUTE_PGM_RSRC3_GFX90A:TG_SPLIT: 0
	.section	.text._ZN7rocprim17ROCPRIM_400000_NS6detail17trampoline_kernelINS0_14default_configENS1_38merge_sort_block_merge_config_selectorIxxEEZZNS1_27merge_sort_block_merge_implIS3_N6thrust23THRUST_200600_302600_NS6detail15normal_iteratorINS8_10device_ptrIxEEEESD_jNS1_19radix_merge_compareILb0ELb0ExNS0_19identity_decomposerEEEEE10hipError_tT0_T1_T2_jT3_P12ihipStream_tbPNSt15iterator_traitsISI_E10value_typeEPNSO_ISJ_E10value_typeEPSK_NS1_7vsmem_tEENKUlT_SI_SJ_SK_E_clIPxSD_S10_SD_EESH_SX_SI_SJ_SK_EUlSX_E_NS1_11comp_targetILNS1_3genE8ELNS1_11target_archE1030ELNS1_3gpuE2ELNS1_3repE0EEENS1_48merge_mergepath_partition_config_static_selectorELNS0_4arch9wavefront6targetE1EEEvSJ_,"axG",@progbits,_ZN7rocprim17ROCPRIM_400000_NS6detail17trampoline_kernelINS0_14default_configENS1_38merge_sort_block_merge_config_selectorIxxEEZZNS1_27merge_sort_block_merge_implIS3_N6thrust23THRUST_200600_302600_NS6detail15normal_iteratorINS8_10device_ptrIxEEEESD_jNS1_19radix_merge_compareILb0ELb0ExNS0_19identity_decomposerEEEEE10hipError_tT0_T1_T2_jT3_P12ihipStream_tbPNSt15iterator_traitsISI_E10value_typeEPNSO_ISJ_E10value_typeEPSK_NS1_7vsmem_tEENKUlT_SI_SJ_SK_E_clIPxSD_S10_SD_EESH_SX_SI_SJ_SK_EUlSX_E_NS1_11comp_targetILNS1_3genE8ELNS1_11target_archE1030ELNS1_3gpuE2ELNS1_3repE0EEENS1_48merge_mergepath_partition_config_static_selectorELNS0_4arch9wavefront6targetE1EEEvSJ_,comdat
	.protected	_ZN7rocprim17ROCPRIM_400000_NS6detail17trampoline_kernelINS0_14default_configENS1_38merge_sort_block_merge_config_selectorIxxEEZZNS1_27merge_sort_block_merge_implIS3_N6thrust23THRUST_200600_302600_NS6detail15normal_iteratorINS8_10device_ptrIxEEEESD_jNS1_19radix_merge_compareILb0ELb0ExNS0_19identity_decomposerEEEEE10hipError_tT0_T1_T2_jT3_P12ihipStream_tbPNSt15iterator_traitsISI_E10value_typeEPNSO_ISJ_E10value_typeEPSK_NS1_7vsmem_tEENKUlT_SI_SJ_SK_E_clIPxSD_S10_SD_EESH_SX_SI_SJ_SK_EUlSX_E_NS1_11comp_targetILNS1_3genE8ELNS1_11target_archE1030ELNS1_3gpuE2ELNS1_3repE0EEENS1_48merge_mergepath_partition_config_static_selectorELNS0_4arch9wavefront6targetE1EEEvSJ_ ; -- Begin function _ZN7rocprim17ROCPRIM_400000_NS6detail17trampoline_kernelINS0_14default_configENS1_38merge_sort_block_merge_config_selectorIxxEEZZNS1_27merge_sort_block_merge_implIS3_N6thrust23THRUST_200600_302600_NS6detail15normal_iteratorINS8_10device_ptrIxEEEESD_jNS1_19radix_merge_compareILb0ELb0ExNS0_19identity_decomposerEEEEE10hipError_tT0_T1_T2_jT3_P12ihipStream_tbPNSt15iterator_traitsISI_E10value_typeEPNSO_ISJ_E10value_typeEPSK_NS1_7vsmem_tEENKUlT_SI_SJ_SK_E_clIPxSD_S10_SD_EESH_SX_SI_SJ_SK_EUlSX_E_NS1_11comp_targetILNS1_3genE8ELNS1_11target_archE1030ELNS1_3gpuE2ELNS1_3repE0EEENS1_48merge_mergepath_partition_config_static_selectorELNS0_4arch9wavefront6targetE1EEEvSJ_
	.globl	_ZN7rocprim17ROCPRIM_400000_NS6detail17trampoline_kernelINS0_14default_configENS1_38merge_sort_block_merge_config_selectorIxxEEZZNS1_27merge_sort_block_merge_implIS3_N6thrust23THRUST_200600_302600_NS6detail15normal_iteratorINS8_10device_ptrIxEEEESD_jNS1_19radix_merge_compareILb0ELb0ExNS0_19identity_decomposerEEEEE10hipError_tT0_T1_T2_jT3_P12ihipStream_tbPNSt15iterator_traitsISI_E10value_typeEPNSO_ISJ_E10value_typeEPSK_NS1_7vsmem_tEENKUlT_SI_SJ_SK_E_clIPxSD_S10_SD_EESH_SX_SI_SJ_SK_EUlSX_E_NS1_11comp_targetILNS1_3genE8ELNS1_11target_archE1030ELNS1_3gpuE2ELNS1_3repE0EEENS1_48merge_mergepath_partition_config_static_selectorELNS0_4arch9wavefront6targetE1EEEvSJ_
	.p2align	8
	.type	_ZN7rocprim17ROCPRIM_400000_NS6detail17trampoline_kernelINS0_14default_configENS1_38merge_sort_block_merge_config_selectorIxxEEZZNS1_27merge_sort_block_merge_implIS3_N6thrust23THRUST_200600_302600_NS6detail15normal_iteratorINS8_10device_ptrIxEEEESD_jNS1_19radix_merge_compareILb0ELb0ExNS0_19identity_decomposerEEEEE10hipError_tT0_T1_T2_jT3_P12ihipStream_tbPNSt15iterator_traitsISI_E10value_typeEPNSO_ISJ_E10value_typeEPSK_NS1_7vsmem_tEENKUlT_SI_SJ_SK_E_clIPxSD_S10_SD_EESH_SX_SI_SJ_SK_EUlSX_E_NS1_11comp_targetILNS1_3genE8ELNS1_11target_archE1030ELNS1_3gpuE2ELNS1_3repE0EEENS1_48merge_mergepath_partition_config_static_selectorELNS0_4arch9wavefront6targetE1EEEvSJ_,@function
_ZN7rocprim17ROCPRIM_400000_NS6detail17trampoline_kernelINS0_14default_configENS1_38merge_sort_block_merge_config_selectorIxxEEZZNS1_27merge_sort_block_merge_implIS3_N6thrust23THRUST_200600_302600_NS6detail15normal_iteratorINS8_10device_ptrIxEEEESD_jNS1_19radix_merge_compareILb0ELb0ExNS0_19identity_decomposerEEEEE10hipError_tT0_T1_T2_jT3_P12ihipStream_tbPNSt15iterator_traitsISI_E10value_typeEPNSO_ISJ_E10value_typeEPSK_NS1_7vsmem_tEENKUlT_SI_SJ_SK_E_clIPxSD_S10_SD_EESH_SX_SI_SJ_SK_EUlSX_E_NS1_11comp_targetILNS1_3genE8ELNS1_11target_archE1030ELNS1_3gpuE2ELNS1_3repE0EEENS1_48merge_mergepath_partition_config_static_selectorELNS0_4arch9wavefront6targetE1EEEvSJ_: ; @_ZN7rocprim17ROCPRIM_400000_NS6detail17trampoline_kernelINS0_14default_configENS1_38merge_sort_block_merge_config_selectorIxxEEZZNS1_27merge_sort_block_merge_implIS3_N6thrust23THRUST_200600_302600_NS6detail15normal_iteratorINS8_10device_ptrIxEEEESD_jNS1_19radix_merge_compareILb0ELb0ExNS0_19identity_decomposerEEEEE10hipError_tT0_T1_T2_jT3_P12ihipStream_tbPNSt15iterator_traitsISI_E10value_typeEPNSO_ISJ_E10value_typeEPSK_NS1_7vsmem_tEENKUlT_SI_SJ_SK_E_clIPxSD_S10_SD_EESH_SX_SI_SJ_SK_EUlSX_E_NS1_11comp_targetILNS1_3genE8ELNS1_11target_archE1030ELNS1_3gpuE2ELNS1_3repE0EEENS1_48merge_mergepath_partition_config_static_selectorELNS0_4arch9wavefront6targetE1EEEvSJ_
; %bb.0:
	.section	.rodata,"a",@progbits
	.p2align	6, 0x0
	.amdhsa_kernel _ZN7rocprim17ROCPRIM_400000_NS6detail17trampoline_kernelINS0_14default_configENS1_38merge_sort_block_merge_config_selectorIxxEEZZNS1_27merge_sort_block_merge_implIS3_N6thrust23THRUST_200600_302600_NS6detail15normal_iteratorINS8_10device_ptrIxEEEESD_jNS1_19radix_merge_compareILb0ELb0ExNS0_19identity_decomposerEEEEE10hipError_tT0_T1_T2_jT3_P12ihipStream_tbPNSt15iterator_traitsISI_E10value_typeEPNSO_ISJ_E10value_typeEPSK_NS1_7vsmem_tEENKUlT_SI_SJ_SK_E_clIPxSD_S10_SD_EESH_SX_SI_SJ_SK_EUlSX_E_NS1_11comp_targetILNS1_3genE8ELNS1_11target_archE1030ELNS1_3gpuE2ELNS1_3repE0EEENS1_48merge_mergepath_partition_config_static_selectorELNS0_4arch9wavefront6targetE1EEEvSJ_
		.amdhsa_group_segment_fixed_size 0
		.amdhsa_private_segment_fixed_size 0
		.amdhsa_kernarg_size 40
		.amdhsa_user_sgpr_count 2
		.amdhsa_user_sgpr_dispatch_ptr 0
		.amdhsa_user_sgpr_queue_ptr 0
		.amdhsa_user_sgpr_kernarg_segment_ptr 1
		.amdhsa_user_sgpr_dispatch_id 0
		.amdhsa_user_sgpr_kernarg_preload_length 0
		.amdhsa_user_sgpr_kernarg_preload_offset 0
		.amdhsa_user_sgpr_private_segment_size 0
		.amdhsa_uses_dynamic_stack 0
		.amdhsa_enable_private_segment 0
		.amdhsa_system_sgpr_workgroup_id_x 1
		.amdhsa_system_sgpr_workgroup_id_y 0
		.amdhsa_system_sgpr_workgroup_id_z 0
		.amdhsa_system_sgpr_workgroup_info 0
		.amdhsa_system_vgpr_workitem_id 0
		.amdhsa_next_free_vgpr 1
		.amdhsa_next_free_sgpr 0
		.amdhsa_accum_offset 4
		.amdhsa_reserve_vcc 0
		.amdhsa_float_round_mode_32 0
		.amdhsa_float_round_mode_16_64 0
		.amdhsa_float_denorm_mode_32 3
		.amdhsa_float_denorm_mode_16_64 3
		.amdhsa_dx10_clamp 1
		.amdhsa_ieee_mode 1
		.amdhsa_fp16_overflow 0
		.amdhsa_tg_split 0
		.amdhsa_exception_fp_ieee_invalid_op 0
		.amdhsa_exception_fp_denorm_src 0
		.amdhsa_exception_fp_ieee_div_zero 0
		.amdhsa_exception_fp_ieee_overflow 0
		.amdhsa_exception_fp_ieee_underflow 0
		.amdhsa_exception_fp_ieee_inexact 0
		.amdhsa_exception_int_div_zero 0
	.end_amdhsa_kernel
	.section	.text._ZN7rocprim17ROCPRIM_400000_NS6detail17trampoline_kernelINS0_14default_configENS1_38merge_sort_block_merge_config_selectorIxxEEZZNS1_27merge_sort_block_merge_implIS3_N6thrust23THRUST_200600_302600_NS6detail15normal_iteratorINS8_10device_ptrIxEEEESD_jNS1_19radix_merge_compareILb0ELb0ExNS0_19identity_decomposerEEEEE10hipError_tT0_T1_T2_jT3_P12ihipStream_tbPNSt15iterator_traitsISI_E10value_typeEPNSO_ISJ_E10value_typeEPSK_NS1_7vsmem_tEENKUlT_SI_SJ_SK_E_clIPxSD_S10_SD_EESH_SX_SI_SJ_SK_EUlSX_E_NS1_11comp_targetILNS1_3genE8ELNS1_11target_archE1030ELNS1_3gpuE2ELNS1_3repE0EEENS1_48merge_mergepath_partition_config_static_selectorELNS0_4arch9wavefront6targetE1EEEvSJ_,"axG",@progbits,_ZN7rocprim17ROCPRIM_400000_NS6detail17trampoline_kernelINS0_14default_configENS1_38merge_sort_block_merge_config_selectorIxxEEZZNS1_27merge_sort_block_merge_implIS3_N6thrust23THRUST_200600_302600_NS6detail15normal_iteratorINS8_10device_ptrIxEEEESD_jNS1_19radix_merge_compareILb0ELb0ExNS0_19identity_decomposerEEEEE10hipError_tT0_T1_T2_jT3_P12ihipStream_tbPNSt15iterator_traitsISI_E10value_typeEPNSO_ISJ_E10value_typeEPSK_NS1_7vsmem_tEENKUlT_SI_SJ_SK_E_clIPxSD_S10_SD_EESH_SX_SI_SJ_SK_EUlSX_E_NS1_11comp_targetILNS1_3genE8ELNS1_11target_archE1030ELNS1_3gpuE2ELNS1_3repE0EEENS1_48merge_mergepath_partition_config_static_selectorELNS0_4arch9wavefront6targetE1EEEvSJ_,comdat
.Lfunc_end1072:
	.size	_ZN7rocprim17ROCPRIM_400000_NS6detail17trampoline_kernelINS0_14default_configENS1_38merge_sort_block_merge_config_selectorIxxEEZZNS1_27merge_sort_block_merge_implIS3_N6thrust23THRUST_200600_302600_NS6detail15normal_iteratorINS8_10device_ptrIxEEEESD_jNS1_19radix_merge_compareILb0ELb0ExNS0_19identity_decomposerEEEEE10hipError_tT0_T1_T2_jT3_P12ihipStream_tbPNSt15iterator_traitsISI_E10value_typeEPNSO_ISJ_E10value_typeEPSK_NS1_7vsmem_tEENKUlT_SI_SJ_SK_E_clIPxSD_S10_SD_EESH_SX_SI_SJ_SK_EUlSX_E_NS1_11comp_targetILNS1_3genE8ELNS1_11target_archE1030ELNS1_3gpuE2ELNS1_3repE0EEENS1_48merge_mergepath_partition_config_static_selectorELNS0_4arch9wavefront6targetE1EEEvSJ_, .Lfunc_end1072-_ZN7rocprim17ROCPRIM_400000_NS6detail17trampoline_kernelINS0_14default_configENS1_38merge_sort_block_merge_config_selectorIxxEEZZNS1_27merge_sort_block_merge_implIS3_N6thrust23THRUST_200600_302600_NS6detail15normal_iteratorINS8_10device_ptrIxEEEESD_jNS1_19radix_merge_compareILb0ELb0ExNS0_19identity_decomposerEEEEE10hipError_tT0_T1_T2_jT3_P12ihipStream_tbPNSt15iterator_traitsISI_E10value_typeEPNSO_ISJ_E10value_typeEPSK_NS1_7vsmem_tEENKUlT_SI_SJ_SK_E_clIPxSD_S10_SD_EESH_SX_SI_SJ_SK_EUlSX_E_NS1_11comp_targetILNS1_3genE8ELNS1_11target_archE1030ELNS1_3gpuE2ELNS1_3repE0EEENS1_48merge_mergepath_partition_config_static_selectorELNS0_4arch9wavefront6targetE1EEEvSJ_
                                        ; -- End function
	.set _ZN7rocprim17ROCPRIM_400000_NS6detail17trampoline_kernelINS0_14default_configENS1_38merge_sort_block_merge_config_selectorIxxEEZZNS1_27merge_sort_block_merge_implIS3_N6thrust23THRUST_200600_302600_NS6detail15normal_iteratorINS8_10device_ptrIxEEEESD_jNS1_19radix_merge_compareILb0ELb0ExNS0_19identity_decomposerEEEEE10hipError_tT0_T1_T2_jT3_P12ihipStream_tbPNSt15iterator_traitsISI_E10value_typeEPNSO_ISJ_E10value_typeEPSK_NS1_7vsmem_tEENKUlT_SI_SJ_SK_E_clIPxSD_S10_SD_EESH_SX_SI_SJ_SK_EUlSX_E_NS1_11comp_targetILNS1_3genE8ELNS1_11target_archE1030ELNS1_3gpuE2ELNS1_3repE0EEENS1_48merge_mergepath_partition_config_static_selectorELNS0_4arch9wavefront6targetE1EEEvSJ_.num_vgpr, 0
	.set _ZN7rocprim17ROCPRIM_400000_NS6detail17trampoline_kernelINS0_14default_configENS1_38merge_sort_block_merge_config_selectorIxxEEZZNS1_27merge_sort_block_merge_implIS3_N6thrust23THRUST_200600_302600_NS6detail15normal_iteratorINS8_10device_ptrIxEEEESD_jNS1_19radix_merge_compareILb0ELb0ExNS0_19identity_decomposerEEEEE10hipError_tT0_T1_T2_jT3_P12ihipStream_tbPNSt15iterator_traitsISI_E10value_typeEPNSO_ISJ_E10value_typeEPSK_NS1_7vsmem_tEENKUlT_SI_SJ_SK_E_clIPxSD_S10_SD_EESH_SX_SI_SJ_SK_EUlSX_E_NS1_11comp_targetILNS1_3genE8ELNS1_11target_archE1030ELNS1_3gpuE2ELNS1_3repE0EEENS1_48merge_mergepath_partition_config_static_selectorELNS0_4arch9wavefront6targetE1EEEvSJ_.num_agpr, 0
	.set _ZN7rocprim17ROCPRIM_400000_NS6detail17trampoline_kernelINS0_14default_configENS1_38merge_sort_block_merge_config_selectorIxxEEZZNS1_27merge_sort_block_merge_implIS3_N6thrust23THRUST_200600_302600_NS6detail15normal_iteratorINS8_10device_ptrIxEEEESD_jNS1_19radix_merge_compareILb0ELb0ExNS0_19identity_decomposerEEEEE10hipError_tT0_T1_T2_jT3_P12ihipStream_tbPNSt15iterator_traitsISI_E10value_typeEPNSO_ISJ_E10value_typeEPSK_NS1_7vsmem_tEENKUlT_SI_SJ_SK_E_clIPxSD_S10_SD_EESH_SX_SI_SJ_SK_EUlSX_E_NS1_11comp_targetILNS1_3genE8ELNS1_11target_archE1030ELNS1_3gpuE2ELNS1_3repE0EEENS1_48merge_mergepath_partition_config_static_selectorELNS0_4arch9wavefront6targetE1EEEvSJ_.numbered_sgpr, 0
	.set _ZN7rocprim17ROCPRIM_400000_NS6detail17trampoline_kernelINS0_14default_configENS1_38merge_sort_block_merge_config_selectorIxxEEZZNS1_27merge_sort_block_merge_implIS3_N6thrust23THRUST_200600_302600_NS6detail15normal_iteratorINS8_10device_ptrIxEEEESD_jNS1_19radix_merge_compareILb0ELb0ExNS0_19identity_decomposerEEEEE10hipError_tT0_T1_T2_jT3_P12ihipStream_tbPNSt15iterator_traitsISI_E10value_typeEPNSO_ISJ_E10value_typeEPSK_NS1_7vsmem_tEENKUlT_SI_SJ_SK_E_clIPxSD_S10_SD_EESH_SX_SI_SJ_SK_EUlSX_E_NS1_11comp_targetILNS1_3genE8ELNS1_11target_archE1030ELNS1_3gpuE2ELNS1_3repE0EEENS1_48merge_mergepath_partition_config_static_selectorELNS0_4arch9wavefront6targetE1EEEvSJ_.num_named_barrier, 0
	.set _ZN7rocprim17ROCPRIM_400000_NS6detail17trampoline_kernelINS0_14default_configENS1_38merge_sort_block_merge_config_selectorIxxEEZZNS1_27merge_sort_block_merge_implIS3_N6thrust23THRUST_200600_302600_NS6detail15normal_iteratorINS8_10device_ptrIxEEEESD_jNS1_19radix_merge_compareILb0ELb0ExNS0_19identity_decomposerEEEEE10hipError_tT0_T1_T2_jT3_P12ihipStream_tbPNSt15iterator_traitsISI_E10value_typeEPNSO_ISJ_E10value_typeEPSK_NS1_7vsmem_tEENKUlT_SI_SJ_SK_E_clIPxSD_S10_SD_EESH_SX_SI_SJ_SK_EUlSX_E_NS1_11comp_targetILNS1_3genE8ELNS1_11target_archE1030ELNS1_3gpuE2ELNS1_3repE0EEENS1_48merge_mergepath_partition_config_static_selectorELNS0_4arch9wavefront6targetE1EEEvSJ_.private_seg_size, 0
	.set _ZN7rocprim17ROCPRIM_400000_NS6detail17trampoline_kernelINS0_14default_configENS1_38merge_sort_block_merge_config_selectorIxxEEZZNS1_27merge_sort_block_merge_implIS3_N6thrust23THRUST_200600_302600_NS6detail15normal_iteratorINS8_10device_ptrIxEEEESD_jNS1_19radix_merge_compareILb0ELb0ExNS0_19identity_decomposerEEEEE10hipError_tT0_T1_T2_jT3_P12ihipStream_tbPNSt15iterator_traitsISI_E10value_typeEPNSO_ISJ_E10value_typeEPSK_NS1_7vsmem_tEENKUlT_SI_SJ_SK_E_clIPxSD_S10_SD_EESH_SX_SI_SJ_SK_EUlSX_E_NS1_11comp_targetILNS1_3genE8ELNS1_11target_archE1030ELNS1_3gpuE2ELNS1_3repE0EEENS1_48merge_mergepath_partition_config_static_selectorELNS0_4arch9wavefront6targetE1EEEvSJ_.uses_vcc, 0
	.set _ZN7rocprim17ROCPRIM_400000_NS6detail17trampoline_kernelINS0_14default_configENS1_38merge_sort_block_merge_config_selectorIxxEEZZNS1_27merge_sort_block_merge_implIS3_N6thrust23THRUST_200600_302600_NS6detail15normal_iteratorINS8_10device_ptrIxEEEESD_jNS1_19radix_merge_compareILb0ELb0ExNS0_19identity_decomposerEEEEE10hipError_tT0_T1_T2_jT3_P12ihipStream_tbPNSt15iterator_traitsISI_E10value_typeEPNSO_ISJ_E10value_typeEPSK_NS1_7vsmem_tEENKUlT_SI_SJ_SK_E_clIPxSD_S10_SD_EESH_SX_SI_SJ_SK_EUlSX_E_NS1_11comp_targetILNS1_3genE8ELNS1_11target_archE1030ELNS1_3gpuE2ELNS1_3repE0EEENS1_48merge_mergepath_partition_config_static_selectorELNS0_4arch9wavefront6targetE1EEEvSJ_.uses_flat_scratch, 0
	.set _ZN7rocprim17ROCPRIM_400000_NS6detail17trampoline_kernelINS0_14default_configENS1_38merge_sort_block_merge_config_selectorIxxEEZZNS1_27merge_sort_block_merge_implIS3_N6thrust23THRUST_200600_302600_NS6detail15normal_iteratorINS8_10device_ptrIxEEEESD_jNS1_19radix_merge_compareILb0ELb0ExNS0_19identity_decomposerEEEEE10hipError_tT0_T1_T2_jT3_P12ihipStream_tbPNSt15iterator_traitsISI_E10value_typeEPNSO_ISJ_E10value_typeEPSK_NS1_7vsmem_tEENKUlT_SI_SJ_SK_E_clIPxSD_S10_SD_EESH_SX_SI_SJ_SK_EUlSX_E_NS1_11comp_targetILNS1_3genE8ELNS1_11target_archE1030ELNS1_3gpuE2ELNS1_3repE0EEENS1_48merge_mergepath_partition_config_static_selectorELNS0_4arch9wavefront6targetE1EEEvSJ_.has_dyn_sized_stack, 0
	.set _ZN7rocprim17ROCPRIM_400000_NS6detail17trampoline_kernelINS0_14default_configENS1_38merge_sort_block_merge_config_selectorIxxEEZZNS1_27merge_sort_block_merge_implIS3_N6thrust23THRUST_200600_302600_NS6detail15normal_iteratorINS8_10device_ptrIxEEEESD_jNS1_19radix_merge_compareILb0ELb0ExNS0_19identity_decomposerEEEEE10hipError_tT0_T1_T2_jT3_P12ihipStream_tbPNSt15iterator_traitsISI_E10value_typeEPNSO_ISJ_E10value_typeEPSK_NS1_7vsmem_tEENKUlT_SI_SJ_SK_E_clIPxSD_S10_SD_EESH_SX_SI_SJ_SK_EUlSX_E_NS1_11comp_targetILNS1_3genE8ELNS1_11target_archE1030ELNS1_3gpuE2ELNS1_3repE0EEENS1_48merge_mergepath_partition_config_static_selectorELNS0_4arch9wavefront6targetE1EEEvSJ_.has_recursion, 0
	.set _ZN7rocprim17ROCPRIM_400000_NS6detail17trampoline_kernelINS0_14default_configENS1_38merge_sort_block_merge_config_selectorIxxEEZZNS1_27merge_sort_block_merge_implIS3_N6thrust23THRUST_200600_302600_NS6detail15normal_iteratorINS8_10device_ptrIxEEEESD_jNS1_19radix_merge_compareILb0ELb0ExNS0_19identity_decomposerEEEEE10hipError_tT0_T1_T2_jT3_P12ihipStream_tbPNSt15iterator_traitsISI_E10value_typeEPNSO_ISJ_E10value_typeEPSK_NS1_7vsmem_tEENKUlT_SI_SJ_SK_E_clIPxSD_S10_SD_EESH_SX_SI_SJ_SK_EUlSX_E_NS1_11comp_targetILNS1_3genE8ELNS1_11target_archE1030ELNS1_3gpuE2ELNS1_3repE0EEENS1_48merge_mergepath_partition_config_static_selectorELNS0_4arch9wavefront6targetE1EEEvSJ_.has_indirect_call, 0
	.section	.AMDGPU.csdata,"",@progbits
; Kernel info:
; codeLenInByte = 0
; TotalNumSgprs: 6
; NumVgprs: 0
; NumAgprs: 0
; TotalNumVgprs: 0
; ScratchSize: 0
; MemoryBound: 0
; FloatMode: 240
; IeeeMode: 1
; LDSByteSize: 0 bytes/workgroup (compile time only)
; SGPRBlocks: 0
; VGPRBlocks: 0
; NumSGPRsForWavesPerEU: 6
; NumVGPRsForWavesPerEU: 1
; AccumOffset: 4
; Occupancy: 8
; WaveLimiterHint : 0
; COMPUTE_PGM_RSRC2:SCRATCH_EN: 0
; COMPUTE_PGM_RSRC2:USER_SGPR: 2
; COMPUTE_PGM_RSRC2:TRAP_HANDLER: 0
; COMPUTE_PGM_RSRC2:TGID_X_EN: 1
; COMPUTE_PGM_RSRC2:TGID_Y_EN: 0
; COMPUTE_PGM_RSRC2:TGID_Z_EN: 0
; COMPUTE_PGM_RSRC2:TIDIG_COMP_CNT: 0
; COMPUTE_PGM_RSRC3_GFX90A:ACCUM_OFFSET: 0
; COMPUTE_PGM_RSRC3_GFX90A:TG_SPLIT: 0
	.section	.text._ZN7rocprim17ROCPRIM_400000_NS6detail17trampoline_kernelINS0_14default_configENS1_38merge_sort_block_merge_config_selectorIxxEEZZNS1_27merge_sort_block_merge_implIS3_N6thrust23THRUST_200600_302600_NS6detail15normal_iteratorINS8_10device_ptrIxEEEESD_jNS1_19radix_merge_compareILb0ELb0ExNS0_19identity_decomposerEEEEE10hipError_tT0_T1_T2_jT3_P12ihipStream_tbPNSt15iterator_traitsISI_E10value_typeEPNSO_ISJ_E10value_typeEPSK_NS1_7vsmem_tEENKUlT_SI_SJ_SK_E_clIPxSD_S10_SD_EESH_SX_SI_SJ_SK_EUlSX_E0_NS1_11comp_targetILNS1_3genE0ELNS1_11target_archE4294967295ELNS1_3gpuE0ELNS1_3repE0EEENS1_38merge_mergepath_config_static_selectorELNS0_4arch9wavefront6targetE1EEEvSJ_,"axG",@progbits,_ZN7rocprim17ROCPRIM_400000_NS6detail17trampoline_kernelINS0_14default_configENS1_38merge_sort_block_merge_config_selectorIxxEEZZNS1_27merge_sort_block_merge_implIS3_N6thrust23THRUST_200600_302600_NS6detail15normal_iteratorINS8_10device_ptrIxEEEESD_jNS1_19radix_merge_compareILb0ELb0ExNS0_19identity_decomposerEEEEE10hipError_tT0_T1_T2_jT3_P12ihipStream_tbPNSt15iterator_traitsISI_E10value_typeEPNSO_ISJ_E10value_typeEPSK_NS1_7vsmem_tEENKUlT_SI_SJ_SK_E_clIPxSD_S10_SD_EESH_SX_SI_SJ_SK_EUlSX_E0_NS1_11comp_targetILNS1_3genE0ELNS1_11target_archE4294967295ELNS1_3gpuE0ELNS1_3repE0EEENS1_38merge_mergepath_config_static_selectorELNS0_4arch9wavefront6targetE1EEEvSJ_,comdat
	.protected	_ZN7rocprim17ROCPRIM_400000_NS6detail17trampoline_kernelINS0_14default_configENS1_38merge_sort_block_merge_config_selectorIxxEEZZNS1_27merge_sort_block_merge_implIS3_N6thrust23THRUST_200600_302600_NS6detail15normal_iteratorINS8_10device_ptrIxEEEESD_jNS1_19radix_merge_compareILb0ELb0ExNS0_19identity_decomposerEEEEE10hipError_tT0_T1_T2_jT3_P12ihipStream_tbPNSt15iterator_traitsISI_E10value_typeEPNSO_ISJ_E10value_typeEPSK_NS1_7vsmem_tEENKUlT_SI_SJ_SK_E_clIPxSD_S10_SD_EESH_SX_SI_SJ_SK_EUlSX_E0_NS1_11comp_targetILNS1_3genE0ELNS1_11target_archE4294967295ELNS1_3gpuE0ELNS1_3repE0EEENS1_38merge_mergepath_config_static_selectorELNS0_4arch9wavefront6targetE1EEEvSJ_ ; -- Begin function _ZN7rocprim17ROCPRIM_400000_NS6detail17trampoline_kernelINS0_14default_configENS1_38merge_sort_block_merge_config_selectorIxxEEZZNS1_27merge_sort_block_merge_implIS3_N6thrust23THRUST_200600_302600_NS6detail15normal_iteratorINS8_10device_ptrIxEEEESD_jNS1_19radix_merge_compareILb0ELb0ExNS0_19identity_decomposerEEEEE10hipError_tT0_T1_T2_jT3_P12ihipStream_tbPNSt15iterator_traitsISI_E10value_typeEPNSO_ISJ_E10value_typeEPSK_NS1_7vsmem_tEENKUlT_SI_SJ_SK_E_clIPxSD_S10_SD_EESH_SX_SI_SJ_SK_EUlSX_E0_NS1_11comp_targetILNS1_3genE0ELNS1_11target_archE4294967295ELNS1_3gpuE0ELNS1_3repE0EEENS1_38merge_mergepath_config_static_selectorELNS0_4arch9wavefront6targetE1EEEvSJ_
	.globl	_ZN7rocprim17ROCPRIM_400000_NS6detail17trampoline_kernelINS0_14default_configENS1_38merge_sort_block_merge_config_selectorIxxEEZZNS1_27merge_sort_block_merge_implIS3_N6thrust23THRUST_200600_302600_NS6detail15normal_iteratorINS8_10device_ptrIxEEEESD_jNS1_19radix_merge_compareILb0ELb0ExNS0_19identity_decomposerEEEEE10hipError_tT0_T1_T2_jT3_P12ihipStream_tbPNSt15iterator_traitsISI_E10value_typeEPNSO_ISJ_E10value_typeEPSK_NS1_7vsmem_tEENKUlT_SI_SJ_SK_E_clIPxSD_S10_SD_EESH_SX_SI_SJ_SK_EUlSX_E0_NS1_11comp_targetILNS1_3genE0ELNS1_11target_archE4294967295ELNS1_3gpuE0ELNS1_3repE0EEENS1_38merge_mergepath_config_static_selectorELNS0_4arch9wavefront6targetE1EEEvSJ_
	.p2align	8
	.type	_ZN7rocprim17ROCPRIM_400000_NS6detail17trampoline_kernelINS0_14default_configENS1_38merge_sort_block_merge_config_selectorIxxEEZZNS1_27merge_sort_block_merge_implIS3_N6thrust23THRUST_200600_302600_NS6detail15normal_iteratorINS8_10device_ptrIxEEEESD_jNS1_19radix_merge_compareILb0ELb0ExNS0_19identity_decomposerEEEEE10hipError_tT0_T1_T2_jT3_P12ihipStream_tbPNSt15iterator_traitsISI_E10value_typeEPNSO_ISJ_E10value_typeEPSK_NS1_7vsmem_tEENKUlT_SI_SJ_SK_E_clIPxSD_S10_SD_EESH_SX_SI_SJ_SK_EUlSX_E0_NS1_11comp_targetILNS1_3genE0ELNS1_11target_archE4294967295ELNS1_3gpuE0ELNS1_3repE0EEENS1_38merge_mergepath_config_static_selectorELNS0_4arch9wavefront6targetE1EEEvSJ_,@function
_ZN7rocprim17ROCPRIM_400000_NS6detail17trampoline_kernelINS0_14default_configENS1_38merge_sort_block_merge_config_selectorIxxEEZZNS1_27merge_sort_block_merge_implIS3_N6thrust23THRUST_200600_302600_NS6detail15normal_iteratorINS8_10device_ptrIxEEEESD_jNS1_19radix_merge_compareILb0ELb0ExNS0_19identity_decomposerEEEEE10hipError_tT0_T1_T2_jT3_P12ihipStream_tbPNSt15iterator_traitsISI_E10value_typeEPNSO_ISJ_E10value_typeEPSK_NS1_7vsmem_tEENKUlT_SI_SJ_SK_E_clIPxSD_S10_SD_EESH_SX_SI_SJ_SK_EUlSX_E0_NS1_11comp_targetILNS1_3genE0ELNS1_11target_archE4294967295ELNS1_3gpuE0ELNS1_3repE0EEENS1_38merge_mergepath_config_static_selectorELNS0_4arch9wavefront6targetE1EEEvSJ_: ; @_ZN7rocprim17ROCPRIM_400000_NS6detail17trampoline_kernelINS0_14default_configENS1_38merge_sort_block_merge_config_selectorIxxEEZZNS1_27merge_sort_block_merge_implIS3_N6thrust23THRUST_200600_302600_NS6detail15normal_iteratorINS8_10device_ptrIxEEEESD_jNS1_19radix_merge_compareILb0ELb0ExNS0_19identity_decomposerEEEEE10hipError_tT0_T1_T2_jT3_P12ihipStream_tbPNSt15iterator_traitsISI_E10value_typeEPNSO_ISJ_E10value_typeEPSK_NS1_7vsmem_tEENKUlT_SI_SJ_SK_E_clIPxSD_S10_SD_EESH_SX_SI_SJ_SK_EUlSX_E0_NS1_11comp_targetILNS1_3genE0ELNS1_11target_archE4294967295ELNS1_3gpuE0ELNS1_3repE0EEENS1_38merge_mergepath_config_static_selectorELNS0_4arch9wavefront6targetE1EEEvSJ_
; %bb.0:
	s_load_dwordx2 s[28:29], s[0:1], 0x40
	s_load_dword s5, s[0:1], 0x30
	s_add_u32 s24, s0, 64
	s_addc_u32 s25, s1, 0
	s_waitcnt lgkmcnt(0)
	s_mul_i32 s4, s29, s4
	s_add_i32 s3, s4, s3
	s_mul_i32 s3, s3, s28
	s_add_i32 s26, s3, s2
	s_cmp_ge_u32 s26, s5
	s_cbranch_scc1 .LBB1073_39
; %bb.1:
	s_load_dwordx8 s[4:11], s[0:1], 0x10
	s_load_dwordx2 s[20:21], s[0:1], 0x8
	s_load_dwordx2 s[12:13], s[0:1], 0x38
	s_mov_b32 s27, 0
	s_mov_b32 s23, s27
	s_waitcnt lgkmcnt(0)
	s_lshr_b32 s29, s10, 10
	s_cmp_lg_u32 s26, s29
	s_cselect_b64 s[14:15], -1, 0
	s_lshl_b64 s[0:1], s[26:27], 2
	s_add_u32 s0, s12, s0
	s_addc_u32 s1, s13, s1
	s_load_dwordx2 s[16:17], s[0:1], 0x0
	s_lshr_b32 s0, s11, 9
	s_and_b32 s0, s0, 0x7ffffe
	s_sub_i32 s0, 0, s0
	s_and_b32 s1, s26, s0
	s_lshl_b32 s3, s1, 10
	s_lshl_b32 s12, s26, 10
	;; [unrolled: 1-line block ×3, first 2 shown]
	s_sub_i32 s13, s12, s3
	s_add_i32 s1, s1, s11
	s_add_i32 s13, s1, s13
	s_waitcnt lgkmcnt(0)
	s_sub_i32 s18, s13, s16
	s_sub_i32 s13, s13, s17
	;; [unrolled: 1-line block ×3, first 2 shown]
	s_min_u32 s22, s10, s18
	s_addk_i32 s13, 0x400
	s_or_b32 s0, s26, s0
	s_min_u32 s3, s10, s1
	s_add_i32 s1, s1, s11
	s_cmp_eq_u32 s0, -1
	s_cselect_b32 s0, s1, s13
	s_cselect_b32 s1, s3, s17
	s_mov_b32 s17, s27
	s_min_u32 s13, s0, s10
	s_sub_i32 s11, s1, s16
	s_lshl_b64 s[0:1], s[16:17], 3
	s_add_u32 s18, s20, s0
	s_addc_u32 s19, s21, s1
	s_lshl_b64 s[16:17], s[22:23], 3
	s_add_u32 s20, s20, s16
	s_addc_u32 s21, s21, s17
	s_cmp_lt_u32 s2, s28
	v_mov_b32_e32 v3, 0
	s_cselect_b32 s2, 12, 18
	global_load_dword v1, v3, s[24:25] offset:14
	s_add_u32 s2, s24, s2
	s_addc_u32 s3, s25, 0
	global_load_ushort v2, v3, s[2:3]
	s_cmp_eq_u32 s26, s29
	s_waitcnt vmcnt(1)
	v_lshrrev_b32_e32 v4, 16, v1
	v_and_b32_e32 v1, 0xffff, v1
	v_mul_lo_u32 v1, v1, v4
	s_waitcnt vmcnt(0)
	v_mul_lo_u32 v1, v1, v2
	v_lshlrev_b32_e32 v2, 3, v0
	v_add_u32_e32 v12, v1, v0
	s_cbranch_scc1 .LBB1073_3
; %bb.2:
	v_subrev_co_u32_e32 v6, vcc, s11, v0
	v_mov_b32_e32 v7, v3
	v_lshl_add_u64 v[4:5], s[18:19], 0, v[2:3]
	v_lshl_add_u64 v[6:7], v[6:7], 3, s[20:21]
	v_cndmask_b32_e32 v5, v7, v5, vcc
	v_cndmask_b32_e32 v4, v6, v4, vcc
	global_load_dwordx2 v[4:5], v[4:5], off
	v_add_u32_e32 v8, v1, v0
	s_mov_b64 s[2:3], -1
	s_sub_i32 s24, s13, s22
	s_cbranch_execz .LBB1073_4
	s_branch .LBB1073_7
.LBB1073_3:
	s_mov_b64 s[2:3], 0
                                        ; implicit-def: $vgpr8
                                        ; implicit-def: $vgpr4_vgpr5
	s_sub_i32 s24, s13, s22
.LBB1073_4:
	s_add_i32 s13, s24, s11
	v_cmp_gt_u32_e32 vcc, s13, v0
	s_waitcnt vmcnt(0)
	v_mov_b64_e32 v[4:5], 0
	s_and_saveexec_b64 s[2:3], vcc
	s_cbranch_execz .LBB1073_6
; %bb.5:
	v_mov_b32_e32 v3, 0
	v_subrev_co_u32_e32 v6, vcc, s11, v0
	v_mov_b32_e32 v7, v3
	v_lshl_add_u64 v[4:5], s[18:19], 0, v[2:3]
	v_lshl_add_u64 v[6:7], v[6:7], 3, s[20:21]
	v_cndmask_b32_e32 v5, v7, v5, vcc
	v_cndmask_b32_e32 v4, v6, v4, vcc
	global_load_dwordx2 v[4:5], v[4:5], off
.LBB1073_6:
	s_or_b64 exec, exec, s[2:3]
	v_cmp_gt_u32_e64 s[2:3], s13, v12
	v_mov_b32_e32 v8, v12
.LBB1073_7:
	v_mov_b64_e32 v[6:7], 0
	s_and_saveexec_b64 s[22:23], s[2:3]
	s_cbranch_execz .LBB1073_9
; %bb.8:
	v_mov_b32_e32 v9, 0
	v_lshl_add_u64 v[6:7], v[8:9], 3, s[18:19]
	v_subrev_co_u32_e32 v8, vcc, s11, v8
	v_lshl_add_u64 v[8:9], v[8:9], 3, s[20:21]
	s_nop 0
	v_cndmask_b32_e32 v7, v9, v7, vcc
	v_cndmask_b32_e32 v6, v8, v6, vcc
	global_load_dwordx2 v[6:7], v[6:7], off
.LBB1073_9:
	s_or_b64 exec, exec, s[22:23]
	s_add_u32 s0, s6, s0
	s_addc_u32 s1, s7, s1
	s_add_u32 s2, s6, s16
	v_mov_b32_e32 v3, 0
	s_addc_u32 s3, s7, s17
	s_andn2_b64 vcc, exec, s[14:15]
	s_waitcnt vmcnt(0)
	ds_write2st64_b64 v2, v[4:5], v[6:7] offset1:8
	s_cbranch_vccnz .LBB1073_11
; %bb.10:
	v_subrev_co_u32_e32 v10, vcc, s11, v0
	v_mov_b32_e32 v11, v3
	v_lshl_add_u64 v[8:9], s[0:1], 0, v[2:3]
	v_lshl_add_u64 v[10:11], v[10:11], 3, s[2:3]
	v_cndmask_b32_e32 v9, v11, v9, vcc
	v_cndmask_b32_e32 v8, v10, v8, vcc
	v_mov_b32_e32 v13, v3
	v_subrev_co_u32_e32 v14, vcc, s11, v12
	v_mov_b32_e32 v15, v3
	v_lshl_add_u64 v[10:11], v[12:13], 3, s[0:1]
	v_lshl_add_u64 v[14:15], v[14:15], 3, s[2:3]
	v_cndmask_b32_e32 v11, v15, v11, vcc
	v_cndmask_b32_e32 v10, v14, v10, vcc
	global_load_dwordx2 v[8:9], v[8:9], off
	s_add_i32 s13, s24, s11
	global_load_dwordx2 v[10:11], v[10:11], off
	s_cbranch_execz .LBB1073_12
	s_branch .LBB1073_17
.LBB1073_11:
                                        ; implicit-def: $vgpr10_vgpr11
                                        ; implicit-def: $vgpr8_vgpr9
                                        ; implicit-def: $sgpr13
.LBB1073_12:
	s_add_i32 s13, s24, s11
	v_cmp_gt_u32_e32 vcc, s13, v0
	s_waitcnt vmcnt(0)
	v_mov_b64_e32 v[10:11], 0
	v_mov_b64_e32 v[8:9], 0
	s_and_saveexec_b64 s[6:7], vcc
	s_cbranch_execz .LBB1073_14
; %bb.13:
	v_mov_b32_e32 v3, 0
	v_subrev_co_u32_e32 v14, vcc, s11, v0
	v_mov_b32_e32 v15, v3
	v_lshl_add_u64 v[8:9], s[0:1], 0, v[2:3]
	v_lshl_add_u64 v[14:15], v[14:15], 3, s[2:3]
	v_cndmask_b32_e32 v9, v15, v9, vcc
	v_cndmask_b32_e32 v8, v14, v8, vcc
	global_load_dwordx2 v[8:9], v[8:9], off
.LBB1073_14:
	s_or_b64 exec, exec, s[6:7]
	v_cmp_gt_u32_e32 vcc, s13, v12
	s_and_saveexec_b64 s[6:7], vcc
	s_cbranch_execz .LBB1073_16
; %bb.15:
	v_mov_b32_e32 v13, 0
	v_lshl_add_u64 v[10:11], v[12:13], 3, s[0:1]
	v_subrev_co_u32_e32 v12, vcc, s11, v12
	v_lshl_add_u64 v[12:13], v[12:13], 3, s[2:3]
	s_nop 0
	v_cndmask_b32_e32 v11, v13, v11, vcc
	v_cndmask_b32_e32 v10, v12, v10, vcc
	global_load_dwordx2 v[10:11], v[10:11], off
.LBB1073_16:
	s_or_b64 exec, exec, s[6:7]
.LBB1073_17:
	v_lshlrev_b32_e32 v1, 1, v0
	v_min_u32_e32 v12, s13, v1
	v_sub_u32_e64 v3, v12, s24 clamp
	v_min_u32_e32 v13, s11, v12
	v_cmp_lt_u32_e32 vcc, v3, v13
	s_waitcnt lgkmcnt(0)
	s_barrier
	s_and_saveexec_b64 s[0:1], vcc
	s_cbranch_execz .LBB1073_21
; %bb.18:
	v_lshlrev_b32_e32 v14, 3, v12
	v_lshl_add_u32 v14, s11, 3, v14
	s_mov_b64 s[2:3], 0
.LBB1073_19:                            ; =>This Inner Loop Header: Depth=1
	v_add_u32_e32 v15, v13, v3
	v_lshrrev_b32_e32 v15, 1, v15
	v_not_b32_e32 v16, v15
	v_lshlrev_b32_e32 v17, 3, v15
	v_lshl_add_u32 v18, v16, 3, v14
	ds_read_b64 v[16:17], v17
	ds_read_b64 v[18:19], v18
	v_add_u32_e32 v20, 1, v15
	s_waitcnt lgkmcnt(0)
	v_cmp_gt_i64_e32 vcc, v[16:17], v[18:19]
	s_nop 1
	v_cndmask_b32_e32 v13, v13, v15, vcc
	v_cndmask_b32_e32 v3, v20, v3, vcc
	v_cmp_ge_u32_e32 vcc, v3, v13
	s_or_b64 s[2:3], vcc, s[2:3]
	s_andn2_b64 exec, exec, s[2:3]
	s_cbranch_execnz .LBB1073_19
; %bb.20:
	s_or_b64 exec, exec, s[2:3]
.LBB1073_21:
	s_or_b64 exec, exec, s[0:1]
	v_sub_u32_e32 v12, v12, v3
	v_add_u32_e32 v14, s11, v12
	v_cmp_ge_u32_e32 vcc, s11, v3
	v_cmp_ge_u32_e64 s[0:1], s13, v14
	s_or_b64 s[0:1], vcc, s[0:1]
	v_mov_b32_e32 v12, 0
	v_mov_b32_e32 v15, 0
	s_and_saveexec_b64 s[6:7], s[0:1]
	s_cbranch_execz .LBB1073_27
; %bb.22:
	v_cmp_gt_u32_e32 vcc, s11, v3
                                        ; implicit-def: $vgpr6_vgpr7
	s_and_saveexec_b64 s[0:1], vcc
; %bb.23:
	v_lshlrev_b32_e32 v4, 3, v3
	ds_read_b64 v[6:7], v4
; %bb.24:
	s_or_b64 exec, exec, s[0:1]
	v_cmp_le_u32_e64 s[0:1], s13, v14
	v_cmp_gt_u32_e64 s[2:3], s13, v14
                                        ; implicit-def: $vgpr12_vgpr13
	s_and_saveexec_b64 s[16:17], s[2:3]
; %bb.25:
	v_lshlrev_b32_e32 v4, 3, v14
	ds_read_b64 v[12:13], v4
; %bb.26:
	s_or_b64 exec, exec, s[16:17]
	s_waitcnt lgkmcnt(0)
	v_cmp_le_i64_e64 s[2:3], v[6:7], v[12:13]
	s_and_b64 s[2:3], vcc, s[2:3]
	s_or_b64 vcc, s[0:1], s[2:3]
	v_mov_b32_e32 v4, s13
	v_mov_b32_e32 v5, s11
	v_cndmask_b32_e32 v15, v14, v3, vcc
	v_cndmask_b32_e32 v4, v4, v5, vcc
	v_add_u32_e32 v20, 1, v15
	v_add_u32_e32 v4, -1, v4
	v_min_u32_e32 v4, v20, v4
	v_lshlrev_b32_e32 v4, 3, v4
	ds_read_b64 v[16:17], v4
	v_cndmask_b32_e32 v5, v13, v7, vcc
	v_cndmask_b32_e32 v4, v12, v6, vcc
	v_cndmask_b32_e32 v3, v3, v20, vcc
	v_cmp_gt_u32_e64 s[0:1], s11, v3
	s_waitcnt lgkmcnt(0)
	v_cndmask_b32_e32 v19, v17, v13, vcc
	v_cndmask_b32_e32 v18, v16, v12, vcc
	;; [unrolled: 1-line block ×5, first 2 shown]
	v_cmp_le_i64_e64 s[2:3], v[6:7], v[18:19]
	v_cmp_le_u32_e32 vcc, s13, v12
	s_and_b64 s[0:1], s[0:1], s[2:3]
	s_or_b64 vcc, vcc, s[0:1]
	v_cndmask_b32_e32 v12, v12, v3, vcc
	v_cndmask_b32_e32 v7, v19, v7, vcc
	;; [unrolled: 1-line block ×3, first 2 shown]
.LBB1073_27:
	s_or_b64 exec, exec, s[6:7]
	s_barrier
	s_waitcnt vmcnt(0)
	ds_write2st64_b64 v2, v[8:9], v[10:11] offset1:8
	v_lshlrev_b32_e32 v3, 3, v15
	v_lshlrev_b32_e32 v10, 3, v12
	s_waitcnt lgkmcnt(0)
	s_barrier
	ds_read_b64 v[8:9], v3
	ds_read_b64 v[10:11], v10
	v_lshrrev_b32_e32 v3, 1, v0
	s_mov_b32 s13, 0
	v_and_b32_e32 v3, 0xf8, v3
	v_or_b32_e32 v14, 0x200, v0
	s_lshl_b64 s[2:3], s[12:13], 3
	v_lshl_add_u32 v12, v1, 3, v3
	v_lshrrev_b32_e32 v3, 2, v14
	s_add_u32 s0, s4, s2
	v_lshrrev_b32_e32 v1, 2, v0
	v_and_b32_e32 v3, 0xf8, v3
	s_addc_u32 s1, s5, s3
	v_and_b32_e32 v1, 0x78, v1
	v_add_u32_e32 v13, v3, v2
	v_mov_b32_e32 v3, 0
	s_waitcnt lgkmcnt(0)
	s_barrier
	s_barrier
	ds_write2_b64 v12, v[4:5], v[6:7] offset1:1
	v_add_u32_e32 v1, v1, v2
	v_lshl_add_u64 v[4:5], s[0:1], 0, v[2:3]
	s_and_b64 vcc, exec, s[14:15]
	s_waitcnt lgkmcnt(0)
	s_cbranch_vccz .LBB1073_29
; %bb.28:
	s_barrier
	ds_read_b64 v[6:7], v1
	ds_read_b64 v[16:17], v13 offset:4096
	s_add_u32 s0, s8, s2
	s_addc_u32 s1, s9, s3
	s_mov_b64 s[4:5], -1
	s_waitcnt lgkmcnt(1)
	global_store_dwordx2 v[4:5], v[6:7], off
	v_add_co_u32_e32 v6, vcc, 0x1000, v4
	s_nop 1
	v_addc_co_u32_e32 v7, vcc, 0, v5, vcc
	s_waitcnt lgkmcnt(0)
	global_store_dwordx2 v[6:7], v[16:17], off
	s_barrier
	ds_write2_b64 v12, v[8:9], v[10:11] offset1:1
	s_waitcnt lgkmcnt(0)
	s_barrier
	ds_read_b64 v[16:17], v1
	ds_read_b64 v[6:7], v13 offset:4096
	s_waitcnt lgkmcnt(1)
	global_store_dwordx2 v2, v[16:17], s[0:1]
	s_cbranch_execz .LBB1073_30
	s_branch .LBB1073_37
.LBB1073_29:
	s_mov_b64 s[4:5], 0
                                        ; implicit-def: $vgpr6_vgpr7
.LBB1073_30:
	s_barrier
	s_waitcnt lgkmcnt(0)
	ds_read_b64 v[6:7], v13 offset:4096
	s_sub_i32 s6, s10, s12
	v_cmp_gt_u32_e64 s[0:1], s6, v0
	s_and_saveexec_b64 s[4:5], s[0:1]
	s_cbranch_execz .LBB1073_32
; %bb.31:
	ds_read_b64 v[16:17], v1
	s_waitcnt lgkmcnt(0)
	global_store_dwordx2 v[4:5], v[16:17], off
.LBB1073_32:
	s_or_b64 exec, exec, s[4:5]
	v_cmp_gt_u32_e64 s[4:5], s6, v14
	s_and_saveexec_b64 s[6:7], s[4:5]
	s_cbranch_execz .LBB1073_34
; %bb.33:
	v_add_co_u32_e32 v4, vcc, 0x1000, v4
	s_nop 1
	v_addc_co_u32_e32 v5, vcc, 0, v5, vcc
	s_waitcnt lgkmcnt(0)
	global_store_dwordx2 v[4:5], v[6:7], off
.LBB1073_34:
	s_or_b64 exec, exec, s[6:7]
	s_waitcnt lgkmcnt(0)
	s_barrier
	ds_write2_b64 v12, v[8:9], v[10:11] offset1:1
	s_waitcnt lgkmcnt(0)
	s_barrier
	ds_read_b64 v[6:7], v13 offset:4096
	s_and_saveexec_b64 s[6:7], s[0:1]
	s_cbranch_execz .LBB1073_36
; %bb.35:
	ds_read_b64 v[0:1], v1
	s_add_u32 s0, s8, s2
	s_addc_u32 s1, s9, s3
	s_waitcnt lgkmcnt(0)
	global_store_dwordx2 v2, v[0:1], s[0:1]
.LBB1073_36:
	s_or_b64 exec, exec, s[6:7]
.LBB1073_37:
	s_and_saveexec_b64 s[0:1], s[4:5]
	s_cbranch_execz .LBB1073_39
; %bb.38:
	s_add_u32 s0, s8, s2
	s_addc_u32 s1, s9, s3
	v_mov_b32_e32 v3, 0
	v_lshl_add_u64 v[0:1], s[0:1], 0, v[2:3]
	v_add_co_u32_e32 v0, vcc, 0x1000, v0
	s_nop 1
	v_addc_co_u32_e32 v1, vcc, 0, v1, vcc
	s_waitcnt lgkmcnt(0)
	global_store_dwordx2 v[0:1], v[6:7], off
.LBB1073_39:
	s_endpgm
	.section	.rodata,"a",@progbits
	.p2align	6, 0x0
	.amdhsa_kernel _ZN7rocprim17ROCPRIM_400000_NS6detail17trampoline_kernelINS0_14default_configENS1_38merge_sort_block_merge_config_selectorIxxEEZZNS1_27merge_sort_block_merge_implIS3_N6thrust23THRUST_200600_302600_NS6detail15normal_iteratorINS8_10device_ptrIxEEEESD_jNS1_19radix_merge_compareILb0ELb0ExNS0_19identity_decomposerEEEEE10hipError_tT0_T1_T2_jT3_P12ihipStream_tbPNSt15iterator_traitsISI_E10value_typeEPNSO_ISJ_E10value_typeEPSK_NS1_7vsmem_tEENKUlT_SI_SJ_SK_E_clIPxSD_S10_SD_EESH_SX_SI_SJ_SK_EUlSX_E0_NS1_11comp_targetILNS1_3genE0ELNS1_11target_archE4294967295ELNS1_3gpuE0ELNS1_3repE0EEENS1_38merge_mergepath_config_static_selectorELNS0_4arch9wavefront6targetE1EEEvSJ_
		.amdhsa_group_segment_fixed_size 8448
		.amdhsa_private_segment_fixed_size 0
		.amdhsa_kernarg_size 320
		.amdhsa_user_sgpr_count 2
		.amdhsa_user_sgpr_dispatch_ptr 0
		.amdhsa_user_sgpr_queue_ptr 0
		.amdhsa_user_sgpr_kernarg_segment_ptr 1
		.amdhsa_user_sgpr_dispatch_id 0
		.amdhsa_user_sgpr_kernarg_preload_length 0
		.amdhsa_user_sgpr_kernarg_preload_offset 0
		.amdhsa_user_sgpr_private_segment_size 0
		.amdhsa_uses_dynamic_stack 0
		.amdhsa_enable_private_segment 0
		.amdhsa_system_sgpr_workgroup_id_x 1
		.amdhsa_system_sgpr_workgroup_id_y 1
		.amdhsa_system_sgpr_workgroup_id_z 1
		.amdhsa_system_sgpr_workgroup_info 0
		.amdhsa_system_vgpr_workitem_id 0
		.amdhsa_next_free_vgpr 21
		.amdhsa_next_free_sgpr 30
		.amdhsa_accum_offset 24
		.amdhsa_reserve_vcc 1
		.amdhsa_float_round_mode_32 0
		.amdhsa_float_round_mode_16_64 0
		.amdhsa_float_denorm_mode_32 3
		.amdhsa_float_denorm_mode_16_64 3
		.amdhsa_dx10_clamp 1
		.amdhsa_ieee_mode 1
		.amdhsa_fp16_overflow 0
		.amdhsa_tg_split 0
		.amdhsa_exception_fp_ieee_invalid_op 0
		.amdhsa_exception_fp_denorm_src 0
		.amdhsa_exception_fp_ieee_div_zero 0
		.amdhsa_exception_fp_ieee_overflow 0
		.amdhsa_exception_fp_ieee_underflow 0
		.amdhsa_exception_fp_ieee_inexact 0
		.amdhsa_exception_int_div_zero 0
	.end_amdhsa_kernel
	.section	.text._ZN7rocprim17ROCPRIM_400000_NS6detail17trampoline_kernelINS0_14default_configENS1_38merge_sort_block_merge_config_selectorIxxEEZZNS1_27merge_sort_block_merge_implIS3_N6thrust23THRUST_200600_302600_NS6detail15normal_iteratorINS8_10device_ptrIxEEEESD_jNS1_19radix_merge_compareILb0ELb0ExNS0_19identity_decomposerEEEEE10hipError_tT0_T1_T2_jT3_P12ihipStream_tbPNSt15iterator_traitsISI_E10value_typeEPNSO_ISJ_E10value_typeEPSK_NS1_7vsmem_tEENKUlT_SI_SJ_SK_E_clIPxSD_S10_SD_EESH_SX_SI_SJ_SK_EUlSX_E0_NS1_11comp_targetILNS1_3genE0ELNS1_11target_archE4294967295ELNS1_3gpuE0ELNS1_3repE0EEENS1_38merge_mergepath_config_static_selectorELNS0_4arch9wavefront6targetE1EEEvSJ_,"axG",@progbits,_ZN7rocprim17ROCPRIM_400000_NS6detail17trampoline_kernelINS0_14default_configENS1_38merge_sort_block_merge_config_selectorIxxEEZZNS1_27merge_sort_block_merge_implIS3_N6thrust23THRUST_200600_302600_NS6detail15normal_iteratorINS8_10device_ptrIxEEEESD_jNS1_19radix_merge_compareILb0ELb0ExNS0_19identity_decomposerEEEEE10hipError_tT0_T1_T2_jT3_P12ihipStream_tbPNSt15iterator_traitsISI_E10value_typeEPNSO_ISJ_E10value_typeEPSK_NS1_7vsmem_tEENKUlT_SI_SJ_SK_E_clIPxSD_S10_SD_EESH_SX_SI_SJ_SK_EUlSX_E0_NS1_11comp_targetILNS1_3genE0ELNS1_11target_archE4294967295ELNS1_3gpuE0ELNS1_3repE0EEENS1_38merge_mergepath_config_static_selectorELNS0_4arch9wavefront6targetE1EEEvSJ_,comdat
.Lfunc_end1073:
	.size	_ZN7rocprim17ROCPRIM_400000_NS6detail17trampoline_kernelINS0_14default_configENS1_38merge_sort_block_merge_config_selectorIxxEEZZNS1_27merge_sort_block_merge_implIS3_N6thrust23THRUST_200600_302600_NS6detail15normal_iteratorINS8_10device_ptrIxEEEESD_jNS1_19radix_merge_compareILb0ELb0ExNS0_19identity_decomposerEEEEE10hipError_tT0_T1_T2_jT3_P12ihipStream_tbPNSt15iterator_traitsISI_E10value_typeEPNSO_ISJ_E10value_typeEPSK_NS1_7vsmem_tEENKUlT_SI_SJ_SK_E_clIPxSD_S10_SD_EESH_SX_SI_SJ_SK_EUlSX_E0_NS1_11comp_targetILNS1_3genE0ELNS1_11target_archE4294967295ELNS1_3gpuE0ELNS1_3repE0EEENS1_38merge_mergepath_config_static_selectorELNS0_4arch9wavefront6targetE1EEEvSJ_, .Lfunc_end1073-_ZN7rocprim17ROCPRIM_400000_NS6detail17trampoline_kernelINS0_14default_configENS1_38merge_sort_block_merge_config_selectorIxxEEZZNS1_27merge_sort_block_merge_implIS3_N6thrust23THRUST_200600_302600_NS6detail15normal_iteratorINS8_10device_ptrIxEEEESD_jNS1_19radix_merge_compareILb0ELb0ExNS0_19identity_decomposerEEEEE10hipError_tT0_T1_T2_jT3_P12ihipStream_tbPNSt15iterator_traitsISI_E10value_typeEPNSO_ISJ_E10value_typeEPSK_NS1_7vsmem_tEENKUlT_SI_SJ_SK_E_clIPxSD_S10_SD_EESH_SX_SI_SJ_SK_EUlSX_E0_NS1_11comp_targetILNS1_3genE0ELNS1_11target_archE4294967295ELNS1_3gpuE0ELNS1_3repE0EEENS1_38merge_mergepath_config_static_selectorELNS0_4arch9wavefront6targetE1EEEvSJ_
                                        ; -- End function
	.set _ZN7rocprim17ROCPRIM_400000_NS6detail17trampoline_kernelINS0_14default_configENS1_38merge_sort_block_merge_config_selectorIxxEEZZNS1_27merge_sort_block_merge_implIS3_N6thrust23THRUST_200600_302600_NS6detail15normal_iteratorINS8_10device_ptrIxEEEESD_jNS1_19radix_merge_compareILb0ELb0ExNS0_19identity_decomposerEEEEE10hipError_tT0_T1_T2_jT3_P12ihipStream_tbPNSt15iterator_traitsISI_E10value_typeEPNSO_ISJ_E10value_typeEPSK_NS1_7vsmem_tEENKUlT_SI_SJ_SK_E_clIPxSD_S10_SD_EESH_SX_SI_SJ_SK_EUlSX_E0_NS1_11comp_targetILNS1_3genE0ELNS1_11target_archE4294967295ELNS1_3gpuE0ELNS1_3repE0EEENS1_38merge_mergepath_config_static_selectorELNS0_4arch9wavefront6targetE1EEEvSJ_.num_vgpr, 21
	.set _ZN7rocprim17ROCPRIM_400000_NS6detail17trampoline_kernelINS0_14default_configENS1_38merge_sort_block_merge_config_selectorIxxEEZZNS1_27merge_sort_block_merge_implIS3_N6thrust23THRUST_200600_302600_NS6detail15normal_iteratorINS8_10device_ptrIxEEEESD_jNS1_19radix_merge_compareILb0ELb0ExNS0_19identity_decomposerEEEEE10hipError_tT0_T1_T2_jT3_P12ihipStream_tbPNSt15iterator_traitsISI_E10value_typeEPNSO_ISJ_E10value_typeEPSK_NS1_7vsmem_tEENKUlT_SI_SJ_SK_E_clIPxSD_S10_SD_EESH_SX_SI_SJ_SK_EUlSX_E0_NS1_11comp_targetILNS1_3genE0ELNS1_11target_archE4294967295ELNS1_3gpuE0ELNS1_3repE0EEENS1_38merge_mergepath_config_static_selectorELNS0_4arch9wavefront6targetE1EEEvSJ_.num_agpr, 0
	.set _ZN7rocprim17ROCPRIM_400000_NS6detail17trampoline_kernelINS0_14default_configENS1_38merge_sort_block_merge_config_selectorIxxEEZZNS1_27merge_sort_block_merge_implIS3_N6thrust23THRUST_200600_302600_NS6detail15normal_iteratorINS8_10device_ptrIxEEEESD_jNS1_19radix_merge_compareILb0ELb0ExNS0_19identity_decomposerEEEEE10hipError_tT0_T1_T2_jT3_P12ihipStream_tbPNSt15iterator_traitsISI_E10value_typeEPNSO_ISJ_E10value_typeEPSK_NS1_7vsmem_tEENKUlT_SI_SJ_SK_E_clIPxSD_S10_SD_EESH_SX_SI_SJ_SK_EUlSX_E0_NS1_11comp_targetILNS1_3genE0ELNS1_11target_archE4294967295ELNS1_3gpuE0ELNS1_3repE0EEENS1_38merge_mergepath_config_static_selectorELNS0_4arch9wavefront6targetE1EEEvSJ_.numbered_sgpr, 30
	.set _ZN7rocprim17ROCPRIM_400000_NS6detail17trampoline_kernelINS0_14default_configENS1_38merge_sort_block_merge_config_selectorIxxEEZZNS1_27merge_sort_block_merge_implIS3_N6thrust23THRUST_200600_302600_NS6detail15normal_iteratorINS8_10device_ptrIxEEEESD_jNS1_19radix_merge_compareILb0ELb0ExNS0_19identity_decomposerEEEEE10hipError_tT0_T1_T2_jT3_P12ihipStream_tbPNSt15iterator_traitsISI_E10value_typeEPNSO_ISJ_E10value_typeEPSK_NS1_7vsmem_tEENKUlT_SI_SJ_SK_E_clIPxSD_S10_SD_EESH_SX_SI_SJ_SK_EUlSX_E0_NS1_11comp_targetILNS1_3genE0ELNS1_11target_archE4294967295ELNS1_3gpuE0ELNS1_3repE0EEENS1_38merge_mergepath_config_static_selectorELNS0_4arch9wavefront6targetE1EEEvSJ_.num_named_barrier, 0
	.set _ZN7rocprim17ROCPRIM_400000_NS6detail17trampoline_kernelINS0_14default_configENS1_38merge_sort_block_merge_config_selectorIxxEEZZNS1_27merge_sort_block_merge_implIS3_N6thrust23THRUST_200600_302600_NS6detail15normal_iteratorINS8_10device_ptrIxEEEESD_jNS1_19radix_merge_compareILb0ELb0ExNS0_19identity_decomposerEEEEE10hipError_tT0_T1_T2_jT3_P12ihipStream_tbPNSt15iterator_traitsISI_E10value_typeEPNSO_ISJ_E10value_typeEPSK_NS1_7vsmem_tEENKUlT_SI_SJ_SK_E_clIPxSD_S10_SD_EESH_SX_SI_SJ_SK_EUlSX_E0_NS1_11comp_targetILNS1_3genE0ELNS1_11target_archE4294967295ELNS1_3gpuE0ELNS1_3repE0EEENS1_38merge_mergepath_config_static_selectorELNS0_4arch9wavefront6targetE1EEEvSJ_.private_seg_size, 0
	.set _ZN7rocprim17ROCPRIM_400000_NS6detail17trampoline_kernelINS0_14default_configENS1_38merge_sort_block_merge_config_selectorIxxEEZZNS1_27merge_sort_block_merge_implIS3_N6thrust23THRUST_200600_302600_NS6detail15normal_iteratorINS8_10device_ptrIxEEEESD_jNS1_19radix_merge_compareILb0ELb0ExNS0_19identity_decomposerEEEEE10hipError_tT0_T1_T2_jT3_P12ihipStream_tbPNSt15iterator_traitsISI_E10value_typeEPNSO_ISJ_E10value_typeEPSK_NS1_7vsmem_tEENKUlT_SI_SJ_SK_E_clIPxSD_S10_SD_EESH_SX_SI_SJ_SK_EUlSX_E0_NS1_11comp_targetILNS1_3genE0ELNS1_11target_archE4294967295ELNS1_3gpuE0ELNS1_3repE0EEENS1_38merge_mergepath_config_static_selectorELNS0_4arch9wavefront6targetE1EEEvSJ_.uses_vcc, 1
	.set _ZN7rocprim17ROCPRIM_400000_NS6detail17trampoline_kernelINS0_14default_configENS1_38merge_sort_block_merge_config_selectorIxxEEZZNS1_27merge_sort_block_merge_implIS3_N6thrust23THRUST_200600_302600_NS6detail15normal_iteratorINS8_10device_ptrIxEEEESD_jNS1_19radix_merge_compareILb0ELb0ExNS0_19identity_decomposerEEEEE10hipError_tT0_T1_T2_jT3_P12ihipStream_tbPNSt15iterator_traitsISI_E10value_typeEPNSO_ISJ_E10value_typeEPSK_NS1_7vsmem_tEENKUlT_SI_SJ_SK_E_clIPxSD_S10_SD_EESH_SX_SI_SJ_SK_EUlSX_E0_NS1_11comp_targetILNS1_3genE0ELNS1_11target_archE4294967295ELNS1_3gpuE0ELNS1_3repE0EEENS1_38merge_mergepath_config_static_selectorELNS0_4arch9wavefront6targetE1EEEvSJ_.uses_flat_scratch, 0
	.set _ZN7rocprim17ROCPRIM_400000_NS6detail17trampoline_kernelINS0_14default_configENS1_38merge_sort_block_merge_config_selectorIxxEEZZNS1_27merge_sort_block_merge_implIS3_N6thrust23THRUST_200600_302600_NS6detail15normal_iteratorINS8_10device_ptrIxEEEESD_jNS1_19radix_merge_compareILb0ELb0ExNS0_19identity_decomposerEEEEE10hipError_tT0_T1_T2_jT3_P12ihipStream_tbPNSt15iterator_traitsISI_E10value_typeEPNSO_ISJ_E10value_typeEPSK_NS1_7vsmem_tEENKUlT_SI_SJ_SK_E_clIPxSD_S10_SD_EESH_SX_SI_SJ_SK_EUlSX_E0_NS1_11comp_targetILNS1_3genE0ELNS1_11target_archE4294967295ELNS1_3gpuE0ELNS1_3repE0EEENS1_38merge_mergepath_config_static_selectorELNS0_4arch9wavefront6targetE1EEEvSJ_.has_dyn_sized_stack, 0
	.set _ZN7rocprim17ROCPRIM_400000_NS6detail17trampoline_kernelINS0_14default_configENS1_38merge_sort_block_merge_config_selectorIxxEEZZNS1_27merge_sort_block_merge_implIS3_N6thrust23THRUST_200600_302600_NS6detail15normal_iteratorINS8_10device_ptrIxEEEESD_jNS1_19radix_merge_compareILb0ELb0ExNS0_19identity_decomposerEEEEE10hipError_tT0_T1_T2_jT3_P12ihipStream_tbPNSt15iterator_traitsISI_E10value_typeEPNSO_ISJ_E10value_typeEPSK_NS1_7vsmem_tEENKUlT_SI_SJ_SK_E_clIPxSD_S10_SD_EESH_SX_SI_SJ_SK_EUlSX_E0_NS1_11comp_targetILNS1_3genE0ELNS1_11target_archE4294967295ELNS1_3gpuE0ELNS1_3repE0EEENS1_38merge_mergepath_config_static_selectorELNS0_4arch9wavefront6targetE1EEEvSJ_.has_recursion, 0
	.set _ZN7rocprim17ROCPRIM_400000_NS6detail17trampoline_kernelINS0_14default_configENS1_38merge_sort_block_merge_config_selectorIxxEEZZNS1_27merge_sort_block_merge_implIS3_N6thrust23THRUST_200600_302600_NS6detail15normal_iteratorINS8_10device_ptrIxEEEESD_jNS1_19radix_merge_compareILb0ELb0ExNS0_19identity_decomposerEEEEE10hipError_tT0_T1_T2_jT3_P12ihipStream_tbPNSt15iterator_traitsISI_E10value_typeEPNSO_ISJ_E10value_typeEPSK_NS1_7vsmem_tEENKUlT_SI_SJ_SK_E_clIPxSD_S10_SD_EESH_SX_SI_SJ_SK_EUlSX_E0_NS1_11comp_targetILNS1_3genE0ELNS1_11target_archE4294967295ELNS1_3gpuE0ELNS1_3repE0EEENS1_38merge_mergepath_config_static_selectorELNS0_4arch9wavefront6targetE1EEEvSJ_.has_indirect_call, 0
	.section	.AMDGPU.csdata,"",@progbits
; Kernel info:
; codeLenInByte = 1744
; TotalNumSgprs: 36
; NumVgprs: 21
; NumAgprs: 0
; TotalNumVgprs: 21
; ScratchSize: 0
; MemoryBound: 0
; FloatMode: 240
; IeeeMode: 1
; LDSByteSize: 8448 bytes/workgroup (compile time only)
; SGPRBlocks: 4
; VGPRBlocks: 2
; NumSGPRsForWavesPerEU: 36
; NumVGPRsForWavesPerEU: 21
; AccumOffset: 24
; Occupancy: 8
; WaveLimiterHint : 1
; COMPUTE_PGM_RSRC2:SCRATCH_EN: 0
; COMPUTE_PGM_RSRC2:USER_SGPR: 2
; COMPUTE_PGM_RSRC2:TRAP_HANDLER: 0
; COMPUTE_PGM_RSRC2:TGID_X_EN: 1
; COMPUTE_PGM_RSRC2:TGID_Y_EN: 1
; COMPUTE_PGM_RSRC2:TGID_Z_EN: 1
; COMPUTE_PGM_RSRC2:TIDIG_COMP_CNT: 0
; COMPUTE_PGM_RSRC3_GFX90A:ACCUM_OFFSET: 5
; COMPUTE_PGM_RSRC3_GFX90A:TG_SPLIT: 0
	.section	.text._ZN7rocprim17ROCPRIM_400000_NS6detail17trampoline_kernelINS0_14default_configENS1_38merge_sort_block_merge_config_selectorIxxEEZZNS1_27merge_sort_block_merge_implIS3_N6thrust23THRUST_200600_302600_NS6detail15normal_iteratorINS8_10device_ptrIxEEEESD_jNS1_19radix_merge_compareILb0ELb0ExNS0_19identity_decomposerEEEEE10hipError_tT0_T1_T2_jT3_P12ihipStream_tbPNSt15iterator_traitsISI_E10value_typeEPNSO_ISJ_E10value_typeEPSK_NS1_7vsmem_tEENKUlT_SI_SJ_SK_E_clIPxSD_S10_SD_EESH_SX_SI_SJ_SK_EUlSX_E0_NS1_11comp_targetILNS1_3genE10ELNS1_11target_archE1201ELNS1_3gpuE5ELNS1_3repE0EEENS1_38merge_mergepath_config_static_selectorELNS0_4arch9wavefront6targetE1EEEvSJ_,"axG",@progbits,_ZN7rocprim17ROCPRIM_400000_NS6detail17trampoline_kernelINS0_14default_configENS1_38merge_sort_block_merge_config_selectorIxxEEZZNS1_27merge_sort_block_merge_implIS3_N6thrust23THRUST_200600_302600_NS6detail15normal_iteratorINS8_10device_ptrIxEEEESD_jNS1_19radix_merge_compareILb0ELb0ExNS0_19identity_decomposerEEEEE10hipError_tT0_T1_T2_jT3_P12ihipStream_tbPNSt15iterator_traitsISI_E10value_typeEPNSO_ISJ_E10value_typeEPSK_NS1_7vsmem_tEENKUlT_SI_SJ_SK_E_clIPxSD_S10_SD_EESH_SX_SI_SJ_SK_EUlSX_E0_NS1_11comp_targetILNS1_3genE10ELNS1_11target_archE1201ELNS1_3gpuE5ELNS1_3repE0EEENS1_38merge_mergepath_config_static_selectorELNS0_4arch9wavefront6targetE1EEEvSJ_,comdat
	.protected	_ZN7rocprim17ROCPRIM_400000_NS6detail17trampoline_kernelINS0_14default_configENS1_38merge_sort_block_merge_config_selectorIxxEEZZNS1_27merge_sort_block_merge_implIS3_N6thrust23THRUST_200600_302600_NS6detail15normal_iteratorINS8_10device_ptrIxEEEESD_jNS1_19radix_merge_compareILb0ELb0ExNS0_19identity_decomposerEEEEE10hipError_tT0_T1_T2_jT3_P12ihipStream_tbPNSt15iterator_traitsISI_E10value_typeEPNSO_ISJ_E10value_typeEPSK_NS1_7vsmem_tEENKUlT_SI_SJ_SK_E_clIPxSD_S10_SD_EESH_SX_SI_SJ_SK_EUlSX_E0_NS1_11comp_targetILNS1_3genE10ELNS1_11target_archE1201ELNS1_3gpuE5ELNS1_3repE0EEENS1_38merge_mergepath_config_static_selectorELNS0_4arch9wavefront6targetE1EEEvSJ_ ; -- Begin function _ZN7rocprim17ROCPRIM_400000_NS6detail17trampoline_kernelINS0_14default_configENS1_38merge_sort_block_merge_config_selectorIxxEEZZNS1_27merge_sort_block_merge_implIS3_N6thrust23THRUST_200600_302600_NS6detail15normal_iteratorINS8_10device_ptrIxEEEESD_jNS1_19radix_merge_compareILb0ELb0ExNS0_19identity_decomposerEEEEE10hipError_tT0_T1_T2_jT3_P12ihipStream_tbPNSt15iterator_traitsISI_E10value_typeEPNSO_ISJ_E10value_typeEPSK_NS1_7vsmem_tEENKUlT_SI_SJ_SK_E_clIPxSD_S10_SD_EESH_SX_SI_SJ_SK_EUlSX_E0_NS1_11comp_targetILNS1_3genE10ELNS1_11target_archE1201ELNS1_3gpuE5ELNS1_3repE0EEENS1_38merge_mergepath_config_static_selectorELNS0_4arch9wavefront6targetE1EEEvSJ_
	.globl	_ZN7rocprim17ROCPRIM_400000_NS6detail17trampoline_kernelINS0_14default_configENS1_38merge_sort_block_merge_config_selectorIxxEEZZNS1_27merge_sort_block_merge_implIS3_N6thrust23THRUST_200600_302600_NS6detail15normal_iteratorINS8_10device_ptrIxEEEESD_jNS1_19radix_merge_compareILb0ELb0ExNS0_19identity_decomposerEEEEE10hipError_tT0_T1_T2_jT3_P12ihipStream_tbPNSt15iterator_traitsISI_E10value_typeEPNSO_ISJ_E10value_typeEPSK_NS1_7vsmem_tEENKUlT_SI_SJ_SK_E_clIPxSD_S10_SD_EESH_SX_SI_SJ_SK_EUlSX_E0_NS1_11comp_targetILNS1_3genE10ELNS1_11target_archE1201ELNS1_3gpuE5ELNS1_3repE0EEENS1_38merge_mergepath_config_static_selectorELNS0_4arch9wavefront6targetE1EEEvSJ_
	.p2align	8
	.type	_ZN7rocprim17ROCPRIM_400000_NS6detail17trampoline_kernelINS0_14default_configENS1_38merge_sort_block_merge_config_selectorIxxEEZZNS1_27merge_sort_block_merge_implIS3_N6thrust23THRUST_200600_302600_NS6detail15normal_iteratorINS8_10device_ptrIxEEEESD_jNS1_19radix_merge_compareILb0ELb0ExNS0_19identity_decomposerEEEEE10hipError_tT0_T1_T2_jT3_P12ihipStream_tbPNSt15iterator_traitsISI_E10value_typeEPNSO_ISJ_E10value_typeEPSK_NS1_7vsmem_tEENKUlT_SI_SJ_SK_E_clIPxSD_S10_SD_EESH_SX_SI_SJ_SK_EUlSX_E0_NS1_11comp_targetILNS1_3genE10ELNS1_11target_archE1201ELNS1_3gpuE5ELNS1_3repE0EEENS1_38merge_mergepath_config_static_selectorELNS0_4arch9wavefront6targetE1EEEvSJ_,@function
_ZN7rocprim17ROCPRIM_400000_NS6detail17trampoline_kernelINS0_14default_configENS1_38merge_sort_block_merge_config_selectorIxxEEZZNS1_27merge_sort_block_merge_implIS3_N6thrust23THRUST_200600_302600_NS6detail15normal_iteratorINS8_10device_ptrIxEEEESD_jNS1_19radix_merge_compareILb0ELb0ExNS0_19identity_decomposerEEEEE10hipError_tT0_T1_T2_jT3_P12ihipStream_tbPNSt15iterator_traitsISI_E10value_typeEPNSO_ISJ_E10value_typeEPSK_NS1_7vsmem_tEENKUlT_SI_SJ_SK_E_clIPxSD_S10_SD_EESH_SX_SI_SJ_SK_EUlSX_E0_NS1_11comp_targetILNS1_3genE10ELNS1_11target_archE1201ELNS1_3gpuE5ELNS1_3repE0EEENS1_38merge_mergepath_config_static_selectorELNS0_4arch9wavefront6targetE1EEEvSJ_: ; @_ZN7rocprim17ROCPRIM_400000_NS6detail17trampoline_kernelINS0_14default_configENS1_38merge_sort_block_merge_config_selectorIxxEEZZNS1_27merge_sort_block_merge_implIS3_N6thrust23THRUST_200600_302600_NS6detail15normal_iteratorINS8_10device_ptrIxEEEESD_jNS1_19radix_merge_compareILb0ELb0ExNS0_19identity_decomposerEEEEE10hipError_tT0_T1_T2_jT3_P12ihipStream_tbPNSt15iterator_traitsISI_E10value_typeEPNSO_ISJ_E10value_typeEPSK_NS1_7vsmem_tEENKUlT_SI_SJ_SK_E_clIPxSD_S10_SD_EESH_SX_SI_SJ_SK_EUlSX_E0_NS1_11comp_targetILNS1_3genE10ELNS1_11target_archE1201ELNS1_3gpuE5ELNS1_3repE0EEENS1_38merge_mergepath_config_static_selectorELNS0_4arch9wavefront6targetE1EEEvSJ_
; %bb.0:
	.section	.rodata,"a",@progbits
	.p2align	6, 0x0
	.amdhsa_kernel _ZN7rocprim17ROCPRIM_400000_NS6detail17trampoline_kernelINS0_14default_configENS1_38merge_sort_block_merge_config_selectorIxxEEZZNS1_27merge_sort_block_merge_implIS3_N6thrust23THRUST_200600_302600_NS6detail15normal_iteratorINS8_10device_ptrIxEEEESD_jNS1_19radix_merge_compareILb0ELb0ExNS0_19identity_decomposerEEEEE10hipError_tT0_T1_T2_jT3_P12ihipStream_tbPNSt15iterator_traitsISI_E10value_typeEPNSO_ISJ_E10value_typeEPSK_NS1_7vsmem_tEENKUlT_SI_SJ_SK_E_clIPxSD_S10_SD_EESH_SX_SI_SJ_SK_EUlSX_E0_NS1_11comp_targetILNS1_3genE10ELNS1_11target_archE1201ELNS1_3gpuE5ELNS1_3repE0EEENS1_38merge_mergepath_config_static_selectorELNS0_4arch9wavefront6targetE1EEEvSJ_
		.amdhsa_group_segment_fixed_size 0
		.amdhsa_private_segment_fixed_size 0
		.amdhsa_kernarg_size 64
		.amdhsa_user_sgpr_count 2
		.amdhsa_user_sgpr_dispatch_ptr 0
		.amdhsa_user_sgpr_queue_ptr 0
		.amdhsa_user_sgpr_kernarg_segment_ptr 1
		.amdhsa_user_sgpr_dispatch_id 0
		.amdhsa_user_sgpr_kernarg_preload_length 0
		.amdhsa_user_sgpr_kernarg_preload_offset 0
		.amdhsa_user_sgpr_private_segment_size 0
		.amdhsa_uses_dynamic_stack 0
		.amdhsa_enable_private_segment 0
		.amdhsa_system_sgpr_workgroup_id_x 1
		.amdhsa_system_sgpr_workgroup_id_y 0
		.amdhsa_system_sgpr_workgroup_id_z 0
		.amdhsa_system_sgpr_workgroup_info 0
		.amdhsa_system_vgpr_workitem_id 0
		.amdhsa_next_free_vgpr 1
		.amdhsa_next_free_sgpr 0
		.amdhsa_accum_offset 4
		.amdhsa_reserve_vcc 0
		.amdhsa_float_round_mode_32 0
		.amdhsa_float_round_mode_16_64 0
		.amdhsa_float_denorm_mode_32 3
		.amdhsa_float_denorm_mode_16_64 3
		.amdhsa_dx10_clamp 1
		.amdhsa_ieee_mode 1
		.amdhsa_fp16_overflow 0
		.amdhsa_tg_split 0
		.amdhsa_exception_fp_ieee_invalid_op 0
		.amdhsa_exception_fp_denorm_src 0
		.amdhsa_exception_fp_ieee_div_zero 0
		.amdhsa_exception_fp_ieee_overflow 0
		.amdhsa_exception_fp_ieee_underflow 0
		.amdhsa_exception_fp_ieee_inexact 0
		.amdhsa_exception_int_div_zero 0
	.end_amdhsa_kernel
	.section	.text._ZN7rocprim17ROCPRIM_400000_NS6detail17trampoline_kernelINS0_14default_configENS1_38merge_sort_block_merge_config_selectorIxxEEZZNS1_27merge_sort_block_merge_implIS3_N6thrust23THRUST_200600_302600_NS6detail15normal_iteratorINS8_10device_ptrIxEEEESD_jNS1_19radix_merge_compareILb0ELb0ExNS0_19identity_decomposerEEEEE10hipError_tT0_T1_T2_jT3_P12ihipStream_tbPNSt15iterator_traitsISI_E10value_typeEPNSO_ISJ_E10value_typeEPSK_NS1_7vsmem_tEENKUlT_SI_SJ_SK_E_clIPxSD_S10_SD_EESH_SX_SI_SJ_SK_EUlSX_E0_NS1_11comp_targetILNS1_3genE10ELNS1_11target_archE1201ELNS1_3gpuE5ELNS1_3repE0EEENS1_38merge_mergepath_config_static_selectorELNS0_4arch9wavefront6targetE1EEEvSJ_,"axG",@progbits,_ZN7rocprim17ROCPRIM_400000_NS6detail17trampoline_kernelINS0_14default_configENS1_38merge_sort_block_merge_config_selectorIxxEEZZNS1_27merge_sort_block_merge_implIS3_N6thrust23THRUST_200600_302600_NS6detail15normal_iteratorINS8_10device_ptrIxEEEESD_jNS1_19radix_merge_compareILb0ELb0ExNS0_19identity_decomposerEEEEE10hipError_tT0_T1_T2_jT3_P12ihipStream_tbPNSt15iterator_traitsISI_E10value_typeEPNSO_ISJ_E10value_typeEPSK_NS1_7vsmem_tEENKUlT_SI_SJ_SK_E_clIPxSD_S10_SD_EESH_SX_SI_SJ_SK_EUlSX_E0_NS1_11comp_targetILNS1_3genE10ELNS1_11target_archE1201ELNS1_3gpuE5ELNS1_3repE0EEENS1_38merge_mergepath_config_static_selectorELNS0_4arch9wavefront6targetE1EEEvSJ_,comdat
.Lfunc_end1074:
	.size	_ZN7rocprim17ROCPRIM_400000_NS6detail17trampoline_kernelINS0_14default_configENS1_38merge_sort_block_merge_config_selectorIxxEEZZNS1_27merge_sort_block_merge_implIS3_N6thrust23THRUST_200600_302600_NS6detail15normal_iteratorINS8_10device_ptrIxEEEESD_jNS1_19radix_merge_compareILb0ELb0ExNS0_19identity_decomposerEEEEE10hipError_tT0_T1_T2_jT3_P12ihipStream_tbPNSt15iterator_traitsISI_E10value_typeEPNSO_ISJ_E10value_typeEPSK_NS1_7vsmem_tEENKUlT_SI_SJ_SK_E_clIPxSD_S10_SD_EESH_SX_SI_SJ_SK_EUlSX_E0_NS1_11comp_targetILNS1_3genE10ELNS1_11target_archE1201ELNS1_3gpuE5ELNS1_3repE0EEENS1_38merge_mergepath_config_static_selectorELNS0_4arch9wavefront6targetE1EEEvSJ_, .Lfunc_end1074-_ZN7rocprim17ROCPRIM_400000_NS6detail17trampoline_kernelINS0_14default_configENS1_38merge_sort_block_merge_config_selectorIxxEEZZNS1_27merge_sort_block_merge_implIS3_N6thrust23THRUST_200600_302600_NS6detail15normal_iteratorINS8_10device_ptrIxEEEESD_jNS1_19radix_merge_compareILb0ELb0ExNS0_19identity_decomposerEEEEE10hipError_tT0_T1_T2_jT3_P12ihipStream_tbPNSt15iterator_traitsISI_E10value_typeEPNSO_ISJ_E10value_typeEPSK_NS1_7vsmem_tEENKUlT_SI_SJ_SK_E_clIPxSD_S10_SD_EESH_SX_SI_SJ_SK_EUlSX_E0_NS1_11comp_targetILNS1_3genE10ELNS1_11target_archE1201ELNS1_3gpuE5ELNS1_3repE0EEENS1_38merge_mergepath_config_static_selectorELNS0_4arch9wavefront6targetE1EEEvSJ_
                                        ; -- End function
	.set _ZN7rocprim17ROCPRIM_400000_NS6detail17trampoline_kernelINS0_14default_configENS1_38merge_sort_block_merge_config_selectorIxxEEZZNS1_27merge_sort_block_merge_implIS3_N6thrust23THRUST_200600_302600_NS6detail15normal_iteratorINS8_10device_ptrIxEEEESD_jNS1_19radix_merge_compareILb0ELb0ExNS0_19identity_decomposerEEEEE10hipError_tT0_T1_T2_jT3_P12ihipStream_tbPNSt15iterator_traitsISI_E10value_typeEPNSO_ISJ_E10value_typeEPSK_NS1_7vsmem_tEENKUlT_SI_SJ_SK_E_clIPxSD_S10_SD_EESH_SX_SI_SJ_SK_EUlSX_E0_NS1_11comp_targetILNS1_3genE10ELNS1_11target_archE1201ELNS1_3gpuE5ELNS1_3repE0EEENS1_38merge_mergepath_config_static_selectorELNS0_4arch9wavefront6targetE1EEEvSJ_.num_vgpr, 0
	.set _ZN7rocprim17ROCPRIM_400000_NS6detail17trampoline_kernelINS0_14default_configENS1_38merge_sort_block_merge_config_selectorIxxEEZZNS1_27merge_sort_block_merge_implIS3_N6thrust23THRUST_200600_302600_NS6detail15normal_iteratorINS8_10device_ptrIxEEEESD_jNS1_19radix_merge_compareILb0ELb0ExNS0_19identity_decomposerEEEEE10hipError_tT0_T1_T2_jT3_P12ihipStream_tbPNSt15iterator_traitsISI_E10value_typeEPNSO_ISJ_E10value_typeEPSK_NS1_7vsmem_tEENKUlT_SI_SJ_SK_E_clIPxSD_S10_SD_EESH_SX_SI_SJ_SK_EUlSX_E0_NS1_11comp_targetILNS1_3genE10ELNS1_11target_archE1201ELNS1_3gpuE5ELNS1_3repE0EEENS1_38merge_mergepath_config_static_selectorELNS0_4arch9wavefront6targetE1EEEvSJ_.num_agpr, 0
	.set _ZN7rocprim17ROCPRIM_400000_NS6detail17trampoline_kernelINS0_14default_configENS1_38merge_sort_block_merge_config_selectorIxxEEZZNS1_27merge_sort_block_merge_implIS3_N6thrust23THRUST_200600_302600_NS6detail15normal_iteratorINS8_10device_ptrIxEEEESD_jNS1_19radix_merge_compareILb0ELb0ExNS0_19identity_decomposerEEEEE10hipError_tT0_T1_T2_jT3_P12ihipStream_tbPNSt15iterator_traitsISI_E10value_typeEPNSO_ISJ_E10value_typeEPSK_NS1_7vsmem_tEENKUlT_SI_SJ_SK_E_clIPxSD_S10_SD_EESH_SX_SI_SJ_SK_EUlSX_E0_NS1_11comp_targetILNS1_3genE10ELNS1_11target_archE1201ELNS1_3gpuE5ELNS1_3repE0EEENS1_38merge_mergepath_config_static_selectorELNS0_4arch9wavefront6targetE1EEEvSJ_.numbered_sgpr, 0
	.set _ZN7rocprim17ROCPRIM_400000_NS6detail17trampoline_kernelINS0_14default_configENS1_38merge_sort_block_merge_config_selectorIxxEEZZNS1_27merge_sort_block_merge_implIS3_N6thrust23THRUST_200600_302600_NS6detail15normal_iteratorINS8_10device_ptrIxEEEESD_jNS1_19radix_merge_compareILb0ELb0ExNS0_19identity_decomposerEEEEE10hipError_tT0_T1_T2_jT3_P12ihipStream_tbPNSt15iterator_traitsISI_E10value_typeEPNSO_ISJ_E10value_typeEPSK_NS1_7vsmem_tEENKUlT_SI_SJ_SK_E_clIPxSD_S10_SD_EESH_SX_SI_SJ_SK_EUlSX_E0_NS1_11comp_targetILNS1_3genE10ELNS1_11target_archE1201ELNS1_3gpuE5ELNS1_3repE0EEENS1_38merge_mergepath_config_static_selectorELNS0_4arch9wavefront6targetE1EEEvSJ_.num_named_barrier, 0
	.set _ZN7rocprim17ROCPRIM_400000_NS6detail17trampoline_kernelINS0_14default_configENS1_38merge_sort_block_merge_config_selectorIxxEEZZNS1_27merge_sort_block_merge_implIS3_N6thrust23THRUST_200600_302600_NS6detail15normal_iteratorINS8_10device_ptrIxEEEESD_jNS1_19radix_merge_compareILb0ELb0ExNS0_19identity_decomposerEEEEE10hipError_tT0_T1_T2_jT3_P12ihipStream_tbPNSt15iterator_traitsISI_E10value_typeEPNSO_ISJ_E10value_typeEPSK_NS1_7vsmem_tEENKUlT_SI_SJ_SK_E_clIPxSD_S10_SD_EESH_SX_SI_SJ_SK_EUlSX_E0_NS1_11comp_targetILNS1_3genE10ELNS1_11target_archE1201ELNS1_3gpuE5ELNS1_3repE0EEENS1_38merge_mergepath_config_static_selectorELNS0_4arch9wavefront6targetE1EEEvSJ_.private_seg_size, 0
	.set _ZN7rocprim17ROCPRIM_400000_NS6detail17trampoline_kernelINS0_14default_configENS1_38merge_sort_block_merge_config_selectorIxxEEZZNS1_27merge_sort_block_merge_implIS3_N6thrust23THRUST_200600_302600_NS6detail15normal_iteratorINS8_10device_ptrIxEEEESD_jNS1_19radix_merge_compareILb0ELb0ExNS0_19identity_decomposerEEEEE10hipError_tT0_T1_T2_jT3_P12ihipStream_tbPNSt15iterator_traitsISI_E10value_typeEPNSO_ISJ_E10value_typeEPSK_NS1_7vsmem_tEENKUlT_SI_SJ_SK_E_clIPxSD_S10_SD_EESH_SX_SI_SJ_SK_EUlSX_E0_NS1_11comp_targetILNS1_3genE10ELNS1_11target_archE1201ELNS1_3gpuE5ELNS1_3repE0EEENS1_38merge_mergepath_config_static_selectorELNS0_4arch9wavefront6targetE1EEEvSJ_.uses_vcc, 0
	.set _ZN7rocprim17ROCPRIM_400000_NS6detail17trampoline_kernelINS0_14default_configENS1_38merge_sort_block_merge_config_selectorIxxEEZZNS1_27merge_sort_block_merge_implIS3_N6thrust23THRUST_200600_302600_NS6detail15normal_iteratorINS8_10device_ptrIxEEEESD_jNS1_19radix_merge_compareILb0ELb0ExNS0_19identity_decomposerEEEEE10hipError_tT0_T1_T2_jT3_P12ihipStream_tbPNSt15iterator_traitsISI_E10value_typeEPNSO_ISJ_E10value_typeEPSK_NS1_7vsmem_tEENKUlT_SI_SJ_SK_E_clIPxSD_S10_SD_EESH_SX_SI_SJ_SK_EUlSX_E0_NS1_11comp_targetILNS1_3genE10ELNS1_11target_archE1201ELNS1_3gpuE5ELNS1_3repE0EEENS1_38merge_mergepath_config_static_selectorELNS0_4arch9wavefront6targetE1EEEvSJ_.uses_flat_scratch, 0
	.set _ZN7rocprim17ROCPRIM_400000_NS6detail17trampoline_kernelINS0_14default_configENS1_38merge_sort_block_merge_config_selectorIxxEEZZNS1_27merge_sort_block_merge_implIS3_N6thrust23THRUST_200600_302600_NS6detail15normal_iteratorINS8_10device_ptrIxEEEESD_jNS1_19radix_merge_compareILb0ELb0ExNS0_19identity_decomposerEEEEE10hipError_tT0_T1_T2_jT3_P12ihipStream_tbPNSt15iterator_traitsISI_E10value_typeEPNSO_ISJ_E10value_typeEPSK_NS1_7vsmem_tEENKUlT_SI_SJ_SK_E_clIPxSD_S10_SD_EESH_SX_SI_SJ_SK_EUlSX_E0_NS1_11comp_targetILNS1_3genE10ELNS1_11target_archE1201ELNS1_3gpuE5ELNS1_3repE0EEENS1_38merge_mergepath_config_static_selectorELNS0_4arch9wavefront6targetE1EEEvSJ_.has_dyn_sized_stack, 0
	.set _ZN7rocprim17ROCPRIM_400000_NS6detail17trampoline_kernelINS0_14default_configENS1_38merge_sort_block_merge_config_selectorIxxEEZZNS1_27merge_sort_block_merge_implIS3_N6thrust23THRUST_200600_302600_NS6detail15normal_iteratorINS8_10device_ptrIxEEEESD_jNS1_19radix_merge_compareILb0ELb0ExNS0_19identity_decomposerEEEEE10hipError_tT0_T1_T2_jT3_P12ihipStream_tbPNSt15iterator_traitsISI_E10value_typeEPNSO_ISJ_E10value_typeEPSK_NS1_7vsmem_tEENKUlT_SI_SJ_SK_E_clIPxSD_S10_SD_EESH_SX_SI_SJ_SK_EUlSX_E0_NS1_11comp_targetILNS1_3genE10ELNS1_11target_archE1201ELNS1_3gpuE5ELNS1_3repE0EEENS1_38merge_mergepath_config_static_selectorELNS0_4arch9wavefront6targetE1EEEvSJ_.has_recursion, 0
	.set _ZN7rocprim17ROCPRIM_400000_NS6detail17trampoline_kernelINS0_14default_configENS1_38merge_sort_block_merge_config_selectorIxxEEZZNS1_27merge_sort_block_merge_implIS3_N6thrust23THRUST_200600_302600_NS6detail15normal_iteratorINS8_10device_ptrIxEEEESD_jNS1_19radix_merge_compareILb0ELb0ExNS0_19identity_decomposerEEEEE10hipError_tT0_T1_T2_jT3_P12ihipStream_tbPNSt15iterator_traitsISI_E10value_typeEPNSO_ISJ_E10value_typeEPSK_NS1_7vsmem_tEENKUlT_SI_SJ_SK_E_clIPxSD_S10_SD_EESH_SX_SI_SJ_SK_EUlSX_E0_NS1_11comp_targetILNS1_3genE10ELNS1_11target_archE1201ELNS1_3gpuE5ELNS1_3repE0EEENS1_38merge_mergepath_config_static_selectorELNS0_4arch9wavefront6targetE1EEEvSJ_.has_indirect_call, 0
	.section	.AMDGPU.csdata,"",@progbits
; Kernel info:
; codeLenInByte = 0
; TotalNumSgprs: 6
; NumVgprs: 0
; NumAgprs: 0
; TotalNumVgprs: 0
; ScratchSize: 0
; MemoryBound: 0
; FloatMode: 240
; IeeeMode: 1
; LDSByteSize: 0 bytes/workgroup (compile time only)
; SGPRBlocks: 0
; VGPRBlocks: 0
; NumSGPRsForWavesPerEU: 6
; NumVGPRsForWavesPerEU: 1
; AccumOffset: 4
; Occupancy: 8
; WaveLimiterHint : 0
; COMPUTE_PGM_RSRC2:SCRATCH_EN: 0
; COMPUTE_PGM_RSRC2:USER_SGPR: 2
; COMPUTE_PGM_RSRC2:TRAP_HANDLER: 0
; COMPUTE_PGM_RSRC2:TGID_X_EN: 1
; COMPUTE_PGM_RSRC2:TGID_Y_EN: 0
; COMPUTE_PGM_RSRC2:TGID_Z_EN: 0
; COMPUTE_PGM_RSRC2:TIDIG_COMP_CNT: 0
; COMPUTE_PGM_RSRC3_GFX90A:ACCUM_OFFSET: 0
; COMPUTE_PGM_RSRC3_GFX90A:TG_SPLIT: 0
	.section	.text._ZN7rocprim17ROCPRIM_400000_NS6detail17trampoline_kernelINS0_14default_configENS1_38merge_sort_block_merge_config_selectorIxxEEZZNS1_27merge_sort_block_merge_implIS3_N6thrust23THRUST_200600_302600_NS6detail15normal_iteratorINS8_10device_ptrIxEEEESD_jNS1_19radix_merge_compareILb0ELb0ExNS0_19identity_decomposerEEEEE10hipError_tT0_T1_T2_jT3_P12ihipStream_tbPNSt15iterator_traitsISI_E10value_typeEPNSO_ISJ_E10value_typeEPSK_NS1_7vsmem_tEENKUlT_SI_SJ_SK_E_clIPxSD_S10_SD_EESH_SX_SI_SJ_SK_EUlSX_E0_NS1_11comp_targetILNS1_3genE5ELNS1_11target_archE942ELNS1_3gpuE9ELNS1_3repE0EEENS1_38merge_mergepath_config_static_selectorELNS0_4arch9wavefront6targetE1EEEvSJ_,"axG",@progbits,_ZN7rocprim17ROCPRIM_400000_NS6detail17trampoline_kernelINS0_14default_configENS1_38merge_sort_block_merge_config_selectorIxxEEZZNS1_27merge_sort_block_merge_implIS3_N6thrust23THRUST_200600_302600_NS6detail15normal_iteratorINS8_10device_ptrIxEEEESD_jNS1_19radix_merge_compareILb0ELb0ExNS0_19identity_decomposerEEEEE10hipError_tT0_T1_T2_jT3_P12ihipStream_tbPNSt15iterator_traitsISI_E10value_typeEPNSO_ISJ_E10value_typeEPSK_NS1_7vsmem_tEENKUlT_SI_SJ_SK_E_clIPxSD_S10_SD_EESH_SX_SI_SJ_SK_EUlSX_E0_NS1_11comp_targetILNS1_3genE5ELNS1_11target_archE942ELNS1_3gpuE9ELNS1_3repE0EEENS1_38merge_mergepath_config_static_selectorELNS0_4arch9wavefront6targetE1EEEvSJ_,comdat
	.protected	_ZN7rocprim17ROCPRIM_400000_NS6detail17trampoline_kernelINS0_14default_configENS1_38merge_sort_block_merge_config_selectorIxxEEZZNS1_27merge_sort_block_merge_implIS3_N6thrust23THRUST_200600_302600_NS6detail15normal_iteratorINS8_10device_ptrIxEEEESD_jNS1_19radix_merge_compareILb0ELb0ExNS0_19identity_decomposerEEEEE10hipError_tT0_T1_T2_jT3_P12ihipStream_tbPNSt15iterator_traitsISI_E10value_typeEPNSO_ISJ_E10value_typeEPSK_NS1_7vsmem_tEENKUlT_SI_SJ_SK_E_clIPxSD_S10_SD_EESH_SX_SI_SJ_SK_EUlSX_E0_NS1_11comp_targetILNS1_3genE5ELNS1_11target_archE942ELNS1_3gpuE9ELNS1_3repE0EEENS1_38merge_mergepath_config_static_selectorELNS0_4arch9wavefront6targetE1EEEvSJ_ ; -- Begin function _ZN7rocprim17ROCPRIM_400000_NS6detail17trampoline_kernelINS0_14default_configENS1_38merge_sort_block_merge_config_selectorIxxEEZZNS1_27merge_sort_block_merge_implIS3_N6thrust23THRUST_200600_302600_NS6detail15normal_iteratorINS8_10device_ptrIxEEEESD_jNS1_19radix_merge_compareILb0ELb0ExNS0_19identity_decomposerEEEEE10hipError_tT0_T1_T2_jT3_P12ihipStream_tbPNSt15iterator_traitsISI_E10value_typeEPNSO_ISJ_E10value_typeEPSK_NS1_7vsmem_tEENKUlT_SI_SJ_SK_E_clIPxSD_S10_SD_EESH_SX_SI_SJ_SK_EUlSX_E0_NS1_11comp_targetILNS1_3genE5ELNS1_11target_archE942ELNS1_3gpuE9ELNS1_3repE0EEENS1_38merge_mergepath_config_static_selectorELNS0_4arch9wavefront6targetE1EEEvSJ_
	.globl	_ZN7rocprim17ROCPRIM_400000_NS6detail17trampoline_kernelINS0_14default_configENS1_38merge_sort_block_merge_config_selectorIxxEEZZNS1_27merge_sort_block_merge_implIS3_N6thrust23THRUST_200600_302600_NS6detail15normal_iteratorINS8_10device_ptrIxEEEESD_jNS1_19radix_merge_compareILb0ELb0ExNS0_19identity_decomposerEEEEE10hipError_tT0_T1_T2_jT3_P12ihipStream_tbPNSt15iterator_traitsISI_E10value_typeEPNSO_ISJ_E10value_typeEPSK_NS1_7vsmem_tEENKUlT_SI_SJ_SK_E_clIPxSD_S10_SD_EESH_SX_SI_SJ_SK_EUlSX_E0_NS1_11comp_targetILNS1_3genE5ELNS1_11target_archE942ELNS1_3gpuE9ELNS1_3repE0EEENS1_38merge_mergepath_config_static_selectorELNS0_4arch9wavefront6targetE1EEEvSJ_
	.p2align	8
	.type	_ZN7rocprim17ROCPRIM_400000_NS6detail17trampoline_kernelINS0_14default_configENS1_38merge_sort_block_merge_config_selectorIxxEEZZNS1_27merge_sort_block_merge_implIS3_N6thrust23THRUST_200600_302600_NS6detail15normal_iteratorINS8_10device_ptrIxEEEESD_jNS1_19radix_merge_compareILb0ELb0ExNS0_19identity_decomposerEEEEE10hipError_tT0_T1_T2_jT3_P12ihipStream_tbPNSt15iterator_traitsISI_E10value_typeEPNSO_ISJ_E10value_typeEPSK_NS1_7vsmem_tEENKUlT_SI_SJ_SK_E_clIPxSD_S10_SD_EESH_SX_SI_SJ_SK_EUlSX_E0_NS1_11comp_targetILNS1_3genE5ELNS1_11target_archE942ELNS1_3gpuE9ELNS1_3repE0EEENS1_38merge_mergepath_config_static_selectorELNS0_4arch9wavefront6targetE1EEEvSJ_,@function
_ZN7rocprim17ROCPRIM_400000_NS6detail17trampoline_kernelINS0_14default_configENS1_38merge_sort_block_merge_config_selectorIxxEEZZNS1_27merge_sort_block_merge_implIS3_N6thrust23THRUST_200600_302600_NS6detail15normal_iteratorINS8_10device_ptrIxEEEESD_jNS1_19radix_merge_compareILb0ELb0ExNS0_19identity_decomposerEEEEE10hipError_tT0_T1_T2_jT3_P12ihipStream_tbPNSt15iterator_traitsISI_E10value_typeEPNSO_ISJ_E10value_typeEPSK_NS1_7vsmem_tEENKUlT_SI_SJ_SK_E_clIPxSD_S10_SD_EESH_SX_SI_SJ_SK_EUlSX_E0_NS1_11comp_targetILNS1_3genE5ELNS1_11target_archE942ELNS1_3gpuE9ELNS1_3repE0EEENS1_38merge_mergepath_config_static_selectorELNS0_4arch9wavefront6targetE1EEEvSJ_: ; @_ZN7rocprim17ROCPRIM_400000_NS6detail17trampoline_kernelINS0_14default_configENS1_38merge_sort_block_merge_config_selectorIxxEEZZNS1_27merge_sort_block_merge_implIS3_N6thrust23THRUST_200600_302600_NS6detail15normal_iteratorINS8_10device_ptrIxEEEESD_jNS1_19radix_merge_compareILb0ELb0ExNS0_19identity_decomposerEEEEE10hipError_tT0_T1_T2_jT3_P12ihipStream_tbPNSt15iterator_traitsISI_E10value_typeEPNSO_ISJ_E10value_typeEPSK_NS1_7vsmem_tEENKUlT_SI_SJ_SK_E_clIPxSD_S10_SD_EESH_SX_SI_SJ_SK_EUlSX_E0_NS1_11comp_targetILNS1_3genE5ELNS1_11target_archE942ELNS1_3gpuE9ELNS1_3repE0EEENS1_38merge_mergepath_config_static_selectorELNS0_4arch9wavefront6targetE1EEEvSJ_
; %bb.0:
	.section	.rodata,"a",@progbits
	.p2align	6, 0x0
	.amdhsa_kernel _ZN7rocprim17ROCPRIM_400000_NS6detail17trampoline_kernelINS0_14default_configENS1_38merge_sort_block_merge_config_selectorIxxEEZZNS1_27merge_sort_block_merge_implIS3_N6thrust23THRUST_200600_302600_NS6detail15normal_iteratorINS8_10device_ptrIxEEEESD_jNS1_19radix_merge_compareILb0ELb0ExNS0_19identity_decomposerEEEEE10hipError_tT0_T1_T2_jT3_P12ihipStream_tbPNSt15iterator_traitsISI_E10value_typeEPNSO_ISJ_E10value_typeEPSK_NS1_7vsmem_tEENKUlT_SI_SJ_SK_E_clIPxSD_S10_SD_EESH_SX_SI_SJ_SK_EUlSX_E0_NS1_11comp_targetILNS1_3genE5ELNS1_11target_archE942ELNS1_3gpuE9ELNS1_3repE0EEENS1_38merge_mergepath_config_static_selectorELNS0_4arch9wavefront6targetE1EEEvSJ_
		.amdhsa_group_segment_fixed_size 0
		.amdhsa_private_segment_fixed_size 0
		.amdhsa_kernarg_size 64
		.amdhsa_user_sgpr_count 2
		.amdhsa_user_sgpr_dispatch_ptr 0
		.amdhsa_user_sgpr_queue_ptr 0
		.amdhsa_user_sgpr_kernarg_segment_ptr 1
		.amdhsa_user_sgpr_dispatch_id 0
		.amdhsa_user_sgpr_kernarg_preload_length 0
		.amdhsa_user_sgpr_kernarg_preload_offset 0
		.amdhsa_user_sgpr_private_segment_size 0
		.amdhsa_uses_dynamic_stack 0
		.amdhsa_enable_private_segment 0
		.amdhsa_system_sgpr_workgroup_id_x 1
		.amdhsa_system_sgpr_workgroup_id_y 0
		.amdhsa_system_sgpr_workgroup_id_z 0
		.amdhsa_system_sgpr_workgroup_info 0
		.amdhsa_system_vgpr_workitem_id 0
		.amdhsa_next_free_vgpr 1
		.amdhsa_next_free_sgpr 0
		.amdhsa_accum_offset 4
		.amdhsa_reserve_vcc 0
		.amdhsa_float_round_mode_32 0
		.amdhsa_float_round_mode_16_64 0
		.amdhsa_float_denorm_mode_32 3
		.amdhsa_float_denorm_mode_16_64 3
		.amdhsa_dx10_clamp 1
		.amdhsa_ieee_mode 1
		.amdhsa_fp16_overflow 0
		.amdhsa_tg_split 0
		.amdhsa_exception_fp_ieee_invalid_op 0
		.amdhsa_exception_fp_denorm_src 0
		.amdhsa_exception_fp_ieee_div_zero 0
		.amdhsa_exception_fp_ieee_overflow 0
		.amdhsa_exception_fp_ieee_underflow 0
		.amdhsa_exception_fp_ieee_inexact 0
		.amdhsa_exception_int_div_zero 0
	.end_amdhsa_kernel
	.section	.text._ZN7rocprim17ROCPRIM_400000_NS6detail17trampoline_kernelINS0_14default_configENS1_38merge_sort_block_merge_config_selectorIxxEEZZNS1_27merge_sort_block_merge_implIS3_N6thrust23THRUST_200600_302600_NS6detail15normal_iteratorINS8_10device_ptrIxEEEESD_jNS1_19radix_merge_compareILb0ELb0ExNS0_19identity_decomposerEEEEE10hipError_tT0_T1_T2_jT3_P12ihipStream_tbPNSt15iterator_traitsISI_E10value_typeEPNSO_ISJ_E10value_typeEPSK_NS1_7vsmem_tEENKUlT_SI_SJ_SK_E_clIPxSD_S10_SD_EESH_SX_SI_SJ_SK_EUlSX_E0_NS1_11comp_targetILNS1_3genE5ELNS1_11target_archE942ELNS1_3gpuE9ELNS1_3repE0EEENS1_38merge_mergepath_config_static_selectorELNS0_4arch9wavefront6targetE1EEEvSJ_,"axG",@progbits,_ZN7rocprim17ROCPRIM_400000_NS6detail17trampoline_kernelINS0_14default_configENS1_38merge_sort_block_merge_config_selectorIxxEEZZNS1_27merge_sort_block_merge_implIS3_N6thrust23THRUST_200600_302600_NS6detail15normal_iteratorINS8_10device_ptrIxEEEESD_jNS1_19radix_merge_compareILb0ELb0ExNS0_19identity_decomposerEEEEE10hipError_tT0_T1_T2_jT3_P12ihipStream_tbPNSt15iterator_traitsISI_E10value_typeEPNSO_ISJ_E10value_typeEPSK_NS1_7vsmem_tEENKUlT_SI_SJ_SK_E_clIPxSD_S10_SD_EESH_SX_SI_SJ_SK_EUlSX_E0_NS1_11comp_targetILNS1_3genE5ELNS1_11target_archE942ELNS1_3gpuE9ELNS1_3repE0EEENS1_38merge_mergepath_config_static_selectorELNS0_4arch9wavefront6targetE1EEEvSJ_,comdat
.Lfunc_end1075:
	.size	_ZN7rocprim17ROCPRIM_400000_NS6detail17trampoline_kernelINS0_14default_configENS1_38merge_sort_block_merge_config_selectorIxxEEZZNS1_27merge_sort_block_merge_implIS3_N6thrust23THRUST_200600_302600_NS6detail15normal_iteratorINS8_10device_ptrIxEEEESD_jNS1_19radix_merge_compareILb0ELb0ExNS0_19identity_decomposerEEEEE10hipError_tT0_T1_T2_jT3_P12ihipStream_tbPNSt15iterator_traitsISI_E10value_typeEPNSO_ISJ_E10value_typeEPSK_NS1_7vsmem_tEENKUlT_SI_SJ_SK_E_clIPxSD_S10_SD_EESH_SX_SI_SJ_SK_EUlSX_E0_NS1_11comp_targetILNS1_3genE5ELNS1_11target_archE942ELNS1_3gpuE9ELNS1_3repE0EEENS1_38merge_mergepath_config_static_selectorELNS0_4arch9wavefront6targetE1EEEvSJ_, .Lfunc_end1075-_ZN7rocprim17ROCPRIM_400000_NS6detail17trampoline_kernelINS0_14default_configENS1_38merge_sort_block_merge_config_selectorIxxEEZZNS1_27merge_sort_block_merge_implIS3_N6thrust23THRUST_200600_302600_NS6detail15normal_iteratorINS8_10device_ptrIxEEEESD_jNS1_19radix_merge_compareILb0ELb0ExNS0_19identity_decomposerEEEEE10hipError_tT0_T1_T2_jT3_P12ihipStream_tbPNSt15iterator_traitsISI_E10value_typeEPNSO_ISJ_E10value_typeEPSK_NS1_7vsmem_tEENKUlT_SI_SJ_SK_E_clIPxSD_S10_SD_EESH_SX_SI_SJ_SK_EUlSX_E0_NS1_11comp_targetILNS1_3genE5ELNS1_11target_archE942ELNS1_3gpuE9ELNS1_3repE0EEENS1_38merge_mergepath_config_static_selectorELNS0_4arch9wavefront6targetE1EEEvSJ_
                                        ; -- End function
	.set _ZN7rocprim17ROCPRIM_400000_NS6detail17trampoline_kernelINS0_14default_configENS1_38merge_sort_block_merge_config_selectorIxxEEZZNS1_27merge_sort_block_merge_implIS3_N6thrust23THRUST_200600_302600_NS6detail15normal_iteratorINS8_10device_ptrIxEEEESD_jNS1_19radix_merge_compareILb0ELb0ExNS0_19identity_decomposerEEEEE10hipError_tT0_T1_T2_jT3_P12ihipStream_tbPNSt15iterator_traitsISI_E10value_typeEPNSO_ISJ_E10value_typeEPSK_NS1_7vsmem_tEENKUlT_SI_SJ_SK_E_clIPxSD_S10_SD_EESH_SX_SI_SJ_SK_EUlSX_E0_NS1_11comp_targetILNS1_3genE5ELNS1_11target_archE942ELNS1_3gpuE9ELNS1_3repE0EEENS1_38merge_mergepath_config_static_selectorELNS0_4arch9wavefront6targetE1EEEvSJ_.num_vgpr, 0
	.set _ZN7rocprim17ROCPRIM_400000_NS6detail17trampoline_kernelINS0_14default_configENS1_38merge_sort_block_merge_config_selectorIxxEEZZNS1_27merge_sort_block_merge_implIS3_N6thrust23THRUST_200600_302600_NS6detail15normal_iteratorINS8_10device_ptrIxEEEESD_jNS1_19radix_merge_compareILb0ELb0ExNS0_19identity_decomposerEEEEE10hipError_tT0_T1_T2_jT3_P12ihipStream_tbPNSt15iterator_traitsISI_E10value_typeEPNSO_ISJ_E10value_typeEPSK_NS1_7vsmem_tEENKUlT_SI_SJ_SK_E_clIPxSD_S10_SD_EESH_SX_SI_SJ_SK_EUlSX_E0_NS1_11comp_targetILNS1_3genE5ELNS1_11target_archE942ELNS1_3gpuE9ELNS1_3repE0EEENS1_38merge_mergepath_config_static_selectorELNS0_4arch9wavefront6targetE1EEEvSJ_.num_agpr, 0
	.set _ZN7rocprim17ROCPRIM_400000_NS6detail17trampoline_kernelINS0_14default_configENS1_38merge_sort_block_merge_config_selectorIxxEEZZNS1_27merge_sort_block_merge_implIS3_N6thrust23THRUST_200600_302600_NS6detail15normal_iteratorINS8_10device_ptrIxEEEESD_jNS1_19radix_merge_compareILb0ELb0ExNS0_19identity_decomposerEEEEE10hipError_tT0_T1_T2_jT3_P12ihipStream_tbPNSt15iterator_traitsISI_E10value_typeEPNSO_ISJ_E10value_typeEPSK_NS1_7vsmem_tEENKUlT_SI_SJ_SK_E_clIPxSD_S10_SD_EESH_SX_SI_SJ_SK_EUlSX_E0_NS1_11comp_targetILNS1_3genE5ELNS1_11target_archE942ELNS1_3gpuE9ELNS1_3repE0EEENS1_38merge_mergepath_config_static_selectorELNS0_4arch9wavefront6targetE1EEEvSJ_.numbered_sgpr, 0
	.set _ZN7rocprim17ROCPRIM_400000_NS6detail17trampoline_kernelINS0_14default_configENS1_38merge_sort_block_merge_config_selectorIxxEEZZNS1_27merge_sort_block_merge_implIS3_N6thrust23THRUST_200600_302600_NS6detail15normal_iteratorINS8_10device_ptrIxEEEESD_jNS1_19radix_merge_compareILb0ELb0ExNS0_19identity_decomposerEEEEE10hipError_tT0_T1_T2_jT3_P12ihipStream_tbPNSt15iterator_traitsISI_E10value_typeEPNSO_ISJ_E10value_typeEPSK_NS1_7vsmem_tEENKUlT_SI_SJ_SK_E_clIPxSD_S10_SD_EESH_SX_SI_SJ_SK_EUlSX_E0_NS1_11comp_targetILNS1_3genE5ELNS1_11target_archE942ELNS1_3gpuE9ELNS1_3repE0EEENS1_38merge_mergepath_config_static_selectorELNS0_4arch9wavefront6targetE1EEEvSJ_.num_named_barrier, 0
	.set _ZN7rocprim17ROCPRIM_400000_NS6detail17trampoline_kernelINS0_14default_configENS1_38merge_sort_block_merge_config_selectorIxxEEZZNS1_27merge_sort_block_merge_implIS3_N6thrust23THRUST_200600_302600_NS6detail15normal_iteratorINS8_10device_ptrIxEEEESD_jNS1_19radix_merge_compareILb0ELb0ExNS0_19identity_decomposerEEEEE10hipError_tT0_T1_T2_jT3_P12ihipStream_tbPNSt15iterator_traitsISI_E10value_typeEPNSO_ISJ_E10value_typeEPSK_NS1_7vsmem_tEENKUlT_SI_SJ_SK_E_clIPxSD_S10_SD_EESH_SX_SI_SJ_SK_EUlSX_E0_NS1_11comp_targetILNS1_3genE5ELNS1_11target_archE942ELNS1_3gpuE9ELNS1_3repE0EEENS1_38merge_mergepath_config_static_selectorELNS0_4arch9wavefront6targetE1EEEvSJ_.private_seg_size, 0
	.set _ZN7rocprim17ROCPRIM_400000_NS6detail17trampoline_kernelINS0_14default_configENS1_38merge_sort_block_merge_config_selectorIxxEEZZNS1_27merge_sort_block_merge_implIS3_N6thrust23THRUST_200600_302600_NS6detail15normal_iteratorINS8_10device_ptrIxEEEESD_jNS1_19radix_merge_compareILb0ELb0ExNS0_19identity_decomposerEEEEE10hipError_tT0_T1_T2_jT3_P12ihipStream_tbPNSt15iterator_traitsISI_E10value_typeEPNSO_ISJ_E10value_typeEPSK_NS1_7vsmem_tEENKUlT_SI_SJ_SK_E_clIPxSD_S10_SD_EESH_SX_SI_SJ_SK_EUlSX_E0_NS1_11comp_targetILNS1_3genE5ELNS1_11target_archE942ELNS1_3gpuE9ELNS1_3repE0EEENS1_38merge_mergepath_config_static_selectorELNS0_4arch9wavefront6targetE1EEEvSJ_.uses_vcc, 0
	.set _ZN7rocprim17ROCPRIM_400000_NS6detail17trampoline_kernelINS0_14default_configENS1_38merge_sort_block_merge_config_selectorIxxEEZZNS1_27merge_sort_block_merge_implIS3_N6thrust23THRUST_200600_302600_NS6detail15normal_iteratorINS8_10device_ptrIxEEEESD_jNS1_19radix_merge_compareILb0ELb0ExNS0_19identity_decomposerEEEEE10hipError_tT0_T1_T2_jT3_P12ihipStream_tbPNSt15iterator_traitsISI_E10value_typeEPNSO_ISJ_E10value_typeEPSK_NS1_7vsmem_tEENKUlT_SI_SJ_SK_E_clIPxSD_S10_SD_EESH_SX_SI_SJ_SK_EUlSX_E0_NS1_11comp_targetILNS1_3genE5ELNS1_11target_archE942ELNS1_3gpuE9ELNS1_3repE0EEENS1_38merge_mergepath_config_static_selectorELNS0_4arch9wavefront6targetE1EEEvSJ_.uses_flat_scratch, 0
	.set _ZN7rocprim17ROCPRIM_400000_NS6detail17trampoline_kernelINS0_14default_configENS1_38merge_sort_block_merge_config_selectorIxxEEZZNS1_27merge_sort_block_merge_implIS3_N6thrust23THRUST_200600_302600_NS6detail15normal_iteratorINS8_10device_ptrIxEEEESD_jNS1_19radix_merge_compareILb0ELb0ExNS0_19identity_decomposerEEEEE10hipError_tT0_T1_T2_jT3_P12ihipStream_tbPNSt15iterator_traitsISI_E10value_typeEPNSO_ISJ_E10value_typeEPSK_NS1_7vsmem_tEENKUlT_SI_SJ_SK_E_clIPxSD_S10_SD_EESH_SX_SI_SJ_SK_EUlSX_E0_NS1_11comp_targetILNS1_3genE5ELNS1_11target_archE942ELNS1_3gpuE9ELNS1_3repE0EEENS1_38merge_mergepath_config_static_selectorELNS0_4arch9wavefront6targetE1EEEvSJ_.has_dyn_sized_stack, 0
	.set _ZN7rocprim17ROCPRIM_400000_NS6detail17trampoline_kernelINS0_14default_configENS1_38merge_sort_block_merge_config_selectorIxxEEZZNS1_27merge_sort_block_merge_implIS3_N6thrust23THRUST_200600_302600_NS6detail15normal_iteratorINS8_10device_ptrIxEEEESD_jNS1_19radix_merge_compareILb0ELb0ExNS0_19identity_decomposerEEEEE10hipError_tT0_T1_T2_jT3_P12ihipStream_tbPNSt15iterator_traitsISI_E10value_typeEPNSO_ISJ_E10value_typeEPSK_NS1_7vsmem_tEENKUlT_SI_SJ_SK_E_clIPxSD_S10_SD_EESH_SX_SI_SJ_SK_EUlSX_E0_NS1_11comp_targetILNS1_3genE5ELNS1_11target_archE942ELNS1_3gpuE9ELNS1_3repE0EEENS1_38merge_mergepath_config_static_selectorELNS0_4arch9wavefront6targetE1EEEvSJ_.has_recursion, 0
	.set _ZN7rocprim17ROCPRIM_400000_NS6detail17trampoline_kernelINS0_14default_configENS1_38merge_sort_block_merge_config_selectorIxxEEZZNS1_27merge_sort_block_merge_implIS3_N6thrust23THRUST_200600_302600_NS6detail15normal_iteratorINS8_10device_ptrIxEEEESD_jNS1_19radix_merge_compareILb0ELb0ExNS0_19identity_decomposerEEEEE10hipError_tT0_T1_T2_jT3_P12ihipStream_tbPNSt15iterator_traitsISI_E10value_typeEPNSO_ISJ_E10value_typeEPSK_NS1_7vsmem_tEENKUlT_SI_SJ_SK_E_clIPxSD_S10_SD_EESH_SX_SI_SJ_SK_EUlSX_E0_NS1_11comp_targetILNS1_3genE5ELNS1_11target_archE942ELNS1_3gpuE9ELNS1_3repE0EEENS1_38merge_mergepath_config_static_selectorELNS0_4arch9wavefront6targetE1EEEvSJ_.has_indirect_call, 0
	.section	.AMDGPU.csdata,"",@progbits
; Kernel info:
; codeLenInByte = 0
; TotalNumSgprs: 6
; NumVgprs: 0
; NumAgprs: 0
; TotalNumVgprs: 0
; ScratchSize: 0
; MemoryBound: 0
; FloatMode: 240
; IeeeMode: 1
; LDSByteSize: 0 bytes/workgroup (compile time only)
; SGPRBlocks: 0
; VGPRBlocks: 0
; NumSGPRsForWavesPerEU: 6
; NumVGPRsForWavesPerEU: 1
; AccumOffset: 4
; Occupancy: 8
; WaveLimiterHint : 0
; COMPUTE_PGM_RSRC2:SCRATCH_EN: 0
; COMPUTE_PGM_RSRC2:USER_SGPR: 2
; COMPUTE_PGM_RSRC2:TRAP_HANDLER: 0
; COMPUTE_PGM_RSRC2:TGID_X_EN: 1
; COMPUTE_PGM_RSRC2:TGID_Y_EN: 0
; COMPUTE_PGM_RSRC2:TGID_Z_EN: 0
; COMPUTE_PGM_RSRC2:TIDIG_COMP_CNT: 0
; COMPUTE_PGM_RSRC3_GFX90A:ACCUM_OFFSET: 0
; COMPUTE_PGM_RSRC3_GFX90A:TG_SPLIT: 0
	.section	.text._ZN7rocprim17ROCPRIM_400000_NS6detail17trampoline_kernelINS0_14default_configENS1_38merge_sort_block_merge_config_selectorIxxEEZZNS1_27merge_sort_block_merge_implIS3_N6thrust23THRUST_200600_302600_NS6detail15normal_iteratorINS8_10device_ptrIxEEEESD_jNS1_19radix_merge_compareILb0ELb0ExNS0_19identity_decomposerEEEEE10hipError_tT0_T1_T2_jT3_P12ihipStream_tbPNSt15iterator_traitsISI_E10value_typeEPNSO_ISJ_E10value_typeEPSK_NS1_7vsmem_tEENKUlT_SI_SJ_SK_E_clIPxSD_S10_SD_EESH_SX_SI_SJ_SK_EUlSX_E0_NS1_11comp_targetILNS1_3genE4ELNS1_11target_archE910ELNS1_3gpuE8ELNS1_3repE0EEENS1_38merge_mergepath_config_static_selectorELNS0_4arch9wavefront6targetE1EEEvSJ_,"axG",@progbits,_ZN7rocprim17ROCPRIM_400000_NS6detail17trampoline_kernelINS0_14default_configENS1_38merge_sort_block_merge_config_selectorIxxEEZZNS1_27merge_sort_block_merge_implIS3_N6thrust23THRUST_200600_302600_NS6detail15normal_iteratorINS8_10device_ptrIxEEEESD_jNS1_19radix_merge_compareILb0ELb0ExNS0_19identity_decomposerEEEEE10hipError_tT0_T1_T2_jT3_P12ihipStream_tbPNSt15iterator_traitsISI_E10value_typeEPNSO_ISJ_E10value_typeEPSK_NS1_7vsmem_tEENKUlT_SI_SJ_SK_E_clIPxSD_S10_SD_EESH_SX_SI_SJ_SK_EUlSX_E0_NS1_11comp_targetILNS1_3genE4ELNS1_11target_archE910ELNS1_3gpuE8ELNS1_3repE0EEENS1_38merge_mergepath_config_static_selectorELNS0_4arch9wavefront6targetE1EEEvSJ_,comdat
	.protected	_ZN7rocprim17ROCPRIM_400000_NS6detail17trampoline_kernelINS0_14default_configENS1_38merge_sort_block_merge_config_selectorIxxEEZZNS1_27merge_sort_block_merge_implIS3_N6thrust23THRUST_200600_302600_NS6detail15normal_iteratorINS8_10device_ptrIxEEEESD_jNS1_19radix_merge_compareILb0ELb0ExNS0_19identity_decomposerEEEEE10hipError_tT0_T1_T2_jT3_P12ihipStream_tbPNSt15iterator_traitsISI_E10value_typeEPNSO_ISJ_E10value_typeEPSK_NS1_7vsmem_tEENKUlT_SI_SJ_SK_E_clIPxSD_S10_SD_EESH_SX_SI_SJ_SK_EUlSX_E0_NS1_11comp_targetILNS1_3genE4ELNS1_11target_archE910ELNS1_3gpuE8ELNS1_3repE0EEENS1_38merge_mergepath_config_static_selectorELNS0_4arch9wavefront6targetE1EEEvSJ_ ; -- Begin function _ZN7rocprim17ROCPRIM_400000_NS6detail17trampoline_kernelINS0_14default_configENS1_38merge_sort_block_merge_config_selectorIxxEEZZNS1_27merge_sort_block_merge_implIS3_N6thrust23THRUST_200600_302600_NS6detail15normal_iteratorINS8_10device_ptrIxEEEESD_jNS1_19radix_merge_compareILb0ELb0ExNS0_19identity_decomposerEEEEE10hipError_tT0_T1_T2_jT3_P12ihipStream_tbPNSt15iterator_traitsISI_E10value_typeEPNSO_ISJ_E10value_typeEPSK_NS1_7vsmem_tEENKUlT_SI_SJ_SK_E_clIPxSD_S10_SD_EESH_SX_SI_SJ_SK_EUlSX_E0_NS1_11comp_targetILNS1_3genE4ELNS1_11target_archE910ELNS1_3gpuE8ELNS1_3repE0EEENS1_38merge_mergepath_config_static_selectorELNS0_4arch9wavefront6targetE1EEEvSJ_
	.globl	_ZN7rocprim17ROCPRIM_400000_NS6detail17trampoline_kernelINS0_14default_configENS1_38merge_sort_block_merge_config_selectorIxxEEZZNS1_27merge_sort_block_merge_implIS3_N6thrust23THRUST_200600_302600_NS6detail15normal_iteratorINS8_10device_ptrIxEEEESD_jNS1_19radix_merge_compareILb0ELb0ExNS0_19identity_decomposerEEEEE10hipError_tT0_T1_T2_jT3_P12ihipStream_tbPNSt15iterator_traitsISI_E10value_typeEPNSO_ISJ_E10value_typeEPSK_NS1_7vsmem_tEENKUlT_SI_SJ_SK_E_clIPxSD_S10_SD_EESH_SX_SI_SJ_SK_EUlSX_E0_NS1_11comp_targetILNS1_3genE4ELNS1_11target_archE910ELNS1_3gpuE8ELNS1_3repE0EEENS1_38merge_mergepath_config_static_selectorELNS0_4arch9wavefront6targetE1EEEvSJ_
	.p2align	8
	.type	_ZN7rocprim17ROCPRIM_400000_NS6detail17trampoline_kernelINS0_14default_configENS1_38merge_sort_block_merge_config_selectorIxxEEZZNS1_27merge_sort_block_merge_implIS3_N6thrust23THRUST_200600_302600_NS6detail15normal_iteratorINS8_10device_ptrIxEEEESD_jNS1_19radix_merge_compareILb0ELb0ExNS0_19identity_decomposerEEEEE10hipError_tT0_T1_T2_jT3_P12ihipStream_tbPNSt15iterator_traitsISI_E10value_typeEPNSO_ISJ_E10value_typeEPSK_NS1_7vsmem_tEENKUlT_SI_SJ_SK_E_clIPxSD_S10_SD_EESH_SX_SI_SJ_SK_EUlSX_E0_NS1_11comp_targetILNS1_3genE4ELNS1_11target_archE910ELNS1_3gpuE8ELNS1_3repE0EEENS1_38merge_mergepath_config_static_selectorELNS0_4arch9wavefront6targetE1EEEvSJ_,@function
_ZN7rocprim17ROCPRIM_400000_NS6detail17trampoline_kernelINS0_14default_configENS1_38merge_sort_block_merge_config_selectorIxxEEZZNS1_27merge_sort_block_merge_implIS3_N6thrust23THRUST_200600_302600_NS6detail15normal_iteratorINS8_10device_ptrIxEEEESD_jNS1_19radix_merge_compareILb0ELb0ExNS0_19identity_decomposerEEEEE10hipError_tT0_T1_T2_jT3_P12ihipStream_tbPNSt15iterator_traitsISI_E10value_typeEPNSO_ISJ_E10value_typeEPSK_NS1_7vsmem_tEENKUlT_SI_SJ_SK_E_clIPxSD_S10_SD_EESH_SX_SI_SJ_SK_EUlSX_E0_NS1_11comp_targetILNS1_3genE4ELNS1_11target_archE910ELNS1_3gpuE8ELNS1_3repE0EEENS1_38merge_mergepath_config_static_selectorELNS0_4arch9wavefront6targetE1EEEvSJ_: ; @_ZN7rocprim17ROCPRIM_400000_NS6detail17trampoline_kernelINS0_14default_configENS1_38merge_sort_block_merge_config_selectorIxxEEZZNS1_27merge_sort_block_merge_implIS3_N6thrust23THRUST_200600_302600_NS6detail15normal_iteratorINS8_10device_ptrIxEEEESD_jNS1_19radix_merge_compareILb0ELb0ExNS0_19identity_decomposerEEEEE10hipError_tT0_T1_T2_jT3_P12ihipStream_tbPNSt15iterator_traitsISI_E10value_typeEPNSO_ISJ_E10value_typeEPSK_NS1_7vsmem_tEENKUlT_SI_SJ_SK_E_clIPxSD_S10_SD_EESH_SX_SI_SJ_SK_EUlSX_E0_NS1_11comp_targetILNS1_3genE4ELNS1_11target_archE910ELNS1_3gpuE8ELNS1_3repE0EEENS1_38merge_mergepath_config_static_selectorELNS0_4arch9wavefront6targetE1EEEvSJ_
; %bb.0:
	.section	.rodata,"a",@progbits
	.p2align	6, 0x0
	.amdhsa_kernel _ZN7rocprim17ROCPRIM_400000_NS6detail17trampoline_kernelINS0_14default_configENS1_38merge_sort_block_merge_config_selectorIxxEEZZNS1_27merge_sort_block_merge_implIS3_N6thrust23THRUST_200600_302600_NS6detail15normal_iteratorINS8_10device_ptrIxEEEESD_jNS1_19radix_merge_compareILb0ELb0ExNS0_19identity_decomposerEEEEE10hipError_tT0_T1_T2_jT3_P12ihipStream_tbPNSt15iterator_traitsISI_E10value_typeEPNSO_ISJ_E10value_typeEPSK_NS1_7vsmem_tEENKUlT_SI_SJ_SK_E_clIPxSD_S10_SD_EESH_SX_SI_SJ_SK_EUlSX_E0_NS1_11comp_targetILNS1_3genE4ELNS1_11target_archE910ELNS1_3gpuE8ELNS1_3repE0EEENS1_38merge_mergepath_config_static_selectorELNS0_4arch9wavefront6targetE1EEEvSJ_
		.amdhsa_group_segment_fixed_size 0
		.amdhsa_private_segment_fixed_size 0
		.amdhsa_kernarg_size 64
		.amdhsa_user_sgpr_count 2
		.amdhsa_user_sgpr_dispatch_ptr 0
		.amdhsa_user_sgpr_queue_ptr 0
		.amdhsa_user_sgpr_kernarg_segment_ptr 1
		.amdhsa_user_sgpr_dispatch_id 0
		.amdhsa_user_sgpr_kernarg_preload_length 0
		.amdhsa_user_sgpr_kernarg_preload_offset 0
		.amdhsa_user_sgpr_private_segment_size 0
		.amdhsa_uses_dynamic_stack 0
		.amdhsa_enable_private_segment 0
		.amdhsa_system_sgpr_workgroup_id_x 1
		.amdhsa_system_sgpr_workgroup_id_y 0
		.amdhsa_system_sgpr_workgroup_id_z 0
		.amdhsa_system_sgpr_workgroup_info 0
		.amdhsa_system_vgpr_workitem_id 0
		.amdhsa_next_free_vgpr 1
		.amdhsa_next_free_sgpr 0
		.amdhsa_accum_offset 4
		.amdhsa_reserve_vcc 0
		.amdhsa_float_round_mode_32 0
		.amdhsa_float_round_mode_16_64 0
		.amdhsa_float_denorm_mode_32 3
		.amdhsa_float_denorm_mode_16_64 3
		.amdhsa_dx10_clamp 1
		.amdhsa_ieee_mode 1
		.amdhsa_fp16_overflow 0
		.amdhsa_tg_split 0
		.amdhsa_exception_fp_ieee_invalid_op 0
		.amdhsa_exception_fp_denorm_src 0
		.amdhsa_exception_fp_ieee_div_zero 0
		.amdhsa_exception_fp_ieee_overflow 0
		.amdhsa_exception_fp_ieee_underflow 0
		.amdhsa_exception_fp_ieee_inexact 0
		.amdhsa_exception_int_div_zero 0
	.end_amdhsa_kernel
	.section	.text._ZN7rocprim17ROCPRIM_400000_NS6detail17trampoline_kernelINS0_14default_configENS1_38merge_sort_block_merge_config_selectorIxxEEZZNS1_27merge_sort_block_merge_implIS3_N6thrust23THRUST_200600_302600_NS6detail15normal_iteratorINS8_10device_ptrIxEEEESD_jNS1_19radix_merge_compareILb0ELb0ExNS0_19identity_decomposerEEEEE10hipError_tT0_T1_T2_jT3_P12ihipStream_tbPNSt15iterator_traitsISI_E10value_typeEPNSO_ISJ_E10value_typeEPSK_NS1_7vsmem_tEENKUlT_SI_SJ_SK_E_clIPxSD_S10_SD_EESH_SX_SI_SJ_SK_EUlSX_E0_NS1_11comp_targetILNS1_3genE4ELNS1_11target_archE910ELNS1_3gpuE8ELNS1_3repE0EEENS1_38merge_mergepath_config_static_selectorELNS0_4arch9wavefront6targetE1EEEvSJ_,"axG",@progbits,_ZN7rocprim17ROCPRIM_400000_NS6detail17trampoline_kernelINS0_14default_configENS1_38merge_sort_block_merge_config_selectorIxxEEZZNS1_27merge_sort_block_merge_implIS3_N6thrust23THRUST_200600_302600_NS6detail15normal_iteratorINS8_10device_ptrIxEEEESD_jNS1_19radix_merge_compareILb0ELb0ExNS0_19identity_decomposerEEEEE10hipError_tT0_T1_T2_jT3_P12ihipStream_tbPNSt15iterator_traitsISI_E10value_typeEPNSO_ISJ_E10value_typeEPSK_NS1_7vsmem_tEENKUlT_SI_SJ_SK_E_clIPxSD_S10_SD_EESH_SX_SI_SJ_SK_EUlSX_E0_NS1_11comp_targetILNS1_3genE4ELNS1_11target_archE910ELNS1_3gpuE8ELNS1_3repE0EEENS1_38merge_mergepath_config_static_selectorELNS0_4arch9wavefront6targetE1EEEvSJ_,comdat
.Lfunc_end1076:
	.size	_ZN7rocprim17ROCPRIM_400000_NS6detail17trampoline_kernelINS0_14default_configENS1_38merge_sort_block_merge_config_selectorIxxEEZZNS1_27merge_sort_block_merge_implIS3_N6thrust23THRUST_200600_302600_NS6detail15normal_iteratorINS8_10device_ptrIxEEEESD_jNS1_19radix_merge_compareILb0ELb0ExNS0_19identity_decomposerEEEEE10hipError_tT0_T1_T2_jT3_P12ihipStream_tbPNSt15iterator_traitsISI_E10value_typeEPNSO_ISJ_E10value_typeEPSK_NS1_7vsmem_tEENKUlT_SI_SJ_SK_E_clIPxSD_S10_SD_EESH_SX_SI_SJ_SK_EUlSX_E0_NS1_11comp_targetILNS1_3genE4ELNS1_11target_archE910ELNS1_3gpuE8ELNS1_3repE0EEENS1_38merge_mergepath_config_static_selectorELNS0_4arch9wavefront6targetE1EEEvSJ_, .Lfunc_end1076-_ZN7rocprim17ROCPRIM_400000_NS6detail17trampoline_kernelINS0_14default_configENS1_38merge_sort_block_merge_config_selectorIxxEEZZNS1_27merge_sort_block_merge_implIS3_N6thrust23THRUST_200600_302600_NS6detail15normal_iteratorINS8_10device_ptrIxEEEESD_jNS1_19radix_merge_compareILb0ELb0ExNS0_19identity_decomposerEEEEE10hipError_tT0_T1_T2_jT3_P12ihipStream_tbPNSt15iterator_traitsISI_E10value_typeEPNSO_ISJ_E10value_typeEPSK_NS1_7vsmem_tEENKUlT_SI_SJ_SK_E_clIPxSD_S10_SD_EESH_SX_SI_SJ_SK_EUlSX_E0_NS1_11comp_targetILNS1_3genE4ELNS1_11target_archE910ELNS1_3gpuE8ELNS1_3repE0EEENS1_38merge_mergepath_config_static_selectorELNS0_4arch9wavefront6targetE1EEEvSJ_
                                        ; -- End function
	.set _ZN7rocprim17ROCPRIM_400000_NS6detail17trampoline_kernelINS0_14default_configENS1_38merge_sort_block_merge_config_selectorIxxEEZZNS1_27merge_sort_block_merge_implIS3_N6thrust23THRUST_200600_302600_NS6detail15normal_iteratorINS8_10device_ptrIxEEEESD_jNS1_19radix_merge_compareILb0ELb0ExNS0_19identity_decomposerEEEEE10hipError_tT0_T1_T2_jT3_P12ihipStream_tbPNSt15iterator_traitsISI_E10value_typeEPNSO_ISJ_E10value_typeEPSK_NS1_7vsmem_tEENKUlT_SI_SJ_SK_E_clIPxSD_S10_SD_EESH_SX_SI_SJ_SK_EUlSX_E0_NS1_11comp_targetILNS1_3genE4ELNS1_11target_archE910ELNS1_3gpuE8ELNS1_3repE0EEENS1_38merge_mergepath_config_static_selectorELNS0_4arch9wavefront6targetE1EEEvSJ_.num_vgpr, 0
	.set _ZN7rocprim17ROCPRIM_400000_NS6detail17trampoline_kernelINS0_14default_configENS1_38merge_sort_block_merge_config_selectorIxxEEZZNS1_27merge_sort_block_merge_implIS3_N6thrust23THRUST_200600_302600_NS6detail15normal_iteratorINS8_10device_ptrIxEEEESD_jNS1_19radix_merge_compareILb0ELb0ExNS0_19identity_decomposerEEEEE10hipError_tT0_T1_T2_jT3_P12ihipStream_tbPNSt15iterator_traitsISI_E10value_typeEPNSO_ISJ_E10value_typeEPSK_NS1_7vsmem_tEENKUlT_SI_SJ_SK_E_clIPxSD_S10_SD_EESH_SX_SI_SJ_SK_EUlSX_E0_NS1_11comp_targetILNS1_3genE4ELNS1_11target_archE910ELNS1_3gpuE8ELNS1_3repE0EEENS1_38merge_mergepath_config_static_selectorELNS0_4arch9wavefront6targetE1EEEvSJ_.num_agpr, 0
	.set _ZN7rocprim17ROCPRIM_400000_NS6detail17trampoline_kernelINS0_14default_configENS1_38merge_sort_block_merge_config_selectorIxxEEZZNS1_27merge_sort_block_merge_implIS3_N6thrust23THRUST_200600_302600_NS6detail15normal_iteratorINS8_10device_ptrIxEEEESD_jNS1_19radix_merge_compareILb0ELb0ExNS0_19identity_decomposerEEEEE10hipError_tT0_T1_T2_jT3_P12ihipStream_tbPNSt15iterator_traitsISI_E10value_typeEPNSO_ISJ_E10value_typeEPSK_NS1_7vsmem_tEENKUlT_SI_SJ_SK_E_clIPxSD_S10_SD_EESH_SX_SI_SJ_SK_EUlSX_E0_NS1_11comp_targetILNS1_3genE4ELNS1_11target_archE910ELNS1_3gpuE8ELNS1_3repE0EEENS1_38merge_mergepath_config_static_selectorELNS0_4arch9wavefront6targetE1EEEvSJ_.numbered_sgpr, 0
	.set _ZN7rocprim17ROCPRIM_400000_NS6detail17trampoline_kernelINS0_14default_configENS1_38merge_sort_block_merge_config_selectorIxxEEZZNS1_27merge_sort_block_merge_implIS3_N6thrust23THRUST_200600_302600_NS6detail15normal_iteratorINS8_10device_ptrIxEEEESD_jNS1_19radix_merge_compareILb0ELb0ExNS0_19identity_decomposerEEEEE10hipError_tT0_T1_T2_jT3_P12ihipStream_tbPNSt15iterator_traitsISI_E10value_typeEPNSO_ISJ_E10value_typeEPSK_NS1_7vsmem_tEENKUlT_SI_SJ_SK_E_clIPxSD_S10_SD_EESH_SX_SI_SJ_SK_EUlSX_E0_NS1_11comp_targetILNS1_3genE4ELNS1_11target_archE910ELNS1_3gpuE8ELNS1_3repE0EEENS1_38merge_mergepath_config_static_selectorELNS0_4arch9wavefront6targetE1EEEvSJ_.num_named_barrier, 0
	.set _ZN7rocprim17ROCPRIM_400000_NS6detail17trampoline_kernelINS0_14default_configENS1_38merge_sort_block_merge_config_selectorIxxEEZZNS1_27merge_sort_block_merge_implIS3_N6thrust23THRUST_200600_302600_NS6detail15normal_iteratorINS8_10device_ptrIxEEEESD_jNS1_19radix_merge_compareILb0ELb0ExNS0_19identity_decomposerEEEEE10hipError_tT0_T1_T2_jT3_P12ihipStream_tbPNSt15iterator_traitsISI_E10value_typeEPNSO_ISJ_E10value_typeEPSK_NS1_7vsmem_tEENKUlT_SI_SJ_SK_E_clIPxSD_S10_SD_EESH_SX_SI_SJ_SK_EUlSX_E0_NS1_11comp_targetILNS1_3genE4ELNS1_11target_archE910ELNS1_3gpuE8ELNS1_3repE0EEENS1_38merge_mergepath_config_static_selectorELNS0_4arch9wavefront6targetE1EEEvSJ_.private_seg_size, 0
	.set _ZN7rocprim17ROCPRIM_400000_NS6detail17trampoline_kernelINS0_14default_configENS1_38merge_sort_block_merge_config_selectorIxxEEZZNS1_27merge_sort_block_merge_implIS3_N6thrust23THRUST_200600_302600_NS6detail15normal_iteratorINS8_10device_ptrIxEEEESD_jNS1_19radix_merge_compareILb0ELb0ExNS0_19identity_decomposerEEEEE10hipError_tT0_T1_T2_jT3_P12ihipStream_tbPNSt15iterator_traitsISI_E10value_typeEPNSO_ISJ_E10value_typeEPSK_NS1_7vsmem_tEENKUlT_SI_SJ_SK_E_clIPxSD_S10_SD_EESH_SX_SI_SJ_SK_EUlSX_E0_NS1_11comp_targetILNS1_3genE4ELNS1_11target_archE910ELNS1_3gpuE8ELNS1_3repE0EEENS1_38merge_mergepath_config_static_selectorELNS0_4arch9wavefront6targetE1EEEvSJ_.uses_vcc, 0
	.set _ZN7rocprim17ROCPRIM_400000_NS6detail17trampoline_kernelINS0_14default_configENS1_38merge_sort_block_merge_config_selectorIxxEEZZNS1_27merge_sort_block_merge_implIS3_N6thrust23THRUST_200600_302600_NS6detail15normal_iteratorINS8_10device_ptrIxEEEESD_jNS1_19radix_merge_compareILb0ELb0ExNS0_19identity_decomposerEEEEE10hipError_tT0_T1_T2_jT3_P12ihipStream_tbPNSt15iterator_traitsISI_E10value_typeEPNSO_ISJ_E10value_typeEPSK_NS1_7vsmem_tEENKUlT_SI_SJ_SK_E_clIPxSD_S10_SD_EESH_SX_SI_SJ_SK_EUlSX_E0_NS1_11comp_targetILNS1_3genE4ELNS1_11target_archE910ELNS1_3gpuE8ELNS1_3repE0EEENS1_38merge_mergepath_config_static_selectorELNS0_4arch9wavefront6targetE1EEEvSJ_.uses_flat_scratch, 0
	.set _ZN7rocprim17ROCPRIM_400000_NS6detail17trampoline_kernelINS0_14default_configENS1_38merge_sort_block_merge_config_selectorIxxEEZZNS1_27merge_sort_block_merge_implIS3_N6thrust23THRUST_200600_302600_NS6detail15normal_iteratorINS8_10device_ptrIxEEEESD_jNS1_19radix_merge_compareILb0ELb0ExNS0_19identity_decomposerEEEEE10hipError_tT0_T1_T2_jT3_P12ihipStream_tbPNSt15iterator_traitsISI_E10value_typeEPNSO_ISJ_E10value_typeEPSK_NS1_7vsmem_tEENKUlT_SI_SJ_SK_E_clIPxSD_S10_SD_EESH_SX_SI_SJ_SK_EUlSX_E0_NS1_11comp_targetILNS1_3genE4ELNS1_11target_archE910ELNS1_3gpuE8ELNS1_3repE0EEENS1_38merge_mergepath_config_static_selectorELNS0_4arch9wavefront6targetE1EEEvSJ_.has_dyn_sized_stack, 0
	.set _ZN7rocprim17ROCPRIM_400000_NS6detail17trampoline_kernelINS0_14default_configENS1_38merge_sort_block_merge_config_selectorIxxEEZZNS1_27merge_sort_block_merge_implIS3_N6thrust23THRUST_200600_302600_NS6detail15normal_iteratorINS8_10device_ptrIxEEEESD_jNS1_19radix_merge_compareILb0ELb0ExNS0_19identity_decomposerEEEEE10hipError_tT0_T1_T2_jT3_P12ihipStream_tbPNSt15iterator_traitsISI_E10value_typeEPNSO_ISJ_E10value_typeEPSK_NS1_7vsmem_tEENKUlT_SI_SJ_SK_E_clIPxSD_S10_SD_EESH_SX_SI_SJ_SK_EUlSX_E0_NS1_11comp_targetILNS1_3genE4ELNS1_11target_archE910ELNS1_3gpuE8ELNS1_3repE0EEENS1_38merge_mergepath_config_static_selectorELNS0_4arch9wavefront6targetE1EEEvSJ_.has_recursion, 0
	.set _ZN7rocprim17ROCPRIM_400000_NS6detail17trampoline_kernelINS0_14default_configENS1_38merge_sort_block_merge_config_selectorIxxEEZZNS1_27merge_sort_block_merge_implIS3_N6thrust23THRUST_200600_302600_NS6detail15normal_iteratorINS8_10device_ptrIxEEEESD_jNS1_19radix_merge_compareILb0ELb0ExNS0_19identity_decomposerEEEEE10hipError_tT0_T1_T2_jT3_P12ihipStream_tbPNSt15iterator_traitsISI_E10value_typeEPNSO_ISJ_E10value_typeEPSK_NS1_7vsmem_tEENKUlT_SI_SJ_SK_E_clIPxSD_S10_SD_EESH_SX_SI_SJ_SK_EUlSX_E0_NS1_11comp_targetILNS1_3genE4ELNS1_11target_archE910ELNS1_3gpuE8ELNS1_3repE0EEENS1_38merge_mergepath_config_static_selectorELNS0_4arch9wavefront6targetE1EEEvSJ_.has_indirect_call, 0
	.section	.AMDGPU.csdata,"",@progbits
; Kernel info:
; codeLenInByte = 0
; TotalNumSgprs: 6
; NumVgprs: 0
; NumAgprs: 0
; TotalNumVgprs: 0
; ScratchSize: 0
; MemoryBound: 0
; FloatMode: 240
; IeeeMode: 1
; LDSByteSize: 0 bytes/workgroup (compile time only)
; SGPRBlocks: 0
; VGPRBlocks: 0
; NumSGPRsForWavesPerEU: 6
; NumVGPRsForWavesPerEU: 1
; AccumOffset: 4
; Occupancy: 8
; WaveLimiterHint : 0
; COMPUTE_PGM_RSRC2:SCRATCH_EN: 0
; COMPUTE_PGM_RSRC2:USER_SGPR: 2
; COMPUTE_PGM_RSRC2:TRAP_HANDLER: 0
; COMPUTE_PGM_RSRC2:TGID_X_EN: 1
; COMPUTE_PGM_RSRC2:TGID_Y_EN: 0
; COMPUTE_PGM_RSRC2:TGID_Z_EN: 0
; COMPUTE_PGM_RSRC2:TIDIG_COMP_CNT: 0
; COMPUTE_PGM_RSRC3_GFX90A:ACCUM_OFFSET: 0
; COMPUTE_PGM_RSRC3_GFX90A:TG_SPLIT: 0
	.section	.text._ZN7rocprim17ROCPRIM_400000_NS6detail17trampoline_kernelINS0_14default_configENS1_38merge_sort_block_merge_config_selectorIxxEEZZNS1_27merge_sort_block_merge_implIS3_N6thrust23THRUST_200600_302600_NS6detail15normal_iteratorINS8_10device_ptrIxEEEESD_jNS1_19radix_merge_compareILb0ELb0ExNS0_19identity_decomposerEEEEE10hipError_tT0_T1_T2_jT3_P12ihipStream_tbPNSt15iterator_traitsISI_E10value_typeEPNSO_ISJ_E10value_typeEPSK_NS1_7vsmem_tEENKUlT_SI_SJ_SK_E_clIPxSD_S10_SD_EESH_SX_SI_SJ_SK_EUlSX_E0_NS1_11comp_targetILNS1_3genE3ELNS1_11target_archE908ELNS1_3gpuE7ELNS1_3repE0EEENS1_38merge_mergepath_config_static_selectorELNS0_4arch9wavefront6targetE1EEEvSJ_,"axG",@progbits,_ZN7rocprim17ROCPRIM_400000_NS6detail17trampoline_kernelINS0_14default_configENS1_38merge_sort_block_merge_config_selectorIxxEEZZNS1_27merge_sort_block_merge_implIS3_N6thrust23THRUST_200600_302600_NS6detail15normal_iteratorINS8_10device_ptrIxEEEESD_jNS1_19radix_merge_compareILb0ELb0ExNS0_19identity_decomposerEEEEE10hipError_tT0_T1_T2_jT3_P12ihipStream_tbPNSt15iterator_traitsISI_E10value_typeEPNSO_ISJ_E10value_typeEPSK_NS1_7vsmem_tEENKUlT_SI_SJ_SK_E_clIPxSD_S10_SD_EESH_SX_SI_SJ_SK_EUlSX_E0_NS1_11comp_targetILNS1_3genE3ELNS1_11target_archE908ELNS1_3gpuE7ELNS1_3repE0EEENS1_38merge_mergepath_config_static_selectorELNS0_4arch9wavefront6targetE1EEEvSJ_,comdat
	.protected	_ZN7rocprim17ROCPRIM_400000_NS6detail17trampoline_kernelINS0_14default_configENS1_38merge_sort_block_merge_config_selectorIxxEEZZNS1_27merge_sort_block_merge_implIS3_N6thrust23THRUST_200600_302600_NS6detail15normal_iteratorINS8_10device_ptrIxEEEESD_jNS1_19radix_merge_compareILb0ELb0ExNS0_19identity_decomposerEEEEE10hipError_tT0_T1_T2_jT3_P12ihipStream_tbPNSt15iterator_traitsISI_E10value_typeEPNSO_ISJ_E10value_typeEPSK_NS1_7vsmem_tEENKUlT_SI_SJ_SK_E_clIPxSD_S10_SD_EESH_SX_SI_SJ_SK_EUlSX_E0_NS1_11comp_targetILNS1_3genE3ELNS1_11target_archE908ELNS1_3gpuE7ELNS1_3repE0EEENS1_38merge_mergepath_config_static_selectorELNS0_4arch9wavefront6targetE1EEEvSJ_ ; -- Begin function _ZN7rocprim17ROCPRIM_400000_NS6detail17trampoline_kernelINS0_14default_configENS1_38merge_sort_block_merge_config_selectorIxxEEZZNS1_27merge_sort_block_merge_implIS3_N6thrust23THRUST_200600_302600_NS6detail15normal_iteratorINS8_10device_ptrIxEEEESD_jNS1_19radix_merge_compareILb0ELb0ExNS0_19identity_decomposerEEEEE10hipError_tT0_T1_T2_jT3_P12ihipStream_tbPNSt15iterator_traitsISI_E10value_typeEPNSO_ISJ_E10value_typeEPSK_NS1_7vsmem_tEENKUlT_SI_SJ_SK_E_clIPxSD_S10_SD_EESH_SX_SI_SJ_SK_EUlSX_E0_NS1_11comp_targetILNS1_3genE3ELNS1_11target_archE908ELNS1_3gpuE7ELNS1_3repE0EEENS1_38merge_mergepath_config_static_selectorELNS0_4arch9wavefront6targetE1EEEvSJ_
	.globl	_ZN7rocprim17ROCPRIM_400000_NS6detail17trampoline_kernelINS0_14default_configENS1_38merge_sort_block_merge_config_selectorIxxEEZZNS1_27merge_sort_block_merge_implIS3_N6thrust23THRUST_200600_302600_NS6detail15normal_iteratorINS8_10device_ptrIxEEEESD_jNS1_19radix_merge_compareILb0ELb0ExNS0_19identity_decomposerEEEEE10hipError_tT0_T1_T2_jT3_P12ihipStream_tbPNSt15iterator_traitsISI_E10value_typeEPNSO_ISJ_E10value_typeEPSK_NS1_7vsmem_tEENKUlT_SI_SJ_SK_E_clIPxSD_S10_SD_EESH_SX_SI_SJ_SK_EUlSX_E0_NS1_11comp_targetILNS1_3genE3ELNS1_11target_archE908ELNS1_3gpuE7ELNS1_3repE0EEENS1_38merge_mergepath_config_static_selectorELNS0_4arch9wavefront6targetE1EEEvSJ_
	.p2align	8
	.type	_ZN7rocprim17ROCPRIM_400000_NS6detail17trampoline_kernelINS0_14default_configENS1_38merge_sort_block_merge_config_selectorIxxEEZZNS1_27merge_sort_block_merge_implIS3_N6thrust23THRUST_200600_302600_NS6detail15normal_iteratorINS8_10device_ptrIxEEEESD_jNS1_19radix_merge_compareILb0ELb0ExNS0_19identity_decomposerEEEEE10hipError_tT0_T1_T2_jT3_P12ihipStream_tbPNSt15iterator_traitsISI_E10value_typeEPNSO_ISJ_E10value_typeEPSK_NS1_7vsmem_tEENKUlT_SI_SJ_SK_E_clIPxSD_S10_SD_EESH_SX_SI_SJ_SK_EUlSX_E0_NS1_11comp_targetILNS1_3genE3ELNS1_11target_archE908ELNS1_3gpuE7ELNS1_3repE0EEENS1_38merge_mergepath_config_static_selectorELNS0_4arch9wavefront6targetE1EEEvSJ_,@function
_ZN7rocprim17ROCPRIM_400000_NS6detail17trampoline_kernelINS0_14default_configENS1_38merge_sort_block_merge_config_selectorIxxEEZZNS1_27merge_sort_block_merge_implIS3_N6thrust23THRUST_200600_302600_NS6detail15normal_iteratorINS8_10device_ptrIxEEEESD_jNS1_19radix_merge_compareILb0ELb0ExNS0_19identity_decomposerEEEEE10hipError_tT0_T1_T2_jT3_P12ihipStream_tbPNSt15iterator_traitsISI_E10value_typeEPNSO_ISJ_E10value_typeEPSK_NS1_7vsmem_tEENKUlT_SI_SJ_SK_E_clIPxSD_S10_SD_EESH_SX_SI_SJ_SK_EUlSX_E0_NS1_11comp_targetILNS1_3genE3ELNS1_11target_archE908ELNS1_3gpuE7ELNS1_3repE0EEENS1_38merge_mergepath_config_static_selectorELNS0_4arch9wavefront6targetE1EEEvSJ_: ; @_ZN7rocprim17ROCPRIM_400000_NS6detail17trampoline_kernelINS0_14default_configENS1_38merge_sort_block_merge_config_selectorIxxEEZZNS1_27merge_sort_block_merge_implIS3_N6thrust23THRUST_200600_302600_NS6detail15normal_iteratorINS8_10device_ptrIxEEEESD_jNS1_19radix_merge_compareILb0ELb0ExNS0_19identity_decomposerEEEEE10hipError_tT0_T1_T2_jT3_P12ihipStream_tbPNSt15iterator_traitsISI_E10value_typeEPNSO_ISJ_E10value_typeEPSK_NS1_7vsmem_tEENKUlT_SI_SJ_SK_E_clIPxSD_S10_SD_EESH_SX_SI_SJ_SK_EUlSX_E0_NS1_11comp_targetILNS1_3genE3ELNS1_11target_archE908ELNS1_3gpuE7ELNS1_3repE0EEENS1_38merge_mergepath_config_static_selectorELNS0_4arch9wavefront6targetE1EEEvSJ_
; %bb.0:
	.section	.rodata,"a",@progbits
	.p2align	6, 0x0
	.amdhsa_kernel _ZN7rocprim17ROCPRIM_400000_NS6detail17trampoline_kernelINS0_14default_configENS1_38merge_sort_block_merge_config_selectorIxxEEZZNS1_27merge_sort_block_merge_implIS3_N6thrust23THRUST_200600_302600_NS6detail15normal_iteratorINS8_10device_ptrIxEEEESD_jNS1_19radix_merge_compareILb0ELb0ExNS0_19identity_decomposerEEEEE10hipError_tT0_T1_T2_jT3_P12ihipStream_tbPNSt15iterator_traitsISI_E10value_typeEPNSO_ISJ_E10value_typeEPSK_NS1_7vsmem_tEENKUlT_SI_SJ_SK_E_clIPxSD_S10_SD_EESH_SX_SI_SJ_SK_EUlSX_E0_NS1_11comp_targetILNS1_3genE3ELNS1_11target_archE908ELNS1_3gpuE7ELNS1_3repE0EEENS1_38merge_mergepath_config_static_selectorELNS0_4arch9wavefront6targetE1EEEvSJ_
		.amdhsa_group_segment_fixed_size 0
		.amdhsa_private_segment_fixed_size 0
		.amdhsa_kernarg_size 64
		.amdhsa_user_sgpr_count 2
		.amdhsa_user_sgpr_dispatch_ptr 0
		.amdhsa_user_sgpr_queue_ptr 0
		.amdhsa_user_sgpr_kernarg_segment_ptr 1
		.amdhsa_user_sgpr_dispatch_id 0
		.amdhsa_user_sgpr_kernarg_preload_length 0
		.amdhsa_user_sgpr_kernarg_preload_offset 0
		.amdhsa_user_sgpr_private_segment_size 0
		.amdhsa_uses_dynamic_stack 0
		.amdhsa_enable_private_segment 0
		.amdhsa_system_sgpr_workgroup_id_x 1
		.amdhsa_system_sgpr_workgroup_id_y 0
		.amdhsa_system_sgpr_workgroup_id_z 0
		.amdhsa_system_sgpr_workgroup_info 0
		.amdhsa_system_vgpr_workitem_id 0
		.amdhsa_next_free_vgpr 1
		.amdhsa_next_free_sgpr 0
		.amdhsa_accum_offset 4
		.amdhsa_reserve_vcc 0
		.amdhsa_float_round_mode_32 0
		.amdhsa_float_round_mode_16_64 0
		.amdhsa_float_denorm_mode_32 3
		.amdhsa_float_denorm_mode_16_64 3
		.amdhsa_dx10_clamp 1
		.amdhsa_ieee_mode 1
		.amdhsa_fp16_overflow 0
		.amdhsa_tg_split 0
		.amdhsa_exception_fp_ieee_invalid_op 0
		.amdhsa_exception_fp_denorm_src 0
		.amdhsa_exception_fp_ieee_div_zero 0
		.amdhsa_exception_fp_ieee_overflow 0
		.amdhsa_exception_fp_ieee_underflow 0
		.amdhsa_exception_fp_ieee_inexact 0
		.amdhsa_exception_int_div_zero 0
	.end_amdhsa_kernel
	.section	.text._ZN7rocprim17ROCPRIM_400000_NS6detail17trampoline_kernelINS0_14default_configENS1_38merge_sort_block_merge_config_selectorIxxEEZZNS1_27merge_sort_block_merge_implIS3_N6thrust23THRUST_200600_302600_NS6detail15normal_iteratorINS8_10device_ptrIxEEEESD_jNS1_19radix_merge_compareILb0ELb0ExNS0_19identity_decomposerEEEEE10hipError_tT0_T1_T2_jT3_P12ihipStream_tbPNSt15iterator_traitsISI_E10value_typeEPNSO_ISJ_E10value_typeEPSK_NS1_7vsmem_tEENKUlT_SI_SJ_SK_E_clIPxSD_S10_SD_EESH_SX_SI_SJ_SK_EUlSX_E0_NS1_11comp_targetILNS1_3genE3ELNS1_11target_archE908ELNS1_3gpuE7ELNS1_3repE0EEENS1_38merge_mergepath_config_static_selectorELNS0_4arch9wavefront6targetE1EEEvSJ_,"axG",@progbits,_ZN7rocprim17ROCPRIM_400000_NS6detail17trampoline_kernelINS0_14default_configENS1_38merge_sort_block_merge_config_selectorIxxEEZZNS1_27merge_sort_block_merge_implIS3_N6thrust23THRUST_200600_302600_NS6detail15normal_iteratorINS8_10device_ptrIxEEEESD_jNS1_19radix_merge_compareILb0ELb0ExNS0_19identity_decomposerEEEEE10hipError_tT0_T1_T2_jT3_P12ihipStream_tbPNSt15iterator_traitsISI_E10value_typeEPNSO_ISJ_E10value_typeEPSK_NS1_7vsmem_tEENKUlT_SI_SJ_SK_E_clIPxSD_S10_SD_EESH_SX_SI_SJ_SK_EUlSX_E0_NS1_11comp_targetILNS1_3genE3ELNS1_11target_archE908ELNS1_3gpuE7ELNS1_3repE0EEENS1_38merge_mergepath_config_static_selectorELNS0_4arch9wavefront6targetE1EEEvSJ_,comdat
.Lfunc_end1077:
	.size	_ZN7rocprim17ROCPRIM_400000_NS6detail17trampoline_kernelINS0_14default_configENS1_38merge_sort_block_merge_config_selectorIxxEEZZNS1_27merge_sort_block_merge_implIS3_N6thrust23THRUST_200600_302600_NS6detail15normal_iteratorINS8_10device_ptrIxEEEESD_jNS1_19radix_merge_compareILb0ELb0ExNS0_19identity_decomposerEEEEE10hipError_tT0_T1_T2_jT3_P12ihipStream_tbPNSt15iterator_traitsISI_E10value_typeEPNSO_ISJ_E10value_typeEPSK_NS1_7vsmem_tEENKUlT_SI_SJ_SK_E_clIPxSD_S10_SD_EESH_SX_SI_SJ_SK_EUlSX_E0_NS1_11comp_targetILNS1_3genE3ELNS1_11target_archE908ELNS1_3gpuE7ELNS1_3repE0EEENS1_38merge_mergepath_config_static_selectorELNS0_4arch9wavefront6targetE1EEEvSJ_, .Lfunc_end1077-_ZN7rocprim17ROCPRIM_400000_NS6detail17trampoline_kernelINS0_14default_configENS1_38merge_sort_block_merge_config_selectorIxxEEZZNS1_27merge_sort_block_merge_implIS3_N6thrust23THRUST_200600_302600_NS6detail15normal_iteratorINS8_10device_ptrIxEEEESD_jNS1_19radix_merge_compareILb0ELb0ExNS0_19identity_decomposerEEEEE10hipError_tT0_T1_T2_jT3_P12ihipStream_tbPNSt15iterator_traitsISI_E10value_typeEPNSO_ISJ_E10value_typeEPSK_NS1_7vsmem_tEENKUlT_SI_SJ_SK_E_clIPxSD_S10_SD_EESH_SX_SI_SJ_SK_EUlSX_E0_NS1_11comp_targetILNS1_3genE3ELNS1_11target_archE908ELNS1_3gpuE7ELNS1_3repE0EEENS1_38merge_mergepath_config_static_selectorELNS0_4arch9wavefront6targetE1EEEvSJ_
                                        ; -- End function
	.set _ZN7rocprim17ROCPRIM_400000_NS6detail17trampoline_kernelINS0_14default_configENS1_38merge_sort_block_merge_config_selectorIxxEEZZNS1_27merge_sort_block_merge_implIS3_N6thrust23THRUST_200600_302600_NS6detail15normal_iteratorINS8_10device_ptrIxEEEESD_jNS1_19radix_merge_compareILb0ELb0ExNS0_19identity_decomposerEEEEE10hipError_tT0_T1_T2_jT3_P12ihipStream_tbPNSt15iterator_traitsISI_E10value_typeEPNSO_ISJ_E10value_typeEPSK_NS1_7vsmem_tEENKUlT_SI_SJ_SK_E_clIPxSD_S10_SD_EESH_SX_SI_SJ_SK_EUlSX_E0_NS1_11comp_targetILNS1_3genE3ELNS1_11target_archE908ELNS1_3gpuE7ELNS1_3repE0EEENS1_38merge_mergepath_config_static_selectorELNS0_4arch9wavefront6targetE1EEEvSJ_.num_vgpr, 0
	.set _ZN7rocprim17ROCPRIM_400000_NS6detail17trampoline_kernelINS0_14default_configENS1_38merge_sort_block_merge_config_selectorIxxEEZZNS1_27merge_sort_block_merge_implIS3_N6thrust23THRUST_200600_302600_NS6detail15normal_iteratorINS8_10device_ptrIxEEEESD_jNS1_19radix_merge_compareILb0ELb0ExNS0_19identity_decomposerEEEEE10hipError_tT0_T1_T2_jT3_P12ihipStream_tbPNSt15iterator_traitsISI_E10value_typeEPNSO_ISJ_E10value_typeEPSK_NS1_7vsmem_tEENKUlT_SI_SJ_SK_E_clIPxSD_S10_SD_EESH_SX_SI_SJ_SK_EUlSX_E0_NS1_11comp_targetILNS1_3genE3ELNS1_11target_archE908ELNS1_3gpuE7ELNS1_3repE0EEENS1_38merge_mergepath_config_static_selectorELNS0_4arch9wavefront6targetE1EEEvSJ_.num_agpr, 0
	.set _ZN7rocprim17ROCPRIM_400000_NS6detail17trampoline_kernelINS0_14default_configENS1_38merge_sort_block_merge_config_selectorIxxEEZZNS1_27merge_sort_block_merge_implIS3_N6thrust23THRUST_200600_302600_NS6detail15normal_iteratorINS8_10device_ptrIxEEEESD_jNS1_19radix_merge_compareILb0ELb0ExNS0_19identity_decomposerEEEEE10hipError_tT0_T1_T2_jT3_P12ihipStream_tbPNSt15iterator_traitsISI_E10value_typeEPNSO_ISJ_E10value_typeEPSK_NS1_7vsmem_tEENKUlT_SI_SJ_SK_E_clIPxSD_S10_SD_EESH_SX_SI_SJ_SK_EUlSX_E0_NS1_11comp_targetILNS1_3genE3ELNS1_11target_archE908ELNS1_3gpuE7ELNS1_3repE0EEENS1_38merge_mergepath_config_static_selectorELNS0_4arch9wavefront6targetE1EEEvSJ_.numbered_sgpr, 0
	.set _ZN7rocprim17ROCPRIM_400000_NS6detail17trampoline_kernelINS0_14default_configENS1_38merge_sort_block_merge_config_selectorIxxEEZZNS1_27merge_sort_block_merge_implIS3_N6thrust23THRUST_200600_302600_NS6detail15normal_iteratorINS8_10device_ptrIxEEEESD_jNS1_19radix_merge_compareILb0ELb0ExNS0_19identity_decomposerEEEEE10hipError_tT0_T1_T2_jT3_P12ihipStream_tbPNSt15iterator_traitsISI_E10value_typeEPNSO_ISJ_E10value_typeEPSK_NS1_7vsmem_tEENKUlT_SI_SJ_SK_E_clIPxSD_S10_SD_EESH_SX_SI_SJ_SK_EUlSX_E0_NS1_11comp_targetILNS1_3genE3ELNS1_11target_archE908ELNS1_3gpuE7ELNS1_3repE0EEENS1_38merge_mergepath_config_static_selectorELNS0_4arch9wavefront6targetE1EEEvSJ_.num_named_barrier, 0
	.set _ZN7rocprim17ROCPRIM_400000_NS6detail17trampoline_kernelINS0_14default_configENS1_38merge_sort_block_merge_config_selectorIxxEEZZNS1_27merge_sort_block_merge_implIS3_N6thrust23THRUST_200600_302600_NS6detail15normal_iteratorINS8_10device_ptrIxEEEESD_jNS1_19radix_merge_compareILb0ELb0ExNS0_19identity_decomposerEEEEE10hipError_tT0_T1_T2_jT3_P12ihipStream_tbPNSt15iterator_traitsISI_E10value_typeEPNSO_ISJ_E10value_typeEPSK_NS1_7vsmem_tEENKUlT_SI_SJ_SK_E_clIPxSD_S10_SD_EESH_SX_SI_SJ_SK_EUlSX_E0_NS1_11comp_targetILNS1_3genE3ELNS1_11target_archE908ELNS1_3gpuE7ELNS1_3repE0EEENS1_38merge_mergepath_config_static_selectorELNS0_4arch9wavefront6targetE1EEEvSJ_.private_seg_size, 0
	.set _ZN7rocprim17ROCPRIM_400000_NS6detail17trampoline_kernelINS0_14default_configENS1_38merge_sort_block_merge_config_selectorIxxEEZZNS1_27merge_sort_block_merge_implIS3_N6thrust23THRUST_200600_302600_NS6detail15normal_iteratorINS8_10device_ptrIxEEEESD_jNS1_19radix_merge_compareILb0ELb0ExNS0_19identity_decomposerEEEEE10hipError_tT0_T1_T2_jT3_P12ihipStream_tbPNSt15iterator_traitsISI_E10value_typeEPNSO_ISJ_E10value_typeEPSK_NS1_7vsmem_tEENKUlT_SI_SJ_SK_E_clIPxSD_S10_SD_EESH_SX_SI_SJ_SK_EUlSX_E0_NS1_11comp_targetILNS1_3genE3ELNS1_11target_archE908ELNS1_3gpuE7ELNS1_3repE0EEENS1_38merge_mergepath_config_static_selectorELNS0_4arch9wavefront6targetE1EEEvSJ_.uses_vcc, 0
	.set _ZN7rocprim17ROCPRIM_400000_NS6detail17trampoline_kernelINS0_14default_configENS1_38merge_sort_block_merge_config_selectorIxxEEZZNS1_27merge_sort_block_merge_implIS3_N6thrust23THRUST_200600_302600_NS6detail15normal_iteratorINS8_10device_ptrIxEEEESD_jNS1_19radix_merge_compareILb0ELb0ExNS0_19identity_decomposerEEEEE10hipError_tT0_T1_T2_jT3_P12ihipStream_tbPNSt15iterator_traitsISI_E10value_typeEPNSO_ISJ_E10value_typeEPSK_NS1_7vsmem_tEENKUlT_SI_SJ_SK_E_clIPxSD_S10_SD_EESH_SX_SI_SJ_SK_EUlSX_E0_NS1_11comp_targetILNS1_3genE3ELNS1_11target_archE908ELNS1_3gpuE7ELNS1_3repE0EEENS1_38merge_mergepath_config_static_selectorELNS0_4arch9wavefront6targetE1EEEvSJ_.uses_flat_scratch, 0
	.set _ZN7rocprim17ROCPRIM_400000_NS6detail17trampoline_kernelINS0_14default_configENS1_38merge_sort_block_merge_config_selectorIxxEEZZNS1_27merge_sort_block_merge_implIS3_N6thrust23THRUST_200600_302600_NS6detail15normal_iteratorINS8_10device_ptrIxEEEESD_jNS1_19radix_merge_compareILb0ELb0ExNS0_19identity_decomposerEEEEE10hipError_tT0_T1_T2_jT3_P12ihipStream_tbPNSt15iterator_traitsISI_E10value_typeEPNSO_ISJ_E10value_typeEPSK_NS1_7vsmem_tEENKUlT_SI_SJ_SK_E_clIPxSD_S10_SD_EESH_SX_SI_SJ_SK_EUlSX_E0_NS1_11comp_targetILNS1_3genE3ELNS1_11target_archE908ELNS1_3gpuE7ELNS1_3repE0EEENS1_38merge_mergepath_config_static_selectorELNS0_4arch9wavefront6targetE1EEEvSJ_.has_dyn_sized_stack, 0
	.set _ZN7rocprim17ROCPRIM_400000_NS6detail17trampoline_kernelINS0_14default_configENS1_38merge_sort_block_merge_config_selectorIxxEEZZNS1_27merge_sort_block_merge_implIS3_N6thrust23THRUST_200600_302600_NS6detail15normal_iteratorINS8_10device_ptrIxEEEESD_jNS1_19radix_merge_compareILb0ELb0ExNS0_19identity_decomposerEEEEE10hipError_tT0_T1_T2_jT3_P12ihipStream_tbPNSt15iterator_traitsISI_E10value_typeEPNSO_ISJ_E10value_typeEPSK_NS1_7vsmem_tEENKUlT_SI_SJ_SK_E_clIPxSD_S10_SD_EESH_SX_SI_SJ_SK_EUlSX_E0_NS1_11comp_targetILNS1_3genE3ELNS1_11target_archE908ELNS1_3gpuE7ELNS1_3repE0EEENS1_38merge_mergepath_config_static_selectorELNS0_4arch9wavefront6targetE1EEEvSJ_.has_recursion, 0
	.set _ZN7rocprim17ROCPRIM_400000_NS6detail17trampoline_kernelINS0_14default_configENS1_38merge_sort_block_merge_config_selectorIxxEEZZNS1_27merge_sort_block_merge_implIS3_N6thrust23THRUST_200600_302600_NS6detail15normal_iteratorINS8_10device_ptrIxEEEESD_jNS1_19radix_merge_compareILb0ELb0ExNS0_19identity_decomposerEEEEE10hipError_tT0_T1_T2_jT3_P12ihipStream_tbPNSt15iterator_traitsISI_E10value_typeEPNSO_ISJ_E10value_typeEPSK_NS1_7vsmem_tEENKUlT_SI_SJ_SK_E_clIPxSD_S10_SD_EESH_SX_SI_SJ_SK_EUlSX_E0_NS1_11comp_targetILNS1_3genE3ELNS1_11target_archE908ELNS1_3gpuE7ELNS1_3repE0EEENS1_38merge_mergepath_config_static_selectorELNS0_4arch9wavefront6targetE1EEEvSJ_.has_indirect_call, 0
	.section	.AMDGPU.csdata,"",@progbits
; Kernel info:
; codeLenInByte = 0
; TotalNumSgprs: 6
; NumVgprs: 0
; NumAgprs: 0
; TotalNumVgprs: 0
; ScratchSize: 0
; MemoryBound: 0
; FloatMode: 240
; IeeeMode: 1
; LDSByteSize: 0 bytes/workgroup (compile time only)
; SGPRBlocks: 0
; VGPRBlocks: 0
; NumSGPRsForWavesPerEU: 6
; NumVGPRsForWavesPerEU: 1
; AccumOffset: 4
; Occupancy: 8
; WaveLimiterHint : 0
; COMPUTE_PGM_RSRC2:SCRATCH_EN: 0
; COMPUTE_PGM_RSRC2:USER_SGPR: 2
; COMPUTE_PGM_RSRC2:TRAP_HANDLER: 0
; COMPUTE_PGM_RSRC2:TGID_X_EN: 1
; COMPUTE_PGM_RSRC2:TGID_Y_EN: 0
; COMPUTE_PGM_RSRC2:TGID_Z_EN: 0
; COMPUTE_PGM_RSRC2:TIDIG_COMP_CNT: 0
; COMPUTE_PGM_RSRC3_GFX90A:ACCUM_OFFSET: 0
; COMPUTE_PGM_RSRC3_GFX90A:TG_SPLIT: 0
	.section	.text._ZN7rocprim17ROCPRIM_400000_NS6detail17trampoline_kernelINS0_14default_configENS1_38merge_sort_block_merge_config_selectorIxxEEZZNS1_27merge_sort_block_merge_implIS3_N6thrust23THRUST_200600_302600_NS6detail15normal_iteratorINS8_10device_ptrIxEEEESD_jNS1_19radix_merge_compareILb0ELb0ExNS0_19identity_decomposerEEEEE10hipError_tT0_T1_T2_jT3_P12ihipStream_tbPNSt15iterator_traitsISI_E10value_typeEPNSO_ISJ_E10value_typeEPSK_NS1_7vsmem_tEENKUlT_SI_SJ_SK_E_clIPxSD_S10_SD_EESH_SX_SI_SJ_SK_EUlSX_E0_NS1_11comp_targetILNS1_3genE2ELNS1_11target_archE906ELNS1_3gpuE6ELNS1_3repE0EEENS1_38merge_mergepath_config_static_selectorELNS0_4arch9wavefront6targetE1EEEvSJ_,"axG",@progbits,_ZN7rocprim17ROCPRIM_400000_NS6detail17trampoline_kernelINS0_14default_configENS1_38merge_sort_block_merge_config_selectorIxxEEZZNS1_27merge_sort_block_merge_implIS3_N6thrust23THRUST_200600_302600_NS6detail15normal_iteratorINS8_10device_ptrIxEEEESD_jNS1_19radix_merge_compareILb0ELb0ExNS0_19identity_decomposerEEEEE10hipError_tT0_T1_T2_jT3_P12ihipStream_tbPNSt15iterator_traitsISI_E10value_typeEPNSO_ISJ_E10value_typeEPSK_NS1_7vsmem_tEENKUlT_SI_SJ_SK_E_clIPxSD_S10_SD_EESH_SX_SI_SJ_SK_EUlSX_E0_NS1_11comp_targetILNS1_3genE2ELNS1_11target_archE906ELNS1_3gpuE6ELNS1_3repE0EEENS1_38merge_mergepath_config_static_selectorELNS0_4arch9wavefront6targetE1EEEvSJ_,comdat
	.protected	_ZN7rocprim17ROCPRIM_400000_NS6detail17trampoline_kernelINS0_14default_configENS1_38merge_sort_block_merge_config_selectorIxxEEZZNS1_27merge_sort_block_merge_implIS3_N6thrust23THRUST_200600_302600_NS6detail15normal_iteratorINS8_10device_ptrIxEEEESD_jNS1_19radix_merge_compareILb0ELb0ExNS0_19identity_decomposerEEEEE10hipError_tT0_T1_T2_jT3_P12ihipStream_tbPNSt15iterator_traitsISI_E10value_typeEPNSO_ISJ_E10value_typeEPSK_NS1_7vsmem_tEENKUlT_SI_SJ_SK_E_clIPxSD_S10_SD_EESH_SX_SI_SJ_SK_EUlSX_E0_NS1_11comp_targetILNS1_3genE2ELNS1_11target_archE906ELNS1_3gpuE6ELNS1_3repE0EEENS1_38merge_mergepath_config_static_selectorELNS0_4arch9wavefront6targetE1EEEvSJ_ ; -- Begin function _ZN7rocprim17ROCPRIM_400000_NS6detail17trampoline_kernelINS0_14default_configENS1_38merge_sort_block_merge_config_selectorIxxEEZZNS1_27merge_sort_block_merge_implIS3_N6thrust23THRUST_200600_302600_NS6detail15normal_iteratorINS8_10device_ptrIxEEEESD_jNS1_19radix_merge_compareILb0ELb0ExNS0_19identity_decomposerEEEEE10hipError_tT0_T1_T2_jT3_P12ihipStream_tbPNSt15iterator_traitsISI_E10value_typeEPNSO_ISJ_E10value_typeEPSK_NS1_7vsmem_tEENKUlT_SI_SJ_SK_E_clIPxSD_S10_SD_EESH_SX_SI_SJ_SK_EUlSX_E0_NS1_11comp_targetILNS1_3genE2ELNS1_11target_archE906ELNS1_3gpuE6ELNS1_3repE0EEENS1_38merge_mergepath_config_static_selectorELNS0_4arch9wavefront6targetE1EEEvSJ_
	.globl	_ZN7rocprim17ROCPRIM_400000_NS6detail17trampoline_kernelINS0_14default_configENS1_38merge_sort_block_merge_config_selectorIxxEEZZNS1_27merge_sort_block_merge_implIS3_N6thrust23THRUST_200600_302600_NS6detail15normal_iteratorINS8_10device_ptrIxEEEESD_jNS1_19radix_merge_compareILb0ELb0ExNS0_19identity_decomposerEEEEE10hipError_tT0_T1_T2_jT3_P12ihipStream_tbPNSt15iterator_traitsISI_E10value_typeEPNSO_ISJ_E10value_typeEPSK_NS1_7vsmem_tEENKUlT_SI_SJ_SK_E_clIPxSD_S10_SD_EESH_SX_SI_SJ_SK_EUlSX_E0_NS1_11comp_targetILNS1_3genE2ELNS1_11target_archE906ELNS1_3gpuE6ELNS1_3repE0EEENS1_38merge_mergepath_config_static_selectorELNS0_4arch9wavefront6targetE1EEEvSJ_
	.p2align	8
	.type	_ZN7rocprim17ROCPRIM_400000_NS6detail17trampoline_kernelINS0_14default_configENS1_38merge_sort_block_merge_config_selectorIxxEEZZNS1_27merge_sort_block_merge_implIS3_N6thrust23THRUST_200600_302600_NS6detail15normal_iteratorINS8_10device_ptrIxEEEESD_jNS1_19radix_merge_compareILb0ELb0ExNS0_19identity_decomposerEEEEE10hipError_tT0_T1_T2_jT3_P12ihipStream_tbPNSt15iterator_traitsISI_E10value_typeEPNSO_ISJ_E10value_typeEPSK_NS1_7vsmem_tEENKUlT_SI_SJ_SK_E_clIPxSD_S10_SD_EESH_SX_SI_SJ_SK_EUlSX_E0_NS1_11comp_targetILNS1_3genE2ELNS1_11target_archE906ELNS1_3gpuE6ELNS1_3repE0EEENS1_38merge_mergepath_config_static_selectorELNS0_4arch9wavefront6targetE1EEEvSJ_,@function
_ZN7rocprim17ROCPRIM_400000_NS6detail17trampoline_kernelINS0_14default_configENS1_38merge_sort_block_merge_config_selectorIxxEEZZNS1_27merge_sort_block_merge_implIS3_N6thrust23THRUST_200600_302600_NS6detail15normal_iteratorINS8_10device_ptrIxEEEESD_jNS1_19radix_merge_compareILb0ELb0ExNS0_19identity_decomposerEEEEE10hipError_tT0_T1_T2_jT3_P12ihipStream_tbPNSt15iterator_traitsISI_E10value_typeEPNSO_ISJ_E10value_typeEPSK_NS1_7vsmem_tEENKUlT_SI_SJ_SK_E_clIPxSD_S10_SD_EESH_SX_SI_SJ_SK_EUlSX_E0_NS1_11comp_targetILNS1_3genE2ELNS1_11target_archE906ELNS1_3gpuE6ELNS1_3repE0EEENS1_38merge_mergepath_config_static_selectorELNS0_4arch9wavefront6targetE1EEEvSJ_: ; @_ZN7rocprim17ROCPRIM_400000_NS6detail17trampoline_kernelINS0_14default_configENS1_38merge_sort_block_merge_config_selectorIxxEEZZNS1_27merge_sort_block_merge_implIS3_N6thrust23THRUST_200600_302600_NS6detail15normal_iteratorINS8_10device_ptrIxEEEESD_jNS1_19radix_merge_compareILb0ELb0ExNS0_19identity_decomposerEEEEE10hipError_tT0_T1_T2_jT3_P12ihipStream_tbPNSt15iterator_traitsISI_E10value_typeEPNSO_ISJ_E10value_typeEPSK_NS1_7vsmem_tEENKUlT_SI_SJ_SK_E_clIPxSD_S10_SD_EESH_SX_SI_SJ_SK_EUlSX_E0_NS1_11comp_targetILNS1_3genE2ELNS1_11target_archE906ELNS1_3gpuE6ELNS1_3repE0EEENS1_38merge_mergepath_config_static_selectorELNS0_4arch9wavefront6targetE1EEEvSJ_
; %bb.0:
	.section	.rodata,"a",@progbits
	.p2align	6, 0x0
	.amdhsa_kernel _ZN7rocprim17ROCPRIM_400000_NS6detail17trampoline_kernelINS0_14default_configENS1_38merge_sort_block_merge_config_selectorIxxEEZZNS1_27merge_sort_block_merge_implIS3_N6thrust23THRUST_200600_302600_NS6detail15normal_iteratorINS8_10device_ptrIxEEEESD_jNS1_19radix_merge_compareILb0ELb0ExNS0_19identity_decomposerEEEEE10hipError_tT0_T1_T2_jT3_P12ihipStream_tbPNSt15iterator_traitsISI_E10value_typeEPNSO_ISJ_E10value_typeEPSK_NS1_7vsmem_tEENKUlT_SI_SJ_SK_E_clIPxSD_S10_SD_EESH_SX_SI_SJ_SK_EUlSX_E0_NS1_11comp_targetILNS1_3genE2ELNS1_11target_archE906ELNS1_3gpuE6ELNS1_3repE0EEENS1_38merge_mergepath_config_static_selectorELNS0_4arch9wavefront6targetE1EEEvSJ_
		.amdhsa_group_segment_fixed_size 0
		.amdhsa_private_segment_fixed_size 0
		.amdhsa_kernarg_size 64
		.amdhsa_user_sgpr_count 2
		.amdhsa_user_sgpr_dispatch_ptr 0
		.amdhsa_user_sgpr_queue_ptr 0
		.amdhsa_user_sgpr_kernarg_segment_ptr 1
		.amdhsa_user_sgpr_dispatch_id 0
		.amdhsa_user_sgpr_kernarg_preload_length 0
		.amdhsa_user_sgpr_kernarg_preload_offset 0
		.amdhsa_user_sgpr_private_segment_size 0
		.amdhsa_uses_dynamic_stack 0
		.amdhsa_enable_private_segment 0
		.amdhsa_system_sgpr_workgroup_id_x 1
		.amdhsa_system_sgpr_workgroup_id_y 0
		.amdhsa_system_sgpr_workgroup_id_z 0
		.amdhsa_system_sgpr_workgroup_info 0
		.amdhsa_system_vgpr_workitem_id 0
		.amdhsa_next_free_vgpr 1
		.amdhsa_next_free_sgpr 0
		.amdhsa_accum_offset 4
		.amdhsa_reserve_vcc 0
		.amdhsa_float_round_mode_32 0
		.amdhsa_float_round_mode_16_64 0
		.amdhsa_float_denorm_mode_32 3
		.amdhsa_float_denorm_mode_16_64 3
		.amdhsa_dx10_clamp 1
		.amdhsa_ieee_mode 1
		.amdhsa_fp16_overflow 0
		.amdhsa_tg_split 0
		.amdhsa_exception_fp_ieee_invalid_op 0
		.amdhsa_exception_fp_denorm_src 0
		.amdhsa_exception_fp_ieee_div_zero 0
		.amdhsa_exception_fp_ieee_overflow 0
		.amdhsa_exception_fp_ieee_underflow 0
		.amdhsa_exception_fp_ieee_inexact 0
		.amdhsa_exception_int_div_zero 0
	.end_amdhsa_kernel
	.section	.text._ZN7rocprim17ROCPRIM_400000_NS6detail17trampoline_kernelINS0_14default_configENS1_38merge_sort_block_merge_config_selectorIxxEEZZNS1_27merge_sort_block_merge_implIS3_N6thrust23THRUST_200600_302600_NS6detail15normal_iteratorINS8_10device_ptrIxEEEESD_jNS1_19radix_merge_compareILb0ELb0ExNS0_19identity_decomposerEEEEE10hipError_tT0_T1_T2_jT3_P12ihipStream_tbPNSt15iterator_traitsISI_E10value_typeEPNSO_ISJ_E10value_typeEPSK_NS1_7vsmem_tEENKUlT_SI_SJ_SK_E_clIPxSD_S10_SD_EESH_SX_SI_SJ_SK_EUlSX_E0_NS1_11comp_targetILNS1_3genE2ELNS1_11target_archE906ELNS1_3gpuE6ELNS1_3repE0EEENS1_38merge_mergepath_config_static_selectorELNS0_4arch9wavefront6targetE1EEEvSJ_,"axG",@progbits,_ZN7rocprim17ROCPRIM_400000_NS6detail17trampoline_kernelINS0_14default_configENS1_38merge_sort_block_merge_config_selectorIxxEEZZNS1_27merge_sort_block_merge_implIS3_N6thrust23THRUST_200600_302600_NS6detail15normal_iteratorINS8_10device_ptrIxEEEESD_jNS1_19radix_merge_compareILb0ELb0ExNS0_19identity_decomposerEEEEE10hipError_tT0_T1_T2_jT3_P12ihipStream_tbPNSt15iterator_traitsISI_E10value_typeEPNSO_ISJ_E10value_typeEPSK_NS1_7vsmem_tEENKUlT_SI_SJ_SK_E_clIPxSD_S10_SD_EESH_SX_SI_SJ_SK_EUlSX_E0_NS1_11comp_targetILNS1_3genE2ELNS1_11target_archE906ELNS1_3gpuE6ELNS1_3repE0EEENS1_38merge_mergepath_config_static_selectorELNS0_4arch9wavefront6targetE1EEEvSJ_,comdat
.Lfunc_end1078:
	.size	_ZN7rocprim17ROCPRIM_400000_NS6detail17trampoline_kernelINS0_14default_configENS1_38merge_sort_block_merge_config_selectorIxxEEZZNS1_27merge_sort_block_merge_implIS3_N6thrust23THRUST_200600_302600_NS6detail15normal_iteratorINS8_10device_ptrIxEEEESD_jNS1_19radix_merge_compareILb0ELb0ExNS0_19identity_decomposerEEEEE10hipError_tT0_T1_T2_jT3_P12ihipStream_tbPNSt15iterator_traitsISI_E10value_typeEPNSO_ISJ_E10value_typeEPSK_NS1_7vsmem_tEENKUlT_SI_SJ_SK_E_clIPxSD_S10_SD_EESH_SX_SI_SJ_SK_EUlSX_E0_NS1_11comp_targetILNS1_3genE2ELNS1_11target_archE906ELNS1_3gpuE6ELNS1_3repE0EEENS1_38merge_mergepath_config_static_selectorELNS0_4arch9wavefront6targetE1EEEvSJ_, .Lfunc_end1078-_ZN7rocprim17ROCPRIM_400000_NS6detail17trampoline_kernelINS0_14default_configENS1_38merge_sort_block_merge_config_selectorIxxEEZZNS1_27merge_sort_block_merge_implIS3_N6thrust23THRUST_200600_302600_NS6detail15normal_iteratorINS8_10device_ptrIxEEEESD_jNS1_19radix_merge_compareILb0ELb0ExNS0_19identity_decomposerEEEEE10hipError_tT0_T1_T2_jT3_P12ihipStream_tbPNSt15iterator_traitsISI_E10value_typeEPNSO_ISJ_E10value_typeEPSK_NS1_7vsmem_tEENKUlT_SI_SJ_SK_E_clIPxSD_S10_SD_EESH_SX_SI_SJ_SK_EUlSX_E0_NS1_11comp_targetILNS1_3genE2ELNS1_11target_archE906ELNS1_3gpuE6ELNS1_3repE0EEENS1_38merge_mergepath_config_static_selectorELNS0_4arch9wavefront6targetE1EEEvSJ_
                                        ; -- End function
	.set _ZN7rocprim17ROCPRIM_400000_NS6detail17trampoline_kernelINS0_14default_configENS1_38merge_sort_block_merge_config_selectorIxxEEZZNS1_27merge_sort_block_merge_implIS3_N6thrust23THRUST_200600_302600_NS6detail15normal_iteratorINS8_10device_ptrIxEEEESD_jNS1_19radix_merge_compareILb0ELb0ExNS0_19identity_decomposerEEEEE10hipError_tT0_T1_T2_jT3_P12ihipStream_tbPNSt15iterator_traitsISI_E10value_typeEPNSO_ISJ_E10value_typeEPSK_NS1_7vsmem_tEENKUlT_SI_SJ_SK_E_clIPxSD_S10_SD_EESH_SX_SI_SJ_SK_EUlSX_E0_NS1_11comp_targetILNS1_3genE2ELNS1_11target_archE906ELNS1_3gpuE6ELNS1_3repE0EEENS1_38merge_mergepath_config_static_selectorELNS0_4arch9wavefront6targetE1EEEvSJ_.num_vgpr, 0
	.set _ZN7rocprim17ROCPRIM_400000_NS6detail17trampoline_kernelINS0_14default_configENS1_38merge_sort_block_merge_config_selectorIxxEEZZNS1_27merge_sort_block_merge_implIS3_N6thrust23THRUST_200600_302600_NS6detail15normal_iteratorINS8_10device_ptrIxEEEESD_jNS1_19radix_merge_compareILb0ELb0ExNS0_19identity_decomposerEEEEE10hipError_tT0_T1_T2_jT3_P12ihipStream_tbPNSt15iterator_traitsISI_E10value_typeEPNSO_ISJ_E10value_typeEPSK_NS1_7vsmem_tEENKUlT_SI_SJ_SK_E_clIPxSD_S10_SD_EESH_SX_SI_SJ_SK_EUlSX_E0_NS1_11comp_targetILNS1_3genE2ELNS1_11target_archE906ELNS1_3gpuE6ELNS1_3repE0EEENS1_38merge_mergepath_config_static_selectorELNS0_4arch9wavefront6targetE1EEEvSJ_.num_agpr, 0
	.set _ZN7rocprim17ROCPRIM_400000_NS6detail17trampoline_kernelINS0_14default_configENS1_38merge_sort_block_merge_config_selectorIxxEEZZNS1_27merge_sort_block_merge_implIS3_N6thrust23THRUST_200600_302600_NS6detail15normal_iteratorINS8_10device_ptrIxEEEESD_jNS1_19radix_merge_compareILb0ELb0ExNS0_19identity_decomposerEEEEE10hipError_tT0_T1_T2_jT3_P12ihipStream_tbPNSt15iterator_traitsISI_E10value_typeEPNSO_ISJ_E10value_typeEPSK_NS1_7vsmem_tEENKUlT_SI_SJ_SK_E_clIPxSD_S10_SD_EESH_SX_SI_SJ_SK_EUlSX_E0_NS1_11comp_targetILNS1_3genE2ELNS1_11target_archE906ELNS1_3gpuE6ELNS1_3repE0EEENS1_38merge_mergepath_config_static_selectorELNS0_4arch9wavefront6targetE1EEEvSJ_.numbered_sgpr, 0
	.set _ZN7rocprim17ROCPRIM_400000_NS6detail17trampoline_kernelINS0_14default_configENS1_38merge_sort_block_merge_config_selectorIxxEEZZNS1_27merge_sort_block_merge_implIS3_N6thrust23THRUST_200600_302600_NS6detail15normal_iteratorINS8_10device_ptrIxEEEESD_jNS1_19radix_merge_compareILb0ELb0ExNS0_19identity_decomposerEEEEE10hipError_tT0_T1_T2_jT3_P12ihipStream_tbPNSt15iterator_traitsISI_E10value_typeEPNSO_ISJ_E10value_typeEPSK_NS1_7vsmem_tEENKUlT_SI_SJ_SK_E_clIPxSD_S10_SD_EESH_SX_SI_SJ_SK_EUlSX_E0_NS1_11comp_targetILNS1_3genE2ELNS1_11target_archE906ELNS1_3gpuE6ELNS1_3repE0EEENS1_38merge_mergepath_config_static_selectorELNS0_4arch9wavefront6targetE1EEEvSJ_.num_named_barrier, 0
	.set _ZN7rocprim17ROCPRIM_400000_NS6detail17trampoline_kernelINS0_14default_configENS1_38merge_sort_block_merge_config_selectorIxxEEZZNS1_27merge_sort_block_merge_implIS3_N6thrust23THRUST_200600_302600_NS6detail15normal_iteratorINS8_10device_ptrIxEEEESD_jNS1_19radix_merge_compareILb0ELb0ExNS0_19identity_decomposerEEEEE10hipError_tT0_T1_T2_jT3_P12ihipStream_tbPNSt15iterator_traitsISI_E10value_typeEPNSO_ISJ_E10value_typeEPSK_NS1_7vsmem_tEENKUlT_SI_SJ_SK_E_clIPxSD_S10_SD_EESH_SX_SI_SJ_SK_EUlSX_E0_NS1_11comp_targetILNS1_3genE2ELNS1_11target_archE906ELNS1_3gpuE6ELNS1_3repE0EEENS1_38merge_mergepath_config_static_selectorELNS0_4arch9wavefront6targetE1EEEvSJ_.private_seg_size, 0
	.set _ZN7rocprim17ROCPRIM_400000_NS6detail17trampoline_kernelINS0_14default_configENS1_38merge_sort_block_merge_config_selectorIxxEEZZNS1_27merge_sort_block_merge_implIS3_N6thrust23THRUST_200600_302600_NS6detail15normal_iteratorINS8_10device_ptrIxEEEESD_jNS1_19radix_merge_compareILb0ELb0ExNS0_19identity_decomposerEEEEE10hipError_tT0_T1_T2_jT3_P12ihipStream_tbPNSt15iterator_traitsISI_E10value_typeEPNSO_ISJ_E10value_typeEPSK_NS1_7vsmem_tEENKUlT_SI_SJ_SK_E_clIPxSD_S10_SD_EESH_SX_SI_SJ_SK_EUlSX_E0_NS1_11comp_targetILNS1_3genE2ELNS1_11target_archE906ELNS1_3gpuE6ELNS1_3repE0EEENS1_38merge_mergepath_config_static_selectorELNS0_4arch9wavefront6targetE1EEEvSJ_.uses_vcc, 0
	.set _ZN7rocprim17ROCPRIM_400000_NS6detail17trampoline_kernelINS0_14default_configENS1_38merge_sort_block_merge_config_selectorIxxEEZZNS1_27merge_sort_block_merge_implIS3_N6thrust23THRUST_200600_302600_NS6detail15normal_iteratorINS8_10device_ptrIxEEEESD_jNS1_19radix_merge_compareILb0ELb0ExNS0_19identity_decomposerEEEEE10hipError_tT0_T1_T2_jT3_P12ihipStream_tbPNSt15iterator_traitsISI_E10value_typeEPNSO_ISJ_E10value_typeEPSK_NS1_7vsmem_tEENKUlT_SI_SJ_SK_E_clIPxSD_S10_SD_EESH_SX_SI_SJ_SK_EUlSX_E0_NS1_11comp_targetILNS1_3genE2ELNS1_11target_archE906ELNS1_3gpuE6ELNS1_3repE0EEENS1_38merge_mergepath_config_static_selectorELNS0_4arch9wavefront6targetE1EEEvSJ_.uses_flat_scratch, 0
	.set _ZN7rocprim17ROCPRIM_400000_NS6detail17trampoline_kernelINS0_14default_configENS1_38merge_sort_block_merge_config_selectorIxxEEZZNS1_27merge_sort_block_merge_implIS3_N6thrust23THRUST_200600_302600_NS6detail15normal_iteratorINS8_10device_ptrIxEEEESD_jNS1_19radix_merge_compareILb0ELb0ExNS0_19identity_decomposerEEEEE10hipError_tT0_T1_T2_jT3_P12ihipStream_tbPNSt15iterator_traitsISI_E10value_typeEPNSO_ISJ_E10value_typeEPSK_NS1_7vsmem_tEENKUlT_SI_SJ_SK_E_clIPxSD_S10_SD_EESH_SX_SI_SJ_SK_EUlSX_E0_NS1_11comp_targetILNS1_3genE2ELNS1_11target_archE906ELNS1_3gpuE6ELNS1_3repE0EEENS1_38merge_mergepath_config_static_selectorELNS0_4arch9wavefront6targetE1EEEvSJ_.has_dyn_sized_stack, 0
	.set _ZN7rocprim17ROCPRIM_400000_NS6detail17trampoline_kernelINS0_14default_configENS1_38merge_sort_block_merge_config_selectorIxxEEZZNS1_27merge_sort_block_merge_implIS3_N6thrust23THRUST_200600_302600_NS6detail15normal_iteratorINS8_10device_ptrIxEEEESD_jNS1_19radix_merge_compareILb0ELb0ExNS0_19identity_decomposerEEEEE10hipError_tT0_T1_T2_jT3_P12ihipStream_tbPNSt15iterator_traitsISI_E10value_typeEPNSO_ISJ_E10value_typeEPSK_NS1_7vsmem_tEENKUlT_SI_SJ_SK_E_clIPxSD_S10_SD_EESH_SX_SI_SJ_SK_EUlSX_E0_NS1_11comp_targetILNS1_3genE2ELNS1_11target_archE906ELNS1_3gpuE6ELNS1_3repE0EEENS1_38merge_mergepath_config_static_selectorELNS0_4arch9wavefront6targetE1EEEvSJ_.has_recursion, 0
	.set _ZN7rocprim17ROCPRIM_400000_NS6detail17trampoline_kernelINS0_14default_configENS1_38merge_sort_block_merge_config_selectorIxxEEZZNS1_27merge_sort_block_merge_implIS3_N6thrust23THRUST_200600_302600_NS6detail15normal_iteratorINS8_10device_ptrIxEEEESD_jNS1_19radix_merge_compareILb0ELb0ExNS0_19identity_decomposerEEEEE10hipError_tT0_T1_T2_jT3_P12ihipStream_tbPNSt15iterator_traitsISI_E10value_typeEPNSO_ISJ_E10value_typeEPSK_NS1_7vsmem_tEENKUlT_SI_SJ_SK_E_clIPxSD_S10_SD_EESH_SX_SI_SJ_SK_EUlSX_E0_NS1_11comp_targetILNS1_3genE2ELNS1_11target_archE906ELNS1_3gpuE6ELNS1_3repE0EEENS1_38merge_mergepath_config_static_selectorELNS0_4arch9wavefront6targetE1EEEvSJ_.has_indirect_call, 0
	.section	.AMDGPU.csdata,"",@progbits
; Kernel info:
; codeLenInByte = 0
; TotalNumSgprs: 6
; NumVgprs: 0
; NumAgprs: 0
; TotalNumVgprs: 0
; ScratchSize: 0
; MemoryBound: 0
; FloatMode: 240
; IeeeMode: 1
; LDSByteSize: 0 bytes/workgroup (compile time only)
; SGPRBlocks: 0
; VGPRBlocks: 0
; NumSGPRsForWavesPerEU: 6
; NumVGPRsForWavesPerEU: 1
; AccumOffset: 4
; Occupancy: 8
; WaveLimiterHint : 0
; COMPUTE_PGM_RSRC2:SCRATCH_EN: 0
; COMPUTE_PGM_RSRC2:USER_SGPR: 2
; COMPUTE_PGM_RSRC2:TRAP_HANDLER: 0
; COMPUTE_PGM_RSRC2:TGID_X_EN: 1
; COMPUTE_PGM_RSRC2:TGID_Y_EN: 0
; COMPUTE_PGM_RSRC2:TGID_Z_EN: 0
; COMPUTE_PGM_RSRC2:TIDIG_COMP_CNT: 0
; COMPUTE_PGM_RSRC3_GFX90A:ACCUM_OFFSET: 0
; COMPUTE_PGM_RSRC3_GFX90A:TG_SPLIT: 0
	.section	.text._ZN7rocprim17ROCPRIM_400000_NS6detail17trampoline_kernelINS0_14default_configENS1_38merge_sort_block_merge_config_selectorIxxEEZZNS1_27merge_sort_block_merge_implIS3_N6thrust23THRUST_200600_302600_NS6detail15normal_iteratorINS8_10device_ptrIxEEEESD_jNS1_19radix_merge_compareILb0ELb0ExNS0_19identity_decomposerEEEEE10hipError_tT0_T1_T2_jT3_P12ihipStream_tbPNSt15iterator_traitsISI_E10value_typeEPNSO_ISJ_E10value_typeEPSK_NS1_7vsmem_tEENKUlT_SI_SJ_SK_E_clIPxSD_S10_SD_EESH_SX_SI_SJ_SK_EUlSX_E0_NS1_11comp_targetILNS1_3genE9ELNS1_11target_archE1100ELNS1_3gpuE3ELNS1_3repE0EEENS1_38merge_mergepath_config_static_selectorELNS0_4arch9wavefront6targetE1EEEvSJ_,"axG",@progbits,_ZN7rocprim17ROCPRIM_400000_NS6detail17trampoline_kernelINS0_14default_configENS1_38merge_sort_block_merge_config_selectorIxxEEZZNS1_27merge_sort_block_merge_implIS3_N6thrust23THRUST_200600_302600_NS6detail15normal_iteratorINS8_10device_ptrIxEEEESD_jNS1_19radix_merge_compareILb0ELb0ExNS0_19identity_decomposerEEEEE10hipError_tT0_T1_T2_jT3_P12ihipStream_tbPNSt15iterator_traitsISI_E10value_typeEPNSO_ISJ_E10value_typeEPSK_NS1_7vsmem_tEENKUlT_SI_SJ_SK_E_clIPxSD_S10_SD_EESH_SX_SI_SJ_SK_EUlSX_E0_NS1_11comp_targetILNS1_3genE9ELNS1_11target_archE1100ELNS1_3gpuE3ELNS1_3repE0EEENS1_38merge_mergepath_config_static_selectorELNS0_4arch9wavefront6targetE1EEEvSJ_,comdat
	.protected	_ZN7rocprim17ROCPRIM_400000_NS6detail17trampoline_kernelINS0_14default_configENS1_38merge_sort_block_merge_config_selectorIxxEEZZNS1_27merge_sort_block_merge_implIS3_N6thrust23THRUST_200600_302600_NS6detail15normal_iteratorINS8_10device_ptrIxEEEESD_jNS1_19radix_merge_compareILb0ELb0ExNS0_19identity_decomposerEEEEE10hipError_tT0_T1_T2_jT3_P12ihipStream_tbPNSt15iterator_traitsISI_E10value_typeEPNSO_ISJ_E10value_typeEPSK_NS1_7vsmem_tEENKUlT_SI_SJ_SK_E_clIPxSD_S10_SD_EESH_SX_SI_SJ_SK_EUlSX_E0_NS1_11comp_targetILNS1_3genE9ELNS1_11target_archE1100ELNS1_3gpuE3ELNS1_3repE0EEENS1_38merge_mergepath_config_static_selectorELNS0_4arch9wavefront6targetE1EEEvSJ_ ; -- Begin function _ZN7rocprim17ROCPRIM_400000_NS6detail17trampoline_kernelINS0_14default_configENS1_38merge_sort_block_merge_config_selectorIxxEEZZNS1_27merge_sort_block_merge_implIS3_N6thrust23THRUST_200600_302600_NS6detail15normal_iteratorINS8_10device_ptrIxEEEESD_jNS1_19radix_merge_compareILb0ELb0ExNS0_19identity_decomposerEEEEE10hipError_tT0_T1_T2_jT3_P12ihipStream_tbPNSt15iterator_traitsISI_E10value_typeEPNSO_ISJ_E10value_typeEPSK_NS1_7vsmem_tEENKUlT_SI_SJ_SK_E_clIPxSD_S10_SD_EESH_SX_SI_SJ_SK_EUlSX_E0_NS1_11comp_targetILNS1_3genE9ELNS1_11target_archE1100ELNS1_3gpuE3ELNS1_3repE0EEENS1_38merge_mergepath_config_static_selectorELNS0_4arch9wavefront6targetE1EEEvSJ_
	.globl	_ZN7rocprim17ROCPRIM_400000_NS6detail17trampoline_kernelINS0_14default_configENS1_38merge_sort_block_merge_config_selectorIxxEEZZNS1_27merge_sort_block_merge_implIS3_N6thrust23THRUST_200600_302600_NS6detail15normal_iteratorINS8_10device_ptrIxEEEESD_jNS1_19radix_merge_compareILb0ELb0ExNS0_19identity_decomposerEEEEE10hipError_tT0_T1_T2_jT3_P12ihipStream_tbPNSt15iterator_traitsISI_E10value_typeEPNSO_ISJ_E10value_typeEPSK_NS1_7vsmem_tEENKUlT_SI_SJ_SK_E_clIPxSD_S10_SD_EESH_SX_SI_SJ_SK_EUlSX_E0_NS1_11comp_targetILNS1_3genE9ELNS1_11target_archE1100ELNS1_3gpuE3ELNS1_3repE0EEENS1_38merge_mergepath_config_static_selectorELNS0_4arch9wavefront6targetE1EEEvSJ_
	.p2align	8
	.type	_ZN7rocprim17ROCPRIM_400000_NS6detail17trampoline_kernelINS0_14default_configENS1_38merge_sort_block_merge_config_selectorIxxEEZZNS1_27merge_sort_block_merge_implIS3_N6thrust23THRUST_200600_302600_NS6detail15normal_iteratorINS8_10device_ptrIxEEEESD_jNS1_19radix_merge_compareILb0ELb0ExNS0_19identity_decomposerEEEEE10hipError_tT0_T1_T2_jT3_P12ihipStream_tbPNSt15iterator_traitsISI_E10value_typeEPNSO_ISJ_E10value_typeEPSK_NS1_7vsmem_tEENKUlT_SI_SJ_SK_E_clIPxSD_S10_SD_EESH_SX_SI_SJ_SK_EUlSX_E0_NS1_11comp_targetILNS1_3genE9ELNS1_11target_archE1100ELNS1_3gpuE3ELNS1_3repE0EEENS1_38merge_mergepath_config_static_selectorELNS0_4arch9wavefront6targetE1EEEvSJ_,@function
_ZN7rocprim17ROCPRIM_400000_NS6detail17trampoline_kernelINS0_14default_configENS1_38merge_sort_block_merge_config_selectorIxxEEZZNS1_27merge_sort_block_merge_implIS3_N6thrust23THRUST_200600_302600_NS6detail15normal_iteratorINS8_10device_ptrIxEEEESD_jNS1_19radix_merge_compareILb0ELb0ExNS0_19identity_decomposerEEEEE10hipError_tT0_T1_T2_jT3_P12ihipStream_tbPNSt15iterator_traitsISI_E10value_typeEPNSO_ISJ_E10value_typeEPSK_NS1_7vsmem_tEENKUlT_SI_SJ_SK_E_clIPxSD_S10_SD_EESH_SX_SI_SJ_SK_EUlSX_E0_NS1_11comp_targetILNS1_3genE9ELNS1_11target_archE1100ELNS1_3gpuE3ELNS1_3repE0EEENS1_38merge_mergepath_config_static_selectorELNS0_4arch9wavefront6targetE1EEEvSJ_: ; @_ZN7rocprim17ROCPRIM_400000_NS6detail17trampoline_kernelINS0_14default_configENS1_38merge_sort_block_merge_config_selectorIxxEEZZNS1_27merge_sort_block_merge_implIS3_N6thrust23THRUST_200600_302600_NS6detail15normal_iteratorINS8_10device_ptrIxEEEESD_jNS1_19radix_merge_compareILb0ELb0ExNS0_19identity_decomposerEEEEE10hipError_tT0_T1_T2_jT3_P12ihipStream_tbPNSt15iterator_traitsISI_E10value_typeEPNSO_ISJ_E10value_typeEPSK_NS1_7vsmem_tEENKUlT_SI_SJ_SK_E_clIPxSD_S10_SD_EESH_SX_SI_SJ_SK_EUlSX_E0_NS1_11comp_targetILNS1_3genE9ELNS1_11target_archE1100ELNS1_3gpuE3ELNS1_3repE0EEENS1_38merge_mergepath_config_static_selectorELNS0_4arch9wavefront6targetE1EEEvSJ_
; %bb.0:
	.section	.rodata,"a",@progbits
	.p2align	6, 0x0
	.amdhsa_kernel _ZN7rocprim17ROCPRIM_400000_NS6detail17trampoline_kernelINS0_14default_configENS1_38merge_sort_block_merge_config_selectorIxxEEZZNS1_27merge_sort_block_merge_implIS3_N6thrust23THRUST_200600_302600_NS6detail15normal_iteratorINS8_10device_ptrIxEEEESD_jNS1_19radix_merge_compareILb0ELb0ExNS0_19identity_decomposerEEEEE10hipError_tT0_T1_T2_jT3_P12ihipStream_tbPNSt15iterator_traitsISI_E10value_typeEPNSO_ISJ_E10value_typeEPSK_NS1_7vsmem_tEENKUlT_SI_SJ_SK_E_clIPxSD_S10_SD_EESH_SX_SI_SJ_SK_EUlSX_E0_NS1_11comp_targetILNS1_3genE9ELNS1_11target_archE1100ELNS1_3gpuE3ELNS1_3repE0EEENS1_38merge_mergepath_config_static_selectorELNS0_4arch9wavefront6targetE1EEEvSJ_
		.amdhsa_group_segment_fixed_size 0
		.amdhsa_private_segment_fixed_size 0
		.amdhsa_kernarg_size 64
		.amdhsa_user_sgpr_count 2
		.amdhsa_user_sgpr_dispatch_ptr 0
		.amdhsa_user_sgpr_queue_ptr 0
		.amdhsa_user_sgpr_kernarg_segment_ptr 1
		.amdhsa_user_sgpr_dispatch_id 0
		.amdhsa_user_sgpr_kernarg_preload_length 0
		.amdhsa_user_sgpr_kernarg_preload_offset 0
		.amdhsa_user_sgpr_private_segment_size 0
		.amdhsa_uses_dynamic_stack 0
		.amdhsa_enable_private_segment 0
		.amdhsa_system_sgpr_workgroup_id_x 1
		.amdhsa_system_sgpr_workgroup_id_y 0
		.amdhsa_system_sgpr_workgroup_id_z 0
		.amdhsa_system_sgpr_workgroup_info 0
		.amdhsa_system_vgpr_workitem_id 0
		.amdhsa_next_free_vgpr 1
		.amdhsa_next_free_sgpr 0
		.amdhsa_accum_offset 4
		.amdhsa_reserve_vcc 0
		.amdhsa_float_round_mode_32 0
		.amdhsa_float_round_mode_16_64 0
		.amdhsa_float_denorm_mode_32 3
		.amdhsa_float_denorm_mode_16_64 3
		.amdhsa_dx10_clamp 1
		.amdhsa_ieee_mode 1
		.amdhsa_fp16_overflow 0
		.amdhsa_tg_split 0
		.amdhsa_exception_fp_ieee_invalid_op 0
		.amdhsa_exception_fp_denorm_src 0
		.amdhsa_exception_fp_ieee_div_zero 0
		.amdhsa_exception_fp_ieee_overflow 0
		.amdhsa_exception_fp_ieee_underflow 0
		.amdhsa_exception_fp_ieee_inexact 0
		.amdhsa_exception_int_div_zero 0
	.end_amdhsa_kernel
	.section	.text._ZN7rocprim17ROCPRIM_400000_NS6detail17trampoline_kernelINS0_14default_configENS1_38merge_sort_block_merge_config_selectorIxxEEZZNS1_27merge_sort_block_merge_implIS3_N6thrust23THRUST_200600_302600_NS6detail15normal_iteratorINS8_10device_ptrIxEEEESD_jNS1_19radix_merge_compareILb0ELb0ExNS0_19identity_decomposerEEEEE10hipError_tT0_T1_T2_jT3_P12ihipStream_tbPNSt15iterator_traitsISI_E10value_typeEPNSO_ISJ_E10value_typeEPSK_NS1_7vsmem_tEENKUlT_SI_SJ_SK_E_clIPxSD_S10_SD_EESH_SX_SI_SJ_SK_EUlSX_E0_NS1_11comp_targetILNS1_3genE9ELNS1_11target_archE1100ELNS1_3gpuE3ELNS1_3repE0EEENS1_38merge_mergepath_config_static_selectorELNS0_4arch9wavefront6targetE1EEEvSJ_,"axG",@progbits,_ZN7rocprim17ROCPRIM_400000_NS6detail17trampoline_kernelINS0_14default_configENS1_38merge_sort_block_merge_config_selectorIxxEEZZNS1_27merge_sort_block_merge_implIS3_N6thrust23THRUST_200600_302600_NS6detail15normal_iteratorINS8_10device_ptrIxEEEESD_jNS1_19radix_merge_compareILb0ELb0ExNS0_19identity_decomposerEEEEE10hipError_tT0_T1_T2_jT3_P12ihipStream_tbPNSt15iterator_traitsISI_E10value_typeEPNSO_ISJ_E10value_typeEPSK_NS1_7vsmem_tEENKUlT_SI_SJ_SK_E_clIPxSD_S10_SD_EESH_SX_SI_SJ_SK_EUlSX_E0_NS1_11comp_targetILNS1_3genE9ELNS1_11target_archE1100ELNS1_3gpuE3ELNS1_3repE0EEENS1_38merge_mergepath_config_static_selectorELNS0_4arch9wavefront6targetE1EEEvSJ_,comdat
.Lfunc_end1079:
	.size	_ZN7rocprim17ROCPRIM_400000_NS6detail17trampoline_kernelINS0_14default_configENS1_38merge_sort_block_merge_config_selectorIxxEEZZNS1_27merge_sort_block_merge_implIS3_N6thrust23THRUST_200600_302600_NS6detail15normal_iteratorINS8_10device_ptrIxEEEESD_jNS1_19radix_merge_compareILb0ELb0ExNS0_19identity_decomposerEEEEE10hipError_tT0_T1_T2_jT3_P12ihipStream_tbPNSt15iterator_traitsISI_E10value_typeEPNSO_ISJ_E10value_typeEPSK_NS1_7vsmem_tEENKUlT_SI_SJ_SK_E_clIPxSD_S10_SD_EESH_SX_SI_SJ_SK_EUlSX_E0_NS1_11comp_targetILNS1_3genE9ELNS1_11target_archE1100ELNS1_3gpuE3ELNS1_3repE0EEENS1_38merge_mergepath_config_static_selectorELNS0_4arch9wavefront6targetE1EEEvSJ_, .Lfunc_end1079-_ZN7rocprim17ROCPRIM_400000_NS6detail17trampoline_kernelINS0_14default_configENS1_38merge_sort_block_merge_config_selectorIxxEEZZNS1_27merge_sort_block_merge_implIS3_N6thrust23THRUST_200600_302600_NS6detail15normal_iteratorINS8_10device_ptrIxEEEESD_jNS1_19radix_merge_compareILb0ELb0ExNS0_19identity_decomposerEEEEE10hipError_tT0_T1_T2_jT3_P12ihipStream_tbPNSt15iterator_traitsISI_E10value_typeEPNSO_ISJ_E10value_typeEPSK_NS1_7vsmem_tEENKUlT_SI_SJ_SK_E_clIPxSD_S10_SD_EESH_SX_SI_SJ_SK_EUlSX_E0_NS1_11comp_targetILNS1_3genE9ELNS1_11target_archE1100ELNS1_3gpuE3ELNS1_3repE0EEENS1_38merge_mergepath_config_static_selectorELNS0_4arch9wavefront6targetE1EEEvSJ_
                                        ; -- End function
	.set _ZN7rocprim17ROCPRIM_400000_NS6detail17trampoline_kernelINS0_14default_configENS1_38merge_sort_block_merge_config_selectorIxxEEZZNS1_27merge_sort_block_merge_implIS3_N6thrust23THRUST_200600_302600_NS6detail15normal_iteratorINS8_10device_ptrIxEEEESD_jNS1_19radix_merge_compareILb0ELb0ExNS0_19identity_decomposerEEEEE10hipError_tT0_T1_T2_jT3_P12ihipStream_tbPNSt15iterator_traitsISI_E10value_typeEPNSO_ISJ_E10value_typeEPSK_NS1_7vsmem_tEENKUlT_SI_SJ_SK_E_clIPxSD_S10_SD_EESH_SX_SI_SJ_SK_EUlSX_E0_NS1_11comp_targetILNS1_3genE9ELNS1_11target_archE1100ELNS1_3gpuE3ELNS1_3repE0EEENS1_38merge_mergepath_config_static_selectorELNS0_4arch9wavefront6targetE1EEEvSJ_.num_vgpr, 0
	.set _ZN7rocprim17ROCPRIM_400000_NS6detail17trampoline_kernelINS0_14default_configENS1_38merge_sort_block_merge_config_selectorIxxEEZZNS1_27merge_sort_block_merge_implIS3_N6thrust23THRUST_200600_302600_NS6detail15normal_iteratorINS8_10device_ptrIxEEEESD_jNS1_19radix_merge_compareILb0ELb0ExNS0_19identity_decomposerEEEEE10hipError_tT0_T1_T2_jT3_P12ihipStream_tbPNSt15iterator_traitsISI_E10value_typeEPNSO_ISJ_E10value_typeEPSK_NS1_7vsmem_tEENKUlT_SI_SJ_SK_E_clIPxSD_S10_SD_EESH_SX_SI_SJ_SK_EUlSX_E0_NS1_11comp_targetILNS1_3genE9ELNS1_11target_archE1100ELNS1_3gpuE3ELNS1_3repE0EEENS1_38merge_mergepath_config_static_selectorELNS0_4arch9wavefront6targetE1EEEvSJ_.num_agpr, 0
	.set _ZN7rocprim17ROCPRIM_400000_NS6detail17trampoline_kernelINS0_14default_configENS1_38merge_sort_block_merge_config_selectorIxxEEZZNS1_27merge_sort_block_merge_implIS3_N6thrust23THRUST_200600_302600_NS6detail15normal_iteratorINS8_10device_ptrIxEEEESD_jNS1_19radix_merge_compareILb0ELb0ExNS0_19identity_decomposerEEEEE10hipError_tT0_T1_T2_jT3_P12ihipStream_tbPNSt15iterator_traitsISI_E10value_typeEPNSO_ISJ_E10value_typeEPSK_NS1_7vsmem_tEENKUlT_SI_SJ_SK_E_clIPxSD_S10_SD_EESH_SX_SI_SJ_SK_EUlSX_E0_NS1_11comp_targetILNS1_3genE9ELNS1_11target_archE1100ELNS1_3gpuE3ELNS1_3repE0EEENS1_38merge_mergepath_config_static_selectorELNS0_4arch9wavefront6targetE1EEEvSJ_.numbered_sgpr, 0
	.set _ZN7rocprim17ROCPRIM_400000_NS6detail17trampoline_kernelINS0_14default_configENS1_38merge_sort_block_merge_config_selectorIxxEEZZNS1_27merge_sort_block_merge_implIS3_N6thrust23THRUST_200600_302600_NS6detail15normal_iteratorINS8_10device_ptrIxEEEESD_jNS1_19radix_merge_compareILb0ELb0ExNS0_19identity_decomposerEEEEE10hipError_tT0_T1_T2_jT3_P12ihipStream_tbPNSt15iterator_traitsISI_E10value_typeEPNSO_ISJ_E10value_typeEPSK_NS1_7vsmem_tEENKUlT_SI_SJ_SK_E_clIPxSD_S10_SD_EESH_SX_SI_SJ_SK_EUlSX_E0_NS1_11comp_targetILNS1_3genE9ELNS1_11target_archE1100ELNS1_3gpuE3ELNS1_3repE0EEENS1_38merge_mergepath_config_static_selectorELNS0_4arch9wavefront6targetE1EEEvSJ_.num_named_barrier, 0
	.set _ZN7rocprim17ROCPRIM_400000_NS6detail17trampoline_kernelINS0_14default_configENS1_38merge_sort_block_merge_config_selectorIxxEEZZNS1_27merge_sort_block_merge_implIS3_N6thrust23THRUST_200600_302600_NS6detail15normal_iteratorINS8_10device_ptrIxEEEESD_jNS1_19radix_merge_compareILb0ELb0ExNS0_19identity_decomposerEEEEE10hipError_tT0_T1_T2_jT3_P12ihipStream_tbPNSt15iterator_traitsISI_E10value_typeEPNSO_ISJ_E10value_typeEPSK_NS1_7vsmem_tEENKUlT_SI_SJ_SK_E_clIPxSD_S10_SD_EESH_SX_SI_SJ_SK_EUlSX_E0_NS1_11comp_targetILNS1_3genE9ELNS1_11target_archE1100ELNS1_3gpuE3ELNS1_3repE0EEENS1_38merge_mergepath_config_static_selectorELNS0_4arch9wavefront6targetE1EEEvSJ_.private_seg_size, 0
	.set _ZN7rocprim17ROCPRIM_400000_NS6detail17trampoline_kernelINS0_14default_configENS1_38merge_sort_block_merge_config_selectorIxxEEZZNS1_27merge_sort_block_merge_implIS3_N6thrust23THRUST_200600_302600_NS6detail15normal_iteratorINS8_10device_ptrIxEEEESD_jNS1_19radix_merge_compareILb0ELb0ExNS0_19identity_decomposerEEEEE10hipError_tT0_T1_T2_jT3_P12ihipStream_tbPNSt15iterator_traitsISI_E10value_typeEPNSO_ISJ_E10value_typeEPSK_NS1_7vsmem_tEENKUlT_SI_SJ_SK_E_clIPxSD_S10_SD_EESH_SX_SI_SJ_SK_EUlSX_E0_NS1_11comp_targetILNS1_3genE9ELNS1_11target_archE1100ELNS1_3gpuE3ELNS1_3repE0EEENS1_38merge_mergepath_config_static_selectorELNS0_4arch9wavefront6targetE1EEEvSJ_.uses_vcc, 0
	.set _ZN7rocprim17ROCPRIM_400000_NS6detail17trampoline_kernelINS0_14default_configENS1_38merge_sort_block_merge_config_selectorIxxEEZZNS1_27merge_sort_block_merge_implIS3_N6thrust23THRUST_200600_302600_NS6detail15normal_iteratorINS8_10device_ptrIxEEEESD_jNS1_19radix_merge_compareILb0ELb0ExNS0_19identity_decomposerEEEEE10hipError_tT0_T1_T2_jT3_P12ihipStream_tbPNSt15iterator_traitsISI_E10value_typeEPNSO_ISJ_E10value_typeEPSK_NS1_7vsmem_tEENKUlT_SI_SJ_SK_E_clIPxSD_S10_SD_EESH_SX_SI_SJ_SK_EUlSX_E0_NS1_11comp_targetILNS1_3genE9ELNS1_11target_archE1100ELNS1_3gpuE3ELNS1_3repE0EEENS1_38merge_mergepath_config_static_selectorELNS0_4arch9wavefront6targetE1EEEvSJ_.uses_flat_scratch, 0
	.set _ZN7rocprim17ROCPRIM_400000_NS6detail17trampoline_kernelINS0_14default_configENS1_38merge_sort_block_merge_config_selectorIxxEEZZNS1_27merge_sort_block_merge_implIS3_N6thrust23THRUST_200600_302600_NS6detail15normal_iteratorINS8_10device_ptrIxEEEESD_jNS1_19radix_merge_compareILb0ELb0ExNS0_19identity_decomposerEEEEE10hipError_tT0_T1_T2_jT3_P12ihipStream_tbPNSt15iterator_traitsISI_E10value_typeEPNSO_ISJ_E10value_typeEPSK_NS1_7vsmem_tEENKUlT_SI_SJ_SK_E_clIPxSD_S10_SD_EESH_SX_SI_SJ_SK_EUlSX_E0_NS1_11comp_targetILNS1_3genE9ELNS1_11target_archE1100ELNS1_3gpuE3ELNS1_3repE0EEENS1_38merge_mergepath_config_static_selectorELNS0_4arch9wavefront6targetE1EEEvSJ_.has_dyn_sized_stack, 0
	.set _ZN7rocprim17ROCPRIM_400000_NS6detail17trampoline_kernelINS0_14default_configENS1_38merge_sort_block_merge_config_selectorIxxEEZZNS1_27merge_sort_block_merge_implIS3_N6thrust23THRUST_200600_302600_NS6detail15normal_iteratorINS8_10device_ptrIxEEEESD_jNS1_19radix_merge_compareILb0ELb0ExNS0_19identity_decomposerEEEEE10hipError_tT0_T1_T2_jT3_P12ihipStream_tbPNSt15iterator_traitsISI_E10value_typeEPNSO_ISJ_E10value_typeEPSK_NS1_7vsmem_tEENKUlT_SI_SJ_SK_E_clIPxSD_S10_SD_EESH_SX_SI_SJ_SK_EUlSX_E0_NS1_11comp_targetILNS1_3genE9ELNS1_11target_archE1100ELNS1_3gpuE3ELNS1_3repE0EEENS1_38merge_mergepath_config_static_selectorELNS0_4arch9wavefront6targetE1EEEvSJ_.has_recursion, 0
	.set _ZN7rocprim17ROCPRIM_400000_NS6detail17trampoline_kernelINS0_14default_configENS1_38merge_sort_block_merge_config_selectorIxxEEZZNS1_27merge_sort_block_merge_implIS3_N6thrust23THRUST_200600_302600_NS6detail15normal_iteratorINS8_10device_ptrIxEEEESD_jNS1_19radix_merge_compareILb0ELb0ExNS0_19identity_decomposerEEEEE10hipError_tT0_T1_T2_jT3_P12ihipStream_tbPNSt15iterator_traitsISI_E10value_typeEPNSO_ISJ_E10value_typeEPSK_NS1_7vsmem_tEENKUlT_SI_SJ_SK_E_clIPxSD_S10_SD_EESH_SX_SI_SJ_SK_EUlSX_E0_NS1_11comp_targetILNS1_3genE9ELNS1_11target_archE1100ELNS1_3gpuE3ELNS1_3repE0EEENS1_38merge_mergepath_config_static_selectorELNS0_4arch9wavefront6targetE1EEEvSJ_.has_indirect_call, 0
	.section	.AMDGPU.csdata,"",@progbits
; Kernel info:
; codeLenInByte = 0
; TotalNumSgprs: 6
; NumVgprs: 0
; NumAgprs: 0
; TotalNumVgprs: 0
; ScratchSize: 0
; MemoryBound: 0
; FloatMode: 240
; IeeeMode: 1
; LDSByteSize: 0 bytes/workgroup (compile time only)
; SGPRBlocks: 0
; VGPRBlocks: 0
; NumSGPRsForWavesPerEU: 6
; NumVGPRsForWavesPerEU: 1
; AccumOffset: 4
; Occupancy: 8
; WaveLimiterHint : 0
; COMPUTE_PGM_RSRC2:SCRATCH_EN: 0
; COMPUTE_PGM_RSRC2:USER_SGPR: 2
; COMPUTE_PGM_RSRC2:TRAP_HANDLER: 0
; COMPUTE_PGM_RSRC2:TGID_X_EN: 1
; COMPUTE_PGM_RSRC2:TGID_Y_EN: 0
; COMPUTE_PGM_RSRC2:TGID_Z_EN: 0
; COMPUTE_PGM_RSRC2:TIDIG_COMP_CNT: 0
; COMPUTE_PGM_RSRC3_GFX90A:ACCUM_OFFSET: 0
; COMPUTE_PGM_RSRC3_GFX90A:TG_SPLIT: 0
	.section	.text._ZN7rocprim17ROCPRIM_400000_NS6detail17trampoline_kernelINS0_14default_configENS1_38merge_sort_block_merge_config_selectorIxxEEZZNS1_27merge_sort_block_merge_implIS3_N6thrust23THRUST_200600_302600_NS6detail15normal_iteratorINS8_10device_ptrIxEEEESD_jNS1_19radix_merge_compareILb0ELb0ExNS0_19identity_decomposerEEEEE10hipError_tT0_T1_T2_jT3_P12ihipStream_tbPNSt15iterator_traitsISI_E10value_typeEPNSO_ISJ_E10value_typeEPSK_NS1_7vsmem_tEENKUlT_SI_SJ_SK_E_clIPxSD_S10_SD_EESH_SX_SI_SJ_SK_EUlSX_E0_NS1_11comp_targetILNS1_3genE8ELNS1_11target_archE1030ELNS1_3gpuE2ELNS1_3repE0EEENS1_38merge_mergepath_config_static_selectorELNS0_4arch9wavefront6targetE1EEEvSJ_,"axG",@progbits,_ZN7rocprim17ROCPRIM_400000_NS6detail17trampoline_kernelINS0_14default_configENS1_38merge_sort_block_merge_config_selectorIxxEEZZNS1_27merge_sort_block_merge_implIS3_N6thrust23THRUST_200600_302600_NS6detail15normal_iteratorINS8_10device_ptrIxEEEESD_jNS1_19radix_merge_compareILb0ELb0ExNS0_19identity_decomposerEEEEE10hipError_tT0_T1_T2_jT3_P12ihipStream_tbPNSt15iterator_traitsISI_E10value_typeEPNSO_ISJ_E10value_typeEPSK_NS1_7vsmem_tEENKUlT_SI_SJ_SK_E_clIPxSD_S10_SD_EESH_SX_SI_SJ_SK_EUlSX_E0_NS1_11comp_targetILNS1_3genE8ELNS1_11target_archE1030ELNS1_3gpuE2ELNS1_3repE0EEENS1_38merge_mergepath_config_static_selectorELNS0_4arch9wavefront6targetE1EEEvSJ_,comdat
	.protected	_ZN7rocprim17ROCPRIM_400000_NS6detail17trampoline_kernelINS0_14default_configENS1_38merge_sort_block_merge_config_selectorIxxEEZZNS1_27merge_sort_block_merge_implIS3_N6thrust23THRUST_200600_302600_NS6detail15normal_iteratorINS8_10device_ptrIxEEEESD_jNS1_19radix_merge_compareILb0ELb0ExNS0_19identity_decomposerEEEEE10hipError_tT0_T1_T2_jT3_P12ihipStream_tbPNSt15iterator_traitsISI_E10value_typeEPNSO_ISJ_E10value_typeEPSK_NS1_7vsmem_tEENKUlT_SI_SJ_SK_E_clIPxSD_S10_SD_EESH_SX_SI_SJ_SK_EUlSX_E0_NS1_11comp_targetILNS1_3genE8ELNS1_11target_archE1030ELNS1_3gpuE2ELNS1_3repE0EEENS1_38merge_mergepath_config_static_selectorELNS0_4arch9wavefront6targetE1EEEvSJ_ ; -- Begin function _ZN7rocprim17ROCPRIM_400000_NS6detail17trampoline_kernelINS0_14default_configENS1_38merge_sort_block_merge_config_selectorIxxEEZZNS1_27merge_sort_block_merge_implIS3_N6thrust23THRUST_200600_302600_NS6detail15normal_iteratorINS8_10device_ptrIxEEEESD_jNS1_19radix_merge_compareILb0ELb0ExNS0_19identity_decomposerEEEEE10hipError_tT0_T1_T2_jT3_P12ihipStream_tbPNSt15iterator_traitsISI_E10value_typeEPNSO_ISJ_E10value_typeEPSK_NS1_7vsmem_tEENKUlT_SI_SJ_SK_E_clIPxSD_S10_SD_EESH_SX_SI_SJ_SK_EUlSX_E0_NS1_11comp_targetILNS1_3genE8ELNS1_11target_archE1030ELNS1_3gpuE2ELNS1_3repE0EEENS1_38merge_mergepath_config_static_selectorELNS0_4arch9wavefront6targetE1EEEvSJ_
	.globl	_ZN7rocprim17ROCPRIM_400000_NS6detail17trampoline_kernelINS0_14default_configENS1_38merge_sort_block_merge_config_selectorIxxEEZZNS1_27merge_sort_block_merge_implIS3_N6thrust23THRUST_200600_302600_NS6detail15normal_iteratorINS8_10device_ptrIxEEEESD_jNS1_19radix_merge_compareILb0ELb0ExNS0_19identity_decomposerEEEEE10hipError_tT0_T1_T2_jT3_P12ihipStream_tbPNSt15iterator_traitsISI_E10value_typeEPNSO_ISJ_E10value_typeEPSK_NS1_7vsmem_tEENKUlT_SI_SJ_SK_E_clIPxSD_S10_SD_EESH_SX_SI_SJ_SK_EUlSX_E0_NS1_11comp_targetILNS1_3genE8ELNS1_11target_archE1030ELNS1_3gpuE2ELNS1_3repE0EEENS1_38merge_mergepath_config_static_selectorELNS0_4arch9wavefront6targetE1EEEvSJ_
	.p2align	8
	.type	_ZN7rocprim17ROCPRIM_400000_NS6detail17trampoline_kernelINS0_14default_configENS1_38merge_sort_block_merge_config_selectorIxxEEZZNS1_27merge_sort_block_merge_implIS3_N6thrust23THRUST_200600_302600_NS6detail15normal_iteratorINS8_10device_ptrIxEEEESD_jNS1_19radix_merge_compareILb0ELb0ExNS0_19identity_decomposerEEEEE10hipError_tT0_T1_T2_jT3_P12ihipStream_tbPNSt15iterator_traitsISI_E10value_typeEPNSO_ISJ_E10value_typeEPSK_NS1_7vsmem_tEENKUlT_SI_SJ_SK_E_clIPxSD_S10_SD_EESH_SX_SI_SJ_SK_EUlSX_E0_NS1_11comp_targetILNS1_3genE8ELNS1_11target_archE1030ELNS1_3gpuE2ELNS1_3repE0EEENS1_38merge_mergepath_config_static_selectorELNS0_4arch9wavefront6targetE1EEEvSJ_,@function
_ZN7rocprim17ROCPRIM_400000_NS6detail17trampoline_kernelINS0_14default_configENS1_38merge_sort_block_merge_config_selectorIxxEEZZNS1_27merge_sort_block_merge_implIS3_N6thrust23THRUST_200600_302600_NS6detail15normal_iteratorINS8_10device_ptrIxEEEESD_jNS1_19radix_merge_compareILb0ELb0ExNS0_19identity_decomposerEEEEE10hipError_tT0_T1_T2_jT3_P12ihipStream_tbPNSt15iterator_traitsISI_E10value_typeEPNSO_ISJ_E10value_typeEPSK_NS1_7vsmem_tEENKUlT_SI_SJ_SK_E_clIPxSD_S10_SD_EESH_SX_SI_SJ_SK_EUlSX_E0_NS1_11comp_targetILNS1_3genE8ELNS1_11target_archE1030ELNS1_3gpuE2ELNS1_3repE0EEENS1_38merge_mergepath_config_static_selectorELNS0_4arch9wavefront6targetE1EEEvSJ_: ; @_ZN7rocprim17ROCPRIM_400000_NS6detail17trampoline_kernelINS0_14default_configENS1_38merge_sort_block_merge_config_selectorIxxEEZZNS1_27merge_sort_block_merge_implIS3_N6thrust23THRUST_200600_302600_NS6detail15normal_iteratorINS8_10device_ptrIxEEEESD_jNS1_19radix_merge_compareILb0ELb0ExNS0_19identity_decomposerEEEEE10hipError_tT0_T1_T2_jT3_P12ihipStream_tbPNSt15iterator_traitsISI_E10value_typeEPNSO_ISJ_E10value_typeEPSK_NS1_7vsmem_tEENKUlT_SI_SJ_SK_E_clIPxSD_S10_SD_EESH_SX_SI_SJ_SK_EUlSX_E0_NS1_11comp_targetILNS1_3genE8ELNS1_11target_archE1030ELNS1_3gpuE2ELNS1_3repE0EEENS1_38merge_mergepath_config_static_selectorELNS0_4arch9wavefront6targetE1EEEvSJ_
; %bb.0:
	.section	.rodata,"a",@progbits
	.p2align	6, 0x0
	.amdhsa_kernel _ZN7rocprim17ROCPRIM_400000_NS6detail17trampoline_kernelINS0_14default_configENS1_38merge_sort_block_merge_config_selectorIxxEEZZNS1_27merge_sort_block_merge_implIS3_N6thrust23THRUST_200600_302600_NS6detail15normal_iteratorINS8_10device_ptrIxEEEESD_jNS1_19radix_merge_compareILb0ELb0ExNS0_19identity_decomposerEEEEE10hipError_tT0_T1_T2_jT3_P12ihipStream_tbPNSt15iterator_traitsISI_E10value_typeEPNSO_ISJ_E10value_typeEPSK_NS1_7vsmem_tEENKUlT_SI_SJ_SK_E_clIPxSD_S10_SD_EESH_SX_SI_SJ_SK_EUlSX_E0_NS1_11comp_targetILNS1_3genE8ELNS1_11target_archE1030ELNS1_3gpuE2ELNS1_3repE0EEENS1_38merge_mergepath_config_static_selectorELNS0_4arch9wavefront6targetE1EEEvSJ_
		.amdhsa_group_segment_fixed_size 0
		.amdhsa_private_segment_fixed_size 0
		.amdhsa_kernarg_size 64
		.amdhsa_user_sgpr_count 2
		.amdhsa_user_sgpr_dispatch_ptr 0
		.amdhsa_user_sgpr_queue_ptr 0
		.amdhsa_user_sgpr_kernarg_segment_ptr 1
		.amdhsa_user_sgpr_dispatch_id 0
		.amdhsa_user_sgpr_kernarg_preload_length 0
		.amdhsa_user_sgpr_kernarg_preload_offset 0
		.amdhsa_user_sgpr_private_segment_size 0
		.amdhsa_uses_dynamic_stack 0
		.amdhsa_enable_private_segment 0
		.amdhsa_system_sgpr_workgroup_id_x 1
		.amdhsa_system_sgpr_workgroup_id_y 0
		.amdhsa_system_sgpr_workgroup_id_z 0
		.amdhsa_system_sgpr_workgroup_info 0
		.amdhsa_system_vgpr_workitem_id 0
		.amdhsa_next_free_vgpr 1
		.amdhsa_next_free_sgpr 0
		.amdhsa_accum_offset 4
		.amdhsa_reserve_vcc 0
		.amdhsa_float_round_mode_32 0
		.amdhsa_float_round_mode_16_64 0
		.amdhsa_float_denorm_mode_32 3
		.amdhsa_float_denorm_mode_16_64 3
		.amdhsa_dx10_clamp 1
		.amdhsa_ieee_mode 1
		.amdhsa_fp16_overflow 0
		.amdhsa_tg_split 0
		.amdhsa_exception_fp_ieee_invalid_op 0
		.amdhsa_exception_fp_denorm_src 0
		.amdhsa_exception_fp_ieee_div_zero 0
		.amdhsa_exception_fp_ieee_overflow 0
		.amdhsa_exception_fp_ieee_underflow 0
		.amdhsa_exception_fp_ieee_inexact 0
		.amdhsa_exception_int_div_zero 0
	.end_amdhsa_kernel
	.section	.text._ZN7rocprim17ROCPRIM_400000_NS6detail17trampoline_kernelINS0_14default_configENS1_38merge_sort_block_merge_config_selectorIxxEEZZNS1_27merge_sort_block_merge_implIS3_N6thrust23THRUST_200600_302600_NS6detail15normal_iteratorINS8_10device_ptrIxEEEESD_jNS1_19radix_merge_compareILb0ELb0ExNS0_19identity_decomposerEEEEE10hipError_tT0_T1_T2_jT3_P12ihipStream_tbPNSt15iterator_traitsISI_E10value_typeEPNSO_ISJ_E10value_typeEPSK_NS1_7vsmem_tEENKUlT_SI_SJ_SK_E_clIPxSD_S10_SD_EESH_SX_SI_SJ_SK_EUlSX_E0_NS1_11comp_targetILNS1_3genE8ELNS1_11target_archE1030ELNS1_3gpuE2ELNS1_3repE0EEENS1_38merge_mergepath_config_static_selectorELNS0_4arch9wavefront6targetE1EEEvSJ_,"axG",@progbits,_ZN7rocprim17ROCPRIM_400000_NS6detail17trampoline_kernelINS0_14default_configENS1_38merge_sort_block_merge_config_selectorIxxEEZZNS1_27merge_sort_block_merge_implIS3_N6thrust23THRUST_200600_302600_NS6detail15normal_iteratorINS8_10device_ptrIxEEEESD_jNS1_19radix_merge_compareILb0ELb0ExNS0_19identity_decomposerEEEEE10hipError_tT0_T1_T2_jT3_P12ihipStream_tbPNSt15iterator_traitsISI_E10value_typeEPNSO_ISJ_E10value_typeEPSK_NS1_7vsmem_tEENKUlT_SI_SJ_SK_E_clIPxSD_S10_SD_EESH_SX_SI_SJ_SK_EUlSX_E0_NS1_11comp_targetILNS1_3genE8ELNS1_11target_archE1030ELNS1_3gpuE2ELNS1_3repE0EEENS1_38merge_mergepath_config_static_selectorELNS0_4arch9wavefront6targetE1EEEvSJ_,comdat
.Lfunc_end1080:
	.size	_ZN7rocprim17ROCPRIM_400000_NS6detail17trampoline_kernelINS0_14default_configENS1_38merge_sort_block_merge_config_selectorIxxEEZZNS1_27merge_sort_block_merge_implIS3_N6thrust23THRUST_200600_302600_NS6detail15normal_iteratorINS8_10device_ptrIxEEEESD_jNS1_19radix_merge_compareILb0ELb0ExNS0_19identity_decomposerEEEEE10hipError_tT0_T1_T2_jT3_P12ihipStream_tbPNSt15iterator_traitsISI_E10value_typeEPNSO_ISJ_E10value_typeEPSK_NS1_7vsmem_tEENKUlT_SI_SJ_SK_E_clIPxSD_S10_SD_EESH_SX_SI_SJ_SK_EUlSX_E0_NS1_11comp_targetILNS1_3genE8ELNS1_11target_archE1030ELNS1_3gpuE2ELNS1_3repE0EEENS1_38merge_mergepath_config_static_selectorELNS0_4arch9wavefront6targetE1EEEvSJ_, .Lfunc_end1080-_ZN7rocprim17ROCPRIM_400000_NS6detail17trampoline_kernelINS0_14default_configENS1_38merge_sort_block_merge_config_selectorIxxEEZZNS1_27merge_sort_block_merge_implIS3_N6thrust23THRUST_200600_302600_NS6detail15normal_iteratorINS8_10device_ptrIxEEEESD_jNS1_19radix_merge_compareILb0ELb0ExNS0_19identity_decomposerEEEEE10hipError_tT0_T1_T2_jT3_P12ihipStream_tbPNSt15iterator_traitsISI_E10value_typeEPNSO_ISJ_E10value_typeEPSK_NS1_7vsmem_tEENKUlT_SI_SJ_SK_E_clIPxSD_S10_SD_EESH_SX_SI_SJ_SK_EUlSX_E0_NS1_11comp_targetILNS1_3genE8ELNS1_11target_archE1030ELNS1_3gpuE2ELNS1_3repE0EEENS1_38merge_mergepath_config_static_selectorELNS0_4arch9wavefront6targetE1EEEvSJ_
                                        ; -- End function
	.set _ZN7rocprim17ROCPRIM_400000_NS6detail17trampoline_kernelINS0_14default_configENS1_38merge_sort_block_merge_config_selectorIxxEEZZNS1_27merge_sort_block_merge_implIS3_N6thrust23THRUST_200600_302600_NS6detail15normal_iteratorINS8_10device_ptrIxEEEESD_jNS1_19radix_merge_compareILb0ELb0ExNS0_19identity_decomposerEEEEE10hipError_tT0_T1_T2_jT3_P12ihipStream_tbPNSt15iterator_traitsISI_E10value_typeEPNSO_ISJ_E10value_typeEPSK_NS1_7vsmem_tEENKUlT_SI_SJ_SK_E_clIPxSD_S10_SD_EESH_SX_SI_SJ_SK_EUlSX_E0_NS1_11comp_targetILNS1_3genE8ELNS1_11target_archE1030ELNS1_3gpuE2ELNS1_3repE0EEENS1_38merge_mergepath_config_static_selectorELNS0_4arch9wavefront6targetE1EEEvSJ_.num_vgpr, 0
	.set _ZN7rocprim17ROCPRIM_400000_NS6detail17trampoline_kernelINS0_14default_configENS1_38merge_sort_block_merge_config_selectorIxxEEZZNS1_27merge_sort_block_merge_implIS3_N6thrust23THRUST_200600_302600_NS6detail15normal_iteratorINS8_10device_ptrIxEEEESD_jNS1_19radix_merge_compareILb0ELb0ExNS0_19identity_decomposerEEEEE10hipError_tT0_T1_T2_jT3_P12ihipStream_tbPNSt15iterator_traitsISI_E10value_typeEPNSO_ISJ_E10value_typeEPSK_NS1_7vsmem_tEENKUlT_SI_SJ_SK_E_clIPxSD_S10_SD_EESH_SX_SI_SJ_SK_EUlSX_E0_NS1_11comp_targetILNS1_3genE8ELNS1_11target_archE1030ELNS1_3gpuE2ELNS1_3repE0EEENS1_38merge_mergepath_config_static_selectorELNS0_4arch9wavefront6targetE1EEEvSJ_.num_agpr, 0
	.set _ZN7rocprim17ROCPRIM_400000_NS6detail17trampoline_kernelINS0_14default_configENS1_38merge_sort_block_merge_config_selectorIxxEEZZNS1_27merge_sort_block_merge_implIS3_N6thrust23THRUST_200600_302600_NS6detail15normal_iteratorINS8_10device_ptrIxEEEESD_jNS1_19radix_merge_compareILb0ELb0ExNS0_19identity_decomposerEEEEE10hipError_tT0_T1_T2_jT3_P12ihipStream_tbPNSt15iterator_traitsISI_E10value_typeEPNSO_ISJ_E10value_typeEPSK_NS1_7vsmem_tEENKUlT_SI_SJ_SK_E_clIPxSD_S10_SD_EESH_SX_SI_SJ_SK_EUlSX_E0_NS1_11comp_targetILNS1_3genE8ELNS1_11target_archE1030ELNS1_3gpuE2ELNS1_3repE0EEENS1_38merge_mergepath_config_static_selectorELNS0_4arch9wavefront6targetE1EEEvSJ_.numbered_sgpr, 0
	.set _ZN7rocprim17ROCPRIM_400000_NS6detail17trampoline_kernelINS0_14default_configENS1_38merge_sort_block_merge_config_selectorIxxEEZZNS1_27merge_sort_block_merge_implIS3_N6thrust23THRUST_200600_302600_NS6detail15normal_iteratorINS8_10device_ptrIxEEEESD_jNS1_19radix_merge_compareILb0ELb0ExNS0_19identity_decomposerEEEEE10hipError_tT0_T1_T2_jT3_P12ihipStream_tbPNSt15iterator_traitsISI_E10value_typeEPNSO_ISJ_E10value_typeEPSK_NS1_7vsmem_tEENKUlT_SI_SJ_SK_E_clIPxSD_S10_SD_EESH_SX_SI_SJ_SK_EUlSX_E0_NS1_11comp_targetILNS1_3genE8ELNS1_11target_archE1030ELNS1_3gpuE2ELNS1_3repE0EEENS1_38merge_mergepath_config_static_selectorELNS0_4arch9wavefront6targetE1EEEvSJ_.num_named_barrier, 0
	.set _ZN7rocprim17ROCPRIM_400000_NS6detail17trampoline_kernelINS0_14default_configENS1_38merge_sort_block_merge_config_selectorIxxEEZZNS1_27merge_sort_block_merge_implIS3_N6thrust23THRUST_200600_302600_NS6detail15normal_iteratorINS8_10device_ptrIxEEEESD_jNS1_19radix_merge_compareILb0ELb0ExNS0_19identity_decomposerEEEEE10hipError_tT0_T1_T2_jT3_P12ihipStream_tbPNSt15iterator_traitsISI_E10value_typeEPNSO_ISJ_E10value_typeEPSK_NS1_7vsmem_tEENKUlT_SI_SJ_SK_E_clIPxSD_S10_SD_EESH_SX_SI_SJ_SK_EUlSX_E0_NS1_11comp_targetILNS1_3genE8ELNS1_11target_archE1030ELNS1_3gpuE2ELNS1_3repE0EEENS1_38merge_mergepath_config_static_selectorELNS0_4arch9wavefront6targetE1EEEvSJ_.private_seg_size, 0
	.set _ZN7rocprim17ROCPRIM_400000_NS6detail17trampoline_kernelINS0_14default_configENS1_38merge_sort_block_merge_config_selectorIxxEEZZNS1_27merge_sort_block_merge_implIS3_N6thrust23THRUST_200600_302600_NS6detail15normal_iteratorINS8_10device_ptrIxEEEESD_jNS1_19radix_merge_compareILb0ELb0ExNS0_19identity_decomposerEEEEE10hipError_tT0_T1_T2_jT3_P12ihipStream_tbPNSt15iterator_traitsISI_E10value_typeEPNSO_ISJ_E10value_typeEPSK_NS1_7vsmem_tEENKUlT_SI_SJ_SK_E_clIPxSD_S10_SD_EESH_SX_SI_SJ_SK_EUlSX_E0_NS1_11comp_targetILNS1_3genE8ELNS1_11target_archE1030ELNS1_3gpuE2ELNS1_3repE0EEENS1_38merge_mergepath_config_static_selectorELNS0_4arch9wavefront6targetE1EEEvSJ_.uses_vcc, 0
	.set _ZN7rocprim17ROCPRIM_400000_NS6detail17trampoline_kernelINS0_14default_configENS1_38merge_sort_block_merge_config_selectorIxxEEZZNS1_27merge_sort_block_merge_implIS3_N6thrust23THRUST_200600_302600_NS6detail15normal_iteratorINS8_10device_ptrIxEEEESD_jNS1_19radix_merge_compareILb0ELb0ExNS0_19identity_decomposerEEEEE10hipError_tT0_T1_T2_jT3_P12ihipStream_tbPNSt15iterator_traitsISI_E10value_typeEPNSO_ISJ_E10value_typeEPSK_NS1_7vsmem_tEENKUlT_SI_SJ_SK_E_clIPxSD_S10_SD_EESH_SX_SI_SJ_SK_EUlSX_E0_NS1_11comp_targetILNS1_3genE8ELNS1_11target_archE1030ELNS1_3gpuE2ELNS1_3repE0EEENS1_38merge_mergepath_config_static_selectorELNS0_4arch9wavefront6targetE1EEEvSJ_.uses_flat_scratch, 0
	.set _ZN7rocprim17ROCPRIM_400000_NS6detail17trampoline_kernelINS0_14default_configENS1_38merge_sort_block_merge_config_selectorIxxEEZZNS1_27merge_sort_block_merge_implIS3_N6thrust23THRUST_200600_302600_NS6detail15normal_iteratorINS8_10device_ptrIxEEEESD_jNS1_19radix_merge_compareILb0ELb0ExNS0_19identity_decomposerEEEEE10hipError_tT0_T1_T2_jT3_P12ihipStream_tbPNSt15iterator_traitsISI_E10value_typeEPNSO_ISJ_E10value_typeEPSK_NS1_7vsmem_tEENKUlT_SI_SJ_SK_E_clIPxSD_S10_SD_EESH_SX_SI_SJ_SK_EUlSX_E0_NS1_11comp_targetILNS1_3genE8ELNS1_11target_archE1030ELNS1_3gpuE2ELNS1_3repE0EEENS1_38merge_mergepath_config_static_selectorELNS0_4arch9wavefront6targetE1EEEvSJ_.has_dyn_sized_stack, 0
	.set _ZN7rocprim17ROCPRIM_400000_NS6detail17trampoline_kernelINS0_14default_configENS1_38merge_sort_block_merge_config_selectorIxxEEZZNS1_27merge_sort_block_merge_implIS3_N6thrust23THRUST_200600_302600_NS6detail15normal_iteratorINS8_10device_ptrIxEEEESD_jNS1_19radix_merge_compareILb0ELb0ExNS0_19identity_decomposerEEEEE10hipError_tT0_T1_T2_jT3_P12ihipStream_tbPNSt15iterator_traitsISI_E10value_typeEPNSO_ISJ_E10value_typeEPSK_NS1_7vsmem_tEENKUlT_SI_SJ_SK_E_clIPxSD_S10_SD_EESH_SX_SI_SJ_SK_EUlSX_E0_NS1_11comp_targetILNS1_3genE8ELNS1_11target_archE1030ELNS1_3gpuE2ELNS1_3repE0EEENS1_38merge_mergepath_config_static_selectorELNS0_4arch9wavefront6targetE1EEEvSJ_.has_recursion, 0
	.set _ZN7rocprim17ROCPRIM_400000_NS6detail17trampoline_kernelINS0_14default_configENS1_38merge_sort_block_merge_config_selectorIxxEEZZNS1_27merge_sort_block_merge_implIS3_N6thrust23THRUST_200600_302600_NS6detail15normal_iteratorINS8_10device_ptrIxEEEESD_jNS1_19radix_merge_compareILb0ELb0ExNS0_19identity_decomposerEEEEE10hipError_tT0_T1_T2_jT3_P12ihipStream_tbPNSt15iterator_traitsISI_E10value_typeEPNSO_ISJ_E10value_typeEPSK_NS1_7vsmem_tEENKUlT_SI_SJ_SK_E_clIPxSD_S10_SD_EESH_SX_SI_SJ_SK_EUlSX_E0_NS1_11comp_targetILNS1_3genE8ELNS1_11target_archE1030ELNS1_3gpuE2ELNS1_3repE0EEENS1_38merge_mergepath_config_static_selectorELNS0_4arch9wavefront6targetE1EEEvSJ_.has_indirect_call, 0
	.section	.AMDGPU.csdata,"",@progbits
; Kernel info:
; codeLenInByte = 0
; TotalNumSgprs: 6
; NumVgprs: 0
; NumAgprs: 0
; TotalNumVgprs: 0
; ScratchSize: 0
; MemoryBound: 0
; FloatMode: 240
; IeeeMode: 1
; LDSByteSize: 0 bytes/workgroup (compile time only)
; SGPRBlocks: 0
; VGPRBlocks: 0
; NumSGPRsForWavesPerEU: 6
; NumVGPRsForWavesPerEU: 1
; AccumOffset: 4
; Occupancy: 8
; WaveLimiterHint : 0
; COMPUTE_PGM_RSRC2:SCRATCH_EN: 0
; COMPUTE_PGM_RSRC2:USER_SGPR: 2
; COMPUTE_PGM_RSRC2:TRAP_HANDLER: 0
; COMPUTE_PGM_RSRC2:TGID_X_EN: 1
; COMPUTE_PGM_RSRC2:TGID_Y_EN: 0
; COMPUTE_PGM_RSRC2:TGID_Z_EN: 0
; COMPUTE_PGM_RSRC2:TIDIG_COMP_CNT: 0
; COMPUTE_PGM_RSRC3_GFX90A:ACCUM_OFFSET: 0
; COMPUTE_PGM_RSRC3_GFX90A:TG_SPLIT: 0
	.section	.text._ZN7rocprim17ROCPRIM_400000_NS6detail17trampoline_kernelINS0_14default_configENS1_38merge_sort_block_merge_config_selectorIxxEEZZNS1_27merge_sort_block_merge_implIS3_N6thrust23THRUST_200600_302600_NS6detail15normal_iteratorINS8_10device_ptrIxEEEESD_jNS1_19radix_merge_compareILb0ELb0ExNS0_19identity_decomposerEEEEE10hipError_tT0_T1_T2_jT3_P12ihipStream_tbPNSt15iterator_traitsISI_E10value_typeEPNSO_ISJ_E10value_typeEPSK_NS1_7vsmem_tEENKUlT_SI_SJ_SK_E_clIPxSD_S10_SD_EESH_SX_SI_SJ_SK_EUlSX_E1_NS1_11comp_targetILNS1_3genE0ELNS1_11target_archE4294967295ELNS1_3gpuE0ELNS1_3repE0EEENS1_36merge_oddeven_config_static_selectorELNS0_4arch9wavefront6targetE1EEEvSJ_,"axG",@progbits,_ZN7rocprim17ROCPRIM_400000_NS6detail17trampoline_kernelINS0_14default_configENS1_38merge_sort_block_merge_config_selectorIxxEEZZNS1_27merge_sort_block_merge_implIS3_N6thrust23THRUST_200600_302600_NS6detail15normal_iteratorINS8_10device_ptrIxEEEESD_jNS1_19radix_merge_compareILb0ELb0ExNS0_19identity_decomposerEEEEE10hipError_tT0_T1_T2_jT3_P12ihipStream_tbPNSt15iterator_traitsISI_E10value_typeEPNSO_ISJ_E10value_typeEPSK_NS1_7vsmem_tEENKUlT_SI_SJ_SK_E_clIPxSD_S10_SD_EESH_SX_SI_SJ_SK_EUlSX_E1_NS1_11comp_targetILNS1_3genE0ELNS1_11target_archE4294967295ELNS1_3gpuE0ELNS1_3repE0EEENS1_36merge_oddeven_config_static_selectorELNS0_4arch9wavefront6targetE1EEEvSJ_,comdat
	.protected	_ZN7rocprim17ROCPRIM_400000_NS6detail17trampoline_kernelINS0_14default_configENS1_38merge_sort_block_merge_config_selectorIxxEEZZNS1_27merge_sort_block_merge_implIS3_N6thrust23THRUST_200600_302600_NS6detail15normal_iteratorINS8_10device_ptrIxEEEESD_jNS1_19radix_merge_compareILb0ELb0ExNS0_19identity_decomposerEEEEE10hipError_tT0_T1_T2_jT3_P12ihipStream_tbPNSt15iterator_traitsISI_E10value_typeEPNSO_ISJ_E10value_typeEPSK_NS1_7vsmem_tEENKUlT_SI_SJ_SK_E_clIPxSD_S10_SD_EESH_SX_SI_SJ_SK_EUlSX_E1_NS1_11comp_targetILNS1_3genE0ELNS1_11target_archE4294967295ELNS1_3gpuE0ELNS1_3repE0EEENS1_36merge_oddeven_config_static_selectorELNS0_4arch9wavefront6targetE1EEEvSJ_ ; -- Begin function _ZN7rocprim17ROCPRIM_400000_NS6detail17trampoline_kernelINS0_14default_configENS1_38merge_sort_block_merge_config_selectorIxxEEZZNS1_27merge_sort_block_merge_implIS3_N6thrust23THRUST_200600_302600_NS6detail15normal_iteratorINS8_10device_ptrIxEEEESD_jNS1_19radix_merge_compareILb0ELb0ExNS0_19identity_decomposerEEEEE10hipError_tT0_T1_T2_jT3_P12ihipStream_tbPNSt15iterator_traitsISI_E10value_typeEPNSO_ISJ_E10value_typeEPSK_NS1_7vsmem_tEENKUlT_SI_SJ_SK_E_clIPxSD_S10_SD_EESH_SX_SI_SJ_SK_EUlSX_E1_NS1_11comp_targetILNS1_3genE0ELNS1_11target_archE4294967295ELNS1_3gpuE0ELNS1_3repE0EEENS1_36merge_oddeven_config_static_selectorELNS0_4arch9wavefront6targetE1EEEvSJ_
	.globl	_ZN7rocprim17ROCPRIM_400000_NS6detail17trampoline_kernelINS0_14default_configENS1_38merge_sort_block_merge_config_selectorIxxEEZZNS1_27merge_sort_block_merge_implIS3_N6thrust23THRUST_200600_302600_NS6detail15normal_iteratorINS8_10device_ptrIxEEEESD_jNS1_19radix_merge_compareILb0ELb0ExNS0_19identity_decomposerEEEEE10hipError_tT0_T1_T2_jT3_P12ihipStream_tbPNSt15iterator_traitsISI_E10value_typeEPNSO_ISJ_E10value_typeEPSK_NS1_7vsmem_tEENKUlT_SI_SJ_SK_E_clIPxSD_S10_SD_EESH_SX_SI_SJ_SK_EUlSX_E1_NS1_11comp_targetILNS1_3genE0ELNS1_11target_archE4294967295ELNS1_3gpuE0ELNS1_3repE0EEENS1_36merge_oddeven_config_static_selectorELNS0_4arch9wavefront6targetE1EEEvSJ_
	.p2align	8
	.type	_ZN7rocprim17ROCPRIM_400000_NS6detail17trampoline_kernelINS0_14default_configENS1_38merge_sort_block_merge_config_selectorIxxEEZZNS1_27merge_sort_block_merge_implIS3_N6thrust23THRUST_200600_302600_NS6detail15normal_iteratorINS8_10device_ptrIxEEEESD_jNS1_19radix_merge_compareILb0ELb0ExNS0_19identity_decomposerEEEEE10hipError_tT0_T1_T2_jT3_P12ihipStream_tbPNSt15iterator_traitsISI_E10value_typeEPNSO_ISJ_E10value_typeEPSK_NS1_7vsmem_tEENKUlT_SI_SJ_SK_E_clIPxSD_S10_SD_EESH_SX_SI_SJ_SK_EUlSX_E1_NS1_11comp_targetILNS1_3genE0ELNS1_11target_archE4294967295ELNS1_3gpuE0ELNS1_3repE0EEENS1_36merge_oddeven_config_static_selectorELNS0_4arch9wavefront6targetE1EEEvSJ_,@function
_ZN7rocprim17ROCPRIM_400000_NS6detail17trampoline_kernelINS0_14default_configENS1_38merge_sort_block_merge_config_selectorIxxEEZZNS1_27merge_sort_block_merge_implIS3_N6thrust23THRUST_200600_302600_NS6detail15normal_iteratorINS8_10device_ptrIxEEEESD_jNS1_19radix_merge_compareILb0ELb0ExNS0_19identity_decomposerEEEEE10hipError_tT0_T1_T2_jT3_P12ihipStream_tbPNSt15iterator_traitsISI_E10value_typeEPNSO_ISJ_E10value_typeEPSK_NS1_7vsmem_tEENKUlT_SI_SJ_SK_E_clIPxSD_S10_SD_EESH_SX_SI_SJ_SK_EUlSX_E1_NS1_11comp_targetILNS1_3genE0ELNS1_11target_archE4294967295ELNS1_3gpuE0ELNS1_3repE0EEENS1_36merge_oddeven_config_static_selectorELNS0_4arch9wavefront6targetE1EEEvSJ_: ; @_ZN7rocprim17ROCPRIM_400000_NS6detail17trampoline_kernelINS0_14default_configENS1_38merge_sort_block_merge_config_selectorIxxEEZZNS1_27merge_sort_block_merge_implIS3_N6thrust23THRUST_200600_302600_NS6detail15normal_iteratorINS8_10device_ptrIxEEEESD_jNS1_19radix_merge_compareILb0ELb0ExNS0_19identity_decomposerEEEEE10hipError_tT0_T1_T2_jT3_P12ihipStream_tbPNSt15iterator_traitsISI_E10value_typeEPNSO_ISJ_E10value_typeEPSK_NS1_7vsmem_tEENKUlT_SI_SJ_SK_E_clIPxSD_S10_SD_EESH_SX_SI_SJ_SK_EUlSX_E1_NS1_11comp_targetILNS1_3genE0ELNS1_11target_archE4294967295ELNS1_3gpuE0ELNS1_3repE0EEENS1_36merge_oddeven_config_static_selectorELNS0_4arch9wavefront6targetE1EEEvSJ_
; %bb.0:
	s_load_dword s18, s[0:1], 0x20
	s_waitcnt lgkmcnt(0)
	s_lshr_b32 s3, s18, 8
	s_cmp_eq_u32 s2, s3
	s_cselect_b64 s[6:7], -1, 0
	s_cmp_lg_u32 s2, s3
	s_cselect_b64 s[8:9], -1, 0
	s_lshl_b32 s16, s2, 8
	s_sub_i32 s3, s18, s16
	v_cmp_gt_u32_e64 s[4:5], s3, v0
	s_or_b64 s[8:9], s[8:9], s[4:5]
	s_and_saveexec_b64 s[10:11], s[8:9]
	s_cbranch_execz .LBB1081_24
; %bb.1:
	s_load_dwordx8 s[8:15], s[0:1], 0x0
	s_mov_b32 s17, 0
	s_lshl_b64 s[20:21], s[16:17], 3
	v_lshlrev_b32_e32 v1, 3, v0
	s_load_dword s17, s[0:1], 0x24
	s_waitcnt lgkmcnt(0)
	s_add_u32 s22, s8, s20
	s_addc_u32 s23, s9, s21
	s_add_u32 s12, s12, s20
	s_addc_u32 s13, s13, s21
	global_load_dwordx2 v[2:3], v1, s[12:13]
	global_load_dwordx2 v[4:5], v1, s[22:23]
	s_lshr_b32 s0, s17, 8
	s_sub_i32 s1, 0, s0
	s_and_b32 s1, s2, s1
	s_and_b32 s0, s1, s0
	s_lshl_b32 s19, s1, 8
	s_sub_i32 s12, 0, s17
	s_cmp_eq_u32 s0, 0
	s_cselect_b64 s[0:1], -1, 0
	s_and_b64 s[2:3], s[0:1], exec
	s_cselect_b32 s12, s17, s12
	s_add_i32 s12, s12, s19
	s_mov_b64 s[2:3], -1
	s_cmp_gt_u32 s18, s12
	v_add_u32_e32 v0, s16, v0
	s_cbranch_scc1 .LBB1081_9
; %bb.2:
	s_and_b64 vcc, exec, s[6:7]
	s_cbranch_vccz .LBB1081_6
; %bb.3:
	v_cmp_gt_u32_e32 vcc, s18, v0
	s_and_saveexec_b64 s[2:3], vcc
	s_cbranch_execz .LBB1081_5
; %bb.4:
	v_mov_b32_e32 v1, 0
	v_lshlrev_b64 v[6:7], 3, v[0:1]
	v_lshl_add_u64 v[8:9], s[10:11], 0, v[6:7]
	v_lshl_add_u64 v[6:7], s[14:15], 0, v[6:7]
	s_waitcnt vmcnt(0)
	global_store_dwordx2 v[8:9], v[4:5], off
	global_store_dwordx2 v[6:7], v[2:3], off
.LBB1081_5:
	s_or_b64 exec, exec, s[2:3]
	s_mov_b64 s[2:3], 0
.LBB1081_6:
	s_andn2_b64 vcc, exec, s[2:3]
	s_cbranch_vccnz .LBB1081_8
; %bb.7:
	v_mov_b32_e32 v1, 0
	v_lshlrev_b64 v[6:7], 3, v[0:1]
	v_lshl_add_u64 v[8:9], s[10:11], 0, v[6:7]
	v_lshl_add_u64 v[6:7], s[14:15], 0, v[6:7]
	s_waitcnt vmcnt(0)
	global_store_dwordx2 v[8:9], v[4:5], off
	global_store_dwordx2 v[6:7], v[2:3], off
.LBB1081_8:
	s_mov_b64 s[2:3], 0
.LBB1081_9:
	s_andn2_b64 vcc, exec, s[2:3]
	s_cbranch_vccnz .LBB1081_24
; %bb.10:
	s_min_u32 s13, s12, s18
	s_add_i32 s2, s13, s17
	s_min_u32 s16, s2, s18
	s_min_u32 s2, s19, s13
	s_add_i32 s19, s19, s13
	v_subrev_u32_e32 v0, s19, v0
	v_add_u32_e32 v6, s2, v0
	s_andn2_b64 vcc, exec, s[6:7]
	s_mov_b64 s[2:3], -1
	s_cbranch_vccnz .LBB1081_18
; %bb.11:
	s_and_saveexec_b64 s[2:3], s[4:5]
	s_cbranch_execz .LBB1081_17
; %bb.12:
	s_cmp_ge_u32 s12, s16
	v_mov_b32_e32 v7, s13
	s_cbranch_scc1 .LBB1081_16
; %bb.13:
	s_mov_b64 s[4:5], 0
	v_mov_b32_e32 v8, s16
	v_mov_b32_e32 v7, s13
	;; [unrolled: 1-line block ×3, first 2 shown]
.LBB1081_14:                            ; =>This Inner Loop Header: Depth=1
	v_add_u32_e32 v0, v7, v8
	v_lshrrev_b32_e32 v0, 1, v0
	v_lshl_add_u64 v[10:11], v[0:1], 3, s[8:9]
	global_load_dwordx2 v[10:11], v[10:11], off
	v_add_u32_e32 v9, 1, v0
	s_waitcnt vmcnt(0)
	v_cmp_gt_i64_e32 vcc, v[4:5], v[10:11]
	s_nop 1
	v_cndmask_b32_e64 v12, 0, 1, vcc
	v_cmp_le_i64_e32 vcc, v[10:11], v[4:5]
	s_nop 1
	v_cndmask_b32_e64 v10, 0, 1, vcc
	v_cndmask_b32_e64 v10, v10, v12, s[0:1]
	v_and_b32_e32 v10, 1, v10
	v_cmp_eq_u32_e32 vcc, 1, v10
	s_nop 1
	v_cndmask_b32_e32 v8, v0, v8, vcc
	v_cndmask_b32_e32 v7, v7, v9, vcc
	v_cmp_ge_u32_e32 vcc, v7, v8
	s_or_b64 s[4:5], vcc, s[4:5]
	s_andn2_b64 exec, exec, s[4:5]
	s_cbranch_execnz .LBB1081_14
; %bb.15:
	s_or_b64 exec, exec, s[4:5]
.LBB1081_16:
	v_add_u32_e32 v0, v7, v6
	v_mov_b32_e32 v1, 0
	v_lshlrev_b64 v[0:1], 3, v[0:1]
	v_lshl_add_u64 v[8:9], s[10:11], 0, v[0:1]
	v_lshl_add_u64 v[0:1], s[14:15], 0, v[0:1]
	s_waitcnt vmcnt(0)
	global_store_dwordx2 v[8:9], v[4:5], off
	global_store_dwordx2 v[0:1], v[2:3], off
.LBB1081_17:
	s_or_b64 exec, exec, s[2:3]
	s_mov_b64 s[2:3], 0
.LBB1081_18:
	s_andn2_b64 vcc, exec, s[2:3]
	s_cbranch_vccnz .LBB1081_24
; %bb.19:
	s_cmp_ge_u32 s12, s16
	v_mov_b32_e32 v7, s13
	s_cbranch_scc1 .LBB1081_23
; %bb.20:
	s_mov_b64 s[2:3], 0
	v_mov_b32_e32 v8, s16
	v_mov_b32_e32 v7, s13
	v_mov_b32_e32 v1, 0
.LBB1081_21:                            ; =>This Inner Loop Header: Depth=1
	v_add_u32_e32 v0, v7, v8
	v_lshrrev_b32_e32 v0, 1, v0
	v_lshl_add_u64 v[10:11], v[0:1], 3, s[8:9]
	global_load_dwordx2 v[10:11], v[10:11], off
	v_add_u32_e32 v9, 1, v0
	s_waitcnt vmcnt(0)
	v_cmp_gt_i64_e32 vcc, v[4:5], v[10:11]
	s_nop 1
	v_cndmask_b32_e64 v12, 0, 1, vcc
	v_cmp_le_i64_e32 vcc, v[10:11], v[4:5]
	s_nop 1
	v_cndmask_b32_e64 v10, 0, 1, vcc
	v_cndmask_b32_e64 v10, v10, v12, s[0:1]
	v_and_b32_e32 v10, 1, v10
	v_cmp_eq_u32_e32 vcc, 1, v10
	s_nop 1
	v_cndmask_b32_e32 v8, v0, v8, vcc
	v_cndmask_b32_e32 v7, v7, v9, vcc
	v_cmp_ge_u32_e32 vcc, v7, v8
	s_or_b64 s[2:3], vcc, s[2:3]
	s_andn2_b64 exec, exec, s[2:3]
	s_cbranch_execnz .LBB1081_21
; %bb.22:
	s_or_b64 exec, exec, s[2:3]
.LBB1081_23:
	v_add_u32_e32 v0, v7, v6
	v_mov_b32_e32 v1, 0
	v_lshlrev_b64 v[0:1], 3, v[0:1]
	v_lshl_add_u64 v[6:7], s[10:11], 0, v[0:1]
	v_lshl_add_u64 v[0:1], s[14:15], 0, v[0:1]
	s_waitcnt vmcnt(0)
	global_store_dwordx2 v[6:7], v[4:5], off
	global_store_dwordx2 v[0:1], v[2:3], off
.LBB1081_24:
	s_endpgm
	.section	.rodata,"a",@progbits
	.p2align	6, 0x0
	.amdhsa_kernel _ZN7rocprim17ROCPRIM_400000_NS6detail17trampoline_kernelINS0_14default_configENS1_38merge_sort_block_merge_config_selectorIxxEEZZNS1_27merge_sort_block_merge_implIS3_N6thrust23THRUST_200600_302600_NS6detail15normal_iteratorINS8_10device_ptrIxEEEESD_jNS1_19radix_merge_compareILb0ELb0ExNS0_19identity_decomposerEEEEE10hipError_tT0_T1_T2_jT3_P12ihipStream_tbPNSt15iterator_traitsISI_E10value_typeEPNSO_ISJ_E10value_typeEPSK_NS1_7vsmem_tEENKUlT_SI_SJ_SK_E_clIPxSD_S10_SD_EESH_SX_SI_SJ_SK_EUlSX_E1_NS1_11comp_targetILNS1_3genE0ELNS1_11target_archE4294967295ELNS1_3gpuE0ELNS1_3repE0EEENS1_36merge_oddeven_config_static_selectorELNS0_4arch9wavefront6targetE1EEEvSJ_
		.amdhsa_group_segment_fixed_size 0
		.amdhsa_private_segment_fixed_size 0
		.amdhsa_kernarg_size 48
		.amdhsa_user_sgpr_count 2
		.amdhsa_user_sgpr_dispatch_ptr 0
		.amdhsa_user_sgpr_queue_ptr 0
		.amdhsa_user_sgpr_kernarg_segment_ptr 1
		.amdhsa_user_sgpr_dispatch_id 0
		.amdhsa_user_sgpr_kernarg_preload_length 0
		.amdhsa_user_sgpr_kernarg_preload_offset 0
		.amdhsa_user_sgpr_private_segment_size 0
		.amdhsa_uses_dynamic_stack 0
		.amdhsa_enable_private_segment 0
		.amdhsa_system_sgpr_workgroup_id_x 1
		.amdhsa_system_sgpr_workgroup_id_y 0
		.amdhsa_system_sgpr_workgroup_id_z 0
		.amdhsa_system_sgpr_workgroup_info 0
		.amdhsa_system_vgpr_workitem_id 0
		.amdhsa_next_free_vgpr 13
		.amdhsa_next_free_sgpr 24
		.amdhsa_accum_offset 16
		.amdhsa_reserve_vcc 1
		.amdhsa_float_round_mode_32 0
		.amdhsa_float_round_mode_16_64 0
		.amdhsa_float_denorm_mode_32 3
		.amdhsa_float_denorm_mode_16_64 3
		.amdhsa_dx10_clamp 1
		.amdhsa_ieee_mode 1
		.amdhsa_fp16_overflow 0
		.amdhsa_tg_split 0
		.amdhsa_exception_fp_ieee_invalid_op 0
		.amdhsa_exception_fp_denorm_src 0
		.amdhsa_exception_fp_ieee_div_zero 0
		.amdhsa_exception_fp_ieee_overflow 0
		.amdhsa_exception_fp_ieee_underflow 0
		.amdhsa_exception_fp_ieee_inexact 0
		.amdhsa_exception_int_div_zero 0
	.end_amdhsa_kernel
	.section	.text._ZN7rocprim17ROCPRIM_400000_NS6detail17trampoline_kernelINS0_14default_configENS1_38merge_sort_block_merge_config_selectorIxxEEZZNS1_27merge_sort_block_merge_implIS3_N6thrust23THRUST_200600_302600_NS6detail15normal_iteratorINS8_10device_ptrIxEEEESD_jNS1_19radix_merge_compareILb0ELb0ExNS0_19identity_decomposerEEEEE10hipError_tT0_T1_T2_jT3_P12ihipStream_tbPNSt15iterator_traitsISI_E10value_typeEPNSO_ISJ_E10value_typeEPSK_NS1_7vsmem_tEENKUlT_SI_SJ_SK_E_clIPxSD_S10_SD_EESH_SX_SI_SJ_SK_EUlSX_E1_NS1_11comp_targetILNS1_3genE0ELNS1_11target_archE4294967295ELNS1_3gpuE0ELNS1_3repE0EEENS1_36merge_oddeven_config_static_selectorELNS0_4arch9wavefront6targetE1EEEvSJ_,"axG",@progbits,_ZN7rocprim17ROCPRIM_400000_NS6detail17trampoline_kernelINS0_14default_configENS1_38merge_sort_block_merge_config_selectorIxxEEZZNS1_27merge_sort_block_merge_implIS3_N6thrust23THRUST_200600_302600_NS6detail15normal_iteratorINS8_10device_ptrIxEEEESD_jNS1_19radix_merge_compareILb0ELb0ExNS0_19identity_decomposerEEEEE10hipError_tT0_T1_T2_jT3_P12ihipStream_tbPNSt15iterator_traitsISI_E10value_typeEPNSO_ISJ_E10value_typeEPSK_NS1_7vsmem_tEENKUlT_SI_SJ_SK_E_clIPxSD_S10_SD_EESH_SX_SI_SJ_SK_EUlSX_E1_NS1_11comp_targetILNS1_3genE0ELNS1_11target_archE4294967295ELNS1_3gpuE0ELNS1_3repE0EEENS1_36merge_oddeven_config_static_selectorELNS0_4arch9wavefront6targetE1EEEvSJ_,comdat
.Lfunc_end1081:
	.size	_ZN7rocprim17ROCPRIM_400000_NS6detail17trampoline_kernelINS0_14default_configENS1_38merge_sort_block_merge_config_selectorIxxEEZZNS1_27merge_sort_block_merge_implIS3_N6thrust23THRUST_200600_302600_NS6detail15normal_iteratorINS8_10device_ptrIxEEEESD_jNS1_19radix_merge_compareILb0ELb0ExNS0_19identity_decomposerEEEEE10hipError_tT0_T1_T2_jT3_P12ihipStream_tbPNSt15iterator_traitsISI_E10value_typeEPNSO_ISJ_E10value_typeEPSK_NS1_7vsmem_tEENKUlT_SI_SJ_SK_E_clIPxSD_S10_SD_EESH_SX_SI_SJ_SK_EUlSX_E1_NS1_11comp_targetILNS1_3genE0ELNS1_11target_archE4294967295ELNS1_3gpuE0ELNS1_3repE0EEENS1_36merge_oddeven_config_static_selectorELNS0_4arch9wavefront6targetE1EEEvSJ_, .Lfunc_end1081-_ZN7rocprim17ROCPRIM_400000_NS6detail17trampoline_kernelINS0_14default_configENS1_38merge_sort_block_merge_config_selectorIxxEEZZNS1_27merge_sort_block_merge_implIS3_N6thrust23THRUST_200600_302600_NS6detail15normal_iteratorINS8_10device_ptrIxEEEESD_jNS1_19radix_merge_compareILb0ELb0ExNS0_19identity_decomposerEEEEE10hipError_tT0_T1_T2_jT3_P12ihipStream_tbPNSt15iterator_traitsISI_E10value_typeEPNSO_ISJ_E10value_typeEPSK_NS1_7vsmem_tEENKUlT_SI_SJ_SK_E_clIPxSD_S10_SD_EESH_SX_SI_SJ_SK_EUlSX_E1_NS1_11comp_targetILNS1_3genE0ELNS1_11target_archE4294967295ELNS1_3gpuE0ELNS1_3repE0EEENS1_36merge_oddeven_config_static_selectorELNS0_4arch9wavefront6targetE1EEEvSJ_
                                        ; -- End function
	.set _ZN7rocprim17ROCPRIM_400000_NS6detail17trampoline_kernelINS0_14default_configENS1_38merge_sort_block_merge_config_selectorIxxEEZZNS1_27merge_sort_block_merge_implIS3_N6thrust23THRUST_200600_302600_NS6detail15normal_iteratorINS8_10device_ptrIxEEEESD_jNS1_19radix_merge_compareILb0ELb0ExNS0_19identity_decomposerEEEEE10hipError_tT0_T1_T2_jT3_P12ihipStream_tbPNSt15iterator_traitsISI_E10value_typeEPNSO_ISJ_E10value_typeEPSK_NS1_7vsmem_tEENKUlT_SI_SJ_SK_E_clIPxSD_S10_SD_EESH_SX_SI_SJ_SK_EUlSX_E1_NS1_11comp_targetILNS1_3genE0ELNS1_11target_archE4294967295ELNS1_3gpuE0ELNS1_3repE0EEENS1_36merge_oddeven_config_static_selectorELNS0_4arch9wavefront6targetE1EEEvSJ_.num_vgpr, 13
	.set _ZN7rocprim17ROCPRIM_400000_NS6detail17trampoline_kernelINS0_14default_configENS1_38merge_sort_block_merge_config_selectorIxxEEZZNS1_27merge_sort_block_merge_implIS3_N6thrust23THRUST_200600_302600_NS6detail15normal_iteratorINS8_10device_ptrIxEEEESD_jNS1_19radix_merge_compareILb0ELb0ExNS0_19identity_decomposerEEEEE10hipError_tT0_T1_T2_jT3_P12ihipStream_tbPNSt15iterator_traitsISI_E10value_typeEPNSO_ISJ_E10value_typeEPSK_NS1_7vsmem_tEENKUlT_SI_SJ_SK_E_clIPxSD_S10_SD_EESH_SX_SI_SJ_SK_EUlSX_E1_NS1_11comp_targetILNS1_3genE0ELNS1_11target_archE4294967295ELNS1_3gpuE0ELNS1_3repE0EEENS1_36merge_oddeven_config_static_selectorELNS0_4arch9wavefront6targetE1EEEvSJ_.num_agpr, 0
	.set _ZN7rocprim17ROCPRIM_400000_NS6detail17trampoline_kernelINS0_14default_configENS1_38merge_sort_block_merge_config_selectorIxxEEZZNS1_27merge_sort_block_merge_implIS3_N6thrust23THRUST_200600_302600_NS6detail15normal_iteratorINS8_10device_ptrIxEEEESD_jNS1_19radix_merge_compareILb0ELb0ExNS0_19identity_decomposerEEEEE10hipError_tT0_T1_T2_jT3_P12ihipStream_tbPNSt15iterator_traitsISI_E10value_typeEPNSO_ISJ_E10value_typeEPSK_NS1_7vsmem_tEENKUlT_SI_SJ_SK_E_clIPxSD_S10_SD_EESH_SX_SI_SJ_SK_EUlSX_E1_NS1_11comp_targetILNS1_3genE0ELNS1_11target_archE4294967295ELNS1_3gpuE0ELNS1_3repE0EEENS1_36merge_oddeven_config_static_selectorELNS0_4arch9wavefront6targetE1EEEvSJ_.numbered_sgpr, 24
	.set _ZN7rocprim17ROCPRIM_400000_NS6detail17trampoline_kernelINS0_14default_configENS1_38merge_sort_block_merge_config_selectorIxxEEZZNS1_27merge_sort_block_merge_implIS3_N6thrust23THRUST_200600_302600_NS6detail15normal_iteratorINS8_10device_ptrIxEEEESD_jNS1_19radix_merge_compareILb0ELb0ExNS0_19identity_decomposerEEEEE10hipError_tT0_T1_T2_jT3_P12ihipStream_tbPNSt15iterator_traitsISI_E10value_typeEPNSO_ISJ_E10value_typeEPSK_NS1_7vsmem_tEENKUlT_SI_SJ_SK_E_clIPxSD_S10_SD_EESH_SX_SI_SJ_SK_EUlSX_E1_NS1_11comp_targetILNS1_3genE0ELNS1_11target_archE4294967295ELNS1_3gpuE0ELNS1_3repE0EEENS1_36merge_oddeven_config_static_selectorELNS0_4arch9wavefront6targetE1EEEvSJ_.num_named_barrier, 0
	.set _ZN7rocprim17ROCPRIM_400000_NS6detail17trampoline_kernelINS0_14default_configENS1_38merge_sort_block_merge_config_selectorIxxEEZZNS1_27merge_sort_block_merge_implIS3_N6thrust23THRUST_200600_302600_NS6detail15normal_iteratorINS8_10device_ptrIxEEEESD_jNS1_19radix_merge_compareILb0ELb0ExNS0_19identity_decomposerEEEEE10hipError_tT0_T1_T2_jT3_P12ihipStream_tbPNSt15iterator_traitsISI_E10value_typeEPNSO_ISJ_E10value_typeEPSK_NS1_7vsmem_tEENKUlT_SI_SJ_SK_E_clIPxSD_S10_SD_EESH_SX_SI_SJ_SK_EUlSX_E1_NS1_11comp_targetILNS1_3genE0ELNS1_11target_archE4294967295ELNS1_3gpuE0ELNS1_3repE0EEENS1_36merge_oddeven_config_static_selectorELNS0_4arch9wavefront6targetE1EEEvSJ_.private_seg_size, 0
	.set _ZN7rocprim17ROCPRIM_400000_NS6detail17trampoline_kernelINS0_14default_configENS1_38merge_sort_block_merge_config_selectorIxxEEZZNS1_27merge_sort_block_merge_implIS3_N6thrust23THRUST_200600_302600_NS6detail15normal_iteratorINS8_10device_ptrIxEEEESD_jNS1_19radix_merge_compareILb0ELb0ExNS0_19identity_decomposerEEEEE10hipError_tT0_T1_T2_jT3_P12ihipStream_tbPNSt15iterator_traitsISI_E10value_typeEPNSO_ISJ_E10value_typeEPSK_NS1_7vsmem_tEENKUlT_SI_SJ_SK_E_clIPxSD_S10_SD_EESH_SX_SI_SJ_SK_EUlSX_E1_NS1_11comp_targetILNS1_3genE0ELNS1_11target_archE4294967295ELNS1_3gpuE0ELNS1_3repE0EEENS1_36merge_oddeven_config_static_selectorELNS0_4arch9wavefront6targetE1EEEvSJ_.uses_vcc, 1
	.set _ZN7rocprim17ROCPRIM_400000_NS6detail17trampoline_kernelINS0_14default_configENS1_38merge_sort_block_merge_config_selectorIxxEEZZNS1_27merge_sort_block_merge_implIS3_N6thrust23THRUST_200600_302600_NS6detail15normal_iteratorINS8_10device_ptrIxEEEESD_jNS1_19radix_merge_compareILb0ELb0ExNS0_19identity_decomposerEEEEE10hipError_tT0_T1_T2_jT3_P12ihipStream_tbPNSt15iterator_traitsISI_E10value_typeEPNSO_ISJ_E10value_typeEPSK_NS1_7vsmem_tEENKUlT_SI_SJ_SK_E_clIPxSD_S10_SD_EESH_SX_SI_SJ_SK_EUlSX_E1_NS1_11comp_targetILNS1_3genE0ELNS1_11target_archE4294967295ELNS1_3gpuE0ELNS1_3repE0EEENS1_36merge_oddeven_config_static_selectorELNS0_4arch9wavefront6targetE1EEEvSJ_.uses_flat_scratch, 0
	.set _ZN7rocprim17ROCPRIM_400000_NS6detail17trampoline_kernelINS0_14default_configENS1_38merge_sort_block_merge_config_selectorIxxEEZZNS1_27merge_sort_block_merge_implIS3_N6thrust23THRUST_200600_302600_NS6detail15normal_iteratorINS8_10device_ptrIxEEEESD_jNS1_19radix_merge_compareILb0ELb0ExNS0_19identity_decomposerEEEEE10hipError_tT0_T1_T2_jT3_P12ihipStream_tbPNSt15iterator_traitsISI_E10value_typeEPNSO_ISJ_E10value_typeEPSK_NS1_7vsmem_tEENKUlT_SI_SJ_SK_E_clIPxSD_S10_SD_EESH_SX_SI_SJ_SK_EUlSX_E1_NS1_11comp_targetILNS1_3genE0ELNS1_11target_archE4294967295ELNS1_3gpuE0ELNS1_3repE0EEENS1_36merge_oddeven_config_static_selectorELNS0_4arch9wavefront6targetE1EEEvSJ_.has_dyn_sized_stack, 0
	.set _ZN7rocprim17ROCPRIM_400000_NS6detail17trampoline_kernelINS0_14default_configENS1_38merge_sort_block_merge_config_selectorIxxEEZZNS1_27merge_sort_block_merge_implIS3_N6thrust23THRUST_200600_302600_NS6detail15normal_iteratorINS8_10device_ptrIxEEEESD_jNS1_19radix_merge_compareILb0ELb0ExNS0_19identity_decomposerEEEEE10hipError_tT0_T1_T2_jT3_P12ihipStream_tbPNSt15iterator_traitsISI_E10value_typeEPNSO_ISJ_E10value_typeEPSK_NS1_7vsmem_tEENKUlT_SI_SJ_SK_E_clIPxSD_S10_SD_EESH_SX_SI_SJ_SK_EUlSX_E1_NS1_11comp_targetILNS1_3genE0ELNS1_11target_archE4294967295ELNS1_3gpuE0ELNS1_3repE0EEENS1_36merge_oddeven_config_static_selectorELNS0_4arch9wavefront6targetE1EEEvSJ_.has_recursion, 0
	.set _ZN7rocprim17ROCPRIM_400000_NS6detail17trampoline_kernelINS0_14default_configENS1_38merge_sort_block_merge_config_selectorIxxEEZZNS1_27merge_sort_block_merge_implIS3_N6thrust23THRUST_200600_302600_NS6detail15normal_iteratorINS8_10device_ptrIxEEEESD_jNS1_19radix_merge_compareILb0ELb0ExNS0_19identity_decomposerEEEEE10hipError_tT0_T1_T2_jT3_P12ihipStream_tbPNSt15iterator_traitsISI_E10value_typeEPNSO_ISJ_E10value_typeEPSK_NS1_7vsmem_tEENKUlT_SI_SJ_SK_E_clIPxSD_S10_SD_EESH_SX_SI_SJ_SK_EUlSX_E1_NS1_11comp_targetILNS1_3genE0ELNS1_11target_archE4294967295ELNS1_3gpuE0ELNS1_3repE0EEENS1_36merge_oddeven_config_static_selectorELNS0_4arch9wavefront6targetE1EEEvSJ_.has_indirect_call, 0
	.section	.AMDGPU.csdata,"",@progbits
; Kernel info:
; codeLenInByte = 780
; TotalNumSgprs: 30
; NumVgprs: 13
; NumAgprs: 0
; TotalNumVgprs: 13
; ScratchSize: 0
; MemoryBound: 0
; FloatMode: 240
; IeeeMode: 1
; LDSByteSize: 0 bytes/workgroup (compile time only)
; SGPRBlocks: 3
; VGPRBlocks: 1
; NumSGPRsForWavesPerEU: 30
; NumVGPRsForWavesPerEU: 13
; AccumOffset: 16
; Occupancy: 8
; WaveLimiterHint : 0
; COMPUTE_PGM_RSRC2:SCRATCH_EN: 0
; COMPUTE_PGM_RSRC2:USER_SGPR: 2
; COMPUTE_PGM_RSRC2:TRAP_HANDLER: 0
; COMPUTE_PGM_RSRC2:TGID_X_EN: 1
; COMPUTE_PGM_RSRC2:TGID_Y_EN: 0
; COMPUTE_PGM_RSRC2:TGID_Z_EN: 0
; COMPUTE_PGM_RSRC2:TIDIG_COMP_CNT: 0
; COMPUTE_PGM_RSRC3_GFX90A:ACCUM_OFFSET: 3
; COMPUTE_PGM_RSRC3_GFX90A:TG_SPLIT: 0
	.section	.text._ZN7rocprim17ROCPRIM_400000_NS6detail17trampoline_kernelINS0_14default_configENS1_38merge_sort_block_merge_config_selectorIxxEEZZNS1_27merge_sort_block_merge_implIS3_N6thrust23THRUST_200600_302600_NS6detail15normal_iteratorINS8_10device_ptrIxEEEESD_jNS1_19radix_merge_compareILb0ELb0ExNS0_19identity_decomposerEEEEE10hipError_tT0_T1_T2_jT3_P12ihipStream_tbPNSt15iterator_traitsISI_E10value_typeEPNSO_ISJ_E10value_typeEPSK_NS1_7vsmem_tEENKUlT_SI_SJ_SK_E_clIPxSD_S10_SD_EESH_SX_SI_SJ_SK_EUlSX_E1_NS1_11comp_targetILNS1_3genE10ELNS1_11target_archE1201ELNS1_3gpuE5ELNS1_3repE0EEENS1_36merge_oddeven_config_static_selectorELNS0_4arch9wavefront6targetE1EEEvSJ_,"axG",@progbits,_ZN7rocprim17ROCPRIM_400000_NS6detail17trampoline_kernelINS0_14default_configENS1_38merge_sort_block_merge_config_selectorIxxEEZZNS1_27merge_sort_block_merge_implIS3_N6thrust23THRUST_200600_302600_NS6detail15normal_iteratorINS8_10device_ptrIxEEEESD_jNS1_19radix_merge_compareILb0ELb0ExNS0_19identity_decomposerEEEEE10hipError_tT0_T1_T2_jT3_P12ihipStream_tbPNSt15iterator_traitsISI_E10value_typeEPNSO_ISJ_E10value_typeEPSK_NS1_7vsmem_tEENKUlT_SI_SJ_SK_E_clIPxSD_S10_SD_EESH_SX_SI_SJ_SK_EUlSX_E1_NS1_11comp_targetILNS1_3genE10ELNS1_11target_archE1201ELNS1_3gpuE5ELNS1_3repE0EEENS1_36merge_oddeven_config_static_selectorELNS0_4arch9wavefront6targetE1EEEvSJ_,comdat
	.protected	_ZN7rocprim17ROCPRIM_400000_NS6detail17trampoline_kernelINS0_14default_configENS1_38merge_sort_block_merge_config_selectorIxxEEZZNS1_27merge_sort_block_merge_implIS3_N6thrust23THRUST_200600_302600_NS6detail15normal_iteratorINS8_10device_ptrIxEEEESD_jNS1_19radix_merge_compareILb0ELb0ExNS0_19identity_decomposerEEEEE10hipError_tT0_T1_T2_jT3_P12ihipStream_tbPNSt15iterator_traitsISI_E10value_typeEPNSO_ISJ_E10value_typeEPSK_NS1_7vsmem_tEENKUlT_SI_SJ_SK_E_clIPxSD_S10_SD_EESH_SX_SI_SJ_SK_EUlSX_E1_NS1_11comp_targetILNS1_3genE10ELNS1_11target_archE1201ELNS1_3gpuE5ELNS1_3repE0EEENS1_36merge_oddeven_config_static_selectorELNS0_4arch9wavefront6targetE1EEEvSJ_ ; -- Begin function _ZN7rocprim17ROCPRIM_400000_NS6detail17trampoline_kernelINS0_14default_configENS1_38merge_sort_block_merge_config_selectorIxxEEZZNS1_27merge_sort_block_merge_implIS3_N6thrust23THRUST_200600_302600_NS6detail15normal_iteratorINS8_10device_ptrIxEEEESD_jNS1_19radix_merge_compareILb0ELb0ExNS0_19identity_decomposerEEEEE10hipError_tT0_T1_T2_jT3_P12ihipStream_tbPNSt15iterator_traitsISI_E10value_typeEPNSO_ISJ_E10value_typeEPSK_NS1_7vsmem_tEENKUlT_SI_SJ_SK_E_clIPxSD_S10_SD_EESH_SX_SI_SJ_SK_EUlSX_E1_NS1_11comp_targetILNS1_3genE10ELNS1_11target_archE1201ELNS1_3gpuE5ELNS1_3repE0EEENS1_36merge_oddeven_config_static_selectorELNS0_4arch9wavefront6targetE1EEEvSJ_
	.globl	_ZN7rocprim17ROCPRIM_400000_NS6detail17trampoline_kernelINS0_14default_configENS1_38merge_sort_block_merge_config_selectorIxxEEZZNS1_27merge_sort_block_merge_implIS3_N6thrust23THRUST_200600_302600_NS6detail15normal_iteratorINS8_10device_ptrIxEEEESD_jNS1_19radix_merge_compareILb0ELb0ExNS0_19identity_decomposerEEEEE10hipError_tT0_T1_T2_jT3_P12ihipStream_tbPNSt15iterator_traitsISI_E10value_typeEPNSO_ISJ_E10value_typeEPSK_NS1_7vsmem_tEENKUlT_SI_SJ_SK_E_clIPxSD_S10_SD_EESH_SX_SI_SJ_SK_EUlSX_E1_NS1_11comp_targetILNS1_3genE10ELNS1_11target_archE1201ELNS1_3gpuE5ELNS1_3repE0EEENS1_36merge_oddeven_config_static_selectorELNS0_4arch9wavefront6targetE1EEEvSJ_
	.p2align	8
	.type	_ZN7rocprim17ROCPRIM_400000_NS6detail17trampoline_kernelINS0_14default_configENS1_38merge_sort_block_merge_config_selectorIxxEEZZNS1_27merge_sort_block_merge_implIS3_N6thrust23THRUST_200600_302600_NS6detail15normal_iteratorINS8_10device_ptrIxEEEESD_jNS1_19radix_merge_compareILb0ELb0ExNS0_19identity_decomposerEEEEE10hipError_tT0_T1_T2_jT3_P12ihipStream_tbPNSt15iterator_traitsISI_E10value_typeEPNSO_ISJ_E10value_typeEPSK_NS1_7vsmem_tEENKUlT_SI_SJ_SK_E_clIPxSD_S10_SD_EESH_SX_SI_SJ_SK_EUlSX_E1_NS1_11comp_targetILNS1_3genE10ELNS1_11target_archE1201ELNS1_3gpuE5ELNS1_3repE0EEENS1_36merge_oddeven_config_static_selectorELNS0_4arch9wavefront6targetE1EEEvSJ_,@function
_ZN7rocprim17ROCPRIM_400000_NS6detail17trampoline_kernelINS0_14default_configENS1_38merge_sort_block_merge_config_selectorIxxEEZZNS1_27merge_sort_block_merge_implIS3_N6thrust23THRUST_200600_302600_NS6detail15normal_iteratorINS8_10device_ptrIxEEEESD_jNS1_19radix_merge_compareILb0ELb0ExNS0_19identity_decomposerEEEEE10hipError_tT0_T1_T2_jT3_P12ihipStream_tbPNSt15iterator_traitsISI_E10value_typeEPNSO_ISJ_E10value_typeEPSK_NS1_7vsmem_tEENKUlT_SI_SJ_SK_E_clIPxSD_S10_SD_EESH_SX_SI_SJ_SK_EUlSX_E1_NS1_11comp_targetILNS1_3genE10ELNS1_11target_archE1201ELNS1_3gpuE5ELNS1_3repE0EEENS1_36merge_oddeven_config_static_selectorELNS0_4arch9wavefront6targetE1EEEvSJ_: ; @_ZN7rocprim17ROCPRIM_400000_NS6detail17trampoline_kernelINS0_14default_configENS1_38merge_sort_block_merge_config_selectorIxxEEZZNS1_27merge_sort_block_merge_implIS3_N6thrust23THRUST_200600_302600_NS6detail15normal_iteratorINS8_10device_ptrIxEEEESD_jNS1_19radix_merge_compareILb0ELb0ExNS0_19identity_decomposerEEEEE10hipError_tT0_T1_T2_jT3_P12ihipStream_tbPNSt15iterator_traitsISI_E10value_typeEPNSO_ISJ_E10value_typeEPSK_NS1_7vsmem_tEENKUlT_SI_SJ_SK_E_clIPxSD_S10_SD_EESH_SX_SI_SJ_SK_EUlSX_E1_NS1_11comp_targetILNS1_3genE10ELNS1_11target_archE1201ELNS1_3gpuE5ELNS1_3repE0EEENS1_36merge_oddeven_config_static_selectorELNS0_4arch9wavefront6targetE1EEEvSJ_
; %bb.0:
	.section	.rodata,"a",@progbits
	.p2align	6, 0x0
	.amdhsa_kernel _ZN7rocprim17ROCPRIM_400000_NS6detail17trampoline_kernelINS0_14default_configENS1_38merge_sort_block_merge_config_selectorIxxEEZZNS1_27merge_sort_block_merge_implIS3_N6thrust23THRUST_200600_302600_NS6detail15normal_iteratorINS8_10device_ptrIxEEEESD_jNS1_19radix_merge_compareILb0ELb0ExNS0_19identity_decomposerEEEEE10hipError_tT0_T1_T2_jT3_P12ihipStream_tbPNSt15iterator_traitsISI_E10value_typeEPNSO_ISJ_E10value_typeEPSK_NS1_7vsmem_tEENKUlT_SI_SJ_SK_E_clIPxSD_S10_SD_EESH_SX_SI_SJ_SK_EUlSX_E1_NS1_11comp_targetILNS1_3genE10ELNS1_11target_archE1201ELNS1_3gpuE5ELNS1_3repE0EEENS1_36merge_oddeven_config_static_selectorELNS0_4arch9wavefront6targetE1EEEvSJ_
		.amdhsa_group_segment_fixed_size 0
		.amdhsa_private_segment_fixed_size 0
		.amdhsa_kernarg_size 48
		.amdhsa_user_sgpr_count 2
		.amdhsa_user_sgpr_dispatch_ptr 0
		.amdhsa_user_sgpr_queue_ptr 0
		.amdhsa_user_sgpr_kernarg_segment_ptr 1
		.amdhsa_user_sgpr_dispatch_id 0
		.amdhsa_user_sgpr_kernarg_preload_length 0
		.amdhsa_user_sgpr_kernarg_preload_offset 0
		.amdhsa_user_sgpr_private_segment_size 0
		.amdhsa_uses_dynamic_stack 0
		.amdhsa_enable_private_segment 0
		.amdhsa_system_sgpr_workgroup_id_x 1
		.amdhsa_system_sgpr_workgroup_id_y 0
		.amdhsa_system_sgpr_workgroup_id_z 0
		.amdhsa_system_sgpr_workgroup_info 0
		.amdhsa_system_vgpr_workitem_id 0
		.amdhsa_next_free_vgpr 1
		.amdhsa_next_free_sgpr 0
		.amdhsa_accum_offset 4
		.amdhsa_reserve_vcc 0
		.amdhsa_float_round_mode_32 0
		.amdhsa_float_round_mode_16_64 0
		.amdhsa_float_denorm_mode_32 3
		.amdhsa_float_denorm_mode_16_64 3
		.amdhsa_dx10_clamp 1
		.amdhsa_ieee_mode 1
		.amdhsa_fp16_overflow 0
		.amdhsa_tg_split 0
		.amdhsa_exception_fp_ieee_invalid_op 0
		.amdhsa_exception_fp_denorm_src 0
		.amdhsa_exception_fp_ieee_div_zero 0
		.amdhsa_exception_fp_ieee_overflow 0
		.amdhsa_exception_fp_ieee_underflow 0
		.amdhsa_exception_fp_ieee_inexact 0
		.amdhsa_exception_int_div_zero 0
	.end_amdhsa_kernel
	.section	.text._ZN7rocprim17ROCPRIM_400000_NS6detail17trampoline_kernelINS0_14default_configENS1_38merge_sort_block_merge_config_selectorIxxEEZZNS1_27merge_sort_block_merge_implIS3_N6thrust23THRUST_200600_302600_NS6detail15normal_iteratorINS8_10device_ptrIxEEEESD_jNS1_19radix_merge_compareILb0ELb0ExNS0_19identity_decomposerEEEEE10hipError_tT0_T1_T2_jT3_P12ihipStream_tbPNSt15iterator_traitsISI_E10value_typeEPNSO_ISJ_E10value_typeEPSK_NS1_7vsmem_tEENKUlT_SI_SJ_SK_E_clIPxSD_S10_SD_EESH_SX_SI_SJ_SK_EUlSX_E1_NS1_11comp_targetILNS1_3genE10ELNS1_11target_archE1201ELNS1_3gpuE5ELNS1_3repE0EEENS1_36merge_oddeven_config_static_selectorELNS0_4arch9wavefront6targetE1EEEvSJ_,"axG",@progbits,_ZN7rocprim17ROCPRIM_400000_NS6detail17trampoline_kernelINS0_14default_configENS1_38merge_sort_block_merge_config_selectorIxxEEZZNS1_27merge_sort_block_merge_implIS3_N6thrust23THRUST_200600_302600_NS6detail15normal_iteratorINS8_10device_ptrIxEEEESD_jNS1_19radix_merge_compareILb0ELb0ExNS0_19identity_decomposerEEEEE10hipError_tT0_T1_T2_jT3_P12ihipStream_tbPNSt15iterator_traitsISI_E10value_typeEPNSO_ISJ_E10value_typeEPSK_NS1_7vsmem_tEENKUlT_SI_SJ_SK_E_clIPxSD_S10_SD_EESH_SX_SI_SJ_SK_EUlSX_E1_NS1_11comp_targetILNS1_3genE10ELNS1_11target_archE1201ELNS1_3gpuE5ELNS1_3repE0EEENS1_36merge_oddeven_config_static_selectorELNS0_4arch9wavefront6targetE1EEEvSJ_,comdat
.Lfunc_end1082:
	.size	_ZN7rocprim17ROCPRIM_400000_NS6detail17trampoline_kernelINS0_14default_configENS1_38merge_sort_block_merge_config_selectorIxxEEZZNS1_27merge_sort_block_merge_implIS3_N6thrust23THRUST_200600_302600_NS6detail15normal_iteratorINS8_10device_ptrIxEEEESD_jNS1_19radix_merge_compareILb0ELb0ExNS0_19identity_decomposerEEEEE10hipError_tT0_T1_T2_jT3_P12ihipStream_tbPNSt15iterator_traitsISI_E10value_typeEPNSO_ISJ_E10value_typeEPSK_NS1_7vsmem_tEENKUlT_SI_SJ_SK_E_clIPxSD_S10_SD_EESH_SX_SI_SJ_SK_EUlSX_E1_NS1_11comp_targetILNS1_3genE10ELNS1_11target_archE1201ELNS1_3gpuE5ELNS1_3repE0EEENS1_36merge_oddeven_config_static_selectorELNS0_4arch9wavefront6targetE1EEEvSJ_, .Lfunc_end1082-_ZN7rocprim17ROCPRIM_400000_NS6detail17trampoline_kernelINS0_14default_configENS1_38merge_sort_block_merge_config_selectorIxxEEZZNS1_27merge_sort_block_merge_implIS3_N6thrust23THRUST_200600_302600_NS6detail15normal_iteratorINS8_10device_ptrIxEEEESD_jNS1_19radix_merge_compareILb0ELb0ExNS0_19identity_decomposerEEEEE10hipError_tT0_T1_T2_jT3_P12ihipStream_tbPNSt15iterator_traitsISI_E10value_typeEPNSO_ISJ_E10value_typeEPSK_NS1_7vsmem_tEENKUlT_SI_SJ_SK_E_clIPxSD_S10_SD_EESH_SX_SI_SJ_SK_EUlSX_E1_NS1_11comp_targetILNS1_3genE10ELNS1_11target_archE1201ELNS1_3gpuE5ELNS1_3repE0EEENS1_36merge_oddeven_config_static_selectorELNS0_4arch9wavefront6targetE1EEEvSJ_
                                        ; -- End function
	.set _ZN7rocprim17ROCPRIM_400000_NS6detail17trampoline_kernelINS0_14default_configENS1_38merge_sort_block_merge_config_selectorIxxEEZZNS1_27merge_sort_block_merge_implIS3_N6thrust23THRUST_200600_302600_NS6detail15normal_iteratorINS8_10device_ptrIxEEEESD_jNS1_19radix_merge_compareILb0ELb0ExNS0_19identity_decomposerEEEEE10hipError_tT0_T1_T2_jT3_P12ihipStream_tbPNSt15iterator_traitsISI_E10value_typeEPNSO_ISJ_E10value_typeEPSK_NS1_7vsmem_tEENKUlT_SI_SJ_SK_E_clIPxSD_S10_SD_EESH_SX_SI_SJ_SK_EUlSX_E1_NS1_11comp_targetILNS1_3genE10ELNS1_11target_archE1201ELNS1_3gpuE5ELNS1_3repE0EEENS1_36merge_oddeven_config_static_selectorELNS0_4arch9wavefront6targetE1EEEvSJ_.num_vgpr, 0
	.set _ZN7rocprim17ROCPRIM_400000_NS6detail17trampoline_kernelINS0_14default_configENS1_38merge_sort_block_merge_config_selectorIxxEEZZNS1_27merge_sort_block_merge_implIS3_N6thrust23THRUST_200600_302600_NS6detail15normal_iteratorINS8_10device_ptrIxEEEESD_jNS1_19radix_merge_compareILb0ELb0ExNS0_19identity_decomposerEEEEE10hipError_tT0_T1_T2_jT3_P12ihipStream_tbPNSt15iterator_traitsISI_E10value_typeEPNSO_ISJ_E10value_typeEPSK_NS1_7vsmem_tEENKUlT_SI_SJ_SK_E_clIPxSD_S10_SD_EESH_SX_SI_SJ_SK_EUlSX_E1_NS1_11comp_targetILNS1_3genE10ELNS1_11target_archE1201ELNS1_3gpuE5ELNS1_3repE0EEENS1_36merge_oddeven_config_static_selectorELNS0_4arch9wavefront6targetE1EEEvSJ_.num_agpr, 0
	.set _ZN7rocprim17ROCPRIM_400000_NS6detail17trampoline_kernelINS0_14default_configENS1_38merge_sort_block_merge_config_selectorIxxEEZZNS1_27merge_sort_block_merge_implIS3_N6thrust23THRUST_200600_302600_NS6detail15normal_iteratorINS8_10device_ptrIxEEEESD_jNS1_19radix_merge_compareILb0ELb0ExNS0_19identity_decomposerEEEEE10hipError_tT0_T1_T2_jT3_P12ihipStream_tbPNSt15iterator_traitsISI_E10value_typeEPNSO_ISJ_E10value_typeEPSK_NS1_7vsmem_tEENKUlT_SI_SJ_SK_E_clIPxSD_S10_SD_EESH_SX_SI_SJ_SK_EUlSX_E1_NS1_11comp_targetILNS1_3genE10ELNS1_11target_archE1201ELNS1_3gpuE5ELNS1_3repE0EEENS1_36merge_oddeven_config_static_selectorELNS0_4arch9wavefront6targetE1EEEvSJ_.numbered_sgpr, 0
	.set _ZN7rocprim17ROCPRIM_400000_NS6detail17trampoline_kernelINS0_14default_configENS1_38merge_sort_block_merge_config_selectorIxxEEZZNS1_27merge_sort_block_merge_implIS3_N6thrust23THRUST_200600_302600_NS6detail15normal_iteratorINS8_10device_ptrIxEEEESD_jNS1_19radix_merge_compareILb0ELb0ExNS0_19identity_decomposerEEEEE10hipError_tT0_T1_T2_jT3_P12ihipStream_tbPNSt15iterator_traitsISI_E10value_typeEPNSO_ISJ_E10value_typeEPSK_NS1_7vsmem_tEENKUlT_SI_SJ_SK_E_clIPxSD_S10_SD_EESH_SX_SI_SJ_SK_EUlSX_E1_NS1_11comp_targetILNS1_3genE10ELNS1_11target_archE1201ELNS1_3gpuE5ELNS1_3repE0EEENS1_36merge_oddeven_config_static_selectorELNS0_4arch9wavefront6targetE1EEEvSJ_.num_named_barrier, 0
	.set _ZN7rocprim17ROCPRIM_400000_NS6detail17trampoline_kernelINS0_14default_configENS1_38merge_sort_block_merge_config_selectorIxxEEZZNS1_27merge_sort_block_merge_implIS3_N6thrust23THRUST_200600_302600_NS6detail15normal_iteratorINS8_10device_ptrIxEEEESD_jNS1_19radix_merge_compareILb0ELb0ExNS0_19identity_decomposerEEEEE10hipError_tT0_T1_T2_jT3_P12ihipStream_tbPNSt15iterator_traitsISI_E10value_typeEPNSO_ISJ_E10value_typeEPSK_NS1_7vsmem_tEENKUlT_SI_SJ_SK_E_clIPxSD_S10_SD_EESH_SX_SI_SJ_SK_EUlSX_E1_NS1_11comp_targetILNS1_3genE10ELNS1_11target_archE1201ELNS1_3gpuE5ELNS1_3repE0EEENS1_36merge_oddeven_config_static_selectorELNS0_4arch9wavefront6targetE1EEEvSJ_.private_seg_size, 0
	.set _ZN7rocprim17ROCPRIM_400000_NS6detail17trampoline_kernelINS0_14default_configENS1_38merge_sort_block_merge_config_selectorIxxEEZZNS1_27merge_sort_block_merge_implIS3_N6thrust23THRUST_200600_302600_NS6detail15normal_iteratorINS8_10device_ptrIxEEEESD_jNS1_19radix_merge_compareILb0ELb0ExNS0_19identity_decomposerEEEEE10hipError_tT0_T1_T2_jT3_P12ihipStream_tbPNSt15iterator_traitsISI_E10value_typeEPNSO_ISJ_E10value_typeEPSK_NS1_7vsmem_tEENKUlT_SI_SJ_SK_E_clIPxSD_S10_SD_EESH_SX_SI_SJ_SK_EUlSX_E1_NS1_11comp_targetILNS1_3genE10ELNS1_11target_archE1201ELNS1_3gpuE5ELNS1_3repE0EEENS1_36merge_oddeven_config_static_selectorELNS0_4arch9wavefront6targetE1EEEvSJ_.uses_vcc, 0
	.set _ZN7rocprim17ROCPRIM_400000_NS6detail17trampoline_kernelINS0_14default_configENS1_38merge_sort_block_merge_config_selectorIxxEEZZNS1_27merge_sort_block_merge_implIS3_N6thrust23THRUST_200600_302600_NS6detail15normal_iteratorINS8_10device_ptrIxEEEESD_jNS1_19radix_merge_compareILb0ELb0ExNS0_19identity_decomposerEEEEE10hipError_tT0_T1_T2_jT3_P12ihipStream_tbPNSt15iterator_traitsISI_E10value_typeEPNSO_ISJ_E10value_typeEPSK_NS1_7vsmem_tEENKUlT_SI_SJ_SK_E_clIPxSD_S10_SD_EESH_SX_SI_SJ_SK_EUlSX_E1_NS1_11comp_targetILNS1_3genE10ELNS1_11target_archE1201ELNS1_3gpuE5ELNS1_3repE0EEENS1_36merge_oddeven_config_static_selectorELNS0_4arch9wavefront6targetE1EEEvSJ_.uses_flat_scratch, 0
	.set _ZN7rocprim17ROCPRIM_400000_NS6detail17trampoline_kernelINS0_14default_configENS1_38merge_sort_block_merge_config_selectorIxxEEZZNS1_27merge_sort_block_merge_implIS3_N6thrust23THRUST_200600_302600_NS6detail15normal_iteratorINS8_10device_ptrIxEEEESD_jNS1_19radix_merge_compareILb0ELb0ExNS0_19identity_decomposerEEEEE10hipError_tT0_T1_T2_jT3_P12ihipStream_tbPNSt15iterator_traitsISI_E10value_typeEPNSO_ISJ_E10value_typeEPSK_NS1_7vsmem_tEENKUlT_SI_SJ_SK_E_clIPxSD_S10_SD_EESH_SX_SI_SJ_SK_EUlSX_E1_NS1_11comp_targetILNS1_3genE10ELNS1_11target_archE1201ELNS1_3gpuE5ELNS1_3repE0EEENS1_36merge_oddeven_config_static_selectorELNS0_4arch9wavefront6targetE1EEEvSJ_.has_dyn_sized_stack, 0
	.set _ZN7rocprim17ROCPRIM_400000_NS6detail17trampoline_kernelINS0_14default_configENS1_38merge_sort_block_merge_config_selectorIxxEEZZNS1_27merge_sort_block_merge_implIS3_N6thrust23THRUST_200600_302600_NS6detail15normal_iteratorINS8_10device_ptrIxEEEESD_jNS1_19radix_merge_compareILb0ELb0ExNS0_19identity_decomposerEEEEE10hipError_tT0_T1_T2_jT3_P12ihipStream_tbPNSt15iterator_traitsISI_E10value_typeEPNSO_ISJ_E10value_typeEPSK_NS1_7vsmem_tEENKUlT_SI_SJ_SK_E_clIPxSD_S10_SD_EESH_SX_SI_SJ_SK_EUlSX_E1_NS1_11comp_targetILNS1_3genE10ELNS1_11target_archE1201ELNS1_3gpuE5ELNS1_3repE0EEENS1_36merge_oddeven_config_static_selectorELNS0_4arch9wavefront6targetE1EEEvSJ_.has_recursion, 0
	.set _ZN7rocprim17ROCPRIM_400000_NS6detail17trampoline_kernelINS0_14default_configENS1_38merge_sort_block_merge_config_selectorIxxEEZZNS1_27merge_sort_block_merge_implIS3_N6thrust23THRUST_200600_302600_NS6detail15normal_iteratorINS8_10device_ptrIxEEEESD_jNS1_19radix_merge_compareILb0ELb0ExNS0_19identity_decomposerEEEEE10hipError_tT0_T1_T2_jT3_P12ihipStream_tbPNSt15iterator_traitsISI_E10value_typeEPNSO_ISJ_E10value_typeEPSK_NS1_7vsmem_tEENKUlT_SI_SJ_SK_E_clIPxSD_S10_SD_EESH_SX_SI_SJ_SK_EUlSX_E1_NS1_11comp_targetILNS1_3genE10ELNS1_11target_archE1201ELNS1_3gpuE5ELNS1_3repE0EEENS1_36merge_oddeven_config_static_selectorELNS0_4arch9wavefront6targetE1EEEvSJ_.has_indirect_call, 0
	.section	.AMDGPU.csdata,"",@progbits
; Kernel info:
; codeLenInByte = 0
; TotalNumSgprs: 6
; NumVgprs: 0
; NumAgprs: 0
; TotalNumVgprs: 0
; ScratchSize: 0
; MemoryBound: 0
; FloatMode: 240
; IeeeMode: 1
; LDSByteSize: 0 bytes/workgroup (compile time only)
; SGPRBlocks: 0
; VGPRBlocks: 0
; NumSGPRsForWavesPerEU: 6
; NumVGPRsForWavesPerEU: 1
; AccumOffset: 4
; Occupancy: 8
; WaveLimiterHint : 0
; COMPUTE_PGM_RSRC2:SCRATCH_EN: 0
; COMPUTE_PGM_RSRC2:USER_SGPR: 2
; COMPUTE_PGM_RSRC2:TRAP_HANDLER: 0
; COMPUTE_PGM_RSRC2:TGID_X_EN: 1
; COMPUTE_PGM_RSRC2:TGID_Y_EN: 0
; COMPUTE_PGM_RSRC2:TGID_Z_EN: 0
; COMPUTE_PGM_RSRC2:TIDIG_COMP_CNT: 0
; COMPUTE_PGM_RSRC3_GFX90A:ACCUM_OFFSET: 0
; COMPUTE_PGM_RSRC3_GFX90A:TG_SPLIT: 0
	.section	.text._ZN7rocprim17ROCPRIM_400000_NS6detail17trampoline_kernelINS0_14default_configENS1_38merge_sort_block_merge_config_selectorIxxEEZZNS1_27merge_sort_block_merge_implIS3_N6thrust23THRUST_200600_302600_NS6detail15normal_iteratorINS8_10device_ptrIxEEEESD_jNS1_19radix_merge_compareILb0ELb0ExNS0_19identity_decomposerEEEEE10hipError_tT0_T1_T2_jT3_P12ihipStream_tbPNSt15iterator_traitsISI_E10value_typeEPNSO_ISJ_E10value_typeEPSK_NS1_7vsmem_tEENKUlT_SI_SJ_SK_E_clIPxSD_S10_SD_EESH_SX_SI_SJ_SK_EUlSX_E1_NS1_11comp_targetILNS1_3genE5ELNS1_11target_archE942ELNS1_3gpuE9ELNS1_3repE0EEENS1_36merge_oddeven_config_static_selectorELNS0_4arch9wavefront6targetE1EEEvSJ_,"axG",@progbits,_ZN7rocprim17ROCPRIM_400000_NS6detail17trampoline_kernelINS0_14default_configENS1_38merge_sort_block_merge_config_selectorIxxEEZZNS1_27merge_sort_block_merge_implIS3_N6thrust23THRUST_200600_302600_NS6detail15normal_iteratorINS8_10device_ptrIxEEEESD_jNS1_19radix_merge_compareILb0ELb0ExNS0_19identity_decomposerEEEEE10hipError_tT0_T1_T2_jT3_P12ihipStream_tbPNSt15iterator_traitsISI_E10value_typeEPNSO_ISJ_E10value_typeEPSK_NS1_7vsmem_tEENKUlT_SI_SJ_SK_E_clIPxSD_S10_SD_EESH_SX_SI_SJ_SK_EUlSX_E1_NS1_11comp_targetILNS1_3genE5ELNS1_11target_archE942ELNS1_3gpuE9ELNS1_3repE0EEENS1_36merge_oddeven_config_static_selectorELNS0_4arch9wavefront6targetE1EEEvSJ_,comdat
	.protected	_ZN7rocprim17ROCPRIM_400000_NS6detail17trampoline_kernelINS0_14default_configENS1_38merge_sort_block_merge_config_selectorIxxEEZZNS1_27merge_sort_block_merge_implIS3_N6thrust23THRUST_200600_302600_NS6detail15normal_iteratorINS8_10device_ptrIxEEEESD_jNS1_19radix_merge_compareILb0ELb0ExNS0_19identity_decomposerEEEEE10hipError_tT0_T1_T2_jT3_P12ihipStream_tbPNSt15iterator_traitsISI_E10value_typeEPNSO_ISJ_E10value_typeEPSK_NS1_7vsmem_tEENKUlT_SI_SJ_SK_E_clIPxSD_S10_SD_EESH_SX_SI_SJ_SK_EUlSX_E1_NS1_11comp_targetILNS1_3genE5ELNS1_11target_archE942ELNS1_3gpuE9ELNS1_3repE0EEENS1_36merge_oddeven_config_static_selectorELNS0_4arch9wavefront6targetE1EEEvSJ_ ; -- Begin function _ZN7rocprim17ROCPRIM_400000_NS6detail17trampoline_kernelINS0_14default_configENS1_38merge_sort_block_merge_config_selectorIxxEEZZNS1_27merge_sort_block_merge_implIS3_N6thrust23THRUST_200600_302600_NS6detail15normal_iteratorINS8_10device_ptrIxEEEESD_jNS1_19radix_merge_compareILb0ELb0ExNS0_19identity_decomposerEEEEE10hipError_tT0_T1_T2_jT3_P12ihipStream_tbPNSt15iterator_traitsISI_E10value_typeEPNSO_ISJ_E10value_typeEPSK_NS1_7vsmem_tEENKUlT_SI_SJ_SK_E_clIPxSD_S10_SD_EESH_SX_SI_SJ_SK_EUlSX_E1_NS1_11comp_targetILNS1_3genE5ELNS1_11target_archE942ELNS1_3gpuE9ELNS1_3repE0EEENS1_36merge_oddeven_config_static_selectorELNS0_4arch9wavefront6targetE1EEEvSJ_
	.globl	_ZN7rocprim17ROCPRIM_400000_NS6detail17trampoline_kernelINS0_14default_configENS1_38merge_sort_block_merge_config_selectorIxxEEZZNS1_27merge_sort_block_merge_implIS3_N6thrust23THRUST_200600_302600_NS6detail15normal_iteratorINS8_10device_ptrIxEEEESD_jNS1_19radix_merge_compareILb0ELb0ExNS0_19identity_decomposerEEEEE10hipError_tT0_T1_T2_jT3_P12ihipStream_tbPNSt15iterator_traitsISI_E10value_typeEPNSO_ISJ_E10value_typeEPSK_NS1_7vsmem_tEENKUlT_SI_SJ_SK_E_clIPxSD_S10_SD_EESH_SX_SI_SJ_SK_EUlSX_E1_NS1_11comp_targetILNS1_3genE5ELNS1_11target_archE942ELNS1_3gpuE9ELNS1_3repE0EEENS1_36merge_oddeven_config_static_selectorELNS0_4arch9wavefront6targetE1EEEvSJ_
	.p2align	8
	.type	_ZN7rocprim17ROCPRIM_400000_NS6detail17trampoline_kernelINS0_14default_configENS1_38merge_sort_block_merge_config_selectorIxxEEZZNS1_27merge_sort_block_merge_implIS3_N6thrust23THRUST_200600_302600_NS6detail15normal_iteratorINS8_10device_ptrIxEEEESD_jNS1_19radix_merge_compareILb0ELb0ExNS0_19identity_decomposerEEEEE10hipError_tT0_T1_T2_jT3_P12ihipStream_tbPNSt15iterator_traitsISI_E10value_typeEPNSO_ISJ_E10value_typeEPSK_NS1_7vsmem_tEENKUlT_SI_SJ_SK_E_clIPxSD_S10_SD_EESH_SX_SI_SJ_SK_EUlSX_E1_NS1_11comp_targetILNS1_3genE5ELNS1_11target_archE942ELNS1_3gpuE9ELNS1_3repE0EEENS1_36merge_oddeven_config_static_selectorELNS0_4arch9wavefront6targetE1EEEvSJ_,@function
_ZN7rocprim17ROCPRIM_400000_NS6detail17trampoline_kernelINS0_14default_configENS1_38merge_sort_block_merge_config_selectorIxxEEZZNS1_27merge_sort_block_merge_implIS3_N6thrust23THRUST_200600_302600_NS6detail15normal_iteratorINS8_10device_ptrIxEEEESD_jNS1_19radix_merge_compareILb0ELb0ExNS0_19identity_decomposerEEEEE10hipError_tT0_T1_T2_jT3_P12ihipStream_tbPNSt15iterator_traitsISI_E10value_typeEPNSO_ISJ_E10value_typeEPSK_NS1_7vsmem_tEENKUlT_SI_SJ_SK_E_clIPxSD_S10_SD_EESH_SX_SI_SJ_SK_EUlSX_E1_NS1_11comp_targetILNS1_3genE5ELNS1_11target_archE942ELNS1_3gpuE9ELNS1_3repE0EEENS1_36merge_oddeven_config_static_selectorELNS0_4arch9wavefront6targetE1EEEvSJ_: ; @_ZN7rocprim17ROCPRIM_400000_NS6detail17trampoline_kernelINS0_14default_configENS1_38merge_sort_block_merge_config_selectorIxxEEZZNS1_27merge_sort_block_merge_implIS3_N6thrust23THRUST_200600_302600_NS6detail15normal_iteratorINS8_10device_ptrIxEEEESD_jNS1_19radix_merge_compareILb0ELb0ExNS0_19identity_decomposerEEEEE10hipError_tT0_T1_T2_jT3_P12ihipStream_tbPNSt15iterator_traitsISI_E10value_typeEPNSO_ISJ_E10value_typeEPSK_NS1_7vsmem_tEENKUlT_SI_SJ_SK_E_clIPxSD_S10_SD_EESH_SX_SI_SJ_SK_EUlSX_E1_NS1_11comp_targetILNS1_3genE5ELNS1_11target_archE942ELNS1_3gpuE9ELNS1_3repE0EEENS1_36merge_oddeven_config_static_selectorELNS0_4arch9wavefront6targetE1EEEvSJ_
; %bb.0:
	.section	.rodata,"a",@progbits
	.p2align	6, 0x0
	.amdhsa_kernel _ZN7rocprim17ROCPRIM_400000_NS6detail17trampoline_kernelINS0_14default_configENS1_38merge_sort_block_merge_config_selectorIxxEEZZNS1_27merge_sort_block_merge_implIS3_N6thrust23THRUST_200600_302600_NS6detail15normal_iteratorINS8_10device_ptrIxEEEESD_jNS1_19radix_merge_compareILb0ELb0ExNS0_19identity_decomposerEEEEE10hipError_tT0_T1_T2_jT3_P12ihipStream_tbPNSt15iterator_traitsISI_E10value_typeEPNSO_ISJ_E10value_typeEPSK_NS1_7vsmem_tEENKUlT_SI_SJ_SK_E_clIPxSD_S10_SD_EESH_SX_SI_SJ_SK_EUlSX_E1_NS1_11comp_targetILNS1_3genE5ELNS1_11target_archE942ELNS1_3gpuE9ELNS1_3repE0EEENS1_36merge_oddeven_config_static_selectorELNS0_4arch9wavefront6targetE1EEEvSJ_
		.amdhsa_group_segment_fixed_size 0
		.amdhsa_private_segment_fixed_size 0
		.amdhsa_kernarg_size 48
		.amdhsa_user_sgpr_count 2
		.amdhsa_user_sgpr_dispatch_ptr 0
		.amdhsa_user_sgpr_queue_ptr 0
		.amdhsa_user_sgpr_kernarg_segment_ptr 1
		.amdhsa_user_sgpr_dispatch_id 0
		.amdhsa_user_sgpr_kernarg_preload_length 0
		.amdhsa_user_sgpr_kernarg_preload_offset 0
		.amdhsa_user_sgpr_private_segment_size 0
		.amdhsa_uses_dynamic_stack 0
		.amdhsa_enable_private_segment 0
		.amdhsa_system_sgpr_workgroup_id_x 1
		.amdhsa_system_sgpr_workgroup_id_y 0
		.amdhsa_system_sgpr_workgroup_id_z 0
		.amdhsa_system_sgpr_workgroup_info 0
		.amdhsa_system_vgpr_workitem_id 0
		.amdhsa_next_free_vgpr 1
		.amdhsa_next_free_sgpr 0
		.amdhsa_accum_offset 4
		.amdhsa_reserve_vcc 0
		.amdhsa_float_round_mode_32 0
		.amdhsa_float_round_mode_16_64 0
		.amdhsa_float_denorm_mode_32 3
		.amdhsa_float_denorm_mode_16_64 3
		.amdhsa_dx10_clamp 1
		.amdhsa_ieee_mode 1
		.amdhsa_fp16_overflow 0
		.amdhsa_tg_split 0
		.amdhsa_exception_fp_ieee_invalid_op 0
		.amdhsa_exception_fp_denorm_src 0
		.amdhsa_exception_fp_ieee_div_zero 0
		.amdhsa_exception_fp_ieee_overflow 0
		.amdhsa_exception_fp_ieee_underflow 0
		.amdhsa_exception_fp_ieee_inexact 0
		.amdhsa_exception_int_div_zero 0
	.end_amdhsa_kernel
	.section	.text._ZN7rocprim17ROCPRIM_400000_NS6detail17trampoline_kernelINS0_14default_configENS1_38merge_sort_block_merge_config_selectorIxxEEZZNS1_27merge_sort_block_merge_implIS3_N6thrust23THRUST_200600_302600_NS6detail15normal_iteratorINS8_10device_ptrIxEEEESD_jNS1_19radix_merge_compareILb0ELb0ExNS0_19identity_decomposerEEEEE10hipError_tT0_T1_T2_jT3_P12ihipStream_tbPNSt15iterator_traitsISI_E10value_typeEPNSO_ISJ_E10value_typeEPSK_NS1_7vsmem_tEENKUlT_SI_SJ_SK_E_clIPxSD_S10_SD_EESH_SX_SI_SJ_SK_EUlSX_E1_NS1_11comp_targetILNS1_3genE5ELNS1_11target_archE942ELNS1_3gpuE9ELNS1_3repE0EEENS1_36merge_oddeven_config_static_selectorELNS0_4arch9wavefront6targetE1EEEvSJ_,"axG",@progbits,_ZN7rocprim17ROCPRIM_400000_NS6detail17trampoline_kernelINS0_14default_configENS1_38merge_sort_block_merge_config_selectorIxxEEZZNS1_27merge_sort_block_merge_implIS3_N6thrust23THRUST_200600_302600_NS6detail15normal_iteratorINS8_10device_ptrIxEEEESD_jNS1_19radix_merge_compareILb0ELb0ExNS0_19identity_decomposerEEEEE10hipError_tT0_T1_T2_jT3_P12ihipStream_tbPNSt15iterator_traitsISI_E10value_typeEPNSO_ISJ_E10value_typeEPSK_NS1_7vsmem_tEENKUlT_SI_SJ_SK_E_clIPxSD_S10_SD_EESH_SX_SI_SJ_SK_EUlSX_E1_NS1_11comp_targetILNS1_3genE5ELNS1_11target_archE942ELNS1_3gpuE9ELNS1_3repE0EEENS1_36merge_oddeven_config_static_selectorELNS0_4arch9wavefront6targetE1EEEvSJ_,comdat
.Lfunc_end1083:
	.size	_ZN7rocprim17ROCPRIM_400000_NS6detail17trampoline_kernelINS0_14default_configENS1_38merge_sort_block_merge_config_selectorIxxEEZZNS1_27merge_sort_block_merge_implIS3_N6thrust23THRUST_200600_302600_NS6detail15normal_iteratorINS8_10device_ptrIxEEEESD_jNS1_19radix_merge_compareILb0ELb0ExNS0_19identity_decomposerEEEEE10hipError_tT0_T1_T2_jT3_P12ihipStream_tbPNSt15iterator_traitsISI_E10value_typeEPNSO_ISJ_E10value_typeEPSK_NS1_7vsmem_tEENKUlT_SI_SJ_SK_E_clIPxSD_S10_SD_EESH_SX_SI_SJ_SK_EUlSX_E1_NS1_11comp_targetILNS1_3genE5ELNS1_11target_archE942ELNS1_3gpuE9ELNS1_3repE0EEENS1_36merge_oddeven_config_static_selectorELNS0_4arch9wavefront6targetE1EEEvSJ_, .Lfunc_end1083-_ZN7rocprim17ROCPRIM_400000_NS6detail17trampoline_kernelINS0_14default_configENS1_38merge_sort_block_merge_config_selectorIxxEEZZNS1_27merge_sort_block_merge_implIS3_N6thrust23THRUST_200600_302600_NS6detail15normal_iteratorINS8_10device_ptrIxEEEESD_jNS1_19radix_merge_compareILb0ELb0ExNS0_19identity_decomposerEEEEE10hipError_tT0_T1_T2_jT3_P12ihipStream_tbPNSt15iterator_traitsISI_E10value_typeEPNSO_ISJ_E10value_typeEPSK_NS1_7vsmem_tEENKUlT_SI_SJ_SK_E_clIPxSD_S10_SD_EESH_SX_SI_SJ_SK_EUlSX_E1_NS1_11comp_targetILNS1_3genE5ELNS1_11target_archE942ELNS1_3gpuE9ELNS1_3repE0EEENS1_36merge_oddeven_config_static_selectorELNS0_4arch9wavefront6targetE1EEEvSJ_
                                        ; -- End function
	.set _ZN7rocprim17ROCPRIM_400000_NS6detail17trampoline_kernelINS0_14default_configENS1_38merge_sort_block_merge_config_selectorIxxEEZZNS1_27merge_sort_block_merge_implIS3_N6thrust23THRUST_200600_302600_NS6detail15normal_iteratorINS8_10device_ptrIxEEEESD_jNS1_19radix_merge_compareILb0ELb0ExNS0_19identity_decomposerEEEEE10hipError_tT0_T1_T2_jT3_P12ihipStream_tbPNSt15iterator_traitsISI_E10value_typeEPNSO_ISJ_E10value_typeEPSK_NS1_7vsmem_tEENKUlT_SI_SJ_SK_E_clIPxSD_S10_SD_EESH_SX_SI_SJ_SK_EUlSX_E1_NS1_11comp_targetILNS1_3genE5ELNS1_11target_archE942ELNS1_3gpuE9ELNS1_3repE0EEENS1_36merge_oddeven_config_static_selectorELNS0_4arch9wavefront6targetE1EEEvSJ_.num_vgpr, 0
	.set _ZN7rocprim17ROCPRIM_400000_NS6detail17trampoline_kernelINS0_14default_configENS1_38merge_sort_block_merge_config_selectorIxxEEZZNS1_27merge_sort_block_merge_implIS3_N6thrust23THRUST_200600_302600_NS6detail15normal_iteratorINS8_10device_ptrIxEEEESD_jNS1_19radix_merge_compareILb0ELb0ExNS0_19identity_decomposerEEEEE10hipError_tT0_T1_T2_jT3_P12ihipStream_tbPNSt15iterator_traitsISI_E10value_typeEPNSO_ISJ_E10value_typeEPSK_NS1_7vsmem_tEENKUlT_SI_SJ_SK_E_clIPxSD_S10_SD_EESH_SX_SI_SJ_SK_EUlSX_E1_NS1_11comp_targetILNS1_3genE5ELNS1_11target_archE942ELNS1_3gpuE9ELNS1_3repE0EEENS1_36merge_oddeven_config_static_selectorELNS0_4arch9wavefront6targetE1EEEvSJ_.num_agpr, 0
	.set _ZN7rocprim17ROCPRIM_400000_NS6detail17trampoline_kernelINS0_14default_configENS1_38merge_sort_block_merge_config_selectorIxxEEZZNS1_27merge_sort_block_merge_implIS3_N6thrust23THRUST_200600_302600_NS6detail15normal_iteratorINS8_10device_ptrIxEEEESD_jNS1_19radix_merge_compareILb0ELb0ExNS0_19identity_decomposerEEEEE10hipError_tT0_T1_T2_jT3_P12ihipStream_tbPNSt15iterator_traitsISI_E10value_typeEPNSO_ISJ_E10value_typeEPSK_NS1_7vsmem_tEENKUlT_SI_SJ_SK_E_clIPxSD_S10_SD_EESH_SX_SI_SJ_SK_EUlSX_E1_NS1_11comp_targetILNS1_3genE5ELNS1_11target_archE942ELNS1_3gpuE9ELNS1_3repE0EEENS1_36merge_oddeven_config_static_selectorELNS0_4arch9wavefront6targetE1EEEvSJ_.numbered_sgpr, 0
	.set _ZN7rocprim17ROCPRIM_400000_NS6detail17trampoline_kernelINS0_14default_configENS1_38merge_sort_block_merge_config_selectorIxxEEZZNS1_27merge_sort_block_merge_implIS3_N6thrust23THRUST_200600_302600_NS6detail15normal_iteratorINS8_10device_ptrIxEEEESD_jNS1_19radix_merge_compareILb0ELb0ExNS0_19identity_decomposerEEEEE10hipError_tT0_T1_T2_jT3_P12ihipStream_tbPNSt15iterator_traitsISI_E10value_typeEPNSO_ISJ_E10value_typeEPSK_NS1_7vsmem_tEENKUlT_SI_SJ_SK_E_clIPxSD_S10_SD_EESH_SX_SI_SJ_SK_EUlSX_E1_NS1_11comp_targetILNS1_3genE5ELNS1_11target_archE942ELNS1_3gpuE9ELNS1_3repE0EEENS1_36merge_oddeven_config_static_selectorELNS0_4arch9wavefront6targetE1EEEvSJ_.num_named_barrier, 0
	.set _ZN7rocprim17ROCPRIM_400000_NS6detail17trampoline_kernelINS0_14default_configENS1_38merge_sort_block_merge_config_selectorIxxEEZZNS1_27merge_sort_block_merge_implIS3_N6thrust23THRUST_200600_302600_NS6detail15normal_iteratorINS8_10device_ptrIxEEEESD_jNS1_19radix_merge_compareILb0ELb0ExNS0_19identity_decomposerEEEEE10hipError_tT0_T1_T2_jT3_P12ihipStream_tbPNSt15iterator_traitsISI_E10value_typeEPNSO_ISJ_E10value_typeEPSK_NS1_7vsmem_tEENKUlT_SI_SJ_SK_E_clIPxSD_S10_SD_EESH_SX_SI_SJ_SK_EUlSX_E1_NS1_11comp_targetILNS1_3genE5ELNS1_11target_archE942ELNS1_3gpuE9ELNS1_3repE0EEENS1_36merge_oddeven_config_static_selectorELNS0_4arch9wavefront6targetE1EEEvSJ_.private_seg_size, 0
	.set _ZN7rocprim17ROCPRIM_400000_NS6detail17trampoline_kernelINS0_14default_configENS1_38merge_sort_block_merge_config_selectorIxxEEZZNS1_27merge_sort_block_merge_implIS3_N6thrust23THRUST_200600_302600_NS6detail15normal_iteratorINS8_10device_ptrIxEEEESD_jNS1_19radix_merge_compareILb0ELb0ExNS0_19identity_decomposerEEEEE10hipError_tT0_T1_T2_jT3_P12ihipStream_tbPNSt15iterator_traitsISI_E10value_typeEPNSO_ISJ_E10value_typeEPSK_NS1_7vsmem_tEENKUlT_SI_SJ_SK_E_clIPxSD_S10_SD_EESH_SX_SI_SJ_SK_EUlSX_E1_NS1_11comp_targetILNS1_3genE5ELNS1_11target_archE942ELNS1_3gpuE9ELNS1_3repE0EEENS1_36merge_oddeven_config_static_selectorELNS0_4arch9wavefront6targetE1EEEvSJ_.uses_vcc, 0
	.set _ZN7rocprim17ROCPRIM_400000_NS6detail17trampoline_kernelINS0_14default_configENS1_38merge_sort_block_merge_config_selectorIxxEEZZNS1_27merge_sort_block_merge_implIS3_N6thrust23THRUST_200600_302600_NS6detail15normal_iteratorINS8_10device_ptrIxEEEESD_jNS1_19radix_merge_compareILb0ELb0ExNS0_19identity_decomposerEEEEE10hipError_tT0_T1_T2_jT3_P12ihipStream_tbPNSt15iterator_traitsISI_E10value_typeEPNSO_ISJ_E10value_typeEPSK_NS1_7vsmem_tEENKUlT_SI_SJ_SK_E_clIPxSD_S10_SD_EESH_SX_SI_SJ_SK_EUlSX_E1_NS1_11comp_targetILNS1_3genE5ELNS1_11target_archE942ELNS1_3gpuE9ELNS1_3repE0EEENS1_36merge_oddeven_config_static_selectorELNS0_4arch9wavefront6targetE1EEEvSJ_.uses_flat_scratch, 0
	.set _ZN7rocprim17ROCPRIM_400000_NS6detail17trampoline_kernelINS0_14default_configENS1_38merge_sort_block_merge_config_selectorIxxEEZZNS1_27merge_sort_block_merge_implIS3_N6thrust23THRUST_200600_302600_NS6detail15normal_iteratorINS8_10device_ptrIxEEEESD_jNS1_19radix_merge_compareILb0ELb0ExNS0_19identity_decomposerEEEEE10hipError_tT0_T1_T2_jT3_P12ihipStream_tbPNSt15iterator_traitsISI_E10value_typeEPNSO_ISJ_E10value_typeEPSK_NS1_7vsmem_tEENKUlT_SI_SJ_SK_E_clIPxSD_S10_SD_EESH_SX_SI_SJ_SK_EUlSX_E1_NS1_11comp_targetILNS1_3genE5ELNS1_11target_archE942ELNS1_3gpuE9ELNS1_3repE0EEENS1_36merge_oddeven_config_static_selectorELNS0_4arch9wavefront6targetE1EEEvSJ_.has_dyn_sized_stack, 0
	.set _ZN7rocprim17ROCPRIM_400000_NS6detail17trampoline_kernelINS0_14default_configENS1_38merge_sort_block_merge_config_selectorIxxEEZZNS1_27merge_sort_block_merge_implIS3_N6thrust23THRUST_200600_302600_NS6detail15normal_iteratorINS8_10device_ptrIxEEEESD_jNS1_19radix_merge_compareILb0ELb0ExNS0_19identity_decomposerEEEEE10hipError_tT0_T1_T2_jT3_P12ihipStream_tbPNSt15iterator_traitsISI_E10value_typeEPNSO_ISJ_E10value_typeEPSK_NS1_7vsmem_tEENKUlT_SI_SJ_SK_E_clIPxSD_S10_SD_EESH_SX_SI_SJ_SK_EUlSX_E1_NS1_11comp_targetILNS1_3genE5ELNS1_11target_archE942ELNS1_3gpuE9ELNS1_3repE0EEENS1_36merge_oddeven_config_static_selectorELNS0_4arch9wavefront6targetE1EEEvSJ_.has_recursion, 0
	.set _ZN7rocprim17ROCPRIM_400000_NS6detail17trampoline_kernelINS0_14default_configENS1_38merge_sort_block_merge_config_selectorIxxEEZZNS1_27merge_sort_block_merge_implIS3_N6thrust23THRUST_200600_302600_NS6detail15normal_iteratorINS8_10device_ptrIxEEEESD_jNS1_19radix_merge_compareILb0ELb0ExNS0_19identity_decomposerEEEEE10hipError_tT0_T1_T2_jT3_P12ihipStream_tbPNSt15iterator_traitsISI_E10value_typeEPNSO_ISJ_E10value_typeEPSK_NS1_7vsmem_tEENKUlT_SI_SJ_SK_E_clIPxSD_S10_SD_EESH_SX_SI_SJ_SK_EUlSX_E1_NS1_11comp_targetILNS1_3genE5ELNS1_11target_archE942ELNS1_3gpuE9ELNS1_3repE0EEENS1_36merge_oddeven_config_static_selectorELNS0_4arch9wavefront6targetE1EEEvSJ_.has_indirect_call, 0
	.section	.AMDGPU.csdata,"",@progbits
; Kernel info:
; codeLenInByte = 0
; TotalNumSgprs: 6
; NumVgprs: 0
; NumAgprs: 0
; TotalNumVgprs: 0
; ScratchSize: 0
; MemoryBound: 0
; FloatMode: 240
; IeeeMode: 1
; LDSByteSize: 0 bytes/workgroup (compile time only)
; SGPRBlocks: 0
; VGPRBlocks: 0
; NumSGPRsForWavesPerEU: 6
; NumVGPRsForWavesPerEU: 1
; AccumOffset: 4
; Occupancy: 8
; WaveLimiterHint : 0
; COMPUTE_PGM_RSRC2:SCRATCH_EN: 0
; COMPUTE_PGM_RSRC2:USER_SGPR: 2
; COMPUTE_PGM_RSRC2:TRAP_HANDLER: 0
; COMPUTE_PGM_RSRC2:TGID_X_EN: 1
; COMPUTE_PGM_RSRC2:TGID_Y_EN: 0
; COMPUTE_PGM_RSRC2:TGID_Z_EN: 0
; COMPUTE_PGM_RSRC2:TIDIG_COMP_CNT: 0
; COMPUTE_PGM_RSRC3_GFX90A:ACCUM_OFFSET: 0
; COMPUTE_PGM_RSRC3_GFX90A:TG_SPLIT: 0
	.section	.text._ZN7rocprim17ROCPRIM_400000_NS6detail17trampoline_kernelINS0_14default_configENS1_38merge_sort_block_merge_config_selectorIxxEEZZNS1_27merge_sort_block_merge_implIS3_N6thrust23THRUST_200600_302600_NS6detail15normal_iteratorINS8_10device_ptrIxEEEESD_jNS1_19radix_merge_compareILb0ELb0ExNS0_19identity_decomposerEEEEE10hipError_tT0_T1_T2_jT3_P12ihipStream_tbPNSt15iterator_traitsISI_E10value_typeEPNSO_ISJ_E10value_typeEPSK_NS1_7vsmem_tEENKUlT_SI_SJ_SK_E_clIPxSD_S10_SD_EESH_SX_SI_SJ_SK_EUlSX_E1_NS1_11comp_targetILNS1_3genE4ELNS1_11target_archE910ELNS1_3gpuE8ELNS1_3repE0EEENS1_36merge_oddeven_config_static_selectorELNS0_4arch9wavefront6targetE1EEEvSJ_,"axG",@progbits,_ZN7rocprim17ROCPRIM_400000_NS6detail17trampoline_kernelINS0_14default_configENS1_38merge_sort_block_merge_config_selectorIxxEEZZNS1_27merge_sort_block_merge_implIS3_N6thrust23THRUST_200600_302600_NS6detail15normal_iteratorINS8_10device_ptrIxEEEESD_jNS1_19radix_merge_compareILb0ELb0ExNS0_19identity_decomposerEEEEE10hipError_tT0_T1_T2_jT3_P12ihipStream_tbPNSt15iterator_traitsISI_E10value_typeEPNSO_ISJ_E10value_typeEPSK_NS1_7vsmem_tEENKUlT_SI_SJ_SK_E_clIPxSD_S10_SD_EESH_SX_SI_SJ_SK_EUlSX_E1_NS1_11comp_targetILNS1_3genE4ELNS1_11target_archE910ELNS1_3gpuE8ELNS1_3repE0EEENS1_36merge_oddeven_config_static_selectorELNS0_4arch9wavefront6targetE1EEEvSJ_,comdat
	.protected	_ZN7rocprim17ROCPRIM_400000_NS6detail17trampoline_kernelINS0_14default_configENS1_38merge_sort_block_merge_config_selectorIxxEEZZNS1_27merge_sort_block_merge_implIS3_N6thrust23THRUST_200600_302600_NS6detail15normal_iteratorINS8_10device_ptrIxEEEESD_jNS1_19radix_merge_compareILb0ELb0ExNS0_19identity_decomposerEEEEE10hipError_tT0_T1_T2_jT3_P12ihipStream_tbPNSt15iterator_traitsISI_E10value_typeEPNSO_ISJ_E10value_typeEPSK_NS1_7vsmem_tEENKUlT_SI_SJ_SK_E_clIPxSD_S10_SD_EESH_SX_SI_SJ_SK_EUlSX_E1_NS1_11comp_targetILNS1_3genE4ELNS1_11target_archE910ELNS1_3gpuE8ELNS1_3repE0EEENS1_36merge_oddeven_config_static_selectorELNS0_4arch9wavefront6targetE1EEEvSJ_ ; -- Begin function _ZN7rocprim17ROCPRIM_400000_NS6detail17trampoline_kernelINS0_14default_configENS1_38merge_sort_block_merge_config_selectorIxxEEZZNS1_27merge_sort_block_merge_implIS3_N6thrust23THRUST_200600_302600_NS6detail15normal_iteratorINS8_10device_ptrIxEEEESD_jNS1_19radix_merge_compareILb0ELb0ExNS0_19identity_decomposerEEEEE10hipError_tT0_T1_T2_jT3_P12ihipStream_tbPNSt15iterator_traitsISI_E10value_typeEPNSO_ISJ_E10value_typeEPSK_NS1_7vsmem_tEENKUlT_SI_SJ_SK_E_clIPxSD_S10_SD_EESH_SX_SI_SJ_SK_EUlSX_E1_NS1_11comp_targetILNS1_3genE4ELNS1_11target_archE910ELNS1_3gpuE8ELNS1_3repE0EEENS1_36merge_oddeven_config_static_selectorELNS0_4arch9wavefront6targetE1EEEvSJ_
	.globl	_ZN7rocprim17ROCPRIM_400000_NS6detail17trampoline_kernelINS0_14default_configENS1_38merge_sort_block_merge_config_selectorIxxEEZZNS1_27merge_sort_block_merge_implIS3_N6thrust23THRUST_200600_302600_NS6detail15normal_iteratorINS8_10device_ptrIxEEEESD_jNS1_19radix_merge_compareILb0ELb0ExNS0_19identity_decomposerEEEEE10hipError_tT0_T1_T2_jT3_P12ihipStream_tbPNSt15iterator_traitsISI_E10value_typeEPNSO_ISJ_E10value_typeEPSK_NS1_7vsmem_tEENKUlT_SI_SJ_SK_E_clIPxSD_S10_SD_EESH_SX_SI_SJ_SK_EUlSX_E1_NS1_11comp_targetILNS1_3genE4ELNS1_11target_archE910ELNS1_3gpuE8ELNS1_3repE0EEENS1_36merge_oddeven_config_static_selectorELNS0_4arch9wavefront6targetE1EEEvSJ_
	.p2align	8
	.type	_ZN7rocprim17ROCPRIM_400000_NS6detail17trampoline_kernelINS0_14default_configENS1_38merge_sort_block_merge_config_selectorIxxEEZZNS1_27merge_sort_block_merge_implIS3_N6thrust23THRUST_200600_302600_NS6detail15normal_iteratorINS8_10device_ptrIxEEEESD_jNS1_19radix_merge_compareILb0ELb0ExNS0_19identity_decomposerEEEEE10hipError_tT0_T1_T2_jT3_P12ihipStream_tbPNSt15iterator_traitsISI_E10value_typeEPNSO_ISJ_E10value_typeEPSK_NS1_7vsmem_tEENKUlT_SI_SJ_SK_E_clIPxSD_S10_SD_EESH_SX_SI_SJ_SK_EUlSX_E1_NS1_11comp_targetILNS1_3genE4ELNS1_11target_archE910ELNS1_3gpuE8ELNS1_3repE0EEENS1_36merge_oddeven_config_static_selectorELNS0_4arch9wavefront6targetE1EEEvSJ_,@function
_ZN7rocprim17ROCPRIM_400000_NS6detail17trampoline_kernelINS0_14default_configENS1_38merge_sort_block_merge_config_selectorIxxEEZZNS1_27merge_sort_block_merge_implIS3_N6thrust23THRUST_200600_302600_NS6detail15normal_iteratorINS8_10device_ptrIxEEEESD_jNS1_19radix_merge_compareILb0ELb0ExNS0_19identity_decomposerEEEEE10hipError_tT0_T1_T2_jT3_P12ihipStream_tbPNSt15iterator_traitsISI_E10value_typeEPNSO_ISJ_E10value_typeEPSK_NS1_7vsmem_tEENKUlT_SI_SJ_SK_E_clIPxSD_S10_SD_EESH_SX_SI_SJ_SK_EUlSX_E1_NS1_11comp_targetILNS1_3genE4ELNS1_11target_archE910ELNS1_3gpuE8ELNS1_3repE0EEENS1_36merge_oddeven_config_static_selectorELNS0_4arch9wavefront6targetE1EEEvSJ_: ; @_ZN7rocprim17ROCPRIM_400000_NS6detail17trampoline_kernelINS0_14default_configENS1_38merge_sort_block_merge_config_selectorIxxEEZZNS1_27merge_sort_block_merge_implIS3_N6thrust23THRUST_200600_302600_NS6detail15normal_iteratorINS8_10device_ptrIxEEEESD_jNS1_19radix_merge_compareILb0ELb0ExNS0_19identity_decomposerEEEEE10hipError_tT0_T1_T2_jT3_P12ihipStream_tbPNSt15iterator_traitsISI_E10value_typeEPNSO_ISJ_E10value_typeEPSK_NS1_7vsmem_tEENKUlT_SI_SJ_SK_E_clIPxSD_S10_SD_EESH_SX_SI_SJ_SK_EUlSX_E1_NS1_11comp_targetILNS1_3genE4ELNS1_11target_archE910ELNS1_3gpuE8ELNS1_3repE0EEENS1_36merge_oddeven_config_static_selectorELNS0_4arch9wavefront6targetE1EEEvSJ_
; %bb.0:
	.section	.rodata,"a",@progbits
	.p2align	6, 0x0
	.amdhsa_kernel _ZN7rocprim17ROCPRIM_400000_NS6detail17trampoline_kernelINS0_14default_configENS1_38merge_sort_block_merge_config_selectorIxxEEZZNS1_27merge_sort_block_merge_implIS3_N6thrust23THRUST_200600_302600_NS6detail15normal_iteratorINS8_10device_ptrIxEEEESD_jNS1_19radix_merge_compareILb0ELb0ExNS0_19identity_decomposerEEEEE10hipError_tT0_T1_T2_jT3_P12ihipStream_tbPNSt15iterator_traitsISI_E10value_typeEPNSO_ISJ_E10value_typeEPSK_NS1_7vsmem_tEENKUlT_SI_SJ_SK_E_clIPxSD_S10_SD_EESH_SX_SI_SJ_SK_EUlSX_E1_NS1_11comp_targetILNS1_3genE4ELNS1_11target_archE910ELNS1_3gpuE8ELNS1_3repE0EEENS1_36merge_oddeven_config_static_selectorELNS0_4arch9wavefront6targetE1EEEvSJ_
		.amdhsa_group_segment_fixed_size 0
		.amdhsa_private_segment_fixed_size 0
		.amdhsa_kernarg_size 48
		.amdhsa_user_sgpr_count 2
		.amdhsa_user_sgpr_dispatch_ptr 0
		.amdhsa_user_sgpr_queue_ptr 0
		.amdhsa_user_sgpr_kernarg_segment_ptr 1
		.amdhsa_user_sgpr_dispatch_id 0
		.amdhsa_user_sgpr_kernarg_preload_length 0
		.amdhsa_user_sgpr_kernarg_preload_offset 0
		.amdhsa_user_sgpr_private_segment_size 0
		.amdhsa_uses_dynamic_stack 0
		.amdhsa_enable_private_segment 0
		.amdhsa_system_sgpr_workgroup_id_x 1
		.amdhsa_system_sgpr_workgroup_id_y 0
		.amdhsa_system_sgpr_workgroup_id_z 0
		.amdhsa_system_sgpr_workgroup_info 0
		.amdhsa_system_vgpr_workitem_id 0
		.amdhsa_next_free_vgpr 1
		.amdhsa_next_free_sgpr 0
		.amdhsa_accum_offset 4
		.amdhsa_reserve_vcc 0
		.amdhsa_float_round_mode_32 0
		.amdhsa_float_round_mode_16_64 0
		.amdhsa_float_denorm_mode_32 3
		.amdhsa_float_denorm_mode_16_64 3
		.amdhsa_dx10_clamp 1
		.amdhsa_ieee_mode 1
		.amdhsa_fp16_overflow 0
		.amdhsa_tg_split 0
		.amdhsa_exception_fp_ieee_invalid_op 0
		.amdhsa_exception_fp_denorm_src 0
		.amdhsa_exception_fp_ieee_div_zero 0
		.amdhsa_exception_fp_ieee_overflow 0
		.amdhsa_exception_fp_ieee_underflow 0
		.amdhsa_exception_fp_ieee_inexact 0
		.amdhsa_exception_int_div_zero 0
	.end_amdhsa_kernel
	.section	.text._ZN7rocprim17ROCPRIM_400000_NS6detail17trampoline_kernelINS0_14default_configENS1_38merge_sort_block_merge_config_selectorIxxEEZZNS1_27merge_sort_block_merge_implIS3_N6thrust23THRUST_200600_302600_NS6detail15normal_iteratorINS8_10device_ptrIxEEEESD_jNS1_19radix_merge_compareILb0ELb0ExNS0_19identity_decomposerEEEEE10hipError_tT0_T1_T2_jT3_P12ihipStream_tbPNSt15iterator_traitsISI_E10value_typeEPNSO_ISJ_E10value_typeEPSK_NS1_7vsmem_tEENKUlT_SI_SJ_SK_E_clIPxSD_S10_SD_EESH_SX_SI_SJ_SK_EUlSX_E1_NS1_11comp_targetILNS1_3genE4ELNS1_11target_archE910ELNS1_3gpuE8ELNS1_3repE0EEENS1_36merge_oddeven_config_static_selectorELNS0_4arch9wavefront6targetE1EEEvSJ_,"axG",@progbits,_ZN7rocprim17ROCPRIM_400000_NS6detail17trampoline_kernelINS0_14default_configENS1_38merge_sort_block_merge_config_selectorIxxEEZZNS1_27merge_sort_block_merge_implIS3_N6thrust23THRUST_200600_302600_NS6detail15normal_iteratorINS8_10device_ptrIxEEEESD_jNS1_19radix_merge_compareILb0ELb0ExNS0_19identity_decomposerEEEEE10hipError_tT0_T1_T2_jT3_P12ihipStream_tbPNSt15iterator_traitsISI_E10value_typeEPNSO_ISJ_E10value_typeEPSK_NS1_7vsmem_tEENKUlT_SI_SJ_SK_E_clIPxSD_S10_SD_EESH_SX_SI_SJ_SK_EUlSX_E1_NS1_11comp_targetILNS1_3genE4ELNS1_11target_archE910ELNS1_3gpuE8ELNS1_3repE0EEENS1_36merge_oddeven_config_static_selectorELNS0_4arch9wavefront6targetE1EEEvSJ_,comdat
.Lfunc_end1084:
	.size	_ZN7rocprim17ROCPRIM_400000_NS6detail17trampoline_kernelINS0_14default_configENS1_38merge_sort_block_merge_config_selectorIxxEEZZNS1_27merge_sort_block_merge_implIS3_N6thrust23THRUST_200600_302600_NS6detail15normal_iteratorINS8_10device_ptrIxEEEESD_jNS1_19radix_merge_compareILb0ELb0ExNS0_19identity_decomposerEEEEE10hipError_tT0_T1_T2_jT3_P12ihipStream_tbPNSt15iterator_traitsISI_E10value_typeEPNSO_ISJ_E10value_typeEPSK_NS1_7vsmem_tEENKUlT_SI_SJ_SK_E_clIPxSD_S10_SD_EESH_SX_SI_SJ_SK_EUlSX_E1_NS1_11comp_targetILNS1_3genE4ELNS1_11target_archE910ELNS1_3gpuE8ELNS1_3repE0EEENS1_36merge_oddeven_config_static_selectorELNS0_4arch9wavefront6targetE1EEEvSJ_, .Lfunc_end1084-_ZN7rocprim17ROCPRIM_400000_NS6detail17trampoline_kernelINS0_14default_configENS1_38merge_sort_block_merge_config_selectorIxxEEZZNS1_27merge_sort_block_merge_implIS3_N6thrust23THRUST_200600_302600_NS6detail15normal_iteratorINS8_10device_ptrIxEEEESD_jNS1_19radix_merge_compareILb0ELb0ExNS0_19identity_decomposerEEEEE10hipError_tT0_T1_T2_jT3_P12ihipStream_tbPNSt15iterator_traitsISI_E10value_typeEPNSO_ISJ_E10value_typeEPSK_NS1_7vsmem_tEENKUlT_SI_SJ_SK_E_clIPxSD_S10_SD_EESH_SX_SI_SJ_SK_EUlSX_E1_NS1_11comp_targetILNS1_3genE4ELNS1_11target_archE910ELNS1_3gpuE8ELNS1_3repE0EEENS1_36merge_oddeven_config_static_selectorELNS0_4arch9wavefront6targetE1EEEvSJ_
                                        ; -- End function
	.set _ZN7rocprim17ROCPRIM_400000_NS6detail17trampoline_kernelINS0_14default_configENS1_38merge_sort_block_merge_config_selectorIxxEEZZNS1_27merge_sort_block_merge_implIS3_N6thrust23THRUST_200600_302600_NS6detail15normal_iteratorINS8_10device_ptrIxEEEESD_jNS1_19radix_merge_compareILb0ELb0ExNS0_19identity_decomposerEEEEE10hipError_tT0_T1_T2_jT3_P12ihipStream_tbPNSt15iterator_traitsISI_E10value_typeEPNSO_ISJ_E10value_typeEPSK_NS1_7vsmem_tEENKUlT_SI_SJ_SK_E_clIPxSD_S10_SD_EESH_SX_SI_SJ_SK_EUlSX_E1_NS1_11comp_targetILNS1_3genE4ELNS1_11target_archE910ELNS1_3gpuE8ELNS1_3repE0EEENS1_36merge_oddeven_config_static_selectorELNS0_4arch9wavefront6targetE1EEEvSJ_.num_vgpr, 0
	.set _ZN7rocprim17ROCPRIM_400000_NS6detail17trampoline_kernelINS0_14default_configENS1_38merge_sort_block_merge_config_selectorIxxEEZZNS1_27merge_sort_block_merge_implIS3_N6thrust23THRUST_200600_302600_NS6detail15normal_iteratorINS8_10device_ptrIxEEEESD_jNS1_19radix_merge_compareILb0ELb0ExNS0_19identity_decomposerEEEEE10hipError_tT0_T1_T2_jT3_P12ihipStream_tbPNSt15iterator_traitsISI_E10value_typeEPNSO_ISJ_E10value_typeEPSK_NS1_7vsmem_tEENKUlT_SI_SJ_SK_E_clIPxSD_S10_SD_EESH_SX_SI_SJ_SK_EUlSX_E1_NS1_11comp_targetILNS1_3genE4ELNS1_11target_archE910ELNS1_3gpuE8ELNS1_3repE0EEENS1_36merge_oddeven_config_static_selectorELNS0_4arch9wavefront6targetE1EEEvSJ_.num_agpr, 0
	.set _ZN7rocprim17ROCPRIM_400000_NS6detail17trampoline_kernelINS0_14default_configENS1_38merge_sort_block_merge_config_selectorIxxEEZZNS1_27merge_sort_block_merge_implIS3_N6thrust23THRUST_200600_302600_NS6detail15normal_iteratorINS8_10device_ptrIxEEEESD_jNS1_19radix_merge_compareILb0ELb0ExNS0_19identity_decomposerEEEEE10hipError_tT0_T1_T2_jT3_P12ihipStream_tbPNSt15iterator_traitsISI_E10value_typeEPNSO_ISJ_E10value_typeEPSK_NS1_7vsmem_tEENKUlT_SI_SJ_SK_E_clIPxSD_S10_SD_EESH_SX_SI_SJ_SK_EUlSX_E1_NS1_11comp_targetILNS1_3genE4ELNS1_11target_archE910ELNS1_3gpuE8ELNS1_3repE0EEENS1_36merge_oddeven_config_static_selectorELNS0_4arch9wavefront6targetE1EEEvSJ_.numbered_sgpr, 0
	.set _ZN7rocprim17ROCPRIM_400000_NS6detail17trampoline_kernelINS0_14default_configENS1_38merge_sort_block_merge_config_selectorIxxEEZZNS1_27merge_sort_block_merge_implIS3_N6thrust23THRUST_200600_302600_NS6detail15normal_iteratorINS8_10device_ptrIxEEEESD_jNS1_19radix_merge_compareILb0ELb0ExNS0_19identity_decomposerEEEEE10hipError_tT0_T1_T2_jT3_P12ihipStream_tbPNSt15iterator_traitsISI_E10value_typeEPNSO_ISJ_E10value_typeEPSK_NS1_7vsmem_tEENKUlT_SI_SJ_SK_E_clIPxSD_S10_SD_EESH_SX_SI_SJ_SK_EUlSX_E1_NS1_11comp_targetILNS1_3genE4ELNS1_11target_archE910ELNS1_3gpuE8ELNS1_3repE0EEENS1_36merge_oddeven_config_static_selectorELNS0_4arch9wavefront6targetE1EEEvSJ_.num_named_barrier, 0
	.set _ZN7rocprim17ROCPRIM_400000_NS6detail17trampoline_kernelINS0_14default_configENS1_38merge_sort_block_merge_config_selectorIxxEEZZNS1_27merge_sort_block_merge_implIS3_N6thrust23THRUST_200600_302600_NS6detail15normal_iteratorINS8_10device_ptrIxEEEESD_jNS1_19radix_merge_compareILb0ELb0ExNS0_19identity_decomposerEEEEE10hipError_tT0_T1_T2_jT3_P12ihipStream_tbPNSt15iterator_traitsISI_E10value_typeEPNSO_ISJ_E10value_typeEPSK_NS1_7vsmem_tEENKUlT_SI_SJ_SK_E_clIPxSD_S10_SD_EESH_SX_SI_SJ_SK_EUlSX_E1_NS1_11comp_targetILNS1_3genE4ELNS1_11target_archE910ELNS1_3gpuE8ELNS1_3repE0EEENS1_36merge_oddeven_config_static_selectorELNS0_4arch9wavefront6targetE1EEEvSJ_.private_seg_size, 0
	.set _ZN7rocprim17ROCPRIM_400000_NS6detail17trampoline_kernelINS0_14default_configENS1_38merge_sort_block_merge_config_selectorIxxEEZZNS1_27merge_sort_block_merge_implIS3_N6thrust23THRUST_200600_302600_NS6detail15normal_iteratorINS8_10device_ptrIxEEEESD_jNS1_19radix_merge_compareILb0ELb0ExNS0_19identity_decomposerEEEEE10hipError_tT0_T1_T2_jT3_P12ihipStream_tbPNSt15iterator_traitsISI_E10value_typeEPNSO_ISJ_E10value_typeEPSK_NS1_7vsmem_tEENKUlT_SI_SJ_SK_E_clIPxSD_S10_SD_EESH_SX_SI_SJ_SK_EUlSX_E1_NS1_11comp_targetILNS1_3genE4ELNS1_11target_archE910ELNS1_3gpuE8ELNS1_3repE0EEENS1_36merge_oddeven_config_static_selectorELNS0_4arch9wavefront6targetE1EEEvSJ_.uses_vcc, 0
	.set _ZN7rocprim17ROCPRIM_400000_NS6detail17trampoline_kernelINS0_14default_configENS1_38merge_sort_block_merge_config_selectorIxxEEZZNS1_27merge_sort_block_merge_implIS3_N6thrust23THRUST_200600_302600_NS6detail15normal_iteratorINS8_10device_ptrIxEEEESD_jNS1_19radix_merge_compareILb0ELb0ExNS0_19identity_decomposerEEEEE10hipError_tT0_T1_T2_jT3_P12ihipStream_tbPNSt15iterator_traitsISI_E10value_typeEPNSO_ISJ_E10value_typeEPSK_NS1_7vsmem_tEENKUlT_SI_SJ_SK_E_clIPxSD_S10_SD_EESH_SX_SI_SJ_SK_EUlSX_E1_NS1_11comp_targetILNS1_3genE4ELNS1_11target_archE910ELNS1_3gpuE8ELNS1_3repE0EEENS1_36merge_oddeven_config_static_selectorELNS0_4arch9wavefront6targetE1EEEvSJ_.uses_flat_scratch, 0
	.set _ZN7rocprim17ROCPRIM_400000_NS6detail17trampoline_kernelINS0_14default_configENS1_38merge_sort_block_merge_config_selectorIxxEEZZNS1_27merge_sort_block_merge_implIS3_N6thrust23THRUST_200600_302600_NS6detail15normal_iteratorINS8_10device_ptrIxEEEESD_jNS1_19radix_merge_compareILb0ELb0ExNS0_19identity_decomposerEEEEE10hipError_tT0_T1_T2_jT3_P12ihipStream_tbPNSt15iterator_traitsISI_E10value_typeEPNSO_ISJ_E10value_typeEPSK_NS1_7vsmem_tEENKUlT_SI_SJ_SK_E_clIPxSD_S10_SD_EESH_SX_SI_SJ_SK_EUlSX_E1_NS1_11comp_targetILNS1_3genE4ELNS1_11target_archE910ELNS1_3gpuE8ELNS1_3repE0EEENS1_36merge_oddeven_config_static_selectorELNS0_4arch9wavefront6targetE1EEEvSJ_.has_dyn_sized_stack, 0
	.set _ZN7rocprim17ROCPRIM_400000_NS6detail17trampoline_kernelINS0_14default_configENS1_38merge_sort_block_merge_config_selectorIxxEEZZNS1_27merge_sort_block_merge_implIS3_N6thrust23THRUST_200600_302600_NS6detail15normal_iteratorINS8_10device_ptrIxEEEESD_jNS1_19radix_merge_compareILb0ELb0ExNS0_19identity_decomposerEEEEE10hipError_tT0_T1_T2_jT3_P12ihipStream_tbPNSt15iterator_traitsISI_E10value_typeEPNSO_ISJ_E10value_typeEPSK_NS1_7vsmem_tEENKUlT_SI_SJ_SK_E_clIPxSD_S10_SD_EESH_SX_SI_SJ_SK_EUlSX_E1_NS1_11comp_targetILNS1_3genE4ELNS1_11target_archE910ELNS1_3gpuE8ELNS1_3repE0EEENS1_36merge_oddeven_config_static_selectorELNS0_4arch9wavefront6targetE1EEEvSJ_.has_recursion, 0
	.set _ZN7rocprim17ROCPRIM_400000_NS6detail17trampoline_kernelINS0_14default_configENS1_38merge_sort_block_merge_config_selectorIxxEEZZNS1_27merge_sort_block_merge_implIS3_N6thrust23THRUST_200600_302600_NS6detail15normal_iteratorINS8_10device_ptrIxEEEESD_jNS1_19radix_merge_compareILb0ELb0ExNS0_19identity_decomposerEEEEE10hipError_tT0_T1_T2_jT3_P12ihipStream_tbPNSt15iterator_traitsISI_E10value_typeEPNSO_ISJ_E10value_typeEPSK_NS1_7vsmem_tEENKUlT_SI_SJ_SK_E_clIPxSD_S10_SD_EESH_SX_SI_SJ_SK_EUlSX_E1_NS1_11comp_targetILNS1_3genE4ELNS1_11target_archE910ELNS1_3gpuE8ELNS1_3repE0EEENS1_36merge_oddeven_config_static_selectorELNS0_4arch9wavefront6targetE1EEEvSJ_.has_indirect_call, 0
	.section	.AMDGPU.csdata,"",@progbits
; Kernel info:
; codeLenInByte = 0
; TotalNumSgprs: 6
; NumVgprs: 0
; NumAgprs: 0
; TotalNumVgprs: 0
; ScratchSize: 0
; MemoryBound: 0
; FloatMode: 240
; IeeeMode: 1
; LDSByteSize: 0 bytes/workgroup (compile time only)
; SGPRBlocks: 0
; VGPRBlocks: 0
; NumSGPRsForWavesPerEU: 6
; NumVGPRsForWavesPerEU: 1
; AccumOffset: 4
; Occupancy: 8
; WaveLimiterHint : 0
; COMPUTE_PGM_RSRC2:SCRATCH_EN: 0
; COMPUTE_PGM_RSRC2:USER_SGPR: 2
; COMPUTE_PGM_RSRC2:TRAP_HANDLER: 0
; COMPUTE_PGM_RSRC2:TGID_X_EN: 1
; COMPUTE_PGM_RSRC2:TGID_Y_EN: 0
; COMPUTE_PGM_RSRC2:TGID_Z_EN: 0
; COMPUTE_PGM_RSRC2:TIDIG_COMP_CNT: 0
; COMPUTE_PGM_RSRC3_GFX90A:ACCUM_OFFSET: 0
; COMPUTE_PGM_RSRC3_GFX90A:TG_SPLIT: 0
	.section	.text._ZN7rocprim17ROCPRIM_400000_NS6detail17trampoline_kernelINS0_14default_configENS1_38merge_sort_block_merge_config_selectorIxxEEZZNS1_27merge_sort_block_merge_implIS3_N6thrust23THRUST_200600_302600_NS6detail15normal_iteratorINS8_10device_ptrIxEEEESD_jNS1_19radix_merge_compareILb0ELb0ExNS0_19identity_decomposerEEEEE10hipError_tT0_T1_T2_jT3_P12ihipStream_tbPNSt15iterator_traitsISI_E10value_typeEPNSO_ISJ_E10value_typeEPSK_NS1_7vsmem_tEENKUlT_SI_SJ_SK_E_clIPxSD_S10_SD_EESH_SX_SI_SJ_SK_EUlSX_E1_NS1_11comp_targetILNS1_3genE3ELNS1_11target_archE908ELNS1_3gpuE7ELNS1_3repE0EEENS1_36merge_oddeven_config_static_selectorELNS0_4arch9wavefront6targetE1EEEvSJ_,"axG",@progbits,_ZN7rocprim17ROCPRIM_400000_NS6detail17trampoline_kernelINS0_14default_configENS1_38merge_sort_block_merge_config_selectorIxxEEZZNS1_27merge_sort_block_merge_implIS3_N6thrust23THRUST_200600_302600_NS6detail15normal_iteratorINS8_10device_ptrIxEEEESD_jNS1_19radix_merge_compareILb0ELb0ExNS0_19identity_decomposerEEEEE10hipError_tT0_T1_T2_jT3_P12ihipStream_tbPNSt15iterator_traitsISI_E10value_typeEPNSO_ISJ_E10value_typeEPSK_NS1_7vsmem_tEENKUlT_SI_SJ_SK_E_clIPxSD_S10_SD_EESH_SX_SI_SJ_SK_EUlSX_E1_NS1_11comp_targetILNS1_3genE3ELNS1_11target_archE908ELNS1_3gpuE7ELNS1_3repE0EEENS1_36merge_oddeven_config_static_selectorELNS0_4arch9wavefront6targetE1EEEvSJ_,comdat
	.protected	_ZN7rocprim17ROCPRIM_400000_NS6detail17trampoline_kernelINS0_14default_configENS1_38merge_sort_block_merge_config_selectorIxxEEZZNS1_27merge_sort_block_merge_implIS3_N6thrust23THRUST_200600_302600_NS6detail15normal_iteratorINS8_10device_ptrIxEEEESD_jNS1_19radix_merge_compareILb0ELb0ExNS0_19identity_decomposerEEEEE10hipError_tT0_T1_T2_jT3_P12ihipStream_tbPNSt15iterator_traitsISI_E10value_typeEPNSO_ISJ_E10value_typeEPSK_NS1_7vsmem_tEENKUlT_SI_SJ_SK_E_clIPxSD_S10_SD_EESH_SX_SI_SJ_SK_EUlSX_E1_NS1_11comp_targetILNS1_3genE3ELNS1_11target_archE908ELNS1_3gpuE7ELNS1_3repE0EEENS1_36merge_oddeven_config_static_selectorELNS0_4arch9wavefront6targetE1EEEvSJ_ ; -- Begin function _ZN7rocprim17ROCPRIM_400000_NS6detail17trampoline_kernelINS0_14default_configENS1_38merge_sort_block_merge_config_selectorIxxEEZZNS1_27merge_sort_block_merge_implIS3_N6thrust23THRUST_200600_302600_NS6detail15normal_iteratorINS8_10device_ptrIxEEEESD_jNS1_19radix_merge_compareILb0ELb0ExNS0_19identity_decomposerEEEEE10hipError_tT0_T1_T2_jT3_P12ihipStream_tbPNSt15iterator_traitsISI_E10value_typeEPNSO_ISJ_E10value_typeEPSK_NS1_7vsmem_tEENKUlT_SI_SJ_SK_E_clIPxSD_S10_SD_EESH_SX_SI_SJ_SK_EUlSX_E1_NS1_11comp_targetILNS1_3genE3ELNS1_11target_archE908ELNS1_3gpuE7ELNS1_3repE0EEENS1_36merge_oddeven_config_static_selectorELNS0_4arch9wavefront6targetE1EEEvSJ_
	.globl	_ZN7rocprim17ROCPRIM_400000_NS6detail17trampoline_kernelINS0_14default_configENS1_38merge_sort_block_merge_config_selectorIxxEEZZNS1_27merge_sort_block_merge_implIS3_N6thrust23THRUST_200600_302600_NS6detail15normal_iteratorINS8_10device_ptrIxEEEESD_jNS1_19radix_merge_compareILb0ELb0ExNS0_19identity_decomposerEEEEE10hipError_tT0_T1_T2_jT3_P12ihipStream_tbPNSt15iterator_traitsISI_E10value_typeEPNSO_ISJ_E10value_typeEPSK_NS1_7vsmem_tEENKUlT_SI_SJ_SK_E_clIPxSD_S10_SD_EESH_SX_SI_SJ_SK_EUlSX_E1_NS1_11comp_targetILNS1_3genE3ELNS1_11target_archE908ELNS1_3gpuE7ELNS1_3repE0EEENS1_36merge_oddeven_config_static_selectorELNS0_4arch9wavefront6targetE1EEEvSJ_
	.p2align	8
	.type	_ZN7rocprim17ROCPRIM_400000_NS6detail17trampoline_kernelINS0_14default_configENS1_38merge_sort_block_merge_config_selectorIxxEEZZNS1_27merge_sort_block_merge_implIS3_N6thrust23THRUST_200600_302600_NS6detail15normal_iteratorINS8_10device_ptrIxEEEESD_jNS1_19radix_merge_compareILb0ELb0ExNS0_19identity_decomposerEEEEE10hipError_tT0_T1_T2_jT3_P12ihipStream_tbPNSt15iterator_traitsISI_E10value_typeEPNSO_ISJ_E10value_typeEPSK_NS1_7vsmem_tEENKUlT_SI_SJ_SK_E_clIPxSD_S10_SD_EESH_SX_SI_SJ_SK_EUlSX_E1_NS1_11comp_targetILNS1_3genE3ELNS1_11target_archE908ELNS1_3gpuE7ELNS1_3repE0EEENS1_36merge_oddeven_config_static_selectorELNS0_4arch9wavefront6targetE1EEEvSJ_,@function
_ZN7rocprim17ROCPRIM_400000_NS6detail17trampoline_kernelINS0_14default_configENS1_38merge_sort_block_merge_config_selectorIxxEEZZNS1_27merge_sort_block_merge_implIS3_N6thrust23THRUST_200600_302600_NS6detail15normal_iteratorINS8_10device_ptrIxEEEESD_jNS1_19radix_merge_compareILb0ELb0ExNS0_19identity_decomposerEEEEE10hipError_tT0_T1_T2_jT3_P12ihipStream_tbPNSt15iterator_traitsISI_E10value_typeEPNSO_ISJ_E10value_typeEPSK_NS1_7vsmem_tEENKUlT_SI_SJ_SK_E_clIPxSD_S10_SD_EESH_SX_SI_SJ_SK_EUlSX_E1_NS1_11comp_targetILNS1_3genE3ELNS1_11target_archE908ELNS1_3gpuE7ELNS1_3repE0EEENS1_36merge_oddeven_config_static_selectorELNS0_4arch9wavefront6targetE1EEEvSJ_: ; @_ZN7rocprim17ROCPRIM_400000_NS6detail17trampoline_kernelINS0_14default_configENS1_38merge_sort_block_merge_config_selectorIxxEEZZNS1_27merge_sort_block_merge_implIS3_N6thrust23THRUST_200600_302600_NS6detail15normal_iteratorINS8_10device_ptrIxEEEESD_jNS1_19radix_merge_compareILb0ELb0ExNS0_19identity_decomposerEEEEE10hipError_tT0_T1_T2_jT3_P12ihipStream_tbPNSt15iterator_traitsISI_E10value_typeEPNSO_ISJ_E10value_typeEPSK_NS1_7vsmem_tEENKUlT_SI_SJ_SK_E_clIPxSD_S10_SD_EESH_SX_SI_SJ_SK_EUlSX_E1_NS1_11comp_targetILNS1_3genE3ELNS1_11target_archE908ELNS1_3gpuE7ELNS1_3repE0EEENS1_36merge_oddeven_config_static_selectorELNS0_4arch9wavefront6targetE1EEEvSJ_
; %bb.0:
	.section	.rodata,"a",@progbits
	.p2align	6, 0x0
	.amdhsa_kernel _ZN7rocprim17ROCPRIM_400000_NS6detail17trampoline_kernelINS0_14default_configENS1_38merge_sort_block_merge_config_selectorIxxEEZZNS1_27merge_sort_block_merge_implIS3_N6thrust23THRUST_200600_302600_NS6detail15normal_iteratorINS8_10device_ptrIxEEEESD_jNS1_19radix_merge_compareILb0ELb0ExNS0_19identity_decomposerEEEEE10hipError_tT0_T1_T2_jT3_P12ihipStream_tbPNSt15iterator_traitsISI_E10value_typeEPNSO_ISJ_E10value_typeEPSK_NS1_7vsmem_tEENKUlT_SI_SJ_SK_E_clIPxSD_S10_SD_EESH_SX_SI_SJ_SK_EUlSX_E1_NS1_11comp_targetILNS1_3genE3ELNS1_11target_archE908ELNS1_3gpuE7ELNS1_3repE0EEENS1_36merge_oddeven_config_static_selectorELNS0_4arch9wavefront6targetE1EEEvSJ_
		.amdhsa_group_segment_fixed_size 0
		.amdhsa_private_segment_fixed_size 0
		.amdhsa_kernarg_size 48
		.amdhsa_user_sgpr_count 2
		.amdhsa_user_sgpr_dispatch_ptr 0
		.amdhsa_user_sgpr_queue_ptr 0
		.amdhsa_user_sgpr_kernarg_segment_ptr 1
		.amdhsa_user_sgpr_dispatch_id 0
		.amdhsa_user_sgpr_kernarg_preload_length 0
		.amdhsa_user_sgpr_kernarg_preload_offset 0
		.amdhsa_user_sgpr_private_segment_size 0
		.amdhsa_uses_dynamic_stack 0
		.amdhsa_enable_private_segment 0
		.amdhsa_system_sgpr_workgroup_id_x 1
		.amdhsa_system_sgpr_workgroup_id_y 0
		.amdhsa_system_sgpr_workgroup_id_z 0
		.amdhsa_system_sgpr_workgroup_info 0
		.amdhsa_system_vgpr_workitem_id 0
		.amdhsa_next_free_vgpr 1
		.amdhsa_next_free_sgpr 0
		.amdhsa_accum_offset 4
		.amdhsa_reserve_vcc 0
		.amdhsa_float_round_mode_32 0
		.amdhsa_float_round_mode_16_64 0
		.amdhsa_float_denorm_mode_32 3
		.amdhsa_float_denorm_mode_16_64 3
		.amdhsa_dx10_clamp 1
		.amdhsa_ieee_mode 1
		.amdhsa_fp16_overflow 0
		.amdhsa_tg_split 0
		.amdhsa_exception_fp_ieee_invalid_op 0
		.amdhsa_exception_fp_denorm_src 0
		.amdhsa_exception_fp_ieee_div_zero 0
		.amdhsa_exception_fp_ieee_overflow 0
		.amdhsa_exception_fp_ieee_underflow 0
		.amdhsa_exception_fp_ieee_inexact 0
		.amdhsa_exception_int_div_zero 0
	.end_amdhsa_kernel
	.section	.text._ZN7rocprim17ROCPRIM_400000_NS6detail17trampoline_kernelINS0_14default_configENS1_38merge_sort_block_merge_config_selectorIxxEEZZNS1_27merge_sort_block_merge_implIS3_N6thrust23THRUST_200600_302600_NS6detail15normal_iteratorINS8_10device_ptrIxEEEESD_jNS1_19radix_merge_compareILb0ELb0ExNS0_19identity_decomposerEEEEE10hipError_tT0_T1_T2_jT3_P12ihipStream_tbPNSt15iterator_traitsISI_E10value_typeEPNSO_ISJ_E10value_typeEPSK_NS1_7vsmem_tEENKUlT_SI_SJ_SK_E_clIPxSD_S10_SD_EESH_SX_SI_SJ_SK_EUlSX_E1_NS1_11comp_targetILNS1_3genE3ELNS1_11target_archE908ELNS1_3gpuE7ELNS1_3repE0EEENS1_36merge_oddeven_config_static_selectorELNS0_4arch9wavefront6targetE1EEEvSJ_,"axG",@progbits,_ZN7rocprim17ROCPRIM_400000_NS6detail17trampoline_kernelINS0_14default_configENS1_38merge_sort_block_merge_config_selectorIxxEEZZNS1_27merge_sort_block_merge_implIS3_N6thrust23THRUST_200600_302600_NS6detail15normal_iteratorINS8_10device_ptrIxEEEESD_jNS1_19radix_merge_compareILb0ELb0ExNS0_19identity_decomposerEEEEE10hipError_tT0_T1_T2_jT3_P12ihipStream_tbPNSt15iterator_traitsISI_E10value_typeEPNSO_ISJ_E10value_typeEPSK_NS1_7vsmem_tEENKUlT_SI_SJ_SK_E_clIPxSD_S10_SD_EESH_SX_SI_SJ_SK_EUlSX_E1_NS1_11comp_targetILNS1_3genE3ELNS1_11target_archE908ELNS1_3gpuE7ELNS1_3repE0EEENS1_36merge_oddeven_config_static_selectorELNS0_4arch9wavefront6targetE1EEEvSJ_,comdat
.Lfunc_end1085:
	.size	_ZN7rocprim17ROCPRIM_400000_NS6detail17trampoline_kernelINS0_14default_configENS1_38merge_sort_block_merge_config_selectorIxxEEZZNS1_27merge_sort_block_merge_implIS3_N6thrust23THRUST_200600_302600_NS6detail15normal_iteratorINS8_10device_ptrIxEEEESD_jNS1_19radix_merge_compareILb0ELb0ExNS0_19identity_decomposerEEEEE10hipError_tT0_T1_T2_jT3_P12ihipStream_tbPNSt15iterator_traitsISI_E10value_typeEPNSO_ISJ_E10value_typeEPSK_NS1_7vsmem_tEENKUlT_SI_SJ_SK_E_clIPxSD_S10_SD_EESH_SX_SI_SJ_SK_EUlSX_E1_NS1_11comp_targetILNS1_3genE3ELNS1_11target_archE908ELNS1_3gpuE7ELNS1_3repE0EEENS1_36merge_oddeven_config_static_selectorELNS0_4arch9wavefront6targetE1EEEvSJ_, .Lfunc_end1085-_ZN7rocprim17ROCPRIM_400000_NS6detail17trampoline_kernelINS0_14default_configENS1_38merge_sort_block_merge_config_selectorIxxEEZZNS1_27merge_sort_block_merge_implIS3_N6thrust23THRUST_200600_302600_NS6detail15normal_iteratorINS8_10device_ptrIxEEEESD_jNS1_19radix_merge_compareILb0ELb0ExNS0_19identity_decomposerEEEEE10hipError_tT0_T1_T2_jT3_P12ihipStream_tbPNSt15iterator_traitsISI_E10value_typeEPNSO_ISJ_E10value_typeEPSK_NS1_7vsmem_tEENKUlT_SI_SJ_SK_E_clIPxSD_S10_SD_EESH_SX_SI_SJ_SK_EUlSX_E1_NS1_11comp_targetILNS1_3genE3ELNS1_11target_archE908ELNS1_3gpuE7ELNS1_3repE0EEENS1_36merge_oddeven_config_static_selectorELNS0_4arch9wavefront6targetE1EEEvSJ_
                                        ; -- End function
	.set _ZN7rocprim17ROCPRIM_400000_NS6detail17trampoline_kernelINS0_14default_configENS1_38merge_sort_block_merge_config_selectorIxxEEZZNS1_27merge_sort_block_merge_implIS3_N6thrust23THRUST_200600_302600_NS6detail15normal_iteratorINS8_10device_ptrIxEEEESD_jNS1_19radix_merge_compareILb0ELb0ExNS0_19identity_decomposerEEEEE10hipError_tT0_T1_T2_jT3_P12ihipStream_tbPNSt15iterator_traitsISI_E10value_typeEPNSO_ISJ_E10value_typeEPSK_NS1_7vsmem_tEENKUlT_SI_SJ_SK_E_clIPxSD_S10_SD_EESH_SX_SI_SJ_SK_EUlSX_E1_NS1_11comp_targetILNS1_3genE3ELNS1_11target_archE908ELNS1_3gpuE7ELNS1_3repE0EEENS1_36merge_oddeven_config_static_selectorELNS0_4arch9wavefront6targetE1EEEvSJ_.num_vgpr, 0
	.set _ZN7rocprim17ROCPRIM_400000_NS6detail17trampoline_kernelINS0_14default_configENS1_38merge_sort_block_merge_config_selectorIxxEEZZNS1_27merge_sort_block_merge_implIS3_N6thrust23THRUST_200600_302600_NS6detail15normal_iteratorINS8_10device_ptrIxEEEESD_jNS1_19radix_merge_compareILb0ELb0ExNS0_19identity_decomposerEEEEE10hipError_tT0_T1_T2_jT3_P12ihipStream_tbPNSt15iterator_traitsISI_E10value_typeEPNSO_ISJ_E10value_typeEPSK_NS1_7vsmem_tEENKUlT_SI_SJ_SK_E_clIPxSD_S10_SD_EESH_SX_SI_SJ_SK_EUlSX_E1_NS1_11comp_targetILNS1_3genE3ELNS1_11target_archE908ELNS1_3gpuE7ELNS1_3repE0EEENS1_36merge_oddeven_config_static_selectorELNS0_4arch9wavefront6targetE1EEEvSJ_.num_agpr, 0
	.set _ZN7rocprim17ROCPRIM_400000_NS6detail17trampoline_kernelINS0_14default_configENS1_38merge_sort_block_merge_config_selectorIxxEEZZNS1_27merge_sort_block_merge_implIS3_N6thrust23THRUST_200600_302600_NS6detail15normal_iteratorINS8_10device_ptrIxEEEESD_jNS1_19radix_merge_compareILb0ELb0ExNS0_19identity_decomposerEEEEE10hipError_tT0_T1_T2_jT3_P12ihipStream_tbPNSt15iterator_traitsISI_E10value_typeEPNSO_ISJ_E10value_typeEPSK_NS1_7vsmem_tEENKUlT_SI_SJ_SK_E_clIPxSD_S10_SD_EESH_SX_SI_SJ_SK_EUlSX_E1_NS1_11comp_targetILNS1_3genE3ELNS1_11target_archE908ELNS1_3gpuE7ELNS1_3repE0EEENS1_36merge_oddeven_config_static_selectorELNS0_4arch9wavefront6targetE1EEEvSJ_.numbered_sgpr, 0
	.set _ZN7rocprim17ROCPRIM_400000_NS6detail17trampoline_kernelINS0_14default_configENS1_38merge_sort_block_merge_config_selectorIxxEEZZNS1_27merge_sort_block_merge_implIS3_N6thrust23THRUST_200600_302600_NS6detail15normal_iteratorINS8_10device_ptrIxEEEESD_jNS1_19radix_merge_compareILb0ELb0ExNS0_19identity_decomposerEEEEE10hipError_tT0_T1_T2_jT3_P12ihipStream_tbPNSt15iterator_traitsISI_E10value_typeEPNSO_ISJ_E10value_typeEPSK_NS1_7vsmem_tEENKUlT_SI_SJ_SK_E_clIPxSD_S10_SD_EESH_SX_SI_SJ_SK_EUlSX_E1_NS1_11comp_targetILNS1_3genE3ELNS1_11target_archE908ELNS1_3gpuE7ELNS1_3repE0EEENS1_36merge_oddeven_config_static_selectorELNS0_4arch9wavefront6targetE1EEEvSJ_.num_named_barrier, 0
	.set _ZN7rocprim17ROCPRIM_400000_NS6detail17trampoline_kernelINS0_14default_configENS1_38merge_sort_block_merge_config_selectorIxxEEZZNS1_27merge_sort_block_merge_implIS3_N6thrust23THRUST_200600_302600_NS6detail15normal_iteratorINS8_10device_ptrIxEEEESD_jNS1_19radix_merge_compareILb0ELb0ExNS0_19identity_decomposerEEEEE10hipError_tT0_T1_T2_jT3_P12ihipStream_tbPNSt15iterator_traitsISI_E10value_typeEPNSO_ISJ_E10value_typeEPSK_NS1_7vsmem_tEENKUlT_SI_SJ_SK_E_clIPxSD_S10_SD_EESH_SX_SI_SJ_SK_EUlSX_E1_NS1_11comp_targetILNS1_3genE3ELNS1_11target_archE908ELNS1_3gpuE7ELNS1_3repE0EEENS1_36merge_oddeven_config_static_selectorELNS0_4arch9wavefront6targetE1EEEvSJ_.private_seg_size, 0
	.set _ZN7rocprim17ROCPRIM_400000_NS6detail17trampoline_kernelINS0_14default_configENS1_38merge_sort_block_merge_config_selectorIxxEEZZNS1_27merge_sort_block_merge_implIS3_N6thrust23THRUST_200600_302600_NS6detail15normal_iteratorINS8_10device_ptrIxEEEESD_jNS1_19radix_merge_compareILb0ELb0ExNS0_19identity_decomposerEEEEE10hipError_tT0_T1_T2_jT3_P12ihipStream_tbPNSt15iterator_traitsISI_E10value_typeEPNSO_ISJ_E10value_typeEPSK_NS1_7vsmem_tEENKUlT_SI_SJ_SK_E_clIPxSD_S10_SD_EESH_SX_SI_SJ_SK_EUlSX_E1_NS1_11comp_targetILNS1_3genE3ELNS1_11target_archE908ELNS1_3gpuE7ELNS1_3repE0EEENS1_36merge_oddeven_config_static_selectorELNS0_4arch9wavefront6targetE1EEEvSJ_.uses_vcc, 0
	.set _ZN7rocprim17ROCPRIM_400000_NS6detail17trampoline_kernelINS0_14default_configENS1_38merge_sort_block_merge_config_selectorIxxEEZZNS1_27merge_sort_block_merge_implIS3_N6thrust23THRUST_200600_302600_NS6detail15normal_iteratorINS8_10device_ptrIxEEEESD_jNS1_19radix_merge_compareILb0ELb0ExNS0_19identity_decomposerEEEEE10hipError_tT0_T1_T2_jT3_P12ihipStream_tbPNSt15iterator_traitsISI_E10value_typeEPNSO_ISJ_E10value_typeEPSK_NS1_7vsmem_tEENKUlT_SI_SJ_SK_E_clIPxSD_S10_SD_EESH_SX_SI_SJ_SK_EUlSX_E1_NS1_11comp_targetILNS1_3genE3ELNS1_11target_archE908ELNS1_3gpuE7ELNS1_3repE0EEENS1_36merge_oddeven_config_static_selectorELNS0_4arch9wavefront6targetE1EEEvSJ_.uses_flat_scratch, 0
	.set _ZN7rocprim17ROCPRIM_400000_NS6detail17trampoline_kernelINS0_14default_configENS1_38merge_sort_block_merge_config_selectorIxxEEZZNS1_27merge_sort_block_merge_implIS3_N6thrust23THRUST_200600_302600_NS6detail15normal_iteratorINS8_10device_ptrIxEEEESD_jNS1_19radix_merge_compareILb0ELb0ExNS0_19identity_decomposerEEEEE10hipError_tT0_T1_T2_jT3_P12ihipStream_tbPNSt15iterator_traitsISI_E10value_typeEPNSO_ISJ_E10value_typeEPSK_NS1_7vsmem_tEENKUlT_SI_SJ_SK_E_clIPxSD_S10_SD_EESH_SX_SI_SJ_SK_EUlSX_E1_NS1_11comp_targetILNS1_3genE3ELNS1_11target_archE908ELNS1_3gpuE7ELNS1_3repE0EEENS1_36merge_oddeven_config_static_selectorELNS0_4arch9wavefront6targetE1EEEvSJ_.has_dyn_sized_stack, 0
	.set _ZN7rocprim17ROCPRIM_400000_NS6detail17trampoline_kernelINS0_14default_configENS1_38merge_sort_block_merge_config_selectorIxxEEZZNS1_27merge_sort_block_merge_implIS3_N6thrust23THRUST_200600_302600_NS6detail15normal_iteratorINS8_10device_ptrIxEEEESD_jNS1_19radix_merge_compareILb0ELb0ExNS0_19identity_decomposerEEEEE10hipError_tT0_T1_T2_jT3_P12ihipStream_tbPNSt15iterator_traitsISI_E10value_typeEPNSO_ISJ_E10value_typeEPSK_NS1_7vsmem_tEENKUlT_SI_SJ_SK_E_clIPxSD_S10_SD_EESH_SX_SI_SJ_SK_EUlSX_E1_NS1_11comp_targetILNS1_3genE3ELNS1_11target_archE908ELNS1_3gpuE7ELNS1_3repE0EEENS1_36merge_oddeven_config_static_selectorELNS0_4arch9wavefront6targetE1EEEvSJ_.has_recursion, 0
	.set _ZN7rocprim17ROCPRIM_400000_NS6detail17trampoline_kernelINS0_14default_configENS1_38merge_sort_block_merge_config_selectorIxxEEZZNS1_27merge_sort_block_merge_implIS3_N6thrust23THRUST_200600_302600_NS6detail15normal_iteratorINS8_10device_ptrIxEEEESD_jNS1_19radix_merge_compareILb0ELb0ExNS0_19identity_decomposerEEEEE10hipError_tT0_T1_T2_jT3_P12ihipStream_tbPNSt15iterator_traitsISI_E10value_typeEPNSO_ISJ_E10value_typeEPSK_NS1_7vsmem_tEENKUlT_SI_SJ_SK_E_clIPxSD_S10_SD_EESH_SX_SI_SJ_SK_EUlSX_E1_NS1_11comp_targetILNS1_3genE3ELNS1_11target_archE908ELNS1_3gpuE7ELNS1_3repE0EEENS1_36merge_oddeven_config_static_selectorELNS0_4arch9wavefront6targetE1EEEvSJ_.has_indirect_call, 0
	.section	.AMDGPU.csdata,"",@progbits
; Kernel info:
; codeLenInByte = 0
; TotalNumSgprs: 6
; NumVgprs: 0
; NumAgprs: 0
; TotalNumVgprs: 0
; ScratchSize: 0
; MemoryBound: 0
; FloatMode: 240
; IeeeMode: 1
; LDSByteSize: 0 bytes/workgroup (compile time only)
; SGPRBlocks: 0
; VGPRBlocks: 0
; NumSGPRsForWavesPerEU: 6
; NumVGPRsForWavesPerEU: 1
; AccumOffset: 4
; Occupancy: 8
; WaveLimiterHint : 0
; COMPUTE_PGM_RSRC2:SCRATCH_EN: 0
; COMPUTE_PGM_RSRC2:USER_SGPR: 2
; COMPUTE_PGM_RSRC2:TRAP_HANDLER: 0
; COMPUTE_PGM_RSRC2:TGID_X_EN: 1
; COMPUTE_PGM_RSRC2:TGID_Y_EN: 0
; COMPUTE_PGM_RSRC2:TGID_Z_EN: 0
; COMPUTE_PGM_RSRC2:TIDIG_COMP_CNT: 0
; COMPUTE_PGM_RSRC3_GFX90A:ACCUM_OFFSET: 0
; COMPUTE_PGM_RSRC3_GFX90A:TG_SPLIT: 0
	.section	.text._ZN7rocprim17ROCPRIM_400000_NS6detail17trampoline_kernelINS0_14default_configENS1_38merge_sort_block_merge_config_selectorIxxEEZZNS1_27merge_sort_block_merge_implIS3_N6thrust23THRUST_200600_302600_NS6detail15normal_iteratorINS8_10device_ptrIxEEEESD_jNS1_19radix_merge_compareILb0ELb0ExNS0_19identity_decomposerEEEEE10hipError_tT0_T1_T2_jT3_P12ihipStream_tbPNSt15iterator_traitsISI_E10value_typeEPNSO_ISJ_E10value_typeEPSK_NS1_7vsmem_tEENKUlT_SI_SJ_SK_E_clIPxSD_S10_SD_EESH_SX_SI_SJ_SK_EUlSX_E1_NS1_11comp_targetILNS1_3genE2ELNS1_11target_archE906ELNS1_3gpuE6ELNS1_3repE0EEENS1_36merge_oddeven_config_static_selectorELNS0_4arch9wavefront6targetE1EEEvSJ_,"axG",@progbits,_ZN7rocprim17ROCPRIM_400000_NS6detail17trampoline_kernelINS0_14default_configENS1_38merge_sort_block_merge_config_selectorIxxEEZZNS1_27merge_sort_block_merge_implIS3_N6thrust23THRUST_200600_302600_NS6detail15normal_iteratorINS8_10device_ptrIxEEEESD_jNS1_19radix_merge_compareILb0ELb0ExNS0_19identity_decomposerEEEEE10hipError_tT0_T1_T2_jT3_P12ihipStream_tbPNSt15iterator_traitsISI_E10value_typeEPNSO_ISJ_E10value_typeEPSK_NS1_7vsmem_tEENKUlT_SI_SJ_SK_E_clIPxSD_S10_SD_EESH_SX_SI_SJ_SK_EUlSX_E1_NS1_11comp_targetILNS1_3genE2ELNS1_11target_archE906ELNS1_3gpuE6ELNS1_3repE0EEENS1_36merge_oddeven_config_static_selectorELNS0_4arch9wavefront6targetE1EEEvSJ_,comdat
	.protected	_ZN7rocprim17ROCPRIM_400000_NS6detail17trampoline_kernelINS0_14default_configENS1_38merge_sort_block_merge_config_selectorIxxEEZZNS1_27merge_sort_block_merge_implIS3_N6thrust23THRUST_200600_302600_NS6detail15normal_iteratorINS8_10device_ptrIxEEEESD_jNS1_19radix_merge_compareILb0ELb0ExNS0_19identity_decomposerEEEEE10hipError_tT0_T1_T2_jT3_P12ihipStream_tbPNSt15iterator_traitsISI_E10value_typeEPNSO_ISJ_E10value_typeEPSK_NS1_7vsmem_tEENKUlT_SI_SJ_SK_E_clIPxSD_S10_SD_EESH_SX_SI_SJ_SK_EUlSX_E1_NS1_11comp_targetILNS1_3genE2ELNS1_11target_archE906ELNS1_3gpuE6ELNS1_3repE0EEENS1_36merge_oddeven_config_static_selectorELNS0_4arch9wavefront6targetE1EEEvSJ_ ; -- Begin function _ZN7rocprim17ROCPRIM_400000_NS6detail17trampoline_kernelINS0_14default_configENS1_38merge_sort_block_merge_config_selectorIxxEEZZNS1_27merge_sort_block_merge_implIS3_N6thrust23THRUST_200600_302600_NS6detail15normal_iteratorINS8_10device_ptrIxEEEESD_jNS1_19radix_merge_compareILb0ELb0ExNS0_19identity_decomposerEEEEE10hipError_tT0_T1_T2_jT3_P12ihipStream_tbPNSt15iterator_traitsISI_E10value_typeEPNSO_ISJ_E10value_typeEPSK_NS1_7vsmem_tEENKUlT_SI_SJ_SK_E_clIPxSD_S10_SD_EESH_SX_SI_SJ_SK_EUlSX_E1_NS1_11comp_targetILNS1_3genE2ELNS1_11target_archE906ELNS1_3gpuE6ELNS1_3repE0EEENS1_36merge_oddeven_config_static_selectorELNS0_4arch9wavefront6targetE1EEEvSJ_
	.globl	_ZN7rocprim17ROCPRIM_400000_NS6detail17trampoline_kernelINS0_14default_configENS1_38merge_sort_block_merge_config_selectorIxxEEZZNS1_27merge_sort_block_merge_implIS3_N6thrust23THRUST_200600_302600_NS6detail15normal_iteratorINS8_10device_ptrIxEEEESD_jNS1_19radix_merge_compareILb0ELb0ExNS0_19identity_decomposerEEEEE10hipError_tT0_T1_T2_jT3_P12ihipStream_tbPNSt15iterator_traitsISI_E10value_typeEPNSO_ISJ_E10value_typeEPSK_NS1_7vsmem_tEENKUlT_SI_SJ_SK_E_clIPxSD_S10_SD_EESH_SX_SI_SJ_SK_EUlSX_E1_NS1_11comp_targetILNS1_3genE2ELNS1_11target_archE906ELNS1_3gpuE6ELNS1_3repE0EEENS1_36merge_oddeven_config_static_selectorELNS0_4arch9wavefront6targetE1EEEvSJ_
	.p2align	8
	.type	_ZN7rocprim17ROCPRIM_400000_NS6detail17trampoline_kernelINS0_14default_configENS1_38merge_sort_block_merge_config_selectorIxxEEZZNS1_27merge_sort_block_merge_implIS3_N6thrust23THRUST_200600_302600_NS6detail15normal_iteratorINS8_10device_ptrIxEEEESD_jNS1_19radix_merge_compareILb0ELb0ExNS0_19identity_decomposerEEEEE10hipError_tT0_T1_T2_jT3_P12ihipStream_tbPNSt15iterator_traitsISI_E10value_typeEPNSO_ISJ_E10value_typeEPSK_NS1_7vsmem_tEENKUlT_SI_SJ_SK_E_clIPxSD_S10_SD_EESH_SX_SI_SJ_SK_EUlSX_E1_NS1_11comp_targetILNS1_3genE2ELNS1_11target_archE906ELNS1_3gpuE6ELNS1_3repE0EEENS1_36merge_oddeven_config_static_selectorELNS0_4arch9wavefront6targetE1EEEvSJ_,@function
_ZN7rocprim17ROCPRIM_400000_NS6detail17trampoline_kernelINS0_14default_configENS1_38merge_sort_block_merge_config_selectorIxxEEZZNS1_27merge_sort_block_merge_implIS3_N6thrust23THRUST_200600_302600_NS6detail15normal_iteratorINS8_10device_ptrIxEEEESD_jNS1_19radix_merge_compareILb0ELb0ExNS0_19identity_decomposerEEEEE10hipError_tT0_T1_T2_jT3_P12ihipStream_tbPNSt15iterator_traitsISI_E10value_typeEPNSO_ISJ_E10value_typeEPSK_NS1_7vsmem_tEENKUlT_SI_SJ_SK_E_clIPxSD_S10_SD_EESH_SX_SI_SJ_SK_EUlSX_E1_NS1_11comp_targetILNS1_3genE2ELNS1_11target_archE906ELNS1_3gpuE6ELNS1_3repE0EEENS1_36merge_oddeven_config_static_selectorELNS0_4arch9wavefront6targetE1EEEvSJ_: ; @_ZN7rocprim17ROCPRIM_400000_NS6detail17trampoline_kernelINS0_14default_configENS1_38merge_sort_block_merge_config_selectorIxxEEZZNS1_27merge_sort_block_merge_implIS3_N6thrust23THRUST_200600_302600_NS6detail15normal_iteratorINS8_10device_ptrIxEEEESD_jNS1_19radix_merge_compareILb0ELb0ExNS0_19identity_decomposerEEEEE10hipError_tT0_T1_T2_jT3_P12ihipStream_tbPNSt15iterator_traitsISI_E10value_typeEPNSO_ISJ_E10value_typeEPSK_NS1_7vsmem_tEENKUlT_SI_SJ_SK_E_clIPxSD_S10_SD_EESH_SX_SI_SJ_SK_EUlSX_E1_NS1_11comp_targetILNS1_3genE2ELNS1_11target_archE906ELNS1_3gpuE6ELNS1_3repE0EEENS1_36merge_oddeven_config_static_selectorELNS0_4arch9wavefront6targetE1EEEvSJ_
; %bb.0:
	.section	.rodata,"a",@progbits
	.p2align	6, 0x0
	.amdhsa_kernel _ZN7rocprim17ROCPRIM_400000_NS6detail17trampoline_kernelINS0_14default_configENS1_38merge_sort_block_merge_config_selectorIxxEEZZNS1_27merge_sort_block_merge_implIS3_N6thrust23THRUST_200600_302600_NS6detail15normal_iteratorINS8_10device_ptrIxEEEESD_jNS1_19radix_merge_compareILb0ELb0ExNS0_19identity_decomposerEEEEE10hipError_tT0_T1_T2_jT3_P12ihipStream_tbPNSt15iterator_traitsISI_E10value_typeEPNSO_ISJ_E10value_typeEPSK_NS1_7vsmem_tEENKUlT_SI_SJ_SK_E_clIPxSD_S10_SD_EESH_SX_SI_SJ_SK_EUlSX_E1_NS1_11comp_targetILNS1_3genE2ELNS1_11target_archE906ELNS1_3gpuE6ELNS1_3repE0EEENS1_36merge_oddeven_config_static_selectorELNS0_4arch9wavefront6targetE1EEEvSJ_
		.amdhsa_group_segment_fixed_size 0
		.amdhsa_private_segment_fixed_size 0
		.amdhsa_kernarg_size 48
		.amdhsa_user_sgpr_count 2
		.amdhsa_user_sgpr_dispatch_ptr 0
		.amdhsa_user_sgpr_queue_ptr 0
		.amdhsa_user_sgpr_kernarg_segment_ptr 1
		.amdhsa_user_sgpr_dispatch_id 0
		.amdhsa_user_sgpr_kernarg_preload_length 0
		.amdhsa_user_sgpr_kernarg_preload_offset 0
		.amdhsa_user_sgpr_private_segment_size 0
		.amdhsa_uses_dynamic_stack 0
		.amdhsa_enable_private_segment 0
		.amdhsa_system_sgpr_workgroup_id_x 1
		.amdhsa_system_sgpr_workgroup_id_y 0
		.amdhsa_system_sgpr_workgroup_id_z 0
		.amdhsa_system_sgpr_workgroup_info 0
		.amdhsa_system_vgpr_workitem_id 0
		.amdhsa_next_free_vgpr 1
		.amdhsa_next_free_sgpr 0
		.amdhsa_accum_offset 4
		.amdhsa_reserve_vcc 0
		.amdhsa_float_round_mode_32 0
		.amdhsa_float_round_mode_16_64 0
		.amdhsa_float_denorm_mode_32 3
		.amdhsa_float_denorm_mode_16_64 3
		.amdhsa_dx10_clamp 1
		.amdhsa_ieee_mode 1
		.amdhsa_fp16_overflow 0
		.amdhsa_tg_split 0
		.amdhsa_exception_fp_ieee_invalid_op 0
		.amdhsa_exception_fp_denorm_src 0
		.amdhsa_exception_fp_ieee_div_zero 0
		.amdhsa_exception_fp_ieee_overflow 0
		.amdhsa_exception_fp_ieee_underflow 0
		.amdhsa_exception_fp_ieee_inexact 0
		.amdhsa_exception_int_div_zero 0
	.end_amdhsa_kernel
	.section	.text._ZN7rocprim17ROCPRIM_400000_NS6detail17trampoline_kernelINS0_14default_configENS1_38merge_sort_block_merge_config_selectorIxxEEZZNS1_27merge_sort_block_merge_implIS3_N6thrust23THRUST_200600_302600_NS6detail15normal_iteratorINS8_10device_ptrIxEEEESD_jNS1_19radix_merge_compareILb0ELb0ExNS0_19identity_decomposerEEEEE10hipError_tT0_T1_T2_jT3_P12ihipStream_tbPNSt15iterator_traitsISI_E10value_typeEPNSO_ISJ_E10value_typeEPSK_NS1_7vsmem_tEENKUlT_SI_SJ_SK_E_clIPxSD_S10_SD_EESH_SX_SI_SJ_SK_EUlSX_E1_NS1_11comp_targetILNS1_3genE2ELNS1_11target_archE906ELNS1_3gpuE6ELNS1_3repE0EEENS1_36merge_oddeven_config_static_selectorELNS0_4arch9wavefront6targetE1EEEvSJ_,"axG",@progbits,_ZN7rocprim17ROCPRIM_400000_NS6detail17trampoline_kernelINS0_14default_configENS1_38merge_sort_block_merge_config_selectorIxxEEZZNS1_27merge_sort_block_merge_implIS3_N6thrust23THRUST_200600_302600_NS6detail15normal_iteratorINS8_10device_ptrIxEEEESD_jNS1_19radix_merge_compareILb0ELb0ExNS0_19identity_decomposerEEEEE10hipError_tT0_T1_T2_jT3_P12ihipStream_tbPNSt15iterator_traitsISI_E10value_typeEPNSO_ISJ_E10value_typeEPSK_NS1_7vsmem_tEENKUlT_SI_SJ_SK_E_clIPxSD_S10_SD_EESH_SX_SI_SJ_SK_EUlSX_E1_NS1_11comp_targetILNS1_3genE2ELNS1_11target_archE906ELNS1_3gpuE6ELNS1_3repE0EEENS1_36merge_oddeven_config_static_selectorELNS0_4arch9wavefront6targetE1EEEvSJ_,comdat
.Lfunc_end1086:
	.size	_ZN7rocprim17ROCPRIM_400000_NS6detail17trampoline_kernelINS0_14default_configENS1_38merge_sort_block_merge_config_selectorIxxEEZZNS1_27merge_sort_block_merge_implIS3_N6thrust23THRUST_200600_302600_NS6detail15normal_iteratorINS8_10device_ptrIxEEEESD_jNS1_19radix_merge_compareILb0ELb0ExNS0_19identity_decomposerEEEEE10hipError_tT0_T1_T2_jT3_P12ihipStream_tbPNSt15iterator_traitsISI_E10value_typeEPNSO_ISJ_E10value_typeEPSK_NS1_7vsmem_tEENKUlT_SI_SJ_SK_E_clIPxSD_S10_SD_EESH_SX_SI_SJ_SK_EUlSX_E1_NS1_11comp_targetILNS1_3genE2ELNS1_11target_archE906ELNS1_3gpuE6ELNS1_3repE0EEENS1_36merge_oddeven_config_static_selectorELNS0_4arch9wavefront6targetE1EEEvSJ_, .Lfunc_end1086-_ZN7rocprim17ROCPRIM_400000_NS6detail17trampoline_kernelINS0_14default_configENS1_38merge_sort_block_merge_config_selectorIxxEEZZNS1_27merge_sort_block_merge_implIS3_N6thrust23THRUST_200600_302600_NS6detail15normal_iteratorINS8_10device_ptrIxEEEESD_jNS1_19radix_merge_compareILb0ELb0ExNS0_19identity_decomposerEEEEE10hipError_tT0_T1_T2_jT3_P12ihipStream_tbPNSt15iterator_traitsISI_E10value_typeEPNSO_ISJ_E10value_typeEPSK_NS1_7vsmem_tEENKUlT_SI_SJ_SK_E_clIPxSD_S10_SD_EESH_SX_SI_SJ_SK_EUlSX_E1_NS1_11comp_targetILNS1_3genE2ELNS1_11target_archE906ELNS1_3gpuE6ELNS1_3repE0EEENS1_36merge_oddeven_config_static_selectorELNS0_4arch9wavefront6targetE1EEEvSJ_
                                        ; -- End function
	.set _ZN7rocprim17ROCPRIM_400000_NS6detail17trampoline_kernelINS0_14default_configENS1_38merge_sort_block_merge_config_selectorIxxEEZZNS1_27merge_sort_block_merge_implIS3_N6thrust23THRUST_200600_302600_NS6detail15normal_iteratorINS8_10device_ptrIxEEEESD_jNS1_19radix_merge_compareILb0ELb0ExNS0_19identity_decomposerEEEEE10hipError_tT0_T1_T2_jT3_P12ihipStream_tbPNSt15iterator_traitsISI_E10value_typeEPNSO_ISJ_E10value_typeEPSK_NS1_7vsmem_tEENKUlT_SI_SJ_SK_E_clIPxSD_S10_SD_EESH_SX_SI_SJ_SK_EUlSX_E1_NS1_11comp_targetILNS1_3genE2ELNS1_11target_archE906ELNS1_3gpuE6ELNS1_3repE0EEENS1_36merge_oddeven_config_static_selectorELNS0_4arch9wavefront6targetE1EEEvSJ_.num_vgpr, 0
	.set _ZN7rocprim17ROCPRIM_400000_NS6detail17trampoline_kernelINS0_14default_configENS1_38merge_sort_block_merge_config_selectorIxxEEZZNS1_27merge_sort_block_merge_implIS3_N6thrust23THRUST_200600_302600_NS6detail15normal_iteratorINS8_10device_ptrIxEEEESD_jNS1_19radix_merge_compareILb0ELb0ExNS0_19identity_decomposerEEEEE10hipError_tT0_T1_T2_jT3_P12ihipStream_tbPNSt15iterator_traitsISI_E10value_typeEPNSO_ISJ_E10value_typeEPSK_NS1_7vsmem_tEENKUlT_SI_SJ_SK_E_clIPxSD_S10_SD_EESH_SX_SI_SJ_SK_EUlSX_E1_NS1_11comp_targetILNS1_3genE2ELNS1_11target_archE906ELNS1_3gpuE6ELNS1_3repE0EEENS1_36merge_oddeven_config_static_selectorELNS0_4arch9wavefront6targetE1EEEvSJ_.num_agpr, 0
	.set _ZN7rocprim17ROCPRIM_400000_NS6detail17trampoline_kernelINS0_14default_configENS1_38merge_sort_block_merge_config_selectorIxxEEZZNS1_27merge_sort_block_merge_implIS3_N6thrust23THRUST_200600_302600_NS6detail15normal_iteratorINS8_10device_ptrIxEEEESD_jNS1_19radix_merge_compareILb0ELb0ExNS0_19identity_decomposerEEEEE10hipError_tT0_T1_T2_jT3_P12ihipStream_tbPNSt15iterator_traitsISI_E10value_typeEPNSO_ISJ_E10value_typeEPSK_NS1_7vsmem_tEENKUlT_SI_SJ_SK_E_clIPxSD_S10_SD_EESH_SX_SI_SJ_SK_EUlSX_E1_NS1_11comp_targetILNS1_3genE2ELNS1_11target_archE906ELNS1_3gpuE6ELNS1_3repE0EEENS1_36merge_oddeven_config_static_selectorELNS0_4arch9wavefront6targetE1EEEvSJ_.numbered_sgpr, 0
	.set _ZN7rocprim17ROCPRIM_400000_NS6detail17trampoline_kernelINS0_14default_configENS1_38merge_sort_block_merge_config_selectorIxxEEZZNS1_27merge_sort_block_merge_implIS3_N6thrust23THRUST_200600_302600_NS6detail15normal_iteratorINS8_10device_ptrIxEEEESD_jNS1_19radix_merge_compareILb0ELb0ExNS0_19identity_decomposerEEEEE10hipError_tT0_T1_T2_jT3_P12ihipStream_tbPNSt15iterator_traitsISI_E10value_typeEPNSO_ISJ_E10value_typeEPSK_NS1_7vsmem_tEENKUlT_SI_SJ_SK_E_clIPxSD_S10_SD_EESH_SX_SI_SJ_SK_EUlSX_E1_NS1_11comp_targetILNS1_3genE2ELNS1_11target_archE906ELNS1_3gpuE6ELNS1_3repE0EEENS1_36merge_oddeven_config_static_selectorELNS0_4arch9wavefront6targetE1EEEvSJ_.num_named_barrier, 0
	.set _ZN7rocprim17ROCPRIM_400000_NS6detail17trampoline_kernelINS0_14default_configENS1_38merge_sort_block_merge_config_selectorIxxEEZZNS1_27merge_sort_block_merge_implIS3_N6thrust23THRUST_200600_302600_NS6detail15normal_iteratorINS8_10device_ptrIxEEEESD_jNS1_19radix_merge_compareILb0ELb0ExNS0_19identity_decomposerEEEEE10hipError_tT0_T1_T2_jT3_P12ihipStream_tbPNSt15iterator_traitsISI_E10value_typeEPNSO_ISJ_E10value_typeEPSK_NS1_7vsmem_tEENKUlT_SI_SJ_SK_E_clIPxSD_S10_SD_EESH_SX_SI_SJ_SK_EUlSX_E1_NS1_11comp_targetILNS1_3genE2ELNS1_11target_archE906ELNS1_3gpuE6ELNS1_3repE0EEENS1_36merge_oddeven_config_static_selectorELNS0_4arch9wavefront6targetE1EEEvSJ_.private_seg_size, 0
	.set _ZN7rocprim17ROCPRIM_400000_NS6detail17trampoline_kernelINS0_14default_configENS1_38merge_sort_block_merge_config_selectorIxxEEZZNS1_27merge_sort_block_merge_implIS3_N6thrust23THRUST_200600_302600_NS6detail15normal_iteratorINS8_10device_ptrIxEEEESD_jNS1_19radix_merge_compareILb0ELb0ExNS0_19identity_decomposerEEEEE10hipError_tT0_T1_T2_jT3_P12ihipStream_tbPNSt15iterator_traitsISI_E10value_typeEPNSO_ISJ_E10value_typeEPSK_NS1_7vsmem_tEENKUlT_SI_SJ_SK_E_clIPxSD_S10_SD_EESH_SX_SI_SJ_SK_EUlSX_E1_NS1_11comp_targetILNS1_3genE2ELNS1_11target_archE906ELNS1_3gpuE6ELNS1_3repE0EEENS1_36merge_oddeven_config_static_selectorELNS0_4arch9wavefront6targetE1EEEvSJ_.uses_vcc, 0
	.set _ZN7rocprim17ROCPRIM_400000_NS6detail17trampoline_kernelINS0_14default_configENS1_38merge_sort_block_merge_config_selectorIxxEEZZNS1_27merge_sort_block_merge_implIS3_N6thrust23THRUST_200600_302600_NS6detail15normal_iteratorINS8_10device_ptrIxEEEESD_jNS1_19radix_merge_compareILb0ELb0ExNS0_19identity_decomposerEEEEE10hipError_tT0_T1_T2_jT3_P12ihipStream_tbPNSt15iterator_traitsISI_E10value_typeEPNSO_ISJ_E10value_typeEPSK_NS1_7vsmem_tEENKUlT_SI_SJ_SK_E_clIPxSD_S10_SD_EESH_SX_SI_SJ_SK_EUlSX_E1_NS1_11comp_targetILNS1_3genE2ELNS1_11target_archE906ELNS1_3gpuE6ELNS1_3repE0EEENS1_36merge_oddeven_config_static_selectorELNS0_4arch9wavefront6targetE1EEEvSJ_.uses_flat_scratch, 0
	.set _ZN7rocprim17ROCPRIM_400000_NS6detail17trampoline_kernelINS0_14default_configENS1_38merge_sort_block_merge_config_selectorIxxEEZZNS1_27merge_sort_block_merge_implIS3_N6thrust23THRUST_200600_302600_NS6detail15normal_iteratorINS8_10device_ptrIxEEEESD_jNS1_19radix_merge_compareILb0ELb0ExNS0_19identity_decomposerEEEEE10hipError_tT0_T1_T2_jT3_P12ihipStream_tbPNSt15iterator_traitsISI_E10value_typeEPNSO_ISJ_E10value_typeEPSK_NS1_7vsmem_tEENKUlT_SI_SJ_SK_E_clIPxSD_S10_SD_EESH_SX_SI_SJ_SK_EUlSX_E1_NS1_11comp_targetILNS1_3genE2ELNS1_11target_archE906ELNS1_3gpuE6ELNS1_3repE0EEENS1_36merge_oddeven_config_static_selectorELNS0_4arch9wavefront6targetE1EEEvSJ_.has_dyn_sized_stack, 0
	.set _ZN7rocprim17ROCPRIM_400000_NS6detail17trampoline_kernelINS0_14default_configENS1_38merge_sort_block_merge_config_selectorIxxEEZZNS1_27merge_sort_block_merge_implIS3_N6thrust23THRUST_200600_302600_NS6detail15normal_iteratorINS8_10device_ptrIxEEEESD_jNS1_19radix_merge_compareILb0ELb0ExNS0_19identity_decomposerEEEEE10hipError_tT0_T1_T2_jT3_P12ihipStream_tbPNSt15iterator_traitsISI_E10value_typeEPNSO_ISJ_E10value_typeEPSK_NS1_7vsmem_tEENKUlT_SI_SJ_SK_E_clIPxSD_S10_SD_EESH_SX_SI_SJ_SK_EUlSX_E1_NS1_11comp_targetILNS1_3genE2ELNS1_11target_archE906ELNS1_3gpuE6ELNS1_3repE0EEENS1_36merge_oddeven_config_static_selectorELNS0_4arch9wavefront6targetE1EEEvSJ_.has_recursion, 0
	.set _ZN7rocprim17ROCPRIM_400000_NS6detail17trampoline_kernelINS0_14default_configENS1_38merge_sort_block_merge_config_selectorIxxEEZZNS1_27merge_sort_block_merge_implIS3_N6thrust23THRUST_200600_302600_NS6detail15normal_iteratorINS8_10device_ptrIxEEEESD_jNS1_19radix_merge_compareILb0ELb0ExNS0_19identity_decomposerEEEEE10hipError_tT0_T1_T2_jT3_P12ihipStream_tbPNSt15iterator_traitsISI_E10value_typeEPNSO_ISJ_E10value_typeEPSK_NS1_7vsmem_tEENKUlT_SI_SJ_SK_E_clIPxSD_S10_SD_EESH_SX_SI_SJ_SK_EUlSX_E1_NS1_11comp_targetILNS1_3genE2ELNS1_11target_archE906ELNS1_3gpuE6ELNS1_3repE0EEENS1_36merge_oddeven_config_static_selectorELNS0_4arch9wavefront6targetE1EEEvSJ_.has_indirect_call, 0
	.section	.AMDGPU.csdata,"",@progbits
; Kernel info:
; codeLenInByte = 0
; TotalNumSgprs: 6
; NumVgprs: 0
; NumAgprs: 0
; TotalNumVgprs: 0
; ScratchSize: 0
; MemoryBound: 0
; FloatMode: 240
; IeeeMode: 1
; LDSByteSize: 0 bytes/workgroup (compile time only)
; SGPRBlocks: 0
; VGPRBlocks: 0
; NumSGPRsForWavesPerEU: 6
; NumVGPRsForWavesPerEU: 1
; AccumOffset: 4
; Occupancy: 8
; WaveLimiterHint : 0
; COMPUTE_PGM_RSRC2:SCRATCH_EN: 0
; COMPUTE_PGM_RSRC2:USER_SGPR: 2
; COMPUTE_PGM_RSRC2:TRAP_HANDLER: 0
; COMPUTE_PGM_RSRC2:TGID_X_EN: 1
; COMPUTE_PGM_RSRC2:TGID_Y_EN: 0
; COMPUTE_PGM_RSRC2:TGID_Z_EN: 0
; COMPUTE_PGM_RSRC2:TIDIG_COMP_CNT: 0
; COMPUTE_PGM_RSRC3_GFX90A:ACCUM_OFFSET: 0
; COMPUTE_PGM_RSRC3_GFX90A:TG_SPLIT: 0
	.section	.text._ZN7rocprim17ROCPRIM_400000_NS6detail17trampoline_kernelINS0_14default_configENS1_38merge_sort_block_merge_config_selectorIxxEEZZNS1_27merge_sort_block_merge_implIS3_N6thrust23THRUST_200600_302600_NS6detail15normal_iteratorINS8_10device_ptrIxEEEESD_jNS1_19radix_merge_compareILb0ELb0ExNS0_19identity_decomposerEEEEE10hipError_tT0_T1_T2_jT3_P12ihipStream_tbPNSt15iterator_traitsISI_E10value_typeEPNSO_ISJ_E10value_typeEPSK_NS1_7vsmem_tEENKUlT_SI_SJ_SK_E_clIPxSD_S10_SD_EESH_SX_SI_SJ_SK_EUlSX_E1_NS1_11comp_targetILNS1_3genE9ELNS1_11target_archE1100ELNS1_3gpuE3ELNS1_3repE0EEENS1_36merge_oddeven_config_static_selectorELNS0_4arch9wavefront6targetE1EEEvSJ_,"axG",@progbits,_ZN7rocprim17ROCPRIM_400000_NS6detail17trampoline_kernelINS0_14default_configENS1_38merge_sort_block_merge_config_selectorIxxEEZZNS1_27merge_sort_block_merge_implIS3_N6thrust23THRUST_200600_302600_NS6detail15normal_iteratorINS8_10device_ptrIxEEEESD_jNS1_19radix_merge_compareILb0ELb0ExNS0_19identity_decomposerEEEEE10hipError_tT0_T1_T2_jT3_P12ihipStream_tbPNSt15iterator_traitsISI_E10value_typeEPNSO_ISJ_E10value_typeEPSK_NS1_7vsmem_tEENKUlT_SI_SJ_SK_E_clIPxSD_S10_SD_EESH_SX_SI_SJ_SK_EUlSX_E1_NS1_11comp_targetILNS1_3genE9ELNS1_11target_archE1100ELNS1_3gpuE3ELNS1_3repE0EEENS1_36merge_oddeven_config_static_selectorELNS0_4arch9wavefront6targetE1EEEvSJ_,comdat
	.protected	_ZN7rocprim17ROCPRIM_400000_NS6detail17trampoline_kernelINS0_14default_configENS1_38merge_sort_block_merge_config_selectorIxxEEZZNS1_27merge_sort_block_merge_implIS3_N6thrust23THRUST_200600_302600_NS6detail15normal_iteratorINS8_10device_ptrIxEEEESD_jNS1_19radix_merge_compareILb0ELb0ExNS0_19identity_decomposerEEEEE10hipError_tT0_T1_T2_jT3_P12ihipStream_tbPNSt15iterator_traitsISI_E10value_typeEPNSO_ISJ_E10value_typeEPSK_NS1_7vsmem_tEENKUlT_SI_SJ_SK_E_clIPxSD_S10_SD_EESH_SX_SI_SJ_SK_EUlSX_E1_NS1_11comp_targetILNS1_3genE9ELNS1_11target_archE1100ELNS1_3gpuE3ELNS1_3repE0EEENS1_36merge_oddeven_config_static_selectorELNS0_4arch9wavefront6targetE1EEEvSJ_ ; -- Begin function _ZN7rocprim17ROCPRIM_400000_NS6detail17trampoline_kernelINS0_14default_configENS1_38merge_sort_block_merge_config_selectorIxxEEZZNS1_27merge_sort_block_merge_implIS3_N6thrust23THRUST_200600_302600_NS6detail15normal_iteratorINS8_10device_ptrIxEEEESD_jNS1_19radix_merge_compareILb0ELb0ExNS0_19identity_decomposerEEEEE10hipError_tT0_T1_T2_jT3_P12ihipStream_tbPNSt15iterator_traitsISI_E10value_typeEPNSO_ISJ_E10value_typeEPSK_NS1_7vsmem_tEENKUlT_SI_SJ_SK_E_clIPxSD_S10_SD_EESH_SX_SI_SJ_SK_EUlSX_E1_NS1_11comp_targetILNS1_3genE9ELNS1_11target_archE1100ELNS1_3gpuE3ELNS1_3repE0EEENS1_36merge_oddeven_config_static_selectorELNS0_4arch9wavefront6targetE1EEEvSJ_
	.globl	_ZN7rocprim17ROCPRIM_400000_NS6detail17trampoline_kernelINS0_14default_configENS1_38merge_sort_block_merge_config_selectorIxxEEZZNS1_27merge_sort_block_merge_implIS3_N6thrust23THRUST_200600_302600_NS6detail15normal_iteratorINS8_10device_ptrIxEEEESD_jNS1_19radix_merge_compareILb0ELb0ExNS0_19identity_decomposerEEEEE10hipError_tT0_T1_T2_jT3_P12ihipStream_tbPNSt15iterator_traitsISI_E10value_typeEPNSO_ISJ_E10value_typeEPSK_NS1_7vsmem_tEENKUlT_SI_SJ_SK_E_clIPxSD_S10_SD_EESH_SX_SI_SJ_SK_EUlSX_E1_NS1_11comp_targetILNS1_3genE9ELNS1_11target_archE1100ELNS1_3gpuE3ELNS1_3repE0EEENS1_36merge_oddeven_config_static_selectorELNS0_4arch9wavefront6targetE1EEEvSJ_
	.p2align	8
	.type	_ZN7rocprim17ROCPRIM_400000_NS6detail17trampoline_kernelINS0_14default_configENS1_38merge_sort_block_merge_config_selectorIxxEEZZNS1_27merge_sort_block_merge_implIS3_N6thrust23THRUST_200600_302600_NS6detail15normal_iteratorINS8_10device_ptrIxEEEESD_jNS1_19radix_merge_compareILb0ELb0ExNS0_19identity_decomposerEEEEE10hipError_tT0_T1_T2_jT3_P12ihipStream_tbPNSt15iterator_traitsISI_E10value_typeEPNSO_ISJ_E10value_typeEPSK_NS1_7vsmem_tEENKUlT_SI_SJ_SK_E_clIPxSD_S10_SD_EESH_SX_SI_SJ_SK_EUlSX_E1_NS1_11comp_targetILNS1_3genE9ELNS1_11target_archE1100ELNS1_3gpuE3ELNS1_3repE0EEENS1_36merge_oddeven_config_static_selectorELNS0_4arch9wavefront6targetE1EEEvSJ_,@function
_ZN7rocprim17ROCPRIM_400000_NS6detail17trampoline_kernelINS0_14default_configENS1_38merge_sort_block_merge_config_selectorIxxEEZZNS1_27merge_sort_block_merge_implIS3_N6thrust23THRUST_200600_302600_NS6detail15normal_iteratorINS8_10device_ptrIxEEEESD_jNS1_19radix_merge_compareILb0ELb0ExNS0_19identity_decomposerEEEEE10hipError_tT0_T1_T2_jT3_P12ihipStream_tbPNSt15iterator_traitsISI_E10value_typeEPNSO_ISJ_E10value_typeEPSK_NS1_7vsmem_tEENKUlT_SI_SJ_SK_E_clIPxSD_S10_SD_EESH_SX_SI_SJ_SK_EUlSX_E1_NS1_11comp_targetILNS1_3genE9ELNS1_11target_archE1100ELNS1_3gpuE3ELNS1_3repE0EEENS1_36merge_oddeven_config_static_selectorELNS0_4arch9wavefront6targetE1EEEvSJ_: ; @_ZN7rocprim17ROCPRIM_400000_NS6detail17trampoline_kernelINS0_14default_configENS1_38merge_sort_block_merge_config_selectorIxxEEZZNS1_27merge_sort_block_merge_implIS3_N6thrust23THRUST_200600_302600_NS6detail15normal_iteratorINS8_10device_ptrIxEEEESD_jNS1_19radix_merge_compareILb0ELb0ExNS0_19identity_decomposerEEEEE10hipError_tT0_T1_T2_jT3_P12ihipStream_tbPNSt15iterator_traitsISI_E10value_typeEPNSO_ISJ_E10value_typeEPSK_NS1_7vsmem_tEENKUlT_SI_SJ_SK_E_clIPxSD_S10_SD_EESH_SX_SI_SJ_SK_EUlSX_E1_NS1_11comp_targetILNS1_3genE9ELNS1_11target_archE1100ELNS1_3gpuE3ELNS1_3repE0EEENS1_36merge_oddeven_config_static_selectorELNS0_4arch9wavefront6targetE1EEEvSJ_
; %bb.0:
	.section	.rodata,"a",@progbits
	.p2align	6, 0x0
	.amdhsa_kernel _ZN7rocprim17ROCPRIM_400000_NS6detail17trampoline_kernelINS0_14default_configENS1_38merge_sort_block_merge_config_selectorIxxEEZZNS1_27merge_sort_block_merge_implIS3_N6thrust23THRUST_200600_302600_NS6detail15normal_iteratorINS8_10device_ptrIxEEEESD_jNS1_19radix_merge_compareILb0ELb0ExNS0_19identity_decomposerEEEEE10hipError_tT0_T1_T2_jT3_P12ihipStream_tbPNSt15iterator_traitsISI_E10value_typeEPNSO_ISJ_E10value_typeEPSK_NS1_7vsmem_tEENKUlT_SI_SJ_SK_E_clIPxSD_S10_SD_EESH_SX_SI_SJ_SK_EUlSX_E1_NS1_11comp_targetILNS1_3genE9ELNS1_11target_archE1100ELNS1_3gpuE3ELNS1_3repE0EEENS1_36merge_oddeven_config_static_selectorELNS0_4arch9wavefront6targetE1EEEvSJ_
		.amdhsa_group_segment_fixed_size 0
		.amdhsa_private_segment_fixed_size 0
		.amdhsa_kernarg_size 48
		.amdhsa_user_sgpr_count 2
		.amdhsa_user_sgpr_dispatch_ptr 0
		.amdhsa_user_sgpr_queue_ptr 0
		.amdhsa_user_sgpr_kernarg_segment_ptr 1
		.amdhsa_user_sgpr_dispatch_id 0
		.amdhsa_user_sgpr_kernarg_preload_length 0
		.amdhsa_user_sgpr_kernarg_preload_offset 0
		.amdhsa_user_sgpr_private_segment_size 0
		.amdhsa_uses_dynamic_stack 0
		.amdhsa_enable_private_segment 0
		.amdhsa_system_sgpr_workgroup_id_x 1
		.amdhsa_system_sgpr_workgroup_id_y 0
		.amdhsa_system_sgpr_workgroup_id_z 0
		.amdhsa_system_sgpr_workgroup_info 0
		.amdhsa_system_vgpr_workitem_id 0
		.amdhsa_next_free_vgpr 1
		.amdhsa_next_free_sgpr 0
		.amdhsa_accum_offset 4
		.amdhsa_reserve_vcc 0
		.amdhsa_float_round_mode_32 0
		.amdhsa_float_round_mode_16_64 0
		.amdhsa_float_denorm_mode_32 3
		.amdhsa_float_denorm_mode_16_64 3
		.amdhsa_dx10_clamp 1
		.amdhsa_ieee_mode 1
		.amdhsa_fp16_overflow 0
		.amdhsa_tg_split 0
		.amdhsa_exception_fp_ieee_invalid_op 0
		.amdhsa_exception_fp_denorm_src 0
		.amdhsa_exception_fp_ieee_div_zero 0
		.amdhsa_exception_fp_ieee_overflow 0
		.amdhsa_exception_fp_ieee_underflow 0
		.amdhsa_exception_fp_ieee_inexact 0
		.amdhsa_exception_int_div_zero 0
	.end_amdhsa_kernel
	.section	.text._ZN7rocprim17ROCPRIM_400000_NS6detail17trampoline_kernelINS0_14default_configENS1_38merge_sort_block_merge_config_selectorIxxEEZZNS1_27merge_sort_block_merge_implIS3_N6thrust23THRUST_200600_302600_NS6detail15normal_iteratorINS8_10device_ptrIxEEEESD_jNS1_19radix_merge_compareILb0ELb0ExNS0_19identity_decomposerEEEEE10hipError_tT0_T1_T2_jT3_P12ihipStream_tbPNSt15iterator_traitsISI_E10value_typeEPNSO_ISJ_E10value_typeEPSK_NS1_7vsmem_tEENKUlT_SI_SJ_SK_E_clIPxSD_S10_SD_EESH_SX_SI_SJ_SK_EUlSX_E1_NS1_11comp_targetILNS1_3genE9ELNS1_11target_archE1100ELNS1_3gpuE3ELNS1_3repE0EEENS1_36merge_oddeven_config_static_selectorELNS0_4arch9wavefront6targetE1EEEvSJ_,"axG",@progbits,_ZN7rocprim17ROCPRIM_400000_NS6detail17trampoline_kernelINS0_14default_configENS1_38merge_sort_block_merge_config_selectorIxxEEZZNS1_27merge_sort_block_merge_implIS3_N6thrust23THRUST_200600_302600_NS6detail15normal_iteratorINS8_10device_ptrIxEEEESD_jNS1_19radix_merge_compareILb0ELb0ExNS0_19identity_decomposerEEEEE10hipError_tT0_T1_T2_jT3_P12ihipStream_tbPNSt15iterator_traitsISI_E10value_typeEPNSO_ISJ_E10value_typeEPSK_NS1_7vsmem_tEENKUlT_SI_SJ_SK_E_clIPxSD_S10_SD_EESH_SX_SI_SJ_SK_EUlSX_E1_NS1_11comp_targetILNS1_3genE9ELNS1_11target_archE1100ELNS1_3gpuE3ELNS1_3repE0EEENS1_36merge_oddeven_config_static_selectorELNS0_4arch9wavefront6targetE1EEEvSJ_,comdat
.Lfunc_end1087:
	.size	_ZN7rocprim17ROCPRIM_400000_NS6detail17trampoline_kernelINS0_14default_configENS1_38merge_sort_block_merge_config_selectorIxxEEZZNS1_27merge_sort_block_merge_implIS3_N6thrust23THRUST_200600_302600_NS6detail15normal_iteratorINS8_10device_ptrIxEEEESD_jNS1_19radix_merge_compareILb0ELb0ExNS0_19identity_decomposerEEEEE10hipError_tT0_T1_T2_jT3_P12ihipStream_tbPNSt15iterator_traitsISI_E10value_typeEPNSO_ISJ_E10value_typeEPSK_NS1_7vsmem_tEENKUlT_SI_SJ_SK_E_clIPxSD_S10_SD_EESH_SX_SI_SJ_SK_EUlSX_E1_NS1_11comp_targetILNS1_3genE9ELNS1_11target_archE1100ELNS1_3gpuE3ELNS1_3repE0EEENS1_36merge_oddeven_config_static_selectorELNS0_4arch9wavefront6targetE1EEEvSJ_, .Lfunc_end1087-_ZN7rocprim17ROCPRIM_400000_NS6detail17trampoline_kernelINS0_14default_configENS1_38merge_sort_block_merge_config_selectorIxxEEZZNS1_27merge_sort_block_merge_implIS3_N6thrust23THRUST_200600_302600_NS6detail15normal_iteratorINS8_10device_ptrIxEEEESD_jNS1_19radix_merge_compareILb0ELb0ExNS0_19identity_decomposerEEEEE10hipError_tT0_T1_T2_jT3_P12ihipStream_tbPNSt15iterator_traitsISI_E10value_typeEPNSO_ISJ_E10value_typeEPSK_NS1_7vsmem_tEENKUlT_SI_SJ_SK_E_clIPxSD_S10_SD_EESH_SX_SI_SJ_SK_EUlSX_E1_NS1_11comp_targetILNS1_3genE9ELNS1_11target_archE1100ELNS1_3gpuE3ELNS1_3repE0EEENS1_36merge_oddeven_config_static_selectorELNS0_4arch9wavefront6targetE1EEEvSJ_
                                        ; -- End function
	.set _ZN7rocprim17ROCPRIM_400000_NS6detail17trampoline_kernelINS0_14default_configENS1_38merge_sort_block_merge_config_selectorIxxEEZZNS1_27merge_sort_block_merge_implIS3_N6thrust23THRUST_200600_302600_NS6detail15normal_iteratorINS8_10device_ptrIxEEEESD_jNS1_19radix_merge_compareILb0ELb0ExNS0_19identity_decomposerEEEEE10hipError_tT0_T1_T2_jT3_P12ihipStream_tbPNSt15iterator_traitsISI_E10value_typeEPNSO_ISJ_E10value_typeEPSK_NS1_7vsmem_tEENKUlT_SI_SJ_SK_E_clIPxSD_S10_SD_EESH_SX_SI_SJ_SK_EUlSX_E1_NS1_11comp_targetILNS1_3genE9ELNS1_11target_archE1100ELNS1_3gpuE3ELNS1_3repE0EEENS1_36merge_oddeven_config_static_selectorELNS0_4arch9wavefront6targetE1EEEvSJ_.num_vgpr, 0
	.set _ZN7rocprim17ROCPRIM_400000_NS6detail17trampoline_kernelINS0_14default_configENS1_38merge_sort_block_merge_config_selectorIxxEEZZNS1_27merge_sort_block_merge_implIS3_N6thrust23THRUST_200600_302600_NS6detail15normal_iteratorINS8_10device_ptrIxEEEESD_jNS1_19radix_merge_compareILb0ELb0ExNS0_19identity_decomposerEEEEE10hipError_tT0_T1_T2_jT3_P12ihipStream_tbPNSt15iterator_traitsISI_E10value_typeEPNSO_ISJ_E10value_typeEPSK_NS1_7vsmem_tEENKUlT_SI_SJ_SK_E_clIPxSD_S10_SD_EESH_SX_SI_SJ_SK_EUlSX_E1_NS1_11comp_targetILNS1_3genE9ELNS1_11target_archE1100ELNS1_3gpuE3ELNS1_3repE0EEENS1_36merge_oddeven_config_static_selectorELNS0_4arch9wavefront6targetE1EEEvSJ_.num_agpr, 0
	.set _ZN7rocprim17ROCPRIM_400000_NS6detail17trampoline_kernelINS0_14default_configENS1_38merge_sort_block_merge_config_selectorIxxEEZZNS1_27merge_sort_block_merge_implIS3_N6thrust23THRUST_200600_302600_NS6detail15normal_iteratorINS8_10device_ptrIxEEEESD_jNS1_19radix_merge_compareILb0ELb0ExNS0_19identity_decomposerEEEEE10hipError_tT0_T1_T2_jT3_P12ihipStream_tbPNSt15iterator_traitsISI_E10value_typeEPNSO_ISJ_E10value_typeEPSK_NS1_7vsmem_tEENKUlT_SI_SJ_SK_E_clIPxSD_S10_SD_EESH_SX_SI_SJ_SK_EUlSX_E1_NS1_11comp_targetILNS1_3genE9ELNS1_11target_archE1100ELNS1_3gpuE3ELNS1_3repE0EEENS1_36merge_oddeven_config_static_selectorELNS0_4arch9wavefront6targetE1EEEvSJ_.numbered_sgpr, 0
	.set _ZN7rocprim17ROCPRIM_400000_NS6detail17trampoline_kernelINS0_14default_configENS1_38merge_sort_block_merge_config_selectorIxxEEZZNS1_27merge_sort_block_merge_implIS3_N6thrust23THRUST_200600_302600_NS6detail15normal_iteratorINS8_10device_ptrIxEEEESD_jNS1_19radix_merge_compareILb0ELb0ExNS0_19identity_decomposerEEEEE10hipError_tT0_T1_T2_jT3_P12ihipStream_tbPNSt15iterator_traitsISI_E10value_typeEPNSO_ISJ_E10value_typeEPSK_NS1_7vsmem_tEENKUlT_SI_SJ_SK_E_clIPxSD_S10_SD_EESH_SX_SI_SJ_SK_EUlSX_E1_NS1_11comp_targetILNS1_3genE9ELNS1_11target_archE1100ELNS1_3gpuE3ELNS1_3repE0EEENS1_36merge_oddeven_config_static_selectorELNS0_4arch9wavefront6targetE1EEEvSJ_.num_named_barrier, 0
	.set _ZN7rocprim17ROCPRIM_400000_NS6detail17trampoline_kernelINS0_14default_configENS1_38merge_sort_block_merge_config_selectorIxxEEZZNS1_27merge_sort_block_merge_implIS3_N6thrust23THRUST_200600_302600_NS6detail15normal_iteratorINS8_10device_ptrIxEEEESD_jNS1_19radix_merge_compareILb0ELb0ExNS0_19identity_decomposerEEEEE10hipError_tT0_T1_T2_jT3_P12ihipStream_tbPNSt15iterator_traitsISI_E10value_typeEPNSO_ISJ_E10value_typeEPSK_NS1_7vsmem_tEENKUlT_SI_SJ_SK_E_clIPxSD_S10_SD_EESH_SX_SI_SJ_SK_EUlSX_E1_NS1_11comp_targetILNS1_3genE9ELNS1_11target_archE1100ELNS1_3gpuE3ELNS1_3repE0EEENS1_36merge_oddeven_config_static_selectorELNS0_4arch9wavefront6targetE1EEEvSJ_.private_seg_size, 0
	.set _ZN7rocprim17ROCPRIM_400000_NS6detail17trampoline_kernelINS0_14default_configENS1_38merge_sort_block_merge_config_selectorIxxEEZZNS1_27merge_sort_block_merge_implIS3_N6thrust23THRUST_200600_302600_NS6detail15normal_iteratorINS8_10device_ptrIxEEEESD_jNS1_19radix_merge_compareILb0ELb0ExNS0_19identity_decomposerEEEEE10hipError_tT0_T1_T2_jT3_P12ihipStream_tbPNSt15iterator_traitsISI_E10value_typeEPNSO_ISJ_E10value_typeEPSK_NS1_7vsmem_tEENKUlT_SI_SJ_SK_E_clIPxSD_S10_SD_EESH_SX_SI_SJ_SK_EUlSX_E1_NS1_11comp_targetILNS1_3genE9ELNS1_11target_archE1100ELNS1_3gpuE3ELNS1_3repE0EEENS1_36merge_oddeven_config_static_selectorELNS0_4arch9wavefront6targetE1EEEvSJ_.uses_vcc, 0
	.set _ZN7rocprim17ROCPRIM_400000_NS6detail17trampoline_kernelINS0_14default_configENS1_38merge_sort_block_merge_config_selectorIxxEEZZNS1_27merge_sort_block_merge_implIS3_N6thrust23THRUST_200600_302600_NS6detail15normal_iteratorINS8_10device_ptrIxEEEESD_jNS1_19radix_merge_compareILb0ELb0ExNS0_19identity_decomposerEEEEE10hipError_tT0_T1_T2_jT3_P12ihipStream_tbPNSt15iterator_traitsISI_E10value_typeEPNSO_ISJ_E10value_typeEPSK_NS1_7vsmem_tEENKUlT_SI_SJ_SK_E_clIPxSD_S10_SD_EESH_SX_SI_SJ_SK_EUlSX_E1_NS1_11comp_targetILNS1_3genE9ELNS1_11target_archE1100ELNS1_3gpuE3ELNS1_3repE0EEENS1_36merge_oddeven_config_static_selectorELNS0_4arch9wavefront6targetE1EEEvSJ_.uses_flat_scratch, 0
	.set _ZN7rocprim17ROCPRIM_400000_NS6detail17trampoline_kernelINS0_14default_configENS1_38merge_sort_block_merge_config_selectorIxxEEZZNS1_27merge_sort_block_merge_implIS3_N6thrust23THRUST_200600_302600_NS6detail15normal_iteratorINS8_10device_ptrIxEEEESD_jNS1_19radix_merge_compareILb0ELb0ExNS0_19identity_decomposerEEEEE10hipError_tT0_T1_T2_jT3_P12ihipStream_tbPNSt15iterator_traitsISI_E10value_typeEPNSO_ISJ_E10value_typeEPSK_NS1_7vsmem_tEENKUlT_SI_SJ_SK_E_clIPxSD_S10_SD_EESH_SX_SI_SJ_SK_EUlSX_E1_NS1_11comp_targetILNS1_3genE9ELNS1_11target_archE1100ELNS1_3gpuE3ELNS1_3repE0EEENS1_36merge_oddeven_config_static_selectorELNS0_4arch9wavefront6targetE1EEEvSJ_.has_dyn_sized_stack, 0
	.set _ZN7rocprim17ROCPRIM_400000_NS6detail17trampoline_kernelINS0_14default_configENS1_38merge_sort_block_merge_config_selectorIxxEEZZNS1_27merge_sort_block_merge_implIS3_N6thrust23THRUST_200600_302600_NS6detail15normal_iteratorINS8_10device_ptrIxEEEESD_jNS1_19radix_merge_compareILb0ELb0ExNS0_19identity_decomposerEEEEE10hipError_tT0_T1_T2_jT3_P12ihipStream_tbPNSt15iterator_traitsISI_E10value_typeEPNSO_ISJ_E10value_typeEPSK_NS1_7vsmem_tEENKUlT_SI_SJ_SK_E_clIPxSD_S10_SD_EESH_SX_SI_SJ_SK_EUlSX_E1_NS1_11comp_targetILNS1_3genE9ELNS1_11target_archE1100ELNS1_3gpuE3ELNS1_3repE0EEENS1_36merge_oddeven_config_static_selectorELNS0_4arch9wavefront6targetE1EEEvSJ_.has_recursion, 0
	.set _ZN7rocprim17ROCPRIM_400000_NS6detail17trampoline_kernelINS0_14default_configENS1_38merge_sort_block_merge_config_selectorIxxEEZZNS1_27merge_sort_block_merge_implIS3_N6thrust23THRUST_200600_302600_NS6detail15normal_iteratorINS8_10device_ptrIxEEEESD_jNS1_19radix_merge_compareILb0ELb0ExNS0_19identity_decomposerEEEEE10hipError_tT0_T1_T2_jT3_P12ihipStream_tbPNSt15iterator_traitsISI_E10value_typeEPNSO_ISJ_E10value_typeEPSK_NS1_7vsmem_tEENKUlT_SI_SJ_SK_E_clIPxSD_S10_SD_EESH_SX_SI_SJ_SK_EUlSX_E1_NS1_11comp_targetILNS1_3genE9ELNS1_11target_archE1100ELNS1_3gpuE3ELNS1_3repE0EEENS1_36merge_oddeven_config_static_selectorELNS0_4arch9wavefront6targetE1EEEvSJ_.has_indirect_call, 0
	.section	.AMDGPU.csdata,"",@progbits
; Kernel info:
; codeLenInByte = 0
; TotalNumSgprs: 6
; NumVgprs: 0
; NumAgprs: 0
; TotalNumVgprs: 0
; ScratchSize: 0
; MemoryBound: 0
; FloatMode: 240
; IeeeMode: 1
; LDSByteSize: 0 bytes/workgroup (compile time only)
; SGPRBlocks: 0
; VGPRBlocks: 0
; NumSGPRsForWavesPerEU: 6
; NumVGPRsForWavesPerEU: 1
; AccumOffset: 4
; Occupancy: 8
; WaveLimiterHint : 0
; COMPUTE_PGM_RSRC2:SCRATCH_EN: 0
; COMPUTE_PGM_RSRC2:USER_SGPR: 2
; COMPUTE_PGM_RSRC2:TRAP_HANDLER: 0
; COMPUTE_PGM_RSRC2:TGID_X_EN: 1
; COMPUTE_PGM_RSRC2:TGID_Y_EN: 0
; COMPUTE_PGM_RSRC2:TGID_Z_EN: 0
; COMPUTE_PGM_RSRC2:TIDIG_COMP_CNT: 0
; COMPUTE_PGM_RSRC3_GFX90A:ACCUM_OFFSET: 0
; COMPUTE_PGM_RSRC3_GFX90A:TG_SPLIT: 0
	.section	.text._ZN7rocprim17ROCPRIM_400000_NS6detail17trampoline_kernelINS0_14default_configENS1_38merge_sort_block_merge_config_selectorIxxEEZZNS1_27merge_sort_block_merge_implIS3_N6thrust23THRUST_200600_302600_NS6detail15normal_iteratorINS8_10device_ptrIxEEEESD_jNS1_19radix_merge_compareILb0ELb0ExNS0_19identity_decomposerEEEEE10hipError_tT0_T1_T2_jT3_P12ihipStream_tbPNSt15iterator_traitsISI_E10value_typeEPNSO_ISJ_E10value_typeEPSK_NS1_7vsmem_tEENKUlT_SI_SJ_SK_E_clIPxSD_S10_SD_EESH_SX_SI_SJ_SK_EUlSX_E1_NS1_11comp_targetILNS1_3genE8ELNS1_11target_archE1030ELNS1_3gpuE2ELNS1_3repE0EEENS1_36merge_oddeven_config_static_selectorELNS0_4arch9wavefront6targetE1EEEvSJ_,"axG",@progbits,_ZN7rocprim17ROCPRIM_400000_NS6detail17trampoline_kernelINS0_14default_configENS1_38merge_sort_block_merge_config_selectorIxxEEZZNS1_27merge_sort_block_merge_implIS3_N6thrust23THRUST_200600_302600_NS6detail15normal_iteratorINS8_10device_ptrIxEEEESD_jNS1_19radix_merge_compareILb0ELb0ExNS0_19identity_decomposerEEEEE10hipError_tT0_T1_T2_jT3_P12ihipStream_tbPNSt15iterator_traitsISI_E10value_typeEPNSO_ISJ_E10value_typeEPSK_NS1_7vsmem_tEENKUlT_SI_SJ_SK_E_clIPxSD_S10_SD_EESH_SX_SI_SJ_SK_EUlSX_E1_NS1_11comp_targetILNS1_3genE8ELNS1_11target_archE1030ELNS1_3gpuE2ELNS1_3repE0EEENS1_36merge_oddeven_config_static_selectorELNS0_4arch9wavefront6targetE1EEEvSJ_,comdat
	.protected	_ZN7rocprim17ROCPRIM_400000_NS6detail17trampoline_kernelINS0_14default_configENS1_38merge_sort_block_merge_config_selectorIxxEEZZNS1_27merge_sort_block_merge_implIS3_N6thrust23THRUST_200600_302600_NS6detail15normal_iteratorINS8_10device_ptrIxEEEESD_jNS1_19radix_merge_compareILb0ELb0ExNS0_19identity_decomposerEEEEE10hipError_tT0_T1_T2_jT3_P12ihipStream_tbPNSt15iterator_traitsISI_E10value_typeEPNSO_ISJ_E10value_typeEPSK_NS1_7vsmem_tEENKUlT_SI_SJ_SK_E_clIPxSD_S10_SD_EESH_SX_SI_SJ_SK_EUlSX_E1_NS1_11comp_targetILNS1_3genE8ELNS1_11target_archE1030ELNS1_3gpuE2ELNS1_3repE0EEENS1_36merge_oddeven_config_static_selectorELNS0_4arch9wavefront6targetE1EEEvSJ_ ; -- Begin function _ZN7rocprim17ROCPRIM_400000_NS6detail17trampoline_kernelINS0_14default_configENS1_38merge_sort_block_merge_config_selectorIxxEEZZNS1_27merge_sort_block_merge_implIS3_N6thrust23THRUST_200600_302600_NS6detail15normal_iteratorINS8_10device_ptrIxEEEESD_jNS1_19radix_merge_compareILb0ELb0ExNS0_19identity_decomposerEEEEE10hipError_tT0_T1_T2_jT3_P12ihipStream_tbPNSt15iterator_traitsISI_E10value_typeEPNSO_ISJ_E10value_typeEPSK_NS1_7vsmem_tEENKUlT_SI_SJ_SK_E_clIPxSD_S10_SD_EESH_SX_SI_SJ_SK_EUlSX_E1_NS1_11comp_targetILNS1_3genE8ELNS1_11target_archE1030ELNS1_3gpuE2ELNS1_3repE0EEENS1_36merge_oddeven_config_static_selectorELNS0_4arch9wavefront6targetE1EEEvSJ_
	.globl	_ZN7rocprim17ROCPRIM_400000_NS6detail17trampoline_kernelINS0_14default_configENS1_38merge_sort_block_merge_config_selectorIxxEEZZNS1_27merge_sort_block_merge_implIS3_N6thrust23THRUST_200600_302600_NS6detail15normal_iteratorINS8_10device_ptrIxEEEESD_jNS1_19radix_merge_compareILb0ELb0ExNS0_19identity_decomposerEEEEE10hipError_tT0_T1_T2_jT3_P12ihipStream_tbPNSt15iterator_traitsISI_E10value_typeEPNSO_ISJ_E10value_typeEPSK_NS1_7vsmem_tEENKUlT_SI_SJ_SK_E_clIPxSD_S10_SD_EESH_SX_SI_SJ_SK_EUlSX_E1_NS1_11comp_targetILNS1_3genE8ELNS1_11target_archE1030ELNS1_3gpuE2ELNS1_3repE0EEENS1_36merge_oddeven_config_static_selectorELNS0_4arch9wavefront6targetE1EEEvSJ_
	.p2align	8
	.type	_ZN7rocprim17ROCPRIM_400000_NS6detail17trampoline_kernelINS0_14default_configENS1_38merge_sort_block_merge_config_selectorIxxEEZZNS1_27merge_sort_block_merge_implIS3_N6thrust23THRUST_200600_302600_NS6detail15normal_iteratorINS8_10device_ptrIxEEEESD_jNS1_19radix_merge_compareILb0ELb0ExNS0_19identity_decomposerEEEEE10hipError_tT0_T1_T2_jT3_P12ihipStream_tbPNSt15iterator_traitsISI_E10value_typeEPNSO_ISJ_E10value_typeEPSK_NS1_7vsmem_tEENKUlT_SI_SJ_SK_E_clIPxSD_S10_SD_EESH_SX_SI_SJ_SK_EUlSX_E1_NS1_11comp_targetILNS1_3genE8ELNS1_11target_archE1030ELNS1_3gpuE2ELNS1_3repE0EEENS1_36merge_oddeven_config_static_selectorELNS0_4arch9wavefront6targetE1EEEvSJ_,@function
_ZN7rocprim17ROCPRIM_400000_NS6detail17trampoline_kernelINS0_14default_configENS1_38merge_sort_block_merge_config_selectorIxxEEZZNS1_27merge_sort_block_merge_implIS3_N6thrust23THRUST_200600_302600_NS6detail15normal_iteratorINS8_10device_ptrIxEEEESD_jNS1_19radix_merge_compareILb0ELb0ExNS0_19identity_decomposerEEEEE10hipError_tT0_T1_T2_jT3_P12ihipStream_tbPNSt15iterator_traitsISI_E10value_typeEPNSO_ISJ_E10value_typeEPSK_NS1_7vsmem_tEENKUlT_SI_SJ_SK_E_clIPxSD_S10_SD_EESH_SX_SI_SJ_SK_EUlSX_E1_NS1_11comp_targetILNS1_3genE8ELNS1_11target_archE1030ELNS1_3gpuE2ELNS1_3repE0EEENS1_36merge_oddeven_config_static_selectorELNS0_4arch9wavefront6targetE1EEEvSJ_: ; @_ZN7rocprim17ROCPRIM_400000_NS6detail17trampoline_kernelINS0_14default_configENS1_38merge_sort_block_merge_config_selectorIxxEEZZNS1_27merge_sort_block_merge_implIS3_N6thrust23THRUST_200600_302600_NS6detail15normal_iteratorINS8_10device_ptrIxEEEESD_jNS1_19radix_merge_compareILb0ELb0ExNS0_19identity_decomposerEEEEE10hipError_tT0_T1_T2_jT3_P12ihipStream_tbPNSt15iterator_traitsISI_E10value_typeEPNSO_ISJ_E10value_typeEPSK_NS1_7vsmem_tEENKUlT_SI_SJ_SK_E_clIPxSD_S10_SD_EESH_SX_SI_SJ_SK_EUlSX_E1_NS1_11comp_targetILNS1_3genE8ELNS1_11target_archE1030ELNS1_3gpuE2ELNS1_3repE0EEENS1_36merge_oddeven_config_static_selectorELNS0_4arch9wavefront6targetE1EEEvSJ_
; %bb.0:
	.section	.rodata,"a",@progbits
	.p2align	6, 0x0
	.amdhsa_kernel _ZN7rocprim17ROCPRIM_400000_NS6detail17trampoline_kernelINS0_14default_configENS1_38merge_sort_block_merge_config_selectorIxxEEZZNS1_27merge_sort_block_merge_implIS3_N6thrust23THRUST_200600_302600_NS6detail15normal_iteratorINS8_10device_ptrIxEEEESD_jNS1_19radix_merge_compareILb0ELb0ExNS0_19identity_decomposerEEEEE10hipError_tT0_T1_T2_jT3_P12ihipStream_tbPNSt15iterator_traitsISI_E10value_typeEPNSO_ISJ_E10value_typeEPSK_NS1_7vsmem_tEENKUlT_SI_SJ_SK_E_clIPxSD_S10_SD_EESH_SX_SI_SJ_SK_EUlSX_E1_NS1_11comp_targetILNS1_3genE8ELNS1_11target_archE1030ELNS1_3gpuE2ELNS1_3repE0EEENS1_36merge_oddeven_config_static_selectorELNS0_4arch9wavefront6targetE1EEEvSJ_
		.amdhsa_group_segment_fixed_size 0
		.amdhsa_private_segment_fixed_size 0
		.amdhsa_kernarg_size 48
		.amdhsa_user_sgpr_count 2
		.amdhsa_user_sgpr_dispatch_ptr 0
		.amdhsa_user_sgpr_queue_ptr 0
		.amdhsa_user_sgpr_kernarg_segment_ptr 1
		.amdhsa_user_sgpr_dispatch_id 0
		.amdhsa_user_sgpr_kernarg_preload_length 0
		.amdhsa_user_sgpr_kernarg_preload_offset 0
		.amdhsa_user_sgpr_private_segment_size 0
		.amdhsa_uses_dynamic_stack 0
		.amdhsa_enable_private_segment 0
		.amdhsa_system_sgpr_workgroup_id_x 1
		.amdhsa_system_sgpr_workgroup_id_y 0
		.amdhsa_system_sgpr_workgroup_id_z 0
		.amdhsa_system_sgpr_workgroup_info 0
		.amdhsa_system_vgpr_workitem_id 0
		.amdhsa_next_free_vgpr 1
		.amdhsa_next_free_sgpr 0
		.amdhsa_accum_offset 4
		.amdhsa_reserve_vcc 0
		.amdhsa_float_round_mode_32 0
		.amdhsa_float_round_mode_16_64 0
		.amdhsa_float_denorm_mode_32 3
		.amdhsa_float_denorm_mode_16_64 3
		.amdhsa_dx10_clamp 1
		.amdhsa_ieee_mode 1
		.amdhsa_fp16_overflow 0
		.amdhsa_tg_split 0
		.amdhsa_exception_fp_ieee_invalid_op 0
		.amdhsa_exception_fp_denorm_src 0
		.amdhsa_exception_fp_ieee_div_zero 0
		.amdhsa_exception_fp_ieee_overflow 0
		.amdhsa_exception_fp_ieee_underflow 0
		.amdhsa_exception_fp_ieee_inexact 0
		.amdhsa_exception_int_div_zero 0
	.end_amdhsa_kernel
	.section	.text._ZN7rocprim17ROCPRIM_400000_NS6detail17trampoline_kernelINS0_14default_configENS1_38merge_sort_block_merge_config_selectorIxxEEZZNS1_27merge_sort_block_merge_implIS3_N6thrust23THRUST_200600_302600_NS6detail15normal_iteratorINS8_10device_ptrIxEEEESD_jNS1_19radix_merge_compareILb0ELb0ExNS0_19identity_decomposerEEEEE10hipError_tT0_T1_T2_jT3_P12ihipStream_tbPNSt15iterator_traitsISI_E10value_typeEPNSO_ISJ_E10value_typeEPSK_NS1_7vsmem_tEENKUlT_SI_SJ_SK_E_clIPxSD_S10_SD_EESH_SX_SI_SJ_SK_EUlSX_E1_NS1_11comp_targetILNS1_3genE8ELNS1_11target_archE1030ELNS1_3gpuE2ELNS1_3repE0EEENS1_36merge_oddeven_config_static_selectorELNS0_4arch9wavefront6targetE1EEEvSJ_,"axG",@progbits,_ZN7rocprim17ROCPRIM_400000_NS6detail17trampoline_kernelINS0_14default_configENS1_38merge_sort_block_merge_config_selectorIxxEEZZNS1_27merge_sort_block_merge_implIS3_N6thrust23THRUST_200600_302600_NS6detail15normal_iteratorINS8_10device_ptrIxEEEESD_jNS1_19radix_merge_compareILb0ELb0ExNS0_19identity_decomposerEEEEE10hipError_tT0_T1_T2_jT3_P12ihipStream_tbPNSt15iterator_traitsISI_E10value_typeEPNSO_ISJ_E10value_typeEPSK_NS1_7vsmem_tEENKUlT_SI_SJ_SK_E_clIPxSD_S10_SD_EESH_SX_SI_SJ_SK_EUlSX_E1_NS1_11comp_targetILNS1_3genE8ELNS1_11target_archE1030ELNS1_3gpuE2ELNS1_3repE0EEENS1_36merge_oddeven_config_static_selectorELNS0_4arch9wavefront6targetE1EEEvSJ_,comdat
.Lfunc_end1088:
	.size	_ZN7rocprim17ROCPRIM_400000_NS6detail17trampoline_kernelINS0_14default_configENS1_38merge_sort_block_merge_config_selectorIxxEEZZNS1_27merge_sort_block_merge_implIS3_N6thrust23THRUST_200600_302600_NS6detail15normal_iteratorINS8_10device_ptrIxEEEESD_jNS1_19radix_merge_compareILb0ELb0ExNS0_19identity_decomposerEEEEE10hipError_tT0_T1_T2_jT3_P12ihipStream_tbPNSt15iterator_traitsISI_E10value_typeEPNSO_ISJ_E10value_typeEPSK_NS1_7vsmem_tEENKUlT_SI_SJ_SK_E_clIPxSD_S10_SD_EESH_SX_SI_SJ_SK_EUlSX_E1_NS1_11comp_targetILNS1_3genE8ELNS1_11target_archE1030ELNS1_3gpuE2ELNS1_3repE0EEENS1_36merge_oddeven_config_static_selectorELNS0_4arch9wavefront6targetE1EEEvSJ_, .Lfunc_end1088-_ZN7rocprim17ROCPRIM_400000_NS6detail17trampoline_kernelINS0_14default_configENS1_38merge_sort_block_merge_config_selectorIxxEEZZNS1_27merge_sort_block_merge_implIS3_N6thrust23THRUST_200600_302600_NS6detail15normal_iteratorINS8_10device_ptrIxEEEESD_jNS1_19radix_merge_compareILb0ELb0ExNS0_19identity_decomposerEEEEE10hipError_tT0_T1_T2_jT3_P12ihipStream_tbPNSt15iterator_traitsISI_E10value_typeEPNSO_ISJ_E10value_typeEPSK_NS1_7vsmem_tEENKUlT_SI_SJ_SK_E_clIPxSD_S10_SD_EESH_SX_SI_SJ_SK_EUlSX_E1_NS1_11comp_targetILNS1_3genE8ELNS1_11target_archE1030ELNS1_3gpuE2ELNS1_3repE0EEENS1_36merge_oddeven_config_static_selectorELNS0_4arch9wavefront6targetE1EEEvSJ_
                                        ; -- End function
	.set _ZN7rocprim17ROCPRIM_400000_NS6detail17trampoline_kernelINS0_14default_configENS1_38merge_sort_block_merge_config_selectorIxxEEZZNS1_27merge_sort_block_merge_implIS3_N6thrust23THRUST_200600_302600_NS6detail15normal_iteratorINS8_10device_ptrIxEEEESD_jNS1_19radix_merge_compareILb0ELb0ExNS0_19identity_decomposerEEEEE10hipError_tT0_T1_T2_jT3_P12ihipStream_tbPNSt15iterator_traitsISI_E10value_typeEPNSO_ISJ_E10value_typeEPSK_NS1_7vsmem_tEENKUlT_SI_SJ_SK_E_clIPxSD_S10_SD_EESH_SX_SI_SJ_SK_EUlSX_E1_NS1_11comp_targetILNS1_3genE8ELNS1_11target_archE1030ELNS1_3gpuE2ELNS1_3repE0EEENS1_36merge_oddeven_config_static_selectorELNS0_4arch9wavefront6targetE1EEEvSJ_.num_vgpr, 0
	.set _ZN7rocprim17ROCPRIM_400000_NS6detail17trampoline_kernelINS0_14default_configENS1_38merge_sort_block_merge_config_selectorIxxEEZZNS1_27merge_sort_block_merge_implIS3_N6thrust23THRUST_200600_302600_NS6detail15normal_iteratorINS8_10device_ptrIxEEEESD_jNS1_19radix_merge_compareILb0ELb0ExNS0_19identity_decomposerEEEEE10hipError_tT0_T1_T2_jT3_P12ihipStream_tbPNSt15iterator_traitsISI_E10value_typeEPNSO_ISJ_E10value_typeEPSK_NS1_7vsmem_tEENKUlT_SI_SJ_SK_E_clIPxSD_S10_SD_EESH_SX_SI_SJ_SK_EUlSX_E1_NS1_11comp_targetILNS1_3genE8ELNS1_11target_archE1030ELNS1_3gpuE2ELNS1_3repE0EEENS1_36merge_oddeven_config_static_selectorELNS0_4arch9wavefront6targetE1EEEvSJ_.num_agpr, 0
	.set _ZN7rocprim17ROCPRIM_400000_NS6detail17trampoline_kernelINS0_14default_configENS1_38merge_sort_block_merge_config_selectorIxxEEZZNS1_27merge_sort_block_merge_implIS3_N6thrust23THRUST_200600_302600_NS6detail15normal_iteratorINS8_10device_ptrIxEEEESD_jNS1_19radix_merge_compareILb0ELb0ExNS0_19identity_decomposerEEEEE10hipError_tT0_T1_T2_jT3_P12ihipStream_tbPNSt15iterator_traitsISI_E10value_typeEPNSO_ISJ_E10value_typeEPSK_NS1_7vsmem_tEENKUlT_SI_SJ_SK_E_clIPxSD_S10_SD_EESH_SX_SI_SJ_SK_EUlSX_E1_NS1_11comp_targetILNS1_3genE8ELNS1_11target_archE1030ELNS1_3gpuE2ELNS1_3repE0EEENS1_36merge_oddeven_config_static_selectorELNS0_4arch9wavefront6targetE1EEEvSJ_.numbered_sgpr, 0
	.set _ZN7rocprim17ROCPRIM_400000_NS6detail17trampoline_kernelINS0_14default_configENS1_38merge_sort_block_merge_config_selectorIxxEEZZNS1_27merge_sort_block_merge_implIS3_N6thrust23THRUST_200600_302600_NS6detail15normal_iteratorINS8_10device_ptrIxEEEESD_jNS1_19radix_merge_compareILb0ELb0ExNS0_19identity_decomposerEEEEE10hipError_tT0_T1_T2_jT3_P12ihipStream_tbPNSt15iterator_traitsISI_E10value_typeEPNSO_ISJ_E10value_typeEPSK_NS1_7vsmem_tEENKUlT_SI_SJ_SK_E_clIPxSD_S10_SD_EESH_SX_SI_SJ_SK_EUlSX_E1_NS1_11comp_targetILNS1_3genE8ELNS1_11target_archE1030ELNS1_3gpuE2ELNS1_3repE0EEENS1_36merge_oddeven_config_static_selectorELNS0_4arch9wavefront6targetE1EEEvSJ_.num_named_barrier, 0
	.set _ZN7rocprim17ROCPRIM_400000_NS6detail17trampoline_kernelINS0_14default_configENS1_38merge_sort_block_merge_config_selectorIxxEEZZNS1_27merge_sort_block_merge_implIS3_N6thrust23THRUST_200600_302600_NS6detail15normal_iteratorINS8_10device_ptrIxEEEESD_jNS1_19radix_merge_compareILb0ELb0ExNS0_19identity_decomposerEEEEE10hipError_tT0_T1_T2_jT3_P12ihipStream_tbPNSt15iterator_traitsISI_E10value_typeEPNSO_ISJ_E10value_typeEPSK_NS1_7vsmem_tEENKUlT_SI_SJ_SK_E_clIPxSD_S10_SD_EESH_SX_SI_SJ_SK_EUlSX_E1_NS1_11comp_targetILNS1_3genE8ELNS1_11target_archE1030ELNS1_3gpuE2ELNS1_3repE0EEENS1_36merge_oddeven_config_static_selectorELNS0_4arch9wavefront6targetE1EEEvSJ_.private_seg_size, 0
	.set _ZN7rocprim17ROCPRIM_400000_NS6detail17trampoline_kernelINS0_14default_configENS1_38merge_sort_block_merge_config_selectorIxxEEZZNS1_27merge_sort_block_merge_implIS3_N6thrust23THRUST_200600_302600_NS6detail15normal_iteratorINS8_10device_ptrIxEEEESD_jNS1_19radix_merge_compareILb0ELb0ExNS0_19identity_decomposerEEEEE10hipError_tT0_T1_T2_jT3_P12ihipStream_tbPNSt15iterator_traitsISI_E10value_typeEPNSO_ISJ_E10value_typeEPSK_NS1_7vsmem_tEENKUlT_SI_SJ_SK_E_clIPxSD_S10_SD_EESH_SX_SI_SJ_SK_EUlSX_E1_NS1_11comp_targetILNS1_3genE8ELNS1_11target_archE1030ELNS1_3gpuE2ELNS1_3repE0EEENS1_36merge_oddeven_config_static_selectorELNS0_4arch9wavefront6targetE1EEEvSJ_.uses_vcc, 0
	.set _ZN7rocprim17ROCPRIM_400000_NS6detail17trampoline_kernelINS0_14default_configENS1_38merge_sort_block_merge_config_selectorIxxEEZZNS1_27merge_sort_block_merge_implIS3_N6thrust23THRUST_200600_302600_NS6detail15normal_iteratorINS8_10device_ptrIxEEEESD_jNS1_19radix_merge_compareILb0ELb0ExNS0_19identity_decomposerEEEEE10hipError_tT0_T1_T2_jT3_P12ihipStream_tbPNSt15iterator_traitsISI_E10value_typeEPNSO_ISJ_E10value_typeEPSK_NS1_7vsmem_tEENKUlT_SI_SJ_SK_E_clIPxSD_S10_SD_EESH_SX_SI_SJ_SK_EUlSX_E1_NS1_11comp_targetILNS1_3genE8ELNS1_11target_archE1030ELNS1_3gpuE2ELNS1_3repE0EEENS1_36merge_oddeven_config_static_selectorELNS0_4arch9wavefront6targetE1EEEvSJ_.uses_flat_scratch, 0
	.set _ZN7rocprim17ROCPRIM_400000_NS6detail17trampoline_kernelINS0_14default_configENS1_38merge_sort_block_merge_config_selectorIxxEEZZNS1_27merge_sort_block_merge_implIS3_N6thrust23THRUST_200600_302600_NS6detail15normal_iteratorINS8_10device_ptrIxEEEESD_jNS1_19radix_merge_compareILb0ELb0ExNS0_19identity_decomposerEEEEE10hipError_tT0_T1_T2_jT3_P12ihipStream_tbPNSt15iterator_traitsISI_E10value_typeEPNSO_ISJ_E10value_typeEPSK_NS1_7vsmem_tEENKUlT_SI_SJ_SK_E_clIPxSD_S10_SD_EESH_SX_SI_SJ_SK_EUlSX_E1_NS1_11comp_targetILNS1_3genE8ELNS1_11target_archE1030ELNS1_3gpuE2ELNS1_3repE0EEENS1_36merge_oddeven_config_static_selectorELNS0_4arch9wavefront6targetE1EEEvSJ_.has_dyn_sized_stack, 0
	.set _ZN7rocprim17ROCPRIM_400000_NS6detail17trampoline_kernelINS0_14default_configENS1_38merge_sort_block_merge_config_selectorIxxEEZZNS1_27merge_sort_block_merge_implIS3_N6thrust23THRUST_200600_302600_NS6detail15normal_iteratorINS8_10device_ptrIxEEEESD_jNS1_19radix_merge_compareILb0ELb0ExNS0_19identity_decomposerEEEEE10hipError_tT0_T1_T2_jT3_P12ihipStream_tbPNSt15iterator_traitsISI_E10value_typeEPNSO_ISJ_E10value_typeEPSK_NS1_7vsmem_tEENKUlT_SI_SJ_SK_E_clIPxSD_S10_SD_EESH_SX_SI_SJ_SK_EUlSX_E1_NS1_11comp_targetILNS1_3genE8ELNS1_11target_archE1030ELNS1_3gpuE2ELNS1_3repE0EEENS1_36merge_oddeven_config_static_selectorELNS0_4arch9wavefront6targetE1EEEvSJ_.has_recursion, 0
	.set _ZN7rocprim17ROCPRIM_400000_NS6detail17trampoline_kernelINS0_14default_configENS1_38merge_sort_block_merge_config_selectorIxxEEZZNS1_27merge_sort_block_merge_implIS3_N6thrust23THRUST_200600_302600_NS6detail15normal_iteratorINS8_10device_ptrIxEEEESD_jNS1_19radix_merge_compareILb0ELb0ExNS0_19identity_decomposerEEEEE10hipError_tT0_T1_T2_jT3_P12ihipStream_tbPNSt15iterator_traitsISI_E10value_typeEPNSO_ISJ_E10value_typeEPSK_NS1_7vsmem_tEENKUlT_SI_SJ_SK_E_clIPxSD_S10_SD_EESH_SX_SI_SJ_SK_EUlSX_E1_NS1_11comp_targetILNS1_3genE8ELNS1_11target_archE1030ELNS1_3gpuE2ELNS1_3repE0EEENS1_36merge_oddeven_config_static_selectorELNS0_4arch9wavefront6targetE1EEEvSJ_.has_indirect_call, 0
	.section	.AMDGPU.csdata,"",@progbits
; Kernel info:
; codeLenInByte = 0
; TotalNumSgprs: 6
; NumVgprs: 0
; NumAgprs: 0
; TotalNumVgprs: 0
; ScratchSize: 0
; MemoryBound: 0
; FloatMode: 240
; IeeeMode: 1
; LDSByteSize: 0 bytes/workgroup (compile time only)
; SGPRBlocks: 0
; VGPRBlocks: 0
; NumSGPRsForWavesPerEU: 6
; NumVGPRsForWavesPerEU: 1
; AccumOffset: 4
; Occupancy: 8
; WaveLimiterHint : 0
; COMPUTE_PGM_RSRC2:SCRATCH_EN: 0
; COMPUTE_PGM_RSRC2:USER_SGPR: 2
; COMPUTE_PGM_RSRC2:TRAP_HANDLER: 0
; COMPUTE_PGM_RSRC2:TGID_X_EN: 1
; COMPUTE_PGM_RSRC2:TGID_Y_EN: 0
; COMPUTE_PGM_RSRC2:TGID_Z_EN: 0
; COMPUTE_PGM_RSRC2:TIDIG_COMP_CNT: 0
; COMPUTE_PGM_RSRC3_GFX90A:ACCUM_OFFSET: 0
; COMPUTE_PGM_RSRC3_GFX90A:TG_SPLIT: 0
	.section	.text._ZN7rocprim17ROCPRIM_400000_NS6detail17trampoline_kernelINS0_14default_configENS1_38merge_sort_block_merge_config_selectorIxxEEZZNS1_27merge_sort_block_merge_implIS3_N6thrust23THRUST_200600_302600_NS6detail15normal_iteratorINS8_10device_ptrIxEEEESD_jNS1_19radix_merge_compareILb0ELb0ExNS0_19identity_decomposerEEEEE10hipError_tT0_T1_T2_jT3_P12ihipStream_tbPNSt15iterator_traitsISI_E10value_typeEPNSO_ISJ_E10value_typeEPSK_NS1_7vsmem_tEENKUlT_SI_SJ_SK_E_clISD_PxSD_S10_EESH_SX_SI_SJ_SK_EUlSX_E_NS1_11comp_targetILNS1_3genE0ELNS1_11target_archE4294967295ELNS1_3gpuE0ELNS1_3repE0EEENS1_48merge_mergepath_partition_config_static_selectorELNS0_4arch9wavefront6targetE1EEEvSJ_,"axG",@progbits,_ZN7rocprim17ROCPRIM_400000_NS6detail17trampoline_kernelINS0_14default_configENS1_38merge_sort_block_merge_config_selectorIxxEEZZNS1_27merge_sort_block_merge_implIS3_N6thrust23THRUST_200600_302600_NS6detail15normal_iteratorINS8_10device_ptrIxEEEESD_jNS1_19radix_merge_compareILb0ELb0ExNS0_19identity_decomposerEEEEE10hipError_tT0_T1_T2_jT3_P12ihipStream_tbPNSt15iterator_traitsISI_E10value_typeEPNSO_ISJ_E10value_typeEPSK_NS1_7vsmem_tEENKUlT_SI_SJ_SK_E_clISD_PxSD_S10_EESH_SX_SI_SJ_SK_EUlSX_E_NS1_11comp_targetILNS1_3genE0ELNS1_11target_archE4294967295ELNS1_3gpuE0ELNS1_3repE0EEENS1_48merge_mergepath_partition_config_static_selectorELNS0_4arch9wavefront6targetE1EEEvSJ_,comdat
	.protected	_ZN7rocprim17ROCPRIM_400000_NS6detail17trampoline_kernelINS0_14default_configENS1_38merge_sort_block_merge_config_selectorIxxEEZZNS1_27merge_sort_block_merge_implIS3_N6thrust23THRUST_200600_302600_NS6detail15normal_iteratorINS8_10device_ptrIxEEEESD_jNS1_19radix_merge_compareILb0ELb0ExNS0_19identity_decomposerEEEEE10hipError_tT0_T1_T2_jT3_P12ihipStream_tbPNSt15iterator_traitsISI_E10value_typeEPNSO_ISJ_E10value_typeEPSK_NS1_7vsmem_tEENKUlT_SI_SJ_SK_E_clISD_PxSD_S10_EESH_SX_SI_SJ_SK_EUlSX_E_NS1_11comp_targetILNS1_3genE0ELNS1_11target_archE4294967295ELNS1_3gpuE0ELNS1_3repE0EEENS1_48merge_mergepath_partition_config_static_selectorELNS0_4arch9wavefront6targetE1EEEvSJ_ ; -- Begin function _ZN7rocprim17ROCPRIM_400000_NS6detail17trampoline_kernelINS0_14default_configENS1_38merge_sort_block_merge_config_selectorIxxEEZZNS1_27merge_sort_block_merge_implIS3_N6thrust23THRUST_200600_302600_NS6detail15normal_iteratorINS8_10device_ptrIxEEEESD_jNS1_19radix_merge_compareILb0ELb0ExNS0_19identity_decomposerEEEEE10hipError_tT0_T1_T2_jT3_P12ihipStream_tbPNSt15iterator_traitsISI_E10value_typeEPNSO_ISJ_E10value_typeEPSK_NS1_7vsmem_tEENKUlT_SI_SJ_SK_E_clISD_PxSD_S10_EESH_SX_SI_SJ_SK_EUlSX_E_NS1_11comp_targetILNS1_3genE0ELNS1_11target_archE4294967295ELNS1_3gpuE0ELNS1_3repE0EEENS1_48merge_mergepath_partition_config_static_selectorELNS0_4arch9wavefront6targetE1EEEvSJ_
	.globl	_ZN7rocprim17ROCPRIM_400000_NS6detail17trampoline_kernelINS0_14default_configENS1_38merge_sort_block_merge_config_selectorIxxEEZZNS1_27merge_sort_block_merge_implIS3_N6thrust23THRUST_200600_302600_NS6detail15normal_iteratorINS8_10device_ptrIxEEEESD_jNS1_19radix_merge_compareILb0ELb0ExNS0_19identity_decomposerEEEEE10hipError_tT0_T1_T2_jT3_P12ihipStream_tbPNSt15iterator_traitsISI_E10value_typeEPNSO_ISJ_E10value_typeEPSK_NS1_7vsmem_tEENKUlT_SI_SJ_SK_E_clISD_PxSD_S10_EESH_SX_SI_SJ_SK_EUlSX_E_NS1_11comp_targetILNS1_3genE0ELNS1_11target_archE4294967295ELNS1_3gpuE0ELNS1_3repE0EEENS1_48merge_mergepath_partition_config_static_selectorELNS0_4arch9wavefront6targetE1EEEvSJ_
	.p2align	8
	.type	_ZN7rocprim17ROCPRIM_400000_NS6detail17trampoline_kernelINS0_14default_configENS1_38merge_sort_block_merge_config_selectorIxxEEZZNS1_27merge_sort_block_merge_implIS3_N6thrust23THRUST_200600_302600_NS6detail15normal_iteratorINS8_10device_ptrIxEEEESD_jNS1_19radix_merge_compareILb0ELb0ExNS0_19identity_decomposerEEEEE10hipError_tT0_T1_T2_jT3_P12ihipStream_tbPNSt15iterator_traitsISI_E10value_typeEPNSO_ISJ_E10value_typeEPSK_NS1_7vsmem_tEENKUlT_SI_SJ_SK_E_clISD_PxSD_S10_EESH_SX_SI_SJ_SK_EUlSX_E_NS1_11comp_targetILNS1_3genE0ELNS1_11target_archE4294967295ELNS1_3gpuE0ELNS1_3repE0EEENS1_48merge_mergepath_partition_config_static_selectorELNS0_4arch9wavefront6targetE1EEEvSJ_,@function
_ZN7rocprim17ROCPRIM_400000_NS6detail17trampoline_kernelINS0_14default_configENS1_38merge_sort_block_merge_config_selectorIxxEEZZNS1_27merge_sort_block_merge_implIS3_N6thrust23THRUST_200600_302600_NS6detail15normal_iteratorINS8_10device_ptrIxEEEESD_jNS1_19radix_merge_compareILb0ELb0ExNS0_19identity_decomposerEEEEE10hipError_tT0_T1_T2_jT3_P12ihipStream_tbPNSt15iterator_traitsISI_E10value_typeEPNSO_ISJ_E10value_typeEPSK_NS1_7vsmem_tEENKUlT_SI_SJ_SK_E_clISD_PxSD_S10_EESH_SX_SI_SJ_SK_EUlSX_E_NS1_11comp_targetILNS1_3genE0ELNS1_11target_archE4294967295ELNS1_3gpuE0ELNS1_3repE0EEENS1_48merge_mergepath_partition_config_static_selectorELNS0_4arch9wavefront6targetE1EEEvSJ_: ; @_ZN7rocprim17ROCPRIM_400000_NS6detail17trampoline_kernelINS0_14default_configENS1_38merge_sort_block_merge_config_selectorIxxEEZZNS1_27merge_sort_block_merge_implIS3_N6thrust23THRUST_200600_302600_NS6detail15normal_iteratorINS8_10device_ptrIxEEEESD_jNS1_19radix_merge_compareILb0ELb0ExNS0_19identity_decomposerEEEEE10hipError_tT0_T1_T2_jT3_P12ihipStream_tbPNSt15iterator_traitsISI_E10value_typeEPNSO_ISJ_E10value_typeEPSK_NS1_7vsmem_tEENKUlT_SI_SJ_SK_E_clISD_PxSD_S10_EESH_SX_SI_SJ_SK_EUlSX_E_NS1_11comp_targetILNS1_3genE0ELNS1_11target_archE4294967295ELNS1_3gpuE0ELNS1_3repE0EEENS1_48merge_mergepath_partition_config_static_selectorELNS0_4arch9wavefront6targetE1EEEvSJ_
; %bb.0:
	s_load_dword s3, s[0:1], 0x0
	v_lshl_or_b32 v0, s2, 7, v0
	s_waitcnt lgkmcnt(0)
	v_cmp_gt_u32_e32 vcc, s3, v0
	s_and_saveexec_b64 s[2:3], vcc
	s_cbranch_execz .LBB1089_6
; %bb.1:
	s_load_dwordx2 s[4:5], s[0:1], 0x4
	s_load_dwordx2 s[2:3], s[0:1], 0x20
	s_waitcnt lgkmcnt(0)
	s_lshr_b32 s6, s4, 9
	s_and_b32 s6, s6, 0x7ffffe
	s_add_i32 s7, s6, -1
	s_sub_i32 s6, 0, s6
	v_and_b32_e32 v1, s6, v0
	v_lshlrev_b32_e32 v1, 10, v1
	v_min_u32_e32 v2, s5, v1
	v_add_u32_e32 v1, s4, v1
	v_min_u32_e32 v4, s5, v1
	v_add_u32_e32 v1, s4, v4
	v_and_b32_e32 v3, s7, v0
	v_min_u32_e32 v1, s5, v1
	v_sub_u32_e32 v5, v1, v2
	v_lshlrev_b32_e32 v3, 10, v3
	v_min_u32_e32 v10, v5, v3
	v_sub_u32_e32 v3, v4, v2
	v_sub_u32_e32 v1, v1, v4
	v_sub_u32_e64 v1, v10, v1 clamp
	v_min_u32_e32 v11, v10, v3
	v_cmp_lt_u32_e32 vcc, v1, v11
	s_and_saveexec_b64 s[4:5], vcc
	s_cbranch_execz .LBB1089_5
; %bb.2:
	s_load_dwordx2 s[0:1], s[0:1], 0x10
	v_mov_b32_e32 v5, 0
	v_mov_b32_e32 v3, v5
	s_waitcnt lgkmcnt(0)
	v_lshl_add_u64 v[6:7], v[2:3], 3, s[0:1]
	v_lshl_add_u64 v[8:9], v[4:5], 3, s[0:1]
	s_mov_b64 s[0:1], 0
.LBB1089_3:                             ; =>This Inner Loop Header: Depth=1
	v_add_u32_e32 v3, v11, v1
	v_lshrrev_b32_e32 v4, 1, v3
	v_mov_b32_e32 v13, v5
	v_xad_u32 v12, v4, -1, v10
	v_lshl_add_u64 v[14:15], v[4:5], 3, v[6:7]
	v_lshl_add_u64 v[12:13], v[12:13], 3, v[8:9]
	flat_load_dwordx2 v[16:17], v[14:15]
	flat_load_dwordx2 v[18:19], v[12:13]
	v_add_u32_e32 v3, 1, v4
	s_waitcnt vmcnt(0) lgkmcnt(0)
	v_cmp_gt_i64_e32 vcc, v[16:17], v[18:19]
	s_nop 1
	v_cndmask_b32_e32 v11, v11, v4, vcc
	v_cndmask_b32_e32 v1, v3, v1, vcc
	v_cmp_ge_u32_e32 vcc, v1, v11
	s_or_b64 s[0:1], vcc, s[0:1]
	s_andn2_b64 exec, exec, s[0:1]
	s_cbranch_execnz .LBB1089_3
; %bb.4:
	s_or_b64 exec, exec, s[0:1]
.LBB1089_5:
	s_or_b64 exec, exec, s[4:5]
	v_add_u32_e32 v2, v1, v2
	v_mov_b32_e32 v1, 0
	v_lshl_add_u64 v[0:1], v[0:1], 2, s[2:3]
	global_store_dword v[0:1], v2, off
.LBB1089_6:
	s_endpgm
	.section	.rodata,"a",@progbits
	.p2align	6, 0x0
	.amdhsa_kernel _ZN7rocprim17ROCPRIM_400000_NS6detail17trampoline_kernelINS0_14default_configENS1_38merge_sort_block_merge_config_selectorIxxEEZZNS1_27merge_sort_block_merge_implIS3_N6thrust23THRUST_200600_302600_NS6detail15normal_iteratorINS8_10device_ptrIxEEEESD_jNS1_19radix_merge_compareILb0ELb0ExNS0_19identity_decomposerEEEEE10hipError_tT0_T1_T2_jT3_P12ihipStream_tbPNSt15iterator_traitsISI_E10value_typeEPNSO_ISJ_E10value_typeEPSK_NS1_7vsmem_tEENKUlT_SI_SJ_SK_E_clISD_PxSD_S10_EESH_SX_SI_SJ_SK_EUlSX_E_NS1_11comp_targetILNS1_3genE0ELNS1_11target_archE4294967295ELNS1_3gpuE0ELNS1_3repE0EEENS1_48merge_mergepath_partition_config_static_selectorELNS0_4arch9wavefront6targetE1EEEvSJ_
		.amdhsa_group_segment_fixed_size 0
		.amdhsa_private_segment_fixed_size 0
		.amdhsa_kernarg_size 40
		.amdhsa_user_sgpr_count 2
		.amdhsa_user_sgpr_dispatch_ptr 0
		.amdhsa_user_sgpr_queue_ptr 0
		.amdhsa_user_sgpr_kernarg_segment_ptr 1
		.amdhsa_user_sgpr_dispatch_id 0
		.amdhsa_user_sgpr_kernarg_preload_length 0
		.amdhsa_user_sgpr_kernarg_preload_offset 0
		.amdhsa_user_sgpr_private_segment_size 0
		.amdhsa_uses_dynamic_stack 0
		.amdhsa_enable_private_segment 0
		.amdhsa_system_sgpr_workgroup_id_x 1
		.amdhsa_system_sgpr_workgroup_id_y 0
		.amdhsa_system_sgpr_workgroup_id_z 0
		.amdhsa_system_sgpr_workgroup_info 0
		.amdhsa_system_vgpr_workitem_id 0
		.amdhsa_next_free_vgpr 20
		.amdhsa_next_free_sgpr 8
		.amdhsa_accum_offset 20
		.amdhsa_reserve_vcc 1
		.amdhsa_float_round_mode_32 0
		.amdhsa_float_round_mode_16_64 0
		.amdhsa_float_denorm_mode_32 3
		.amdhsa_float_denorm_mode_16_64 3
		.amdhsa_dx10_clamp 1
		.amdhsa_ieee_mode 1
		.amdhsa_fp16_overflow 0
		.amdhsa_tg_split 0
		.amdhsa_exception_fp_ieee_invalid_op 0
		.amdhsa_exception_fp_denorm_src 0
		.amdhsa_exception_fp_ieee_div_zero 0
		.amdhsa_exception_fp_ieee_overflow 0
		.amdhsa_exception_fp_ieee_underflow 0
		.amdhsa_exception_fp_ieee_inexact 0
		.amdhsa_exception_int_div_zero 0
	.end_amdhsa_kernel
	.section	.text._ZN7rocprim17ROCPRIM_400000_NS6detail17trampoline_kernelINS0_14default_configENS1_38merge_sort_block_merge_config_selectorIxxEEZZNS1_27merge_sort_block_merge_implIS3_N6thrust23THRUST_200600_302600_NS6detail15normal_iteratorINS8_10device_ptrIxEEEESD_jNS1_19radix_merge_compareILb0ELb0ExNS0_19identity_decomposerEEEEE10hipError_tT0_T1_T2_jT3_P12ihipStream_tbPNSt15iterator_traitsISI_E10value_typeEPNSO_ISJ_E10value_typeEPSK_NS1_7vsmem_tEENKUlT_SI_SJ_SK_E_clISD_PxSD_S10_EESH_SX_SI_SJ_SK_EUlSX_E_NS1_11comp_targetILNS1_3genE0ELNS1_11target_archE4294967295ELNS1_3gpuE0ELNS1_3repE0EEENS1_48merge_mergepath_partition_config_static_selectorELNS0_4arch9wavefront6targetE1EEEvSJ_,"axG",@progbits,_ZN7rocprim17ROCPRIM_400000_NS6detail17trampoline_kernelINS0_14default_configENS1_38merge_sort_block_merge_config_selectorIxxEEZZNS1_27merge_sort_block_merge_implIS3_N6thrust23THRUST_200600_302600_NS6detail15normal_iteratorINS8_10device_ptrIxEEEESD_jNS1_19radix_merge_compareILb0ELb0ExNS0_19identity_decomposerEEEEE10hipError_tT0_T1_T2_jT3_P12ihipStream_tbPNSt15iterator_traitsISI_E10value_typeEPNSO_ISJ_E10value_typeEPSK_NS1_7vsmem_tEENKUlT_SI_SJ_SK_E_clISD_PxSD_S10_EESH_SX_SI_SJ_SK_EUlSX_E_NS1_11comp_targetILNS1_3genE0ELNS1_11target_archE4294967295ELNS1_3gpuE0ELNS1_3repE0EEENS1_48merge_mergepath_partition_config_static_selectorELNS0_4arch9wavefront6targetE1EEEvSJ_,comdat
.Lfunc_end1089:
	.size	_ZN7rocprim17ROCPRIM_400000_NS6detail17trampoline_kernelINS0_14default_configENS1_38merge_sort_block_merge_config_selectorIxxEEZZNS1_27merge_sort_block_merge_implIS3_N6thrust23THRUST_200600_302600_NS6detail15normal_iteratorINS8_10device_ptrIxEEEESD_jNS1_19radix_merge_compareILb0ELb0ExNS0_19identity_decomposerEEEEE10hipError_tT0_T1_T2_jT3_P12ihipStream_tbPNSt15iterator_traitsISI_E10value_typeEPNSO_ISJ_E10value_typeEPSK_NS1_7vsmem_tEENKUlT_SI_SJ_SK_E_clISD_PxSD_S10_EESH_SX_SI_SJ_SK_EUlSX_E_NS1_11comp_targetILNS1_3genE0ELNS1_11target_archE4294967295ELNS1_3gpuE0ELNS1_3repE0EEENS1_48merge_mergepath_partition_config_static_selectorELNS0_4arch9wavefront6targetE1EEEvSJ_, .Lfunc_end1089-_ZN7rocprim17ROCPRIM_400000_NS6detail17trampoline_kernelINS0_14default_configENS1_38merge_sort_block_merge_config_selectorIxxEEZZNS1_27merge_sort_block_merge_implIS3_N6thrust23THRUST_200600_302600_NS6detail15normal_iteratorINS8_10device_ptrIxEEEESD_jNS1_19radix_merge_compareILb0ELb0ExNS0_19identity_decomposerEEEEE10hipError_tT0_T1_T2_jT3_P12ihipStream_tbPNSt15iterator_traitsISI_E10value_typeEPNSO_ISJ_E10value_typeEPSK_NS1_7vsmem_tEENKUlT_SI_SJ_SK_E_clISD_PxSD_S10_EESH_SX_SI_SJ_SK_EUlSX_E_NS1_11comp_targetILNS1_3genE0ELNS1_11target_archE4294967295ELNS1_3gpuE0ELNS1_3repE0EEENS1_48merge_mergepath_partition_config_static_selectorELNS0_4arch9wavefront6targetE1EEEvSJ_
                                        ; -- End function
	.set _ZN7rocprim17ROCPRIM_400000_NS6detail17trampoline_kernelINS0_14default_configENS1_38merge_sort_block_merge_config_selectorIxxEEZZNS1_27merge_sort_block_merge_implIS3_N6thrust23THRUST_200600_302600_NS6detail15normal_iteratorINS8_10device_ptrIxEEEESD_jNS1_19radix_merge_compareILb0ELb0ExNS0_19identity_decomposerEEEEE10hipError_tT0_T1_T2_jT3_P12ihipStream_tbPNSt15iterator_traitsISI_E10value_typeEPNSO_ISJ_E10value_typeEPSK_NS1_7vsmem_tEENKUlT_SI_SJ_SK_E_clISD_PxSD_S10_EESH_SX_SI_SJ_SK_EUlSX_E_NS1_11comp_targetILNS1_3genE0ELNS1_11target_archE4294967295ELNS1_3gpuE0ELNS1_3repE0EEENS1_48merge_mergepath_partition_config_static_selectorELNS0_4arch9wavefront6targetE1EEEvSJ_.num_vgpr, 20
	.set _ZN7rocprim17ROCPRIM_400000_NS6detail17trampoline_kernelINS0_14default_configENS1_38merge_sort_block_merge_config_selectorIxxEEZZNS1_27merge_sort_block_merge_implIS3_N6thrust23THRUST_200600_302600_NS6detail15normal_iteratorINS8_10device_ptrIxEEEESD_jNS1_19radix_merge_compareILb0ELb0ExNS0_19identity_decomposerEEEEE10hipError_tT0_T1_T2_jT3_P12ihipStream_tbPNSt15iterator_traitsISI_E10value_typeEPNSO_ISJ_E10value_typeEPSK_NS1_7vsmem_tEENKUlT_SI_SJ_SK_E_clISD_PxSD_S10_EESH_SX_SI_SJ_SK_EUlSX_E_NS1_11comp_targetILNS1_3genE0ELNS1_11target_archE4294967295ELNS1_3gpuE0ELNS1_3repE0EEENS1_48merge_mergepath_partition_config_static_selectorELNS0_4arch9wavefront6targetE1EEEvSJ_.num_agpr, 0
	.set _ZN7rocprim17ROCPRIM_400000_NS6detail17trampoline_kernelINS0_14default_configENS1_38merge_sort_block_merge_config_selectorIxxEEZZNS1_27merge_sort_block_merge_implIS3_N6thrust23THRUST_200600_302600_NS6detail15normal_iteratorINS8_10device_ptrIxEEEESD_jNS1_19radix_merge_compareILb0ELb0ExNS0_19identity_decomposerEEEEE10hipError_tT0_T1_T2_jT3_P12ihipStream_tbPNSt15iterator_traitsISI_E10value_typeEPNSO_ISJ_E10value_typeEPSK_NS1_7vsmem_tEENKUlT_SI_SJ_SK_E_clISD_PxSD_S10_EESH_SX_SI_SJ_SK_EUlSX_E_NS1_11comp_targetILNS1_3genE0ELNS1_11target_archE4294967295ELNS1_3gpuE0ELNS1_3repE0EEENS1_48merge_mergepath_partition_config_static_selectorELNS0_4arch9wavefront6targetE1EEEvSJ_.numbered_sgpr, 8
	.set _ZN7rocprim17ROCPRIM_400000_NS6detail17trampoline_kernelINS0_14default_configENS1_38merge_sort_block_merge_config_selectorIxxEEZZNS1_27merge_sort_block_merge_implIS3_N6thrust23THRUST_200600_302600_NS6detail15normal_iteratorINS8_10device_ptrIxEEEESD_jNS1_19radix_merge_compareILb0ELb0ExNS0_19identity_decomposerEEEEE10hipError_tT0_T1_T2_jT3_P12ihipStream_tbPNSt15iterator_traitsISI_E10value_typeEPNSO_ISJ_E10value_typeEPSK_NS1_7vsmem_tEENKUlT_SI_SJ_SK_E_clISD_PxSD_S10_EESH_SX_SI_SJ_SK_EUlSX_E_NS1_11comp_targetILNS1_3genE0ELNS1_11target_archE4294967295ELNS1_3gpuE0ELNS1_3repE0EEENS1_48merge_mergepath_partition_config_static_selectorELNS0_4arch9wavefront6targetE1EEEvSJ_.num_named_barrier, 0
	.set _ZN7rocprim17ROCPRIM_400000_NS6detail17trampoline_kernelINS0_14default_configENS1_38merge_sort_block_merge_config_selectorIxxEEZZNS1_27merge_sort_block_merge_implIS3_N6thrust23THRUST_200600_302600_NS6detail15normal_iteratorINS8_10device_ptrIxEEEESD_jNS1_19radix_merge_compareILb0ELb0ExNS0_19identity_decomposerEEEEE10hipError_tT0_T1_T2_jT3_P12ihipStream_tbPNSt15iterator_traitsISI_E10value_typeEPNSO_ISJ_E10value_typeEPSK_NS1_7vsmem_tEENKUlT_SI_SJ_SK_E_clISD_PxSD_S10_EESH_SX_SI_SJ_SK_EUlSX_E_NS1_11comp_targetILNS1_3genE0ELNS1_11target_archE4294967295ELNS1_3gpuE0ELNS1_3repE0EEENS1_48merge_mergepath_partition_config_static_selectorELNS0_4arch9wavefront6targetE1EEEvSJ_.private_seg_size, 0
	.set _ZN7rocprim17ROCPRIM_400000_NS6detail17trampoline_kernelINS0_14default_configENS1_38merge_sort_block_merge_config_selectorIxxEEZZNS1_27merge_sort_block_merge_implIS3_N6thrust23THRUST_200600_302600_NS6detail15normal_iteratorINS8_10device_ptrIxEEEESD_jNS1_19radix_merge_compareILb0ELb0ExNS0_19identity_decomposerEEEEE10hipError_tT0_T1_T2_jT3_P12ihipStream_tbPNSt15iterator_traitsISI_E10value_typeEPNSO_ISJ_E10value_typeEPSK_NS1_7vsmem_tEENKUlT_SI_SJ_SK_E_clISD_PxSD_S10_EESH_SX_SI_SJ_SK_EUlSX_E_NS1_11comp_targetILNS1_3genE0ELNS1_11target_archE4294967295ELNS1_3gpuE0ELNS1_3repE0EEENS1_48merge_mergepath_partition_config_static_selectorELNS0_4arch9wavefront6targetE1EEEvSJ_.uses_vcc, 1
	.set _ZN7rocprim17ROCPRIM_400000_NS6detail17trampoline_kernelINS0_14default_configENS1_38merge_sort_block_merge_config_selectorIxxEEZZNS1_27merge_sort_block_merge_implIS3_N6thrust23THRUST_200600_302600_NS6detail15normal_iteratorINS8_10device_ptrIxEEEESD_jNS1_19radix_merge_compareILb0ELb0ExNS0_19identity_decomposerEEEEE10hipError_tT0_T1_T2_jT3_P12ihipStream_tbPNSt15iterator_traitsISI_E10value_typeEPNSO_ISJ_E10value_typeEPSK_NS1_7vsmem_tEENKUlT_SI_SJ_SK_E_clISD_PxSD_S10_EESH_SX_SI_SJ_SK_EUlSX_E_NS1_11comp_targetILNS1_3genE0ELNS1_11target_archE4294967295ELNS1_3gpuE0ELNS1_3repE0EEENS1_48merge_mergepath_partition_config_static_selectorELNS0_4arch9wavefront6targetE1EEEvSJ_.uses_flat_scratch, 0
	.set _ZN7rocprim17ROCPRIM_400000_NS6detail17trampoline_kernelINS0_14default_configENS1_38merge_sort_block_merge_config_selectorIxxEEZZNS1_27merge_sort_block_merge_implIS3_N6thrust23THRUST_200600_302600_NS6detail15normal_iteratorINS8_10device_ptrIxEEEESD_jNS1_19radix_merge_compareILb0ELb0ExNS0_19identity_decomposerEEEEE10hipError_tT0_T1_T2_jT3_P12ihipStream_tbPNSt15iterator_traitsISI_E10value_typeEPNSO_ISJ_E10value_typeEPSK_NS1_7vsmem_tEENKUlT_SI_SJ_SK_E_clISD_PxSD_S10_EESH_SX_SI_SJ_SK_EUlSX_E_NS1_11comp_targetILNS1_3genE0ELNS1_11target_archE4294967295ELNS1_3gpuE0ELNS1_3repE0EEENS1_48merge_mergepath_partition_config_static_selectorELNS0_4arch9wavefront6targetE1EEEvSJ_.has_dyn_sized_stack, 0
	.set _ZN7rocprim17ROCPRIM_400000_NS6detail17trampoline_kernelINS0_14default_configENS1_38merge_sort_block_merge_config_selectorIxxEEZZNS1_27merge_sort_block_merge_implIS3_N6thrust23THRUST_200600_302600_NS6detail15normal_iteratorINS8_10device_ptrIxEEEESD_jNS1_19radix_merge_compareILb0ELb0ExNS0_19identity_decomposerEEEEE10hipError_tT0_T1_T2_jT3_P12ihipStream_tbPNSt15iterator_traitsISI_E10value_typeEPNSO_ISJ_E10value_typeEPSK_NS1_7vsmem_tEENKUlT_SI_SJ_SK_E_clISD_PxSD_S10_EESH_SX_SI_SJ_SK_EUlSX_E_NS1_11comp_targetILNS1_3genE0ELNS1_11target_archE4294967295ELNS1_3gpuE0ELNS1_3repE0EEENS1_48merge_mergepath_partition_config_static_selectorELNS0_4arch9wavefront6targetE1EEEvSJ_.has_recursion, 0
	.set _ZN7rocprim17ROCPRIM_400000_NS6detail17trampoline_kernelINS0_14default_configENS1_38merge_sort_block_merge_config_selectorIxxEEZZNS1_27merge_sort_block_merge_implIS3_N6thrust23THRUST_200600_302600_NS6detail15normal_iteratorINS8_10device_ptrIxEEEESD_jNS1_19radix_merge_compareILb0ELb0ExNS0_19identity_decomposerEEEEE10hipError_tT0_T1_T2_jT3_P12ihipStream_tbPNSt15iterator_traitsISI_E10value_typeEPNSO_ISJ_E10value_typeEPSK_NS1_7vsmem_tEENKUlT_SI_SJ_SK_E_clISD_PxSD_S10_EESH_SX_SI_SJ_SK_EUlSX_E_NS1_11comp_targetILNS1_3genE0ELNS1_11target_archE4294967295ELNS1_3gpuE0ELNS1_3repE0EEENS1_48merge_mergepath_partition_config_static_selectorELNS0_4arch9wavefront6targetE1EEEvSJ_.has_indirect_call, 0
	.section	.AMDGPU.csdata,"",@progbits
; Kernel info:
; codeLenInByte = 316
; TotalNumSgprs: 14
; NumVgprs: 20
; NumAgprs: 0
; TotalNumVgprs: 20
; ScratchSize: 0
; MemoryBound: 0
; FloatMode: 240
; IeeeMode: 1
; LDSByteSize: 0 bytes/workgroup (compile time only)
; SGPRBlocks: 1
; VGPRBlocks: 2
; NumSGPRsForWavesPerEU: 14
; NumVGPRsForWavesPerEU: 20
; AccumOffset: 20
; Occupancy: 8
; WaveLimiterHint : 0
; COMPUTE_PGM_RSRC2:SCRATCH_EN: 0
; COMPUTE_PGM_RSRC2:USER_SGPR: 2
; COMPUTE_PGM_RSRC2:TRAP_HANDLER: 0
; COMPUTE_PGM_RSRC2:TGID_X_EN: 1
; COMPUTE_PGM_RSRC2:TGID_Y_EN: 0
; COMPUTE_PGM_RSRC2:TGID_Z_EN: 0
; COMPUTE_PGM_RSRC2:TIDIG_COMP_CNT: 0
; COMPUTE_PGM_RSRC3_GFX90A:ACCUM_OFFSET: 4
; COMPUTE_PGM_RSRC3_GFX90A:TG_SPLIT: 0
	.section	.text._ZN7rocprim17ROCPRIM_400000_NS6detail17trampoline_kernelINS0_14default_configENS1_38merge_sort_block_merge_config_selectorIxxEEZZNS1_27merge_sort_block_merge_implIS3_N6thrust23THRUST_200600_302600_NS6detail15normal_iteratorINS8_10device_ptrIxEEEESD_jNS1_19radix_merge_compareILb0ELb0ExNS0_19identity_decomposerEEEEE10hipError_tT0_T1_T2_jT3_P12ihipStream_tbPNSt15iterator_traitsISI_E10value_typeEPNSO_ISJ_E10value_typeEPSK_NS1_7vsmem_tEENKUlT_SI_SJ_SK_E_clISD_PxSD_S10_EESH_SX_SI_SJ_SK_EUlSX_E_NS1_11comp_targetILNS1_3genE10ELNS1_11target_archE1201ELNS1_3gpuE5ELNS1_3repE0EEENS1_48merge_mergepath_partition_config_static_selectorELNS0_4arch9wavefront6targetE1EEEvSJ_,"axG",@progbits,_ZN7rocprim17ROCPRIM_400000_NS6detail17trampoline_kernelINS0_14default_configENS1_38merge_sort_block_merge_config_selectorIxxEEZZNS1_27merge_sort_block_merge_implIS3_N6thrust23THRUST_200600_302600_NS6detail15normal_iteratorINS8_10device_ptrIxEEEESD_jNS1_19radix_merge_compareILb0ELb0ExNS0_19identity_decomposerEEEEE10hipError_tT0_T1_T2_jT3_P12ihipStream_tbPNSt15iterator_traitsISI_E10value_typeEPNSO_ISJ_E10value_typeEPSK_NS1_7vsmem_tEENKUlT_SI_SJ_SK_E_clISD_PxSD_S10_EESH_SX_SI_SJ_SK_EUlSX_E_NS1_11comp_targetILNS1_3genE10ELNS1_11target_archE1201ELNS1_3gpuE5ELNS1_3repE0EEENS1_48merge_mergepath_partition_config_static_selectorELNS0_4arch9wavefront6targetE1EEEvSJ_,comdat
	.protected	_ZN7rocprim17ROCPRIM_400000_NS6detail17trampoline_kernelINS0_14default_configENS1_38merge_sort_block_merge_config_selectorIxxEEZZNS1_27merge_sort_block_merge_implIS3_N6thrust23THRUST_200600_302600_NS6detail15normal_iteratorINS8_10device_ptrIxEEEESD_jNS1_19radix_merge_compareILb0ELb0ExNS0_19identity_decomposerEEEEE10hipError_tT0_T1_T2_jT3_P12ihipStream_tbPNSt15iterator_traitsISI_E10value_typeEPNSO_ISJ_E10value_typeEPSK_NS1_7vsmem_tEENKUlT_SI_SJ_SK_E_clISD_PxSD_S10_EESH_SX_SI_SJ_SK_EUlSX_E_NS1_11comp_targetILNS1_3genE10ELNS1_11target_archE1201ELNS1_3gpuE5ELNS1_3repE0EEENS1_48merge_mergepath_partition_config_static_selectorELNS0_4arch9wavefront6targetE1EEEvSJ_ ; -- Begin function _ZN7rocprim17ROCPRIM_400000_NS6detail17trampoline_kernelINS0_14default_configENS1_38merge_sort_block_merge_config_selectorIxxEEZZNS1_27merge_sort_block_merge_implIS3_N6thrust23THRUST_200600_302600_NS6detail15normal_iteratorINS8_10device_ptrIxEEEESD_jNS1_19radix_merge_compareILb0ELb0ExNS0_19identity_decomposerEEEEE10hipError_tT0_T1_T2_jT3_P12ihipStream_tbPNSt15iterator_traitsISI_E10value_typeEPNSO_ISJ_E10value_typeEPSK_NS1_7vsmem_tEENKUlT_SI_SJ_SK_E_clISD_PxSD_S10_EESH_SX_SI_SJ_SK_EUlSX_E_NS1_11comp_targetILNS1_3genE10ELNS1_11target_archE1201ELNS1_3gpuE5ELNS1_3repE0EEENS1_48merge_mergepath_partition_config_static_selectorELNS0_4arch9wavefront6targetE1EEEvSJ_
	.globl	_ZN7rocprim17ROCPRIM_400000_NS6detail17trampoline_kernelINS0_14default_configENS1_38merge_sort_block_merge_config_selectorIxxEEZZNS1_27merge_sort_block_merge_implIS3_N6thrust23THRUST_200600_302600_NS6detail15normal_iteratorINS8_10device_ptrIxEEEESD_jNS1_19radix_merge_compareILb0ELb0ExNS0_19identity_decomposerEEEEE10hipError_tT0_T1_T2_jT3_P12ihipStream_tbPNSt15iterator_traitsISI_E10value_typeEPNSO_ISJ_E10value_typeEPSK_NS1_7vsmem_tEENKUlT_SI_SJ_SK_E_clISD_PxSD_S10_EESH_SX_SI_SJ_SK_EUlSX_E_NS1_11comp_targetILNS1_3genE10ELNS1_11target_archE1201ELNS1_3gpuE5ELNS1_3repE0EEENS1_48merge_mergepath_partition_config_static_selectorELNS0_4arch9wavefront6targetE1EEEvSJ_
	.p2align	8
	.type	_ZN7rocprim17ROCPRIM_400000_NS6detail17trampoline_kernelINS0_14default_configENS1_38merge_sort_block_merge_config_selectorIxxEEZZNS1_27merge_sort_block_merge_implIS3_N6thrust23THRUST_200600_302600_NS6detail15normal_iteratorINS8_10device_ptrIxEEEESD_jNS1_19radix_merge_compareILb0ELb0ExNS0_19identity_decomposerEEEEE10hipError_tT0_T1_T2_jT3_P12ihipStream_tbPNSt15iterator_traitsISI_E10value_typeEPNSO_ISJ_E10value_typeEPSK_NS1_7vsmem_tEENKUlT_SI_SJ_SK_E_clISD_PxSD_S10_EESH_SX_SI_SJ_SK_EUlSX_E_NS1_11comp_targetILNS1_3genE10ELNS1_11target_archE1201ELNS1_3gpuE5ELNS1_3repE0EEENS1_48merge_mergepath_partition_config_static_selectorELNS0_4arch9wavefront6targetE1EEEvSJ_,@function
_ZN7rocprim17ROCPRIM_400000_NS6detail17trampoline_kernelINS0_14default_configENS1_38merge_sort_block_merge_config_selectorIxxEEZZNS1_27merge_sort_block_merge_implIS3_N6thrust23THRUST_200600_302600_NS6detail15normal_iteratorINS8_10device_ptrIxEEEESD_jNS1_19radix_merge_compareILb0ELb0ExNS0_19identity_decomposerEEEEE10hipError_tT0_T1_T2_jT3_P12ihipStream_tbPNSt15iterator_traitsISI_E10value_typeEPNSO_ISJ_E10value_typeEPSK_NS1_7vsmem_tEENKUlT_SI_SJ_SK_E_clISD_PxSD_S10_EESH_SX_SI_SJ_SK_EUlSX_E_NS1_11comp_targetILNS1_3genE10ELNS1_11target_archE1201ELNS1_3gpuE5ELNS1_3repE0EEENS1_48merge_mergepath_partition_config_static_selectorELNS0_4arch9wavefront6targetE1EEEvSJ_: ; @_ZN7rocprim17ROCPRIM_400000_NS6detail17trampoline_kernelINS0_14default_configENS1_38merge_sort_block_merge_config_selectorIxxEEZZNS1_27merge_sort_block_merge_implIS3_N6thrust23THRUST_200600_302600_NS6detail15normal_iteratorINS8_10device_ptrIxEEEESD_jNS1_19radix_merge_compareILb0ELb0ExNS0_19identity_decomposerEEEEE10hipError_tT0_T1_T2_jT3_P12ihipStream_tbPNSt15iterator_traitsISI_E10value_typeEPNSO_ISJ_E10value_typeEPSK_NS1_7vsmem_tEENKUlT_SI_SJ_SK_E_clISD_PxSD_S10_EESH_SX_SI_SJ_SK_EUlSX_E_NS1_11comp_targetILNS1_3genE10ELNS1_11target_archE1201ELNS1_3gpuE5ELNS1_3repE0EEENS1_48merge_mergepath_partition_config_static_selectorELNS0_4arch9wavefront6targetE1EEEvSJ_
; %bb.0:
	.section	.rodata,"a",@progbits
	.p2align	6, 0x0
	.amdhsa_kernel _ZN7rocprim17ROCPRIM_400000_NS6detail17trampoline_kernelINS0_14default_configENS1_38merge_sort_block_merge_config_selectorIxxEEZZNS1_27merge_sort_block_merge_implIS3_N6thrust23THRUST_200600_302600_NS6detail15normal_iteratorINS8_10device_ptrIxEEEESD_jNS1_19radix_merge_compareILb0ELb0ExNS0_19identity_decomposerEEEEE10hipError_tT0_T1_T2_jT3_P12ihipStream_tbPNSt15iterator_traitsISI_E10value_typeEPNSO_ISJ_E10value_typeEPSK_NS1_7vsmem_tEENKUlT_SI_SJ_SK_E_clISD_PxSD_S10_EESH_SX_SI_SJ_SK_EUlSX_E_NS1_11comp_targetILNS1_3genE10ELNS1_11target_archE1201ELNS1_3gpuE5ELNS1_3repE0EEENS1_48merge_mergepath_partition_config_static_selectorELNS0_4arch9wavefront6targetE1EEEvSJ_
		.amdhsa_group_segment_fixed_size 0
		.amdhsa_private_segment_fixed_size 0
		.amdhsa_kernarg_size 40
		.amdhsa_user_sgpr_count 2
		.amdhsa_user_sgpr_dispatch_ptr 0
		.amdhsa_user_sgpr_queue_ptr 0
		.amdhsa_user_sgpr_kernarg_segment_ptr 1
		.amdhsa_user_sgpr_dispatch_id 0
		.amdhsa_user_sgpr_kernarg_preload_length 0
		.amdhsa_user_sgpr_kernarg_preload_offset 0
		.amdhsa_user_sgpr_private_segment_size 0
		.amdhsa_uses_dynamic_stack 0
		.amdhsa_enable_private_segment 0
		.amdhsa_system_sgpr_workgroup_id_x 1
		.amdhsa_system_sgpr_workgroup_id_y 0
		.amdhsa_system_sgpr_workgroup_id_z 0
		.amdhsa_system_sgpr_workgroup_info 0
		.amdhsa_system_vgpr_workitem_id 0
		.amdhsa_next_free_vgpr 1
		.amdhsa_next_free_sgpr 0
		.amdhsa_accum_offset 4
		.amdhsa_reserve_vcc 0
		.amdhsa_float_round_mode_32 0
		.amdhsa_float_round_mode_16_64 0
		.amdhsa_float_denorm_mode_32 3
		.amdhsa_float_denorm_mode_16_64 3
		.amdhsa_dx10_clamp 1
		.amdhsa_ieee_mode 1
		.amdhsa_fp16_overflow 0
		.amdhsa_tg_split 0
		.amdhsa_exception_fp_ieee_invalid_op 0
		.amdhsa_exception_fp_denorm_src 0
		.amdhsa_exception_fp_ieee_div_zero 0
		.amdhsa_exception_fp_ieee_overflow 0
		.amdhsa_exception_fp_ieee_underflow 0
		.amdhsa_exception_fp_ieee_inexact 0
		.amdhsa_exception_int_div_zero 0
	.end_amdhsa_kernel
	.section	.text._ZN7rocprim17ROCPRIM_400000_NS6detail17trampoline_kernelINS0_14default_configENS1_38merge_sort_block_merge_config_selectorIxxEEZZNS1_27merge_sort_block_merge_implIS3_N6thrust23THRUST_200600_302600_NS6detail15normal_iteratorINS8_10device_ptrIxEEEESD_jNS1_19radix_merge_compareILb0ELb0ExNS0_19identity_decomposerEEEEE10hipError_tT0_T1_T2_jT3_P12ihipStream_tbPNSt15iterator_traitsISI_E10value_typeEPNSO_ISJ_E10value_typeEPSK_NS1_7vsmem_tEENKUlT_SI_SJ_SK_E_clISD_PxSD_S10_EESH_SX_SI_SJ_SK_EUlSX_E_NS1_11comp_targetILNS1_3genE10ELNS1_11target_archE1201ELNS1_3gpuE5ELNS1_3repE0EEENS1_48merge_mergepath_partition_config_static_selectorELNS0_4arch9wavefront6targetE1EEEvSJ_,"axG",@progbits,_ZN7rocprim17ROCPRIM_400000_NS6detail17trampoline_kernelINS0_14default_configENS1_38merge_sort_block_merge_config_selectorIxxEEZZNS1_27merge_sort_block_merge_implIS3_N6thrust23THRUST_200600_302600_NS6detail15normal_iteratorINS8_10device_ptrIxEEEESD_jNS1_19radix_merge_compareILb0ELb0ExNS0_19identity_decomposerEEEEE10hipError_tT0_T1_T2_jT3_P12ihipStream_tbPNSt15iterator_traitsISI_E10value_typeEPNSO_ISJ_E10value_typeEPSK_NS1_7vsmem_tEENKUlT_SI_SJ_SK_E_clISD_PxSD_S10_EESH_SX_SI_SJ_SK_EUlSX_E_NS1_11comp_targetILNS1_3genE10ELNS1_11target_archE1201ELNS1_3gpuE5ELNS1_3repE0EEENS1_48merge_mergepath_partition_config_static_selectorELNS0_4arch9wavefront6targetE1EEEvSJ_,comdat
.Lfunc_end1090:
	.size	_ZN7rocprim17ROCPRIM_400000_NS6detail17trampoline_kernelINS0_14default_configENS1_38merge_sort_block_merge_config_selectorIxxEEZZNS1_27merge_sort_block_merge_implIS3_N6thrust23THRUST_200600_302600_NS6detail15normal_iteratorINS8_10device_ptrIxEEEESD_jNS1_19radix_merge_compareILb0ELb0ExNS0_19identity_decomposerEEEEE10hipError_tT0_T1_T2_jT3_P12ihipStream_tbPNSt15iterator_traitsISI_E10value_typeEPNSO_ISJ_E10value_typeEPSK_NS1_7vsmem_tEENKUlT_SI_SJ_SK_E_clISD_PxSD_S10_EESH_SX_SI_SJ_SK_EUlSX_E_NS1_11comp_targetILNS1_3genE10ELNS1_11target_archE1201ELNS1_3gpuE5ELNS1_3repE0EEENS1_48merge_mergepath_partition_config_static_selectorELNS0_4arch9wavefront6targetE1EEEvSJ_, .Lfunc_end1090-_ZN7rocprim17ROCPRIM_400000_NS6detail17trampoline_kernelINS0_14default_configENS1_38merge_sort_block_merge_config_selectorIxxEEZZNS1_27merge_sort_block_merge_implIS3_N6thrust23THRUST_200600_302600_NS6detail15normal_iteratorINS8_10device_ptrIxEEEESD_jNS1_19radix_merge_compareILb0ELb0ExNS0_19identity_decomposerEEEEE10hipError_tT0_T1_T2_jT3_P12ihipStream_tbPNSt15iterator_traitsISI_E10value_typeEPNSO_ISJ_E10value_typeEPSK_NS1_7vsmem_tEENKUlT_SI_SJ_SK_E_clISD_PxSD_S10_EESH_SX_SI_SJ_SK_EUlSX_E_NS1_11comp_targetILNS1_3genE10ELNS1_11target_archE1201ELNS1_3gpuE5ELNS1_3repE0EEENS1_48merge_mergepath_partition_config_static_selectorELNS0_4arch9wavefront6targetE1EEEvSJ_
                                        ; -- End function
	.set _ZN7rocprim17ROCPRIM_400000_NS6detail17trampoline_kernelINS0_14default_configENS1_38merge_sort_block_merge_config_selectorIxxEEZZNS1_27merge_sort_block_merge_implIS3_N6thrust23THRUST_200600_302600_NS6detail15normal_iteratorINS8_10device_ptrIxEEEESD_jNS1_19radix_merge_compareILb0ELb0ExNS0_19identity_decomposerEEEEE10hipError_tT0_T1_T2_jT3_P12ihipStream_tbPNSt15iterator_traitsISI_E10value_typeEPNSO_ISJ_E10value_typeEPSK_NS1_7vsmem_tEENKUlT_SI_SJ_SK_E_clISD_PxSD_S10_EESH_SX_SI_SJ_SK_EUlSX_E_NS1_11comp_targetILNS1_3genE10ELNS1_11target_archE1201ELNS1_3gpuE5ELNS1_3repE0EEENS1_48merge_mergepath_partition_config_static_selectorELNS0_4arch9wavefront6targetE1EEEvSJ_.num_vgpr, 0
	.set _ZN7rocprim17ROCPRIM_400000_NS6detail17trampoline_kernelINS0_14default_configENS1_38merge_sort_block_merge_config_selectorIxxEEZZNS1_27merge_sort_block_merge_implIS3_N6thrust23THRUST_200600_302600_NS6detail15normal_iteratorINS8_10device_ptrIxEEEESD_jNS1_19radix_merge_compareILb0ELb0ExNS0_19identity_decomposerEEEEE10hipError_tT0_T1_T2_jT3_P12ihipStream_tbPNSt15iterator_traitsISI_E10value_typeEPNSO_ISJ_E10value_typeEPSK_NS1_7vsmem_tEENKUlT_SI_SJ_SK_E_clISD_PxSD_S10_EESH_SX_SI_SJ_SK_EUlSX_E_NS1_11comp_targetILNS1_3genE10ELNS1_11target_archE1201ELNS1_3gpuE5ELNS1_3repE0EEENS1_48merge_mergepath_partition_config_static_selectorELNS0_4arch9wavefront6targetE1EEEvSJ_.num_agpr, 0
	.set _ZN7rocprim17ROCPRIM_400000_NS6detail17trampoline_kernelINS0_14default_configENS1_38merge_sort_block_merge_config_selectorIxxEEZZNS1_27merge_sort_block_merge_implIS3_N6thrust23THRUST_200600_302600_NS6detail15normal_iteratorINS8_10device_ptrIxEEEESD_jNS1_19radix_merge_compareILb0ELb0ExNS0_19identity_decomposerEEEEE10hipError_tT0_T1_T2_jT3_P12ihipStream_tbPNSt15iterator_traitsISI_E10value_typeEPNSO_ISJ_E10value_typeEPSK_NS1_7vsmem_tEENKUlT_SI_SJ_SK_E_clISD_PxSD_S10_EESH_SX_SI_SJ_SK_EUlSX_E_NS1_11comp_targetILNS1_3genE10ELNS1_11target_archE1201ELNS1_3gpuE5ELNS1_3repE0EEENS1_48merge_mergepath_partition_config_static_selectorELNS0_4arch9wavefront6targetE1EEEvSJ_.numbered_sgpr, 0
	.set _ZN7rocprim17ROCPRIM_400000_NS6detail17trampoline_kernelINS0_14default_configENS1_38merge_sort_block_merge_config_selectorIxxEEZZNS1_27merge_sort_block_merge_implIS3_N6thrust23THRUST_200600_302600_NS6detail15normal_iteratorINS8_10device_ptrIxEEEESD_jNS1_19radix_merge_compareILb0ELb0ExNS0_19identity_decomposerEEEEE10hipError_tT0_T1_T2_jT3_P12ihipStream_tbPNSt15iterator_traitsISI_E10value_typeEPNSO_ISJ_E10value_typeEPSK_NS1_7vsmem_tEENKUlT_SI_SJ_SK_E_clISD_PxSD_S10_EESH_SX_SI_SJ_SK_EUlSX_E_NS1_11comp_targetILNS1_3genE10ELNS1_11target_archE1201ELNS1_3gpuE5ELNS1_3repE0EEENS1_48merge_mergepath_partition_config_static_selectorELNS0_4arch9wavefront6targetE1EEEvSJ_.num_named_barrier, 0
	.set _ZN7rocprim17ROCPRIM_400000_NS6detail17trampoline_kernelINS0_14default_configENS1_38merge_sort_block_merge_config_selectorIxxEEZZNS1_27merge_sort_block_merge_implIS3_N6thrust23THRUST_200600_302600_NS6detail15normal_iteratorINS8_10device_ptrIxEEEESD_jNS1_19radix_merge_compareILb0ELb0ExNS0_19identity_decomposerEEEEE10hipError_tT0_T1_T2_jT3_P12ihipStream_tbPNSt15iterator_traitsISI_E10value_typeEPNSO_ISJ_E10value_typeEPSK_NS1_7vsmem_tEENKUlT_SI_SJ_SK_E_clISD_PxSD_S10_EESH_SX_SI_SJ_SK_EUlSX_E_NS1_11comp_targetILNS1_3genE10ELNS1_11target_archE1201ELNS1_3gpuE5ELNS1_3repE0EEENS1_48merge_mergepath_partition_config_static_selectorELNS0_4arch9wavefront6targetE1EEEvSJ_.private_seg_size, 0
	.set _ZN7rocprim17ROCPRIM_400000_NS6detail17trampoline_kernelINS0_14default_configENS1_38merge_sort_block_merge_config_selectorIxxEEZZNS1_27merge_sort_block_merge_implIS3_N6thrust23THRUST_200600_302600_NS6detail15normal_iteratorINS8_10device_ptrIxEEEESD_jNS1_19radix_merge_compareILb0ELb0ExNS0_19identity_decomposerEEEEE10hipError_tT0_T1_T2_jT3_P12ihipStream_tbPNSt15iterator_traitsISI_E10value_typeEPNSO_ISJ_E10value_typeEPSK_NS1_7vsmem_tEENKUlT_SI_SJ_SK_E_clISD_PxSD_S10_EESH_SX_SI_SJ_SK_EUlSX_E_NS1_11comp_targetILNS1_3genE10ELNS1_11target_archE1201ELNS1_3gpuE5ELNS1_3repE0EEENS1_48merge_mergepath_partition_config_static_selectorELNS0_4arch9wavefront6targetE1EEEvSJ_.uses_vcc, 0
	.set _ZN7rocprim17ROCPRIM_400000_NS6detail17trampoline_kernelINS0_14default_configENS1_38merge_sort_block_merge_config_selectorIxxEEZZNS1_27merge_sort_block_merge_implIS3_N6thrust23THRUST_200600_302600_NS6detail15normal_iteratorINS8_10device_ptrIxEEEESD_jNS1_19radix_merge_compareILb0ELb0ExNS0_19identity_decomposerEEEEE10hipError_tT0_T1_T2_jT3_P12ihipStream_tbPNSt15iterator_traitsISI_E10value_typeEPNSO_ISJ_E10value_typeEPSK_NS1_7vsmem_tEENKUlT_SI_SJ_SK_E_clISD_PxSD_S10_EESH_SX_SI_SJ_SK_EUlSX_E_NS1_11comp_targetILNS1_3genE10ELNS1_11target_archE1201ELNS1_3gpuE5ELNS1_3repE0EEENS1_48merge_mergepath_partition_config_static_selectorELNS0_4arch9wavefront6targetE1EEEvSJ_.uses_flat_scratch, 0
	.set _ZN7rocprim17ROCPRIM_400000_NS6detail17trampoline_kernelINS0_14default_configENS1_38merge_sort_block_merge_config_selectorIxxEEZZNS1_27merge_sort_block_merge_implIS3_N6thrust23THRUST_200600_302600_NS6detail15normal_iteratorINS8_10device_ptrIxEEEESD_jNS1_19radix_merge_compareILb0ELb0ExNS0_19identity_decomposerEEEEE10hipError_tT0_T1_T2_jT3_P12ihipStream_tbPNSt15iterator_traitsISI_E10value_typeEPNSO_ISJ_E10value_typeEPSK_NS1_7vsmem_tEENKUlT_SI_SJ_SK_E_clISD_PxSD_S10_EESH_SX_SI_SJ_SK_EUlSX_E_NS1_11comp_targetILNS1_3genE10ELNS1_11target_archE1201ELNS1_3gpuE5ELNS1_3repE0EEENS1_48merge_mergepath_partition_config_static_selectorELNS0_4arch9wavefront6targetE1EEEvSJ_.has_dyn_sized_stack, 0
	.set _ZN7rocprim17ROCPRIM_400000_NS6detail17trampoline_kernelINS0_14default_configENS1_38merge_sort_block_merge_config_selectorIxxEEZZNS1_27merge_sort_block_merge_implIS3_N6thrust23THRUST_200600_302600_NS6detail15normal_iteratorINS8_10device_ptrIxEEEESD_jNS1_19radix_merge_compareILb0ELb0ExNS0_19identity_decomposerEEEEE10hipError_tT0_T1_T2_jT3_P12ihipStream_tbPNSt15iterator_traitsISI_E10value_typeEPNSO_ISJ_E10value_typeEPSK_NS1_7vsmem_tEENKUlT_SI_SJ_SK_E_clISD_PxSD_S10_EESH_SX_SI_SJ_SK_EUlSX_E_NS1_11comp_targetILNS1_3genE10ELNS1_11target_archE1201ELNS1_3gpuE5ELNS1_3repE0EEENS1_48merge_mergepath_partition_config_static_selectorELNS0_4arch9wavefront6targetE1EEEvSJ_.has_recursion, 0
	.set _ZN7rocprim17ROCPRIM_400000_NS6detail17trampoline_kernelINS0_14default_configENS1_38merge_sort_block_merge_config_selectorIxxEEZZNS1_27merge_sort_block_merge_implIS3_N6thrust23THRUST_200600_302600_NS6detail15normal_iteratorINS8_10device_ptrIxEEEESD_jNS1_19radix_merge_compareILb0ELb0ExNS0_19identity_decomposerEEEEE10hipError_tT0_T1_T2_jT3_P12ihipStream_tbPNSt15iterator_traitsISI_E10value_typeEPNSO_ISJ_E10value_typeEPSK_NS1_7vsmem_tEENKUlT_SI_SJ_SK_E_clISD_PxSD_S10_EESH_SX_SI_SJ_SK_EUlSX_E_NS1_11comp_targetILNS1_3genE10ELNS1_11target_archE1201ELNS1_3gpuE5ELNS1_3repE0EEENS1_48merge_mergepath_partition_config_static_selectorELNS0_4arch9wavefront6targetE1EEEvSJ_.has_indirect_call, 0
	.section	.AMDGPU.csdata,"",@progbits
; Kernel info:
; codeLenInByte = 0
; TotalNumSgprs: 6
; NumVgprs: 0
; NumAgprs: 0
; TotalNumVgprs: 0
; ScratchSize: 0
; MemoryBound: 0
; FloatMode: 240
; IeeeMode: 1
; LDSByteSize: 0 bytes/workgroup (compile time only)
; SGPRBlocks: 0
; VGPRBlocks: 0
; NumSGPRsForWavesPerEU: 6
; NumVGPRsForWavesPerEU: 1
; AccumOffset: 4
; Occupancy: 8
; WaveLimiterHint : 0
; COMPUTE_PGM_RSRC2:SCRATCH_EN: 0
; COMPUTE_PGM_RSRC2:USER_SGPR: 2
; COMPUTE_PGM_RSRC2:TRAP_HANDLER: 0
; COMPUTE_PGM_RSRC2:TGID_X_EN: 1
; COMPUTE_PGM_RSRC2:TGID_Y_EN: 0
; COMPUTE_PGM_RSRC2:TGID_Z_EN: 0
; COMPUTE_PGM_RSRC2:TIDIG_COMP_CNT: 0
; COMPUTE_PGM_RSRC3_GFX90A:ACCUM_OFFSET: 0
; COMPUTE_PGM_RSRC3_GFX90A:TG_SPLIT: 0
	.section	.text._ZN7rocprim17ROCPRIM_400000_NS6detail17trampoline_kernelINS0_14default_configENS1_38merge_sort_block_merge_config_selectorIxxEEZZNS1_27merge_sort_block_merge_implIS3_N6thrust23THRUST_200600_302600_NS6detail15normal_iteratorINS8_10device_ptrIxEEEESD_jNS1_19radix_merge_compareILb0ELb0ExNS0_19identity_decomposerEEEEE10hipError_tT0_T1_T2_jT3_P12ihipStream_tbPNSt15iterator_traitsISI_E10value_typeEPNSO_ISJ_E10value_typeEPSK_NS1_7vsmem_tEENKUlT_SI_SJ_SK_E_clISD_PxSD_S10_EESH_SX_SI_SJ_SK_EUlSX_E_NS1_11comp_targetILNS1_3genE5ELNS1_11target_archE942ELNS1_3gpuE9ELNS1_3repE0EEENS1_48merge_mergepath_partition_config_static_selectorELNS0_4arch9wavefront6targetE1EEEvSJ_,"axG",@progbits,_ZN7rocprim17ROCPRIM_400000_NS6detail17trampoline_kernelINS0_14default_configENS1_38merge_sort_block_merge_config_selectorIxxEEZZNS1_27merge_sort_block_merge_implIS3_N6thrust23THRUST_200600_302600_NS6detail15normal_iteratorINS8_10device_ptrIxEEEESD_jNS1_19radix_merge_compareILb0ELb0ExNS0_19identity_decomposerEEEEE10hipError_tT0_T1_T2_jT3_P12ihipStream_tbPNSt15iterator_traitsISI_E10value_typeEPNSO_ISJ_E10value_typeEPSK_NS1_7vsmem_tEENKUlT_SI_SJ_SK_E_clISD_PxSD_S10_EESH_SX_SI_SJ_SK_EUlSX_E_NS1_11comp_targetILNS1_3genE5ELNS1_11target_archE942ELNS1_3gpuE9ELNS1_3repE0EEENS1_48merge_mergepath_partition_config_static_selectorELNS0_4arch9wavefront6targetE1EEEvSJ_,comdat
	.protected	_ZN7rocprim17ROCPRIM_400000_NS6detail17trampoline_kernelINS0_14default_configENS1_38merge_sort_block_merge_config_selectorIxxEEZZNS1_27merge_sort_block_merge_implIS3_N6thrust23THRUST_200600_302600_NS6detail15normal_iteratorINS8_10device_ptrIxEEEESD_jNS1_19radix_merge_compareILb0ELb0ExNS0_19identity_decomposerEEEEE10hipError_tT0_T1_T2_jT3_P12ihipStream_tbPNSt15iterator_traitsISI_E10value_typeEPNSO_ISJ_E10value_typeEPSK_NS1_7vsmem_tEENKUlT_SI_SJ_SK_E_clISD_PxSD_S10_EESH_SX_SI_SJ_SK_EUlSX_E_NS1_11comp_targetILNS1_3genE5ELNS1_11target_archE942ELNS1_3gpuE9ELNS1_3repE0EEENS1_48merge_mergepath_partition_config_static_selectorELNS0_4arch9wavefront6targetE1EEEvSJ_ ; -- Begin function _ZN7rocprim17ROCPRIM_400000_NS6detail17trampoline_kernelINS0_14default_configENS1_38merge_sort_block_merge_config_selectorIxxEEZZNS1_27merge_sort_block_merge_implIS3_N6thrust23THRUST_200600_302600_NS6detail15normal_iteratorINS8_10device_ptrIxEEEESD_jNS1_19radix_merge_compareILb0ELb0ExNS0_19identity_decomposerEEEEE10hipError_tT0_T1_T2_jT3_P12ihipStream_tbPNSt15iterator_traitsISI_E10value_typeEPNSO_ISJ_E10value_typeEPSK_NS1_7vsmem_tEENKUlT_SI_SJ_SK_E_clISD_PxSD_S10_EESH_SX_SI_SJ_SK_EUlSX_E_NS1_11comp_targetILNS1_3genE5ELNS1_11target_archE942ELNS1_3gpuE9ELNS1_3repE0EEENS1_48merge_mergepath_partition_config_static_selectorELNS0_4arch9wavefront6targetE1EEEvSJ_
	.globl	_ZN7rocprim17ROCPRIM_400000_NS6detail17trampoline_kernelINS0_14default_configENS1_38merge_sort_block_merge_config_selectorIxxEEZZNS1_27merge_sort_block_merge_implIS3_N6thrust23THRUST_200600_302600_NS6detail15normal_iteratorINS8_10device_ptrIxEEEESD_jNS1_19radix_merge_compareILb0ELb0ExNS0_19identity_decomposerEEEEE10hipError_tT0_T1_T2_jT3_P12ihipStream_tbPNSt15iterator_traitsISI_E10value_typeEPNSO_ISJ_E10value_typeEPSK_NS1_7vsmem_tEENKUlT_SI_SJ_SK_E_clISD_PxSD_S10_EESH_SX_SI_SJ_SK_EUlSX_E_NS1_11comp_targetILNS1_3genE5ELNS1_11target_archE942ELNS1_3gpuE9ELNS1_3repE0EEENS1_48merge_mergepath_partition_config_static_selectorELNS0_4arch9wavefront6targetE1EEEvSJ_
	.p2align	8
	.type	_ZN7rocprim17ROCPRIM_400000_NS6detail17trampoline_kernelINS0_14default_configENS1_38merge_sort_block_merge_config_selectorIxxEEZZNS1_27merge_sort_block_merge_implIS3_N6thrust23THRUST_200600_302600_NS6detail15normal_iteratorINS8_10device_ptrIxEEEESD_jNS1_19radix_merge_compareILb0ELb0ExNS0_19identity_decomposerEEEEE10hipError_tT0_T1_T2_jT3_P12ihipStream_tbPNSt15iterator_traitsISI_E10value_typeEPNSO_ISJ_E10value_typeEPSK_NS1_7vsmem_tEENKUlT_SI_SJ_SK_E_clISD_PxSD_S10_EESH_SX_SI_SJ_SK_EUlSX_E_NS1_11comp_targetILNS1_3genE5ELNS1_11target_archE942ELNS1_3gpuE9ELNS1_3repE0EEENS1_48merge_mergepath_partition_config_static_selectorELNS0_4arch9wavefront6targetE1EEEvSJ_,@function
_ZN7rocprim17ROCPRIM_400000_NS6detail17trampoline_kernelINS0_14default_configENS1_38merge_sort_block_merge_config_selectorIxxEEZZNS1_27merge_sort_block_merge_implIS3_N6thrust23THRUST_200600_302600_NS6detail15normal_iteratorINS8_10device_ptrIxEEEESD_jNS1_19radix_merge_compareILb0ELb0ExNS0_19identity_decomposerEEEEE10hipError_tT0_T1_T2_jT3_P12ihipStream_tbPNSt15iterator_traitsISI_E10value_typeEPNSO_ISJ_E10value_typeEPSK_NS1_7vsmem_tEENKUlT_SI_SJ_SK_E_clISD_PxSD_S10_EESH_SX_SI_SJ_SK_EUlSX_E_NS1_11comp_targetILNS1_3genE5ELNS1_11target_archE942ELNS1_3gpuE9ELNS1_3repE0EEENS1_48merge_mergepath_partition_config_static_selectorELNS0_4arch9wavefront6targetE1EEEvSJ_: ; @_ZN7rocprim17ROCPRIM_400000_NS6detail17trampoline_kernelINS0_14default_configENS1_38merge_sort_block_merge_config_selectorIxxEEZZNS1_27merge_sort_block_merge_implIS3_N6thrust23THRUST_200600_302600_NS6detail15normal_iteratorINS8_10device_ptrIxEEEESD_jNS1_19radix_merge_compareILb0ELb0ExNS0_19identity_decomposerEEEEE10hipError_tT0_T1_T2_jT3_P12ihipStream_tbPNSt15iterator_traitsISI_E10value_typeEPNSO_ISJ_E10value_typeEPSK_NS1_7vsmem_tEENKUlT_SI_SJ_SK_E_clISD_PxSD_S10_EESH_SX_SI_SJ_SK_EUlSX_E_NS1_11comp_targetILNS1_3genE5ELNS1_11target_archE942ELNS1_3gpuE9ELNS1_3repE0EEENS1_48merge_mergepath_partition_config_static_selectorELNS0_4arch9wavefront6targetE1EEEvSJ_
; %bb.0:
	.section	.rodata,"a",@progbits
	.p2align	6, 0x0
	.amdhsa_kernel _ZN7rocprim17ROCPRIM_400000_NS6detail17trampoline_kernelINS0_14default_configENS1_38merge_sort_block_merge_config_selectorIxxEEZZNS1_27merge_sort_block_merge_implIS3_N6thrust23THRUST_200600_302600_NS6detail15normal_iteratorINS8_10device_ptrIxEEEESD_jNS1_19radix_merge_compareILb0ELb0ExNS0_19identity_decomposerEEEEE10hipError_tT0_T1_T2_jT3_P12ihipStream_tbPNSt15iterator_traitsISI_E10value_typeEPNSO_ISJ_E10value_typeEPSK_NS1_7vsmem_tEENKUlT_SI_SJ_SK_E_clISD_PxSD_S10_EESH_SX_SI_SJ_SK_EUlSX_E_NS1_11comp_targetILNS1_3genE5ELNS1_11target_archE942ELNS1_3gpuE9ELNS1_3repE0EEENS1_48merge_mergepath_partition_config_static_selectorELNS0_4arch9wavefront6targetE1EEEvSJ_
		.amdhsa_group_segment_fixed_size 0
		.amdhsa_private_segment_fixed_size 0
		.amdhsa_kernarg_size 40
		.amdhsa_user_sgpr_count 2
		.amdhsa_user_sgpr_dispatch_ptr 0
		.amdhsa_user_sgpr_queue_ptr 0
		.amdhsa_user_sgpr_kernarg_segment_ptr 1
		.amdhsa_user_sgpr_dispatch_id 0
		.amdhsa_user_sgpr_kernarg_preload_length 0
		.amdhsa_user_sgpr_kernarg_preload_offset 0
		.amdhsa_user_sgpr_private_segment_size 0
		.amdhsa_uses_dynamic_stack 0
		.amdhsa_enable_private_segment 0
		.amdhsa_system_sgpr_workgroup_id_x 1
		.amdhsa_system_sgpr_workgroup_id_y 0
		.amdhsa_system_sgpr_workgroup_id_z 0
		.amdhsa_system_sgpr_workgroup_info 0
		.amdhsa_system_vgpr_workitem_id 0
		.amdhsa_next_free_vgpr 1
		.amdhsa_next_free_sgpr 0
		.amdhsa_accum_offset 4
		.amdhsa_reserve_vcc 0
		.amdhsa_float_round_mode_32 0
		.amdhsa_float_round_mode_16_64 0
		.amdhsa_float_denorm_mode_32 3
		.amdhsa_float_denorm_mode_16_64 3
		.amdhsa_dx10_clamp 1
		.amdhsa_ieee_mode 1
		.amdhsa_fp16_overflow 0
		.amdhsa_tg_split 0
		.amdhsa_exception_fp_ieee_invalid_op 0
		.amdhsa_exception_fp_denorm_src 0
		.amdhsa_exception_fp_ieee_div_zero 0
		.amdhsa_exception_fp_ieee_overflow 0
		.amdhsa_exception_fp_ieee_underflow 0
		.amdhsa_exception_fp_ieee_inexact 0
		.amdhsa_exception_int_div_zero 0
	.end_amdhsa_kernel
	.section	.text._ZN7rocprim17ROCPRIM_400000_NS6detail17trampoline_kernelINS0_14default_configENS1_38merge_sort_block_merge_config_selectorIxxEEZZNS1_27merge_sort_block_merge_implIS3_N6thrust23THRUST_200600_302600_NS6detail15normal_iteratorINS8_10device_ptrIxEEEESD_jNS1_19radix_merge_compareILb0ELb0ExNS0_19identity_decomposerEEEEE10hipError_tT0_T1_T2_jT3_P12ihipStream_tbPNSt15iterator_traitsISI_E10value_typeEPNSO_ISJ_E10value_typeEPSK_NS1_7vsmem_tEENKUlT_SI_SJ_SK_E_clISD_PxSD_S10_EESH_SX_SI_SJ_SK_EUlSX_E_NS1_11comp_targetILNS1_3genE5ELNS1_11target_archE942ELNS1_3gpuE9ELNS1_3repE0EEENS1_48merge_mergepath_partition_config_static_selectorELNS0_4arch9wavefront6targetE1EEEvSJ_,"axG",@progbits,_ZN7rocprim17ROCPRIM_400000_NS6detail17trampoline_kernelINS0_14default_configENS1_38merge_sort_block_merge_config_selectorIxxEEZZNS1_27merge_sort_block_merge_implIS3_N6thrust23THRUST_200600_302600_NS6detail15normal_iteratorINS8_10device_ptrIxEEEESD_jNS1_19radix_merge_compareILb0ELb0ExNS0_19identity_decomposerEEEEE10hipError_tT0_T1_T2_jT3_P12ihipStream_tbPNSt15iterator_traitsISI_E10value_typeEPNSO_ISJ_E10value_typeEPSK_NS1_7vsmem_tEENKUlT_SI_SJ_SK_E_clISD_PxSD_S10_EESH_SX_SI_SJ_SK_EUlSX_E_NS1_11comp_targetILNS1_3genE5ELNS1_11target_archE942ELNS1_3gpuE9ELNS1_3repE0EEENS1_48merge_mergepath_partition_config_static_selectorELNS0_4arch9wavefront6targetE1EEEvSJ_,comdat
.Lfunc_end1091:
	.size	_ZN7rocprim17ROCPRIM_400000_NS6detail17trampoline_kernelINS0_14default_configENS1_38merge_sort_block_merge_config_selectorIxxEEZZNS1_27merge_sort_block_merge_implIS3_N6thrust23THRUST_200600_302600_NS6detail15normal_iteratorINS8_10device_ptrIxEEEESD_jNS1_19radix_merge_compareILb0ELb0ExNS0_19identity_decomposerEEEEE10hipError_tT0_T1_T2_jT3_P12ihipStream_tbPNSt15iterator_traitsISI_E10value_typeEPNSO_ISJ_E10value_typeEPSK_NS1_7vsmem_tEENKUlT_SI_SJ_SK_E_clISD_PxSD_S10_EESH_SX_SI_SJ_SK_EUlSX_E_NS1_11comp_targetILNS1_3genE5ELNS1_11target_archE942ELNS1_3gpuE9ELNS1_3repE0EEENS1_48merge_mergepath_partition_config_static_selectorELNS0_4arch9wavefront6targetE1EEEvSJ_, .Lfunc_end1091-_ZN7rocprim17ROCPRIM_400000_NS6detail17trampoline_kernelINS0_14default_configENS1_38merge_sort_block_merge_config_selectorIxxEEZZNS1_27merge_sort_block_merge_implIS3_N6thrust23THRUST_200600_302600_NS6detail15normal_iteratorINS8_10device_ptrIxEEEESD_jNS1_19radix_merge_compareILb0ELb0ExNS0_19identity_decomposerEEEEE10hipError_tT0_T1_T2_jT3_P12ihipStream_tbPNSt15iterator_traitsISI_E10value_typeEPNSO_ISJ_E10value_typeEPSK_NS1_7vsmem_tEENKUlT_SI_SJ_SK_E_clISD_PxSD_S10_EESH_SX_SI_SJ_SK_EUlSX_E_NS1_11comp_targetILNS1_3genE5ELNS1_11target_archE942ELNS1_3gpuE9ELNS1_3repE0EEENS1_48merge_mergepath_partition_config_static_selectorELNS0_4arch9wavefront6targetE1EEEvSJ_
                                        ; -- End function
	.set _ZN7rocprim17ROCPRIM_400000_NS6detail17trampoline_kernelINS0_14default_configENS1_38merge_sort_block_merge_config_selectorIxxEEZZNS1_27merge_sort_block_merge_implIS3_N6thrust23THRUST_200600_302600_NS6detail15normal_iteratorINS8_10device_ptrIxEEEESD_jNS1_19radix_merge_compareILb0ELb0ExNS0_19identity_decomposerEEEEE10hipError_tT0_T1_T2_jT3_P12ihipStream_tbPNSt15iterator_traitsISI_E10value_typeEPNSO_ISJ_E10value_typeEPSK_NS1_7vsmem_tEENKUlT_SI_SJ_SK_E_clISD_PxSD_S10_EESH_SX_SI_SJ_SK_EUlSX_E_NS1_11comp_targetILNS1_3genE5ELNS1_11target_archE942ELNS1_3gpuE9ELNS1_3repE0EEENS1_48merge_mergepath_partition_config_static_selectorELNS0_4arch9wavefront6targetE1EEEvSJ_.num_vgpr, 0
	.set _ZN7rocprim17ROCPRIM_400000_NS6detail17trampoline_kernelINS0_14default_configENS1_38merge_sort_block_merge_config_selectorIxxEEZZNS1_27merge_sort_block_merge_implIS3_N6thrust23THRUST_200600_302600_NS6detail15normal_iteratorINS8_10device_ptrIxEEEESD_jNS1_19radix_merge_compareILb0ELb0ExNS0_19identity_decomposerEEEEE10hipError_tT0_T1_T2_jT3_P12ihipStream_tbPNSt15iterator_traitsISI_E10value_typeEPNSO_ISJ_E10value_typeEPSK_NS1_7vsmem_tEENKUlT_SI_SJ_SK_E_clISD_PxSD_S10_EESH_SX_SI_SJ_SK_EUlSX_E_NS1_11comp_targetILNS1_3genE5ELNS1_11target_archE942ELNS1_3gpuE9ELNS1_3repE0EEENS1_48merge_mergepath_partition_config_static_selectorELNS0_4arch9wavefront6targetE1EEEvSJ_.num_agpr, 0
	.set _ZN7rocprim17ROCPRIM_400000_NS6detail17trampoline_kernelINS0_14default_configENS1_38merge_sort_block_merge_config_selectorIxxEEZZNS1_27merge_sort_block_merge_implIS3_N6thrust23THRUST_200600_302600_NS6detail15normal_iteratorINS8_10device_ptrIxEEEESD_jNS1_19radix_merge_compareILb0ELb0ExNS0_19identity_decomposerEEEEE10hipError_tT0_T1_T2_jT3_P12ihipStream_tbPNSt15iterator_traitsISI_E10value_typeEPNSO_ISJ_E10value_typeEPSK_NS1_7vsmem_tEENKUlT_SI_SJ_SK_E_clISD_PxSD_S10_EESH_SX_SI_SJ_SK_EUlSX_E_NS1_11comp_targetILNS1_3genE5ELNS1_11target_archE942ELNS1_3gpuE9ELNS1_3repE0EEENS1_48merge_mergepath_partition_config_static_selectorELNS0_4arch9wavefront6targetE1EEEvSJ_.numbered_sgpr, 0
	.set _ZN7rocprim17ROCPRIM_400000_NS6detail17trampoline_kernelINS0_14default_configENS1_38merge_sort_block_merge_config_selectorIxxEEZZNS1_27merge_sort_block_merge_implIS3_N6thrust23THRUST_200600_302600_NS6detail15normal_iteratorINS8_10device_ptrIxEEEESD_jNS1_19radix_merge_compareILb0ELb0ExNS0_19identity_decomposerEEEEE10hipError_tT0_T1_T2_jT3_P12ihipStream_tbPNSt15iterator_traitsISI_E10value_typeEPNSO_ISJ_E10value_typeEPSK_NS1_7vsmem_tEENKUlT_SI_SJ_SK_E_clISD_PxSD_S10_EESH_SX_SI_SJ_SK_EUlSX_E_NS1_11comp_targetILNS1_3genE5ELNS1_11target_archE942ELNS1_3gpuE9ELNS1_3repE0EEENS1_48merge_mergepath_partition_config_static_selectorELNS0_4arch9wavefront6targetE1EEEvSJ_.num_named_barrier, 0
	.set _ZN7rocprim17ROCPRIM_400000_NS6detail17trampoline_kernelINS0_14default_configENS1_38merge_sort_block_merge_config_selectorIxxEEZZNS1_27merge_sort_block_merge_implIS3_N6thrust23THRUST_200600_302600_NS6detail15normal_iteratorINS8_10device_ptrIxEEEESD_jNS1_19radix_merge_compareILb0ELb0ExNS0_19identity_decomposerEEEEE10hipError_tT0_T1_T2_jT3_P12ihipStream_tbPNSt15iterator_traitsISI_E10value_typeEPNSO_ISJ_E10value_typeEPSK_NS1_7vsmem_tEENKUlT_SI_SJ_SK_E_clISD_PxSD_S10_EESH_SX_SI_SJ_SK_EUlSX_E_NS1_11comp_targetILNS1_3genE5ELNS1_11target_archE942ELNS1_3gpuE9ELNS1_3repE0EEENS1_48merge_mergepath_partition_config_static_selectorELNS0_4arch9wavefront6targetE1EEEvSJ_.private_seg_size, 0
	.set _ZN7rocprim17ROCPRIM_400000_NS6detail17trampoline_kernelINS0_14default_configENS1_38merge_sort_block_merge_config_selectorIxxEEZZNS1_27merge_sort_block_merge_implIS3_N6thrust23THRUST_200600_302600_NS6detail15normal_iteratorINS8_10device_ptrIxEEEESD_jNS1_19radix_merge_compareILb0ELb0ExNS0_19identity_decomposerEEEEE10hipError_tT0_T1_T2_jT3_P12ihipStream_tbPNSt15iterator_traitsISI_E10value_typeEPNSO_ISJ_E10value_typeEPSK_NS1_7vsmem_tEENKUlT_SI_SJ_SK_E_clISD_PxSD_S10_EESH_SX_SI_SJ_SK_EUlSX_E_NS1_11comp_targetILNS1_3genE5ELNS1_11target_archE942ELNS1_3gpuE9ELNS1_3repE0EEENS1_48merge_mergepath_partition_config_static_selectorELNS0_4arch9wavefront6targetE1EEEvSJ_.uses_vcc, 0
	.set _ZN7rocprim17ROCPRIM_400000_NS6detail17trampoline_kernelINS0_14default_configENS1_38merge_sort_block_merge_config_selectorIxxEEZZNS1_27merge_sort_block_merge_implIS3_N6thrust23THRUST_200600_302600_NS6detail15normal_iteratorINS8_10device_ptrIxEEEESD_jNS1_19radix_merge_compareILb0ELb0ExNS0_19identity_decomposerEEEEE10hipError_tT0_T1_T2_jT3_P12ihipStream_tbPNSt15iterator_traitsISI_E10value_typeEPNSO_ISJ_E10value_typeEPSK_NS1_7vsmem_tEENKUlT_SI_SJ_SK_E_clISD_PxSD_S10_EESH_SX_SI_SJ_SK_EUlSX_E_NS1_11comp_targetILNS1_3genE5ELNS1_11target_archE942ELNS1_3gpuE9ELNS1_3repE0EEENS1_48merge_mergepath_partition_config_static_selectorELNS0_4arch9wavefront6targetE1EEEvSJ_.uses_flat_scratch, 0
	.set _ZN7rocprim17ROCPRIM_400000_NS6detail17trampoline_kernelINS0_14default_configENS1_38merge_sort_block_merge_config_selectorIxxEEZZNS1_27merge_sort_block_merge_implIS3_N6thrust23THRUST_200600_302600_NS6detail15normal_iteratorINS8_10device_ptrIxEEEESD_jNS1_19radix_merge_compareILb0ELb0ExNS0_19identity_decomposerEEEEE10hipError_tT0_T1_T2_jT3_P12ihipStream_tbPNSt15iterator_traitsISI_E10value_typeEPNSO_ISJ_E10value_typeEPSK_NS1_7vsmem_tEENKUlT_SI_SJ_SK_E_clISD_PxSD_S10_EESH_SX_SI_SJ_SK_EUlSX_E_NS1_11comp_targetILNS1_3genE5ELNS1_11target_archE942ELNS1_3gpuE9ELNS1_3repE0EEENS1_48merge_mergepath_partition_config_static_selectorELNS0_4arch9wavefront6targetE1EEEvSJ_.has_dyn_sized_stack, 0
	.set _ZN7rocprim17ROCPRIM_400000_NS6detail17trampoline_kernelINS0_14default_configENS1_38merge_sort_block_merge_config_selectorIxxEEZZNS1_27merge_sort_block_merge_implIS3_N6thrust23THRUST_200600_302600_NS6detail15normal_iteratorINS8_10device_ptrIxEEEESD_jNS1_19radix_merge_compareILb0ELb0ExNS0_19identity_decomposerEEEEE10hipError_tT0_T1_T2_jT3_P12ihipStream_tbPNSt15iterator_traitsISI_E10value_typeEPNSO_ISJ_E10value_typeEPSK_NS1_7vsmem_tEENKUlT_SI_SJ_SK_E_clISD_PxSD_S10_EESH_SX_SI_SJ_SK_EUlSX_E_NS1_11comp_targetILNS1_3genE5ELNS1_11target_archE942ELNS1_3gpuE9ELNS1_3repE0EEENS1_48merge_mergepath_partition_config_static_selectorELNS0_4arch9wavefront6targetE1EEEvSJ_.has_recursion, 0
	.set _ZN7rocprim17ROCPRIM_400000_NS6detail17trampoline_kernelINS0_14default_configENS1_38merge_sort_block_merge_config_selectorIxxEEZZNS1_27merge_sort_block_merge_implIS3_N6thrust23THRUST_200600_302600_NS6detail15normal_iteratorINS8_10device_ptrIxEEEESD_jNS1_19radix_merge_compareILb0ELb0ExNS0_19identity_decomposerEEEEE10hipError_tT0_T1_T2_jT3_P12ihipStream_tbPNSt15iterator_traitsISI_E10value_typeEPNSO_ISJ_E10value_typeEPSK_NS1_7vsmem_tEENKUlT_SI_SJ_SK_E_clISD_PxSD_S10_EESH_SX_SI_SJ_SK_EUlSX_E_NS1_11comp_targetILNS1_3genE5ELNS1_11target_archE942ELNS1_3gpuE9ELNS1_3repE0EEENS1_48merge_mergepath_partition_config_static_selectorELNS0_4arch9wavefront6targetE1EEEvSJ_.has_indirect_call, 0
	.section	.AMDGPU.csdata,"",@progbits
; Kernel info:
; codeLenInByte = 0
; TotalNumSgprs: 6
; NumVgprs: 0
; NumAgprs: 0
; TotalNumVgprs: 0
; ScratchSize: 0
; MemoryBound: 0
; FloatMode: 240
; IeeeMode: 1
; LDSByteSize: 0 bytes/workgroup (compile time only)
; SGPRBlocks: 0
; VGPRBlocks: 0
; NumSGPRsForWavesPerEU: 6
; NumVGPRsForWavesPerEU: 1
; AccumOffset: 4
; Occupancy: 8
; WaveLimiterHint : 0
; COMPUTE_PGM_RSRC2:SCRATCH_EN: 0
; COMPUTE_PGM_RSRC2:USER_SGPR: 2
; COMPUTE_PGM_RSRC2:TRAP_HANDLER: 0
; COMPUTE_PGM_RSRC2:TGID_X_EN: 1
; COMPUTE_PGM_RSRC2:TGID_Y_EN: 0
; COMPUTE_PGM_RSRC2:TGID_Z_EN: 0
; COMPUTE_PGM_RSRC2:TIDIG_COMP_CNT: 0
; COMPUTE_PGM_RSRC3_GFX90A:ACCUM_OFFSET: 0
; COMPUTE_PGM_RSRC3_GFX90A:TG_SPLIT: 0
	.section	.text._ZN7rocprim17ROCPRIM_400000_NS6detail17trampoline_kernelINS0_14default_configENS1_38merge_sort_block_merge_config_selectorIxxEEZZNS1_27merge_sort_block_merge_implIS3_N6thrust23THRUST_200600_302600_NS6detail15normal_iteratorINS8_10device_ptrIxEEEESD_jNS1_19radix_merge_compareILb0ELb0ExNS0_19identity_decomposerEEEEE10hipError_tT0_T1_T2_jT3_P12ihipStream_tbPNSt15iterator_traitsISI_E10value_typeEPNSO_ISJ_E10value_typeEPSK_NS1_7vsmem_tEENKUlT_SI_SJ_SK_E_clISD_PxSD_S10_EESH_SX_SI_SJ_SK_EUlSX_E_NS1_11comp_targetILNS1_3genE4ELNS1_11target_archE910ELNS1_3gpuE8ELNS1_3repE0EEENS1_48merge_mergepath_partition_config_static_selectorELNS0_4arch9wavefront6targetE1EEEvSJ_,"axG",@progbits,_ZN7rocprim17ROCPRIM_400000_NS6detail17trampoline_kernelINS0_14default_configENS1_38merge_sort_block_merge_config_selectorIxxEEZZNS1_27merge_sort_block_merge_implIS3_N6thrust23THRUST_200600_302600_NS6detail15normal_iteratorINS8_10device_ptrIxEEEESD_jNS1_19radix_merge_compareILb0ELb0ExNS0_19identity_decomposerEEEEE10hipError_tT0_T1_T2_jT3_P12ihipStream_tbPNSt15iterator_traitsISI_E10value_typeEPNSO_ISJ_E10value_typeEPSK_NS1_7vsmem_tEENKUlT_SI_SJ_SK_E_clISD_PxSD_S10_EESH_SX_SI_SJ_SK_EUlSX_E_NS1_11comp_targetILNS1_3genE4ELNS1_11target_archE910ELNS1_3gpuE8ELNS1_3repE0EEENS1_48merge_mergepath_partition_config_static_selectorELNS0_4arch9wavefront6targetE1EEEvSJ_,comdat
	.protected	_ZN7rocprim17ROCPRIM_400000_NS6detail17trampoline_kernelINS0_14default_configENS1_38merge_sort_block_merge_config_selectorIxxEEZZNS1_27merge_sort_block_merge_implIS3_N6thrust23THRUST_200600_302600_NS6detail15normal_iteratorINS8_10device_ptrIxEEEESD_jNS1_19radix_merge_compareILb0ELb0ExNS0_19identity_decomposerEEEEE10hipError_tT0_T1_T2_jT3_P12ihipStream_tbPNSt15iterator_traitsISI_E10value_typeEPNSO_ISJ_E10value_typeEPSK_NS1_7vsmem_tEENKUlT_SI_SJ_SK_E_clISD_PxSD_S10_EESH_SX_SI_SJ_SK_EUlSX_E_NS1_11comp_targetILNS1_3genE4ELNS1_11target_archE910ELNS1_3gpuE8ELNS1_3repE0EEENS1_48merge_mergepath_partition_config_static_selectorELNS0_4arch9wavefront6targetE1EEEvSJ_ ; -- Begin function _ZN7rocprim17ROCPRIM_400000_NS6detail17trampoline_kernelINS0_14default_configENS1_38merge_sort_block_merge_config_selectorIxxEEZZNS1_27merge_sort_block_merge_implIS3_N6thrust23THRUST_200600_302600_NS6detail15normal_iteratorINS8_10device_ptrIxEEEESD_jNS1_19radix_merge_compareILb0ELb0ExNS0_19identity_decomposerEEEEE10hipError_tT0_T1_T2_jT3_P12ihipStream_tbPNSt15iterator_traitsISI_E10value_typeEPNSO_ISJ_E10value_typeEPSK_NS1_7vsmem_tEENKUlT_SI_SJ_SK_E_clISD_PxSD_S10_EESH_SX_SI_SJ_SK_EUlSX_E_NS1_11comp_targetILNS1_3genE4ELNS1_11target_archE910ELNS1_3gpuE8ELNS1_3repE0EEENS1_48merge_mergepath_partition_config_static_selectorELNS0_4arch9wavefront6targetE1EEEvSJ_
	.globl	_ZN7rocprim17ROCPRIM_400000_NS6detail17trampoline_kernelINS0_14default_configENS1_38merge_sort_block_merge_config_selectorIxxEEZZNS1_27merge_sort_block_merge_implIS3_N6thrust23THRUST_200600_302600_NS6detail15normal_iteratorINS8_10device_ptrIxEEEESD_jNS1_19radix_merge_compareILb0ELb0ExNS0_19identity_decomposerEEEEE10hipError_tT0_T1_T2_jT3_P12ihipStream_tbPNSt15iterator_traitsISI_E10value_typeEPNSO_ISJ_E10value_typeEPSK_NS1_7vsmem_tEENKUlT_SI_SJ_SK_E_clISD_PxSD_S10_EESH_SX_SI_SJ_SK_EUlSX_E_NS1_11comp_targetILNS1_3genE4ELNS1_11target_archE910ELNS1_3gpuE8ELNS1_3repE0EEENS1_48merge_mergepath_partition_config_static_selectorELNS0_4arch9wavefront6targetE1EEEvSJ_
	.p2align	8
	.type	_ZN7rocprim17ROCPRIM_400000_NS6detail17trampoline_kernelINS0_14default_configENS1_38merge_sort_block_merge_config_selectorIxxEEZZNS1_27merge_sort_block_merge_implIS3_N6thrust23THRUST_200600_302600_NS6detail15normal_iteratorINS8_10device_ptrIxEEEESD_jNS1_19radix_merge_compareILb0ELb0ExNS0_19identity_decomposerEEEEE10hipError_tT0_T1_T2_jT3_P12ihipStream_tbPNSt15iterator_traitsISI_E10value_typeEPNSO_ISJ_E10value_typeEPSK_NS1_7vsmem_tEENKUlT_SI_SJ_SK_E_clISD_PxSD_S10_EESH_SX_SI_SJ_SK_EUlSX_E_NS1_11comp_targetILNS1_3genE4ELNS1_11target_archE910ELNS1_3gpuE8ELNS1_3repE0EEENS1_48merge_mergepath_partition_config_static_selectorELNS0_4arch9wavefront6targetE1EEEvSJ_,@function
_ZN7rocprim17ROCPRIM_400000_NS6detail17trampoline_kernelINS0_14default_configENS1_38merge_sort_block_merge_config_selectorIxxEEZZNS1_27merge_sort_block_merge_implIS3_N6thrust23THRUST_200600_302600_NS6detail15normal_iteratorINS8_10device_ptrIxEEEESD_jNS1_19radix_merge_compareILb0ELb0ExNS0_19identity_decomposerEEEEE10hipError_tT0_T1_T2_jT3_P12ihipStream_tbPNSt15iterator_traitsISI_E10value_typeEPNSO_ISJ_E10value_typeEPSK_NS1_7vsmem_tEENKUlT_SI_SJ_SK_E_clISD_PxSD_S10_EESH_SX_SI_SJ_SK_EUlSX_E_NS1_11comp_targetILNS1_3genE4ELNS1_11target_archE910ELNS1_3gpuE8ELNS1_3repE0EEENS1_48merge_mergepath_partition_config_static_selectorELNS0_4arch9wavefront6targetE1EEEvSJ_: ; @_ZN7rocprim17ROCPRIM_400000_NS6detail17trampoline_kernelINS0_14default_configENS1_38merge_sort_block_merge_config_selectorIxxEEZZNS1_27merge_sort_block_merge_implIS3_N6thrust23THRUST_200600_302600_NS6detail15normal_iteratorINS8_10device_ptrIxEEEESD_jNS1_19radix_merge_compareILb0ELb0ExNS0_19identity_decomposerEEEEE10hipError_tT0_T1_T2_jT3_P12ihipStream_tbPNSt15iterator_traitsISI_E10value_typeEPNSO_ISJ_E10value_typeEPSK_NS1_7vsmem_tEENKUlT_SI_SJ_SK_E_clISD_PxSD_S10_EESH_SX_SI_SJ_SK_EUlSX_E_NS1_11comp_targetILNS1_3genE4ELNS1_11target_archE910ELNS1_3gpuE8ELNS1_3repE0EEENS1_48merge_mergepath_partition_config_static_selectorELNS0_4arch9wavefront6targetE1EEEvSJ_
; %bb.0:
	.section	.rodata,"a",@progbits
	.p2align	6, 0x0
	.amdhsa_kernel _ZN7rocprim17ROCPRIM_400000_NS6detail17trampoline_kernelINS0_14default_configENS1_38merge_sort_block_merge_config_selectorIxxEEZZNS1_27merge_sort_block_merge_implIS3_N6thrust23THRUST_200600_302600_NS6detail15normal_iteratorINS8_10device_ptrIxEEEESD_jNS1_19radix_merge_compareILb0ELb0ExNS0_19identity_decomposerEEEEE10hipError_tT0_T1_T2_jT3_P12ihipStream_tbPNSt15iterator_traitsISI_E10value_typeEPNSO_ISJ_E10value_typeEPSK_NS1_7vsmem_tEENKUlT_SI_SJ_SK_E_clISD_PxSD_S10_EESH_SX_SI_SJ_SK_EUlSX_E_NS1_11comp_targetILNS1_3genE4ELNS1_11target_archE910ELNS1_3gpuE8ELNS1_3repE0EEENS1_48merge_mergepath_partition_config_static_selectorELNS0_4arch9wavefront6targetE1EEEvSJ_
		.amdhsa_group_segment_fixed_size 0
		.amdhsa_private_segment_fixed_size 0
		.amdhsa_kernarg_size 40
		.amdhsa_user_sgpr_count 2
		.amdhsa_user_sgpr_dispatch_ptr 0
		.amdhsa_user_sgpr_queue_ptr 0
		.amdhsa_user_sgpr_kernarg_segment_ptr 1
		.amdhsa_user_sgpr_dispatch_id 0
		.amdhsa_user_sgpr_kernarg_preload_length 0
		.amdhsa_user_sgpr_kernarg_preload_offset 0
		.amdhsa_user_sgpr_private_segment_size 0
		.amdhsa_uses_dynamic_stack 0
		.amdhsa_enable_private_segment 0
		.amdhsa_system_sgpr_workgroup_id_x 1
		.amdhsa_system_sgpr_workgroup_id_y 0
		.amdhsa_system_sgpr_workgroup_id_z 0
		.amdhsa_system_sgpr_workgroup_info 0
		.amdhsa_system_vgpr_workitem_id 0
		.amdhsa_next_free_vgpr 1
		.amdhsa_next_free_sgpr 0
		.amdhsa_accum_offset 4
		.amdhsa_reserve_vcc 0
		.amdhsa_float_round_mode_32 0
		.amdhsa_float_round_mode_16_64 0
		.amdhsa_float_denorm_mode_32 3
		.amdhsa_float_denorm_mode_16_64 3
		.amdhsa_dx10_clamp 1
		.amdhsa_ieee_mode 1
		.amdhsa_fp16_overflow 0
		.amdhsa_tg_split 0
		.amdhsa_exception_fp_ieee_invalid_op 0
		.amdhsa_exception_fp_denorm_src 0
		.amdhsa_exception_fp_ieee_div_zero 0
		.amdhsa_exception_fp_ieee_overflow 0
		.amdhsa_exception_fp_ieee_underflow 0
		.amdhsa_exception_fp_ieee_inexact 0
		.amdhsa_exception_int_div_zero 0
	.end_amdhsa_kernel
	.section	.text._ZN7rocprim17ROCPRIM_400000_NS6detail17trampoline_kernelINS0_14default_configENS1_38merge_sort_block_merge_config_selectorIxxEEZZNS1_27merge_sort_block_merge_implIS3_N6thrust23THRUST_200600_302600_NS6detail15normal_iteratorINS8_10device_ptrIxEEEESD_jNS1_19radix_merge_compareILb0ELb0ExNS0_19identity_decomposerEEEEE10hipError_tT0_T1_T2_jT3_P12ihipStream_tbPNSt15iterator_traitsISI_E10value_typeEPNSO_ISJ_E10value_typeEPSK_NS1_7vsmem_tEENKUlT_SI_SJ_SK_E_clISD_PxSD_S10_EESH_SX_SI_SJ_SK_EUlSX_E_NS1_11comp_targetILNS1_3genE4ELNS1_11target_archE910ELNS1_3gpuE8ELNS1_3repE0EEENS1_48merge_mergepath_partition_config_static_selectorELNS0_4arch9wavefront6targetE1EEEvSJ_,"axG",@progbits,_ZN7rocprim17ROCPRIM_400000_NS6detail17trampoline_kernelINS0_14default_configENS1_38merge_sort_block_merge_config_selectorIxxEEZZNS1_27merge_sort_block_merge_implIS3_N6thrust23THRUST_200600_302600_NS6detail15normal_iteratorINS8_10device_ptrIxEEEESD_jNS1_19radix_merge_compareILb0ELb0ExNS0_19identity_decomposerEEEEE10hipError_tT0_T1_T2_jT3_P12ihipStream_tbPNSt15iterator_traitsISI_E10value_typeEPNSO_ISJ_E10value_typeEPSK_NS1_7vsmem_tEENKUlT_SI_SJ_SK_E_clISD_PxSD_S10_EESH_SX_SI_SJ_SK_EUlSX_E_NS1_11comp_targetILNS1_3genE4ELNS1_11target_archE910ELNS1_3gpuE8ELNS1_3repE0EEENS1_48merge_mergepath_partition_config_static_selectorELNS0_4arch9wavefront6targetE1EEEvSJ_,comdat
.Lfunc_end1092:
	.size	_ZN7rocprim17ROCPRIM_400000_NS6detail17trampoline_kernelINS0_14default_configENS1_38merge_sort_block_merge_config_selectorIxxEEZZNS1_27merge_sort_block_merge_implIS3_N6thrust23THRUST_200600_302600_NS6detail15normal_iteratorINS8_10device_ptrIxEEEESD_jNS1_19radix_merge_compareILb0ELb0ExNS0_19identity_decomposerEEEEE10hipError_tT0_T1_T2_jT3_P12ihipStream_tbPNSt15iterator_traitsISI_E10value_typeEPNSO_ISJ_E10value_typeEPSK_NS1_7vsmem_tEENKUlT_SI_SJ_SK_E_clISD_PxSD_S10_EESH_SX_SI_SJ_SK_EUlSX_E_NS1_11comp_targetILNS1_3genE4ELNS1_11target_archE910ELNS1_3gpuE8ELNS1_3repE0EEENS1_48merge_mergepath_partition_config_static_selectorELNS0_4arch9wavefront6targetE1EEEvSJ_, .Lfunc_end1092-_ZN7rocprim17ROCPRIM_400000_NS6detail17trampoline_kernelINS0_14default_configENS1_38merge_sort_block_merge_config_selectorIxxEEZZNS1_27merge_sort_block_merge_implIS3_N6thrust23THRUST_200600_302600_NS6detail15normal_iteratorINS8_10device_ptrIxEEEESD_jNS1_19radix_merge_compareILb0ELb0ExNS0_19identity_decomposerEEEEE10hipError_tT0_T1_T2_jT3_P12ihipStream_tbPNSt15iterator_traitsISI_E10value_typeEPNSO_ISJ_E10value_typeEPSK_NS1_7vsmem_tEENKUlT_SI_SJ_SK_E_clISD_PxSD_S10_EESH_SX_SI_SJ_SK_EUlSX_E_NS1_11comp_targetILNS1_3genE4ELNS1_11target_archE910ELNS1_3gpuE8ELNS1_3repE0EEENS1_48merge_mergepath_partition_config_static_selectorELNS0_4arch9wavefront6targetE1EEEvSJ_
                                        ; -- End function
	.set _ZN7rocprim17ROCPRIM_400000_NS6detail17trampoline_kernelINS0_14default_configENS1_38merge_sort_block_merge_config_selectorIxxEEZZNS1_27merge_sort_block_merge_implIS3_N6thrust23THRUST_200600_302600_NS6detail15normal_iteratorINS8_10device_ptrIxEEEESD_jNS1_19radix_merge_compareILb0ELb0ExNS0_19identity_decomposerEEEEE10hipError_tT0_T1_T2_jT3_P12ihipStream_tbPNSt15iterator_traitsISI_E10value_typeEPNSO_ISJ_E10value_typeEPSK_NS1_7vsmem_tEENKUlT_SI_SJ_SK_E_clISD_PxSD_S10_EESH_SX_SI_SJ_SK_EUlSX_E_NS1_11comp_targetILNS1_3genE4ELNS1_11target_archE910ELNS1_3gpuE8ELNS1_3repE0EEENS1_48merge_mergepath_partition_config_static_selectorELNS0_4arch9wavefront6targetE1EEEvSJ_.num_vgpr, 0
	.set _ZN7rocprim17ROCPRIM_400000_NS6detail17trampoline_kernelINS0_14default_configENS1_38merge_sort_block_merge_config_selectorIxxEEZZNS1_27merge_sort_block_merge_implIS3_N6thrust23THRUST_200600_302600_NS6detail15normal_iteratorINS8_10device_ptrIxEEEESD_jNS1_19radix_merge_compareILb0ELb0ExNS0_19identity_decomposerEEEEE10hipError_tT0_T1_T2_jT3_P12ihipStream_tbPNSt15iterator_traitsISI_E10value_typeEPNSO_ISJ_E10value_typeEPSK_NS1_7vsmem_tEENKUlT_SI_SJ_SK_E_clISD_PxSD_S10_EESH_SX_SI_SJ_SK_EUlSX_E_NS1_11comp_targetILNS1_3genE4ELNS1_11target_archE910ELNS1_3gpuE8ELNS1_3repE0EEENS1_48merge_mergepath_partition_config_static_selectorELNS0_4arch9wavefront6targetE1EEEvSJ_.num_agpr, 0
	.set _ZN7rocprim17ROCPRIM_400000_NS6detail17trampoline_kernelINS0_14default_configENS1_38merge_sort_block_merge_config_selectorIxxEEZZNS1_27merge_sort_block_merge_implIS3_N6thrust23THRUST_200600_302600_NS6detail15normal_iteratorINS8_10device_ptrIxEEEESD_jNS1_19radix_merge_compareILb0ELb0ExNS0_19identity_decomposerEEEEE10hipError_tT0_T1_T2_jT3_P12ihipStream_tbPNSt15iterator_traitsISI_E10value_typeEPNSO_ISJ_E10value_typeEPSK_NS1_7vsmem_tEENKUlT_SI_SJ_SK_E_clISD_PxSD_S10_EESH_SX_SI_SJ_SK_EUlSX_E_NS1_11comp_targetILNS1_3genE4ELNS1_11target_archE910ELNS1_3gpuE8ELNS1_3repE0EEENS1_48merge_mergepath_partition_config_static_selectorELNS0_4arch9wavefront6targetE1EEEvSJ_.numbered_sgpr, 0
	.set _ZN7rocprim17ROCPRIM_400000_NS6detail17trampoline_kernelINS0_14default_configENS1_38merge_sort_block_merge_config_selectorIxxEEZZNS1_27merge_sort_block_merge_implIS3_N6thrust23THRUST_200600_302600_NS6detail15normal_iteratorINS8_10device_ptrIxEEEESD_jNS1_19radix_merge_compareILb0ELb0ExNS0_19identity_decomposerEEEEE10hipError_tT0_T1_T2_jT3_P12ihipStream_tbPNSt15iterator_traitsISI_E10value_typeEPNSO_ISJ_E10value_typeEPSK_NS1_7vsmem_tEENKUlT_SI_SJ_SK_E_clISD_PxSD_S10_EESH_SX_SI_SJ_SK_EUlSX_E_NS1_11comp_targetILNS1_3genE4ELNS1_11target_archE910ELNS1_3gpuE8ELNS1_3repE0EEENS1_48merge_mergepath_partition_config_static_selectorELNS0_4arch9wavefront6targetE1EEEvSJ_.num_named_barrier, 0
	.set _ZN7rocprim17ROCPRIM_400000_NS6detail17trampoline_kernelINS0_14default_configENS1_38merge_sort_block_merge_config_selectorIxxEEZZNS1_27merge_sort_block_merge_implIS3_N6thrust23THRUST_200600_302600_NS6detail15normal_iteratorINS8_10device_ptrIxEEEESD_jNS1_19radix_merge_compareILb0ELb0ExNS0_19identity_decomposerEEEEE10hipError_tT0_T1_T2_jT3_P12ihipStream_tbPNSt15iterator_traitsISI_E10value_typeEPNSO_ISJ_E10value_typeEPSK_NS1_7vsmem_tEENKUlT_SI_SJ_SK_E_clISD_PxSD_S10_EESH_SX_SI_SJ_SK_EUlSX_E_NS1_11comp_targetILNS1_3genE4ELNS1_11target_archE910ELNS1_3gpuE8ELNS1_3repE0EEENS1_48merge_mergepath_partition_config_static_selectorELNS0_4arch9wavefront6targetE1EEEvSJ_.private_seg_size, 0
	.set _ZN7rocprim17ROCPRIM_400000_NS6detail17trampoline_kernelINS0_14default_configENS1_38merge_sort_block_merge_config_selectorIxxEEZZNS1_27merge_sort_block_merge_implIS3_N6thrust23THRUST_200600_302600_NS6detail15normal_iteratorINS8_10device_ptrIxEEEESD_jNS1_19radix_merge_compareILb0ELb0ExNS0_19identity_decomposerEEEEE10hipError_tT0_T1_T2_jT3_P12ihipStream_tbPNSt15iterator_traitsISI_E10value_typeEPNSO_ISJ_E10value_typeEPSK_NS1_7vsmem_tEENKUlT_SI_SJ_SK_E_clISD_PxSD_S10_EESH_SX_SI_SJ_SK_EUlSX_E_NS1_11comp_targetILNS1_3genE4ELNS1_11target_archE910ELNS1_3gpuE8ELNS1_3repE0EEENS1_48merge_mergepath_partition_config_static_selectorELNS0_4arch9wavefront6targetE1EEEvSJ_.uses_vcc, 0
	.set _ZN7rocprim17ROCPRIM_400000_NS6detail17trampoline_kernelINS0_14default_configENS1_38merge_sort_block_merge_config_selectorIxxEEZZNS1_27merge_sort_block_merge_implIS3_N6thrust23THRUST_200600_302600_NS6detail15normal_iteratorINS8_10device_ptrIxEEEESD_jNS1_19radix_merge_compareILb0ELb0ExNS0_19identity_decomposerEEEEE10hipError_tT0_T1_T2_jT3_P12ihipStream_tbPNSt15iterator_traitsISI_E10value_typeEPNSO_ISJ_E10value_typeEPSK_NS1_7vsmem_tEENKUlT_SI_SJ_SK_E_clISD_PxSD_S10_EESH_SX_SI_SJ_SK_EUlSX_E_NS1_11comp_targetILNS1_3genE4ELNS1_11target_archE910ELNS1_3gpuE8ELNS1_3repE0EEENS1_48merge_mergepath_partition_config_static_selectorELNS0_4arch9wavefront6targetE1EEEvSJ_.uses_flat_scratch, 0
	.set _ZN7rocprim17ROCPRIM_400000_NS6detail17trampoline_kernelINS0_14default_configENS1_38merge_sort_block_merge_config_selectorIxxEEZZNS1_27merge_sort_block_merge_implIS3_N6thrust23THRUST_200600_302600_NS6detail15normal_iteratorINS8_10device_ptrIxEEEESD_jNS1_19radix_merge_compareILb0ELb0ExNS0_19identity_decomposerEEEEE10hipError_tT0_T1_T2_jT3_P12ihipStream_tbPNSt15iterator_traitsISI_E10value_typeEPNSO_ISJ_E10value_typeEPSK_NS1_7vsmem_tEENKUlT_SI_SJ_SK_E_clISD_PxSD_S10_EESH_SX_SI_SJ_SK_EUlSX_E_NS1_11comp_targetILNS1_3genE4ELNS1_11target_archE910ELNS1_3gpuE8ELNS1_3repE0EEENS1_48merge_mergepath_partition_config_static_selectorELNS0_4arch9wavefront6targetE1EEEvSJ_.has_dyn_sized_stack, 0
	.set _ZN7rocprim17ROCPRIM_400000_NS6detail17trampoline_kernelINS0_14default_configENS1_38merge_sort_block_merge_config_selectorIxxEEZZNS1_27merge_sort_block_merge_implIS3_N6thrust23THRUST_200600_302600_NS6detail15normal_iteratorINS8_10device_ptrIxEEEESD_jNS1_19radix_merge_compareILb0ELb0ExNS0_19identity_decomposerEEEEE10hipError_tT0_T1_T2_jT3_P12ihipStream_tbPNSt15iterator_traitsISI_E10value_typeEPNSO_ISJ_E10value_typeEPSK_NS1_7vsmem_tEENKUlT_SI_SJ_SK_E_clISD_PxSD_S10_EESH_SX_SI_SJ_SK_EUlSX_E_NS1_11comp_targetILNS1_3genE4ELNS1_11target_archE910ELNS1_3gpuE8ELNS1_3repE0EEENS1_48merge_mergepath_partition_config_static_selectorELNS0_4arch9wavefront6targetE1EEEvSJ_.has_recursion, 0
	.set _ZN7rocprim17ROCPRIM_400000_NS6detail17trampoline_kernelINS0_14default_configENS1_38merge_sort_block_merge_config_selectorIxxEEZZNS1_27merge_sort_block_merge_implIS3_N6thrust23THRUST_200600_302600_NS6detail15normal_iteratorINS8_10device_ptrIxEEEESD_jNS1_19radix_merge_compareILb0ELb0ExNS0_19identity_decomposerEEEEE10hipError_tT0_T1_T2_jT3_P12ihipStream_tbPNSt15iterator_traitsISI_E10value_typeEPNSO_ISJ_E10value_typeEPSK_NS1_7vsmem_tEENKUlT_SI_SJ_SK_E_clISD_PxSD_S10_EESH_SX_SI_SJ_SK_EUlSX_E_NS1_11comp_targetILNS1_3genE4ELNS1_11target_archE910ELNS1_3gpuE8ELNS1_3repE0EEENS1_48merge_mergepath_partition_config_static_selectorELNS0_4arch9wavefront6targetE1EEEvSJ_.has_indirect_call, 0
	.section	.AMDGPU.csdata,"",@progbits
; Kernel info:
; codeLenInByte = 0
; TotalNumSgprs: 6
; NumVgprs: 0
; NumAgprs: 0
; TotalNumVgprs: 0
; ScratchSize: 0
; MemoryBound: 0
; FloatMode: 240
; IeeeMode: 1
; LDSByteSize: 0 bytes/workgroup (compile time only)
; SGPRBlocks: 0
; VGPRBlocks: 0
; NumSGPRsForWavesPerEU: 6
; NumVGPRsForWavesPerEU: 1
; AccumOffset: 4
; Occupancy: 8
; WaveLimiterHint : 0
; COMPUTE_PGM_RSRC2:SCRATCH_EN: 0
; COMPUTE_PGM_RSRC2:USER_SGPR: 2
; COMPUTE_PGM_RSRC2:TRAP_HANDLER: 0
; COMPUTE_PGM_RSRC2:TGID_X_EN: 1
; COMPUTE_PGM_RSRC2:TGID_Y_EN: 0
; COMPUTE_PGM_RSRC2:TGID_Z_EN: 0
; COMPUTE_PGM_RSRC2:TIDIG_COMP_CNT: 0
; COMPUTE_PGM_RSRC3_GFX90A:ACCUM_OFFSET: 0
; COMPUTE_PGM_RSRC3_GFX90A:TG_SPLIT: 0
	.section	.text._ZN7rocprim17ROCPRIM_400000_NS6detail17trampoline_kernelINS0_14default_configENS1_38merge_sort_block_merge_config_selectorIxxEEZZNS1_27merge_sort_block_merge_implIS3_N6thrust23THRUST_200600_302600_NS6detail15normal_iteratorINS8_10device_ptrIxEEEESD_jNS1_19radix_merge_compareILb0ELb0ExNS0_19identity_decomposerEEEEE10hipError_tT0_T1_T2_jT3_P12ihipStream_tbPNSt15iterator_traitsISI_E10value_typeEPNSO_ISJ_E10value_typeEPSK_NS1_7vsmem_tEENKUlT_SI_SJ_SK_E_clISD_PxSD_S10_EESH_SX_SI_SJ_SK_EUlSX_E_NS1_11comp_targetILNS1_3genE3ELNS1_11target_archE908ELNS1_3gpuE7ELNS1_3repE0EEENS1_48merge_mergepath_partition_config_static_selectorELNS0_4arch9wavefront6targetE1EEEvSJ_,"axG",@progbits,_ZN7rocprim17ROCPRIM_400000_NS6detail17trampoline_kernelINS0_14default_configENS1_38merge_sort_block_merge_config_selectorIxxEEZZNS1_27merge_sort_block_merge_implIS3_N6thrust23THRUST_200600_302600_NS6detail15normal_iteratorINS8_10device_ptrIxEEEESD_jNS1_19radix_merge_compareILb0ELb0ExNS0_19identity_decomposerEEEEE10hipError_tT0_T1_T2_jT3_P12ihipStream_tbPNSt15iterator_traitsISI_E10value_typeEPNSO_ISJ_E10value_typeEPSK_NS1_7vsmem_tEENKUlT_SI_SJ_SK_E_clISD_PxSD_S10_EESH_SX_SI_SJ_SK_EUlSX_E_NS1_11comp_targetILNS1_3genE3ELNS1_11target_archE908ELNS1_3gpuE7ELNS1_3repE0EEENS1_48merge_mergepath_partition_config_static_selectorELNS0_4arch9wavefront6targetE1EEEvSJ_,comdat
	.protected	_ZN7rocprim17ROCPRIM_400000_NS6detail17trampoline_kernelINS0_14default_configENS1_38merge_sort_block_merge_config_selectorIxxEEZZNS1_27merge_sort_block_merge_implIS3_N6thrust23THRUST_200600_302600_NS6detail15normal_iteratorINS8_10device_ptrIxEEEESD_jNS1_19radix_merge_compareILb0ELb0ExNS0_19identity_decomposerEEEEE10hipError_tT0_T1_T2_jT3_P12ihipStream_tbPNSt15iterator_traitsISI_E10value_typeEPNSO_ISJ_E10value_typeEPSK_NS1_7vsmem_tEENKUlT_SI_SJ_SK_E_clISD_PxSD_S10_EESH_SX_SI_SJ_SK_EUlSX_E_NS1_11comp_targetILNS1_3genE3ELNS1_11target_archE908ELNS1_3gpuE7ELNS1_3repE0EEENS1_48merge_mergepath_partition_config_static_selectorELNS0_4arch9wavefront6targetE1EEEvSJ_ ; -- Begin function _ZN7rocprim17ROCPRIM_400000_NS6detail17trampoline_kernelINS0_14default_configENS1_38merge_sort_block_merge_config_selectorIxxEEZZNS1_27merge_sort_block_merge_implIS3_N6thrust23THRUST_200600_302600_NS6detail15normal_iteratorINS8_10device_ptrIxEEEESD_jNS1_19radix_merge_compareILb0ELb0ExNS0_19identity_decomposerEEEEE10hipError_tT0_T1_T2_jT3_P12ihipStream_tbPNSt15iterator_traitsISI_E10value_typeEPNSO_ISJ_E10value_typeEPSK_NS1_7vsmem_tEENKUlT_SI_SJ_SK_E_clISD_PxSD_S10_EESH_SX_SI_SJ_SK_EUlSX_E_NS1_11comp_targetILNS1_3genE3ELNS1_11target_archE908ELNS1_3gpuE7ELNS1_3repE0EEENS1_48merge_mergepath_partition_config_static_selectorELNS0_4arch9wavefront6targetE1EEEvSJ_
	.globl	_ZN7rocprim17ROCPRIM_400000_NS6detail17trampoline_kernelINS0_14default_configENS1_38merge_sort_block_merge_config_selectorIxxEEZZNS1_27merge_sort_block_merge_implIS3_N6thrust23THRUST_200600_302600_NS6detail15normal_iteratorINS8_10device_ptrIxEEEESD_jNS1_19radix_merge_compareILb0ELb0ExNS0_19identity_decomposerEEEEE10hipError_tT0_T1_T2_jT3_P12ihipStream_tbPNSt15iterator_traitsISI_E10value_typeEPNSO_ISJ_E10value_typeEPSK_NS1_7vsmem_tEENKUlT_SI_SJ_SK_E_clISD_PxSD_S10_EESH_SX_SI_SJ_SK_EUlSX_E_NS1_11comp_targetILNS1_3genE3ELNS1_11target_archE908ELNS1_3gpuE7ELNS1_3repE0EEENS1_48merge_mergepath_partition_config_static_selectorELNS0_4arch9wavefront6targetE1EEEvSJ_
	.p2align	8
	.type	_ZN7rocprim17ROCPRIM_400000_NS6detail17trampoline_kernelINS0_14default_configENS1_38merge_sort_block_merge_config_selectorIxxEEZZNS1_27merge_sort_block_merge_implIS3_N6thrust23THRUST_200600_302600_NS6detail15normal_iteratorINS8_10device_ptrIxEEEESD_jNS1_19radix_merge_compareILb0ELb0ExNS0_19identity_decomposerEEEEE10hipError_tT0_T1_T2_jT3_P12ihipStream_tbPNSt15iterator_traitsISI_E10value_typeEPNSO_ISJ_E10value_typeEPSK_NS1_7vsmem_tEENKUlT_SI_SJ_SK_E_clISD_PxSD_S10_EESH_SX_SI_SJ_SK_EUlSX_E_NS1_11comp_targetILNS1_3genE3ELNS1_11target_archE908ELNS1_3gpuE7ELNS1_3repE0EEENS1_48merge_mergepath_partition_config_static_selectorELNS0_4arch9wavefront6targetE1EEEvSJ_,@function
_ZN7rocprim17ROCPRIM_400000_NS6detail17trampoline_kernelINS0_14default_configENS1_38merge_sort_block_merge_config_selectorIxxEEZZNS1_27merge_sort_block_merge_implIS3_N6thrust23THRUST_200600_302600_NS6detail15normal_iteratorINS8_10device_ptrIxEEEESD_jNS1_19radix_merge_compareILb0ELb0ExNS0_19identity_decomposerEEEEE10hipError_tT0_T1_T2_jT3_P12ihipStream_tbPNSt15iterator_traitsISI_E10value_typeEPNSO_ISJ_E10value_typeEPSK_NS1_7vsmem_tEENKUlT_SI_SJ_SK_E_clISD_PxSD_S10_EESH_SX_SI_SJ_SK_EUlSX_E_NS1_11comp_targetILNS1_3genE3ELNS1_11target_archE908ELNS1_3gpuE7ELNS1_3repE0EEENS1_48merge_mergepath_partition_config_static_selectorELNS0_4arch9wavefront6targetE1EEEvSJ_: ; @_ZN7rocprim17ROCPRIM_400000_NS6detail17trampoline_kernelINS0_14default_configENS1_38merge_sort_block_merge_config_selectorIxxEEZZNS1_27merge_sort_block_merge_implIS3_N6thrust23THRUST_200600_302600_NS6detail15normal_iteratorINS8_10device_ptrIxEEEESD_jNS1_19radix_merge_compareILb0ELb0ExNS0_19identity_decomposerEEEEE10hipError_tT0_T1_T2_jT3_P12ihipStream_tbPNSt15iterator_traitsISI_E10value_typeEPNSO_ISJ_E10value_typeEPSK_NS1_7vsmem_tEENKUlT_SI_SJ_SK_E_clISD_PxSD_S10_EESH_SX_SI_SJ_SK_EUlSX_E_NS1_11comp_targetILNS1_3genE3ELNS1_11target_archE908ELNS1_3gpuE7ELNS1_3repE0EEENS1_48merge_mergepath_partition_config_static_selectorELNS0_4arch9wavefront6targetE1EEEvSJ_
; %bb.0:
	.section	.rodata,"a",@progbits
	.p2align	6, 0x0
	.amdhsa_kernel _ZN7rocprim17ROCPRIM_400000_NS6detail17trampoline_kernelINS0_14default_configENS1_38merge_sort_block_merge_config_selectorIxxEEZZNS1_27merge_sort_block_merge_implIS3_N6thrust23THRUST_200600_302600_NS6detail15normal_iteratorINS8_10device_ptrIxEEEESD_jNS1_19radix_merge_compareILb0ELb0ExNS0_19identity_decomposerEEEEE10hipError_tT0_T1_T2_jT3_P12ihipStream_tbPNSt15iterator_traitsISI_E10value_typeEPNSO_ISJ_E10value_typeEPSK_NS1_7vsmem_tEENKUlT_SI_SJ_SK_E_clISD_PxSD_S10_EESH_SX_SI_SJ_SK_EUlSX_E_NS1_11comp_targetILNS1_3genE3ELNS1_11target_archE908ELNS1_3gpuE7ELNS1_3repE0EEENS1_48merge_mergepath_partition_config_static_selectorELNS0_4arch9wavefront6targetE1EEEvSJ_
		.amdhsa_group_segment_fixed_size 0
		.amdhsa_private_segment_fixed_size 0
		.amdhsa_kernarg_size 40
		.amdhsa_user_sgpr_count 2
		.amdhsa_user_sgpr_dispatch_ptr 0
		.amdhsa_user_sgpr_queue_ptr 0
		.amdhsa_user_sgpr_kernarg_segment_ptr 1
		.amdhsa_user_sgpr_dispatch_id 0
		.amdhsa_user_sgpr_kernarg_preload_length 0
		.amdhsa_user_sgpr_kernarg_preload_offset 0
		.amdhsa_user_sgpr_private_segment_size 0
		.amdhsa_uses_dynamic_stack 0
		.amdhsa_enable_private_segment 0
		.amdhsa_system_sgpr_workgroup_id_x 1
		.amdhsa_system_sgpr_workgroup_id_y 0
		.amdhsa_system_sgpr_workgroup_id_z 0
		.amdhsa_system_sgpr_workgroup_info 0
		.amdhsa_system_vgpr_workitem_id 0
		.amdhsa_next_free_vgpr 1
		.amdhsa_next_free_sgpr 0
		.amdhsa_accum_offset 4
		.amdhsa_reserve_vcc 0
		.amdhsa_float_round_mode_32 0
		.amdhsa_float_round_mode_16_64 0
		.amdhsa_float_denorm_mode_32 3
		.amdhsa_float_denorm_mode_16_64 3
		.amdhsa_dx10_clamp 1
		.amdhsa_ieee_mode 1
		.amdhsa_fp16_overflow 0
		.amdhsa_tg_split 0
		.amdhsa_exception_fp_ieee_invalid_op 0
		.amdhsa_exception_fp_denorm_src 0
		.amdhsa_exception_fp_ieee_div_zero 0
		.amdhsa_exception_fp_ieee_overflow 0
		.amdhsa_exception_fp_ieee_underflow 0
		.amdhsa_exception_fp_ieee_inexact 0
		.amdhsa_exception_int_div_zero 0
	.end_amdhsa_kernel
	.section	.text._ZN7rocprim17ROCPRIM_400000_NS6detail17trampoline_kernelINS0_14default_configENS1_38merge_sort_block_merge_config_selectorIxxEEZZNS1_27merge_sort_block_merge_implIS3_N6thrust23THRUST_200600_302600_NS6detail15normal_iteratorINS8_10device_ptrIxEEEESD_jNS1_19radix_merge_compareILb0ELb0ExNS0_19identity_decomposerEEEEE10hipError_tT0_T1_T2_jT3_P12ihipStream_tbPNSt15iterator_traitsISI_E10value_typeEPNSO_ISJ_E10value_typeEPSK_NS1_7vsmem_tEENKUlT_SI_SJ_SK_E_clISD_PxSD_S10_EESH_SX_SI_SJ_SK_EUlSX_E_NS1_11comp_targetILNS1_3genE3ELNS1_11target_archE908ELNS1_3gpuE7ELNS1_3repE0EEENS1_48merge_mergepath_partition_config_static_selectorELNS0_4arch9wavefront6targetE1EEEvSJ_,"axG",@progbits,_ZN7rocprim17ROCPRIM_400000_NS6detail17trampoline_kernelINS0_14default_configENS1_38merge_sort_block_merge_config_selectorIxxEEZZNS1_27merge_sort_block_merge_implIS3_N6thrust23THRUST_200600_302600_NS6detail15normal_iteratorINS8_10device_ptrIxEEEESD_jNS1_19radix_merge_compareILb0ELb0ExNS0_19identity_decomposerEEEEE10hipError_tT0_T1_T2_jT3_P12ihipStream_tbPNSt15iterator_traitsISI_E10value_typeEPNSO_ISJ_E10value_typeEPSK_NS1_7vsmem_tEENKUlT_SI_SJ_SK_E_clISD_PxSD_S10_EESH_SX_SI_SJ_SK_EUlSX_E_NS1_11comp_targetILNS1_3genE3ELNS1_11target_archE908ELNS1_3gpuE7ELNS1_3repE0EEENS1_48merge_mergepath_partition_config_static_selectorELNS0_4arch9wavefront6targetE1EEEvSJ_,comdat
.Lfunc_end1093:
	.size	_ZN7rocprim17ROCPRIM_400000_NS6detail17trampoline_kernelINS0_14default_configENS1_38merge_sort_block_merge_config_selectorIxxEEZZNS1_27merge_sort_block_merge_implIS3_N6thrust23THRUST_200600_302600_NS6detail15normal_iteratorINS8_10device_ptrIxEEEESD_jNS1_19radix_merge_compareILb0ELb0ExNS0_19identity_decomposerEEEEE10hipError_tT0_T1_T2_jT3_P12ihipStream_tbPNSt15iterator_traitsISI_E10value_typeEPNSO_ISJ_E10value_typeEPSK_NS1_7vsmem_tEENKUlT_SI_SJ_SK_E_clISD_PxSD_S10_EESH_SX_SI_SJ_SK_EUlSX_E_NS1_11comp_targetILNS1_3genE3ELNS1_11target_archE908ELNS1_3gpuE7ELNS1_3repE0EEENS1_48merge_mergepath_partition_config_static_selectorELNS0_4arch9wavefront6targetE1EEEvSJ_, .Lfunc_end1093-_ZN7rocprim17ROCPRIM_400000_NS6detail17trampoline_kernelINS0_14default_configENS1_38merge_sort_block_merge_config_selectorIxxEEZZNS1_27merge_sort_block_merge_implIS3_N6thrust23THRUST_200600_302600_NS6detail15normal_iteratorINS8_10device_ptrIxEEEESD_jNS1_19radix_merge_compareILb0ELb0ExNS0_19identity_decomposerEEEEE10hipError_tT0_T1_T2_jT3_P12ihipStream_tbPNSt15iterator_traitsISI_E10value_typeEPNSO_ISJ_E10value_typeEPSK_NS1_7vsmem_tEENKUlT_SI_SJ_SK_E_clISD_PxSD_S10_EESH_SX_SI_SJ_SK_EUlSX_E_NS1_11comp_targetILNS1_3genE3ELNS1_11target_archE908ELNS1_3gpuE7ELNS1_3repE0EEENS1_48merge_mergepath_partition_config_static_selectorELNS0_4arch9wavefront6targetE1EEEvSJ_
                                        ; -- End function
	.set _ZN7rocprim17ROCPRIM_400000_NS6detail17trampoline_kernelINS0_14default_configENS1_38merge_sort_block_merge_config_selectorIxxEEZZNS1_27merge_sort_block_merge_implIS3_N6thrust23THRUST_200600_302600_NS6detail15normal_iteratorINS8_10device_ptrIxEEEESD_jNS1_19radix_merge_compareILb0ELb0ExNS0_19identity_decomposerEEEEE10hipError_tT0_T1_T2_jT3_P12ihipStream_tbPNSt15iterator_traitsISI_E10value_typeEPNSO_ISJ_E10value_typeEPSK_NS1_7vsmem_tEENKUlT_SI_SJ_SK_E_clISD_PxSD_S10_EESH_SX_SI_SJ_SK_EUlSX_E_NS1_11comp_targetILNS1_3genE3ELNS1_11target_archE908ELNS1_3gpuE7ELNS1_3repE0EEENS1_48merge_mergepath_partition_config_static_selectorELNS0_4arch9wavefront6targetE1EEEvSJ_.num_vgpr, 0
	.set _ZN7rocprim17ROCPRIM_400000_NS6detail17trampoline_kernelINS0_14default_configENS1_38merge_sort_block_merge_config_selectorIxxEEZZNS1_27merge_sort_block_merge_implIS3_N6thrust23THRUST_200600_302600_NS6detail15normal_iteratorINS8_10device_ptrIxEEEESD_jNS1_19radix_merge_compareILb0ELb0ExNS0_19identity_decomposerEEEEE10hipError_tT0_T1_T2_jT3_P12ihipStream_tbPNSt15iterator_traitsISI_E10value_typeEPNSO_ISJ_E10value_typeEPSK_NS1_7vsmem_tEENKUlT_SI_SJ_SK_E_clISD_PxSD_S10_EESH_SX_SI_SJ_SK_EUlSX_E_NS1_11comp_targetILNS1_3genE3ELNS1_11target_archE908ELNS1_3gpuE7ELNS1_3repE0EEENS1_48merge_mergepath_partition_config_static_selectorELNS0_4arch9wavefront6targetE1EEEvSJ_.num_agpr, 0
	.set _ZN7rocprim17ROCPRIM_400000_NS6detail17trampoline_kernelINS0_14default_configENS1_38merge_sort_block_merge_config_selectorIxxEEZZNS1_27merge_sort_block_merge_implIS3_N6thrust23THRUST_200600_302600_NS6detail15normal_iteratorINS8_10device_ptrIxEEEESD_jNS1_19radix_merge_compareILb0ELb0ExNS0_19identity_decomposerEEEEE10hipError_tT0_T1_T2_jT3_P12ihipStream_tbPNSt15iterator_traitsISI_E10value_typeEPNSO_ISJ_E10value_typeEPSK_NS1_7vsmem_tEENKUlT_SI_SJ_SK_E_clISD_PxSD_S10_EESH_SX_SI_SJ_SK_EUlSX_E_NS1_11comp_targetILNS1_3genE3ELNS1_11target_archE908ELNS1_3gpuE7ELNS1_3repE0EEENS1_48merge_mergepath_partition_config_static_selectorELNS0_4arch9wavefront6targetE1EEEvSJ_.numbered_sgpr, 0
	.set _ZN7rocprim17ROCPRIM_400000_NS6detail17trampoline_kernelINS0_14default_configENS1_38merge_sort_block_merge_config_selectorIxxEEZZNS1_27merge_sort_block_merge_implIS3_N6thrust23THRUST_200600_302600_NS6detail15normal_iteratorINS8_10device_ptrIxEEEESD_jNS1_19radix_merge_compareILb0ELb0ExNS0_19identity_decomposerEEEEE10hipError_tT0_T1_T2_jT3_P12ihipStream_tbPNSt15iterator_traitsISI_E10value_typeEPNSO_ISJ_E10value_typeEPSK_NS1_7vsmem_tEENKUlT_SI_SJ_SK_E_clISD_PxSD_S10_EESH_SX_SI_SJ_SK_EUlSX_E_NS1_11comp_targetILNS1_3genE3ELNS1_11target_archE908ELNS1_3gpuE7ELNS1_3repE0EEENS1_48merge_mergepath_partition_config_static_selectorELNS0_4arch9wavefront6targetE1EEEvSJ_.num_named_barrier, 0
	.set _ZN7rocprim17ROCPRIM_400000_NS6detail17trampoline_kernelINS0_14default_configENS1_38merge_sort_block_merge_config_selectorIxxEEZZNS1_27merge_sort_block_merge_implIS3_N6thrust23THRUST_200600_302600_NS6detail15normal_iteratorINS8_10device_ptrIxEEEESD_jNS1_19radix_merge_compareILb0ELb0ExNS0_19identity_decomposerEEEEE10hipError_tT0_T1_T2_jT3_P12ihipStream_tbPNSt15iterator_traitsISI_E10value_typeEPNSO_ISJ_E10value_typeEPSK_NS1_7vsmem_tEENKUlT_SI_SJ_SK_E_clISD_PxSD_S10_EESH_SX_SI_SJ_SK_EUlSX_E_NS1_11comp_targetILNS1_3genE3ELNS1_11target_archE908ELNS1_3gpuE7ELNS1_3repE0EEENS1_48merge_mergepath_partition_config_static_selectorELNS0_4arch9wavefront6targetE1EEEvSJ_.private_seg_size, 0
	.set _ZN7rocprim17ROCPRIM_400000_NS6detail17trampoline_kernelINS0_14default_configENS1_38merge_sort_block_merge_config_selectorIxxEEZZNS1_27merge_sort_block_merge_implIS3_N6thrust23THRUST_200600_302600_NS6detail15normal_iteratorINS8_10device_ptrIxEEEESD_jNS1_19radix_merge_compareILb0ELb0ExNS0_19identity_decomposerEEEEE10hipError_tT0_T1_T2_jT3_P12ihipStream_tbPNSt15iterator_traitsISI_E10value_typeEPNSO_ISJ_E10value_typeEPSK_NS1_7vsmem_tEENKUlT_SI_SJ_SK_E_clISD_PxSD_S10_EESH_SX_SI_SJ_SK_EUlSX_E_NS1_11comp_targetILNS1_3genE3ELNS1_11target_archE908ELNS1_3gpuE7ELNS1_3repE0EEENS1_48merge_mergepath_partition_config_static_selectorELNS0_4arch9wavefront6targetE1EEEvSJ_.uses_vcc, 0
	.set _ZN7rocprim17ROCPRIM_400000_NS6detail17trampoline_kernelINS0_14default_configENS1_38merge_sort_block_merge_config_selectorIxxEEZZNS1_27merge_sort_block_merge_implIS3_N6thrust23THRUST_200600_302600_NS6detail15normal_iteratorINS8_10device_ptrIxEEEESD_jNS1_19radix_merge_compareILb0ELb0ExNS0_19identity_decomposerEEEEE10hipError_tT0_T1_T2_jT3_P12ihipStream_tbPNSt15iterator_traitsISI_E10value_typeEPNSO_ISJ_E10value_typeEPSK_NS1_7vsmem_tEENKUlT_SI_SJ_SK_E_clISD_PxSD_S10_EESH_SX_SI_SJ_SK_EUlSX_E_NS1_11comp_targetILNS1_3genE3ELNS1_11target_archE908ELNS1_3gpuE7ELNS1_3repE0EEENS1_48merge_mergepath_partition_config_static_selectorELNS0_4arch9wavefront6targetE1EEEvSJ_.uses_flat_scratch, 0
	.set _ZN7rocprim17ROCPRIM_400000_NS6detail17trampoline_kernelINS0_14default_configENS1_38merge_sort_block_merge_config_selectorIxxEEZZNS1_27merge_sort_block_merge_implIS3_N6thrust23THRUST_200600_302600_NS6detail15normal_iteratorINS8_10device_ptrIxEEEESD_jNS1_19radix_merge_compareILb0ELb0ExNS0_19identity_decomposerEEEEE10hipError_tT0_T1_T2_jT3_P12ihipStream_tbPNSt15iterator_traitsISI_E10value_typeEPNSO_ISJ_E10value_typeEPSK_NS1_7vsmem_tEENKUlT_SI_SJ_SK_E_clISD_PxSD_S10_EESH_SX_SI_SJ_SK_EUlSX_E_NS1_11comp_targetILNS1_3genE3ELNS1_11target_archE908ELNS1_3gpuE7ELNS1_3repE0EEENS1_48merge_mergepath_partition_config_static_selectorELNS0_4arch9wavefront6targetE1EEEvSJ_.has_dyn_sized_stack, 0
	.set _ZN7rocprim17ROCPRIM_400000_NS6detail17trampoline_kernelINS0_14default_configENS1_38merge_sort_block_merge_config_selectorIxxEEZZNS1_27merge_sort_block_merge_implIS3_N6thrust23THRUST_200600_302600_NS6detail15normal_iteratorINS8_10device_ptrIxEEEESD_jNS1_19radix_merge_compareILb0ELb0ExNS0_19identity_decomposerEEEEE10hipError_tT0_T1_T2_jT3_P12ihipStream_tbPNSt15iterator_traitsISI_E10value_typeEPNSO_ISJ_E10value_typeEPSK_NS1_7vsmem_tEENKUlT_SI_SJ_SK_E_clISD_PxSD_S10_EESH_SX_SI_SJ_SK_EUlSX_E_NS1_11comp_targetILNS1_3genE3ELNS1_11target_archE908ELNS1_3gpuE7ELNS1_3repE0EEENS1_48merge_mergepath_partition_config_static_selectorELNS0_4arch9wavefront6targetE1EEEvSJ_.has_recursion, 0
	.set _ZN7rocprim17ROCPRIM_400000_NS6detail17trampoline_kernelINS0_14default_configENS1_38merge_sort_block_merge_config_selectorIxxEEZZNS1_27merge_sort_block_merge_implIS3_N6thrust23THRUST_200600_302600_NS6detail15normal_iteratorINS8_10device_ptrIxEEEESD_jNS1_19radix_merge_compareILb0ELb0ExNS0_19identity_decomposerEEEEE10hipError_tT0_T1_T2_jT3_P12ihipStream_tbPNSt15iterator_traitsISI_E10value_typeEPNSO_ISJ_E10value_typeEPSK_NS1_7vsmem_tEENKUlT_SI_SJ_SK_E_clISD_PxSD_S10_EESH_SX_SI_SJ_SK_EUlSX_E_NS1_11comp_targetILNS1_3genE3ELNS1_11target_archE908ELNS1_3gpuE7ELNS1_3repE0EEENS1_48merge_mergepath_partition_config_static_selectorELNS0_4arch9wavefront6targetE1EEEvSJ_.has_indirect_call, 0
	.section	.AMDGPU.csdata,"",@progbits
; Kernel info:
; codeLenInByte = 0
; TotalNumSgprs: 6
; NumVgprs: 0
; NumAgprs: 0
; TotalNumVgprs: 0
; ScratchSize: 0
; MemoryBound: 0
; FloatMode: 240
; IeeeMode: 1
; LDSByteSize: 0 bytes/workgroup (compile time only)
; SGPRBlocks: 0
; VGPRBlocks: 0
; NumSGPRsForWavesPerEU: 6
; NumVGPRsForWavesPerEU: 1
; AccumOffset: 4
; Occupancy: 8
; WaveLimiterHint : 0
; COMPUTE_PGM_RSRC2:SCRATCH_EN: 0
; COMPUTE_PGM_RSRC2:USER_SGPR: 2
; COMPUTE_PGM_RSRC2:TRAP_HANDLER: 0
; COMPUTE_PGM_RSRC2:TGID_X_EN: 1
; COMPUTE_PGM_RSRC2:TGID_Y_EN: 0
; COMPUTE_PGM_RSRC2:TGID_Z_EN: 0
; COMPUTE_PGM_RSRC2:TIDIG_COMP_CNT: 0
; COMPUTE_PGM_RSRC3_GFX90A:ACCUM_OFFSET: 0
; COMPUTE_PGM_RSRC3_GFX90A:TG_SPLIT: 0
	.section	.text._ZN7rocprim17ROCPRIM_400000_NS6detail17trampoline_kernelINS0_14default_configENS1_38merge_sort_block_merge_config_selectorIxxEEZZNS1_27merge_sort_block_merge_implIS3_N6thrust23THRUST_200600_302600_NS6detail15normal_iteratorINS8_10device_ptrIxEEEESD_jNS1_19radix_merge_compareILb0ELb0ExNS0_19identity_decomposerEEEEE10hipError_tT0_T1_T2_jT3_P12ihipStream_tbPNSt15iterator_traitsISI_E10value_typeEPNSO_ISJ_E10value_typeEPSK_NS1_7vsmem_tEENKUlT_SI_SJ_SK_E_clISD_PxSD_S10_EESH_SX_SI_SJ_SK_EUlSX_E_NS1_11comp_targetILNS1_3genE2ELNS1_11target_archE906ELNS1_3gpuE6ELNS1_3repE0EEENS1_48merge_mergepath_partition_config_static_selectorELNS0_4arch9wavefront6targetE1EEEvSJ_,"axG",@progbits,_ZN7rocprim17ROCPRIM_400000_NS6detail17trampoline_kernelINS0_14default_configENS1_38merge_sort_block_merge_config_selectorIxxEEZZNS1_27merge_sort_block_merge_implIS3_N6thrust23THRUST_200600_302600_NS6detail15normal_iteratorINS8_10device_ptrIxEEEESD_jNS1_19radix_merge_compareILb0ELb0ExNS0_19identity_decomposerEEEEE10hipError_tT0_T1_T2_jT3_P12ihipStream_tbPNSt15iterator_traitsISI_E10value_typeEPNSO_ISJ_E10value_typeEPSK_NS1_7vsmem_tEENKUlT_SI_SJ_SK_E_clISD_PxSD_S10_EESH_SX_SI_SJ_SK_EUlSX_E_NS1_11comp_targetILNS1_3genE2ELNS1_11target_archE906ELNS1_3gpuE6ELNS1_3repE0EEENS1_48merge_mergepath_partition_config_static_selectorELNS0_4arch9wavefront6targetE1EEEvSJ_,comdat
	.protected	_ZN7rocprim17ROCPRIM_400000_NS6detail17trampoline_kernelINS0_14default_configENS1_38merge_sort_block_merge_config_selectorIxxEEZZNS1_27merge_sort_block_merge_implIS3_N6thrust23THRUST_200600_302600_NS6detail15normal_iteratorINS8_10device_ptrIxEEEESD_jNS1_19radix_merge_compareILb0ELb0ExNS0_19identity_decomposerEEEEE10hipError_tT0_T1_T2_jT3_P12ihipStream_tbPNSt15iterator_traitsISI_E10value_typeEPNSO_ISJ_E10value_typeEPSK_NS1_7vsmem_tEENKUlT_SI_SJ_SK_E_clISD_PxSD_S10_EESH_SX_SI_SJ_SK_EUlSX_E_NS1_11comp_targetILNS1_3genE2ELNS1_11target_archE906ELNS1_3gpuE6ELNS1_3repE0EEENS1_48merge_mergepath_partition_config_static_selectorELNS0_4arch9wavefront6targetE1EEEvSJ_ ; -- Begin function _ZN7rocprim17ROCPRIM_400000_NS6detail17trampoline_kernelINS0_14default_configENS1_38merge_sort_block_merge_config_selectorIxxEEZZNS1_27merge_sort_block_merge_implIS3_N6thrust23THRUST_200600_302600_NS6detail15normal_iteratorINS8_10device_ptrIxEEEESD_jNS1_19radix_merge_compareILb0ELb0ExNS0_19identity_decomposerEEEEE10hipError_tT0_T1_T2_jT3_P12ihipStream_tbPNSt15iterator_traitsISI_E10value_typeEPNSO_ISJ_E10value_typeEPSK_NS1_7vsmem_tEENKUlT_SI_SJ_SK_E_clISD_PxSD_S10_EESH_SX_SI_SJ_SK_EUlSX_E_NS1_11comp_targetILNS1_3genE2ELNS1_11target_archE906ELNS1_3gpuE6ELNS1_3repE0EEENS1_48merge_mergepath_partition_config_static_selectorELNS0_4arch9wavefront6targetE1EEEvSJ_
	.globl	_ZN7rocprim17ROCPRIM_400000_NS6detail17trampoline_kernelINS0_14default_configENS1_38merge_sort_block_merge_config_selectorIxxEEZZNS1_27merge_sort_block_merge_implIS3_N6thrust23THRUST_200600_302600_NS6detail15normal_iteratorINS8_10device_ptrIxEEEESD_jNS1_19radix_merge_compareILb0ELb0ExNS0_19identity_decomposerEEEEE10hipError_tT0_T1_T2_jT3_P12ihipStream_tbPNSt15iterator_traitsISI_E10value_typeEPNSO_ISJ_E10value_typeEPSK_NS1_7vsmem_tEENKUlT_SI_SJ_SK_E_clISD_PxSD_S10_EESH_SX_SI_SJ_SK_EUlSX_E_NS1_11comp_targetILNS1_3genE2ELNS1_11target_archE906ELNS1_3gpuE6ELNS1_3repE0EEENS1_48merge_mergepath_partition_config_static_selectorELNS0_4arch9wavefront6targetE1EEEvSJ_
	.p2align	8
	.type	_ZN7rocprim17ROCPRIM_400000_NS6detail17trampoline_kernelINS0_14default_configENS1_38merge_sort_block_merge_config_selectorIxxEEZZNS1_27merge_sort_block_merge_implIS3_N6thrust23THRUST_200600_302600_NS6detail15normal_iteratorINS8_10device_ptrIxEEEESD_jNS1_19radix_merge_compareILb0ELb0ExNS0_19identity_decomposerEEEEE10hipError_tT0_T1_T2_jT3_P12ihipStream_tbPNSt15iterator_traitsISI_E10value_typeEPNSO_ISJ_E10value_typeEPSK_NS1_7vsmem_tEENKUlT_SI_SJ_SK_E_clISD_PxSD_S10_EESH_SX_SI_SJ_SK_EUlSX_E_NS1_11comp_targetILNS1_3genE2ELNS1_11target_archE906ELNS1_3gpuE6ELNS1_3repE0EEENS1_48merge_mergepath_partition_config_static_selectorELNS0_4arch9wavefront6targetE1EEEvSJ_,@function
_ZN7rocprim17ROCPRIM_400000_NS6detail17trampoline_kernelINS0_14default_configENS1_38merge_sort_block_merge_config_selectorIxxEEZZNS1_27merge_sort_block_merge_implIS3_N6thrust23THRUST_200600_302600_NS6detail15normal_iteratorINS8_10device_ptrIxEEEESD_jNS1_19radix_merge_compareILb0ELb0ExNS0_19identity_decomposerEEEEE10hipError_tT0_T1_T2_jT3_P12ihipStream_tbPNSt15iterator_traitsISI_E10value_typeEPNSO_ISJ_E10value_typeEPSK_NS1_7vsmem_tEENKUlT_SI_SJ_SK_E_clISD_PxSD_S10_EESH_SX_SI_SJ_SK_EUlSX_E_NS1_11comp_targetILNS1_3genE2ELNS1_11target_archE906ELNS1_3gpuE6ELNS1_3repE0EEENS1_48merge_mergepath_partition_config_static_selectorELNS0_4arch9wavefront6targetE1EEEvSJ_: ; @_ZN7rocprim17ROCPRIM_400000_NS6detail17trampoline_kernelINS0_14default_configENS1_38merge_sort_block_merge_config_selectorIxxEEZZNS1_27merge_sort_block_merge_implIS3_N6thrust23THRUST_200600_302600_NS6detail15normal_iteratorINS8_10device_ptrIxEEEESD_jNS1_19radix_merge_compareILb0ELb0ExNS0_19identity_decomposerEEEEE10hipError_tT0_T1_T2_jT3_P12ihipStream_tbPNSt15iterator_traitsISI_E10value_typeEPNSO_ISJ_E10value_typeEPSK_NS1_7vsmem_tEENKUlT_SI_SJ_SK_E_clISD_PxSD_S10_EESH_SX_SI_SJ_SK_EUlSX_E_NS1_11comp_targetILNS1_3genE2ELNS1_11target_archE906ELNS1_3gpuE6ELNS1_3repE0EEENS1_48merge_mergepath_partition_config_static_selectorELNS0_4arch9wavefront6targetE1EEEvSJ_
; %bb.0:
	.section	.rodata,"a",@progbits
	.p2align	6, 0x0
	.amdhsa_kernel _ZN7rocprim17ROCPRIM_400000_NS6detail17trampoline_kernelINS0_14default_configENS1_38merge_sort_block_merge_config_selectorIxxEEZZNS1_27merge_sort_block_merge_implIS3_N6thrust23THRUST_200600_302600_NS6detail15normal_iteratorINS8_10device_ptrIxEEEESD_jNS1_19radix_merge_compareILb0ELb0ExNS0_19identity_decomposerEEEEE10hipError_tT0_T1_T2_jT3_P12ihipStream_tbPNSt15iterator_traitsISI_E10value_typeEPNSO_ISJ_E10value_typeEPSK_NS1_7vsmem_tEENKUlT_SI_SJ_SK_E_clISD_PxSD_S10_EESH_SX_SI_SJ_SK_EUlSX_E_NS1_11comp_targetILNS1_3genE2ELNS1_11target_archE906ELNS1_3gpuE6ELNS1_3repE0EEENS1_48merge_mergepath_partition_config_static_selectorELNS0_4arch9wavefront6targetE1EEEvSJ_
		.amdhsa_group_segment_fixed_size 0
		.amdhsa_private_segment_fixed_size 0
		.amdhsa_kernarg_size 40
		.amdhsa_user_sgpr_count 2
		.amdhsa_user_sgpr_dispatch_ptr 0
		.amdhsa_user_sgpr_queue_ptr 0
		.amdhsa_user_sgpr_kernarg_segment_ptr 1
		.amdhsa_user_sgpr_dispatch_id 0
		.amdhsa_user_sgpr_kernarg_preload_length 0
		.amdhsa_user_sgpr_kernarg_preload_offset 0
		.amdhsa_user_sgpr_private_segment_size 0
		.amdhsa_uses_dynamic_stack 0
		.amdhsa_enable_private_segment 0
		.amdhsa_system_sgpr_workgroup_id_x 1
		.amdhsa_system_sgpr_workgroup_id_y 0
		.amdhsa_system_sgpr_workgroup_id_z 0
		.amdhsa_system_sgpr_workgroup_info 0
		.amdhsa_system_vgpr_workitem_id 0
		.amdhsa_next_free_vgpr 1
		.amdhsa_next_free_sgpr 0
		.amdhsa_accum_offset 4
		.amdhsa_reserve_vcc 0
		.amdhsa_float_round_mode_32 0
		.amdhsa_float_round_mode_16_64 0
		.amdhsa_float_denorm_mode_32 3
		.amdhsa_float_denorm_mode_16_64 3
		.amdhsa_dx10_clamp 1
		.amdhsa_ieee_mode 1
		.amdhsa_fp16_overflow 0
		.amdhsa_tg_split 0
		.amdhsa_exception_fp_ieee_invalid_op 0
		.amdhsa_exception_fp_denorm_src 0
		.amdhsa_exception_fp_ieee_div_zero 0
		.amdhsa_exception_fp_ieee_overflow 0
		.amdhsa_exception_fp_ieee_underflow 0
		.amdhsa_exception_fp_ieee_inexact 0
		.amdhsa_exception_int_div_zero 0
	.end_amdhsa_kernel
	.section	.text._ZN7rocprim17ROCPRIM_400000_NS6detail17trampoline_kernelINS0_14default_configENS1_38merge_sort_block_merge_config_selectorIxxEEZZNS1_27merge_sort_block_merge_implIS3_N6thrust23THRUST_200600_302600_NS6detail15normal_iteratorINS8_10device_ptrIxEEEESD_jNS1_19radix_merge_compareILb0ELb0ExNS0_19identity_decomposerEEEEE10hipError_tT0_T1_T2_jT3_P12ihipStream_tbPNSt15iterator_traitsISI_E10value_typeEPNSO_ISJ_E10value_typeEPSK_NS1_7vsmem_tEENKUlT_SI_SJ_SK_E_clISD_PxSD_S10_EESH_SX_SI_SJ_SK_EUlSX_E_NS1_11comp_targetILNS1_3genE2ELNS1_11target_archE906ELNS1_3gpuE6ELNS1_3repE0EEENS1_48merge_mergepath_partition_config_static_selectorELNS0_4arch9wavefront6targetE1EEEvSJ_,"axG",@progbits,_ZN7rocprim17ROCPRIM_400000_NS6detail17trampoline_kernelINS0_14default_configENS1_38merge_sort_block_merge_config_selectorIxxEEZZNS1_27merge_sort_block_merge_implIS3_N6thrust23THRUST_200600_302600_NS6detail15normal_iteratorINS8_10device_ptrIxEEEESD_jNS1_19radix_merge_compareILb0ELb0ExNS0_19identity_decomposerEEEEE10hipError_tT0_T1_T2_jT3_P12ihipStream_tbPNSt15iterator_traitsISI_E10value_typeEPNSO_ISJ_E10value_typeEPSK_NS1_7vsmem_tEENKUlT_SI_SJ_SK_E_clISD_PxSD_S10_EESH_SX_SI_SJ_SK_EUlSX_E_NS1_11comp_targetILNS1_3genE2ELNS1_11target_archE906ELNS1_3gpuE6ELNS1_3repE0EEENS1_48merge_mergepath_partition_config_static_selectorELNS0_4arch9wavefront6targetE1EEEvSJ_,comdat
.Lfunc_end1094:
	.size	_ZN7rocprim17ROCPRIM_400000_NS6detail17trampoline_kernelINS0_14default_configENS1_38merge_sort_block_merge_config_selectorIxxEEZZNS1_27merge_sort_block_merge_implIS3_N6thrust23THRUST_200600_302600_NS6detail15normal_iteratorINS8_10device_ptrIxEEEESD_jNS1_19radix_merge_compareILb0ELb0ExNS0_19identity_decomposerEEEEE10hipError_tT0_T1_T2_jT3_P12ihipStream_tbPNSt15iterator_traitsISI_E10value_typeEPNSO_ISJ_E10value_typeEPSK_NS1_7vsmem_tEENKUlT_SI_SJ_SK_E_clISD_PxSD_S10_EESH_SX_SI_SJ_SK_EUlSX_E_NS1_11comp_targetILNS1_3genE2ELNS1_11target_archE906ELNS1_3gpuE6ELNS1_3repE0EEENS1_48merge_mergepath_partition_config_static_selectorELNS0_4arch9wavefront6targetE1EEEvSJ_, .Lfunc_end1094-_ZN7rocprim17ROCPRIM_400000_NS6detail17trampoline_kernelINS0_14default_configENS1_38merge_sort_block_merge_config_selectorIxxEEZZNS1_27merge_sort_block_merge_implIS3_N6thrust23THRUST_200600_302600_NS6detail15normal_iteratorINS8_10device_ptrIxEEEESD_jNS1_19radix_merge_compareILb0ELb0ExNS0_19identity_decomposerEEEEE10hipError_tT0_T1_T2_jT3_P12ihipStream_tbPNSt15iterator_traitsISI_E10value_typeEPNSO_ISJ_E10value_typeEPSK_NS1_7vsmem_tEENKUlT_SI_SJ_SK_E_clISD_PxSD_S10_EESH_SX_SI_SJ_SK_EUlSX_E_NS1_11comp_targetILNS1_3genE2ELNS1_11target_archE906ELNS1_3gpuE6ELNS1_3repE0EEENS1_48merge_mergepath_partition_config_static_selectorELNS0_4arch9wavefront6targetE1EEEvSJ_
                                        ; -- End function
	.set _ZN7rocprim17ROCPRIM_400000_NS6detail17trampoline_kernelINS0_14default_configENS1_38merge_sort_block_merge_config_selectorIxxEEZZNS1_27merge_sort_block_merge_implIS3_N6thrust23THRUST_200600_302600_NS6detail15normal_iteratorINS8_10device_ptrIxEEEESD_jNS1_19radix_merge_compareILb0ELb0ExNS0_19identity_decomposerEEEEE10hipError_tT0_T1_T2_jT3_P12ihipStream_tbPNSt15iterator_traitsISI_E10value_typeEPNSO_ISJ_E10value_typeEPSK_NS1_7vsmem_tEENKUlT_SI_SJ_SK_E_clISD_PxSD_S10_EESH_SX_SI_SJ_SK_EUlSX_E_NS1_11comp_targetILNS1_3genE2ELNS1_11target_archE906ELNS1_3gpuE6ELNS1_3repE0EEENS1_48merge_mergepath_partition_config_static_selectorELNS0_4arch9wavefront6targetE1EEEvSJ_.num_vgpr, 0
	.set _ZN7rocprim17ROCPRIM_400000_NS6detail17trampoline_kernelINS0_14default_configENS1_38merge_sort_block_merge_config_selectorIxxEEZZNS1_27merge_sort_block_merge_implIS3_N6thrust23THRUST_200600_302600_NS6detail15normal_iteratorINS8_10device_ptrIxEEEESD_jNS1_19radix_merge_compareILb0ELb0ExNS0_19identity_decomposerEEEEE10hipError_tT0_T1_T2_jT3_P12ihipStream_tbPNSt15iterator_traitsISI_E10value_typeEPNSO_ISJ_E10value_typeEPSK_NS1_7vsmem_tEENKUlT_SI_SJ_SK_E_clISD_PxSD_S10_EESH_SX_SI_SJ_SK_EUlSX_E_NS1_11comp_targetILNS1_3genE2ELNS1_11target_archE906ELNS1_3gpuE6ELNS1_3repE0EEENS1_48merge_mergepath_partition_config_static_selectorELNS0_4arch9wavefront6targetE1EEEvSJ_.num_agpr, 0
	.set _ZN7rocprim17ROCPRIM_400000_NS6detail17trampoline_kernelINS0_14default_configENS1_38merge_sort_block_merge_config_selectorIxxEEZZNS1_27merge_sort_block_merge_implIS3_N6thrust23THRUST_200600_302600_NS6detail15normal_iteratorINS8_10device_ptrIxEEEESD_jNS1_19radix_merge_compareILb0ELb0ExNS0_19identity_decomposerEEEEE10hipError_tT0_T1_T2_jT3_P12ihipStream_tbPNSt15iterator_traitsISI_E10value_typeEPNSO_ISJ_E10value_typeEPSK_NS1_7vsmem_tEENKUlT_SI_SJ_SK_E_clISD_PxSD_S10_EESH_SX_SI_SJ_SK_EUlSX_E_NS1_11comp_targetILNS1_3genE2ELNS1_11target_archE906ELNS1_3gpuE6ELNS1_3repE0EEENS1_48merge_mergepath_partition_config_static_selectorELNS0_4arch9wavefront6targetE1EEEvSJ_.numbered_sgpr, 0
	.set _ZN7rocprim17ROCPRIM_400000_NS6detail17trampoline_kernelINS0_14default_configENS1_38merge_sort_block_merge_config_selectorIxxEEZZNS1_27merge_sort_block_merge_implIS3_N6thrust23THRUST_200600_302600_NS6detail15normal_iteratorINS8_10device_ptrIxEEEESD_jNS1_19radix_merge_compareILb0ELb0ExNS0_19identity_decomposerEEEEE10hipError_tT0_T1_T2_jT3_P12ihipStream_tbPNSt15iterator_traitsISI_E10value_typeEPNSO_ISJ_E10value_typeEPSK_NS1_7vsmem_tEENKUlT_SI_SJ_SK_E_clISD_PxSD_S10_EESH_SX_SI_SJ_SK_EUlSX_E_NS1_11comp_targetILNS1_3genE2ELNS1_11target_archE906ELNS1_3gpuE6ELNS1_3repE0EEENS1_48merge_mergepath_partition_config_static_selectorELNS0_4arch9wavefront6targetE1EEEvSJ_.num_named_barrier, 0
	.set _ZN7rocprim17ROCPRIM_400000_NS6detail17trampoline_kernelINS0_14default_configENS1_38merge_sort_block_merge_config_selectorIxxEEZZNS1_27merge_sort_block_merge_implIS3_N6thrust23THRUST_200600_302600_NS6detail15normal_iteratorINS8_10device_ptrIxEEEESD_jNS1_19radix_merge_compareILb0ELb0ExNS0_19identity_decomposerEEEEE10hipError_tT0_T1_T2_jT3_P12ihipStream_tbPNSt15iterator_traitsISI_E10value_typeEPNSO_ISJ_E10value_typeEPSK_NS1_7vsmem_tEENKUlT_SI_SJ_SK_E_clISD_PxSD_S10_EESH_SX_SI_SJ_SK_EUlSX_E_NS1_11comp_targetILNS1_3genE2ELNS1_11target_archE906ELNS1_3gpuE6ELNS1_3repE0EEENS1_48merge_mergepath_partition_config_static_selectorELNS0_4arch9wavefront6targetE1EEEvSJ_.private_seg_size, 0
	.set _ZN7rocprim17ROCPRIM_400000_NS6detail17trampoline_kernelINS0_14default_configENS1_38merge_sort_block_merge_config_selectorIxxEEZZNS1_27merge_sort_block_merge_implIS3_N6thrust23THRUST_200600_302600_NS6detail15normal_iteratorINS8_10device_ptrIxEEEESD_jNS1_19radix_merge_compareILb0ELb0ExNS0_19identity_decomposerEEEEE10hipError_tT0_T1_T2_jT3_P12ihipStream_tbPNSt15iterator_traitsISI_E10value_typeEPNSO_ISJ_E10value_typeEPSK_NS1_7vsmem_tEENKUlT_SI_SJ_SK_E_clISD_PxSD_S10_EESH_SX_SI_SJ_SK_EUlSX_E_NS1_11comp_targetILNS1_3genE2ELNS1_11target_archE906ELNS1_3gpuE6ELNS1_3repE0EEENS1_48merge_mergepath_partition_config_static_selectorELNS0_4arch9wavefront6targetE1EEEvSJ_.uses_vcc, 0
	.set _ZN7rocprim17ROCPRIM_400000_NS6detail17trampoline_kernelINS0_14default_configENS1_38merge_sort_block_merge_config_selectorIxxEEZZNS1_27merge_sort_block_merge_implIS3_N6thrust23THRUST_200600_302600_NS6detail15normal_iteratorINS8_10device_ptrIxEEEESD_jNS1_19radix_merge_compareILb0ELb0ExNS0_19identity_decomposerEEEEE10hipError_tT0_T1_T2_jT3_P12ihipStream_tbPNSt15iterator_traitsISI_E10value_typeEPNSO_ISJ_E10value_typeEPSK_NS1_7vsmem_tEENKUlT_SI_SJ_SK_E_clISD_PxSD_S10_EESH_SX_SI_SJ_SK_EUlSX_E_NS1_11comp_targetILNS1_3genE2ELNS1_11target_archE906ELNS1_3gpuE6ELNS1_3repE0EEENS1_48merge_mergepath_partition_config_static_selectorELNS0_4arch9wavefront6targetE1EEEvSJ_.uses_flat_scratch, 0
	.set _ZN7rocprim17ROCPRIM_400000_NS6detail17trampoline_kernelINS0_14default_configENS1_38merge_sort_block_merge_config_selectorIxxEEZZNS1_27merge_sort_block_merge_implIS3_N6thrust23THRUST_200600_302600_NS6detail15normal_iteratorINS8_10device_ptrIxEEEESD_jNS1_19radix_merge_compareILb0ELb0ExNS0_19identity_decomposerEEEEE10hipError_tT0_T1_T2_jT3_P12ihipStream_tbPNSt15iterator_traitsISI_E10value_typeEPNSO_ISJ_E10value_typeEPSK_NS1_7vsmem_tEENKUlT_SI_SJ_SK_E_clISD_PxSD_S10_EESH_SX_SI_SJ_SK_EUlSX_E_NS1_11comp_targetILNS1_3genE2ELNS1_11target_archE906ELNS1_3gpuE6ELNS1_3repE0EEENS1_48merge_mergepath_partition_config_static_selectorELNS0_4arch9wavefront6targetE1EEEvSJ_.has_dyn_sized_stack, 0
	.set _ZN7rocprim17ROCPRIM_400000_NS6detail17trampoline_kernelINS0_14default_configENS1_38merge_sort_block_merge_config_selectorIxxEEZZNS1_27merge_sort_block_merge_implIS3_N6thrust23THRUST_200600_302600_NS6detail15normal_iteratorINS8_10device_ptrIxEEEESD_jNS1_19radix_merge_compareILb0ELb0ExNS0_19identity_decomposerEEEEE10hipError_tT0_T1_T2_jT3_P12ihipStream_tbPNSt15iterator_traitsISI_E10value_typeEPNSO_ISJ_E10value_typeEPSK_NS1_7vsmem_tEENKUlT_SI_SJ_SK_E_clISD_PxSD_S10_EESH_SX_SI_SJ_SK_EUlSX_E_NS1_11comp_targetILNS1_3genE2ELNS1_11target_archE906ELNS1_3gpuE6ELNS1_3repE0EEENS1_48merge_mergepath_partition_config_static_selectorELNS0_4arch9wavefront6targetE1EEEvSJ_.has_recursion, 0
	.set _ZN7rocprim17ROCPRIM_400000_NS6detail17trampoline_kernelINS0_14default_configENS1_38merge_sort_block_merge_config_selectorIxxEEZZNS1_27merge_sort_block_merge_implIS3_N6thrust23THRUST_200600_302600_NS6detail15normal_iteratorINS8_10device_ptrIxEEEESD_jNS1_19radix_merge_compareILb0ELb0ExNS0_19identity_decomposerEEEEE10hipError_tT0_T1_T2_jT3_P12ihipStream_tbPNSt15iterator_traitsISI_E10value_typeEPNSO_ISJ_E10value_typeEPSK_NS1_7vsmem_tEENKUlT_SI_SJ_SK_E_clISD_PxSD_S10_EESH_SX_SI_SJ_SK_EUlSX_E_NS1_11comp_targetILNS1_3genE2ELNS1_11target_archE906ELNS1_3gpuE6ELNS1_3repE0EEENS1_48merge_mergepath_partition_config_static_selectorELNS0_4arch9wavefront6targetE1EEEvSJ_.has_indirect_call, 0
	.section	.AMDGPU.csdata,"",@progbits
; Kernel info:
; codeLenInByte = 0
; TotalNumSgprs: 6
; NumVgprs: 0
; NumAgprs: 0
; TotalNumVgprs: 0
; ScratchSize: 0
; MemoryBound: 0
; FloatMode: 240
; IeeeMode: 1
; LDSByteSize: 0 bytes/workgroup (compile time only)
; SGPRBlocks: 0
; VGPRBlocks: 0
; NumSGPRsForWavesPerEU: 6
; NumVGPRsForWavesPerEU: 1
; AccumOffset: 4
; Occupancy: 8
; WaveLimiterHint : 0
; COMPUTE_PGM_RSRC2:SCRATCH_EN: 0
; COMPUTE_PGM_RSRC2:USER_SGPR: 2
; COMPUTE_PGM_RSRC2:TRAP_HANDLER: 0
; COMPUTE_PGM_RSRC2:TGID_X_EN: 1
; COMPUTE_PGM_RSRC2:TGID_Y_EN: 0
; COMPUTE_PGM_RSRC2:TGID_Z_EN: 0
; COMPUTE_PGM_RSRC2:TIDIG_COMP_CNT: 0
; COMPUTE_PGM_RSRC3_GFX90A:ACCUM_OFFSET: 0
; COMPUTE_PGM_RSRC3_GFX90A:TG_SPLIT: 0
	.section	.text._ZN7rocprim17ROCPRIM_400000_NS6detail17trampoline_kernelINS0_14default_configENS1_38merge_sort_block_merge_config_selectorIxxEEZZNS1_27merge_sort_block_merge_implIS3_N6thrust23THRUST_200600_302600_NS6detail15normal_iteratorINS8_10device_ptrIxEEEESD_jNS1_19radix_merge_compareILb0ELb0ExNS0_19identity_decomposerEEEEE10hipError_tT0_T1_T2_jT3_P12ihipStream_tbPNSt15iterator_traitsISI_E10value_typeEPNSO_ISJ_E10value_typeEPSK_NS1_7vsmem_tEENKUlT_SI_SJ_SK_E_clISD_PxSD_S10_EESH_SX_SI_SJ_SK_EUlSX_E_NS1_11comp_targetILNS1_3genE9ELNS1_11target_archE1100ELNS1_3gpuE3ELNS1_3repE0EEENS1_48merge_mergepath_partition_config_static_selectorELNS0_4arch9wavefront6targetE1EEEvSJ_,"axG",@progbits,_ZN7rocprim17ROCPRIM_400000_NS6detail17trampoline_kernelINS0_14default_configENS1_38merge_sort_block_merge_config_selectorIxxEEZZNS1_27merge_sort_block_merge_implIS3_N6thrust23THRUST_200600_302600_NS6detail15normal_iteratorINS8_10device_ptrIxEEEESD_jNS1_19radix_merge_compareILb0ELb0ExNS0_19identity_decomposerEEEEE10hipError_tT0_T1_T2_jT3_P12ihipStream_tbPNSt15iterator_traitsISI_E10value_typeEPNSO_ISJ_E10value_typeEPSK_NS1_7vsmem_tEENKUlT_SI_SJ_SK_E_clISD_PxSD_S10_EESH_SX_SI_SJ_SK_EUlSX_E_NS1_11comp_targetILNS1_3genE9ELNS1_11target_archE1100ELNS1_3gpuE3ELNS1_3repE0EEENS1_48merge_mergepath_partition_config_static_selectorELNS0_4arch9wavefront6targetE1EEEvSJ_,comdat
	.protected	_ZN7rocprim17ROCPRIM_400000_NS6detail17trampoline_kernelINS0_14default_configENS1_38merge_sort_block_merge_config_selectorIxxEEZZNS1_27merge_sort_block_merge_implIS3_N6thrust23THRUST_200600_302600_NS6detail15normal_iteratorINS8_10device_ptrIxEEEESD_jNS1_19radix_merge_compareILb0ELb0ExNS0_19identity_decomposerEEEEE10hipError_tT0_T1_T2_jT3_P12ihipStream_tbPNSt15iterator_traitsISI_E10value_typeEPNSO_ISJ_E10value_typeEPSK_NS1_7vsmem_tEENKUlT_SI_SJ_SK_E_clISD_PxSD_S10_EESH_SX_SI_SJ_SK_EUlSX_E_NS1_11comp_targetILNS1_3genE9ELNS1_11target_archE1100ELNS1_3gpuE3ELNS1_3repE0EEENS1_48merge_mergepath_partition_config_static_selectorELNS0_4arch9wavefront6targetE1EEEvSJ_ ; -- Begin function _ZN7rocprim17ROCPRIM_400000_NS6detail17trampoline_kernelINS0_14default_configENS1_38merge_sort_block_merge_config_selectorIxxEEZZNS1_27merge_sort_block_merge_implIS3_N6thrust23THRUST_200600_302600_NS6detail15normal_iteratorINS8_10device_ptrIxEEEESD_jNS1_19radix_merge_compareILb0ELb0ExNS0_19identity_decomposerEEEEE10hipError_tT0_T1_T2_jT3_P12ihipStream_tbPNSt15iterator_traitsISI_E10value_typeEPNSO_ISJ_E10value_typeEPSK_NS1_7vsmem_tEENKUlT_SI_SJ_SK_E_clISD_PxSD_S10_EESH_SX_SI_SJ_SK_EUlSX_E_NS1_11comp_targetILNS1_3genE9ELNS1_11target_archE1100ELNS1_3gpuE3ELNS1_3repE0EEENS1_48merge_mergepath_partition_config_static_selectorELNS0_4arch9wavefront6targetE1EEEvSJ_
	.globl	_ZN7rocprim17ROCPRIM_400000_NS6detail17trampoline_kernelINS0_14default_configENS1_38merge_sort_block_merge_config_selectorIxxEEZZNS1_27merge_sort_block_merge_implIS3_N6thrust23THRUST_200600_302600_NS6detail15normal_iteratorINS8_10device_ptrIxEEEESD_jNS1_19radix_merge_compareILb0ELb0ExNS0_19identity_decomposerEEEEE10hipError_tT0_T1_T2_jT3_P12ihipStream_tbPNSt15iterator_traitsISI_E10value_typeEPNSO_ISJ_E10value_typeEPSK_NS1_7vsmem_tEENKUlT_SI_SJ_SK_E_clISD_PxSD_S10_EESH_SX_SI_SJ_SK_EUlSX_E_NS1_11comp_targetILNS1_3genE9ELNS1_11target_archE1100ELNS1_3gpuE3ELNS1_3repE0EEENS1_48merge_mergepath_partition_config_static_selectorELNS0_4arch9wavefront6targetE1EEEvSJ_
	.p2align	8
	.type	_ZN7rocprim17ROCPRIM_400000_NS6detail17trampoline_kernelINS0_14default_configENS1_38merge_sort_block_merge_config_selectorIxxEEZZNS1_27merge_sort_block_merge_implIS3_N6thrust23THRUST_200600_302600_NS6detail15normal_iteratorINS8_10device_ptrIxEEEESD_jNS1_19radix_merge_compareILb0ELb0ExNS0_19identity_decomposerEEEEE10hipError_tT0_T1_T2_jT3_P12ihipStream_tbPNSt15iterator_traitsISI_E10value_typeEPNSO_ISJ_E10value_typeEPSK_NS1_7vsmem_tEENKUlT_SI_SJ_SK_E_clISD_PxSD_S10_EESH_SX_SI_SJ_SK_EUlSX_E_NS1_11comp_targetILNS1_3genE9ELNS1_11target_archE1100ELNS1_3gpuE3ELNS1_3repE0EEENS1_48merge_mergepath_partition_config_static_selectorELNS0_4arch9wavefront6targetE1EEEvSJ_,@function
_ZN7rocprim17ROCPRIM_400000_NS6detail17trampoline_kernelINS0_14default_configENS1_38merge_sort_block_merge_config_selectorIxxEEZZNS1_27merge_sort_block_merge_implIS3_N6thrust23THRUST_200600_302600_NS6detail15normal_iteratorINS8_10device_ptrIxEEEESD_jNS1_19radix_merge_compareILb0ELb0ExNS0_19identity_decomposerEEEEE10hipError_tT0_T1_T2_jT3_P12ihipStream_tbPNSt15iterator_traitsISI_E10value_typeEPNSO_ISJ_E10value_typeEPSK_NS1_7vsmem_tEENKUlT_SI_SJ_SK_E_clISD_PxSD_S10_EESH_SX_SI_SJ_SK_EUlSX_E_NS1_11comp_targetILNS1_3genE9ELNS1_11target_archE1100ELNS1_3gpuE3ELNS1_3repE0EEENS1_48merge_mergepath_partition_config_static_selectorELNS0_4arch9wavefront6targetE1EEEvSJ_: ; @_ZN7rocprim17ROCPRIM_400000_NS6detail17trampoline_kernelINS0_14default_configENS1_38merge_sort_block_merge_config_selectorIxxEEZZNS1_27merge_sort_block_merge_implIS3_N6thrust23THRUST_200600_302600_NS6detail15normal_iteratorINS8_10device_ptrIxEEEESD_jNS1_19radix_merge_compareILb0ELb0ExNS0_19identity_decomposerEEEEE10hipError_tT0_T1_T2_jT3_P12ihipStream_tbPNSt15iterator_traitsISI_E10value_typeEPNSO_ISJ_E10value_typeEPSK_NS1_7vsmem_tEENKUlT_SI_SJ_SK_E_clISD_PxSD_S10_EESH_SX_SI_SJ_SK_EUlSX_E_NS1_11comp_targetILNS1_3genE9ELNS1_11target_archE1100ELNS1_3gpuE3ELNS1_3repE0EEENS1_48merge_mergepath_partition_config_static_selectorELNS0_4arch9wavefront6targetE1EEEvSJ_
; %bb.0:
	.section	.rodata,"a",@progbits
	.p2align	6, 0x0
	.amdhsa_kernel _ZN7rocprim17ROCPRIM_400000_NS6detail17trampoline_kernelINS0_14default_configENS1_38merge_sort_block_merge_config_selectorIxxEEZZNS1_27merge_sort_block_merge_implIS3_N6thrust23THRUST_200600_302600_NS6detail15normal_iteratorINS8_10device_ptrIxEEEESD_jNS1_19radix_merge_compareILb0ELb0ExNS0_19identity_decomposerEEEEE10hipError_tT0_T1_T2_jT3_P12ihipStream_tbPNSt15iterator_traitsISI_E10value_typeEPNSO_ISJ_E10value_typeEPSK_NS1_7vsmem_tEENKUlT_SI_SJ_SK_E_clISD_PxSD_S10_EESH_SX_SI_SJ_SK_EUlSX_E_NS1_11comp_targetILNS1_3genE9ELNS1_11target_archE1100ELNS1_3gpuE3ELNS1_3repE0EEENS1_48merge_mergepath_partition_config_static_selectorELNS0_4arch9wavefront6targetE1EEEvSJ_
		.amdhsa_group_segment_fixed_size 0
		.amdhsa_private_segment_fixed_size 0
		.amdhsa_kernarg_size 40
		.amdhsa_user_sgpr_count 2
		.amdhsa_user_sgpr_dispatch_ptr 0
		.amdhsa_user_sgpr_queue_ptr 0
		.amdhsa_user_sgpr_kernarg_segment_ptr 1
		.amdhsa_user_sgpr_dispatch_id 0
		.amdhsa_user_sgpr_kernarg_preload_length 0
		.amdhsa_user_sgpr_kernarg_preload_offset 0
		.amdhsa_user_sgpr_private_segment_size 0
		.amdhsa_uses_dynamic_stack 0
		.amdhsa_enable_private_segment 0
		.amdhsa_system_sgpr_workgroup_id_x 1
		.amdhsa_system_sgpr_workgroup_id_y 0
		.amdhsa_system_sgpr_workgroup_id_z 0
		.amdhsa_system_sgpr_workgroup_info 0
		.amdhsa_system_vgpr_workitem_id 0
		.amdhsa_next_free_vgpr 1
		.amdhsa_next_free_sgpr 0
		.amdhsa_accum_offset 4
		.amdhsa_reserve_vcc 0
		.amdhsa_float_round_mode_32 0
		.amdhsa_float_round_mode_16_64 0
		.amdhsa_float_denorm_mode_32 3
		.amdhsa_float_denorm_mode_16_64 3
		.amdhsa_dx10_clamp 1
		.amdhsa_ieee_mode 1
		.amdhsa_fp16_overflow 0
		.amdhsa_tg_split 0
		.amdhsa_exception_fp_ieee_invalid_op 0
		.amdhsa_exception_fp_denorm_src 0
		.amdhsa_exception_fp_ieee_div_zero 0
		.amdhsa_exception_fp_ieee_overflow 0
		.amdhsa_exception_fp_ieee_underflow 0
		.amdhsa_exception_fp_ieee_inexact 0
		.amdhsa_exception_int_div_zero 0
	.end_amdhsa_kernel
	.section	.text._ZN7rocprim17ROCPRIM_400000_NS6detail17trampoline_kernelINS0_14default_configENS1_38merge_sort_block_merge_config_selectorIxxEEZZNS1_27merge_sort_block_merge_implIS3_N6thrust23THRUST_200600_302600_NS6detail15normal_iteratorINS8_10device_ptrIxEEEESD_jNS1_19radix_merge_compareILb0ELb0ExNS0_19identity_decomposerEEEEE10hipError_tT0_T1_T2_jT3_P12ihipStream_tbPNSt15iterator_traitsISI_E10value_typeEPNSO_ISJ_E10value_typeEPSK_NS1_7vsmem_tEENKUlT_SI_SJ_SK_E_clISD_PxSD_S10_EESH_SX_SI_SJ_SK_EUlSX_E_NS1_11comp_targetILNS1_3genE9ELNS1_11target_archE1100ELNS1_3gpuE3ELNS1_3repE0EEENS1_48merge_mergepath_partition_config_static_selectorELNS0_4arch9wavefront6targetE1EEEvSJ_,"axG",@progbits,_ZN7rocprim17ROCPRIM_400000_NS6detail17trampoline_kernelINS0_14default_configENS1_38merge_sort_block_merge_config_selectorIxxEEZZNS1_27merge_sort_block_merge_implIS3_N6thrust23THRUST_200600_302600_NS6detail15normal_iteratorINS8_10device_ptrIxEEEESD_jNS1_19radix_merge_compareILb0ELb0ExNS0_19identity_decomposerEEEEE10hipError_tT0_T1_T2_jT3_P12ihipStream_tbPNSt15iterator_traitsISI_E10value_typeEPNSO_ISJ_E10value_typeEPSK_NS1_7vsmem_tEENKUlT_SI_SJ_SK_E_clISD_PxSD_S10_EESH_SX_SI_SJ_SK_EUlSX_E_NS1_11comp_targetILNS1_3genE9ELNS1_11target_archE1100ELNS1_3gpuE3ELNS1_3repE0EEENS1_48merge_mergepath_partition_config_static_selectorELNS0_4arch9wavefront6targetE1EEEvSJ_,comdat
.Lfunc_end1095:
	.size	_ZN7rocprim17ROCPRIM_400000_NS6detail17trampoline_kernelINS0_14default_configENS1_38merge_sort_block_merge_config_selectorIxxEEZZNS1_27merge_sort_block_merge_implIS3_N6thrust23THRUST_200600_302600_NS6detail15normal_iteratorINS8_10device_ptrIxEEEESD_jNS1_19radix_merge_compareILb0ELb0ExNS0_19identity_decomposerEEEEE10hipError_tT0_T1_T2_jT3_P12ihipStream_tbPNSt15iterator_traitsISI_E10value_typeEPNSO_ISJ_E10value_typeEPSK_NS1_7vsmem_tEENKUlT_SI_SJ_SK_E_clISD_PxSD_S10_EESH_SX_SI_SJ_SK_EUlSX_E_NS1_11comp_targetILNS1_3genE9ELNS1_11target_archE1100ELNS1_3gpuE3ELNS1_3repE0EEENS1_48merge_mergepath_partition_config_static_selectorELNS0_4arch9wavefront6targetE1EEEvSJ_, .Lfunc_end1095-_ZN7rocprim17ROCPRIM_400000_NS6detail17trampoline_kernelINS0_14default_configENS1_38merge_sort_block_merge_config_selectorIxxEEZZNS1_27merge_sort_block_merge_implIS3_N6thrust23THRUST_200600_302600_NS6detail15normal_iteratorINS8_10device_ptrIxEEEESD_jNS1_19radix_merge_compareILb0ELb0ExNS0_19identity_decomposerEEEEE10hipError_tT0_T1_T2_jT3_P12ihipStream_tbPNSt15iterator_traitsISI_E10value_typeEPNSO_ISJ_E10value_typeEPSK_NS1_7vsmem_tEENKUlT_SI_SJ_SK_E_clISD_PxSD_S10_EESH_SX_SI_SJ_SK_EUlSX_E_NS1_11comp_targetILNS1_3genE9ELNS1_11target_archE1100ELNS1_3gpuE3ELNS1_3repE0EEENS1_48merge_mergepath_partition_config_static_selectorELNS0_4arch9wavefront6targetE1EEEvSJ_
                                        ; -- End function
	.set _ZN7rocprim17ROCPRIM_400000_NS6detail17trampoline_kernelINS0_14default_configENS1_38merge_sort_block_merge_config_selectorIxxEEZZNS1_27merge_sort_block_merge_implIS3_N6thrust23THRUST_200600_302600_NS6detail15normal_iteratorINS8_10device_ptrIxEEEESD_jNS1_19radix_merge_compareILb0ELb0ExNS0_19identity_decomposerEEEEE10hipError_tT0_T1_T2_jT3_P12ihipStream_tbPNSt15iterator_traitsISI_E10value_typeEPNSO_ISJ_E10value_typeEPSK_NS1_7vsmem_tEENKUlT_SI_SJ_SK_E_clISD_PxSD_S10_EESH_SX_SI_SJ_SK_EUlSX_E_NS1_11comp_targetILNS1_3genE9ELNS1_11target_archE1100ELNS1_3gpuE3ELNS1_3repE0EEENS1_48merge_mergepath_partition_config_static_selectorELNS0_4arch9wavefront6targetE1EEEvSJ_.num_vgpr, 0
	.set _ZN7rocprim17ROCPRIM_400000_NS6detail17trampoline_kernelINS0_14default_configENS1_38merge_sort_block_merge_config_selectorIxxEEZZNS1_27merge_sort_block_merge_implIS3_N6thrust23THRUST_200600_302600_NS6detail15normal_iteratorINS8_10device_ptrIxEEEESD_jNS1_19radix_merge_compareILb0ELb0ExNS0_19identity_decomposerEEEEE10hipError_tT0_T1_T2_jT3_P12ihipStream_tbPNSt15iterator_traitsISI_E10value_typeEPNSO_ISJ_E10value_typeEPSK_NS1_7vsmem_tEENKUlT_SI_SJ_SK_E_clISD_PxSD_S10_EESH_SX_SI_SJ_SK_EUlSX_E_NS1_11comp_targetILNS1_3genE9ELNS1_11target_archE1100ELNS1_3gpuE3ELNS1_3repE0EEENS1_48merge_mergepath_partition_config_static_selectorELNS0_4arch9wavefront6targetE1EEEvSJ_.num_agpr, 0
	.set _ZN7rocprim17ROCPRIM_400000_NS6detail17trampoline_kernelINS0_14default_configENS1_38merge_sort_block_merge_config_selectorIxxEEZZNS1_27merge_sort_block_merge_implIS3_N6thrust23THRUST_200600_302600_NS6detail15normal_iteratorINS8_10device_ptrIxEEEESD_jNS1_19radix_merge_compareILb0ELb0ExNS0_19identity_decomposerEEEEE10hipError_tT0_T1_T2_jT3_P12ihipStream_tbPNSt15iterator_traitsISI_E10value_typeEPNSO_ISJ_E10value_typeEPSK_NS1_7vsmem_tEENKUlT_SI_SJ_SK_E_clISD_PxSD_S10_EESH_SX_SI_SJ_SK_EUlSX_E_NS1_11comp_targetILNS1_3genE9ELNS1_11target_archE1100ELNS1_3gpuE3ELNS1_3repE0EEENS1_48merge_mergepath_partition_config_static_selectorELNS0_4arch9wavefront6targetE1EEEvSJ_.numbered_sgpr, 0
	.set _ZN7rocprim17ROCPRIM_400000_NS6detail17trampoline_kernelINS0_14default_configENS1_38merge_sort_block_merge_config_selectorIxxEEZZNS1_27merge_sort_block_merge_implIS3_N6thrust23THRUST_200600_302600_NS6detail15normal_iteratorINS8_10device_ptrIxEEEESD_jNS1_19radix_merge_compareILb0ELb0ExNS0_19identity_decomposerEEEEE10hipError_tT0_T1_T2_jT3_P12ihipStream_tbPNSt15iterator_traitsISI_E10value_typeEPNSO_ISJ_E10value_typeEPSK_NS1_7vsmem_tEENKUlT_SI_SJ_SK_E_clISD_PxSD_S10_EESH_SX_SI_SJ_SK_EUlSX_E_NS1_11comp_targetILNS1_3genE9ELNS1_11target_archE1100ELNS1_3gpuE3ELNS1_3repE0EEENS1_48merge_mergepath_partition_config_static_selectorELNS0_4arch9wavefront6targetE1EEEvSJ_.num_named_barrier, 0
	.set _ZN7rocprim17ROCPRIM_400000_NS6detail17trampoline_kernelINS0_14default_configENS1_38merge_sort_block_merge_config_selectorIxxEEZZNS1_27merge_sort_block_merge_implIS3_N6thrust23THRUST_200600_302600_NS6detail15normal_iteratorINS8_10device_ptrIxEEEESD_jNS1_19radix_merge_compareILb0ELb0ExNS0_19identity_decomposerEEEEE10hipError_tT0_T1_T2_jT3_P12ihipStream_tbPNSt15iterator_traitsISI_E10value_typeEPNSO_ISJ_E10value_typeEPSK_NS1_7vsmem_tEENKUlT_SI_SJ_SK_E_clISD_PxSD_S10_EESH_SX_SI_SJ_SK_EUlSX_E_NS1_11comp_targetILNS1_3genE9ELNS1_11target_archE1100ELNS1_3gpuE3ELNS1_3repE0EEENS1_48merge_mergepath_partition_config_static_selectorELNS0_4arch9wavefront6targetE1EEEvSJ_.private_seg_size, 0
	.set _ZN7rocprim17ROCPRIM_400000_NS6detail17trampoline_kernelINS0_14default_configENS1_38merge_sort_block_merge_config_selectorIxxEEZZNS1_27merge_sort_block_merge_implIS3_N6thrust23THRUST_200600_302600_NS6detail15normal_iteratorINS8_10device_ptrIxEEEESD_jNS1_19radix_merge_compareILb0ELb0ExNS0_19identity_decomposerEEEEE10hipError_tT0_T1_T2_jT3_P12ihipStream_tbPNSt15iterator_traitsISI_E10value_typeEPNSO_ISJ_E10value_typeEPSK_NS1_7vsmem_tEENKUlT_SI_SJ_SK_E_clISD_PxSD_S10_EESH_SX_SI_SJ_SK_EUlSX_E_NS1_11comp_targetILNS1_3genE9ELNS1_11target_archE1100ELNS1_3gpuE3ELNS1_3repE0EEENS1_48merge_mergepath_partition_config_static_selectorELNS0_4arch9wavefront6targetE1EEEvSJ_.uses_vcc, 0
	.set _ZN7rocprim17ROCPRIM_400000_NS6detail17trampoline_kernelINS0_14default_configENS1_38merge_sort_block_merge_config_selectorIxxEEZZNS1_27merge_sort_block_merge_implIS3_N6thrust23THRUST_200600_302600_NS6detail15normal_iteratorINS8_10device_ptrIxEEEESD_jNS1_19radix_merge_compareILb0ELb0ExNS0_19identity_decomposerEEEEE10hipError_tT0_T1_T2_jT3_P12ihipStream_tbPNSt15iterator_traitsISI_E10value_typeEPNSO_ISJ_E10value_typeEPSK_NS1_7vsmem_tEENKUlT_SI_SJ_SK_E_clISD_PxSD_S10_EESH_SX_SI_SJ_SK_EUlSX_E_NS1_11comp_targetILNS1_3genE9ELNS1_11target_archE1100ELNS1_3gpuE3ELNS1_3repE0EEENS1_48merge_mergepath_partition_config_static_selectorELNS0_4arch9wavefront6targetE1EEEvSJ_.uses_flat_scratch, 0
	.set _ZN7rocprim17ROCPRIM_400000_NS6detail17trampoline_kernelINS0_14default_configENS1_38merge_sort_block_merge_config_selectorIxxEEZZNS1_27merge_sort_block_merge_implIS3_N6thrust23THRUST_200600_302600_NS6detail15normal_iteratorINS8_10device_ptrIxEEEESD_jNS1_19radix_merge_compareILb0ELb0ExNS0_19identity_decomposerEEEEE10hipError_tT0_T1_T2_jT3_P12ihipStream_tbPNSt15iterator_traitsISI_E10value_typeEPNSO_ISJ_E10value_typeEPSK_NS1_7vsmem_tEENKUlT_SI_SJ_SK_E_clISD_PxSD_S10_EESH_SX_SI_SJ_SK_EUlSX_E_NS1_11comp_targetILNS1_3genE9ELNS1_11target_archE1100ELNS1_3gpuE3ELNS1_3repE0EEENS1_48merge_mergepath_partition_config_static_selectorELNS0_4arch9wavefront6targetE1EEEvSJ_.has_dyn_sized_stack, 0
	.set _ZN7rocprim17ROCPRIM_400000_NS6detail17trampoline_kernelINS0_14default_configENS1_38merge_sort_block_merge_config_selectorIxxEEZZNS1_27merge_sort_block_merge_implIS3_N6thrust23THRUST_200600_302600_NS6detail15normal_iteratorINS8_10device_ptrIxEEEESD_jNS1_19radix_merge_compareILb0ELb0ExNS0_19identity_decomposerEEEEE10hipError_tT0_T1_T2_jT3_P12ihipStream_tbPNSt15iterator_traitsISI_E10value_typeEPNSO_ISJ_E10value_typeEPSK_NS1_7vsmem_tEENKUlT_SI_SJ_SK_E_clISD_PxSD_S10_EESH_SX_SI_SJ_SK_EUlSX_E_NS1_11comp_targetILNS1_3genE9ELNS1_11target_archE1100ELNS1_3gpuE3ELNS1_3repE0EEENS1_48merge_mergepath_partition_config_static_selectorELNS0_4arch9wavefront6targetE1EEEvSJ_.has_recursion, 0
	.set _ZN7rocprim17ROCPRIM_400000_NS6detail17trampoline_kernelINS0_14default_configENS1_38merge_sort_block_merge_config_selectorIxxEEZZNS1_27merge_sort_block_merge_implIS3_N6thrust23THRUST_200600_302600_NS6detail15normal_iteratorINS8_10device_ptrIxEEEESD_jNS1_19radix_merge_compareILb0ELb0ExNS0_19identity_decomposerEEEEE10hipError_tT0_T1_T2_jT3_P12ihipStream_tbPNSt15iterator_traitsISI_E10value_typeEPNSO_ISJ_E10value_typeEPSK_NS1_7vsmem_tEENKUlT_SI_SJ_SK_E_clISD_PxSD_S10_EESH_SX_SI_SJ_SK_EUlSX_E_NS1_11comp_targetILNS1_3genE9ELNS1_11target_archE1100ELNS1_3gpuE3ELNS1_3repE0EEENS1_48merge_mergepath_partition_config_static_selectorELNS0_4arch9wavefront6targetE1EEEvSJ_.has_indirect_call, 0
	.section	.AMDGPU.csdata,"",@progbits
; Kernel info:
; codeLenInByte = 0
; TotalNumSgprs: 6
; NumVgprs: 0
; NumAgprs: 0
; TotalNumVgprs: 0
; ScratchSize: 0
; MemoryBound: 0
; FloatMode: 240
; IeeeMode: 1
; LDSByteSize: 0 bytes/workgroup (compile time only)
; SGPRBlocks: 0
; VGPRBlocks: 0
; NumSGPRsForWavesPerEU: 6
; NumVGPRsForWavesPerEU: 1
; AccumOffset: 4
; Occupancy: 8
; WaveLimiterHint : 0
; COMPUTE_PGM_RSRC2:SCRATCH_EN: 0
; COMPUTE_PGM_RSRC2:USER_SGPR: 2
; COMPUTE_PGM_RSRC2:TRAP_HANDLER: 0
; COMPUTE_PGM_RSRC2:TGID_X_EN: 1
; COMPUTE_PGM_RSRC2:TGID_Y_EN: 0
; COMPUTE_PGM_RSRC2:TGID_Z_EN: 0
; COMPUTE_PGM_RSRC2:TIDIG_COMP_CNT: 0
; COMPUTE_PGM_RSRC3_GFX90A:ACCUM_OFFSET: 0
; COMPUTE_PGM_RSRC3_GFX90A:TG_SPLIT: 0
	.section	.text._ZN7rocprim17ROCPRIM_400000_NS6detail17trampoline_kernelINS0_14default_configENS1_38merge_sort_block_merge_config_selectorIxxEEZZNS1_27merge_sort_block_merge_implIS3_N6thrust23THRUST_200600_302600_NS6detail15normal_iteratorINS8_10device_ptrIxEEEESD_jNS1_19radix_merge_compareILb0ELb0ExNS0_19identity_decomposerEEEEE10hipError_tT0_T1_T2_jT3_P12ihipStream_tbPNSt15iterator_traitsISI_E10value_typeEPNSO_ISJ_E10value_typeEPSK_NS1_7vsmem_tEENKUlT_SI_SJ_SK_E_clISD_PxSD_S10_EESH_SX_SI_SJ_SK_EUlSX_E_NS1_11comp_targetILNS1_3genE8ELNS1_11target_archE1030ELNS1_3gpuE2ELNS1_3repE0EEENS1_48merge_mergepath_partition_config_static_selectorELNS0_4arch9wavefront6targetE1EEEvSJ_,"axG",@progbits,_ZN7rocprim17ROCPRIM_400000_NS6detail17trampoline_kernelINS0_14default_configENS1_38merge_sort_block_merge_config_selectorIxxEEZZNS1_27merge_sort_block_merge_implIS3_N6thrust23THRUST_200600_302600_NS6detail15normal_iteratorINS8_10device_ptrIxEEEESD_jNS1_19radix_merge_compareILb0ELb0ExNS0_19identity_decomposerEEEEE10hipError_tT0_T1_T2_jT3_P12ihipStream_tbPNSt15iterator_traitsISI_E10value_typeEPNSO_ISJ_E10value_typeEPSK_NS1_7vsmem_tEENKUlT_SI_SJ_SK_E_clISD_PxSD_S10_EESH_SX_SI_SJ_SK_EUlSX_E_NS1_11comp_targetILNS1_3genE8ELNS1_11target_archE1030ELNS1_3gpuE2ELNS1_3repE0EEENS1_48merge_mergepath_partition_config_static_selectorELNS0_4arch9wavefront6targetE1EEEvSJ_,comdat
	.protected	_ZN7rocprim17ROCPRIM_400000_NS6detail17trampoline_kernelINS0_14default_configENS1_38merge_sort_block_merge_config_selectorIxxEEZZNS1_27merge_sort_block_merge_implIS3_N6thrust23THRUST_200600_302600_NS6detail15normal_iteratorINS8_10device_ptrIxEEEESD_jNS1_19radix_merge_compareILb0ELb0ExNS0_19identity_decomposerEEEEE10hipError_tT0_T1_T2_jT3_P12ihipStream_tbPNSt15iterator_traitsISI_E10value_typeEPNSO_ISJ_E10value_typeEPSK_NS1_7vsmem_tEENKUlT_SI_SJ_SK_E_clISD_PxSD_S10_EESH_SX_SI_SJ_SK_EUlSX_E_NS1_11comp_targetILNS1_3genE8ELNS1_11target_archE1030ELNS1_3gpuE2ELNS1_3repE0EEENS1_48merge_mergepath_partition_config_static_selectorELNS0_4arch9wavefront6targetE1EEEvSJ_ ; -- Begin function _ZN7rocprim17ROCPRIM_400000_NS6detail17trampoline_kernelINS0_14default_configENS1_38merge_sort_block_merge_config_selectorIxxEEZZNS1_27merge_sort_block_merge_implIS3_N6thrust23THRUST_200600_302600_NS6detail15normal_iteratorINS8_10device_ptrIxEEEESD_jNS1_19radix_merge_compareILb0ELb0ExNS0_19identity_decomposerEEEEE10hipError_tT0_T1_T2_jT3_P12ihipStream_tbPNSt15iterator_traitsISI_E10value_typeEPNSO_ISJ_E10value_typeEPSK_NS1_7vsmem_tEENKUlT_SI_SJ_SK_E_clISD_PxSD_S10_EESH_SX_SI_SJ_SK_EUlSX_E_NS1_11comp_targetILNS1_3genE8ELNS1_11target_archE1030ELNS1_3gpuE2ELNS1_3repE0EEENS1_48merge_mergepath_partition_config_static_selectorELNS0_4arch9wavefront6targetE1EEEvSJ_
	.globl	_ZN7rocprim17ROCPRIM_400000_NS6detail17trampoline_kernelINS0_14default_configENS1_38merge_sort_block_merge_config_selectorIxxEEZZNS1_27merge_sort_block_merge_implIS3_N6thrust23THRUST_200600_302600_NS6detail15normal_iteratorINS8_10device_ptrIxEEEESD_jNS1_19radix_merge_compareILb0ELb0ExNS0_19identity_decomposerEEEEE10hipError_tT0_T1_T2_jT3_P12ihipStream_tbPNSt15iterator_traitsISI_E10value_typeEPNSO_ISJ_E10value_typeEPSK_NS1_7vsmem_tEENKUlT_SI_SJ_SK_E_clISD_PxSD_S10_EESH_SX_SI_SJ_SK_EUlSX_E_NS1_11comp_targetILNS1_3genE8ELNS1_11target_archE1030ELNS1_3gpuE2ELNS1_3repE0EEENS1_48merge_mergepath_partition_config_static_selectorELNS0_4arch9wavefront6targetE1EEEvSJ_
	.p2align	8
	.type	_ZN7rocprim17ROCPRIM_400000_NS6detail17trampoline_kernelINS0_14default_configENS1_38merge_sort_block_merge_config_selectorIxxEEZZNS1_27merge_sort_block_merge_implIS3_N6thrust23THRUST_200600_302600_NS6detail15normal_iteratorINS8_10device_ptrIxEEEESD_jNS1_19radix_merge_compareILb0ELb0ExNS0_19identity_decomposerEEEEE10hipError_tT0_T1_T2_jT3_P12ihipStream_tbPNSt15iterator_traitsISI_E10value_typeEPNSO_ISJ_E10value_typeEPSK_NS1_7vsmem_tEENKUlT_SI_SJ_SK_E_clISD_PxSD_S10_EESH_SX_SI_SJ_SK_EUlSX_E_NS1_11comp_targetILNS1_3genE8ELNS1_11target_archE1030ELNS1_3gpuE2ELNS1_3repE0EEENS1_48merge_mergepath_partition_config_static_selectorELNS0_4arch9wavefront6targetE1EEEvSJ_,@function
_ZN7rocprim17ROCPRIM_400000_NS6detail17trampoline_kernelINS0_14default_configENS1_38merge_sort_block_merge_config_selectorIxxEEZZNS1_27merge_sort_block_merge_implIS3_N6thrust23THRUST_200600_302600_NS6detail15normal_iteratorINS8_10device_ptrIxEEEESD_jNS1_19radix_merge_compareILb0ELb0ExNS0_19identity_decomposerEEEEE10hipError_tT0_T1_T2_jT3_P12ihipStream_tbPNSt15iterator_traitsISI_E10value_typeEPNSO_ISJ_E10value_typeEPSK_NS1_7vsmem_tEENKUlT_SI_SJ_SK_E_clISD_PxSD_S10_EESH_SX_SI_SJ_SK_EUlSX_E_NS1_11comp_targetILNS1_3genE8ELNS1_11target_archE1030ELNS1_3gpuE2ELNS1_3repE0EEENS1_48merge_mergepath_partition_config_static_selectorELNS0_4arch9wavefront6targetE1EEEvSJ_: ; @_ZN7rocprim17ROCPRIM_400000_NS6detail17trampoline_kernelINS0_14default_configENS1_38merge_sort_block_merge_config_selectorIxxEEZZNS1_27merge_sort_block_merge_implIS3_N6thrust23THRUST_200600_302600_NS6detail15normal_iteratorINS8_10device_ptrIxEEEESD_jNS1_19radix_merge_compareILb0ELb0ExNS0_19identity_decomposerEEEEE10hipError_tT0_T1_T2_jT3_P12ihipStream_tbPNSt15iterator_traitsISI_E10value_typeEPNSO_ISJ_E10value_typeEPSK_NS1_7vsmem_tEENKUlT_SI_SJ_SK_E_clISD_PxSD_S10_EESH_SX_SI_SJ_SK_EUlSX_E_NS1_11comp_targetILNS1_3genE8ELNS1_11target_archE1030ELNS1_3gpuE2ELNS1_3repE0EEENS1_48merge_mergepath_partition_config_static_selectorELNS0_4arch9wavefront6targetE1EEEvSJ_
; %bb.0:
	.section	.rodata,"a",@progbits
	.p2align	6, 0x0
	.amdhsa_kernel _ZN7rocprim17ROCPRIM_400000_NS6detail17trampoline_kernelINS0_14default_configENS1_38merge_sort_block_merge_config_selectorIxxEEZZNS1_27merge_sort_block_merge_implIS3_N6thrust23THRUST_200600_302600_NS6detail15normal_iteratorINS8_10device_ptrIxEEEESD_jNS1_19radix_merge_compareILb0ELb0ExNS0_19identity_decomposerEEEEE10hipError_tT0_T1_T2_jT3_P12ihipStream_tbPNSt15iterator_traitsISI_E10value_typeEPNSO_ISJ_E10value_typeEPSK_NS1_7vsmem_tEENKUlT_SI_SJ_SK_E_clISD_PxSD_S10_EESH_SX_SI_SJ_SK_EUlSX_E_NS1_11comp_targetILNS1_3genE8ELNS1_11target_archE1030ELNS1_3gpuE2ELNS1_3repE0EEENS1_48merge_mergepath_partition_config_static_selectorELNS0_4arch9wavefront6targetE1EEEvSJ_
		.amdhsa_group_segment_fixed_size 0
		.amdhsa_private_segment_fixed_size 0
		.amdhsa_kernarg_size 40
		.amdhsa_user_sgpr_count 2
		.amdhsa_user_sgpr_dispatch_ptr 0
		.amdhsa_user_sgpr_queue_ptr 0
		.amdhsa_user_sgpr_kernarg_segment_ptr 1
		.amdhsa_user_sgpr_dispatch_id 0
		.amdhsa_user_sgpr_kernarg_preload_length 0
		.amdhsa_user_sgpr_kernarg_preload_offset 0
		.amdhsa_user_sgpr_private_segment_size 0
		.amdhsa_uses_dynamic_stack 0
		.amdhsa_enable_private_segment 0
		.amdhsa_system_sgpr_workgroup_id_x 1
		.amdhsa_system_sgpr_workgroup_id_y 0
		.amdhsa_system_sgpr_workgroup_id_z 0
		.amdhsa_system_sgpr_workgroup_info 0
		.amdhsa_system_vgpr_workitem_id 0
		.amdhsa_next_free_vgpr 1
		.amdhsa_next_free_sgpr 0
		.amdhsa_accum_offset 4
		.amdhsa_reserve_vcc 0
		.amdhsa_float_round_mode_32 0
		.amdhsa_float_round_mode_16_64 0
		.amdhsa_float_denorm_mode_32 3
		.amdhsa_float_denorm_mode_16_64 3
		.amdhsa_dx10_clamp 1
		.amdhsa_ieee_mode 1
		.amdhsa_fp16_overflow 0
		.amdhsa_tg_split 0
		.amdhsa_exception_fp_ieee_invalid_op 0
		.amdhsa_exception_fp_denorm_src 0
		.amdhsa_exception_fp_ieee_div_zero 0
		.amdhsa_exception_fp_ieee_overflow 0
		.amdhsa_exception_fp_ieee_underflow 0
		.amdhsa_exception_fp_ieee_inexact 0
		.amdhsa_exception_int_div_zero 0
	.end_amdhsa_kernel
	.section	.text._ZN7rocprim17ROCPRIM_400000_NS6detail17trampoline_kernelINS0_14default_configENS1_38merge_sort_block_merge_config_selectorIxxEEZZNS1_27merge_sort_block_merge_implIS3_N6thrust23THRUST_200600_302600_NS6detail15normal_iteratorINS8_10device_ptrIxEEEESD_jNS1_19radix_merge_compareILb0ELb0ExNS0_19identity_decomposerEEEEE10hipError_tT0_T1_T2_jT3_P12ihipStream_tbPNSt15iterator_traitsISI_E10value_typeEPNSO_ISJ_E10value_typeEPSK_NS1_7vsmem_tEENKUlT_SI_SJ_SK_E_clISD_PxSD_S10_EESH_SX_SI_SJ_SK_EUlSX_E_NS1_11comp_targetILNS1_3genE8ELNS1_11target_archE1030ELNS1_3gpuE2ELNS1_3repE0EEENS1_48merge_mergepath_partition_config_static_selectorELNS0_4arch9wavefront6targetE1EEEvSJ_,"axG",@progbits,_ZN7rocprim17ROCPRIM_400000_NS6detail17trampoline_kernelINS0_14default_configENS1_38merge_sort_block_merge_config_selectorIxxEEZZNS1_27merge_sort_block_merge_implIS3_N6thrust23THRUST_200600_302600_NS6detail15normal_iteratorINS8_10device_ptrIxEEEESD_jNS1_19radix_merge_compareILb0ELb0ExNS0_19identity_decomposerEEEEE10hipError_tT0_T1_T2_jT3_P12ihipStream_tbPNSt15iterator_traitsISI_E10value_typeEPNSO_ISJ_E10value_typeEPSK_NS1_7vsmem_tEENKUlT_SI_SJ_SK_E_clISD_PxSD_S10_EESH_SX_SI_SJ_SK_EUlSX_E_NS1_11comp_targetILNS1_3genE8ELNS1_11target_archE1030ELNS1_3gpuE2ELNS1_3repE0EEENS1_48merge_mergepath_partition_config_static_selectorELNS0_4arch9wavefront6targetE1EEEvSJ_,comdat
.Lfunc_end1096:
	.size	_ZN7rocprim17ROCPRIM_400000_NS6detail17trampoline_kernelINS0_14default_configENS1_38merge_sort_block_merge_config_selectorIxxEEZZNS1_27merge_sort_block_merge_implIS3_N6thrust23THRUST_200600_302600_NS6detail15normal_iteratorINS8_10device_ptrIxEEEESD_jNS1_19radix_merge_compareILb0ELb0ExNS0_19identity_decomposerEEEEE10hipError_tT0_T1_T2_jT3_P12ihipStream_tbPNSt15iterator_traitsISI_E10value_typeEPNSO_ISJ_E10value_typeEPSK_NS1_7vsmem_tEENKUlT_SI_SJ_SK_E_clISD_PxSD_S10_EESH_SX_SI_SJ_SK_EUlSX_E_NS1_11comp_targetILNS1_3genE8ELNS1_11target_archE1030ELNS1_3gpuE2ELNS1_3repE0EEENS1_48merge_mergepath_partition_config_static_selectorELNS0_4arch9wavefront6targetE1EEEvSJ_, .Lfunc_end1096-_ZN7rocprim17ROCPRIM_400000_NS6detail17trampoline_kernelINS0_14default_configENS1_38merge_sort_block_merge_config_selectorIxxEEZZNS1_27merge_sort_block_merge_implIS3_N6thrust23THRUST_200600_302600_NS6detail15normal_iteratorINS8_10device_ptrIxEEEESD_jNS1_19radix_merge_compareILb0ELb0ExNS0_19identity_decomposerEEEEE10hipError_tT0_T1_T2_jT3_P12ihipStream_tbPNSt15iterator_traitsISI_E10value_typeEPNSO_ISJ_E10value_typeEPSK_NS1_7vsmem_tEENKUlT_SI_SJ_SK_E_clISD_PxSD_S10_EESH_SX_SI_SJ_SK_EUlSX_E_NS1_11comp_targetILNS1_3genE8ELNS1_11target_archE1030ELNS1_3gpuE2ELNS1_3repE0EEENS1_48merge_mergepath_partition_config_static_selectorELNS0_4arch9wavefront6targetE1EEEvSJ_
                                        ; -- End function
	.set _ZN7rocprim17ROCPRIM_400000_NS6detail17trampoline_kernelINS0_14default_configENS1_38merge_sort_block_merge_config_selectorIxxEEZZNS1_27merge_sort_block_merge_implIS3_N6thrust23THRUST_200600_302600_NS6detail15normal_iteratorINS8_10device_ptrIxEEEESD_jNS1_19radix_merge_compareILb0ELb0ExNS0_19identity_decomposerEEEEE10hipError_tT0_T1_T2_jT3_P12ihipStream_tbPNSt15iterator_traitsISI_E10value_typeEPNSO_ISJ_E10value_typeEPSK_NS1_7vsmem_tEENKUlT_SI_SJ_SK_E_clISD_PxSD_S10_EESH_SX_SI_SJ_SK_EUlSX_E_NS1_11comp_targetILNS1_3genE8ELNS1_11target_archE1030ELNS1_3gpuE2ELNS1_3repE0EEENS1_48merge_mergepath_partition_config_static_selectorELNS0_4arch9wavefront6targetE1EEEvSJ_.num_vgpr, 0
	.set _ZN7rocprim17ROCPRIM_400000_NS6detail17trampoline_kernelINS0_14default_configENS1_38merge_sort_block_merge_config_selectorIxxEEZZNS1_27merge_sort_block_merge_implIS3_N6thrust23THRUST_200600_302600_NS6detail15normal_iteratorINS8_10device_ptrIxEEEESD_jNS1_19radix_merge_compareILb0ELb0ExNS0_19identity_decomposerEEEEE10hipError_tT0_T1_T2_jT3_P12ihipStream_tbPNSt15iterator_traitsISI_E10value_typeEPNSO_ISJ_E10value_typeEPSK_NS1_7vsmem_tEENKUlT_SI_SJ_SK_E_clISD_PxSD_S10_EESH_SX_SI_SJ_SK_EUlSX_E_NS1_11comp_targetILNS1_3genE8ELNS1_11target_archE1030ELNS1_3gpuE2ELNS1_3repE0EEENS1_48merge_mergepath_partition_config_static_selectorELNS0_4arch9wavefront6targetE1EEEvSJ_.num_agpr, 0
	.set _ZN7rocprim17ROCPRIM_400000_NS6detail17trampoline_kernelINS0_14default_configENS1_38merge_sort_block_merge_config_selectorIxxEEZZNS1_27merge_sort_block_merge_implIS3_N6thrust23THRUST_200600_302600_NS6detail15normal_iteratorINS8_10device_ptrIxEEEESD_jNS1_19radix_merge_compareILb0ELb0ExNS0_19identity_decomposerEEEEE10hipError_tT0_T1_T2_jT3_P12ihipStream_tbPNSt15iterator_traitsISI_E10value_typeEPNSO_ISJ_E10value_typeEPSK_NS1_7vsmem_tEENKUlT_SI_SJ_SK_E_clISD_PxSD_S10_EESH_SX_SI_SJ_SK_EUlSX_E_NS1_11comp_targetILNS1_3genE8ELNS1_11target_archE1030ELNS1_3gpuE2ELNS1_3repE0EEENS1_48merge_mergepath_partition_config_static_selectorELNS0_4arch9wavefront6targetE1EEEvSJ_.numbered_sgpr, 0
	.set _ZN7rocprim17ROCPRIM_400000_NS6detail17trampoline_kernelINS0_14default_configENS1_38merge_sort_block_merge_config_selectorIxxEEZZNS1_27merge_sort_block_merge_implIS3_N6thrust23THRUST_200600_302600_NS6detail15normal_iteratorINS8_10device_ptrIxEEEESD_jNS1_19radix_merge_compareILb0ELb0ExNS0_19identity_decomposerEEEEE10hipError_tT0_T1_T2_jT3_P12ihipStream_tbPNSt15iterator_traitsISI_E10value_typeEPNSO_ISJ_E10value_typeEPSK_NS1_7vsmem_tEENKUlT_SI_SJ_SK_E_clISD_PxSD_S10_EESH_SX_SI_SJ_SK_EUlSX_E_NS1_11comp_targetILNS1_3genE8ELNS1_11target_archE1030ELNS1_3gpuE2ELNS1_3repE0EEENS1_48merge_mergepath_partition_config_static_selectorELNS0_4arch9wavefront6targetE1EEEvSJ_.num_named_barrier, 0
	.set _ZN7rocprim17ROCPRIM_400000_NS6detail17trampoline_kernelINS0_14default_configENS1_38merge_sort_block_merge_config_selectorIxxEEZZNS1_27merge_sort_block_merge_implIS3_N6thrust23THRUST_200600_302600_NS6detail15normal_iteratorINS8_10device_ptrIxEEEESD_jNS1_19radix_merge_compareILb0ELb0ExNS0_19identity_decomposerEEEEE10hipError_tT0_T1_T2_jT3_P12ihipStream_tbPNSt15iterator_traitsISI_E10value_typeEPNSO_ISJ_E10value_typeEPSK_NS1_7vsmem_tEENKUlT_SI_SJ_SK_E_clISD_PxSD_S10_EESH_SX_SI_SJ_SK_EUlSX_E_NS1_11comp_targetILNS1_3genE8ELNS1_11target_archE1030ELNS1_3gpuE2ELNS1_3repE0EEENS1_48merge_mergepath_partition_config_static_selectorELNS0_4arch9wavefront6targetE1EEEvSJ_.private_seg_size, 0
	.set _ZN7rocprim17ROCPRIM_400000_NS6detail17trampoline_kernelINS0_14default_configENS1_38merge_sort_block_merge_config_selectorIxxEEZZNS1_27merge_sort_block_merge_implIS3_N6thrust23THRUST_200600_302600_NS6detail15normal_iteratorINS8_10device_ptrIxEEEESD_jNS1_19radix_merge_compareILb0ELb0ExNS0_19identity_decomposerEEEEE10hipError_tT0_T1_T2_jT3_P12ihipStream_tbPNSt15iterator_traitsISI_E10value_typeEPNSO_ISJ_E10value_typeEPSK_NS1_7vsmem_tEENKUlT_SI_SJ_SK_E_clISD_PxSD_S10_EESH_SX_SI_SJ_SK_EUlSX_E_NS1_11comp_targetILNS1_3genE8ELNS1_11target_archE1030ELNS1_3gpuE2ELNS1_3repE0EEENS1_48merge_mergepath_partition_config_static_selectorELNS0_4arch9wavefront6targetE1EEEvSJ_.uses_vcc, 0
	.set _ZN7rocprim17ROCPRIM_400000_NS6detail17trampoline_kernelINS0_14default_configENS1_38merge_sort_block_merge_config_selectorIxxEEZZNS1_27merge_sort_block_merge_implIS3_N6thrust23THRUST_200600_302600_NS6detail15normal_iteratorINS8_10device_ptrIxEEEESD_jNS1_19radix_merge_compareILb0ELb0ExNS0_19identity_decomposerEEEEE10hipError_tT0_T1_T2_jT3_P12ihipStream_tbPNSt15iterator_traitsISI_E10value_typeEPNSO_ISJ_E10value_typeEPSK_NS1_7vsmem_tEENKUlT_SI_SJ_SK_E_clISD_PxSD_S10_EESH_SX_SI_SJ_SK_EUlSX_E_NS1_11comp_targetILNS1_3genE8ELNS1_11target_archE1030ELNS1_3gpuE2ELNS1_3repE0EEENS1_48merge_mergepath_partition_config_static_selectorELNS0_4arch9wavefront6targetE1EEEvSJ_.uses_flat_scratch, 0
	.set _ZN7rocprim17ROCPRIM_400000_NS6detail17trampoline_kernelINS0_14default_configENS1_38merge_sort_block_merge_config_selectorIxxEEZZNS1_27merge_sort_block_merge_implIS3_N6thrust23THRUST_200600_302600_NS6detail15normal_iteratorINS8_10device_ptrIxEEEESD_jNS1_19radix_merge_compareILb0ELb0ExNS0_19identity_decomposerEEEEE10hipError_tT0_T1_T2_jT3_P12ihipStream_tbPNSt15iterator_traitsISI_E10value_typeEPNSO_ISJ_E10value_typeEPSK_NS1_7vsmem_tEENKUlT_SI_SJ_SK_E_clISD_PxSD_S10_EESH_SX_SI_SJ_SK_EUlSX_E_NS1_11comp_targetILNS1_3genE8ELNS1_11target_archE1030ELNS1_3gpuE2ELNS1_3repE0EEENS1_48merge_mergepath_partition_config_static_selectorELNS0_4arch9wavefront6targetE1EEEvSJ_.has_dyn_sized_stack, 0
	.set _ZN7rocprim17ROCPRIM_400000_NS6detail17trampoline_kernelINS0_14default_configENS1_38merge_sort_block_merge_config_selectorIxxEEZZNS1_27merge_sort_block_merge_implIS3_N6thrust23THRUST_200600_302600_NS6detail15normal_iteratorINS8_10device_ptrIxEEEESD_jNS1_19radix_merge_compareILb0ELb0ExNS0_19identity_decomposerEEEEE10hipError_tT0_T1_T2_jT3_P12ihipStream_tbPNSt15iterator_traitsISI_E10value_typeEPNSO_ISJ_E10value_typeEPSK_NS1_7vsmem_tEENKUlT_SI_SJ_SK_E_clISD_PxSD_S10_EESH_SX_SI_SJ_SK_EUlSX_E_NS1_11comp_targetILNS1_3genE8ELNS1_11target_archE1030ELNS1_3gpuE2ELNS1_3repE0EEENS1_48merge_mergepath_partition_config_static_selectorELNS0_4arch9wavefront6targetE1EEEvSJ_.has_recursion, 0
	.set _ZN7rocprim17ROCPRIM_400000_NS6detail17trampoline_kernelINS0_14default_configENS1_38merge_sort_block_merge_config_selectorIxxEEZZNS1_27merge_sort_block_merge_implIS3_N6thrust23THRUST_200600_302600_NS6detail15normal_iteratorINS8_10device_ptrIxEEEESD_jNS1_19radix_merge_compareILb0ELb0ExNS0_19identity_decomposerEEEEE10hipError_tT0_T1_T2_jT3_P12ihipStream_tbPNSt15iterator_traitsISI_E10value_typeEPNSO_ISJ_E10value_typeEPSK_NS1_7vsmem_tEENKUlT_SI_SJ_SK_E_clISD_PxSD_S10_EESH_SX_SI_SJ_SK_EUlSX_E_NS1_11comp_targetILNS1_3genE8ELNS1_11target_archE1030ELNS1_3gpuE2ELNS1_3repE0EEENS1_48merge_mergepath_partition_config_static_selectorELNS0_4arch9wavefront6targetE1EEEvSJ_.has_indirect_call, 0
	.section	.AMDGPU.csdata,"",@progbits
; Kernel info:
; codeLenInByte = 0
; TotalNumSgprs: 6
; NumVgprs: 0
; NumAgprs: 0
; TotalNumVgprs: 0
; ScratchSize: 0
; MemoryBound: 0
; FloatMode: 240
; IeeeMode: 1
; LDSByteSize: 0 bytes/workgroup (compile time only)
; SGPRBlocks: 0
; VGPRBlocks: 0
; NumSGPRsForWavesPerEU: 6
; NumVGPRsForWavesPerEU: 1
; AccumOffset: 4
; Occupancy: 8
; WaveLimiterHint : 0
; COMPUTE_PGM_RSRC2:SCRATCH_EN: 0
; COMPUTE_PGM_RSRC2:USER_SGPR: 2
; COMPUTE_PGM_RSRC2:TRAP_HANDLER: 0
; COMPUTE_PGM_RSRC2:TGID_X_EN: 1
; COMPUTE_PGM_RSRC2:TGID_Y_EN: 0
; COMPUTE_PGM_RSRC2:TGID_Z_EN: 0
; COMPUTE_PGM_RSRC2:TIDIG_COMP_CNT: 0
; COMPUTE_PGM_RSRC3_GFX90A:ACCUM_OFFSET: 0
; COMPUTE_PGM_RSRC3_GFX90A:TG_SPLIT: 0
	.section	.text._ZN7rocprim17ROCPRIM_400000_NS6detail17trampoline_kernelINS0_14default_configENS1_38merge_sort_block_merge_config_selectorIxxEEZZNS1_27merge_sort_block_merge_implIS3_N6thrust23THRUST_200600_302600_NS6detail15normal_iteratorINS8_10device_ptrIxEEEESD_jNS1_19radix_merge_compareILb0ELb0ExNS0_19identity_decomposerEEEEE10hipError_tT0_T1_T2_jT3_P12ihipStream_tbPNSt15iterator_traitsISI_E10value_typeEPNSO_ISJ_E10value_typeEPSK_NS1_7vsmem_tEENKUlT_SI_SJ_SK_E_clISD_PxSD_S10_EESH_SX_SI_SJ_SK_EUlSX_E0_NS1_11comp_targetILNS1_3genE0ELNS1_11target_archE4294967295ELNS1_3gpuE0ELNS1_3repE0EEENS1_38merge_mergepath_config_static_selectorELNS0_4arch9wavefront6targetE1EEEvSJ_,"axG",@progbits,_ZN7rocprim17ROCPRIM_400000_NS6detail17trampoline_kernelINS0_14default_configENS1_38merge_sort_block_merge_config_selectorIxxEEZZNS1_27merge_sort_block_merge_implIS3_N6thrust23THRUST_200600_302600_NS6detail15normal_iteratorINS8_10device_ptrIxEEEESD_jNS1_19radix_merge_compareILb0ELb0ExNS0_19identity_decomposerEEEEE10hipError_tT0_T1_T2_jT3_P12ihipStream_tbPNSt15iterator_traitsISI_E10value_typeEPNSO_ISJ_E10value_typeEPSK_NS1_7vsmem_tEENKUlT_SI_SJ_SK_E_clISD_PxSD_S10_EESH_SX_SI_SJ_SK_EUlSX_E0_NS1_11comp_targetILNS1_3genE0ELNS1_11target_archE4294967295ELNS1_3gpuE0ELNS1_3repE0EEENS1_38merge_mergepath_config_static_selectorELNS0_4arch9wavefront6targetE1EEEvSJ_,comdat
	.protected	_ZN7rocprim17ROCPRIM_400000_NS6detail17trampoline_kernelINS0_14default_configENS1_38merge_sort_block_merge_config_selectorIxxEEZZNS1_27merge_sort_block_merge_implIS3_N6thrust23THRUST_200600_302600_NS6detail15normal_iteratorINS8_10device_ptrIxEEEESD_jNS1_19radix_merge_compareILb0ELb0ExNS0_19identity_decomposerEEEEE10hipError_tT0_T1_T2_jT3_P12ihipStream_tbPNSt15iterator_traitsISI_E10value_typeEPNSO_ISJ_E10value_typeEPSK_NS1_7vsmem_tEENKUlT_SI_SJ_SK_E_clISD_PxSD_S10_EESH_SX_SI_SJ_SK_EUlSX_E0_NS1_11comp_targetILNS1_3genE0ELNS1_11target_archE4294967295ELNS1_3gpuE0ELNS1_3repE0EEENS1_38merge_mergepath_config_static_selectorELNS0_4arch9wavefront6targetE1EEEvSJ_ ; -- Begin function _ZN7rocprim17ROCPRIM_400000_NS6detail17trampoline_kernelINS0_14default_configENS1_38merge_sort_block_merge_config_selectorIxxEEZZNS1_27merge_sort_block_merge_implIS3_N6thrust23THRUST_200600_302600_NS6detail15normal_iteratorINS8_10device_ptrIxEEEESD_jNS1_19radix_merge_compareILb0ELb0ExNS0_19identity_decomposerEEEEE10hipError_tT0_T1_T2_jT3_P12ihipStream_tbPNSt15iterator_traitsISI_E10value_typeEPNSO_ISJ_E10value_typeEPSK_NS1_7vsmem_tEENKUlT_SI_SJ_SK_E_clISD_PxSD_S10_EESH_SX_SI_SJ_SK_EUlSX_E0_NS1_11comp_targetILNS1_3genE0ELNS1_11target_archE4294967295ELNS1_3gpuE0ELNS1_3repE0EEENS1_38merge_mergepath_config_static_selectorELNS0_4arch9wavefront6targetE1EEEvSJ_
	.globl	_ZN7rocprim17ROCPRIM_400000_NS6detail17trampoline_kernelINS0_14default_configENS1_38merge_sort_block_merge_config_selectorIxxEEZZNS1_27merge_sort_block_merge_implIS3_N6thrust23THRUST_200600_302600_NS6detail15normal_iteratorINS8_10device_ptrIxEEEESD_jNS1_19radix_merge_compareILb0ELb0ExNS0_19identity_decomposerEEEEE10hipError_tT0_T1_T2_jT3_P12ihipStream_tbPNSt15iterator_traitsISI_E10value_typeEPNSO_ISJ_E10value_typeEPSK_NS1_7vsmem_tEENKUlT_SI_SJ_SK_E_clISD_PxSD_S10_EESH_SX_SI_SJ_SK_EUlSX_E0_NS1_11comp_targetILNS1_3genE0ELNS1_11target_archE4294967295ELNS1_3gpuE0ELNS1_3repE0EEENS1_38merge_mergepath_config_static_selectorELNS0_4arch9wavefront6targetE1EEEvSJ_
	.p2align	8
	.type	_ZN7rocprim17ROCPRIM_400000_NS6detail17trampoline_kernelINS0_14default_configENS1_38merge_sort_block_merge_config_selectorIxxEEZZNS1_27merge_sort_block_merge_implIS3_N6thrust23THRUST_200600_302600_NS6detail15normal_iteratorINS8_10device_ptrIxEEEESD_jNS1_19radix_merge_compareILb0ELb0ExNS0_19identity_decomposerEEEEE10hipError_tT0_T1_T2_jT3_P12ihipStream_tbPNSt15iterator_traitsISI_E10value_typeEPNSO_ISJ_E10value_typeEPSK_NS1_7vsmem_tEENKUlT_SI_SJ_SK_E_clISD_PxSD_S10_EESH_SX_SI_SJ_SK_EUlSX_E0_NS1_11comp_targetILNS1_3genE0ELNS1_11target_archE4294967295ELNS1_3gpuE0ELNS1_3repE0EEENS1_38merge_mergepath_config_static_selectorELNS0_4arch9wavefront6targetE1EEEvSJ_,@function
_ZN7rocprim17ROCPRIM_400000_NS6detail17trampoline_kernelINS0_14default_configENS1_38merge_sort_block_merge_config_selectorIxxEEZZNS1_27merge_sort_block_merge_implIS3_N6thrust23THRUST_200600_302600_NS6detail15normal_iteratorINS8_10device_ptrIxEEEESD_jNS1_19radix_merge_compareILb0ELb0ExNS0_19identity_decomposerEEEEE10hipError_tT0_T1_T2_jT3_P12ihipStream_tbPNSt15iterator_traitsISI_E10value_typeEPNSO_ISJ_E10value_typeEPSK_NS1_7vsmem_tEENKUlT_SI_SJ_SK_E_clISD_PxSD_S10_EESH_SX_SI_SJ_SK_EUlSX_E0_NS1_11comp_targetILNS1_3genE0ELNS1_11target_archE4294967295ELNS1_3gpuE0ELNS1_3repE0EEENS1_38merge_mergepath_config_static_selectorELNS0_4arch9wavefront6targetE1EEEvSJ_: ; @_ZN7rocprim17ROCPRIM_400000_NS6detail17trampoline_kernelINS0_14default_configENS1_38merge_sort_block_merge_config_selectorIxxEEZZNS1_27merge_sort_block_merge_implIS3_N6thrust23THRUST_200600_302600_NS6detail15normal_iteratorINS8_10device_ptrIxEEEESD_jNS1_19radix_merge_compareILb0ELb0ExNS0_19identity_decomposerEEEEE10hipError_tT0_T1_T2_jT3_P12ihipStream_tbPNSt15iterator_traitsISI_E10value_typeEPNSO_ISJ_E10value_typeEPSK_NS1_7vsmem_tEENKUlT_SI_SJ_SK_E_clISD_PxSD_S10_EESH_SX_SI_SJ_SK_EUlSX_E0_NS1_11comp_targetILNS1_3genE0ELNS1_11target_archE4294967295ELNS1_3gpuE0ELNS1_3repE0EEENS1_38merge_mergepath_config_static_selectorELNS0_4arch9wavefront6targetE1EEEvSJ_
; %bb.0:
	s_load_dwordx2 s[28:29], s[0:1], 0x40
	s_load_dword s5, s[0:1], 0x30
	s_add_u32 s24, s0, 64
	s_addc_u32 s25, s1, 0
	s_waitcnt lgkmcnt(0)
	s_mul_i32 s4, s29, s4
	s_add_i32 s3, s4, s3
	s_mul_i32 s3, s3, s28
	s_add_i32 s26, s3, s2
	s_cmp_ge_u32 s26, s5
	s_cbranch_scc1 .LBB1097_39
; %bb.1:
	s_load_dwordx8 s[4:11], s[0:1], 0x10
	s_load_dwordx2 s[20:21], s[0:1], 0x8
	s_load_dwordx2 s[12:13], s[0:1], 0x38
	s_mov_b32 s27, 0
	s_mov_b32 s23, s27
	s_waitcnt lgkmcnt(0)
	s_lshr_b32 s29, s10, 10
	s_cmp_lg_u32 s26, s29
	s_cselect_b64 s[14:15], -1, 0
	s_lshl_b64 s[0:1], s[26:27], 2
	s_add_u32 s0, s12, s0
	s_addc_u32 s1, s13, s1
	s_load_dwordx2 s[16:17], s[0:1], 0x0
	s_lshr_b32 s0, s11, 9
	s_and_b32 s0, s0, 0x7ffffe
	s_sub_i32 s0, 0, s0
	s_and_b32 s1, s26, s0
	s_lshl_b32 s3, s1, 10
	s_lshl_b32 s12, s26, 10
	;; [unrolled: 1-line block ×3, first 2 shown]
	s_sub_i32 s13, s12, s3
	s_add_i32 s1, s1, s11
	s_add_i32 s13, s1, s13
	s_waitcnt lgkmcnt(0)
	s_sub_i32 s18, s13, s16
	s_sub_i32 s13, s13, s17
	;; [unrolled: 1-line block ×3, first 2 shown]
	s_min_u32 s22, s10, s18
	s_addk_i32 s13, 0x400
	s_or_b32 s0, s26, s0
	s_min_u32 s3, s10, s1
	s_add_i32 s1, s1, s11
	s_cmp_eq_u32 s0, -1
	s_cselect_b32 s0, s1, s13
	s_cselect_b32 s1, s3, s17
	s_mov_b32 s17, s27
	s_min_u32 s13, s0, s10
	s_sub_i32 s11, s1, s16
	s_lshl_b64 s[0:1], s[16:17], 3
	s_add_u32 s18, s20, s0
	s_addc_u32 s19, s21, s1
	s_lshl_b64 s[16:17], s[22:23], 3
	s_add_u32 s20, s20, s16
	s_addc_u32 s21, s21, s17
	s_cmp_lt_u32 s2, s28
	v_mov_b32_e32 v5, 0
	s_cselect_b32 s2, 12, 18
	global_load_dword v1, v5, s[24:25] offset:14
	s_add_u32 s2, s24, s2
	s_addc_u32 s3, s25, 0
	global_load_ushort v2, v5, s[2:3]
	s_cmp_eq_u32 s26, s29
	s_waitcnt vmcnt(1)
	v_lshrrev_b32_e32 v3, 16, v1
	v_and_b32_e32 v1, 0xffff, v1
	v_mul_lo_u32 v1, v1, v3
	s_waitcnt vmcnt(0)
	v_mul_lo_u32 v10, v1, v2
	v_lshlrev_b32_e32 v2, 3, v0
	v_add_u32_e32 v1, v10, v0
	s_cbranch_scc1 .LBB1097_3
; %bb.2:
	v_mov_b32_e32 v3, v5
	v_subrev_co_u32_e32 v4, vcc, s11, v0
	v_lshl_add_u64 v[6:7], s[18:19], 0, v[2:3]
	v_lshl_add_u64 v[4:5], v[4:5], 3, s[20:21]
	v_cndmask_b32_e32 v5, v5, v7, vcc
	v_cndmask_b32_e32 v4, v4, v6, vcc
	global_load_dwordx2 v[4:5], v[4:5], off
	v_add_u32_e32 v8, v10, v0
	s_mov_b64 s[2:3], -1
	s_sub_i32 s13, s13, s22
	s_cbranch_execz .LBB1097_4
	s_branch .LBB1097_7
.LBB1097_3:
	s_mov_b64 s[2:3], 0
                                        ; implicit-def: $vgpr8
                                        ; implicit-def: $vgpr4_vgpr5
	s_sub_i32 s13, s13, s22
.LBB1097_4:
	s_add_i32 s22, s13, s11
	v_cmp_gt_u32_e32 vcc, s22, v0
	s_waitcnt vmcnt(0)
	v_mov_b64_e32 v[4:5], 0
	s_and_saveexec_b64 s[2:3], vcc
	s_cbranch_execz .LBB1097_6
; %bb.5:
	v_mov_b32_e32 v3, 0
	v_subrev_co_u32_e32 v6, vcc, s11, v0
	v_mov_b32_e32 v7, v3
	v_lshl_add_u64 v[4:5], s[18:19], 0, v[2:3]
	v_lshl_add_u64 v[6:7], v[6:7], 3, s[20:21]
	v_cndmask_b32_e32 v5, v7, v5, vcc
	v_cndmask_b32_e32 v4, v6, v4, vcc
	global_load_dwordx2 v[4:5], v[4:5], off
.LBB1097_6:
	s_or_b64 exec, exec, s[2:3]
	v_add_u32_e32 v8, v10, v0
	v_cmp_gt_u32_e64 s[2:3], s22, v8
.LBB1097_7:
	v_mov_b64_e32 v[6:7], 0
	s_and_saveexec_b64 s[22:23], s[2:3]
	s_cbranch_execz .LBB1097_9
; %bb.8:
	v_mov_b32_e32 v7, 0
	v_mov_b32_e32 v9, v7
	v_subrev_co_u32_e32 v6, vcc, s11, v8
	v_lshl_add_u64 v[12:13], v[8:9], 3, s[18:19]
	v_lshl_add_u64 v[6:7], v[6:7], 3, s[20:21]
	v_cndmask_b32_e32 v7, v7, v13, vcc
	v_cndmask_b32_e32 v6, v6, v12, vcc
	global_load_dwordx2 v[6:7], v[6:7], off
.LBB1097_9:
	s_or_b64 exec, exec, s[22:23]
	s_add_u32 s0, s6, s0
	s_addc_u32 s1, s7, s1
	s_add_u32 s2, s6, s16
	v_mov_b32_e32 v9, 0
	s_addc_u32 s3, s7, s17
	s_andn2_b64 vcc, exec, s[14:15]
	s_waitcnt vmcnt(0)
	ds_write2st64_b64 v2, v[4:5], v[6:7] offset1:8
	s_cbranch_vccnz .LBB1097_11
; %bb.10:
	v_mov_b32_e32 v3, v9
	v_subrev_co_u32_e32 v8, vcc, s11, v0
	v_lshl_add_u64 v[12:13], s[0:1], 0, v[2:3]
	v_lshl_add_u64 v[8:9], v[8:9], 3, s[2:3]
	v_cndmask_b32_e32 v9, v9, v13, vcc
	v_cndmask_b32_e32 v8, v8, v12, vcc
	global_load_dwordx2 v[8:9], v[8:9], off
	s_add_i32 s18, s13, s11
	v_add_u32_e32 v12, v10, v0
	s_mov_b64 s[6:7], -1
	v_mov_b32_e32 v3, s18
	s_cbranch_execz .LBB1097_12
	s_branch .LBB1097_15
.LBB1097_11:
	s_mov_b64 s[6:7], 0
                                        ; implicit-def: $vgpr12
                                        ; implicit-def: $vgpr8_vgpr9
                                        ; implicit-def: $vgpr3
.LBB1097_12:
	s_add_i32 s16, s13, s11
	v_cmp_gt_u32_e32 vcc, s16, v0
	s_waitcnt vmcnt(0)
	v_mov_b64_e32 v[8:9], 0
	s_and_saveexec_b64 s[6:7], vcc
	s_cbranch_execz .LBB1097_14
; %bb.13:
	v_mov_b32_e32 v3, 0
	v_subrev_co_u32_e32 v10, vcc, s11, v0
	v_mov_b32_e32 v11, v3
	v_lshl_add_u64 v[8:9], s[0:1], 0, v[2:3]
	v_lshl_add_u64 v[10:11], v[10:11], 3, s[2:3]
	v_cndmask_b32_e32 v9, v11, v9, vcc
	v_cndmask_b32_e32 v8, v10, v8, vcc
	global_load_dwordx2 v[8:9], v[8:9], off
.LBB1097_14:
	s_or_b64 exec, exec, s[6:7]
	v_cmp_gt_u32_e64 s[6:7], s16, v1
	v_mov_b32_e32 v3, s16
	v_mov_b32_e32 v12, v1
.LBB1097_15:
	v_mov_b64_e32 v[10:11], 0
	s_and_saveexec_b64 s[16:17], s[6:7]
	s_cbranch_execz .LBB1097_17
; %bb.16:
	v_mov_b32_e32 v11, 0
	v_mov_b32_e32 v13, v11
	v_subrev_co_u32_e32 v10, vcc, s11, v12
	v_lshl_add_u64 v[14:15], v[12:13], 3, s[0:1]
	v_lshl_add_u64 v[10:11], v[10:11], 3, s[2:3]
	v_cndmask_b32_e32 v11, v11, v15, vcc
	v_cndmask_b32_e32 v10, v10, v14, vcc
	global_load_dwordx2 v[10:11], v[10:11], off
.LBB1097_17:
	s_or_b64 exec, exec, s[16:17]
	v_lshlrev_b32_e32 v1, 1, v0
	v_min_u32_e32 v12, v3, v1
	v_sub_u32_e64 v14, v12, s13 clamp
	v_min_u32_e32 v13, s11, v12
	v_cmp_lt_u32_e32 vcc, v14, v13
	s_waitcnt lgkmcnt(0)
	s_barrier
	s_and_saveexec_b64 s[0:1], vcc
	s_cbranch_execz .LBB1097_21
; %bb.18:
	v_lshlrev_b32_e32 v15, 3, v12
	v_lshl_add_u32 v15, s11, 3, v15
	s_mov_b64 s[2:3], 0
.LBB1097_19:                            ; =>This Inner Loop Header: Depth=1
	v_add_u32_e32 v16, v13, v14
	v_lshrrev_b32_e32 v20, 1, v16
	v_not_b32_e32 v16, v20
	v_lshlrev_b32_e32 v17, 3, v20
	v_lshl_add_u32 v18, v16, 3, v15
	ds_read_b64 v[16:17], v17
	ds_read_b64 v[18:19], v18
	v_add_u32_e32 v21, 1, v20
	s_waitcnt lgkmcnt(0)
	v_cmp_gt_i64_e32 vcc, v[16:17], v[18:19]
	s_nop 1
	v_cndmask_b32_e32 v13, v13, v20, vcc
	v_cndmask_b32_e32 v14, v21, v14, vcc
	v_cmp_ge_u32_e32 vcc, v14, v13
	s_or_b64 s[2:3], vcc, s[2:3]
	s_andn2_b64 exec, exec, s[2:3]
	s_cbranch_execnz .LBB1097_19
; %bb.20:
	s_or_b64 exec, exec, s[2:3]
.LBB1097_21:
	s_or_b64 exec, exec, s[0:1]
	v_sub_u32_e32 v12, v12, v14
	v_add_u32_e32 v15, s11, v12
	v_cmp_ge_u32_e32 vcc, s11, v14
	v_cmp_le_u32_e64 s[0:1], v15, v3
	s_or_b64 s[0:1], vcc, s[0:1]
	v_mov_b32_e32 v12, 0
	v_mov_b32_e32 v16, 0
	s_and_saveexec_b64 s[6:7], s[0:1]
	s_cbranch_execz .LBB1097_27
; %bb.22:
	v_cmp_gt_u32_e32 vcc, s11, v14
                                        ; implicit-def: $vgpr6_vgpr7
	s_and_saveexec_b64 s[0:1], vcc
; %bb.23:
	v_lshlrev_b32_e32 v4, 3, v14
	ds_read_b64 v[6:7], v4
; %bb.24:
	s_or_b64 exec, exec, s[0:1]
	v_cmp_ge_u32_e64 s[0:1], v15, v3
	v_cmp_lt_u32_e64 s[2:3], v15, v3
                                        ; implicit-def: $vgpr12_vgpr13
	s_and_saveexec_b64 s[16:17], s[2:3]
; %bb.25:
	v_lshlrev_b32_e32 v4, 3, v15
	ds_read_b64 v[12:13], v4
; %bb.26:
	s_or_b64 exec, exec, s[16:17]
	s_waitcnt lgkmcnt(0)
	v_cmp_le_i64_e64 s[2:3], v[6:7], v[12:13]
	s_and_b64 s[2:3], vcc, s[2:3]
	s_or_b64 vcc, s[0:1], s[2:3]
	v_mov_b32_e32 v4, s11
	v_cndmask_b32_e32 v16, v15, v14, vcc
	v_cndmask_b32_e32 v4, v3, v4, vcc
	v_add_u32_e32 v17, 1, v16
	v_add_u32_e32 v4, -1, v4
	v_min_u32_e32 v4, v17, v4
	v_lshlrev_b32_e32 v4, 3, v4
	ds_read_b64 v[18:19], v4
	v_cndmask_b32_e32 v5, v13, v7, vcc
	v_cndmask_b32_e32 v4, v12, v6, vcc
	s_waitcnt lgkmcnt(0)
	v_cndmask_b32_e32 v21, v19, v13, vcc
	v_cndmask_b32_e32 v20, v18, v12, vcc
	;; [unrolled: 1-line block ×6, first 2 shown]
	v_cmp_gt_u32_e64 s[0:1], s11, v13
	v_cmp_le_i64_e64 s[2:3], v[6:7], v[20:21]
	v_cmp_ge_u32_e32 vcc, v12, v3
	s_and_b64 s[0:1], s[0:1], s[2:3]
	s_or_b64 vcc, vcc, s[0:1]
	v_cndmask_b32_e32 v12, v12, v13, vcc
	v_cndmask_b32_e32 v7, v21, v7, vcc
	;; [unrolled: 1-line block ×3, first 2 shown]
.LBB1097_27:
	s_or_b64 exec, exec, s[6:7]
	s_barrier
	s_waitcnt vmcnt(0)
	ds_write2st64_b64 v2, v[8:9], v[10:11] offset1:8
	v_lshlrev_b32_e32 v3, 3, v16
	v_lshlrev_b32_e32 v10, 3, v12
	s_waitcnt lgkmcnt(0)
	s_barrier
	ds_read_b64 v[8:9], v3
	ds_read_b64 v[10:11], v10
	v_lshrrev_b32_e32 v3, 1, v0
	s_mov_b32 s13, 0
	v_and_b32_e32 v3, 0xf8, v3
	v_or_b32_e32 v14, 0x200, v0
	s_lshl_b64 s[2:3], s[12:13], 3
	v_lshl_add_u32 v12, v1, 3, v3
	v_lshrrev_b32_e32 v3, 2, v14
	s_add_u32 s0, s4, s2
	v_lshrrev_b32_e32 v1, 2, v0
	v_and_b32_e32 v3, 0xf8, v3
	s_addc_u32 s1, s5, s3
	v_and_b32_e32 v1, 0x78, v1
	v_add_u32_e32 v13, v3, v2
	v_mov_b32_e32 v3, 0
	s_waitcnt lgkmcnt(0)
	s_barrier
	s_barrier
	ds_write2_b64 v12, v[4:5], v[6:7] offset1:1
	v_add_u32_e32 v1, v1, v2
	v_lshl_add_u64 v[4:5], s[0:1], 0, v[2:3]
	s_and_b64 vcc, exec, s[14:15]
	s_waitcnt lgkmcnt(0)
	s_cbranch_vccz .LBB1097_29
; %bb.28:
	s_barrier
	ds_read_b64 v[6:7], v1
	ds_read_b64 v[16:17], v13 offset:4096
	s_add_u32 s0, s8, s2
	s_addc_u32 s1, s9, s3
	s_mov_b64 s[4:5], -1
	s_waitcnt lgkmcnt(1)
	global_store_dwordx2 v[4:5], v[6:7], off
	v_add_co_u32_e32 v6, vcc, 0x1000, v4
	s_nop 1
	v_addc_co_u32_e32 v7, vcc, 0, v5, vcc
	s_waitcnt lgkmcnt(0)
	global_store_dwordx2 v[6:7], v[16:17], off
	s_barrier
	ds_write2_b64 v12, v[8:9], v[10:11] offset1:1
	s_waitcnt lgkmcnt(0)
	s_barrier
	ds_read_b64 v[16:17], v1
	ds_read_b64 v[6:7], v13 offset:4096
	s_waitcnt lgkmcnt(1)
	global_store_dwordx2 v2, v[16:17], s[0:1]
	s_cbranch_execz .LBB1097_30
	s_branch .LBB1097_37
.LBB1097_29:
	s_mov_b64 s[4:5], 0
                                        ; implicit-def: $vgpr6_vgpr7
.LBB1097_30:
	s_barrier
	s_waitcnt lgkmcnt(0)
	ds_read_b64 v[6:7], v13 offset:4096
	s_sub_i32 s6, s10, s12
	v_cmp_gt_u32_e64 s[0:1], s6, v0
	s_and_saveexec_b64 s[4:5], s[0:1]
	s_cbranch_execz .LBB1097_32
; %bb.31:
	ds_read_b64 v[16:17], v1
	s_waitcnt lgkmcnt(0)
	global_store_dwordx2 v[4:5], v[16:17], off
.LBB1097_32:
	s_or_b64 exec, exec, s[4:5]
	v_cmp_gt_u32_e64 s[4:5], s6, v14
	s_and_saveexec_b64 s[6:7], s[4:5]
	s_cbranch_execz .LBB1097_34
; %bb.33:
	v_add_co_u32_e32 v4, vcc, 0x1000, v4
	s_nop 1
	v_addc_co_u32_e32 v5, vcc, 0, v5, vcc
	s_waitcnt lgkmcnt(0)
	global_store_dwordx2 v[4:5], v[6:7], off
.LBB1097_34:
	s_or_b64 exec, exec, s[6:7]
	s_waitcnt lgkmcnt(0)
	s_barrier
	ds_write2_b64 v12, v[8:9], v[10:11] offset1:1
	s_waitcnt lgkmcnt(0)
	s_barrier
	ds_read_b64 v[6:7], v13 offset:4096
	s_and_saveexec_b64 s[6:7], s[0:1]
	s_cbranch_execz .LBB1097_36
; %bb.35:
	ds_read_b64 v[0:1], v1
	s_add_u32 s0, s8, s2
	s_addc_u32 s1, s9, s3
	s_waitcnt lgkmcnt(0)
	global_store_dwordx2 v2, v[0:1], s[0:1]
.LBB1097_36:
	s_or_b64 exec, exec, s[6:7]
.LBB1097_37:
	s_and_saveexec_b64 s[0:1], s[4:5]
	s_cbranch_execz .LBB1097_39
; %bb.38:
	s_add_u32 s0, s8, s2
	s_addc_u32 s1, s9, s3
	v_mov_b32_e32 v3, 0
	v_lshl_add_u64 v[0:1], s[0:1], 0, v[2:3]
	v_add_co_u32_e32 v0, vcc, 0x1000, v0
	s_nop 1
	v_addc_co_u32_e32 v1, vcc, 0, v1, vcc
	s_waitcnt lgkmcnt(0)
	global_store_dwordx2 v[0:1], v[6:7], off
.LBB1097_39:
	s_endpgm
	.section	.rodata,"a",@progbits
	.p2align	6, 0x0
	.amdhsa_kernel _ZN7rocprim17ROCPRIM_400000_NS6detail17trampoline_kernelINS0_14default_configENS1_38merge_sort_block_merge_config_selectorIxxEEZZNS1_27merge_sort_block_merge_implIS3_N6thrust23THRUST_200600_302600_NS6detail15normal_iteratorINS8_10device_ptrIxEEEESD_jNS1_19radix_merge_compareILb0ELb0ExNS0_19identity_decomposerEEEEE10hipError_tT0_T1_T2_jT3_P12ihipStream_tbPNSt15iterator_traitsISI_E10value_typeEPNSO_ISJ_E10value_typeEPSK_NS1_7vsmem_tEENKUlT_SI_SJ_SK_E_clISD_PxSD_S10_EESH_SX_SI_SJ_SK_EUlSX_E0_NS1_11comp_targetILNS1_3genE0ELNS1_11target_archE4294967295ELNS1_3gpuE0ELNS1_3repE0EEENS1_38merge_mergepath_config_static_selectorELNS0_4arch9wavefront6targetE1EEEvSJ_
		.amdhsa_group_segment_fixed_size 8448
		.amdhsa_private_segment_fixed_size 0
		.amdhsa_kernarg_size 320
		.amdhsa_user_sgpr_count 2
		.amdhsa_user_sgpr_dispatch_ptr 0
		.amdhsa_user_sgpr_queue_ptr 0
		.amdhsa_user_sgpr_kernarg_segment_ptr 1
		.amdhsa_user_sgpr_dispatch_id 0
		.amdhsa_user_sgpr_kernarg_preload_length 0
		.amdhsa_user_sgpr_kernarg_preload_offset 0
		.amdhsa_user_sgpr_private_segment_size 0
		.amdhsa_uses_dynamic_stack 0
		.amdhsa_enable_private_segment 0
		.amdhsa_system_sgpr_workgroup_id_x 1
		.amdhsa_system_sgpr_workgroup_id_y 1
		.amdhsa_system_sgpr_workgroup_id_z 1
		.amdhsa_system_sgpr_workgroup_info 0
		.amdhsa_system_vgpr_workitem_id 0
		.amdhsa_next_free_vgpr 22
		.amdhsa_next_free_sgpr 30
		.amdhsa_accum_offset 24
		.amdhsa_reserve_vcc 1
		.amdhsa_float_round_mode_32 0
		.amdhsa_float_round_mode_16_64 0
		.amdhsa_float_denorm_mode_32 3
		.amdhsa_float_denorm_mode_16_64 3
		.amdhsa_dx10_clamp 1
		.amdhsa_ieee_mode 1
		.amdhsa_fp16_overflow 0
		.amdhsa_tg_split 0
		.amdhsa_exception_fp_ieee_invalid_op 0
		.amdhsa_exception_fp_denorm_src 0
		.amdhsa_exception_fp_ieee_div_zero 0
		.amdhsa_exception_fp_ieee_overflow 0
		.amdhsa_exception_fp_ieee_underflow 0
		.amdhsa_exception_fp_ieee_inexact 0
		.amdhsa_exception_int_div_zero 0
	.end_amdhsa_kernel
	.section	.text._ZN7rocprim17ROCPRIM_400000_NS6detail17trampoline_kernelINS0_14default_configENS1_38merge_sort_block_merge_config_selectorIxxEEZZNS1_27merge_sort_block_merge_implIS3_N6thrust23THRUST_200600_302600_NS6detail15normal_iteratorINS8_10device_ptrIxEEEESD_jNS1_19radix_merge_compareILb0ELb0ExNS0_19identity_decomposerEEEEE10hipError_tT0_T1_T2_jT3_P12ihipStream_tbPNSt15iterator_traitsISI_E10value_typeEPNSO_ISJ_E10value_typeEPSK_NS1_7vsmem_tEENKUlT_SI_SJ_SK_E_clISD_PxSD_S10_EESH_SX_SI_SJ_SK_EUlSX_E0_NS1_11comp_targetILNS1_3genE0ELNS1_11target_archE4294967295ELNS1_3gpuE0ELNS1_3repE0EEENS1_38merge_mergepath_config_static_selectorELNS0_4arch9wavefront6targetE1EEEvSJ_,"axG",@progbits,_ZN7rocprim17ROCPRIM_400000_NS6detail17trampoline_kernelINS0_14default_configENS1_38merge_sort_block_merge_config_selectorIxxEEZZNS1_27merge_sort_block_merge_implIS3_N6thrust23THRUST_200600_302600_NS6detail15normal_iteratorINS8_10device_ptrIxEEEESD_jNS1_19radix_merge_compareILb0ELb0ExNS0_19identity_decomposerEEEEE10hipError_tT0_T1_T2_jT3_P12ihipStream_tbPNSt15iterator_traitsISI_E10value_typeEPNSO_ISJ_E10value_typeEPSK_NS1_7vsmem_tEENKUlT_SI_SJ_SK_E_clISD_PxSD_S10_EESH_SX_SI_SJ_SK_EUlSX_E0_NS1_11comp_targetILNS1_3genE0ELNS1_11target_archE4294967295ELNS1_3gpuE0ELNS1_3repE0EEENS1_38merge_mergepath_config_static_selectorELNS0_4arch9wavefront6targetE1EEEvSJ_,comdat
.Lfunc_end1097:
	.size	_ZN7rocprim17ROCPRIM_400000_NS6detail17trampoline_kernelINS0_14default_configENS1_38merge_sort_block_merge_config_selectorIxxEEZZNS1_27merge_sort_block_merge_implIS3_N6thrust23THRUST_200600_302600_NS6detail15normal_iteratorINS8_10device_ptrIxEEEESD_jNS1_19radix_merge_compareILb0ELb0ExNS0_19identity_decomposerEEEEE10hipError_tT0_T1_T2_jT3_P12ihipStream_tbPNSt15iterator_traitsISI_E10value_typeEPNSO_ISJ_E10value_typeEPSK_NS1_7vsmem_tEENKUlT_SI_SJ_SK_E_clISD_PxSD_S10_EESH_SX_SI_SJ_SK_EUlSX_E0_NS1_11comp_targetILNS1_3genE0ELNS1_11target_archE4294967295ELNS1_3gpuE0ELNS1_3repE0EEENS1_38merge_mergepath_config_static_selectorELNS0_4arch9wavefront6targetE1EEEvSJ_, .Lfunc_end1097-_ZN7rocprim17ROCPRIM_400000_NS6detail17trampoline_kernelINS0_14default_configENS1_38merge_sort_block_merge_config_selectorIxxEEZZNS1_27merge_sort_block_merge_implIS3_N6thrust23THRUST_200600_302600_NS6detail15normal_iteratorINS8_10device_ptrIxEEEESD_jNS1_19radix_merge_compareILb0ELb0ExNS0_19identity_decomposerEEEEE10hipError_tT0_T1_T2_jT3_P12ihipStream_tbPNSt15iterator_traitsISI_E10value_typeEPNSO_ISJ_E10value_typeEPSK_NS1_7vsmem_tEENKUlT_SI_SJ_SK_E_clISD_PxSD_S10_EESH_SX_SI_SJ_SK_EUlSX_E0_NS1_11comp_targetILNS1_3genE0ELNS1_11target_archE4294967295ELNS1_3gpuE0ELNS1_3repE0EEENS1_38merge_mergepath_config_static_selectorELNS0_4arch9wavefront6targetE1EEEvSJ_
                                        ; -- End function
	.set _ZN7rocprim17ROCPRIM_400000_NS6detail17trampoline_kernelINS0_14default_configENS1_38merge_sort_block_merge_config_selectorIxxEEZZNS1_27merge_sort_block_merge_implIS3_N6thrust23THRUST_200600_302600_NS6detail15normal_iteratorINS8_10device_ptrIxEEEESD_jNS1_19radix_merge_compareILb0ELb0ExNS0_19identity_decomposerEEEEE10hipError_tT0_T1_T2_jT3_P12ihipStream_tbPNSt15iterator_traitsISI_E10value_typeEPNSO_ISJ_E10value_typeEPSK_NS1_7vsmem_tEENKUlT_SI_SJ_SK_E_clISD_PxSD_S10_EESH_SX_SI_SJ_SK_EUlSX_E0_NS1_11comp_targetILNS1_3genE0ELNS1_11target_archE4294967295ELNS1_3gpuE0ELNS1_3repE0EEENS1_38merge_mergepath_config_static_selectorELNS0_4arch9wavefront6targetE1EEEvSJ_.num_vgpr, 22
	.set _ZN7rocprim17ROCPRIM_400000_NS6detail17trampoline_kernelINS0_14default_configENS1_38merge_sort_block_merge_config_selectorIxxEEZZNS1_27merge_sort_block_merge_implIS3_N6thrust23THRUST_200600_302600_NS6detail15normal_iteratorINS8_10device_ptrIxEEEESD_jNS1_19radix_merge_compareILb0ELb0ExNS0_19identity_decomposerEEEEE10hipError_tT0_T1_T2_jT3_P12ihipStream_tbPNSt15iterator_traitsISI_E10value_typeEPNSO_ISJ_E10value_typeEPSK_NS1_7vsmem_tEENKUlT_SI_SJ_SK_E_clISD_PxSD_S10_EESH_SX_SI_SJ_SK_EUlSX_E0_NS1_11comp_targetILNS1_3genE0ELNS1_11target_archE4294967295ELNS1_3gpuE0ELNS1_3repE0EEENS1_38merge_mergepath_config_static_selectorELNS0_4arch9wavefront6targetE1EEEvSJ_.num_agpr, 0
	.set _ZN7rocprim17ROCPRIM_400000_NS6detail17trampoline_kernelINS0_14default_configENS1_38merge_sort_block_merge_config_selectorIxxEEZZNS1_27merge_sort_block_merge_implIS3_N6thrust23THRUST_200600_302600_NS6detail15normal_iteratorINS8_10device_ptrIxEEEESD_jNS1_19radix_merge_compareILb0ELb0ExNS0_19identity_decomposerEEEEE10hipError_tT0_T1_T2_jT3_P12ihipStream_tbPNSt15iterator_traitsISI_E10value_typeEPNSO_ISJ_E10value_typeEPSK_NS1_7vsmem_tEENKUlT_SI_SJ_SK_E_clISD_PxSD_S10_EESH_SX_SI_SJ_SK_EUlSX_E0_NS1_11comp_targetILNS1_3genE0ELNS1_11target_archE4294967295ELNS1_3gpuE0ELNS1_3repE0EEENS1_38merge_mergepath_config_static_selectorELNS0_4arch9wavefront6targetE1EEEvSJ_.numbered_sgpr, 30
	.set _ZN7rocprim17ROCPRIM_400000_NS6detail17trampoline_kernelINS0_14default_configENS1_38merge_sort_block_merge_config_selectorIxxEEZZNS1_27merge_sort_block_merge_implIS3_N6thrust23THRUST_200600_302600_NS6detail15normal_iteratorINS8_10device_ptrIxEEEESD_jNS1_19radix_merge_compareILb0ELb0ExNS0_19identity_decomposerEEEEE10hipError_tT0_T1_T2_jT3_P12ihipStream_tbPNSt15iterator_traitsISI_E10value_typeEPNSO_ISJ_E10value_typeEPSK_NS1_7vsmem_tEENKUlT_SI_SJ_SK_E_clISD_PxSD_S10_EESH_SX_SI_SJ_SK_EUlSX_E0_NS1_11comp_targetILNS1_3genE0ELNS1_11target_archE4294967295ELNS1_3gpuE0ELNS1_3repE0EEENS1_38merge_mergepath_config_static_selectorELNS0_4arch9wavefront6targetE1EEEvSJ_.num_named_barrier, 0
	.set _ZN7rocprim17ROCPRIM_400000_NS6detail17trampoline_kernelINS0_14default_configENS1_38merge_sort_block_merge_config_selectorIxxEEZZNS1_27merge_sort_block_merge_implIS3_N6thrust23THRUST_200600_302600_NS6detail15normal_iteratorINS8_10device_ptrIxEEEESD_jNS1_19radix_merge_compareILb0ELb0ExNS0_19identity_decomposerEEEEE10hipError_tT0_T1_T2_jT3_P12ihipStream_tbPNSt15iterator_traitsISI_E10value_typeEPNSO_ISJ_E10value_typeEPSK_NS1_7vsmem_tEENKUlT_SI_SJ_SK_E_clISD_PxSD_S10_EESH_SX_SI_SJ_SK_EUlSX_E0_NS1_11comp_targetILNS1_3genE0ELNS1_11target_archE4294967295ELNS1_3gpuE0ELNS1_3repE0EEENS1_38merge_mergepath_config_static_selectorELNS0_4arch9wavefront6targetE1EEEvSJ_.private_seg_size, 0
	.set _ZN7rocprim17ROCPRIM_400000_NS6detail17trampoline_kernelINS0_14default_configENS1_38merge_sort_block_merge_config_selectorIxxEEZZNS1_27merge_sort_block_merge_implIS3_N6thrust23THRUST_200600_302600_NS6detail15normal_iteratorINS8_10device_ptrIxEEEESD_jNS1_19radix_merge_compareILb0ELb0ExNS0_19identity_decomposerEEEEE10hipError_tT0_T1_T2_jT3_P12ihipStream_tbPNSt15iterator_traitsISI_E10value_typeEPNSO_ISJ_E10value_typeEPSK_NS1_7vsmem_tEENKUlT_SI_SJ_SK_E_clISD_PxSD_S10_EESH_SX_SI_SJ_SK_EUlSX_E0_NS1_11comp_targetILNS1_3genE0ELNS1_11target_archE4294967295ELNS1_3gpuE0ELNS1_3repE0EEENS1_38merge_mergepath_config_static_selectorELNS0_4arch9wavefront6targetE1EEEvSJ_.uses_vcc, 1
	.set _ZN7rocprim17ROCPRIM_400000_NS6detail17trampoline_kernelINS0_14default_configENS1_38merge_sort_block_merge_config_selectorIxxEEZZNS1_27merge_sort_block_merge_implIS3_N6thrust23THRUST_200600_302600_NS6detail15normal_iteratorINS8_10device_ptrIxEEEESD_jNS1_19radix_merge_compareILb0ELb0ExNS0_19identity_decomposerEEEEE10hipError_tT0_T1_T2_jT3_P12ihipStream_tbPNSt15iterator_traitsISI_E10value_typeEPNSO_ISJ_E10value_typeEPSK_NS1_7vsmem_tEENKUlT_SI_SJ_SK_E_clISD_PxSD_S10_EESH_SX_SI_SJ_SK_EUlSX_E0_NS1_11comp_targetILNS1_3genE0ELNS1_11target_archE4294967295ELNS1_3gpuE0ELNS1_3repE0EEENS1_38merge_mergepath_config_static_selectorELNS0_4arch9wavefront6targetE1EEEvSJ_.uses_flat_scratch, 0
	.set _ZN7rocprim17ROCPRIM_400000_NS6detail17trampoline_kernelINS0_14default_configENS1_38merge_sort_block_merge_config_selectorIxxEEZZNS1_27merge_sort_block_merge_implIS3_N6thrust23THRUST_200600_302600_NS6detail15normal_iteratorINS8_10device_ptrIxEEEESD_jNS1_19radix_merge_compareILb0ELb0ExNS0_19identity_decomposerEEEEE10hipError_tT0_T1_T2_jT3_P12ihipStream_tbPNSt15iterator_traitsISI_E10value_typeEPNSO_ISJ_E10value_typeEPSK_NS1_7vsmem_tEENKUlT_SI_SJ_SK_E_clISD_PxSD_S10_EESH_SX_SI_SJ_SK_EUlSX_E0_NS1_11comp_targetILNS1_3genE0ELNS1_11target_archE4294967295ELNS1_3gpuE0ELNS1_3repE0EEENS1_38merge_mergepath_config_static_selectorELNS0_4arch9wavefront6targetE1EEEvSJ_.has_dyn_sized_stack, 0
	.set _ZN7rocprim17ROCPRIM_400000_NS6detail17trampoline_kernelINS0_14default_configENS1_38merge_sort_block_merge_config_selectorIxxEEZZNS1_27merge_sort_block_merge_implIS3_N6thrust23THRUST_200600_302600_NS6detail15normal_iteratorINS8_10device_ptrIxEEEESD_jNS1_19radix_merge_compareILb0ELb0ExNS0_19identity_decomposerEEEEE10hipError_tT0_T1_T2_jT3_P12ihipStream_tbPNSt15iterator_traitsISI_E10value_typeEPNSO_ISJ_E10value_typeEPSK_NS1_7vsmem_tEENKUlT_SI_SJ_SK_E_clISD_PxSD_S10_EESH_SX_SI_SJ_SK_EUlSX_E0_NS1_11comp_targetILNS1_3genE0ELNS1_11target_archE4294967295ELNS1_3gpuE0ELNS1_3repE0EEENS1_38merge_mergepath_config_static_selectorELNS0_4arch9wavefront6targetE1EEEvSJ_.has_recursion, 0
	.set _ZN7rocprim17ROCPRIM_400000_NS6detail17trampoline_kernelINS0_14default_configENS1_38merge_sort_block_merge_config_selectorIxxEEZZNS1_27merge_sort_block_merge_implIS3_N6thrust23THRUST_200600_302600_NS6detail15normal_iteratorINS8_10device_ptrIxEEEESD_jNS1_19radix_merge_compareILb0ELb0ExNS0_19identity_decomposerEEEEE10hipError_tT0_T1_T2_jT3_P12ihipStream_tbPNSt15iterator_traitsISI_E10value_typeEPNSO_ISJ_E10value_typeEPSK_NS1_7vsmem_tEENKUlT_SI_SJ_SK_E_clISD_PxSD_S10_EESH_SX_SI_SJ_SK_EUlSX_E0_NS1_11comp_targetILNS1_3genE0ELNS1_11target_archE4294967295ELNS1_3gpuE0ELNS1_3repE0EEENS1_38merge_mergepath_config_static_selectorELNS0_4arch9wavefront6targetE1EEEvSJ_.has_indirect_call, 0
	.section	.AMDGPU.csdata,"",@progbits
; Kernel info:
; codeLenInByte = 1724
; TotalNumSgprs: 36
; NumVgprs: 22
; NumAgprs: 0
; TotalNumVgprs: 22
; ScratchSize: 0
; MemoryBound: 0
; FloatMode: 240
; IeeeMode: 1
; LDSByteSize: 8448 bytes/workgroup (compile time only)
; SGPRBlocks: 4
; VGPRBlocks: 2
; NumSGPRsForWavesPerEU: 36
; NumVGPRsForWavesPerEU: 22
; AccumOffset: 24
; Occupancy: 8
; WaveLimiterHint : 1
; COMPUTE_PGM_RSRC2:SCRATCH_EN: 0
; COMPUTE_PGM_RSRC2:USER_SGPR: 2
; COMPUTE_PGM_RSRC2:TRAP_HANDLER: 0
; COMPUTE_PGM_RSRC2:TGID_X_EN: 1
; COMPUTE_PGM_RSRC2:TGID_Y_EN: 1
; COMPUTE_PGM_RSRC2:TGID_Z_EN: 1
; COMPUTE_PGM_RSRC2:TIDIG_COMP_CNT: 0
; COMPUTE_PGM_RSRC3_GFX90A:ACCUM_OFFSET: 5
; COMPUTE_PGM_RSRC3_GFX90A:TG_SPLIT: 0
	.section	.text._ZN7rocprim17ROCPRIM_400000_NS6detail17trampoline_kernelINS0_14default_configENS1_38merge_sort_block_merge_config_selectorIxxEEZZNS1_27merge_sort_block_merge_implIS3_N6thrust23THRUST_200600_302600_NS6detail15normal_iteratorINS8_10device_ptrIxEEEESD_jNS1_19radix_merge_compareILb0ELb0ExNS0_19identity_decomposerEEEEE10hipError_tT0_T1_T2_jT3_P12ihipStream_tbPNSt15iterator_traitsISI_E10value_typeEPNSO_ISJ_E10value_typeEPSK_NS1_7vsmem_tEENKUlT_SI_SJ_SK_E_clISD_PxSD_S10_EESH_SX_SI_SJ_SK_EUlSX_E0_NS1_11comp_targetILNS1_3genE10ELNS1_11target_archE1201ELNS1_3gpuE5ELNS1_3repE0EEENS1_38merge_mergepath_config_static_selectorELNS0_4arch9wavefront6targetE1EEEvSJ_,"axG",@progbits,_ZN7rocprim17ROCPRIM_400000_NS6detail17trampoline_kernelINS0_14default_configENS1_38merge_sort_block_merge_config_selectorIxxEEZZNS1_27merge_sort_block_merge_implIS3_N6thrust23THRUST_200600_302600_NS6detail15normal_iteratorINS8_10device_ptrIxEEEESD_jNS1_19radix_merge_compareILb0ELb0ExNS0_19identity_decomposerEEEEE10hipError_tT0_T1_T2_jT3_P12ihipStream_tbPNSt15iterator_traitsISI_E10value_typeEPNSO_ISJ_E10value_typeEPSK_NS1_7vsmem_tEENKUlT_SI_SJ_SK_E_clISD_PxSD_S10_EESH_SX_SI_SJ_SK_EUlSX_E0_NS1_11comp_targetILNS1_3genE10ELNS1_11target_archE1201ELNS1_3gpuE5ELNS1_3repE0EEENS1_38merge_mergepath_config_static_selectorELNS0_4arch9wavefront6targetE1EEEvSJ_,comdat
	.protected	_ZN7rocprim17ROCPRIM_400000_NS6detail17trampoline_kernelINS0_14default_configENS1_38merge_sort_block_merge_config_selectorIxxEEZZNS1_27merge_sort_block_merge_implIS3_N6thrust23THRUST_200600_302600_NS6detail15normal_iteratorINS8_10device_ptrIxEEEESD_jNS1_19radix_merge_compareILb0ELb0ExNS0_19identity_decomposerEEEEE10hipError_tT0_T1_T2_jT3_P12ihipStream_tbPNSt15iterator_traitsISI_E10value_typeEPNSO_ISJ_E10value_typeEPSK_NS1_7vsmem_tEENKUlT_SI_SJ_SK_E_clISD_PxSD_S10_EESH_SX_SI_SJ_SK_EUlSX_E0_NS1_11comp_targetILNS1_3genE10ELNS1_11target_archE1201ELNS1_3gpuE5ELNS1_3repE0EEENS1_38merge_mergepath_config_static_selectorELNS0_4arch9wavefront6targetE1EEEvSJ_ ; -- Begin function _ZN7rocprim17ROCPRIM_400000_NS6detail17trampoline_kernelINS0_14default_configENS1_38merge_sort_block_merge_config_selectorIxxEEZZNS1_27merge_sort_block_merge_implIS3_N6thrust23THRUST_200600_302600_NS6detail15normal_iteratorINS8_10device_ptrIxEEEESD_jNS1_19radix_merge_compareILb0ELb0ExNS0_19identity_decomposerEEEEE10hipError_tT0_T1_T2_jT3_P12ihipStream_tbPNSt15iterator_traitsISI_E10value_typeEPNSO_ISJ_E10value_typeEPSK_NS1_7vsmem_tEENKUlT_SI_SJ_SK_E_clISD_PxSD_S10_EESH_SX_SI_SJ_SK_EUlSX_E0_NS1_11comp_targetILNS1_3genE10ELNS1_11target_archE1201ELNS1_3gpuE5ELNS1_3repE0EEENS1_38merge_mergepath_config_static_selectorELNS0_4arch9wavefront6targetE1EEEvSJ_
	.globl	_ZN7rocprim17ROCPRIM_400000_NS6detail17trampoline_kernelINS0_14default_configENS1_38merge_sort_block_merge_config_selectorIxxEEZZNS1_27merge_sort_block_merge_implIS3_N6thrust23THRUST_200600_302600_NS6detail15normal_iteratorINS8_10device_ptrIxEEEESD_jNS1_19radix_merge_compareILb0ELb0ExNS0_19identity_decomposerEEEEE10hipError_tT0_T1_T2_jT3_P12ihipStream_tbPNSt15iterator_traitsISI_E10value_typeEPNSO_ISJ_E10value_typeEPSK_NS1_7vsmem_tEENKUlT_SI_SJ_SK_E_clISD_PxSD_S10_EESH_SX_SI_SJ_SK_EUlSX_E0_NS1_11comp_targetILNS1_3genE10ELNS1_11target_archE1201ELNS1_3gpuE5ELNS1_3repE0EEENS1_38merge_mergepath_config_static_selectorELNS0_4arch9wavefront6targetE1EEEvSJ_
	.p2align	8
	.type	_ZN7rocprim17ROCPRIM_400000_NS6detail17trampoline_kernelINS0_14default_configENS1_38merge_sort_block_merge_config_selectorIxxEEZZNS1_27merge_sort_block_merge_implIS3_N6thrust23THRUST_200600_302600_NS6detail15normal_iteratorINS8_10device_ptrIxEEEESD_jNS1_19radix_merge_compareILb0ELb0ExNS0_19identity_decomposerEEEEE10hipError_tT0_T1_T2_jT3_P12ihipStream_tbPNSt15iterator_traitsISI_E10value_typeEPNSO_ISJ_E10value_typeEPSK_NS1_7vsmem_tEENKUlT_SI_SJ_SK_E_clISD_PxSD_S10_EESH_SX_SI_SJ_SK_EUlSX_E0_NS1_11comp_targetILNS1_3genE10ELNS1_11target_archE1201ELNS1_3gpuE5ELNS1_3repE0EEENS1_38merge_mergepath_config_static_selectorELNS0_4arch9wavefront6targetE1EEEvSJ_,@function
_ZN7rocprim17ROCPRIM_400000_NS6detail17trampoline_kernelINS0_14default_configENS1_38merge_sort_block_merge_config_selectorIxxEEZZNS1_27merge_sort_block_merge_implIS3_N6thrust23THRUST_200600_302600_NS6detail15normal_iteratorINS8_10device_ptrIxEEEESD_jNS1_19radix_merge_compareILb0ELb0ExNS0_19identity_decomposerEEEEE10hipError_tT0_T1_T2_jT3_P12ihipStream_tbPNSt15iterator_traitsISI_E10value_typeEPNSO_ISJ_E10value_typeEPSK_NS1_7vsmem_tEENKUlT_SI_SJ_SK_E_clISD_PxSD_S10_EESH_SX_SI_SJ_SK_EUlSX_E0_NS1_11comp_targetILNS1_3genE10ELNS1_11target_archE1201ELNS1_3gpuE5ELNS1_3repE0EEENS1_38merge_mergepath_config_static_selectorELNS0_4arch9wavefront6targetE1EEEvSJ_: ; @_ZN7rocprim17ROCPRIM_400000_NS6detail17trampoline_kernelINS0_14default_configENS1_38merge_sort_block_merge_config_selectorIxxEEZZNS1_27merge_sort_block_merge_implIS3_N6thrust23THRUST_200600_302600_NS6detail15normal_iteratorINS8_10device_ptrIxEEEESD_jNS1_19radix_merge_compareILb0ELb0ExNS0_19identity_decomposerEEEEE10hipError_tT0_T1_T2_jT3_P12ihipStream_tbPNSt15iterator_traitsISI_E10value_typeEPNSO_ISJ_E10value_typeEPSK_NS1_7vsmem_tEENKUlT_SI_SJ_SK_E_clISD_PxSD_S10_EESH_SX_SI_SJ_SK_EUlSX_E0_NS1_11comp_targetILNS1_3genE10ELNS1_11target_archE1201ELNS1_3gpuE5ELNS1_3repE0EEENS1_38merge_mergepath_config_static_selectorELNS0_4arch9wavefront6targetE1EEEvSJ_
; %bb.0:
	.section	.rodata,"a",@progbits
	.p2align	6, 0x0
	.amdhsa_kernel _ZN7rocprim17ROCPRIM_400000_NS6detail17trampoline_kernelINS0_14default_configENS1_38merge_sort_block_merge_config_selectorIxxEEZZNS1_27merge_sort_block_merge_implIS3_N6thrust23THRUST_200600_302600_NS6detail15normal_iteratorINS8_10device_ptrIxEEEESD_jNS1_19radix_merge_compareILb0ELb0ExNS0_19identity_decomposerEEEEE10hipError_tT0_T1_T2_jT3_P12ihipStream_tbPNSt15iterator_traitsISI_E10value_typeEPNSO_ISJ_E10value_typeEPSK_NS1_7vsmem_tEENKUlT_SI_SJ_SK_E_clISD_PxSD_S10_EESH_SX_SI_SJ_SK_EUlSX_E0_NS1_11comp_targetILNS1_3genE10ELNS1_11target_archE1201ELNS1_3gpuE5ELNS1_3repE0EEENS1_38merge_mergepath_config_static_selectorELNS0_4arch9wavefront6targetE1EEEvSJ_
		.amdhsa_group_segment_fixed_size 0
		.amdhsa_private_segment_fixed_size 0
		.amdhsa_kernarg_size 64
		.amdhsa_user_sgpr_count 2
		.amdhsa_user_sgpr_dispatch_ptr 0
		.amdhsa_user_sgpr_queue_ptr 0
		.amdhsa_user_sgpr_kernarg_segment_ptr 1
		.amdhsa_user_sgpr_dispatch_id 0
		.amdhsa_user_sgpr_kernarg_preload_length 0
		.amdhsa_user_sgpr_kernarg_preload_offset 0
		.amdhsa_user_sgpr_private_segment_size 0
		.amdhsa_uses_dynamic_stack 0
		.amdhsa_enable_private_segment 0
		.amdhsa_system_sgpr_workgroup_id_x 1
		.amdhsa_system_sgpr_workgroup_id_y 0
		.amdhsa_system_sgpr_workgroup_id_z 0
		.amdhsa_system_sgpr_workgroup_info 0
		.amdhsa_system_vgpr_workitem_id 0
		.amdhsa_next_free_vgpr 1
		.amdhsa_next_free_sgpr 0
		.amdhsa_accum_offset 4
		.amdhsa_reserve_vcc 0
		.amdhsa_float_round_mode_32 0
		.amdhsa_float_round_mode_16_64 0
		.amdhsa_float_denorm_mode_32 3
		.amdhsa_float_denorm_mode_16_64 3
		.amdhsa_dx10_clamp 1
		.amdhsa_ieee_mode 1
		.amdhsa_fp16_overflow 0
		.amdhsa_tg_split 0
		.amdhsa_exception_fp_ieee_invalid_op 0
		.amdhsa_exception_fp_denorm_src 0
		.amdhsa_exception_fp_ieee_div_zero 0
		.amdhsa_exception_fp_ieee_overflow 0
		.amdhsa_exception_fp_ieee_underflow 0
		.amdhsa_exception_fp_ieee_inexact 0
		.amdhsa_exception_int_div_zero 0
	.end_amdhsa_kernel
	.section	.text._ZN7rocprim17ROCPRIM_400000_NS6detail17trampoline_kernelINS0_14default_configENS1_38merge_sort_block_merge_config_selectorIxxEEZZNS1_27merge_sort_block_merge_implIS3_N6thrust23THRUST_200600_302600_NS6detail15normal_iteratorINS8_10device_ptrIxEEEESD_jNS1_19radix_merge_compareILb0ELb0ExNS0_19identity_decomposerEEEEE10hipError_tT0_T1_T2_jT3_P12ihipStream_tbPNSt15iterator_traitsISI_E10value_typeEPNSO_ISJ_E10value_typeEPSK_NS1_7vsmem_tEENKUlT_SI_SJ_SK_E_clISD_PxSD_S10_EESH_SX_SI_SJ_SK_EUlSX_E0_NS1_11comp_targetILNS1_3genE10ELNS1_11target_archE1201ELNS1_3gpuE5ELNS1_3repE0EEENS1_38merge_mergepath_config_static_selectorELNS0_4arch9wavefront6targetE1EEEvSJ_,"axG",@progbits,_ZN7rocprim17ROCPRIM_400000_NS6detail17trampoline_kernelINS0_14default_configENS1_38merge_sort_block_merge_config_selectorIxxEEZZNS1_27merge_sort_block_merge_implIS3_N6thrust23THRUST_200600_302600_NS6detail15normal_iteratorINS8_10device_ptrIxEEEESD_jNS1_19radix_merge_compareILb0ELb0ExNS0_19identity_decomposerEEEEE10hipError_tT0_T1_T2_jT3_P12ihipStream_tbPNSt15iterator_traitsISI_E10value_typeEPNSO_ISJ_E10value_typeEPSK_NS1_7vsmem_tEENKUlT_SI_SJ_SK_E_clISD_PxSD_S10_EESH_SX_SI_SJ_SK_EUlSX_E0_NS1_11comp_targetILNS1_3genE10ELNS1_11target_archE1201ELNS1_3gpuE5ELNS1_3repE0EEENS1_38merge_mergepath_config_static_selectorELNS0_4arch9wavefront6targetE1EEEvSJ_,comdat
.Lfunc_end1098:
	.size	_ZN7rocprim17ROCPRIM_400000_NS6detail17trampoline_kernelINS0_14default_configENS1_38merge_sort_block_merge_config_selectorIxxEEZZNS1_27merge_sort_block_merge_implIS3_N6thrust23THRUST_200600_302600_NS6detail15normal_iteratorINS8_10device_ptrIxEEEESD_jNS1_19radix_merge_compareILb0ELb0ExNS0_19identity_decomposerEEEEE10hipError_tT0_T1_T2_jT3_P12ihipStream_tbPNSt15iterator_traitsISI_E10value_typeEPNSO_ISJ_E10value_typeEPSK_NS1_7vsmem_tEENKUlT_SI_SJ_SK_E_clISD_PxSD_S10_EESH_SX_SI_SJ_SK_EUlSX_E0_NS1_11comp_targetILNS1_3genE10ELNS1_11target_archE1201ELNS1_3gpuE5ELNS1_3repE0EEENS1_38merge_mergepath_config_static_selectorELNS0_4arch9wavefront6targetE1EEEvSJ_, .Lfunc_end1098-_ZN7rocprim17ROCPRIM_400000_NS6detail17trampoline_kernelINS0_14default_configENS1_38merge_sort_block_merge_config_selectorIxxEEZZNS1_27merge_sort_block_merge_implIS3_N6thrust23THRUST_200600_302600_NS6detail15normal_iteratorINS8_10device_ptrIxEEEESD_jNS1_19radix_merge_compareILb0ELb0ExNS0_19identity_decomposerEEEEE10hipError_tT0_T1_T2_jT3_P12ihipStream_tbPNSt15iterator_traitsISI_E10value_typeEPNSO_ISJ_E10value_typeEPSK_NS1_7vsmem_tEENKUlT_SI_SJ_SK_E_clISD_PxSD_S10_EESH_SX_SI_SJ_SK_EUlSX_E0_NS1_11comp_targetILNS1_3genE10ELNS1_11target_archE1201ELNS1_3gpuE5ELNS1_3repE0EEENS1_38merge_mergepath_config_static_selectorELNS0_4arch9wavefront6targetE1EEEvSJ_
                                        ; -- End function
	.set _ZN7rocprim17ROCPRIM_400000_NS6detail17trampoline_kernelINS0_14default_configENS1_38merge_sort_block_merge_config_selectorIxxEEZZNS1_27merge_sort_block_merge_implIS3_N6thrust23THRUST_200600_302600_NS6detail15normal_iteratorINS8_10device_ptrIxEEEESD_jNS1_19radix_merge_compareILb0ELb0ExNS0_19identity_decomposerEEEEE10hipError_tT0_T1_T2_jT3_P12ihipStream_tbPNSt15iterator_traitsISI_E10value_typeEPNSO_ISJ_E10value_typeEPSK_NS1_7vsmem_tEENKUlT_SI_SJ_SK_E_clISD_PxSD_S10_EESH_SX_SI_SJ_SK_EUlSX_E0_NS1_11comp_targetILNS1_3genE10ELNS1_11target_archE1201ELNS1_3gpuE5ELNS1_3repE0EEENS1_38merge_mergepath_config_static_selectorELNS0_4arch9wavefront6targetE1EEEvSJ_.num_vgpr, 0
	.set _ZN7rocprim17ROCPRIM_400000_NS6detail17trampoline_kernelINS0_14default_configENS1_38merge_sort_block_merge_config_selectorIxxEEZZNS1_27merge_sort_block_merge_implIS3_N6thrust23THRUST_200600_302600_NS6detail15normal_iteratorINS8_10device_ptrIxEEEESD_jNS1_19radix_merge_compareILb0ELb0ExNS0_19identity_decomposerEEEEE10hipError_tT0_T1_T2_jT3_P12ihipStream_tbPNSt15iterator_traitsISI_E10value_typeEPNSO_ISJ_E10value_typeEPSK_NS1_7vsmem_tEENKUlT_SI_SJ_SK_E_clISD_PxSD_S10_EESH_SX_SI_SJ_SK_EUlSX_E0_NS1_11comp_targetILNS1_3genE10ELNS1_11target_archE1201ELNS1_3gpuE5ELNS1_3repE0EEENS1_38merge_mergepath_config_static_selectorELNS0_4arch9wavefront6targetE1EEEvSJ_.num_agpr, 0
	.set _ZN7rocprim17ROCPRIM_400000_NS6detail17trampoline_kernelINS0_14default_configENS1_38merge_sort_block_merge_config_selectorIxxEEZZNS1_27merge_sort_block_merge_implIS3_N6thrust23THRUST_200600_302600_NS6detail15normal_iteratorINS8_10device_ptrIxEEEESD_jNS1_19radix_merge_compareILb0ELb0ExNS0_19identity_decomposerEEEEE10hipError_tT0_T1_T2_jT3_P12ihipStream_tbPNSt15iterator_traitsISI_E10value_typeEPNSO_ISJ_E10value_typeEPSK_NS1_7vsmem_tEENKUlT_SI_SJ_SK_E_clISD_PxSD_S10_EESH_SX_SI_SJ_SK_EUlSX_E0_NS1_11comp_targetILNS1_3genE10ELNS1_11target_archE1201ELNS1_3gpuE5ELNS1_3repE0EEENS1_38merge_mergepath_config_static_selectorELNS0_4arch9wavefront6targetE1EEEvSJ_.numbered_sgpr, 0
	.set _ZN7rocprim17ROCPRIM_400000_NS6detail17trampoline_kernelINS0_14default_configENS1_38merge_sort_block_merge_config_selectorIxxEEZZNS1_27merge_sort_block_merge_implIS3_N6thrust23THRUST_200600_302600_NS6detail15normal_iteratorINS8_10device_ptrIxEEEESD_jNS1_19radix_merge_compareILb0ELb0ExNS0_19identity_decomposerEEEEE10hipError_tT0_T1_T2_jT3_P12ihipStream_tbPNSt15iterator_traitsISI_E10value_typeEPNSO_ISJ_E10value_typeEPSK_NS1_7vsmem_tEENKUlT_SI_SJ_SK_E_clISD_PxSD_S10_EESH_SX_SI_SJ_SK_EUlSX_E0_NS1_11comp_targetILNS1_3genE10ELNS1_11target_archE1201ELNS1_3gpuE5ELNS1_3repE0EEENS1_38merge_mergepath_config_static_selectorELNS0_4arch9wavefront6targetE1EEEvSJ_.num_named_barrier, 0
	.set _ZN7rocprim17ROCPRIM_400000_NS6detail17trampoline_kernelINS0_14default_configENS1_38merge_sort_block_merge_config_selectorIxxEEZZNS1_27merge_sort_block_merge_implIS3_N6thrust23THRUST_200600_302600_NS6detail15normal_iteratorINS8_10device_ptrIxEEEESD_jNS1_19radix_merge_compareILb0ELb0ExNS0_19identity_decomposerEEEEE10hipError_tT0_T1_T2_jT3_P12ihipStream_tbPNSt15iterator_traitsISI_E10value_typeEPNSO_ISJ_E10value_typeEPSK_NS1_7vsmem_tEENKUlT_SI_SJ_SK_E_clISD_PxSD_S10_EESH_SX_SI_SJ_SK_EUlSX_E0_NS1_11comp_targetILNS1_3genE10ELNS1_11target_archE1201ELNS1_3gpuE5ELNS1_3repE0EEENS1_38merge_mergepath_config_static_selectorELNS0_4arch9wavefront6targetE1EEEvSJ_.private_seg_size, 0
	.set _ZN7rocprim17ROCPRIM_400000_NS6detail17trampoline_kernelINS0_14default_configENS1_38merge_sort_block_merge_config_selectorIxxEEZZNS1_27merge_sort_block_merge_implIS3_N6thrust23THRUST_200600_302600_NS6detail15normal_iteratorINS8_10device_ptrIxEEEESD_jNS1_19radix_merge_compareILb0ELb0ExNS0_19identity_decomposerEEEEE10hipError_tT0_T1_T2_jT3_P12ihipStream_tbPNSt15iterator_traitsISI_E10value_typeEPNSO_ISJ_E10value_typeEPSK_NS1_7vsmem_tEENKUlT_SI_SJ_SK_E_clISD_PxSD_S10_EESH_SX_SI_SJ_SK_EUlSX_E0_NS1_11comp_targetILNS1_3genE10ELNS1_11target_archE1201ELNS1_3gpuE5ELNS1_3repE0EEENS1_38merge_mergepath_config_static_selectorELNS0_4arch9wavefront6targetE1EEEvSJ_.uses_vcc, 0
	.set _ZN7rocprim17ROCPRIM_400000_NS6detail17trampoline_kernelINS0_14default_configENS1_38merge_sort_block_merge_config_selectorIxxEEZZNS1_27merge_sort_block_merge_implIS3_N6thrust23THRUST_200600_302600_NS6detail15normal_iteratorINS8_10device_ptrIxEEEESD_jNS1_19radix_merge_compareILb0ELb0ExNS0_19identity_decomposerEEEEE10hipError_tT0_T1_T2_jT3_P12ihipStream_tbPNSt15iterator_traitsISI_E10value_typeEPNSO_ISJ_E10value_typeEPSK_NS1_7vsmem_tEENKUlT_SI_SJ_SK_E_clISD_PxSD_S10_EESH_SX_SI_SJ_SK_EUlSX_E0_NS1_11comp_targetILNS1_3genE10ELNS1_11target_archE1201ELNS1_3gpuE5ELNS1_3repE0EEENS1_38merge_mergepath_config_static_selectorELNS0_4arch9wavefront6targetE1EEEvSJ_.uses_flat_scratch, 0
	.set _ZN7rocprim17ROCPRIM_400000_NS6detail17trampoline_kernelINS0_14default_configENS1_38merge_sort_block_merge_config_selectorIxxEEZZNS1_27merge_sort_block_merge_implIS3_N6thrust23THRUST_200600_302600_NS6detail15normal_iteratorINS8_10device_ptrIxEEEESD_jNS1_19radix_merge_compareILb0ELb0ExNS0_19identity_decomposerEEEEE10hipError_tT0_T1_T2_jT3_P12ihipStream_tbPNSt15iterator_traitsISI_E10value_typeEPNSO_ISJ_E10value_typeEPSK_NS1_7vsmem_tEENKUlT_SI_SJ_SK_E_clISD_PxSD_S10_EESH_SX_SI_SJ_SK_EUlSX_E0_NS1_11comp_targetILNS1_3genE10ELNS1_11target_archE1201ELNS1_3gpuE5ELNS1_3repE0EEENS1_38merge_mergepath_config_static_selectorELNS0_4arch9wavefront6targetE1EEEvSJ_.has_dyn_sized_stack, 0
	.set _ZN7rocprim17ROCPRIM_400000_NS6detail17trampoline_kernelINS0_14default_configENS1_38merge_sort_block_merge_config_selectorIxxEEZZNS1_27merge_sort_block_merge_implIS3_N6thrust23THRUST_200600_302600_NS6detail15normal_iteratorINS8_10device_ptrIxEEEESD_jNS1_19radix_merge_compareILb0ELb0ExNS0_19identity_decomposerEEEEE10hipError_tT0_T1_T2_jT3_P12ihipStream_tbPNSt15iterator_traitsISI_E10value_typeEPNSO_ISJ_E10value_typeEPSK_NS1_7vsmem_tEENKUlT_SI_SJ_SK_E_clISD_PxSD_S10_EESH_SX_SI_SJ_SK_EUlSX_E0_NS1_11comp_targetILNS1_3genE10ELNS1_11target_archE1201ELNS1_3gpuE5ELNS1_3repE0EEENS1_38merge_mergepath_config_static_selectorELNS0_4arch9wavefront6targetE1EEEvSJ_.has_recursion, 0
	.set _ZN7rocprim17ROCPRIM_400000_NS6detail17trampoline_kernelINS0_14default_configENS1_38merge_sort_block_merge_config_selectorIxxEEZZNS1_27merge_sort_block_merge_implIS3_N6thrust23THRUST_200600_302600_NS6detail15normal_iteratorINS8_10device_ptrIxEEEESD_jNS1_19radix_merge_compareILb0ELb0ExNS0_19identity_decomposerEEEEE10hipError_tT0_T1_T2_jT3_P12ihipStream_tbPNSt15iterator_traitsISI_E10value_typeEPNSO_ISJ_E10value_typeEPSK_NS1_7vsmem_tEENKUlT_SI_SJ_SK_E_clISD_PxSD_S10_EESH_SX_SI_SJ_SK_EUlSX_E0_NS1_11comp_targetILNS1_3genE10ELNS1_11target_archE1201ELNS1_3gpuE5ELNS1_3repE0EEENS1_38merge_mergepath_config_static_selectorELNS0_4arch9wavefront6targetE1EEEvSJ_.has_indirect_call, 0
	.section	.AMDGPU.csdata,"",@progbits
; Kernel info:
; codeLenInByte = 0
; TotalNumSgprs: 6
; NumVgprs: 0
; NumAgprs: 0
; TotalNumVgprs: 0
; ScratchSize: 0
; MemoryBound: 0
; FloatMode: 240
; IeeeMode: 1
; LDSByteSize: 0 bytes/workgroup (compile time only)
; SGPRBlocks: 0
; VGPRBlocks: 0
; NumSGPRsForWavesPerEU: 6
; NumVGPRsForWavesPerEU: 1
; AccumOffset: 4
; Occupancy: 8
; WaveLimiterHint : 0
; COMPUTE_PGM_RSRC2:SCRATCH_EN: 0
; COMPUTE_PGM_RSRC2:USER_SGPR: 2
; COMPUTE_PGM_RSRC2:TRAP_HANDLER: 0
; COMPUTE_PGM_RSRC2:TGID_X_EN: 1
; COMPUTE_PGM_RSRC2:TGID_Y_EN: 0
; COMPUTE_PGM_RSRC2:TGID_Z_EN: 0
; COMPUTE_PGM_RSRC2:TIDIG_COMP_CNT: 0
; COMPUTE_PGM_RSRC3_GFX90A:ACCUM_OFFSET: 0
; COMPUTE_PGM_RSRC3_GFX90A:TG_SPLIT: 0
	.section	.text._ZN7rocprim17ROCPRIM_400000_NS6detail17trampoline_kernelINS0_14default_configENS1_38merge_sort_block_merge_config_selectorIxxEEZZNS1_27merge_sort_block_merge_implIS3_N6thrust23THRUST_200600_302600_NS6detail15normal_iteratorINS8_10device_ptrIxEEEESD_jNS1_19radix_merge_compareILb0ELb0ExNS0_19identity_decomposerEEEEE10hipError_tT0_T1_T2_jT3_P12ihipStream_tbPNSt15iterator_traitsISI_E10value_typeEPNSO_ISJ_E10value_typeEPSK_NS1_7vsmem_tEENKUlT_SI_SJ_SK_E_clISD_PxSD_S10_EESH_SX_SI_SJ_SK_EUlSX_E0_NS1_11comp_targetILNS1_3genE5ELNS1_11target_archE942ELNS1_3gpuE9ELNS1_3repE0EEENS1_38merge_mergepath_config_static_selectorELNS0_4arch9wavefront6targetE1EEEvSJ_,"axG",@progbits,_ZN7rocprim17ROCPRIM_400000_NS6detail17trampoline_kernelINS0_14default_configENS1_38merge_sort_block_merge_config_selectorIxxEEZZNS1_27merge_sort_block_merge_implIS3_N6thrust23THRUST_200600_302600_NS6detail15normal_iteratorINS8_10device_ptrIxEEEESD_jNS1_19radix_merge_compareILb0ELb0ExNS0_19identity_decomposerEEEEE10hipError_tT0_T1_T2_jT3_P12ihipStream_tbPNSt15iterator_traitsISI_E10value_typeEPNSO_ISJ_E10value_typeEPSK_NS1_7vsmem_tEENKUlT_SI_SJ_SK_E_clISD_PxSD_S10_EESH_SX_SI_SJ_SK_EUlSX_E0_NS1_11comp_targetILNS1_3genE5ELNS1_11target_archE942ELNS1_3gpuE9ELNS1_3repE0EEENS1_38merge_mergepath_config_static_selectorELNS0_4arch9wavefront6targetE1EEEvSJ_,comdat
	.protected	_ZN7rocprim17ROCPRIM_400000_NS6detail17trampoline_kernelINS0_14default_configENS1_38merge_sort_block_merge_config_selectorIxxEEZZNS1_27merge_sort_block_merge_implIS3_N6thrust23THRUST_200600_302600_NS6detail15normal_iteratorINS8_10device_ptrIxEEEESD_jNS1_19radix_merge_compareILb0ELb0ExNS0_19identity_decomposerEEEEE10hipError_tT0_T1_T2_jT3_P12ihipStream_tbPNSt15iterator_traitsISI_E10value_typeEPNSO_ISJ_E10value_typeEPSK_NS1_7vsmem_tEENKUlT_SI_SJ_SK_E_clISD_PxSD_S10_EESH_SX_SI_SJ_SK_EUlSX_E0_NS1_11comp_targetILNS1_3genE5ELNS1_11target_archE942ELNS1_3gpuE9ELNS1_3repE0EEENS1_38merge_mergepath_config_static_selectorELNS0_4arch9wavefront6targetE1EEEvSJ_ ; -- Begin function _ZN7rocprim17ROCPRIM_400000_NS6detail17trampoline_kernelINS0_14default_configENS1_38merge_sort_block_merge_config_selectorIxxEEZZNS1_27merge_sort_block_merge_implIS3_N6thrust23THRUST_200600_302600_NS6detail15normal_iteratorINS8_10device_ptrIxEEEESD_jNS1_19radix_merge_compareILb0ELb0ExNS0_19identity_decomposerEEEEE10hipError_tT0_T1_T2_jT3_P12ihipStream_tbPNSt15iterator_traitsISI_E10value_typeEPNSO_ISJ_E10value_typeEPSK_NS1_7vsmem_tEENKUlT_SI_SJ_SK_E_clISD_PxSD_S10_EESH_SX_SI_SJ_SK_EUlSX_E0_NS1_11comp_targetILNS1_3genE5ELNS1_11target_archE942ELNS1_3gpuE9ELNS1_3repE0EEENS1_38merge_mergepath_config_static_selectorELNS0_4arch9wavefront6targetE1EEEvSJ_
	.globl	_ZN7rocprim17ROCPRIM_400000_NS6detail17trampoline_kernelINS0_14default_configENS1_38merge_sort_block_merge_config_selectorIxxEEZZNS1_27merge_sort_block_merge_implIS3_N6thrust23THRUST_200600_302600_NS6detail15normal_iteratorINS8_10device_ptrIxEEEESD_jNS1_19radix_merge_compareILb0ELb0ExNS0_19identity_decomposerEEEEE10hipError_tT0_T1_T2_jT3_P12ihipStream_tbPNSt15iterator_traitsISI_E10value_typeEPNSO_ISJ_E10value_typeEPSK_NS1_7vsmem_tEENKUlT_SI_SJ_SK_E_clISD_PxSD_S10_EESH_SX_SI_SJ_SK_EUlSX_E0_NS1_11comp_targetILNS1_3genE5ELNS1_11target_archE942ELNS1_3gpuE9ELNS1_3repE0EEENS1_38merge_mergepath_config_static_selectorELNS0_4arch9wavefront6targetE1EEEvSJ_
	.p2align	8
	.type	_ZN7rocprim17ROCPRIM_400000_NS6detail17trampoline_kernelINS0_14default_configENS1_38merge_sort_block_merge_config_selectorIxxEEZZNS1_27merge_sort_block_merge_implIS3_N6thrust23THRUST_200600_302600_NS6detail15normal_iteratorINS8_10device_ptrIxEEEESD_jNS1_19radix_merge_compareILb0ELb0ExNS0_19identity_decomposerEEEEE10hipError_tT0_T1_T2_jT3_P12ihipStream_tbPNSt15iterator_traitsISI_E10value_typeEPNSO_ISJ_E10value_typeEPSK_NS1_7vsmem_tEENKUlT_SI_SJ_SK_E_clISD_PxSD_S10_EESH_SX_SI_SJ_SK_EUlSX_E0_NS1_11comp_targetILNS1_3genE5ELNS1_11target_archE942ELNS1_3gpuE9ELNS1_3repE0EEENS1_38merge_mergepath_config_static_selectorELNS0_4arch9wavefront6targetE1EEEvSJ_,@function
_ZN7rocprim17ROCPRIM_400000_NS6detail17trampoline_kernelINS0_14default_configENS1_38merge_sort_block_merge_config_selectorIxxEEZZNS1_27merge_sort_block_merge_implIS3_N6thrust23THRUST_200600_302600_NS6detail15normal_iteratorINS8_10device_ptrIxEEEESD_jNS1_19radix_merge_compareILb0ELb0ExNS0_19identity_decomposerEEEEE10hipError_tT0_T1_T2_jT3_P12ihipStream_tbPNSt15iterator_traitsISI_E10value_typeEPNSO_ISJ_E10value_typeEPSK_NS1_7vsmem_tEENKUlT_SI_SJ_SK_E_clISD_PxSD_S10_EESH_SX_SI_SJ_SK_EUlSX_E0_NS1_11comp_targetILNS1_3genE5ELNS1_11target_archE942ELNS1_3gpuE9ELNS1_3repE0EEENS1_38merge_mergepath_config_static_selectorELNS0_4arch9wavefront6targetE1EEEvSJ_: ; @_ZN7rocprim17ROCPRIM_400000_NS6detail17trampoline_kernelINS0_14default_configENS1_38merge_sort_block_merge_config_selectorIxxEEZZNS1_27merge_sort_block_merge_implIS3_N6thrust23THRUST_200600_302600_NS6detail15normal_iteratorINS8_10device_ptrIxEEEESD_jNS1_19radix_merge_compareILb0ELb0ExNS0_19identity_decomposerEEEEE10hipError_tT0_T1_T2_jT3_P12ihipStream_tbPNSt15iterator_traitsISI_E10value_typeEPNSO_ISJ_E10value_typeEPSK_NS1_7vsmem_tEENKUlT_SI_SJ_SK_E_clISD_PxSD_S10_EESH_SX_SI_SJ_SK_EUlSX_E0_NS1_11comp_targetILNS1_3genE5ELNS1_11target_archE942ELNS1_3gpuE9ELNS1_3repE0EEENS1_38merge_mergepath_config_static_selectorELNS0_4arch9wavefront6targetE1EEEvSJ_
; %bb.0:
	.section	.rodata,"a",@progbits
	.p2align	6, 0x0
	.amdhsa_kernel _ZN7rocprim17ROCPRIM_400000_NS6detail17trampoline_kernelINS0_14default_configENS1_38merge_sort_block_merge_config_selectorIxxEEZZNS1_27merge_sort_block_merge_implIS3_N6thrust23THRUST_200600_302600_NS6detail15normal_iteratorINS8_10device_ptrIxEEEESD_jNS1_19radix_merge_compareILb0ELb0ExNS0_19identity_decomposerEEEEE10hipError_tT0_T1_T2_jT3_P12ihipStream_tbPNSt15iterator_traitsISI_E10value_typeEPNSO_ISJ_E10value_typeEPSK_NS1_7vsmem_tEENKUlT_SI_SJ_SK_E_clISD_PxSD_S10_EESH_SX_SI_SJ_SK_EUlSX_E0_NS1_11comp_targetILNS1_3genE5ELNS1_11target_archE942ELNS1_3gpuE9ELNS1_3repE0EEENS1_38merge_mergepath_config_static_selectorELNS0_4arch9wavefront6targetE1EEEvSJ_
		.amdhsa_group_segment_fixed_size 0
		.amdhsa_private_segment_fixed_size 0
		.amdhsa_kernarg_size 64
		.amdhsa_user_sgpr_count 2
		.amdhsa_user_sgpr_dispatch_ptr 0
		.amdhsa_user_sgpr_queue_ptr 0
		.amdhsa_user_sgpr_kernarg_segment_ptr 1
		.amdhsa_user_sgpr_dispatch_id 0
		.amdhsa_user_sgpr_kernarg_preload_length 0
		.amdhsa_user_sgpr_kernarg_preload_offset 0
		.amdhsa_user_sgpr_private_segment_size 0
		.amdhsa_uses_dynamic_stack 0
		.amdhsa_enable_private_segment 0
		.amdhsa_system_sgpr_workgroup_id_x 1
		.amdhsa_system_sgpr_workgroup_id_y 0
		.amdhsa_system_sgpr_workgroup_id_z 0
		.amdhsa_system_sgpr_workgroup_info 0
		.amdhsa_system_vgpr_workitem_id 0
		.amdhsa_next_free_vgpr 1
		.amdhsa_next_free_sgpr 0
		.amdhsa_accum_offset 4
		.amdhsa_reserve_vcc 0
		.amdhsa_float_round_mode_32 0
		.amdhsa_float_round_mode_16_64 0
		.amdhsa_float_denorm_mode_32 3
		.amdhsa_float_denorm_mode_16_64 3
		.amdhsa_dx10_clamp 1
		.amdhsa_ieee_mode 1
		.amdhsa_fp16_overflow 0
		.amdhsa_tg_split 0
		.amdhsa_exception_fp_ieee_invalid_op 0
		.amdhsa_exception_fp_denorm_src 0
		.amdhsa_exception_fp_ieee_div_zero 0
		.amdhsa_exception_fp_ieee_overflow 0
		.amdhsa_exception_fp_ieee_underflow 0
		.amdhsa_exception_fp_ieee_inexact 0
		.amdhsa_exception_int_div_zero 0
	.end_amdhsa_kernel
	.section	.text._ZN7rocprim17ROCPRIM_400000_NS6detail17trampoline_kernelINS0_14default_configENS1_38merge_sort_block_merge_config_selectorIxxEEZZNS1_27merge_sort_block_merge_implIS3_N6thrust23THRUST_200600_302600_NS6detail15normal_iteratorINS8_10device_ptrIxEEEESD_jNS1_19radix_merge_compareILb0ELb0ExNS0_19identity_decomposerEEEEE10hipError_tT0_T1_T2_jT3_P12ihipStream_tbPNSt15iterator_traitsISI_E10value_typeEPNSO_ISJ_E10value_typeEPSK_NS1_7vsmem_tEENKUlT_SI_SJ_SK_E_clISD_PxSD_S10_EESH_SX_SI_SJ_SK_EUlSX_E0_NS1_11comp_targetILNS1_3genE5ELNS1_11target_archE942ELNS1_3gpuE9ELNS1_3repE0EEENS1_38merge_mergepath_config_static_selectorELNS0_4arch9wavefront6targetE1EEEvSJ_,"axG",@progbits,_ZN7rocprim17ROCPRIM_400000_NS6detail17trampoline_kernelINS0_14default_configENS1_38merge_sort_block_merge_config_selectorIxxEEZZNS1_27merge_sort_block_merge_implIS3_N6thrust23THRUST_200600_302600_NS6detail15normal_iteratorINS8_10device_ptrIxEEEESD_jNS1_19radix_merge_compareILb0ELb0ExNS0_19identity_decomposerEEEEE10hipError_tT0_T1_T2_jT3_P12ihipStream_tbPNSt15iterator_traitsISI_E10value_typeEPNSO_ISJ_E10value_typeEPSK_NS1_7vsmem_tEENKUlT_SI_SJ_SK_E_clISD_PxSD_S10_EESH_SX_SI_SJ_SK_EUlSX_E0_NS1_11comp_targetILNS1_3genE5ELNS1_11target_archE942ELNS1_3gpuE9ELNS1_3repE0EEENS1_38merge_mergepath_config_static_selectorELNS0_4arch9wavefront6targetE1EEEvSJ_,comdat
.Lfunc_end1099:
	.size	_ZN7rocprim17ROCPRIM_400000_NS6detail17trampoline_kernelINS0_14default_configENS1_38merge_sort_block_merge_config_selectorIxxEEZZNS1_27merge_sort_block_merge_implIS3_N6thrust23THRUST_200600_302600_NS6detail15normal_iteratorINS8_10device_ptrIxEEEESD_jNS1_19radix_merge_compareILb0ELb0ExNS0_19identity_decomposerEEEEE10hipError_tT0_T1_T2_jT3_P12ihipStream_tbPNSt15iterator_traitsISI_E10value_typeEPNSO_ISJ_E10value_typeEPSK_NS1_7vsmem_tEENKUlT_SI_SJ_SK_E_clISD_PxSD_S10_EESH_SX_SI_SJ_SK_EUlSX_E0_NS1_11comp_targetILNS1_3genE5ELNS1_11target_archE942ELNS1_3gpuE9ELNS1_3repE0EEENS1_38merge_mergepath_config_static_selectorELNS0_4arch9wavefront6targetE1EEEvSJ_, .Lfunc_end1099-_ZN7rocprim17ROCPRIM_400000_NS6detail17trampoline_kernelINS0_14default_configENS1_38merge_sort_block_merge_config_selectorIxxEEZZNS1_27merge_sort_block_merge_implIS3_N6thrust23THRUST_200600_302600_NS6detail15normal_iteratorINS8_10device_ptrIxEEEESD_jNS1_19radix_merge_compareILb0ELb0ExNS0_19identity_decomposerEEEEE10hipError_tT0_T1_T2_jT3_P12ihipStream_tbPNSt15iterator_traitsISI_E10value_typeEPNSO_ISJ_E10value_typeEPSK_NS1_7vsmem_tEENKUlT_SI_SJ_SK_E_clISD_PxSD_S10_EESH_SX_SI_SJ_SK_EUlSX_E0_NS1_11comp_targetILNS1_3genE5ELNS1_11target_archE942ELNS1_3gpuE9ELNS1_3repE0EEENS1_38merge_mergepath_config_static_selectorELNS0_4arch9wavefront6targetE1EEEvSJ_
                                        ; -- End function
	.set _ZN7rocprim17ROCPRIM_400000_NS6detail17trampoline_kernelINS0_14default_configENS1_38merge_sort_block_merge_config_selectorIxxEEZZNS1_27merge_sort_block_merge_implIS3_N6thrust23THRUST_200600_302600_NS6detail15normal_iteratorINS8_10device_ptrIxEEEESD_jNS1_19radix_merge_compareILb0ELb0ExNS0_19identity_decomposerEEEEE10hipError_tT0_T1_T2_jT3_P12ihipStream_tbPNSt15iterator_traitsISI_E10value_typeEPNSO_ISJ_E10value_typeEPSK_NS1_7vsmem_tEENKUlT_SI_SJ_SK_E_clISD_PxSD_S10_EESH_SX_SI_SJ_SK_EUlSX_E0_NS1_11comp_targetILNS1_3genE5ELNS1_11target_archE942ELNS1_3gpuE9ELNS1_3repE0EEENS1_38merge_mergepath_config_static_selectorELNS0_4arch9wavefront6targetE1EEEvSJ_.num_vgpr, 0
	.set _ZN7rocprim17ROCPRIM_400000_NS6detail17trampoline_kernelINS0_14default_configENS1_38merge_sort_block_merge_config_selectorIxxEEZZNS1_27merge_sort_block_merge_implIS3_N6thrust23THRUST_200600_302600_NS6detail15normal_iteratorINS8_10device_ptrIxEEEESD_jNS1_19radix_merge_compareILb0ELb0ExNS0_19identity_decomposerEEEEE10hipError_tT0_T1_T2_jT3_P12ihipStream_tbPNSt15iterator_traitsISI_E10value_typeEPNSO_ISJ_E10value_typeEPSK_NS1_7vsmem_tEENKUlT_SI_SJ_SK_E_clISD_PxSD_S10_EESH_SX_SI_SJ_SK_EUlSX_E0_NS1_11comp_targetILNS1_3genE5ELNS1_11target_archE942ELNS1_3gpuE9ELNS1_3repE0EEENS1_38merge_mergepath_config_static_selectorELNS0_4arch9wavefront6targetE1EEEvSJ_.num_agpr, 0
	.set _ZN7rocprim17ROCPRIM_400000_NS6detail17trampoline_kernelINS0_14default_configENS1_38merge_sort_block_merge_config_selectorIxxEEZZNS1_27merge_sort_block_merge_implIS3_N6thrust23THRUST_200600_302600_NS6detail15normal_iteratorINS8_10device_ptrIxEEEESD_jNS1_19radix_merge_compareILb0ELb0ExNS0_19identity_decomposerEEEEE10hipError_tT0_T1_T2_jT3_P12ihipStream_tbPNSt15iterator_traitsISI_E10value_typeEPNSO_ISJ_E10value_typeEPSK_NS1_7vsmem_tEENKUlT_SI_SJ_SK_E_clISD_PxSD_S10_EESH_SX_SI_SJ_SK_EUlSX_E0_NS1_11comp_targetILNS1_3genE5ELNS1_11target_archE942ELNS1_3gpuE9ELNS1_3repE0EEENS1_38merge_mergepath_config_static_selectorELNS0_4arch9wavefront6targetE1EEEvSJ_.numbered_sgpr, 0
	.set _ZN7rocprim17ROCPRIM_400000_NS6detail17trampoline_kernelINS0_14default_configENS1_38merge_sort_block_merge_config_selectorIxxEEZZNS1_27merge_sort_block_merge_implIS3_N6thrust23THRUST_200600_302600_NS6detail15normal_iteratorINS8_10device_ptrIxEEEESD_jNS1_19radix_merge_compareILb0ELb0ExNS0_19identity_decomposerEEEEE10hipError_tT0_T1_T2_jT3_P12ihipStream_tbPNSt15iterator_traitsISI_E10value_typeEPNSO_ISJ_E10value_typeEPSK_NS1_7vsmem_tEENKUlT_SI_SJ_SK_E_clISD_PxSD_S10_EESH_SX_SI_SJ_SK_EUlSX_E0_NS1_11comp_targetILNS1_3genE5ELNS1_11target_archE942ELNS1_3gpuE9ELNS1_3repE0EEENS1_38merge_mergepath_config_static_selectorELNS0_4arch9wavefront6targetE1EEEvSJ_.num_named_barrier, 0
	.set _ZN7rocprim17ROCPRIM_400000_NS6detail17trampoline_kernelINS0_14default_configENS1_38merge_sort_block_merge_config_selectorIxxEEZZNS1_27merge_sort_block_merge_implIS3_N6thrust23THRUST_200600_302600_NS6detail15normal_iteratorINS8_10device_ptrIxEEEESD_jNS1_19radix_merge_compareILb0ELb0ExNS0_19identity_decomposerEEEEE10hipError_tT0_T1_T2_jT3_P12ihipStream_tbPNSt15iterator_traitsISI_E10value_typeEPNSO_ISJ_E10value_typeEPSK_NS1_7vsmem_tEENKUlT_SI_SJ_SK_E_clISD_PxSD_S10_EESH_SX_SI_SJ_SK_EUlSX_E0_NS1_11comp_targetILNS1_3genE5ELNS1_11target_archE942ELNS1_3gpuE9ELNS1_3repE0EEENS1_38merge_mergepath_config_static_selectorELNS0_4arch9wavefront6targetE1EEEvSJ_.private_seg_size, 0
	.set _ZN7rocprim17ROCPRIM_400000_NS6detail17trampoline_kernelINS0_14default_configENS1_38merge_sort_block_merge_config_selectorIxxEEZZNS1_27merge_sort_block_merge_implIS3_N6thrust23THRUST_200600_302600_NS6detail15normal_iteratorINS8_10device_ptrIxEEEESD_jNS1_19radix_merge_compareILb0ELb0ExNS0_19identity_decomposerEEEEE10hipError_tT0_T1_T2_jT3_P12ihipStream_tbPNSt15iterator_traitsISI_E10value_typeEPNSO_ISJ_E10value_typeEPSK_NS1_7vsmem_tEENKUlT_SI_SJ_SK_E_clISD_PxSD_S10_EESH_SX_SI_SJ_SK_EUlSX_E0_NS1_11comp_targetILNS1_3genE5ELNS1_11target_archE942ELNS1_3gpuE9ELNS1_3repE0EEENS1_38merge_mergepath_config_static_selectorELNS0_4arch9wavefront6targetE1EEEvSJ_.uses_vcc, 0
	.set _ZN7rocprim17ROCPRIM_400000_NS6detail17trampoline_kernelINS0_14default_configENS1_38merge_sort_block_merge_config_selectorIxxEEZZNS1_27merge_sort_block_merge_implIS3_N6thrust23THRUST_200600_302600_NS6detail15normal_iteratorINS8_10device_ptrIxEEEESD_jNS1_19radix_merge_compareILb0ELb0ExNS0_19identity_decomposerEEEEE10hipError_tT0_T1_T2_jT3_P12ihipStream_tbPNSt15iterator_traitsISI_E10value_typeEPNSO_ISJ_E10value_typeEPSK_NS1_7vsmem_tEENKUlT_SI_SJ_SK_E_clISD_PxSD_S10_EESH_SX_SI_SJ_SK_EUlSX_E0_NS1_11comp_targetILNS1_3genE5ELNS1_11target_archE942ELNS1_3gpuE9ELNS1_3repE0EEENS1_38merge_mergepath_config_static_selectorELNS0_4arch9wavefront6targetE1EEEvSJ_.uses_flat_scratch, 0
	.set _ZN7rocprim17ROCPRIM_400000_NS6detail17trampoline_kernelINS0_14default_configENS1_38merge_sort_block_merge_config_selectorIxxEEZZNS1_27merge_sort_block_merge_implIS3_N6thrust23THRUST_200600_302600_NS6detail15normal_iteratorINS8_10device_ptrIxEEEESD_jNS1_19radix_merge_compareILb0ELb0ExNS0_19identity_decomposerEEEEE10hipError_tT0_T1_T2_jT3_P12ihipStream_tbPNSt15iterator_traitsISI_E10value_typeEPNSO_ISJ_E10value_typeEPSK_NS1_7vsmem_tEENKUlT_SI_SJ_SK_E_clISD_PxSD_S10_EESH_SX_SI_SJ_SK_EUlSX_E0_NS1_11comp_targetILNS1_3genE5ELNS1_11target_archE942ELNS1_3gpuE9ELNS1_3repE0EEENS1_38merge_mergepath_config_static_selectorELNS0_4arch9wavefront6targetE1EEEvSJ_.has_dyn_sized_stack, 0
	.set _ZN7rocprim17ROCPRIM_400000_NS6detail17trampoline_kernelINS0_14default_configENS1_38merge_sort_block_merge_config_selectorIxxEEZZNS1_27merge_sort_block_merge_implIS3_N6thrust23THRUST_200600_302600_NS6detail15normal_iteratorINS8_10device_ptrIxEEEESD_jNS1_19radix_merge_compareILb0ELb0ExNS0_19identity_decomposerEEEEE10hipError_tT0_T1_T2_jT3_P12ihipStream_tbPNSt15iterator_traitsISI_E10value_typeEPNSO_ISJ_E10value_typeEPSK_NS1_7vsmem_tEENKUlT_SI_SJ_SK_E_clISD_PxSD_S10_EESH_SX_SI_SJ_SK_EUlSX_E0_NS1_11comp_targetILNS1_3genE5ELNS1_11target_archE942ELNS1_3gpuE9ELNS1_3repE0EEENS1_38merge_mergepath_config_static_selectorELNS0_4arch9wavefront6targetE1EEEvSJ_.has_recursion, 0
	.set _ZN7rocprim17ROCPRIM_400000_NS6detail17trampoline_kernelINS0_14default_configENS1_38merge_sort_block_merge_config_selectorIxxEEZZNS1_27merge_sort_block_merge_implIS3_N6thrust23THRUST_200600_302600_NS6detail15normal_iteratorINS8_10device_ptrIxEEEESD_jNS1_19radix_merge_compareILb0ELb0ExNS0_19identity_decomposerEEEEE10hipError_tT0_T1_T2_jT3_P12ihipStream_tbPNSt15iterator_traitsISI_E10value_typeEPNSO_ISJ_E10value_typeEPSK_NS1_7vsmem_tEENKUlT_SI_SJ_SK_E_clISD_PxSD_S10_EESH_SX_SI_SJ_SK_EUlSX_E0_NS1_11comp_targetILNS1_3genE5ELNS1_11target_archE942ELNS1_3gpuE9ELNS1_3repE0EEENS1_38merge_mergepath_config_static_selectorELNS0_4arch9wavefront6targetE1EEEvSJ_.has_indirect_call, 0
	.section	.AMDGPU.csdata,"",@progbits
; Kernel info:
; codeLenInByte = 0
; TotalNumSgprs: 6
; NumVgprs: 0
; NumAgprs: 0
; TotalNumVgprs: 0
; ScratchSize: 0
; MemoryBound: 0
; FloatMode: 240
; IeeeMode: 1
; LDSByteSize: 0 bytes/workgroup (compile time only)
; SGPRBlocks: 0
; VGPRBlocks: 0
; NumSGPRsForWavesPerEU: 6
; NumVGPRsForWavesPerEU: 1
; AccumOffset: 4
; Occupancy: 8
; WaveLimiterHint : 0
; COMPUTE_PGM_RSRC2:SCRATCH_EN: 0
; COMPUTE_PGM_RSRC2:USER_SGPR: 2
; COMPUTE_PGM_RSRC2:TRAP_HANDLER: 0
; COMPUTE_PGM_RSRC2:TGID_X_EN: 1
; COMPUTE_PGM_RSRC2:TGID_Y_EN: 0
; COMPUTE_PGM_RSRC2:TGID_Z_EN: 0
; COMPUTE_PGM_RSRC2:TIDIG_COMP_CNT: 0
; COMPUTE_PGM_RSRC3_GFX90A:ACCUM_OFFSET: 0
; COMPUTE_PGM_RSRC3_GFX90A:TG_SPLIT: 0
	.section	.text._ZN7rocprim17ROCPRIM_400000_NS6detail17trampoline_kernelINS0_14default_configENS1_38merge_sort_block_merge_config_selectorIxxEEZZNS1_27merge_sort_block_merge_implIS3_N6thrust23THRUST_200600_302600_NS6detail15normal_iteratorINS8_10device_ptrIxEEEESD_jNS1_19radix_merge_compareILb0ELb0ExNS0_19identity_decomposerEEEEE10hipError_tT0_T1_T2_jT3_P12ihipStream_tbPNSt15iterator_traitsISI_E10value_typeEPNSO_ISJ_E10value_typeEPSK_NS1_7vsmem_tEENKUlT_SI_SJ_SK_E_clISD_PxSD_S10_EESH_SX_SI_SJ_SK_EUlSX_E0_NS1_11comp_targetILNS1_3genE4ELNS1_11target_archE910ELNS1_3gpuE8ELNS1_3repE0EEENS1_38merge_mergepath_config_static_selectorELNS0_4arch9wavefront6targetE1EEEvSJ_,"axG",@progbits,_ZN7rocprim17ROCPRIM_400000_NS6detail17trampoline_kernelINS0_14default_configENS1_38merge_sort_block_merge_config_selectorIxxEEZZNS1_27merge_sort_block_merge_implIS3_N6thrust23THRUST_200600_302600_NS6detail15normal_iteratorINS8_10device_ptrIxEEEESD_jNS1_19radix_merge_compareILb0ELb0ExNS0_19identity_decomposerEEEEE10hipError_tT0_T1_T2_jT3_P12ihipStream_tbPNSt15iterator_traitsISI_E10value_typeEPNSO_ISJ_E10value_typeEPSK_NS1_7vsmem_tEENKUlT_SI_SJ_SK_E_clISD_PxSD_S10_EESH_SX_SI_SJ_SK_EUlSX_E0_NS1_11comp_targetILNS1_3genE4ELNS1_11target_archE910ELNS1_3gpuE8ELNS1_3repE0EEENS1_38merge_mergepath_config_static_selectorELNS0_4arch9wavefront6targetE1EEEvSJ_,comdat
	.protected	_ZN7rocprim17ROCPRIM_400000_NS6detail17trampoline_kernelINS0_14default_configENS1_38merge_sort_block_merge_config_selectorIxxEEZZNS1_27merge_sort_block_merge_implIS3_N6thrust23THRUST_200600_302600_NS6detail15normal_iteratorINS8_10device_ptrIxEEEESD_jNS1_19radix_merge_compareILb0ELb0ExNS0_19identity_decomposerEEEEE10hipError_tT0_T1_T2_jT3_P12ihipStream_tbPNSt15iterator_traitsISI_E10value_typeEPNSO_ISJ_E10value_typeEPSK_NS1_7vsmem_tEENKUlT_SI_SJ_SK_E_clISD_PxSD_S10_EESH_SX_SI_SJ_SK_EUlSX_E0_NS1_11comp_targetILNS1_3genE4ELNS1_11target_archE910ELNS1_3gpuE8ELNS1_3repE0EEENS1_38merge_mergepath_config_static_selectorELNS0_4arch9wavefront6targetE1EEEvSJ_ ; -- Begin function _ZN7rocprim17ROCPRIM_400000_NS6detail17trampoline_kernelINS0_14default_configENS1_38merge_sort_block_merge_config_selectorIxxEEZZNS1_27merge_sort_block_merge_implIS3_N6thrust23THRUST_200600_302600_NS6detail15normal_iteratorINS8_10device_ptrIxEEEESD_jNS1_19radix_merge_compareILb0ELb0ExNS0_19identity_decomposerEEEEE10hipError_tT0_T1_T2_jT3_P12ihipStream_tbPNSt15iterator_traitsISI_E10value_typeEPNSO_ISJ_E10value_typeEPSK_NS1_7vsmem_tEENKUlT_SI_SJ_SK_E_clISD_PxSD_S10_EESH_SX_SI_SJ_SK_EUlSX_E0_NS1_11comp_targetILNS1_3genE4ELNS1_11target_archE910ELNS1_3gpuE8ELNS1_3repE0EEENS1_38merge_mergepath_config_static_selectorELNS0_4arch9wavefront6targetE1EEEvSJ_
	.globl	_ZN7rocprim17ROCPRIM_400000_NS6detail17trampoline_kernelINS0_14default_configENS1_38merge_sort_block_merge_config_selectorIxxEEZZNS1_27merge_sort_block_merge_implIS3_N6thrust23THRUST_200600_302600_NS6detail15normal_iteratorINS8_10device_ptrIxEEEESD_jNS1_19radix_merge_compareILb0ELb0ExNS0_19identity_decomposerEEEEE10hipError_tT0_T1_T2_jT3_P12ihipStream_tbPNSt15iterator_traitsISI_E10value_typeEPNSO_ISJ_E10value_typeEPSK_NS1_7vsmem_tEENKUlT_SI_SJ_SK_E_clISD_PxSD_S10_EESH_SX_SI_SJ_SK_EUlSX_E0_NS1_11comp_targetILNS1_3genE4ELNS1_11target_archE910ELNS1_3gpuE8ELNS1_3repE0EEENS1_38merge_mergepath_config_static_selectorELNS0_4arch9wavefront6targetE1EEEvSJ_
	.p2align	8
	.type	_ZN7rocprim17ROCPRIM_400000_NS6detail17trampoline_kernelINS0_14default_configENS1_38merge_sort_block_merge_config_selectorIxxEEZZNS1_27merge_sort_block_merge_implIS3_N6thrust23THRUST_200600_302600_NS6detail15normal_iteratorINS8_10device_ptrIxEEEESD_jNS1_19radix_merge_compareILb0ELb0ExNS0_19identity_decomposerEEEEE10hipError_tT0_T1_T2_jT3_P12ihipStream_tbPNSt15iterator_traitsISI_E10value_typeEPNSO_ISJ_E10value_typeEPSK_NS1_7vsmem_tEENKUlT_SI_SJ_SK_E_clISD_PxSD_S10_EESH_SX_SI_SJ_SK_EUlSX_E0_NS1_11comp_targetILNS1_3genE4ELNS1_11target_archE910ELNS1_3gpuE8ELNS1_3repE0EEENS1_38merge_mergepath_config_static_selectorELNS0_4arch9wavefront6targetE1EEEvSJ_,@function
_ZN7rocprim17ROCPRIM_400000_NS6detail17trampoline_kernelINS0_14default_configENS1_38merge_sort_block_merge_config_selectorIxxEEZZNS1_27merge_sort_block_merge_implIS3_N6thrust23THRUST_200600_302600_NS6detail15normal_iteratorINS8_10device_ptrIxEEEESD_jNS1_19radix_merge_compareILb0ELb0ExNS0_19identity_decomposerEEEEE10hipError_tT0_T1_T2_jT3_P12ihipStream_tbPNSt15iterator_traitsISI_E10value_typeEPNSO_ISJ_E10value_typeEPSK_NS1_7vsmem_tEENKUlT_SI_SJ_SK_E_clISD_PxSD_S10_EESH_SX_SI_SJ_SK_EUlSX_E0_NS1_11comp_targetILNS1_3genE4ELNS1_11target_archE910ELNS1_3gpuE8ELNS1_3repE0EEENS1_38merge_mergepath_config_static_selectorELNS0_4arch9wavefront6targetE1EEEvSJ_: ; @_ZN7rocprim17ROCPRIM_400000_NS6detail17trampoline_kernelINS0_14default_configENS1_38merge_sort_block_merge_config_selectorIxxEEZZNS1_27merge_sort_block_merge_implIS3_N6thrust23THRUST_200600_302600_NS6detail15normal_iteratorINS8_10device_ptrIxEEEESD_jNS1_19radix_merge_compareILb0ELb0ExNS0_19identity_decomposerEEEEE10hipError_tT0_T1_T2_jT3_P12ihipStream_tbPNSt15iterator_traitsISI_E10value_typeEPNSO_ISJ_E10value_typeEPSK_NS1_7vsmem_tEENKUlT_SI_SJ_SK_E_clISD_PxSD_S10_EESH_SX_SI_SJ_SK_EUlSX_E0_NS1_11comp_targetILNS1_3genE4ELNS1_11target_archE910ELNS1_3gpuE8ELNS1_3repE0EEENS1_38merge_mergepath_config_static_selectorELNS0_4arch9wavefront6targetE1EEEvSJ_
; %bb.0:
	.section	.rodata,"a",@progbits
	.p2align	6, 0x0
	.amdhsa_kernel _ZN7rocprim17ROCPRIM_400000_NS6detail17trampoline_kernelINS0_14default_configENS1_38merge_sort_block_merge_config_selectorIxxEEZZNS1_27merge_sort_block_merge_implIS3_N6thrust23THRUST_200600_302600_NS6detail15normal_iteratorINS8_10device_ptrIxEEEESD_jNS1_19radix_merge_compareILb0ELb0ExNS0_19identity_decomposerEEEEE10hipError_tT0_T1_T2_jT3_P12ihipStream_tbPNSt15iterator_traitsISI_E10value_typeEPNSO_ISJ_E10value_typeEPSK_NS1_7vsmem_tEENKUlT_SI_SJ_SK_E_clISD_PxSD_S10_EESH_SX_SI_SJ_SK_EUlSX_E0_NS1_11comp_targetILNS1_3genE4ELNS1_11target_archE910ELNS1_3gpuE8ELNS1_3repE0EEENS1_38merge_mergepath_config_static_selectorELNS0_4arch9wavefront6targetE1EEEvSJ_
		.amdhsa_group_segment_fixed_size 0
		.amdhsa_private_segment_fixed_size 0
		.amdhsa_kernarg_size 64
		.amdhsa_user_sgpr_count 2
		.amdhsa_user_sgpr_dispatch_ptr 0
		.amdhsa_user_sgpr_queue_ptr 0
		.amdhsa_user_sgpr_kernarg_segment_ptr 1
		.amdhsa_user_sgpr_dispatch_id 0
		.amdhsa_user_sgpr_kernarg_preload_length 0
		.amdhsa_user_sgpr_kernarg_preload_offset 0
		.amdhsa_user_sgpr_private_segment_size 0
		.amdhsa_uses_dynamic_stack 0
		.amdhsa_enable_private_segment 0
		.amdhsa_system_sgpr_workgroup_id_x 1
		.amdhsa_system_sgpr_workgroup_id_y 0
		.amdhsa_system_sgpr_workgroup_id_z 0
		.amdhsa_system_sgpr_workgroup_info 0
		.amdhsa_system_vgpr_workitem_id 0
		.amdhsa_next_free_vgpr 1
		.amdhsa_next_free_sgpr 0
		.amdhsa_accum_offset 4
		.amdhsa_reserve_vcc 0
		.amdhsa_float_round_mode_32 0
		.amdhsa_float_round_mode_16_64 0
		.amdhsa_float_denorm_mode_32 3
		.amdhsa_float_denorm_mode_16_64 3
		.amdhsa_dx10_clamp 1
		.amdhsa_ieee_mode 1
		.amdhsa_fp16_overflow 0
		.amdhsa_tg_split 0
		.amdhsa_exception_fp_ieee_invalid_op 0
		.amdhsa_exception_fp_denorm_src 0
		.amdhsa_exception_fp_ieee_div_zero 0
		.amdhsa_exception_fp_ieee_overflow 0
		.amdhsa_exception_fp_ieee_underflow 0
		.amdhsa_exception_fp_ieee_inexact 0
		.amdhsa_exception_int_div_zero 0
	.end_amdhsa_kernel
	.section	.text._ZN7rocprim17ROCPRIM_400000_NS6detail17trampoline_kernelINS0_14default_configENS1_38merge_sort_block_merge_config_selectorIxxEEZZNS1_27merge_sort_block_merge_implIS3_N6thrust23THRUST_200600_302600_NS6detail15normal_iteratorINS8_10device_ptrIxEEEESD_jNS1_19radix_merge_compareILb0ELb0ExNS0_19identity_decomposerEEEEE10hipError_tT0_T1_T2_jT3_P12ihipStream_tbPNSt15iterator_traitsISI_E10value_typeEPNSO_ISJ_E10value_typeEPSK_NS1_7vsmem_tEENKUlT_SI_SJ_SK_E_clISD_PxSD_S10_EESH_SX_SI_SJ_SK_EUlSX_E0_NS1_11comp_targetILNS1_3genE4ELNS1_11target_archE910ELNS1_3gpuE8ELNS1_3repE0EEENS1_38merge_mergepath_config_static_selectorELNS0_4arch9wavefront6targetE1EEEvSJ_,"axG",@progbits,_ZN7rocprim17ROCPRIM_400000_NS6detail17trampoline_kernelINS0_14default_configENS1_38merge_sort_block_merge_config_selectorIxxEEZZNS1_27merge_sort_block_merge_implIS3_N6thrust23THRUST_200600_302600_NS6detail15normal_iteratorINS8_10device_ptrIxEEEESD_jNS1_19radix_merge_compareILb0ELb0ExNS0_19identity_decomposerEEEEE10hipError_tT0_T1_T2_jT3_P12ihipStream_tbPNSt15iterator_traitsISI_E10value_typeEPNSO_ISJ_E10value_typeEPSK_NS1_7vsmem_tEENKUlT_SI_SJ_SK_E_clISD_PxSD_S10_EESH_SX_SI_SJ_SK_EUlSX_E0_NS1_11comp_targetILNS1_3genE4ELNS1_11target_archE910ELNS1_3gpuE8ELNS1_3repE0EEENS1_38merge_mergepath_config_static_selectorELNS0_4arch9wavefront6targetE1EEEvSJ_,comdat
.Lfunc_end1100:
	.size	_ZN7rocprim17ROCPRIM_400000_NS6detail17trampoline_kernelINS0_14default_configENS1_38merge_sort_block_merge_config_selectorIxxEEZZNS1_27merge_sort_block_merge_implIS3_N6thrust23THRUST_200600_302600_NS6detail15normal_iteratorINS8_10device_ptrIxEEEESD_jNS1_19radix_merge_compareILb0ELb0ExNS0_19identity_decomposerEEEEE10hipError_tT0_T1_T2_jT3_P12ihipStream_tbPNSt15iterator_traitsISI_E10value_typeEPNSO_ISJ_E10value_typeEPSK_NS1_7vsmem_tEENKUlT_SI_SJ_SK_E_clISD_PxSD_S10_EESH_SX_SI_SJ_SK_EUlSX_E0_NS1_11comp_targetILNS1_3genE4ELNS1_11target_archE910ELNS1_3gpuE8ELNS1_3repE0EEENS1_38merge_mergepath_config_static_selectorELNS0_4arch9wavefront6targetE1EEEvSJ_, .Lfunc_end1100-_ZN7rocprim17ROCPRIM_400000_NS6detail17trampoline_kernelINS0_14default_configENS1_38merge_sort_block_merge_config_selectorIxxEEZZNS1_27merge_sort_block_merge_implIS3_N6thrust23THRUST_200600_302600_NS6detail15normal_iteratorINS8_10device_ptrIxEEEESD_jNS1_19radix_merge_compareILb0ELb0ExNS0_19identity_decomposerEEEEE10hipError_tT0_T1_T2_jT3_P12ihipStream_tbPNSt15iterator_traitsISI_E10value_typeEPNSO_ISJ_E10value_typeEPSK_NS1_7vsmem_tEENKUlT_SI_SJ_SK_E_clISD_PxSD_S10_EESH_SX_SI_SJ_SK_EUlSX_E0_NS1_11comp_targetILNS1_3genE4ELNS1_11target_archE910ELNS1_3gpuE8ELNS1_3repE0EEENS1_38merge_mergepath_config_static_selectorELNS0_4arch9wavefront6targetE1EEEvSJ_
                                        ; -- End function
	.set _ZN7rocprim17ROCPRIM_400000_NS6detail17trampoline_kernelINS0_14default_configENS1_38merge_sort_block_merge_config_selectorIxxEEZZNS1_27merge_sort_block_merge_implIS3_N6thrust23THRUST_200600_302600_NS6detail15normal_iteratorINS8_10device_ptrIxEEEESD_jNS1_19radix_merge_compareILb0ELb0ExNS0_19identity_decomposerEEEEE10hipError_tT0_T1_T2_jT3_P12ihipStream_tbPNSt15iterator_traitsISI_E10value_typeEPNSO_ISJ_E10value_typeEPSK_NS1_7vsmem_tEENKUlT_SI_SJ_SK_E_clISD_PxSD_S10_EESH_SX_SI_SJ_SK_EUlSX_E0_NS1_11comp_targetILNS1_3genE4ELNS1_11target_archE910ELNS1_3gpuE8ELNS1_3repE0EEENS1_38merge_mergepath_config_static_selectorELNS0_4arch9wavefront6targetE1EEEvSJ_.num_vgpr, 0
	.set _ZN7rocprim17ROCPRIM_400000_NS6detail17trampoline_kernelINS0_14default_configENS1_38merge_sort_block_merge_config_selectorIxxEEZZNS1_27merge_sort_block_merge_implIS3_N6thrust23THRUST_200600_302600_NS6detail15normal_iteratorINS8_10device_ptrIxEEEESD_jNS1_19radix_merge_compareILb0ELb0ExNS0_19identity_decomposerEEEEE10hipError_tT0_T1_T2_jT3_P12ihipStream_tbPNSt15iterator_traitsISI_E10value_typeEPNSO_ISJ_E10value_typeEPSK_NS1_7vsmem_tEENKUlT_SI_SJ_SK_E_clISD_PxSD_S10_EESH_SX_SI_SJ_SK_EUlSX_E0_NS1_11comp_targetILNS1_3genE4ELNS1_11target_archE910ELNS1_3gpuE8ELNS1_3repE0EEENS1_38merge_mergepath_config_static_selectorELNS0_4arch9wavefront6targetE1EEEvSJ_.num_agpr, 0
	.set _ZN7rocprim17ROCPRIM_400000_NS6detail17trampoline_kernelINS0_14default_configENS1_38merge_sort_block_merge_config_selectorIxxEEZZNS1_27merge_sort_block_merge_implIS3_N6thrust23THRUST_200600_302600_NS6detail15normal_iteratorINS8_10device_ptrIxEEEESD_jNS1_19radix_merge_compareILb0ELb0ExNS0_19identity_decomposerEEEEE10hipError_tT0_T1_T2_jT3_P12ihipStream_tbPNSt15iterator_traitsISI_E10value_typeEPNSO_ISJ_E10value_typeEPSK_NS1_7vsmem_tEENKUlT_SI_SJ_SK_E_clISD_PxSD_S10_EESH_SX_SI_SJ_SK_EUlSX_E0_NS1_11comp_targetILNS1_3genE4ELNS1_11target_archE910ELNS1_3gpuE8ELNS1_3repE0EEENS1_38merge_mergepath_config_static_selectorELNS0_4arch9wavefront6targetE1EEEvSJ_.numbered_sgpr, 0
	.set _ZN7rocprim17ROCPRIM_400000_NS6detail17trampoline_kernelINS0_14default_configENS1_38merge_sort_block_merge_config_selectorIxxEEZZNS1_27merge_sort_block_merge_implIS3_N6thrust23THRUST_200600_302600_NS6detail15normal_iteratorINS8_10device_ptrIxEEEESD_jNS1_19radix_merge_compareILb0ELb0ExNS0_19identity_decomposerEEEEE10hipError_tT0_T1_T2_jT3_P12ihipStream_tbPNSt15iterator_traitsISI_E10value_typeEPNSO_ISJ_E10value_typeEPSK_NS1_7vsmem_tEENKUlT_SI_SJ_SK_E_clISD_PxSD_S10_EESH_SX_SI_SJ_SK_EUlSX_E0_NS1_11comp_targetILNS1_3genE4ELNS1_11target_archE910ELNS1_3gpuE8ELNS1_3repE0EEENS1_38merge_mergepath_config_static_selectorELNS0_4arch9wavefront6targetE1EEEvSJ_.num_named_barrier, 0
	.set _ZN7rocprim17ROCPRIM_400000_NS6detail17trampoline_kernelINS0_14default_configENS1_38merge_sort_block_merge_config_selectorIxxEEZZNS1_27merge_sort_block_merge_implIS3_N6thrust23THRUST_200600_302600_NS6detail15normal_iteratorINS8_10device_ptrIxEEEESD_jNS1_19radix_merge_compareILb0ELb0ExNS0_19identity_decomposerEEEEE10hipError_tT0_T1_T2_jT3_P12ihipStream_tbPNSt15iterator_traitsISI_E10value_typeEPNSO_ISJ_E10value_typeEPSK_NS1_7vsmem_tEENKUlT_SI_SJ_SK_E_clISD_PxSD_S10_EESH_SX_SI_SJ_SK_EUlSX_E0_NS1_11comp_targetILNS1_3genE4ELNS1_11target_archE910ELNS1_3gpuE8ELNS1_3repE0EEENS1_38merge_mergepath_config_static_selectorELNS0_4arch9wavefront6targetE1EEEvSJ_.private_seg_size, 0
	.set _ZN7rocprim17ROCPRIM_400000_NS6detail17trampoline_kernelINS0_14default_configENS1_38merge_sort_block_merge_config_selectorIxxEEZZNS1_27merge_sort_block_merge_implIS3_N6thrust23THRUST_200600_302600_NS6detail15normal_iteratorINS8_10device_ptrIxEEEESD_jNS1_19radix_merge_compareILb0ELb0ExNS0_19identity_decomposerEEEEE10hipError_tT0_T1_T2_jT3_P12ihipStream_tbPNSt15iterator_traitsISI_E10value_typeEPNSO_ISJ_E10value_typeEPSK_NS1_7vsmem_tEENKUlT_SI_SJ_SK_E_clISD_PxSD_S10_EESH_SX_SI_SJ_SK_EUlSX_E0_NS1_11comp_targetILNS1_3genE4ELNS1_11target_archE910ELNS1_3gpuE8ELNS1_3repE0EEENS1_38merge_mergepath_config_static_selectorELNS0_4arch9wavefront6targetE1EEEvSJ_.uses_vcc, 0
	.set _ZN7rocprim17ROCPRIM_400000_NS6detail17trampoline_kernelINS0_14default_configENS1_38merge_sort_block_merge_config_selectorIxxEEZZNS1_27merge_sort_block_merge_implIS3_N6thrust23THRUST_200600_302600_NS6detail15normal_iteratorINS8_10device_ptrIxEEEESD_jNS1_19radix_merge_compareILb0ELb0ExNS0_19identity_decomposerEEEEE10hipError_tT0_T1_T2_jT3_P12ihipStream_tbPNSt15iterator_traitsISI_E10value_typeEPNSO_ISJ_E10value_typeEPSK_NS1_7vsmem_tEENKUlT_SI_SJ_SK_E_clISD_PxSD_S10_EESH_SX_SI_SJ_SK_EUlSX_E0_NS1_11comp_targetILNS1_3genE4ELNS1_11target_archE910ELNS1_3gpuE8ELNS1_3repE0EEENS1_38merge_mergepath_config_static_selectorELNS0_4arch9wavefront6targetE1EEEvSJ_.uses_flat_scratch, 0
	.set _ZN7rocprim17ROCPRIM_400000_NS6detail17trampoline_kernelINS0_14default_configENS1_38merge_sort_block_merge_config_selectorIxxEEZZNS1_27merge_sort_block_merge_implIS3_N6thrust23THRUST_200600_302600_NS6detail15normal_iteratorINS8_10device_ptrIxEEEESD_jNS1_19radix_merge_compareILb0ELb0ExNS0_19identity_decomposerEEEEE10hipError_tT0_T1_T2_jT3_P12ihipStream_tbPNSt15iterator_traitsISI_E10value_typeEPNSO_ISJ_E10value_typeEPSK_NS1_7vsmem_tEENKUlT_SI_SJ_SK_E_clISD_PxSD_S10_EESH_SX_SI_SJ_SK_EUlSX_E0_NS1_11comp_targetILNS1_3genE4ELNS1_11target_archE910ELNS1_3gpuE8ELNS1_3repE0EEENS1_38merge_mergepath_config_static_selectorELNS0_4arch9wavefront6targetE1EEEvSJ_.has_dyn_sized_stack, 0
	.set _ZN7rocprim17ROCPRIM_400000_NS6detail17trampoline_kernelINS0_14default_configENS1_38merge_sort_block_merge_config_selectorIxxEEZZNS1_27merge_sort_block_merge_implIS3_N6thrust23THRUST_200600_302600_NS6detail15normal_iteratorINS8_10device_ptrIxEEEESD_jNS1_19radix_merge_compareILb0ELb0ExNS0_19identity_decomposerEEEEE10hipError_tT0_T1_T2_jT3_P12ihipStream_tbPNSt15iterator_traitsISI_E10value_typeEPNSO_ISJ_E10value_typeEPSK_NS1_7vsmem_tEENKUlT_SI_SJ_SK_E_clISD_PxSD_S10_EESH_SX_SI_SJ_SK_EUlSX_E0_NS1_11comp_targetILNS1_3genE4ELNS1_11target_archE910ELNS1_3gpuE8ELNS1_3repE0EEENS1_38merge_mergepath_config_static_selectorELNS0_4arch9wavefront6targetE1EEEvSJ_.has_recursion, 0
	.set _ZN7rocprim17ROCPRIM_400000_NS6detail17trampoline_kernelINS0_14default_configENS1_38merge_sort_block_merge_config_selectorIxxEEZZNS1_27merge_sort_block_merge_implIS3_N6thrust23THRUST_200600_302600_NS6detail15normal_iteratorINS8_10device_ptrIxEEEESD_jNS1_19radix_merge_compareILb0ELb0ExNS0_19identity_decomposerEEEEE10hipError_tT0_T1_T2_jT3_P12ihipStream_tbPNSt15iterator_traitsISI_E10value_typeEPNSO_ISJ_E10value_typeEPSK_NS1_7vsmem_tEENKUlT_SI_SJ_SK_E_clISD_PxSD_S10_EESH_SX_SI_SJ_SK_EUlSX_E0_NS1_11comp_targetILNS1_3genE4ELNS1_11target_archE910ELNS1_3gpuE8ELNS1_3repE0EEENS1_38merge_mergepath_config_static_selectorELNS0_4arch9wavefront6targetE1EEEvSJ_.has_indirect_call, 0
	.section	.AMDGPU.csdata,"",@progbits
; Kernel info:
; codeLenInByte = 0
; TotalNumSgprs: 6
; NumVgprs: 0
; NumAgprs: 0
; TotalNumVgprs: 0
; ScratchSize: 0
; MemoryBound: 0
; FloatMode: 240
; IeeeMode: 1
; LDSByteSize: 0 bytes/workgroup (compile time only)
; SGPRBlocks: 0
; VGPRBlocks: 0
; NumSGPRsForWavesPerEU: 6
; NumVGPRsForWavesPerEU: 1
; AccumOffset: 4
; Occupancy: 8
; WaveLimiterHint : 0
; COMPUTE_PGM_RSRC2:SCRATCH_EN: 0
; COMPUTE_PGM_RSRC2:USER_SGPR: 2
; COMPUTE_PGM_RSRC2:TRAP_HANDLER: 0
; COMPUTE_PGM_RSRC2:TGID_X_EN: 1
; COMPUTE_PGM_RSRC2:TGID_Y_EN: 0
; COMPUTE_PGM_RSRC2:TGID_Z_EN: 0
; COMPUTE_PGM_RSRC2:TIDIG_COMP_CNT: 0
; COMPUTE_PGM_RSRC3_GFX90A:ACCUM_OFFSET: 0
; COMPUTE_PGM_RSRC3_GFX90A:TG_SPLIT: 0
	.section	.text._ZN7rocprim17ROCPRIM_400000_NS6detail17trampoline_kernelINS0_14default_configENS1_38merge_sort_block_merge_config_selectorIxxEEZZNS1_27merge_sort_block_merge_implIS3_N6thrust23THRUST_200600_302600_NS6detail15normal_iteratorINS8_10device_ptrIxEEEESD_jNS1_19radix_merge_compareILb0ELb0ExNS0_19identity_decomposerEEEEE10hipError_tT0_T1_T2_jT3_P12ihipStream_tbPNSt15iterator_traitsISI_E10value_typeEPNSO_ISJ_E10value_typeEPSK_NS1_7vsmem_tEENKUlT_SI_SJ_SK_E_clISD_PxSD_S10_EESH_SX_SI_SJ_SK_EUlSX_E0_NS1_11comp_targetILNS1_3genE3ELNS1_11target_archE908ELNS1_3gpuE7ELNS1_3repE0EEENS1_38merge_mergepath_config_static_selectorELNS0_4arch9wavefront6targetE1EEEvSJ_,"axG",@progbits,_ZN7rocprim17ROCPRIM_400000_NS6detail17trampoline_kernelINS0_14default_configENS1_38merge_sort_block_merge_config_selectorIxxEEZZNS1_27merge_sort_block_merge_implIS3_N6thrust23THRUST_200600_302600_NS6detail15normal_iteratorINS8_10device_ptrIxEEEESD_jNS1_19radix_merge_compareILb0ELb0ExNS0_19identity_decomposerEEEEE10hipError_tT0_T1_T2_jT3_P12ihipStream_tbPNSt15iterator_traitsISI_E10value_typeEPNSO_ISJ_E10value_typeEPSK_NS1_7vsmem_tEENKUlT_SI_SJ_SK_E_clISD_PxSD_S10_EESH_SX_SI_SJ_SK_EUlSX_E0_NS1_11comp_targetILNS1_3genE3ELNS1_11target_archE908ELNS1_3gpuE7ELNS1_3repE0EEENS1_38merge_mergepath_config_static_selectorELNS0_4arch9wavefront6targetE1EEEvSJ_,comdat
	.protected	_ZN7rocprim17ROCPRIM_400000_NS6detail17trampoline_kernelINS0_14default_configENS1_38merge_sort_block_merge_config_selectorIxxEEZZNS1_27merge_sort_block_merge_implIS3_N6thrust23THRUST_200600_302600_NS6detail15normal_iteratorINS8_10device_ptrIxEEEESD_jNS1_19radix_merge_compareILb0ELb0ExNS0_19identity_decomposerEEEEE10hipError_tT0_T1_T2_jT3_P12ihipStream_tbPNSt15iterator_traitsISI_E10value_typeEPNSO_ISJ_E10value_typeEPSK_NS1_7vsmem_tEENKUlT_SI_SJ_SK_E_clISD_PxSD_S10_EESH_SX_SI_SJ_SK_EUlSX_E0_NS1_11comp_targetILNS1_3genE3ELNS1_11target_archE908ELNS1_3gpuE7ELNS1_3repE0EEENS1_38merge_mergepath_config_static_selectorELNS0_4arch9wavefront6targetE1EEEvSJ_ ; -- Begin function _ZN7rocprim17ROCPRIM_400000_NS6detail17trampoline_kernelINS0_14default_configENS1_38merge_sort_block_merge_config_selectorIxxEEZZNS1_27merge_sort_block_merge_implIS3_N6thrust23THRUST_200600_302600_NS6detail15normal_iteratorINS8_10device_ptrIxEEEESD_jNS1_19radix_merge_compareILb0ELb0ExNS0_19identity_decomposerEEEEE10hipError_tT0_T1_T2_jT3_P12ihipStream_tbPNSt15iterator_traitsISI_E10value_typeEPNSO_ISJ_E10value_typeEPSK_NS1_7vsmem_tEENKUlT_SI_SJ_SK_E_clISD_PxSD_S10_EESH_SX_SI_SJ_SK_EUlSX_E0_NS1_11comp_targetILNS1_3genE3ELNS1_11target_archE908ELNS1_3gpuE7ELNS1_3repE0EEENS1_38merge_mergepath_config_static_selectorELNS0_4arch9wavefront6targetE1EEEvSJ_
	.globl	_ZN7rocprim17ROCPRIM_400000_NS6detail17trampoline_kernelINS0_14default_configENS1_38merge_sort_block_merge_config_selectorIxxEEZZNS1_27merge_sort_block_merge_implIS3_N6thrust23THRUST_200600_302600_NS6detail15normal_iteratorINS8_10device_ptrIxEEEESD_jNS1_19radix_merge_compareILb0ELb0ExNS0_19identity_decomposerEEEEE10hipError_tT0_T1_T2_jT3_P12ihipStream_tbPNSt15iterator_traitsISI_E10value_typeEPNSO_ISJ_E10value_typeEPSK_NS1_7vsmem_tEENKUlT_SI_SJ_SK_E_clISD_PxSD_S10_EESH_SX_SI_SJ_SK_EUlSX_E0_NS1_11comp_targetILNS1_3genE3ELNS1_11target_archE908ELNS1_3gpuE7ELNS1_3repE0EEENS1_38merge_mergepath_config_static_selectorELNS0_4arch9wavefront6targetE1EEEvSJ_
	.p2align	8
	.type	_ZN7rocprim17ROCPRIM_400000_NS6detail17trampoline_kernelINS0_14default_configENS1_38merge_sort_block_merge_config_selectorIxxEEZZNS1_27merge_sort_block_merge_implIS3_N6thrust23THRUST_200600_302600_NS6detail15normal_iteratorINS8_10device_ptrIxEEEESD_jNS1_19radix_merge_compareILb0ELb0ExNS0_19identity_decomposerEEEEE10hipError_tT0_T1_T2_jT3_P12ihipStream_tbPNSt15iterator_traitsISI_E10value_typeEPNSO_ISJ_E10value_typeEPSK_NS1_7vsmem_tEENKUlT_SI_SJ_SK_E_clISD_PxSD_S10_EESH_SX_SI_SJ_SK_EUlSX_E0_NS1_11comp_targetILNS1_3genE3ELNS1_11target_archE908ELNS1_3gpuE7ELNS1_3repE0EEENS1_38merge_mergepath_config_static_selectorELNS0_4arch9wavefront6targetE1EEEvSJ_,@function
_ZN7rocprim17ROCPRIM_400000_NS6detail17trampoline_kernelINS0_14default_configENS1_38merge_sort_block_merge_config_selectorIxxEEZZNS1_27merge_sort_block_merge_implIS3_N6thrust23THRUST_200600_302600_NS6detail15normal_iteratorINS8_10device_ptrIxEEEESD_jNS1_19radix_merge_compareILb0ELb0ExNS0_19identity_decomposerEEEEE10hipError_tT0_T1_T2_jT3_P12ihipStream_tbPNSt15iterator_traitsISI_E10value_typeEPNSO_ISJ_E10value_typeEPSK_NS1_7vsmem_tEENKUlT_SI_SJ_SK_E_clISD_PxSD_S10_EESH_SX_SI_SJ_SK_EUlSX_E0_NS1_11comp_targetILNS1_3genE3ELNS1_11target_archE908ELNS1_3gpuE7ELNS1_3repE0EEENS1_38merge_mergepath_config_static_selectorELNS0_4arch9wavefront6targetE1EEEvSJ_: ; @_ZN7rocprim17ROCPRIM_400000_NS6detail17trampoline_kernelINS0_14default_configENS1_38merge_sort_block_merge_config_selectorIxxEEZZNS1_27merge_sort_block_merge_implIS3_N6thrust23THRUST_200600_302600_NS6detail15normal_iteratorINS8_10device_ptrIxEEEESD_jNS1_19radix_merge_compareILb0ELb0ExNS0_19identity_decomposerEEEEE10hipError_tT0_T1_T2_jT3_P12ihipStream_tbPNSt15iterator_traitsISI_E10value_typeEPNSO_ISJ_E10value_typeEPSK_NS1_7vsmem_tEENKUlT_SI_SJ_SK_E_clISD_PxSD_S10_EESH_SX_SI_SJ_SK_EUlSX_E0_NS1_11comp_targetILNS1_3genE3ELNS1_11target_archE908ELNS1_3gpuE7ELNS1_3repE0EEENS1_38merge_mergepath_config_static_selectorELNS0_4arch9wavefront6targetE1EEEvSJ_
; %bb.0:
	.section	.rodata,"a",@progbits
	.p2align	6, 0x0
	.amdhsa_kernel _ZN7rocprim17ROCPRIM_400000_NS6detail17trampoline_kernelINS0_14default_configENS1_38merge_sort_block_merge_config_selectorIxxEEZZNS1_27merge_sort_block_merge_implIS3_N6thrust23THRUST_200600_302600_NS6detail15normal_iteratorINS8_10device_ptrIxEEEESD_jNS1_19radix_merge_compareILb0ELb0ExNS0_19identity_decomposerEEEEE10hipError_tT0_T1_T2_jT3_P12ihipStream_tbPNSt15iterator_traitsISI_E10value_typeEPNSO_ISJ_E10value_typeEPSK_NS1_7vsmem_tEENKUlT_SI_SJ_SK_E_clISD_PxSD_S10_EESH_SX_SI_SJ_SK_EUlSX_E0_NS1_11comp_targetILNS1_3genE3ELNS1_11target_archE908ELNS1_3gpuE7ELNS1_3repE0EEENS1_38merge_mergepath_config_static_selectorELNS0_4arch9wavefront6targetE1EEEvSJ_
		.amdhsa_group_segment_fixed_size 0
		.amdhsa_private_segment_fixed_size 0
		.amdhsa_kernarg_size 64
		.amdhsa_user_sgpr_count 2
		.amdhsa_user_sgpr_dispatch_ptr 0
		.amdhsa_user_sgpr_queue_ptr 0
		.amdhsa_user_sgpr_kernarg_segment_ptr 1
		.amdhsa_user_sgpr_dispatch_id 0
		.amdhsa_user_sgpr_kernarg_preload_length 0
		.amdhsa_user_sgpr_kernarg_preload_offset 0
		.amdhsa_user_sgpr_private_segment_size 0
		.amdhsa_uses_dynamic_stack 0
		.amdhsa_enable_private_segment 0
		.amdhsa_system_sgpr_workgroup_id_x 1
		.amdhsa_system_sgpr_workgroup_id_y 0
		.amdhsa_system_sgpr_workgroup_id_z 0
		.amdhsa_system_sgpr_workgroup_info 0
		.amdhsa_system_vgpr_workitem_id 0
		.amdhsa_next_free_vgpr 1
		.amdhsa_next_free_sgpr 0
		.amdhsa_accum_offset 4
		.amdhsa_reserve_vcc 0
		.amdhsa_float_round_mode_32 0
		.amdhsa_float_round_mode_16_64 0
		.amdhsa_float_denorm_mode_32 3
		.amdhsa_float_denorm_mode_16_64 3
		.amdhsa_dx10_clamp 1
		.amdhsa_ieee_mode 1
		.amdhsa_fp16_overflow 0
		.amdhsa_tg_split 0
		.amdhsa_exception_fp_ieee_invalid_op 0
		.amdhsa_exception_fp_denorm_src 0
		.amdhsa_exception_fp_ieee_div_zero 0
		.amdhsa_exception_fp_ieee_overflow 0
		.amdhsa_exception_fp_ieee_underflow 0
		.amdhsa_exception_fp_ieee_inexact 0
		.amdhsa_exception_int_div_zero 0
	.end_amdhsa_kernel
	.section	.text._ZN7rocprim17ROCPRIM_400000_NS6detail17trampoline_kernelINS0_14default_configENS1_38merge_sort_block_merge_config_selectorIxxEEZZNS1_27merge_sort_block_merge_implIS3_N6thrust23THRUST_200600_302600_NS6detail15normal_iteratorINS8_10device_ptrIxEEEESD_jNS1_19radix_merge_compareILb0ELb0ExNS0_19identity_decomposerEEEEE10hipError_tT0_T1_T2_jT3_P12ihipStream_tbPNSt15iterator_traitsISI_E10value_typeEPNSO_ISJ_E10value_typeEPSK_NS1_7vsmem_tEENKUlT_SI_SJ_SK_E_clISD_PxSD_S10_EESH_SX_SI_SJ_SK_EUlSX_E0_NS1_11comp_targetILNS1_3genE3ELNS1_11target_archE908ELNS1_3gpuE7ELNS1_3repE0EEENS1_38merge_mergepath_config_static_selectorELNS0_4arch9wavefront6targetE1EEEvSJ_,"axG",@progbits,_ZN7rocprim17ROCPRIM_400000_NS6detail17trampoline_kernelINS0_14default_configENS1_38merge_sort_block_merge_config_selectorIxxEEZZNS1_27merge_sort_block_merge_implIS3_N6thrust23THRUST_200600_302600_NS6detail15normal_iteratorINS8_10device_ptrIxEEEESD_jNS1_19radix_merge_compareILb0ELb0ExNS0_19identity_decomposerEEEEE10hipError_tT0_T1_T2_jT3_P12ihipStream_tbPNSt15iterator_traitsISI_E10value_typeEPNSO_ISJ_E10value_typeEPSK_NS1_7vsmem_tEENKUlT_SI_SJ_SK_E_clISD_PxSD_S10_EESH_SX_SI_SJ_SK_EUlSX_E0_NS1_11comp_targetILNS1_3genE3ELNS1_11target_archE908ELNS1_3gpuE7ELNS1_3repE0EEENS1_38merge_mergepath_config_static_selectorELNS0_4arch9wavefront6targetE1EEEvSJ_,comdat
.Lfunc_end1101:
	.size	_ZN7rocprim17ROCPRIM_400000_NS6detail17trampoline_kernelINS0_14default_configENS1_38merge_sort_block_merge_config_selectorIxxEEZZNS1_27merge_sort_block_merge_implIS3_N6thrust23THRUST_200600_302600_NS6detail15normal_iteratorINS8_10device_ptrIxEEEESD_jNS1_19radix_merge_compareILb0ELb0ExNS0_19identity_decomposerEEEEE10hipError_tT0_T1_T2_jT3_P12ihipStream_tbPNSt15iterator_traitsISI_E10value_typeEPNSO_ISJ_E10value_typeEPSK_NS1_7vsmem_tEENKUlT_SI_SJ_SK_E_clISD_PxSD_S10_EESH_SX_SI_SJ_SK_EUlSX_E0_NS1_11comp_targetILNS1_3genE3ELNS1_11target_archE908ELNS1_3gpuE7ELNS1_3repE0EEENS1_38merge_mergepath_config_static_selectorELNS0_4arch9wavefront6targetE1EEEvSJ_, .Lfunc_end1101-_ZN7rocprim17ROCPRIM_400000_NS6detail17trampoline_kernelINS0_14default_configENS1_38merge_sort_block_merge_config_selectorIxxEEZZNS1_27merge_sort_block_merge_implIS3_N6thrust23THRUST_200600_302600_NS6detail15normal_iteratorINS8_10device_ptrIxEEEESD_jNS1_19radix_merge_compareILb0ELb0ExNS0_19identity_decomposerEEEEE10hipError_tT0_T1_T2_jT3_P12ihipStream_tbPNSt15iterator_traitsISI_E10value_typeEPNSO_ISJ_E10value_typeEPSK_NS1_7vsmem_tEENKUlT_SI_SJ_SK_E_clISD_PxSD_S10_EESH_SX_SI_SJ_SK_EUlSX_E0_NS1_11comp_targetILNS1_3genE3ELNS1_11target_archE908ELNS1_3gpuE7ELNS1_3repE0EEENS1_38merge_mergepath_config_static_selectorELNS0_4arch9wavefront6targetE1EEEvSJ_
                                        ; -- End function
	.set _ZN7rocprim17ROCPRIM_400000_NS6detail17trampoline_kernelINS0_14default_configENS1_38merge_sort_block_merge_config_selectorIxxEEZZNS1_27merge_sort_block_merge_implIS3_N6thrust23THRUST_200600_302600_NS6detail15normal_iteratorINS8_10device_ptrIxEEEESD_jNS1_19radix_merge_compareILb0ELb0ExNS0_19identity_decomposerEEEEE10hipError_tT0_T1_T2_jT3_P12ihipStream_tbPNSt15iterator_traitsISI_E10value_typeEPNSO_ISJ_E10value_typeEPSK_NS1_7vsmem_tEENKUlT_SI_SJ_SK_E_clISD_PxSD_S10_EESH_SX_SI_SJ_SK_EUlSX_E0_NS1_11comp_targetILNS1_3genE3ELNS1_11target_archE908ELNS1_3gpuE7ELNS1_3repE0EEENS1_38merge_mergepath_config_static_selectorELNS0_4arch9wavefront6targetE1EEEvSJ_.num_vgpr, 0
	.set _ZN7rocprim17ROCPRIM_400000_NS6detail17trampoline_kernelINS0_14default_configENS1_38merge_sort_block_merge_config_selectorIxxEEZZNS1_27merge_sort_block_merge_implIS3_N6thrust23THRUST_200600_302600_NS6detail15normal_iteratorINS8_10device_ptrIxEEEESD_jNS1_19radix_merge_compareILb0ELb0ExNS0_19identity_decomposerEEEEE10hipError_tT0_T1_T2_jT3_P12ihipStream_tbPNSt15iterator_traitsISI_E10value_typeEPNSO_ISJ_E10value_typeEPSK_NS1_7vsmem_tEENKUlT_SI_SJ_SK_E_clISD_PxSD_S10_EESH_SX_SI_SJ_SK_EUlSX_E0_NS1_11comp_targetILNS1_3genE3ELNS1_11target_archE908ELNS1_3gpuE7ELNS1_3repE0EEENS1_38merge_mergepath_config_static_selectorELNS0_4arch9wavefront6targetE1EEEvSJ_.num_agpr, 0
	.set _ZN7rocprim17ROCPRIM_400000_NS6detail17trampoline_kernelINS0_14default_configENS1_38merge_sort_block_merge_config_selectorIxxEEZZNS1_27merge_sort_block_merge_implIS3_N6thrust23THRUST_200600_302600_NS6detail15normal_iteratorINS8_10device_ptrIxEEEESD_jNS1_19radix_merge_compareILb0ELb0ExNS0_19identity_decomposerEEEEE10hipError_tT0_T1_T2_jT3_P12ihipStream_tbPNSt15iterator_traitsISI_E10value_typeEPNSO_ISJ_E10value_typeEPSK_NS1_7vsmem_tEENKUlT_SI_SJ_SK_E_clISD_PxSD_S10_EESH_SX_SI_SJ_SK_EUlSX_E0_NS1_11comp_targetILNS1_3genE3ELNS1_11target_archE908ELNS1_3gpuE7ELNS1_3repE0EEENS1_38merge_mergepath_config_static_selectorELNS0_4arch9wavefront6targetE1EEEvSJ_.numbered_sgpr, 0
	.set _ZN7rocprim17ROCPRIM_400000_NS6detail17trampoline_kernelINS0_14default_configENS1_38merge_sort_block_merge_config_selectorIxxEEZZNS1_27merge_sort_block_merge_implIS3_N6thrust23THRUST_200600_302600_NS6detail15normal_iteratorINS8_10device_ptrIxEEEESD_jNS1_19radix_merge_compareILb0ELb0ExNS0_19identity_decomposerEEEEE10hipError_tT0_T1_T2_jT3_P12ihipStream_tbPNSt15iterator_traitsISI_E10value_typeEPNSO_ISJ_E10value_typeEPSK_NS1_7vsmem_tEENKUlT_SI_SJ_SK_E_clISD_PxSD_S10_EESH_SX_SI_SJ_SK_EUlSX_E0_NS1_11comp_targetILNS1_3genE3ELNS1_11target_archE908ELNS1_3gpuE7ELNS1_3repE0EEENS1_38merge_mergepath_config_static_selectorELNS0_4arch9wavefront6targetE1EEEvSJ_.num_named_barrier, 0
	.set _ZN7rocprim17ROCPRIM_400000_NS6detail17trampoline_kernelINS0_14default_configENS1_38merge_sort_block_merge_config_selectorIxxEEZZNS1_27merge_sort_block_merge_implIS3_N6thrust23THRUST_200600_302600_NS6detail15normal_iteratorINS8_10device_ptrIxEEEESD_jNS1_19radix_merge_compareILb0ELb0ExNS0_19identity_decomposerEEEEE10hipError_tT0_T1_T2_jT3_P12ihipStream_tbPNSt15iterator_traitsISI_E10value_typeEPNSO_ISJ_E10value_typeEPSK_NS1_7vsmem_tEENKUlT_SI_SJ_SK_E_clISD_PxSD_S10_EESH_SX_SI_SJ_SK_EUlSX_E0_NS1_11comp_targetILNS1_3genE3ELNS1_11target_archE908ELNS1_3gpuE7ELNS1_3repE0EEENS1_38merge_mergepath_config_static_selectorELNS0_4arch9wavefront6targetE1EEEvSJ_.private_seg_size, 0
	.set _ZN7rocprim17ROCPRIM_400000_NS6detail17trampoline_kernelINS0_14default_configENS1_38merge_sort_block_merge_config_selectorIxxEEZZNS1_27merge_sort_block_merge_implIS3_N6thrust23THRUST_200600_302600_NS6detail15normal_iteratorINS8_10device_ptrIxEEEESD_jNS1_19radix_merge_compareILb0ELb0ExNS0_19identity_decomposerEEEEE10hipError_tT0_T1_T2_jT3_P12ihipStream_tbPNSt15iterator_traitsISI_E10value_typeEPNSO_ISJ_E10value_typeEPSK_NS1_7vsmem_tEENKUlT_SI_SJ_SK_E_clISD_PxSD_S10_EESH_SX_SI_SJ_SK_EUlSX_E0_NS1_11comp_targetILNS1_3genE3ELNS1_11target_archE908ELNS1_3gpuE7ELNS1_3repE0EEENS1_38merge_mergepath_config_static_selectorELNS0_4arch9wavefront6targetE1EEEvSJ_.uses_vcc, 0
	.set _ZN7rocprim17ROCPRIM_400000_NS6detail17trampoline_kernelINS0_14default_configENS1_38merge_sort_block_merge_config_selectorIxxEEZZNS1_27merge_sort_block_merge_implIS3_N6thrust23THRUST_200600_302600_NS6detail15normal_iteratorINS8_10device_ptrIxEEEESD_jNS1_19radix_merge_compareILb0ELb0ExNS0_19identity_decomposerEEEEE10hipError_tT0_T1_T2_jT3_P12ihipStream_tbPNSt15iterator_traitsISI_E10value_typeEPNSO_ISJ_E10value_typeEPSK_NS1_7vsmem_tEENKUlT_SI_SJ_SK_E_clISD_PxSD_S10_EESH_SX_SI_SJ_SK_EUlSX_E0_NS1_11comp_targetILNS1_3genE3ELNS1_11target_archE908ELNS1_3gpuE7ELNS1_3repE0EEENS1_38merge_mergepath_config_static_selectorELNS0_4arch9wavefront6targetE1EEEvSJ_.uses_flat_scratch, 0
	.set _ZN7rocprim17ROCPRIM_400000_NS6detail17trampoline_kernelINS0_14default_configENS1_38merge_sort_block_merge_config_selectorIxxEEZZNS1_27merge_sort_block_merge_implIS3_N6thrust23THRUST_200600_302600_NS6detail15normal_iteratorINS8_10device_ptrIxEEEESD_jNS1_19radix_merge_compareILb0ELb0ExNS0_19identity_decomposerEEEEE10hipError_tT0_T1_T2_jT3_P12ihipStream_tbPNSt15iterator_traitsISI_E10value_typeEPNSO_ISJ_E10value_typeEPSK_NS1_7vsmem_tEENKUlT_SI_SJ_SK_E_clISD_PxSD_S10_EESH_SX_SI_SJ_SK_EUlSX_E0_NS1_11comp_targetILNS1_3genE3ELNS1_11target_archE908ELNS1_3gpuE7ELNS1_3repE0EEENS1_38merge_mergepath_config_static_selectorELNS0_4arch9wavefront6targetE1EEEvSJ_.has_dyn_sized_stack, 0
	.set _ZN7rocprim17ROCPRIM_400000_NS6detail17trampoline_kernelINS0_14default_configENS1_38merge_sort_block_merge_config_selectorIxxEEZZNS1_27merge_sort_block_merge_implIS3_N6thrust23THRUST_200600_302600_NS6detail15normal_iteratorINS8_10device_ptrIxEEEESD_jNS1_19radix_merge_compareILb0ELb0ExNS0_19identity_decomposerEEEEE10hipError_tT0_T1_T2_jT3_P12ihipStream_tbPNSt15iterator_traitsISI_E10value_typeEPNSO_ISJ_E10value_typeEPSK_NS1_7vsmem_tEENKUlT_SI_SJ_SK_E_clISD_PxSD_S10_EESH_SX_SI_SJ_SK_EUlSX_E0_NS1_11comp_targetILNS1_3genE3ELNS1_11target_archE908ELNS1_3gpuE7ELNS1_3repE0EEENS1_38merge_mergepath_config_static_selectorELNS0_4arch9wavefront6targetE1EEEvSJ_.has_recursion, 0
	.set _ZN7rocprim17ROCPRIM_400000_NS6detail17trampoline_kernelINS0_14default_configENS1_38merge_sort_block_merge_config_selectorIxxEEZZNS1_27merge_sort_block_merge_implIS3_N6thrust23THRUST_200600_302600_NS6detail15normal_iteratorINS8_10device_ptrIxEEEESD_jNS1_19radix_merge_compareILb0ELb0ExNS0_19identity_decomposerEEEEE10hipError_tT0_T1_T2_jT3_P12ihipStream_tbPNSt15iterator_traitsISI_E10value_typeEPNSO_ISJ_E10value_typeEPSK_NS1_7vsmem_tEENKUlT_SI_SJ_SK_E_clISD_PxSD_S10_EESH_SX_SI_SJ_SK_EUlSX_E0_NS1_11comp_targetILNS1_3genE3ELNS1_11target_archE908ELNS1_3gpuE7ELNS1_3repE0EEENS1_38merge_mergepath_config_static_selectorELNS0_4arch9wavefront6targetE1EEEvSJ_.has_indirect_call, 0
	.section	.AMDGPU.csdata,"",@progbits
; Kernel info:
; codeLenInByte = 0
; TotalNumSgprs: 6
; NumVgprs: 0
; NumAgprs: 0
; TotalNumVgprs: 0
; ScratchSize: 0
; MemoryBound: 0
; FloatMode: 240
; IeeeMode: 1
; LDSByteSize: 0 bytes/workgroup (compile time only)
; SGPRBlocks: 0
; VGPRBlocks: 0
; NumSGPRsForWavesPerEU: 6
; NumVGPRsForWavesPerEU: 1
; AccumOffset: 4
; Occupancy: 8
; WaveLimiterHint : 0
; COMPUTE_PGM_RSRC2:SCRATCH_EN: 0
; COMPUTE_PGM_RSRC2:USER_SGPR: 2
; COMPUTE_PGM_RSRC2:TRAP_HANDLER: 0
; COMPUTE_PGM_RSRC2:TGID_X_EN: 1
; COMPUTE_PGM_RSRC2:TGID_Y_EN: 0
; COMPUTE_PGM_RSRC2:TGID_Z_EN: 0
; COMPUTE_PGM_RSRC2:TIDIG_COMP_CNT: 0
; COMPUTE_PGM_RSRC3_GFX90A:ACCUM_OFFSET: 0
; COMPUTE_PGM_RSRC3_GFX90A:TG_SPLIT: 0
	.section	.text._ZN7rocprim17ROCPRIM_400000_NS6detail17trampoline_kernelINS0_14default_configENS1_38merge_sort_block_merge_config_selectorIxxEEZZNS1_27merge_sort_block_merge_implIS3_N6thrust23THRUST_200600_302600_NS6detail15normal_iteratorINS8_10device_ptrIxEEEESD_jNS1_19radix_merge_compareILb0ELb0ExNS0_19identity_decomposerEEEEE10hipError_tT0_T1_T2_jT3_P12ihipStream_tbPNSt15iterator_traitsISI_E10value_typeEPNSO_ISJ_E10value_typeEPSK_NS1_7vsmem_tEENKUlT_SI_SJ_SK_E_clISD_PxSD_S10_EESH_SX_SI_SJ_SK_EUlSX_E0_NS1_11comp_targetILNS1_3genE2ELNS1_11target_archE906ELNS1_3gpuE6ELNS1_3repE0EEENS1_38merge_mergepath_config_static_selectorELNS0_4arch9wavefront6targetE1EEEvSJ_,"axG",@progbits,_ZN7rocprim17ROCPRIM_400000_NS6detail17trampoline_kernelINS0_14default_configENS1_38merge_sort_block_merge_config_selectorIxxEEZZNS1_27merge_sort_block_merge_implIS3_N6thrust23THRUST_200600_302600_NS6detail15normal_iteratorINS8_10device_ptrIxEEEESD_jNS1_19radix_merge_compareILb0ELb0ExNS0_19identity_decomposerEEEEE10hipError_tT0_T1_T2_jT3_P12ihipStream_tbPNSt15iterator_traitsISI_E10value_typeEPNSO_ISJ_E10value_typeEPSK_NS1_7vsmem_tEENKUlT_SI_SJ_SK_E_clISD_PxSD_S10_EESH_SX_SI_SJ_SK_EUlSX_E0_NS1_11comp_targetILNS1_3genE2ELNS1_11target_archE906ELNS1_3gpuE6ELNS1_3repE0EEENS1_38merge_mergepath_config_static_selectorELNS0_4arch9wavefront6targetE1EEEvSJ_,comdat
	.protected	_ZN7rocprim17ROCPRIM_400000_NS6detail17trampoline_kernelINS0_14default_configENS1_38merge_sort_block_merge_config_selectorIxxEEZZNS1_27merge_sort_block_merge_implIS3_N6thrust23THRUST_200600_302600_NS6detail15normal_iteratorINS8_10device_ptrIxEEEESD_jNS1_19radix_merge_compareILb0ELb0ExNS0_19identity_decomposerEEEEE10hipError_tT0_T1_T2_jT3_P12ihipStream_tbPNSt15iterator_traitsISI_E10value_typeEPNSO_ISJ_E10value_typeEPSK_NS1_7vsmem_tEENKUlT_SI_SJ_SK_E_clISD_PxSD_S10_EESH_SX_SI_SJ_SK_EUlSX_E0_NS1_11comp_targetILNS1_3genE2ELNS1_11target_archE906ELNS1_3gpuE6ELNS1_3repE0EEENS1_38merge_mergepath_config_static_selectorELNS0_4arch9wavefront6targetE1EEEvSJ_ ; -- Begin function _ZN7rocprim17ROCPRIM_400000_NS6detail17trampoline_kernelINS0_14default_configENS1_38merge_sort_block_merge_config_selectorIxxEEZZNS1_27merge_sort_block_merge_implIS3_N6thrust23THRUST_200600_302600_NS6detail15normal_iteratorINS8_10device_ptrIxEEEESD_jNS1_19radix_merge_compareILb0ELb0ExNS0_19identity_decomposerEEEEE10hipError_tT0_T1_T2_jT3_P12ihipStream_tbPNSt15iterator_traitsISI_E10value_typeEPNSO_ISJ_E10value_typeEPSK_NS1_7vsmem_tEENKUlT_SI_SJ_SK_E_clISD_PxSD_S10_EESH_SX_SI_SJ_SK_EUlSX_E0_NS1_11comp_targetILNS1_3genE2ELNS1_11target_archE906ELNS1_3gpuE6ELNS1_3repE0EEENS1_38merge_mergepath_config_static_selectorELNS0_4arch9wavefront6targetE1EEEvSJ_
	.globl	_ZN7rocprim17ROCPRIM_400000_NS6detail17trampoline_kernelINS0_14default_configENS1_38merge_sort_block_merge_config_selectorIxxEEZZNS1_27merge_sort_block_merge_implIS3_N6thrust23THRUST_200600_302600_NS6detail15normal_iteratorINS8_10device_ptrIxEEEESD_jNS1_19radix_merge_compareILb0ELb0ExNS0_19identity_decomposerEEEEE10hipError_tT0_T1_T2_jT3_P12ihipStream_tbPNSt15iterator_traitsISI_E10value_typeEPNSO_ISJ_E10value_typeEPSK_NS1_7vsmem_tEENKUlT_SI_SJ_SK_E_clISD_PxSD_S10_EESH_SX_SI_SJ_SK_EUlSX_E0_NS1_11comp_targetILNS1_3genE2ELNS1_11target_archE906ELNS1_3gpuE6ELNS1_3repE0EEENS1_38merge_mergepath_config_static_selectorELNS0_4arch9wavefront6targetE1EEEvSJ_
	.p2align	8
	.type	_ZN7rocprim17ROCPRIM_400000_NS6detail17trampoline_kernelINS0_14default_configENS1_38merge_sort_block_merge_config_selectorIxxEEZZNS1_27merge_sort_block_merge_implIS3_N6thrust23THRUST_200600_302600_NS6detail15normal_iteratorINS8_10device_ptrIxEEEESD_jNS1_19radix_merge_compareILb0ELb0ExNS0_19identity_decomposerEEEEE10hipError_tT0_T1_T2_jT3_P12ihipStream_tbPNSt15iterator_traitsISI_E10value_typeEPNSO_ISJ_E10value_typeEPSK_NS1_7vsmem_tEENKUlT_SI_SJ_SK_E_clISD_PxSD_S10_EESH_SX_SI_SJ_SK_EUlSX_E0_NS1_11comp_targetILNS1_3genE2ELNS1_11target_archE906ELNS1_3gpuE6ELNS1_3repE0EEENS1_38merge_mergepath_config_static_selectorELNS0_4arch9wavefront6targetE1EEEvSJ_,@function
_ZN7rocprim17ROCPRIM_400000_NS6detail17trampoline_kernelINS0_14default_configENS1_38merge_sort_block_merge_config_selectorIxxEEZZNS1_27merge_sort_block_merge_implIS3_N6thrust23THRUST_200600_302600_NS6detail15normal_iteratorINS8_10device_ptrIxEEEESD_jNS1_19radix_merge_compareILb0ELb0ExNS0_19identity_decomposerEEEEE10hipError_tT0_T1_T2_jT3_P12ihipStream_tbPNSt15iterator_traitsISI_E10value_typeEPNSO_ISJ_E10value_typeEPSK_NS1_7vsmem_tEENKUlT_SI_SJ_SK_E_clISD_PxSD_S10_EESH_SX_SI_SJ_SK_EUlSX_E0_NS1_11comp_targetILNS1_3genE2ELNS1_11target_archE906ELNS1_3gpuE6ELNS1_3repE0EEENS1_38merge_mergepath_config_static_selectorELNS0_4arch9wavefront6targetE1EEEvSJ_: ; @_ZN7rocprim17ROCPRIM_400000_NS6detail17trampoline_kernelINS0_14default_configENS1_38merge_sort_block_merge_config_selectorIxxEEZZNS1_27merge_sort_block_merge_implIS3_N6thrust23THRUST_200600_302600_NS6detail15normal_iteratorINS8_10device_ptrIxEEEESD_jNS1_19radix_merge_compareILb0ELb0ExNS0_19identity_decomposerEEEEE10hipError_tT0_T1_T2_jT3_P12ihipStream_tbPNSt15iterator_traitsISI_E10value_typeEPNSO_ISJ_E10value_typeEPSK_NS1_7vsmem_tEENKUlT_SI_SJ_SK_E_clISD_PxSD_S10_EESH_SX_SI_SJ_SK_EUlSX_E0_NS1_11comp_targetILNS1_3genE2ELNS1_11target_archE906ELNS1_3gpuE6ELNS1_3repE0EEENS1_38merge_mergepath_config_static_selectorELNS0_4arch9wavefront6targetE1EEEvSJ_
; %bb.0:
	.section	.rodata,"a",@progbits
	.p2align	6, 0x0
	.amdhsa_kernel _ZN7rocprim17ROCPRIM_400000_NS6detail17trampoline_kernelINS0_14default_configENS1_38merge_sort_block_merge_config_selectorIxxEEZZNS1_27merge_sort_block_merge_implIS3_N6thrust23THRUST_200600_302600_NS6detail15normal_iteratorINS8_10device_ptrIxEEEESD_jNS1_19radix_merge_compareILb0ELb0ExNS0_19identity_decomposerEEEEE10hipError_tT0_T1_T2_jT3_P12ihipStream_tbPNSt15iterator_traitsISI_E10value_typeEPNSO_ISJ_E10value_typeEPSK_NS1_7vsmem_tEENKUlT_SI_SJ_SK_E_clISD_PxSD_S10_EESH_SX_SI_SJ_SK_EUlSX_E0_NS1_11comp_targetILNS1_3genE2ELNS1_11target_archE906ELNS1_3gpuE6ELNS1_3repE0EEENS1_38merge_mergepath_config_static_selectorELNS0_4arch9wavefront6targetE1EEEvSJ_
		.amdhsa_group_segment_fixed_size 0
		.amdhsa_private_segment_fixed_size 0
		.amdhsa_kernarg_size 64
		.amdhsa_user_sgpr_count 2
		.amdhsa_user_sgpr_dispatch_ptr 0
		.amdhsa_user_sgpr_queue_ptr 0
		.amdhsa_user_sgpr_kernarg_segment_ptr 1
		.amdhsa_user_sgpr_dispatch_id 0
		.amdhsa_user_sgpr_kernarg_preload_length 0
		.amdhsa_user_sgpr_kernarg_preload_offset 0
		.amdhsa_user_sgpr_private_segment_size 0
		.amdhsa_uses_dynamic_stack 0
		.amdhsa_enable_private_segment 0
		.amdhsa_system_sgpr_workgroup_id_x 1
		.amdhsa_system_sgpr_workgroup_id_y 0
		.amdhsa_system_sgpr_workgroup_id_z 0
		.amdhsa_system_sgpr_workgroup_info 0
		.amdhsa_system_vgpr_workitem_id 0
		.amdhsa_next_free_vgpr 1
		.amdhsa_next_free_sgpr 0
		.amdhsa_accum_offset 4
		.amdhsa_reserve_vcc 0
		.amdhsa_float_round_mode_32 0
		.amdhsa_float_round_mode_16_64 0
		.amdhsa_float_denorm_mode_32 3
		.amdhsa_float_denorm_mode_16_64 3
		.amdhsa_dx10_clamp 1
		.amdhsa_ieee_mode 1
		.amdhsa_fp16_overflow 0
		.amdhsa_tg_split 0
		.amdhsa_exception_fp_ieee_invalid_op 0
		.amdhsa_exception_fp_denorm_src 0
		.amdhsa_exception_fp_ieee_div_zero 0
		.amdhsa_exception_fp_ieee_overflow 0
		.amdhsa_exception_fp_ieee_underflow 0
		.amdhsa_exception_fp_ieee_inexact 0
		.amdhsa_exception_int_div_zero 0
	.end_amdhsa_kernel
	.section	.text._ZN7rocprim17ROCPRIM_400000_NS6detail17trampoline_kernelINS0_14default_configENS1_38merge_sort_block_merge_config_selectorIxxEEZZNS1_27merge_sort_block_merge_implIS3_N6thrust23THRUST_200600_302600_NS6detail15normal_iteratorINS8_10device_ptrIxEEEESD_jNS1_19radix_merge_compareILb0ELb0ExNS0_19identity_decomposerEEEEE10hipError_tT0_T1_T2_jT3_P12ihipStream_tbPNSt15iterator_traitsISI_E10value_typeEPNSO_ISJ_E10value_typeEPSK_NS1_7vsmem_tEENKUlT_SI_SJ_SK_E_clISD_PxSD_S10_EESH_SX_SI_SJ_SK_EUlSX_E0_NS1_11comp_targetILNS1_3genE2ELNS1_11target_archE906ELNS1_3gpuE6ELNS1_3repE0EEENS1_38merge_mergepath_config_static_selectorELNS0_4arch9wavefront6targetE1EEEvSJ_,"axG",@progbits,_ZN7rocprim17ROCPRIM_400000_NS6detail17trampoline_kernelINS0_14default_configENS1_38merge_sort_block_merge_config_selectorIxxEEZZNS1_27merge_sort_block_merge_implIS3_N6thrust23THRUST_200600_302600_NS6detail15normal_iteratorINS8_10device_ptrIxEEEESD_jNS1_19radix_merge_compareILb0ELb0ExNS0_19identity_decomposerEEEEE10hipError_tT0_T1_T2_jT3_P12ihipStream_tbPNSt15iterator_traitsISI_E10value_typeEPNSO_ISJ_E10value_typeEPSK_NS1_7vsmem_tEENKUlT_SI_SJ_SK_E_clISD_PxSD_S10_EESH_SX_SI_SJ_SK_EUlSX_E0_NS1_11comp_targetILNS1_3genE2ELNS1_11target_archE906ELNS1_3gpuE6ELNS1_3repE0EEENS1_38merge_mergepath_config_static_selectorELNS0_4arch9wavefront6targetE1EEEvSJ_,comdat
.Lfunc_end1102:
	.size	_ZN7rocprim17ROCPRIM_400000_NS6detail17trampoline_kernelINS0_14default_configENS1_38merge_sort_block_merge_config_selectorIxxEEZZNS1_27merge_sort_block_merge_implIS3_N6thrust23THRUST_200600_302600_NS6detail15normal_iteratorINS8_10device_ptrIxEEEESD_jNS1_19radix_merge_compareILb0ELb0ExNS0_19identity_decomposerEEEEE10hipError_tT0_T1_T2_jT3_P12ihipStream_tbPNSt15iterator_traitsISI_E10value_typeEPNSO_ISJ_E10value_typeEPSK_NS1_7vsmem_tEENKUlT_SI_SJ_SK_E_clISD_PxSD_S10_EESH_SX_SI_SJ_SK_EUlSX_E0_NS1_11comp_targetILNS1_3genE2ELNS1_11target_archE906ELNS1_3gpuE6ELNS1_3repE0EEENS1_38merge_mergepath_config_static_selectorELNS0_4arch9wavefront6targetE1EEEvSJ_, .Lfunc_end1102-_ZN7rocprim17ROCPRIM_400000_NS6detail17trampoline_kernelINS0_14default_configENS1_38merge_sort_block_merge_config_selectorIxxEEZZNS1_27merge_sort_block_merge_implIS3_N6thrust23THRUST_200600_302600_NS6detail15normal_iteratorINS8_10device_ptrIxEEEESD_jNS1_19radix_merge_compareILb0ELb0ExNS0_19identity_decomposerEEEEE10hipError_tT0_T1_T2_jT3_P12ihipStream_tbPNSt15iterator_traitsISI_E10value_typeEPNSO_ISJ_E10value_typeEPSK_NS1_7vsmem_tEENKUlT_SI_SJ_SK_E_clISD_PxSD_S10_EESH_SX_SI_SJ_SK_EUlSX_E0_NS1_11comp_targetILNS1_3genE2ELNS1_11target_archE906ELNS1_3gpuE6ELNS1_3repE0EEENS1_38merge_mergepath_config_static_selectorELNS0_4arch9wavefront6targetE1EEEvSJ_
                                        ; -- End function
	.set _ZN7rocprim17ROCPRIM_400000_NS6detail17trampoline_kernelINS0_14default_configENS1_38merge_sort_block_merge_config_selectorIxxEEZZNS1_27merge_sort_block_merge_implIS3_N6thrust23THRUST_200600_302600_NS6detail15normal_iteratorINS8_10device_ptrIxEEEESD_jNS1_19radix_merge_compareILb0ELb0ExNS0_19identity_decomposerEEEEE10hipError_tT0_T1_T2_jT3_P12ihipStream_tbPNSt15iterator_traitsISI_E10value_typeEPNSO_ISJ_E10value_typeEPSK_NS1_7vsmem_tEENKUlT_SI_SJ_SK_E_clISD_PxSD_S10_EESH_SX_SI_SJ_SK_EUlSX_E0_NS1_11comp_targetILNS1_3genE2ELNS1_11target_archE906ELNS1_3gpuE6ELNS1_3repE0EEENS1_38merge_mergepath_config_static_selectorELNS0_4arch9wavefront6targetE1EEEvSJ_.num_vgpr, 0
	.set _ZN7rocprim17ROCPRIM_400000_NS6detail17trampoline_kernelINS0_14default_configENS1_38merge_sort_block_merge_config_selectorIxxEEZZNS1_27merge_sort_block_merge_implIS3_N6thrust23THRUST_200600_302600_NS6detail15normal_iteratorINS8_10device_ptrIxEEEESD_jNS1_19radix_merge_compareILb0ELb0ExNS0_19identity_decomposerEEEEE10hipError_tT0_T1_T2_jT3_P12ihipStream_tbPNSt15iterator_traitsISI_E10value_typeEPNSO_ISJ_E10value_typeEPSK_NS1_7vsmem_tEENKUlT_SI_SJ_SK_E_clISD_PxSD_S10_EESH_SX_SI_SJ_SK_EUlSX_E0_NS1_11comp_targetILNS1_3genE2ELNS1_11target_archE906ELNS1_3gpuE6ELNS1_3repE0EEENS1_38merge_mergepath_config_static_selectorELNS0_4arch9wavefront6targetE1EEEvSJ_.num_agpr, 0
	.set _ZN7rocprim17ROCPRIM_400000_NS6detail17trampoline_kernelINS0_14default_configENS1_38merge_sort_block_merge_config_selectorIxxEEZZNS1_27merge_sort_block_merge_implIS3_N6thrust23THRUST_200600_302600_NS6detail15normal_iteratorINS8_10device_ptrIxEEEESD_jNS1_19radix_merge_compareILb0ELb0ExNS0_19identity_decomposerEEEEE10hipError_tT0_T1_T2_jT3_P12ihipStream_tbPNSt15iterator_traitsISI_E10value_typeEPNSO_ISJ_E10value_typeEPSK_NS1_7vsmem_tEENKUlT_SI_SJ_SK_E_clISD_PxSD_S10_EESH_SX_SI_SJ_SK_EUlSX_E0_NS1_11comp_targetILNS1_3genE2ELNS1_11target_archE906ELNS1_3gpuE6ELNS1_3repE0EEENS1_38merge_mergepath_config_static_selectorELNS0_4arch9wavefront6targetE1EEEvSJ_.numbered_sgpr, 0
	.set _ZN7rocprim17ROCPRIM_400000_NS6detail17trampoline_kernelINS0_14default_configENS1_38merge_sort_block_merge_config_selectorIxxEEZZNS1_27merge_sort_block_merge_implIS3_N6thrust23THRUST_200600_302600_NS6detail15normal_iteratorINS8_10device_ptrIxEEEESD_jNS1_19radix_merge_compareILb0ELb0ExNS0_19identity_decomposerEEEEE10hipError_tT0_T1_T2_jT3_P12ihipStream_tbPNSt15iterator_traitsISI_E10value_typeEPNSO_ISJ_E10value_typeEPSK_NS1_7vsmem_tEENKUlT_SI_SJ_SK_E_clISD_PxSD_S10_EESH_SX_SI_SJ_SK_EUlSX_E0_NS1_11comp_targetILNS1_3genE2ELNS1_11target_archE906ELNS1_3gpuE6ELNS1_3repE0EEENS1_38merge_mergepath_config_static_selectorELNS0_4arch9wavefront6targetE1EEEvSJ_.num_named_barrier, 0
	.set _ZN7rocprim17ROCPRIM_400000_NS6detail17trampoline_kernelINS0_14default_configENS1_38merge_sort_block_merge_config_selectorIxxEEZZNS1_27merge_sort_block_merge_implIS3_N6thrust23THRUST_200600_302600_NS6detail15normal_iteratorINS8_10device_ptrIxEEEESD_jNS1_19radix_merge_compareILb0ELb0ExNS0_19identity_decomposerEEEEE10hipError_tT0_T1_T2_jT3_P12ihipStream_tbPNSt15iterator_traitsISI_E10value_typeEPNSO_ISJ_E10value_typeEPSK_NS1_7vsmem_tEENKUlT_SI_SJ_SK_E_clISD_PxSD_S10_EESH_SX_SI_SJ_SK_EUlSX_E0_NS1_11comp_targetILNS1_3genE2ELNS1_11target_archE906ELNS1_3gpuE6ELNS1_3repE0EEENS1_38merge_mergepath_config_static_selectorELNS0_4arch9wavefront6targetE1EEEvSJ_.private_seg_size, 0
	.set _ZN7rocprim17ROCPRIM_400000_NS6detail17trampoline_kernelINS0_14default_configENS1_38merge_sort_block_merge_config_selectorIxxEEZZNS1_27merge_sort_block_merge_implIS3_N6thrust23THRUST_200600_302600_NS6detail15normal_iteratorINS8_10device_ptrIxEEEESD_jNS1_19radix_merge_compareILb0ELb0ExNS0_19identity_decomposerEEEEE10hipError_tT0_T1_T2_jT3_P12ihipStream_tbPNSt15iterator_traitsISI_E10value_typeEPNSO_ISJ_E10value_typeEPSK_NS1_7vsmem_tEENKUlT_SI_SJ_SK_E_clISD_PxSD_S10_EESH_SX_SI_SJ_SK_EUlSX_E0_NS1_11comp_targetILNS1_3genE2ELNS1_11target_archE906ELNS1_3gpuE6ELNS1_3repE0EEENS1_38merge_mergepath_config_static_selectorELNS0_4arch9wavefront6targetE1EEEvSJ_.uses_vcc, 0
	.set _ZN7rocprim17ROCPRIM_400000_NS6detail17trampoline_kernelINS0_14default_configENS1_38merge_sort_block_merge_config_selectorIxxEEZZNS1_27merge_sort_block_merge_implIS3_N6thrust23THRUST_200600_302600_NS6detail15normal_iteratorINS8_10device_ptrIxEEEESD_jNS1_19radix_merge_compareILb0ELb0ExNS0_19identity_decomposerEEEEE10hipError_tT0_T1_T2_jT3_P12ihipStream_tbPNSt15iterator_traitsISI_E10value_typeEPNSO_ISJ_E10value_typeEPSK_NS1_7vsmem_tEENKUlT_SI_SJ_SK_E_clISD_PxSD_S10_EESH_SX_SI_SJ_SK_EUlSX_E0_NS1_11comp_targetILNS1_3genE2ELNS1_11target_archE906ELNS1_3gpuE6ELNS1_3repE0EEENS1_38merge_mergepath_config_static_selectorELNS0_4arch9wavefront6targetE1EEEvSJ_.uses_flat_scratch, 0
	.set _ZN7rocprim17ROCPRIM_400000_NS6detail17trampoline_kernelINS0_14default_configENS1_38merge_sort_block_merge_config_selectorIxxEEZZNS1_27merge_sort_block_merge_implIS3_N6thrust23THRUST_200600_302600_NS6detail15normal_iteratorINS8_10device_ptrIxEEEESD_jNS1_19radix_merge_compareILb0ELb0ExNS0_19identity_decomposerEEEEE10hipError_tT0_T1_T2_jT3_P12ihipStream_tbPNSt15iterator_traitsISI_E10value_typeEPNSO_ISJ_E10value_typeEPSK_NS1_7vsmem_tEENKUlT_SI_SJ_SK_E_clISD_PxSD_S10_EESH_SX_SI_SJ_SK_EUlSX_E0_NS1_11comp_targetILNS1_3genE2ELNS1_11target_archE906ELNS1_3gpuE6ELNS1_3repE0EEENS1_38merge_mergepath_config_static_selectorELNS0_4arch9wavefront6targetE1EEEvSJ_.has_dyn_sized_stack, 0
	.set _ZN7rocprim17ROCPRIM_400000_NS6detail17trampoline_kernelINS0_14default_configENS1_38merge_sort_block_merge_config_selectorIxxEEZZNS1_27merge_sort_block_merge_implIS3_N6thrust23THRUST_200600_302600_NS6detail15normal_iteratorINS8_10device_ptrIxEEEESD_jNS1_19radix_merge_compareILb0ELb0ExNS0_19identity_decomposerEEEEE10hipError_tT0_T1_T2_jT3_P12ihipStream_tbPNSt15iterator_traitsISI_E10value_typeEPNSO_ISJ_E10value_typeEPSK_NS1_7vsmem_tEENKUlT_SI_SJ_SK_E_clISD_PxSD_S10_EESH_SX_SI_SJ_SK_EUlSX_E0_NS1_11comp_targetILNS1_3genE2ELNS1_11target_archE906ELNS1_3gpuE6ELNS1_3repE0EEENS1_38merge_mergepath_config_static_selectorELNS0_4arch9wavefront6targetE1EEEvSJ_.has_recursion, 0
	.set _ZN7rocprim17ROCPRIM_400000_NS6detail17trampoline_kernelINS0_14default_configENS1_38merge_sort_block_merge_config_selectorIxxEEZZNS1_27merge_sort_block_merge_implIS3_N6thrust23THRUST_200600_302600_NS6detail15normal_iteratorINS8_10device_ptrIxEEEESD_jNS1_19radix_merge_compareILb0ELb0ExNS0_19identity_decomposerEEEEE10hipError_tT0_T1_T2_jT3_P12ihipStream_tbPNSt15iterator_traitsISI_E10value_typeEPNSO_ISJ_E10value_typeEPSK_NS1_7vsmem_tEENKUlT_SI_SJ_SK_E_clISD_PxSD_S10_EESH_SX_SI_SJ_SK_EUlSX_E0_NS1_11comp_targetILNS1_3genE2ELNS1_11target_archE906ELNS1_3gpuE6ELNS1_3repE0EEENS1_38merge_mergepath_config_static_selectorELNS0_4arch9wavefront6targetE1EEEvSJ_.has_indirect_call, 0
	.section	.AMDGPU.csdata,"",@progbits
; Kernel info:
; codeLenInByte = 0
; TotalNumSgprs: 6
; NumVgprs: 0
; NumAgprs: 0
; TotalNumVgprs: 0
; ScratchSize: 0
; MemoryBound: 0
; FloatMode: 240
; IeeeMode: 1
; LDSByteSize: 0 bytes/workgroup (compile time only)
; SGPRBlocks: 0
; VGPRBlocks: 0
; NumSGPRsForWavesPerEU: 6
; NumVGPRsForWavesPerEU: 1
; AccumOffset: 4
; Occupancy: 8
; WaveLimiterHint : 0
; COMPUTE_PGM_RSRC2:SCRATCH_EN: 0
; COMPUTE_PGM_RSRC2:USER_SGPR: 2
; COMPUTE_PGM_RSRC2:TRAP_HANDLER: 0
; COMPUTE_PGM_RSRC2:TGID_X_EN: 1
; COMPUTE_PGM_RSRC2:TGID_Y_EN: 0
; COMPUTE_PGM_RSRC2:TGID_Z_EN: 0
; COMPUTE_PGM_RSRC2:TIDIG_COMP_CNT: 0
; COMPUTE_PGM_RSRC3_GFX90A:ACCUM_OFFSET: 0
; COMPUTE_PGM_RSRC3_GFX90A:TG_SPLIT: 0
	.section	.text._ZN7rocprim17ROCPRIM_400000_NS6detail17trampoline_kernelINS0_14default_configENS1_38merge_sort_block_merge_config_selectorIxxEEZZNS1_27merge_sort_block_merge_implIS3_N6thrust23THRUST_200600_302600_NS6detail15normal_iteratorINS8_10device_ptrIxEEEESD_jNS1_19radix_merge_compareILb0ELb0ExNS0_19identity_decomposerEEEEE10hipError_tT0_T1_T2_jT3_P12ihipStream_tbPNSt15iterator_traitsISI_E10value_typeEPNSO_ISJ_E10value_typeEPSK_NS1_7vsmem_tEENKUlT_SI_SJ_SK_E_clISD_PxSD_S10_EESH_SX_SI_SJ_SK_EUlSX_E0_NS1_11comp_targetILNS1_3genE9ELNS1_11target_archE1100ELNS1_3gpuE3ELNS1_3repE0EEENS1_38merge_mergepath_config_static_selectorELNS0_4arch9wavefront6targetE1EEEvSJ_,"axG",@progbits,_ZN7rocprim17ROCPRIM_400000_NS6detail17trampoline_kernelINS0_14default_configENS1_38merge_sort_block_merge_config_selectorIxxEEZZNS1_27merge_sort_block_merge_implIS3_N6thrust23THRUST_200600_302600_NS6detail15normal_iteratorINS8_10device_ptrIxEEEESD_jNS1_19radix_merge_compareILb0ELb0ExNS0_19identity_decomposerEEEEE10hipError_tT0_T1_T2_jT3_P12ihipStream_tbPNSt15iterator_traitsISI_E10value_typeEPNSO_ISJ_E10value_typeEPSK_NS1_7vsmem_tEENKUlT_SI_SJ_SK_E_clISD_PxSD_S10_EESH_SX_SI_SJ_SK_EUlSX_E0_NS1_11comp_targetILNS1_3genE9ELNS1_11target_archE1100ELNS1_3gpuE3ELNS1_3repE0EEENS1_38merge_mergepath_config_static_selectorELNS0_4arch9wavefront6targetE1EEEvSJ_,comdat
	.protected	_ZN7rocprim17ROCPRIM_400000_NS6detail17trampoline_kernelINS0_14default_configENS1_38merge_sort_block_merge_config_selectorIxxEEZZNS1_27merge_sort_block_merge_implIS3_N6thrust23THRUST_200600_302600_NS6detail15normal_iteratorINS8_10device_ptrIxEEEESD_jNS1_19radix_merge_compareILb0ELb0ExNS0_19identity_decomposerEEEEE10hipError_tT0_T1_T2_jT3_P12ihipStream_tbPNSt15iterator_traitsISI_E10value_typeEPNSO_ISJ_E10value_typeEPSK_NS1_7vsmem_tEENKUlT_SI_SJ_SK_E_clISD_PxSD_S10_EESH_SX_SI_SJ_SK_EUlSX_E0_NS1_11comp_targetILNS1_3genE9ELNS1_11target_archE1100ELNS1_3gpuE3ELNS1_3repE0EEENS1_38merge_mergepath_config_static_selectorELNS0_4arch9wavefront6targetE1EEEvSJ_ ; -- Begin function _ZN7rocprim17ROCPRIM_400000_NS6detail17trampoline_kernelINS0_14default_configENS1_38merge_sort_block_merge_config_selectorIxxEEZZNS1_27merge_sort_block_merge_implIS3_N6thrust23THRUST_200600_302600_NS6detail15normal_iteratorINS8_10device_ptrIxEEEESD_jNS1_19radix_merge_compareILb0ELb0ExNS0_19identity_decomposerEEEEE10hipError_tT0_T1_T2_jT3_P12ihipStream_tbPNSt15iterator_traitsISI_E10value_typeEPNSO_ISJ_E10value_typeEPSK_NS1_7vsmem_tEENKUlT_SI_SJ_SK_E_clISD_PxSD_S10_EESH_SX_SI_SJ_SK_EUlSX_E0_NS1_11comp_targetILNS1_3genE9ELNS1_11target_archE1100ELNS1_3gpuE3ELNS1_3repE0EEENS1_38merge_mergepath_config_static_selectorELNS0_4arch9wavefront6targetE1EEEvSJ_
	.globl	_ZN7rocprim17ROCPRIM_400000_NS6detail17trampoline_kernelINS0_14default_configENS1_38merge_sort_block_merge_config_selectorIxxEEZZNS1_27merge_sort_block_merge_implIS3_N6thrust23THRUST_200600_302600_NS6detail15normal_iteratorINS8_10device_ptrIxEEEESD_jNS1_19radix_merge_compareILb0ELb0ExNS0_19identity_decomposerEEEEE10hipError_tT0_T1_T2_jT3_P12ihipStream_tbPNSt15iterator_traitsISI_E10value_typeEPNSO_ISJ_E10value_typeEPSK_NS1_7vsmem_tEENKUlT_SI_SJ_SK_E_clISD_PxSD_S10_EESH_SX_SI_SJ_SK_EUlSX_E0_NS1_11comp_targetILNS1_3genE9ELNS1_11target_archE1100ELNS1_3gpuE3ELNS1_3repE0EEENS1_38merge_mergepath_config_static_selectorELNS0_4arch9wavefront6targetE1EEEvSJ_
	.p2align	8
	.type	_ZN7rocprim17ROCPRIM_400000_NS6detail17trampoline_kernelINS0_14default_configENS1_38merge_sort_block_merge_config_selectorIxxEEZZNS1_27merge_sort_block_merge_implIS3_N6thrust23THRUST_200600_302600_NS6detail15normal_iteratorINS8_10device_ptrIxEEEESD_jNS1_19radix_merge_compareILb0ELb0ExNS0_19identity_decomposerEEEEE10hipError_tT0_T1_T2_jT3_P12ihipStream_tbPNSt15iterator_traitsISI_E10value_typeEPNSO_ISJ_E10value_typeEPSK_NS1_7vsmem_tEENKUlT_SI_SJ_SK_E_clISD_PxSD_S10_EESH_SX_SI_SJ_SK_EUlSX_E0_NS1_11comp_targetILNS1_3genE9ELNS1_11target_archE1100ELNS1_3gpuE3ELNS1_3repE0EEENS1_38merge_mergepath_config_static_selectorELNS0_4arch9wavefront6targetE1EEEvSJ_,@function
_ZN7rocprim17ROCPRIM_400000_NS6detail17trampoline_kernelINS0_14default_configENS1_38merge_sort_block_merge_config_selectorIxxEEZZNS1_27merge_sort_block_merge_implIS3_N6thrust23THRUST_200600_302600_NS6detail15normal_iteratorINS8_10device_ptrIxEEEESD_jNS1_19radix_merge_compareILb0ELb0ExNS0_19identity_decomposerEEEEE10hipError_tT0_T1_T2_jT3_P12ihipStream_tbPNSt15iterator_traitsISI_E10value_typeEPNSO_ISJ_E10value_typeEPSK_NS1_7vsmem_tEENKUlT_SI_SJ_SK_E_clISD_PxSD_S10_EESH_SX_SI_SJ_SK_EUlSX_E0_NS1_11comp_targetILNS1_3genE9ELNS1_11target_archE1100ELNS1_3gpuE3ELNS1_3repE0EEENS1_38merge_mergepath_config_static_selectorELNS0_4arch9wavefront6targetE1EEEvSJ_: ; @_ZN7rocprim17ROCPRIM_400000_NS6detail17trampoline_kernelINS0_14default_configENS1_38merge_sort_block_merge_config_selectorIxxEEZZNS1_27merge_sort_block_merge_implIS3_N6thrust23THRUST_200600_302600_NS6detail15normal_iteratorINS8_10device_ptrIxEEEESD_jNS1_19radix_merge_compareILb0ELb0ExNS0_19identity_decomposerEEEEE10hipError_tT0_T1_T2_jT3_P12ihipStream_tbPNSt15iterator_traitsISI_E10value_typeEPNSO_ISJ_E10value_typeEPSK_NS1_7vsmem_tEENKUlT_SI_SJ_SK_E_clISD_PxSD_S10_EESH_SX_SI_SJ_SK_EUlSX_E0_NS1_11comp_targetILNS1_3genE9ELNS1_11target_archE1100ELNS1_3gpuE3ELNS1_3repE0EEENS1_38merge_mergepath_config_static_selectorELNS0_4arch9wavefront6targetE1EEEvSJ_
; %bb.0:
	.section	.rodata,"a",@progbits
	.p2align	6, 0x0
	.amdhsa_kernel _ZN7rocprim17ROCPRIM_400000_NS6detail17trampoline_kernelINS0_14default_configENS1_38merge_sort_block_merge_config_selectorIxxEEZZNS1_27merge_sort_block_merge_implIS3_N6thrust23THRUST_200600_302600_NS6detail15normal_iteratorINS8_10device_ptrIxEEEESD_jNS1_19radix_merge_compareILb0ELb0ExNS0_19identity_decomposerEEEEE10hipError_tT0_T1_T2_jT3_P12ihipStream_tbPNSt15iterator_traitsISI_E10value_typeEPNSO_ISJ_E10value_typeEPSK_NS1_7vsmem_tEENKUlT_SI_SJ_SK_E_clISD_PxSD_S10_EESH_SX_SI_SJ_SK_EUlSX_E0_NS1_11comp_targetILNS1_3genE9ELNS1_11target_archE1100ELNS1_3gpuE3ELNS1_3repE0EEENS1_38merge_mergepath_config_static_selectorELNS0_4arch9wavefront6targetE1EEEvSJ_
		.amdhsa_group_segment_fixed_size 0
		.amdhsa_private_segment_fixed_size 0
		.amdhsa_kernarg_size 64
		.amdhsa_user_sgpr_count 2
		.amdhsa_user_sgpr_dispatch_ptr 0
		.amdhsa_user_sgpr_queue_ptr 0
		.amdhsa_user_sgpr_kernarg_segment_ptr 1
		.amdhsa_user_sgpr_dispatch_id 0
		.amdhsa_user_sgpr_kernarg_preload_length 0
		.amdhsa_user_sgpr_kernarg_preload_offset 0
		.amdhsa_user_sgpr_private_segment_size 0
		.amdhsa_uses_dynamic_stack 0
		.amdhsa_enable_private_segment 0
		.amdhsa_system_sgpr_workgroup_id_x 1
		.amdhsa_system_sgpr_workgroup_id_y 0
		.amdhsa_system_sgpr_workgroup_id_z 0
		.amdhsa_system_sgpr_workgroup_info 0
		.amdhsa_system_vgpr_workitem_id 0
		.amdhsa_next_free_vgpr 1
		.amdhsa_next_free_sgpr 0
		.amdhsa_accum_offset 4
		.amdhsa_reserve_vcc 0
		.amdhsa_float_round_mode_32 0
		.amdhsa_float_round_mode_16_64 0
		.amdhsa_float_denorm_mode_32 3
		.amdhsa_float_denorm_mode_16_64 3
		.amdhsa_dx10_clamp 1
		.amdhsa_ieee_mode 1
		.amdhsa_fp16_overflow 0
		.amdhsa_tg_split 0
		.amdhsa_exception_fp_ieee_invalid_op 0
		.amdhsa_exception_fp_denorm_src 0
		.amdhsa_exception_fp_ieee_div_zero 0
		.amdhsa_exception_fp_ieee_overflow 0
		.amdhsa_exception_fp_ieee_underflow 0
		.amdhsa_exception_fp_ieee_inexact 0
		.amdhsa_exception_int_div_zero 0
	.end_amdhsa_kernel
	.section	.text._ZN7rocprim17ROCPRIM_400000_NS6detail17trampoline_kernelINS0_14default_configENS1_38merge_sort_block_merge_config_selectorIxxEEZZNS1_27merge_sort_block_merge_implIS3_N6thrust23THRUST_200600_302600_NS6detail15normal_iteratorINS8_10device_ptrIxEEEESD_jNS1_19radix_merge_compareILb0ELb0ExNS0_19identity_decomposerEEEEE10hipError_tT0_T1_T2_jT3_P12ihipStream_tbPNSt15iterator_traitsISI_E10value_typeEPNSO_ISJ_E10value_typeEPSK_NS1_7vsmem_tEENKUlT_SI_SJ_SK_E_clISD_PxSD_S10_EESH_SX_SI_SJ_SK_EUlSX_E0_NS1_11comp_targetILNS1_3genE9ELNS1_11target_archE1100ELNS1_3gpuE3ELNS1_3repE0EEENS1_38merge_mergepath_config_static_selectorELNS0_4arch9wavefront6targetE1EEEvSJ_,"axG",@progbits,_ZN7rocprim17ROCPRIM_400000_NS6detail17trampoline_kernelINS0_14default_configENS1_38merge_sort_block_merge_config_selectorIxxEEZZNS1_27merge_sort_block_merge_implIS3_N6thrust23THRUST_200600_302600_NS6detail15normal_iteratorINS8_10device_ptrIxEEEESD_jNS1_19radix_merge_compareILb0ELb0ExNS0_19identity_decomposerEEEEE10hipError_tT0_T1_T2_jT3_P12ihipStream_tbPNSt15iterator_traitsISI_E10value_typeEPNSO_ISJ_E10value_typeEPSK_NS1_7vsmem_tEENKUlT_SI_SJ_SK_E_clISD_PxSD_S10_EESH_SX_SI_SJ_SK_EUlSX_E0_NS1_11comp_targetILNS1_3genE9ELNS1_11target_archE1100ELNS1_3gpuE3ELNS1_3repE0EEENS1_38merge_mergepath_config_static_selectorELNS0_4arch9wavefront6targetE1EEEvSJ_,comdat
.Lfunc_end1103:
	.size	_ZN7rocprim17ROCPRIM_400000_NS6detail17trampoline_kernelINS0_14default_configENS1_38merge_sort_block_merge_config_selectorIxxEEZZNS1_27merge_sort_block_merge_implIS3_N6thrust23THRUST_200600_302600_NS6detail15normal_iteratorINS8_10device_ptrIxEEEESD_jNS1_19radix_merge_compareILb0ELb0ExNS0_19identity_decomposerEEEEE10hipError_tT0_T1_T2_jT3_P12ihipStream_tbPNSt15iterator_traitsISI_E10value_typeEPNSO_ISJ_E10value_typeEPSK_NS1_7vsmem_tEENKUlT_SI_SJ_SK_E_clISD_PxSD_S10_EESH_SX_SI_SJ_SK_EUlSX_E0_NS1_11comp_targetILNS1_3genE9ELNS1_11target_archE1100ELNS1_3gpuE3ELNS1_3repE0EEENS1_38merge_mergepath_config_static_selectorELNS0_4arch9wavefront6targetE1EEEvSJ_, .Lfunc_end1103-_ZN7rocprim17ROCPRIM_400000_NS6detail17trampoline_kernelINS0_14default_configENS1_38merge_sort_block_merge_config_selectorIxxEEZZNS1_27merge_sort_block_merge_implIS3_N6thrust23THRUST_200600_302600_NS6detail15normal_iteratorINS8_10device_ptrIxEEEESD_jNS1_19radix_merge_compareILb0ELb0ExNS0_19identity_decomposerEEEEE10hipError_tT0_T1_T2_jT3_P12ihipStream_tbPNSt15iterator_traitsISI_E10value_typeEPNSO_ISJ_E10value_typeEPSK_NS1_7vsmem_tEENKUlT_SI_SJ_SK_E_clISD_PxSD_S10_EESH_SX_SI_SJ_SK_EUlSX_E0_NS1_11comp_targetILNS1_3genE9ELNS1_11target_archE1100ELNS1_3gpuE3ELNS1_3repE0EEENS1_38merge_mergepath_config_static_selectorELNS0_4arch9wavefront6targetE1EEEvSJ_
                                        ; -- End function
	.set _ZN7rocprim17ROCPRIM_400000_NS6detail17trampoline_kernelINS0_14default_configENS1_38merge_sort_block_merge_config_selectorIxxEEZZNS1_27merge_sort_block_merge_implIS3_N6thrust23THRUST_200600_302600_NS6detail15normal_iteratorINS8_10device_ptrIxEEEESD_jNS1_19radix_merge_compareILb0ELb0ExNS0_19identity_decomposerEEEEE10hipError_tT0_T1_T2_jT3_P12ihipStream_tbPNSt15iterator_traitsISI_E10value_typeEPNSO_ISJ_E10value_typeEPSK_NS1_7vsmem_tEENKUlT_SI_SJ_SK_E_clISD_PxSD_S10_EESH_SX_SI_SJ_SK_EUlSX_E0_NS1_11comp_targetILNS1_3genE9ELNS1_11target_archE1100ELNS1_3gpuE3ELNS1_3repE0EEENS1_38merge_mergepath_config_static_selectorELNS0_4arch9wavefront6targetE1EEEvSJ_.num_vgpr, 0
	.set _ZN7rocprim17ROCPRIM_400000_NS6detail17trampoline_kernelINS0_14default_configENS1_38merge_sort_block_merge_config_selectorIxxEEZZNS1_27merge_sort_block_merge_implIS3_N6thrust23THRUST_200600_302600_NS6detail15normal_iteratorINS8_10device_ptrIxEEEESD_jNS1_19radix_merge_compareILb0ELb0ExNS0_19identity_decomposerEEEEE10hipError_tT0_T1_T2_jT3_P12ihipStream_tbPNSt15iterator_traitsISI_E10value_typeEPNSO_ISJ_E10value_typeEPSK_NS1_7vsmem_tEENKUlT_SI_SJ_SK_E_clISD_PxSD_S10_EESH_SX_SI_SJ_SK_EUlSX_E0_NS1_11comp_targetILNS1_3genE9ELNS1_11target_archE1100ELNS1_3gpuE3ELNS1_3repE0EEENS1_38merge_mergepath_config_static_selectorELNS0_4arch9wavefront6targetE1EEEvSJ_.num_agpr, 0
	.set _ZN7rocprim17ROCPRIM_400000_NS6detail17trampoline_kernelINS0_14default_configENS1_38merge_sort_block_merge_config_selectorIxxEEZZNS1_27merge_sort_block_merge_implIS3_N6thrust23THRUST_200600_302600_NS6detail15normal_iteratorINS8_10device_ptrIxEEEESD_jNS1_19radix_merge_compareILb0ELb0ExNS0_19identity_decomposerEEEEE10hipError_tT0_T1_T2_jT3_P12ihipStream_tbPNSt15iterator_traitsISI_E10value_typeEPNSO_ISJ_E10value_typeEPSK_NS1_7vsmem_tEENKUlT_SI_SJ_SK_E_clISD_PxSD_S10_EESH_SX_SI_SJ_SK_EUlSX_E0_NS1_11comp_targetILNS1_3genE9ELNS1_11target_archE1100ELNS1_3gpuE3ELNS1_3repE0EEENS1_38merge_mergepath_config_static_selectorELNS0_4arch9wavefront6targetE1EEEvSJ_.numbered_sgpr, 0
	.set _ZN7rocprim17ROCPRIM_400000_NS6detail17trampoline_kernelINS0_14default_configENS1_38merge_sort_block_merge_config_selectorIxxEEZZNS1_27merge_sort_block_merge_implIS3_N6thrust23THRUST_200600_302600_NS6detail15normal_iteratorINS8_10device_ptrIxEEEESD_jNS1_19radix_merge_compareILb0ELb0ExNS0_19identity_decomposerEEEEE10hipError_tT0_T1_T2_jT3_P12ihipStream_tbPNSt15iterator_traitsISI_E10value_typeEPNSO_ISJ_E10value_typeEPSK_NS1_7vsmem_tEENKUlT_SI_SJ_SK_E_clISD_PxSD_S10_EESH_SX_SI_SJ_SK_EUlSX_E0_NS1_11comp_targetILNS1_3genE9ELNS1_11target_archE1100ELNS1_3gpuE3ELNS1_3repE0EEENS1_38merge_mergepath_config_static_selectorELNS0_4arch9wavefront6targetE1EEEvSJ_.num_named_barrier, 0
	.set _ZN7rocprim17ROCPRIM_400000_NS6detail17trampoline_kernelINS0_14default_configENS1_38merge_sort_block_merge_config_selectorIxxEEZZNS1_27merge_sort_block_merge_implIS3_N6thrust23THRUST_200600_302600_NS6detail15normal_iteratorINS8_10device_ptrIxEEEESD_jNS1_19radix_merge_compareILb0ELb0ExNS0_19identity_decomposerEEEEE10hipError_tT0_T1_T2_jT3_P12ihipStream_tbPNSt15iterator_traitsISI_E10value_typeEPNSO_ISJ_E10value_typeEPSK_NS1_7vsmem_tEENKUlT_SI_SJ_SK_E_clISD_PxSD_S10_EESH_SX_SI_SJ_SK_EUlSX_E0_NS1_11comp_targetILNS1_3genE9ELNS1_11target_archE1100ELNS1_3gpuE3ELNS1_3repE0EEENS1_38merge_mergepath_config_static_selectorELNS0_4arch9wavefront6targetE1EEEvSJ_.private_seg_size, 0
	.set _ZN7rocprim17ROCPRIM_400000_NS6detail17trampoline_kernelINS0_14default_configENS1_38merge_sort_block_merge_config_selectorIxxEEZZNS1_27merge_sort_block_merge_implIS3_N6thrust23THRUST_200600_302600_NS6detail15normal_iteratorINS8_10device_ptrIxEEEESD_jNS1_19radix_merge_compareILb0ELb0ExNS0_19identity_decomposerEEEEE10hipError_tT0_T1_T2_jT3_P12ihipStream_tbPNSt15iterator_traitsISI_E10value_typeEPNSO_ISJ_E10value_typeEPSK_NS1_7vsmem_tEENKUlT_SI_SJ_SK_E_clISD_PxSD_S10_EESH_SX_SI_SJ_SK_EUlSX_E0_NS1_11comp_targetILNS1_3genE9ELNS1_11target_archE1100ELNS1_3gpuE3ELNS1_3repE0EEENS1_38merge_mergepath_config_static_selectorELNS0_4arch9wavefront6targetE1EEEvSJ_.uses_vcc, 0
	.set _ZN7rocprim17ROCPRIM_400000_NS6detail17trampoline_kernelINS0_14default_configENS1_38merge_sort_block_merge_config_selectorIxxEEZZNS1_27merge_sort_block_merge_implIS3_N6thrust23THRUST_200600_302600_NS6detail15normal_iteratorINS8_10device_ptrIxEEEESD_jNS1_19radix_merge_compareILb0ELb0ExNS0_19identity_decomposerEEEEE10hipError_tT0_T1_T2_jT3_P12ihipStream_tbPNSt15iterator_traitsISI_E10value_typeEPNSO_ISJ_E10value_typeEPSK_NS1_7vsmem_tEENKUlT_SI_SJ_SK_E_clISD_PxSD_S10_EESH_SX_SI_SJ_SK_EUlSX_E0_NS1_11comp_targetILNS1_3genE9ELNS1_11target_archE1100ELNS1_3gpuE3ELNS1_3repE0EEENS1_38merge_mergepath_config_static_selectorELNS0_4arch9wavefront6targetE1EEEvSJ_.uses_flat_scratch, 0
	.set _ZN7rocprim17ROCPRIM_400000_NS6detail17trampoline_kernelINS0_14default_configENS1_38merge_sort_block_merge_config_selectorIxxEEZZNS1_27merge_sort_block_merge_implIS3_N6thrust23THRUST_200600_302600_NS6detail15normal_iteratorINS8_10device_ptrIxEEEESD_jNS1_19radix_merge_compareILb0ELb0ExNS0_19identity_decomposerEEEEE10hipError_tT0_T1_T2_jT3_P12ihipStream_tbPNSt15iterator_traitsISI_E10value_typeEPNSO_ISJ_E10value_typeEPSK_NS1_7vsmem_tEENKUlT_SI_SJ_SK_E_clISD_PxSD_S10_EESH_SX_SI_SJ_SK_EUlSX_E0_NS1_11comp_targetILNS1_3genE9ELNS1_11target_archE1100ELNS1_3gpuE3ELNS1_3repE0EEENS1_38merge_mergepath_config_static_selectorELNS0_4arch9wavefront6targetE1EEEvSJ_.has_dyn_sized_stack, 0
	.set _ZN7rocprim17ROCPRIM_400000_NS6detail17trampoline_kernelINS0_14default_configENS1_38merge_sort_block_merge_config_selectorIxxEEZZNS1_27merge_sort_block_merge_implIS3_N6thrust23THRUST_200600_302600_NS6detail15normal_iteratorINS8_10device_ptrIxEEEESD_jNS1_19radix_merge_compareILb0ELb0ExNS0_19identity_decomposerEEEEE10hipError_tT0_T1_T2_jT3_P12ihipStream_tbPNSt15iterator_traitsISI_E10value_typeEPNSO_ISJ_E10value_typeEPSK_NS1_7vsmem_tEENKUlT_SI_SJ_SK_E_clISD_PxSD_S10_EESH_SX_SI_SJ_SK_EUlSX_E0_NS1_11comp_targetILNS1_3genE9ELNS1_11target_archE1100ELNS1_3gpuE3ELNS1_3repE0EEENS1_38merge_mergepath_config_static_selectorELNS0_4arch9wavefront6targetE1EEEvSJ_.has_recursion, 0
	.set _ZN7rocprim17ROCPRIM_400000_NS6detail17trampoline_kernelINS0_14default_configENS1_38merge_sort_block_merge_config_selectorIxxEEZZNS1_27merge_sort_block_merge_implIS3_N6thrust23THRUST_200600_302600_NS6detail15normal_iteratorINS8_10device_ptrIxEEEESD_jNS1_19radix_merge_compareILb0ELb0ExNS0_19identity_decomposerEEEEE10hipError_tT0_T1_T2_jT3_P12ihipStream_tbPNSt15iterator_traitsISI_E10value_typeEPNSO_ISJ_E10value_typeEPSK_NS1_7vsmem_tEENKUlT_SI_SJ_SK_E_clISD_PxSD_S10_EESH_SX_SI_SJ_SK_EUlSX_E0_NS1_11comp_targetILNS1_3genE9ELNS1_11target_archE1100ELNS1_3gpuE3ELNS1_3repE0EEENS1_38merge_mergepath_config_static_selectorELNS0_4arch9wavefront6targetE1EEEvSJ_.has_indirect_call, 0
	.section	.AMDGPU.csdata,"",@progbits
; Kernel info:
; codeLenInByte = 0
; TotalNumSgprs: 6
; NumVgprs: 0
; NumAgprs: 0
; TotalNumVgprs: 0
; ScratchSize: 0
; MemoryBound: 0
; FloatMode: 240
; IeeeMode: 1
; LDSByteSize: 0 bytes/workgroup (compile time only)
; SGPRBlocks: 0
; VGPRBlocks: 0
; NumSGPRsForWavesPerEU: 6
; NumVGPRsForWavesPerEU: 1
; AccumOffset: 4
; Occupancy: 8
; WaveLimiterHint : 0
; COMPUTE_PGM_RSRC2:SCRATCH_EN: 0
; COMPUTE_PGM_RSRC2:USER_SGPR: 2
; COMPUTE_PGM_RSRC2:TRAP_HANDLER: 0
; COMPUTE_PGM_RSRC2:TGID_X_EN: 1
; COMPUTE_PGM_RSRC2:TGID_Y_EN: 0
; COMPUTE_PGM_RSRC2:TGID_Z_EN: 0
; COMPUTE_PGM_RSRC2:TIDIG_COMP_CNT: 0
; COMPUTE_PGM_RSRC3_GFX90A:ACCUM_OFFSET: 0
; COMPUTE_PGM_RSRC3_GFX90A:TG_SPLIT: 0
	.section	.text._ZN7rocprim17ROCPRIM_400000_NS6detail17trampoline_kernelINS0_14default_configENS1_38merge_sort_block_merge_config_selectorIxxEEZZNS1_27merge_sort_block_merge_implIS3_N6thrust23THRUST_200600_302600_NS6detail15normal_iteratorINS8_10device_ptrIxEEEESD_jNS1_19radix_merge_compareILb0ELb0ExNS0_19identity_decomposerEEEEE10hipError_tT0_T1_T2_jT3_P12ihipStream_tbPNSt15iterator_traitsISI_E10value_typeEPNSO_ISJ_E10value_typeEPSK_NS1_7vsmem_tEENKUlT_SI_SJ_SK_E_clISD_PxSD_S10_EESH_SX_SI_SJ_SK_EUlSX_E0_NS1_11comp_targetILNS1_3genE8ELNS1_11target_archE1030ELNS1_3gpuE2ELNS1_3repE0EEENS1_38merge_mergepath_config_static_selectorELNS0_4arch9wavefront6targetE1EEEvSJ_,"axG",@progbits,_ZN7rocprim17ROCPRIM_400000_NS6detail17trampoline_kernelINS0_14default_configENS1_38merge_sort_block_merge_config_selectorIxxEEZZNS1_27merge_sort_block_merge_implIS3_N6thrust23THRUST_200600_302600_NS6detail15normal_iteratorINS8_10device_ptrIxEEEESD_jNS1_19radix_merge_compareILb0ELb0ExNS0_19identity_decomposerEEEEE10hipError_tT0_T1_T2_jT3_P12ihipStream_tbPNSt15iterator_traitsISI_E10value_typeEPNSO_ISJ_E10value_typeEPSK_NS1_7vsmem_tEENKUlT_SI_SJ_SK_E_clISD_PxSD_S10_EESH_SX_SI_SJ_SK_EUlSX_E0_NS1_11comp_targetILNS1_3genE8ELNS1_11target_archE1030ELNS1_3gpuE2ELNS1_3repE0EEENS1_38merge_mergepath_config_static_selectorELNS0_4arch9wavefront6targetE1EEEvSJ_,comdat
	.protected	_ZN7rocprim17ROCPRIM_400000_NS6detail17trampoline_kernelINS0_14default_configENS1_38merge_sort_block_merge_config_selectorIxxEEZZNS1_27merge_sort_block_merge_implIS3_N6thrust23THRUST_200600_302600_NS6detail15normal_iteratorINS8_10device_ptrIxEEEESD_jNS1_19radix_merge_compareILb0ELb0ExNS0_19identity_decomposerEEEEE10hipError_tT0_T1_T2_jT3_P12ihipStream_tbPNSt15iterator_traitsISI_E10value_typeEPNSO_ISJ_E10value_typeEPSK_NS1_7vsmem_tEENKUlT_SI_SJ_SK_E_clISD_PxSD_S10_EESH_SX_SI_SJ_SK_EUlSX_E0_NS1_11comp_targetILNS1_3genE8ELNS1_11target_archE1030ELNS1_3gpuE2ELNS1_3repE0EEENS1_38merge_mergepath_config_static_selectorELNS0_4arch9wavefront6targetE1EEEvSJ_ ; -- Begin function _ZN7rocprim17ROCPRIM_400000_NS6detail17trampoline_kernelINS0_14default_configENS1_38merge_sort_block_merge_config_selectorIxxEEZZNS1_27merge_sort_block_merge_implIS3_N6thrust23THRUST_200600_302600_NS6detail15normal_iteratorINS8_10device_ptrIxEEEESD_jNS1_19radix_merge_compareILb0ELb0ExNS0_19identity_decomposerEEEEE10hipError_tT0_T1_T2_jT3_P12ihipStream_tbPNSt15iterator_traitsISI_E10value_typeEPNSO_ISJ_E10value_typeEPSK_NS1_7vsmem_tEENKUlT_SI_SJ_SK_E_clISD_PxSD_S10_EESH_SX_SI_SJ_SK_EUlSX_E0_NS1_11comp_targetILNS1_3genE8ELNS1_11target_archE1030ELNS1_3gpuE2ELNS1_3repE0EEENS1_38merge_mergepath_config_static_selectorELNS0_4arch9wavefront6targetE1EEEvSJ_
	.globl	_ZN7rocprim17ROCPRIM_400000_NS6detail17trampoline_kernelINS0_14default_configENS1_38merge_sort_block_merge_config_selectorIxxEEZZNS1_27merge_sort_block_merge_implIS3_N6thrust23THRUST_200600_302600_NS6detail15normal_iteratorINS8_10device_ptrIxEEEESD_jNS1_19radix_merge_compareILb0ELb0ExNS0_19identity_decomposerEEEEE10hipError_tT0_T1_T2_jT3_P12ihipStream_tbPNSt15iterator_traitsISI_E10value_typeEPNSO_ISJ_E10value_typeEPSK_NS1_7vsmem_tEENKUlT_SI_SJ_SK_E_clISD_PxSD_S10_EESH_SX_SI_SJ_SK_EUlSX_E0_NS1_11comp_targetILNS1_3genE8ELNS1_11target_archE1030ELNS1_3gpuE2ELNS1_3repE0EEENS1_38merge_mergepath_config_static_selectorELNS0_4arch9wavefront6targetE1EEEvSJ_
	.p2align	8
	.type	_ZN7rocprim17ROCPRIM_400000_NS6detail17trampoline_kernelINS0_14default_configENS1_38merge_sort_block_merge_config_selectorIxxEEZZNS1_27merge_sort_block_merge_implIS3_N6thrust23THRUST_200600_302600_NS6detail15normal_iteratorINS8_10device_ptrIxEEEESD_jNS1_19radix_merge_compareILb0ELb0ExNS0_19identity_decomposerEEEEE10hipError_tT0_T1_T2_jT3_P12ihipStream_tbPNSt15iterator_traitsISI_E10value_typeEPNSO_ISJ_E10value_typeEPSK_NS1_7vsmem_tEENKUlT_SI_SJ_SK_E_clISD_PxSD_S10_EESH_SX_SI_SJ_SK_EUlSX_E0_NS1_11comp_targetILNS1_3genE8ELNS1_11target_archE1030ELNS1_3gpuE2ELNS1_3repE0EEENS1_38merge_mergepath_config_static_selectorELNS0_4arch9wavefront6targetE1EEEvSJ_,@function
_ZN7rocprim17ROCPRIM_400000_NS6detail17trampoline_kernelINS0_14default_configENS1_38merge_sort_block_merge_config_selectorIxxEEZZNS1_27merge_sort_block_merge_implIS3_N6thrust23THRUST_200600_302600_NS6detail15normal_iteratorINS8_10device_ptrIxEEEESD_jNS1_19radix_merge_compareILb0ELb0ExNS0_19identity_decomposerEEEEE10hipError_tT0_T1_T2_jT3_P12ihipStream_tbPNSt15iterator_traitsISI_E10value_typeEPNSO_ISJ_E10value_typeEPSK_NS1_7vsmem_tEENKUlT_SI_SJ_SK_E_clISD_PxSD_S10_EESH_SX_SI_SJ_SK_EUlSX_E0_NS1_11comp_targetILNS1_3genE8ELNS1_11target_archE1030ELNS1_3gpuE2ELNS1_3repE0EEENS1_38merge_mergepath_config_static_selectorELNS0_4arch9wavefront6targetE1EEEvSJ_: ; @_ZN7rocprim17ROCPRIM_400000_NS6detail17trampoline_kernelINS0_14default_configENS1_38merge_sort_block_merge_config_selectorIxxEEZZNS1_27merge_sort_block_merge_implIS3_N6thrust23THRUST_200600_302600_NS6detail15normal_iteratorINS8_10device_ptrIxEEEESD_jNS1_19radix_merge_compareILb0ELb0ExNS0_19identity_decomposerEEEEE10hipError_tT0_T1_T2_jT3_P12ihipStream_tbPNSt15iterator_traitsISI_E10value_typeEPNSO_ISJ_E10value_typeEPSK_NS1_7vsmem_tEENKUlT_SI_SJ_SK_E_clISD_PxSD_S10_EESH_SX_SI_SJ_SK_EUlSX_E0_NS1_11comp_targetILNS1_3genE8ELNS1_11target_archE1030ELNS1_3gpuE2ELNS1_3repE0EEENS1_38merge_mergepath_config_static_selectorELNS0_4arch9wavefront6targetE1EEEvSJ_
; %bb.0:
	.section	.rodata,"a",@progbits
	.p2align	6, 0x0
	.amdhsa_kernel _ZN7rocprim17ROCPRIM_400000_NS6detail17trampoline_kernelINS0_14default_configENS1_38merge_sort_block_merge_config_selectorIxxEEZZNS1_27merge_sort_block_merge_implIS3_N6thrust23THRUST_200600_302600_NS6detail15normal_iteratorINS8_10device_ptrIxEEEESD_jNS1_19radix_merge_compareILb0ELb0ExNS0_19identity_decomposerEEEEE10hipError_tT0_T1_T2_jT3_P12ihipStream_tbPNSt15iterator_traitsISI_E10value_typeEPNSO_ISJ_E10value_typeEPSK_NS1_7vsmem_tEENKUlT_SI_SJ_SK_E_clISD_PxSD_S10_EESH_SX_SI_SJ_SK_EUlSX_E0_NS1_11comp_targetILNS1_3genE8ELNS1_11target_archE1030ELNS1_3gpuE2ELNS1_3repE0EEENS1_38merge_mergepath_config_static_selectorELNS0_4arch9wavefront6targetE1EEEvSJ_
		.amdhsa_group_segment_fixed_size 0
		.amdhsa_private_segment_fixed_size 0
		.amdhsa_kernarg_size 64
		.amdhsa_user_sgpr_count 2
		.amdhsa_user_sgpr_dispatch_ptr 0
		.amdhsa_user_sgpr_queue_ptr 0
		.amdhsa_user_sgpr_kernarg_segment_ptr 1
		.amdhsa_user_sgpr_dispatch_id 0
		.amdhsa_user_sgpr_kernarg_preload_length 0
		.amdhsa_user_sgpr_kernarg_preload_offset 0
		.amdhsa_user_sgpr_private_segment_size 0
		.amdhsa_uses_dynamic_stack 0
		.amdhsa_enable_private_segment 0
		.amdhsa_system_sgpr_workgroup_id_x 1
		.amdhsa_system_sgpr_workgroup_id_y 0
		.amdhsa_system_sgpr_workgroup_id_z 0
		.amdhsa_system_sgpr_workgroup_info 0
		.amdhsa_system_vgpr_workitem_id 0
		.amdhsa_next_free_vgpr 1
		.amdhsa_next_free_sgpr 0
		.amdhsa_accum_offset 4
		.amdhsa_reserve_vcc 0
		.amdhsa_float_round_mode_32 0
		.amdhsa_float_round_mode_16_64 0
		.amdhsa_float_denorm_mode_32 3
		.amdhsa_float_denorm_mode_16_64 3
		.amdhsa_dx10_clamp 1
		.amdhsa_ieee_mode 1
		.amdhsa_fp16_overflow 0
		.amdhsa_tg_split 0
		.amdhsa_exception_fp_ieee_invalid_op 0
		.amdhsa_exception_fp_denorm_src 0
		.amdhsa_exception_fp_ieee_div_zero 0
		.amdhsa_exception_fp_ieee_overflow 0
		.amdhsa_exception_fp_ieee_underflow 0
		.amdhsa_exception_fp_ieee_inexact 0
		.amdhsa_exception_int_div_zero 0
	.end_amdhsa_kernel
	.section	.text._ZN7rocprim17ROCPRIM_400000_NS6detail17trampoline_kernelINS0_14default_configENS1_38merge_sort_block_merge_config_selectorIxxEEZZNS1_27merge_sort_block_merge_implIS3_N6thrust23THRUST_200600_302600_NS6detail15normal_iteratorINS8_10device_ptrIxEEEESD_jNS1_19radix_merge_compareILb0ELb0ExNS0_19identity_decomposerEEEEE10hipError_tT0_T1_T2_jT3_P12ihipStream_tbPNSt15iterator_traitsISI_E10value_typeEPNSO_ISJ_E10value_typeEPSK_NS1_7vsmem_tEENKUlT_SI_SJ_SK_E_clISD_PxSD_S10_EESH_SX_SI_SJ_SK_EUlSX_E0_NS1_11comp_targetILNS1_3genE8ELNS1_11target_archE1030ELNS1_3gpuE2ELNS1_3repE0EEENS1_38merge_mergepath_config_static_selectorELNS0_4arch9wavefront6targetE1EEEvSJ_,"axG",@progbits,_ZN7rocprim17ROCPRIM_400000_NS6detail17trampoline_kernelINS0_14default_configENS1_38merge_sort_block_merge_config_selectorIxxEEZZNS1_27merge_sort_block_merge_implIS3_N6thrust23THRUST_200600_302600_NS6detail15normal_iteratorINS8_10device_ptrIxEEEESD_jNS1_19radix_merge_compareILb0ELb0ExNS0_19identity_decomposerEEEEE10hipError_tT0_T1_T2_jT3_P12ihipStream_tbPNSt15iterator_traitsISI_E10value_typeEPNSO_ISJ_E10value_typeEPSK_NS1_7vsmem_tEENKUlT_SI_SJ_SK_E_clISD_PxSD_S10_EESH_SX_SI_SJ_SK_EUlSX_E0_NS1_11comp_targetILNS1_3genE8ELNS1_11target_archE1030ELNS1_3gpuE2ELNS1_3repE0EEENS1_38merge_mergepath_config_static_selectorELNS0_4arch9wavefront6targetE1EEEvSJ_,comdat
.Lfunc_end1104:
	.size	_ZN7rocprim17ROCPRIM_400000_NS6detail17trampoline_kernelINS0_14default_configENS1_38merge_sort_block_merge_config_selectorIxxEEZZNS1_27merge_sort_block_merge_implIS3_N6thrust23THRUST_200600_302600_NS6detail15normal_iteratorINS8_10device_ptrIxEEEESD_jNS1_19radix_merge_compareILb0ELb0ExNS0_19identity_decomposerEEEEE10hipError_tT0_T1_T2_jT3_P12ihipStream_tbPNSt15iterator_traitsISI_E10value_typeEPNSO_ISJ_E10value_typeEPSK_NS1_7vsmem_tEENKUlT_SI_SJ_SK_E_clISD_PxSD_S10_EESH_SX_SI_SJ_SK_EUlSX_E0_NS1_11comp_targetILNS1_3genE8ELNS1_11target_archE1030ELNS1_3gpuE2ELNS1_3repE0EEENS1_38merge_mergepath_config_static_selectorELNS0_4arch9wavefront6targetE1EEEvSJ_, .Lfunc_end1104-_ZN7rocprim17ROCPRIM_400000_NS6detail17trampoline_kernelINS0_14default_configENS1_38merge_sort_block_merge_config_selectorIxxEEZZNS1_27merge_sort_block_merge_implIS3_N6thrust23THRUST_200600_302600_NS6detail15normal_iteratorINS8_10device_ptrIxEEEESD_jNS1_19radix_merge_compareILb0ELb0ExNS0_19identity_decomposerEEEEE10hipError_tT0_T1_T2_jT3_P12ihipStream_tbPNSt15iterator_traitsISI_E10value_typeEPNSO_ISJ_E10value_typeEPSK_NS1_7vsmem_tEENKUlT_SI_SJ_SK_E_clISD_PxSD_S10_EESH_SX_SI_SJ_SK_EUlSX_E0_NS1_11comp_targetILNS1_3genE8ELNS1_11target_archE1030ELNS1_3gpuE2ELNS1_3repE0EEENS1_38merge_mergepath_config_static_selectorELNS0_4arch9wavefront6targetE1EEEvSJ_
                                        ; -- End function
	.set _ZN7rocprim17ROCPRIM_400000_NS6detail17trampoline_kernelINS0_14default_configENS1_38merge_sort_block_merge_config_selectorIxxEEZZNS1_27merge_sort_block_merge_implIS3_N6thrust23THRUST_200600_302600_NS6detail15normal_iteratorINS8_10device_ptrIxEEEESD_jNS1_19radix_merge_compareILb0ELb0ExNS0_19identity_decomposerEEEEE10hipError_tT0_T1_T2_jT3_P12ihipStream_tbPNSt15iterator_traitsISI_E10value_typeEPNSO_ISJ_E10value_typeEPSK_NS1_7vsmem_tEENKUlT_SI_SJ_SK_E_clISD_PxSD_S10_EESH_SX_SI_SJ_SK_EUlSX_E0_NS1_11comp_targetILNS1_3genE8ELNS1_11target_archE1030ELNS1_3gpuE2ELNS1_3repE0EEENS1_38merge_mergepath_config_static_selectorELNS0_4arch9wavefront6targetE1EEEvSJ_.num_vgpr, 0
	.set _ZN7rocprim17ROCPRIM_400000_NS6detail17trampoline_kernelINS0_14default_configENS1_38merge_sort_block_merge_config_selectorIxxEEZZNS1_27merge_sort_block_merge_implIS3_N6thrust23THRUST_200600_302600_NS6detail15normal_iteratorINS8_10device_ptrIxEEEESD_jNS1_19radix_merge_compareILb0ELb0ExNS0_19identity_decomposerEEEEE10hipError_tT0_T1_T2_jT3_P12ihipStream_tbPNSt15iterator_traitsISI_E10value_typeEPNSO_ISJ_E10value_typeEPSK_NS1_7vsmem_tEENKUlT_SI_SJ_SK_E_clISD_PxSD_S10_EESH_SX_SI_SJ_SK_EUlSX_E0_NS1_11comp_targetILNS1_3genE8ELNS1_11target_archE1030ELNS1_3gpuE2ELNS1_3repE0EEENS1_38merge_mergepath_config_static_selectorELNS0_4arch9wavefront6targetE1EEEvSJ_.num_agpr, 0
	.set _ZN7rocprim17ROCPRIM_400000_NS6detail17trampoline_kernelINS0_14default_configENS1_38merge_sort_block_merge_config_selectorIxxEEZZNS1_27merge_sort_block_merge_implIS3_N6thrust23THRUST_200600_302600_NS6detail15normal_iteratorINS8_10device_ptrIxEEEESD_jNS1_19radix_merge_compareILb0ELb0ExNS0_19identity_decomposerEEEEE10hipError_tT0_T1_T2_jT3_P12ihipStream_tbPNSt15iterator_traitsISI_E10value_typeEPNSO_ISJ_E10value_typeEPSK_NS1_7vsmem_tEENKUlT_SI_SJ_SK_E_clISD_PxSD_S10_EESH_SX_SI_SJ_SK_EUlSX_E0_NS1_11comp_targetILNS1_3genE8ELNS1_11target_archE1030ELNS1_3gpuE2ELNS1_3repE0EEENS1_38merge_mergepath_config_static_selectorELNS0_4arch9wavefront6targetE1EEEvSJ_.numbered_sgpr, 0
	.set _ZN7rocprim17ROCPRIM_400000_NS6detail17trampoline_kernelINS0_14default_configENS1_38merge_sort_block_merge_config_selectorIxxEEZZNS1_27merge_sort_block_merge_implIS3_N6thrust23THRUST_200600_302600_NS6detail15normal_iteratorINS8_10device_ptrIxEEEESD_jNS1_19radix_merge_compareILb0ELb0ExNS0_19identity_decomposerEEEEE10hipError_tT0_T1_T2_jT3_P12ihipStream_tbPNSt15iterator_traitsISI_E10value_typeEPNSO_ISJ_E10value_typeEPSK_NS1_7vsmem_tEENKUlT_SI_SJ_SK_E_clISD_PxSD_S10_EESH_SX_SI_SJ_SK_EUlSX_E0_NS1_11comp_targetILNS1_3genE8ELNS1_11target_archE1030ELNS1_3gpuE2ELNS1_3repE0EEENS1_38merge_mergepath_config_static_selectorELNS0_4arch9wavefront6targetE1EEEvSJ_.num_named_barrier, 0
	.set _ZN7rocprim17ROCPRIM_400000_NS6detail17trampoline_kernelINS0_14default_configENS1_38merge_sort_block_merge_config_selectorIxxEEZZNS1_27merge_sort_block_merge_implIS3_N6thrust23THRUST_200600_302600_NS6detail15normal_iteratorINS8_10device_ptrIxEEEESD_jNS1_19radix_merge_compareILb0ELb0ExNS0_19identity_decomposerEEEEE10hipError_tT0_T1_T2_jT3_P12ihipStream_tbPNSt15iterator_traitsISI_E10value_typeEPNSO_ISJ_E10value_typeEPSK_NS1_7vsmem_tEENKUlT_SI_SJ_SK_E_clISD_PxSD_S10_EESH_SX_SI_SJ_SK_EUlSX_E0_NS1_11comp_targetILNS1_3genE8ELNS1_11target_archE1030ELNS1_3gpuE2ELNS1_3repE0EEENS1_38merge_mergepath_config_static_selectorELNS0_4arch9wavefront6targetE1EEEvSJ_.private_seg_size, 0
	.set _ZN7rocprim17ROCPRIM_400000_NS6detail17trampoline_kernelINS0_14default_configENS1_38merge_sort_block_merge_config_selectorIxxEEZZNS1_27merge_sort_block_merge_implIS3_N6thrust23THRUST_200600_302600_NS6detail15normal_iteratorINS8_10device_ptrIxEEEESD_jNS1_19radix_merge_compareILb0ELb0ExNS0_19identity_decomposerEEEEE10hipError_tT0_T1_T2_jT3_P12ihipStream_tbPNSt15iterator_traitsISI_E10value_typeEPNSO_ISJ_E10value_typeEPSK_NS1_7vsmem_tEENKUlT_SI_SJ_SK_E_clISD_PxSD_S10_EESH_SX_SI_SJ_SK_EUlSX_E0_NS1_11comp_targetILNS1_3genE8ELNS1_11target_archE1030ELNS1_3gpuE2ELNS1_3repE0EEENS1_38merge_mergepath_config_static_selectorELNS0_4arch9wavefront6targetE1EEEvSJ_.uses_vcc, 0
	.set _ZN7rocprim17ROCPRIM_400000_NS6detail17trampoline_kernelINS0_14default_configENS1_38merge_sort_block_merge_config_selectorIxxEEZZNS1_27merge_sort_block_merge_implIS3_N6thrust23THRUST_200600_302600_NS6detail15normal_iteratorINS8_10device_ptrIxEEEESD_jNS1_19radix_merge_compareILb0ELb0ExNS0_19identity_decomposerEEEEE10hipError_tT0_T1_T2_jT3_P12ihipStream_tbPNSt15iterator_traitsISI_E10value_typeEPNSO_ISJ_E10value_typeEPSK_NS1_7vsmem_tEENKUlT_SI_SJ_SK_E_clISD_PxSD_S10_EESH_SX_SI_SJ_SK_EUlSX_E0_NS1_11comp_targetILNS1_3genE8ELNS1_11target_archE1030ELNS1_3gpuE2ELNS1_3repE0EEENS1_38merge_mergepath_config_static_selectorELNS0_4arch9wavefront6targetE1EEEvSJ_.uses_flat_scratch, 0
	.set _ZN7rocprim17ROCPRIM_400000_NS6detail17trampoline_kernelINS0_14default_configENS1_38merge_sort_block_merge_config_selectorIxxEEZZNS1_27merge_sort_block_merge_implIS3_N6thrust23THRUST_200600_302600_NS6detail15normal_iteratorINS8_10device_ptrIxEEEESD_jNS1_19radix_merge_compareILb0ELb0ExNS0_19identity_decomposerEEEEE10hipError_tT0_T1_T2_jT3_P12ihipStream_tbPNSt15iterator_traitsISI_E10value_typeEPNSO_ISJ_E10value_typeEPSK_NS1_7vsmem_tEENKUlT_SI_SJ_SK_E_clISD_PxSD_S10_EESH_SX_SI_SJ_SK_EUlSX_E0_NS1_11comp_targetILNS1_3genE8ELNS1_11target_archE1030ELNS1_3gpuE2ELNS1_3repE0EEENS1_38merge_mergepath_config_static_selectorELNS0_4arch9wavefront6targetE1EEEvSJ_.has_dyn_sized_stack, 0
	.set _ZN7rocprim17ROCPRIM_400000_NS6detail17trampoline_kernelINS0_14default_configENS1_38merge_sort_block_merge_config_selectorIxxEEZZNS1_27merge_sort_block_merge_implIS3_N6thrust23THRUST_200600_302600_NS6detail15normal_iteratorINS8_10device_ptrIxEEEESD_jNS1_19radix_merge_compareILb0ELb0ExNS0_19identity_decomposerEEEEE10hipError_tT0_T1_T2_jT3_P12ihipStream_tbPNSt15iterator_traitsISI_E10value_typeEPNSO_ISJ_E10value_typeEPSK_NS1_7vsmem_tEENKUlT_SI_SJ_SK_E_clISD_PxSD_S10_EESH_SX_SI_SJ_SK_EUlSX_E0_NS1_11comp_targetILNS1_3genE8ELNS1_11target_archE1030ELNS1_3gpuE2ELNS1_3repE0EEENS1_38merge_mergepath_config_static_selectorELNS0_4arch9wavefront6targetE1EEEvSJ_.has_recursion, 0
	.set _ZN7rocprim17ROCPRIM_400000_NS6detail17trampoline_kernelINS0_14default_configENS1_38merge_sort_block_merge_config_selectorIxxEEZZNS1_27merge_sort_block_merge_implIS3_N6thrust23THRUST_200600_302600_NS6detail15normal_iteratorINS8_10device_ptrIxEEEESD_jNS1_19radix_merge_compareILb0ELb0ExNS0_19identity_decomposerEEEEE10hipError_tT0_T1_T2_jT3_P12ihipStream_tbPNSt15iterator_traitsISI_E10value_typeEPNSO_ISJ_E10value_typeEPSK_NS1_7vsmem_tEENKUlT_SI_SJ_SK_E_clISD_PxSD_S10_EESH_SX_SI_SJ_SK_EUlSX_E0_NS1_11comp_targetILNS1_3genE8ELNS1_11target_archE1030ELNS1_3gpuE2ELNS1_3repE0EEENS1_38merge_mergepath_config_static_selectorELNS0_4arch9wavefront6targetE1EEEvSJ_.has_indirect_call, 0
	.section	.AMDGPU.csdata,"",@progbits
; Kernel info:
; codeLenInByte = 0
; TotalNumSgprs: 6
; NumVgprs: 0
; NumAgprs: 0
; TotalNumVgprs: 0
; ScratchSize: 0
; MemoryBound: 0
; FloatMode: 240
; IeeeMode: 1
; LDSByteSize: 0 bytes/workgroup (compile time only)
; SGPRBlocks: 0
; VGPRBlocks: 0
; NumSGPRsForWavesPerEU: 6
; NumVGPRsForWavesPerEU: 1
; AccumOffset: 4
; Occupancy: 8
; WaveLimiterHint : 0
; COMPUTE_PGM_RSRC2:SCRATCH_EN: 0
; COMPUTE_PGM_RSRC2:USER_SGPR: 2
; COMPUTE_PGM_RSRC2:TRAP_HANDLER: 0
; COMPUTE_PGM_RSRC2:TGID_X_EN: 1
; COMPUTE_PGM_RSRC2:TGID_Y_EN: 0
; COMPUTE_PGM_RSRC2:TGID_Z_EN: 0
; COMPUTE_PGM_RSRC2:TIDIG_COMP_CNT: 0
; COMPUTE_PGM_RSRC3_GFX90A:ACCUM_OFFSET: 0
; COMPUTE_PGM_RSRC3_GFX90A:TG_SPLIT: 0
	.section	.text._ZN7rocprim17ROCPRIM_400000_NS6detail17trampoline_kernelINS0_14default_configENS1_38merge_sort_block_merge_config_selectorIxxEEZZNS1_27merge_sort_block_merge_implIS3_N6thrust23THRUST_200600_302600_NS6detail15normal_iteratorINS8_10device_ptrIxEEEESD_jNS1_19radix_merge_compareILb0ELb0ExNS0_19identity_decomposerEEEEE10hipError_tT0_T1_T2_jT3_P12ihipStream_tbPNSt15iterator_traitsISI_E10value_typeEPNSO_ISJ_E10value_typeEPSK_NS1_7vsmem_tEENKUlT_SI_SJ_SK_E_clISD_PxSD_S10_EESH_SX_SI_SJ_SK_EUlSX_E1_NS1_11comp_targetILNS1_3genE0ELNS1_11target_archE4294967295ELNS1_3gpuE0ELNS1_3repE0EEENS1_36merge_oddeven_config_static_selectorELNS0_4arch9wavefront6targetE1EEEvSJ_,"axG",@progbits,_ZN7rocprim17ROCPRIM_400000_NS6detail17trampoline_kernelINS0_14default_configENS1_38merge_sort_block_merge_config_selectorIxxEEZZNS1_27merge_sort_block_merge_implIS3_N6thrust23THRUST_200600_302600_NS6detail15normal_iteratorINS8_10device_ptrIxEEEESD_jNS1_19radix_merge_compareILb0ELb0ExNS0_19identity_decomposerEEEEE10hipError_tT0_T1_T2_jT3_P12ihipStream_tbPNSt15iterator_traitsISI_E10value_typeEPNSO_ISJ_E10value_typeEPSK_NS1_7vsmem_tEENKUlT_SI_SJ_SK_E_clISD_PxSD_S10_EESH_SX_SI_SJ_SK_EUlSX_E1_NS1_11comp_targetILNS1_3genE0ELNS1_11target_archE4294967295ELNS1_3gpuE0ELNS1_3repE0EEENS1_36merge_oddeven_config_static_selectorELNS0_4arch9wavefront6targetE1EEEvSJ_,comdat
	.protected	_ZN7rocprim17ROCPRIM_400000_NS6detail17trampoline_kernelINS0_14default_configENS1_38merge_sort_block_merge_config_selectorIxxEEZZNS1_27merge_sort_block_merge_implIS3_N6thrust23THRUST_200600_302600_NS6detail15normal_iteratorINS8_10device_ptrIxEEEESD_jNS1_19radix_merge_compareILb0ELb0ExNS0_19identity_decomposerEEEEE10hipError_tT0_T1_T2_jT3_P12ihipStream_tbPNSt15iterator_traitsISI_E10value_typeEPNSO_ISJ_E10value_typeEPSK_NS1_7vsmem_tEENKUlT_SI_SJ_SK_E_clISD_PxSD_S10_EESH_SX_SI_SJ_SK_EUlSX_E1_NS1_11comp_targetILNS1_3genE0ELNS1_11target_archE4294967295ELNS1_3gpuE0ELNS1_3repE0EEENS1_36merge_oddeven_config_static_selectorELNS0_4arch9wavefront6targetE1EEEvSJ_ ; -- Begin function _ZN7rocprim17ROCPRIM_400000_NS6detail17trampoline_kernelINS0_14default_configENS1_38merge_sort_block_merge_config_selectorIxxEEZZNS1_27merge_sort_block_merge_implIS3_N6thrust23THRUST_200600_302600_NS6detail15normal_iteratorINS8_10device_ptrIxEEEESD_jNS1_19radix_merge_compareILb0ELb0ExNS0_19identity_decomposerEEEEE10hipError_tT0_T1_T2_jT3_P12ihipStream_tbPNSt15iterator_traitsISI_E10value_typeEPNSO_ISJ_E10value_typeEPSK_NS1_7vsmem_tEENKUlT_SI_SJ_SK_E_clISD_PxSD_S10_EESH_SX_SI_SJ_SK_EUlSX_E1_NS1_11comp_targetILNS1_3genE0ELNS1_11target_archE4294967295ELNS1_3gpuE0ELNS1_3repE0EEENS1_36merge_oddeven_config_static_selectorELNS0_4arch9wavefront6targetE1EEEvSJ_
	.globl	_ZN7rocprim17ROCPRIM_400000_NS6detail17trampoline_kernelINS0_14default_configENS1_38merge_sort_block_merge_config_selectorIxxEEZZNS1_27merge_sort_block_merge_implIS3_N6thrust23THRUST_200600_302600_NS6detail15normal_iteratorINS8_10device_ptrIxEEEESD_jNS1_19radix_merge_compareILb0ELb0ExNS0_19identity_decomposerEEEEE10hipError_tT0_T1_T2_jT3_P12ihipStream_tbPNSt15iterator_traitsISI_E10value_typeEPNSO_ISJ_E10value_typeEPSK_NS1_7vsmem_tEENKUlT_SI_SJ_SK_E_clISD_PxSD_S10_EESH_SX_SI_SJ_SK_EUlSX_E1_NS1_11comp_targetILNS1_3genE0ELNS1_11target_archE4294967295ELNS1_3gpuE0ELNS1_3repE0EEENS1_36merge_oddeven_config_static_selectorELNS0_4arch9wavefront6targetE1EEEvSJ_
	.p2align	8
	.type	_ZN7rocprim17ROCPRIM_400000_NS6detail17trampoline_kernelINS0_14default_configENS1_38merge_sort_block_merge_config_selectorIxxEEZZNS1_27merge_sort_block_merge_implIS3_N6thrust23THRUST_200600_302600_NS6detail15normal_iteratorINS8_10device_ptrIxEEEESD_jNS1_19radix_merge_compareILb0ELb0ExNS0_19identity_decomposerEEEEE10hipError_tT0_T1_T2_jT3_P12ihipStream_tbPNSt15iterator_traitsISI_E10value_typeEPNSO_ISJ_E10value_typeEPSK_NS1_7vsmem_tEENKUlT_SI_SJ_SK_E_clISD_PxSD_S10_EESH_SX_SI_SJ_SK_EUlSX_E1_NS1_11comp_targetILNS1_3genE0ELNS1_11target_archE4294967295ELNS1_3gpuE0ELNS1_3repE0EEENS1_36merge_oddeven_config_static_selectorELNS0_4arch9wavefront6targetE1EEEvSJ_,@function
_ZN7rocprim17ROCPRIM_400000_NS6detail17trampoline_kernelINS0_14default_configENS1_38merge_sort_block_merge_config_selectorIxxEEZZNS1_27merge_sort_block_merge_implIS3_N6thrust23THRUST_200600_302600_NS6detail15normal_iteratorINS8_10device_ptrIxEEEESD_jNS1_19radix_merge_compareILb0ELb0ExNS0_19identity_decomposerEEEEE10hipError_tT0_T1_T2_jT3_P12ihipStream_tbPNSt15iterator_traitsISI_E10value_typeEPNSO_ISJ_E10value_typeEPSK_NS1_7vsmem_tEENKUlT_SI_SJ_SK_E_clISD_PxSD_S10_EESH_SX_SI_SJ_SK_EUlSX_E1_NS1_11comp_targetILNS1_3genE0ELNS1_11target_archE4294967295ELNS1_3gpuE0ELNS1_3repE0EEENS1_36merge_oddeven_config_static_selectorELNS0_4arch9wavefront6targetE1EEEvSJ_: ; @_ZN7rocprim17ROCPRIM_400000_NS6detail17trampoline_kernelINS0_14default_configENS1_38merge_sort_block_merge_config_selectorIxxEEZZNS1_27merge_sort_block_merge_implIS3_N6thrust23THRUST_200600_302600_NS6detail15normal_iteratorINS8_10device_ptrIxEEEESD_jNS1_19radix_merge_compareILb0ELb0ExNS0_19identity_decomposerEEEEE10hipError_tT0_T1_T2_jT3_P12ihipStream_tbPNSt15iterator_traitsISI_E10value_typeEPNSO_ISJ_E10value_typeEPSK_NS1_7vsmem_tEENKUlT_SI_SJ_SK_E_clISD_PxSD_S10_EESH_SX_SI_SJ_SK_EUlSX_E1_NS1_11comp_targetILNS1_3genE0ELNS1_11target_archE4294967295ELNS1_3gpuE0ELNS1_3repE0EEENS1_36merge_oddeven_config_static_selectorELNS0_4arch9wavefront6targetE1EEEvSJ_
; %bb.0:
	s_load_dword s18, s[0:1], 0x20
	s_waitcnt lgkmcnt(0)
	s_lshr_b32 s3, s18, 8
	s_cmp_eq_u32 s2, s3
	s_cselect_b64 s[6:7], -1, 0
	s_cmp_lg_u32 s2, s3
	s_cselect_b64 s[8:9], -1, 0
	s_lshl_b32 s16, s2, 8
	s_sub_i32 s3, s18, s16
	v_cmp_gt_u32_e64 s[4:5], s3, v0
	s_or_b64 s[8:9], s[8:9], s[4:5]
	s_and_saveexec_b64 s[10:11], s[8:9]
	s_cbranch_execz .LBB1105_24
; %bb.1:
	s_load_dwordx8 s[8:15], s[0:1], 0x0
	s_mov_b32 s17, 0
	s_lshl_b64 s[20:21], s[16:17], 3
	v_lshlrev_b32_e32 v1, 3, v0
	s_load_dword s17, s[0:1], 0x24
	s_waitcnt lgkmcnt(0)
	s_add_u32 s22, s8, s20
	s_addc_u32 s23, s9, s21
	s_add_u32 s12, s12, s20
	s_addc_u32 s13, s13, s21
	global_load_dwordx2 v[2:3], v1, s[12:13]
	global_load_dwordx2 v[4:5], v1, s[22:23]
	s_lshr_b32 s0, s17, 8
	s_sub_i32 s1, 0, s0
	s_and_b32 s1, s2, s1
	s_and_b32 s0, s1, s0
	s_lshl_b32 s19, s1, 8
	s_sub_i32 s12, 0, s17
	s_cmp_eq_u32 s0, 0
	s_cselect_b64 s[0:1], -1, 0
	s_and_b64 s[2:3], s[0:1], exec
	s_cselect_b32 s12, s17, s12
	s_add_i32 s12, s12, s19
	s_mov_b64 s[2:3], -1
	s_cmp_gt_u32 s18, s12
	v_add_u32_e32 v0, s16, v0
	s_cbranch_scc1 .LBB1105_9
; %bb.2:
	s_and_b64 vcc, exec, s[6:7]
	s_cbranch_vccz .LBB1105_6
; %bb.3:
	v_cmp_gt_u32_e32 vcc, s18, v0
	s_and_saveexec_b64 s[2:3], vcc
	s_cbranch_execz .LBB1105_5
; %bb.4:
	v_mov_b32_e32 v1, 0
	v_lshlrev_b64 v[6:7], 3, v[0:1]
	v_lshl_add_u64 v[8:9], s[10:11], 0, v[6:7]
	v_lshl_add_u64 v[6:7], s[14:15], 0, v[6:7]
	s_waitcnt vmcnt(0)
	global_store_dwordx2 v[8:9], v[4:5], off
	global_store_dwordx2 v[6:7], v[2:3], off
.LBB1105_5:
	s_or_b64 exec, exec, s[2:3]
	s_mov_b64 s[2:3], 0
.LBB1105_6:
	s_andn2_b64 vcc, exec, s[2:3]
	s_cbranch_vccnz .LBB1105_8
; %bb.7:
	v_mov_b32_e32 v1, 0
	v_lshlrev_b64 v[6:7], 3, v[0:1]
	v_lshl_add_u64 v[8:9], s[10:11], 0, v[6:7]
	v_lshl_add_u64 v[6:7], s[14:15], 0, v[6:7]
	s_waitcnt vmcnt(0)
	global_store_dwordx2 v[8:9], v[4:5], off
	global_store_dwordx2 v[6:7], v[2:3], off
.LBB1105_8:
	s_mov_b64 s[2:3], 0
.LBB1105_9:
	s_andn2_b64 vcc, exec, s[2:3]
	s_cbranch_vccnz .LBB1105_24
; %bb.10:
	s_min_u32 s13, s12, s18
	s_add_i32 s2, s13, s17
	s_min_u32 s16, s2, s18
	s_min_u32 s2, s19, s13
	s_add_i32 s19, s19, s13
	v_subrev_u32_e32 v0, s19, v0
	v_add_u32_e32 v6, s2, v0
	s_andn2_b64 vcc, exec, s[6:7]
	s_mov_b64 s[2:3], -1
	s_cbranch_vccnz .LBB1105_18
; %bb.11:
	s_and_saveexec_b64 s[2:3], s[4:5]
	s_cbranch_execz .LBB1105_17
; %bb.12:
	s_cmp_ge_u32 s12, s16
	v_mov_b32_e32 v7, s13
	s_cbranch_scc1 .LBB1105_16
; %bb.13:
	s_mov_b64 s[4:5], 0
	v_mov_b32_e32 v8, s16
	v_mov_b32_e32 v7, s13
	;; [unrolled: 1-line block ×3, first 2 shown]
.LBB1105_14:                            ; =>This Inner Loop Header: Depth=1
	v_add_u32_e32 v0, v7, v8
	v_lshrrev_b32_e32 v0, 1, v0
	v_lshl_add_u64 v[10:11], v[0:1], 3, s[8:9]
	global_load_dwordx2 v[10:11], v[10:11], off
	v_add_u32_e32 v9, 1, v0
	s_waitcnt vmcnt(0)
	v_cmp_gt_i64_e32 vcc, v[4:5], v[10:11]
	s_nop 1
	v_cndmask_b32_e64 v12, 0, 1, vcc
	v_cmp_le_i64_e32 vcc, v[10:11], v[4:5]
	s_nop 1
	v_cndmask_b32_e64 v10, 0, 1, vcc
	v_cndmask_b32_e64 v10, v10, v12, s[0:1]
	v_and_b32_e32 v10, 1, v10
	v_cmp_eq_u32_e32 vcc, 1, v10
	s_nop 1
	v_cndmask_b32_e32 v8, v0, v8, vcc
	v_cndmask_b32_e32 v7, v7, v9, vcc
	v_cmp_ge_u32_e32 vcc, v7, v8
	s_or_b64 s[4:5], vcc, s[4:5]
	s_andn2_b64 exec, exec, s[4:5]
	s_cbranch_execnz .LBB1105_14
; %bb.15:
	s_or_b64 exec, exec, s[4:5]
.LBB1105_16:
	v_add_u32_e32 v0, v7, v6
	v_mov_b32_e32 v1, 0
	v_lshlrev_b64 v[0:1], 3, v[0:1]
	v_lshl_add_u64 v[8:9], s[10:11], 0, v[0:1]
	v_lshl_add_u64 v[0:1], s[14:15], 0, v[0:1]
	s_waitcnt vmcnt(0)
	global_store_dwordx2 v[8:9], v[4:5], off
	global_store_dwordx2 v[0:1], v[2:3], off
.LBB1105_17:
	s_or_b64 exec, exec, s[2:3]
	s_mov_b64 s[2:3], 0
.LBB1105_18:
	s_andn2_b64 vcc, exec, s[2:3]
	s_cbranch_vccnz .LBB1105_24
; %bb.19:
	s_cmp_ge_u32 s12, s16
	v_mov_b32_e32 v7, s13
	s_cbranch_scc1 .LBB1105_23
; %bb.20:
	s_mov_b64 s[2:3], 0
	v_mov_b32_e32 v8, s16
	v_mov_b32_e32 v7, s13
	;; [unrolled: 1-line block ×3, first 2 shown]
.LBB1105_21:                            ; =>This Inner Loop Header: Depth=1
	v_add_u32_e32 v0, v7, v8
	v_lshrrev_b32_e32 v0, 1, v0
	v_lshl_add_u64 v[10:11], v[0:1], 3, s[8:9]
	global_load_dwordx2 v[10:11], v[10:11], off
	v_add_u32_e32 v9, 1, v0
	s_waitcnt vmcnt(0)
	v_cmp_gt_i64_e32 vcc, v[4:5], v[10:11]
	s_nop 1
	v_cndmask_b32_e64 v12, 0, 1, vcc
	v_cmp_le_i64_e32 vcc, v[10:11], v[4:5]
	s_nop 1
	v_cndmask_b32_e64 v10, 0, 1, vcc
	v_cndmask_b32_e64 v10, v10, v12, s[0:1]
	v_and_b32_e32 v10, 1, v10
	v_cmp_eq_u32_e32 vcc, 1, v10
	s_nop 1
	v_cndmask_b32_e32 v8, v0, v8, vcc
	v_cndmask_b32_e32 v7, v7, v9, vcc
	v_cmp_ge_u32_e32 vcc, v7, v8
	s_or_b64 s[2:3], vcc, s[2:3]
	s_andn2_b64 exec, exec, s[2:3]
	s_cbranch_execnz .LBB1105_21
; %bb.22:
	s_or_b64 exec, exec, s[2:3]
.LBB1105_23:
	v_add_u32_e32 v0, v7, v6
	v_mov_b32_e32 v1, 0
	v_lshlrev_b64 v[0:1], 3, v[0:1]
	v_lshl_add_u64 v[6:7], s[10:11], 0, v[0:1]
	v_lshl_add_u64 v[0:1], s[14:15], 0, v[0:1]
	s_waitcnt vmcnt(0)
	global_store_dwordx2 v[6:7], v[4:5], off
	global_store_dwordx2 v[0:1], v[2:3], off
.LBB1105_24:
	s_endpgm
	.section	.rodata,"a",@progbits
	.p2align	6, 0x0
	.amdhsa_kernel _ZN7rocprim17ROCPRIM_400000_NS6detail17trampoline_kernelINS0_14default_configENS1_38merge_sort_block_merge_config_selectorIxxEEZZNS1_27merge_sort_block_merge_implIS3_N6thrust23THRUST_200600_302600_NS6detail15normal_iteratorINS8_10device_ptrIxEEEESD_jNS1_19radix_merge_compareILb0ELb0ExNS0_19identity_decomposerEEEEE10hipError_tT0_T1_T2_jT3_P12ihipStream_tbPNSt15iterator_traitsISI_E10value_typeEPNSO_ISJ_E10value_typeEPSK_NS1_7vsmem_tEENKUlT_SI_SJ_SK_E_clISD_PxSD_S10_EESH_SX_SI_SJ_SK_EUlSX_E1_NS1_11comp_targetILNS1_3genE0ELNS1_11target_archE4294967295ELNS1_3gpuE0ELNS1_3repE0EEENS1_36merge_oddeven_config_static_selectorELNS0_4arch9wavefront6targetE1EEEvSJ_
		.amdhsa_group_segment_fixed_size 0
		.amdhsa_private_segment_fixed_size 0
		.amdhsa_kernarg_size 48
		.amdhsa_user_sgpr_count 2
		.amdhsa_user_sgpr_dispatch_ptr 0
		.amdhsa_user_sgpr_queue_ptr 0
		.amdhsa_user_sgpr_kernarg_segment_ptr 1
		.amdhsa_user_sgpr_dispatch_id 0
		.amdhsa_user_sgpr_kernarg_preload_length 0
		.amdhsa_user_sgpr_kernarg_preload_offset 0
		.amdhsa_user_sgpr_private_segment_size 0
		.amdhsa_uses_dynamic_stack 0
		.amdhsa_enable_private_segment 0
		.amdhsa_system_sgpr_workgroup_id_x 1
		.amdhsa_system_sgpr_workgroup_id_y 0
		.amdhsa_system_sgpr_workgroup_id_z 0
		.amdhsa_system_sgpr_workgroup_info 0
		.amdhsa_system_vgpr_workitem_id 0
		.amdhsa_next_free_vgpr 13
		.amdhsa_next_free_sgpr 24
		.amdhsa_accum_offset 16
		.amdhsa_reserve_vcc 1
		.amdhsa_float_round_mode_32 0
		.amdhsa_float_round_mode_16_64 0
		.amdhsa_float_denorm_mode_32 3
		.amdhsa_float_denorm_mode_16_64 3
		.amdhsa_dx10_clamp 1
		.amdhsa_ieee_mode 1
		.amdhsa_fp16_overflow 0
		.amdhsa_tg_split 0
		.amdhsa_exception_fp_ieee_invalid_op 0
		.amdhsa_exception_fp_denorm_src 0
		.amdhsa_exception_fp_ieee_div_zero 0
		.amdhsa_exception_fp_ieee_overflow 0
		.amdhsa_exception_fp_ieee_underflow 0
		.amdhsa_exception_fp_ieee_inexact 0
		.amdhsa_exception_int_div_zero 0
	.end_amdhsa_kernel
	.section	.text._ZN7rocprim17ROCPRIM_400000_NS6detail17trampoline_kernelINS0_14default_configENS1_38merge_sort_block_merge_config_selectorIxxEEZZNS1_27merge_sort_block_merge_implIS3_N6thrust23THRUST_200600_302600_NS6detail15normal_iteratorINS8_10device_ptrIxEEEESD_jNS1_19radix_merge_compareILb0ELb0ExNS0_19identity_decomposerEEEEE10hipError_tT0_T1_T2_jT3_P12ihipStream_tbPNSt15iterator_traitsISI_E10value_typeEPNSO_ISJ_E10value_typeEPSK_NS1_7vsmem_tEENKUlT_SI_SJ_SK_E_clISD_PxSD_S10_EESH_SX_SI_SJ_SK_EUlSX_E1_NS1_11comp_targetILNS1_3genE0ELNS1_11target_archE4294967295ELNS1_3gpuE0ELNS1_3repE0EEENS1_36merge_oddeven_config_static_selectorELNS0_4arch9wavefront6targetE1EEEvSJ_,"axG",@progbits,_ZN7rocprim17ROCPRIM_400000_NS6detail17trampoline_kernelINS0_14default_configENS1_38merge_sort_block_merge_config_selectorIxxEEZZNS1_27merge_sort_block_merge_implIS3_N6thrust23THRUST_200600_302600_NS6detail15normal_iteratorINS8_10device_ptrIxEEEESD_jNS1_19radix_merge_compareILb0ELb0ExNS0_19identity_decomposerEEEEE10hipError_tT0_T1_T2_jT3_P12ihipStream_tbPNSt15iterator_traitsISI_E10value_typeEPNSO_ISJ_E10value_typeEPSK_NS1_7vsmem_tEENKUlT_SI_SJ_SK_E_clISD_PxSD_S10_EESH_SX_SI_SJ_SK_EUlSX_E1_NS1_11comp_targetILNS1_3genE0ELNS1_11target_archE4294967295ELNS1_3gpuE0ELNS1_3repE0EEENS1_36merge_oddeven_config_static_selectorELNS0_4arch9wavefront6targetE1EEEvSJ_,comdat
.Lfunc_end1105:
	.size	_ZN7rocprim17ROCPRIM_400000_NS6detail17trampoline_kernelINS0_14default_configENS1_38merge_sort_block_merge_config_selectorIxxEEZZNS1_27merge_sort_block_merge_implIS3_N6thrust23THRUST_200600_302600_NS6detail15normal_iteratorINS8_10device_ptrIxEEEESD_jNS1_19radix_merge_compareILb0ELb0ExNS0_19identity_decomposerEEEEE10hipError_tT0_T1_T2_jT3_P12ihipStream_tbPNSt15iterator_traitsISI_E10value_typeEPNSO_ISJ_E10value_typeEPSK_NS1_7vsmem_tEENKUlT_SI_SJ_SK_E_clISD_PxSD_S10_EESH_SX_SI_SJ_SK_EUlSX_E1_NS1_11comp_targetILNS1_3genE0ELNS1_11target_archE4294967295ELNS1_3gpuE0ELNS1_3repE0EEENS1_36merge_oddeven_config_static_selectorELNS0_4arch9wavefront6targetE1EEEvSJ_, .Lfunc_end1105-_ZN7rocprim17ROCPRIM_400000_NS6detail17trampoline_kernelINS0_14default_configENS1_38merge_sort_block_merge_config_selectorIxxEEZZNS1_27merge_sort_block_merge_implIS3_N6thrust23THRUST_200600_302600_NS6detail15normal_iteratorINS8_10device_ptrIxEEEESD_jNS1_19radix_merge_compareILb0ELb0ExNS0_19identity_decomposerEEEEE10hipError_tT0_T1_T2_jT3_P12ihipStream_tbPNSt15iterator_traitsISI_E10value_typeEPNSO_ISJ_E10value_typeEPSK_NS1_7vsmem_tEENKUlT_SI_SJ_SK_E_clISD_PxSD_S10_EESH_SX_SI_SJ_SK_EUlSX_E1_NS1_11comp_targetILNS1_3genE0ELNS1_11target_archE4294967295ELNS1_3gpuE0ELNS1_3repE0EEENS1_36merge_oddeven_config_static_selectorELNS0_4arch9wavefront6targetE1EEEvSJ_
                                        ; -- End function
	.set _ZN7rocprim17ROCPRIM_400000_NS6detail17trampoline_kernelINS0_14default_configENS1_38merge_sort_block_merge_config_selectorIxxEEZZNS1_27merge_sort_block_merge_implIS3_N6thrust23THRUST_200600_302600_NS6detail15normal_iteratorINS8_10device_ptrIxEEEESD_jNS1_19radix_merge_compareILb0ELb0ExNS0_19identity_decomposerEEEEE10hipError_tT0_T1_T2_jT3_P12ihipStream_tbPNSt15iterator_traitsISI_E10value_typeEPNSO_ISJ_E10value_typeEPSK_NS1_7vsmem_tEENKUlT_SI_SJ_SK_E_clISD_PxSD_S10_EESH_SX_SI_SJ_SK_EUlSX_E1_NS1_11comp_targetILNS1_3genE0ELNS1_11target_archE4294967295ELNS1_3gpuE0ELNS1_3repE0EEENS1_36merge_oddeven_config_static_selectorELNS0_4arch9wavefront6targetE1EEEvSJ_.num_vgpr, 13
	.set _ZN7rocprim17ROCPRIM_400000_NS6detail17trampoline_kernelINS0_14default_configENS1_38merge_sort_block_merge_config_selectorIxxEEZZNS1_27merge_sort_block_merge_implIS3_N6thrust23THRUST_200600_302600_NS6detail15normal_iteratorINS8_10device_ptrIxEEEESD_jNS1_19radix_merge_compareILb0ELb0ExNS0_19identity_decomposerEEEEE10hipError_tT0_T1_T2_jT3_P12ihipStream_tbPNSt15iterator_traitsISI_E10value_typeEPNSO_ISJ_E10value_typeEPSK_NS1_7vsmem_tEENKUlT_SI_SJ_SK_E_clISD_PxSD_S10_EESH_SX_SI_SJ_SK_EUlSX_E1_NS1_11comp_targetILNS1_3genE0ELNS1_11target_archE4294967295ELNS1_3gpuE0ELNS1_3repE0EEENS1_36merge_oddeven_config_static_selectorELNS0_4arch9wavefront6targetE1EEEvSJ_.num_agpr, 0
	.set _ZN7rocprim17ROCPRIM_400000_NS6detail17trampoline_kernelINS0_14default_configENS1_38merge_sort_block_merge_config_selectorIxxEEZZNS1_27merge_sort_block_merge_implIS3_N6thrust23THRUST_200600_302600_NS6detail15normal_iteratorINS8_10device_ptrIxEEEESD_jNS1_19radix_merge_compareILb0ELb0ExNS0_19identity_decomposerEEEEE10hipError_tT0_T1_T2_jT3_P12ihipStream_tbPNSt15iterator_traitsISI_E10value_typeEPNSO_ISJ_E10value_typeEPSK_NS1_7vsmem_tEENKUlT_SI_SJ_SK_E_clISD_PxSD_S10_EESH_SX_SI_SJ_SK_EUlSX_E1_NS1_11comp_targetILNS1_3genE0ELNS1_11target_archE4294967295ELNS1_3gpuE0ELNS1_3repE0EEENS1_36merge_oddeven_config_static_selectorELNS0_4arch9wavefront6targetE1EEEvSJ_.numbered_sgpr, 24
	.set _ZN7rocprim17ROCPRIM_400000_NS6detail17trampoline_kernelINS0_14default_configENS1_38merge_sort_block_merge_config_selectorIxxEEZZNS1_27merge_sort_block_merge_implIS3_N6thrust23THRUST_200600_302600_NS6detail15normal_iteratorINS8_10device_ptrIxEEEESD_jNS1_19radix_merge_compareILb0ELb0ExNS0_19identity_decomposerEEEEE10hipError_tT0_T1_T2_jT3_P12ihipStream_tbPNSt15iterator_traitsISI_E10value_typeEPNSO_ISJ_E10value_typeEPSK_NS1_7vsmem_tEENKUlT_SI_SJ_SK_E_clISD_PxSD_S10_EESH_SX_SI_SJ_SK_EUlSX_E1_NS1_11comp_targetILNS1_3genE0ELNS1_11target_archE4294967295ELNS1_3gpuE0ELNS1_3repE0EEENS1_36merge_oddeven_config_static_selectorELNS0_4arch9wavefront6targetE1EEEvSJ_.num_named_barrier, 0
	.set _ZN7rocprim17ROCPRIM_400000_NS6detail17trampoline_kernelINS0_14default_configENS1_38merge_sort_block_merge_config_selectorIxxEEZZNS1_27merge_sort_block_merge_implIS3_N6thrust23THRUST_200600_302600_NS6detail15normal_iteratorINS8_10device_ptrIxEEEESD_jNS1_19radix_merge_compareILb0ELb0ExNS0_19identity_decomposerEEEEE10hipError_tT0_T1_T2_jT3_P12ihipStream_tbPNSt15iterator_traitsISI_E10value_typeEPNSO_ISJ_E10value_typeEPSK_NS1_7vsmem_tEENKUlT_SI_SJ_SK_E_clISD_PxSD_S10_EESH_SX_SI_SJ_SK_EUlSX_E1_NS1_11comp_targetILNS1_3genE0ELNS1_11target_archE4294967295ELNS1_3gpuE0ELNS1_3repE0EEENS1_36merge_oddeven_config_static_selectorELNS0_4arch9wavefront6targetE1EEEvSJ_.private_seg_size, 0
	.set _ZN7rocprim17ROCPRIM_400000_NS6detail17trampoline_kernelINS0_14default_configENS1_38merge_sort_block_merge_config_selectorIxxEEZZNS1_27merge_sort_block_merge_implIS3_N6thrust23THRUST_200600_302600_NS6detail15normal_iteratorINS8_10device_ptrIxEEEESD_jNS1_19radix_merge_compareILb0ELb0ExNS0_19identity_decomposerEEEEE10hipError_tT0_T1_T2_jT3_P12ihipStream_tbPNSt15iterator_traitsISI_E10value_typeEPNSO_ISJ_E10value_typeEPSK_NS1_7vsmem_tEENKUlT_SI_SJ_SK_E_clISD_PxSD_S10_EESH_SX_SI_SJ_SK_EUlSX_E1_NS1_11comp_targetILNS1_3genE0ELNS1_11target_archE4294967295ELNS1_3gpuE0ELNS1_3repE0EEENS1_36merge_oddeven_config_static_selectorELNS0_4arch9wavefront6targetE1EEEvSJ_.uses_vcc, 1
	.set _ZN7rocprim17ROCPRIM_400000_NS6detail17trampoline_kernelINS0_14default_configENS1_38merge_sort_block_merge_config_selectorIxxEEZZNS1_27merge_sort_block_merge_implIS3_N6thrust23THRUST_200600_302600_NS6detail15normal_iteratorINS8_10device_ptrIxEEEESD_jNS1_19radix_merge_compareILb0ELb0ExNS0_19identity_decomposerEEEEE10hipError_tT0_T1_T2_jT3_P12ihipStream_tbPNSt15iterator_traitsISI_E10value_typeEPNSO_ISJ_E10value_typeEPSK_NS1_7vsmem_tEENKUlT_SI_SJ_SK_E_clISD_PxSD_S10_EESH_SX_SI_SJ_SK_EUlSX_E1_NS1_11comp_targetILNS1_3genE0ELNS1_11target_archE4294967295ELNS1_3gpuE0ELNS1_3repE0EEENS1_36merge_oddeven_config_static_selectorELNS0_4arch9wavefront6targetE1EEEvSJ_.uses_flat_scratch, 0
	.set _ZN7rocprim17ROCPRIM_400000_NS6detail17trampoline_kernelINS0_14default_configENS1_38merge_sort_block_merge_config_selectorIxxEEZZNS1_27merge_sort_block_merge_implIS3_N6thrust23THRUST_200600_302600_NS6detail15normal_iteratorINS8_10device_ptrIxEEEESD_jNS1_19radix_merge_compareILb0ELb0ExNS0_19identity_decomposerEEEEE10hipError_tT0_T1_T2_jT3_P12ihipStream_tbPNSt15iterator_traitsISI_E10value_typeEPNSO_ISJ_E10value_typeEPSK_NS1_7vsmem_tEENKUlT_SI_SJ_SK_E_clISD_PxSD_S10_EESH_SX_SI_SJ_SK_EUlSX_E1_NS1_11comp_targetILNS1_3genE0ELNS1_11target_archE4294967295ELNS1_3gpuE0ELNS1_3repE0EEENS1_36merge_oddeven_config_static_selectorELNS0_4arch9wavefront6targetE1EEEvSJ_.has_dyn_sized_stack, 0
	.set _ZN7rocprim17ROCPRIM_400000_NS6detail17trampoline_kernelINS0_14default_configENS1_38merge_sort_block_merge_config_selectorIxxEEZZNS1_27merge_sort_block_merge_implIS3_N6thrust23THRUST_200600_302600_NS6detail15normal_iteratorINS8_10device_ptrIxEEEESD_jNS1_19radix_merge_compareILb0ELb0ExNS0_19identity_decomposerEEEEE10hipError_tT0_T1_T2_jT3_P12ihipStream_tbPNSt15iterator_traitsISI_E10value_typeEPNSO_ISJ_E10value_typeEPSK_NS1_7vsmem_tEENKUlT_SI_SJ_SK_E_clISD_PxSD_S10_EESH_SX_SI_SJ_SK_EUlSX_E1_NS1_11comp_targetILNS1_3genE0ELNS1_11target_archE4294967295ELNS1_3gpuE0ELNS1_3repE0EEENS1_36merge_oddeven_config_static_selectorELNS0_4arch9wavefront6targetE1EEEvSJ_.has_recursion, 0
	.set _ZN7rocprim17ROCPRIM_400000_NS6detail17trampoline_kernelINS0_14default_configENS1_38merge_sort_block_merge_config_selectorIxxEEZZNS1_27merge_sort_block_merge_implIS3_N6thrust23THRUST_200600_302600_NS6detail15normal_iteratorINS8_10device_ptrIxEEEESD_jNS1_19radix_merge_compareILb0ELb0ExNS0_19identity_decomposerEEEEE10hipError_tT0_T1_T2_jT3_P12ihipStream_tbPNSt15iterator_traitsISI_E10value_typeEPNSO_ISJ_E10value_typeEPSK_NS1_7vsmem_tEENKUlT_SI_SJ_SK_E_clISD_PxSD_S10_EESH_SX_SI_SJ_SK_EUlSX_E1_NS1_11comp_targetILNS1_3genE0ELNS1_11target_archE4294967295ELNS1_3gpuE0ELNS1_3repE0EEENS1_36merge_oddeven_config_static_selectorELNS0_4arch9wavefront6targetE1EEEvSJ_.has_indirect_call, 0
	.section	.AMDGPU.csdata,"",@progbits
; Kernel info:
; codeLenInByte = 780
; TotalNumSgprs: 30
; NumVgprs: 13
; NumAgprs: 0
; TotalNumVgprs: 13
; ScratchSize: 0
; MemoryBound: 0
; FloatMode: 240
; IeeeMode: 1
; LDSByteSize: 0 bytes/workgroup (compile time only)
; SGPRBlocks: 3
; VGPRBlocks: 1
; NumSGPRsForWavesPerEU: 30
; NumVGPRsForWavesPerEU: 13
; AccumOffset: 16
; Occupancy: 8
; WaveLimiterHint : 0
; COMPUTE_PGM_RSRC2:SCRATCH_EN: 0
; COMPUTE_PGM_RSRC2:USER_SGPR: 2
; COMPUTE_PGM_RSRC2:TRAP_HANDLER: 0
; COMPUTE_PGM_RSRC2:TGID_X_EN: 1
; COMPUTE_PGM_RSRC2:TGID_Y_EN: 0
; COMPUTE_PGM_RSRC2:TGID_Z_EN: 0
; COMPUTE_PGM_RSRC2:TIDIG_COMP_CNT: 0
; COMPUTE_PGM_RSRC3_GFX90A:ACCUM_OFFSET: 3
; COMPUTE_PGM_RSRC3_GFX90A:TG_SPLIT: 0
	.section	.text._ZN7rocprim17ROCPRIM_400000_NS6detail17trampoline_kernelINS0_14default_configENS1_38merge_sort_block_merge_config_selectorIxxEEZZNS1_27merge_sort_block_merge_implIS3_N6thrust23THRUST_200600_302600_NS6detail15normal_iteratorINS8_10device_ptrIxEEEESD_jNS1_19radix_merge_compareILb0ELb0ExNS0_19identity_decomposerEEEEE10hipError_tT0_T1_T2_jT3_P12ihipStream_tbPNSt15iterator_traitsISI_E10value_typeEPNSO_ISJ_E10value_typeEPSK_NS1_7vsmem_tEENKUlT_SI_SJ_SK_E_clISD_PxSD_S10_EESH_SX_SI_SJ_SK_EUlSX_E1_NS1_11comp_targetILNS1_3genE10ELNS1_11target_archE1201ELNS1_3gpuE5ELNS1_3repE0EEENS1_36merge_oddeven_config_static_selectorELNS0_4arch9wavefront6targetE1EEEvSJ_,"axG",@progbits,_ZN7rocprim17ROCPRIM_400000_NS6detail17trampoline_kernelINS0_14default_configENS1_38merge_sort_block_merge_config_selectorIxxEEZZNS1_27merge_sort_block_merge_implIS3_N6thrust23THRUST_200600_302600_NS6detail15normal_iteratorINS8_10device_ptrIxEEEESD_jNS1_19radix_merge_compareILb0ELb0ExNS0_19identity_decomposerEEEEE10hipError_tT0_T1_T2_jT3_P12ihipStream_tbPNSt15iterator_traitsISI_E10value_typeEPNSO_ISJ_E10value_typeEPSK_NS1_7vsmem_tEENKUlT_SI_SJ_SK_E_clISD_PxSD_S10_EESH_SX_SI_SJ_SK_EUlSX_E1_NS1_11comp_targetILNS1_3genE10ELNS1_11target_archE1201ELNS1_3gpuE5ELNS1_3repE0EEENS1_36merge_oddeven_config_static_selectorELNS0_4arch9wavefront6targetE1EEEvSJ_,comdat
	.protected	_ZN7rocprim17ROCPRIM_400000_NS6detail17trampoline_kernelINS0_14default_configENS1_38merge_sort_block_merge_config_selectorIxxEEZZNS1_27merge_sort_block_merge_implIS3_N6thrust23THRUST_200600_302600_NS6detail15normal_iteratorINS8_10device_ptrIxEEEESD_jNS1_19radix_merge_compareILb0ELb0ExNS0_19identity_decomposerEEEEE10hipError_tT0_T1_T2_jT3_P12ihipStream_tbPNSt15iterator_traitsISI_E10value_typeEPNSO_ISJ_E10value_typeEPSK_NS1_7vsmem_tEENKUlT_SI_SJ_SK_E_clISD_PxSD_S10_EESH_SX_SI_SJ_SK_EUlSX_E1_NS1_11comp_targetILNS1_3genE10ELNS1_11target_archE1201ELNS1_3gpuE5ELNS1_3repE0EEENS1_36merge_oddeven_config_static_selectorELNS0_4arch9wavefront6targetE1EEEvSJ_ ; -- Begin function _ZN7rocprim17ROCPRIM_400000_NS6detail17trampoline_kernelINS0_14default_configENS1_38merge_sort_block_merge_config_selectorIxxEEZZNS1_27merge_sort_block_merge_implIS3_N6thrust23THRUST_200600_302600_NS6detail15normal_iteratorINS8_10device_ptrIxEEEESD_jNS1_19radix_merge_compareILb0ELb0ExNS0_19identity_decomposerEEEEE10hipError_tT0_T1_T2_jT3_P12ihipStream_tbPNSt15iterator_traitsISI_E10value_typeEPNSO_ISJ_E10value_typeEPSK_NS1_7vsmem_tEENKUlT_SI_SJ_SK_E_clISD_PxSD_S10_EESH_SX_SI_SJ_SK_EUlSX_E1_NS1_11comp_targetILNS1_3genE10ELNS1_11target_archE1201ELNS1_3gpuE5ELNS1_3repE0EEENS1_36merge_oddeven_config_static_selectorELNS0_4arch9wavefront6targetE1EEEvSJ_
	.globl	_ZN7rocprim17ROCPRIM_400000_NS6detail17trampoline_kernelINS0_14default_configENS1_38merge_sort_block_merge_config_selectorIxxEEZZNS1_27merge_sort_block_merge_implIS3_N6thrust23THRUST_200600_302600_NS6detail15normal_iteratorINS8_10device_ptrIxEEEESD_jNS1_19radix_merge_compareILb0ELb0ExNS0_19identity_decomposerEEEEE10hipError_tT0_T1_T2_jT3_P12ihipStream_tbPNSt15iterator_traitsISI_E10value_typeEPNSO_ISJ_E10value_typeEPSK_NS1_7vsmem_tEENKUlT_SI_SJ_SK_E_clISD_PxSD_S10_EESH_SX_SI_SJ_SK_EUlSX_E1_NS1_11comp_targetILNS1_3genE10ELNS1_11target_archE1201ELNS1_3gpuE5ELNS1_3repE0EEENS1_36merge_oddeven_config_static_selectorELNS0_4arch9wavefront6targetE1EEEvSJ_
	.p2align	8
	.type	_ZN7rocprim17ROCPRIM_400000_NS6detail17trampoline_kernelINS0_14default_configENS1_38merge_sort_block_merge_config_selectorIxxEEZZNS1_27merge_sort_block_merge_implIS3_N6thrust23THRUST_200600_302600_NS6detail15normal_iteratorINS8_10device_ptrIxEEEESD_jNS1_19radix_merge_compareILb0ELb0ExNS0_19identity_decomposerEEEEE10hipError_tT0_T1_T2_jT3_P12ihipStream_tbPNSt15iterator_traitsISI_E10value_typeEPNSO_ISJ_E10value_typeEPSK_NS1_7vsmem_tEENKUlT_SI_SJ_SK_E_clISD_PxSD_S10_EESH_SX_SI_SJ_SK_EUlSX_E1_NS1_11comp_targetILNS1_3genE10ELNS1_11target_archE1201ELNS1_3gpuE5ELNS1_3repE0EEENS1_36merge_oddeven_config_static_selectorELNS0_4arch9wavefront6targetE1EEEvSJ_,@function
_ZN7rocprim17ROCPRIM_400000_NS6detail17trampoline_kernelINS0_14default_configENS1_38merge_sort_block_merge_config_selectorIxxEEZZNS1_27merge_sort_block_merge_implIS3_N6thrust23THRUST_200600_302600_NS6detail15normal_iteratorINS8_10device_ptrIxEEEESD_jNS1_19radix_merge_compareILb0ELb0ExNS0_19identity_decomposerEEEEE10hipError_tT0_T1_T2_jT3_P12ihipStream_tbPNSt15iterator_traitsISI_E10value_typeEPNSO_ISJ_E10value_typeEPSK_NS1_7vsmem_tEENKUlT_SI_SJ_SK_E_clISD_PxSD_S10_EESH_SX_SI_SJ_SK_EUlSX_E1_NS1_11comp_targetILNS1_3genE10ELNS1_11target_archE1201ELNS1_3gpuE5ELNS1_3repE0EEENS1_36merge_oddeven_config_static_selectorELNS0_4arch9wavefront6targetE1EEEvSJ_: ; @_ZN7rocprim17ROCPRIM_400000_NS6detail17trampoline_kernelINS0_14default_configENS1_38merge_sort_block_merge_config_selectorIxxEEZZNS1_27merge_sort_block_merge_implIS3_N6thrust23THRUST_200600_302600_NS6detail15normal_iteratorINS8_10device_ptrIxEEEESD_jNS1_19radix_merge_compareILb0ELb0ExNS0_19identity_decomposerEEEEE10hipError_tT0_T1_T2_jT3_P12ihipStream_tbPNSt15iterator_traitsISI_E10value_typeEPNSO_ISJ_E10value_typeEPSK_NS1_7vsmem_tEENKUlT_SI_SJ_SK_E_clISD_PxSD_S10_EESH_SX_SI_SJ_SK_EUlSX_E1_NS1_11comp_targetILNS1_3genE10ELNS1_11target_archE1201ELNS1_3gpuE5ELNS1_3repE0EEENS1_36merge_oddeven_config_static_selectorELNS0_4arch9wavefront6targetE1EEEvSJ_
; %bb.0:
	.section	.rodata,"a",@progbits
	.p2align	6, 0x0
	.amdhsa_kernel _ZN7rocprim17ROCPRIM_400000_NS6detail17trampoline_kernelINS0_14default_configENS1_38merge_sort_block_merge_config_selectorIxxEEZZNS1_27merge_sort_block_merge_implIS3_N6thrust23THRUST_200600_302600_NS6detail15normal_iteratorINS8_10device_ptrIxEEEESD_jNS1_19radix_merge_compareILb0ELb0ExNS0_19identity_decomposerEEEEE10hipError_tT0_T1_T2_jT3_P12ihipStream_tbPNSt15iterator_traitsISI_E10value_typeEPNSO_ISJ_E10value_typeEPSK_NS1_7vsmem_tEENKUlT_SI_SJ_SK_E_clISD_PxSD_S10_EESH_SX_SI_SJ_SK_EUlSX_E1_NS1_11comp_targetILNS1_3genE10ELNS1_11target_archE1201ELNS1_3gpuE5ELNS1_3repE0EEENS1_36merge_oddeven_config_static_selectorELNS0_4arch9wavefront6targetE1EEEvSJ_
		.amdhsa_group_segment_fixed_size 0
		.amdhsa_private_segment_fixed_size 0
		.amdhsa_kernarg_size 48
		.amdhsa_user_sgpr_count 2
		.amdhsa_user_sgpr_dispatch_ptr 0
		.amdhsa_user_sgpr_queue_ptr 0
		.amdhsa_user_sgpr_kernarg_segment_ptr 1
		.amdhsa_user_sgpr_dispatch_id 0
		.amdhsa_user_sgpr_kernarg_preload_length 0
		.amdhsa_user_sgpr_kernarg_preload_offset 0
		.amdhsa_user_sgpr_private_segment_size 0
		.amdhsa_uses_dynamic_stack 0
		.amdhsa_enable_private_segment 0
		.amdhsa_system_sgpr_workgroup_id_x 1
		.amdhsa_system_sgpr_workgroup_id_y 0
		.amdhsa_system_sgpr_workgroup_id_z 0
		.amdhsa_system_sgpr_workgroup_info 0
		.amdhsa_system_vgpr_workitem_id 0
		.amdhsa_next_free_vgpr 1
		.amdhsa_next_free_sgpr 0
		.amdhsa_accum_offset 4
		.amdhsa_reserve_vcc 0
		.amdhsa_float_round_mode_32 0
		.amdhsa_float_round_mode_16_64 0
		.amdhsa_float_denorm_mode_32 3
		.amdhsa_float_denorm_mode_16_64 3
		.amdhsa_dx10_clamp 1
		.amdhsa_ieee_mode 1
		.amdhsa_fp16_overflow 0
		.amdhsa_tg_split 0
		.amdhsa_exception_fp_ieee_invalid_op 0
		.amdhsa_exception_fp_denorm_src 0
		.amdhsa_exception_fp_ieee_div_zero 0
		.amdhsa_exception_fp_ieee_overflow 0
		.amdhsa_exception_fp_ieee_underflow 0
		.amdhsa_exception_fp_ieee_inexact 0
		.amdhsa_exception_int_div_zero 0
	.end_amdhsa_kernel
	.section	.text._ZN7rocprim17ROCPRIM_400000_NS6detail17trampoline_kernelINS0_14default_configENS1_38merge_sort_block_merge_config_selectorIxxEEZZNS1_27merge_sort_block_merge_implIS3_N6thrust23THRUST_200600_302600_NS6detail15normal_iteratorINS8_10device_ptrIxEEEESD_jNS1_19radix_merge_compareILb0ELb0ExNS0_19identity_decomposerEEEEE10hipError_tT0_T1_T2_jT3_P12ihipStream_tbPNSt15iterator_traitsISI_E10value_typeEPNSO_ISJ_E10value_typeEPSK_NS1_7vsmem_tEENKUlT_SI_SJ_SK_E_clISD_PxSD_S10_EESH_SX_SI_SJ_SK_EUlSX_E1_NS1_11comp_targetILNS1_3genE10ELNS1_11target_archE1201ELNS1_3gpuE5ELNS1_3repE0EEENS1_36merge_oddeven_config_static_selectorELNS0_4arch9wavefront6targetE1EEEvSJ_,"axG",@progbits,_ZN7rocprim17ROCPRIM_400000_NS6detail17trampoline_kernelINS0_14default_configENS1_38merge_sort_block_merge_config_selectorIxxEEZZNS1_27merge_sort_block_merge_implIS3_N6thrust23THRUST_200600_302600_NS6detail15normal_iteratorINS8_10device_ptrIxEEEESD_jNS1_19radix_merge_compareILb0ELb0ExNS0_19identity_decomposerEEEEE10hipError_tT0_T1_T2_jT3_P12ihipStream_tbPNSt15iterator_traitsISI_E10value_typeEPNSO_ISJ_E10value_typeEPSK_NS1_7vsmem_tEENKUlT_SI_SJ_SK_E_clISD_PxSD_S10_EESH_SX_SI_SJ_SK_EUlSX_E1_NS1_11comp_targetILNS1_3genE10ELNS1_11target_archE1201ELNS1_3gpuE5ELNS1_3repE0EEENS1_36merge_oddeven_config_static_selectorELNS0_4arch9wavefront6targetE1EEEvSJ_,comdat
.Lfunc_end1106:
	.size	_ZN7rocprim17ROCPRIM_400000_NS6detail17trampoline_kernelINS0_14default_configENS1_38merge_sort_block_merge_config_selectorIxxEEZZNS1_27merge_sort_block_merge_implIS3_N6thrust23THRUST_200600_302600_NS6detail15normal_iteratorINS8_10device_ptrIxEEEESD_jNS1_19radix_merge_compareILb0ELb0ExNS0_19identity_decomposerEEEEE10hipError_tT0_T1_T2_jT3_P12ihipStream_tbPNSt15iterator_traitsISI_E10value_typeEPNSO_ISJ_E10value_typeEPSK_NS1_7vsmem_tEENKUlT_SI_SJ_SK_E_clISD_PxSD_S10_EESH_SX_SI_SJ_SK_EUlSX_E1_NS1_11comp_targetILNS1_3genE10ELNS1_11target_archE1201ELNS1_3gpuE5ELNS1_3repE0EEENS1_36merge_oddeven_config_static_selectorELNS0_4arch9wavefront6targetE1EEEvSJ_, .Lfunc_end1106-_ZN7rocprim17ROCPRIM_400000_NS6detail17trampoline_kernelINS0_14default_configENS1_38merge_sort_block_merge_config_selectorIxxEEZZNS1_27merge_sort_block_merge_implIS3_N6thrust23THRUST_200600_302600_NS6detail15normal_iteratorINS8_10device_ptrIxEEEESD_jNS1_19radix_merge_compareILb0ELb0ExNS0_19identity_decomposerEEEEE10hipError_tT0_T1_T2_jT3_P12ihipStream_tbPNSt15iterator_traitsISI_E10value_typeEPNSO_ISJ_E10value_typeEPSK_NS1_7vsmem_tEENKUlT_SI_SJ_SK_E_clISD_PxSD_S10_EESH_SX_SI_SJ_SK_EUlSX_E1_NS1_11comp_targetILNS1_3genE10ELNS1_11target_archE1201ELNS1_3gpuE5ELNS1_3repE0EEENS1_36merge_oddeven_config_static_selectorELNS0_4arch9wavefront6targetE1EEEvSJ_
                                        ; -- End function
	.set _ZN7rocprim17ROCPRIM_400000_NS6detail17trampoline_kernelINS0_14default_configENS1_38merge_sort_block_merge_config_selectorIxxEEZZNS1_27merge_sort_block_merge_implIS3_N6thrust23THRUST_200600_302600_NS6detail15normal_iteratorINS8_10device_ptrIxEEEESD_jNS1_19radix_merge_compareILb0ELb0ExNS0_19identity_decomposerEEEEE10hipError_tT0_T1_T2_jT3_P12ihipStream_tbPNSt15iterator_traitsISI_E10value_typeEPNSO_ISJ_E10value_typeEPSK_NS1_7vsmem_tEENKUlT_SI_SJ_SK_E_clISD_PxSD_S10_EESH_SX_SI_SJ_SK_EUlSX_E1_NS1_11comp_targetILNS1_3genE10ELNS1_11target_archE1201ELNS1_3gpuE5ELNS1_3repE0EEENS1_36merge_oddeven_config_static_selectorELNS0_4arch9wavefront6targetE1EEEvSJ_.num_vgpr, 0
	.set _ZN7rocprim17ROCPRIM_400000_NS6detail17trampoline_kernelINS0_14default_configENS1_38merge_sort_block_merge_config_selectorIxxEEZZNS1_27merge_sort_block_merge_implIS3_N6thrust23THRUST_200600_302600_NS6detail15normal_iteratorINS8_10device_ptrIxEEEESD_jNS1_19radix_merge_compareILb0ELb0ExNS0_19identity_decomposerEEEEE10hipError_tT0_T1_T2_jT3_P12ihipStream_tbPNSt15iterator_traitsISI_E10value_typeEPNSO_ISJ_E10value_typeEPSK_NS1_7vsmem_tEENKUlT_SI_SJ_SK_E_clISD_PxSD_S10_EESH_SX_SI_SJ_SK_EUlSX_E1_NS1_11comp_targetILNS1_3genE10ELNS1_11target_archE1201ELNS1_3gpuE5ELNS1_3repE0EEENS1_36merge_oddeven_config_static_selectorELNS0_4arch9wavefront6targetE1EEEvSJ_.num_agpr, 0
	.set _ZN7rocprim17ROCPRIM_400000_NS6detail17trampoline_kernelINS0_14default_configENS1_38merge_sort_block_merge_config_selectorIxxEEZZNS1_27merge_sort_block_merge_implIS3_N6thrust23THRUST_200600_302600_NS6detail15normal_iteratorINS8_10device_ptrIxEEEESD_jNS1_19radix_merge_compareILb0ELb0ExNS0_19identity_decomposerEEEEE10hipError_tT0_T1_T2_jT3_P12ihipStream_tbPNSt15iterator_traitsISI_E10value_typeEPNSO_ISJ_E10value_typeEPSK_NS1_7vsmem_tEENKUlT_SI_SJ_SK_E_clISD_PxSD_S10_EESH_SX_SI_SJ_SK_EUlSX_E1_NS1_11comp_targetILNS1_3genE10ELNS1_11target_archE1201ELNS1_3gpuE5ELNS1_3repE0EEENS1_36merge_oddeven_config_static_selectorELNS0_4arch9wavefront6targetE1EEEvSJ_.numbered_sgpr, 0
	.set _ZN7rocprim17ROCPRIM_400000_NS6detail17trampoline_kernelINS0_14default_configENS1_38merge_sort_block_merge_config_selectorIxxEEZZNS1_27merge_sort_block_merge_implIS3_N6thrust23THRUST_200600_302600_NS6detail15normal_iteratorINS8_10device_ptrIxEEEESD_jNS1_19radix_merge_compareILb0ELb0ExNS0_19identity_decomposerEEEEE10hipError_tT0_T1_T2_jT3_P12ihipStream_tbPNSt15iterator_traitsISI_E10value_typeEPNSO_ISJ_E10value_typeEPSK_NS1_7vsmem_tEENKUlT_SI_SJ_SK_E_clISD_PxSD_S10_EESH_SX_SI_SJ_SK_EUlSX_E1_NS1_11comp_targetILNS1_3genE10ELNS1_11target_archE1201ELNS1_3gpuE5ELNS1_3repE0EEENS1_36merge_oddeven_config_static_selectorELNS0_4arch9wavefront6targetE1EEEvSJ_.num_named_barrier, 0
	.set _ZN7rocprim17ROCPRIM_400000_NS6detail17trampoline_kernelINS0_14default_configENS1_38merge_sort_block_merge_config_selectorIxxEEZZNS1_27merge_sort_block_merge_implIS3_N6thrust23THRUST_200600_302600_NS6detail15normal_iteratorINS8_10device_ptrIxEEEESD_jNS1_19radix_merge_compareILb0ELb0ExNS0_19identity_decomposerEEEEE10hipError_tT0_T1_T2_jT3_P12ihipStream_tbPNSt15iterator_traitsISI_E10value_typeEPNSO_ISJ_E10value_typeEPSK_NS1_7vsmem_tEENKUlT_SI_SJ_SK_E_clISD_PxSD_S10_EESH_SX_SI_SJ_SK_EUlSX_E1_NS1_11comp_targetILNS1_3genE10ELNS1_11target_archE1201ELNS1_3gpuE5ELNS1_3repE0EEENS1_36merge_oddeven_config_static_selectorELNS0_4arch9wavefront6targetE1EEEvSJ_.private_seg_size, 0
	.set _ZN7rocprim17ROCPRIM_400000_NS6detail17trampoline_kernelINS0_14default_configENS1_38merge_sort_block_merge_config_selectorIxxEEZZNS1_27merge_sort_block_merge_implIS3_N6thrust23THRUST_200600_302600_NS6detail15normal_iteratorINS8_10device_ptrIxEEEESD_jNS1_19radix_merge_compareILb0ELb0ExNS0_19identity_decomposerEEEEE10hipError_tT0_T1_T2_jT3_P12ihipStream_tbPNSt15iterator_traitsISI_E10value_typeEPNSO_ISJ_E10value_typeEPSK_NS1_7vsmem_tEENKUlT_SI_SJ_SK_E_clISD_PxSD_S10_EESH_SX_SI_SJ_SK_EUlSX_E1_NS1_11comp_targetILNS1_3genE10ELNS1_11target_archE1201ELNS1_3gpuE5ELNS1_3repE0EEENS1_36merge_oddeven_config_static_selectorELNS0_4arch9wavefront6targetE1EEEvSJ_.uses_vcc, 0
	.set _ZN7rocprim17ROCPRIM_400000_NS6detail17trampoline_kernelINS0_14default_configENS1_38merge_sort_block_merge_config_selectorIxxEEZZNS1_27merge_sort_block_merge_implIS3_N6thrust23THRUST_200600_302600_NS6detail15normal_iteratorINS8_10device_ptrIxEEEESD_jNS1_19radix_merge_compareILb0ELb0ExNS0_19identity_decomposerEEEEE10hipError_tT0_T1_T2_jT3_P12ihipStream_tbPNSt15iterator_traitsISI_E10value_typeEPNSO_ISJ_E10value_typeEPSK_NS1_7vsmem_tEENKUlT_SI_SJ_SK_E_clISD_PxSD_S10_EESH_SX_SI_SJ_SK_EUlSX_E1_NS1_11comp_targetILNS1_3genE10ELNS1_11target_archE1201ELNS1_3gpuE5ELNS1_3repE0EEENS1_36merge_oddeven_config_static_selectorELNS0_4arch9wavefront6targetE1EEEvSJ_.uses_flat_scratch, 0
	.set _ZN7rocprim17ROCPRIM_400000_NS6detail17trampoline_kernelINS0_14default_configENS1_38merge_sort_block_merge_config_selectorIxxEEZZNS1_27merge_sort_block_merge_implIS3_N6thrust23THRUST_200600_302600_NS6detail15normal_iteratorINS8_10device_ptrIxEEEESD_jNS1_19radix_merge_compareILb0ELb0ExNS0_19identity_decomposerEEEEE10hipError_tT0_T1_T2_jT3_P12ihipStream_tbPNSt15iterator_traitsISI_E10value_typeEPNSO_ISJ_E10value_typeEPSK_NS1_7vsmem_tEENKUlT_SI_SJ_SK_E_clISD_PxSD_S10_EESH_SX_SI_SJ_SK_EUlSX_E1_NS1_11comp_targetILNS1_3genE10ELNS1_11target_archE1201ELNS1_3gpuE5ELNS1_3repE0EEENS1_36merge_oddeven_config_static_selectorELNS0_4arch9wavefront6targetE1EEEvSJ_.has_dyn_sized_stack, 0
	.set _ZN7rocprim17ROCPRIM_400000_NS6detail17trampoline_kernelINS0_14default_configENS1_38merge_sort_block_merge_config_selectorIxxEEZZNS1_27merge_sort_block_merge_implIS3_N6thrust23THRUST_200600_302600_NS6detail15normal_iteratorINS8_10device_ptrIxEEEESD_jNS1_19radix_merge_compareILb0ELb0ExNS0_19identity_decomposerEEEEE10hipError_tT0_T1_T2_jT3_P12ihipStream_tbPNSt15iterator_traitsISI_E10value_typeEPNSO_ISJ_E10value_typeEPSK_NS1_7vsmem_tEENKUlT_SI_SJ_SK_E_clISD_PxSD_S10_EESH_SX_SI_SJ_SK_EUlSX_E1_NS1_11comp_targetILNS1_3genE10ELNS1_11target_archE1201ELNS1_3gpuE5ELNS1_3repE0EEENS1_36merge_oddeven_config_static_selectorELNS0_4arch9wavefront6targetE1EEEvSJ_.has_recursion, 0
	.set _ZN7rocprim17ROCPRIM_400000_NS6detail17trampoline_kernelINS0_14default_configENS1_38merge_sort_block_merge_config_selectorIxxEEZZNS1_27merge_sort_block_merge_implIS3_N6thrust23THRUST_200600_302600_NS6detail15normal_iteratorINS8_10device_ptrIxEEEESD_jNS1_19radix_merge_compareILb0ELb0ExNS0_19identity_decomposerEEEEE10hipError_tT0_T1_T2_jT3_P12ihipStream_tbPNSt15iterator_traitsISI_E10value_typeEPNSO_ISJ_E10value_typeEPSK_NS1_7vsmem_tEENKUlT_SI_SJ_SK_E_clISD_PxSD_S10_EESH_SX_SI_SJ_SK_EUlSX_E1_NS1_11comp_targetILNS1_3genE10ELNS1_11target_archE1201ELNS1_3gpuE5ELNS1_3repE0EEENS1_36merge_oddeven_config_static_selectorELNS0_4arch9wavefront6targetE1EEEvSJ_.has_indirect_call, 0
	.section	.AMDGPU.csdata,"",@progbits
; Kernel info:
; codeLenInByte = 0
; TotalNumSgprs: 6
; NumVgprs: 0
; NumAgprs: 0
; TotalNumVgprs: 0
; ScratchSize: 0
; MemoryBound: 0
; FloatMode: 240
; IeeeMode: 1
; LDSByteSize: 0 bytes/workgroup (compile time only)
; SGPRBlocks: 0
; VGPRBlocks: 0
; NumSGPRsForWavesPerEU: 6
; NumVGPRsForWavesPerEU: 1
; AccumOffset: 4
; Occupancy: 8
; WaveLimiterHint : 0
; COMPUTE_PGM_RSRC2:SCRATCH_EN: 0
; COMPUTE_PGM_RSRC2:USER_SGPR: 2
; COMPUTE_PGM_RSRC2:TRAP_HANDLER: 0
; COMPUTE_PGM_RSRC2:TGID_X_EN: 1
; COMPUTE_PGM_RSRC2:TGID_Y_EN: 0
; COMPUTE_PGM_RSRC2:TGID_Z_EN: 0
; COMPUTE_PGM_RSRC2:TIDIG_COMP_CNT: 0
; COMPUTE_PGM_RSRC3_GFX90A:ACCUM_OFFSET: 0
; COMPUTE_PGM_RSRC3_GFX90A:TG_SPLIT: 0
	.section	.text._ZN7rocprim17ROCPRIM_400000_NS6detail17trampoline_kernelINS0_14default_configENS1_38merge_sort_block_merge_config_selectorIxxEEZZNS1_27merge_sort_block_merge_implIS3_N6thrust23THRUST_200600_302600_NS6detail15normal_iteratorINS8_10device_ptrIxEEEESD_jNS1_19radix_merge_compareILb0ELb0ExNS0_19identity_decomposerEEEEE10hipError_tT0_T1_T2_jT3_P12ihipStream_tbPNSt15iterator_traitsISI_E10value_typeEPNSO_ISJ_E10value_typeEPSK_NS1_7vsmem_tEENKUlT_SI_SJ_SK_E_clISD_PxSD_S10_EESH_SX_SI_SJ_SK_EUlSX_E1_NS1_11comp_targetILNS1_3genE5ELNS1_11target_archE942ELNS1_3gpuE9ELNS1_3repE0EEENS1_36merge_oddeven_config_static_selectorELNS0_4arch9wavefront6targetE1EEEvSJ_,"axG",@progbits,_ZN7rocprim17ROCPRIM_400000_NS6detail17trampoline_kernelINS0_14default_configENS1_38merge_sort_block_merge_config_selectorIxxEEZZNS1_27merge_sort_block_merge_implIS3_N6thrust23THRUST_200600_302600_NS6detail15normal_iteratorINS8_10device_ptrIxEEEESD_jNS1_19radix_merge_compareILb0ELb0ExNS0_19identity_decomposerEEEEE10hipError_tT0_T1_T2_jT3_P12ihipStream_tbPNSt15iterator_traitsISI_E10value_typeEPNSO_ISJ_E10value_typeEPSK_NS1_7vsmem_tEENKUlT_SI_SJ_SK_E_clISD_PxSD_S10_EESH_SX_SI_SJ_SK_EUlSX_E1_NS1_11comp_targetILNS1_3genE5ELNS1_11target_archE942ELNS1_3gpuE9ELNS1_3repE0EEENS1_36merge_oddeven_config_static_selectorELNS0_4arch9wavefront6targetE1EEEvSJ_,comdat
	.protected	_ZN7rocprim17ROCPRIM_400000_NS6detail17trampoline_kernelINS0_14default_configENS1_38merge_sort_block_merge_config_selectorIxxEEZZNS1_27merge_sort_block_merge_implIS3_N6thrust23THRUST_200600_302600_NS6detail15normal_iteratorINS8_10device_ptrIxEEEESD_jNS1_19radix_merge_compareILb0ELb0ExNS0_19identity_decomposerEEEEE10hipError_tT0_T1_T2_jT3_P12ihipStream_tbPNSt15iterator_traitsISI_E10value_typeEPNSO_ISJ_E10value_typeEPSK_NS1_7vsmem_tEENKUlT_SI_SJ_SK_E_clISD_PxSD_S10_EESH_SX_SI_SJ_SK_EUlSX_E1_NS1_11comp_targetILNS1_3genE5ELNS1_11target_archE942ELNS1_3gpuE9ELNS1_3repE0EEENS1_36merge_oddeven_config_static_selectorELNS0_4arch9wavefront6targetE1EEEvSJ_ ; -- Begin function _ZN7rocprim17ROCPRIM_400000_NS6detail17trampoline_kernelINS0_14default_configENS1_38merge_sort_block_merge_config_selectorIxxEEZZNS1_27merge_sort_block_merge_implIS3_N6thrust23THRUST_200600_302600_NS6detail15normal_iteratorINS8_10device_ptrIxEEEESD_jNS1_19radix_merge_compareILb0ELb0ExNS0_19identity_decomposerEEEEE10hipError_tT0_T1_T2_jT3_P12ihipStream_tbPNSt15iterator_traitsISI_E10value_typeEPNSO_ISJ_E10value_typeEPSK_NS1_7vsmem_tEENKUlT_SI_SJ_SK_E_clISD_PxSD_S10_EESH_SX_SI_SJ_SK_EUlSX_E1_NS1_11comp_targetILNS1_3genE5ELNS1_11target_archE942ELNS1_3gpuE9ELNS1_3repE0EEENS1_36merge_oddeven_config_static_selectorELNS0_4arch9wavefront6targetE1EEEvSJ_
	.globl	_ZN7rocprim17ROCPRIM_400000_NS6detail17trampoline_kernelINS0_14default_configENS1_38merge_sort_block_merge_config_selectorIxxEEZZNS1_27merge_sort_block_merge_implIS3_N6thrust23THRUST_200600_302600_NS6detail15normal_iteratorINS8_10device_ptrIxEEEESD_jNS1_19radix_merge_compareILb0ELb0ExNS0_19identity_decomposerEEEEE10hipError_tT0_T1_T2_jT3_P12ihipStream_tbPNSt15iterator_traitsISI_E10value_typeEPNSO_ISJ_E10value_typeEPSK_NS1_7vsmem_tEENKUlT_SI_SJ_SK_E_clISD_PxSD_S10_EESH_SX_SI_SJ_SK_EUlSX_E1_NS1_11comp_targetILNS1_3genE5ELNS1_11target_archE942ELNS1_3gpuE9ELNS1_3repE0EEENS1_36merge_oddeven_config_static_selectorELNS0_4arch9wavefront6targetE1EEEvSJ_
	.p2align	8
	.type	_ZN7rocprim17ROCPRIM_400000_NS6detail17trampoline_kernelINS0_14default_configENS1_38merge_sort_block_merge_config_selectorIxxEEZZNS1_27merge_sort_block_merge_implIS3_N6thrust23THRUST_200600_302600_NS6detail15normal_iteratorINS8_10device_ptrIxEEEESD_jNS1_19radix_merge_compareILb0ELb0ExNS0_19identity_decomposerEEEEE10hipError_tT0_T1_T2_jT3_P12ihipStream_tbPNSt15iterator_traitsISI_E10value_typeEPNSO_ISJ_E10value_typeEPSK_NS1_7vsmem_tEENKUlT_SI_SJ_SK_E_clISD_PxSD_S10_EESH_SX_SI_SJ_SK_EUlSX_E1_NS1_11comp_targetILNS1_3genE5ELNS1_11target_archE942ELNS1_3gpuE9ELNS1_3repE0EEENS1_36merge_oddeven_config_static_selectorELNS0_4arch9wavefront6targetE1EEEvSJ_,@function
_ZN7rocprim17ROCPRIM_400000_NS6detail17trampoline_kernelINS0_14default_configENS1_38merge_sort_block_merge_config_selectorIxxEEZZNS1_27merge_sort_block_merge_implIS3_N6thrust23THRUST_200600_302600_NS6detail15normal_iteratorINS8_10device_ptrIxEEEESD_jNS1_19radix_merge_compareILb0ELb0ExNS0_19identity_decomposerEEEEE10hipError_tT0_T1_T2_jT3_P12ihipStream_tbPNSt15iterator_traitsISI_E10value_typeEPNSO_ISJ_E10value_typeEPSK_NS1_7vsmem_tEENKUlT_SI_SJ_SK_E_clISD_PxSD_S10_EESH_SX_SI_SJ_SK_EUlSX_E1_NS1_11comp_targetILNS1_3genE5ELNS1_11target_archE942ELNS1_3gpuE9ELNS1_3repE0EEENS1_36merge_oddeven_config_static_selectorELNS0_4arch9wavefront6targetE1EEEvSJ_: ; @_ZN7rocprim17ROCPRIM_400000_NS6detail17trampoline_kernelINS0_14default_configENS1_38merge_sort_block_merge_config_selectorIxxEEZZNS1_27merge_sort_block_merge_implIS3_N6thrust23THRUST_200600_302600_NS6detail15normal_iteratorINS8_10device_ptrIxEEEESD_jNS1_19radix_merge_compareILb0ELb0ExNS0_19identity_decomposerEEEEE10hipError_tT0_T1_T2_jT3_P12ihipStream_tbPNSt15iterator_traitsISI_E10value_typeEPNSO_ISJ_E10value_typeEPSK_NS1_7vsmem_tEENKUlT_SI_SJ_SK_E_clISD_PxSD_S10_EESH_SX_SI_SJ_SK_EUlSX_E1_NS1_11comp_targetILNS1_3genE5ELNS1_11target_archE942ELNS1_3gpuE9ELNS1_3repE0EEENS1_36merge_oddeven_config_static_selectorELNS0_4arch9wavefront6targetE1EEEvSJ_
; %bb.0:
	.section	.rodata,"a",@progbits
	.p2align	6, 0x0
	.amdhsa_kernel _ZN7rocprim17ROCPRIM_400000_NS6detail17trampoline_kernelINS0_14default_configENS1_38merge_sort_block_merge_config_selectorIxxEEZZNS1_27merge_sort_block_merge_implIS3_N6thrust23THRUST_200600_302600_NS6detail15normal_iteratorINS8_10device_ptrIxEEEESD_jNS1_19radix_merge_compareILb0ELb0ExNS0_19identity_decomposerEEEEE10hipError_tT0_T1_T2_jT3_P12ihipStream_tbPNSt15iterator_traitsISI_E10value_typeEPNSO_ISJ_E10value_typeEPSK_NS1_7vsmem_tEENKUlT_SI_SJ_SK_E_clISD_PxSD_S10_EESH_SX_SI_SJ_SK_EUlSX_E1_NS1_11comp_targetILNS1_3genE5ELNS1_11target_archE942ELNS1_3gpuE9ELNS1_3repE0EEENS1_36merge_oddeven_config_static_selectorELNS0_4arch9wavefront6targetE1EEEvSJ_
		.amdhsa_group_segment_fixed_size 0
		.amdhsa_private_segment_fixed_size 0
		.amdhsa_kernarg_size 48
		.amdhsa_user_sgpr_count 2
		.amdhsa_user_sgpr_dispatch_ptr 0
		.amdhsa_user_sgpr_queue_ptr 0
		.amdhsa_user_sgpr_kernarg_segment_ptr 1
		.amdhsa_user_sgpr_dispatch_id 0
		.amdhsa_user_sgpr_kernarg_preload_length 0
		.amdhsa_user_sgpr_kernarg_preload_offset 0
		.amdhsa_user_sgpr_private_segment_size 0
		.amdhsa_uses_dynamic_stack 0
		.amdhsa_enable_private_segment 0
		.amdhsa_system_sgpr_workgroup_id_x 1
		.amdhsa_system_sgpr_workgroup_id_y 0
		.amdhsa_system_sgpr_workgroup_id_z 0
		.amdhsa_system_sgpr_workgroup_info 0
		.amdhsa_system_vgpr_workitem_id 0
		.amdhsa_next_free_vgpr 1
		.amdhsa_next_free_sgpr 0
		.amdhsa_accum_offset 4
		.amdhsa_reserve_vcc 0
		.amdhsa_float_round_mode_32 0
		.amdhsa_float_round_mode_16_64 0
		.amdhsa_float_denorm_mode_32 3
		.amdhsa_float_denorm_mode_16_64 3
		.amdhsa_dx10_clamp 1
		.amdhsa_ieee_mode 1
		.amdhsa_fp16_overflow 0
		.amdhsa_tg_split 0
		.amdhsa_exception_fp_ieee_invalid_op 0
		.amdhsa_exception_fp_denorm_src 0
		.amdhsa_exception_fp_ieee_div_zero 0
		.amdhsa_exception_fp_ieee_overflow 0
		.amdhsa_exception_fp_ieee_underflow 0
		.amdhsa_exception_fp_ieee_inexact 0
		.amdhsa_exception_int_div_zero 0
	.end_amdhsa_kernel
	.section	.text._ZN7rocprim17ROCPRIM_400000_NS6detail17trampoline_kernelINS0_14default_configENS1_38merge_sort_block_merge_config_selectorIxxEEZZNS1_27merge_sort_block_merge_implIS3_N6thrust23THRUST_200600_302600_NS6detail15normal_iteratorINS8_10device_ptrIxEEEESD_jNS1_19radix_merge_compareILb0ELb0ExNS0_19identity_decomposerEEEEE10hipError_tT0_T1_T2_jT3_P12ihipStream_tbPNSt15iterator_traitsISI_E10value_typeEPNSO_ISJ_E10value_typeEPSK_NS1_7vsmem_tEENKUlT_SI_SJ_SK_E_clISD_PxSD_S10_EESH_SX_SI_SJ_SK_EUlSX_E1_NS1_11comp_targetILNS1_3genE5ELNS1_11target_archE942ELNS1_3gpuE9ELNS1_3repE0EEENS1_36merge_oddeven_config_static_selectorELNS0_4arch9wavefront6targetE1EEEvSJ_,"axG",@progbits,_ZN7rocprim17ROCPRIM_400000_NS6detail17trampoline_kernelINS0_14default_configENS1_38merge_sort_block_merge_config_selectorIxxEEZZNS1_27merge_sort_block_merge_implIS3_N6thrust23THRUST_200600_302600_NS6detail15normal_iteratorINS8_10device_ptrIxEEEESD_jNS1_19radix_merge_compareILb0ELb0ExNS0_19identity_decomposerEEEEE10hipError_tT0_T1_T2_jT3_P12ihipStream_tbPNSt15iterator_traitsISI_E10value_typeEPNSO_ISJ_E10value_typeEPSK_NS1_7vsmem_tEENKUlT_SI_SJ_SK_E_clISD_PxSD_S10_EESH_SX_SI_SJ_SK_EUlSX_E1_NS1_11comp_targetILNS1_3genE5ELNS1_11target_archE942ELNS1_3gpuE9ELNS1_3repE0EEENS1_36merge_oddeven_config_static_selectorELNS0_4arch9wavefront6targetE1EEEvSJ_,comdat
.Lfunc_end1107:
	.size	_ZN7rocprim17ROCPRIM_400000_NS6detail17trampoline_kernelINS0_14default_configENS1_38merge_sort_block_merge_config_selectorIxxEEZZNS1_27merge_sort_block_merge_implIS3_N6thrust23THRUST_200600_302600_NS6detail15normal_iteratorINS8_10device_ptrIxEEEESD_jNS1_19radix_merge_compareILb0ELb0ExNS0_19identity_decomposerEEEEE10hipError_tT0_T1_T2_jT3_P12ihipStream_tbPNSt15iterator_traitsISI_E10value_typeEPNSO_ISJ_E10value_typeEPSK_NS1_7vsmem_tEENKUlT_SI_SJ_SK_E_clISD_PxSD_S10_EESH_SX_SI_SJ_SK_EUlSX_E1_NS1_11comp_targetILNS1_3genE5ELNS1_11target_archE942ELNS1_3gpuE9ELNS1_3repE0EEENS1_36merge_oddeven_config_static_selectorELNS0_4arch9wavefront6targetE1EEEvSJ_, .Lfunc_end1107-_ZN7rocprim17ROCPRIM_400000_NS6detail17trampoline_kernelINS0_14default_configENS1_38merge_sort_block_merge_config_selectorIxxEEZZNS1_27merge_sort_block_merge_implIS3_N6thrust23THRUST_200600_302600_NS6detail15normal_iteratorINS8_10device_ptrIxEEEESD_jNS1_19radix_merge_compareILb0ELb0ExNS0_19identity_decomposerEEEEE10hipError_tT0_T1_T2_jT3_P12ihipStream_tbPNSt15iterator_traitsISI_E10value_typeEPNSO_ISJ_E10value_typeEPSK_NS1_7vsmem_tEENKUlT_SI_SJ_SK_E_clISD_PxSD_S10_EESH_SX_SI_SJ_SK_EUlSX_E1_NS1_11comp_targetILNS1_3genE5ELNS1_11target_archE942ELNS1_3gpuE9ELNS1_3repE0EEENS1_36merge_oddeven_config_static_selectorELNS0_4arch9wavefront6targetE1EEEvSJ_
                                        ; -- End function
	.set _ZN7rocprim17ROCPRIM_400000_NS6detail17trampoline_kernelINS0_14default_configENS1_38merge_sort_block_merge_config_selectorIxxEEZZNS1_27merge_sort_block_merge_implIS3_N6thrust23THRUST_200600_302600_NS6detail15normal_iteratorINS8_10device_ptrIxEEEESD_jNS1_19radix_merge_compareILb0ELb0ExNS0_19identity_decomposerEEEEE10hipError_tT0_T1_T2_jT3_P12ihipStream_tbPNSt15iterator_traitsISI_E10value_typeEPNSO_ISJ_E10value_typeEPSK_NS1_7vsmem_tEENKUlT_SI_SJ_SK_E_clISD_PxSD_S10_EESH_SX_SI_SJ_SK_EUlSX_E1_NS1_11comp_targetILNS1_3genE5ELNS1_11target_archE942ELNS1_3gpuE9ELNS1_3repE0EEENS1_36merge_oddeven_config_static_selectorELNS0_4arch9wavefront6targetE1EEEvSJ_.num_vgpr, 0
	.set _ZN7rocprim17ROCPRIM_400000_NS6detail17trampoline_kernelINS0_14default_configENS1_38merge_sort_block_merge_config_selectorIxxEEZZNS1_27merge_sort_block_merge_implIS3_N6thrust23THRUST_200600_302600_NS6detail15normal_iteratorINS8_10device_ptrIxEEEESD_jNS1_19radix_merge_compareILb0ELb0ExNS0_19identity_decomposerEEEEE10hipError_tT0_T1_T2_jT3_P12ihipStream_tbPNSt15iterator_traitsISI_E10value_typeEPNSO_ISJ_E10value_typeEPSK_NS1_7vsmem_tEENKUlT_SI_SJ_SK_E_clISD_PxSD_S10_EESH_SX_SI_SJ_SK_EUlSX_E1_NS1_11comp_targetILNS1_3genE5ELNS1_11target_archE942ELNS1_3gpuE9ELNS1_3repE0EEENS1_36merge_oddeven_config_static_selectorELNS0_4arch9wavefront6targetE1EEEvSJ_.num_agpr, 0
	.set _ZN7rocprim17ROCPRIM_400000_NS6detail17trampoline_kernelINS0_14default_configENS1_38merge_sort_block_merge_config_selectorIxxEEZZNS1_27merge_sort_block_merge_implIS3_N6thrust23THRUST_200600_302600_NS6detail15normal_iteratorINS8_10device_ptrIxEEEESD_jNS1_19radix_merge_compareILb0ELb0ExNS0_19identity_decomposerEEEEE10hipError_tT0_T1_T2_jT3_P12ihipStream_tbPNSt15iterator_traitsISI_E10value_typeEPNSO_ISJ_E10value_typeEPSK_NS1_7vsmem_tEENKUlT_SI_SJ_SK_E_clISD_PxSD_S10_EESH_SX_SI_SJ_SK_EUlSX_E1_NS1_11comp_targetILNS1_3genE5ELNS1_11target_archE942ELNS1_3gpuE9ELNS1_3repE0EEENS1_36merge_oddeven_config_static_selectorELNS0_4arch9wavefront6targetE1EEEvSJ_.numbered_sgpr, 0
	.set _ZN7rocprim17ROCPRIM_400000_NS6detail17trampoline_kernelINS0_14default_configENS1_38merge_sort_block_merge_config_selectorIxxEEZZNS1_27merge_sort_block_merge_implIS3_N6thrust23THRUST_200600_302600_NS6detail15normal_iteratorINS8_10device_ptrIxEEEESD_jNS1_19radix_merge_compareILb0ELb0ExNS0_19identity_decomposerEEEEE10hipError_tT0_T1_T2_jT3_P12ihipStream_tbPNSt15iterator_traitsISI_E10value_typeEPNSO_ISJ_E10value_typeEPSK_NS1_7vsmem_tEENKUlT_SI_SJ_SK_E_clISD_PxSD_S10_EESH_SX_SI_SJ_SK_EUlSX_E1_NS1_11comp_targetILNS1_3genE5ELNS1_11target_archE942ELNS1_3gpuE9ELNS1_3repE0EEENS1_36merge_oddeven_config_static_selectorELNS0_4arch9wavefront6targetE1EEEvSJ_.num_named_barrier, 0
	.set _ZN7rocprim17ROCPRIM_400000_NS6detail17trampoline_kernelINS0_14default_configENS1_38merge_sort_block_merge_config_selectorIxxEEZZNS1_27merge_sort_block_merge_implIS3_N6thrust23THRUST_200600_302600_NS6detail15normal_iteratorINS8_10device_ptrIxEEEESD_jNS1_19radix_merge_compareILb0ELb0ExNS0_19identity_decomposerEEEEE10hipError_tT0_T1_T2_jT3_P12ihipStream_tbPNSt15iterator_traitsISI_E10value_typeEPNSO_ISJ_E10value_typeEPSK_NS1_7vsmem_tEENKUlT_SI_SJ_SK_E_clISD_PxSD_S10_EESH_SX_SI_SJ_SK_EUlSX_E1_NS1_11comp_targetILNS1_3genE5ELNS1_11target_archE942ELNS1_3gpuE9ELNS1_3repE0EEENS1_36merge_oddeven_config_static_selectorELNS0_4arch9wavefront6targetE1EEEvSJ_.private_seg_size, 0
	.set _ZN7rocprim17ROCPRIM_400000_NS6detail17trampoline_kernelINS0_14default_configENS1_38merge_sort_block_merge_config_selectorIxxEEZZNS1_27merge_sort_block_merge_implIS3_N6thrust23THRUST_200600_302600_NS6detail15normal_iteratorINS8_10device_ptrIxEEEESD_jNS1_19radix_merge_compareILb0ELb0ExNS0_19identity_decomposerEEEEE10hipError_tT0_T1_T2_jT3_P12ihipStream_tbPNSt15iterator_traitsISI_E10value_typeEPNSO_ISJ_E10value_typeEPSK_NS1_7vsmem_tEENKUlT_SI_SJ_SK_E_clISD_PxSD_S10_EESH_SX_SI_SJ_SK_EUlSX_E1_NS1_11comp_targetILNS1_3genE5ELNS1_11target_archE942ELNS1_3gpuE9ELNS1_3repE0EEENS1_36merge_oddeven_config_static_selectorELNS0_4arch9wavefront6targetE1EEEvSJ_.uses_vcc, 0
	.set _ZN7rocprim17ROCPRIM_400000_NS6detail17trampoline_kernelINS0_14default_configENS1_38merge_sort_block_merge_config_selectorIxxEEZZNS1_27merge_sort_block_merge_implIS3_N6thrust23THRUST_200600_302600_NS6detail15normal_iteratorINS8_10device_ptrIxEEEESD_jNS1_19radix_merge_compareILb0ELb0ExNS0_19identity_decomposerEEEEE10hipError_tT0_T1_T2_jT3_P12ihipStream_tbPNSt15iterator_traitsISI_E10value_typeEPNSO_ISJ_E10value_typeEPSK_NS1_7vsmem_tEENKUlT_SI_SJ_SK_E_clISD_PxSD_S10_EESH_SX_SI_SJ_SK_EUlSX_E1_NS1_11comp_targetILNS1_3genE5ELNS1_11target_archE942ELNS1_3gpuE9ELNS1_3repE0EEENS1_36merge_oddeven_config_static_selectorELNS0_4arch9wavefront6targetE1EEEvSJ_.uses_flat_scratch, 0
	.set _ZN7rocprim17ROCPRIM_400000_NS6detail17trampoline_kernelINS0_14default_configENS1_38merge_sort_block_merge_config_selectorIxxEEZZNS1_27merge_sort_block_merge_implIS3_N6thrust23THRUST_200600_302600_NS6detail15normal_iteratorINS8_10device_ptrIxEEEESD_jNS1_19radix_merge_compareILb0ELb0ExNS0_19identity_decomposerEEEEE10hipError_tT0_T1_T2_jT3_P12ihipStream_tbPNSt15iterator_traitsISI_E10value_typeEPNSO_ISJ_E10value_typeEPSK_NS1_7vsmem_tEENKUlT_SI_SJ_SK_E_clISD_PxSD_S10_EESH_SX_SI_SJ_SK_EUlSX_E1_NS1_11comp_targetILNS1_3genE5ELNS1_11target_archE942ELNS1_3gpuE9ELNS1_3repE0EEENS1_36merge_oddeven_config_static_selectorELNS0_4arch9wavefront6targetE1EEEvSJ_.has_dyn_sized_stack, 0
	.set _ZN7rocprim17ROCPRIM_400000_NS6detail17trampoline_kernelINS0_14default_configENS1_38merge_sort_block_merge_config_selectorIxxEEZZNS1_27merge_sort_block_merge_implIS3_N6thrust23THRUST_200600_302600_NS6detail15normal_iteratorINS8_10device_ptrIxEEEESD_jNS1_19radix_merge_compareILb0ELb0ExNS0_19identity_decomposerEEEEE10hipError_tT0_T1_T2_jT3_P12ihipStream_tbPNSt15iterator_traitsISI_E10value_typeEPNSO_ISJ_E10value_typeEPSK_NS1_7vsmem_tEENKUlT_SI_SJ_SK_E_clISD_PxSD_S10_EESH_SX_SI_SJ_SK_EUlSX_E1_NS1_11comp_targetILNS1_3genE5ELNS1_11target_archE942ELNS1_3gpuE9ELNS1_3repE0EEENS1_36merge_oddeven_config_static_selectorELNS0_4arch9wavefront6targetE1EEEvSJ_.has_recursion, 0
	.set _ZN7rocprim17ROCPRIM_400000_NS6detail17trampoline_kernelINS0_14default_configENS1_38merge_sort_block_merge_config_selectorIxxEEZZNS1_27merge_sort_block_merge_implIS3_N6thrust23THRUST_200600_302600_NS6detail15normal_iteratorINS8_10device_ptrIxEEEESD_jNS1_19radix_merge_compareILb0ELb0ExNS0_19identity_decomposerEEEEE10hipError_tT0_T1_T2_jT3_P12ihipStream_tbPNSt15iterator_traitsISI_E10value_typeEPNSO_ISJ_E10value_typeEPSK_NS1_7vsmem_tEENKUlT_SI_SJ_SK_E_clISD_PxSD_S10_EESH_SX_SI_SJ_SK_EUlSX_E1_NS1_11comp_targetILNS1_3genE5ELNS1_11target_archE942ELNS1_3gpuE9ELNS1_3repE0EEENS1_36merge_oddeven_config_static_selectorELNS0_4arch9wavefront6targetE1EEEvSJ_.has_indirect_call, 0
	.section	.AMDGPU.csdata,"",@progbits
; Kernel info:
; codeLenInByte = 0
; TotalNumSgprs: 6
; NumVgprs: 0
; NumAgprs: 0
; TotalNumVgprs: 0
; ScratchSize: 0
; MemoryBound: 0
; FloatMode: 240
; IeeeMode: 1
; LDSByteSize: 0 bytes/workgroup (compile time only)
; SGPRBlocks: 0
; VGPRBlocks: 0
; NumSGPRsForWavesPerEU: 6
; NumVGPRsForWavesPerEU: 1
; AccumOffset: 4
; Occupancy: 8
; WaveLimiterHint : 0
; COMPUTE_PGM_RSRC2:SCRATCH_EN: 0
; COMPUTE_PGM_RSRC2:USER_SGPR: 2
; COMPUTE_PGM_RSRC2:TRAP_HANDLER: 0
; COMPUTE_PGM_RSRC2:TGID_X_EN: 1
; COMPUTE_PGM_RSRC2:TGID_Y_EN: 0
; COMPUTE_PGM_RSRC2:TGID_Z_EN: 0
; COMPUTE_PGM_RSRC2:TIDIG_COMP_CNT: 0
; COMPUTE_PGM_RSRC3_GFX90A:ACCUM_OFFSET: 0
; COMPUTE_PGM_RSRC3_GFX90A:TG_SPLIT: 0
	.section	.text._ZN7rocprim17ROCPRIM_400000_NS6detail17trampoline_kernelINS0_14default_configENS1_38merge_sort_block_merge_config_selectorIxxEEZZNS1_27merge_sort_block_merge_implIS3_N6thrust23THRUST_200600_302600_NS6detail15normal_iteratorINS8_10device_ptrIxEEEESD_jNS1_19radix_merge_compareILb0ELb0ExNS0_19identity_decomposerEEEEE10hipError_tT0_T1_T2_jT3_P12ihipStream_tbPNSt15iterator_traitsISI_E10value_typeEPNSO_ISJ_E10value_typeEPSK_NS1_7vsmem_tEENKUlT_SI_SJ_SK_E_clISD_PxSD_S10_EESH_SX_SI_SJ_SK_EUlSX_E1_NS1_11comp_targetILNS1_3genE4ELNS1_11target_archE910ELNS1_3gpuE8ELNS1_3repE0EEENS1_36merge_oddeven_config_static_selectorELNS0_4arch9wavefront6targetE1EEEvSJ_,"axG",@progbits,_ZN7rocprim17ROCPRIM_400000_NS6detail17trampoline_kernelINS0_14default_configENS1_38merge_sort_block_merge_config_selectorIxxEEZZNS1_27merge_sort_block_merge_implIS3_N6thrust23THRUST_200600_302600_NS6detail15normal_iteratorINS8_10device_ptrIxEEEESD_jNS1_19radix_merge_compareILb0ELb0ExNS0_19identity_decomposerEEEEE10hipError_tT0_T1_T2_jT3_P12ihipStream_tbPNSt15iterator_traitsISI_E10value_typeEPNSO_ISJ_E10value_typeEPSK_NS1_7vsmem_tEENKUlT_SI_SJ_SK_E_clISD_PxSD_S10_EESH_SX_SI_SJ_SK_EUlSX_E1_NS1_11comp_targetILNS1_3genE4ELNS1_11target_archE910ELNS1_3gpuE8ELNS1_3repE0EEENS1_36merge_oddeven_config_static_selectorELNS0_4arch9wavefront6targetE1EEEvSJ_,comdat
	.protected	_ZN7rocprim17ROCPRIM_400000_NS6detail17trampoline_kernelINS0_14default_configENS1_38merge_sort_block_merge_config_selectorIxxEEZZNS1_27merge_sort_block_merge_implIS3_N6thrust23THRUST_200600_302600_NS6detail15normal_iteratorINS8_10device_ptrIxEEEESD_jNS1_19radix_merge_compareILb0ELb0ExNS0_19identity_decomposerEEEEE10hipError_tT0_T1_T2_jT3_P12ihipStream_tbPNSt15iterator_traitsISI_E10value_typeEPNSO_ISJ_E10value_typeEPSK_NS1_7vsmem_tEENKUlT_SI_SJ_SK_E_clISD_PxSD_S10_EESH_SX_SI_SJ_SK_EUlSX_E1_NS1_11comp_targetILNS1_3genE4ELNS1_11target_archE910ELNS1_3gpuE8ELNS1_3repE0EEENS1_36merge_oddeven_config_static_selectorELNS0_4arch9wavefront6targetE1EEEvSJ_ ; -- Begin function _ZN7rocprim17ROCPRIM_400000_NS6detail17trampoline_kernelINS0_14default_configENS1_38merge_sort_block_merge_config_selectorIxxEEZZNS1_27merge_sort_block_merge_implIS3_N6thrust23THRUST_200600_302600_NS6detail15normal_iteratorINS8_10device_ptrIxEEEESD_jNS1_19radix_merge_compareILb0ELb0ExNS0_19identity_decomposerEEEEE10hipError_tT0_T1_T2_jT3_P12ihipStream_tbPNSt15iterator_traitsISI_E10value_typeEPNSO_ISJ_E10value_typeEPSK_NS1_7vsmem_tEENKUlT_SI_SJ_SK_E_clISD_PxSD_S10_EESH_SX_SI_SJ_SK_EUlSX_E1_NS1_11comp_targetILNS1_3genE4ELNS1_11target_archE910ELNS1_3gpuE8ELNS1_3repE0EEENS1_36merge_oddeven_config_static_selectorELNS0_4arch9wavefront6targetE1EEEvSJ_
	.globl	_ZN7rocprim17ROCPRIM_400000_NS6detail17trampoline_kernelINS0_14default_configENS1_38merge_sort_block_merge_config_selectorIxxEEZZNS1_27merge_sort_block_merge_implIS3_N6thrust23THRUST_200600_302600_NS6detail15normal_iteratorINS8_10device_ptrIxEEEESD_jNS1_19radix_merge_compareILb0ELb0ExNS0_19identity_decomposerEEEEE10hipError_tT0_T1_T2_jT3_P12ihipStream_tbPNSt15iterator_traitsISI_E10value_typeEPNSO_ISJ_E10value_typeEPSK_NS1_7vsmem_tEENKUlT_SI_SJ_SK_E_clISD_PxSD_S10_EESH_SX_SI_SJ_SK_EUlSX_E1_NS1_11comp_targetILNS1_3genE4ELNS1_11target_archE910ELNS1_3gpuE8ELNS1_3repE0EEENS1_36merge_oddeven_config_static_selectorELNS0_4arch9wavefront6targetE1EEEvSJ_
	.p2align	8
	.type	_ZN7rocprim17ROCPRIM_400000_NS6detail17trampoline_kernelINS0_14default_configENS1_38merge_sort_block_merge_config_selectorIxxEEZZNS1_27merge_sort_block_merge_implIS3_N6thrust23THRUST_200600_302600_NS6detail15normal_iteratorINS8_10device_ptrIxEEEESD_jNS1_19radix_merge_compareILb0ELb0ExNS0_19identity_decomposerEEEEE10hipError_tT0_T1_T2_jT3_P12ihipStream_tbPNSt15iterator_traitsISI_E10value_typeEPNSO_ISJ_E10value_typeEPSK_NS1_7vsmem_tEENKUlT_SI_SJ_SK_E_clISD_PxSD_S10_EESH_SX_SI_SJ_SK_EUlSX_E1_NS1_11comp_targetILNS1_3genE4ELNS1_11target_archE910ELNS1_3gpuE8ELNS1_3repE0EEENS1_36merge_oddeven_config_static_selectorELNS0_4arch9wavefront6targetE1EEEvSJ_,@function
_ZN7rocprim17ROCPRIM_400000_NS6detail17trampoline_kernelINS0_14default_configENS1_38merge_sort_block_merge_config_selectorIxxEEZZNS1_27merge_sort_block_merge_implIS3_N6thrust23THRUST_200600_302600_NS6detail15normal_iteratorINS8_10device_ptrIxEEEESD_jNS1_19radix_merge_compareILb0ELb0ExNS0_19identity_decomposerEEEEE10hipError_tT0_T1_T2_jT3_P12ihipStream_tbPNSt15iterator_traitsISI_E10value_typeEPNSO_ISJ_E10value_typeEPSK_NS1_7vsmem_tEENKUlT_SI_SJ_SK_E_clISD_PxSD_S10_EESH_SX_SI_SJ_SK_EUlSX_E1_NS1_11comp_targetILNS1_3genE4ELNS1_11target_archE910ELNS1_3gpuE8ELNS1_3repE0EEENS1_36merge_oddeven_config_static_selectorELNS0_4arch9wavefront6targetE1EEEvSJ_: ; @_ZN7rocprim17ROCPRIM_400000_NS6detail17trampoline_kernelINS0_14default_configENS1_38merge_sort_block_merge_config_selectorIxxEEZZNS1_27merge_sort_block_merge_implIS3_N6thrust23THRUST_200600_302600_NS6detail15normal_iteratorINS8_10device_ptrIxEEEESD_jNS1_19radix_merge_compareILb0ELb0ExNS0_19identity_decomposerEEEEE10hipError_tT0_T1_T2_jT3_P12ihipStream_tbPNSt15iterator_traitsISI_E10value_typeEPNSO_ISJ_E10value_typeEPSK_NS1_7vsmem_tEENKUlT_SI_SJ_SK_E_clISD_PxSD_S10_EESH_SX_SI_SJ_SK_EUlSX_E1_NS1_11comp_targetILNS1_3genE4ELNS1_11target_archE910ELNS1_3gpuE8ELNS1_3repE0EEENS1_36merge_oddeven_config_static_selectorELNS0_4arch9wavefront6targetE1EEEvSJ_
; %bb.0:
	.section	.rodata,"a",@progbits
	.p2align	6, 0x0
	.amdhsa_kernel _ZN7rocprim17ROCPRIM_400000_NS6detail17trampoline_kernelINS0_14default_configENS1_38merge_sort_block_merge_config_selectorIxxEEZZNS1_27merge_sort_block_merge_implIS3_N6thrust23THRUST_200600_302600_NS6detail15normal_iteratorINS8_10device_ptrIxEEEESD_jNS1_19radix_merge_compareILb0ELb0ExNS0_19identity_decomposerEEEEE10hipError_tT0_T1_T2_jT3_P12ihipStream_tbPNSt15iterator_traitsISI_E10value_typeEPNSO_ISJ_E10value_typeEPSK_NS1_7vsmem_tEENKUlT_SI_SJ_SK_E_clISD_PxSD_S10_EESH_SX_SI_SJ_SK_EUlSX_E1_NS1_11comp_targetILNS1_3genE4ELNS1_11target_archE910ELNS1_3gpuE8ELNS1_3repE0EEENS1_36merge_oddeven_config_static_selectorELNS0_4arch9wavefront6targetE1EEEvSJ_
		.amdhsa_group_segment_fixed_size 0
		.amdhsa_private_segment_fixed_size 0
		.amdhsa_kernarg_size 48
		.amdhsa_user_sgpr_count 2
		.amdhsa_user_sgpr_dispatch_ptr 0
		.amdhsa_user_sgpr_queue_ptr 0
		.amdhsa_user_sgpr_kernarg_segment_ptr 1
		.amdhsa_user_sgpr_dispatch_id 0
		.amdhsa_user_sgpr_kernarg_preload_length 0
		.amdhsa_user_sgpr_kernarg_preload_offset 0
		.amdhsa_user_sgpr_private_segment_size 0
		.amdhsa_uses_dynamic_stack 0
		.amdhsa_enable_private_segment 0
		.amdhsa_system_sgpr_workgroup_id_x 1
		.amdhsa_system_sgpr_workgroup_id_y 0
		.amdhsa_system_sgpr_workgroup_id_z 0
		.amdhsa_system_sgpr_workgroup_info 0
		.amdhsa_system_vgpr_workitem_id 0
		.amdhsa_next_free_vgpr 1
		.amdhsa_next_free_sgpr 0
		.amdhsa_accum_offset 4
		.amdhsa_reserve_vcc 0
		.amdhsa_float_round_mode_32 0
		.amdhsa_float_round_mode_16_64 0
		.amdhsa_float_denorm_mode_32 3
		.amdhsa_float_denorm_mode_16_64 3
		.amdhsa_dx10_clamp 1
		.amdhsa_ieee_mode 1
		.amdhsa_fp16_overflow 0
		.amdhsa_tg_split 0
		.amdhsa_exception_fp_ieee_invalid_op 0
		.amdhsa_exception_fp_denorm_src 0
		.amdhsa_exception_fp_ieee_div_zero 0
		.amdhsa_exception_fp_ieee_overflow 0
		.amdhsa_exception_fp_ieee_underflow 0
		.amdhsa_exception_fp_ieee_inexact 0
		.amdhsa_exception_int_div_zero 0
	.end_amdhsa_kernel
	.section	.text._ZN7rocprim17ROCPRIM_400000_NS6detail17trampoline_kernelINS0_14default_configENS1_38merge_sort_block_merge_config_selectorIxxEEZZNS1_27merge_sort_block_merge_implIS3_N6thrust23THRUST_200600_302600_NS6detail15normal_iteratorINS8_10device_ptrIxEEEESD_jNS1_19radix_merge_compareILb0ELb0ExNS0_19identity_decomposerEEEEE10hipError_tT0_T1_T2_jT3_P12ihipStream_tbPNSt15iterator_traitsISI_E10value_typeEPNSO_ISJ_E10value_typeEPSK_NS1_7vsmem_tEENKUlT_SI_SJ_SK_E_clISD_PxSD_S10_EESH_SX_SI_SJ_SK_EUlSX_E1_NS1_11comp_targetILNS1_3genE4ELNS1_11target_archE910ELNS1_3gpuE8ELNS1_3repE0EEENS1_36merge_oddeven_config_static_selectorELNS0_4arch9wavefront6targetE1EEEvSJ_,"axG",@progbits,_ZN7rocprim17ROCPRIM_400000_NS6detail17trampoline_kernelINS0_14default_configENS1_38merge_sort_block_merge_config_selectorIxxEEZZNS1_27merge_sort_block_merge_implIS3_N6thrust23THRUST_200600_302600_NS6detail15normal_iteratorINS8_10device_ptrIxEEEESD_jNS1_19radix_merge_compareILb0ELb0ExNS0_19identity_decomposerEEEEE10hipError_tT0_T1_T2_jT3_P12ihipStream_tbPNSt15iterator_traitsISI_E10value_typeEPNSO_ISJ_E10value_typeEPSK_NS1_7vsmem_tEENKUlT_SI_SJ_SK_E_clISD_PxSD_S10_EESH_SX_SI_SJ_SK_EUlSX_E1_NS1_11comp_targetILNS1_3genE4ELNS1_11target_archE910ELNS1_3gpuE8ELNS1_3repE0EEENS1_36merge_oddeven_config_static_selectorELNS0_4arch9wavefront6targetE1EEEvSJ_,comdat
.Lfunc_end1108:
	.size	_ZN7rocprim17ROCPRIM_400000_NS6detail17trampoline_kernelINS0_14default_configENS1_38merge_sort_block_merge_config_selectorIxxEEZZNS1_27merge_sort_block_merge_implIS3_N6thrust23THRUST_200600_302600_NS6detail15normal_iteratorINS8_10device_ptrIxEEEESD_jNS1_19radix_merge_compareILb0ELb0ExNS0_19identity_decomposerEEEEE10hipError_tT0_T1_T2_jT3_P12ihipStream_tbPNSt15iterator_traitsISI_E10value_typeEPNSO_ISJ_E10value_typeEPSK_NS1_7vsmem_tEENKUlT_SI_SJ_SK_E_clISD_PxSD_S10_EESH_SX_SI_SJ_SK_EUlSX_E1_NS1_11comp_targetILNS1_3genE4ELNS1_11target_archE910ELNS1_3gpuE8ELNS1_3repE0EEENS1_36merge_oddeven_config_static_selectorELNS0_4arch9wavefront6targetE1EEEvSJ_, .Lfunc_end1108-_ZN7rocprim17ROCPRIM_400000_NS6detail17trampoline_kernelINS0_14default_configENS1_38merge_sort_block_merge_config_selectorIxxEEZZNS1_27merge_sort_block_merge_implIS3_N6thrust23THRUST_200600_302600_NS6detail15normal_iteratorINS8_10device_ptrIxEEEESD_jNS1_19radix_merge_compareILb0ELb0ExNS0_19identity_decomposerEEEEE10hipError_tT0_T1_T2_jT3_P12ihipStream_tbPNSt15iterator_traitsISI_E10value_typeEPNSO_ISJ_E10value_typeEPSK_NS1_7vsmem_tEENKUlT_SI_SJ_SK_E_clISD_PxSD_S10_EESH_SX_SI_SJ_SK_EUlSX_E1_NS1_11comp_targetILNS1_3genE4ELNS1_11target_archE910ELNS1_3gpuE8ELNS1_3repE0EEENS1_36merge_oddeven_config_static_selectorELNS0_4arch9wavefront6targetE1EEEvSJ_
                                        ; -- End function
	.set _ZN7rocprim17ROCPRIM_400000_NS6detail17trampoline_kernelINS0_14default_configENS1_38merge_sort_block_merge_config_selectorIxxEEZZNS1_27merge_sort_block_merge_implIS3_N6thrust23THRUST_200600_302600_NS6detail15normal_iteratorINS8_10device_ptrIxEEEESD_jNS1_19radix_merge_compareILb0ELb0ExNS0_19identity_decomposerEEEEE10hipError_tT0_T1_T2_jT3_P12ihipStream_tbPNSt15iterator_traitsISI_E10value_typeEPNSO_ISJ_E10value_typeEPSK_NS1_7vsmem_tEENKUlT_SI_SJ_SK_E_clISD_PxSD_S10_EESH_SX_SI_SJ_SK_EUlSX_E1_NS1_11comp_targetILNS1_3genE4ELNS1_11target_archE910ELNS1_3gpuE8ELNS1_3repE0EEENS1_36merge_oddeven_config_static_selectorELNS0_4arch9wavefront6targetE1EEEvSJ_.num_vgpr, 0
	.set _ZN7rocprim17ROCPRIM_400000_NS6detail17trampoline_kernelINS0_14default_configENS1_38merge_sort_block_merge_config_selectorIxxEEZZNS1_27merge_sort_block_merge_implIS3_N6thrust23THRUST_200600_302600_NS6detail15normal_iteratorINS8_10device_ptrIxEEEESD_jNS1_19radix_merge_compareILb0ELb0ExNS0_19identity_decomposerEEEEE10hipError_tT0_T1_T2_jT3_P12ihipStream_tbPNSt15iterator_traitsISI_E10value_typeEPNSO_ISJ_E10value_typeEPSK_NS1_7vsmem_tEENKUlT_SI_SJ_SK_E_clISD_PxSD_S10_EESH_SX_SI_SJ_SK_EUlSX_E1_NS1_11comp_targetILNS1_3genE4ELNS1_11target_archE910ELNS1_3gpuE8ELNS1_3repE0EEENS1_36merge_oddeven_config_static_selectorELNS0_4arch9wavefront6targetE1EEEvSJ_.num_agpr, 0
	.set _ZN7rocprim17ROCPRIM_400000_NS6detail17trampoline_kernelINS0_14default_configENS1_38merge_sort_block_merge_config_selectorIxxEEZZNS1_27merge_sort_block_merge_implIS3_N6thrust23THRUST_200600_302600_NS6detail15normal_iteratorINS8_10device_ptrIxEEEESD_jNS1_19radix_merge_compareILb0ELb0ExNS0_19identity_decomposerEEEEE10hipError_tT0_T1_T2_jT3_P12ihipStream_tbPNSt15iterator_traitsISI_E10value_typeEPNSO_ISJ_E10value_typeEPSK_NS1_7vsmem_tEENKUlT_SI_SJ_SK_E_clISD_PxSD_S10_EESH_SX_SI_SJ_SK_EUlSX_E1_NS1_11comp_targetILNS1_3genE4ELNS1_11target_archE910ELNS1_3gpuE8ELNS1_3repE0EEENS1_36merge_oddeven_config_static_selectorELNS0_4arch9wavefront6targetE1EEEvSJ_.numbered_sgpr, 0
	.set _ZN7rocprim17ROCPRIM_400000_NS6detail17trampoline_kernelINS0_14default_configENS1_38merge_sort_block_merge_config_selectorIxxEEZZNS1_27merge_sort_block_merge_implIS3_N6thrust23THRUST_200600_302600_NS6detail15normal_iteratorINS8_10device_ptrIxEEEESD_jNS1_19radix_merge_compareILb0ELb0ExNS0_19identity_decomposerEEEEE10hipError_tT0_T1_T2_jT3_P12ihipStream_tbPNSt15iterator_traitsISI_E10value_typeEPNSO_ISJ_E10value_typeEPSK_NS1_7vsmem_tEENKUlT_SI_SJ_SK_E_clISD_PxSD_S10_EESH_SX_SI_SJ_SK_EUlSX_E1_NS1_11comp_targetILNS1_3genE4ELNS1_11target_archE910ELNS1_3gpuE8ELNS1_3repE0EEENS1_36merge_oddeven_config_static_selectorELNS0_4arch9wavefront6targetE1EEEvSJ_.num_named_barrier, 0
	.set _ZN7rocprim17ROCPRIM_400000_NS6detail17trampoline_kernelINS0_14default_configENS1_38merge_sort_block_merge_config_selectorIxxEEZZNS1_27merge_sort_block_merge_implIS3_N6thrust23THRUST_200600_302600_NS6detail15normal_iteratorINS8_10device_ptrIxEEEESD_jNS1_19radix_merge_compareILb0ELb0ExNS0_19identity_decomposerEEEEE10hipError_tT0_T1_T2_jT3_P12ihipStream_tbPNSt15iterator_traitsISI_E10value_typeEPNSO_ISJ_E10value_typeEPSK_NS1_7vsmem_tEENKUlT_SI_SJ_SK_E_clISD_PxSD_S10_EESH_SX_SI_SJ_SK_EUlSX_E1_NS1_11comp_targetILNS1_3genE4ELNS1_11target_archE910ELNS1_3gpuE8ELNS1_3repE0EEENS1_36merge_oddeven_config_static_selectorELNS0_4arch9wavefront6targetE1EEEvSJ_.private_seg_size, 0
	.set _ZN7rocprim17ROCPRIM_400000_NS6detail17trampoline_kernelINS0_14default_configENS1_38merge_sort_block_merge_config_selectorIxxEEZZNS1_27merge_sort_block_merge_implIS3_N6thrust23THRUST_200600_302600_NS6detail15normal_iteratorINS8_10device_ptrIxEEEESD_jNS1_19radix_merge_compareILb0ELb0ExNS0_19identity_decomposerEEEEE10hipError_tT0_T1_T2_jT3_P12ihipStream_tbPNSt15iterator_traitsISI_E10value_typeEPNSO_ISJ_E10value_typeEPSK_NS1_7vsmem_tEENKUlT_SI_SJ_SK_E_clISD_PxSD_S10_EESH_SX_SI_SJ_SK_EUlSX_E1_NS1_11comp_targetILNS1_3genE4ELNS1_11target_archE910ELNS1_3gpuE8ELNS1_3repE0EEENS1_36merge_oddeven_config_static_selectorELNS0_4arch9wavefront6targetE1EEEvSJ_.uses_vcc, 0
	.set _ZN7rocprim17ROCPRIM_400000_NS6detail17trampoline_kernelINS0_14default_configENS1_38merge_sort_block_merge_config_selectorIxxEEZZNS1_27merge_sort_block_merge_implIS3_N6thrust23THRUST_200600_302600_NS6detail15normal_iteratorINS8_10device_ptrIxEEEESD_jNS1_19radix_merge_compareILb0ELb0ExNS0_19identity_decomposerEEEEE10hipError_tT0_T1_T2_jT3_P12ihipStream_tbPNSt15iterator_traitsISI_E10value_typeEPNSO_ISJ_E10value_typeEPSK_NS1_7vsmem_tEENKUlT_SI_SJ_SK_E_clISD_PxSD_S10_EESH_SX_SI_SJ_SK_EUlSX_E1_NS1_11comp_targetILNS1_3genE4ELNS1_11target_archE910ELNS1_3gpuE8ELNS1_3repE0EEENS1_36merge_oddeven_config_static_selectorELNS0_4arch9wavefront6targetE1EEEvSJ_.uses_flat_scratch, 0
	.set _ZN7rocprim17ROCPRIM_400000_NS6detail17trampoline_kernelINS0_14default_configENS1_38merge_sort_block_merge_config_selectorIxxEEZZNS1_27merge_sort_block_merge_implIS3_N6thrust23THRUST_200600_302600_NS6detail15normal_iteratorINS8_10device_ptrIxEEEESD_jNS1_19radix_merge_compareILb0ELb0ExNS0_19identity_decomposerEEEEE10hipError_tT0_T1_T2_jT3_P12ihipStream_tbPNSt15iterator_traitsISI_E10value_typeEPNSO_ISJ_E10value_typeEPSK_NS1_7vsmem_tEENKUlT_SI_SJ_SK_E_clISD_PxSD_S10_EESH_SX_SI_SJ_SK_EUlSX_E1_NS1_11comp_targetILNS1_3genE4ELNS1_11target_archE910ELNS1_3gpuE8ELNS1_3repE0EEENS1_36merge_oddeven_config_static_selectorELNS0_4arch9wavefront6targetE1EEEvSJ_.has_dyn_sized_stack, 0
	.set _ZN7rocprim17ROCPRIM_400000_NS6detail17trampoline_kernelINS0_14default_configENS1_38merge_sort_block_merge_config_selectorIxxEEZZNS1_27merge_sort_block_merge_implIS3_N6thrust23THRUST_200600_302600_NS6detail15normal_iteratorINS8_10device_ptrIxEEEESD_jNS1_19radix_merge_compareILb0ELb0ExNS0_19identity_decomposerEEEEE10hipError_tT0_T1_T2_jT3_P12ihipStream_tbPNSt15iterator_traitsISI_E10value_typeEPNSO_ISJ_E10value_typeEPSK_NS1_7vsmem_tEENKUlT_SI_SJ_SK_E_clISD_PxSD_S10_EESH_SX_SI_SJ_SK_EUlSX_E1_NS1_11comp_targetILNS1_3genE4ELNS1_11target_archE910ELNS1_3gpuE8ELNS1_3repE0EEENS1_36merge_oddeven_config_static_selectorELNS0_4arch9wavefront6targetE1EEEvSJ_.has_recursion, 0
	.set _ZN7rocprim17ROCPRIM_400000_NS6detail17trampoline_kernelINS0_14default_configENS1_38merge_sort_block_merge_config_selectorIxxEEZZNS1_27merge_sort_block_merge_implIS3_N6thrust23THRUST_200600_302600_NS6detail15normal_iteratorINS8_10device_ptrIxEEEESD_jNS1_19radix_merge_compareILb0ELb0ExNS0_19identity_decomposerEEEEE10hipError_tT0_T1_T2_jT3_P12ihipStream_tbPNSt15iterator_traitsISI_E10value_typeEPNSO_ISJ_E10value_typeEPSK_NS1_7vsmem_tEENKUlT_SI_SJ_SK_E_clISD_PxSD_S10_EESH_SX_SI_SJ_SK_EUlSX_E1_NS1_11comp_targetILNS1_3genE4ELNS1_11target_archE910ELNS1_3gpuE8ELNS1_3repE0EEENS1_36merge_oddeven_config_static_selectorELNS0_4arch9wavefront6targetE1EEEvSJ_.has_indirect_call, 0
	.section	.AMDGPU.csdata,"",@progbits
; Kernel info:
; codeLenInByte = 0
; TotalNumSgprs: 6
; NumVgprs: 0
; NumAgprs: 0
; TotalNumVgprs: 0
; ScratchSize: 0
; MemoryBound: 0
; FloatMode: 240
; IeeeMode: 1
; LDSByteSize: 0 bytes/workgroup (compile time only)
; SGPRBlocks: 0
; VGPRBlocks: 0
; NumSGPRsForWavesPerEU: 6
; NumVGPRsForWavesPerEU: 1
; AccumOffset: 4
; Occupancy: 8
; WaveLimiterHint : 0
; COMPUTE_PGM_RSRC2:SCRATCH_EN: 0
; COMPUTE_PGM_RSRC2:USER_SGPR: 2
; COMPUTE_PGM_RSRC2:TRAP_HANDLER: 0
; COMPUTE_PGM_RSRC2:TGID_X_EN: 1
; COMPUTE_PGM_RSRC2:TGID_Y_EN: 0
; COMPUTE_PGM_RSRC2:TGID_Z_EN: 0
; COMPUTE_PGM_RSRC2:TIDIG_COMP_CNT: 0
; COMPUTE_PGM_RSRC3_GFX90A:ACCUM_OFFSET: 0
; COMPUTE_PGM_RSRC3_GFX90A:TG_SPLIT: 0
	.section	.text._ZN7rocprim17ROCPRIM_400000_NS6detail17trampoline_kernelINS0_14default_configENS1_38merge_sort_block_merge_config_selectorIxxEEZZNS1_27merge_sort_block_merge_implIS3_N6thrust23THRUST_200600_302600_NS6detail15normal_iteratorINS8_10device_ptrIxEEEESD_jNS1_19radix_merge_compareILb0ELb0ExNS0_19identity_decomposerEEEEE10hipError_tT0_T1_T2_jT3_P12ihipStream_tbPNSt15iterator_traitsISI_E10value_typeEPNSO_ISJ_E10value_typeEPSK_NS1_7vsmem_tEENKUlT_SI_SJ_SK_E_clISD_PxSD_S10_EESH_SX_SI_SJ_SK_EUlSX_E1_NS1_11comp_targetILNS1_3genE3ELNS1_11target_archE908ELNS1_3gpuE7ELNS1_3repE0EEENS1_36merge_oddeven_config_static_selectorELNS0_4arch9wavefront6targetE1EEEvSJ_,"axG",@progbits,_ZN7rocprim17ROCPRIM_400000_NS6detail17trampoline_kernelINS0_14default_configENS1_38merge_sort_block_merge_config_selectorIxxEEZZNS1_27merge_sort_block_merge_implIS3_N6thrust23THRUST_200600_302600_NS6detail15normal_iteratorINS8_10device_ptrIxEEEESD_jNS1_19radix_merge_compareILb0ELb0ExNS0_19identity_decomposerEEEEE10hipError_tT0_T1_T2_jT3_P12ihipStream_tbPNSt15iterator_traitsISI_E10value_typeEPNSO_ISJ_E10value_typeEPSK_NS1_7vsmem_tEENKUlT_SI_SJ_SK_E_clISD_PxSD_S10_EESH_SX_SI_SJ_SK_EUlSX_E1_NS1_11comp_targetILNS1_3genE3ELNS1_11target_archE908ELNS1_3gpuE7ELNS1_3repE0EEENS1_36merge_oddeven_config_static_selectorELNS0_4arch9wavefront6targetE1EEEvSJ_,comdat
	.protected	_ZN7rocprim17ROCPRIM_400000_NS6detail17trampoline_kernelINS0_14default_configENS1_38merge_sort_block_merge_config_selectorIxxEEZZNS1_27merge_sort_block_merge_implIS3_N6thrust23THRUST_200600_302600_NS6detail15normal_iteratorINS8_10device_ptrIxEEEESD_jNS1_19radix_merge_compareILb0ELb0ExNS0_19identity_decomposerEEEEE10hipError_tT0_T1_T2_jT3_P12ihipStream_tbPNSt15iterator_traitsISI_E10value_typeEPNSO_ISJ_E10value_typeEPSK_NS1_7vsmem_tEENKUlT_SI_SJ_SK_E_clISD_PxSD_S10_EESH_SX_SI_SJ_SK_EUlSX_E1_NS1_11comp_targetILNS1_3genE3ELNS1_11target_archE908ELNS1_3gpuE7ELNS1_3repE0EEENS1_36merge_oddeven_config_static_selectorELNS0_4arch9wavefront6targetE1EEEvSJ_ ; -- Begin function _ZN7rocprim17ROCPRIM_400000_NS6detail17trampoline_kernelINS0_14default_configENS1_38merge_sort_block_merge_config_selectorIxxEEZZNS1_27merge_sort_block_merge_implIS3_N6thrust23THRUST_200600_302600_NS6detail15normal_iteratorINS8_10device_ptrIxEEEESD_jNS1_19radix_merge_compareILb0ELb0ExNS0_19identity_decomposerEEEEE10hipError_tT0_T1_T2_jT3_P12ihipStream_tbPNSt15iterator_traitsISI_E10value_typeEPNSO_ISJ_E10value_typeEPSK_NS1_7vsmem_tEENKUlT_SI_SJ_SK_E_clISD_PxSD_S10_EESH_SX_SI_SJ_SK_EUlSX_E1_NS1_11comp_targetILNS1_3genE3ELNS1_11target_archE908ELNS1_3gpuE7ELNS1_3repE0EEENS1_36merge_oddeven_config_static_selectorELNS0_4arch9wavefront6targetE1EEEvSJ_
	.globl	_ZN7rocprim17ROCPRIM_400000_NS6detail17trampoline_kernelINS0_14default_configENS1_38merge_sort_block_merge_config_selectorIxxEEZZNS1_27merge_sort_block_merge_implIS3_N6thrust23THRUST_200600_302600_NS6detail15normal_iteratorINS8_10device_ptrIxEEEESD_jNS1_19radix_merge_compareILb0ELb0ExNS0_19identity_decomposerEEEEE10hipError_tT0_T1_T2_jT3_P12ihipStream_tbPNSt15iterator_traitsISI_E10value_typeEPNSO_ISJ_E10value_typeEPSK_NS1_7vsmem_tEENKUlT_SI_SJ_SK_E_clISD_PxSD_S10_EESH_SX_SI_SJ_SK_EUlSX_E1_NS1_11comp_targetILNS1_3genE3ELNS1_11target_archE908ELNS1_3gpuE7ELNS1_3repE0EEENS1_36merge_oddeven_config_static_selectorELNS0_4arch9wavefront6targetE1EEEvSJ_
	.p2align	8
	.type	_ZN7rocprim17ROCPRIM_400000_NS6detail17trampoline_kernelINS0_14default_configENS1_38merge_sort_block_merge_config_selectorIxxEEZZNS1_27merge_sort_block_merge_implIS3_N6thrust23THRUST_200600_302600_NS6detail15normal_iteratorINS8_10device_ptrIxEEEESD_jNS1_19radix_merge_compareILb0ELb0ExNS0_19identity_decomposerEEEEE10hipError_tT0_T1_T2_jT3_P12ihipStream_tbPNSt15iterator_traitsISI_E10value_typeEPNSO_ISJ_E10value_typeEPSK_NS1_7vsmem_tEENKUlT_SI_SJ_SK_E_clISD_PxSD_S10_EESH_SX_SI_SJ_SK_EUlSX_E1_NS1_11comp_targetILNS1_3genE3ELNS1_11target_archE908ELNS1_3gpuE7ELNS1_3repE0EEENS1_36merge_oddeven_config_static_selectorELNS0_4arch9wavefront6targetE1EEEvSJ_,@function
_ZN7rocprim17ROCPRIM_400000_NS6detail17trampoline_kernelINS0_14default_configENS1_38merge_sort_block_merge_config_selectorIxxEEZZNS1_27merge_sort_block_merge_implIS3_N6thrust23THRUST_200600_302600_NS6detail15normal_iteratorINS8_10device_ptrIxEEEESD_jNS1_19radix_merge_compareILb0ELb0ExNS0_19identity_decomposerEEEEE10hipError_tT0_T1_T2_jT3_P12ihipStream_tbPNSt15iterator_traitsISI_E10value_typeEPNSO_ISJ_E10value_typeEPSK_NS1_7vsmem_tEENKUlT_SI_SJ_SK_E_clISD_PxSD_S10_EESH_SX_SI_SJ_SK_EUlSX_E1_NS1_11comp_targetILNS1_3genE3ELNS1_11target_archE908ELNS1_3gpuE7ELNS1_3repE0EEENS1_36merge_oddeven_config_static_selectorELNS0_4arch9wavefront6targetE1EEEvSJ_: ; @_ZN7rocprim17ROCPRIM_400000_NS6detail17trampoline_kernelINS0_14default_configENS1_38merge_sort_block_merge_config_selectorIxxEEZZNS1_27merge_sort_block_merge_implIS3_N6thrust23THRUST_200600_302600_NS6detail15normal_iteratorINS8_10device_ptrIxEEEESD_jNS1_19radix_merge_compareILb0ELb0ExNS0_19identity_decomposerEEEEE10hipError_tT0_T1_T2_jT3_P12ihipStream_tbPNSt15iterator_traitsISI_E10value_typeEPNSO_ISJ_E10value_typeEPSK_NS1_7vsmem_tEENKUlT_SI_SJ_SK_E_clISD_PxSD_S10_EESH_SX_SI_SJ_SK_EUlSX_E1_NS1_11comp_targetILNS1_3genE3ELNS1_11target_archE908ELNS1_3gpuE7ELNS1_3repE0EEENS1_36merge_oddeven_config_static_selectorELNS0_4arch9wavefront6targetE1EEEvSJ_
; %bb.0:
	.section	.rodata,"a",@progbits
	.p2align	6, 0x0
	.amdhsa_kernel _ZN7rocprim17ROCPRIM_400000_NS6detail17trampoline_kernelINS0_14default_configENS1_38merge_sort_block_merge_config_selectorIxxEEZZNS1_27merge_sort_block_merge_implIS3_N6thrust23THRUST_200600_302600_NS6detail15normal_iteratorINS8_10device_ptrIxEEEESD_jNS1_19radix_merge_compareILb0ELb0ExNS0_19identity_decomposerEEEEE10hipError_tT0_T1_T2_jT3_P12ihipStream_tbPNSt15iterator_traitsISI_E10value_typeEPNSO_ISJ_E10value_typeEPSK_NS1_7vsmem_tEENKUlT_SI_SJ_SK_E_clISD_PxSD_S10_EESH_SX_SI_SJ_SK_EUlSX_E1_NS1_11comp_targetILNS1_3genE3ELNS1_11target_archE908ELNS1_3gpuE7ELNS1_3repE0EEENS1_36merge_oddeven_config_static_selectorELNS0_4arch9wavefront6targetE1EEEvSJ_
		.amdhsa_group_segment_fixed_size 0
		.amdhsa_private_segment_fixed_size 0
		.amdhsa_kernarg_size 48
		.amdhsa_user_sgpr_count 2
		.amdhsa_user_sgpr_dispatch_ptr 0
		.amdhsa_user_sgpr_queue_ptr 0
		.amdhsa_user_sgpr_kernarg_segment_ptr 1
		.amdhsa_user_sgpr_dispatch_id 0
		.amdhsa_user_sgpr_kernarg_preload_length 0
		.amdhsa_user_sgpr_kernarg_preload_offset 0
		.amdhsa_user_sgpr_private_segment_size 0
		.amdhsa_uses_dynamic_stack 0
		.amdhsa_enable_private_segment 0
		.amdhsa_system_sgpr_workgroup_id_x 1
		.amdhsa_system_sgpr_workgroup_id_y 0
		.amdhsa_system_sgpr_workgroup_id_z 0
		.amdhsa_system_sgpr_workgroup_info 0
		.amdhsa_system_vgpr_workitem_id 0
		.amdhsa_next_free_vgpr 1
		.amdhsa_next_free_sgpr 0
		.amdhsa_accum_offset 4
		.amdhsa_reserve_vcc 0
		.amdhsa_float_round_mode_32 0
		.amdhsa_float_round_mode_16_64 0
		.amdhsa_float_denorm_mode_32 3
		.amdhsa_float_denorm_mode_16_64 3
		.amdhsa_dx10_clamp 1
		.amdhsa_ieee_mode 1
		.amdhsa_fp16_overflow 0
		.amdhsa_tg_split 0
		.amdhsa_exception_fp_ieee_invalid_op 0
		.amdhsa_exception_fp_denorm_src 0
		.amdhsa_exception_fp_ieee_div_zero 0
		.amdhsa_exception_fp_ieee_overflow 0
		.amdhsa_exception_fp_ieee_underflow 0
		.amdhsa_exception_fp_ieee_inexact 0
		.amdhsa_exception_int_div_zero 0
	.end_amdhsa_kernel
	.section	.text._ZN7rocprim17ROCPRIM_400000_NS6detail17trampoline_kernelINS0_14default_configENS1_38merge_sort_block_merge_config_selectorIxxEEZZNS1_27merge_sort_block_merge_implIS3_N6thrust23THRUST_200600_302600_NS6detail15normal_iteratorINS8_10device_ptrIxEEEESD_jNS1_19radix_merge_compareILb0ELb0ExNS0_19identity_decomposerEEEEE10hipError_tT0_T1_T2_jT3_P12ihipStream_tbPNSt15iterator_traitsISI_E10value_typeEPNSO_ISJ_E10value_typeEPSK_NS1_7vsmem_tEENKUlT_SI_SJ_SK_E_clISD_PxSD_S10_EESH_SX_SI_SJ_SK_EUlSX_E1_NS1_11comp_targetILNS1_3genE3ELNS1_11target_archE908ELNS1_3gpuE7ELNS1_3repE0EEENS1_36merge_oddeven_config_static_selectorELNS0_4arch9wavefront6targetE1EEEvSJ_,"axG",@progbits,_ZN7rocprim17ROCPRIM_400000_NS6detail17trampoline_kernelINS0_14default_configENS1_38merge_sort_block_merge_config_selectorIxxEEZZNS1_27merge_sort_block_merge_implIS3_N6thrust23THRUST_200600_302600_NS6detail15normal_iteratorINS8_10device_ptrIxEEEESD_jNS1_19radix_merge_compareILb0ELb0ExNS0_19identity_decomposerEEEEE10hipError_tT0_T1_T2_jT3_P12ihipStream_tbPNSt15iterator_traitsISI_E10value_typeEPNSO_ISJ_E10value_typeEPSK_NS1_7vsmem_tEENKUlT_SI_SJ_SK_E_clISD_PxSD_S10_EESH_SX_SI_SJ_SK_EUlSX_E1_NS1_11comp_targetILNS1_3genE3ELNS1_11target_archE908ELNS1_3gpuE7ELNS1_3repE0EEENS1_36merge_oddeven_config_static_selectorELNS0_4arch9wavefront6targetE1EEEvSJ_,comdat
.Lfunc_end1109:
	.size	_ZN7rocprim17ROCPRIM_400000_NS6detail17trampoline_kernelINS0_14default_configENS1_38merge_sort_block_merge_config_selectorIxxEEZZNS1_27merge_sort_block_merge_implIS3_N6thrust23THRUST_200600_302600_NS6detail15normal_iteratorINS8_10device_ptrIxEEEESD_jNS1_19radix_merge_compareILb0ELb0ExNS0_19identity_decomposerEEEEE10hipError_tT0_T1_T2_jT3_P12ihipStream_tbPNSt15iterator_traitsISI_E10value_typeEPNSO_ISJ_E10value_typeEPSK_NS1_7vsmem_tEENKUlT_SI_SJ_SK_E_clISD_PxSD_S10_EESH_SX_SI_SJ_SK_EUlSX_E1_NS1_11comp_targetILNS1_3genE3ELNS1_11target_archE908ELNS1_3gpuE7ELNS1_3repE0EEENS1_36merge_oddeven_config_static_selectorELNS0_4arch9wavefront6targetE1EEEvSJ_, .Lfunc_end1109-_ZN7rocprim17ROCPRIM_400000_NS6detail17trampoline_kernelINS0_14default_configENS1_38merge_sort_block_merge_config_selectorIxxEEZZNS1_27merge_sort_block_merge_implIS3_N6thrust23THRUST_200600_302600_NS6detail15normal_iteratorINS8_10device_ptrIxEEEESD_jNS1_19radix_merge_compareILb0ELb0ExNS0_19identity_decomposerEEEEE10hipError_tT0_T1_T2_jT3_P12ihipStream_tbPNSt15iterator_traitsISI_E10value_typeEPNSO_ISJ_E10value_typeEPSK_NS1_7vsmem_tEENKUlT_SI_SJ_SK_E_clISD_PxSD_S10_EESH_SX_SI_SJ_SK_EUlSX_E1_NS1_11comp_targetILNS1_3genE3ELNS1_11target_archE908ELNS1_3gpuE7ELNS1_3repE0EEENS1_36merge_oddeven_config_static_selectorELNS0_4arch9wavefront6targetE1EEEvSJ_
                                        ; -- End function
	.set _ZN7rocprim17ROCPRIM_400000_NS6detail17trampoline_kernelINS0_14default_configENS1_38merge_sort_block_merge_config_selectorIxxEEZZNS1_27merge_sort_block_merge_implIS3_N6thrust23THRUST_200600_302600_NS6detail15normal_iteratorINS8_10device_ptrIxEEEESD_jNS1_19radix_merge_compareILb0ELb0ExNS0_19identity_decomposerEEEEE10hipError_tT0_T1_T2_jT3_P12ihipStream_tbPNSt15iterator_traitsISI_E10value_typeEPNSO_ISJ_E10value_typeEPSK_NS1_7vsmem_tEENKUlT_SI_SJ_SK_E_clISD_PxSD_S10_EESH_SX_SI_SJ_SK_EUlSX_E1_NS1_11comp_targetILNS1_3genE3ELNS1_11target_archE908ELNS1_3gpuE7ELNS1_3repE0EEENS1_36merge_oddeven_config_static_selectorELNS0_4arch9wavefront6targetE1EEEvSJ_.num_vgpr, 0
	.set _ZN7rocprim17ROCPRIM_400000_NS6detail17trampoline_kernelINS0_14default_configENS1_38merge_sort_block_merge_config_selectorIxxEEZZNS1_27merge_sort_block_merge_implIS3_N6thrust23THRUST_200600_302600_NS6detail15normal_iteratorINS8_10device_ptrIxEEEESD_jNS1_19radix_merge_compareILb0ELb0ExNS0_19identity_decomposerEEEEE10hipError_tT0_T1_T2_jT3_P12ihipStream_tbPNSt15iterator_traitsISI_E10value_typeEPNSO_ISJ_E10value_typeEPSK_NS1_7vsmem_tEENKUlT_SI_SJ_SK_E_clISD_PxSD_S10_EESH_SX_SI_SJ_SK_EUlSX_E1_NS1_11comp_targetILNS1_3genE3ELNS1_11target_archE908ELNS1_3gpuE7ELNS1_3repE0EEENS1_36merge_oddeven_config_static_selectorELNS0_4arch9wavefront6targetE1EEEvSJ_.num_agpr, 0
	.set _ZN7rocprim17ROCPRIM_400000_NS6detail17trampoline_kernelINS0_14default_configENS1_38merge_sort_block_merge_config_selectorIxxEEZZNS1_27merge_sort_block_merge_implIS3_N6thrust23THRUST_200600_302600_NS6detail15normal_iteratorINS8_10device_ptrIxEEEESD_jNS1_19radix_merge_compareILb0ELb0ExNS0_19identity_decomposerEEEEE10hipError_tT0_T1_T2_jT3_P12ihipStream_tbPNSt15iterator_traitsISI_E10value_typeEPNSO_ISJ_E10value_typeEPSK_NS1_7vsmem_tEENKUlT_SI_SJ_SK_E_clISD_PxSD_S10_EESH_SX_SI_SJ_SK_EUlSX_E1_NS1_11comp_targetILNS1_3genE3ELNS1_11target_archE908ELNS1_3gpuE7ELNS1_3repE0EEENS1_36merge_oddeven_config_static_selectorELNS0_4arch9wavefront6targetE1EEEvSJ_.numbered_sgpr, 0
	.set _ZN7rocprim17ROCPRIM_400000_NS6detail17trampoline_kernelINS0_14default_configENS1_38merge_sort_block_merge_config_selectorIxxEEZZNS1_27merge_sort_block_merge_implIS3_N6thrust23THRUST_200600_302600_NS6detail15normal_iteratorINS8_10device_ptrIxEEEESD_jNS1_19radix_merge_compareILb0ELb0ExNS0_19identity_decomposerEEEEE10hipError_tT0_T1_T2_jT3_P12ihipStream_tbPNSt15iterator_traitsISI_E10value_typeEPNSO_ISJ_E10value_typeEPSK_NS1_7vsmem_tEENKUlT_SI_SJ_SK_E_clISD_PxSD_S10_EESH_SX_SI_SJ_SK_EUlSX_E1_NS1_11comp_targetILNS1_3genE3ELNS1_11target_archE908ELNS1_3gpuE7ELNS1_3repE0EEENS1_36merge_oddeven_config_static_selectorELNS0_4arch9wavefront6targetE1EEEvSJ_.num_named_barrier, 0
	.set _ZN7rocprim17ROCPRIM_400000_NS6detail17trampoline_kernelINS0_14default_configENS1_38merge_sort_block_merge_config_selectorIxxEEZZNS1_27merge_sort_block_merge_implIS3_N6thrust23THRUST_200600_302600_NS6detail15normal_iteratorINS8_10device_ptrIxEEEESD_jNS1_19radix_merge_compareILb0ELb0ExNS0_19identity_decomposerEEEEE10hipError_tT0_T1_T2_jT3_P12ihipStream_tbPNSt15iterator_traitsISI_E10value_typeEPNSO_ISJ_E10value_typeEPSK_NS1_7vsmem_tEENKUlT_SI_SJ_SK_E_clISD_PxSD_S10_EESH_SX_SI_SJ_SK_EUlSX_E1_NS1_11comp_targetILNS1_3genE3ELNS1_11target_archE908ELNS1_3gpuE7ELNS1_3repE0EEENS1_36merge_oddeven_config_static_selectorELNS0_4arch9wavefront6targetE1EEEvSJ_.private_seg_size, 0
	.set _ZN7rocprim17ROCPRIM_400000_NS6detail17trampoline_kernelINS0_14default_configENS1_38merge_sort_block_merge_config_selectorIxxEEZZNS1_27merge_sort_block_merge_implIS3_N6thrust23THRUST_200600_302600_NS6detail15normal_iteratorINS8_10device_ptrIxEEEESD_jNS1_19radix_merge_compareILb0ELb0ExNS0_19identity_decomposerEEEEE10hipError_tT0_T1_T2_jT3_P12ihipStream_tbPNSt15iterator_traitsISI_E10value_typeEPNSO_ISJ_E10value_typeEPSK_NS1_7vsmem_tEENKUlT_SI_SJ_SK_E_clISD_PxSD_S10_EESH_SX_SI_SJ_SK_EUlSX_E1_NS1_11comp_targetILNS1_3genE3ELNS1_11target_archE908ELNS1_3gpuE7ELNS1_3repE0EEENS1_36merge_oddeven_config_static_selectorELNS0_4arch9wavefront6targetE1EEEvSJ_.uses_vcc, 0
	.set _ZN7rocprim17ROCPRIM_400000_NS6detail17trampoline_kernelINS0_14default_configENS1_38merge_sort_block_merge_config_selectorIxxEEZZNS1_27merge_sort_block_merge_implIS3_N6thrust23THRUST_200600_302600_NS6detail15normal_iteratorINS8_10device_ptrIxEEEESD_jNS1_19radix_merge_compareILb0ELb0ExNS0_19identity_decomposerEEEEE10hipError_tT0_T1_T2_jT3_P12ihipStream_tbPNSt15iterator_traitsISI_E10value_typeEPNSO_ISJ_E10value_typeEPSK_NS1_7vsmem_tEENKUlT_SI_SJ_SK_E_clISD_PxSD_S10_EESH_SX_SI_SJ_SK_EUlSX_E1_NS1_11comp_targetILNS1_3genE3ELNS1_11target_archE908ELNS1_3gpuE7ELNS1_3repE0EEENS1_36merge_oddeven_config_static_selectorELNS0_4arch9wavefront6targetE1EEEvSJ_.uses_flat_scratch, 0
	.set _ZN7rocprim17ROCPRIM_400000_NS6detail17trampoline_kernelINS0_14default_configENS1_38merge_sort_block_merge_config_selectorIxxEEZZNS1_27merge_sort_block_merge_implIS3_N6thrust23THRUST_200600_302600_NS6detail15normal_iteratorINS8_10device_ptrIxEEEESD_jNS1_19radix_merge_compareILb0ELb0ExNS0_19identity_decomposerEEEEE10hipError_tT0_T1_T2_jT3_P12ihipStream_tbPNSt15iterator_traitsISI_E10value_typeEPNSO_ISJ_E10value_typeEPSK_NS1_7vsmem_tEENKUlT_SI_SJ_SK_E_clISD_PxSD_S10_EESH_SX_SI_SJ_SK_EUlSX_E1_NS1_11comp_targetILNS1_3genE3ELNS1_11target_archE908ELNS1_3gpuE7ELNS1_3repE0EEENS1_36merge_oddeven_config_static_selectorELNS0_4arch9wavefront6targetE1EEEvSJ_.has_dyn_sized_stack, 0
	.set _ZN7rocprim17ROCPRIM_400000_NS6detail17trampoline_kernelINS0_14default_configENS1_38merge_sort_block_merge_config_selectorIxxEEZZNS1_27merge_sort_block_merge_implIS3_N6thrust23THRUST_200600_302600_NS6detail15normal_iteratorINS8_10device_ptrIxEEEESD_jNS1_19radix_merge_compareILb0ELb0ExNS0_19identity_decomposerEEEEE10hipError_tT0_T1_T2_jT3_P12ihipStream_tbPNSt15iterator_traitsISI_E10value_typeEPNSO_ISJ_E10value_typeEPSK_NS1_7vsmem_tEENKUlT_SI_SJ_SK_E_clISD_PxSD_S10_EESH_SX_SI_SJ_SK_EUlSX_E1_NS1_11comp_targetILNS1_3genE3ELNS1_11target_archE908ELNS1_3gpuE7ELNS1_3repE0EEENS1_36merge_oddeven_config_static_selectorELNS0_4arch9wavefront6targetE1EEEvSJ_.has_recursion, 0
	.set _ZN7rocprim17ROCPRIM_400000_NS6detail17trampoline_kernelINS0_14default_configENS1_38merge_sort_block_merge_config_selectorIxxEEZZNS1_27merge_sort_block_merge_implIS3_N6thrust23THRUST_200600_302600_NS6detail15normal_iteratorINS8_10device_ptrIxEEEESD_jNS1_19radix_merge_compareILb0ELb0ExNS0_19identity_decomposerEEEEE10hipError_tT0_T1_T2_jT3_P12ihipStream_tbPNSt15iterator_traitsISI_E10value_typeEPNSO_ISJ_E10value_typeEPSK_NS1_7vsmem_tEENKUlT_SI_SJ_SK_E_clISD_PxSD_S10_EESH_SX_SI_SJ_SK_EUlSX_E1_NS1_11comp_targetILNS1_3genE3ELNS1_11target_archE908ELNS1_3gpuE7ELNS1_3repE0EEENS1_36merge_oddeven_config_static_selectorELNS0_4arch9wavefront6targetE1EEEvSJ_.has_indirect_call, 0
	.section	.AMDGPU.csdata,"",@progbits
; Kernel info:
; codeLenInByte = 0
; TotalNumSgprs: 6
; NumVgprs: 0
; NumAgprs: 0
; TotalNumVgprs: 0
; ScratchSize: 0
; MemoryBound: 0
; FloatMode: 240
; IeeeMode: 1
; LDSByteSize: 0 bytes/workgroup (compile time only)
; SGPRBlocks: 0
; VGPRBlocks: 0
; NumSGPRsForWavesPerEU: 6
; NumVGPRsForWavesPerEU: 1
; AccumOffset: 4
; Occupancy: 8
; WaveLimiterHint : 0
; COMPUTE_PGM_RSRC2:SCRATCH_EN: 0
; COMPUTE_PGM_RSRC2:USER_SGPR: 2
; COMPUTE_PGM_RSRC2:TRAP_HANDLER: 0
; COMPUTE_PGM_RSRC2:TGID_X_EN: 1
; COMPUTE_PGM_RSRC2:TGID_Y_EN: 0
; COMPUTE_PGM_RSRC2:TGID_Z_EN: 0
; COMPUTE_PGM_RSRC2:TIDIG_COMP_CNT: 0
; COMPUTE_PGM_RSRC3_GFX90A:ACCUM_OFFSET: 0
; COMPUTE_PGM_RSRC3_GFX90A:TG_SPLIT: 0
	.section	.text._ZN7rocprim17ROCPRIM_400000_NS6detail17trampoline_kernelINS0_14default_configENS1_38merge_sort_block_merge_config_selectorIxxEEZZNS1_27merge_sort_block_merge_implIS3_N6thrust23THRUST_200600_302600_NS6detail15normal_iteratorINS8_10device_ptrIxEEEESD_jNS1_19radix_merge_compareILb0ELb0ExNS0_19identity_decomposerEEEEE10hipError_tT0_T1_T2_jT3_P12ihipStream_tbPNSt15iterator_traitsISI_E10value_typeEPNSO_ISJ_E10value_typeEPSK_NS1_7vsmem_tEENKUlT_SI_SJ_SK_E_clISD_PxSD_S10_EESH_SX_SI_SJ_SK_EUlSX_E1_NS1_11comp_targetILNS1_3genE2ELNS1_11target_archE906ELNS1_3gpuE6ELNS1_3repE0EEENS1_36merge_oddeven_config_static_selectorELNS0_4arch9wavefront6targetE1EEEvSJ_,"axG",@progbits,_ZN7rocprim17ROCPRIM_400000_NS6detail17trampoline_kernelINS0_14default_configENS1_38merge_sort_block_merge_config_selectorIxxEEZZNS1_27merge_sort_block_merge_implIS3_N6thrust23THRUST_200600_302600_NS6detail15normal_iteratorINS8_10device_ptrIxEEEESD_jNS1_19radix_merge_compareILb0ELb0ExNS0_19identity_decomposerEEEEE10hipError_tT0_T1_T2_jT3_P12ihipStream_tbPNSt15iterator_traitsISI_E10value_typeEPNSO_ISJ_E10value_typeEPSK_NS1_7vsmem_tEENKUlT_SI_SJ_SK_E_clISD_PxSD_S10_EESH_SX_SI_SJ_SK_EUlSX_E1_NS1_11comp_targetILNS1_3genE2ELNS1_11target_archE906ELNS1_3gpuE6ELNS1_3repE0EEENS1_36merge_oddeven_config_static_selectorELNS0_4arch9wavefront6targetE1EEEvSJ_,comdat
	.protected	_ZN7rocprim17ROCPRIM_400000_NS6detail17trampoline_kernelINS0_14default_configENS1_38merge_sort_block_merge_config_selectorIxxEEZZNS1_27merge_sort_block_merge_implIS3_N6thrust23THRUST_200600_302600_NS6detail15normal_iteratorINS8_10device_ptrIxEEEESD_jNS1_19radix_merge_compareILb0ELb0ExNS0_19identity_decomposerEEEEE10hipError_tT0_T1_T2_jT3_P12ihipStream_tbPNSt15iterator_traitsISI_E10value_typeEPNSO_ISJ_E10value_typeEPSK_NS1_7vsmem_tEENKUlT_SI_SJ_SK_E_clISD_PxSD_S10_EESH_SX_SI_SJ_SK_EUlSX_E1_NS1_11comp_targetILNS1_3genE2ELNS1_11target_archE906ELNS1_3gpuE6ELNS1_3repE0EEENS1_36merge_oddeven_config_static_selectorELNS0_4arch9wavefront6targetE1EEEvSJ_ ; -- Begin function _ZN7rocprim17ROCPRIM_400000_NS6detail17trampoline_kernelINS0_14default_configENS1_38merge_sort_block_merge_config_selectorIxxEEZZNS1_27merge_sort_block_merge_implIS3_N6thrust23THRUST_200600_302600_NS6detail15normal_iteratorINS8_10device_ptrIxEEEESD_jNS1_19radix_merge_compareILb0ELb0ExNS0_19identity_decomposerEEEEE10hipError_tT0_T1_T2_jT3_P12ihipStream_tbPNSt15iterator_traitsISI_E10value_typeEPNSO_ISJ_E10value_typeEPSK_NS1_7vsmem_tEENKUlT_SI_SJ_SK_E_clISD_PxSD_S10_EESH_SX_SI_SJ_SK_EUlSX_E1_NS1_11comp_targetILNS1_3genE2ELNS1_11target_archE906ELNS1_3gpuE6ELNS1_3repE0EEENS1_36merge_oddeven_config_static_selectorELNS0_4arch9wavefront6targetE1EEEvSJ_
	.globl	_ZN7rocprim17ROCPRIM_400000_NS6detail17trampoline_kernelINS0_14default_configENS1_38merge_sort_block_merge_config_selectorIxxEEZZNS1_27merge_sort_block_merge_implIS3_N6thrust23THRUST_200600_302600_NS6detail15normal_iteratorINS8_10device_ptrIxEEEESD_jNS1_19radix_merge_compareILb0ELb0ExNS0_19identity_decomposerEEEEE10hipError_tT0_T1_T2_jT3_P12ihipStream_tbPNSt15iterator_traitsISI_E10value_typeEPNSO_ISJ_E10value_typeEPSK_NS1_7vsmem_tEENKUlT_SI_SJ_SK_E_clISD_PxSD_S10_EESH_SX_SI_SJ_SK_EUlSX_E1_NS1_11comp_targetILNS1_3genE2ELNS1_11target_archE906ELNS1_3gpuE6ELNS1_3repE0EEENS1_36merge_oddeven_config_static_selectorELNS0_4arch9wavefront6targetE1EEEvSJ_
	.p2align	8
	.type	_ZN7rocprim17ROCPRIM_400000_NS6detail17trampoline_kernelINS0_14default_configENS1_38merge_sort_block_merge_config_selectorIxxEEZZNS1_27merge_sort_block_merge_implIS3_N6thrust23THRUST_200600_302600_NS6detail15normal_iteratorINS8_10device_ptrIxEEEESD_jNS1_19radix_merge_compareILb0ELb0ExNS0_19identity_decomposerEEEEE10hipError_tT0_T1_T2_jT3_P12ihipStream_tbPNSt15iterator_traitsISI_E10value_typeEPNSO_ISJ_E10value_typeEPSK_NS1_7vsmem_tEENKUlT_SI_SJ_SK_E_clISD_PxSD_S10_EESH_SX_SI_SJ_SK_EUlSX_E1_NS1_11comp_targetILNS1_3genE2ELNS1_11target_archE906ELNS1_3gpuE6ELNS1_3repE0EEENS1_36merge_oddeven_config_static_selectorELNS0_4arch9wavefront6targetE1EEEvSJ_,@function
_ZN7rocprim17ROCPRIM_400000_NS6detail17trampoline_kernelINS0_14default_configENS1_38merge_sort_block_merge_config_selectorIxxEEZZNS1_27merge_sort_block_merge_implIS3_N6thrust23THRUST_200600_302600_NS6detail15normal_iteratorINS8_10device_ptrIxEEEESD_jNS1_19radix_merge_compareILb0ELb0ExNS0_19identity_decomposerEEEEE10hipError_tT0_T1_T2_jT3_P12ihipStream_tbPNSt15iterator_traitsISI_E10value_typeEPNSO_ISJ_E10value_typeEPSK_NS1_7vsmem_tEENKUlT_SI_SJ_SK_E_clISD_PxSD_S10_EESH_SX_SI_SJ_SK_EUlSX_E1_NS1_11comp_targetILNS1_3genE2ELNS1_11target_archE906ELNS1_3gpuE6ELNS1_3repE0EEENS1_36merge_oddeven_config_static_selectorELNS0_4arch9wavefront6targetE1EEEvSJ_: ; @_ZN7rocprim17ROCPRIM_400000_NS6detail17trampoline_kernelINS0_14default_configENS1_38merge_sort_block_merge_config_selectorIxxEEZZNS1_27merge_sort_block_merge_implIS3_N6thrust23THRUST_200600_302600_NS6detail15normal_iteratorINS8_10device_ptrIxEEEESD_jNS1_19radix_merge_compareILb0ELb0ExNS0_19identity_decomposerEEEEE10hipError_tT0_T1_T2_jT3_P12ihipStream_tbPNSt15iterator_traitsISI_E10value_typeEPNSO_ISJ_E10value_typeEPSK_NS1_7vsmem_tEENKUlT_SI_SJ_SK_E_clISD_PxSD_S10_EESH_SX_SI_SJ_SK_EUlSX_E1_NS1_11comp_targetILNS1_3genE2ELNS1_11target_archE906ELNS1_3gpuE6ELNS1_3repE0EEENS1_36merge_oddeven_config_static_selectorELNS0_4arch9wavefront6targetE1EEEvSJ_
; %bb.0:
	.section	.rodata,"a",@progbits
	.p2align	6, 0x0
	.amdhsa_kernel _ZN7rocprim17ROCPRIM_400000_NS6detail17trampoline_kernelINS0_14default_configENS1_38merge_sort_block_merge_config_selectorIxxEEZZNS1_27merge_sort_block_merge_implIS3_N6thrust23THRUST_200600_302600_NS6detail15normal_iteratorINS8_10device_ptrIxEEEESD_jNS1_19radix_merge_compareILb0ELb0ExNS0_19identity_decomposerEEEEE10hipError_tT0_T1_T2_jT3_P12ihipStream_tbPNSt15iterator_traitsISI_E10value_typeEPNSO_ISJ_E10value_typeEPSK_NS1_7vsmem_tEENKUlT_SI_SJ_SK_E_clISD_PxSD_S10_EESH_SX_SI_SJ_SK_EUlSX_E1_NS1_11comp_targetILNS1_3genE2ELNS1_11target_archE906ELNS1_3gpuE6ELNS1_3repE0EEENS1_36merge_oddeven_config_static_selectorELNS0_4arch9wavefront6targetE1EEEvSJ_
		.amdhsa_group_segment_fixed_size 0
		.amdhsa_private_segment_fixed_size 0
		.amdhsa_kernarg_size 48
		.amdhsa_user_sgpr_count 2
		.amdhsa_user_sgpr_dispatch_ptr 0
		.amdhsa_user_sgpr_queue_ptr 0
		.amdhsa_user_sgpr_kernarg_segment_ptr 1
		.amdhsa_user_sgpr_dispatch_id 0
		.amdhsa_user_sgpr_kernarg_preload_length 0
		.amdhsa_user_sgpr_kernarg_preload_offset 0
		.amdhsa_user_sgpr_private_segment_size 0
		.amdhsa_uses_dynamic_stack 0
		.amdhsa_enable_private_segment 0
		.amdhsa_system_sgpr_workgroup_id_x 1
		.amdhsa_system_sgpr_workgroup_id_y 0
		.amdhsa_system_sgpr_workgroup_id_z 0
		.amdhsa_system_sgpr_workgroup_info 0
		.amdhsa_system_vgpr_workitem_id 0
		.amdhsa_next_free_vgpr 1
		.amdhsa_next_free_sgpr 0
		.amdhsa_accum_offset 4
		.amdhsa_reserve_vcc 0
		.amdhsa_float_round_mode_32 0
		.amdhsa_float_round_mode_16_64 0
		.amdhsa_float_denorm_mode_32 3
		.amdhsa_float_denorm_mode_16_64 3
		.amdhsa_dx10_clamp 1
		.amdhsa_ieee_mode 1
		.amdhsa_fp16_overflow 0
		.amdhsa_tg_split 0
		.amdhsa_exception_fp_ieee_invalid_op 0
		.amdhsa_exception_fp_denorm_src 0
		.amdhsa_exception_fp_ieee_div_zero 0
		.amdhsa_exception_fp_ieee_overflow 0
		.amdhsa_exception_fp_ieee_underflow 0
		.amdhsa_exception_fp_ieee_inexact 0
		.amdhsa_exception_int_div_zero 0
	.end_amdhsa_kernel
	.section	.text._ZN7rocprim17ROCPRIM_400000_NS6detail17trampoline_kernelINS0_14default_configENS1_38merge_sort_block_merge_config_selectorIxxEEZZNS1_27merge_sort_block_merge_implIS3_N6thrust23THRUST_200600_302600_NS6detail15normal_iteratorINS8_10device_ptrIxEEEESD_jNS1_19radix_merge_compareILb0ELb0ExNS0_19identity_decomposerEEEEE10hipError_tT0_T1_T2_jT3_P12ihipStream_tbPNSt15iterator_traitsISI_E10value_typeEPNSO_ISJ_E10value_typeEPSK_NS1_7vsmem_tEENKUlT_SI_SJ_SK_E_clISD_PxSD_S10_EESH_SX_SI_SJ_SK_EUlSX_E1_NS1_11comp_targetILNS1_3genE2ELNS1_11target_archE906ELNS1_3gpuE6ELNS1_3repE0EEENS1_36merge_oddeven_config_static_selectorELNS0_4arch9wavefront6targetE1EEEvSJ_,"axG",@progbits,_ZN7rocprim17ROCPRIM_400000_NS6detail17trampoline_kernelINS0_14default_configENS1_38merge_sort_block_merge_config_selectorIxxEEZZNS1_27merge_sort_block_merge_implIS3_N6thrust23THRUST_200600_302600_NS6detail15normal_iteratorINS8_10device_ptrIxEEEESD_jNS1_19radix_merge_compareILb0ELb0ExNS0_19identity_decomposerEEEEE10hipError_tT0_T1_T2_jT3_P12ihipStream_tbPNSt15iterator_traitsISI_E10value_typeEPNSO_ISJ_E10value_typeEPSK_NS1_7vsmem_tEENKUlT_SI_SJ_SK_E_clISD_PxSD_S10_EESH_SX_SI_SJ_SK_EUlSX_E1_NS1_11comp_targetILNS1_3genE2ELNS1_11target_archE906ELNS1_3gpuE6ELNS1_3repE0EEENS1_36merge_oddeven_config_static_selectorELNS0_4arch9wavefront6targetE1EEEvSJ_,comdat
.Lfunc_end1110:
	.size	_ZN7rocprim17ROCPRIM_400000_NS6detail17trampoline_kernelINS0_14default_configENS1_38merge_sort_block_merge_config_selectorIxxEEZZNS1_27merge_sort_block_merge_implIS3_N6thrust23THRUST_200600_302600_NS6detail15normal_iteratorINS8_10device_ptrIxEEEESD_jNS1_19radix_merge_compareILb0ELb0ExNS0_19identity_decomposerEEEEE10hipError_tT0_T1_T2_jT3_P12ihipStream_tbPNSt15iterator_traitsISI_E10value_typeEPNSO_ISJ_E10value_typeEPSK_NS1_7vsmem_tEENKUlT_SI_SJ_SK_E_clISD_PxSD_S10_EESH_SX_SI_SJ_SK_EUlSX_E1_NS1_11comp_targetILNS1_3genE2ELNS1_11target_archE906ELNS1_3gpuE6ELNS1_3repE0EEENS1_36merge_oddeven_config_static_selectorELNS0_4arch9wavefront6targetE1EEEvSJ_, .Lfunc_end1110-_ZN7rocprim17ROCPRIM_400000_NS6detail17trampoline_kernelINS0_14default_configENS1_38merge_sort_block_merge_config_selectorIxxEEZZNS1_27merge_sort_block_merge_implIS3_N6thrust23THRUST_200600_302600_NS6detail15normal_iteratorINS8_10device_ptrIxEEEESD_jNS1_19radix_merge_compareILb0ELb0ExNS0_19identity_decomposerEEEEE10hipError_tT0_T1_T2_jT3_P12ihipStream_tbPNSt15iterator_traitsISI_E10value_typeEPNSO_ISJ_E10value_typeEPSK_NS1_7vsmem_tEENKUlT_SI_SJ_SK_E_clISD_PxSD_S10_EESH_SX_SI_SJ_SK_EUlSX_E1_NS1_11comp_targetILNS1_3genE2ELNS1_11target_archE906ELNS1_3gpuE6ELNS1_3repE0EEENS1_36merge_oddeven_config_static_selectorELNS0_4arch9wavefront6targetE1EEEvSJ_
                                        ; -- End function
	.set _ZN7rocprim17ROCPRIM_400000_NS6detail17trampoline_kernelINS0_14default_configENS1_38merge_sort_block_merge_config_selectorIxxEEZZNS1_27merge_sort_block_merge_implIS3_N6thrust23THRUST_200600_302600_NS6detail15normal_iteratorINS8_10device_ptrIxEEEESD_jNS1_19radix_merge_compareILb0ELb0ExNS0_19identity_decomposerEEEEE10hipError_tT0_T1_T2_jT3_P12ihipStream_tbPNSt15iterator_traitsISI_E10value_typeEPNSO_ISJ_E10value_typeEPSK_NS1_7vsmem_tEENKUlT_SI_SJ_SK_E_clISD_PxSD_S10_EESH_SX_SI_SJ_SK_EUlSX_E1_NS1_11comp_targetILNS1_3genE2ELNS1_11target_archE906ELNS1_3gpuE6ELNS1_3repE0EEENS1_36merge_oddeven_config_static_selectorELNS0_4arch9wavefront6targetE1EEEvSJ_.num_vgpr, 0
	.set _ZN7rocprim17ROCPRIM_400000_NS6detail17trampoline_kernelINS0_14default_configENS1_38merge_sort_block_merge_config_selectorIxxEEZZNS1_27merge_sort_block_merge_implIS3_N6thrust23THRUST_200600_302600_NS6detail15normal_iteratorINS8_10device_ptrIxEEEESD_jNS1_19radix_merge_compareILb0ELb0ExNS0_19identity_decomposerEEEEE10hipError_tT0_T1_T2_jT3_P12ihipStream_tbPNSt15iterator_traitsISI_E10value_typeEPNSO_ISJ_E10value_typeEPSK_NS1_7vsmem_tEENKUlT_SI_SJ_SK_E_clISD_PxSD_S10_EESH_SX_SI_SJ_SK_EUlSX_E1_NS1_11comp_targetILNS1_3genE2ELNS1_11target_archE906ELNS1_3gpuE6ELNS1_3repE0EEENS1_36merge_oddeven_config_static_selectorELNS0_4arch9wavefront6targetE1EEEvSJ_.num_agpr, 0
	.set _ZN7rocprim17ROCPRIM_400000_NS6detail17trampoline_kernelINS0_14default_configENS1_38merge_sort_block_merge_config_selectorIxxEEZZNS1_27merge_sort_block_merge_implIS3_N6thrust23THRUST_200600_302600_NS6detail15normal_iteratorINS8_10device_ptrIxEEEESD_jNS1_19radix_merge_compareILb0ELb0ExNS0_19identity_decomposerEEEEE10hipError_tT0_T1_T2_jT3_P12ihipStream_tbPNSt15iterator_traitsISI_E10value_typeEPNSO_ISJ_E10value_typeEPSK_NS1_7vsmem_tEENKUlT_SI_SJ_SK_E_clISD_PxSD_S10_EESH_SX_SI_SJ_SK_EUlSX_E1_NS1_11comp_targetILNS1_3genE2ELNS1_11target_archE906ELNS1_3gpuE6ELNS1_3repE0EEENS1_36merge_oddeven_config_static_selectorELNS0_4arch9wavefront6targetE1EEEvSJ_.numbered_sgpr, 0
	.set _ZN7rocprim17ROCPRIM_400000_NS6detail17trampoline_kernelINS0_14default_configENS1_38merge_sort_block_merge_config_selectorIxxEEZZNS1_27merge_sort_block_merge_implIS3_N6thrust23THRUST_200600_302600_NS6detail15normal_iteratorINS8_10device_ptrIxEEEESD_jNS1_19radix_merge_compareILb0ELb0ExNS0_19identity_decomposerEEEEE10hipError_tT0_T1_T2_jT3_P12ihipStream_tbPNSt15iterator_traitsISI_E10value_typeEPNSO_ISJ_E10value_typeEPSK_NS1_7vsmem_tEENKUlT_SI_SJ_SK_E_clISD_PxSD_S10_EESH_SX_SI_SJ_SK_EUlSX_E1_NS1_11comp_targetILNS1_3genE2ELNS1_11target_archE906ELNS1_3gpuE6ELNS1_3repE0EEENS1_36merge_oddeven_config_static_selectorELNS0_4arch9wavefront6targetE1EEEvSJ_.num_named_barrier, 0
	.set _ZN7rocprim17ROCPRIM_400000_NS6detail17trampoline_kernelINS0_14default_configENS1_38merge_sort_block_merge_config_selectorIxxEEZZNS1_27merge_sort_block_merge_implIS3_N6thrust23THRUST_200600_302600_NS6detail15normal_iteratorINS8_10device_ptrIxEEEESD_jNS1_19radix_merge_compareILb0ELb0ExNS0_19identity_decomposerEEEEE10hipError_tT0_T1_T2_jT3_P12ihipStream_tbPNSt15iterator_traitsISI_E10value_typeEPNSO_ISJ_E10value_typeEPSK_NS1_7vsmem_tEENKUlT_SI_SJ_SK_E_clISD_PxSD_S10_EESH_SX_SI_SJ_SK_EUlSX_E1_NS1_11comp_targetILNS1_3genE2ELNS1_11target_archE906ELNS1_3gpuE6ELNS1_3repE0EEENS1_36merge_oddeven_config_static_selectorELNS0_4arch9wavefront6targetE1EEEvSJ_.private_seg_size, 0
	.set _ZN7rocprim17ROCPRIM_400000_NS6detail17trampoline_kernelINS0_14default_configENS1_38merge_sort_block_merge_config_selectorIxxEEZZNS1_27merge_sort_block_merge_implIS3_N6thrust23THRUST_200600_302600_NS6detail15normal_iteratorINS8_10device_ptrIxEEEESD_jNS1_19radix_merge_compareILb0ELb0ExNS0_19identity_decomposerEEEEE10hipError_tT0_T1_T2_jT3_P12ihipStream_tbPNSt15iterator_traitsISI_E10value_typeEPNSO_ISJ_E10value_typeEPSK_NS1_7vsmem_tEENKUlT_SI_SJ_SK_E_clISD_PxSD_S10_EESH_SX_SI_SJ_SK_EUlSX_E1_NS1_11comp_targetILNS1_3genE2ELNS1_11target_archE906ELNS1_3gpuE6ELNS1_3repE0EEENS1_36merge_oddeven_config_static_selectorELNS0_4arch9wavefront6targetE1EEEvSJ_.uses_vcc, 0
	.set _ZN7rocprim17ROCPRIM_400000_NS6detail17trampoline_kernelINS0_14default_configENS1_38merge_sort_block_merge_config_selectorIxxEEZZNS1_27merge_sort_block_merge_implIS3_N6thrust23THRUST_200600_302600_NS6detail15normal_iteratorINS8_10device_ptrIxEEEESD_jNS1_19radix_merge_compareILb0ELb0ExNS0_19identity_decomposerEEEEE10hipError_tT0_T1_T2_jT3_P12ihipStream_tbPNSt15iterator_traitsISI_E10value_typeEPNSO_ISJ_E10value_typeEPSK_NS1_7vsmem_tEENKUlT_SI_SJ_SK_E_clISD_PxSD_S10_EESH_SX_SI_SJ_SK_EUlSX_E1_NS1_11comp_targetILNS1_3genE2ELNS1_11target_archE906ELNS1_3gpuE6ELNS1_3repE0EEENS1_36merge_oddeven_config_static_selectorELNS0_4arch9wavefront6targetE1EEEvSJ_.uses_flat_scratch, 0
	.set _ZN7rocprim17ROCPRIM_400000_NS6detail17trampoline_kernelINS0_14default_configENS1_38merge_sort_block_merge_config_selectorIxxEEZZNS1_27merge_sort_block_merge_implIS3_N6thrust23THRUST_200600_302600_NS6detail15normal_iteratorINS8_10device_ptrIxEEEESD_jNS1_19radix_merge_compareILb0ELb0ExNS0_19identity_decomposerEEEEE10hipError_tT0_T1_T2_jT3_P12ihipStream_tbPNSt15iterator_traitsISI_E10value_typeEPNSO_ISJ_E10value_typeEPSK_NS1_7vsmem_tEENKUlT_SI_SJ_SK_E_clISD_PxSD_S10_EESH_SX_SI_SJ_SK_EUlSX_E1_NS1_11comp_targetILNS1_3genE2ELNS1_11target_archE906ELNS1_3gpuE6ELNS1_3repE0EEENS1_36merge_oddeven_config_static_selectorELNS0_4arch9wavefront6targetE1EEEvSJ_.has_dyn_sized_stack, 0
	.set _ZN7rocprim17ROCPRIM_400000_NS6detail17trampoline_kernelINS0_14default_configENS1_38merge_sort_block_merge_config_selectorIxxEEZZNS1_27merge_sort_block_merge_implIS3_N6thrust23THRUST_200600_302600_NS6detail15normal_iteratorINS8_10device_ptrIxEEEESD_jNS1_19radix_merge_compareILb0ELb0ExNS0_19identity_decomposerEEEEE10hipError_tT0_T1_T2_jT3_P12ihipStream_tbPNSt15iterator_traitsISI_E10value_typeEPNSO_ISJ_E10value_typeEPSK_NS1_7vsmem_tEENKUlT_SI_SJ_SK_E_clISD_PxSD_S10_EESH_SX_SI_SJ_SK_EUlSX_E1_NS1_11comp_targetILNS1_3genE2ELNS1_11target_archE906ELNS1_3gpuE6ELNS1_3repE0EEENS1_36merge_oddeven_config_static_selectorELNS0_4arch9wavefront6targetE1EEEvSJ_.has_recursion, 0
	.set _ZN7rocprim17ROCPRIM_400000_NS6detail17trampoline_kernelINS0_14default_configENS1_38merge_sort_block_merge_config_selectorIxxEEZZNS1_27merge_sort_block_merge_implIS3_N6thrust23THRUST_200600_302600_NS6detail15normal_iteratorINS8_10device_ptrIxEEEESD_jNS1_19radix_merge_compareILb0ELb0ExNS0_19identity_decomposerEEEEE10hipError_tT0_T1_T2_jT3_P12ihipStream_tbPNSt15iterator_traitsISI_E10value_typeEPNSO_ISJ_E10value_typeEPSK_NS1_7vsmem_tEENKUlT_SI_SJ_SK_E_clISD_PxSD_S10_EESH_SX_SI_SJ_SK_EUlSX_E1_NS1_11comp_targetILNS1_3genE2ELNS1_11target_archE906ELNS1_3gpuE6ELNS1_3repE0EEENS1_36merge_oddeven_config_static_selectorELNS0_4arch9wavefront6targetE1EEEvSJ_.has_indirect_call, 0
	.section	.AMDGPU.csdata,"",@progbits
; Kernel info:
; codeLenInByte = 0
; TotalNumSgprs: 6
; NumVgprs: 0
; NumAgprs: 0
; TotalNumVgprs: 0
; ScratchSize: 0
; MemoryBound: 0
; FloatMode: 240
; IeeeMode: 1
; LDSByteSize: 0 bytes/workgroup (compile time only)
; SGPRBlocks: 0
; VGPRBlocks: 0
; NumSGPRsForWavesPerEU: 6
; NumVGPRsForWavesPerEU: 1
; AccumOffset: 4
; Occupancy: 8
; WaveLimiterHint : 0
; COMPUTE_PGM_RSRC2:SCRATCH_EN: 0
; COMPUTE_PGM_RSRC2:USER_SGPR: 2
; COMPUTE_PGM_RSRC2:TRAP_HANDLER: 0
; COMPUTE_PGM_RSRC2:TGID_X_EN: 1
; COMPUTE_PGM_RSRC2:TGID_Y_EN: 0
; COMPUTE_PGM_RSRC2:TGID_Z_EN: 0
; COMPUTE_PGM_RSRC2:TIDIG_COMP_CNT: 0
; COMPUTE_PGM_RSRC3_GFX90A:ACCUM_OFFSET: 0
; COMPUTE_PGM_RSRC3_GFX90A:TG_SPLIT: 0
	.section	.text._ZN7rocprim17ROCPRIM_400000_NS6detail17trampoline_kernelINS0_14default_configENS1_38merge_sort_block_merge_config_selectorIxxEEZZNS1_27merge_sort_block_merge_implIS3_N6thrust23THRUST_200600_302600_NS6detail15normal_iteratorINS8_10device_ptrIxEEEESD_jNS1_19radix_merge_compareILb0ELb0ExNS0_19identity_decomposerEEEEE10hipError_tT0_T1_T2_jT3_P12ihipStream_tbPNSt15iterator_traitsISI_E10value_typeEPNSO_ISJ_E10value_typeEPSK_NS1_7vsmem_tEENKUlT_SI_SJ_SK_E_clISD_PxSD_S10_EESH_SX_SI_SJ_SK_EUlSX_E1_NS1_11comp_targetILNS1_3genE9ELNS1_11target_archE1100ELNS1_3gpuE3ELNS1_3repE0EEENS1_36merge_oddeven_config_static_selectorELNS0_4arch9wavefront6targetE1EEEvSJ_,"axG",@progbits,_ZN7rocprim17ROCPRIM_400000_NS6detail17trampoline_kernelINS0_14default_configENS1_38merge_sort_block_merge_config_selectorIxxEEZZNS1_27merge_sort_block_merge_implIS3_N6thrust23THRUST_200600_302600_NS6detail15normal_iteratorINS8_10device_ptrIxEEEESD_jNS1_19radix_merge_compareILb0ELb0ExNS0_19identity_decomposerEEEEE10hipError_tT0_T1_T2_jT3_P12ihipStream_tbPNSt15iterator_traitsISI_E10value_typeEPNSO_ISJ_E10value_typeEPSK_NS1_7vsmem_tEENKUlT_SI_SJ_SK_E_clISD_PxSD_S10_EESH_SX_SI_SJ_SK_EUlSX_E1_NS1_11comp_targetILNS1_3genE9ELNS1_11target_archE1100ELNS1_3gpuE3ELNS1_3repE0EEENS1_36merge_oddeven_config_static_selectorELNS0_4arch9wavefront6targetE1EEEvSJ_,comdat
	.protected	_ZN7rocprim17ROCPRIM_400000_NS6detail17trampoline_kernelINS0_14default_configENS1_38merge_sort_block_merge_config_selectorIxxEEZZNS1_27merge_sort_block_merge_implIS3_N6thrust23THRUST_200600_302600_NS6detail15normal_iteratorINS8_10device_ptrIxEEEESD_jNS1_19radix_merge_compareILb0ELb0ExNS0_19identity_decomposerEEEEE10hipError_tT0_T1_T2_jT3_P12ihipStream_tbPNSt15iterator_traitsISI_E10value_typeEPNSO_ISJ_E10value_typeEPSK_NS1_7vsmem_tEENKUlT_SI_SJ_SK_E_clISD_PxSD_S10_EESH_SX_SI_SJ_SK_EUlSX_E1_NS1_11comp_targetILNS1_3genE9ELNS1_11target_archE1100ELNS1_3gpuE3ELNS1_3repE0EEENS1_36merge_oddeven_config_static_selectorELNS0_4arch9wavefront6targetE1EEEvSJ_ ; -- Begin function _ZN7rocprim17ROCPRIM_400000_NS6detail17trampoline_kernelINS0_14default_configENS1_38merge_sort_block_merge_config_selectorIxxEEZZNS1_27merge_sort_block_merge_implIS3_N6thrust23THRUST_200600_302600_NS6detail15normal_iteratorINS8_10device_ptrIxEEEESD_jNS1_19radix_merge_compareILb0ELb0ExNS0_19identity_decomposerEEEEE10hipError_tT0_T1_T2_jT3_P12ihipStream_tbPNSt15iterator_traitsISI_E10value_typeEPNSO_ISJ_E10value_typeEPSK_NS1_7vsmem_tEENKUlT_SI_SJ_SK_E_clISD_PxSD_S10_EESH_SX_SI_SJ_SK_EUlSX_E1_NS1_11comp_targetILNS1_3genE9ELNS1_11target_archE1100ELNS1_3gpuE3ELNS1_3repE0EEENS1_36merge_oddeven_config_static_selectorELNS0_4arch9wavefront6targetE1EEEvSJ_
	.globl	_ZN7rocprim17ROCPRIM_400000_NS6detail17trampoline_kernelINS0_14default_configENS1_38merge_sort_block_merge_config_selectorIxxEEZZNS1_27merge_sort_block_merge_implIS3_N6thrust23THRUST_200600_302600_NS6detail15normal_iteratorINS8_10device_ptrIxEEEESD_jNS1_19radix_merge_compareILb0ELb0ExNS0_19identity_decomposerEEEEE10hipError_tT0_T1_T2_jT3_P12ihipStream_tbPNSt15iterator_traitsISI_E10value_typeEPNSO_ISJ_E10value_typeEPSK_NS1_7vsmem_tEENKUlT_SI_SJ_SK_E_clISD_PxSD_S10_EESH_SX_SI_SJ_SK_EUlSX_E1_NS1_11comp_targetILNS1_3genE9ELNS1_11target_archE1100ELNS1_3gpuE3ELNS1_3repE0EEENS1_36merge_oddeven_config_static_selectorELNS0_4arch9wavefront6targetE1EEEvSJ_
	.p2align	8
	.type	_ZN7rocprim17ROCPRIM_400000_NS6detail17trampoline_kernelINS0_14default_configENS1_38merge_sort_block_merge_config_selectorIxxEEZZNS1_27merge_sort_block_merge_implIS3_N6thrust23THRUST_200600_302600_NS6detail15normal_iteratorINS8_10device_ptrIxEEEESD_jNS1_19radix_merge_compareILb0ELb0ExNS0_19identity_decomposerEEEEE10hipError_tT0_T1_T2_jT3_P12ihipStream_tbPNSt15iterator_traitsISI_E10value_typeEPNSO_ISJ_E10value_typeEPSK_NS1_7vsmem_tEENKUlT_SI_SJ_SK_E_clISD_PxSD_S10_EESH_SX_SI_SJ_SK_EUlSX_E1_NS1_11comp_targetILNS1_3genE9ELNS1_11target_archE1100ELNS1_3gpuE3ELNS1_3repE0EEENS1_36merge_oddeven_config_static_selectorELNS0_4arch9wavefront6targetE1EEEvSJ_,@function
_ZN7rocprim17ROCPRIM_400000_NS6detail17trampoline_kernelINS0_14default_configENS1_38merge_sort_block_merge_config_selectorIxxEEZZNS1_27merge_sort_block_merge_implIS3_N6thrust23THRUST_200600_302600_NS6detail15normal_iteratorINS8_10device_ptrIxEEEESD_jNS1_19radix_merge_compareILb0ELb0ExNS0_19identity_decomposerEEEEE10hipError_tT0_T1_T2_jT3_P12ihipStream_tbPNSt15iterator_traitsISI_E10value_typeEPNSO_ISJ_E10value_typeEPSK_NS1_7vsmem_tEENKUlT_SI_SJ_SK_E_clISD_PxSD_S10_EESH_SX_SI_SJ_SK_EUlSX_E1_NS1_11comp_targetILNS1_3genE9ELNS1_11target_archE1100ELNS1_3gpuE3ELNS1_3repE0EEENS1_36merge_oddeven_config_static_selectorELNS0_4arch9wavefront6targetE1EEEvSJ_: ; @_ZN7rocprim17ROCPRIM_400000_NS6detail17trampoline_kernelINS0_14default_configENS1_38merge_sort_block_merge_config_selectorIxxEEZZNS1_27merge_sort_block_merge_implIS3_N6thrust23THRUST_200600_302600_NS6detail15normal_iteratorINS8_10device_ptrIxEEEESD_jNS1_19radix_merge_compareILb0ELb0ExNS0_19identity_decomposerEEEEE10hipError_tT0_T1_T2_jT3_P12ihipStream_tbPNSt15iterator_traitsISI_E10value_typeEPNSO_ISJ_E10value_typeEPSK_NS1_7vsmem_tEENKUlT_SI_SJ_SK_E_clISD_PxSD_S10_EESH_SX_SI_SJ_SK_EUlSX_E1_NS1_11comp_targetILNS1_3genE9ELNS1_11target_archE1100ELNS1_3gpuE3ELNS1_3repE0EEENS1_36merge_oddeven_config_static_selectorELNS0_4arch9wavefront6targetE1EEEvSJ_
; %bb.0:
	.section	.rodata,"a",@progbits
	.p2align	6, 0x0
	.amdhsa_kernel _ZN7rocprim17ROCPRIM_400000_NS6detail17trampoline_kernelINS0_14default_configENS1_38merge_sort_block_merge_config_selectorIxxEEZZNS1_27merge_sort_block_merge_implIS3_N6thrust23THRUST_200600_302600_NS6detail15normal_iteratorINS8_10device_ptrIxEEEESD_jNS1_19radix_merge_compareILb0ELb0ExNS0_19identity_decomposerEEEEE10hipError_tT0_T1_T2_jT3_P12ihipStream_tbPNSt15iterator_traitsISI_E10value_typeEPNSO_ISJ_E10value_typeEPSK_NS1_7vsmem_tEENKUlT_SI_SJ_SK_E_clISD_PxSD_S10_EESH_SX_SI_SJ_SK_EUlSX_E1_NS1_11comp_targetILNS1_3genE9ELNS1_11target_archE1100ELNS1_3gpuE3ELNS1_3repE0EEENS1_36merge_oddeven_config_static_selectorELNS0_4arch9wavefront6targetE1EEEvSJ_
		.amdhsa_group_segment_fixed_size 0
		.amdhsa_private_segment_fixed_size 0
		.amdhsa_kernarg_size 48
		.amdhsa_user_sgpr_count 2
		.amdhsa_user_sgpr_dispatch_ptr 0
		.amdhsa_user_sgpr_queue_ptr 0
		.amdhsa_user_sgpr_kernarg_segment_ptr 1
		.amdhsa_user_sgpr_dispatch_id 0
		.amdhsa_user_sgpr_kernarg_preload_length 0
		.amdhsa_user_sgpr_kernarg_preload_offset 0
		.amdhsa_user_sgpr_private_segment_size 0
		.amdhsa_uses_dynamic_stack 0
		.amdhsa_enable_private_segment 0
		.amdhsa_system_sgpr_workgroup_id_x 1
		.amdhsa_system_sgpr_workgroup_id_y 0
		.amdhsa_system_sgpr_workgroup_id_z 0
		.amdhsa_system_sgpr_workgroup_info 0
		.amdhsa_system_vgpr_workitem_id 0
		.amdhsa_next_free_vgpr 1
		.amdhsa_next_free_sgpr 0
		.amdhsa_accum_offset 4
		.amdhsa_reserve_vcc 0
		.amdhsa_float_round_mode_32 0
		.amdhsa_float_round_mode_16_64 0
		.amdhsa_float_denorm_mode_32 3
		.amdhsa_float_denorm_mode_16_64 3
		.amdhsa_dx10_clamp 1
		.amdhsa_ieee_mode 1
		.amdhsa_fp16_overflow 0
		.amdhsa_tg_split 0
		.amdhsa_exception_fp_ieee_invalid_op 0
		.amdhsa_exception_fp_denorm_src 0
		.amdhsa_exception_fp_ieee_div_zero 0
		.amdhsa_exception_fp_ieee_overflow 0
		.amdhsa_exception_fp_ieee_underflow 0
		.amdhsa_exception_fp_ieee_inexact 0
		.amdhsa_exception_int_div_zero 0
	.end_amdhsa_kernel
	.section	.text._ZN7rocprim17ROCPRIM_400000_NS6detail17trampoline_kernelINS0_14default_configENS1_38merge_sort_block_merge_config_selectorIxxEEZZNS1_27merge_sort_block_merge_implIS3_N6thrust23THRUST_200600_302600_NS6detail15normal_iteratorINS8_10device_ptrIxEEEESD_jNS1_19radix_merge_compareILb0ELb0ExNS0_19identity_decomposerEEEEE10hipError_tT0_T1_T2_jT3_P12ihipStream_tbPNSt15iterator_traitsISI_E10value_typeEPNSO_ISJ_E10value_typeEPSK_NS1_7vsmem_tEENKUlT_SI_SJ_SK_E_clISD_PxSD_S10_EESH_SX_SI_SJ_SK_EUlSX_E1_NS1_11comp_targetILNS1_3genE9ELNS1_11target_archE1100ELNS1_3gpuE3ELNS1_3repE0EEENS1_36merge_oddeven_config_static_selectorELNS0_4arch9wavefront6targetE1EEEvSJ_,"axG",@progbits,_ZN7rocprim17ROCPRIM_400000_NS6detail17trampoline_kernelINS0_14default_configENS1_38merge_sort_block_merge_config_selectorIxxEEZZNS1_27merge_sort_block_merge_implIS3_N6thrust23THRUST_200600_302600_NS6detail15normal_iteratorINS8_10device_ptrIxEEEESD_jNS1_19radix_merge_compareILb0ELb0ExNS0_19identity_decomposerEEEEE10hipError_tT0_T1_T2_jT3_P12ihipStream_tbPNSt15iterator_traitsISI_E10value_typeEPNSO_ISJ_E10value_typeEPSK_NS1_7vsmem_tEENKUlT_SI_SJ_SK_E_clISD_PxSD_S10_EESH_SX_SI_SJ_SK_EUlSX_E1_NS1_11comp_targetILNS1_3genE9ELNS1_11target_archE1100ELNS1_3gpuE3ELNS1_3repE0EEENS1_36merge_oddeven_config_static_selectorELNS0_4arch9wavefront6targetE1EEEvSJ_,comdat
.Lfunc_end1111:
	.size	_ZN7rocprim17ROCPRIM_400000_NS6detail17trampoline_kernelINS0_14default_configENS1_38merge_sort_block_merge_config_selectorIxxEEZZNS1_27merge_sort_block_merge_implIS3_N6thrust23THRUST_200600_302600_NS6detail15normal_iteratorINS8_10device_ptrIxEEEESD_jNS1_19radix_merge_compareILb0ELb0ExNS0_19identity_decomposerEEEEE10hipError_tT0_T1_T2_jT3_P12ihipStream_tbPNSt15iterator_traitsISI_E10value_typeEPNSO_ISJ_E10value_typeEPSK_NS1_7vsmem_tEENKUlT_SI_SJ_SK_E_clISD_PxSD_S10_EESH_SX_SI_SJ_SK_EUlSX_E1_NS1_11comp_targetILNS1_3genE9ELNS1_11target_archE1100ELNS1_3gpuE3ELNS1_3repE0EEENS1_36merge_oddeven_config_static_selectorELNS0_4arch9wavefront6targetE1EEEvSJ_, .Lfunc_end1111-_ZN7rocprim17ROCPRIM_400000_NS6detail17trampoline_kernelINS0_14default_configENS1_38merge_sort_block_merge_config_selectorIxxEEZZNS1_27merge_sort_block_merge_implIS3_N6thrust23THRUST_200600_302600_NS6detail15normal_iteratorINS8_10device_ptrIxEEEESD_jNS1_19radix_merge_compareILb0ELb0ExNS0_19identity_decomposerEEEEE10hipError_tT0_T1_T2_jT3_P12ihipStream_tbPNSt15iterator_traitsISI_E10value_typeEPNSO_ISJ_E10value_typeEPSK_NS1_7vsmem_tEENKUlT_SI_SJ_SK_E_clISD_PxSD_S10_EESH_SX_SI_SJ_SK_EUlSX_E1_NS1_11comp_targetILNS1_3genE9ELNS1_11target_archE1100ELNS1_3gpuE3ELNS1_3repE0EEENS1_36merge_oddeven_config_static_selectorELNS0_4arch9wavefront6targetE1EEEvSJ_
                                        ; -- End function
	.set _ZN7rocprim17ROCPRIM_400000_NS6detail17trampoline_kernelINS0_14default_configENS1_38merge_sort_block_merge_config_selectorIxxEEZZNS1_27merge_sort_block_merge_implIS3_N6thrust23THRUST_200600_302600_NS6detail15normal_iteratorINS8_10device_ptrIxEEEESD_jNS1_19radix_merge_compareILb0ELb0ExNS0_19identity_decomposerEEEEE10hipError_tT0_T1_T2_jT3_P12ihipStream_tbPNSt15iterator_traitsISI_E10value_typeEPNSO_ISJ_E10value_typeEPSK_NS1_7vsmem_tEENKUlT_SI_SJ_SK_E_clISD_PxSD_S10_EESH_SX_SI_SJ_SK_EUlSX_E1_NS1_11comp_targetILNS1_3genE9ELNS1_11target_archE1100ELNS1_3gpuE3ELNS1_3repE0EEENS1_36merge_oddeven_config_static_selectorELNS0_4arch9wavefront6targetE1EEEvSJ_.num_vgpr, 0
	.set _ZN7rocprim17ROCPRIM_400000_NS6detail17trampoline_kernelINS0_14default_configENS1_38merge_sort_block_merge_config_selectorIxxEEZZNS1_27merge_sort_block_merge_implIS3_N6thrust23THRUST_200600_302600_NS6detail15normal_iteratorINS8_10device_ptrIxEEEESD_jNS1_19radix_merge_compareILb0ELb0ExNS0_19identity_decomposerEEEEE10hipError_tT0_T1_T2_jT3_P12ihipStream_tbPNSt15iterator_traitsISI_E10value_typeEPNSO_ISJ_E10value_typeEPSK_NS1_7vsmem_tEENKUlT_SI_SJ_SK_E_clISD_PxSD_S10_EESH_SX_SI_SJ_SK_EUlSX_E1_NS1_11comp_targetILNS1_3genE9ELNS1_11target_archE1100ELNS1_3gpuE3ELNS1_3repE0EEENS1_36merge_oddeven_config_static_selectorELNS0_4arch9wavefront6targetE1EEEvSJ_.num_agpr, 0
	.set _ZN7rocprim17ROCPRIM_400000_NS6detail17trampoline_kernelINS0_14default_configENS1_38merge_sort_block_merge_config_selectorIxxEEZZNS1_27merge_sort_block_merge_implIS3_N6thrust23THRUST_200600_302600_NS6detail15normal_iteratorINS8_10device_ptrIxEEEESD_jNS1_19radix_merge_compareILb0ELb0ExNS0_19identity_decomposerEEEEE10hipError_tT0_T1_T2_jT3_P12ihipStream_tbPNSt15iterator_traitsISI_E10value_typeEPNSO_ISJ_E10value_typeEPSK_NS1_7vsmem_tEENKUlT_SI_SJ_SK_E_clISD_PxSD_S10_EESH_SX_SI_SJ_SK_EUlSX_E1_NS1_11comp_targetILNS1_3genE9ELNS1_11target_archE1100ELNS1_3gpuE3ELNS1_3repE0EEENS1_36merge_oddeven_config_static_selectorELNS0_4arch9wavefront6targetE1EEEvSJ_.numbered_sgpr, 0
	.set _ZN7rocprim17ROCPRIM_400000_NS6detail17trampoline_kernelINS0_14default_configENS1_38merge_sort_block_merge_config_selectorIxxEEZZNS1_27merge_sort_block_merge_implIS3_N6thrust23THRUST_200600_302600_NS6detail15normal_iteratorINS8_10device_ptrIxEEEESD_jNS1_19radix_merge_compareILb0ELb0ExNS0_19identity_decomposerEEEEE10hipError_tT0_T1_T2_jT3_P12ihipStream_tbPNSt15iterator_traitsISI_E10value_typeEPNSO_ISJ_E10value_typeEPSK_NS1_7vsmem_tEENKUlT_SI_SJ_SK_E_clISD_PxSD_S10_EESH_SX_SI_SJ_SK_EUlSX_E1_NS1_11comp_targetILNS1_3genE9ELNS1_11target_archE1100ELNS1_3gpuE3ELNS1_3repE0EEENS1_36merge_oddeven_config_static_selectorELNS0_4arch9wavefront6targetE1EEEvSJ_.num_named_barrier, 0
	.set _ZN7rocprim17ROCPRIM_400000_NS6detail17trampoline_kernelINS0_14default_configENS1_38merge_sort_block_merge_config_selectorIxxEEZZNS1_27merge_sort_block_merge_implIS3_N6thrust23THRUST_200600_302600_NS6detail15normal_iteratorINS8_10device_ptrIxEEEESD_jNS1_19radix_merge_compareILb0ELb0ExNS0_19identity_decomposerEEEEE10hipError_tT0_T1_T2_jT3_P12ihipStream_tbPNSt15iterator_traitsISI_E10value_typeEPNSO_ISJ_E10value_typeEPSK_NS1_7vsmem_tEENKUlT_SI_SJ_SK_E_clISD_PxSD_S10_EESH_SX_SI_SJ_SK_EUlSX_E1_NS1_11comp_targetILNS1_3genE9ELNS1_11target_archE1100ELNS1_3gpuE3ELNS1_3repE0EEENS1_36merge_oddeven_config_static_selectorELNS0_4arch9wavefront6targetE1EEEvSJ_.private_seg_size, 0
	.set _ZN7rocprim17ROCPRIM_400000_NS6detail17trampoline_kernelINS0_14default_configENS1_38merge_sort_block_merge_config_selectorIxxEEZZNS1_27merge_sort_block_merge_implIS3_N6thrust23THRUST_200600_302600_NS6detail15normal_iteratorINS8_10device_ptrIxEEEESD_jNS1_19radix_merge_compareILb0ELb0ExNS0_19identity_decomposerEEEEE10hipError_tT0_T1_T2_jT3_P12ihipStream_tbPNSt15iterator_traitsISI_E10value_typeEPNSO_ISJ_E10value_typeEPSK_NS1_7vsmem_tEENKUlT_SI_SJ_SK_E_clISD_PxSD_S10_EESH_SX_SI_SJ_SK_EUlSX_E1_NS1_11comp_targetILNS1_3genE9ELNS1_11target_archE1100ELNS1_3gpuE3ELNS1_3repE0EEENS1_36merge_oddeven_config_static_selectorELNS0_4arch9wavefront6targetE1EEEvSJ_.uses_vcc, 0
	.set _ZN7rocprim17ROCPRIM_400000_NS6detail17trampoline_kernelINS0_14default_configENS1_38merge_sort_block_merge_config_selectorIxxEEZZNS1_27merge_sort_block_merge_implIS3_N6thrust23THRUST_200600_302600_NS6detail15normal_iteratorINS8_10device_ptrIxEEEESD_jNS1_19radix_merge_compareILb0ELb0ExNS0_19identity_decomposerEEEEE10hipError_tT0_T1_T2_jT3_P12ihipStream_tbPNSt15iterator_traitsISI_E10value_typeEPNSO_ISJ_E10value_typeEPSK_NS1_7vsmem_tEENKUlT_SI_SJ_SK_E_clISD_PxSD_S10_EESH_SX_SI_SJ_SK_EUlSX_E1_NS1_11comp_targetILNS1_3genE9ELNS1_11target_archE1100ELNS1_3gpuE3ELNS1_3repE0EEENS1_36merge_oddeven_config_static_selectorELNS0_4arch9wavefront6targetE1EEEvSJ_.uses_flat_scratch, 0
	.set _ZN7rocprim17ROCPRIM_400000_NS6detail17trampoline_kernelINS0_14default_configENS1_38merge_sort_block_merge_config_selectorIxxEEZZNS1_27merge_sort_block_merge_implIS3_N6thrust23THRUST_200600_302600_NS6detail15normal_iteratorINS8_10device_ptrIxEEEESD_jNS1_19radix_merge_compareILb0ELb0ExNS0_19identity_decomposerEEEEE10hipError_tT0_T1_T2_jT3_P12ihipStream_tbPNSt15iterator_traitsISI_E10value_typeEPNSO_ISJ_E10value_typeEPSK_NS1_7vsmem_tEENKUlT_SI_SJ_SK_E_clISD_PxSD_S10_EESH_SX_SI_SJ_SK_EUlSX_E1_NS1_11comp_targetILNS1_3genE9ELNS1_11target_archE1100ELNS1_3gpuE3ELNS1_3repE0EEENS1_36merge_oddeven_config_static_selectorELNS0_4arch9wavefront6targetE1EEEvSJ_.has_dyn_sized_stack, 0
	.set _ZN7rocprim17ROCPRIM_400000_NS6detail17trampoline_kernelINS0_14default_configENS1_38merge_sort_block_merge_config_selectorIxxEEZZNS1_27merge_sort_block_merge_implIS3_N6thrust23THRUST_200600_302600_NS6detail15normal_iteratorINS8_10device_ptrIxEEEESD_jNS1_19radix_merge_compareILb0ELb0ExNS0_19identity_decomposerEEEEE10hipError_tT0_T1_T2_jT3_P12ihipStream_tbPNSt15iterator_traitsISI_E10value_typeEPNSO_ISJ_E10value_typeEPSK_NS1_7vsmem_tEENKUlT_SI_SJ_SK_E_clISD_PxSD_S10_EESH_SX_SI_SJ_SK_EUlSX_E1_NS1_11comp_targetILNS1_3genE9ELNS1_11target_archE1100ELNS1_3gpuE3ELNS1_3repE0EEENS1_36merge_oddeven_config_static_selectorELNS0_4arch9wavefront6targetE1EEEvSJ_.has_recursion, 0
	.set _ZN7rocprim17ROCPRIM_400000_NS6detail17trampoline_kernelINS0_14default_configENS1_38merge_sort_block_merge_config_selectorIxxEEZZNS1_27merge_sort_block_merge_implIS3_N6thrust23THRUST_200600_302600_NS6detail15normal_iteratorINS8_10device_ptrIxEEEESD_jNS1_19radix_merge_compareILb0ELb0ExNS0_19identity_decomposerEEEEE10hipError_tT0_T1_T2_jT3_P12ihipStream_tbPNSt15iterator_traitsISI_E10value_typeEPNSO_ISJ_E10value_typeEPSK_NS1_7vsmem_tEENKUlT_SI_SJ_SK_E_clISD_PxSD_S10_EESH_SX_SI_SJ_SK_EUlSX_E1_NS1_11comp_targetILNS1_3genE9ELNS1_11target_archE1100ELNS1_3gpuE3ELNS1_3repE0EEENS1_36merge_oddeven_config_static_selectorELNS0_4arch9wavefront6targetE1EEEvSJ_.has_indirect_call, 0
	.section	.AMDGPU.csdata,"",@progbits
; Kernel info:
; codeLenInByte = 0
; TotalNumSgprs: 6
; NumVgprs: 0
; NumAgprs: 0
; TotalNumVgprs: 0
; ScratchSize: 0
; MemoryBound: 0
; FloatMode: 240
; IeeeMode: 1
; LDSByteSize: 0 bytes/workgroup (compile time only)
; SGPRBlocks: 0
; VGPRBlocks: 0
; NumSGPRsForWavesPerEU: 6
; NumVGPRsForWavesPerEU: 1
; AccumOffset: 4
; Occupancy: 8
; WaveLimiterHint : 0
; COMPUTE_PGM_RSRC2:SCRATCH_EN: 0
; COMPUTE_PGM_RSRC2:USER_SGPR: 2
; COMPUTE_PGM_RSRC2:TRAP_HANDLER: 0
; COMPUTE_PGM_RSRC2:TGID_X_EN: 1
; COMPUTE_PGM_RSRC2:TGID_Y_EN: 0
; COMPUTE_PGM_RSRC2:TGID_Z_EN: 0
; COMPUTE_PGM_RSRC2:TIDIG_COMP_CNT: 0
; COMPUTE_PGM_RSRC3_GFX90A:ACCUM_OFFSET: 0
; COMPUTE_PGM_RSRC3_GFX90A:TG_SPLIT: 0
	.section	.text._ZN7rocprim17ROCPRIM_400000_NS6detail17trampoline_kernelINS0_14default_configENS1_38merge_sort_block_merge_config_selectorIxxEEZZNS1_27merge_sort_block_merge_implIS3_N6thrust23THRUST_200600_302600_NS6detail15normal_iteratorINS8_10device_ptrIxEEEESD_jNS1_19radix_merge_compareILb0ELb0ExNS0_19identity_decomposerEEEEE10hipError_tT0_T1_T2_jT3_P12ihipStream_tbPNSt15iterator_traitsISI_E10value_typeEPNSO_ISJ_E10value_typeEPSK_NS1_7vsmem_tEENKUlT_SI_SJ_SK_E_clISD_PxSD_S10_EESH_SX_SI_SJ_SK_EUlSX_E1_NS1_11comp_targetILNS1_3genE8ELNS1_11target_archE1030ELNS1_3gpuE2ELNS1_3repE0EEENS1_36merge_oddeven_config_static_selectorELNS0_4arch9wavefront6targetE1EEEvSJ_,"axG",@progbits,_ZN7rocprim17ROCPRIM_400000_NS6detail17trampoline_kernelINS0_14default_configENS1_38merge_sort_block_merge_config_selectorIxxEEZZNS1_27merge_sort_block_merge_implIS3_N6thrust23THRUST_200600_302600_NS6detail15normal_iteratorINS8_10device_ptrIxEEEESD_jNS1_19radix_merge_compareILb0ELb0ExNS0_19identity_decomposerEEEEE10hipError_tT0_T1_T2_jT3_P12ihipStream_tbPNSt15iterator_traitsISI_E10value_typeEPNSO_ISJ_E10value_typeEPSK_NS1_7vsmem_tEENKUlT_SI_SJ_SK_E_clISD_PxSD_S10_EESH_SX_SI_SJ_SK_EUlSX_E1_NS1_11comp_targetILNS1_3genE8ELNS1_11target_archE1030ELNS1_3gpuE2ELNS1_3repE0EEENS1_36merge_oddeven_config_static_selectorELNS0_4arch9wavefront6targetE1EEEvSJ_,comdat
	.protected	_ZN7rocprim17ROCPRIM_400000_NS6detail17trampoline_kernelINS0_14default_configENS1_38merge_sort_block_merge_config_selectorIxxEEZZNS1_27merge_sort_block_merge_implIS3_N6thrust23THRUST_200600_302600_NS6detail15normal_iteratorINS8_10device_ptrIxEEEESD_jNS1_19radix_merge_compareILb0ELb0ExNS0_19identity_decomposerEEEEE10hipError_tT0_T1_T2_jT3_P12ihipStream_tbPNSt15iterator_traitsISI_E10value_typeEPNSO_ISJ_E10value_typeEPSK_NS1_7vsmem_tEENKUlT_SI_SJ_SK_E_clISD_PxSD_S10_EESH_SX_SI_SJ_SK_EUlSX_E1_NS1_11comp_targetILNS1_3genE8ELNS1_11target_archE1030ELNS1_3gpuE2ELNS1_3repE0EEENS1_36merge_oddeven_config_static_selectorELNS0_4arch9wavefront6targetE1EEEvSJ_ ; -- Begin function _ZN7rocprim17ROCPRIM_400000_NS6detail17trampoline_kernelINS0_14default_configENS1_38merge_sort_block_merge_config_selectorIxxEEZZNS1_27merge_sort_block_merge_implIS3_N6thrust23THRUST_200600_302600_NS6detail15normal_iteratorINS8_10device_ptrIxEEEESD_jNS1_19radix_merge_compareILb0ELb0ExNS0_19identity_decomposerEEEEE10hipError_tT0_T1_T2_jT3_P12ihipStream_tbPNSt15iterator_traitsISI_E10value_typeEPNSO_ISJ_E10value_typeEPSK_NS1_7vsmem_tEENKUlT_SI_SJ_SK_E_clISD_PxSD_S10_EESH_SX_SI_SJ_SK_EUlSX_E1_NS1_11comp_targetILNS1_3genE8ELNS1_11target_archE1030ELNS1_3gpuE2ELNS1_3repE0EEENS1_36merge_oddeven_config_static_selectorELNS0_4arch9wavefront6targetE1EEEvSJ_
	.globl	_ZN7rocprim17ROCPRIM_400000_NS6detail17trampoline_kernelINS0_14default_configENS1_38merge_sort_block_merge_config_selectorIxxEEZZNS1_27merge_sort_block_merge_implIS3_N6thrust23THRUST_200600_302600_NS6detail15normal_iteratorINS8_10device_ptrIxEEEESD_jNS1_19radix_merge_compareILb0ELb0ExNS0_19identity_decomposerEEEEE10hipError_tT0_T1_T2_jT3_P12ihipStream_tbPNSt15iterator_traitsISI_E10value_typeEPNSO_ISJ_E10value_typeEPSK_NS1_7vsmem_tEENKUlT_SI_SJ_SK_E_clISD_PxSD_S10_EESH_SX_SI_SJ_SK_EUlSX_E1_NS1_11comp_targetILNS1_3genE8ELNS1_11target_archE1030ELNS1_3gpuE2ELNS1_3repE0EEENS1_36merge_oddeven_config_static_selectorELNS0_4arch9wavefront6targetE1EEEvSJ_
	.p2align	8
	.type	_ZN7rocprim17ROCPRIM_400000_NS6detail17trampoline_kernelINS0_14default_configENS1_38merge_sort_block_merge_config_selectorIxxEEZZNS1_27merge_sort_block_merge_implIS3_N6thrust23THRUST_200600_302600_NS6detail15normal_iteratorINS8_10device_ptrIxEEEESD_jNS1_19radix_merge_compareILb0ELb0ExNS0_19identity_decomposerEEEEE10hipError_tT0_T1_T2_jT3_P12ihipStream_tbPNSt15iterator_traitsISI_E10value_typeEPNSO_ISJ_E10value_typeEPSK_NS1_7vsmem_tEENKUlT_SI_SJ_SK_E_clISD_PxSD_S10_EESH_SX_SI_SJ_SK_EUlSX_E1_NS1_11comp_targetILNS1_3genE8ELNS1_11target_archE1030ELNS1_3gpuE2ELNS1_3repE0EEENS1_36merge_oddeven_config_static_selectorELNS0_4arch9wavefront6targetE1EEEvSJ_,@function
_ZN7rocprim17ROCPRIM_400000_NS6detail17trampoline_kernelINS0_14default_configENS1_38merge_sort_block_merge_config_selectorIxxEEZZNS1_27merge_sort_block_merge_implIS3_N6thrust23THRUST_200600_302600_NS6detail15normal_iteratorINS8_10device_ptrIxEEEESD_jNS1_19radix_merge_compareILb0ELb0ExNS0_19identity_decomposerEEEEE10hipError_tT0_T1_T2_jT3_P12ihipStream_tbPNSt15iterator_traitsISI_E10value_typeEPNSO_ISJ_E10value_typeEPSK_NS1_7vsmem_tEENKUlT_SI_SJ_SK_E_clISD_PxSD_S10_EESH_SX_SI_SJ_SK_EUlSX_E1_NS1_11comp_targetILNS1_3genE8ELNS1_11target_archE1030ELNS1_3gpuE2ELNS1_3repE0EEENS1_36merge_oddeven_config_static_selectorELNS0_4arch9wavefront6targetE1EEEvSJ_: ; @_ZN7rocprim17ROCPRIM_400000_NS6detail17trampoline_kernelINS0_14default_configENS1_38merge_sort_block_merge_config_selectorIxxEEZZNS1_27merge_sort_block_merge_implIS3_N6thrust23THRUST_200600_302600_NS6detail15normal_iteratorINS8_10device_ptrIxEEEESD_jNS1_19radix_merge_compareILb0ELb0ExNS0_19identity_decomposerEEEEE10hipError_tT0_T1_T2_jT3_P12ihipStream_tbPNSt15iterator_traitsISI_E10value_typeEPNSO_ISJ_E10value_typeEPSK_NS1_7vsmem_tEENKUlT_SI_SJ_SK_E_clISD_PxSD_S10_EESH_SX_SI_SJ_SK_EUlSX_E1_NS1_11comp_targetILNS1_3genE8ELNS1_11target_archE1030ELNS1_3gpuE2ELNS1_3repE0EEENS1_36merge_oddeven_config_static_selectorELNS0_4arch9wavefront6targetE1EEEvSJ_
; %bb.0:
	.section	.rodata,"a",@progbits
	.p2align	6, 0x0
	.amdhsa_kernel _ZN7rocprim17ROCPRIM_400000_NS6detail17trampoline_kernelINS0_14default_configENS1_38merge_sort_block_merge_config_selectorIxxEEZZNS1_27merge_sort_block_merge_implIS3_N6thrust23THRUST_200600_302600_NS6detail15normal_iteratorINS8_10device_ptrIxEEEESD_jNS1_19radix_merge_compareILb0ELb0ExNS0_19identity_decomposerEEEEE10hipError_tT0_T1_T2_jT3_P12ihipStream_tbPNSt15iterator_traitsISI_E10value_typeEPNSO_ISJ_E10value_typeEPSK_NS1_7vsmem_tEENKUlT_SI_SJ_SK_E_clISD_PxSD_S10_EESH_SX_SI_SJ_SK_EUlSX_E1_NS1_11comp_targetILNS1_3genE8ELNS1_11target_archE1030ELNS1_3gpuE2ELNS1_3repE0EEENS1_36merge_oddeven_config_static_selectorELNS0_4arch9wavefront6targetE1EEEvSJ_
		.amdhsa_group_segment_fixed_size 0
		.amdhsa_private_segment_fixed_size 0
		.amdhsa_kernarg_size 48
		.amdhsa_user_sgpr_count 2
		.amdhsa_user_sgpr_dispatch_ptr 0
		.amdhsa_user_sgpr_queue_ptr 0
		.amdhsa_user_sgpr_kernarg_segment_ptr 1
		.amdhsa_user_sgpr_dispatch_id 0
		.amdhsa_user_sgpr_kernarg_preload_length 0
		.amdhsa_user_sgpr_kernarg_preload_offset 0
		.amdhsa_user_sgpr_private_segment_size 0
		.amdhsa_uses_dynamic_stack 0
		.amdhsa_enable_private_segment 0
		.amdhsa_system_sgpr_workgroup_id_x 1
		.amdhsa_system_sgpr_workgroup_id_y 0
		.amdhsa_system_sgpr_workgroup_id_z 0
		.amdhsa_system_sgpr_workgroup_info 0
		.amdhsa_system_vgpr_workitem_id 0
		.amdhsa_next_free_vgpr 1
		.amdhsa_next_free_sgpr 0
		.amdhsa_accum_offset 4
		.amdhsa_reserve_vcc 0
		.amdhsa_float_round_mode_32 0
		.amdhsa_float_round_mode_16_64 0
		.amdhsa_float_denorm_mode_32 3
		.amdhsa_float_denorm_mode_16_64 3
		.amdhsa_dx10_clamp 1
		.amdhsa_ieee_mode 1
		.amdhsa_fp16_overflow 0
		.amdhsa_tg_split 0
		.amdhsa_exception_fp_ieee_invalid_op 0
		.amdhsa_exception_fp_denorm_src 0
		.amdhsa_exception_fp_ieee_div_zero 0
		.amdhsa_exception_fp_ieee_overflow 0
		.amdhsa_exception_fp_ieee_underflow 0
		.amdhsa_exception_fp_ieee_inexact 0
		.amdhsa_exception_int_div_zero 0
	.end_amdhsa_kernel
	.section	.text._ZN7rocprim17ROCPRIM_400000_NS6detail17trampoline_kernelINS0_14default_configENS1_38merge_sort_block_merge_config_selectorIxxEEZZNS1_27merge_sort_block_merge_implIS3_N6thrust23THRUST_200600_302600_NS6detail15normal_iteratorINS8_10device_ptrIxEEEESD_jNS1_19radix_merge_compareILb0ELb0ExNS0_19identity_decomposerEEEEE10hipError_tT0_T1_T2_jT3_P12ihipStream_tbPNSt15iterator_traitsISI_E10value_typeEPNSO_ISJ_E10value_typeEPSK_NS1_7vsmem_tEENKUlT_SI_SJ_SK_E_clISD_PxSD_S10_EESH_SX_SI_SJ_SK_EUlSX_E1_NS1_11comp_targetILNS1_3genE8ELNS1_11target_archE1030ELNS1_3gpuE2ELNS1_3repE0EEENS1_36merge_oddeven_config_static_selectorELNS0_4arch9wavefront6targetE1EEEvSJ_,"axG",@progbits,_ZN7rocprim17ROCPRIM_400000_NS6detail17trampoline_kernelINS0_14default_configENS1_38merge_sort_block_merge_config_selectorIxxEEZZNS1_27merge_sort_block_merge_implIS3_N6thrust23THRUST_200600_302600_NS6detail15normal_iteratorINS8_10device_ptrIxEEEESD_jNS1_19radix_merge_compareILb0ELb0ExNS0_19identity_decomposerEEEEE10hipError_tT0_T1_T2_jT3_P12ihipStream_tbPNSt15iterator_traitsISI_E10value_typeEPNSO_ISJ_E10value_typeEPSK_NS1_7vsmem_tEENKUlT_SI_SJ_SK_E_clISD_PxSD_S10_EESH_SX_SI_SJ_SK_EUlSX_E1_NS1_11comp_targetILNS1_3genE8ELNS1_11target_archE1030ELNS1_3gpuE2ELNS1_3repE0EEENS1_36merge_oddeven_config_static_selectorELNS0_4arch9wavefront6targetE1EEEvSJ_,comdat
.Lfunc_end1112:
	.size	_ZN7rocprim17ROCPRIM_400000_NS6detail17trampoline_kernelINS0_14default_configENS1_38merge_sort_block_merge_config_selectorIxxEEZZNS1_27merge_sort_block_merge_implIS3_N6thrust23THRUST_200600_302600_NS6detail15normal_iteratorINS8_10device_ptrIxEEEESD_jNS1_19radix_merge_compareILb0ELb0ExNS0_19identity_decomposerEEEEE10hipError_tT0_T1_T2_jT3_P12ihipStream_tbPNSt15iterator_traitsISI_E10value_typeEPNSO_ISJ_E10value_typeEPSK_NS1_7vsmem_tEENKUlT_SI_SJ_SK_E_clISD_PxSD_S10_EESH_SX_SI_SJ_SK_EUlSX_E1_NS1_11comp_targetILNS1_3genE8ELNS1_11target_archE1030ELNS1_3gpuE2ELNS1_3repE0EEENS1_36merge_oddeven_config_static_selectorELNS0_4arch9wavefront6targetE1EEEvSJ_, .Lfunc_end1112-_ZN7rocprim17ROCPRIM_400000_NS6detail17trampoline_kernelINS0_14default_configENS1_38merge_sort_block_merge_config_selectorIxxEEZZNS1_27merge_sort_block_merge_implIS3_N6thrust23THRUST_200600_302600_NS6detail15normal_iteratorINS8_10device_ptrIxEEEESD_jNS1_19radix_merge_compareILb0ELb0ExNS0_19identity_decomposerEEEEE10hipError_tT0_T1_T2_jT3_P12ihipStream_tbPNSt15iterator_traitsISI_E10value_typeEPNSO_ISJ_E10value_typeEPSK_NS1_7vsmem_tEENKUlT_SI_SJ_SK_E_clISD_PxSD_S10_EESH_SX_SI_SJ_SK_EUlSX_E1_NS1_11comp_targetILNS1_3genE8ELNS1_11target_archE1030ELNS1_3gpuE2ELNS1_3repE0EEENS1_36merge_oddeven_config_static_selectorELNS0_4arch9wavefront6targetE1EEEvSJ_
                                        ; -- End function
	.set _ZN7rocprim17ROCPRIM_400000_NS6detail17trampoline_kernelINS0_14default_configENS1_38merge_sort_block_merge_config_selectorIxxEEZZNS1_27merge_sort_block_merge_implIS3_N6thrust23THRUST_200600_302600_NS6detail15normal_iteratorINS8_10device_ptrIxEEEESD_jNS1_19radix_merge_compareILb0ELb0ExNS0_19identity_decomposerEEEEE10hipError_tT0_T1_T2_jT3_P12ihipStream_tbPNSt15iterator_traitsISI_E10value_typeEPNSO_ISJ_E10value_typeEPSK_NS1_7vsmem_tEENKUlT_SI_SJ_SK_E_clISD_PxSD_S10_EESH_SX_SI_SJ_SK_EUlSX_E1_NS1_11comp_targetILNS1_3genE8ELNS1_11target_archE1030ELNS1_3gpuE2ELNS1_3repE0EEENS1_36merge_oddeven_config_static_selectorELNS0_4arch9wavefront6targetE1EEEvSJ_.num_vgpr, 0
	.set _ZN7rocprim17ROCPRIM_400000_NS6detail17trampoline_kernelINS0_14default_configENS1_38merge_sort_block_merge_config_selectorIxxEEZZNS1_27merge_sort_block_merge_implIS3_N6thrust23THRUST_200600_302600_NS6detail15normal_iteratorINS8_10device_ptrIxEEEESD_jNS1_19radix_merge_compareILb0ELb0ExNS0_19identity_decomposerEEEEE10hipError_tT0_T1_T2_jT3_P12ihipStream_tbPNSt15iterator_traitsISI_E10value_typeEPNSO_ISJ_E10value_typeEPSK_NS1_7vsmem_tEENKUlT_SI_SJ_SK_E_clISD_PxSD_S10_EESH_SX_SI_SJ_SK_EUlSX_E1_NS1_11comp_targetILNS1_3genE8ELNS1_11target_archE1030ELNS1_3gpuE2ELNS1_3repE0EEENS1_36merge_oddeven_config_static_selectorELNS0_4arch9wavefront6targetE1EEEvSJ_.num_agpr, 0
	.set _ZN7rocprim17ROCPRIM_400000_NS6detail17trampoline_kernelINS0_14default_configENS1_38merge_sort_block_merge_config_selectorIxxEEZZNS1_27merge_sort_block_merge_implIS3_N6thrust23THRUST_200600_302600_NS6detail15normal_iteratorINS8_10device_ptrIxEEEESD_jNS1_19radix_merge_compareILb0ELb0ExNS0_19identity_decomposerEEEEE10hipError_tT0_T1_T2_jT3_P12ihipStream_tbPNSt15iterator_traitsISI_E10value_typeEPNSO_ISJ_E10value_typeEPSK_NS1_7vsmem_tEENKUlT_SI_SJ_SK_E_clISD_PxSD_S10_EESH_SX_SI_SJ_SK_EUlSX_E1_NS1_11comp_targetILNS1_3genE8ELNS1_11target_archE1030ELNS1_3gpuE2ELNS1_3repE0EEENS1_36merge_oddeven_config_static_selectorELNS0_4arch9wavefront6targetE1EEEvSJ_.numbered_sgpr, 0
	.set _ZN7rocprim17ROCPRIM_400000_NS6detail17trampoline_kernelINS0_14default_configENS1_38merge_sort_block_merge_config_selectorIxxEEZZNS1_27merge_sort_block_merge_implIS3_N6thrust23THRUST_200600_302600_NS6detail15normal_iteratorINS8_10device_ptrIxEEEESD_jNS1_19radix_merge_compareILb0ELb0ExNS0_19identity_decomposerEEEEE10hipError_tT0_T1_T2_jT3_P12ihipStream_tbPNSt15iterator_traitsISI_E10value_typeEPNSO_ISJ_E10value_typeEPSK_NS1_7vsmem_tEENKUlT_SI_SJ_SK_E_clISD_PxSD_S10_EESH_SX_SI_SJ_SK_EUlSX_E1_NS1_11comp_targetILNS1_3genE8ELNS1_11target_archE1030ELNS1_3gpuE2ELNS1_3repE0EEENS1_36merge_oddeven_config_static_selectorELNS0_4arch9wavefront6targetE1EEEvSJ_.num_named_barrier, 0
	.set _ZN7rocprim17ROCPRIM_400000_NS6detail17trampoline_kernelINS0_14default_configENS1_38merge_sort_block_merge_config_selectorIxxEEZZNS1_27merge_sort_block_merge_implIS3_N6thrust23THRUST_200600_302600_NS6detail15normal_iteratorINS8_10device_ptrIxEEEESD_jNS1_19radix_merge_compareILb0ELb0ExNS0_19identity_decomposerEEEEE10hipError_tT0_T1_T2_jT3_P12ihipStream_tbPNSt15iterator_traitsISI_E10value_typeEPNSO_ISJ_E10value_typeEPSK_NS1_7vsmem_tEENKUlT_SI_SJ_SK_E_clISD_PxSD_S10_EESH_SX_SI_SJ_SK_EUlSX_E1_NS1_11comp_targetILNS1_3genE8ELNS1_11target_archE1030ELNS1_3gpuE2ELNS1_3repE0EEENS1_36merge_oddeven_config_static_selectorELNS0_4arch9wavefront6targetE1EEEvSJ_.private_seg_size, 0
	.set _ZN7rocprim17ROCPRIM_400000_NS6detail17trampoline_kernelINS0_14default_configENS1_38merge_sort_block_merge_config_selectorIxxEEZZNS1_27merge_sort_block_merge_implIS3_N6thrust23THRUST_200600_302600_NS6detail15normal_iteratorINS8_10device_ptrIxEEEESD_jNS1_19radix_merge_compareILb0ELb0ExNS0_19identity_decomposerEEEEE10hipError_tT0_T1_T2_jT3_P12ihipStream_tbPNSt15iterator_traitsISI_E10value_typeEPNSO_ISJ_E10value_typeEPSK_NS1_7vsmem_tEENKUlT_SI_SJ_SK_E_clISD_PxSD_S10_EESH_SX_SI_SJ_SK_EUlSX_E1_NS1_11comp_targetILNS1_3genE8ELNS1_11target_archE1030ELNS1_3gpuE2ELNS1_3repE0EEENS1_36merge_oddeven_config_static_selectorELNS0_4arch9wavefront6targetE1EEEvSJ_.uses_vcc, 0
	.set _ZN7rocprim17ROCPRIM_400000_NS6detail17trampoline_kernelINS0_14default_configENS1_38merge_sort_block_merge_config_selectorIxxEEZZNS1_27merge_sort_block_merge_implIS3_N6thrust23THRUST_200600_302600_NS6detail15normal_iteratorINS8_10device_ptrIxEEEESD_jNS1_19radix_merge_compareILb0ELb0ExNS0_19identity_decomposerEEEEE10hipError_tT0_T1_T2_jT3_P12ihipStream_tbPNSt15iterator_traitsISI_E10value_typeEPNSO_ISJ_E10value_typeEPSK_NS1_7vsmem_tEENKUlT_SI_SJ_SK_E_clISD_PxSD_S10_EESH_SX_SI_SJ_SK_EUlSX_E1_NS1_11comp_targetILNS1_3genE8ELNS1_11target_archE1030ELNS1_3gpuE2ELNS1_3repE0EEENS1_36merge_oddeven_config_static_selectorELNS0_4arch9wavefront6targetE1EEEvSJ_.uses_flat_scratch, 0
	.set _ZN7rocprim17ROCPRIM_400000_NS6detail17trampoline_kernelINS0_14default_configENS1_38merge_sort_block_merge_config_selectorIxxEEZZNS1_27merge_sort_block_merge_implIS3_N6thrust23THRUST_200600_302600_NS6detail15normal_iteratorINS8_10device_ptrIxEEEESD_jNS1_19radix_merge_compareILb0ELb0ExNS0_19identity_decomposerEEEEE10hipError_tT0_T1_T2_jT3_P12ihipStream_tbPNSt15iterator_traitsISI_E10value_typeEPNSO_ISJ_E10value_typeEPSK_NS1_7vsmem_tEENKUlT_SI_SJ_SK_E_clISD_PxSD_S10_EESH_SX_SI_SJ_SK_EUlSX_E1_NS1_11comp_targetILNS1_3genE8ELNS1_11target_archE1030ELNS1_3gpuE2ELNS1_3repE0EEENS1_36merge_oddeven_config_static_selectorELNS0_4arch9wavefront6targetE1EEEvSJ_.has_dyn_sized_stack, 0
	.set _ZN7rocprim17ROCPRIM_400000_NS6detail17trampoline_kernelINS0_14default_configENS1_38merge_sort_block_merge_config_selectorIxxEEZZNS1_27merge_sort_block_merge_implIS3_N6thrust23THRUST_200600_302600_NS6detail15normal_iteratorINS8_10device_ptrIxEEEESD_jNS1_19radix_merge_compareILb0ELb0ExNS0_19identity_decomposerEEEEE10hipError_tT0_T1_T2_jT3_P12ihipStream_tbPNSt15iterator_traitsISI_E10value_typeEPNSO_ISJ_E10value_typeEPSK_NS1_7vsmem_tEENKUlT_SI_SJ_SK_E_clISD_PxSD_S10_EESH_SX_SI_SJ_SK_EUlSX_E1_NS1_11comp_targetILNS1_3genE8ELNS1_11target_archE1030ELNS1_3gpuE2ELNS1_3repE0EEENS1_36merge_oddeven_config_static_selectorELNS0_4arch9wavefront6targetE1EEEvSJ_.has_recursion, 0
	.set _ZN7rocprim17ROCPRIM_400000_NS6detail17trampoline_kernelINS0_14default_configENS1_38merge_sort_block_merge_config_selectorIxxEEZZNS1_27merge_sort_block_merge_implIS3_N6thrust23THRUST_200600_302600_NS6detail15normal_iteratorINS8_10device_ptrIxEEEESD_jNS1_19radix_merge_compareILb0ELb0ExNS0_19identity_decomposerEEEEE10hipError_tT0_T1_T2_jT3_P12ihipStream_tbPNSt15iterator_traitsISI_E10value_typeEPNSO_ISJ_E10value_typeEPSK_NS1_7vsmem_tEENKUlT_SI_SJ_SK_E_clISD_PxSD_S10_EESH_SX_SI_SJ_SK_EUlSX_E1_NS1_11comp_targetILNS1_3genE8ELNS1_11target_archE1030ELNS1_3gpuE2ELNS1_3repE0EEENS1_36merge_oddeven_config_static_selectorELNS0_4arch9wavefront6targetE1EEEvSJ_.has_indirect_call, 0
	.section	.AMDGPU.csdata,"",@progbits
; Kernel info:
; codeLenInByte = 0
; TotalNumSgprs: 6
; NumVgprs: 0
; NumAgprs: 0
; TotalNumVgprs: 0
; ScratchSize: 0
; MemoryBound: 0
; FloatMode: 240
; IeeeMode: 1
; LDSByteSize: 0 bytes/workgroup (compile time only)
; SGPRBlocks: 0
; VGPRBlocks: 0
; NumSGPRsForWavesPerEU: 6
; NumVGPRsForWavesPerEU: 1
; AccumOffset: 4
; Occupancy: 8
; WaveLimiterHint : 0
; COMPUTE_PGM_RSRC2:SCRATCH_EN: 0
; COMPUTE_PGM_RSRC2:USER_SGPR: 2
; COMPUTE_PGM_RSRC2:TRAP_HANDLER: 0
; COMPUTE_PGM_RSRC2:TGID_X_EN: 1
; COMPUTE_PGM_RSRC2:TGID_Y_EN: 0
; COMPUTE_PGM_RSRC2:TGID_Z_EN: 0
; COMPUTE_PGM_RSRC2:TIDIG_COMP_CNT: 0
; COMPUTE_PGM_RSRC3_GFX90A:ACCUM_OFFSET: 0
; COMPUTE_PGM_RSRC3_GFX90A:TG_SPLIT: 0
	.section	.text._ZN7rocprim17ROCPRIM_400000_NS6detail17trampoline_kernelINS0_14default_configENS1_25transform_config_selectorIxLb0EEEZNS1_14transform_implILb0ES3_S5_PxN6thrust23THRUST_200600_302600_NS6detail15normal_iteratorINS9_10device_ptrIxEEEENS0_8identityIxEEEE10hipError_tT2_T3_mT4_P12ihipStream_tbEUlT_E_NS1_11comp_targetILNS1_3genE0ELNS1_11target_archE4294967295ELNS1_3gpuE0ELNS1_3repE0EEENS1_30default_config_static_selectorELNS0_4arch9wavefront6targetE1EEEvT1_,"axG",@progbits,_ZN7rocprim17ROCPRIM_400000_NS6detail17trampoline_kernelINS0_14default_configENS1_25transform_config_selectorIxLb0EEEZNS1_14transform_implILb0ES3_S5_PxN6thrust23THRUST_200600_302600_NS6detail15normal_iteratorINS9_10device_ptrIxEEEENS0_8identityIxEEEE10hipError_tT2_T3_mT4_P12ihipStream_tbEUlT_E_NS1_11comp_targetILNS1_3genE0ELNS1_11target_archE4294967295ELNS1_3gpuE0ELNS1_3repE0EEENS1_30default_config_static_selectorELNS0_4arch9wavefront6targetE1EEEvT1_,comdat
	.protected	_ZN7rocprim17ROCPRIM_400000_NS6detail17trampoline_kernelINS0_14default_configENS1_25transform_config_selectorIxLb0EEEZNS1_14transform_implILb0ES3_S5_PxN6thrust23THRUST_200600_302600_NS6detail15normal_iteratorINS9_10device_ptrIxEEEENS0_8identityIxEEEE10hipError_tT2_T3_mT4_P12ihipStream_tbEUlT_E_NS1_11comp_targetILNS1_3genE0ELNS1_11target_archE4294967295ELNS1_3gpuE0ELNS1_3repE0EEENS1_30default_config_static_selectorELNS0_4arch9wavefront6targetE1EEEvT1_ ; -- Begin function _ZN7rocprim17ROCPRIM_400000_NS6detail17trampoline_kernelINS0_14default_configENS1_25transform_config_selectorIxLb0EEEZNS1_14transform_implILb0ES3_S5_PxN6thrust23THRUST_200600_302600_NS6detail15normal_iteratorINS9_10device_ptrIxEEEENS0_8identityIxEEEE10hipError_tT2_T3_mT4_P12ihipStream_tbEUlT_E_NS1_11comp_targetILNS1_3genE0ELNS1_11target_archE4294967295ELNS1_3gpuE0ELNS1_3repE0EEENS1_30default_config_static_selectorELNS0_4arch9wavefront6targetE1EEEvT1_
	.globl	_ZN7rocprim17ROCPRIM_400000_NS6detail17trampoline_kernelINS0_14default_configENS1_25transform_config_selectorIxLb0EEEZNS1_14transform_implILb0ES3_S5_PxN6thrust23THRUST_200600_302600_NS6detail15normal_iteratorINS9_10device_ptrIxEEEENS0_8identityIxEEEE10hipError_tT2_T3_mT4_P12ihipStream_tbEUlT_E_NS1_11comp_targetILNS1_3genE0ELNS1_11target_archE4294967295ELNS1_3gpuE0ELNS1_3repE0EEENS1_30default_config_static_selectorELNS0_4arch9wavefront6targetE1EEEvT1_
	.p2align	8
	.type	_ZN7rocprim17ROCPRIM_400000_NS6detail17trampoline_kernelINS0_14default_configENS1_25transform_config_selectorIxLb0EEEZNS1_14transform_implILb0ES3_S5_PxN6thrust23THRUST_200600_302600_NS6detail15normal_iteratorINS9_10device_ptrIxEEEENS0_8identityIxEEEE10hipError_tT2_T3_mT4_P12ihipStream_tbEUlT_E_NS1_11comp_targetILNS1_3genE0ELNS1_11target_archE4294967295ELNS1_3gpuE0ELNS1_3repE0EEENS1_30default_config_static_selectorELNS0_4arch9wavefront6targetE1EEEvT1_,@function
_ZN7rocprim17ROCPRIM_400000_NS6detail17trampoline_kernelINS0_14default_configENS1_25transform_config_selectorIxLb0EEEZNS1_14transform_implILb0ES3_S5_PxN6thrust23THRUST_200600_302600_NS6detail15normal_iteratorINS9_10device_ptrIxEEEENS0_8identityIxEEEE10hipError_tT2_T3_mT4_P12ihipStream_tbEUlT_E_NS1_11comp_targetILNS1_3genE0ELNS1_11target_archE4294967295ELNS1_3gpuE0ELNS1_3repE0EEENS1_30default_config_static_selectorELNS0_4arch9wavefront6targetE1EEEvT1_: ; @_ZN7rocprim17ROCPRIM_400000_NS6detail17trampoline_kernelINS0_14default_configENS1_25transform_config_selectorIxLb0EEEZNS1_14transform_implILb0ES3_S5_PxN6thrust23THRUST_200600_302600_NS6detail15normal_iteratorINS9_10device_ptrIxEEEENS0_8identityIxEEEE10hipError_tT2_T3_mT4_P12ihipStream_tbEUlT_E_NS1_11comp_targetILNS1_3genE0ELNS1_11target_archE4294967295ELNS1_3gpuE0ELNS1_3repE0EEENS1_30default_config_static_selectorELNS0_4arch9wavefront6targetE1EEEvT1_
; %bb.0:
	s_load_dword s3, s[0:1], 0x28
	s_load_dword s5, s[0:1], 0x10
	s_lshl_b32 s4, s2, 7
	s_waitcnt lgkmcnt(0)
	s_add_i32 s3, s3, -1
	s_cmp_lg_u32 s2, s3
	s_cselect_b64 s[2:3], -1, 0
	s_sub_i32 s5, s5, s4
	v_cmp_gt_u32_e32 vcc, s5, v0
	s_or_b64 s[2:3], vcc, s[2:3]
	s_and_saveexec_b64 s[6:7], s[2:3]
	s_cbranch_execz .LBB1113_2
; %bb.1:
	s_load_dwordx4 s[8:11], s[0:1], 0x0
	s_load_dwordx2 s[2:3], s[0:1], 0x18
	s_mov_b32 s5, 0
	v_lshlrev_b32_e32 v0, 3, v0
	v_mov_b32_e32 v1, 0
	s_waitcnt lgkmcnt(0)
	s_lshl_b64 s[0:1], s[10:11], 3
	s_add_u32 s6, s8, s0
	s_addc_u32 s7, s9, s1
	s_lshl_b64 s[4:5], s[4:5], 3
	s_add_u32 s6, s6, s4
	s_addc_u32 s7, s7, s5
	global_load_dwordx2 v[2:3], v0, s[6:7]
	s_add_u32 s0, s2, s0
	s_addc_u32 s1, s3, s1
	s_add_u32 s0, s0, s4
	s_addc_u32 s1, s1, s5
	v_lshl_add_u64 v[0:1], s[0:1], 0, v[0:1]
	s_waitcnt vmcnt(0)
	flat_store_dwordx2 v[0:1], v[2:3]
.LBB1113_2:
	s_endpgm
	.section	.rodata,"a",@progbits
	.p2align	6, 0x0
	.amdhsa_kernel _ZN7rocprim17ROCPRIM_400000_NS6detail17trampoline_kernelINS0_14default_configENS1_25transform_config_selectorIxLb0EEEZNS1_14transform_implILb0ES3_S5_PxN6thrust23THRUST_200600_302600_NS6detail15normal_iteratorINS9_10device_ptrIxEEEENS0_8identityIxEEEE10hipError_tT2_T3_mT4_P12ihipStream_tbEUlT_E_NS1_11comp_targetILNS1_3genE0ELNS1_11target_archE4294967295ELNS1_3gpuE0ELNS1_3repE0EEENS1_30default_config_static_selectorELNS0_4arch9wavefront6targetE1EEEvT1_
		.amdhsa_group_segment_fixed_size 0
		.amdhsa_private_segment_fixed_size 0
		.amdhsa_kernarg_size 296
		.amdhsa_user_sgpr_count 2
		.amdhsa_user_sgpr_dispatch_ptr 0
		.amdhsa_user_sgpr_queue_ptr 0
		.amdhsa_user_sgpr_kernarg_segment_ptr 1
		.amdhsa_user_sgpr_dispatch_id 0
		.amdhsa_user_sgpr_kernarg_preload_length 0
		.amdhsa_user_sgpr_kernarg_preload_offset 0
		.amdhsa_user_sgpr_private_segment_size 0
		.amdhsa_uses_dynamic_stack 0
		.amdhsa_enable_private_segment 0
		.amdhsa_system_sgpr_workgroup_id_x 1
		.amdhsa_system_sgpr_workgroup_id_y 0
		.amdhsa_system_sgpr_workgroup_id_z 0
		.amdhsa_system_sgpr_workgroup_info 0
		.amdhsa_system_vgpr_workitem_id 0
		.amdhsa_next_free_vgpr 4
		.amdhsa_next_free_sgpr 12
		.amdhsa_accum_offset 4
		.amdhsa_reserve_vcc 1
		.amdhsa_float_round_mode_32 0
		.amdhsa_float_round_mode_16_64 0
		.amdhsa_float_denorm_mode_32 3
		.amdhsa_float_denorm_mode_16_64 3
		.amdhsa_dx10_clamp 1
		.amdhsa_ieee_mode 1
		.amdhsa_fp16_overflow 0
		.amdhsa_tg_split 0
		.amdhsa_exception_fp_ieee_invalid_op 0
		.amdhsa_exception_fp_denorm_src 0
		.amdhsa_exception_fp_ieee_div_zero 0
		.amdhsa_exception_fp_ieee_overflow 0
		.amdhsa_exception_fp_ieee_underflow 0
		.amdhsa_exception_fp_ieee_inexact 0
		.amdhsa_exception_int_div_zero 0
	.end_amdhsa_kernel
	.section	.text._ZN7rocprim17ROCPRIM_400000_NS6detail17trampoline_kernelINS0_14default_configENS1_25transform_config_selectorIxLb0EEEZNS1_14transform_implILb0ES3_S5_PxN6thrust23THRUST_200600_302600_NS6detail15normal_iteratorINS9_10device_ptrIxEEEENS0_8identityIxEEEE10hipError_tT2_T3_mT4_P12ihipStream_tbEUlT_E_NS1_11comp_targetILNS1_3genE0ELNS1_11target_archE4294967295ELNS1_3gpuE0ELNS1_3repE0EEENS1_30default_config_static_selectorELNS0_4arch9wavefront6targetE1EEEvT1_,"axG",@progbits,_ZN7rocprim17ROCPRIM_400000_NS6detail17trampoline_kernelINS0_14default_configENS1_25transform_config_selectorIxLb0EEEZNS1_14transform_implILb0ES3_S5_PxN6thrust23THRUST_200600_302600_NS6detail15normal_iteratorINS9_10device_ptrIxEEEENS0_8identityIxEEEE10hipError_tT2_T3_mT4_P12ihipStream_tbEUlT_E_NS1_11comp_targetILNS1_3genE0ELNS1_11target_archE4294967295ELNS1_3gpuE0ELNS1_3repE0EEENS1_30default_config_static_selectorELNS0_4arch9wavefront6targetE1EEEvT1_,comdat
.Lfunc_end1113:
	.size	_ZN7rocprim17ROCPRIM_400000_NS6detail17trampoline_kernelINS0_14default_configENS1_25transform_config_selectorIxLb0EEEZNS1_14transform_implILb0ES3_S5_PxN6thrust23THRUST_200600_302600_NS6detail15normal_iteratorINS9_10device_ptrIxEEEENS0_8identityIxEEEE10hipError_tT2_T3_mT4_P12ihipStream_tbEUlT_E_NS1_11comp_targetILNS1_3genE0ELNS1_11target_archE4294967295ELNS1_3gpuE0ELNS1_3repE0EEENS1_30default_config_static_selectorELNS0_4arch9wavefront6targetE1EEEvT1_, .Lfunc_end1113-_ZN7rocprim17ROCPRIM_400000_NS6detail17trampoline_kernelINS0_14default_configENS1_25transform_config_selectorIxLb0EEEZNS1_14transform_implILb0ES3_S5_PxN6thrust23THRUST_200600_302600_NS6detail15normal_iteratorINS9_10device_ptrIxEEEENS0_8identityIxEEEE10hipError_tT2_T3_mT4_P12ihipStream_tbEUlT_E_NS1_11comp_targetILNS1_3genE0ELNS1_11target_archE4294967295ELNS1_3gpuE0ELNS1_3repE0EEENS1_30default_config_static_selectorELNS0_4arch9wavefront6targetE1EEEvT1_
                                        ; -- End function
	.set _ZN7rocprim17ROCPRIM_400000_NS6detail17trampoline_kernelINS0_14default_configENS1_25transform_config_selectorIxLb0EEEZNS1_14transform_implILb0ES3_S5_PxN6thrust23THRUST_200600_302600_NS6detail15normal_iteratorINS9_10device_ptrIxEEEENS0_8identityIxEEEE10hipError_tT2_T3_mT4_P12ihipStream_tbEUlT_E_NS1_11comp_targetILNS1_3genE0ELNS1_11target_archE4294967295ELNS1_3gpuE0ELNS1_3repE0EEENS1_30default_config_static_selectorELNS0_4arch9wavefront6targetE1EEEvT1_.num_vgpr, 4
	.set _ZN7rocprim17ROCPRIM_400000_NS6detail17trampoline_kernelINS0_14default_configENS1_25transform_config_selectorIxLb0EEEZNS1_14transform_implILb0ES3_S5_PxN6thrust23THRUST_200600_302600_NS6detail15normal_iteratorINS9_10device_ptrIxEEEENS0_8identityIxEEEE10hipError_tT2_T3_mT4_P12ihipStream_tbEUlT_E_NS1_11comp_targetILNS1_3genE0ELNS1_11target_archE4294967295ELNS1_3gpuE0ELNS1_3repE0EEENS1_30default_config_static_selectorELNS0_4arch9wavefront6targetE1EEEvT1_.num_agpr, 0
	.set _ZN7rocprim17ROCPRIM_400000_NS6detail17trampoline_kernelINS0_14default_configENS1_25transform_config_selectorIxLb0EEEZNS1_14transform_implILb0ES3_S5_PxN6thrust23THRUST_200600_302600_NS6detail15normal_iteratorINS9_10device_ptrIxEEEENS0_8identityIxEEEE10hipError_tT2_T3_mT4_P12ihipStream_tbEUlT_E_NS1_11comp_targetILNS1_3genE0ELNS1_11target_archE4294967295ELNS1_3gpuE0ELNS1_3repE0EEENS1_30default_config_static_selectorELNS0_4arch9wavefront6targetE1EEEvT1_.numbered_sgpr, 12
	.set _ZN7rocprim17ROCPRIM_400000_NS6detail17trampoline_kernelINS0_14default_configENS1_25transform_config_selectorIxLb0EEEZNS1_14transform_implILb0ES3_S5_PxN6thrust23THRUST_200600_302600_NS6detail15normal_iteratorINS9_10device_ptrIxEEEENS0_8identityIxEEEE10hipError_tT2_T3_mT4_P12ihipStream_tbEUlT_E_NS1_11comp_targetILNS1_3genE0ELNS1_11target_archE4294967295ELNS1_3gpuE0ELNS1_3repE0EEENS1_30default_config_static_selectorELNS0_4arch9wavefront6targetE1EEEvT1_.num_named_barrier, 0
	.set _ZN7rocprim17ROCPRIM_400000_NS6detail17trampoline_kernelINS0_14default_configENS1_25transform_config_selectorIxLb0EEEZNS1_14transform_implILb0ES3_S5_PxN6thrust23THRUST_200600_302600_NS6detail15normal_iteratorINS9_10device_ptrIxEEEENS0_8identityIxEEEE10hipError_tT2_T3_mT4_P12ihipStream_tbEUlT_E_NS1_11comp_targetILNS1_3genE0ELNS1_11target_archE4294967295ELNS1_3gpuE0ELNS1_3repE0EEENS1_30default_config_static_selectorELNS0_4arch9wavefront6targetE1EEEvT1_.private_seg_size, 0
	.set _ZN7rocprim17ROCPRIM_400000_NS6detail17trampoline_kernelINS0_14default_configENS1_25transform_config_selectorIxLb0EEEZNS1_14transform_implILb0ES3_S5_PxN6thrust23THRUST_200600_302600_NS6detail15normal_iteratorINS9_10device_ptrIxEEEENS0_8identityIxEEEE10hipError_tT2_T3_mT4_P12ihipStream_tbEUlT_E_NS1_11comp_targetILNS1_3genE0ELNS1_11target_archE4294967295ELNS1_3gpuE0ELNS1_3repE0EEENS1_30default_config_static_selectorELNS0_4arch9wavefront6targetE1EEEvT1_.uses_vcc, 1
	.set _ZN7rocprim17ROCPRIM_400000_NS6detail17trampoline_kernelINS0_14default_configENS1_25transform_config_selectorIxLb0EEEZNS1_14transform_implILb0ES3_S5_PxN6thrust23THRUST_200600_302600_NS6detail15normal_iteratorINS9_10device_ptrIxEEEENS0_8identityIxEEEE10hipError_tT2_T3_mT4_P12ihipStream_tbEUlT_E_NS1_11comp_targetILNS1_3genE0ELNS1_11target_archE4294967295ELNS1_3gpuE0ELNS1_3repE0EEENS1_30default_config_static_selectorELNS0_4arch9wavefront6targetE1EEEvT1_.uses_flat_scratch, 0
	.set _ZN7rocprim17ROCPRIM_400000_NS6detail17trampoline_kernelINS0_14default_configENS1_25transform_config_selectorIxLb0EEEZNS1_14transform_implILb0ES3_S5_PxN6thrust23THRUST_200600_302600_NS6detail15normal_iteratorINS9_10device_ptrIxEEEENS0_8identityIxEEEE10hipError_tT2_T3_mT4_P12ihipStream_tbEUlT_E_NS1_11comp_targetILNS1_3genE0ELNS1_11target_archE4294967295ELNS1_3gpuE0ELNS1_3repE0EEENS1_30default_config_static_selectorELNS0_4arch9wavefront6targetE1EEEvT1_.has_dyn_sized_stack, 0
	.set _ZN7rocprim17ROCPRIM_400000_NS6detail17trampoline_kernelINS0_14default_configENS1_25transform_config_selectorIxLb0EEEZNS1_14transform_implILb0ES3_S5_PxN6thrust23THRUST_200600_302600_NS6detail15normal_iteratorINS9_10device_ptrIxEEEENS0_8identityIxEEEE10hipError_tT2_T3_mT4_P12ihipStream_tbEUlT_E_NS1_11comp_targetILNS1_3genE0ELNS1_11target_archE4294967295ELNS1_3gpuE0ELNS1_3repE0EEENS1_30default_config_static_selectorELNS0_4arch9wavefront6targetE1EEEvT1_.has_recursion, 0
	.set _ZN7rocprim17ROCPRIM_400000_NS6detail17trampoline_kernelINS0_14default_configENS1_25transform_config_selectorIxLb0EEEZNS1_14transform_implILb0ES3_S5_PxN6thrust23THRUST_200600_302600_NS6detail15normal_iteratorINS9_10device_ptrIxEEEENS0_8identityIxEEEE10hipError_tT2_T3_mT4_P12ihipStream_tbEUlT_E_NS1_11comp_targetILNS1_3genE0ELNS1_11target_archE4294967295ELNS1_3gpuE0ELNS1_3repE0EEENS1_30default_config_static_selectorELNS0_4arch9wavefront6targetE1EEEvT1_.has_indirect_call, 0
	.section	.AMDGPU.csdata,"",@progbits
; Kernel info:
; codeLenInByte = 160
; TotalNumSgprs: 18
; NumVgprs: 4
; NumAgprs: 0
; TotalNumVgprs: 4
; ScratchSize: 0
; MemoryBound: 0
; FloatMode: 240
; IeeeMode: 1
; LDSByteSize: 0 bytes/workgroup (compile time only)
; SGPRBlocks: 2
; VGPRBlocks: 0
; NumSGPRsForWavesPerEU: 18
; NumVGPRsForWavesPerEU: 4
; AccumOffset: 4
; Occupancy: 8
; WaveLimiterHint : 0
; COMPUTE_PGM_RSRC2:SCRATCH_EN: 0
; COMPUTE_PGM_RSRC2:USER_SGPR: 2
; COMPUTE_PGM_RSRC2:TRAP_HANDLER: 0
; COMPUTE_PGM_RSRC2:TGID_X_EN: 1
; COMPUTE_PGM_RSRC2:TGID_Y_EN: 0
; COMPUTE_PGM_RSRC2:TGID_Z_EN: 0
; COMPUTE_PGM_RSRC2:TIDIG_COMP_CNT: 0
; COMPUTE_PGM_RSRC3_GFX90A:ACCUM_OFFSET: 0
; COMPUTE_PGM_RSRC3_GFX90A:TG_SPLIT: 0
	.section	.text._ZN7rocprim17ROCPRIM_400000_NS6detail17trampoline_kernelINS0_14default_configENS1_25transform_config_selectorIxLb0EEEZNS1_14transform_implILb0ES3_S5_PxN6thrust23THRUST_200600_302600_NS6detail15normal_iteratorINS9_10device_ptrIxEEEENS0_8identityIxEEEE10hipError_tT2_T3_mT4_P12ihipStream_tbEUlT_E_NS1_11comp_targetILNS1_3genE5ELNS1_11target_archE942ELNS1_3gpuE9ELNS1_3repE0EEENS1_30default_config_static_selectorELNS0_4arch9wavefront6targetE1EEEvT1_,"axG",@progbits,_ZN7rocprim17ROCPRIM_400000_NS6detail17trampoline_kernelINS0_14default_configENS1_25transform_config_selectorIxLb0EEEZNS1_14transform_implILb0ES3_S5_PxN6thrust23THRUST_200600_302600_NS6detail15normal_iteratorINS9_10device_ptrIxEEEENS0_8identityIxEEEE10hipError_tT2_T3_mT4_P12ihipStream_tbEUlT_E_NS1_11comp_targetILNS1_3genE5ELNS1_11target_archE942ELNS1_3gpuE9ELNS1_3repE0EEENS1_30default_config_static_selectorELNS0_4arch9wavefront6targetE1EEEvT1_,comdat
	.protected	_ZN7rocprim17ROCPRIM_400000_NS6detail17trampoline_kernelINS0_14default_configENS1_25transform_config_selectorIxLb0EEEZNS1_14transform_implILb0ES3_S5_PxN6thrust23THRUST_200600_302600_NS6detail15normal_iteratorINS9_10device_ptrIxEEEENS0_8identityIxEEEE10hipError_tT2_T3_mT4_P12ihipStream_tbEUlT_E_NS1_11comp_targetILNS1_3genE5ELNS1_11target_archE942ELNS1_3gpuE9ELNS1_3repE0EEENS1_30default_config_static_selectorELNS0_4arch9wavefront6targetE1EEEvT1_ ; -- Begin function _ZN7rocprim17ROCPRIM_400000_NS6detail17trampoline_kernelINS0_14default_configENS1_25transform_config_selectorIxLb0EEEZNS1_14transform_implILb0ES3_S5_PxN6thrust23THRUST_200600_302600_NS6detail15normal_iteratorINS9_10device_ptrIxEEEENS0_8identityIxEEEE10hipError_tT2_T3_mT4_P12ihipStream_tbEUlT_E_NS1_11comp_targetILNS1_3genE5ELNS1_11target_archE942ELNS1_3gpuE9ELNS1_3repE0EEENS1_30default_config_static_selectorELNS0_4arch9wavefront6targetE1EEEvT1_
	.globl	_ZN7rocprim17ROCPRIM_400000_NS6detail17trampoline_kernelINS0_14default_configENS1_25transform_config_selectorIxLb0EEEZNS1_14transform_implILb0ES3_S5_PxN6thrust23THRUST_200600_302600_NS6detail15normal_iteratorINS9_10device_ptrIxEEEENS0_8identityIxEEEE10hipError_tT2_T3_mT4_P12ihipStream_tbEUlT_E_NS1_11comp_targetILNS1_3genE5ELNS1_11target_archE942ELNS1_3gpuE9ELNS1_3repE0EEENS1_30default_config_static_selectorELNS0_4arch9wavefront6targetE1EEEvT1_
	.p2align	8
	.type	_ZN7rocprim17ROCPRIM_400000_NS6detail17trampoline_kernelINS0_14default_configENS1_25transform_config_selectorIxLb0EEEZNS1_14transform_implILb0ES3_S5_PxN6thrust23THRUST_200600_302600_NS6detail15normal_iteratorINS9_10device_ptrIxEEEENS0_8identityIxEEEE10hipError_tT2_T3_mT4_P12ihipStream_tbEUlT_E_NS1_11comp_targetILNS1_3genE5ELNS1_11target_archE942ELNS1_3gpuE9ELNS1_3repE0EEENS1_30default_config_static_selectorELNS0_4arch9wavefront6targetE1EEEvT1_,@function
_ZN7rocprim17ROCPRIM_400000_NS6detail17trampoline_kernelINS0_14default_configENS1_25transform_config_selectorIxLb0EEEZNS1_14transform_implILb0ES3_S5_PxN6thrust23THRUST_200600_302600_NS6detail15normal_iteratorINS9_10device_ptrIxEEEENS0_8identityIxEEEE10hipError_tT2_T3_mT4_P12ihipStream_tbEUlT_E_NS1_11comp_targetILNS1_3genE5ELNS1_11target_archE942ELNS1_3gpuE9ELNS1_3repE0EEENS1_30default_config_static_selectorELNS0_4arch9wavefront6targetE1EEEvT1_: ; @_ZN7rocprim17ROCPRIM_400000_NS6detail17trampoline_kernelINS0_14default_configENS1_25transform_config_selectorIxLb0EEEZNS1_14transform_implILb0ES3_S5_PxN6thrust23THRUST_200600_302600_NS6detail15normal_iteratorINS9_10device_ptrIxEEEENS0_8identityIxEEEE10hipError_tT2_T3_mT4_P12ihipStream_tbEUlT_E_NS1_11comp_targetILNS1_3genE5ELNS1_11target_archE942ELNS1_3gpuE9ELNS1_3repE0EEENS1_30default_config_static_selectorELNS0_4arch9wavefront6targetE1EEEvT1_
; %bb.0:
	.section	.rodata,"a",@progbits
	.p2align	6, 0x0
	.amdhsa_kernel _ZN7rocprim17ROCPRIM_400000_NS6detail17trampoline_kernelINS0_14default_configENS1_25transform_config_selectorIxLb0EEEZNS1_14transform_implILb0ES3_S5_PxN6thrust23THRUST_200600_302600_NS6detail15normal_iteratorINS9_10device_ptrIxEEEENS0_8identityIxEEEE10hipError_tT2_T3_mT4_P12ihipStream_tbEUlT_E_NS1_11comp_targetILNS1_3genE5ELNS1_11target_archE942ELNS1_3gpuE9ELNS1_3repE0EEENS1_30default_config_static_selectorELNS0_4arch9wavefront6targetE1EEEvT1_
		.amdhsa_group_segment_fixed_size 0
		.amdhsa_private_segment_fixed_size 0
		.amdhsa_kernarg_size 40
		.amdhsa_user_sgpr_count 2
		.amdhsa_user_sgpr_dispatch_ptr 0
		.amdhsa_user_sgpr_queue_ptr 0
		.amdhsa_user_sgpr_kernarg_segment_ptr 1
		.amdhsa_user_sgpr_dispatch_id 0
		.amdhsa_user_sgpr_kernarg_preload_length 0
		.amdhsa_user_sgpr_kernarg_preload_offset 0
		.amdhsa_user_sgpr_private_segment_size 0
		.amdhsa_uses_dynamic_stack 0
		.amdhsa_enable_private_segment 0
		.amdhsa_system_sgpr_workgroup_id_x 1
		.amdhsa_system_sgpr_workgroup_id_y 0
		.amdhsa_system_sgpr_workgroup_id_z 0
		.amdhsa_system_sgpr_workgroup_info 0
		.amdhsa_system_vgpr_workitem_id 0
		.amdhsa_next_free_vgpr 1
		.amdhsa_next_free_sgpr 0
		.amdhsa_accum_offset 4
		.amdhsa_reserve_vcc 0
		.amdhsa_float_round_mode_32 0
		.amdhsa_float_round_mode_16_64 0
		.amdhsa_float_denorm_mode_32 3
		.amdhsa_float_denorm_mode_16_64 3
		.amdhsa_dx10_clamp 1
		.amdhsa_ieee_mode 1
		.amdhsa_fp16_overflow 0
		.amdhsa_tg_split 0
		.amdhsa_exception_fp_ieee_invalid_op 0
		.amdhsa_exception_fp_denorm_src 0
		.amdhsa_exception_fp_ieee_div_zero 0
		.amdhsa_exception_fp_ieee_overflow 0
		.amdhsa_exception_fp_ieee_underflow 0
		.amdhsa_exception_fp_ieee_inexact 0
		.amdhsa_exception_int_div_zero 0
	.end_amdhsa_kernel
	.section	.text._ZN7rocprim17ROCPRIM_400000_NS6detail17trampoline_kernelINS0_14default_configENS1_25transform_config_selectorIxLb0EEEZNS1_14transform_implILb0ES3_S5_PxN6thrust23THRUST_200600_302600_NS6detail15normal_iteratorINS9_10device_ptrIxEEEENS0_8identityIxEEEE10hipError_tT2_T3_mT4_P12ihipStream_tbEUlT_E_NS1_11comp_targetILNS1_3genE5ELNS1_11target_archE942ELNS1_3gpuE9ELNS1_3repE0EEENS1_30default_config_static_selectorELNS0_4arch9wavefront6targetE1EEEvT1_,"axG",@progbits,_ZN7rocprim17ROCPRIM_400000_NS6detail17trampoline_kernelINS0_14default_configENS1_25transform_config_selectorIxLb0EEEZNS1_14transform_implILb0ES3_S5_PxN6thrust23THRUST_200600_302600_NS6detail15normal_iteratorINS9_10device_ptrIxEEEENS0_8identityIxEEEE10hipError_tT2_T3_mT4_P12ihipStream_tbEUlT_E_NS1_11comp_targetILNS1_3genE5ELNS1_11target_archE942ELNS1_3gpuE9ELNS1_3repE0EEENS1_30default_config_static_selectorELNS0_4arch9wavefront6targetE1EEEvT1_,comdat
.Lfunc_end1114:
	.size	_ZN7rocprim17ROCPRIM_400000_NS6detail17trampoline_kernelINS0_14default_configENS1_25transform_config_selectorIxLb0EEEZNS1_14transform_implILb0ES3_S5_PxN6thrust23THRUST_200600_302600_NS6detail15normal_iteratorINS9_10device_ptrIxEEEENS0_8identityIxEEEE10hipError_tT2_T3_mT4_P12ihipStream_tbEUlT_E_NS1_11comp_targetILNS1_3genE5ELNS1_11target_archE942ELNS1_3gpuE9ELNS1_3repE0EEENS1_30default_config_static_selectorELNS0_4arch9wavefront6targetE1EEEvT1_, .Lfunc_end1114-_ZN7rocprim17ROCPRIM_400000_NS6detail17trampoline_kernelINS0_14default_configENS1_25transform_config_selectorIxLb0EEEZNS1_14transform_implILb0ES3_S5_PxN6thrust23THRUST_200600_302600_NS6detail15normal_iteratorINS9_10device_ptrIxEEEENS0_8identityIxEEEE10hipError_tT2_T3_mT4_P12ihipStream_tbEUlT_E_NS1_11comp_targetILNS1_3genE5ELNS1_11target_archE942ELNS1_3gpuE9ELNS1_3repE0EEENS1_30default_config_static_selectorELNS0_4arch9wavefront6targetE1EEEvT1_
                                        ; -- End function
	.set _ZN7rocprim17ROCPRIM_400000_NS6detail17trampoline_kernelINS0_14default_configENS1_25transform_config_selectorIxLb0EEEZNS1_14transform_implILb0ES3_S5_PxN6thrust23THRUST_200600_302600_NS6detail15normal_iteratorINS9_10device_ptrIxEEEENS0_8identityIxEEEE10hipError_tT2_T3_mT4_P12ihipStream_tbEUlT_E_NS1_11comp_targetILNS1_3genE5ELNS1_11target_archE942ELNS1_3gpuE9ELNS1_3repE0EEENS1_30default_config_static_selectorELNS0_4arch9wavefront6targetE1EEEvT1_.num_vgpr, 0
	.set _ZN7rocprim17ROCPRIM_400000_NS6detail17trampoline_kernelINS0_14default_configENS1_25transform_config_selectorIxLb0EEEZNS1_14transform_implILb0ES3_S5_PxN6thrust23THRUST_200600_302600_NS6detail15normal_iteratorINS9_10device_ptrIxEEEENS0_8identityIxEEEE10hipError_tT2_T3_mT4_P12ihipStream_tbEUlT_E_NS1_11comp_targetILNS1_3genE5ELNS1_11target_archE942ELNS1_3gpuE9ELNS1_3repE0EEENS1_30default_config_static_selectorELNS0_4arch9wavefront6targetE1EEEvT1_.num_agpr, 0
	.set _ZN7rocprim17ROCPRIM_400000_NS6detail17trampoline_kernelINS0_14default_configENS1_25transform_config_selectorIxLb0EEEZNS1_14transform_implILb0ES3_S5_PxN6thrust23THRUST_200600_302600_NS6detail15normal_iteratorINS9_10device_ptrIxEEEENS0_8identityIxEEEE10hipError_tT2_T3_mT4_P12ihipStream_tbEUlT_E_NS1_11comp_targetILNS1_3genE5ELNS1_11target_archE942ELNS1_3gpuE9ELNS1_3repE0EEENS1_30default_config_static_selectorELNS0_4arch9wavefront6targetE1EEEvT1_.numbered_sgpr, 0
	.set _ZN7rocprim17ROCPRIM_400000_NS6detail17trampoline_kernelINS0_14default_configENS1_25transform_config_selectorIxLb0EEEZNS1_14transform_implILb0ES3_S5_PxN6thrust23THRUST_200600_302600_NS6detail15normal_iteratorINS9_10device_ptrIxEEEENS0_8identityIxEEEE10hipError_tT2_T3_mT4_P12ihipStream_tbEUlT_E_NS1_11comp_targetILNS1_3genE5ELNS1_11target_archE942ELNS1_3gpuE9ELNS1_3repE0EEENS1_30default_config_static_selectorELNS0_4arch9wavefront6targetE1EEEvT1_.num_named_barrier, 0
	.set _ZN7rocprim17ROCPRIM_400000_NS6detail17trampoline_kernelINS0_14default_configENS1_25transform_config_selectorIxLb0EEEZNS1_14transform_implILb0ES3_S5_PxN6thrust23THRUST_200600_302600_NS6detail15normal_iteratorINS9_10device_ptrIxEEEENS0_8identityIxEEEE10hipError_tT2_T3_mT4_P12ihipStream_tbEUlT_E_NS1_11comp_targetILNS1_3genE5ELNS1_11target_archE942ELNS1_3gpuE9ELNS1_3repE0EEENS1_30default_config_static_selectorELNS0_4arch9wavefront6targetE1EEEvT1_.private_seg_size, 0
	.set _ZN7rocprim17ROCPRIM_400000_NS6detail17trampoline_kernelINS0_14default_configENS1_25transform_config_selectorIxLb0EEEZNS1_14transform_implILb0ES3_S5_PxN6thrust23THRUST_200600_302600_NS6detail15normal_iteratorINS9_10device_ptrIxEEEENS0_8identityIxEEEE10hipError_tT2_T3_mT4_P12ihipStream_tbEUlT_E_NS1_11comp_targetILNS1_3genE5ELNS1_11target_archE942ELNS1_3gpuE9ELNS1_3repE0EEENS1_30default_config_static_selectorELNS0_4arch9wavefront6targetE1EEEvT1_.uses_vcc, 0
	.set _ZN7rocprim17ROCPRIM_400000_NS6detail17trampoline_kernelINS0_14default_configENS1_25transform_config_selectorIxLb0EEEZNS1_14transform_implILb0ES3_S5_PxN6thrust23THRUST_200600_302600_NS6detail15normal_iteratorINS9_10device_ptrIxEEEENS0_8identityIxEEEE10hipError_tT2_T3_mT4_P12ihipStream_tbEUlT_E_NS1_11comp_targetILNS1_3genE5ELNS1_11target_archE942ELNS1_3gpuE9ELNS1_3repE0EEENS1_30default_config_static_selectorELNS0_4arch9wavefront6targetE1EEEvT1_.uses_flat_scratch, 0
	.set _ZN7rocprim17ROCPRIM_400000_NS6detail17trampoline_kernelINS0_14default_configENS1_25transform_config_selectorIxLb0EEEZNS1_14transform_implILb0ES3_S5_PxN6thrust23THRUST_200600_302600_NS6detail15normal_iteratorINS9_10device_ptrIxEEEENS0_8identityIxEEEE10hipError_tT2_T3_mT4_P12ihipStream_tbEUlT_E_NS1_11comp_targetILNS1_3genE5ELNS1_11target_archE942ELNS1_3gpuE9ELNS1_3repE0EEENS1_30default_config_static_selectorELNS0_4arch9wavefront6targetE1EEEvT1_.has_dyn_sized_stack, 0
	.set _ZN7rocprim17ROCPRIM_400000_NS6detail17trampoline_kernelINS0_14default_configENS1_25transform_config_selectorIxLb0EEEZNS1_14transform_implILb0ES3_S5_PxN6thrust23THRUST_200600_302600_NS6detail15normal_iteratorINS9_10device_ptrIxEEEENS0_8identityIxEEEE10hipError_tT2_T3_mT4_P12ihipStream_tbEUlT_E_NS1_11comp_targetILNS1_3genE5ELNS1_11target_archE942ELNS1_3gpuE9ELNS1_3repE0EEENS1_30default_config_static_selectorELNS0_4arch9wavefront6targetE1EEEvT1_.has_recursion, 0
	.set _ZN7rocprim17ROCPRIM_400000_NS6detail17trampoline_kernelINS0_14default_configENS1_25transform_config_selectorIxLb0EEEZNS1_14transform_implILb0ES3_S5_PxN6thrust23THRUST_200600_302600_NS6detail15normal_iteratorINS9_10device_ptrIxEEEENS0_8identityIxEEEE10hipError_tT2_T3_mT4_P12ihipStream_tbEUlT_E_NS1_11comp_targetILNS1_3genE5ELNS1_11target_archE942ELNS1_3gpuE9ELNS1_3repE0EEENS1_30default_config_static_selectorELNS0_4arch9wavefront6targetE1EEEvT1_.has_indirect_call, 0
	.section	.AMDGPU.csdata,"",@progbits
; Kernel info:
; codeLenInByte = 0
; TotalNumSgprs: 6
; NumVgprs: 0
; NumAgprs: 0
; TotalNumVgprs: 0
; ScratchSize: 0
; MemoryBound: 0
; FloatMode: 240
; IeeeMode: 1
; LDSByteSize: 0 bytes/workgroup (compile time only)
; SGPRBlocks: 0
; VGPRBlocks: 0
; NumSGPRsForWavesPerEU: 6
; NumVGPRsForWavesPerEU: 1
; AccumOffset: 4
; Occupancy: 8
; WaveLimiterHint : 0
; COMPUTE_PGM_RSRC2:SCRATCH_EN: 0
; COMPUTE_PGM_RSRC2:USER_SGPR: 2
; COMPUTE_PGM_RSRC2:TRAP_HANDLER: 0
; COMPUTE_PGM_RSRC2:TGID_X_EN: 1
; COMPUTE_PGM_RSRC2:TGID_Y_EN: 0
; COMPUTE_PGM_RSRC2:TGID_Z_EN: 0
; COMPUTE_PGM_RSRC2:TIDIG_COMP_CNT: 0
; COMPUTE_PGM_RSRC3_GFX90A:ACCUM_OFFSET: 0
; COMPUTE_PGM_RSRC3_GFX90A:TG_SPLIT: 0
	.section	.text._ZN7rocprim17ROCPRIM_400000_NS6detail17trampoline_kernelINS0_14default_configENS1_25transform_config_selectorIxLb0EEEZNS1_14transform_implILb0ES3_S5_PxN6thrust23THRUST_200600_302600_NS6detail15normal_iteratorINS9_10device_ptrIxEEEENS0_8identityIxEEEE10hipError_tT2_T3_mT4_P12ihipStream_tbEUlT_E_NS1_11comp_targetILNS1_3genE4ELNS1_11target_archE910ELNS1_3gpuE8ELNS1_3repE0EEENS1_30default_config_static_selectorELNS0_4arch9wavefront6targetE1EEEvT1_,"axG",@progbits,_ZN7rocprim17ROCPRIM_400000_NS6detail17trampoline_kernelINS0_14default_configENS1_25transform_config_selectorIxLb0EEEZNS1_14transform_implILb0ES3_S5_PxN6thrust23THRUST_200600_302600_NS6detail15normal_iteratorINS9_10device_ptrIxEEEENS0_8identityIxEEEE10hipError_tT2_T3_mT4_P12ihipStream_tbEUlT_E_NS1_11comp_targetILNS1_3genE4ELNS1_11target_archE910ELNS1_3gpuE8ELNS1_3repE0EEENS1_30default_config_static_selectorELNS0_4arch9wavefront6targetE1EEEvT1_,comdat
	.protected	_ZN7rocprim17ROCPRIM_400000_NS6detail17trampoline_kernelINS0_14default_configENS1_25transform_config_selectorIxLb0EEEZNS1_14transform_implILb0ES3_S5_PxN6thrust23THRUST_200600_302600_NS6detail15normal_iteratorINS9_10device_ptrIxEEEENS0_8identityIxEEEE10hipError_tT2_T3_mT4_P12ihipStream_tbEUlT_E_NS1_11comp_targetILNS1_3genE4ELNS1_11target_archE910ELNS1_3gpuE8ELNS1_3repE0EEENS1_30default_config_static_selectorELNS0_4arch9wavefront6targetE1EEEvT1_ ; -- Begin function _ZN7rocprim17ROCPRIM_400000_NS6detail17trampoline_kernelINS0_14default_configENS1_25transform_config_selectorIxLb0EEEZNS1_14transform_implILb0ES3_S5_PxN6thrust23THRUST_200600_302600_NS6detail15normal_iteratorINS9_10device_ptrIxEEEENS0_8identityIxEEEE10hipError_tT2_T3_mT4_P12ihipStream_tbEUlT_E_NS1_11comp_targetILNS1_3genE4ELNS1_11target_archE910ELNS1_3gpuE8ELNS1_3repE0EEENS1_30default_config_static_selectorELNS0_4arch9wavefront6targetE1EEEvT1_
	.globl	_ZN7rocprim17ROCPRIM_400000_NS6detail17trampoline_kernelINS0_14default_configENS1_25transform_config_selectorIxLb0EEEZNS1_14transform_implILb0ES3_S5_PxN6thrust23THRUST_200600_302600_NS6detail15normal_iteratorINS9_10device_ptrIxEEEENS0_8identityIxEEEE10hipError_tT2_T3_mT4_P12ihipStream_tbEUlT_E_NS1_11comp_targetILNS1_3genE4ELNS1_11target_archE910ELNS1_3gpuE8ELNS1_3repE0EEENS1_30default_config_static_selectorELNS0_4arch9wavefront6targetE1EEEvT1_
	.p2align	8
	.type	_ZN7rocprim17ROCPRIM_400000_NS6detail17trampoline_kernelINS0_14default_configENS1_25transform_config_selectorIxLb0EEEZNS1_14transform_implILb0ES3_S5_PxN6thrust23THRUST_200600_302600_NS6detail15normal_iteratorINS9_10device_ptrIxEEEENS0_8identityIxEEEE10hipError_tT2_T3_mT4_P12ihipStream_tbEUlT_E_NS1_11comp_targetILNS1_3genE4ELNS1_11target_archE910ELNS1_3gpuE8ELNS1_3repE0EEENS1_30default_config_static_selectorELNS0_4arch9wavefront6targetE1EEEvT1_,@function
_ZN7rocprim17ROCPRIM_400000_NS6detail17trampoline_kernelINS0_14default_configENS1_25transform_config_selectorIxLb0EEEZNS1_14transform_implILb0ES3_S5_PxN6thrust23THRUST_200600_302600_NS6detail15normal_iteratorINS9_10device_ptrIxEEEENS0_8identityIxEEEE10hipError_tT2_T3_mT4_P12ihipStream_tbEUlT_E_NS1_11comp_targetILNS1_3genE4ELNS1_11target_archE910ELNS1_3gpuE8ELNS1_3repE0EEENS1_30default_config_static_selectorELNS0_4arch9wavefront6targetE1EEEvT1_: ; @_ZN7rocprim17ROCPRIM_400000_NS6detail17trampoline_kernelINS0_14default_configENS1_25transform_config_selectorIxLb0EEEZNS1_14transform_implILb0ES3_S5_PxN6thrust23THRUST_200600_302600_NS6detail15normal_iteratorINS9_10device_ptrIxEEEENS0_8identityIxEEEE10hipError_tT2_T3_mT4_P12ihipStream_tbEUlT_E_NS1_11comp_targetILNS1_3genE4ELNS1_11target_archE910ELNS1_3gpuE8ELNS1_3repE0EEENS1_30default_config_static_selectorELNS0_4arch9wavefront6targetE1EEEvT1_
; %bb.0:
	.section	.rodata,"a",@progbits
	.p2align	6, 0x0
	.amdhsa_kernel _ZN7rocprim17ROCPRIM_400000_NS6detail17trampoline_kernelINS0_14default_configENS1_25transform_config_selectorIxLb0EEEZNS1_14transform_implILb0ES3_S5_PxN6thrust23THRUST_200600_302600_NS6detail15normal_iteratorINS9_10device_ptrIxEEEENS0_8identityIxEEEE10hipError_tT2_T3_mT4_P12ihipStream_tbEUlT_E_NS1_11comp_targetILNS1_3genE4ELNS1_11target_archE910ELNS1_3gpuE8ELNS1_3repE0EEENS1_30default_config_static_selectorELNS0_4arch9wavefront6targetE1EEEvT1_
		.amdhsa_group_segment_fixed_size 0
		.amdhsa_private_segment_fixed_size 0
		.amdhsa_kernarg_size 40
		.amdhsa_user_sgpr_count 2
		.amdhsa_user_sgpr_dispatch_ptr 0
		.amdhsa_user_sgpr_queue_ptr 0
		.amdhsa_user_sgpr_kernarg_segment_ptr 1
		.amdhsa_user_sgpr_dispatch_id 0
		.amdhsa_user_sgpr_kernarg_preload_length 0
		.amdhsa_user_sgpr_kernarg_preload_offset 0
		.amdhsa_user_sgpr_private_segment_size 0
		.amdhsa_uses_dynamic_stack 0
		.amdhsa_enable_private_segment 0
		.amdhsa_system_sgpr_workgroup_id_x 1
		.amdhsa_system_sgpr_workgroup_id_y 0
		.amdhsa_system_sgpr_workgroup_id_z 0
		.amdhsa_system_sgpr_workgroup_info 0
		.amdhsa_system_vgpr_workitem_id 0
		.amdhsa_next_free_vgpr 1
		.amdhsa_next_free_sgpr 0
		.amdhsa_accum_offset 4
		.amdhsa_reserve_vcc 0
		.amdhsa_float_round_mode_32 0
		.amdhsa_float_round_mode_16_64 0
		.amdhsa_float_denorm_mode_32 3
		.amdhsa_float_denorm_mode_16_64 3
		.amdhsa_dx10_clamp 1
		.amdhsa_ieee_mode 1
		.amdhsa_fp16_overflow 0
		.amdhsa_tg_split 0
		.amdhsa_exception_fp_ieee_invalid_op 0
		.amdhsa_exception_fp_denorm_src 0
		.amdhsa_exception_fp_ieee_div_zero 0
		.amdhsa_exception_fp_ieee_overflow 0
		.amdhsa_exception_fp_ieee_underflow 0
		.amdhsa_exception_fp_ieee_inexact 0
		.amdhsa_exception_int_div_zero 0
	.end_amdhsa_kernel
	.section	.text._ZN7rocprim17ROCPRIM_400000_NS6detail17trampoline_kernelINS0_14default_configENS1_25transform_config_selectorIxLb0EEEZNS1_14transform_implILb0ES3_S5_PxN6thrust23THRUST_200600_302600_NS6detail15normal_iteratorINS9_10device_ptrIxEEEENS0_8identityIxEEEE10hipError_tT2_T3_mT4_P12ihipStream_tbEUlT_E_NS1_11comp_targetILNS1_3genE4ELNS1_11target_archE910ELNS1_3gpuE8ELNS1_3repE0EEENS1_30default_config_static_selectorELNS0_4arch9wavefront6targetE1EEEvT1_,"axG",@progbits,_ZN7rocprim17ROCPRIM_400000_NS6detail17trampoline_kernelINS0_14default_configENS1_25transform_config_selectorIxLb0EEEZNS1_14transform_implILb0ES3_S5_PxN6thrust23THRUST_200600_302600_NS6detail15normal_iteratorINS9_10device_ptrIxEEEENS0_8identityIxEEEE10hipError_tT2_T3_mT4_P12ihipStream_tbEUlT_E_NS1_11comp_targetILNS1_3genE4ELNS1_11target_archE910ELNS1_3gpuE8ELNS1_3repE0EEENS1_30default_config_static_selectorELNS0_4arch9wavefront6targetE1EEEvT1_,comdat
.Lfunc_end1115:
	.size	_ZN7rocprim17ROCPRIM_400000_NS6detail17trampoline_kernelINS0_14default_configENS1_25transform_config_selectorIxLb0EEEZNS1_14transform_implILb0ES3_S5_PxN6thrust23THRUST_200600_302600_NS6detail15normal_iteratorINS9_10device_ptrIxEEEENS0_8identityIxEEEE10hipError_tT2_T3_mT4_P12ihipStream_tbEUlT_E_NS1_11comp_targetILNS1_3genE4ELNS1_11target_archE910ELNS1_3gpuE8ELNS1_3repE0EEENS1_30default_config_static_selectorELNS0_4arch9wavefront6targetE1EEEvT1_, .Lfunc_end1115-_ZN7rocprim17ROCPRIM_400000_NS6detail17trampoline_kernelINS0_14default_configENS1_25transform_config_selectorIxLb0EEEZNS1_14transform_implILb0ES3_S5_PxN6thrust23THRUST_200600_302600_NS6detail15normal_iteratorINS9_10device_ptrIxEEEENS0_8identityIxEEEE10hipError_tT2_T3_mT4_P12ihipStream_tbEUlT_E_NS1_11comp_targetILNS1_3genE4ELNS1_11target_archE910ELNS1_3gpuE8ELNS1_3repE0EEENS1_30default_config_static_selectorELNS0_4arch9wavefront6targetE1EEEvT1_
                                        ; -- End function
	.set _ZN7rocprim17ROCPRIM_400000_NS6detail17trampoline_kernelINS0_14default_configENS1_25transform_config_selectorIxLb0EEEZNS1_14transform_implILb0ES3_S5_PxN6thrust23THRUST_200600_302600_NS6detail15normal_iteratorINS9_10device_ptrIxEEEENS0_8identityIxEEEE10hipError_tT2_T3_mT4_P12ihipStream_tbEUlT_E_NS1_11comp_targetILNS1_3genE4ELNS1_11target_archE910ELNS1_3gpuE8ELNS1_3repE0EEENS1_30default_config_static_selectorELNS0_4arch9wavefront6targetE1EEEvT1_.num_vgpr, 0
	.set _ZN7rocprim17ROCPRIM_400000_NS6detail17trampoline_kernelINS0_14default_configENS1_25transform_config_selectorIxLb0EEEZNS1_14transform_implILb0ES3_S5_PxN6thrust23THRUST_200600_302600_NS6detail15normal_iteratorINS9_10device_ptrIxEEEENS0_8identityIxEEEE10hipError_tT2_T3_mT4_P12ihipStream_tbEUlT_E_NS1_11comp_targetILNS1_3genE4ELNS1_11target_archE910ELNS1_3gpuE8ELNS1_3repE0EEENS1_30default_config_static_selectorELNS0_4arch9wavefront6targetE1EEEvT1_.num_agpr, 0
	.set _ZN7rocprim17ROCPRIM_400000_NS6detail17trampoline_kernelINS0_14default_configENS1_25transform_config_selectorIxLb0EEEZNS1_14transform_implILb0ES3_S5_PxN6thrust23THRUST_200600_302600_NS6detail15normal_iteratorINS9_10device_ptrIxEEEENS0_8identityIxEEEE10hipError_tT2_T3_mT4_P12ihipStream_tbEUlT_E_NS1_11comp_targetILNS1_3genE4ELNS1_11target_archE910ELNS1_3gpuE8ELNS1_3repE0EEENS1_30default_config_static_selectorELNS0_4arch9wavefront6targetE1EEEvT1_.numbered_sgpr, 0
	.set _ZN7rocprim17ROCPRIM_400000_NS6detail17trampoline_kernelINS0_14default_configENS1_25transform_config_selectorIxLb0EEEZNS1_14transform_implILb0ES3_S5_PxN6thrust23THRUST_200600_302600_NS6detail15normal_iteratorINS9_10device_ptrIxEEEENS0_8identityIxEEEE10hipError_tT2_T3_mT4_P12ihipStream_tbEUlT_E_NS1_11comp_targetILNS1_3genE4ELNS1_11target_archE910ELNS1_3gpuE8ELNS1_3repE0EEENS1_30default_config_static_selectorELNS0_4arch9wavefront6targetE1EEEvT1_.num_named_barrier, 0
	.set _ZN7rocprim17ROCPRIM_400000_NS6detail17trampoline_kernelINS0_14default_configENS1_25transform_config_selectorIxLb0EEEZNS1_14transform_implILb0ES3_S5_PxN6thrust23THRUST_200600_302600_NS6detail15normal_iteratorINS9_10device_ptrIxEEEENS0_8identityIxEEEE10hipError_tT2_T3_mT4_P12ihipStream_tbEUlT_E_NS1_11comp_targetILNS1_3genE4ELNS1_11target_archE910ELNS1_3gpuE8ELNS1_3repE0EEENS1_30default_config_static_selectorELNS0_4arch9wavefront6targetE1EEEvT1_.private_seg_size, 0
	.set _ZN7rocprim17ROCPRIM_400000_NS6detail17trampoline_kernelINS0_14default_configENS1_25transform_config_selectorIxLb0EEEZNS1_14transform_implILb0ES3_S5_PxN6thrust23THRUST_200600_302600_NS6detail15normal_iteratorINS9_10device_ptrIxEEEENS0_8identityIxEEEE10hipError_tT2_T3_mT4_P12ihipStream_tbEUlT_E_NS1_11comp_targetILNS1_3genE4ELNS1_11target_archE910ELNS1_3gpuE8ELNS1_3repE0EEENS1_30default_config_static_selectorELNS0_4arch9wavefront6targetE1EEEvT1_.uses_vcc, 0
	.set _ZN7rocprim17ROCPRIM_400000_NS6detail17trampoline_kernelINS0_14default_configENS1_25transform_config_selectorIxLb0EEEZNS1_14transform_implILb0ES3_S5_PxN6thrust23THRUST_200600_302600_NS6detail15normal_iteratorINS9_10device_ptrIxEEEENS0_8identityIxEEEE10hipError_tT2_T3_mT4_P12ihipStream_tbEUlT_E_NS1_11comp_targetILNS1_3genE4ELNS1_11target_archE910ELNS1_3gpuE8ELNS1_3repE0EEENS1_30default_config_static_selectorELNS0_4arch9wavefront6targetE1EEEvT1_.uses_flat_scratch, 0
	.set _ZN7rocprim17ROCPRIM_400000_NS6detail17trampoline_kernelINS0_14default_configENS1_25transform_config_selectorIxLb0EEEZNS1_14transform_implILb0ES3_S5_PxN6thrust23THRUST_200600_302600_NS6detail15normal_iteratorINS9_10device_ptrIxEEEENS0_8identityIxEEEE10hipError_tT2_T3_mT4_P12ihipStream_tbEUlT_E_NS1_11comp_targetILNS1_3genE4ELNS1_11target_archE910ELNS1_3gpuE8ELNS1_3repE0EEENS1_30default_config_static_selectorELNS0_4arch9wavefront6targetE1EEEvT1_.has_dyn_sized_stack, 0
	.set _ZN7rocprim17ROCPRIM_400000_NS6detail17trampoline_kernelINS0_14default_configENS1_25transform_config_selectorIxLb0EEEZNS1_14transform_implILb0ES3_S5_PxN6thrust23THRUST_200600_302600_NS6detail15normal_iteratorINS9_10device_ptrIxEEEENS0_8identityIxEEEE10hipError_tT2_T3_mT4_P12ihipStream_tbEUlT_E_NS1_11comp_targetILNS1_3genE4ELNS1_11target_archE910ELNS1_3gpuE8ELNS1_3repE0EEENS1_30default_config_static_selectorELNS0_4arch9wavefront6targetE1EEEvT1_.has_recursion, 0
	.set _ZN7rocprim17ROCPRIM_400000_NS6detail17trampoline_kernelINS0_14default_configENS1_25transform_config_selectorIxLb0EEEZNS1_14transform_implILb0ES3_S5_PxN6thrust23THRUST_200600_302600_NS6detail15normal_iteratorINS9_10device_ptrIxEEEENS0_8identityIxEEEE10hipError_tT2_T3_mT4_P12ihipStream_tbEUlT_E_NS1_11comp_targetILNS1_3genE4ELNS1_11target_archE910ELNS1_3gpuE8ELNS1_3repE0EEENS1_30default_config_static_selectorELNS0_4arch9wavefront6targetE1EEEvT1_.has_indirect_call, 0
	.section	.AMDGPU.csdata,"",@progbits
; Kernel info:
; codeLenInByte = 0
; TotalNumSgprs: 6
; NumVgprs: 0
; NumAgprs: 0
; TotalNumVgprs: 0
; ScratchSize: 0
; MemoryBound: 0
; FloatMode: 240
; IeeeMode: 1
; LDSByteSize: 0 bytes/workgroup (compile time only)
; SGPRBlocks: 0
; VGPRBlocks: 0
; NumSGPRsForWavesPerEU: 6
; NumVGPRsForWavesPerEU: 1
; AccumOffset: 4
; Occupancy: 8
; WaveLimiterHint : 0
; COMPUTE_PGM_RSRC2:SCRATCH_EN: 0
; COMPUTE_PGM_RSRC2:USER_SGPR: 2
; COMPUTE_PGM_RSRC2:TRAP_HANDLER: 0
; COMPUTE_PGM_RSRC2:TGID_X_EN: 1
; COMPUTE_PGM_RSRC2:TGID_Y_EN: 0
; COMPUTE_PGM_RSRC2:TGID_Z_EN: 0
; COMPUTE_PGM_RSRC2:TIDIG_COMP_CNT: 0
; COMPUTE_PGM_RSRC3_GFX90A:ACCUM_OFFSET: 0
; COMPUTE_PGM_RSRC3_GFX90A:TG_SPLIT: 0
	.section	.text._ZN7rocprim17ROCPRIM_400000_NS6detail17trampoline_kernelINS0_14default_configENS1_25transform_config_selectorIxLb0EEEZNS1_14transform_implILb0ES3_S5_PxN6thrust23THRUST_200600_302600_NS6detail15normal_iteratorINS9_10device_ptrIxEEEENS0_8identityIxEEEE10hipError_tT2_T3_mT4_P12ihipStream_tbEUlT_E_NS1_11comp_targetILNS1_3genE3ELNS1_11target_archE908ELNS1_3gpuE7ELNS1_3repE0EEENS1_30default_config_static_selectorELNS0_4arch9wavefront6targetE1EEEvT1_,"axG",@progbits,_ZN7rocprim17ROCPRIM_400000_NS6detail17trampoline_kernelINS0_14default_configENS1_25transform_config_selectorIxLb0EEEZNS1_14transform_implILb0ES3_S5_PxN6thrust23THRUST_200600_302600_NS6detail15normal_iteratorINS9_10device_ptrIxEEEENS0_8identityIxEEEE10hipError_tT2_T3_mT4_P12ihipStream_tbEUlT_E_NS1_11comp_targetILNS1_3genE3ELNS1_11target_archE908ELNS1_3gpuE7ELNS1_3repE0EEENS1_30default_config_static_selectorELNS0_4arch9wavefront6targetE1EEEvT1_,comdat
	.protected	_ZN7rocprim17ROCPRIM_400000_NS6detail17trampoline_kernelINS0_14default_configENS1_25transform_config_selectorIxLb0EEEZNS1_14transform_implILb0ES3_S5_PxN6thrust23THRUST_200600_302600_NS6detail15normal_iteratorINS9_10device_ptrIxEEEENS0_8identityIxEEEE10hipError_tT2_T3_mT4_P12ihipStream_tbEUlT_E_NS1_11comp_targetILNS1_3genE3ELNS1_11target_archE908ELNS1_3gpuE7ELNS1_3repE0EEENS1_30default_config_static_selectorELNS0_4arch9wavefront6targetE1EEEvT1_ ; -- Begin function _ZN7rocprim17ROCPRIM_400000_NS6detail17trampoline_kernelINS0_14default_configENS1_25transform_config_selectorIxLb0EEEZNS1_14transform_implILb0ES3_S5_PxN6thrust23THRUST_200600_302600_NS6detail15normal_iteratorINS9_10device_ptrIxEEEENS0_8identityIxEEEE10hipError_tT2_T3_mT4_P12ihipStream_tbEUlT_E_NS1_11comp_targetILNS1_3genE3ELNS1_11target_archE908ELNS1_3gpuE7ELNS1_3repE0EEENS1_30default_config_static_selectorELNS0_4arch9wavefront6targetE1EEEvT1_
	.globl	_ZN7rocprim17ROCPRIM_400000_NS6detail17trampoline_kernelINS0_14default_configENS1_25transform_config_selectorIxLb0EEEZNS1_14transform_implILb0ES3_S5_PxN6thrust23THRUST_200600_302600_NS6detail15normal_iteratorINS9_10device_ptrIxEEEENS0_8identityIxEEEE10hipError_tT2_T3_mT4_P12ihipStream_tbEUlT_E_NS1_11comp_targetILNS1_3genE3ELNS1_11target_archE908ELNS1_3gpuE7ELNS1_3repE0EEENS1_30default_config_static_selectorELNS0_4arch9wavefront6targetE1EEEvT1_
	.p2align	8
	.type	_ZN7rocprim17ROCPRIM_400000_NS6detail17trampoline_kernelINS0_14default_configENS1_25transform_config_selectorIxLb0EEEZNS1_14transform_implILb0ES3_S5_PxN6thrust23THRUST_200600_302600_NS6detail15normal_iteratorINS9_10device_ptrIxEEEENS0_8identityIxEEEE10hipError_tT2_T3_mT4_P12ihipStream_tbEUlT_E_NS1_11comp_targetILNS1_3genE3ELNS1_11target_archE908ELNS1_3gpuE7ELNS1_3repE0EEENS1_30default_config_static_selectorELNS0_4arch9wavefront6targetE1EEEvT1_,@function
_ZN7rocprim17ROCPRIM_400000_NS6detail17trampoline_kernelINS0_14default_configENS1_25transform_config_selectorIxLb0EEEZNS1_14transform_implILb0ES3_S5_PxN6thrust23THRUST_200600_302600_NS6detail15normal_iteratorINS9_10device_ptrIxEEEENS0_8identityIxEEEE10hipError_tT2_T3_mT4_P12ihipStream_tbEUlT_E_NS1_11comp_targetILNS1_3genE3ELNS1_11target_archE908ELNS1_3gpuE7ELNS1_3repE0EEENS1_30default_config_static_selectorELNS0_4arch9wavefront6targetE1EEEvT1_: ; @_ZN7rocprim17ROCPRIM_400000_NS6detail17trampoline_kernelINS0_14default_configENS1_25transform_config_selectorIxLb0EEEZNS1_14transform_implILb0ES3_S5_PxN6thrust23THRUST_200600_302600_NS6detail15normal_iteratorINS9_10device_ptrIxEEEENS0_8identityIxEEEE10hipError_tT2_T3_mT4_P12ihipStream_tbEUlT_E_NS1_11comp_targetILNS1_3genE3ELNS1_11target_archE908ELNS1_3gpuE7ELNS1_3repE0EEENS1_30default_config_static_selectorELNS0_4arch9wavefront6targetE1EEEvT1_
; %bb.0:
	.section	.rodata,"a",@progbits
	.p2align	6, 0x0
	.amdhsa_kernel _ZN7rocprim17ROCPRIM_400000_NS6detail17trampoline_kernelINS0_14default_configENS1_25transform_config_selectorIxLb0EEEZNS1_14transform_implILb0ES3_S5_PxN6thrust23THRUST_200600_302600_NS6detail15normal_iteratorINS9_10device_ptrIxEEEENS0_8identityIxEEEE10hipError_tT2_T3_mT4_P12ihipStream_tbEUlT_E_NS1_11comp_targetILNS1_3genE3ELNS1_11target_archE908ELNS1_3gpuE7ELNS1_3repE0EEENS1_30default_config_static_selectorELNS0_4arch9wavefront6targetE1EEEvT1_
		.amdhsa_group_segment_fixed_size 0
		.amdhsa_private_segment_fixed_size 0
		.amdhsa_kernarg_size 40
		.amdhsa_user_sgpr_count 2
		.amdhsa_user_sgpr_dispatch_ptr 0
		.amdhsa_user_sgpr_queue_ptr 0
		.amdhsa_user_sgpr_kernarg_segment_ptr 1
		.amdhsa_user_sgpr_dispatch_id 0
		.amdhsa_user_sgpr_kernarg_preload_length 0
		.amdhsa_user_sgpr_kernarg_preload_offset 0
		.amdhsa_user_sgpr_private_segment_size 0
		.amdhsa_uses_dynamic_stack 0
		.amdhsa_enable_private_segment 0
		.amdhsa_system_sgpr_workgroup_id_x 1
		.amdhsa_system_sgpr_workgroup_id_y 0
		.amdhsa_system_sgpr_workgroup_id_z 0
		.amdhsa_system_sgpr_workgroup_info 0
		.amdhsa_system_vgpr_workitem_id 0
		.amdhsa_next_free_vgpr 1
		.amdhsa_next_free_sgpr 0
		.amdhsa_accum_offset 4
		.amdhsa_reserve_vcc 0
		.amdhsa_float_round_mode_32 0
		.amdhsa_float_round_mode_16_64 0
		.amdhsa_float_denorm_mode_32 3
		.amdhsa_float_denorm_mode_16_64 3
		.amdhsa_dx10_clamp 1
		.amdhsa_ieee_mode 1
		.amdhsa_fp16_overflow 0
		.amdhsa_tg_split 0
		.amdhsa_exception_fp_ieee_invalid_op 0
		.amdhsa_exception_fp_denorm_src 0
		.amdhsa_exception_fp_ieee_div_zero 0
		.amdhsa_exception_fp_ieee_overflow 0
		.amdhsa_exception_fp_ieee_underflow 0
		.amdhsa_exception_fp_ieee_inexact 0
		.amdhsa_exception_int_div_zero 0
	.end_amdhsa_kernel
	.section	.text._ZN7rocprim17ROCPRIM_400000_NS6detail17trampoline_kernelINS0_14default_configENS1_25transform_config_selectorIxLb0EEEZNS1_14transform_implILb0ES3_S5_PxN6thrust23THRUST_200600_302600_NS6detail15normal_iteratorINS9_10device_ptrIxEEEENS0_8identityIxEEEE10hipError_tT2_T3_mT4_P12ihipStream_tbEUlT_E_NS1_11comp_targetILNS1_3genE3ELNS1_11target_archE908ELNS1_3gpuE7ELNS1_3repE0EEENS1_30default_config_static_selectorELNS0_4arch9wavefront6targetE1EEEvT1_,"axG",@progbits,_ZN7rocprim17ROCPRIM_400000_NS6detail17trampoline_kernelINS0_14default_configENS1_25transform_config_selectorIxLb0EEEZNS1_14transform_implILb0ES3_S5_PxN6thrust23THRUST_200600_302600_NS6detail15normal_iteratorINS9_10device_ptrIxEEEENS0_8identityIxEEEE10hipError_tT2_T3_mT4_P12ihipStream_tbEUlT_E_NS1_11comp_targetILNS1_3genE3ELNS1_11target_archE908ELNS1_3gpuE7ELNS1_3repE0EEENS1_30default_config_static_selectorELNS0_4arch9wavefront6targetE1EEEvT1_,comdat
.Lfunc_end1116:
	.size	_ZN7rocprim17ROCPRIM_400000_NS6detail17trampoline_kernelINS0_14default_configENS1_25transform_config_selectorIxLb0EEEZNS1_14transform_implILb0ES3_S5_PxN6thrust23THRUST_200600_302600_NS6detail15normal_iteratorINS9_10device_ptrIxEEEENS0_8identityIxEEEE10hipError_tT2_T3_mT4_P12ihipStream_tbEUlT_E_NS1_11comp_targetILNS1_3genE3ELNS1_11target_archE908ELNS1_3gpuE7ELNS1_3repE0EEENS1_30default_config_static_selectorELNS0_4arch9wavefront6targetE1EEEvT1_, .Lfunc_end1116-_ZN7rocprim17ROCPRIM_400000_NS6detail17trampoline_kernelINS0_14default_configENS1_25transform_config_selectorIxLb0EEEZNS1_14transform_implILb0ES3_S5_PxN6thrust23THRUST_200600_302600_NS6detail15normal_iteratorINS9_10device_ptrIxEEEENS0_8identityIxEEEE10hipError_tT2_T3_mT4_P12ihipStream_tbEUlT_E_NS1_11comp_targetILNS1_3genE3ELNS1_11target_archE908ELNS1_3gpuE7ELNS1_3repE0EEENS1_30default_config_static_selectorELNS0_4arch9wavefront6targetE1EEEvT1_
                                        ; -- End function
	.set _ZN7rocprim17ROCPRIM_400000_NS6detail17trampoline_kernelINS0_14default_configENS1_25transform_config_selectorIxLb0EEEZNS1_14transform_implILb0ES3_S5_PxN6thrust23THRUST_200600_302600_NS6detail15normal_iteratorINS9_10device_ptrIxEEEENS0_8identityIxEEEE10hipError_tT2_T3_mT4_P12ihipStream_tbEUlT_E_NS1_11comp_targetILNS1_3genE3ELNS1_11target_archE908ELNS1_3gpuE7ELNS1_3repE0EEENS1_30default_config_static_selectorELNS0_4arch9wavefront6targetE1EEEvT1_.num_vgpr, 0
	.set _ZN7rocprim17ROCPRIM_400000_NS6detail17trampoline_kernelINS0_14default_configENS1_25transform_config_selectorIxLb0EEEZNS1_14transform_implILb0ES3_S5_PxN6thrust23THRUST_200600_302600_NS6detail15normal_iteratorINS9_10device_ptrIxEEEENS0_8identityIxEEEE10hipError_tT2_T3_mT4_P12ihipStream_tbEUlT_E_NS1_11comp_targetILNS1_3genE3ELNS1_11target_archE908ELNS1_3gpuE7ELNS1_3repE0EEENS1_30default_config_static_selectorELNS0_4arch9wavefront6targetE1EEEvT1_.num_agpr, 0
	.set _ZN7rocprim17ROCPRIM_400000_NS6detail17trampoline_kernelINS0_14default_configENS1_25transform_config_selectorIxLb0EEEZNS1_14transform_implILb0ES3_S5_PxN6thrust23THRUST_200600_302600_NS6detail15normal_iteratorINS9_10device_ptrIxEEEENS0_8identityIxEEEE10hipError_tT2_T3_mT4_P12ihipStream_tbEUlT_E_NS1_11comp_targetILNS1_3genE3ELNS1_11target_archE908ELNS1_3gpuE7ELNS1_3repE0EEENS1_30default_config_static_selectorELNS0_4arch9wavefront6targetE1EEEvT1_.numbered_sgpr, 0
	.set _ZN7rocprim17ROCPRIM_400000_NS6detail17trampoline_kernelINS0_14default_configENS1_25transform_config_selectorIxLb0EEEZNS1_14transform_implILb0ES3_S5_PxN6thrust23THRUST_200600_302600_NS6detail15normal_iteratorINS9_10device_ptrIxEEEENS0_8identityIxEEEE10hipError_tT2_T3_mT4_P12ihipStream_tbEUlT_E_NS1_11comp_targetILNS1_3genE3ELNS1_11target_archE908ELNS1_3gpuE7ELNS1_3repE0EEENS1_30default_config_static_selectorELNS0_4arch9wavefront6targetE1EEEvT1_.num_named_barrier, 0
	.set _ZN7rocprim17ROCPRIM_400000_NS6detail17trampoline_kernelINS0_14default_configENS1_25transform_config_selectorIxLb0EEEZNS1_14transform_implILb0ES3_S5_PxN6thrust23THRUST_200600_302600_NS6detail15normal_iteratorINS9_10device_ptrIxEEEENS0_8identityIxEEEE10hipError_tT2_T3_mT4_P12ihipStream_tbEUlT_E_NS1_11comp_targetILNS1_3genE3ELNS1_11target_archE908ELNS1_3gpuE7ELNS1_3repE0EEENS1_30default_config_static_selectorELNS0_4arch9wavefront6targetE1EEEvT1_.private_seg_size, 0
	.set _ZN7rocprim17ROCPRIM_400000_NS6detail17trampoline_kernelINS0_14default_configENS1_25transform_config_selectorIxLb0EEEZNS1_14transform_implILb0ES3_S5_PxN6thrust23THRUST_200600_302600_NS6detail15normal_iteratorINS9_10device_ptrIxEEEENS0_8identityIxEEEE10hipError_tT2_T3_mT4_P12ihipStream_tbEUlT_E_NS1_11comp_targetILNS1_3genE3ELNS1_11target_archE908ELNS1_3gpuE7ELNS1_3repE0EEENS1_30default_config_static_selectorELNS0_4arch9wavefront6targetE1EEEvT1_.uses_vcc, 0
	.set _ZN7rocprim17ROCPRIM_400000_NS6detail17trampoline_kernelINS0_14default_configENS1_25transform_config_selectorIxLb0EEEZNS1_14transform_implILb0ES3_S5_PxN6thrust23THRUST_200600_302600_NS6detail15normal_iteratorINS9_10device_ptrIxEEEENS0_8identityIxEEEE10hipError_tT2_T3_mT4_P12ihipStream_tbEUlT_E_NS1_11comp_targetILNS1_3genE3ELNS1_11target_archE908ELNS1_3gpuE7ELNS1_3repE0EEENS1_30default_config_static_selectorELNS0_4arch9wavefront6targetE1EEEvT1_.uses_flat_scratch, 0
	.set _ZN7rocprim17ROCPRIM_400000_NS6detail17trampoline_kernelINS0_14default_configENS1_25transform_config_selectorIxLb0EEEZNS1_14transform_implILb0ES3_S5_PxN6thrust23THRUST_200600_302600_NS6detail15normal_iteratorINS9_10device_ptrIxEEEENS0_8identityIxEEEE10hipError_tT2_T3_mT4_P12ihipStream_tbEUlT_E_NS1_11comp_targetILNS1_3genE3ELNS1_11target_archE908ELNS1_3gpuE7ELNS1_3repE0EEENS1_30default_config_static_selectorELNS0_4arch9wavefront6targetE1EEEvT1_.has_dyn_sized_stack, 0
	.set _ZN7rocprim17ROCPRIM_400000_NS6detail17trampoline_kernelINS0_14default_configENS1_25transform_config_selectorIxLb0EEEZNS1_14transform_implILb0ES3_S5_PxN6thrust23THRUST_200600_302600_NS6detail15normal_iteratorINS9_10device_ptrIxEEEENS0_8identityIxEEEE10hipError_tT2_T3_mT4_P12ihipStream_tbEUlT_E_NS1_11comp_targetILNS1_3genE3ELNS1_11target_archE908ELNS1_3gpuE7ELNS1_3repE0EEENS1_30default_config_static_selectorELNS0_4arch9wavefront6targetE1EEEvT1_.has_recursion, 0
	.set _ZN7rocprim17ROCPRIM_400000_NS6detail17trampoline_kernelINS0_14default_configENS1_25transform_config_selectorIxLb0EEEZNS1_14transform_implILb0ES3_S5_PxN6thrust23THRUST_200600_302600_NS6detail15normal_iteratorINS9_10device_ptrIxEEEENS0_8identityIxEEEE10hipError_tT2_T3_mT4_P12ihipStream_tbEUlT_E_NS1_11comp_targetILNS1_3genE3ELNS1_11target_archE908ELNS1_3gpuE7ELNS1_3repE0EEENS1_30default_config_static_selectorELNS0_4arch9wavefront6targetE1EEEvT1_.has_indirect_call, 0
	.section	.AMDGPU.csdata,"",@progbits
; Kernel info:
; codeLenInByte = 0
; TotalNumSgprs: 6
; NumVgprs: 0
; NumAgprs: 0
; TotalNumVgprs: 0
; ScratchSize: 0
; MemoryBound: 0
; FloatMode: 240
; IeeeMode: 1
; LDSByteSize: 0 bytes/workgroup (compile time only)
; SGPRBlocks: 0
; VGPRBlocks: 0
; NumSGPRsForWavesPerEU: 6
; NumVGPRsForWavesPerEU: 1
; AccumOffset: 4
; Occupancy: 8
; WaveLimiterHint : 0
; COMPUTE_PGM_RSRC2:SCRATCH_EN: 0
; COMPUTE_PGM_RSRC2:USER_SGPR: 2
; COMPUTE_PGM_RSRC2:TRAP_HANDLER: 0
; COMPUTE_PGM_RSRC2:TGID_X_EN: 1
; COMPUTE_PGM_RSRC2:TGID_Y_EN: 0
; COMPUTE_PGM_RSRC2:TGID_Z_EN: 0
; COMPUTE_PGM_RSRC2:TIDIG_COMP_CNT: 0
; COMPUTE_PGM_RSRC3_GFX90A:ACCUM_OFFSET: 0
; COMPUTE_PGM_RSRC3_GFX90A:TG_SPLIT: 0
	.section	.text._ZN7rocprim17ROCPRIM_400000_NS6detail17trampoline_kernelINS0_14default_configENS1_25transform_config_selectorIxLb0EEEZNS1_14transform_implILb0ES3_S5_PxN6thrust23THRUST_200600_302600_NS6detail15normal_iteratorINS9_10device_ptrIxEEEENS0_8identityIxEEEE10hipError_tT2_T3_mT4_P12ihipStream_tbEUlT_E_NS1_11comp_targetILNS1_3genE2ELNS1_11target_archE906ELNS1_3gpuE6ELNS1_3repE0EEENS1_30default_config_static_selectorELNS0_4arch9wavefront6targetE1EEEvT1_,"axG",@progbits,_ZN7rocprim17ROCPRIM_400000_NS6detail17trampoline_kernelINS0_14default_configENS1_25transform_config_selectorIxLb0EEEZNS1_14transform_implILb0ES3_S5_PxN6thrust23THRUST_200600_302600_NS6detail15normal_iteratorINS9_10device_ptrIxEEEENS0_8identityIxEEEE10hipError_tT2_T3_mT4_P12ihipStream_tbEUlT_E_NS1_11comp_targetILNS1_3genE2ELNS1_11target_archE906ELNS1_3gpuE6ELNS1_3repE0EEENS1_30default_config_static_selectorELNS0_4arch9wavefront6targetE1EEEvT1_,comdat
	.protected	_ZN7rocprim17ROCPRIM_400000_NS6detail17trampoline_kernelINS0_14default_configENS1_25transform_config_selectorIxLb0EEEZNS1_14transform_implILb0ES3_S5_PxN6thrust23THRUST_200600_302600_NS6detail15normal_iteratorINS9_10device_ptrIxEEEENS0_8identityIxEEEE10hipError_tT2_T3_mT4_P12ihipStream_tbEUlT_E_NS1_11comp_targetILNS1_3genE2ELNS1_11target_archE906ELNS1_3gpuE6ELNS1_3repE0EEENS1_30default_config_static_selectorELNS0_4arch9wavefront6targetE1EEEvT1_ ; -- Begin function _ZN7rocprim17ROCPRIM_400000_NS6detail17trampoline_kernelINS0_14default_configENS1_25transform_config_selectorIxLb0EEEZNS1_14transform_implILb0ES3_S5_PxN6thrust23THRUST_200600_302600_NS6detail15normal_iteratorINS9_10device_ptrIxEEEENS0_8identityIxEEEE10hipError_tT2_T3_mT4_P12ihipStream_tbEUlT_E_NS1_11comp_targetILNS1_3genE2ELNS1_11target_archE906ELNS1_3gpuE6ELNS1_3repE0EEENS1_30default_config_static_selectorELNS0_4arch9wavefront6targetE1EEEvT1_
	.globl	_ZN7rocprim17ROCPRIM_400000_NS6detail17trampoline_kernelINS0_14default_configENS1_25transform_config_selectorIxLb0EEEZNS1_14transform_implILb0ES3_S5_PxN6thrust23THRUST_200600_302600_NS6detail15normal_iteratorINS9_10device_ptrIxEEEENS0_8identityIxEEEE10hipError_tT2_T3_mT4_P12ihipStream_tbEUlT_E_NS1_11comp_targetILNS1_3genE2ELNS1_11target_archE906ELNS1_3gpuE6ELNS1_3repE0EEENS1_30default_config_static_selectorELNS0_4arch9wavefront6targetE1EEEvT1_
	.p2align	8
	.type	_ZN7rocprim17ROCPRIM_400000_NS6detail17trampoline_kernelINS0_14default_configENS1_25transform_config_selectorIxLb0EEEZNS1_14transform_implILb0ES3_S5_PxN6thrust23THRUST_200600_302600_NS6detail15normal_iteratorINS9_10device_ptrIxEEEENS0_8identityIxEEEE10hipError_tT2_T3_mT4_P12ihipStream_tbEUlT_E_NS1_11comp_targetILNS1_3genE2ELNS1_11target_archE906ELNS1_3gpuE6ELNS1_3repE0EEENS1_30default_config_static_selectorELNS0_4arch9wavefront6targetE1EEEvT1_,@function
_ZN7rocprim17ROCPRIM_400000_NS6detail17trampoline_kernelINS0_14default_configENS1_25transform_config_selectorIxLb0EEEZNS1_14transform_implILb0ES3_S5_PxN6thrust23THRUST_200600_302600_NS6detail15normal_iteratorINS9_10device_ptrIxEEEENS0_8identityIxEEEE10hipError_tT2_T3_mT4_P12ihipStream_tbEUlT_E_NS1_11comp_targetILNS1_3genE2ELNS1_11target_archE906ELNS1_3gpuE6ELNS1_3repE0EEENS1_30default_config_static_selectorELNS0_4arch9wavefront6targetE1EEEvT1_: ; @_ZN7rocprim17ROCPRIM_400000_NS6detail17trampoline_kernelINS0_14default_configENS1_25transform_config_selectorIxLb0EEEZNS1_14transform_implILb0ES3_S5_PxN6thrust23THRUST_200600_302600_NS6detail15normal_iteratorINS9_10device_ptrIxEEEENS0_8identityIxEEEE10hipError_tT2_T3_mT4_P12ihipStream_tbEUlT_E_NS1_11comp_targetILNS1_3genE2ELNS1_11target_archE906ELNS1_3gpuE6ELNS1_3repE0EEENS1_30default_config_static_selectorELNS0_4arch9wavefront6targetE1EEEvT1_
; %bb.0:
	.section	.rodata,"a",@progbits
	.p2align	6, 0x0
	.amdhsa_kernel _ZN7rocprim17ROCPRIM_400000_NS6detail17trampoline_kernelINS0_14default_configENS1_25transform_config_selectorIxLb0EEEZNS1_14transform_implILb0ES3_S5_PxN6thrust23THRUST_200600_302600_NS6detail15normal_iteratorINS9_10device_ptrIxEEEENS0_8identityIxEEEE10hipError_tT2_T3_mT4_P12ihipStream_tbEUlT_E_NS1_11comp_targetILNS1_3genE2ELNS1_11target_archE906ELNS1_3gpuE6ELNS1_3repE0EEENS1_30default_config_static_selectorELNS0_4arch9wavefront6targetE1EEEvT1_
		.amdhsa_group_segment_fixed_size 0
		.amdhsa_private_segment_fixed_size 0
		.amdhsa_kernarg_size 40
		.amdhsa_user_sgpr_count 2
		.amdhsa_user_sgpr_dispatch_ptr 0
		.amdhsa_user_sgpr_queue_ptr 0
		.amdhsa_user_sgpr_kernarg_segment_ptr 1
		.amdhsa_user_sgpr_dispatch_id 0
		.amdhsa_user_sgpr_kernarg_preload_length 0
		.amdhsa_user_sgpr_kernarg_preload_offset 0
		.amdhsa_user_sgpr_private_segment_size 0
		.amdhsa_uses_dynamic_stack 0
		.amdhsa_enable_private_segment 0
		.amdhsa_system_sgpr_workgroup_id_x 1
		.amdhsa_system_sgpr_workgroup_id_y 0
		.amdhsa_system_sgpr_workgroup_id_z 0
		.amdhsa_system_sgpr_workgroup_info 0
		.amdhsa_system_vgpr_workitem_id 0
		.amdhsa_next_free_vgpr 1
		.amdhsa_next_free_sgpr 0
		.amdhsa_accum_offset 4
		.amdhsa_reserve_vcc 0
		.amdhsa_float_round_mode_32 0
		.amdhsa_float_round_mode_16_64 0
		.amdhsa_float_denorm_mode_32 3
		.amdhsa_float_denorm_mode_16_64 3
		.amdhsa_dx10_clamp 1
		.amdhsa_ieee_mode 1
		.amdhsa_fp16_overflow 0
		.amdhsa_tg_split 0
		.amdhsa_exception_fp_ieee_invalid_op 0
		.amdhsa_exception_fp_denorm_src 0
		.amdhsa_exception_fp_ieee_div_zero 0
		.amdhsa_exception_fp_ieee_overflow 0
		.amdhsa_exception_fp_ieee_underflow 0
		.amdhsa_exception_fp_ieee_inexact 0
		.amdhsa_exception_int_div_zero 0
	.end_amdhsa_kernel
	.section	.text._ZN7rocprim17ROCPRIM_400000_NS6detail17trampoline_kernelINS0_14default_configENS1_25transform_config_selectorIxLb0EEEZNS1_14transform_implILb0ES3_S5_PxN6thrust23THRUST_200600_302600_NS6detail15normal_iteratorINS9_10device_ptrIxEEEENS0_8identityIxEEEE10hipError_tT2_T3_mT4_P12ihipStream_tbEUlT_E_NS1_11comp_targetILNS1_3genE2ELNS1_11target_archE906ELNS1_3gpuE6ELNS1_3repE0EEENS1_30default_config_static_selectorELNS0_4arch9wavefront6targetE1EEEvT1_,"axG",@progbits,_ZN7rocprim17ROCPRIM_400000_NS6detail17trampoline_kernelINS0_14default_configENS1_25transform_config_selectorIxLb0EEEZNS1_14transform_implILb0ES3_S5_PxN6thrust23THRUST_200600_302600_NS6detail15normal_iteratorINS9_10device_ptrIxEEEENS0_8identityIxEEEE10hipError_tT2_T3_mT4_P12ihipStream_tbEUlT_E_NS1_11comp_targetILNS1_3genE2ELNS1_11target_archE906ELNS1_3gpuE6ELNS1_3repE0EEENS1_30default_config_static_selectorELNS0_4arch9wavefront6targetE1EEEvT1_,comdat
.Lfunc_end1117:
	.size	_ZN7rocprim17ROCPRIM_400000_NS6detail17trampoline_kernelINS0_14default_configENS1_25transform_config_selectorIxLb0EEEZNS1_14transform_implILb0ES3_S5_PxN6thrust23THRUST_200600_302600_NS6detail15normal_iteratorINS9_10device_ptrIxEEEENS0_8identityIxEEEE10hipError_tT2_T3_mT4_P12ihipStream_tbEUlT_E_NS1_11comp_targetILNS1_3genE2ELNS1_11target_archE906ELNS1_3gpuE6ELNS1_3repE0EEENS1_30default_config_static_selectorELNS0_4arch9wavefront6targetE1EEEvT1_, .Lfunc_end1117-_ZN7rocprim17ROCPRIM_400000_NS6detail17trampoline_kernelINS0_14default_configENS1_25transform_config_selectorIxLb0EEEZNS1_14transform_implILb0ES3_S5_PxN6thrust23THRUST_200600_302600_NS6detail15normal_iteratorINS9_10device_ptrIxEEEENS0_8identityIxEEEE10hipError_tT2_T3_mT4_P12ihipStream_tbEUlT_E_NS1_11comp_targetILNS1_3genE2ELNS1_11target_archE906ELNS1_3gpuE6ELNS1_3repE0EEENS1_30default_config_static_selectorELNS0_4arch9wavefront6targetE1EEEvT1_
                                        ; -- End function
	.set _ZN7rocprim17ROCPRIM_400000_NS6detail17trampoline_kernelINS0_14default_configENS1_25transform_config_selectorIxLb0EEEZNS1_14transform_implILb0ES3_S5_PxN6thrust23THRUST_200600_302600_NS6detail15normal_iteratorINS9_10device_ptrIxEEEENS0_8identityIxEEEE10hipError_tT2_T3_mT4_P12ihipStream_tbEUlT_E_NS1_11comp_targetILNS1_3genE2ELNS1_11target_archE906ELNS1_3gpuE6ELNS1_3repE0EEENS1_30default_config_static_selectorELNS0_4arch9wavefront6targetE1EEEvT1_.num_vgpr, 0
	.set _ZN7rocprim17ROCPRIM_400000_NS6detail17trampoline_kernelINS0_14default_configENS1_25transform_config_selectorIxLb0EEEZNS1_14transform_implILb0ES3_S5_PxN6thrust23THRUST_200600_302600_NS6detail15normal_iteratorINS9_10device_ptrIxEEEENS0_8identityIxEEEE10hipError_tT2_T3_mT4_P12ihipStream_tbEUlT_E_NS1_11comp_targetILNS1_3genE2ELNS1_11target_archE906ELNS1_3gpuE6ELNS1_3repE0EEENS1_30default_config_static_selectorELNS0_4arch9wavefront6targetE1EEEvT1_.num_agpr, 0
	.set _ZN7rocprim17ROCPRIM_400000_NS6detail17trampoline_kernelINS0_14default_configENS1_25transform_config_selectorIxLb0EEEZNS1_14transform_implILb0ES3_S5_PxN6thrust23THRUST_200600_302600_NS6detail15normal_iteratorINS9_10device_ptrIxEEEENS0_8identityIxEEEE10hipError_tT2_T3_mT4_P12ihipStream_tbEUlT_E_NS1_11comp_targetILNS1_3genE2ELNS1_11target_archE906ELNS1_3gpuE6ELNS1_3repE0EEENS1_30default_config_static_selectorELNS0_4arch9wavefront6targetE1EEEvT1_.numbered_sgpr, 0
	.set _ZN7rocprim17ROCPRIM_400000_NS6detail17trampoline_kernelINS0_14default_configENS1_25transform_config_selectorIxLb0EEEZNS1_14transform_implILb0ES3_S5_PxN6thrust23THRUST_200600_302600_NS6detail15normal_iteratorINS9_10device_ptrIxEEEENS0_8identityIxEEEE10hipError_tT2_T3_mT4_P12ihipStream_tbEUlT_E_NS1_11comp_targetILNS1_3genE2ELNS1_11target_archE906ELNS1_3gpuE6ELNS1_3repE0EEENS1_30default_config_static_selectorELNS0_4arch9wavefront6targetE1EEEvT1_.num_named_barrier, 0
	.set _ZN7rocprim17ROCPRIM_400000_NS6detail17trampoline_kernelINS0_14default_configENS1_25transform_config_selectorIxLb0EEEZNS1_14transform_implILb0ES3_S5_PxN6thrust23THRUST_200600_302600_NS6detail15normal_iteratorINS9_10device_ptrIxEEEENS0_8identityIxEEEE10hipError_tT2_T3_mT4_P12ihipStream_tbEUlT_E_NS1_11comp_targetILNS1_3genE2ELNS1_11target_archE906ELNS1_3gpuE6ELNS1_3repE0EEENS1_30default_config_static_selectorELNS0_4arch9wavefront6targetE1EEEvT1_.private_seg_size, 0
	.set _ZN7rocprim17ROCPRIM_400000_NS6detail17trampoline_kernelINS0_14default_configENS1_25transform_config_selectorIxLb0EEEZNS1_14transform_implILb0ES3_S5_PxN6thrust23THRUST_200600_302600_NS6detail15normal_iteratorINS9_10device_ptrIxEEEENS0_8identityIxEEEE10hipError_tT2_T3_mT4_P12ihipStream_tbEUlT_E_NS1_11comp_targetILNS1_3genE2ELNS1_11target_archE906ELNS1_3gpuE6ELNS1_3repE0EEENS1_30default_config_static_selectorELNS0_4arch9wavefront6targetE1EEEvT1_.uses_vcc, 0
	.set _ZN7rocprim17ROCPRIM_400000_NS6detail17trampoline_kernelINS0_14default_configENS1_25transform_config_selectorIxLb0EEEZNS1_14transform_implILb0ES3_S5_PxN6thrust23THRUST_200600_302600_NS6detail15normal_iteratorINS9_10device_ptrIxEEEENS0_8identityIxEEEE10hipError_tT2_T3_mT4_P12ihipStream_tbEUlT_E_NS1_11comp_targetILNS1_3genE2ELNS1_11target_archE906ELNS1_3gpuE6ELNS1_3repE0EEENS1_30default_config_static_selectorELNS0_4arch9wavefront6targetE1EEEvT1_.uses_flat_scratch, 0
	.set _ZN7rocprim17ROCPRIM_400000_NS6detail17trampoline_kernelINS0_14default_configENS1_25transform_config_selectorIxLb0EEEZNS1_14transform_implILb0ES3_S5_PxN6thrust23THRUST_200600_302600_NS6detail15normal_iteratorINS9_10device_ptrIxEEEENS0_8identityIxEEEE10hipError_tT2_T3_mT4_P12ihipStream_tbEUlT_E_NS1_11comp_targetILNS1_3genE2ELNS1_11target_archE906ELNS1_3gpuE6ELNS1_3repE0EEENS1_30default_config_static_selectorELNS0_4arch9wavefront6targetE1EEEvT1_.has_dyn_sized_stack, 0
	.set _ZN7rocprim17ROCPRIM_400000_NS6detail17trampoline_kernelINS0_14default_configENS1_25transform_config_selectorIxLb0EEEZNS1_14transform_implILb0ES3_S5_PxN6thrust23THRUST_200600_302600_NS6detail15normal_iteratorINS9_10device_ptrIxEEEENS0_8identityIxEEEE10hipError_tT2_T3_mT4_P12ihipStream_tbEUlT_E_NS1_11comp_targetILNS1_3genE2ELNS1_11target_archE906ELNS1_3gpuE6ELNS1_3repE0EEENS1_30default_config_static_selectorELNS0_4arch9wavefront6targetE1EEEvT1_.has_recursion, 0
	.set _ZN7rocprim17ROCPRIM_400000_NS6detail17trampoline_kernelINS0_14default_configENS1_25transform_config_selectorIxLb0EEEZNS1_14transform_implILb0ES3_S5_PxN6thrust23THRUST_200600_302600_NS6detail15normal_iteratorINS9_10device_ptrIxEEEENS0_8identityIxEEEE10hipError_tT2_T3_mT4_P12ihipStream_tbEUlT_E_NS1_11comp_targetILNS1_3genE2ELNS1_11target_archE906ELNS1_3gpuE6ELNS1_3repE0EEENS1_30default_config_static_selectorELNS0_4arch9wavefront6targetE1EEEvT1_.has_indirect_call, 0
	.section	.AMDGPU.csdata,"",@progbits
; Kernel info:
; codeLenInByte = 0
; TotalNumSgprs: 6
; NumVgprs: 0
; NumAgprs: 0
; TotalNumVgprs: 0
; ScratchSize: 0
; MemoryBound: 0
; FloatMode: 240
; IeeeMode: 1
; LDSByteSize: 0 bytes/workgroup (compile time only)
; SGPRBlocks: 0
; VGPRBlocks: 0
; NumSGPRsForWavesPerEU: 6
; NumVGPRsForWavesPerEU: 1
; AccumOffset: 4
; Occupancy: 8
; WaveLimiterHint : 0
; COMPUTE_PGM_RSRC2:SCRATCH_EN: 0
; COMPUTE_PGM_RSRC2:USER_SGPR: 2
; COMPUTE_PGM_RSRC2:TRAP_HANDLER: 0
; COMPUTE_PGM_RSRC2:TGID_X_EN: 1
; COMPUTE_PGM_RSRC2:TGID_Y_EN: 0
; COMPUTE_PGM_RSRC2:TGID_Z_EN: 0
; COMPUTE_PGM_RSRC2:TIDIG_COMP_CNT: 0
; COMPUTE_PGM_RSRC3_GFX90A:ACCUM_OFFSET: 0
; COMPUTE_PGM_RSRC3_GFX90A:TG_SPLIT: 0
	.section	.text._ZN7rocprim17ROCPRIM_400000_NS6detail17trampoline_kernelINS0_14default_configENS1_25transform_config_selectorIxLb0EEEZNS1_14transform_implILb0ES3_S5_PxN6thrust23THRUST_200600_302600_NS6detail15normal_iteratorINS9_10device_ptrIxEEEENS0_8identityIxEEEE10hipError_tT2_T3_mT4_P12ihipStream_tbEUlT_E_NS1_11comp_targetILNS1_3genE10ELNS1_11target_archE1201ELNS1_3gpuE5ELNS1_3repE0EEENS1_30default_config_static_selectorELNS0_4arch9wavefront6targetE1EEEvT1_,"axG",@progbits,_ZN7rocprim17ROCPRIM_400000_NS6detail17trampoline_kernelINS0_14default_configENS1_25transform_config_selectorIxLb0EEEZNS1_14transform_implILb0ES3_S5_PxN6thrust23THRUST_200600_302600_NS6detail15normal_iteratorINS9_10device_ptrIxEEEENS0_8identityIxEEEE10hipError_tT2_T3_mT4_P12ihipStream_tbEUlT_E_NS1_11comp_targetILNS1_3genE10ELNS1_11target_archE1201ELNS1_3gpuE5ELNS1_3repE0EEENS1_30default_config_static_selectorELNS0_4arch9wavefront6targetE1EEEvT1_,comdat
	.protected	_ZN7rocprim17ROCPRIM_400000_NS6detail17trampoline_kernelINS0_14default_configENS1_25transform_config_selectorIxLb0EEEZNS1_14transform_implILb0ES3_S5_PxN6thrust23THRUST_200600_302600_NS6detail15normal_iteratorINS9_10device_ptrIxEEEENS0_8identityIxEEEE10hipError_tT2_T3_mT4_P12ihipStream_tbEUlT_E_NS1_11comp_targetILNS1_3genE10ELNS1_11target_archE1201ELNS1_3gpuE5ELNS1_3repE0EEENS1_30default_config_static_selectorELNS0_4arch9wavefront6targetE1EEEvT1_ ; -- Begin function _ZN7rocprim17ROCPRIM_400000_NS6detail17trampoline_kernelINS0_14default_configENS1_25transform_config_selectorIxLb0EEEZNS1_14transform_implILb0ES3_S5_PxN6thrust23THRUST_200600_302600_NS6detail15normal_iteratorINS9_10device_ptrIxEEEENS0_8identityIxEEEE10hipError_tT2_T3_mT4_P12ihipStream_tbEUlT_E_NS1_11comp_targetILNS1_3genE10ELNS1_11target_archE1201ELNS1_3gpuE5ELNS1_3repE0EEENS1_30default_config_static_selectorELNS0_4arch9wavefront6targetE1EEEvT1_
	.globl	_ZN7rocprim17ROCPRIM_400000_NS6detail17trampoline_kernelINS0_14default_configENS1_25transform_config_selectorIxLb0EEEZNS1_14transform_implILb0ES3_S5_PxN6thrust23THRUST_200600_302600_NS6detail15normal_iteratorINS9_10device_ptrIxEEEENS0_8identityIxEEEE10hipError_tT2_T3_mT4_P12ihipStream_tbEUlT_E_NS1_11comp_targetILNS1_3genE10ELNS1_11target_archE1201ELNS1_3gpuE5ELNS1_3repE0EEENS1_30default_config_static_selectorELNS0_4arch9wavefront6targetE1EEEvT1_
	.p2align	8
	.type	_ZN7rocprim17ROCPRIM_400000_NS6detail17trampoline_kernelINS0_14default_configENS1_25transform_config_selectorIxLb0EEEZNS1_14transform_implILb0ES3_S5_PxN6thrust23THRUST_200600_302600_NS6detail15normal_iteratorINS9_10device_ptrIxEEEENS0_8identityIxEEEE10hipError_tT2_T3_mT4_P12ihipStream_tbEUlT_E_NS1_11comp_targetILNS1_3genE10ELNS1_11target_archE1201ELNS1_3gpuE5ELNS1_3repE0EEENS1_30default_config_static_selectorELNS0_4arch9wavefront6targetE1EEEvT1_,@function
_ZN7rocprim17ROCPRIM_400000_NS6detail17trampoline_kernelINS0_14default_configENS1_25transform_config_selectorIxLb0EEEZNS1_14transform_implILb0ES3_S5_PxN6thrust23THRUST_200600_302600_NS6detail15normal_iteratorINS9_10device_ptrIxEEEENS0_8identityIxEEEE10hipError_tT2_T3_mT4_P12ihipStream_tbEUlT_E_NS1_11comp_targetILNS1_3genE10ELNS1_11target_archE1201ELNS1_3gpuE5ELNS1_3repE0EEENS1_30default_config_static_selectorELNS0_4arch9wavefront6targetE1EEEvT1_: ; @_ZN7rocprim17ROCPRIM_400000_NS6detail17trampoline_kernelINS0_14default_configENS1_25transform_config_selectorIxLb0EEEZNS1_14transform_implILb0ES3_S5_PxN6thrust23THRUST_200600_302600_NS6detail15normal_iteratorINS9_10device_ptrIxEEEENS0_8identityIxEEEE10hipError_tT2_T3_mT4_P12ihipStream_tbEUlT_E_NS1_11comp_targetILNS1_3genE10ELNS1_11target_archE1201ELNS1_3gpuE5ELNS1_3repE0EEENS1_30default_config_static_selectorELNS0_4arch9wavefront6targetE1EEEvT1_
; %bb.0:
	.section	.rodata,"a",@progbits
	.p2align	6, 0x0
	.amdhsa_kernel _ZN7rocprim17ROCPRIM_400000_NS6detail17trampoline_kernelINS0_14default_configENS1_25transform_config_selectorIxLb0EEEZNS1_14transform_implILb0ES3_S5_PxN6thrust23THRUST_200600_302600_NS6detail15normal_iteratorINS9_10device_ptrIxEEEENS0_8identityIxEEEE10hipError_tT2_T3_mT4_P12ihipStream_tbEUlT_E_NS1_11comp_targetILNS1_3genE10ELNS1_11target_archE1201ELNS1_3gpuE5ELNS1_3repE0EEENS1_30default_config_static_selectorELNS0_4arch9wavefront6targetE1EEEvT1_
		.amdhsa_group_segment_fixed_size 0
		.amdhsa_private_segment_fixed_size 0
		.amdhsa_kernarg_size 40
		.amdhsa_user_sgpr_count 2
		.amdhsa_user_sgpr_dispatch_ptr 0
		.amdhsa_user_sgpr_queue_ptr 0
		.amdhsa_user_sgpr_kernarg_segment_ptr 1
		.amdhsa_user_sgpr_dispatch_id 0
		.amdhsa_user_sgpr_kernarg_preload_length 0
		.amdhsa_user_sgpr_kernarg_preload_offset 0
		.amdhsa_user_sgpr_private_segment_size 0
		.amdhsa_uses_dynamic_stack 0
		.amdhsa_enable_private_segment 0
		.amdhsa_system_sgpr_workgroup_id_x 1
		.amdhsa_system_sgpr_workgroup_id_y 0
		.amdhsa_system_sgpr_workgroup_id_z 0
		.amdhsa_system_sgpr_workgroup_info 0
		.amdhsa_system_vgpr_workitem_id 0
		.amdhsa_next_free_vgpr 1
		.amdhsa_next_free_sgpr 0
		.amdhsa_accum_offset 4
		.amdhsa_reserve_vcc 0
		.amdhsa_float_round_mode_32 0
		.amdhsa_float_round_mode_16_64 0
		.amdhsa_float_denorm_mode_32 3
		.amdhsa_float_denorm_mode_16_64 3
		.amdhsa_dx10_clamp 1
		.amdhsa_ieee_mode 1
		.amdhsa_fp16_overflow 0
		.amdhsa_tg_split 0
		.amdhsa_exception_fp_ieee_invalid_op 0
		.amdhsa_exception_fp_denorm_src 0
		.amdhsa_exception_fp_ieee_div_zero 0
		.amdhsa_exception_fp_ieee_overflow 0
		.amdhsa_exception_fp_ieee_underflow 0
		.amdhsa_exception_fp_ieee_inexact 0
		.amdhsa_exception_int_div_zero 0
	.end_amdhsa_kernel
	.section	.text._ZN7rocprim17ROCPRIM_400000_NS6detail17trampoline_kernelINS0_14default_configENS1_25transform_config_selectorIxLb0EEEZNS1_14transform_implILb0ES3_S5_PxN6thrust23THRUST_200600_302600_NS6detail15normal_iteratorINS9_10device_ptrIxEEEENS0_8identityIxEEEE10hipError_tT2_T3_mT4_P12ihipStream_tbEUlT_E_NS1_11comp_targetILNS1_3genE10ELNS1_11target_archE1201ELNS1_3gpuE5ELNS1_3repE0EEENS1_30default_config_static_selectorELNS0_4arch9wavefront6targetE1EEEvT1_,"axG",@progbits,_ZN7rocprim17ROCPRIM_400000_NS6detail17trampoline_kernelINS0_14default_configENS1_25transform_config_selectorIxLb0EEEZNS1_14transform_implILb0ES3_S5_PxN6thrust23THRUST_200600_302600_NS6detail15normal_iteratorINS9_10device_ptrIxEEEENS0_8identityIxEEEE10hipError_tT2_T3_mT4_P12ihipStream_tbEUlT_E_NS1_11comp_targetILNS1_3genE10ELNS1_11target_archE1201ELNS1_3gpuE5ELNS1_3repE0EEENS1_30default_config_static_selectorELNS0_4arch9wavefront6targetE1EEEvT1_,comdat
.Lfunc_end1118:
	.size	_ZN7rocprim17ROCPRIM_400000_NS6detail17trampoline_kernelINS0_14default_configENS1_25transform_config_selectorIxLb0EEEZNS1_14transform_implILb0ES3_S5_PxN6thrust23THRUST_200600_302600_NS6detail15normal_iteratorINS9_10device_ptrIxEEEENS0_8identityIxEEEE10hipError_tT2_T3_mT4_P12ihipStream_tbEUlT_E_NS1_11comp_targetILNS1_3genE10ELNS1_11target_archE1201ELNS1_3gpuE5ELNS1_3repE0EEENS1_30default_config_static_selectorELNS0_4arch9wavefront6targetE1EEEvT1_, .Lfunc_end1118-_ZN7rocprim17ROCPRIM_400000_NS6detail17trampoline_kernelINS0_14default_configENS1_25transform_config_selectorIxLb0EEEZNS1_14transform_implILb0ES3_S5_PxN6thrust23THRUST_200600_302600_NS6detail15normal_iteratorINS9_10device_ptrIxEEEENS0_8identityIxEEEE10hipError_tT2_T3_mT4_P12ihipStream_tbEUlT_E_NS1_11comp_targetILNS1_3genE10ELNS1_11target_archE1201ELNS1_3gpuE5ELNS1_3repE0EEENS1_30default_config_static_selectorELNS0_4arch9wavefront6targetE1EEEvT1_
                                        ; -- End function
	.set _ZN7rocprim17ROCPRIM_400000_NS6detail17trampoline_kernelINS0_14default_configENS1_25transform_config_selectorIxLb0EEEZNS1_14transform_implILb0ES3_S5_PxN6thrust23THRUST_200600_302600_NS6detail15normal_iteratorINS9_10device_ptrIxEEEENS0_8identityIxEEEE10hipError_tT2_T3_mT4_P12ihipStream_tbEUlT_E_NS1_11comp_targetILNS1_3genE10ELNS1_11target_archE1201ELNS1_3gpuE5ELNS1_3repE0EEENS1_30default_config_static_selectorELNS0_4arch9wavefront6targetE1EEEvT1_.num_vgpr, 0
	.set _ZN7rocprim17ROCPRIM_400000_NS6detail17trampoline_kernelINS0_14default_configENS1_25transform_config_selectorIxLb0EEEZNS1_14transform_implILb0ES3_S5_PxN6thrust23THRUST_200600_302600_NS6detail15normal_iteratorINS9_10device_ptrIxEEEENS0_8identityIxEEEE10hipError_tT2_T3_mT4_P12ihipStream_tbEUlT_E_NS1_11comp_targetILNS1_3genE10ELNS1_11target_archE1201ELNS1_3gpuE5ELNS1_3repE0EEENS1_30default_config_static_selectorELNS0_4arch9wavefront6targetE1EEEvT1_.num_agpr, 0
	.set _ZN7rocprim17ROCPRIM_400000_NS6detail17trampoline_kernelINS0_14default_configENS1_25transform_config_selectorIxLb0EEEZNS1_14transform_implILb0ES3_S5_PxN6thrust23THRUST_200600_302600_NS6detail15normal_iteratorINS9_10device_ptrIxEEEENS0_8identityIxEEEE10hipError_tT2_T3_mT4_P12ihipStream_tbEUlT_E_NS1_11comp_targetILNS1_3genE10ELNS1_11target_archE1201ELNS1_3gpuE5ELNS1_3repE0EEENS1_30default_config_static_selectorELNS0_4arch9wavefront6targetE1EEEvT1_.numbered_sgpr, 0
	.set _ZN7rocprim17ROCPRIM_400000_NS6detail17trampoline_kernelINS0_14default_configENS1_25transform_config_selectorIxLb0EEEZNS1_14transform_implILb0ES3_S5_PxN6thrust23THRUST_200600_302600_NS6detail15normal_iteratorINS9_10device_ptrIxEEEENS0_8identityIxEEEE10hipError_tT2_T3_mT4_P12ihipStream_tbEUlT_E_NS1_11comp_targetILNS1_3genE10ELNS1_11target_archE1201ELNS1_3gpuE5ELNS1_3repE0EEENS1_30default_config_static_selectorELNS0_4arch9wavefront6targetE1EEEvT1_.num_named_barrier, 0
	.set _ZN7rocprim17ROCPRIM_400000_NS6detail17trampoline_kernelINS0_14default_configENS1_25transform_config_selectorIxLb0EEEZNS1_14transform_implILb0ES3_S5_PxN6thrust23THRUST_200600_302600_NS6detail15normal_iteratorINS9_10device_ptrIxEEEENS0_8identityIxEEEE10hipError_tT2_T3_mT4_P12ihipStream_tbEUlT_E_NS1_11comp_targetILNS1_3genE10ELNS1_11target_archE1201ELNS1_3gpuE5ELNS1_3repE0EEENS1_30default_config_static_selectorELNS0_4arch9wavefront6targetE1EEEvT1_.private_seg_size, 0
	.set _ZN7rocprim17ROCPRIM_400000_NS6detail17trampoline_kernelINS0_14default_configENS1_25transform_config_selectorIxLb0EEEZNS1_14transform_implILb0ES3_S5_PxN6thrust23THRUST_200600_302600_NS6detail15normal_iteratorINS9_10device_ptrIxEEEENS0_8identityIxEEEE10hipError_tT2_T3_mT4_P12ihipStream_tbEUlT_E_NS1_11comp_targetILNS1_3genE10ELNS1_11target_archE1201ELNS1_3gpuE5ELNS1_3repE0EEENS1_30default_config_static_selectorELNS0_4arch9wavefront6targetE1EEEvT1_.uses_vcc, 0
	.set _ZN7rocprim17ROCPRIM_400000_NS6detail17trampoline_kernelINS0_14default_configENS1_25transform_config_selectorIxLb0EEEZNS1_14transform_implILb0ES3_S5_PxN6thrust23THRUST_200600_302600_NS6detail15normal_iteratorINS9_10device_ptrIxEEEENS0_8identityIxEEEE10hipError_tT2_T3_mT4_P12ihipStream_tbEUlT_E_NS1_11comp_targetILNS1_3genE10ELNS1_11target_archE1201ELNS1_3gpuE5ELNS1_3repE0EEENS1_30default_config_static_selectorELNS0_4arch9wavefront6targetE1EEEvT1_.uses_flat_scratch, 0
	.set _ZN7rocprim17ROCPRIM_400000_NS6detail17trampoline_kernelINS0_14default_configENS1_25transform_config_selectorIxLb0EEEZNS1_14transform_implILb0ES3_S5_PxN6thrust23THRUST_200600_302600_NS6detail15normal_iteratorINS9_10device_ptrIxEEEENS0_8identityIxEEEE10hipError_tT2_T3_mT4_P12ihipStream_tbEUlT_E_NS1_11comp_targetILNS1_3genE10ELNS1_11target_archE1201ELNS1_3gpuE5ELNS1_3repE0EEENS1_30default_config_static_selectorELNS0_4arch9wavefront6targetE1EEEvT1_.has_dyn_sized_stack, 0
	.set _ZN7rocprim17ROCPRIM_400000_NS6detail17trampoline_kernelINS0_14default_configENS1_25transform_config_selectorIxLb0EEEZNS1_14transform_implILb0ES3_S5_PxN6thrust23THRUST_200600_302600_NS6detail15normal_iteratorINS9_10device_ptrIxEEEENS0_8identityIxEEEE10hipError_tT2_T3_mT4_P12ihipStream_tbEUlT_E_NS1_11comp_targetILNS1_3genE10ELNS1_11target_archE1201ELNS1_3gpuE5ELNS1_3repE0EEENS1_30default_config_static_selectorELNS0_4arch9wavefront6targetE1EEEvT1_.has_recursion, 0
	.set _ZN7rocprim17ROCPRIM_400000_NS6detail17trampoline_kernelINS0_14default_configENS1_25transform_config_selectorIxLb0EEEZNS1_14transform_implILb0ES3_S5_PxN6thrust23THRUST_200600_302600_NS6detail15normal_iteratorINS9_10device_ptrIxEEEENS0_8identityIxEEEE10hipError_tT2_T3_mT4_P12ihipStream_tbEUlT_E_NS1_11comp_targetILNS1_3genE10ELNS1_11target_archE1201ELNS1_3gpuE5ELNS1_3repE0EEENS1_30default_config_static_selectorELNS0_4arch9wavefront6targetE1EEEvT1_.has_indirect_call, 0
	.section	.AMDGPU.csdata,"",@progbits
; Kernel info:
; codeLenInByte = 0
; TotalNumSgprs: 6
; NumVgprs: 0
; NumAgprs: 0
; TotalNumVgprs: 0
; ScratchSize: 0
; MemoryBound: 0
; FloatMode: 240
; IeeeMode: 1
; LDSByteSize: 0 bytes/workgroup (compile time only)
; SGPRBlocks: 0
; VGPRBlocks: 0
; NumSGPRsForWavesPerEU: 6
; NumVGPRsForWavesPerEU: 1
; AccumOffset: 4
; Occupancy: 8
; WaveLimiterHint : 0
; COMPUTE_PGM_RSRC2:SCRATCH_EN: 0
; COMPUTE_PGM_RSRC2:USER_SGPR: 2
; COMPUTE_PGM_RSRC2:TRAP_HANDLER: 0
; COMPUTE_PGM_RSRC2:TGID_X_EN: 1
; COMPUTE_PGM_RSRC2:TGID_Y_EN: 0
; COMPUTE_PGM_RSRC2:TGID_Z_EN: 0
; COMPUTE_PGM_RSRC2:TIDIG_COMP_CNT: 0
; COMPUTE_PGM_RSRC3_GFX90A:ACCUM_OFFSET: 0
; COMPUTE_PGM_RSRC3_GFX90A:TG_SPLIT: 0
	.section	.text._ZN7rocprim17ROCPRIM_400000_NS6detail17trampoline_kernelINS0_14default_configENS1_25transform_config_selectorIxLb0EEEZNS1_14transform_implILb0ES3_S5_PxN6thrust23THRUST_200600_302600_NS6detail15normal_iteratorINS9_10device_ptrIxEEEENS0_8identityIxEEEE10hipError_tT2_T3_mT4_P12ihipStream_tbEUlT_E_NS1_11comp_targetILNS1_3genE10ELNS1_11target_archE1200ELNS1_3gpuE4ELNS1_3repE0EEENS1_30default_config_static_selectorELNS0_4arch9wavefront6targetE1EEEvT1_,"axG",@progbits,_ZN7rocprim17ROCPRIM_400000_NS6detail17trampoline_kernelINS0_14default_configENS1_25transform_config_selectorIxLb0EEEZNS1_14transform_implILb0ES3_S5_PxN6thrust23THRUST_200600_302600_NS6detail15normal_iteratorINS9_10device_ptrIxEEEENS0_8identityIxEEEE10hipError_tT2_T3_mT4_P12ihipStream_tbEUlT_E_NS1_11comp_targetILNS1_3genE10ELNS1_11target_archE1200ELNS1_3gpuE4ELNS1_3repE0EEENS1_30default_config_static_selectorELNS0_4arch9wavefront6targetE1EEEvT1_,comdat
	.protected	_ZN7rocprim17ROCPRIM_400000_NS6detail17trampoline_kernelINS0_14default_configENS1_25transform_config_selectorIxLb0EEEZNS1_14transform_implILb0ES3_S5_PxN6thrust23THRUST_200600_302600_NS6detail15normal_iteratorINS9_10device_ptrIxEEEENS0_8identityIxEEEE10hipError_tT2_T3_mT4_P12ihipStream_tbEUlT_E_NS1_11comp_targetILNS1_3genE10ELNS1_11target_archE1200ELNS1_3gpuE4ELNS1_3repE0EEENS1_30default_config_static_selectorELNS0_4arch9wavefront6targetE1EEEvT1_ ; -- Begin function _ZN7rocprim17ROCPRIM_400000_NS6detail17trampoline_kernelINS0_14default_configENS1_25transform_config_selectorIxLb0EEEZNS1_14transform_implILb0ES3_S5_PxN6thrust23THRUST_200600_302600_NS6detail15normal_iteratorINS9_10device_ptrIxEEEENS0_8identityIxEEEE10hipError_tT2_T3_mT4_P12ihipStream_tbEUlT_E_NS1_11comp_targetILNS1_3genE10ELNS1_11target_archE1200ELNS1_3gpuE4ELNS1_3repE0EEENS1_30default_config_static_selectorELNS0_4arch9wavefront6targetE1EEEvT1_
	.globl	_ZN7rocprim17ROCPRIM_400000_NS6detail17trampoline_kernelINS0_14default_configENS1_25transform_config_selectorIxLb0EEEZNS1_14transform_implILb0ES3_S5_PxN6thrust23THRUST_200600_302600_NS6detail15normal_iteratorINS9_10device_ptrIxEEEENS0_8identityIxEEEE10hipError_tT2_T3_mT4_P12ihipStream_tbEUlT_E_NS1_11comp_targetILNS1_3genE10ELNS1_11target_archE1200ELNS1_3gpuE4ELNS1_3repE0EEENS1_30default_config_static_selectorELNS0_4arch9wavefront6targetE1EEEvT1_
	.p2align	8
	.type	_ZN7rocprim17ROCPRIM_400000_NS6detail17trampoline_kernelINS0_14default_configENS1_25transform_config_selectorIxLb0EEEZNS1_14transform_implILb0ES3_S5_PxN6thrust23THRUST_200600_302600_NS6detail15normal_iteratorINS9_10device_ptrIxEEEENS0_8identityIxEEEE10hipError_tT2_T3_mT4_P12ihipStream_tbEUlT_E_NS1_11comp_targetILNS1_3genE10ELNS1_11target_archE1200ELNS1_3gpuE4ELNS1_3repE0EEENS1_30default_config_static_selectorELNS0_4arch9wavefront6targetE1EEEvT1_,@function
_ZN7rocprim17ROCPRIM_400000_NS6detail17trampoline_kernelINS0_14default_configENS1_25transform_config_selectorIxLb0EEEZNS1_14transform_implILb0ES3_S5_PxN6thrust23THRUST_200600_302600_NS6detail15normal_iteratorINS9_10device_ptrIxEEEENS0_8identityIxEEEE10hipError_tT2_T3_mT4_P12ihipStream_tbEUlT_E_NS1_11comp_targetILNS1_3genE10ELNS1_11target_archE1200ELNS1_3gpuE4ELNS1_3repE0EEENS1_30default_config_static_selectorELNS0_4arch9wavefront6targetE1EEEvT1_: ; @_ZN7rocprim17ROCPRIM_400000_NS6detail17trampoline_kernelINS0_14default_configENS1_25transform_config_selectorIxLb0EEEZNS1_14transform_implILb0ES3_S5_PxN6thrust23THRUST_200600_302600_NS6detail15normal_iteratorINS9_10device_ptrIxEEEENS0_8identityIxEEEE10hipError_tT2_T3_mT4_P12ihipStream_tbEUlT_E_NS1_11comp_targetILNS1_3genE10ELNS1_11target_archE1200ELNS1_3gpuE4ELNS1_3repE0EEENS1_30default_config_static_selectorELNS0_4arch9wavefront6targetE1EEEvT1_
; %bb.0:
	.section	.rodata,"a",@progbits
	.p2align	6, 0x0
	.amdhsa_kernel _ZN7rocprim17ROCPRIM_400000_NS6detail17trampoline_kernelINS0_14default_configENS1_25transform_config_selectorIxLb0EEEZNS1_14transform_implILb0ES3_S5_PxN6thrust23THRUST_200600_302600_NS6detail15normal_iteratorINS9_10device_ptrIxEEEENS0_8identityIxEEEE10hipError_tT2_T3_mT4_P12ihipStream_tbEUlT_E_NS1_11comp_targetILNS1_3genE10ELNS1_11target_archE1200ELNS1_3gpuE4ELNS1_3repE0EEENS1_30default_config_static_selectorELNS0_4arch9wavefront6targetE1EEEvT1_
		.amdhsa_group_segment_fixed_size 0
		.amdhsa_private_segment_fixed_size 0
		.amdhsa_kernarg_size 40
		.amdhsa_user_sgpr_count 2
		.amdhsa_user_sgpr_dispatch_ptr 0
		.amdhsa_user_sgpr_queue_ptr 0
		.amdhsa_user_sgpr_kernarg_segment_ptr 1
		.amdhsa_user_sgpr_dispatch_id 0
		.amdhsa_user_sgpr_kernarg_preload_length 0
		.amdhsa_user_sgpr_kernarg_preload_offset 0
		.amdhsa_user_sgpr_private_segment_size 0
		.amdhsa_uses_dynamic_stack 0
		.amdhsa_enable_private_segment 0
		.amdhsa_system_sgpr_workgroup_id_x 1
		.amdhsa_system_sgpr_workgroup_id_y 0
		.amdhsa_system_sgpr_workgroup_id_z 0
		.amdhsa_system_sgpr_workgroup_info 0
		.amdhsa_system_vgpr_workitem_id 0
		.amdhsa_next_free_vgpr 1
		.amdhsa_next_free_sgpr 0
		.amdhsa_accum_offset 4
		.amdhsa_reserve_vcc 0
		.amdhsa_float_round_mode_32 0
		.amdhsa_float_round_mode_16_64 0
		.amdhsa_float_denorm_mode_32 3
		.amdhsa_float_denorm_mode_16_64 3
		.amdhsa_dx10_clamp 1
		.amdhsa_ieee_mode 1
		.amdhsa_fp16_overflow 0
		.amdhsa_tg_split 0
		.amdhsa_exception_fp_ieee_invalid_op 0
		.amdhsa_exception_fp_denorm_src 0
		.amdhsa_exception_fp_ieee_div_zero 0
		.amdhsa_exception_fp_ieee_overflow 0
		.amdhsa_exception_fp_ieee_underflow 0
		.amdhsa_exception_fp_ieee_inexact 0
		.amdhsa_exception_int_div_zero 0
	.end_amdhsa_kernel
	.section	.text._ZN7rocprim17ROCPRIM_400000_NS6detail17trampoline_kernelINS0_14default_configENS1_25transform_config_selectorIxLb0EEEZNS1_14transform_implILb0ES3_S5_PxN6thrust23THRUST_200600_302600_NS6detail15normal_iteratorINS9_10device_ptrIxEEEENS0_8identityIxEEEE10hipError_tT2_T3_mT4_P12ihipStream_tbEUlT_E_NS1_11comp_targetILNS1_3genE10ELNS1_11target_archE1200ELNS1_3gpuE4ELNS1_3repE0EEENS1_30default_config_static_selectorELNS0_4arch9wavefront6targetE1EEEvT1_,"axG",@progbits,_ZN7rocprim17ROCPRIM_400000_NS6detail17trampoline_kernelINS0_14default_configENS1_25transform_config_selectorIxLb0EEEZNS1_14transform_implILb0ES3_S5_PxN6thrust23THRUST_200600_302600_NS6detail15normal_iteratorINS9_10device_ptrIxEEEENS0_8identityIxEEEE10hipError_tT2_T3_mT4_P12ihipStream_tbEUlT_E_NS1_11comp_targetILNS1_3genE10ELNS1_11target_archE1200ELNS1_3gpuE4ELNS1_3repE0EEENS1_30default_config_static_selectorELNS0_4arch9wavefront6targetE1EEEvT1_,comdat
.Lfunc_end1119:
	.size	_ZN7rocprim17ROCPRIM_400000_NS6detail17trampoline_kernelINS0_14default_configENS1_25transform_config_selectorIxLb0EEEZNS1_14transform_implILb0ES3_S5_PxN6thrust23THRUST_200600_302600_NS6detail15normal_iteratorINS9_10device_ptrIxEEEENS0_8identityIxEEEE10hipError_tT2_T3_mT4_P12ihipStream_tbEUlT_E_NS1_11comp_targetILNS1_3genE10ELNS1_11target_archE1200ELNS1_3gpuE4ELNS1_3repE0EEENS1_30default_config_static_selectorELNS0_4arch9wavefront6targetE1EEEvT1_, .Lfunc_end1119-_ZN7rocprim17ROCPRIM_400000_NS6detail17trampoline_kernelINS0_14default_configENS1_25transform_config_selectorIxLb0EEEZNS1_14transform_implILb0ES3_S5_PxN6thrust23THRUST_200600_302600_NS6detail15normal_iteratorINS9_10device_ptrIxEEEENS0_8identityIxEEEE10hipError_tT2_T3_mT4_P12ihipStream_tbEUlT_E_NS1_11comp_targetILNS1_3genE10ELNS1_11target_archE1200ELNS1_3gpuE4ELNS1_3repE0EEENS1_30default_config_static_selectorELNS0_4arch9wavefront6targetE1EEEvT1_
                                        ; -- End function
	.set _ZN7rocprim17ROCPRIM_400000_NS6detail17trampoline_kernelINS0_14default_configENS1_25transform_config_selectorIxLb0EEEZNS1_14transform_implILb0ES3_S5_PxN6thrust23THRUST_200600_302600_NS6detail15normal_iteratorINS9_10device_ptrIxEEEENS0_8identityIxEEEE10hipError_tT2_T3_mT4_P12ihipStream_tbEUlT_E_NS1_11comp_targetILNS1_3genE10ELNS1_11target_archE1200ELNS1_3gpuE4ELNS1_3repE0EEENS1_30default_config_static_selectorELNS0_4arch9wavefront6targetE1EEEvT1_.num_vgpr, 0
	.set _ZN7rocprim17ROCPRIM_400000_NS6detail17trampoline_kernelINS0_14default_configENS1_25transform_config_selectorIxLb0EEEZNS1_14transform_implILb0ES3_S5_PxN6thrust23THRUST_200600_302600_NS6detail15normal_iteratorINS9_10device_ptrIxEEEENS0_8identityIxEEEE10hipError_tT2_T3_mT4_P12ihipStream_tbEUlT_E_NS1_11comp_targetILNS1_3genE10ELNS1_11target_archE1200ELNS1_3gpuE4ELNS1_3repE0EEENS1_30default_config_static_selectorELNS0_4arch9wavefront6targetE1EEEvT1_.num_agpr, 0
	.set _ZN7rocprim17ROCPRIM_400000_NS6detail17trampoline_kernelINS0_14default_configENS1_25transform_config_selectorIxLb0EEEZNS1_14transform_implILb0ES3_S5_PxN6thrust23THRUST_200600_302600_NS6detail15normal_iteratorINS9_10device_ptrIxEEEENS0_8identityIxEEEE10hipError_tT2_T3_mT4_P12ihipStream_tbEUlT_E_NS1_11comp_targetILNS1_3genE10ELNS1_11target_archE1200ELNS1_3gpuE4ELNS1_3repE0EEENS1_30default_config_static_selectorELNS0_4arch9wavefront6targetE1EEEvT1_.numbered_sgpr, 0
	.set _ZN7rocprim17ROCPRIM_400000_NS6detail17trampoline_kernelINS0_14default_configENS1_25transform_config_selectorIxLb0EEEZNS1_14transform_implILb0ES3_S5_PxN6thrust23THRUST_200600_302600_NS6detail15normal_iteratorINS9_10device_ptrIxEEEENS0_8identityIxEEEE10hipError_tT2_T3_mT4_P12ihipStream_tbEUlT_E_NS1_11comp_targetILNS1_3genE10ELNS1_11target_archE1200ELNS1_3gpuE4ELNS1_3repE0EEENS1_30default_config_static_selectorELNS0_4arch9wavefront6targetE1EEEvT1_.num_named_barrier, 0
	.set _ZN7rocprim17ROCPRIM_400000_NS6detail17trampoline_kernelINS0_14default_configENS1_25transform_config_selectorIxLb0EEEZNS1_14transform_implILb0ES3_S5_PxN6thrust23THRUST_200600_302600_NS6detail15normal_iteratorINS9_10device_ptrIxEEEENS0_8identityIxEEEE10hipError_tT2_T3_mT4_P12ihipStream_tbEUlT_E_NS1_11comp_targetILNS1_3genE10ELNS1_11target_archE1200ELNS1_3gpuE4ELNS1_3repE0EEENS1_30default_config_static_selectorELNS0_4arch9wavefront6targetE1EEEvT1_.private_seg_size, 0
	.set _ZN7rocprim17ROCPRIM_400000_NS6detail17trampoline_kernelINS0_14default_configENS1_25transform_config_selectorIxLb0EEEZNS1_14transform_implILb0ES3_S5_PxN6thrust23THRUST_200600_302600_NS6detail15normal_iteratorINS9_10device_ptrIxEEEENS0_8identityIxEEEE10hipError_tT2_T3_mT4_P12ihipStream_tbEUlT_E_NS1_11comp_targetILNS1_3genE10ELNS1_11target_archE1200ELNS1_3gpuE4ELNS1_3repE0EEENS1_30default_config_static_selectorELNS0_4arch9wavefront6targetE1EEEvT1_.uses_vcc, 0
	.set _ZN7rocprim17ROCPRIM_400000_NS6detail17trampoline_kernelINS0_14default_configENS1_25transform_config_selectorIxLb0EEEZNS1_14transform_implILb0ES3_S5_PxN6thrust23THRUST_200600_302600_NS6detail15normal_iteratorINS9_10device_ptrIxEEEENS0_8identityIxEEEE10hipError_tT2_T3_mT4_P12ihipStream_tbEUlT_E_NS1_11comp_targetILNS1_3genE10ELNS1_11target_archE1200ELNS1_3gpuE4ELNS1_3repE0EEENS1_30default_config_static_selectorELNS0_4arch9wavefront6targetE1EEEvT1_.uses_flat_scratch, 0
	.set _ZN7rocprim17ROCPRIM_400000_NS6detail17trampoline_kernelINS0_14default_configENS1_25transform_config_selectorIxLb0EEEZNS1_14transform_implILb0ES3_S5_PxN6thrust23THRUST_200600_302600_NS6detail15normal_iteratorINS9_10device_ptrIxEEEENS0_8identityIxEEEE10hipError_tT2_T3_mT4_P12ihipStream_tbEUlT_E_NS1_11comp_targetILNS1_3genE10ELNS1_11target_archE1200ELNS1_3gpuE4ELNS1_3repE0EEENS1_30default_config_static_selectorELNS0_4arch9wavefront6targetE1EEEvT1_.has_dyn_sized_stack, 0
	.set _ZN7rocprim17ROCPRIM_400000_NS6detail17trampoline_kernelINS0_14default_configENS1_25transform_config_selectorIxLb0EEEZNS1_14transform_implILb0ES3_S5_PxN6thrust23THRUST_200600_302600_NS6detail15normal_iteratorINS9_10device_ptrIxEEEENS0_8identityIxEEEE10hipError_tT2_T3_mT4_P12ihipStream_tbEUlT_E_NS1_11comp_targetILNS1_3genE10ELNS1_11target_archE1200ELNS1_3gpuE4ELNS1_3repE0EEENS1_30default_config_static_selectorELNS0_4arch9wavefront6targetE1EEEvT1_.has_recursion, 0
	.set _ZN7rocprim17ROCPRIM_400000_NS6detail17trampoline_kernelINS0_14default_configENS1_25transform_config_selectorIxLb0EEEZNS1_14transform_implILb0ES3_S5_PxN6thrust23THRUST_200600_302600_NS6detail15normal_iteratorINS9_10device_ptrIxEEEENS0_8identityIxEEEE10hipError_tT2_T3_mT4_P12ihipStream_tbEUlT_E_NS1_11comp_targetILNS1_3genE10ELNS1_11target_archE1200ELNS1_3gpuE4ELNS1_3repE0EEENS1_30default_config_static_selectorELNS0_4arch9wavefront6targetE1EEEvT1_.has_indirect_call, 0
	.section	.AMDGPU.csdata,"",@progbits
; Kernel info:
; codeLenInByte = 0
; TotalNumSgprs: 6
; NumVgprs: 0
; NumAgprs: 0
; TotalNumVgprs: 0
; ScratchSize: 0
; MemoryBound: 0
; FloatMode: 240
; IeeeMode: 1
; LDSByteSize: 0 bytes/workgroup (compile time only)
; SGPRBlocks: 0
; VGPRBlocks: 0
; NumSGPRsForWavesPerEU: 6
; NumVGPRsForWavesPerEU: 1
; AccumOffset: 4
; Occupancy: 8
; WaveLimiterHint : 0
; COMPUTE_PGM_RSRC2:SCRATCH_EN: 0
; COMPUTE_PGM_RSRC2:USER_SGPR: 2
; COMPUTE_PGM_RSRC2:TRAP_HANDLER: 0
; COMPUTE_PGM_RSRC2:TGID_X_EN: 1
; COMPUTE_PGM_RSRC2:TGID_Y_EN: 0
; COMPUTE_PGM_RSRC2:TGID_Z_EN: 0
; COMPUTE_PGM_RSRC2:TIDIG_COMP_CNT: 0
; COMPUTE_PGM_RSRC3_GFX90A:ACCUM_OFFSET: 0
; COMPUTE_PGM_RSRC3_GFX90A:TG_SPLIT: 0
	.section	.text._ZN7rocprim17ROCPRIM_400000_NS6detail17trampoline_kernelINS0_14default_configENS1_25transform_config_selectorIxLb0EEEZNS1_14transform_implILb0ES3_S5_PxN6thrust23THRUST_200600_302600_NS6detail15normal_iteratorINS9_10device_ptrIxEEEENS0_8identityIxEEEE10hipError_tT2_T3_mT4_P12ihipStream_tbEUlT_E_NS1_11comp_targetILNS1_3genE9ELNS1_11target_archE1100ELNS1_3gpuE3ELNS1_3repE0EEENS1_30default_config_static_selectorELNS0_4arch9wavefront6targetE1EEEvT1_,"axG",@progbits,_ZN7rocprim17ROCPRIM_400000_NS6detail17trampoline_kernelINS0_14default_configENS1_25transform_config_selectorIxLb0EEEZNS1_14transform_implILb0ES3_S5_PxN6thrust23THRUST_200600_302600_NS6detail15normal_iteratorINS9_10device_ptrIxEEEENS0_8identityIxEEEE10hipError_tT2_T3_mT4_P12ihipStream_tbEUlT_E_NS1_11comp_targetILNS1_3genE9ELNS1_11target_archE1100ELNS1_3gpuE3ELNS1_3repE0EEENS1_30default_config_static_selectorELNS0_4arch9wavefront6targetE1EEEvT1_,comdat
	.protected	_ZN7rocprim17ROCPRIM_400000_NS6detail17trampoline_kernelINS0_14default_configENS1_25transform_config_selectorIxLb0EEEZNS1_14transform_implILb0ES3_S5_PxN6thrust23THRUST_200600_302600_NS6detail15normal_iteratorINS9_10device_ptrIxEEEENS0_8identityIxEEEE10hipError_tT2_T3_mT4_P12ihipStream_tbEUlT_E_NS1_11comp_targetILNS1_3genE9ELNS1_11target_archE1100ELNS1_3gpuE3ELNS1_3repE0EEENS1_30default_config_static_selectorELNS0_4arch9wavefront6targetE1EEEvT1_ ; -- Begin function _ZN7rocprim17ROCPRIM_400000_NS6detail17trampoline_kernelINS0_14default_configENS1_25transform_config_selectorIxLb0EEEZNS1_14transform_implILb0ES3_S5_PxN6thrust23THRUST_200600_302600_NS6detail15normal_iteratorINS9_10device_ptrIxEEEENS0_8identityIxEEEE10hipError_tT2_T3_mT4_P12ihipStream_tbEUlT_E_NS1_11comp_targetILNS1_3genE9ELNS1_11target_archE1100ELNS1_3gpuE3ELNS1_3repE0EEENS1_30default_config_static_selectorELNS0_4arch9wavefront6targetE1EEEvT1_
	.globl	_ZN7rocprim17ROCPRIM_400000_NS6detail17trampoline_kernelINS0_14default_configENS1_25transform_config_selectorIxLb0EEEZNS1_14transform_implILb0ES3_S5_PxN6thrust23THRUST_200600_302600_NS6detail15normal_iteratorINS9_10device_ptrIxEEEENS0_8identityIxEEEE10hipError_tT2_T3_mT4_P12ihipStream_tbEUlT_E_NS1_11comp_targetILNS1_3genE9ELNS1_11target_archE1100ELNS1_3gpuE3ELNS1_3repE0EEENS1_30default_config_static_selectorELNS0_4arch9wavefront6targetE1EEEvT1_
	.p2align	8
	.type	_ZN7rocprim17ROCPRIM_400000_NS6detail17trampoline_kernelINS0_14default_configENS1_25transform_config_selectorIxLb0EEEZNS1_14transform_implILb0ES3_S5_PxN6thrust23THRUST_200600_302600_NS6detail15normal_iteratorINS9_10device_ptrIxEEEENS0_8identityIxEEEE10hipError_tT2_T3_mT4_P12ihipStream_tbEUlT_E_NS1_11comp_targetILNS1_3genE9ELNS1_11target_archE1100ELNS1_3gpuE3ELNS1_3repE0EEENS1_30default_config_static_selectorELNS0_4arch9wavefront6targetE1EEEvT1_,@function
_ZN7rocprim17ROCPRIM_400000_NS6detail17trampoline_kernelINS0_14default_configENS1_25transform_config_selectorIxLb0EEEZNS1_14transform_implILb0ES3_S5_PxN6thrust23THRUST_200600_302600_NS6detail15normal_iteratorINS9_10device_ptrIxEEEENS0_8identityIxEEEE10hipError_tT2_T3_mT4_P12ihipStream_tbEUlT_E_NS1_11comp_targetILNS1_3genE9ELNS1_11target_archE1100ELNS1_3gpuE3ELNS1_3repE0EEENS1_30default_config_static_selectorELNS0_4arch9wavefront6targetE1EEEvT1_: ; @_ZN7rocprim17ROCPRIM_400000_NS6detail17trampoline_kernelINS0_14default_configENS1_25transform_config_selectorIxLb0EEEZNS1_14transform_implILb0ES3_S5_PxN6thrust23THRUST_200600_302600_NS6detail15normal_iteratorINS9_10device_ptrIxEEEENS0_8identityIxEEEE10hipError_tT2_T3_mT4_P12ihipStream_tbEUlT_E_NS1_11comp_targetILNS1_3genE9ELNS1_11target_archE1100ELNS1_3gpuE3ELNS1_3repE0EEENS1_30default_config_static_selectorELNS0_4arch9wavefront6targetE1EEEvT1_
; %bb.0:
	.section	.rodata,"a",@progbits
	.p2align	6, 0x0
	.amdhsa_kernel _ZN7rocprim17ROCPRIM_400000_NS6detail17trampoline_kernelINS0_14default_configENS1_25transform_config_selectorIxLb0EEEZNS1_14transform_implILb0ES3_S5_PxN6thrust23THRUST_200600_302600_NS6detail15normal_iteratorINS9_10device_ptrIxEEEENS0_8identityIxEEEE10hipError_tT2_T3_mT4_P12ihipStream_tbEUlT_E_NS1_11comp_targetILNS1_3genE9ELNS1_11target_archE1100ELNS1_3gpuE3ELNS1_3repE0EEENS1_30default_config_static_selectorELNS0_4arch9wavefront6targetE1EEEvT1_
		.amdhsa_group_segment_fixed_size 0
		.amdhsa_private_segment_fixed_size 0
		.amdhsa_kernarg_size 40
		.amdhsa_user_sgpr_count 2
		.amdhsa_user_sgpr_dispatch_ptr 0
		.amdhsa_user_sgpr_queue_ptr 0
		.amdhsa_user_sgpr_kernarg_segment_ptr 1
		.amdhsa_user_sgpr_dispatch_id 0
		.amdhsa_user_sgpr_kernarg_preload_length 0
		.amdhsa_user_sgpr_kernarg_preload_offset 0
		.amdhsa_user_sgpr_private_segment_size 0
		.amdhsa_uses_dynamic_stack 0
		.amdhsa_enable_private_segment 0
		.amdhsa_system_sgpr_workgroup_id_x 1
		.amdhsa_system_sgpr_workgroup_id_y 0
		.amdhsa_system_sgpr_workgroup_id_z 0
		.amdhsa_system_sgpr_workgroup_info 0
		.amdhsa_system_vgpr_workitem_id 0
		.amdhsa_next_free_vgpr 1
		.amdhsa_next_free_sgpr 0
		.amdhsa_accum_offset 4
		.amdhsa_reserve_vcc 0
		.amdhsa_float_round_mode_32 0
		.amdhsa_float_round_mode_16_64 0
		.amdhsa_float_denorm_mode_32 3
		.amdhsa_float_denorm_mode_16_64 3
		.amdhsa_dx10_clamp 1
		.amdhsa_ieee_mode 1
		.amdhsa_fp16_overflow 0
		.amdhsa_tg_split 0
		.amdhsa_exception_fp_ieee_invalid_op 0
		.amdhsa_exception_fp_denorm_src 0
		.amdhsa_exception_fp_ieee_div_zero 0
		.amdhsa_exception_fp_ieee_overflow 0
		.amdhsa_exception_fp_ieee_underflow 0
		.amdhsa_exception_fp_ieee_inexact 0
		.amdhsa_exception_int_div_zero 0
	.end_amdhsa_kernel
	.section	.text._ZN7rocprim17ROCPRIM_400000_NS6detail17trampoline_kernelINS0_14default_configENS1_25transform_config_selectorIxLb0EEEZNS1_14transform_implILb0ES3_S5_PxN6thrust23THRUST_200600_302600_NS6detail15normal_iteratorINS9_10device_ptrIxEEEENS0_8identityIxEEEE10hipError_tT2_T3_mT4_P12ihipStream_tbEUlT_E_NS1_11comp_targetILNS1_3genE9ELNS1_11target_archE1100ELNS1_3gpuE3ELNS1_3repE0EEENS1_30default_config_static_selectorELNS0_4arch9wavefront6targetE1EEEvT1_,"axG",@progbits,_ZN7rocprim17ROCPRIM_400000_NS6detail17trampoline_kernelINS0_14default_configENS1_25transform_config_selectorIxLb0EEEZNS1_14transform_implILb0ES3_S5_PxN6thrust23THRUST_200600_302600_NS6detail15normal_iteratorINS9_10device_ptrIxEEEENS0_8identityIxEEEE10hipError_tT2_T3_mT4_P12ihipStream_tbEUlT_E_NS1_11comp_targetILNS1_3genE9ELNS1_11target_archE1100ELNS1_3gpuE3ELNS1_3repE0EEENS1_30default_config_static_selectorELNS0_4arch9wavefront6targetE1EEEvT1_,comdat
.Lfunc_end1120:
	.size	_ZN7rocprim17ROCPRIM_400000_NS6detail17trampoline_kernelINS0_14default_configENS1_25transform_config_selectorIxLb0EEEZNS1_14transform_implILb0ES3_S5_PxN6thrust23THRUST_200600_302600_NS6detail15normal_iteratorINS9_10device_ptrIxEEEENS0_8identityIxEEEE10hipError_tT2_T3_mT4_P12ihipStream_tbEUlT_E_NS1_11comp_targetILNS1_3genE9ELNS1_11target_archE1100ELNS1_3gpuE3ELNS1_3repE0EEENS1_30default_config_static_selectorELNS0_4arch9wavefront6targetE1EEEvT1_, .Lfunc_end1120-_ZN7rocprim17ROCPRIM_400000_NS6detail17trampoline_kernelINS0_14default_configENS1_25transform_config_selectorIxLb0EEEZNS1_14transform_implILb0ES3_S5_PxN6thrust23THRUST_200600_302600_NS6detail15normal_iteratorINS9_10device_ptrIxEEEENS0_8identityIxEEEE10hipError_tT2_T3_mT4_P12ihipStream_tbEUlT_E_NS1_11comp_targetILNS1_3genE9ELNS1_11target_archE1100ELNS1_3gpuE3ELNS1_3repE0EEENS1_30default_config_static_selectorELNS0_4arch9wavefront6targetE1EEEvT1_
                                        ; -- End function
	.set _ZN7rocprim17ROCPRIM_400000_NS6detail17trampoline_kernelINS0_14default_configENS1_25transform_config_selectorIxLb0EEEZNS1_14transform_implILb0ES3_S5_PxN6thrust23THRUST_200600_302600_NS6detail15normal_iteratorINS9_10device_ptrIxEEEENS0_8identityIxEEEE10hipError_tT2_T3_mT4_P12ihipStream_tbEUlT_E_NS1_11comp_targetILNS1_3genE9ELNS1_11target_archE1100ELNS1_3gpuE3ELNS1_3repE0EEENS1_30default_config_static_selectorELNS0_4arch9wavefront6targetE1EEEvT1_.num_vgpr, 0
	.set _ZN7rocprim17ROCPRIM_400000_NS6detail17trampoline_kernelINS0_14default_configENS1_25transform_config_selectorIxLb0EEEZNS1_14transform_implILb0ES3_S5_PxN6thrust23THRUST_200600_302600_NS6detail15normal_iteratorINS9_10device_ptrIxEEEENS0_8identityIxEEEE10hipError_tT2_T3_mT4_P12ihipStream_tbEUlT_E_NS1_11comp_targetILNS1_3genE9ELNS1_11target_archE1100ELNS1_3gpuE3ELNS1_3repE0EEENS1_30default_config_static_selectorELNS0_4arch9wavefront6targetE1EEEvT1_.num_agpr, 0
	.set _ZN7rocprim17ROCPRIM_400000_NS6detail17trampoline_kernelINS0_14default_configENS1_25transform_config_selectorIxLb0EEEZNS1_14transform_implILb0ES3_S5_PxN6thrust23THRUST_200600_302600_NS6detail15normal_iteratorINS9_10device_ptrIxEEEENS0_8identityIxEEEE10hipError_tT2_T3_mT4_P12ihipStream_tbEUlT_E_NS1_11comp_targetILNS1_3genE9ELNS1_11target_archE1100ELNS1_3gpuE3ELNS1_3repE0EEENS1_30default_config_static_selectorELNS0_4arch9wavefront6targetE1EEEvT1_.numbered_sgpr, 0
	.set _ZN7rocprim17ROCPRIM_400000_NS6detail17trampoline_kernelINS0_14default_configENS1_25transform_config_selectorIxLb0EEEZNS1_14transform_implILb0ES3_S5_PxN6thrust23THRUST_200600_302600_NS6detail15normal_iteratorINS9_10device_ptrIxEEEENS0_8identityIxEEEE10hipError_tT2_T3_mT4_P12ihipStream_tbEUlT_E_NS1_11comp_targetILNS1_3genE9ELNS1_11target_archE1100ELNS1_3gpuE3ELNS1_3repE0EEENS1_30default_config_static_selectorELNS0_4arch9wavefront6targetE1EEEvT1_.num_named_barrier, 0
	.set _ZN7rocprim17ROCPRIM_400000_NS6detail17trampoline_kernelINS0_14default_configENS1_25transform_config_selectorIxLb0EEEZNS1_14transform_implILb0ES3_S5_PxN6thrust23THRUST_200600_302600_NS6detail15normal_iteratorINS9_10device_ptrIxEEEENS0_8identityIxEEEE10hipError_tT2_T3_mT4_P12ihipStream_tbEUlT_E_NS1_11comp_targetILNS1_3genE9ELNS1_11target_archE1100ELNS1_3gpuE3ELNS1_3repE0EEENS1_30default_config_static_selectorELNS0_4arch9wavefront6targetE1EEEvT1_.private_seg_size, 0
	.set _ZN7rocprim17ROCPRIM_400000_NS6detail17trampoline_kernelINS0_14default_configENS1_25transform_config_selectorIxLb0EEEZNS1_14transform_implILb0ES3_S5_PxN6thrust23THRUST_200600_302600_NS6detail15normal_iteratorINS9_10device_ptrIxEEEENS0_8identityIxEEEE10hipError_tT2_T3_mT4_P12ihipStream_tbEUlT_E_NS1_11comp_targetILNS1_3genE9ELNS1_11target_archE1100ELNS1_3gpuE3ELNS1_3repE0EEENS1_30default_config_static_selectorELNS0_4arch9wavefront6targetE1EEEvT1_.uses_vcc, 0
	.set _ZN7rocprim17ROCPRIM_400000_NS6detail17trampoline_kernelINS0_14default_configENS1_25transform_config_selectorIxLb0EEEZNS1_14transform_implILb0ES3_S5_PxN6thrust23THRUST_200600_302600_NS6detail15normal_iteratorINS9_10device_ptrIxEEEENS0_8identityIxEEEE10hipError_tT2_T3_mT4_P12ihipStream_tbEUlT_E_NS1_11comp_targetILNS1_3genE9ELNS1_11target_archE1100ELNS1_3gpuE3ELNS1_3repE0EEENS1_30default_config_static_selectorELNS0_4arch9wavefront6targetE1EEEvT1_.uses_flat_scratch, 0
	.set _ZN7rocprim17ROCPRIM_400000_NS6detail17trampoline_kernelINS0_14default_configENS1_25transform_config_selectorIxLb0EEEZNS1_14transform_implILb0ES3_S5_PxN6thrust23THRUST_200600_302600_NS6detail15normal_iteratorINS9_10device_ptrIxEEEENS0_8identityIxEEEE10hipError_tT2_T3_mT4_P12ihipStream_tbEUlT_E_NS1_11comp_targetILNS1_3genE9ELNS1_11target_archE1100ELNS1_3gpuE3ELNS1_3repE0EEENS1_30default_config_static_selectorELNS0_4arch9wavefront6targetE1EEEvT1_.has_dyn_sized_stack, 0
	.set _ZN7rocprim17ROCPRIM_400000_NS6detail17trampoline_kernelINS0_14default_configENS1_25transform_config_selectorIxLb0EEEZNS1_14transform_implILb0ES3_S5_PxN6thrust23THRUST_200600_302600_NS6detail15normal_iteratorINS9_10device_ptrIxEEEENS0_8identityIxEEEE10hipError_tT2_T3_mT4_P12ihipStream_tbEUlT_E_NS1_11comp_targetILNS1_3genE9ELNS1_11target_archE1100ELNS1_3gpuE3ELNS1_3repE0EEENS1_30default_config_static_selectorELNS0_4arch9wavefront6targetE1EEEvT1_.has_recursion, 0
	.set _ZN7rocprim17ROCPRIM_400000_NS6detail17trampoline_kernelINS0_14default_configENS1_25transform_config_selectorIxLb0EEEZNS1_14transform_implILb0ES3_S5_PxN6thrust23THRUST_200600_302600_NS6detail15normal_iteratorINS9_10device_ptrIxEEEENS0_8identityIxEEEE10hipError_tT2_T3_mT4_P12ihipStream_tbEUlT_E_NS1_11comp_targetILNS1_3genE9ELNS1_11target_archE1100ELNS1_3gpuE3ELNS1_3repE0EEENS1_30default_config_static_selectorELNS0_4arch9wavefront6targetE1EEEvT1_.has_indirect_call, 0
	.section	.AMDGPU.csdata,"",@progbits
; Kernel info:
; codeLenInByte = 0
; TotalNumSgprs: 6
; NumVgprs: 0
; NumAgprs: 0
; TotalNumVgprs: 0
; ScratchSize: 0
; MemoryBound: 0
; FloatMode: 240
; IeeeMode: 1
; LDSByteSize: 0 bytes/workgroup (compile time only)
; SGPRBlocks: 0
; VGPRBlocks: 0
; NumSGPRsForWavesPerEU: 6
; NumVGPRsForWavesPerEU: 1
; AccumOffset: 4
; Occupancy: 8
; WaveLimiterHint : 0
; COMPUTE_PGM_RSRC2:SCRATCH_EN: 0
; COMPUTE_PGM_RSRC2:USER_SGPR: 2
; COMPUTE_PGM_RSRC2:TRAP_HANDLER: 0
; COMPUTE_PGM_RSRC2:TGID_X_EN: 1
; COMPUTE_PGM_RSRC2:TGID_Y_EN: 0
; COMPUTE_PGM_RSRC2:TGID_Z_EN: 0
; COMPUTE_PGM_RSRC2:TIDIG_COMP_CNT: 0
; COMPUTE_PGM_RSRC3_GFX90A:ACCUM_OFFSET: 0
; COMPUTE_PGM_RSRC3_GFX90A:TG_SPLIT: 0
	.section	.text._ZN7rocprim17ROCPRIM_400000_NS6detail17trampoline_kernelINS0_14default_configENS1_25transform_config_selectorIxLb0EEEZNS1_14transform_implILb0ES3_S5_PxN6thrust23THRUST_200600_302600_NS6detail15normal_iteratorINS9_10device_ptrIxEEEENS0_8identityIxEEEE10hipError_tT2_T3_mT4_P12ihipStream_tbEUlT_E_NS1_11comp_targetILNS1_3genE8ELNS1_11target_archE1030ELNS1_3gpuE2ELNS1_3repE0EEENS1_30default_config_static_selectorELNS0_4arch9wavefront6targetE1EEEvT1_,"axG",@progbits,_ZN7rocprim17ROCPRIM_400000_NS6detail17trampoline_kernelINS0_14default_configENS1_25transform_config_selectorIxLb0EEEZNS1_14transform_implILb0ES3_S5_PxN6thrust23THRUST_200600_302600_NS6detail15normal_iteratorINS9_10device_ptrIxEEEENS0_8identityIxEEEE10hipError_tT2_T3_mT4_P12ihipStream_tbEUlT_E_NS1_11comp_targetILNS1_3genE8ELNS1_11target_archE1030ELNS1_3gpuE2ELNS1_3repE0EEENS1_30default_config_static_selectorELNS0_4arch9wavefront6targetE1EEEvT1_,comdat
	.protected	_ZN7rocprim17ROCPRIM_400000_NS6detail17trampoline_kernelINS0_14default_configENS1_25transform_config_selectorIxLb0EEEZNS1_14transform_implILb0ES3_S5_PxN6thrust23THRUST_200600_302600_NS6detail15normal_iteratorINS9_10device_ptrIxEEEENS0_8identityIxEEEE10hipError_tT2_T3_mT4_P12ihipStream_tbEUlT_E_NS1_11comp_targetILNS1_3genE8ELNS1_11target_archE1030ELNS1_3gpuE2ELNS1_3repE0EEENS1_30default_config_static_selectorELNS0_4arch9wavefront6targetE1EEEvT1_ ; -- Begin function _ZN7rocprim17ROCPRIM_400000_NS6detail17trampoline_kernelINS0_14default_configENS1_25transform_config_selectorIxLb0EEEZNS1_14transform_implILb0ES3_S5_PxN6thrust23THRUST_200600_302600_NS6detail15normal_iteratorINS9_10device_ptrIxEEEENS0_8identityIxEEEE10hipError_tT2_T3_mT4_P12ihipStream_tbEUlT_E_NS1_11comp_targetILNS1_3genE8ELNS1_11target_archE1030ELNS1_3gpuE2ELNS1_3repE0EEENS1_30default_config_static_selectorELNS0_4arch9wavefront6targetE1EEEvT1_
	.globl	_ZN7rocprim17ROCPRIM_400000_NS6detail17trampoline_kernelINS0_14default_configENS1_25transform_config_selectorIxLb0EEEZNS1_14transform_implILb0ES3_S5_PxN6thrust23THRUST_200600_302600_NS6detail15normal_iteratorINS9_10device_ptrIxEEEENS0_8identityIxEEEE10hipError_tT2_T3_mT4_P12ihipStream_tbEUlT_E_NS1_11comp_targetILNS1_3genE8ELNS1_11target_archE1030ELNS1_3gpuE2ELNS1_3repE0EEENS1_30default_config_static_selectorELNS0_4arch9wavefront6targetE1EEEvT1_
	.p2align	8
	.type	_ZN7rocprim17ROCPRIM_400000_NS6detail17trampoline_kernelINS0_14default_configENS1_25transform_config_selectorIxLb0EEEZNS1_14transform_implILb0ES3_S5_PxN6thrust23THRUST_200600_302600_NS6detail15normal_iteratorINS9_10device_ptrIxEEEENS0_8identityIxEEEE10hipError_tT2_T3_mT4_P12ihipStream_tbEUlT_E_NS1_11comp_targetILNS1_3genE8ELNS1_11target_archE1030ELNS1_3gpuE2ELNS1_3repE0EEENS1_30default_config_static_selectorELNS0_4arch9wavefront6targetE1EEEvT1_,@function
_ZN7rocprim17ROCPRIM_400000_NS6detail17trampoline_kernelINS0_14default_configENS1_25transform_config_selectorIxLb0EEEZNS1_14transform_implILb0ES3_S5_PxN6thrust23THRUST_200600_302600_NS6detail15normal_iteratorINS9_10device_ptrIxEEEENS0_8identityIxEEEE10hipError_tT2_T3_mT4_P12ihipStream_tbEUlT_E_NS1_11comp_targetILNS1_3genE8ELNS1_11target_archE1030ELNS1_3gpuE2ELNS1_3repE0EEENS1_30default_config_static_selectorELNS0_4arch9wavefront6targetE1EEEvT1_: ; @_ZN7rocprim17ROCPRIM_400000_NS6detail17trampoline_kernelINS0_14default_configENS1_25transform_config_selectorIxLb0EEEZNS1_14transform_implILb0ES3_S5_PxN6thrust23THRUST_200600_302600_NS6detail15normal_iteratorINS9_10device_ptrIxEEEENS0_8identityIxEEEE10hipError_tT2_T3_mT4_P12ihipStream_tbEUlT_E_NS1_11comp_targetILNS1_3genE8ELNS1_11target_archE1030ELNS1_3gpuE2ELNS1_3repE0EEENS1_30default_config_static_selectorELNS0_4arch9wavefront6targetE1EEEvT1_
; %bb.0:
	.section	.rodata,"a",@progbits
	.p2align	6, 0x0
	.amdhsa_kernel _ZN7rocprim17ROCPRIM_400000_NS6detail17trampoline_kernelINS0_14default_configENS1_25transform_config_selectorIxLb0EEEZNS1_14transform_implILb0ES3_S5_PxN6thrust23THRUST_200600_302600_NS6detail15normal_iteratorINS9_10device_ptrIxEEEENS0_8identityIxEEEE10hipError_tT2_T3_mT4_P12ihipStream_tbEUlT_E_NS1_11comp_targetILNS1_3genE8ELNS1_11target_archE1030ELNS1_3gpuE2ELNS1_3repE0EEENS1_30default_config_static_selectorELNS0_4arch9wavefront6targetE1EEEvT1_
		.amdhsa_group_segment_fixed_size 0
		.amdhsa_private_segment_fixed_size 0
		.amdhsa_kernarg_size 40
		.amdhsa_user_sgpr_count 2
		.amdhsa_user_sgpr_dispatch_ptr 0
		.amdhsa_user_sgpr_queue_ptr 0
		.amdhsa_user_sgpr_kernarg_segment_ptr 1
		.amdhsa_user_sgpr_dispatch_id 0
		.amdhsa_user_sgpr_kernarg_preload_length 0
		.amdhsa_user_sgpr_kernarg_preload_offset 0
		.amdhsa_user_sgpr_private_segment_size 0
		.amdhsa_uses_dynamic_stack 0
		.amdhsa_enable_private_segment 0
		.amdhsa_system_sgpr_workgroup_id_x 1
		.amdhsa_system_sgpr_workgroup_id_y 0
		.amdhsa_system_sgpr_workgroup_id_z 0
		.amdhsa_system_sgpr_workgroup_info 0
		.amdhsa_system_vgpr_workitem_id 0
		.amdhsa_next_free_vgpr 1
		.amdhsa_next_free_sgpr 0
		.amdhsa_accum_offset 4
		.amdhsa_reserve_vcc 0
		.amdhsa_float_round_mode_32 0
		.amdhsa_float_round_mode_16_64 0
		.amdhsa_float_denorm_mode_32 3
		.amdhsa_float_denorm_mode_16_64 3
		.amdhsa_dx10_clamp 1
		.amdhsa_ieee_mode 1
		.amdhsa_fp16_overflow 0
		.amdhsa_tg_split 0
		.amdhsa_exception_fp_ieee_invalid_op 0
		.amdhsa_exception_fp_denorm_src 0
		.amdhsa_exception_fp_ieee_div_zero 0
		.amdhsa_exception_fp_ieee_overflow 0
		.amdhsa_exception_fp_ieee_underflow 0
		.amdhsa_exception_fp_ieee_inexact 0
		.amdhsa_exception_int_div_zero 0
	.end_amdhsa_kernel
	.section	.text._ZN7rocprim17ROCPRIM_400000_NS6detail17trampoline_kernelINS0_14default_configENS1_25transform_config_selectorIxLb0EEEZNS1_14transform_implILb0ES3_S5_PxN6thrust23THRUST_200600_302600_NS6detail15normal_iteratorINS9_10device_ptrIxEEEENS0_8identityIxEEEE10hipError_tT2_T3_mT4_P12ihipStream_tbEUlT_E_NS1_11comp_targetILNS1_3genE8ELNS1_11target_archE1030ELNS1_3gpuE2ELNS1_3repE0EEENS1_30default_config_static_selectorELNS0_4arch9wavefront6targetE1EEEvT1_,"axG",@progbits,_ZN7rocprim17ROCPRIM_400000_NS6detail17trampoline_kernelINS0_14default_configENS1_25transform_config_selectorIxLb0EEEZNS1_14transform_implILb0ES3_S5_PxN6thrust23THRUST_200600_302600_NS6detail15normal_iteratorINS9_10device_ptrIxEEEENS0_8identityIxEEEE10hipError_tT2_T3_mT4_P12ihipStream_tbEUlT_E_NS1_11comp_targetILNS1_3genE8ELNS1_11target_archE1030ELNS1_3gpuE2ELNS1_3repE0EEENS1_30default_config_static_selectorELNS0_4arch9wavefront6targetE1EEEvT1_,comdat
.Lfunc_end1121:
	.size	_ZN7rocprim17ROCPRIM_400000_NS6detail17trampoline_kernelINS0_14default_configENS1_25transform_config_selectorIxLb0EEEZNS1_14transform_implILb0ES3_S5_PxN6thrust23THRUST_200600_302600_NS6detail15normal_iteratorINS9_10device_ptrIxEEEENS0_8identityIxEEEE10hipError_tT2_T3_mT4_P12ihipStream_tbEUlT_E_NS1_11comp_targetILNS1_3genE8ELNS1_11target_archE1030ELNS1_3gpuE2ELNS1_3repE0EEENS1_30default_config_static_selectorELNS0_4arch9wavefront6targetE1EEEvT1_, .Lfunc_end1121-_ZN7rocprim17ROCPRIM_400000_NS6detail17trampoline_kernelINS0_14default_configENS1_25transform_config_selectorIxLb0EEEZNS1_14transform_implILb0ES3_S5_PxN6thrust23THRUST_200600_302600_NS6detail15normal_iteratorINS9_10device_ptrIxEEEENS0_8identityIxEEEE10hipError_tT2_T3_mT4_P12ihipStream_tbEUlT_E_NS1_11comp_targetILNS1_3genE8ELNS1_11target_archE1030ELNS1_3gpuE2ELNS1_3repE0EEENS1_30default_config_static_selectorELNS0_4arch9wavefront6targetE1EEEvT1_
                                        ; -- End function
	.set _ZN7rocprim17ROCPRIM_400000_NS6detail17trampoline_kernelINS0_14default_configENS1_25transform_config_selectorIxLb0EEEZNS1_14transform_implILb0ES3_S5_PxN6thrust23THRUST_200600_302600_NS6detail15normal_iteratorINS9_10device_ptrIxEEEENS0_8identityIxEEEE10hipError_tT2_T3_mT4_P12ihipStream_tbEUlT_E_NS1_11comp_targetILNS1_3genE8ELNS1_11target_archE1030ELNS1_3gpuE2ELNS1_3repE0EEENS1_30default_config_static_selectorELNS0_4arch9wavefront6targetE1EEEvT1_.num_vgpr, 0
	.set _ZN7rocprim17ROCPRIM_400000_NS6detail17trampoline_kernelINS0_14default_configENS1_25transform_config_selectorIxLb0EEEZNS1_14transform_implILb0ES3_S5_PxN6thrust23THRUST_200600_302600_NS6detail15normal_iteratorINS9_10device_ptrIxEEEENS0_8identityIxEEEE10hipError_tT2_T3_mT4_P12ihipStream_tbEUlT_E_NS1_11comp_targetILNS1_3genE8ELNS1_11target_archE1030ELNS1_3gpuE2ELNS1_3repE0EEENS1_30default_config_static_selectorELNS0_4arch9wavefront6targetE1EEEvT1_.num_agpr, 0
	.set _ZN7rocprim17ROCPRIM_400000_NS6detail17trampoline_kernelINS0_14default_configENS1_25transform_config_selectorIxLb0EEEZNS1_14transform_implILb0ES3_S5_PxN6thrust23THRUST_200600_302600_NS6detail15normal_iteratorINS9_10device_ptrIxEEEENS0_8identityIxEEEE10hipError_tT2_T3_mT4_P12ihipStream_tbEUlT_E_NS1_11comp_targetILNS1_3genE8ELNS1_11target_archE1030ELNS1_3gpuE2ELNS1_3repE0EEENS1_30default_config_static_selectorELNS0_4arch9wavefront6targetE1EEEvT1_.numbered_sgpr, 0
	.set _ZN7rocprim17ROCPRIM_400000_NS6detail17trampoline_kernelINS0_14default_configENS1_25transform_config_selectorIxLb0EEEZNS1_14transform_implILb0ES3_S5_PxN6thrust23THRUST_200600_302600_NS6detail15normal_iteratorINS9_10device_ptrIxEEEENS0_8identityIxEEEE10hipError_tT2_T3_mT4_P12ihipStream_tbEUlT_E_NS1_11comp_targetILNS1_3genE8ELNS1_11target_archE1030ELNS1_3gpuE2ELNS1_3repE0EEENS1_30default_config_static_selectorELNS0_4arch9wavefront6targetE1EEEvT1_.num_named_barrier, 0
	.set _ZN7rocprim17ROCPRIM_400000_NS6detail17trampoline_kernelINS0_14default_configENS1_25transform_config_selectorIxLb0EEEZNS1_14transform_implILb0ES3_S5_PxN6thrust23THRUST_200600_302600_NS6detail15normal_iteratorINS9_10device_ptrIxEEEENS0_8identityIxEEEE10hipError_tT2_T3_mT4_P12ihipStream_tbEUlT_E_NS1_11comp_targetILNS1_3genE8ELNS1_11target_archE1030ELNS1_3gpuE2ELNS1_3repE0EEENS1_30default_config_static_selectorELNS0_4arch9wavefront6targetE1EEEvT1_.private_seg_size, 0
	.set _ZN7rocprim17ROCPRIM_400000_NS6detail17trampoline_kernelINS0_14default_configENS1_25transform_config_selectorIxLb0EEEZNS1_14transform_implILb0ES3_S5_PxN6thrust23THRUST_200600_302600_NS6detail15normal_iteratorINS9_10device_ptrIxEEEENS0_8identityIxEEEE10hipError_tT2_T3_mT4_P12ihipStream_tbEUlT_E_NS1_11comp_targetILNS1_3genE8ELNS1_11target_archE1030ELNS1_3gpuE2ELNS1_3repE0EEENS1_30default_config_static_selectorELNS0_4arch9wavefront6targetE1EEEvT1_.uses_vcc, 0
	.set _ZN7rocprim17ROCPRIM_400000_NS6detail17trampoline_kernelINS0_14default_configENS1_25transform_config_selectorIxLb0EEEZNS1_14transform_implILb0ES3_S5_PxN6thrust23THRUST_200600_302600_NS6detail15normal_iteratorINS9_10device_ptrIxEEEENS0_8identityIxEEEE10hipError_tT2_T3_mT4_P12ihipStream_tbEUlT_E_NS1_11comp_targetILNS1_3genE8ELNS1_11target_archE1030ELNS1_3gpuE2ELNS1_3repE0EEENS1_30default_config_static_selectorELNS0_4arch9wavefront6targetE1EEEvT1_.uses_flat_scratch, 0
	.set _ZN7rocprim17ROCPRIM_400000_NS6detail17trampoline_kernelINS0_14default_configENS1_25transform_config_selectorIxLb0EEEZNS1_14transform_implILb0ES3_S5_PxN6thrust23THRUST_200600_302600_NS6detail15normal_iteratorINS9_10device_ptrIxEEEENS0_8identityIxEEEE10hipError_tT2_T3_mT4_P12ihipStream_tbEUlT_E_NS1_11comp_targetILNS1_3genE8ELNS1_11target_archE1030ELNS1_3gpuE2ELNS1_3repE0EEENS1_30default_config_static_selectorELNS0_4arch9wavefront6targetE1EEEvT1_.has_dyn_sized_stack, 0
	.set _ZN7rocprim17ROCPRIM_400000_NS6detail17trampoline_kernelINS0_14default_configENS1_25transform_config_selectorIxLb0EEEZNS1_14transform_implILb0ES3_S5_PxN6thrust23THRUST_200600_302600_NS6detail15normal_iteratorINS9_10device_ptrIxEEEENS0_8identityIxEEEE10hipError_tT2_T3_mT4_P12ihipStream_tbEUlT_E_NS1_11comp_targetILNS1_3genE8ELNS1_11target_archE1030ELNS1_3gpuE2ELNS1_3repE0EEENS1_30default_config_static_selectorELNS0_4arch9wavefront6targetE1EEEvT1_.has_recursion, 0
	.set _ZN7rocprim17ROCPRIM_400000_NS6detail17trampoline_kernelINS0_14default_configENS1_25transform_config_selectorIxLb0EEEZNS1_14transform_implILb0ES3_S5_PxN6thrust23THRUST_200600_302600_NS6detail15normal_iteratorINS9_10device_ptrIxEEEENS0_8identityIxEEEE10hipError_tT2_T3_mT4_P12ihipStream_tbEUlT_E_NS1_11comp_targetILNS1_3genE8ELNS1_11target_archE1030ELNS1_3gpuE2ELNS1_3repE0EEENS1_30default_config_static_selectorELNS0_4arch9wavefront6targetE1EEEvT1_.has_indirect_call, 0
	.section	.AMDGPU.csdata,"",@progbits
; Kernel info:
; codeLenInByte = 0
; TotalNumSgprs: 6
; NumVgprs: 0
; NumAgprs: 0
; TotalNumVgprs: 0
; ScratchSize: 0
; MemoryBound: 0
; FloatMode: 240
; IeeeMode: 1
; LDSByteSize: 0 bytes/workgroup (compile time only)
; SGPRBlocks: 0
; VGPRBlocks: 0
; NumSGPRsForWavesPerEU: 6
; NumVGPRsForWavesPerEU: 1
; AccumOffset: 4
; Occupancy: 8
; WaveLimiterHint : 0
; COMPUTE_PGM_RSRC2:SCRATCH_EN: 0
; COMPUTE_PGM_RSRC2:USER_SGPR: 2
; COMPUTE_PGM_RSRC2:TRAP_HANDLER: 0
; COMPUTE_PGM_RSRC2:TGID_X_EN: 1
; COMPUTE_PGM_RSRC2:TGID_Y_EN: 0
; COMPUTE_PGM_RSRC2:TGID_Z_EN: 0
; COMPUTE_PGM_RSRC2:TIDIG_COMP_CNT: 0
; COMPUTE_PGM_RSRC3_GFX90A:ACCUM_OFFSET: 0
; COMPUTE_PGM_RSRC3_GFX90A:TG_SPLIT: 0
	.section	.text._ZN7rocprim17ROCPRIM_400000_NS6detail17trampoline_kernelINS0_14default_configENS1_38merge_sort_block_merge_config_selectorIxxEEZZNS1_27merge_sort_block_merge_implIS3_N6thrust23THRUST_200600_302600_NS6detail15normal_iteratorINS8_10device_ptrIxEEEESD_jNS1_19radix_merge_compareILb0ELb1ExNS0_19identity_decomposerEEEEE10hipError_tT0_T1_T2_jT3_P12ihipStream_tbPNSt15iterator_traitsISI_E10value_typeEPNSO_ISJ_E10value_typeEPSK_NS1_7vsmem_tEENKUlT_SI_SJ_SK_E_clIPxSD_S10_SD_EESH_SX_SI_SJ_SK_EUlSX_E_NS1_11comp_targetILNS1_3genE0ELNS1_11target_archE4294967295ELNS1_3gpuE0ELNS1_3repE0EEENS1_48merge_mergepath_partition_config_static_selectorELNS0_4arch9wavefront6targetE1EEEvSJ_,"axG",@progbits,_ZN7rocprim17ROCPRIM_400000_NS6detail17trampoline_kernelINS0_14default_configENS1_38merge_sort_block_merge_config_selectorIxxEEZZNS1_27merge_sort_block_merge_implIS3_N6thrust23THRUST_200600_302600_NS6detail15normal_iteratorINS8_10device_ptrIxEEEESD_jNS1_19radix_merge_compareILb0ELb1ExNS0_19identity_decomposerEEEEE10hipError_tT0_T1_T2_jT3_P12ihipStream_tbPNSt15iterator_traitsISI_E10value_typeEPNSO_ISJ_E10value_typeEPSK_NS1_7vsmem_tEENKUlT_SI_SJ_SK_E_clIPxSD_S10_SD_EESH_SX_SI_SJ_SK_EUlSX_E_NS1_11comp_targetILNS1_3genE0ELNS1_11target_archE4294967295ELNS1_3gpuE0ELNS1_3repE0EEENS1_48merge_mergepath_partition_config_static_selectorELNS0_4arch9wavefront6targetE1EEEvSJ_,comdat
	.protected	_ZN7rocprim17ROCPRIM_400000_NS6detail17trampoline_kernelINS0_14default_configENS1_38merge_sort_block_merge_config_selectorIxxEEZZNS1_27merge_sort_block_merge_implIS3_N6thrust23THRUST_200600_302600_NS6detail15normal_iteratorINS8_10device_ptrIxEEEESD_jNS1_19radix_merge_compareILb0ELb1ExNS0_19identity_decomposerEEEEE10hipError_tT0_T1_T2_jT3_P12ihipStream_tbPNSt15iterator_traitsISI_E10value_typeEPNSO_ISJ_E10value_typeEPSK_NS1_7vsmem_tEENKUlT_SI_SJ_SK_E_clIPxSD_S10_SD_EESH_SX_SI_SJ_SK_EUlSX_E_NS1_11comp_targetILNS1_3genE0ELNS1_11target_archE4294967295ELNS1_3gpuE0ELNS1_3repE0EEENS1_48merge_mergepath_partition_config_static_selectorELNS0_4arch9wavefront6targetE1EEEvSJ_ ; -- Begin function _ZN7rocprim17ROCPRIM_400000_NS6detail17trampoline_kernelINS0_14default_configENS1_38merge_sort_block_merge_config_selectorIxxEEZZNS1_27merge_sort_block_merge_implIS3_N6thrust23THRUST_200600_302600_NS6detail15normal_iteratorINS8_10device_ptrIxEEEESD_jNS1_19radix_merge_compareILb0ELb1ExNS0_19identity_decomposerEEEEE10hipError_tT0_T1_T2_jT3_P12ihipStream_tbPNSt15iterator_traitsISI_E10value_typeEPNSO_ISJ_E10value_typeEPSK_NS1_7vsmem_tEENKUlT_SI_SJ_SK_E_clIPxSD_S10_SD_EESH_SX_SI_SJ_SK_EUlSX_E_NS1_11comp_targetILNS1_3genE0ELNS1_11target_archE4294967295ELNS1_3gpuE0ELNS1_3repE0EEENS1_48merge_mergepath_partition_config_static_selectorELNS0_4arch9wavefront6targetE1EEEvSJ_
	.globl	_ZN7rocprim17ROCPRIM_400000_NS6detail17trampoline_kernelINS0_14default_configENS1_38merge_sort_block_merge_config_selectorIxxEEZZNS1_27merge_sort_block_merge_implIS3_N6thrust23THRUST_200600_302600_NS6detail15normal_iteratorINS8_10device_ptrIxEEEESD_jNS1_19radix_merge_compareILb0ELb1ExNS0_19identity_decomposerEEEEE10hipError_tT0_T1_T2_jT3_P12ihipStream_tbPNSt15iterator_traitsISI_E10value_typeEPNSO_ISJ_E10value_typeEPSK_NS1_7vsmem_tEENKUlT_SI_SJ_SK_E_clIPxSD_S10_SD_EESH_SX_SI_SJ_SK_EUlSX_E_NS1_11comp_targetILNS1_3genE0ELNS1_11target_archE4294967295ELNS1_3gpuE0ELNS1_3repE0EEENS1_48merge_mergepath_partition_config_static_selectorELNS0_4arch9wavefront6targetE1EEEvSJ_
	.p2align	8
	.type	_ZN7rocprim17ROCPRIM_400000_NS6detail17trampoline_kernelINS0_14default_configENS1_38merge_sort_block_merge_config_selectorIxxEEZZNS1_27merge_sort_block_merge_implIS3_N6thrust23THRUST_200600_302600_NS6detail15normal_iteratorINS8_10device_ptrIxEEEESD_jNS1_19radix_merge_compareILb0ELb1ExNS0_19identity_decomposerEEEEE10hipError_tT0_T1_T2_jT3_P12ihipStream_tbPNSt15iterator_traitsISI_E10value_typeEPNSO_ISJ_E10value_typeEPSK_NS1_7vsmem_tEENKUlT_SI_SJ_SK_E_clIPxSD_S10_SD_EESH_SX_SI_SJ_SK_EUlSX_E_NS1_11comp_targetILNS1_3genE0ELNS1_11target_archE4294967295ELNS1_3gpuE0ELNS1_3repE0EEENS1_48merge_mergepath_partition_config_static_selectorELNS0_4arch9wavefront6targetE1EEEvSJ_,@function
_ZN7rocprim17ROCPRIM_400000_NS6detail17trampoline_kernelINS0_14default_configENS1_38merge_sort_block_merge_config_selectorIxxEEZZNS1_27merge_sort_block_merge_implIS3_N6thrust23THRUST_200600_302600_NS6detail15normal_iteratorINS8_10device_ptrIxEEEESD_jNS1_19radix_merge_compareILb0ELb1ExNS0_19identity_decomposerEEEEE10hipError_tT0_T1_T2_jT3_P12ihipStream_tbPNSt15iterator_traitsISI_E10value_typeEPNSO_ISJ_E10value_typeEPSK_NS1_7vsmem_tEENKUlT_SI_SJ_SK_E_clIPxSD_S10_SD_EESH_SX_SI_SJ_SK_EUlSX_E_NS1_11comp_targetILNS1_3genE0ELNS1_11target_archE4294967295ELNS1_3gpuE0ELNS1_3repE0EEENS1_48merge_mergepath_partition_config_static_selectorELNS0_4arch9wavefront6targetE1EEEvSJ_: ; @_ZN7rocprim17ROCPRIM_400000_NS6detail17trampoline_kernelINS0_14default_configENS1_38merge_sort_block_merge_config_selectorIxxEEZZNS1_27merge_sort_block_merge_implIS3_N6thrust23THRUST_200600_302600_NS6detail15normal_iteratorINS8_10device_ptrIxEEEESD_jNS1_19radix_merge_compareILb0ELb1ExNS0_19identity_decomposerEEEEE10hipError_tT0_T1_T2_jT3_P12ihipStream_tbPNSt15iterator_traitsISI_E10value_typeEPNSO_ISJ_E10value_typeEPSK_NS1_7vsmem_tEENKUlT_SI_SJ_SK_E_clIPxSD_S10_SD_EESH_SX_SI_SJ_SK_EUlSX_E_NS1_11comp_targetILNS1_3genE0ELNS1_11target_archE4294967295ELNS1_3gpuE0ELNS1_3repE0EEENS1_48merge_mergepath_partition_config_static_selectorELNS0_4arch9wavefront6targetE1EEEvSJ_
; %bb.0:
	s_load_dword s3, s[0:1], 0x0
	v_lshl_or_b32 v0, s2, 7, v0
	s_waitcnt lgkmcnt(0)
	v_cmp_gt_u32_e32 vcc, s3, v0
	s_and_saveexec_b64 s[2:3], vcc
	s_cbranch_execz .LBB1122_6
; %bb.1:
	s_load_dwordx2 s[2:3], s[0:1], 0x4
	s_load_dwordx4 s[4:7], s[0:1], 0x18
	s_waitcnt lgkmcnt(0)
	s_lshr_b32 s8, s2, 9
	s_and_b32 s8, s8, 0x7ffffe
	s_add_i32 s9, s8, -1
	s_sub_i32 s8, 0, s8
	v_and_b32_e32 v1, s8, v0
	v_lshlrev_b32_e32 v1, 10, v1
	v_min_u32_e32 v2, s3, v1
	v_add_u32_e32 v1, s2, v1
	v_min_u32_e32 v4, s3, v1
	v_add_u32_e32 v1, s2, v4
	v_and_b32_e32 v3, s9, v0
	v_min_u32_e32 v1, s3, v1
	v_sub_u32_e32 v5, v1, v2
	v_lshlrev_b32_e32 v3, 10, v3
	v_min_u32_e32 v10, v5, v3
	v_sub_u32_e32 v3, v4, v2
	v_sub_u32_e32 v1, v1, v4
	v_sub_u32_e64 v1, v10, v1 clamp
	v_min_u32_e32 v11, v10, v3
	v_cmp_lt_u32_e32 vcc, v1, v11
	s_and_saveexec_b64 s[2:3], vcc
	s_cbranch_execz .LBB1122_5
; %bb.2:
	s_load_dwordx2 s[0:1], s[0:1], 0x10
	v_mov_b32_e32 v5, 0
	v_mov_b32_e32 v3, v5
	s_waitcnt lgkmcnt(0)
	v_lshl_add_u64 v[6:7], v[2:3], 3, s[0:1]
	v_lshl_add_u64 v[8:9], v[4:5], 3, s[0:1]
	s_mov_b64 s[0:1], 0
.LBB1122_3:                             ; =>This Inner Loop Header: Depth=1
	v_add_u32_e32 v3, v11, v1
	v_lshrrev_b32_e32 v4, 1, v3
	v_mov_b32_e32 v13, v5
	v_xad_u32 v12, v4, -1, v10
	v_lshl_add_u64 v[14:15], v[4:5], 3, v[6:7]
	v_lshl_add_u64 v[12:13], v[12:13], 3, v[8:9]
	global_load_dwordx2 v[14:15], v[14:15], off
	v_add_u32_e32 v3, 1, v4
	global_load_dwordx2 v[12:13], v[12:13], off
	s_waitcnt vmcnt(1)
	v_and_b32_e32 v15, s5, v15
	v_and_b32_e32 v14, s4, v14
	s_waitcnt vmcnt(0)
	v_and_b32_e32 v13, s5, v13
	v_and_b32_e32 v12, s4, v12
	v_cmp_gt_i64_e32 vcc, v[14:15], v[12:13]
	s_nop 1
	v_cndmask_b32_e32 v11, v11, v4, vcc
	v_cndmask_b32_e32 v1, v3, v1, vcc
	v_cmp_ge_u32_e32 vcc, v1, v11
	s_or_b64 s[0:1], vcc, s[0:1]
	s_andn2_b64 exec, exec, s[0:1]
	s_cbranch_execnz .LBB1122_3
; %bb.4:
	s_or_b64 exec, exec, s[0:1]
.LBB1122_5:
	s_or_b64 exec, exec, s[2:3]
	v_mov_b32_e32 v4, s6
	v_mov_b32_e32 v5, s7
	v_add_u32_e32 v2, v1, v2
	v_mov_b32_e32 v1, 0
	v_lshl_add_u64 v[0:1], v[0:1], 2, v[4:5]
	global_store_dword v[0:1], v2, off
.LBB1122_6:
	s_endpgm
	.section	.rodata,"a",@progbits
	.p2align	6, 0x0
	.amdhsa_kernel _ZN7rocprim17ROCPRIM_400000_NS6detail17trampoline_kernelINS0_14default_configENS1_38merge_sort_block_merge_config_selectorIxxEEZZNS1_27merge_sort_block_merge_implIS3_N6thrust23THRUST_200600_302600_NS6detail15normal_iteratorINS8_10device_ptrIxEEEESD_jNS1_19radix_merge_compareILb0ELb1ExNS0_19identity_decomposerEEEEE10hipError_tT0_T1_T2_jT3_P12ihipStream_tbPNSt15iterator_traitsISI_E10value_typeEPNSO_ISJ_E10value_typeEPSK_NS1_7vsmem_tEENKUlT_SI_SJ_SK_E_clIPxSD_S10_SD_EESH_SX_SI_SJ_SK_EUlSX_E_NS1_11comp_targetILNS1_3genE0ELNS1_11target_archE4294967295ELNS1_3gpuE0ELNS1_3repE0EEENS1_48merge_mergepath_partition_config_static_selectorELNS0_4arch9wavefront6targetE1EEEvSJ_
		.amdhsa_group_segment_fixed_size 0
		.amdhsa_private_segment_fixed_size 0
		.amdhsa_kernarg_size 40
		.amdhsa_user_sgpr_count 2
		.amdhsa_user_sgpr_dispatch_ptr 0
		.amdhsa_user_sgpr_queue_ptr 0
		.amdhsa_user_sgpr_kernarg_segment_ptr 1
		.amdhsa_user_sgpr_dispatch_id 0
		.amdhsa_user_sgpr_kernarg_preload_length 0
		.amdhsa_user_sgpr_kernarg_preload_offset 0
		.amdhsa_user_sgpr_private_segment_size 0
		.amdhsa_uses_dynamic_stack 0
		.amdhsa_enable_private_segment 0
		.amdhsa_system_sgpr_workgroup_id_x 1
		.amdhsa_system_sgpr_workgroup_id_y 0
		.amdhsa_system_sgpr_workgroup_id_z 0
		.amdhsa_system_sgpr_workgroup_info 0
		.amdhsa_system_vgpr_workitem_id 0
		.amdhsa_next_free_vgpr 16
		.amdhsa_next_free_sgpr 10
		.amdhsa_accum_offset 16
		.amdhsa_reserve_vcc 1
		.amdhsa_float_round_mode_32 0
		.amdhsa_float_round_mode_16_64 0
		.amdhsa_float_denorm_mode_32 3
		.amdhsa_float_denorm_mode_16_64 3
		.amdhsa_dx10_clamp 1
		.amdhsa_ieee_mode 1
		.amdhsa_fp16_overflow 0
		.amdhsa_tg_split 0
		.amdhsa_exception_fp_ieee_invalid_op 0
		.amdhsa_exception_fp_denorm_src 0
		.amdhsa_exception_fp_ieee_div_zero 0
		.amdhsa_exception_fp_ieee_overflow 0
		.amdhsa_exception_fp_ieee_underflow 0
		.amdhsa_exception_fp_ieee_inexact 0
		.amdhsa_exception_int_div_zero 0
	.end_amdhsa_kernel
	.section	.text._ZN7rocprim17ROCPRIM_400000_NS6detail17trampoline_kernelINS0_14default_configENS1_38merge_sort_block_merge_config_selectorIxxEEZZNS1_27merge_sort_block_merge_implIS3_N6thrust23THRUST_200600_302600_NS6detail15normal_iteratorINS8_10device_ptrIxEEEESD_jNS1_19radix_merge_compareILb0ELb1ExNS0_19identity_decomposerEEEEE10hipError_tT0_T1_T2_jT3_P12ihipStream_tbPNSt15iterator_traitsISI_E10value_typeEPNSO_ISJ_E10value_typeEPSK_NS1_7vsmem_tEENKUlT_SI_SJ_SK_E_clIPxSD_S10_SD_EESH_SX_SI_SJ_SK_EUlSX_E_NS1_11comp_targetILNS1_3genE0ELNS1_11target_archE4294967295ELNS1_3gpuE0ELNS1_3repE0EEENS1_48merge_mergepath_partition_config_static_selectorELNS0_4arch9wavefront6targetE1EEEvSJ_,"axG",@progbits,_ZN7rocprim17ROCPRIM_400000_NS6detail17trampoline_kernelINS0_14default_configENS1_38merge_sort_block_merge_config_selectorIxxEEZZNS1_27merge_sort_block_merge_implIS3_N6thrust23THRUST_200600_302600_NS6detail15normal_iteratorINS8_10device_ptrIxEEEESD_jNS1_19radix_merge_compareILb0ELb1ExNS0_19identity_decomposerEEEEE10hipError_tT0_T1_T2_jT3_P12ihipStream_tbPNSt15iterator_traitsISI_E10value_typeEPNSO_ISJ_E10value_typeEPSK_NS1_7vsmem_tEENKUlT_SI_SJ_SK_E_clIPxSD_S10_SD_EESH_SX_SI_SJ_SK_EUlSX_E_NS1_11comp_targetILNS1_3genE0ELNS1_11target_archE4294967295ELNS1_3gpuE0ELNS1_3repE0EEENS1_48merge_mergepath_partition_config_static_selectorELNS0_4arch9wavefront6targetE1EEEvSJ_,comdat
.Lfunc_end1122:
	.size	_ZN7rocprim17ROCPRIM_400000_NS6detail17trampoline_kernelINS0_14default_configENS1_38merge_sort_block_merge_config_selectorIxxEEZZNS1_27merge_sort_block_merge_implIS3_N6thrust23THRUST_200600_302600_NS6detail15normal_iteratorINS8_10device_ptrIxEEEESD_jNS1_19radix_merge_compareILb0ELb1ExNS0_19identity_decomposerEEEEE10hipError_tT0_T1_T2_jT3_P12ihipStream_tbPNSt15iterator_traitsISI_E10value_typeEPNSO_ISJ_E10value_typeEPSK_NS1_7vsmem_tEENKUlT_SI_SJ_SK_E_clIPxSD_S10_SD_EESH_SX_SI_SJ_SK_EUlSX_E_NS1_11comp_targetILNS1_3genE0ELNS1_11target_archE4294967295ELNS1_3gpuE0ELNS1_3repE0EEENS1_48merge_mergepath_partition_config_static_selectorELNS0_4arch9wavefront6targetE1EEEvSJ_, .Lfunc_end1122-_ZN7rocprim17ROCPRIM_400000_NS6detail17trampoline_kernelINS0_14default_configENS1_38merge_sort_block_merge_config_selectorIxxEEZZNS1_27merge_sort_block_merge_implIS3_N6thrust23THRUST_200600_302600_NS6detail15normal_iteratorINS8_10device_ptrIxEEEESD_jNS1_19radix_merge_compareILb0ELb1ExNS0_19identity_decomposerEEEEE10hipError_tT0_T1_T2_jT3_P12ihipStream_tbPNSt15iterator_traitsISI_E10value_typeEPNSO_ISJ_E10value_typeEPSK_NS1_7vsmem_tEENKUlT_SI_SJ_SK_E_clIPxSD_S10_SD_EESH_SX_SI_SJ_SK_EUlSX_E_NS1_11comp_targetILNS1_3genE0ELNS1_11target_archE4294967295ELNS1_3gpuE0ELNS1_3repE0EEENS1_48merge_mergepath_partition_config_static_selectorELNS0_4arch9wavefront6targetE1EEEvSJ_
                                        ; -- End function
	.set _ZN7rocprim17ROCPRIM_400000_NS6detail17trampoline_kernelINS0_14default_configENS1_38merge_sort_block_merge_config_selectorIxxEEZZNS1_27merge_sort_block_merge_implIS3_N6thrust23THRUST_200600_302600_NS6detail15normal_iteratorINS8_10device_ptrIxEEEESD_jNS1_19radix_merge_compareILb0ELb1ExNS0_19identity_decomposerEEEEE10hipError_tT0_T1_T2_jT3_P12ihipStream_tbPNSt15iterator_traitsISI_E10value_typeEPNSO_ISJ_E10value_typeEPSK_NS1_7vsmem_tEENKUlT_SI_SJ_SK_E_clIPxSD_S10_SD_EESH_SX_SI_SJ_SK_EUlSX_E_NS1_11comp_targetILNS1_3genE0ELNS1_11target_archE4294967295ELNS1_3gpuE0ELNS1_3repE0EEENS1_48merge_mergepath_partition_config_static_selectorELNS0_4arch9wavefront6targetE1EEEvSJ_.num_vgpr, 16
	.set _ZN7rocprim17ROCPRIM_400000_NS6detail17trampoline_kernelINS0_14default_configENS1_38merge_sort_block_merge_config_selectorIxxEEZZNS1_27merge_sort_block_merge_implIS3_N6thrust23THRUST_200600_302600_NS6detail15normal_iteratorINS8_10device_ptrIxEEEESD_jNS1_19radix_merge_compareILb0ELb1ExNS0_19identity_decomposerEEEEE10hipError_tT0_T1_T2_jT3_P12ihipStream_tbPNSt15iterator_traitsISI_E10value_typeEPNSO_ISJ_E10value_typeEPSK_NS1_7vsmem_tEENKUlT_SI_SJ_SK_E_clIPxSD_S10_SD_EESH_SX_SI_SJ_SK_EUlSX_E_NS1_11comp_targetILNS1_3genE0ELNS1_11target_archE4294967295ELNS1_3gpuE0ELNS1_3repE0EEENS1_48merge_mergepath_partition_config_static_selectorELNS0_4arch9wavefront6targetE1EEEvSJ_.num_agpr, 0
	.set _ZN7rocprim17ROCPRIM_400000_NS6detail17trampoline_kernelINS0_14default_configENS1_38merge_sort_block_merge_config_selectorIxxEEZZNS1_27merge_sort_block_merge_implIS3_N6thrust23THRUST_200600_302600_NS6detail15normal_iteratorINS8_10device_ptrIxEEEESD_jNS1_19radix_merge_compareILb0ELb1ExNS0_19identity_decomposerEEEEE10hipError_tT0_T1_T2_jT3_P12ihipStream_tbPNSt15iterator_traitsISI_E10value_typeEPNSO_ISJ_E10value_typeEPSK_NS1_7vsmem_tEENKUlT_SI_SJ_SK_E_clIPxSD_S10_SD_EESH_SX_SI_SJ_SK_EUlSX_E_NS1_11comp_targetILNS1_3genE0ELNS1_11target_archE4294967295ELNS1_3gpuE0ELNS1_3repE0EEENS1_48merge_mergepath_partition_config_static_selectorELNS0_4arch9wavefront6targetE1EEEvSJ_.numbered_sgpr, 10
	.set _ZN7rocprim17ROCPRIM_400000_NS6detail17trampoline_kernelINS0_14default_configENS1_38merge_sort_block_merge_config_selectorIxxEEZZNS1_27merge_sort_block_merge_implIS3_N6thrust23THRUST_200600_302600_NS6detail15normal_iteratorINS8_10device_ptrIxEEEESD_jNS1_19radix_merge_compareILb0ELb1ExNS0_19identity_decomposerEEEEE10hipError_tT0_T1_T2_jT3_P12ihipStream_tbPNSt15iterator_traitsISI_E10value_typeEPNSO_ISJ_E10value_typeEPSK_NS1_7vsmem_tEENKUlT_SI_SJ_SK_E_clIPxSD_S10_SD_EESH_SX_SI_SJ_SK_EUlSX_E_NS1_11comp_targetILNS1_3genE0ELNS1_11target_archE4294967295ELNS1_3gpuE0ELNS1_3repE0EEENS1_48merge_mergepath_partition_config_static_selectorELNS0_4arch9wavefront6targetE1EEEvSJ_.num_named_barrier, 0
	.set _ZN7rocprim17ROCPRIM_400000_NS6detail17trampoline_kernelINS0_14default_configENS1_38merge_sort_block_merge_config_selectorIxxEEZZNS1_27merge_sort_block_merge_implIS3_N6thrust23THRUST_200600_302600_NS6detail15normal_iteratorINS8_10device_ptrIxEEEESD_jNS1_19radix_merge_compareILb0ELb1ExNS0_19identity_decomposerEEEEE10hipError_tT0_T1_T2_jT3_P12ihipStream_tbPNSt15iterator_traitsISI_E10value_typeEPNSO_ISJ_E10value_typeEPSK_NS1_7vsmem_tEENKUlT_SI_SJ_SK_E_clIPxSD_S10_SD_EESH_SX_SI_SJ_SK_EUlSX_E_NS1_11comp_targetILNS1_3genE0ELNS1_11target_archE4294967295ELNS1_3gpuE0ELNS1_3repE0EEENS1_48merge_mergepath_partition_config_static_selectorELNS0_4arch9wavefront6targetE1EEEvSJ_.private_seg_size, 0
	.set _ZN7rocprim17ROCPRIM_400000_NS6detail17trampoline_kernelINS0_14default_configENS1_38merge_sort_block_merge_config_selectorIxxEEZZNS1_27merge_sort_block_merge_implIS3_N6thrust23THRUST_200600_302600_NS6detail15normal_iteratorINS8_10device_ptrIxEEEESD_jNS1_19radix_merge_compareILb0ELb1ExNS0_19identity_decomposerEEEEE10hipError_tT0_T1_T2_jT3_P12ihipStream_tbPNSt15iterator_traitsISI_E10value_typeEPNSO_ISJ_E10value_typeEPSK_NS1_7vsmem_tEENKUlT_SI_SJ_SK_E_clIPxSD_S10_SD_EESH_SX_SI_SJ_SK_EUlSX_E_NS1_11comp_targetILNS1_3genE0ELNS1_11target_archE4294967295ELNS1_3gpuE0ELNS1_3repE0EEENS1_48merge_mergepath_partition_config_static_selectorELNS0_4arch9wavefront6targetE1EEEvSJ_.uses_vcc, 1
	.set _ZN7rocprim17ROCPRIM_400000_NS6detail17trampoline_kernelINS0_14default_configENS1_38merge_sort_block_merge_config_selectorIxxEEZZNS1_27merge_sort_block_merge_implIS3_N6thrust23THRUST_200600_302600_NS6detail15normal_iteratorINS8_10device_ptrIxEEEESD_jNS1_19radix_merge_compareILb0ELb1ExNS0_19identity_decomposerEEEEE10hipError_tT0_T1_T2_jT3_P12ihipStream_tbPNSt15iterator_traitsISI_E10value_typeEPNSO_ISJ_E10value_typeEPSK_NS1_7vsmem_tEENKUlT_SI_SJ_SK_E_clIPxSD_S10_SD_EESH_SX_SI_SJ_SK_EUlSX_E_NS1_11comp_targetILNS1_3genE0ELNS1_11target_archE4294967295ELNS1_3gpuE0ELNS1_3repE0EEENS1_48merge_mergepath_partition_config_static_selectorELNS0_4arch9wavefront6targetE1EEEvSJ_.uses_flat_scratch, 0
	.set _ZN7rocprim17ROCPRIM_400000_NS6detail17trampoline_kernelINS0_14default_configENS1_38merge_sort_block_merge_config_selectorIxxEEZZNS1_27merge_sort_block_merge_implIS3_N6thrust23THRUST_200600_302600_NS6detail15normal_iteratorINS8_10device_ptrIxEEEESD_jNS1_19radix_merge_compareILb0ELb1ExNS0_19identity_decomposerEEEEE10hipError_tT0_T1_T2_jT3_P12ihipStream_tbPNSt15iterator_traitsISI_E10value_typeEPNSO_ISJ_E10value_typeEPSK_NS1_7vsmem_tEENKUlT_SI_SJ_SK_E_clIPxSD_S10_SD_EESH_SX_SI_SJ_SK_EUlSX_E_NS1_11comp_targetILNS1_3genE0ELNS1_11target_archE4294967295ELNS1_3gpuE0ELNS1_3repE0EEENS1_48merge_mergepath_partition_config_static_selectorELNS0_4arch9wavefront6targetE1EEEvSJ_.has_dyn_sized_stack, 0
	.set _ZN7rocprim17ROCPRIM_400000_NS6detail17trampoline_kernelINS0_14default_configENS1_38merge_sort_block_merge_config_selectorIxxEEZZNS1_27merge_sort_block_merge_implIS3_N6thrust23THRUST_200600_302600_NS6detail15normal_iteratorINS8_10device_ptrIxEEEESD_jNS1_19radix_merge_compareILb0ELb1ExNS0_19identity_decomposerEEEEE10hipError_tT0_T1_T2_jT3_P12ihipStream_tbPNSt15iterator_traitsISI_E10value_typeEPNSO_ISJ_E10value_typeEPSK_NS1_7vsmem_tEENKUlT_SI_SJ_SK_E_clIPxSD_S10_SD_EESH_SX_SI_SJ_SK_EUlSX_E_NS1_11comp_targetILNS1_3genE0ELNS1_11target_archE4294967295ELNS1_3gpuE0ELNS1_3repE0EEENS1_48merge_mergepath_partition_config_static_selectorELNS0_4arch9wavefront6targetE1EEEvSJ_.has_recursion, 0
	.set _ZN7rocprim17ROCPRIM_400000_NS6detail17trampoline_kernelINS0_14default_configENS1_38merge_sort_block_merge_config_selectorIxxEEZZNS1_27merge_sort_block_merge_implIS3_N6thrust23THRUST_200600_302600_NS6detail15normal_iteratorINS8_10device_ptrIxEEEESD_jNS1_19radix_merge_compareILb0ELb1ExNS0_19identity_decomposerEEEEE10hipError_tT0_T1_T2_jT3_P12ihipStream_tbPNSt15iterator_traitsISI_E10value_typeEPNSO_ISJ_E10value_typeEPSK_NS1_7vsmem_tEENKUlT_SI_SJ_SK_E_clIPxSD_S10_SD_EESH_SX_SI_SJ_SK_EUlSX_E_NS1_11comp_targetILNS1_3genE0ELNS1_11target_archE4294967295ELNS1_3gpuE0ELNS1_3repE0EEENS1_48merge_mergepath_partition_config_static_selectorELNS0_4arch9wavefront6targetE1EEEvSJ_.has_indirect_call, 0
	.section	.AMDGPU.csdata,"",@progbits
; Kernel info:
; codeLenInByte = 344
; TotalNumSgprs: 16
; NumVgprs: 16
; NumAgprs: 0
; TotalNumVgprs: 16
; ScratchSize: 0
; MemoryBound: 0
; FloatMode: 240
; IeeeMode: 1
; LDSByteSize: 0 bytes/workgroup (compile time only)
; SGPRBlocks: 1
; VGPRBlocks: 1
; NumSGPRsForWavesPerEU: 16
; NumVGPRsForWavesPerEU: 16
; AccumOffset: 16
; Occupancy: 8
; WaveLimiterHint : 0
; COMPUTE_PGM_RSRC2:SCRATCH_EN: 0
; COMPUTE_PGM_RSRC2:USER_SGPR: 2
; COMPUTE_PGM_RSRC2:TRAP_HANDLER: 0
; COMPUTE_PGM_RSRC2:TGID_X_EN: 1
; COMPUTE_PGM_RSRC2:TGID_Y_EN: 0
; COMPUTE_PGM_RSRC2:TGID_Z_EN: 0
; COMPUTE_PGM_RSRC2:TIDIG_COMP_CNT: 0
; COMPUTE_PGM_RSRC3_GFX90A:ACCUM_OFFSET: 3
; COMPUTE_PGM_RSRC3_GFX90A:TG_SPLIT: 0
	.section	.text._ZN7rocprim17ROCPRIM_400000_NS6detail17trampoline_kernelINS0_14default_configENS1_38merge_sort_block_merge_config_selectorIxxEEZZNS1_27merge_sort_block_merge_implIS3_N6thrust23THRUST_200600_302600_NS6detail15normal_iteratorINS8_10device_ptrIxEEEESD_jNS1_19radix_merge_compareILb0ELb1ExNS0_19identity_decomposerEEEEE10hipError_tT0_T1_T2_jT3_P12ihipStream_tbPNSt15iterator_traitsISI_E10value_typeEPNSO_ISJ_E10value_typeEPSK_NS1_7vsmem_tEENKUlT_SI_SJ_SK_E_clIPxSD_S10_SD_EESH_SX_SI_SJ_SK_EUlSX_E_NS1_11comp_targetILNS1_3genE10ELNS1_11target_archE1201ELNS1_3gpuE5ELNS1_3repE0EEENS1_48merge_mergepath_partition_config_static_selectorELNS0_4arch9wavefront6targetE1EEEvSJ_,"axG",@progbits,_ZN7rocprim17ROCPRIM_400000_NS6detail17trampoline_kernelINS0_14default_configENS1_38merge_sort_block_merge_config_selectorIxxEEZZNS1_27merge_sort_block_merge_implIS3_N6thrust23THRUST_200600_302600_NS6detail15normal_iteratorINS8_10device_ptrIxEEEESD_jNS1_19radix_merge_compareILb0ELb1ExNS0_19identity_decomposerEEEEE10hipError_tT0_T1_T2_jT3_P12ihipStream_tbPNSt15iterator_traitsISI_E10value_typeEPNSO_ISJ_E10value_typeEPSK_NS1_7vsmem_tEENKUlT_SI_SJ_SK_E_clIPxSD_S10_SD_EESH_SX_SI_SJ_SK_EUlSX_E_NS1_11comp_targetILNS1_3genE10ELNS1_11target_archE1201ELNS1_3gpuE5ELNS1_3repE0EEENS1_48merge_mergepath_partition_config_static_selectorELNS0_4arch9wavefront6targetE1EEEvSJ_,comdat
	.protected	_ZN7rocprim17ROCPRIM_400000_NS6detail17trampoline_kernelINS0_14default_configENS1_38merge_sort_block_merge_config_selectorIxxEEZZNS1_27merge_sort_block_merge_implIS3_N6thrust23THRUST_200600_302600_NS6detail15normal_iteratorINS8_10device_ptrIxEEEESD_jNS1_19radix_merge_compareILb0ELb1ExNS0_19identity_decomposerEEEEE10hipError_tT0_T1_T2_jT3_P12ihipStream_tbPNSt15iterator_traitsISI_E10value_typeEPNSO_ISJ_E10value_typeEPSK_NS1_7vsmem_tEENKUlT_SI_SJ_SK_E_clIPxSD_S10_SD_EESH_SX_SI_SJ_SK_EUlSX_E_NS1_11comp_targetILNS1_3genE10ELNS1_11target_archE1201ELNS1_3gpuE5ELNS1_3repE0EEENS1_48merge_mergepath_partition_config_static_selectorELNS0_4arch9wavefront6targetE1EEEvSJ_ ; -- Begin function _ZN7rocprim17ROCPRIM_400000_NS6detail17trampoline_kernelINS0_14default_configENS1_38merge_sort_block_merge_config_selectorIxxEEZZNS1_27merge_sort_block_merge_implIS3_N6thrust23THRUST_200600_302600_NS6detail15normal_iteratorINS8_10device_ptrIxEEEESD_jNS1_19radix_merge_compareILb0ELb1ExNS0_19identity_decomposerEEEEE10hipError_tT0_T1_T2_jT3_P12ihipStream_tbPNSt15iterator_traitsISI_E10value_typeEPNSO_ISJ_E10value_typeEPSK_NS1_7vsmem_tEENKUlT_SI_SJ_SK_E_clIPxSD_S10_SD_EESH_SX_SI_SJ_SK_EUlSX_E_NS1_11comp_targetILNS1_3genE10ELNS1_11target_archE1201ELNS1_3gpuE5ELNS1_3repE0EEENS1_48merge_mergepath_partition_config_static_selectorELNS0_4arch9wavefront6targetE1EEEvSJ_
	.globl	_ZN7rocprim17ROCPRIM_400000_NS6detail17trampoline_kernelINS0_14default_configENS1_38merge_sort_block_merge_config_selectorIxxEEZZNS1_27merge_sort_block_merge_implIS3_N6thrust23THRUST_200600_302600_NS6detail15normal_iteratorINS8_10device_ptrIxEEEESD_jNS1_19radix_merge_compareILb0ELb1ExNS0_19identity_decomposerEEEEE10hipError_tT0_T1_T2_jT3_P12ihipStream_tbPNSt15iterator_traitsISI_E10value_typeEPNSO_ISJ_E10value_typeEPSK_NS1_7vsmem_tEENKUlT_SI_SJ_SK_E_clIPxSD_S10_SD_EESH_SX_SI_SJ_SK_EUlSX_E_NS1_11comp_targetILNS1_3genE10ELNS1_11target_archE1201ELNS1_3gpuE5ELNS1_3repE0EEENS1_48merge_mergepath_partition_config_static_selectorELNS0_4arch9wavefront6targetE1EEEvSJ_
	.p2align	8
	.type	_ZN7rocprim17ROCPRIM_400000_NS6detail17trampoline_kernelINS0_14default_configENS1_38merge_sort_block_merge_config_selectorIxxEEZZNS1_27merge_sort_block_merge_implIS3_N6thrust23THRUST_200600_302600_NS6detail15normal_iteratorINS8_10device_ptrIxEEEESD_jNS1_19radix_merge_compareILb0ELb1ExNS0_19identity_decomposerEEEEE10hipError_tT0_T1_T2_jT3_P12ihipStream_tbPNSt15iterator_traitsISI_E10value_typeEPNSO_ISJ_E10value_typeEPSK_NS1_7vsmem_tEENKUlT_SI_SJ_SK_E_clIPxSD_S10_SD_EESH_SX_SI_SJ_SK_EUlSX_E_NS1_11comp_targetILNS1_3genE10ELNS1_11target_archE1201ELNS1_3gpuE5ELNS1_3repE0EEENS1_48merge_mergepath_partition_config_static_selectorELNS0_4arch9wavefront6targetE1EEEvSJ_,@function
_ZN7rocprim17ROCPRIM_400000_NS6detail17trampoline_kernelINS0_14default_configENS1_38merge_sort_block_merge_config_selectorIxxEEZZNS1_27merge_sort_block_merge_implIS3_N6thrust23THRUST_200600_302600_NS6detail15normal_iteratorINS8_10device_ptrIxEEEESD_jNS1_19radix_merge_compareILb0ELb1ExNS0_19identity_decomposerEEEEE10hipError_tT0_T1_T2_jT3_P12ihipStream_tbPNSt15iterator_traitsISI_E10value_typeEPNSO_ISJ_E10value_typeEPSK_NS1_7vsmem_tEENKUlT_SI_SJ_SK_E_clIPxSD_S10_SD_EESH_SX_SI_SJ_SK_EUlSX_E_NS1_11comp_targetILNS1_3genE10ELNS1_11target_archE1201ELNS1_3gpuE5ELNS1_3repE0EEENS1_48merge_mergepath_partition_config_static_selectorELNS0_4arch9wavefront6targetE1EEEvSJ_: ; @_ZN7rocprim17ROCPRIM_400000_NS6detail17trampoline_kernelINS0_14default_configENS1_38merge_sort_block_merge_config_selectorIxxEEZZNS1_27merge_sort_block_merge_implIS3_N6thrust23THRUST_200600_302600_NS6detail15normal_iteratorINS8_10device_ptrIxEEEESD_jNS1_19radix_merge_compareILb0ELb1ExNS0_19identity_decomposerEEEEE10hipError_tT0_T1_T2_jT3_P12ihipStream_tbPNSt15iterator_traitsISI_E10value_typeEPNSO_ISJ_E10value_typeEPSK_NS1_7vsmem_tEENKUlT_SI_SJ_SK_E_clIPxSD_S10_SD_EESH_SX_SI_SJ_SK_EUlSX_E_NS1_11comp_targetILNS1_3genE10ELNS1_11target_archE1201ELNS1_3gpuE5ELNS1_3repE0EEENS1_48merge_mergepath_partition_config_static_selectorELNS0_4arch9wavefront6targetE1EEEvSJ_
; %bb.0:
	.section	.rodata,"a",@progbits
	.p2align	6, 0x0
	.amdhsa_kernel _ZN7rocprim17ROCPRIM_400000_NS6detail17trampoline_kernelINS0_14default_configENS1_38merge_sort_block_merge_config_selectorIxxEEZZNS1_27merge_sort_block_merge_implIS3_N6thrust23THRUST_200600_302600_NS6detail15normal_iteratorINS8_10device_ptrIxEEEESD_jNS1_19radix_merge_compareILb0ELb1ExNS0_19identity_decomposerEEEEE10hipError_tT0_T1_T2_jT3_P12ihipStream_tbPNSt15iterator_traitsISI_E10value_typeEPNSO_ISJ_E10value_typeEPSK_NS1_7vsmem_tEENKUlT_SI_SJ_SK_E_clIPxSD_S10_SD_EESH_SX_SI_SJ_SK_EUlSX_E_NS1_11comp_targetILNS1_3genE10ELNS1_11target_archE1201ELNS1_3gpuE5ELNS1_3repE0EEENS1_48merge_mergepath_partition_config_static_selectorELNS0_4arch9wavefront6targetE1EEEvSJ_
		.amdhsa_group_segment_fixed_size 0
		.amdhsa_private_segment_fixed_size 0
		.amdhsa_kernarg_size 40
		.amdhsa_user_sgpr_count 2
		.amdhsa_user_sgpr_dispatch_ptr 0
		.amdhsa_user_sgpr_queue_ptr 0
		.amdhsa_user_sgpr_kernarg_segment_ptr 1
		.amdhsa_user_sgpr_dispatch_id 0
		.amdhsa_user_sgpr_kernarg_preload_length 0
		.amdhsa_user_sgpr_kernarg_preload_offset 0
		.amdhsa_user_sgpr_private_segment_size 0
		.amdhsa_uses_dynamic_stack 0
		.amdhsa_enable_private_segment 0
		.amdhsa_system_sgpr_workgroup_id_x 1
		.amdhsa_system_sgpr_workgroup_id_y 0
		.amdhsa_system_sgpr_workgroup_id_z 0
		.amdhsa_system_sgpr_workgroup_info 0
		.amdhsa_system_vgpr_workitem_id 0
		.amdhsa_next_free_vgpr 1
		.amdhsa_next_free_sgpr 0
		.amdhsa_accum_offset 4
		.amdhsa_reserve_vcc 0
		.amdhsa_float_round_mode_32 0
		.amdhsa_float_round_mode_16_64 0
		.amdhsa_float_denorm_mode_32 3
		.amdhsa_float_denorm_mode_16_64 3
		.amdhsa_dx10_clamp 1
		.amdhsa_ieee_mode 1
		.amdhsa_fp16_overflow 0
		.amdhsa_tg_split 0
		.amdhsa_exception_fp_ieee_invalid_op 0
		.amdhsa_exception_fp_denorm_src 0
		.amdhsa_exception_fp_ieee_div_zero 0
		.amdhsa_exception_fp_ieee_overflow 0
		.amdhsa_exception_fp_ieee_underflow 0
		.amdhsa_exception_fp_ieee_inexact 0
		.amdhsa_exception_int_div_zero 0
	.end_amdhsa_kernel
	.section	.text._ZN7rocprim17ROCPRIM_400000_NS6detail17trampoline_kernelINS0_14default_configENS1_38merge_sort_block_merge_config_selectorIxxEEZZNS1_27merge_sort_block_merge_implIS3_N6thrust23THRUST_200600_302600_NS6detail15normal_iteratorINS8_10device_ptrIxEEEESD_jNS1_19radix_merge_compareILb0ELb1ExNS0_19identity_decomposerEEEEE10hipError_tT0_T1_T2_jT3_P12ihipStream_tbPNSt15iterator_traitsISI_E10value_typeEPNSO_ISJ_E10value_typeEPSK_NS1_7vsmem_tEENKUlT_SI_SJ_SK_E_clIPxSD_S10_SD_EESH_SX_SI_SJ_SK_EUlSX_E_NS1_11comp_targetILNS1_3genE10ELNS1_11target_archE1201ELNS1_3gpuE5ELNS1_3repE0EEENS1_48merge_mergepath_partition_config_static_selectorELNS0_4arch9wavefront6targetE1EEEvSJ_,"axG",@progbits,_ZN7rocprim17ROCPRIM_400000_NS6detail17trampoline_kernelINS0_14default_configENS1_38merge_sort_block_merge_config_selectorIxxEEZZNS1_27merge_sort_block_merge_implIS3_N6thrust23THRUST_200600_302600_NS6detail15normal_iteratorINS8_10device_ptrIxEEEESD_jNS1_19radix_merge_compareILb0ELb1ExNS0_19identity_decomposerEEEEE10hipError_tT0_T1_T2_jT3_P12ihipStream_tbPNSt15iterator_traitsISI_E10value_typeEPNSO_ISJ_E10value_typeEPSK_NS1_7vsmem_tEENKUlT_SI_SJ_SK_E_clIPxSD_S10_SD_EESH_SX_SI_SJ_SK_EUlSX_E_NS1_11comp_targetILNS1_3genE10ELNS1_11target_archE1201ELNS1_3gpuE5ELNS1_3repE0EEENS1_48merge_mergepath_partition_config_static_selectorELNS0_4arch9wavefront6targetE1EEEvSJ_,comdat
.Lfunc_end1123:
	.size	_ZN7rocprim17ROCPRIM_400000_NS6detail17trampoline_kernelINS0_14default_configENS1_38merge_sort_block_merge_config_selectorIxxEEZZNS1_27merge_sort_block_merge_implIS3_N6thrust23THRUST_200600_302600_NS6detail15normal_iteratorINS8_10device_ptrIxEEEESD_jNS1_19radix_merge_compareILb0ELb1ExNS0_19identity_decomposerEEEEE10hipError_tT0_T1_T2_jT3_P12ihipStream_tbPNSt15iterator_traitsISI_E10value_typeEPNSO_ISJ_E10value_typeEPSK_NS1_7vsmem_tEENKUlT_SI_SJ_SK_E_clIPxSD_S10_SD_EESH_SX_SI_SJ_SK_EUlSX_E_NS1_11comp_targetILNS1_3genE10ELNS1_11target_archE1201ELNS1_3gpuE5ELNS1_3repE0EEENS1_48merge_mergepath_partition_config_static_selectorELNS0_4arch9wavefront6targetE1EEEvSJ_, .Lfunc_end1123-_ZN7rocprim17ROCPRIM_400000_NS6detail17trampoline_kernelINS0_14default_configENS1_38merge_sort_block_merge_config_selectorIxxEEZZNS1_27merge_sort_block_merge_implIS3_N6thrust23THRUST_200600_302600_NS6detail15normal_iteratorINS8_10device_ptrIxEEEESD_jNS1_19radix_merge_compareILb0ELb1ExNS0_19identity_decomposerEEEEE10hipError_tT0_T1_T2_jT3_P12ihipStream_tbPNSt15iterator_traitsISI_E10value_typeEPNSO_ISJ_E10value_typeEPSK_NS1_7vsmem_tEENKUlT_SI_SJ_SK_E_clIPxSD_S10_SD_EESH_SX_SI_SJ_SK_EUlSX_E_NS1_11comp_targetILNS1_3genE10ELNS1_11target_archE1201ELNS1_3gpuE5ELNS1_3repE0EEENS1_48merge_mergepath_partition_config_static_selectorELNS0_4arch9wavefront6targetE1EEEvSJ_
                                        ; -- End function
	.set _ZN7rocprim17ROCPRIM_400000_NS6detail17trampoline_kernelINS0_14default_configENS1_38merge_sort_block_merge_config_selectorIxxEEZZNS1_27merge_sort_block_merge_implIS3_N6thrust23THRUST_200600_302600_NS6detail15normal_iteratorINS8_10device_ptrIxEEEESD_jNS1_19radix_merge_compareILb0ELb1ExNS0_19identity_decomposerEEEEE10hipError_tT0_T1_T2_jT3_P12ihipStream_tbPNSt15iterator_traitsISI_E10value_typeEPNSO_ISJ_E10value_typeEPSK_NS1_7vsmem_tEENKUlT_SI_SJ_SK_E_clIPxSD_S10_SD_EESH_SX_SI_SJ_SK_EUlSX_E_NS1_11comp_targetILNS1_3genE10ELNS1_11target_archE1201ELNS1_3gpuE5ELNS1_3repE0EEENS1_48merge_mergepath_partition_config_static_selectorELNS0_4arch9wavefront6targetE1EEEvSJ_.num_vgpr, 0
	.set _ZN7rocprim17ROCPRIM_400000_NS6detail17trampoline_kernelINS0_14default_configENS1_38merge_sort_block_merge_config_selectorIxxEEZZNS1_27merge_sort_block_merge_implIS3_N6thrust23THRUST_200600_302600_NS6detail15normal_iteratorINS8_10device_ptrIxEEEESD_jNS1_19radix_merge_compareILb0ELb1ExNS0_19identity_decomposerEEEEE10hipError_tT0_T1_T2_jT3_P12ihipStream_tbPNSt15iterator_traitsISI_E10value_typeEPNSO_ISJ_E10value_typeEPSK_NS1_7vsmem_tEENKUlT_SI_SJ_SK_E_clIPxSD_S10_SD_EESH_SX_SI_SJ_SK_EUlSX_E_NS1_11comp_targetILNS1_3genE10ELNS1_11target_archE1201ELNS1_3gpuE5ELNS1_3repE0EEENS1_48merge_mergepath_partition_config_static_selectorELNS0_4arch9wavefront6targetE1EEEvSJ_.num_agpr, 0
	.set _ZN7rocprim17ROCPRIM_400000_NS6detail17trampoline_kernelINS0_14default_configENS1_38merge_sort_block_merge_config_selectorIxxEEZZNS1_27merge_sort_block_merge_implIS3_N6thrust23THRUST_200600_302600_NS6detail15normal_iteratorINS8_10device_ptrIxEEEESD_jNS1_19radix_merge_compareILb0ELb1ExNS0_19identity_decomposerEEEEE10hipError_tT0_T1_T2_jT3_P12ihipStream_tbPNSt15iterator_traitsISI_E10value_typeEPNSO_ISJ_E10value_typeEPSK_NS1_7vsmem_tEENKUlT_SI_SJ_SK_E_clIPxSD_S10_SD_EESH_SX_SI_SJ_SK_EUlSX_E_NS1_11comp_targetILNS1_3genE10ELNS1_11target_archE1201ELNS1_3gpuE5ELNS1_3repE0EEENS1_48merge_mergepath_partition_config_static_selectorELNS0_4arch9wavefront6targetE1EEEvSJ_.numbered_sgpr, 0
	.set _ZN7rocprim17ROCPRIM_400000_NS6detail17trampoline_kernelINS0_14default_configENS1_38merge_sort_block_merge_config_selectorIxxEEZZNS1_27merge_sort_block_merge_implIS3_N6thrust23THRUST_200600_302600_NS6detail15normal_iteratorINS8_10device_ptrIxEEEESD_jNS1_19radix_merge_compareILb0ELb1ExNS0_19identity_decomposerEEEEE10hipError_tT0_T1_T2_jT3_P12ihipStream_tbPNSt15iterator_traitsISI_E10value_typeEPNSO_ISJ_E10value_typeEPSK_NS1_7vsmem_tEENKUlT_SI_SJ_SK_E_clIPxSD_S10_SD_EESH_SX_SI_SJ_SK_EUlSX_E_NS1_11comp_targetILNS1_3genE10ELNS1_11target_archE1201ELNS1_3gpuE5ELNS1_3repE0EEENS1_48merge_mergepath_partition_config_static_selectorELNS0_4arch9wavefront6targetE1EEEvSJ_.num_named_barrier, 0
	.set _ZN7rocprim17ROCPRIM_400000_NS6detail17trampoline_kernelINS0_14default_configENS1_38merge_sort_block_merge_config_selectorIxxEEZZNS1_27merge_sort_block_merge_implIS3_N6thrust23THRUST_200600_302600_NS6detail15normal_iteratorINS8_10device_ptrIxEEEESD_jNS1_19radix_merge_compareILb0ELb1ExNS0_19identity_decomposerEEEEE10hipError_tT0_T1_T2_jT3_P12ihipStream_tbPNSt15iterator_traitsISI_E10value_typeEPNSO_ISJ_E10value_typeEPSK_NS1_7vsmem_tEENKUlT_SI_SJ_SK_E_clIPxSD_S10_SD_EESH_SX_SI_SJ_SK_EUlSX_E_NS1_11comp_targetILNS1_3genE10ELNS1_11target_archE1201ELNS1_3gpuE5ELNS1_3repE0EEENS1_48merge_mergepath_partition_config_static_selectorELNS0_4arch9wavefront6targetE1EEEvSJ_.private_seg_size, 0
	.set _ZN7rocprim17ROCPRIM_400000_NS6detail17trampoline_kernelINS0_14default_configENS1_38merge_sort_block_merge_config_selectorIxxEEZZNS1_27merge_sort_block_merge_implIS3_N6thrust23THRUST_200600_302600_NS6detail15normal_iteratorINS8_10device_ptrIxEEEESD_jNS1_19radix_merge_compareILb0ELb1ExNS0_19identity_decomposerEEEEE10hipError_tT0_T1_T2_jT3_P12ihipStream_tbPNSt15iterator_traitsISI_E10value_typeEPNSO_ISJ_E10value_typeEPSK_NS1_7vsmem_tEENKUlT_SI_SJ_SK_E_clIPxSD_S10_SD_EESH_SX_SI_SJ_SK_EUlSX_E_NS1_11comp_targetILNS1_3genE10ELNS1_11target_archE1201ELNS1_3gpuE5ELNS1_3repE0EEENS1_48merge_mergepath_partition_config_static_selectorELNS0_4arch9wavefront6targetE1EEEvSJ_.uses_vcc, 0
	.set _ZN7rocprim17ROCPRIM_400000_NS6detail17trampoline_kernelINS0_14default_configENS1_38merge_sort_block_merge_config_selectorIxxEEZZNS1_27merge_sort_block_merge_implIS3_N6thrust23THRUST_200600_302600_NS6detail15normal_iteratorINS8_10device_ptrIxEEEESD_jNS1_19radix_merge_compareILb0ELb1ExNS0_19identity_decomposerEEEEE10hipError_tT0_T1_T2_jT3_P12ihipStream_tbPNSt15iterator_traitsISI_E10value_typeEPNSO_ISJ_E10value_typeEPSK_NS1_7vsmem_tEENKUlT_SI_SJ_SK_E_clIPxSD_S10_SD_EESH_SX_SI_SJ_SK_EUlSX_E_NS1_11comp_targetILNS1_3genE10ELNS1_11target_archE1201ELNS1_3gpuE5ELNS1_3repE0EEENS1_48merge_mergepath_partition_config_static_selectorELNS0_4arch9wavefront6targetE1EEEvSJ_.uses_flat_scratch, 0
	.set _ZN7rocprim17ROCPRIM_400000_NS6detail17trampoline_kernelINS0_14default_configENS1_38merge_sort_block_merge_config_selectorIxxEEZZNS1_27merge_sort_block_merge_implIS3_N6thrust23THRUST_200600_302600_NS6detail15normal_iteratorINS8_10device_ptrIxEEEESD_jNS1_19radix_merge_compareILb0ELb1ExNS0_19identity_decomposerEEEEE10hipError_tT0_T1_T2_jT3_P12ihipStream_tbPNSt15iterator_traitsISI_E10value_typeEPNSO_ISJ_E10value_typeEPSK_NS1_7vsmem_tEENKUlT_SI_SJ_SK_E_clIPxSD_S10_SD_EESH_SX_SI_SJ_SK_EUlSX_E_NS1_11comp_targetILNS1_3genE10ELNS1_11target_archE1201ELNS1_3gpuE5ELNS1_3repE0EEENS1_48merge_mergepath_partition_config_static_selectorELNS0_4arch9wavefront6targetE1EEEvSJ_.has_dyn_sized_stack, 0
	.set _ZN7rocprim17ROCPRIM_400000_NS6detail17trampoline_kernelINS0_14default_configENS1_38merge_sort_block_merge_config_selectorIxxEEZZNS1_27merge_sort_block_merge_implIS3_N6thrust23THRUST_200600_302600_NS6detail15normal_iteratorINS8_10device_ptrIxEEEESD_jNS1_19radix_merge_compareILb0ELb1ExNS0_19identity_decomposerEEEEE10hipError_tT0_T1_T2_jT3_P12ihipStream_tbPNSt15iterator_traitsISI_E10value_typeEPNSO_ISJ_E10value_typeEPSK_NS1_7vsmem_tEENKUlT_SI_SJ_SK_E_clIPxSD_S10_SD_EESH_SX_SI_SJ_SK_EUlSX_E_NS1_11comp_targetILNS1_3genE10ELNS1_11target_archE1201ELNS1_3gpuE5ELNS1_3repE0EEENS1_48merge_mergepath_partition_config_static_selectorELNS0_4arch9wavefront6targetE1EEEvSJ_.has_recursion, 0
	.set _ZN7rocprim17ROCPRIM_400000_NS6detail17trampoline_kernelINS0_14default_configENS1_38merge_sort_block_merge_config_selectorIxxEEZZNS1_27merge_sort_block_merge_implIS3_N6thrust23THRUST_200600_302600_NS6detail15normal_iteratorINS8_10device_ptrIxEEEESD_jNS1_19radix_merge_compareILb0ELb1ExNS0_19identity_decomposerEEEEE10hipError_tT0_T1_T2_jT3_P12ihipStream_tbPNSt15iterator_traitsISI_E10value_typeEPNSO_ISJ_E10value_typeEPSK_NS1_7vsmem_tEENKUlT_SI_SJ_SK_E_clIPxSD_S10_SD_EESH_SX_SI_SJ_SK_EUlSX_E_NS1_11comp_targetILNS1_3genE10ELNS1_11target_archE1201ELNS1_3gpuE5ELNS1_3repE0EEENS1_48merge_mergepath_partition_config_static_selectorELNS0_4arch9wavefront6targetE1EEEvSJ_.has_indirect_call, 0
	.section	.AMDGPU.csdata,"",@progbits
; Kernel info:
; codeLenInByte = 0
; TotalNumSgprs: 6
; NumVgprs: 0
; NumAgprs: 0
; TotalNumVgprs: 0
; ScratchSize: 0
; MemoryBound: 0
; FloatMode: 240
; IeeeMode: 1
; LDSByteSize: 0 bytes/workgroup (compile time only)
; SGPRBlocks: 0
; VGPRBlocks: 0
; NumSGPRsForWavesPerEU: 6
; NumVGPRsForWavesPerEU: 1
; AccumOffset: 4
; Occupancy: 8
; WaveLimiterHint : 0
; COMPUTE_PGM_RSRC2:SCRATCH_EN: 0
; COMPUTE_PGM_RSRC2:USER_SGPR: 2
; COMPUTE_PGM_RSRC2:TRAP_HANDLER: 0
; COMPUTE_PGM_RSRC2:TGID_X_EN: 1
; COMPUTE_PGM_RSRC2:TGID_Y_EN: 0
; COMPUTE_PGM_RSRC2:TGID_Z_EN: 0
; COMPUTE_PGM_RSRC2:TIDIG_COMP_CNT: 0
; COMPUTE_PGM_RSRC3_GFX90A:ACCUM_OFFSET: 0
; COMPUTE_PGM_RSRC3_GFX90A:TG_SPLIT: 0
	.section	.text._ZN7rocprim17ROCPRIM_400000_NS6detail17trampoline_kernelINS0_14default_configENS1_38merge_sort_block_merge_config_selectorIxxEEZZNS1_27merge_sort_block_merge_implIS3_N6thrust23THRUST_200600_302600_NS6detail15normal_iteratorINS8_10device_ptrIxEEEESD_jNS1_19radix_merge_compareILb0ELb1ExNS0_19identity_decomposerEEEEE10hipError_tT0_T1_T2_jT3_P12ihipStream_tbPNSt15iterator_traitsISI_E10value_typeEPNSO_ISJ_E10value_typeEPSK_NS1_7vsmem_tEENKUlT_SI_SJ_SK_E_clIPxSD_S10_SD_EESH_SX_SI_SJ_SK_EUlSX_E_NS1_11comp_targetILNS1_3genE5ELNS1_11target_archE942ELNS1_3gpuE9ELNS1_3repE0EEENS1_48merge_mergepath_partition_config_static_selectorELNS0_4arch9wavefront6targetE1EEEvSJ_,"axG",@progbits,_ZN7rocprim17ROCPRIM_400000_NS6detail17trampoline_kernelINS0_14default_configENS1_38merge_sort_block_merge_config_selectorIxxEEZZNS1_27merge_sort_block_merge_implIS3_N6thrust23THRUST_200600_302600_NS6detail15normal_iteratorINS8_10device_ptrIxEEEESD_jNS1_19radix_merge_compareILb0ELb1ExNS0_19identity_decomposerEEEEE10hipError_tT0_T1_T2_jT3_P12ihipStream_tbPNSt15iterator_traitsISI_E10value_typeEPNSO_ISJ_E10value_typeEPSK_NS1_7vsmem_tEENKUlT_SI_SJ_SK_E_clIPxSD_S10_SD_EESH_SX_SI_SJ_SK_EUlSX_E_NS1_11comp_targetILNS1_3genE5ELNS1_11target_archE942ELNS1_3gpuE9ELNS1_3repE0EEENS1_48merge_mergepath_partition_config_static_selectorELNS0_4arch9wavefront6targetE1EEEvSJ_,comdat
	.protected	_ZN7rocprim17ROCPRIM_400000_NS6detail17trampoline_kernelINS0_14default_configENS1_38merge_sort_block_merge_config_selectorIxxEEZZNS1_27merge_sort_block_merge_implIS3_N6thrust23THRUST_200600_302600_NS6detail15normal_iteratorINS8_10device_ptrIxEEEESD_jNS1_19radix_merge_compareILb0ELb1ExNS0_19identity_decomposerEEEEE10hipError_tT0_T1_T2_jT3_P12ihipStream_tbPNSt15iterator_traitsISI_E10value_typeEPNSO_ISJ_E10value_typeEPSK_NS1_7vsmem_tEENKUlT_SI_SJ_SK_E_clIPxSD_S10_SD_EESH_SX_SI_SJ_SK_EUlSX_E_NS1_11comp_targetILNS1_3genE5ELNS1_11target_archE942ELNS1_3gpuE9ELNS1_3repE0EEENS1_48merge_mergepath_partition_config_static_selectorELNS0_4arch9wavefront6targetE1EEEvSJ_ ; -- Begin function _ZN7rocprim17ROCPRIM_400000_NS6detail17trampoline_kernelINS0_14default_configENS1_38merge_sort_block_merge_config_selectorIxxEEZZNS1_27merge_sort_block_merge_implIS3_N6thrust23THRUST_200600_302600_NS6detail15normal_iteratorINS8_10device_ptrIxEEEESD_jNS1_19radix_merge_compareILb0ELb1ExNS0_19identity_decomposerEEEEE10hipError_tT0_T1_T2_jT3_P12ihipStream_tbPNSt15iterator_traitsISI_E10value_typeEPNSO_ISJ_E10value_typeEPSK_NS1_7vsmem_tEENKUlT_SI_SJ_SK_E_clIPxSD_S10_SD_EESH_SX_SI_SJ_SK_EUlSX_E_NS1_11comp_targetILNS1_3genE5ELNS1_11target_archE942ELNS1_3gpuE9ELNS1_3repE0EEENS1_48merge_mergepath_partition_config_static_selectorELNS0_4arch9wavefront6targetE1EEEvSJ_
	.globl	_ZN7rocprim17ROCPRIM_400000_NS6detail17trampoline_kernelINS0_14default_configENS1_38merge_sort_block_merge_config_selectorIxxEEZZNS1_27merge_sort_block_merge_implIS3_N6thrust23THRUST_200600_302600_NS6detail15normal_iteratorINS8_10device_ptrIxEEEESD_jNS1_19radix_merge_compareILb0ELb1ExNS0_19identity_decomposerEEEEE10hipError_tT0_T1_T2_jT3_P12ihipStream_tbPNSt15iterator_traitsISI_E10value_typeEPNSO_ISJ_E10value_typeEPSK_NS1_7vsmem_tEENKUlT_SI_SJ_SK_E_clIPxSD_S10_SD_EESH_SX_SI_SJ_SK_EUlSX_E_NS1_11comp_targetILNS1_3genE5ELNS1_11target_archE942ELNS1_3gpuE9ELNS1_3repE0EEENS1_48merge_mergepath_partition_config_static_selectorELNS0_4arch9wavefront6targetE1EEEvSJ_
	.p2align	8
	.type	_ZN7rocprim17ROCPRIM_400000_NS6detail17trampoline_kernelINS0_14default_configENS1_38merge_sort_block_merge_config_selectorIxxEEZZNS1_27merge_sort_block_merge_implIS3_N6thrust23THRUST_200600_302600_NS6detail15normal_iteratorINS8_10device_ptrIxEEEESD_jNS1_19radix_merge_compareILb0ELb1ExNS0_19identity_decomposerEEEEE10hipError_tT0_T1_T2_jT3_P12ihipStream_tbPNSt15iterator_traitsISI_E10value_typeEPNSO_ISJ_E10value_typeEPSK_NS1_7vsmem_tEENKUlT_SI_SJ_SK_E_clIPxSD_S10_SD_EESH_SX_SI_SJ_SK_EUlSX_E_NS1_11comp_targetILNS1_3genE5ELNS1_11target_archE942ELNS1_3gpuE9ELNS1_3repE0EEENS1_48merge_mergepath_partition_config_static_selectorELNS0_4arch9wavefront6targetE1EEEvSJ_,@function
_ZN7rocprim17ROCPRIM_400000_NS6detail17trampoline_kernelINS0_14default_configENS1_38merge_sort_block_merge_config_selectorIxxEEZZNS1_27merge_sort_block_merge_implIS3_N6thrust23THRUST_200600_302600_NS6detail15normal_iteratorINS8_10device_ptrIxEEEESD_jNS1_19radix_merge_compareILb0ELb1ExNS0_19identity_decomposerEEEEE10hipError_tT0_T1_T2_jT3_P12ihipStream_tbPNSt15iterator_traitsISI_E10value_typeEPNSO_ISJ_E10value_typeEPSK_NS1_7vsmem_tEENKUlT_SI_SJ_SK_E_clIPxSD_S10_SD_EESH_SX_SI_SJ_SK_EUlSX_E_NS1_11comp_targetILNS1_3genE5ELNS1_11target_archE942ELNS1_3gpuE9ELNS1_3repE0EEENS1_48merge_mergepath_partition_config_static_selectorELNS0_4arch9wavefront6targetE1EEEvSJ_: ; @_ZN7rocprim17ROCPRIM_400000_NS6detail17trampoline_kernelINS0_14default_configENS1_38merge_sort_block_merge_config_selectorIxxEEZZNS1_27merge_sort_block_merge_implIS3_N6thrust23THRUST_200600_302600_NS6detail15normal_iteratorINS8_10device_ptrIxEEEESD_jNS1_19radix_merge_compareILb0ELb1ExNS0_19identity_decomposerEEEEE10hipError_tT0_T1_T2_jT3_P12ihipStream_tbPNSt15iterator_traitsISI_E10value_typeEPNSO_ISJ_E10value_typeEPSK_NS1_7vsmem_tEENKUlT_SI_SJ_SK_E_clIPxSD_S10_SD_EESH_SX_SI_SJ_SK_EUlSX_E_NS1_11comp_targetILNS1_3genE5ELNS1_11target_archE942ELNS1_3gpuE9ELNS1_3repE0EEENS1_48merge_mergepath_partition_config_static_selectorELNS0_4arch9wavefront6targetE1EEEvSJ_
; %bb.0:
	.section	.rodata,"a",@progbits
	.p2align	6, 0x0
	.amdhsa_kernel _ZN7rocprim17ROCPRIM_400000_NS6detail17trampoline_kernelINS0_14default_configENS1_38merge_sort_block_merge_config_selectorIxxEEZZNS1_27merge_sort_block_merge_implIS3_N6thrust23THRUST_200600_302600_NS6detail15normal_iteratorINS8_10device_ptrIxEEEESD_jNS1_19radix_merge_compareILb0ELb1ExNS0_19identity_decomposerEEEEE10hipError_tT0_T1_T2_jT3_P12ihipStream_tbPNSt15iterator_traitsISI_E10value_typeEPNSO_ISJ_E10value_typeEPSK_NS1_7vsmem_tEENKUlT_SI_SJ_SK_E_clIPxSD_S10_SD_EESH_SX_SI_SJ_SK_EUlSX_E_NS1_11comp_targetILNS1_3genE5ELNS1_11target_archE942ELNS1_3gpuE9ELNS1_3repE0EEENS1_48merge_mergepath_partition_config_static_selectorELNS0_4arch9wavefront6targetE1EEEvSJ_
		.amdhsa_group_segment_fixed_size 0
		.amdhsa_private_segment_fixed_size 0
		.amdhsa_kernarg_size 40
		.amdhsa_user_sgpr_count 2
		.amdhsa_user_sgpr_dispatch_ptr 0
		.amdhsa_user_sgpr_queue_ptr 0
		.amdhsa_user_sgpr_kernarg_segment_ptr 1
		.amdhsa_user_sgpr_dispatch_id 0
		.amdhsa_user_sgpr_kernarg_preload_length 0
		.amdhsa_user_sgpr_kernarg_preload_offset 0
		.amdhsa_user_sgpr_private_segment_size 0
		.amdhsa_uses_dynamic_stack 0
		.amdhsa_enable_private_segment 0
		.amdhsa_system_sgpr_workgroup_id_x 1
		.amdhsa_system_sgpr_workgroup_id_y 0
		.amdhsa_system_sgpr_workgroup_id_z 0
		.amdhsa_system_sgpr_workgroup_info 0
		.amdhsa_system_vgpr_workitem_id 0
		.amdhsa_next_free_vgpr 1
		.amdhsa_next_free_sgpr 0
		.amdhsa_accum_offset 4
		.amdhsa_reserve_vcc 0
		.amdhsa_float_round_mode_32 0
		.amdhsa_float_round_mode_16_64 0
		.amdhsa_float_denorm_mode_32 3
		.amdhsa_float_denorm_mode_16_64 3
		.amdhsa_dx10_clamp 1
		.amdhsa_ieee_mode 1
		.amdhsa_fp16_overflow 0
		.amdhsa_tg_split 0
		.amdhsa_exception_fp_ieee_invalid_op 0
		.amdhsa_exception_fp_denorm_src 0
		.amdhsa_exception_fp_ieee_div_zero 0
		.amdhsa_exception_fp_ieee_overflow 0
		.amdhsa_exception_fp_ieee_underflow 0
		.amdhsa_exception_fp_ieee_inexact 0
		.amdhsa_exception_int_div_zero 0
	.end_amdhsa_kernel
	.section	.text._ZN7rocprim17ROCPRIM_400000_NS6detail17trampoline_kernelINS0_14default_configENS1_38merge_sort_block_merge_config_selectorIxxEEZZNS1_27merge_sort_block_merge_implIS3_N6thrust23THRUST_200600_302600_NS6detail15normal_iteratorINS8_10device_ptrIxEEEESD_jNS1_19radix_merge_compareILb0ELb1ExNS0_19identity_decomposerEEEEE10hipError_tT0_T1_T2_jT3_P12ihipStream_tbPNSt15iterator_traitsISI_E10value_typeEPNSO_ISJ_E10value_typeEPSK_NS1_7vsmem_tEENKUlT_SI_SJ_SK_E_clIPxSD_S10_SD_EESH_SX_SI_SJ_SK_EUlSX_E_NS1_11comp_targetILNS1_3genE5ELNS1_11target_archE942ELNS1_3gpuE9ELNS1_3repE0EEENS1_48merge_mergepath_partition_config_static_selectorELNS0_4arch9wavefront6targetE1EEEvSJ_,"axG",@progbits,_ZN7rocprim17ROCPRIM_400000_NS6detail17trampoline_kernelINS0_14default_configENS1_38merge_sort_block_merge_config_selectorIxxEEZZNS1_27merge_sort_block_merge_implIS3_N6thrust23THRUST_200600_302600_NS6detail15normal_iteratorINS8_10device_ptrIxEEEESD_jNS1_19radix_merge_compareILb0ELb1ExNS0_19identity_decomposerEEEEE10hipError_tT0_T1_T2_jT3_P12ihipStream_tbPNSt15iterator_traitsISI_E10value_typeEPNSO_ISJ_E10value_typeEPSK_NS1_7vsmem_tEENKUlT_SI_SJ_SK_E_clIPxSD_S10_SD_EESH_SX_SI_SJ_SK_EUlSX_E_NS1_11comp_targetILNS1_3genE5ELNS1_11target_archE942ELNS1_3gpuE9ELNS1_3repE0EEENS1_48merge_mergepath_partition_config_static_selectorELNS0_4arch9wavefront6targetE1EEEvSJ_,comdat
.Lfunc_end1124:
	.size	_ZN7rocprim17ROCPRIM_400000_NS6detail17trampoline_kernelINS0_14default_configENS1_38merge_sort_block_merge_config_selectorIxxEEZZNS1_27merge_sort_block_merge_implIS3_N6thrust23THRUST_200600_302600_NS6detail15normal_iteratorINS8_10device_ptrIxEEEESD_jNS1_19radix_merge_compareILb0ELb1ExNS0_19identity_decomposerEEEEE10hipError_tT0_T1_T2_jT3_P12ihipStream_tbPNSt15iterator_traitsISI_E10value_typeEPNSO_ISJ_E10value_typeEPSK_NS1_7vsmem_tEENKUlT_SI_SJ_SK_E_clIPxSD_S10_SD_EESH_SX_SI_SJ_SK_EUlSX_E_NS1_11comp_targetILNS1_3genE5ELNS1_11target_archE942ELNS1_3gpuE9ELNS1_3repE0EEENS1_48merge_mergepath_partition_config_static_selectorELNS0_4arch9wavefront6targetE1EEEvSJ_, .Lfunc_end1124-_ZN7rocprim17ROCPRIM_400000_NS6detail17trampoline_kernelINS0_14default_configENS1_38merge_sort_block_merge_config_selectorIxxEEZZNS1_27merge_sort_block_merge_implIS3_N6thrust23THRUST_200600_302600_NS6detail15normal_iteratorINS8_10device_ptrIxEEEESD_jNS1_19radix_merge_compareILb0ELb1ExNS0_19identity_decomposerEEEEE10hipError_tT0_T1_T2_jT3_P12ihipStream_tbPNSt15iterator_traitsISI_E10value_typeEPNSO_ISJ_E10value_typeEPSK_NS1_7vsmem_tEENKUlT_SI_SJ_SK_E_clIPxSD_S10_SD_EESH_SX_SI_SJ_SK_EUlSX_E_NS1_11comp_targetILNS1_3genE5ELNS1_11target_archE942ELNS1_3gpuE9ELNS1_3repE0EEENS1_48merge_mergepath_partition_config_static_selectorELNS0_4arch9wavefront6targetE1EEEvSJ_
                                        ; -- End function
	.set _ZN7rocprim17ROCPRIM_400000_NS6detail17trampoline_kernelINS0_14default_configENS1_38merge_sort_block_merge_config_selectorIxxEEZZNS1_27merge_sort_block_merge_implIS3_N6thrust23THRUST_200600_302600_NS6detail15normal_iteratorINS8_10device_ptrIxEEEESD_jNS1_19radix_merge_compareILb0ELb1ExNS0_19identity_decomposerEEEEE10hipError_tT0_T1_T2_jT3_P12ihipStream_tbPNSt15iterator_traitsISI_E10value_typeEPNSO_ISJ_E10value_typeEPSK_NS1_7vsmem_tEENKUlT_SI_SJ_SK_E_clIPxSD_S10_SD_EESH_SX_SI_SJ_SK_EUlSX_E_NS1_11comp_targetILNS1_3genE5ELNS1_11target_archE942ELNS1_3gpuE9ELNS1_3repE0EEENS1_48merge_mergepath_partition_config_static_selectorELNS0_4arch9wavefront6targetE1EEEvSJ_.num_vgpr, 0
	.set _ZN7rocprim17ROCPRIM_400000_NS6detail17trampoline_kernelINS0_14default_configENS1_38merge_sort_block_merge_config_selectorIxxEEZZNS1_27merge_sort_block_merge_implIS3_N6thrust23THRUST_200600_302600_NS6detail15normal_iteratorINS8_10device_ptrIxEEEESD_jNS1_19radix_merge_compareILb0ELb1ExNS0_19identity_decomposerEEEEE10hipError_tT0_T1_T2_jT3_P12ihipStream_tbPNSt15iterator_traitsISI_E10value_typeEPNSO_ISJ_E10value_typeEPSK_NS1_7vsmem_tEENKUlT_SI_SJ_SK_E_clIPxSD_S10_SD_EESH_SX_SI_SJ_SK_EUlSX_E_NS1_11comp_targetILNS1_3genE5ELNS1_11target_archE942ELNS1_3gpuE9ELNS1_3repE0EEENS1_48merge_mergepath_partition_config_static_selectorELNS0_4arch9wavefront6targetE1EEEvSJ_.num_agpr, 0
	.set _ZN7rocprim17ROCPRIM_400000_NS6detail17trampoline_kernelINS0_14default_configENS1_38merge_sort_block_merge_config_selectorIxxEEZZNS1_27merge_sort_block_merge_implIS3_N6thrust23THRUST_200600_302600_NS6detail15normal_iteratorINS8_10device_ptrIxEEEESD_jNS1_19radix_merge_compareILb0ELb1ExNS0_19identity_decomposerEEEEE10hipError_tT0_T1_T2_jT3_P12ihipStream_tbPNSt15iterator_traitsISI_E10value_typeEPNSO_ISJ_E10value_typeEPSK_NS1_7vsmem_tEENKUlT_SI_SJ_SK_E_clIPxSD_S10_SD_EESH_SX_SI_SJ_SK_EUlSX_E_NS1_11comp_targetILNS1_3genE5ELNS1_11target_archE942ELNS1_3gpuE9ELNS1_3repE0EEENS1_48merge_mergepath_partition_config_static_selectorELNS0_4arch9wavefront6targetE1EEEvSJ_.numbered_sgpr, 0
	.set _ZN7rocprim17ROCPRIM_400000_NS6detail17trampoline_kernelINS0_14default_configENS1_38merge_sort_block_merge_config_selectorIxxEEZZNS1_27merge_sort_block_merge_implIS3_N6thrust23THRUST_200600_302600_NS6detail15normal_iteratorINS8_10device_ptrIxEEEESD_jNS1_19radix_merge_compareILb0ELb1ExNS0_19identity_decomposerEEEEE10hipError_tT0_T1_T2_jT3_P12ihipStream_tbPNSt15iterator_traitsISI_E10value_typeEPNSO_ISJ_E10value_typeEPSK_NS1_7vsmem_tEENKUlT_SI_SJ_SK_E_clIPxSD_S10_SD_EESH_SX_SI_SJ_SK_EUlSX_E_NS1_11comp_targetILNS1_3genE5ELNS1_11target_archE942ELNS1_3gpuE9ELNS1_3repE0EEENS1_48merge_mergepath_partition_config_static_selectorELNS0_4arch9wavefront6targetE1EEEvSJ_.num_named_barrier, 0
	.set _ZN7rocprim17ROCPRIM_400000_NS6detail17trampoline_kernelINS0_14default_configENS1_38merge_sort_block_merge_config_selectorIxxEEZZNS1_27merge_sort_block_merge_implIS3_N6thrust23THRUST_200600_302600_NS6detail15normal_iteratorINS8_10device_ptrIxEEEESD_jNS1_19radix_merge_compareILb0ELb1ExNS0_19identity_decomposerEEEEE10hipError_tT0_T1_T2_jT3_P12ihipStream_tbPNSt15iterator_traitsISI_E10value_typeEPNSO_ISJ_E10value_typeEPSK_NS1_7vsmem_tEENKUlT_SI_SJ_SK_E_clIPxSD_S10_SD_EESH_SX_SI_SJ_SK_EUlSX_E_NS1_11comp_targetILNS1_3genE5ELNS1_11target_archE942ELNS1_3gpuE9ELNS1_3repE0EEENS1_48merge_mergepath_partition_config_static_selectorELNS0_4arch9wavefront6targetE1EEEvSJ_.private_seg_size, 0
	.set _ZN7rocprim17ROCPRIM_400000_NS6detail17trampoline_kernelINS0_14default_configENS1_38merge_sort_block_merge_config_selectorIxxEEZZNS1_27merge_sort_block_merge_implIS3_N6thrust23THRUST_200600_302600_NS6detail15normal_iteratorINS8_10device_ptrIxEEEESD_jNS1_19radix_merge_compareILb0ELb1ExNS0_19identity_decomposerEEEEE10hipError_tT0_T1_T2_jT3_P12ihipStream_tbPNSt15iterator_traitsISI_E10value_typeEPNSO_ISJ_E10value_typeEPSK_NS1_7vsmem_tEENKUlT_SI_SJ_SK_E_clIPxSD_S10_SD_EESH_SX_SI_SJ_SK_EUlSX_E_NS1_11comp_targetILNS1_3genE5ELNS1_11target_archE942ELNS1_3gpuE9ELNS1_3repE0EEENS1_48merge_mergepath_partition_config_static_selectorELNS0_4arch9wavefront6targetE1EEEvSJ_.uses_vcc, 0
	.set _ZN7rocprim17ROCPRIM_400000_NS6detail17trampoline_kernelINS0_14default_configENS1_38merge_sort_block_merge_config_selectorIxxEEZZNS1_27merge_sort_block_merge_implIS3_N6thrust23THRUST_200600_302600_NS6detail15normal_iteratorINS8_10device_ptrIxEEEESD_jNS1_19radix_merge_compareILb0ELb1ExNS0_19identity_decomposerEEEEE10hipError_tT0_T1_T2_jT3_P12ihipStream_tbPNSt15iterator_traitsISI_E10value_typeEPNSO_ISJ_E10value_typeEPSK_NS1_7vsmem_tEENKUlT_SI_SJ_SK_E_clIPxSD_S10_SD_EESH_SX_SI_SJ_SK_EUlSX_E_NS1_11comp_targetILNS1_3genE5ELNS1_11target_archE942ELNS1_3gpuE9ELNS1_3repE0EEENS1_48merge_mergepath_partition_config_static_selectorELNS0_4arch9wavefront6targetE1EEEvSJ_.uses_flat_scratch, 0
	.set _ZN7rocprim17ROCPRIM_400000_NS6detail17trampoline_kernelINS0_14default_configENS1_38merge_sort_block_merge_config_selectorIxxEEZZNS1_27merge_sort_block_merge_implIS3_N6thrust23THRUST_200600_302600_NS6detail15normal_iteratorINS8_10device_ptrIxEEEESD_jNS1_19radix_merge_compareILb0ELb1ExNS0_19identity_decomposerEEEEE10hipError_tT0_T1_T2_jT3_P12ihipStream_tbPNSt15iterator_traitsISI_E10value_typeEPNSO_ISJ_E10value_typeEPSK_NS1_7vsmem_tEENKUlT_SI_SJ_SK_E_clIPxSD_S10_SD_EESH_SX_SI_SJ_SK_EUlSX_E_NS1_11comp_targetILNS1_3genE5ELNS1_11target_archE942ELNS1_3gpuE9ELNS1_3repE0EEENS1_48merge_mergepath_partition_config_static_selectorELNS0_4arch9wavefront6targetE1EEEvSJ_.has_dyn_sized_stack, 0
	.set _ZN7rocprim17ROCPRIM_400000_NS6detail17trampoline_kernelINS0_14default_configENS1_38merge_sort_block_merge_config_selectorIxxEEZZNS1_27merge_sort_block_merge_implIS3_N6thrust23THRUST_200600_302600_NS6detail15normal_iteratorINS8_10device_ptrIxEEEESD_jNS1_19radix_merge_compareILb0ELb1ExNS0_19identity_decomposerEEEEE10hipError_tT0_T1_T2_jT3_P12ihipStream_tbPNSt15iterator_traitsISI_E10value_typeEPNSO_ISJ_E10value_typeEPSK_NS1_7vsmem_tEENKUlT_SI_SJ_SK_E_clIPxSD_S10_SD_EESH_SX_SI_SJ_SK_EUlSX_E_NS1_11comp_targetILNS1_3genE5ELNS1_11target_archE942ELNS1_3gpuE9ELNS1_3repE0EEENS1_48merge_mergepath_partition_config_static_selectorELNS0_4arch9wavefront6targetE1EEEvSJ_.has_recursion, 0
	.set _ZN7rocprim17ROCPRIM_400000_NS6detail17trampoline_kernelINS0_14default_configENS1_38merge_sort_block_merge_config_selectorIxxEEZZNS1_27merge_sort_block_merge_implIS3_N6thrust23THRUST_200600_302600_NS6detail15normal_iteratorINS8_10device_ptrIxEEEESD_jNS1_19radix_merge_compareILb0ELb1ExNS0_19identity_decomposerEEEEE10hipError_tT0_T1_T2_jT3_P12ihipStream_tbPNSt15iterator_traitsISI_E10value_typeEPNSO_ISJ_E10value_typeEPSK_NS1_7vsmem_tEENKUlT_SI_SJ_SK_E_clIPxSD_S10_SD_EESH_SX_SI_SJ_SK_EUlSX_E_NS1_11comp_targetILNS1_3genE5ELNS1_11target_archE942ELNS1_3gpuE9ELNS1_3repE0EEENS1_48merge_mergepath_partition_config_static_selectorELNS0_4arch9wavefront6targetE1EEEvSJ_.has_indirect_call, 0
	.section	.AMDGPU.csdata,"",@progbits
; Kernel info:
; codeLenInByte = 0
; TotalNumSgprs: 6
; NumVgprs: 0
; NumAgprs: 0
; TotalNumVgprs: 0
; ScratchSize: 0
; MemoryBound: 0
; FloatMode: 240
; IeeeMode: 1
; LDSByteSize: 0 bytes/workgroup (compile time only)
; SGPRBlocks: 0
; VGPRBlocks: 0
; NumSGPRsForWavesPerEU: 6
; NumVGPRsForWavesPerEU: 1
; AccumOffset: 4
; Occupancy: 8
; WaveLimiterHint : 0
; COMPUTE_PGM_RSRC2:SCRATCH_EN: 0
; COMPUTE_PGM_RSRC2:USER_SGPR: 2
; COMPUTE_PGM_RSRC2:TRAP_HANDLER: 0
; COMPUTE_PGM_RSRC2:TGID_X_EN: 1
; COMPUTE_PGM_RSRC2:TGID_Y_EN: 0
; COMPUTE_PGM_RSRC2:TGID_Z_EN: 0
; COMPUTE_PGM_RSRC2:TIDIG_COMP_CNT: 0
; COMPUTE_PGM_RSRC3_GFX90A:ACCUM_OFFSET: 0
; COMPUTE_PGM_RSRC3_GFX90A:TG_SPLIT: 0
	.section	.text._ZN7rocprim17ROCPRIM_400000_NS6detail17trampoline_kernelINS0_14default_configENS1_38merge_sort_block_merge_config_selectorIxxEEZZNS1_27merge_sort_block_merge_implIS3_N6thrust23THRUST_200600_302600_NS6detail15normal_iteratorINS8_10device_ptrIxEEEESD_jNS1_19radix_merge_compareILb0ELb1ExNS0_19identity_decomposerEEEEE10hipError_tT0_T1_T2_jT3_P12ihipStream_tbPNSt15iterator_traitsISI_E10value_typeEPNSO_ISJ_E10value_typeEPSK_NS1_7vsmem_tEENKUlT_SI_SJ_SK_E_clIPxSD_S10_SD_EESH_SX_SI_SJ_SK_EUlSX_E_NS1_11comp_targetILNS1_3genE4ELNS1_11target_archE910ELNS1_3gpuE8ELNS1_3repE0EEENS1_48merge_mergepath_partition_config_static_selectorELNS0_4arch9wavefront6targetE1EEEvSJ_,"axG",@progbits,_ZN7rocprim17ROCPRIM_400000_NS6detail17trampoline_kernelINS0_14default_configENS1_38merge_sort_block_merge_config_selectorIxxEEZZNS1_27merge_sort_block_merge_implIS3_N6thrust23THRUST_200600_302600_NS6detail15normal_iteratorINS8_10device_ptrIxEEEESD_jNS1_19radix_merge_compareILb0ELb1ExNS0_19identity_decomposerEEEEE10hipError_tT0_T1_T2_jT3_P12ihipStream_tbPNSt15iterator_traitsISI_E10value_typeEPNSO_ISJ_E10value_typeEPSK_NS1_7vsmem_tEENKUlT_SI_SJ_SK_E_clIPxSD_S10_SD_EESH_SX_SI_SJ_SK_EUlSX_E_NS1_11comp_targetILNS1_3genE4ELNS1_11target_archE910ELNS1_3gpuE8ELNS1_3repE0EEENS1_48merge_mergepath_partition_config_static_selectorELNS0_4arch9wavefront6targetE1EEEvSJ_,comdat
	.protected	_ZN7rocprim17ROCPRIM_400000_NS6detail17trampoline_kernelINS0_14default_configENS1_38merge_sort_block_merge_config_selectorIxxEEZZNS1_27merge_sort_block_merge_implIS3_N6thrust23THRUST_200600_302600_NS6detail15normal_iteratorINS8_10device_ptrIxEEEESD_jNS1_19radix_merge_compareILb0ELb1ExNS0_19identity_decomposerEEEEE10hipError_tT0_T1_T2_jT3_P12ihipStream_tbPNSt15iterator_traitsISI_E10value_typeEPNSO_ISJ_E10value_typeEPSK_NS1_7vsmem_tEENKUlT_SI_SJ_SK_E_clIPxSD_S10_SD_EESH_SX_SI_SJ_SK_EUlSX_E_NS1_11comp_targetILNS1_3genE4ELNS1_11target_archE910ELNS1_3gpuE8ELNS1_3repE0EEENS1_48merge_mergepath_partition_config_static_selectorELNS0_4arch9wavefront6targetE1EEEvSJ_ ; -- Begin function _ZN7rocprim17ROCPRIM_400000_NS6detail17trampoline_kernelINS0_14default_configENS1_38merge_sort_block_merge_config_selectorIxxEEZZNS1_27merge_sort_block_merge_implIS3_N6thrust23THRUST_200600_302600_NS6detail15normal_iteratorINS8_10device_ptrIxEEEESD_jNS1_19radix_merge_compareILb0ELb1ExNS0_19identity_decomposerEEEEE10hipError_tT0_T1_T2_jT3_P12ihipStream_tbPNSt15iterator_traitsISI_E10value_typeEPNSO_ISJ_E10value_typeEPSK_NS1_7vsmem_tEENKUlT_SI_SJ_SK_E_clIPxSD_S10_SD_EESH_SX_SI_SJ_SK_EUlSX_E_NS1_11comp_targetILNS1_3genE4ELNS1_11target_archE910ELNS1_3gpuE8ELNS1_3repE0EEENS1_48merge_mergepath_partition_config_static_selectorELNS0_4arch9wavefront6targetE1EEEvSJ_
	.globl	_ZN7rocprim17ROCPRIM_400000_NS6detail17trampoline_kernelINS0_14default_configENS1_38merge_sort_block_merge_config_selectorIxxEEZZNS1_27merge_sort_block_merge_implIS3_N6thrust23THRUST_200600_302600_NS6detail15normal_iteratorINS8_10device_ptrIxEEEESD_jNS1_19radix_merge_compareILb0ELb1ExNS0_19identity_decomposerEEEEE10hipError_tT0_T1_T2_jT3_P12ihipStream_tbPNSt15iterator_traitsISI_E10value_typeEPNSO_ISJ_E10value_typeEPSK_NS1_7vsmem_tEENKUlT_SI_SJ_SK_E_clIPxSD_S10_SD_EESH_SX_SI_SJ_SK_EUlSX_E_NS1_11comp_targetILNS1_3genE4ELNS1_11target_archE910ELNS1_3gpuE8ELNS1_3repE0EEENS1_48merge_mergepath_partition_config_static_selectorELNS0_4arch9wavefront6targetE1EEEvSJ_
	.p2align	8
	.type	_ZN7rocprim17ROCPRIM_400000_NS6detail17trampoline_kernelINS0_14default_configENS1_38merge_sort_block_merge_config_selectorIxxEEZZNS1_27merge_sort_block_merge_implIS3_N6thrust23THRUST_200600_302600_NS6detail15normal_iteratorINS8_10device_ptrIxEEEESD_jNS1_19radix_merge_compareILb0ELb1ExNS0_19identity_decomposerEEEEE10hipError_tT0_T1_T2_jT3_P12ihipStream_tbPNSt15iterator_traitsISI_E10value_typeEPNSO_ISJ_E10value_typeEPSK_NS1_7vsmem_tEENKUlT_SI_SJ_SK_E_clIPxSD_S10_SD_EESH_SX_SI_SJ_SK_EUlSX_E_NS1_11comp_targetILNS1_3genE4ELNS1_11target_archE910ELNS1_3gpuE8ELNS1_3repE0EEENS1_48merge_mergepath_partition_config_static_selectorELNS0_4arch9wavefront6targetE1EEEvSJ_,@function
_ZN7rocprim17ROCPRIM_400000_NS6detail17trampoline_kernelINS0_14default_configENS1_38merge_sort_block_merge_config_selectorIxxEEZZNS1_27merge_sort_block_merge_implIS3_N6thrust23THRUST_200600_302600_NS6detail15normal_iteratorINS8_10device_ptrIxEEEESD_jNS1_19radix_merge_compareILb0ELb1ExNS0_19identity_decomposerEEEEE10hipError_tT0_T1_T2_jT3_P12ihipStream_tbPNSt15iterator_traitsISI_E10value_typeEPNSO_ISJ_E10value_typeEPSK_NS1_7vsmem_tEENKUlT_SI_SJ_SK_E_clIPxSD_S10_SD_EESH_SX_SI_SJ_SK_EUlSX_E_NS1_11comp_targetILNS1_3genE4ELNS1_11target_archE910ELNS1_3gpuE8ELNS1_3repE0EEENS1_48merge_mergepath_partition_config_static_selectorELNS0_4arch9wavefront6targetE1EEEvSJ_: ; @_ZN7rocprim17ROCPRIM_400000_NS6detail17trampoline_kernelINS0_14default_configENS1_38merge_sort_block_merge_config_selectorIxxEEZZNS1_27merge_sort_block_merge_implIS3_N6thrust23THRUST_200600_302600_NS6detail15normal_iteratorINS8_10device_ptrIxEEEESD_jNS1_19radix_merge_compareILb0ELb1ExNS0_19identity_decomposerEEEEE10hipError_tT0_T1_T2_jT3_P12ihipStream_tbPNSt15iterator_traitsISI_E10value_typeEPNSO_ISJ_E10value_typeEPSK_NS1_7vsmem_tEENKUlT_SI_SJ_SK_E_clIPxSD_S10_SD_EESH_SX_SI_SJ_SK_EUlSX_E_NS1_11comp_targetILNS1_3genE4ELNS1_11target_archE910ELNS1_3gpuE8ELNS1_3repE0EEENS1_48merge_mergepath_partition_config_static_selectorELNS0_4arch9wavefront6targetE1EEEvSJ_
; %bb.0:
	.section	.rodata,"a",@progbits
	.p2align	6, 0x0
	.amdhsa_kernel _ZN7rocprim17ROCPRIM_400000_NS6detail17trampoline_kernelINS0_14default_configENS1_38merge_sort_block_merge_config_selectorIxxEEZZNS1_27merge_sort_block_merge_implIS3_N6thrust23THRUST_200600_302600_NS6detail15normal_iteratorINS8_10device_ptrIxEEEESD_jNS1_19radix_merge_compareILb0ELb1ExNS0_19identity_decomposerEEEEE10hipError_tT0_T1_T2_jT3_P12ihipStream_tbPNSt15iterator_traitsISI_E10value_typeEPNSO_ISJ_E10value_typeEPSK_NS1_7vsmem_tEENKUlT_SI_SJ_SK_E_clIPxSD_S10_SD_EESH_SX_SI_SJ_SK_EUlSX_E_NS1_11comp_targetILNS1_3genE4ELNS1_11target_archE910ELNS1_3gpuE8ELNS1_3repE0EEENS1_48merge_mergepath_partition_config_static_selectorELNS0_4arch9wavefront6targetE1EEEvSJ_
		.amdhsa_group_segment_fixed_size 0
		.amdhsa_private_segment_fixed_size 0
		.amdhsa_kernarg_size 40
		.amdhsa_user_sgpr_count 2
		.amdhsa_user_sgpr_dispatch_ptr 0
		.amdhsa_user_sgpr_queue_ptr 0
		.amdhsa_user_sgpr_kernarg_segment_ptr 1
		.amdhsa_user_sgpr_dispatch_id 0
		.amdhsa_user_sgpr_kernarg_preload_length 0
		.amdhsa_user_sgpr_kernarg_preload_offset 0
		.amdhsa_user_sgpr_private_segment_size 0
		.amdhsa_uses_dynamic_stack 0
		.amdhsa_enable_private_segment 0
		.amdhsa_system_sgpr_workgroup_id_x 1
		.amdhsa_system_sgpr_workgroup_id_y 0
		.amdhsa_system_sgpr_workgroup_id_z 0
		.amdhsa_system_sgpr_workgroup_info 0
		.amdhsa_system_vgpr_workitem_id 0
		.amdhsa_next_free_vgpr 1
		.amdhsa_next_free_sgpr 0
		.amdhsa_accum_offset 4
		.amdhsa_reserve_vcc 0
		.amdhsa_float_round_mode_32 0
		.amdhsa_float_round_mode_16_64 0
		.amdhsa_float_denorm_mode_32 3
		.amdhsa_float_denorm_mode_16_64 3
		.amdhsa_dx10_clamp 1
		.amdhsa_ieee_mode 1
		.amdhsa_fp16_overflow 0
		.amdhsa_tg_split 0
		.amdhsa_exception_fp_ieee_invalid_op 0
		.amdhsa_exception_fp_denorm_src 0
		.amdhsa_exception_fp_ieee_div_zero 0
		.amdhsa_exception_fp_ieee_overflow 0
		.amdhsa_exception_fp_ieee_underflow 0
		.amdhsa_exception_fp_ieee_inexact 0
		.amdhsa_exception_int_div_zero 0
	.end_amdhsa_kernel
	.section	.text._ZN7rocprim17ROCPRIM_400000_NS6detail17trampoline_kernelINS0_14default_configENS1_38merge_sort_block_merge_config_selectorIxxEEZZNS1_27merge_sort_block_merge_implIS3_N6thrust23THRUST_200600_302600_NS6detail15normal_iteratorINS8_10device_ptrIxEEEESD_jNS1_19radix_merge_compareILb0ELb1ExNS0_19identity_decomposerEEEEE10hipError_tT0_T1_T2_jT3_P12ihipStream_tbPNSt15iterator_traitsISI_E10value_typeEPNSO_ISJ_E10value_typeEPSK_NS1_7vsmem_tEENKUlT_SI_SJ_SK_E_clIPxSD_S10_SD_EESH_SX_SI_SJ_SK_EUlSX_E_NS1_11comp_targetILNS1_3genE4ELNS1_11target_archE910ELNS1_3gpuE8ELNS1_3repE0EEENS1_48merge_mergepath_partition_config_static_selectorELNS0_4arch9wavefront6targetE1EEEvSJ_,"axG",@progbits,_ZN7rocprim17ROCPRIM_400000_NS6detail17trampoline_kernelINS0_14default_configENS1_38merge_sort_block_merge_config_selectorIxxEEZZNS1_27merge_sort_block_merge_implIS3_N6thrust23THRUST_200600_302600_NS6detail15normal_iteratorINS8_10device_ptrIxEEEESD_jNS1_19radix_merge_compareILb0ELb1ExNS0_19identity_decomposerEEEEE10hipError_tT0_T1_T2_jT3_P12ihipStream_tbPNSt15iterator_traitsISI_E10value_typeEPNSO_ISJ_E10value_typeEPSK_NS1_7vsmem_tEENKUlT_SI_SJ_SK_E_clIPxSD_S10_SD_EESH_SX_SI_SJ_SK_EUlSX_E_NS1_11comp_targetILNS1_3genE4ELNS1_11target_archE910ELNS1_3gpuE8ELNS1_3repE0EEENS1_48merge_mergepath_partition_config_static_selectorELNS0_4arch9wavefront6targetE1EEEvSJ_,comdat
.Lfunc_end1125:
	.size	_ZN7rocprim17ROCPRIM_400000_NS6detail17trampoline_kernelINS0_14default_configENS1_38merge_sort_block_merge_config_selectorIxxEEZZNS1_27merge_sort_block_merge_implIS3_N6thrust23THRUST_200600_302600_NS6detail15normal_iteratorINS8_10device_ptrIxEEEESD_jNS1_19radix_merge_compareILb0ELb1ExNS0_19identity_decomposerEEEEE10hipError_tT0_T1_T2_jT3_P12ihipStream_tbPNSt15iterator_traitsISI_E10value_typeEPNSO_ISJ_E10value_typeEPSK_NS1_7vsmem_tEENKUlT_SI_SJ_SK_E_clIPxSD_S10_SD_EESH_SX_SI_SJ_SK_EUlSX_E_NS1_11comp_targetILNS1_3genE4ELNS1_11target_archE910ELNS1_3gpuE8ELNS1_3repE0EEENS1_48merge_mergepath_partition_config_static_selectorELNS0_4arch9wavefront6targetE1EEEvSJ_, .Lfunc_end1125-_ZN7rocprim17ROCPRIM_400000_NS6detail17trampoline_kernelINS0_14default_configENS1_38merge_sort_block_merge_config_selectorIxxEEZZNS1_27merge_sort_block_merge_implIS3_N6thrust23THRUST_200600_302600_NS6detail15normal_iteratorINS8_10device_ptrIxEEEESD_jNS1_19radix_merge_compareILb0ELb1ExNS0_19identity_decomposerEEEEE10hipError_tT0_T1_T2_jT3_P12ihipStream_tbPNSt15iterator_traitsISI_E10value_typeEPNSO_ISJ_E10value_typeEPSK_NS1_7vsmem_tEENKUlT_SI_SJ_SK_E_clIPxSD_S10_SD_EESH_SX_SI_SJ_SK_EUlSX_E_NS1_11comp_targetILNS1_3genE4ELNS1_11target_archE910ELNS1_3gpuE8ELNS1_3repE0EEENS1_48merge_mergepath_partition_config_static_selectorELNS0_4arch9wavefront6targetE1EEEvSJ_
                                        ; -- End function
	.set _ZN7rocprim17ROCPRIM_400000_NS6detail17trampoline_kernelINS0_14default_configENS1_38merge_sort_block_merge_config_selectorIxxEEZZNS1_27merge_sort_block_merge_implIS3_N6thrust23THRUST_200600_302600_NS6detail15normal_iteratorINS8_10device_ptrIxEEEESD_jNS1_19radix_merge_compareILb0ELb1ExNS0_19identity_decomposerEEEEE10hipError_tT0_T1_T2_jT3_P12ihipStream_tbPNSt15iterator_traitsISI_E10value_typeEPNSO_ISJ_E10value_typeEPSK_NS1_7vsmem_tEENKUlT_SI_SJ_SK_E_clIPxSD_S10_SD_EESH_SX_SI_SJ_SK_EUlSX_E_NS1_11comp_targetILNS1_3genE4ELNS1_11target_archE910ELNS1_3gpuE8ELNS1_3repE0EEENS1_48merge_mergepath_partition_config_static_selectorELNS0_4arch9wavefront6targetE1EEEvSJ_.num_vgpr, 0
	.set _ZN7rocprim17ROCPRIM_400000_NS6detail17trampoline_kernelINS0_14default_configENS1_38merge_sort_block_merge_config_selectorIxxEEZZNS1_27merge_sort_block_merge_implIS3_N6thrust23THRUST_200600_302600_NS6detail15normal_iteratorINS8_10device_ptrIxEEEESD_jNS1_19radix_merge_compareILb0ELb1ExNS0_19identity_decomposerEEEEE10hipError_tT0_T1_T2_jT3_P12ihipStream_tbPNSt15iterator_traitsISI_E10value_typeEPNSO_ISJ_E10value_typeEPSK_NS1_7vsmem_tEENKUlT_SI_SJ_SK_E_clIPxSD_S10_SD_EESH_SX_SI_SJ_SK_EUlSX_E_NS1_11comp_targetILNS1_3genE4ELNS1_11target_archE910ELNS1_3gpuE8ELNS1_3repE0EEENS1_48merge_mergepath_partition_config_static_selectorELNS0_4arch9wavefront6targetE1EEEvSJ_.num_agpr, 0
	.set _ZN7rocprim17ROCPRIM_400000_NS6detail17trampoline_kernelINS0_14default_configENS1_38merge_sort_block_merge_config_selectorIxxEEZZNS1_27merge_sort_block_merge_implIS3_N6thrust23THRUST_200600_302600_NS6detail15normal_iteratorINS8_10device_ptrIxEEEESD_jNS1_19radix_merge_compareILb0ELb1ExNS0_19identity_decomposerEEEEE10hipError_tT0_T1_T2_jT3_P12ihipStream_tbPNSt15iterator_traitsISI_E10value_typeEPNSO_ISJ_E10value_typeEPSK_NS1_7vsmem_tEENKUlT_SI_SJ_SK_E_clIPxSD_S10_SD_EESH_SX_SI_SJ_SK_EUlSX_E_NS1_11comp_targetILNS1_3genE4ELNS1_11target_archE910ELNS1_3gpuE8ELNS1_3repE0EEENS1_48merge_mergepath_partition_config_static_selectorELNS0_4arch9wavefront6targetE1EEEvSJ_.numbered_sgpr, 0
	.set _ZN7rocprim17ROCPRIM_400000_NS6detail17trampoline_kernelINS0_14default_configENS1_38merge_sort_block_merge_config_selectorIxxEEZZNS1_27merge_sort_block_merge_implIS3_N6thrust23THRUST_200600_302600_NS6detail15normal_iteratorINS8_10device_ptrIxEEEESD_jNS1_19radix_merge_compareILb0ELb1ExNS0_19identity_decomposerEEEEE10hipError_tT0_T1_T2_jT3_P12ihipStream_tbPNSt15iterator_traitsISI_E10value_typeEPNSO_ISJ_E10value_typeEPSK_NS1_7vsmem_tEENKUlT_SI_SJ_SK_E_clIPxSD_S10_SD_EESH_SX_SI_SJ_SK_EUlSX_E_NS1_11comp_targetILNS1_3genE4ELNS1_11target_archE910ELNS1_3gpuE8ELNS1_3repE0EEENS1_48merge_mergepath_partition_config_static_selectorELNS0_4arch9wavefront6targetE1EEEvSJ_.num_named_barrier, 0
	.set _ZN7rocprim17ROCPRIM_400000_NS6detail17trampoline_kernelINS0_14default_configENS1_38merge_sort_block_merge_config_selectorIxxEEZZNS1_27merge_sort_block_merge_implIS3_N6thrust23THRUST_200600_302600_NS6detail15normal_iteratorINS8_10device_ptrIxEEEESD_jNS1_19radix_merge_compareILb0ELb1ExNS0_19identity_decomposerEEEEE10hipError_tT0_T1_T2_jT3_P12ihipStream_tbPNSt15iterator_traitsISI_E10value_typeEPNSO_ISJ_E10value_typeEPSK_NS1_7vsmem_tEENKUlT_SI_SJ_SK_E_clIPxSD_S10_SD_EESH_SX_SI_SJ_SK_EUlSX_E_NS1_11comp_targetILNS1_3genE4ELNS1_11target_archE910ELNS1_3gpuE8ELNS1_3repE0EEENS1_48merge_mergepath_partition_config_static_selectorELNS0_4arch9wavefront6targetE1EEEvSJ_.private_seg_size, 0
	.set _ZN7rocprim17ROCPRIM_400000_NS6detail17trampoline_kernelINS0_14default_configENS1_38merge_sort_block_merge_config_selectorIxxEEZZNS1_27merge_sort_block_merge_implIS3_N6thrust23THRUST_200600_302600_NS6detail15normal_iteratorINS8_10device_ptrIxEEEESD_jNS1_19radix_merge_compareILb0ELb1ExNS0_19identity_decomposerEEEEE10hipError_tT0_T1_T2_jT3_P12ihipStream_tbPNSt15iterator_traitsISI_E10value_typeEPNSO_ISJ_E10value_typeEPSK_NS1_7vsmem_tEENKUlT_SI_SJ_SK_E_clIPxSD_S10_SD_EESH_SX_SI_SJ_SK_EUlSX_E_NS1_11comp_targetILNS1_3genE4ELNS1_11target_archE910ELNS1_3gpuE8ELNS1_3repE0EEENS1_48merge_mergepath_partition_config_static_selectorELNS0_4arch9wavefront6targetE1EEEvSJ_.uses_vcc, 0
	.set _ZN7rocprim17ROCPRIM_400000_NS6detail17trampoline_kernelINS0_14default_configENS1_38merge_sort_block_merge_config_selectorIxxEEZZNS1_27merge_sort_block_merge_implIS3_N6thrust23THRUST_200600_302600_NS6detail15normal_iteratorINS8_10device_ptrIxEEEESD_jNS1_19radix_merge_compareILb0ELb1ExNS0_19identity_decomposerEEEEE10hipError_tT0_T1_T2_jT3_P12ihipStream_tbPNSt15iterator_traitsISI_E10value_typeEPNSO_ISJ_E10value_typeEPSK_NS1_7vsmem_tEENKUlT_SI_SJ_SK_E_clIPxSD_S10_SD_EESH_SX_SI_SJ_SK_EUlSX_E_NS1_11comp_targetILNS1_3genE4ELNS1_11target_archE910ELNS1_3gpuE8ELNS1_3repE0EEENS1_48merge_mergepath_partition_config_static_selectorELNS0_4arch9wavefront6targetE1EEEvSJ_.uses_flat_scratch, 0
	.set _ZN7rocprim17ROCPRIM_400000_NS6detail17trampoline_kernelINS0_14default_configENS1_38merge_sort_block_merge_config_selectorIxxEEZZNS1_27merge_sort_block_merge_implIS3_N6thrust23THRUST_200600_302600_NS6detail15normal_iteratorINS8_10device_ptrIxEEEESD_jNS1_19radix_merge_compareILb0ELb1ExNS0_19identity_decomposerEEEEE10hipError_tT0_T1_T2_jT3_P12ihipStream_tbPNSt15iterator_traitsISI_E10value_typeEPNSO_ISJ_E10value_typeEPSK_NS1_7vsmem_tEENKUlT_SI_SJ_SK_E_clIPxSD_S10_SD_EESH_SX_SI_SJ_SK_EUlSX_E_NS1_11comp_targetILNS1_3genE4ELNS1_11target_archE910ELNS1_3gpuE8ELNS1_3repE0EEENS1_48merge_mergepath_partition_config_static_selectorELNS0_4arch9wavefront6targetE1EEEvSJ_.has_dyn_sized_stack, 0
	.set _ZN7rocprim17ROCPRIM_400000_NS6detail17trampoline_kernelINS0_14default_configENS1_38merge_sort_block_merge_config_selectorIxxEEZZNS1_27merge_sort_block_merge_implIS3_N6thrust23THRUST_200600_302600_NS6detail15normal_iteratorINS8_10device_ptrIxEEEESD_jNS1_19radix_merge_compareILb0ELb1ExNS0_19identity_decomposerEEEEE10hipError_tT0_T1_T2_jT3_P12ihipStream_tbPNSt15iterator_traitsISI_E10value_typeEPNSO_ISJ_E10value_typeEPSK_NS1_7vsmem_tEENKUlT_SI_SJ_SK_E_clIPxSD_S10_SD_EESH_SX_SI_SJ_SK_EUlSX_E_NS1_11comp_targetILNS1_3genE4ELNS1_11target_archE910ELNS1_3gpuE8ELNS1_3repE0EEENS1_48merge_mergepath_partition_config_static_selectorELNS0_4arch9wavefront6targetE1EEEvSJ_.has_recursion, 0
	.set _ZN7rocprim17ROCPRIM_400000_NS6detail17trampoline_kernelINS0_14default_configENS1_38merge_sort_block_merge_config_selectorIxxEEZZNS1_27merge_sort_block_merge_implIS3_N6thrust23THRUST_200600_302600_NS6detail15normal_iteratorINS8_10device_ptrIxEEEESD_jNS1_19radix_merge_compareILb0ELb1ExNS0_19identity_decomposerEEEEE10hipError_tT0_T1_T2_jT3_P12ihipStream_tbPNSt15iterator_traitsISI_E10value_typeEPNSO_ISJ_E10value_typeEPSK_NS1_7vsmem_tEENKUlT_SI_SJ_SK_E_clIPxSD_S10_SD_EESH_SX_SI_SJ_SK_EUlSX_E_NS1_11comp_targetILNS1_3genE4ELNS1_11target_archE910ELNS1_3gpuE8ELNS1_3repE0EEENS1_48merge_mergepath_partition_config_static_selectorELNS0_4arch9wavefront6targetE1EEEvSJ_.has_indirect_call, 0
	.section	.AMDGPU.csdata,"",@progbits
; Kernel info:
; codeLenInByte = 0
; TotalNumSgprs: 6
; NumVgprs: 0
; NumAgprs: 0
; TotalNumVgprs: 0
; ScratchSize: 0
; MemoryBound: 0
; FloatMode: 240
; IeeeMode: 1
; LDSByteSize: 0 bytes/workgroup (compile time only)
; SGPRBlocks: 0
; VGPRBlocks: 0
; NumSGPRsForWavesPerEU: 6
; NumVGPRsForWavesPerEU: 1
; AccumOffset: 4
; Occupancy: 8
; WaveLimiterHint : 0
; COMPUTE_PGM_RSRC2:SCRATCH_EN: 0
; COMPUTE_PGM_RSRC2:USER_SGPR: 2
; COMPUTE_PGM_RSRC2:TRAP_HANDLER: 0
; COMPUTE_PGM_RSRC2:TGID_X_EN: 1
; COMPUTE_PGM_RSRC2:TGID_Y_EN: 0
; COMPUTE_PGM_RSRC2:TGID_Z_EN: 0
; COMPUTE_PGM_RSRC2:TIDIG_COMP_CNT: 0
; COMPUTE_PGM_RSRC3_GFX90A:ACCUM_OFFSET: 0
; COMPUTE_PGM_RSRC3_GFX90A:TG_SPLIT: 0
	.section	.text._ZN7rocprim17ROCPRIM_400000_NS6detail17trampoline_kernelINS0_14default_configENS1_38merge_sort_block_merge_config_selectorIxxEEZZNS1_27merge_sort_block_merge_implIS3_N6thrust23THRUST_200600_302600_NS6detail15normal_iteratorINS8_10device_ptrIxEEEESD_jNS1_19radix_merge_compareILb0ELb1ExNS0_19identity_decomposerEEEEE10hipError_tT0_T1_T2_jT3_P12ihipStream_tbPNSt15iterator_traitsISI_E10value_typeEPNSO_ISJ_E10value_typeEPSK_NS1_7vsmem_tEENKUlT_SI_SJ_SK_E_clIPxSD_S10_SD_EESH_SX_SI_SJ_SK_EUlSX_E_NS1_11comp_targetILNS1_3genE3ELNS1_11target_archE908ELNS1_3gpuE7ELNS1_3repE0EEENS1_48merge_mergepath_partition_config_static_selectorELNS0_4arch9wavefront6targetE1EEEvSJ_,"axG",@progbits,_ZN7rocprim17ROCPRIM_400000_NS6detail17trampoline_kernelINS0_14default_configENS1_38merge_sort_block_merge_config_selectorIxxEEZZNS1_27merge_sort_block_merge_implIS3_N6thrust23THRUST_200600_302600_NS6detail15normal_iteratorINS8_10device_ptrIxEEEESD_jNS1_19radix_merge_compareILb0ELb1ExNS0_19identity_decomposerEEEEE10hipError_tT0_T1_T2_jT3_P12ihipStream_tbPNSt15iterator_traitsISI_E10value_typeEPNSO_ISJ_E10value_typeEPSK_NS1_7vsmem_tEENKUlT_SI_SJ_SK_E_clIPxSD_S10_SD_EESH_SX_SI_SJ_SK_EUlSX_E_NS1_11comp_targetILNS1_3genE3ELNS1_11target_archE908ELNS1_3gpuE7ELNS1_3repE0EEENS1_48merge_mergepath_partition_config_static_selectorELNS0_4arch9wavefront6targetE1EEEvSJ_,comdat
	.protected	_ZN7rocprim17ROCPRIM_400000_NS6detail17trampoline_kernelINS0_14default_configENS1_38merge_sort_block_merge_config_selectorIxxEEZZNS1_27merge_sort_block_merge_implIS3_N6thrust23THRUST_200600_302600_NS6detail15normal_iteratorINS8_10device_ptrIxEEEESD_jNS1_19radix_merge_compareILb0ELb1ExNS0_19identity_decomposerEEEEE10hipError_tT0_T1_T2_jT3_P12ihipStream_tbPNSt15iterator_traitsISI_E10value_typeEPNSO_ISJ_E10value_typeEPSK_NS1_7vsmem_tEENKUlT_SI_SJ_SK_E_clIPxSD_S10_SD_EESH_SX_SI_SJ_SK_EUlSX_E_NS1_11comp_targetILNS1_3genE3ELNS1_11target_archE908ELNS1_3gpuE7ELNS1_3repE0EEENS1_48merge_mergepath_partition_config_static_selectorELNS0_4arch9wavefront6targetE1EEEvSJ_ ; -- Begin function _ZN7rocprim17ROCPRIM_400000_NS6detail17trampoline_kernelINS0_14default_configENS1_38merge_sort_block_merge_config_selectorIxxEEZZNS1_27merge_sort_block_merge_implIS3_N6thrust23THRUST_200600_302600_NS6detail15normal_iteratorINS8_10device_ptrIxEEEESD_jNS1_19radix_merge_compareILb0ELb1ExNS0_19identity_decomposerEEEEE10hipError_tT0_T1_T2_jT3_P12ihipStream_tbPNSt15iterator_traitsISI_E10value_typeEPNSO_ISJ_E10value_typeEPSK_NS1_7vsmem_tEENKUlT_SI_SJ_SK_E_clIPxSD_S10_SD_EESH_SX_SI_SJ_SK_EUlSX_E_NS1_11comp_targetILNS1_3genE3ELNS1_11target_archE908ELNS1_3gpuE7ELNS1_3repE0EEENS1_48merge_mergepath_partition_config_static_selectorELNS0_4arch9wavefront6targetE1EEEvSJ_
	.globl	_ZN7rocprim17ROCPRIM_400000_NS6detail17trampoline_kernelINS0_14default_configENS1_38merge_sort_block_merge_config_selectorIxxEEZZNS1_27merge_sort_block_merge_implIS3_N6thrust23THRUST_200600_302600_NS6detail15normal_iteratorINS8_10device_ptrIxEEEESD_jNS1_19radix_merge_compareILb0ELb1ExNS0_19identity_decomposerEEEEE10hipError_tT0_T1_T2_jT3_P12ihipStream_tbPNSt15iterator_traitsISI_E10value_typeEPNSO_ISJ_E10value_typeEPSK_NS1_7vsmem_tEENKUlT_SI_SJ_SK_E_clIPxSD_S10_SD_EESH_SX_SI_SJ_SK_EUlSX_E_NS1_11comp_targetILNS1_3genE3ELNS1_11target_archE908ELNS1_3gpuE7ELNS1_3repE0EEENS1_48merge_mergepath_partition_config_static_selectorELNS0_4arch9wavefront6targetE1EEEvSJ_
	.p2align	8
	.type	_ZN7rocprim17ROCPRIM_400000_NS6detail17trampoline_kernelINS0_14default_configENS1_38merge_sort_block_merge_config_selectorIxxEEZZNS1_27merge_sort_block_merge_implIS3_N6thrust23THRUST_200600_302600_NS6detail15normal_iteratorINS8_10device_ptrIxEEEESD_jNS1_19radix_merge_compareILb0ELb1ExNS0_19identity_decomposerEEEEE10hipError_tT0_T1_T2_jT3_P12ihipStream_tbPNSt15iterator_traitsISI_E10value_typeEPNSO_ISJ_E10value_typeEPSK_NS1_7vsmem_tEENKUlT_SI_SJ_SK_E_clIPxSD_S10_SD_EESH_SX_SI_SJ_SK_EUlSX_E_NS1_11comp_targetILNS1_3genE3ELNS1_11target_archE908ELNS1_3gpuE7ELNS1_3repE0EEENS1_48merge_mergepath_partition_config_static_selectorELNS0_4arch9wavefront6targetE1EEEvSJ_,@function
_ZN7rocprim17ROCPRIM_400000_NS6detail17trampoline_kernelINS0_14default_configENS1_38merge_sort_block_merge_config_selectorIxxEEZZNS1_27merge_sort_block_merge_implIS3_N6thrust23THRUST_200600_302600_NS6detail15normal_iteratorINS8_10device_ptrIxEEEESD_jNS1_19radix_merge_compareILb0ELb1ExNS0_19identity_decomposerEEEEE10hipError_tT0_T1_T2_jT3_P12ihipStream_tbPNSt15iterator_traitsISI_E10value_typeEPNSO_ISJ_E10value_typeEPSK_NS1_7vsmem_tEENKUlT_SI_SJ_SK_E_clIPxSD_S10_SD_EESH_SX_SI_SJ_SK_EUlSX_E_NS1_11comp_targetILNS1_3genE3ELNS1_11target_archE908ELNS1_3gpuE7ELNS1_3repE0EEENS1_48merge_mergepath_partition_config_static_selectorELNS0_4arch9wavefront6targetE1EEEvSJ_: ; @_ZN7rocprim17ROCPRIM_400000_NS6detail17trampoline_kernelINS0_14default_configENS1_38merge_sort_block_merge_config_selectorIxxEEZZNS1_27merge_sort_block_merge_implIS3_N6thrust23THRUST_200600_302600_NS6detail15normal_iteratorINS8_10device_ptrIxEEEESD_jNS1_19radix_merge_compareILb0ELb1ExNS0_19identity_decomposerEEEEE10hipError_tT0_T1_T2_jT3_P12ihipStream_tbPNSt15iterator_traitsISI_E10value_typeEPNSO_ISJ_E10value_typeEPSK_NS1_7vsmem_tEENKUlT_SI_SJ_SK_E_clIPxSD_S10_SD_EESH_SX_SI_SJ_SK_EUlSX_E_NS1_11comp_targetILNS1_3genE3ELNS1_11target_archE908ELNS1_3gpuE7ELNS1_3repE0EEENS1_48merge_mergepath_partition_config_static_selectorELNS0_4arch9wavefront6targetE1EEEvSJ_
; %bb.0:
	.section	.rodata,"a",@progbits
	.p2align	6, 0x0
	.amdhsa_kernel _ZN7rocprim17ROCPRIM_400000_NS6detail17trampoline_kernelINS0_14default_configENS1_38merge_sort_block_merge_config_selectorIxxEEZZNS1_27merge_sort_block_merge_implIS3_N6thrust23THRUST_200600_302600_NS6detail15normal_iteratorINS8_10device_ptrIxEEEESD_jNS1_19radix_merge_compareILb0ELb1ExNS0_19identity_decomposerEEEEE10hipError_tT0_T1_T2_jT3_P12ihipStream_tbPNSt15iterator_traitsISI_E10value_typeEPNSO_ISJ_E10value_typeEPSK_NS1_7vsmem_tEENKUlT_SI_SJ_SK_E_clIPxSD_S10_SD_EESH_SX_SI_SJ_SK_EUlSX_E_NS1_11comp_targetILNS1_3genE3ELNS1_11target_archE908ELNS1_3gpuE7ELNS1_3repE0EEENS1_48merge_mergepath_partition_config_static_selectorELNS0_4arch9wavefront6targetE1EEEvSJ_
		.amdhsa_group_segment_fixed_size 0
		.amdhsa_private_segment_fixed_size 0
		.amdhsa_kernarg_size 40
		.amdhsa_user_sgpr_count 2
		.amdhsa_user_sgpr_dispatch_ptr 0
		.amdhsa_user_sgpr_queue_ptr 0
		.amdhsa_user_sgpr_kernarg_segment_ptr 1
		.amdhsa_user_sgpr_dispatch_id 0
		.amdhsa_user_sgpr_kernarg_preload_length 0
		.amdhsa_user_sgpr_kernarg_preload_offset 0
		.amdhsa_user_sgpr_private_segment_size 0
		.amdhsa_uses_dynamic_stack 0
		.amdhsa_enable_private_segment 0
		.amdhsa_system_sgpr_workgroup_id_x 1
		.amdhsa_system_sgpr_workgroup_id_y 0
		.amdhsa_system_sgpr_workgroup_id_z 0
		.amdhsa_system_sgpr_workgroup_info 0
		.amdhsa_system_vgpr_workitem_id 0
		.amdhsa_next_free_vgpr 1
		.amdhsa_next_free_sgpr 0
		.amdhsa_accum_offset 4
		.amdhsa_reserve_vcc 0
		.amdhsa_float_round_mode_32 0
		.amdhsa_float_round_mode_16_64 0
		.amdhsa_float_denorm_mode_32 3
		.amdhsa_float_denorm_mode_16_64 3
		.amdhsa_dx10_clamp 1
		.amdhsa_ieee_mode 1
		.amdhsa_fp16_overflow 0
		.amdhsa_tg_split 0
		.amdhsa_exception_fp_ieee_invalid_op 0
		.amdhsa_exception_fp_denorm_src 0
		.amdhsa_exception_fp_ieee_div_zero 0
		.amdhsa_exception_fp_ieee_overflow 0
		.amdhsa_exception_fp_ieee_underflow 0
		.amdhsa_exception_fp_ieee_inexact 0
		.amdhsa_exception_int_div_zero 0
	.end_amdhsa_kernel
	.section	.text._ZN7rocprim17ROCPRIM_400000_NS6detail17trampoline_kernelINS0_14default_configENS1_38merge_sort_block_merge_config_selectorIxxEEZZNS1_27merge_sort_block_merge_implIS3_N6thrust23THRUST_200600_302600_NS6detail15normal_iteratorINS8_10device_ptrIxEEEESD_jNS1_19radix_merge_compareILb0ELb1ExNS0_19identity_decomposerEEEEE10hipError_tT0_T1_T2_jT3_P12ihipStream_tbPNSt15iterator_traitsISI_E10value_typeEPNSO_ISJ_E10value_typeEPSK_NS1_7vsmem_tEENKUlT_SI_SJ_SK_E_clIPxSD_S10_SD_EESH_SX_SI_SJ_SK_EUlSX_E_NS1_11comp_targetILNS1_3genE3ELNS1_11target_archE908ELNS1_3gpuE7ELNS1_3repE0EEENS1_48merge_mergepath_partition_config_static_selectorELNS0_4arch9wavefront6targetE1EEEvSJ_,"axG",@progbits,_ZN7rocprim17ROCPRIM_400000_NS6detail17trampoline_kernelINS0_14default_configENS1_38merge_sort_block_merge_config_selectorIxxEEZZNS1_27merge_sort_block_merge_implIS3_N6thrust23THRUST_200600_302600_NS6detail15normal_iteratorINS8_10device_ptrIxEEEESD_jNS1_19radix_merge_compareILb0ELb1ExNS0_19identity_decomposerEEEEE10hipError_tT0_T1_T2_jT3_P12ihipStream_tbPNSt15iterator_traitsISI_E10value_typeEPNSO_ISJ_E10value_typeEPSK_NS1_7vsmem_tEENKUlT_SI_SJ_SK_E_clIPxSD_S10_SD_EESH_SX_SI_SJ_SK_EUlSX_E_NS1_11comp_targetILNS1_3genE3ELNS1_11target_archE908ELNS1_3gpuE7ELNS1_3repE0EEENS1_48merge_mergepath_partition_config_static_selectorELNS0_4arch9wavefront6targetE1EEEvSJ_,comdat
.Lfunc_end1126:
	.size	_ZN7rocprim17ROCPRIM_400000_NS6detail17trampoline_kernelINS0_14default_configENS1_38merge_sort_block_merge_config_selectorIxxEEZZNS1_27merge_sort_block_merge_implIS3_N6thrust23THRUST_200600_302600_NS6detail15normal_iteratorINS8_10device_ptrIxEEEESD_jNS1_19radix_merge_compareILb0ELb1ExNS0_19identity_decomposerEEEEE10hipError_tT0_T1_T2_jT3_P12ihipStream_tbPNSt15iterator_traitsISI_E10value_typeEPNSO_ISJ_E10value_typeEPSK_NS1_7vsmem_tEENKUlT_SI_SJ_SK_E_clIPxSD_S10_SD_EESH_SX_SI_SJ_SK_EUlSX_E_NS1_11comp_targetILNS1_3genE3ELNS1_11target_archE908ELNS1_3gpuE7ELNS1_3repE0EEENS1_48merge_mergepath_partition_config_static_selectorELNS0_4arch9wavefront6targetE1EEEvSJ_, .Lfunc_end1126-_ZN7rocprim17ROCPRIM_400000_NS6detail17trampoline_kernelINS0_14default_configENS1_38merge_sort_block_merge_config_selectorIxxEEZZNS1_27merge_sort_block_merge_implIS3_N6thrust23THRUST_200600_302600_NS6detail15normal_iteratorINS8_10device_ptrIxEEEESD_jNS1_19radix_merge_compareILb0ELb1ExNS0_19identity_decomposerEEEEE10hipError_tT0_T1_T2_jT3_P12ihipStream_tbPNSt15iterator_traitsISI_E10value_typeEPNSO_ISJ_E10value_typeEPSK_NS1_7vsmem_tEENKUlT_SI_SJ_SK_E_clIPxSD_S10_SD_EESH_SX_SI_SJ_SK_EUlSX_E_NS1_11comp_targetILNS1_3genE3ELNS1_11target_archE908ELNS1_3gpuE7ELNS1_3repE0EEENS1_48merge_mergepath_partition_config_static_selectorELNS0_4arch9wavefront6targetE1EEEvSJ_
                                        ; -- End function
	.set _ZN7rocprim17ROCPRIM_400000_NS6detail17trampoline_kernelINS0_14default_configENS1_38merge_sort_block_merge_config_selectorIxxEEZZNS1_27merge_sort_block_merge_implIS3_N6thrust23THRUST_200600_302600_NS6detail15normal_iteratorINS8_10device_ptrIxEEEESD_jNS1_19radix_merge_compareILb0ELb1ExNS0_19identity_decomposerEEEEE10hipError_tT0_T1_T2_jT3_P12ihipStream_tbPNSt15iterator_traitsISI_E10value_typeEPNSO_ISJ_E10value_typeEPSK_NS1_7vsmem_tEENKUlT_SI_SJ_SK_E_clIPxSD_S10_SD_EESH_SX_SI_SJ_SK_EUlSX_E_NS1_11comp_targetILNS1_3genE3ELNS1_11target_archE908ELNS1_3gpuE7ELNS1_3repE0EEENS1_48merge_mergepath_partition_config_static_selectorELNS0_4arch9wavefront6targetE1EEEvSJ_.num_vgpr, 0
	.set _ZN7rocprim17ROCPRIM_400000_NS6detail17trampoline_kernelINS0_14default_configENS1_38merge_sort_block_merge_config_selectorIxxEEZZNS1_27merge_sort_block_merge_implIS3_N6thrust23THRUST_200600_302600_NS6detail15normal_iteratorINS8_10device_ptrIxEEEESD_jNS1_19radix_merge_compareILb0ELb1ExNS0_19identity_decomposerEEEEE10hipError_tT0_T1_T2_jT3_P12ihipStream_tbPNSt15iterator_traitsISI_E10value_typeEPNSO_ISJ_E10value_typeEPSK_NS1_7vsmem_tEENKUlT_SI_SJ_SK_E_clIPxSD_S10_SD_EESH_SX_SI_SJ_SK_EUlSX_E_NS1_11comp_targetILNS1_3genE3ELNS1_11target_archE908ELNS1_3gpuE7ELNS1_3repE0EEENS1_48merge_mergepath_partition_config_static_selectorELNS0_4arch9wavefront6targetE1EEEvSJ_.num_agpr, 0
	.set _ZN7rocprim17ROCPRIM_400000_NS6detail17trampoline_kernelINS0_14default_configENS1_38merge_sort_block_merge_config_selectorIxxEEZZNS1_27merge_sort_block_merge_implIS3_N6thrust23THRUST_200600_302600_NS6detail15normal_iteratorINS8_10device_ptrIxEEEESD_jNS1_19radix_merge_compareILb0ELb1ExNS0_19identity_decomposerEEEEE10hipError_tT0_T1_T2_jT3_P12ihipStream_tbPNSt15iterator_traitsISI_E10value_typeEPNSO_ISJ_E10value_typeEPSK_NS1_7vsmem_tEENKUlT_SI_SJ_SK_E_clIPxSD_S10_SD_EESH_SX_SI_SJ_SK_EUlSX_E_NS1_11comp_targetILNS1_3genE3ELNS1_11target_archE908ELNS1_3gpuE7ELNS1_3repE0EEENS1_48merge_mergepath_partition_config_static_selectorELNS0_4arch9wavefront6targetE1EEEvSJ_.numbered_sgpr, 0
	.set _ZN7rocprim17ROCPRIM_400000_NS6detail17trampoline_kernelINS0_14default_configENS1_38merge_sort_block_merge_config_selectorIxxEEZZNS1_27merge_sort_block_merge_implIS3_N6thrust23THRUST_200600_302600_NS6detail15normal_iteratorINS8_10device_ptrIxEEEESD_jNS1_19radix_merge_compareILb0ELb1ExNS0_19identity_decomposerEEEEE10hipError_tT0_T1_T2_jT3_P12ihipStream_tbPNSt15iterator_traitsISI_E10value_typeEPNSO_ISJ_E10value_typeEPSK_NS1_7vsmem_tEENKUlT_SI_SJ_SK_E_clIPxSD_S10_SD_EESH_SX_SI_SJ_SK_EUlSX_E_NS1_11comp_targetILNS1_3genE3ELNS1_11target_archE908ELNS1_3gpuE7ELNS1_3repE0EEENS1_48merge_mergepath_partition_config_static_selectorELNS0_4arch9wavefront6targetE1EEEvSJ_.num_named_barrier, 0
	.set _ZN7rocprim17ROCPRIM_400000_NS6detail17trampoline_kernelINS0_14default_configENS1_38merge_sort_block_merge_config_selectorIxxEEZZNS1_27merge_sort_block_merge_implIS3_N6thrust23THRUST_200600_302600_NS6detail15normal_iteratorINS8_10device_ptrIxEEEESD_jNS1_19radix_merge_compareILb0ELb1ExNS0_19identity_decomposerEEEEE10hipError_tT0_T1_T2_jT3_P12ihipStream_tbPNSt15iterator_traitsISI_E10value_typeEPNSO_ISJ_E10value_typeEPSK_NS1_7vsmem_tEENKUlT_SI_SJ_SK_E_clIPxSD_S10_SD_EESH_SX_SI_SJ_SK_EUlSX_E_NS1_11comp_targetILNS1_3genE3ELNS1_11target_archE908ELNS1_3gpuE7ELNS1_3repE0EEENS1_48merge_mergepath_partition_config_static_selectorELNS0_4arch9wavefront6targetE1EEEvSJ_.private_seg_size, 0
	.set _ZN7rocprim17ROCPRIM_400000_NS6detail17trampoline_kernelINS0_14default_configENS1_38merge_sort_block_merge_config_selectorIxxEEZZNS1_27merge_sort_block_merge_implIS3_N6thrust23THRUST_200600_302600_NS6detail15normal_iteratorINS8_10device_ptrIxEEEESD_jNS1_19radix_merge_compareILb0ELb1ExNS0_19identity_decomposerEEEEE10hipError_tT0_T1_T2_jT3_P12ihipStream_tbPNSt15iterator_traitsISI_E10value_typeEPNSO_ISJ_E10value_typeEPSK_NS1_7vsmem_tEENKUlT_SI_SJ_SK_E_clIPxSD_S10_SD_EESH_SX_SI_SJ_SK_EUlSX_E_NS1_11comp_targetILNS1_3genE3ELNS1_11target_archE908ELNS1_3gpuE7ELNS1_3repE0EEENS1_48merge_mergepath_partition_config_static_selectorELNS0_4arch9wavefront6targetE1EEEvSJ_.uses_vcc, 0
	.set _ZN7rocprim17ROCPRIM_400000_NS6detail17trampoline_kernelINS0_14default_configENS1_38merge_sort_block_merge_config_selectorIxxEEZZNS1_27merge_sort_block_merge_implIS3_N6thrust23THRUST_200600_302600_NS6detail15normal_iteratorINS8_10device_ptrIxEEEESD_jNS1_19radix_merge_compareILb0ELb1ExNS0_19identity_decomposerEEEEE10hipError_tT0_T1_T2_jT3_P12ihipStream_tbPNSt15iterator_traitsISI_E10value_typeEPNSO_ISJ_E10value_typeEPSK_NS1_7vsmem_tEENKUlT_SI_SJ_SK_E_clIPxSD_S10_SD_EESH_SX_SI_SJ_SK_EUlSX_E_NS1_11comp_targetILNS1_3genE3ELNS1_11target_archE908ELNS1_3gpuE7ELNS1_3repE0EEENS1_48merge_mergepath_partition_config_static_selectorELNS0_4arch9wavefront6targetE1EEEvSJ_.uses_flat_scratch, 0
	.set _ZN7rocprim17ROCPRIM_400000_NS6detail17trampoline_kernelINS0_14default_configENS1_38merge_sort_block_merge_config_selectorIxxEEZZNS1_27merge_sort_block_merge_implIS3_N6thrust23THRUST_200600_302600_NS6detail15normal_iteratorINS8_10device_ptrIxEEEESD_jNS1_19radix_merge_compareILb0ELb1ExNS0_19identity_decomposerEEEEE10hipError_tT0_T1_T2_jT3_P12ihipStream_tbPNSt15iterator_traitsISI_E10value_typeEPNSO_ISJ_E10value_typeEPSK_NS1_7vsmem_tEENKUlT_SI_SJ_SK_E_clIPxSD_S10_SD_EESH_SX_SI_SJ_SK_EUlSX_E_NS1_11comp_targetILNS1_3genE3ELNS1_11target_archE908ELNS1_3gpuE7ELNS1_3repE0EEENS1_48merge_mergepath_partition_config_static_selectorELNS0_4arch9wavefront6targetE1EEEvSJ_.has_dyn_sized_stack, 0
	.set _ZN7rocprim17ROCPRIM_400000_NS6detail17trampoline_kernelINS0_14default_configENS1_38merge_sort_block_merge_config_selectorIxxEEZZNS1_27merge_sort_block_merge_implIS3_N6thrust23THRUST_200600_302600_NS6detail15normal_iteratorINS8_10device_ptrIxEEEESD_jNS1_19radix_merge_compareILb0ELb1ExNS0_19identity_decomposerEEEEE10hipError_tT0_T1_T2_jT3_P12ihipStream_tbPNSt15iterator_traitsISI_E10value_typeEPNSO_ISJ_E10value_typeEPSK_NS1_7vsmem_tEENKUlT_SI_SJ_SK_E_clIPxSD_S10_SD_EESH_SX_SI_SJ_SK_EUlSX_E_NS1_11comp_targetILNS1_3genE3ELNS1_11target_archE908ELNS1_3gpuE7ELNS1_3repE0EEENS1_48merge_mergepath_partition_config_static_selectorELNS0_4arch9wavefront6targetE1EEEvSJ_.has_recursion, 0
	.set _ZN7rocprim17ROCPRIM_400000_NS6detail17trampoline_kernelINS0_14default_configENS1_38merge_sort_block_merge_config_selectorIxxEEZZNS1_27merge_sort_block_merge_implIS3_N6thrust23THRUST_200600_302600_NS6detail15normal_iteratorINS8_10device_ptrIxEEEESD_jNS1_19radix_merge_compareILb0ELb1ExNS0_19identity_decomposerEEEEE10hipError_tT0_T1_T2_jT3_P12ihipStream_tbPNSt15iterator_traitsISI_E10value_typeEPNSO_ISJ_E10value_typeEPSK_NS1_7vsmem_tEENKUlT_SI_SJ_SK_E_clIPxSD_S10_SD_EESH_SX_SI_SJ_SK_EUlSX_E_NS1_11comp_targetILNS1_3genE3ELNS1_11target_archE908ELNS1_3gpuE7ELNS1_3repE0EEENS1_48merge_mergepath_partition_config_static_selectorELNS0_4arch9wavefront6targetE1EEEvSJ_.has_indirect_call, 0
	.section	.AMDGPU.csdata,"",@progbits
; Kernel info:
; codeLenInByte = 0
; TotalNumSgprs: 6
; NumVgprs: 0
; NumAgprs: 0
; TotalNumVgprs: 0
; ScratchSize: 0
; MemoryBound: 0
; FloatMode: 240
; IeeeMode: 1
; LDSByteSize: 0 bytes/workgroup (compile time only)
; SGPRBlocks: 0
; VGPRBlocks: 0
; NumSGPRsForWavesPerEU: 6
; NumVGPRsForWavesPerEU: 1
; AccumOffset: 4
; Occupancy: 8
; WaveLimiterHint : 0
; COMPUTE_PGM_RSRC2:SCRATCH_EN: 0
; COMPUTE_PGM_RSRC2:USER_SGPR: 2
; COMPUTE_PGM_RSRC2:TRAP_HANDLER: 0
; COMPUTE_PGM_RSRC2:TGID_X_EN: 1
; COMPUTE_PGM_RSRC2:TGID_Y_EN: 0
; COMPUTE_PGM_RSRC2:TGID_Z_EN: 0
; COMPUTE_PGM_RSRC2:TIDIG_COMP_CNT: 0
; COMPUTE_PGM_RSRC3_GFX90A:ACCUM_OFFSET: 0
; COMPUTE_PGM_RSRC3_GFX90A:TG_SPLIT: 0
	.section	.text._ZN7rocprim17ROCPRIM_400000_NS6detail17trampoline_kernelINS0_14default_configENS1_38merge_sort_block_merge_config_selectorIxxEEZZNS1_27merge_sort_block_merge_implIS3_N6thrust23THRUST_200600_302600_NS6detail15normal_iteratorINS8_10device_ptrIxEEEESD_jNS1_19radix_merge_compareILb0ELb1ExNS0_19identity_decomposerEEEEE10hipError_tT0_T1_T2_jT3_P12ihipStream_tbPNSt15iterator_traitsISI_E10value_typeEPNSO_ISJ_E10value_typeEPSK_NS1_7vsmem_tEENKUlT_SI_SJ_SK_E_clIPxSD_S10_SD_EESH_SX_SI_SJ_SK_EUlSX_E_NS1_11comp_targetILNS1_3genE2ELNS1_11target_archE906ELNS1_3gpuE6ELNS1_3repE0EEENS1_48merge_mergepath_partition_config_static_selectorELNS0_4arch9wavefront6targetE1EEEvSJ_,"axG",@progbits,_ZN7rocprim17ROCPRIM_400000_NS6detail17trampoline_kernelINS0_14default_configENS1_38merge_sort_block_merge_config_selectorIxxEEZZNS1_27merge_sort_block_merge_implIS3_N6thrust23THRUST_200600_302600_NS6detail15normal_iteratorINS8_10device_ptrIxEEEESD_jNS1_19radix_merge_compareILb0ELb1ExNS0_19identity_decomposerEEEEE10hipError_tT0_T1_T2_jT3_P12ihipStream_tbPNSt15iterator_traitsISI_E10value_typeEPNSO_ISJ_E10value_typeEPSK_NS1_7vsmem_tEENKUlT_SI_SJ_SK_E_clIPxSD_S10_SD_EESH_SX_SI_SJ_SK_EUlSX_E_NS1_11comp_targetILNS1_3genE2ELNS1_11target_archE906ELNS1_3gpuE6ELNS1_3repE0EEENS1_48merge_mergepath_partition_config_static_selectorELNS0_4arch9wavefront6targetE1EEEvSJ_,comdat
	.protected	_ZN7rocprim17ROCPRIM_400000_NS6detail17trampoline_kernelINS0_14default_configENS1_38merge_sort_block_merge_config_selectorIxxEEZZNS1_27merge_sort_block_merge_implIS3_N6thrust23THRUST_200600_302600_NS6detail15normal_iteratorINS8_10device_ptrIxEEEESD_jNS1_19radix_merge_compareILb0ELb1ExNS0_19identity_decomposerEEEEE10hipError_tT0_T1_T2_jT3_P12ihipStream_tbPNSt15iterator_traitsISI_E10value_typeEPNSO_ISJ_E10value_typeEPSK_NS1_7vsmem_tEENKUlT_SI_SJ_SK_E_clIPxSD_S10_SD_EESH_SX_SI_SJ_SK_EUlSX_E_NS1_11comp_targetILNS1_3genE2ELNS1_11target_archE906ELNS1_3gpuE6ELNS1_3repE0EEENS1_48merge_mergepath_partition_config_static_selectorELNS0_4arch9wavefront6targetE1EEEvSJ_ ; -- Begin function _ZN7rocprim17ROCPRIM_400000_NS6detail17trampoline_kernelINS0_14default_configENS1_38merge_sort_block_merge_config_selectorIxxEEZZNS1_27merge_sort_block_merge_implIS3_N6thrust23THRUST_200600_302600_NS6detail15normal_iteratorINS8_10device_ptrIxEEEESD_jNS1_19radix_merge_compareILb0ELb1ExNS0_19identity_decomposerEEEEE10hipError_tT0_T1_T2_jT3_P12ihipStream_tbPNSt15iterator_traitsISI_E10value_typeEPNSO_ISJ_E10value_typeEPSK_NS1_7vsmem_tEENKUlT_SI_SJ_SK_E_clIPxSD_S10_SD_EESH_SX_SI_SJ_SK_EUlSX_E_NS1_11comp_targetILNS1_3genE2ELNS1_11target_archE906ELNS1_3gpuE6ELNS1_3repE0EEENS1_48merge_mergepath_partition_config_static_selectorELNS0_4arch9wavefront6targetE1EEEvSJ_
	.globl	_ZN7rocprim17ROCPRIM_400000_NS6detail17trampoline_kernelINS0_14default_configENS1_38merge_sort_block_merge_config_selectorIxxEEZZNS1_27merge_sort_block_merge_implIS3_N6thrust23THRUST_200600_302600_NS6detail15normal_iteratorINS8_10device_ptrIxEEEESD_jNS1_19radix_merge_compareILb0ELb1ExNS0_19identity_decomposerEEEEE10hipError_tT0_T1_T2_jT3_P12ihipStream_tbPNSt15iterator_traitsISI_E10value_typeEPNSO_ISJ_E10value_typeEPSK_NS1_7vsmem_tEENKUlT_SI_SJ_SK_E_clIPxSD_S10_SD_EESH_SX_SI_SJ_SK_EUlSX_E_NS1_11comp_targetILNS1_3genE2ELNS1_11target_archE906ELNS1_3gpuE6ELNS1_3repE0EEENS1_48merge_mergepath_partition_config_static_selectorELNS0_4arch9wavefront6targetE1EEEvSJ_
	.p2align	8
	.type	_ZN7rocprim17ROCPRIM_400000_NS6detail17trampoline_kernelINS0_14default_configENS1_38merge_sort_block_merge_config_selectorIxxEEZZNS1_27merge_sort_block_merge_implIS3_N6thrust23THRUST_200600_302600_NS6detail15normal_iteratorINS8_10device_ptrIxEEEESD_jNS1_19radix_merge_compareILb0ELb1ExNS0_19identity_decomposerEEEEE10hipError_tT0_T1_T2_jT3_P12ihipStream_tbPNSt15iterator_traitsISI_E10value_typeEPNSO_ISJ_E10value_typeEPSK_NS1_7vsmem_tEENKUlT_SI_SJ_SK_E_clIPxSD_S10_SD_EESH_SX_SI_SJ_SK_EUlSX_E_NS1_11comp_targetILNS1_3genE2ELNS1_11target_archE906ELNS1_3gpuE6ELNS1_3repE0EEENS1_48merge_mergepath_partition_config_static_selectorELNS0_4arch9wavefront6targetE1EEEvSJ_,@function
_ZN7rocprim17ROCPRIM_400000_NS6detail17trampoline_kernelINS0_14default_configENS1_38merge_sort_block_merge_config_selectorIxxEEZZNS1_27merge_sort_block_merge_implIS3_N6thrust23THRUST_200600_302600_NS6detail15normal_iteratorINS8_10device_ptrIxEEEESD_jNS1_19radix_merge_compareILb0ELb1ExNS0_19identity_decomposerEEEEE10hipError_tT0_T1_T2_jT3_P12ihipStream_tbPNSt15iterator_traitsISI_E10value_typeEPNSO_ISJ_E10value_typeEPSK_NS1_7vsmem_tEENKUlT_SI_SJ_SK_E_clIPxSD_S10_SD_EESH_SX_SI_SJ_SK_EUlSX_E_NS1_11comp_targetILNS1_3genE2ELNS1_11target_archE906ELNS1_3gpuE6ELNS1_3repE0EEENS1_48merge_mergepath_partition_config_static_selectorELNS0_4arch9wavefront6targetE1EEEvSJ_: ; @_ZN7rocprim17ROCPRIM_400000_NS6detail17trampoline_kernelINS0_14default_configENS1_38merge_sort_block_merge_config_selectorIxxEEZZNS1_27merge_sort_block_merge_implIS3_N6thrust23THRUST_200600_302600_NS6detail15normal_iteratorINS8_10device_ptrIxEEEESD_jNS1_19radix_merge_compareILb0ELb1ExNS0_19identity_decomposerEEEEE10hipError_tT0_T1_T2_jT3_P12ihipStream_tbPNSt15iterator_traitsISI_E10value_typeEPNSO_ISJ_E10value_typeEPSK_NS1_7vsmem_tEENKUlT_SI_SJ_SK_E_clIPxSD_S10_SD_EESH_SX_SI_SJ_SK_EUlSX_E_NS1_11comp_targetILNS1_3genE2ELNS1_11target_archE906ELNS1_3gpuE6ELNS1_3repE0EEENS1_48merge_mergepath_partition_config_static_selectorELNS0_4arch9wavefront6targetE1EEEvSJ_
; %bb.0:
	.section	.rodata,"a",@progbits
	.p2align	6, 0x0
	.amdhsa_kernel _ZN7rocprim17ROCPRIM_400000_NS6detail17trampoline_kernelINS0_14default_configENS1_38merge_sort_block_merge_config_selectorIxxEEZZNS1_27merge_sort_block_merge_implIS3_N6thrust23THRUST_200600_302600_NS6detail15normal_iteratorINS8_10device_ptrIxEEEESD_jNS1_19radix_merge_compareILb0ELb1ExNS0_19identity_decomposerEEEEE10hipError_tT0_T1_T2_jT3_P12ihipStream_tbPNSt15iterator_traitsISI_E10value_typeEPNSO_ISJ_E10value_typeEPSK_NS1_7vsmem_tEENKUlT_SI_SJ_SK_E_clIPxSD_S10_SD_EESH_SX_SI_SJ_SK_EUlSX_E_NS1_11comp_targetILNS1_3genE2ELNS1_11target_archE906ELNS1_3gpuE6ELNS1_3repE0EEENS1_48merge_mergepath_partition_config_static_selectorELNS0_4arch9wavefront6targetE1EEEvSJ_
		.amdhsa_group_segment_fixed_size 0
		.amdhsa_private_segment_fixed_size 0
		.amdhsa_kernarg_size 40
		.amdhsa_user_sgpr_count 2
		.amdhsa_user_sgpr_dispatch_ptr 0
		.amdhsa_user_sgpr_queue_ptr 0
		.amdhsa_user_sgpr_kernarg_segment_ptr 1
		.amdhsa_user_sgpr_dispatch_id 0
		.amdhsa_user_sgpr_kernarg_preload_length 0
		.amdhsa_user_sgpr_kernarg_preload_offset 0
		.amdhsa_user_sgpr_private_segment_size 0
		.amdhsa_uses_dynamic_stack 0
		.amdhsa_enable_private_segment 0
		.amdhsa_system_sgpr_workgroup_id_x 1
		.amdhsa_system_sgpr_workgroup_id_y 0
		.amdhsa_system_sgpr_workgroup_id_z 0
		.amdhsa_system_sgpr_workgroup_info 0
		.amdhsa_system_vgpr_workitem_id 0
		.amdhsa_next_free_vgpr 1
		.amdhsa_next_free_sgpr 0
		.amdhsa_accum_offset 4
		.amdhsa_reserve_vcc 0
		.amdhsa_float_round_mode_32 0
		.amdhsa_float_round_mode_16_64 0
		.amdhsa_float_denorm_mode_32 3
		.amdhsa_float_denorm_mode_16_64 3
		.amdhsa_dx10_clamp 1
		.amdhsa_ieee_mode 1
		.amdhsa_fp16_overflow 0
		.amdhsa_tg_split 0
		.amdhsa_exception_fp_ieee_invalid_op 0
		.amdhsa_exception_fp_denorm_src 0
		.amdhsa_exception_fp_ieee_div_zero 0
		.amdhsa_exception_fp_ieee_overflow 0
		.amdhsa_exception_fp_ieee_underflow 0
		.amdhsa_exception_fp_ieee_inexact 0
		.amdhsa_exception_int_div_zero 0
	.end_amdhsa_kernel
	.section	.text._ZN7rocprim17ROCPRIM_400000_NS6detail17trampoline_kernelINS0_14default_configENS1_38merge_sort_block_merge_config_selectorIxxEEZZNS1_27merge_sort_block_merge_implIS3_N6thrust23THRUST_200600_302600_NS6detail15normal_iteratorINS8_10device_ptrIxEEEESD_jNS1_19radix_merge_compareILb0ELb1ExNS0_19identity_decomposerEEEEE10hipError_tT0_T1_T2_jT3_P12ihipStream_tbPNSt15iterator_traitsISI_E10value_typeEPNSO_ISJ_E10value_typeEPSK_NS1_7vsmem_tEENKUlT_SI_SJ_SK_E_clIPxSD_S10_SD_EESH_SX_SI_SJ_SK_EUlSX_E_NS1_11comp_targetILNS1_3genE2ELNS1_11target_archE906ELNS1_3gpuE6ELNS1_3repE0EEENS1_48merge_mergepath_partition_config_static_selectorELNS0_4arch9wavefront6targetE1EEEvSJ_,"axG",@progbits,_ZN7rocprim17ROCPRIM_400000_NS6detail17trampoline_kernelINS0_14default_configENS1_38merge_sort_block_merge_config_selectorIxxEEZZNS1_27merge_sort_block_merge_implIS3_N6thrust23THRUST_200600_302600_NS6detail15normal_iteratorINS8_10device_ptrIxEEEESD_jNS1_19radix_merge_compareILb0ELb1ExNS0_19identity_decomposerEEEEE10hipError_tT0_T1_T2_jT3_P12ihipStream_tbPNSt15iterator_traitsISI_E10value_typeEPNSO_ISJ_E10value_typeEPSK_NS1_7vsmem_tEENKUlT_SI_SJ_SK_E_clIPxSD_S10_SD_EESH_SX_SI_SJ_SK_EUlSX_E_NS1_11comp_targetILNS1_3genE2ELNS1_11target_archE906ELNS1_3gpuE6ELNS1_3repE0EEENS1_48merge_mergepath_partition_config_static_selectorELNS0_4arch9wavefront6targetE1EEEvSJ_,comdat
.Lfunc_end1127:
	.size	_ZN7rocprim17ROCPRIM_400000_NS6detail17trampoline_kernelINS0_14default_configENS1_38merge_sort_block_merge_config_selectorIxxEEZZNS1_27merge_sort_block_merge_implIS3_N6thrust23THRUST_200600_302600_NS6detail15normal_iteratorINS8_10device_ptrIxEEEESD_jNS1_19radix_merge_compareILb0ELb1ExNS0_19identity_decomposerEEEEE10hipError_tT0_T1_T2_jT3_P12ihipStream_tbPNSt15iterator_traitsISI_E10value_typeEPNSO_ISJ_E10value_typeEPSK_NS1_7vsmem_tEENKUlT_SI_SJ_SK_E_clIPxSD_S10_SD_EESH_SX_SI_SJ_SK_EUlSX_E_NS1_11comp_targetILNS1_3genE2ELNS1_11target_archE906ELNS1_3gpuE6ELNS1_3repE0EEENS1_48merge_mergepath_partition_config_static_selectorELNS0_4arch9wavefront6targetE1EEEvSJ_, .Lfunc_end1127-_ZN7rocprim17ROCPRIM_400000_NS6detail17trampoline_kernelINS0_14default_configENS1_38merge_sort_block_merge_config_selectorIxxEEZZNS1_27merge_sort_block_merge_implIS3_N6thrust23THRUST_200600_302600_NS6detail15normal_iteratorINS8_10device_ptrIxEEEESD_jNS1_19radix_merge_compareILb0ELb1ExNS0_19identity_decomposerEEEEE10hipError_tT0_T1_T2_jT3_P12ihipStream_tbPNSt15iterator_traitsISI_E10value_typeEPNSO_ISJ_E10value_typeEPSK_NS1_7vsmem_tEENKUlT_SI_SJ_SK_E_clIPxSD_S10_SD_EESH_SX_SI_SJ_SK_EUlSX_E_NS1_11comp_targetILNS1_3genE2ELNS1_11target_archE906ELNS1_3gpuE6ELNS1_3repE0EEENS1_48merge_mergepath_partition_config_static_selectorELNS0_4arch9wavefront6targetE1EEEvSJ_
                                        ; -- End function
	.set _ZN7rocprim17ROCPRIM_400000_NS6detail17trampoline_kernelINS0_14default_configENS1_38merge_sort_block_merge_config_selectorIxxEEZZNS1_27merge_sort_block_merge_implIS3_N6thrust23THRUST_200600_302600_NS6detail15normal_iteratorINS8_10device_ptrIxEEEESD_jNS1_19radix_merge_compareILb0ELb1ExNS0_19identity_decomposerEEEEE10hipError_tT0_T1_T2_jT3_P12ihipStream_tbPNSt15iterator_traitsISI_E10value_typeEPNSO_ISJ_E10value_typeEPSK_NS1_7vsmem_tEENKUlT_SI_SJ_SK_E_clIPxSD_S10_SD_EESH_SX_SI_SJ_SK_EUlSX_E_NS1_11comp_targetILNS1_3genE2ELNS1_11target_archE906ELNS1_3gpuE6ELNS1_3repE0EEENS1_48merge_mergepath_partition_config_static_selectorELNS0_4arch9wavefront6targetE1EEEvSJ_.num_vgpr, 0
	.set _ZN7rocprim17ROCPRIM_400000_NS6detail17trampoline_kernelINS0_14default_configENS1_38merge_sort_block_merge_config_selectorIxxEEZZNS1_27merge_sort_block_merge_implIS3_N6thrust23THRUST_200600_302600_NS6detail15normal_iteratorINS8_10device_ptrIxEEEESD_jNS1_19radix_merge_compareILb0ELb1ExNS0_19identity_decomposerEEEEE10hipError_tT0_T1_T2_jT3_P12ihipStream_tbPNSt15iterator_traitsISI_E10value_typeEPNSO_ISJ_E10value_typeEPSK_NS1_7vsmem_tEENKUlT_SI_SJ_SK_E_clIPxSD_S10_SD_EESH_SX_SI_SJ_SK_EUlSX_E_NS1_11comp_targetILNS1_3genE2ELNS1_11target_archE906ELNS1_3gpuE6ELNS1_3repE0EEENS1_48merge_mergepath_partition_config_static_selectorELNS0_4arch9wavefront6targetE1EEEvSJ_.num_agpr, 0
	.set _ZN7rocprim17ROCPRIM_400000_NS6detail17trampoline_kernelINS0_14default_configENS1_38merge_sort_block_merge_config_selectorIxxEEZZNS1_27merge_sort_block_merge_implIS3_N6thrust23THRUST_200600_302600_NS6detail15normal_iteratorINS8_10device_ptrIxEEEESD_jNS1_19radix_merge_compareILb0ELb1ExNS0_19identity_decomposerEEEEE10hipError_tT0_T1_T2_jT3_P12ihipStream_tbPNSt15iterator_traitsISI_E10value_typeEPNSO_ISJ_E10value_typeEPSK_NS1_7vsmem_tEENKUlT_SI_SJ_SK_E_clIPxSD_S10_SD_EESH_SX_SI_SJ_SK_EUlSX_E_NS1_11comp_targetILNS1_3genE2ELNS1_11target_archE906ELNS1_3gpuE6ELNS1_3repE0EEENS1_48merge_mergepath_partition_config_static_selectorELNS0_4arch9wavefront6targetE1EEEvSJ_.numbered_sgpr, 0
	.set _ZN7rocprim17ROCPRIM_400000_NS6detail17trampoline_kernelINS0_14default_configENS1_38merge_sort_block_merge_config_selectorIxxEEZZNS1_27merge_sort_block_merge_implIS3_N6thrust23THRUST_200600_302600_NS6detail15normal_iteratorINS8_10device_ptrIxEEEESD_jNS1_19radix_merge_compareILb0ELb1ExNS0_19identity_decomposerEEEEE10hipError_tT0_T1_T2_jT3_P12ihipStream_tbPNSt15iterator_traitsISI_E10value_typeEPNSO_ISJ_E10value_typeEPSK_NS1_7vsmem_tEENKUlT_SI_SJ_SK_E_clIPxSD_S10_SD_EESH_SX_SI_SJ_SK_EUlSX_E_NS1_11comp_targetILNS1_3genE2ELNS1_11target_archE906ELNS1_3gpuE6ELNS1_3repE0EEENS1_48merge_mergepath_partition_config_static_selectorELNS0_4arch9wavefront6targetE1EEEvSJ_.num_named_barrier, 0
	.set _ZN7rocprim17ROCPRIM_400000_NS6detail17trampoline_kernelINS0_14default_configENS1_38merge_sort_block_merge_config_selectorIxxEEZZNS1_27merge_sort_block_merge_implIS3_N6thrust23THRUST_200600_302600_NS6detail15normal_iteratorINS8_10device_ptrIxEEEESD_jNS1_19radix_merge_compareILb0ELb1ExNS0_19identity_decomposerEEEEE10hipError_tT0_T1_T2_jT3_P12ihipStream_tbPNSt15iterator_traitsISI_E10value_typeEPNSO_ISJ_E10value_typeEPSK_NS1_7vsmem_tEENKUlT_SI_SJ_SK_E_clIPxSD_S10_SD_EESH_SX_SI_SJ_SK_EUlSX_E_NS1_11comp_targetILNS1_3genE2ELNS1_11target_archE906ELNS1_3gpuE6ELNS1_3repE0EEENS1_48merge_mergepath_partition_config_static_selectorELNS0_4arch9wavefront6targetE1EEEvSJ_.private_seg_size, 0
	.set _ZN7rocprim17ROCPRIM_400000_NS6detail17trampoline_kernelINS0_14default_configENS1_38merge_sort_block_merge_config_selectorIxxEEZZNS1_27merge_sort_block_merge_implIS3_N6thrust23THRUST_200600_302600_NS6detail15normal_iteratorINS8_10device_ptrIxEEEESD_jNS1_19radix_merge_compareILb0ELb1ExNS0_19identity_decomposerEEEEE10hipError_tT0_T1_T2_jT3_P12ihipStream_tbPNSt15iterator_traitsISI_E10value_typeEPNSO_ISJ_E10value_typeEPSK_NS1_7vsmem_tEENKUlT_SI_SJ_SK_E_clIPxSD_S10_SD_EESH_SX_SI_SJ_SK_EUlSX_E_NS1_11comp_targetILNS1_3genE2ELNS1_11target_archE906ELNS1_3gpuE6ELNS1_3repE0EEENS1_48merge_mergepath_partition_config_static_selectorELNS0_4arch9wavefront6targetE1EEEvSJ_.uses_vcc, 0
	.set _ZN7rocprim17ROCPRIM_400000_NS6detail17trampoline_kernelINS0_14default_configENS1_38merge_sort_block_merge_config_selectorIxxEEZZNS1_27merge_sort_block_merge_implIS3_N6thrust23THRUST_200600_302600_NS6detail15normal_iteratorINS8_10device_ptrIxEEEESD_jNS1_19radix_merge_compareILb0ELb1ExNS0_19identity_decomposerEEEEE10hipError_tT0_T1_T2_jT3_P12ihipStream_tbPNSt15iterator_traitsISI_E10value_typeEPNSO_ISJ_E10value_typeEPSK_NS1_7vsmem_tEENKUlT_SI_SJ_SK_E_clIPxSD_S10_SD_EESH_SX_SI_SJ_SK_EUlSX_E_NS1_11comp_targetILNS1_3genE2ELNS1_11target_archE906ELNS1_3gpuE6ELNS1_3repE0EEENS1_48merge_mergepath_partition_config_static_selectorELNS0_4arch9wavefront6targetE1EEEvSJ_.uses_flat_scratch, 0
	.set _ZN7rocprim17ROCPRIM_400000_NS6detail17trampoline_kernelINS0_14default_configENS1_38merge_sort_block_merge_config_selectorIxxEEZZNS1_27merge_sort_block_merge_implIS3_N6thrust23THRUST_200600_302600_NS6detail15normal_iteratorINS8_10device_ptrIxEEEESD_jNS1_19radix_merge_compareILb0ELb1ExNS0_19identity_decomposerEEEEE10hipError_tT0_T1_T2_jT3_P12ihipStream_tbPNSt15iterator_traitsISI_E10value_typeEPNSO_ISJ_E10value_typeEPSK_NS1_7vsmem_tEENKUlT_SI_SJ_SK_E_clIPxSD_S10_SD_EESH_SX_SI_SJ_SK_EUlSX_E_NS1_11comp_targetILNS1_3genE2ELNS1_11target_archE906ELNS1_3gpuE6ELNS1_3repE0EEENS1_48merge_mergepath_partition_config_static_selectorELNS0_4arch9wavefront6targetE1EEEvSJ_.has_dyn_sized_stack, 0
	.set _ZN7rocprim17ROCPRIM_400000_NS6detail17trampoline_kernelINS0_14default_configENS1_38merge_sort_block_merge_config_selectorIxxEEZZNS1_27merge_sort_block_merge_implIS3_N6thrust23THRUST_200600_302600_NS6detail15normal_iteratorINS8_10device_ptrIxEEEESD_jNS1_19radix_merge_compareILb0ELb1ExNS0_19identity_decomposerEEEEE10hipError_tT0_T1_T2_jT3_P12ihipStream_tbPNSt15iterator_traitsISI_E10value_typeEPNSO_ISJ_E10value_typeEPSK_NS1_7vsmem_tEENKUlT_SI_SJ_SK_E_clIPxSD_S10_SD_EESH_SX_SI_SJ_SK_EUlSX_E_NS1_11comp_targetILNS1_3genE2ELNS1_11target_archE906ELNS1_3gpuE6ELNS1_3repE0EEENS1_48merge_mergepath_partition_config_static_selectorELNS0_4arch9wavefront6targetE1EEEvSJ_.has_recursion, 0
	.set _ZN7rocprim17ROCPRIM_400000_NS6detail17trampoline_kernelINS0_14default_configENS1_38merge_sort_block_merge_config_selectorIxxEEZZNS1_27merge_sort_block_merge_implIS3_N6thrust23THRUST_200600_302600_NS6detail15normal_iteratorINS8_10device_ptrIxEEEESD_jNS1_19radix_merge_compareILb0ELb1ExNS0_19identity_decomposerEEEEE10hipError_tT0_T1_T2_jT3_P12ihipStream_tbPNSt15iterator_traitsISI_E10value_typeEPNSO_ISJ_E10value_typeEPSK_NS1_7vsmem_tEENKUlT_SI_SJ_SK_E_clIPxSD_S10_SD_EESH_SX_SI_SJ_SK_EUlSX_E_NS1_11comp_targetILNS1_3genE2ELNS1_11target_archE906ELNS1_3gpuE6ELNS1_3repE0EEENS1_48merge_mergepath_partition_config_static_selectorELNS0_4arch9wavefront6targetE1EEEvSJ_.has_indirect_call, 0
	.section	.AMDGPU.csdata,"",@progbits
; Kernel info:
; codeLenInByte = 0
; TotalNumSgprs: 6
; NumVgprs: 0
; NumAgprs: 0
; TotalNumVgprs: 0
; ScratchSize: 0
; MemoryBound: 0
; FloatMode: 240
; IeeeMode: 1
; LDSByteSize: 0 bytes/workgroup (compile time only)
; SGPRBlocks: 0
; VGPRBlocks: 0
; NumSGPRsForWavesPerEU: 6
; NumVGPRsForWavesPerEU: 1
; AccumOffset: 4
; Occupancy: 8
; WaveLimiterHint : 0
; COMPUTE_PGM_RSRC2:SCRATCH_EN: 0
; COMPUTE_PGM_RSRC2:USER_SGPR: 2
; COMPUTE_PGM_RSRC2:TRAP_HANDLER: 0
; COMPUTE_PGM_RSRC2:TGID_X_EN: 1
; COMPUTE_PGM_RSRC2:TGID_Y_EN: 0
; COMPUTE_PGM_RSRC2:TGID_Z_EN: 0
; COMPUTE_PGM_RSRC2:TIDIG_COMP_CNT: 0
; COMPUTE_PGM_RSRC3_GFX90A:ACCUM_OFFSET: 0
; COMPUTE_PGM_RSRC3_GFX90A:TG_SPLIT: 0
	.section	.text._ZN7rocprim17ROCPRIM_400000_NS6detail17trampoline_kernelINS0_14default_configENS1_38merge_sort_block_merge_config_selectorIxxEEZZNS1_27merge_sort_block_merge_implIS3_N6thrust23THRUST_200600_302600_NS6detail15normal_iteratorINS8_10device_ptrIxEEEESD_jNS1_19radix_merge_compareILb0ELb1ExNS0_19identity_decomposerEEEEE10hipError_tT0_T1_T2_jT3_P12ihipStream_tbPNSt15iterator_traitsISI_E10value_typeEPNSO_ISJ_E10value_typeEPSK_NS1_7vsmem_tEENKUlT_SI_SJ_SK_E_clIPxSD_S10_SD_EESH_SX_SI_SJ_SK_EUlSX_E_NS1_11comp_targetILNS1_3genE9ELNS1_11target_archE1100ELNS1_3gpuE3ELNS1_3repE0EEENS1_48merge_mergepath_partition_config_static_selectorELNS0_4arch9wavefront6targetE1EEEvSJ_,"axG",@progbits,_ZN7rocprim17ROCPRIM_400000_NS6detail17trampoline_kernelINS0_14default_configENS1_38merge_sort_block_merge_config_selectorIxxEEZZNS1_27merge_sort_block_merge_implIS3_N6thrust23THRUST_200600_302600_NS6detail15normal_iteratorINS8_10device_ptrIxEEEESD_jNS1_19radix_merge_compareILb0ELb1ExNS0_19identity_decomposerEEEEE10hipError_tT0_T1_T2_jT3_P12ihipStream_tbPNSt15iterator_traitsISI_E10value_typeEPNSO_ISJ_E10value_typeEPSK_NS1_7vsmem_tEENKUlT_SI_SJ_SK_E_clIPxSD_S10_SD_EESH_SX_SI_SJ_SK_EUlSX_E_NS1_11comp_targetILNS1_3genE9ELNS1_11target_archE1100ELNS1_3gpuE3ELNS1_3repE0EEENS1_48merge_mergepath_partition_config_static_selectorELNS0_4arch9wavefront6targetE1EEEvSJ_,comdat
	.protected	_ZN7rocprim17ROCPRIM_400000_NS6detail17trampoline_kernelINS0_14default_configENS1_38merge_sort_block_merge_config_selectorIxxEEZZNS1_27merge_sort_block_merge_implIS3_N6thrust23THRUST_200600_302600_NS6detail15normal_iteratorINS8_10device_ptrIxEEEESD_jNS1_19radix_merge_compareILb0ELb1ExNS0_19identity_decomposerEEEEE10hipError_tT0_T1_T2_jT3_P12ihipStream_tbPNSt15iterator_traitsISI_E10value_typeEPNSO_ISJ_E10value_typeEPSK_NS1_7vsmem_tEENKUlT_SI_SJ_SK_E_clIPxSD_S10_SD_EESH_SX_SI_SJ_SK_EUlSX_E_NS1_11comp_targetILNS1_3genE9ELNS1_11target_archE1100ELNS1_3gpuE3ELNS1_3repE0EEENS1_48merge_mergepath_partition_config_static_selectorELNS0_4arch9wavefront6targetE1EEEvSJ_ ; -- Begin function _ZN7rocprim17ROCPRIM_400000_NS6detail17trampoline_kernelINS0_14default_configENS1_38merge_sort_block_merge_config_selectorIxxEEZZNS1_27merge_sort_block_merge_implIS3_N6thrust23THRUST_200600_302600_NS6detail15normal_iteratorINS8_10device_ptrIxEEEESD_jNS1_19radix_merge_compareILb0ELb1ExNS0_19identity_decomposerEEEEE10hipError_tT0_T1_T2_jT3_P12ihipStream_tbPNSt15iterator_traitsISI_E10value_typeEPNSO_ISJ_E10value_typeEPSK_NS1_7vsmem_tEENKUlT_SI_SJ_SK_E_clIPxSD_S10_SD_EESH_SX_SI_SJ_SK_EUlSX_E_NS1_11comp_targetILNS1_3genE9ELNS1_11target_archE1100ELNS1_3gpuE3ELNS1_3repE0EEENS1_48merge_mergepath_partition_config_static_selectorELNS0_4arch9wavefront6targetE1EEEvSJ_
	.globl	_ZN7rocprim17ROCPRIM_400000_NS6detail17trampoline_kernelINS0_14default_configENS1_38merge_sort_block_merge_config_selectorIxxEEZZNS1_27merge_sort_block_merge_implIS3_N6thrust23THRUST_200600_302600_NS6detail15normal_iteratorINS8_10device_ptrIxEEEESD_jNS1_19radix_merge_compareILb0ELb1ExNS0_19identity_decomposerEEEEE10hipError_tT0_T1_T2_jT3_P12ihipStream_tbPNSt15iterator_traitsISI_E10value_typeEPNSO_ISJ_E10value_typeEPSK_NS1_7vsmem_tEENKUlT_SI_SJ_SK_E_clIPxSD_S10_SD_EESH_SX_SI_SJ_SK_EUlSX_E_NS1_11comp_targetILNS1_3genE9ELNS1_11target_archE1100ELNS1_3gpuE3ELNS1_3repE0EEENS1_48merge_mergepath_partition_config_static_selectorELNS0_4arch9wavefront6targetE1EEEvSJ_
	.p2align	8
	.type	_ZN7rocprim17ROCPRIM_400000_NS6detail17trampoline_kernelINS0_14default_configENS1_38merge_sort_block_merge_config_selectorIxxEEZZNS1_27merge_sort_block_merge_implIS3_N6thrust23THRUST_200600_302600_NS6detail15normal_iteratorINS8_10device_ptrIxEEEESD_jNS1_19radix_merge_compareILb0ELb1ExNS0_19identity_decomposerEEEEE10hipError_tT0_T1_T2_jT3_P12ihipStream_tbPNSt15iterator_traitsISI_E10value_typeEPNSO_ISJ_E10value_typeEPSK_NS1_7vsmem_tEENKUlT_SI_SJ_SK_E_clIPxSD_S10_SD_EESH_SX_SI_SJ_SK_EUlSX_E_NS1_11comp_targetILNS1_3genE9ELNS1_11target_archE1100ELNS1_3gpuE3ELNS1_3repE0EEENS1_48merge_mergepath_partition_config_static_selectorELNS0_4arch9wavefront6targetE1EEEvSJ_,@function
_ZN7rocprim17ROCPRIM_400000_NS6detail17trampoline_kernelINS0_14default_configENS1_38merge_sort_block_merge_config_selectorIxxEEZZNS1_27merge_sort_block_merge_implIS3_N6thrust23THRUST_200600_302600_NS6detail15normal_iteratorINS8_10device_ptrIxEEEESD_jNS1_19radix_merge_compareILb0ELb1ExNS0_19identity_decomposerEEEEE10hipError_tT0_T1_T2_jT3_P12ihipStream_tbPNSt15iterator_traitsISI_E10value_typeEPNSO_ISJ_E10value_typeEPSK_NS1_7vsmem_tEENKUlT_SI_SJ_SK_E_clIPxSD_S10_SD_EESH_SX_SI_SJ_SK_EUlSX_E_NS1_11comp_targetILNS1_3genE9ELNS1_11target_archE1100ELNS1_3gpuE3ELNS1_3repE0EEENS1_48merge_mergepath_partition_config_static_selectorELNS0_4arch9wavefront6targetE1EEEvSJ_: ; @_ZN7rocprim17ROCPRIM_400000_NS6detail17trampoline_kernelINS0_14default_configENS1_38merge_sort_block_merge_config_selectorIxxEEZZNS1_27merge_sort_block_merge_implIS3_N6thrust23THRUST_200600_302600_NS6detail15normal_iteratorINS8_10device_ptrIxEEEESD_jNS1_19radix_merge_compareILb0ELb1ExNS0_19identity_decomposerEEEEE10hipError_tT0_T1_T2_jT3_P12ihipStream_tbPNSt15iterator_traitsISI_E10value_typeEPNSO_ISJ_E10value_typeEPSK_NS1_7vsmem_tEENKUlT_SI_SJ_SK_E_clIPxSD_S10_SD_EESH_SX_SI_SJ_SK_EUlSX_E_NS1_11comp_targetILNS1_3genE9ELNS1_11target_archE1100ELNS1_3gpuE3ELNS1_3repE0EEENS1_48merge_mergepath_partition_config_static_selectorELNS0_4arch9wavefront6targetE1EEEvSJ_
; %bb.0:
	.section	.rodata,"a",@progbits
	.p2align	6, 0x0
	.amdhsa_kernel _ZN7rocprim17ROCPRIM_400000_NS6detail17trampoline_kernelINS0_14default_configENS1_38merge_sort_block_merge_config_selectorIxxEEZZNS1_27merge_sort_block_merge_implIS3_N6thrust23THRUST_200600_302600_NS6detail15normal_iteratorINS8_10device_ptrIxEEEESD_jNS1_19radix_merge_compareILb0ELb1ExNS0_19identity_decomposerEEEEE10hipError_tT0_T1_T2_jT3_P12ihipStream_tbPNSt15iterator_traitsISI_E10value_typeEPNSO_ISJ_E10value_typeEPSK_NS1_7vsmem_tEENKUlT_SI_SJ_SK_E_clIPxSD_S10_SD_EESH_SX_SI_SJ_SK_EUlSX_E_NS1_11comp_targetILNS1_3genE9ELNS1_11target_archE1100ELNS1_3gpuE3ELNS1_3repE0EEENS1_48merge_mergepath_partition_config_static_selectorELNS0_4arch9wavefront6targetE1EEEvSJ_
		.amdhsa_group_segment_fixed_size 0
		.amdhsa_private_segment_fixed_size 0
		.amdhsa_kernarg_size 40
		.amdhsa_user_sgpr_count 2
		.amdhsa_user_sgpr_dispatch_ptr 0
		.amdhsa_user_sgpr_queue_ptr 0
		.amdhsa_user_sgpr_kernarg_segment_ptr 1
		.amdhsa_user_sgpr_dispatch_id 0
		.amdhsa_user_sgpr_kernarg_preload_length 0
		.amdhsa_user_sgpr_kernarg_preload_offset 0
		.amdhsa_user_sgpr_private_segment_size 0
		.amdhsa_uses_dynamic_stack 0
		.amdhsa_enable_private_segment 0
		.amdhsa_system_sgpr_workgroup_id_x 1
		.amdhsa_system_sgpr_workgroup_id_y 0
		.amdhsa_system_sgpr_workgroup_id_z 0
		.amdhsa_system_sgpr_workgroup_info 0
		.amdhsa_system_vgpr_workitem_id 0
		.amdhsa_next_free_vgpr 1
		.amdhsa_next_free_sgpr 0
		.amdhsa_accum_offset 4
		.amdhsa_reserve_vcc 0
		.amdhsa_float_round_mode_32 0
		.amdhsa_float_round_mode_16_64 0
		.amdhsa_float_denorm_mode_32 3
		.amdhsa_float_denorm_mode_16_64 3
		.amdhsa_dx10_clamp 1
		.amdhsa_ieee_mode 1
		.amdhsa_fp16_overflow 0
		.amdhsa_tg_split 0
		.amdhsa_exception_fp_ieee_invalid_op 0
		.amdhsa_exception_fp_denorm_src 0
		.amdhsa_exception_fp_ieee_div_zero 0
		.amdhsa_exception_fp_ieee_overflow 0
		.amdhsa_exception_fp_ieee_underflow 0
		.amdhsa_exception_fp_ieee_inexact 0
		.amdhsa_exception_int_div_zero 0
	.end_amdhsa_kernel
	.section	.text._ZN7rocprim17ROCPRIM_400000_NS6detail17trampoline_kernelINS0_14default_configENS1_38merge_sort_block_merge_config_selectorIxxEEZZNS1_27merge_sort_block_merge_implIS3_N6thrust23THRUST_200600_302600_NS6detail15normal_iteratorINS8_10device_ptrIxEEEESD_jNS1_19radix_merge_compareILb0ELb1ExNS0_19identity_decomposerEEEEE10hipError_tT0_T1_T2_jT3_P12ihipStream_tbPNSt15iterator_traitsISI_E10value_typeEPNSO_ISJ_E10value_typeEPSK_NS1_7vsmem_tEENKUlT_SI_SJ_SK_E_clIPxSD_S10_SD_EESH_SX_SI_SJ_SK_EUlSX_E_NS1_11comp_targetILNS1_3genE9ELNS1_11target_archE1100ELNS1_3gpuE3ELNS1_3repE0EEENS1_48merge_mergepath_partition_config_static_selectorELNS0_4arch9wavefront6targetE1EEEvSJ_,"axG",@progbits,_ZN7rocprim17ROCPRIM_400000_NS6detail17trampoline_kernelINS0_14default_configENS1_38merge_sort_block_merge_config_selectorIxxEEZZNS1_27merge_sort_block_merge_implIS3_N6thrust23THRUST_200600_302600_NS6detail15normal_iteratorINS8_10device_ptrIxEEEESD_jNS1_19radix_merge_compareILb0ELb1ExNS0_19identity_decomposerEEEEE10hipError_tT0_T1_T2_jT3_P12ihipStream_tbPNSt15iterator_traitsISI_E10value_typeEPNSO_ISJ_E10value_typeEPSK_NS1_7vsmem_tEENKUlT_SI_SJ_SK_E_clIPxSD_S10_SD_EESH_SX_SI_SJ_SK_EUlSX_E_NS1_11comp_targetILNS1_3genE9ELNS1_11target_archE1100ELNS1_3gpuE3ELNS1_3repE0EEENS1_48merge_mergepath_partition_config_static_selectorELNS0_4arch9wavefront6targetE1EEEvSJ_,comdat
.Lfunc_end1128:
	.size	_ZN7rocprim17ROCPRIM_400000_NS6detail17trampoline_kernelINS0_14default_configENS1_38merge_sort_block_merge_config_selectorIxxEEZZNS1_27merge_sort_block_merge_implIS3_N6thrust23THRUST_200600_302600_NS6detail15normal_iteratorINS8_10device_ptrIxEEEESD_jNS1_19radix_merge_compareILb0ELb1ExNS0_19identity_decomposerEEEEE10hipError_tT0_T1_T2_jT3_P12ihipStream_tbPNSt15iterator_traitsISI_E10value_typeEPNSO_ISJ_E10value_typeEPSK_NS1_7vsmem_tEENKUlT_SI_SJ_SK_E_clIPxSD_S10_SD_EESH_SX_SI_SJ_SK_EUlSX_E_NS1_11comp_targetILNS1_3genE9ELNS1_11target_archE1100ELNS1_3gpuE3ELNS1_3repE0EEENS1_48merge_mergepath_partition_config_static_selectorELNS0_4arch9wavefront6targetE1EEEvSJ_, .Lfunc_end1128-_ZN7rocprim17ROCPRIM_400000_NS6detail17trampoline_kernelINS0_14default_configENS1_38merge_sort_block_merge_config_selectorIxxEEZZNS1_27merge_sort_block_merge_implIS3_N6thrust23THRUST_200600_302600_NS6detail15normal_iteratorINS8_10device_ptrIxEEEESD_jNS1_19radix_merge_compareILb0ELb1ExNS0_19identity_decomposerEEEEE10hipError_tT0_T1_T2_jT3_P12ihipStream_tbPNSt15iterator_traitsISI_E10value_typeEPNSO_ISJ_E10value_typeEPSK_NS1_7vsmem_tEENKUlT_SI_SJ_SK_E_clIPxSD_S10_SD_EESH_SX_SI_SJ_SK_EUlSX_E_NS1_11comp_targetILNS1_3genE9ELNS1_11target_archE1100ELNS1_3gpuE3ELNS1_3repE0EEENS1_48merge_mergepath_partition_config_static_selectorELNS0_4arch9wavefront6targetE1EEEvSJ_
                                        ; -- End function
	.set _ZN7rocprim17ROCPRIM_400000_NS6detail17trampoline_kernelINS0_14default_configENS1_38merge_sort_block_merge_config_selectorIxxEEZZNS1_27merge_sort_block_merge_implIS3_N6thrust23THRUST_200600_302600_NS6detail15normal_iteratorINS8_10device_ptrIxEEEESD_jNS1_19radix_merge_compareILb0ELb1ExNS0_19identity_decomposerEEEEE10hipError_tT0_T1_T2_jT3_P12ihipStream_tbPNSt15iterator_traitsISI_E10value_typeEPNSO_ISJ_E10value_typeEPSK_NS1_7vsmem_tEENKUlT_SI_SJ_SK_E_clIPxSD_S10_SD_EESH_SX_SI_SJ_SK_EUlSX_E_NS1_11comp_targetILNS1_3genE9ELNS1_11target_archE1100ELNS1_3gpuE3ELNS1_3repE0EEENS1_48merge_mergepath_partition_config_static_selectorELNS0_4arch9wavefront6targetE1EEEvSJ_.num_vgpr, 0
	.set _ZN7rocprim17ROCPRIM_400000_NS6detail17trampoline_kernelINS0_14default_configENS1_38merge_sort_block_merge_config_selectorIxxEEZZNS1_27merge_sort_block_merge_implIS3_N6thrust23THRUST_200600_302600_NS6detail15normal_iteratorINS8_10device_ptrIxEEEESD_jNS1_19radix_merge_compareILb0ELb1ExNS0_19identity_decomposerEEEEE10hipError_tT0_T1_T2_jT3_P12ihipStream_tbPNSt15iterator_traitsISI_E10value_typeEPNSO_ISJ_E10value_typeEPSK_NS1_7vsmem_tEENKUlT_SI_SJ_SK_E_clIPxSD_S10_SD_EESH_SX_SI_SJ_SK_EUlSX_E_NS1_11comp_targetILNS1_3genE9ELNS1_11target_archE1100ELNS1_3gpuE3ELNS1_3repE0EEENS1_48merge_mergepath_partition_config_static_selectorELNS0_4arch9wavefront6targetE1EEEvSJ_.num_agpr, 0
	.set _ZN7rocprim17ROCPRIM_400000_NS6detail17trampoline_kernelINS0_14default_configENS1_38merge_sort_block_merge_config_selectorIxxEEZZNS1_27merge_sort_block_merge_implIS3_N6thrust23THRUST_200600_302600_NS6detail15normal_iteratorINS8_10device_ptrIxEEEESD_jNS1_19radix_merge_compareILb0ELb1ExNS0_19identity_decomposerEEEEE10hipError_tT0_T1_T2_jT3_P12ihipStream_tbPNSt15iterator_traitsISI_E10value_typeEPNSO_ISJ_E10value_typeEPSK_NS1_7vsmem_tEENKUlT_SI_SJ_SK_E_clIPxSD_S10_SD_EESH_SX_SI_SJ_SK_EUlSX_E_NS1_11comp_targetILNS1_3genE9ELNS1_11target_archE1100ELNS1_3gpuE3ELNS1_3repE0EEENS1_48merge_mergepath_partition_config_static_selectorELNS0_4arch9wavefront6targetE1EEEvSJ_.numbered_sgpr, 0
	.set _ZN7rocprim17ROCPRIM_400000_NS6detail17trampoline_kernelINS0_14default_configENS1_38merge_sort_block_merge_config_selectorIxxEEZZNS1_27merge_sort_block_merge_implIS3_N6thrust23THRUST_200600_302600_NS6detail15normal_iteratorINS8_10device_ptrIxEEEESD_jNS1_19radix_merge_compareILb0ELb1ExNS0_19identity_decomposerEEEEE10hipError_tT0_T1_T2_jT3_P12ihipStream_tbPNSt15iterator_traitsISI_E10value_typeEPNSO_ISJ_E10value_typeEPSK_NS1_7vsmem_tEENKUlT_SI_SJ_SK_E_clIPxSD_S10_SD_EESH_SX_SI_SJ_SK_EUlSX_E_NS1_11comp_targetILNS1_3genE9ELNS1_11target_archE1100ELNS1_3gpuE3ELNS1_3repE0EEENS1_48merge_mergepath_partition_config_static_selectorELNS0_4arch9wavefront6targetE1EEEvSJ_.num_named_barrier, 0
	.set _ZN7rocprim17ROCPRIM_400000_NS6detail17trampoline_kernelINS0_14default_configENS1_38merge_sort_block_merge_config_selectorIxxEEZZNS1_27merge_sort_block_merge_implIS3_N6thrust23THRUST_200600_302600_NS6detail15normal_iteratorINS8_10device_ptrIxEEEESD_jNS1_19radix_merge_compareILb0ELb1ExNS0_19identity_decomposerEEEEE10hipError_tT0_T1_T2_jT3_P12ihipStream_tbPNSt15iterator_traitsISI_E10value_typeEPNSO_ISJ_E10value_typeEPSK_NS1_7vsmem_tEENKUlT_SI_SJ_SK_E_clIPxSD_S10_SD_EESH_SX_SI_SJ_SK_EUlSX_E_NS1_11comp_targetILNS1_3genE9ELNS1_11target_archE1100ELNS1_3gpuE3ELNS1_3repE0EEENS1_48merge_mergepath_partition_config_static_selectorELNS0_4arch9wavefront6targetE1EEEvSJ_.private_seg_size, 0
	.set _ZN7rocprim17ROCPRIM_400000_NS6detail17trampoline_kernelINS0_14default_configENS1_38merge_sort_block_merge_config_selectorIxxEEZZNS1_27merge_sort_block_merge_implIS3_N6thrust23THRUST_200600_302600_NS6detail15normal_iteratorINS8_10device_ptrIxEEEESD_jNS1_19radix_merge_compareILb0ELb1ExNS0_19identity_decomposerEEEEE10hipError_tT0_T1_T2_jT3_P12ihipStream_tbPNSt15iterator_traitsISI_E10value_typeEPNSO_ISJ_E10value_typeEPSK_NS1_7vsmem_tEENKUlT_SI_SJ_SK_E_clIPxSD_S10_SD_EESH_SX_SI_SJ_SK_EUlSX_E_NS1_11comp_targetILNS1_3genE9ELNS1_11target_archE1100ELNS1_3gpuE3ELNS1_3repE0EEENS1_48merge_mergepath_partition_config_static_selectorELNS0_4arch9wavefront6targetE1EEEvSJ_.uses_vcc, 0
	.set _ZN7rocprim17ROCPRIM_400000_NS6detail17trampoline_kernelINS0_14default_configENS1_38merge_sort_block_merge_config_selectorIxxEEZZNS1_27merge_sort_block_merge_implIS3_N6thrust23THRUST_200600_302600_NS6detail15normal_iteratorINS8_10device_ptrIxEEEESD_jNS1_19radix_merge_compareILb0ELb1ExNS0_19identity_decomposerEEEEE10hipError_tT0_T1_T2_jT3_P12ihipStream_tbPNSt15iterator_traitsISI_E10value_typeEPNSO_ISJ_E10value_typeEPSK_NS1_7vsmem_tEENKUlT_SI_SJ_SK_E_clIPxSD_S10_SD_EESH_SX_SI_SJ_SK_EUlSX_E_NS1_11comp_targetILNS1_3genE9ELNS1_11target_archE1100ELNS1_3gpuE3ELNS1_3repE0EEENS1_48merge_mergepath_partition_config_static_selectorELNS0_4arch9wavefront6targetE1EEEvSJ_.uses_flat_scratch, 0
	.set _ZN7rocprim17ROCPRIM_400000_NS6detail17trampoline_kernelINS0_14default_configENS1_38merge_sort_block_merge_config_selectorIxxEEZZNS1_27merge_sort_block_merge_implIS3_N6thrust23THRUST_200600_302600_NS6detail15normal_iteratorINS8_10device_ptrIxEEEESD_jNS1_19radix_merge_compareILb0ELb1ExNS0_19identity_decomposerEEEEE10hipError_tT0_T1_T2_jT3_P12ihipStream_tbPNSt15iterator_traitsISI_E10value_typeEPNSO_ISJ_E10value_typeEPSK_NS1_7vsmem_tEENKUlT_SI_SJ_SK_E_clIPxSD_S10_SD_EESH_SX_SI_SJ_SK_EUlSX_E_NS1_11comp_targetILNS1_3genE9ELNS1_11target_archE1100ELNS1_3gpuE3ELNS1_3repE0EEENS1_48merge_mergepath_partition_config_static_selectorELNS0_4arch9wavefront6targetE1EEEvSJ_.has_dyn_sized_stack, 0
	.set _ZN7rocprim17ROCPRIM_400000_NS6detail17trampoline_kernelINS0_14default_configENS1_38merge_sort_block_merge_config_selectorIxxEEZZNS1_27merge_sort_block_merge_implIS3_N6thrust23THRUST_200600_302600_NS6detail15normal_iteratorINS8_10device_ptrIxEEEESD_jNS1_19radix_merge_compareILb0ELb1ExNS0_19identity_decomposerEEEEE10hipError_tT0_T1_T2_jT3_P12ihipStream_tbPNSt15iterator_traitsISI_E10value_typeEPNSO_ISJ_E10value_typeEPSK_NS1_7vsmem_tEENKUlT_SI_SJ_SK_E_clIPxSD_S10_SD_EESH_SX_SI_SJ_SK_EUlSX_E_NS1_11comp_targetILNS1_3genE9ELNS1_11target_archE1100ELNS1_3gpuE3ELNS1_3repE0EEENS1_48merge_mergepath_partition_config_static_selectorELNS0_4arch9wavefront6targetE1EEEvSJ_.has_recursion, 0
	.set _ZN7rocprim17ROCPRIM_400000_NS6detail17trampoline_kernelINS0_14default_configENS1_38merge_sort_block_merge_config_selectorIxxEEZZNS1_27merge_sort_block_merge_implIS3_N6thrust23THRUST_200600_302600_NS6detail15normal_iteratorINS8_10device_ptrIxEEEESD_jNS1_19radix_merge_compareILb0ELb1ExNS0_19identity_decomposerEEEEE10hipError_tT0_T1_T2_jT3_P12ihipStream_tbPNSt15iterator_traitsISI_E10value_typeEPNSO_ISJ_E10value_typeEPSK_NS1_7vsmem_tEENKUlT_SI_SJ_SK_E_clIPxSD_S10_SD_EESH_SX_SI_SJ_SK_EUlSX_E_NS1_11comp_targetILNS1_3genE9ELNS1_11target_archE1100ELNS1_3gpuE3ELNS1_3repE0EEENS1_48merge_mergepath_partition_config_static_selectorELNS0_4arch9wavefront6targetE1EEEvSJ_.has_indirect_call, 0
	.section	.AMDGPU.csdata,"",@progbits
; Kernel info:
; codeLenInByte = 0
; TotalNumSgprs: 6
; NumVgprs: 0
; NumAgprs: 0
; TotalNumVgprs: 0
; ScratchSize: 0
; MemoryBound: 0
; FloatMode: 240
; IeeeMode: 1
; LDSByteSize: 0 bytes/workgroup (compile time only)
; SGPRBlocks: 0
; VGPRBlocks: 0
; NumSGPRsForWavesPerEU: 6
; NumVGPRsForWavesPerEU: 1
; AccumOffset: 4
; Occupancy: 8
; WaveLimiterHint : 0
; COMPUTE_PGM_RSRC2:SCRATCH_EN: 0
; COMPUTE_PGM_RSRC2:USER_SGPR: 2
; COMPUTE_PGM_RSRC2:TRAP_HANDLER: 0
; COMPUTE_PGM_RSRC2:TGID_X_EN: 1
; COMPUTE_PGM_RSRC2:TGID_Y_EN: 0
; COMPUTE_PGM_RSRC2:TGID_Z_EN: 0
; COMPUTE_PGM_RSRC2:TIDIG_COMP_CNT: 0
; COMPUTE_PGM_RSRC3_GFX90A:ACCUM_OFFSET: 0
; COMPUTE_PGM_RSRC3_GFX90A:TG_SPLIT: 0
	.section	.text._ZN7rocprim17ROCPRIM_400000_NS6detail17trampoline_kernelINS0_14default_configENS1_38merge_sort_block_merge_config_selectorIxxEEZZNS1_27merge_sort_block_merge_implIS3_N6thrust23THRUST_200600_302600_NS6detail15normal_iteratorINS8_10device_ptrIxEEEESD_jNS1_19radix_merge_compareILb0ELb1ExNS0_19identity_decomposerEEEEE10hipError_tT0_T1_T2_jT3_P12ihipStream_tbPNSt15iterator_traitsISI_E10value_typeEPNSO_ISJ_E10value_typeEPSK_NS1_7vsmem_tEENKUlT_SI_SJ_SK_E_clIPxSD_S10_SD_EESH_SX_SI_SJ_SK_EUlSX_E_NS1_11comp_targetILNS1_3genE8ELNS1_11target_archE1030ELNS1_3gpuE2ELNS1_3repE0EEENS1_48merge_mergepath_partition_config_static_selectorELNS0_4arch9wavefront6targetE1EEEvSJ_,"axG",@progbits,_ZN7rocprim17ROCPRIM_400000_NS6detail17trampoline_kernelINS0_14default_configENS1_38merge_sort_block_merge_config_selectorIxxEEZZNS1_27merge_sort_block_merge_implIS3_N6thrust23THRUST_200600_302600_NS6detail15normal_iteratorINS8_10device_ptrIxEEEESD_jNS1_19radix_merge_compareILb0ELb1ExNS0_19identity_decomposerEEEEE10hipError_tT0_T1_T2_jT3_P12ihipStream_tbPNSt15iterator_traitsISI_E10value_typeEPNSO_ISJ_E10value_typeEPSK_NS1_7vsmem_tEENKUlT_SI_SJ_SK_E_clIPxSD_S10_SD_EESH_SX_SI_SJ_SK_EUlSX_E_NS1_11comp_targetILNS1_3genE8ELNS1_11target_archE1030ELNS1_3gpuE2ELNS1_3repE0EEENS1_48merge_mergepath_partition_config_static_selectorELNS0_4arch9wavefront6targetE1EEEvSJ_,comdat
	.protected	_ZN7rocprim17ROCPRIM_400000_NS6detail17trampoline_kernelINS0_14default_configENS1_38merge_sort_block_merge_config_selectorIxxEEZZNS1_27merge_sort_block_merge_implIS3_N6thrust23THRUST_200600_302600_NS6detail15normal_iteratorINS8_10device_ptrIxEEEESD_jNS1_19radix_merge_compareILb0ELb1ExNS0_19identity_decomposerEEEEE10hipError_tT0_T1_T2_jT3_P12ihipStream_tbPNSt15iterator_traitsISI_E10value_typeEPNSO_ISJ_E10value_typeEPSK_NS1_7vsmem_tEENKUlT_SI_SJ_SK_E_clIPxSD_S10_SD_EESH_SX_SI_SJ_SK_EUlSX_E_NS1_11comp_targetILNS1_3genE8ELNS1_11target_archE1030ELNS1_3gpuE2ELNS1_3repE0EEENS1_48merge_mergepath_partition_config_static_selectorELNS0_4arch9wavefront6targetE1EEEvSJ_ ; -- Begin function _ZN7rocprim17ROCPRIM_400000_NS6detail17trampoline_kernelINS0_14default_configENS1_38merge_sort_block_merge_config_selectorIxxEEZZNS1_27merge_sort_block_merge_implIS3_N6thrust23THRUST_200600_302600_NS6detail15normal_iteratorINS8_10device_ptrIxEEEESD_jNS1_19radix_merge_compareILb0ELb1ExNS0_19identity_decomposerEEEEE10hipError_tT0_T1_T2_jT3_P12ihipStream_tbPNSt15iterator_traitsISI_E10value_typeEPNSO_ISJ_E10value_typeEPSK_NS1_7vsmem_tEENKUlT_SI_SJ_SK_E_clIPxSD_S10_SD_EESH_SX_SI_SJ_SK_EUlSX_E_NS1_11comp_targetILNS1_3genE8ELNS1_11target_archE1030ELNS1_3gpuE2ELNS1_3repE0EEENS1_48merge_mergepath_partition_config_static_selectorELNS0_4arch9wavefront6targetE1EEEvSJ_
	.globl	_ZN7rocprim17ROCPRIM_400000_NS6detail17trampoline_kernelINS0_14default_configENS1_38merge_sort_block_merge_config_selectorIxxEEZZNS1_27merge_sort_block_merge_implIS3_N6thrust23THRUST_200600_302600_NS6detail15normal_iteratorINS8_10device_ptrIxEEEESD_jNS1_19radix_merge_compareILb0ELb1ExNS0_19identity_decomposerEEEEE10hipError_tT0_T1_T2_jT3_P12ihipStream_tbPNSt15iterator_traitsISI_E10value_typeEPNSO_ISJ_E10value_typeEPSK_NS1_7vsmem_tEENKUlT_SI_SJ_SK_E_clIPxSD_S10_SD_EESH_SX_SI_SJ_SK_EUlSX_E_NS1_11comp_targetILNS1_3genE8ELNS1_11target_archE1030ELNS1_3gpuE2ELNS1_3repE0EEENS1_48merge_mergepath_partition_config_static_selectorELNS0_4arch9wavefront6targetE1EEEvSJ_
	.p2align	8
	.type	_ZN7rocprim17ROCPRIM_400000_NS6detail17trampoline_kernelINS0_14default_configENS1_38merge_sort_block_merge_config_selectorIxxEEZZNS1_27merge_sort_block_merge_implIS3_N6thrust23THRUST_200600_302600_NS6detail15normal_iteratorINS8_10device_ptrIxEEEESD_jNS1_19radix_merge_compareILb0ELb1ExNS0_19identity_decomposerEEEEE10hipError_tT0_T1_T2_jT3_P12ihipStream_tbPNSt15iterator_traitsISI_E10value_typeEPNSO_ISJ_E10value_typeEPSK_NS1_7vsmem_tEENKUlT_SI_SJ_SK_E_clIPxSD_S10_SD_EESH_SX_SI_SJ_SK_EUlSX_E_NS1_11comp_targetILNS1_3genE8ELNS1_11target_archE1030ELNS1_3gpuE2ELNS1_3repE0EEENS1_48merge_mergepath_partition_config_static_selectorELNS0_4arch9wavefront6targetE1EEEvSJ_,@function
_ZN7rocprim17ROCPRIM_400000_NS6detail17trampoline_kernelINS0_14default_configENS1_38merge_sort_block_merge_config_selectorIxxEEZZNS1_27merge_sort_block_merge_implIS3_N6thrust23THRUST_200600_302600_NS6detail15normal_iteratorINS8_10device_ptrIxEEEESD_jNS1_19radix_merge_compareILb0ELb1ExNS0_19identity_decomposerEEEEE10hipError_tT0_T1_T2_jT3_P12ihipStream_tbPNSt15iterator_traitsISI_E10value_typeEPNSO_ISJ_E10value_typeEPSK_NS1_7vsmem_tEENKUlT_SI_SJ_SK_E_clIPxSD_S10_SD_EESH_SX_SI_SJ_SK_EUlSX_E_NS1_11comp_targetILNS1_3genE8ELNS1_11target_archE1030ELNS1_3gpuE2ELNS1_3repE0EEENS1_48merge_mergepath_partition_config_static_selectorELNS0_4arch9wavefront6targetE1EEEvSJ_: ; @_ZN7rocprim17ROCPRIM_400000_NS6detail17trampoline_kernelINS0_14default_configENS1_38merge_sort_block_merge_config_selectorIxxEEZZNS1_27merge_sort_block_merge_implIS3_N6thrust23THRUST_200600_302600_NS6detail15normal_iteratorINS8_10device_ptrIxEEEESD_jNS1_19radix_merge_compareILb0ELb1ExNS0_19identity_decomposerEEEEE10hipError_tT0_T1_T2_jT3_P12ihipStream_tbPNSt15iterator_traitsISI_E10value_typeEPNSO_ISJ_E10value_typeEPSK_NS1_7vsmem_tEENKUlT_SI_SJ_SK_E_clIPxSD_S10_SD_EESH_SX_SI_SJ_SK_EUlSX_E_NS1_11comp_targetILNS1_3genE8ELNS1_11target_archE1030ELNS1_3gpuE2ELNS1_3repE0EEENS1_48merge_mergepath_partition_config_static_selectorELNS0_4arch9wavefront6targetE1EEEvSJ_
; %bb.0:
	.section	.rodata,"a",@progbits
	.p2align	6, 0x0
	.amdhsa_kernel _ZN7rocprim17ROCPRIM_400000_NS6detail17trampoline_kernelINS0_14default_configENS1_38merge_sort_block_merge_config_selectorIxxEEZZNS1_27merge_sort_block_merge_implIS3_N6thrust23THRUST_200600_302600_NS6detail15normal_iteratorINS8_10device_ptrIxEEEESD_jNS1_19radix_merge_compareILb0ELb1ExNS0_19identity_decomposerEEEEE10hipError_tT0_T1_T2_jT3_P12ihipStream_tbPNSt15iterator_traitsISI_E10value_typeEPNSO_ISJ_E10value_typeEPSK_NS1_7vsmem_tEENKUlT_SI_SJ_SK_E_clIPxSD_S10_SD_EESH_SX_SI_SJ_SK_EUlSX_E_NS1_11comp_targetILNS1_3genE8ELNS1_11target_archE1030ELNS1_3gpuE2ELNS1_3repE0EEENS1_48merge_mergepath_partition_config_static_selectorELNS0_4arch9wavefront6targetE1EEEvSJ_
		.amdhsa_group_segment_fixed_size 0
		.amdhsa_private_segment_fixed_size 0
		.amdhsa_kernarg_size 40
		.amdhsa_user_sgpr_count 2
		.amdhsa_user_sgpr_dispatch_ptr 0
		.amdhsa_user_sgpr_queue_ptr 0
		.amdhsa_user_sgpr_kernarg_segment_ptr 1
		.amdhsa_user_sgpr_dispatch_id 0
		.amdhsa_user_sgpr_kernarg_preload_length 0
		.amdhsa_user_sgpr_kernarg_preload_offset 0
		.amdhsa_user_sgpr_private_segment_size 0
		.amdhsa_uses_dynamic_stack 0
		.amdhsa_enable_private_segment 0
		.amdhsa_system_sgpr_workgroup_id_x 1
		.amdhsa_system_sgpr_workgroup_id_y 0
		.amdhsa_system_sgpr_workgroup_id_z 0
		.amdhsa_system_sgpr_workgroup_info 0
		.amdhsa_system_vgpr_workitem_id 0
		.amdhsa_next_free_vgpr 1
		.amdhsa_next_free_sgpr 0
		.amdhsa_accum_offset 4
		.amdhsa_reserve_vcc 0
		.amdhsa_float_round_mode_32 0
		.amdhsa_float_round_mode_16_64 0
		.amdhsa_float_denorm_mode_32 3
		.amdhsa_float_denorm_mode_16_64 3
		.amdhsa_dx10_clamp 1
		.amdhsa_ieee_mode 1
		.amdhsa_fp16_overflow 0
		.amdhsa_tg_split 0
		.amdhsa_exception_fp_ieee_invalid_op 0
		.amdhsa_exception_fp_denorm_src 0
		.amdhsa_exception_fp_ieee_div_zero 0
		.amdhsa_exception_fp_ieee_overflow 0
		.amdhsa_exception_fp_ieee_underflow 0
		.amdhsa_exception_fp_ieee_inexact 0
		.amdhsa_exception_int_div_zero 0
	.end_amdhsa_kernel
	.section	.text._ZN7rocprim17ROCPRIM_400000_NS6detail17trampoline_kernelINS0_14default_configENS1_38merge_sort_block_merge_config_selectorIxxEEZZNS1_27merge_sort_block_merge_implIS3_N6thrust23THRUST_200600_302600_NS6detail15normal_iteratorINS8_10device_ptrIxEEEESD_jNS1_19radix_merge_compareILb0ELb1ExNS0_19identity_decomposerEEEEE10hipError_tT0_T1_T2_jT3_P12ihipStream_tbPNSt15iterator_traitsISI_E10value_typeEPNSO_ISJ_E10value_typeEPSK_NS1_7vsmem_tEENKUlT_SI_SJ_SK_E_clIPxSD_S10_SD_EESH_SX_SI_SJ_SK_EUlSX_E_NS1_11comp_targetILNS1_3genE8ELNS1_11target_archE1030ELNS1_3gpuE2ELNS1_3repE0EEENS1_48merge_mergepath_partition_config_static_selectorELNS0_4arch9wavefront6targetE1EEEvSJ_,"axG",@progbits,_ZN7rocprim17ROCPRIM_400000_NS6detail17trampoline_kernelINS0_14default_configENS1_38merge_sort_block_merge_config_selectorIxxEEZZNS1_27merge_sort_block_merge_implIS3_N6thrust23THRUST_200600_302600_NS6detail15normal_iteratorINS8_10device_ptrIxEEEESD_jNS1_19radix_merge_compareILb0ELb1ExNS0_19identity_decomposerEEEEE10hipError_tT0_T1_T2_jT3_P12ihipStream_tbPNSt15iterator_traitsISI_E10value_typeEPNSO_ISJ_E10value_typeEPSK_NS1_7vsmem_tEENKUlT_SI_SJ_SK_E_clIPxSD_S10_SD_EESH_SX_SI_SJ_SK_EUlSX_E_NS1_11comp_targetILNS1_3genE8ELNS1_11target_archE1030ELNS1_3gpuE2ELNS1_3repE0EEENS1_48merge_mergepath_partition_config_static_selectorELNS0_4arch9wavefront6targetE1EEEvSJ_,comdat
.Lfunc_end1129:
	.size	_ZN7rocprim17ROCPRIM_400000_NS6detail17trampoline_kernelINS0_14default_configENS1_38merge_sort_block_merge_config_selectorIxxEEZZNS1_27merge_sort_block_merge_implIS3_N6thrust23THRUST_200600_302600_NS6detail15normal_iteratorINS8_10device_ptrIxEEEESD_jNS1_19radix_merge_compareILb0ELb1ExNS0_19identity_decomposerEEEEE10hipError_tT0_T1_T2_jT3_P12ihipStream_tbPNSt15iterator_traitsISI_E10value_typeEPNSO_ISJ_E10value_typeEPSK_NS1_7vsmem_tEENKUlT_SI_SJ_SK_E_clIPxSD_S10_SD_EESH_SX_SI_SJ_SK_EUlSX_E_NS1_11comp_targetILNS1_3genE8ELNS1_11target_archE1030ELNS1_3gpuE2ELNS1_3repE0EEENS1_48merge_mergepath_partition_config_static_selectorELNS0_4arch9wavefront6targetE1EEEvSJ_, .Lfunc_end1129-_ZN7rocprim17ROCPRIM_400000_NS6detail17trampoline_kernelINS0_14default_configENS1_38merge_sort_block_merge_config_selectorIxxEEZZNS1_27merge_sort_block_merge_implIS3_N6thrust23THRUST_200600_302600_NS6detail15normal_iteratorINS8_10device_ptrIxEEEESD_jNS1_19radix_merge_compareILb0ELb1ExNS0_19identity_decomposerEEEEE10hipError_tT0_T1_T2_jT3_P12ihipStream_tbPNSt15iterator_traitsISI_E10value_typeEPNSO_ISJ_E10value_typeEPSK_NS1_7vsmem_tEENKUlT_SI_SJ_SK_E_clIPxSD_S10_SD_EESH_SX_SI_SJ_SK_EUlSX_E_NS1_11comp_targetILNS1_3genE8ELNS1_11target_archE1030ELNS1_3gpuE2ELNS1_3repE0EEENS1_48merge_mergepath_partition_config_static_selectorELNS0_4arch9wavefront6targetE1EEEvSJ_
                                        ; -- End function
	.set _ZN7rocprim17ROCPRIM_400000_NS6detail17trampoline_kernelINS0_14default_configENS1_38merge_sort_block_merge_config_selectorIxxEEZZNS1_27merge_sort_block_merge_implIS3_N6thrust23THRUST_200600_302600_NS6detail15normal_iteratorINS8_10device_ptrIxEEEESD_jNS1_19radix_merge_compareILb0ELb1ExNS0_19identity_decomposerEEEEE10hipError_tT0_T1_T2_jT3_P12ihipStream_tbPNSt15iterator_traitsISI_E10value_typeEPNSO_ISJ_E10value_typeEPSK_NS1_7vsmem_tEENKUlT_SI_SJ_SK_E_clIPxSD_S10_SD_EESH_SX_SI_SJ_SK_EUlSX_E_NS1_11comp_targetILNS1_3genE8ELNS1_11target_archE1030ELNS1_3gpuE2ELNS1_3repE0EEENS1_48merge_mergepath_partition_config_static_selectorELNS0_4arch9wavefront6targetE1EEEvSJ_.num_vgpr, 0
	.set _ZN7rocprim17ROCPRIM_400000_NS6detail17trampoline_kernelINS0_14default_configENS1_38merge_sort_block_merge_config_selectorIxxEEZZNS1_27merge_sort_block_merge_implIS3_N6thrust23THRUST_200600_302600_NS6detail15normal_iteratorINS8_10device_ptrIxEEEESD_jNS1_19radix_merge_compareILb0ELb1ExNS0_19identity_decomposerEEEEE10hipError_tT0_T1_T2_jT3_P12ihipStream_tbPNSt15iterator_traitsISI_E10value_typeEPNSO_ISJ_E10value_typeEPSK_NS1_7vsmem_tEENKUlT_SI_SJ_SK_E_clIPxSD_S10_SD_EESH_SX_SI_SJ_SK_EUlSX_E_NS1_11comp_targetILNS1_3genE8ELNS1_11target_archE1030ELNS1_3gpuE2ELNS1_3repE0EEENS1_48merge_mergepath_partition_config_static_selectorELNS0_4arch9wavefront6targetE1EEEvSJ_.num_agpr, 0
	.set _ZN7rocprim17ROCPRIM_400000_NS6detail17trampoline_kernelINS0_14default_configENS1_38merge_sort_block_merge_config_selectorIxxEEZZNS1_27merge_sort_block_merge_implIS3_N6thrust23THRUST_200600_302600_NS6detail15normal_iteratorINS8_10device_ptrIxEEEESD_jNS1_19radix_merge_compareILb0ELb1ExNS0_19identity_decomposerEEEEE10hipError_tT0_T1_T2_jT3_P12ihipStream_tbPNSt15iterator_traitsISI_E10value_typeEPNSO_ISJ_E10value_typeEPSK_NS1_7vsmem_tEENKUlT_SI_SJ_SK_E_clIPxSD_S10_SD_EESH_SX_SI_SJ_SK_EUlSX_E_NS1_11comp_targetILNS1_3genE8ELNS1_11target_archE1030ELNS1_3gpuE2ELNS1_3repE0EEENS1_48merge_mergepath_partition_config_static_selectorELNS0_4arch9wavefront6targetE1EEEvSJ_.numbered_sgpr, 0
	.set _ZN7rocprim17ROCPRIM_400000_NS6detail17trampoline_kernelINS0_14default_configENS1_38merge_sort_block_merge_config_selectorIxxEEZZNS1_27merge_sort_block_merge_implIS3_N6thrust23THRUST_200600_302600_NS6detail15normal_iteratorINS8_10device_ptrIxEEEESD_jNS1_19radix_merge_compareILb0ELb1ExNS0_19identity_decomposerEEEEE10hipError_tT0_T1_T2_jT3_P12ihipStream_tbPNSt15iterator_traitsISI_E10value_typeEPNSO_ISJ_E10value_typeEPSK_NS1_7vsmem_tEENKUlT_SI_SJ_SK_E_clIPxSD_S10_SD_EESH_SX_SI_SJ_SK_EUlSX_E_NS1_11comp_targetILNS1_3genE8ELNS1_11target_archE1030ELNS1_3gpuE2ELNS1_3repE0EEENS1_48merge_mergepath_partition_config_static_selectorELNS0_4arch9wavefront6targetE1EEEvSJ_.num_named_barrier, 0
	.set _ZN7rocprim17ROCPRIM_400000_NS6detail17trampoline_kernelINS0_14default_configENS1_38merge_sort_block_merge_config_selectorIxxEEZZNS1_27merge_sort_block_merge_implIS3_N6thrust23THRUST_200600_302600_NS6detail15normal_iteratorINS8_10device_ptrIxEEEESD_jNS1_19radix_merge_compareILb0ELb1ExNS0_19identity_decomposerEEEEE10hipError_tT0_T1_T2_jT3_P12ihipStream_tbPNSt15iterator_traitsISI_E10value_typeEPNSO_ISJ_E10value_typeEPSK_NS1_7vsmem_tEENKUlT_SI_SJ_SK_E_clIPxSD_S10_SD_EESH_SX_SI_SJ_SK_EUlSX_E_NS1_11comp_targetILNS1_3genE8ELNS1_11target_archE1030ELNS1_3gpuE2ELNS1_3repE0EEENS1_48merge_mergepath_partition_config_static_selectorELNS0_4arch9wavefront6targetE1EEEvSJ_.private_seg_size, 0
	.set _ZN7rocprim17ROCPRIM_400000_NS6detail17trampoline_kernelINS0_14default_configENS1_38merge_sort_block_merge_config_selectorIxxEEZZNS1_27merge_sort_block_merge_implIS3_N6thrust23THRUST_200600_302600_NS6detail15normal_iteratorINS8_10device_ptrIxEEEESD_jNS1_19radix_merge_compareILb0ELb1ExNS0_19identity_decomposerEEEEE10hipError_tT0_T1_T2_jT3_P12ihipStream_tbPNSt15iterator_traitsISI_E10value_typeEPNSO_ISJ_E10value_typeEPSK_NS1_7vsmem_tEENKUlT_SI_SJ_SK_E_clIPxSD_S10_SD_EESH_SX_SI_SJ_SK_EUlSX_E_NS1_11comp_targetILNS1_3genE8ELNS1_11target_archE1030ELNS1_3gpuE2ELNS1_3repE0EEENS1_48merge_mergepath_partition_config_static_selectorELNS0_4arch9wavefront6targetE1EEEvSJ_.uses_vcc, 0
	.set _ZN7rocprim17ROCPRIM_400000_NS6detail17trampoline_kernelINS0_14default_configENS1_38merge_sort_block_merge_config_selectorIxxEEZZNS1_27merge_sort_block_merge_implIS3_N6thrust23THRUST_200600_302600_NS6detail15normal_iteratorINS8_10device_ptrIxEEEESD_jNS1_19radix_merge_compareILb0ELb1ExNS0_19identity_decomposerEEEEE10hipError_tT0_T1_T2_jT3_P12ihipStream_tbPNSt15iterator_traitsISI_E10value_typeEPNSO_ISJ_E10value_typeEPSK_NS1_7vsmem_tEENKUlT_SI_SJ_SK_E_clIPxSD_S10_SD_EESH_SX_SI_SJ_SK_EUlSX_E_NS1_11comp_targetILNS1_3genE8ELNS1_11target_archE1030ELNS1_3gpuE2ELNS1_3repE0EEENS1_48merge_mergepath_partition_config_static_selectorELNS0_4arch9wavefront6targetE1EEEvSJ_.uses_flat_scratch, 0
	.set _ZN7rocprim17ROCPRIM_400000_NS6detail17trampoline_kernelINS0_14default_configENS1_38merge_sort_block_merge_config_selectorIxxEEZZNS1_27merge_sort_block_merge_implIS3_N6thrust23THRUST_200600_302600_NS6detail15normal_iteratorINS8_10device_ptrIxEEEESD_jNS1_19radix_merge_compareILb0ELb1ExNS0_19identity_decomposerEEEEE10hipError_tT0_T1_T2_jT3_P12ihipStream_tbPNSt15iterator_traitsISI_E10value_typeEPNSO_ISJ_E10value_typeEPSK_NS1_7vsmem_tEENKUlT_SI_SJ_SK_E_clIPxSD_S10_SD_EESH_SX_SI_SJ_SK_EUlSX_E_NS1_11comp_targetILNS1_3genE8ELNS1_11target_archE1030ELNS1_3gpuE2ELNS1_3repE0EEENS1_48merge_mergepath_partition_config_static_selectorELNS0_4arch9wavefront6targetE1EEEvSJ_.has_dyn_sized_stack, 0
	.set _ZN7rocprim17ROCPRIM_400000_NS6detail17trampoline_kernelINS0_14default_configENS1_38merge_sort_block_merge_config_selectorIxxEEZZNS1_27merge_sort_block_merge_implIS3_N6thrust23THRUST_200600_302600_NS6detail15normal_iteratorINS8_10device_ptrIxEEEESD_jNS1_19radix_merge_compareILb0ELb1ExNS0_19identity_decomposerEEEEE10hipError_tT0_T1_T2_jT3_P12ihipStream_tbPNSt15iterator_traitsISI_E10value_typeEPNSO_ISJ_E10value_typeEPSK_NS1_7vsmem_tEENKUlT_SI_SJ_SK_E_clIPxSD_S10_SD_EESH_SX_SI_SJ_SK_EUlSX_E_NS1_11comp_targetILNS1_3genE8ELNS1_11target_archE1030ELNS1_3gpuE2ELNS1_3repE0EEENS1_48merge_mergepath_partition_config_static_selectorELNS0_4arch9wavefront6targetE1EEEvSJ_.has_recursion, 0
	.set _ZN7rocprim17ROCPRIM_400000_NS6detail17trampoline_kernelINS0_14default_configENS1_38merge_sort_block_merge_config_selectorIxxEEZZNS1_27merge_sort_block_merge_implIS3_N6thrust23THRUST_200600_302600_NS6detail15normal_iteratorINS8_10device_ptrIxEEEESD_jNS1_19radix_merge_compareILb0ELb1ExNS0_19identity_decomposerEEEEE10hipError_tT0_T1_T2_jT3_P12ihipStream_tbPNSt15iterator_traitsISI_E10value_typeEPNSO_ISJ_E10value_typeEPSK_NS1_7vsmem_tEENKUlT_SI_SJ_SK_E_clIPxSD_S10_SD_EESH_SX_SI_SJ_SK_EUlSX_E_NS1_11comp_targetILNS1_3genE8ELNS1_11target_archE1030ELNS1_3gpuE2ELNS1_3repE0EEENS1_48merge_mergepath_partition_config_static_selectorELNS0_4arch9wavefront6targetE1EEEvSJ_.has_indirect_call, 0
	.section	.AMDGPU.csdata,"",@progbits
; Kernel info:
; codeLenInByte = 0
; TotalNumSgprs: 6
; NumVgprs: 0
; NumAgprs: 0
; TotalNumVgprs: 0
; ScratchSize: 0
; MemoryBound: 0
; FloatMode: 240
; IeeeMode: 1
; LDSByteSize: 0 bytes/workgroup (compile time only)
; SGPRBlocks: 0
; VGPRBlocks: 0
; NumSGPRsForWavesPerEU: 6
; NumVGPRsForWavesPerEU: 1
; AccumOffset: 4
; Occupancy: 8
; WaveLimiterHint : 0
; COMPUTE_PGM_RSRC2:SCRATCH_EN: 0
; COMPUTE_PGM_RSRC2:USER_SGPR: 2
; COMPUTE_PGM_RSRC2:TRAP_HANDLER: 0
; COMPUTE_PGM_RSRC2:TGID_X_EN: 1
; COMPUTE_PGM_RSRC2:TGID_Y_EN: 0
; COMPUTE_PGM_RSRC2:TGID_Z_EN: 0
; COMPUTE_PGM_RSRC2:TIDIG_COMP_CNT: 0
; COMPUTE_PGM_RSRC3_GFX90A:ACCUM_OFFSET: 0
; COMPUTE_PGM_RSRC3_GFX90A:TG_SPLIT: 0
	.section	.text._ZN7rocprim17ROCPRIM_400000_NS6detail17trampoline_kernelINS0_14default_configENS1_38merge_sort_block_merge_config_selectorIxxEEZZNS1_27merge_sort_block_merge_implIS3_N6thrust23THRUST_200600_302600_NS6detail15normal_iteratorINS8_10device_ptrIxEEEESD_jNS1_19radix_merge_compareILb0ELb1ExNS0_19identity_decomposerEEEEE10hipError_tT0_T1_T2_jT3_P12ihipStream_tbPNSt15iterator_traitsISI_E10value_typeEPNSO_ISJ_E10value_typeEPSK_NS1_7vsmem_tEENKUlT_SI_SJ_SK_E_clIPxSD_S10_SD_EESH_SX_SI_SJ_SK_EUlSX_E0_NS1_11comp_targetILNS1_3genE0ELNS1_11target_archE4294967295ELNS1_3gpuE0ELNS1_3repE0EEENS1_38merge_mergepath_config_static_selectorELNS0_4arch9wavefront6targetE1EEEvSJ_,"axG",@progbits,_ZN7rocprim17ROCPRIM_400000_NS6detail17trampoline_kernelINS0_14default_configENS1_38merge_sort_block_merge_config_selectorIxxEEZZNS1_27merge_sort_block_merge_implIS3_N6thrust23THRUST_200600_302600_NS6detail15normal_iteratorINS8_10device_ptrIxEEEESD_jNS1_19radix_merge_compareILb0ELb1ExNS0_19identity_decomposerEEEEE10hipError_tT0_T1_T2_jT3_P12ihipStream_tbPNSt15iterator_traitsISI_E10value_typeEPNSO_ISJ_E10value_typeEPSK_NS1_7vsmem_tEENKUlT_SI_SJ_SK_E_clIPxSD_S10_SD_EESH_SX_SI_SJ_SK_EUlSX_E0_NS1_11comp_targetILNS1_3genE0ELNS1_11target_archE4294967295ELNS1_3gpuE0ELNS1_3repE0EEENS1_38merge_mergepath_config_static_selectorELNS0_4arch9wavefront6targetE1EEEvSJ_,comdat
	.protected	_ZN7rocprim17ROCPRIM_400000_NS6detail17trampoline_kernelINS0_14default_configENS1_38merge_sort_block_merge_config_selectorIxxEEZZNS1_27merge_sort_block_merge_implIS3_N6thrust23THRUST_200600_302600_NS6detail15normal_iteratorINS8_10device_ptrIxEEEESD_jNS1_19radix_merge_compareILb0ELb1ExNS0_19identity_decomposerEEEEE10hipError_tT0_T1_T2_jT3_P12ihipStream_tbPNSt15iterator_traitsISI_E10value_typeEPNSO_ISJ_E10value_typeEPSK_NS1_7vsmem_tEENKUlT_SI_SJ_SK_E_clIPxSD_S10_SD_EESH_SX_SI_SJ_SK_EUlSX_E0_NS1_11comp_targetILNS1_3genE0ELNS1_11target_archE4294967295ELNS1_3gpuE0ELNS1_3repE0EEENS1_38merge_mergepath_config_static_selectorELNS0_4arch9wavefront6targetE1EEEvSJ_ ; -- Begin function _ZN7rocprim17ROCPRIM_400000_NS6detail17trampoline_kernelINS0_14default_configENS1_38merge_sort_block_merge_config_selectorIxxEEZZNS1_27merge_sort_block_merge_implIS3_N6thrust23THRUST_200600_302600_NS6detail15normal_iteratorINS8_10device_ptrIxEEEESD_jNS1_19radix_merge_compareILb0ELb1ExNS0_19identity_decomposerEEEEE10hipError_tT0_T1_T2_jT3_P12ihipStream_tbPNSt15iterator_traitsISI_E10value_typeEPNSO_ISJ_E10value_typeEPSK_NS1_7vsmem_tEENKUlT_SI_SJ_SK_E_clIPxSD_S10_SD_EESH_SX_SI_SJ_SK_EUlSX_E0_NS1_11comp_targetILNS1_3genE0ELNS1_11target_archE4294967295ELNS1_3gpuE0ELNS1_3repE0EEENS1_38merge_mergepath_config_static_selectorELNS0_4arch9wavefront6targetE1EEEvSJ_
	.globl	_ZN7rocprim17ROCPRIM_400000_NS6detail17trampoline_kernelINS0_14default_configENS1_38merge_sort_block_merge_config_selectorIxxEEZZNS1_27merge_sort_block_merge_implIS3_N6thrust23THRUST_200600_302600_NS6detail15normal_iteratorINS8_10device_ptrIxEEEESD_jNS1_19radix_merge_compareILb0ELb1ExNS0_19identity_decomposerEEEEE10hipError_tT0_T1_T2_jT3_P12ihipStream_tbPNSt15iterator_traitsISI_E10value_typeEPNSO_ISJ_E10value_typeEPSK_NS1_7vsmem_tEENKUlT_SI_SJ_SK_E_clIPxSD_S10_SD_EESH_SX_SI_SJ_SK_EUlSX_E0_NS1_11comp_targetILNS1_3genE0ELNS1_11target_archE4294967295ELNS1_3gpuE0ELNS1_3repE0EEENS1_38merge_mergepath_config_static_selectorELNS0_4arch9wavefront6targetE1EEEvSJ_
	.p2align	8
	.type	_ZN7rocprim17ROCPRIM_400000_NS6detail17trampoline_kernelINS0_14default_configENS1_38merge_sort_block_merge_config_selectorIxxEEZZNS1_27merge_sort_block_merge_implIS3_N6thrust23THRUST_200600_302600_NS6detail15normal_iteratorINS8_10device_ptrIxEEEESD_jNS1_19radix_merge_compareILb0ELb1ExNS0_19identity_decomposerEEEEE10hipError_tT0_T1_T2_jT3_P12ihipStream_tbPNSt15iterator_traitsISI_E10value_typeEPNSO_ISJ_E10value_typeEPSK_NS1_7vsmem_tEENKUlT_SI_SJ_SK_E_clIPxSD_S10_SD_EESH_SX_SI_SJ_SK_EUlSX_E0_NS1_11comp_targetILNS1_3genE0ELNS1_11target_archE4294967295ELNS1_3gpuE0ELNS1_3repE0EEENS1_38merge_mergepath_config_static_selectorELNS0_4arch9wavefront6targetE1EEEvSJ_,@function
_ZN7rocprim17ROCPRIM_400000_NS6detail17trampoline_kernelINS0_14default_configENS1_38merge_sort_block_merge_config_selectorIxxEEZZNS1_27merge_sort_block_merge_implIS3_N6thrust23THRUST_200600_302600_NS6detail15normal_iteratorINS8_10device_ptrIxEEEESD_jNS1_19radix_merge_compareILb0ELb1ExNS0_19identity_decomposerEEEEE10hipError_tT0_T1_T2_jT3_P12ihipStream_tbPNSt15iterator_traitsISI_E10value_typeEPNSO_ISJ_E10value_typeEPSK_NS1_7vsmem_tEENKUlT_SI_SJ_SK_E_clIPxSD_S10_SD_EESH_SX_SI_SJ_SK_EUlSX_E0_NS1_11comp_targetILNS1_3genE0ELNS1_11target_archE4294967295ELNS1_3gpuE0ELNS1_3repE0EEENS1_38merge_mergepath_config_static_selectorELNS0_4arch9wavefront6targetE1EEEvSJ_: ; @_ZN7rocprim17ROCPRIM_400000_NS6detail17trampoline_kernelINS0_14default_configENS1_38merge_sort_block_merge_config_selectorIxxEEZZNS1_27merge_sort_block_merge_implIS3_N6thrust23THRUST_200600_302600_NS6detail15normal_iteratorINS8_10device_ptrIxEEEESD_jNS1_19radix_merge_compareILb0ELb1ExNS0_19identity_decomposerEEEEE10hipError_tT0_T1_T2_jT3_P12ihipStream_tbPNSt15iterator_traitsISI_E10value_typeEPNSO_ISJ_E10value_typeEPSK_NS1_7vsmem_tEENKUlT_SI_SJ_SK_E_clIPxSD_S10_SD_EESH_SX_SI_SJ_SK_EUlSX_E0_NS1_11comp_targetILNS1_3genE0ELNS1_11target_archE4294967295ELNS1_3gpuE0ELNS1_3repE0EEENS1_38merge_mergepath_config_static_selectorELNS0_4arch9wavefront6targetE1EEEvSJ_
; %bb.0:
	s_load_dwordx2 s[30:31], s[0:1], 0x48
	s_load_dword s5, s[0:1], 0x30
	s_add_u32 s26, s0, 0x48
	s_addc_u32 s27, s1, 0
	s_waitcnt lgkmcnt(0)
	s_mul_i32 s4, s31, s4
	s_add_i32 s3, s4, s3
	s_mul_i32 s3, s3, s30
	s_add_i32 s28, s3, s2
	s_cmp_ge_u32 s28, s5
	s_cbranch_scc1 .LBB1130_39
; %bb.1:
	s_load_dwordx8 s[4:11], s[0:1], 0x10
	s_load_dwordx2 s[22:23], s[0:1], 0x8
	s_load_dwordx2 s[12:13], s[0:1], 0x40
	s_mov_b32 s29, 0
	s_mov_b32 s25, s29
	s_waitcnt lgkmcnt(0)
	s_lshr_b32 s31, s10, 10
	s_cmp_lg_u32 s28, s31
	s_cselect_b64 s[14:15], -1, 0
	s_lshl_b64 s[16:17], s[28:29], 2
	s_add_u32 s12, s12, s16
	s_addc_u32 s13, s13, s17
	s_lshr_b32 s3, s11, 9
	s_and_b32 s3, s3, 0x7ffffe
	s_load_dwordx2 s[16:17], s[12:13], 0x0
	s_sub_i32 s3, 0, s3
	s_and_b32 s13, s28, s3
	s_lshl_b32 s18, s13, 10
	s_lshl_b32 s12, s28, 10
	;; [unrolled: 1-line block ×3, first 2 shown]
	s_sub_i32 s19, s12, s18
	s_add_i32 s13, s13, s11
	s_add_i32 s19, s13, s19
	s_waitcnt lgkmcnt(0)
	s_sub_i32 s20, s19, s16
	s_sub_i32 s19, s19, s17
	;; [unrolled: 1-line block ×3, first 2 shown]
	s_min_u32 s24, s10, s20
	s_addk_i32 s19, 0x400
	s_or_b32 s3, s28, s3
	s_min_u32 s18, s10, s13
	s_add_i32 s13, s13, s11
	s_cmp_eq_u32 s3, -1
	s_cselect_b32 s3, s13, s19
	s_cselect_b32 s11, s18, s17
	s_mov_b32 s17, s29
	s_min_u32 s13, s3, s10
	s_sub_i32 s11, s11, s16
	s_lshl_b64 s[16:17], s[16:17], 3
	s_add_u32 s20, s22, s16
	s_addc_u32 s21, s23, s17
	s_lshl_b64 s[18:19], s[24:25], 3
	s_add_u32 s22, s22, s18
	s_addc_u32 s23, s23, s19
	s_cmp_lt_u32 s2, s30
	v_mov_b32_e32 v3, 0
	s_cselect_b32 s2, 12, 18
	global_load_dword v1, v3, s[26:27] offset:14
	s_add_u32 s2, s26, s2
	s_addc_u32 s3, s27, 0
	global_load_ushort v2, v3, s[2:3]
	s_cmp_eq_u32 s28, s31
	s_waitcnt vmcnt(1)
	v_lshrrev_b32_e32 v4, 16, v1
	v_and_b32_e32 v1, 0xffff, v1
	v_mul_lo_u32 v1, v1, v4
	s_waitcnt vmcnt(0)
	v_mul_lo_u32 v1, v1, v2
	v_lshlrev_b32_e32 v2, 3, v0
	v_add_u32_e32 v12, v1, v0
	s_cbranch_scc1 .LBB1130_3
; %bb.2:
	v_subrev_co_u32_e32 v6, vcc, s11, v0
	v_mov_b32_e32 v7, v3
	v_lshl_add_u64 v[4:5], s[20:21], 0, v[2:3]
	v_lshl_add_u64 v[6:7], v[6:7], 3, s[22:23]
	v_cndmask_b32_e32 v5, v7, v5, vcc
	v_cndmask_b32_e32 v4, v6, v4, vcc
	global_load_dwordx2 v[4:5], v[4:5], off
	v_add_u32_e32 v8, v1, v0
	s_mov_b64 s[2:3], -1
	s_sub_i32 s26, s13, s24
	s_cbranch_execz .LBB1130_4
	s_branch .LBB1130_7
.LBB1130_3:
	s_mov_b64 s[2:3], 0
                                        ; implicit-def: $vgpr8
                                        ; implicit-def: $vgpr4_vgpr5
	s_sub_i32 s26, s13, s24
.LBB1130_4:
	s_add_i32 s13, s26, s11
	v_cmp_gt_u32_e32 vcc, s13, v0
	s_waitcnt vmcnt(0)
	v_mov_b64_e32 v[4:5], 0
	s_and_saveexec_b64 s[2:3], vcc
	s_cbranch_execz .LBB1130_6
; %bb.5:
	v_mov_b32_e32 v3, 0
	v_subrev_co_u32_e32 v6, vcc, s11, v0
	v_mov_b32_e32 v7, v3
	v_lshl_add_u64 v[4:5], s[20:21], 0, v[2:3]
	v_lshl_add_u64 v[6:7], v[6:7], 3, s[22:23]
	v_cndmask_b32_e32 v5, v7, v5, vcc
	v_cndmask_b32_e32 v4, v6, v4, vcc
	global_load_dwordx2 v[4:5], v[4:5], off
.LBB1130_6:
	s_or_b64 exec, exec, s[2:3]
	v_cmp_gt_u32_e64 s[2:3], s13, v12
	v_mov_b32_e32 v8, v12
.LBB1130_7:
	v_mov_b64_e32 v[6:7], 0
	s_and_saveexec_b64 s[24:25], s[2:3]
	s_cbranch_execz .LBB1130_9
; %bb.8:
	v_mov_b32_e32 v9, 0
	v_lshl_add_u64 v[6:7], v[8:9], 3, s[20:21]
	v_subrev_co_u32_e32 v8, vcc, s11, v8
	v_lshl_add_u64 v[8:9], v[8:9], 3, s[22:23]
	s_nop 0
	v_cndmask_b32_e32 v7, v9, v7, vcc
	v_cndmask_b32_e32 v6, v8, v6, vcc
	global_load_dwordx2 v[6:7], v[6:7], off
.LBB1130_9:
	s_or_b64 exec, exec, s[24:25]
	s_add_u32 s2, s6, s16
	s_addc_u32 s3, s7, s17
	s_add_u32 s16, s6, s18
	v_mov_b32_e32 v3, 0
	s_addc_u32 s17, s7, s19
	s_andn2_b64 vcc, exec, s[14:15]
	s_waitcnt vmcnt(0)
	ds_write2st64_b64 v2, v[4:5], v[6:7] offset1:8
	s_cbranch_vccnz .LBB1130_11
; %bb.10:
	v_subrev_co_u32_e32 v10, vcc, s11, v0
	v_mov_b32_e32 v11, v3
	v_lshl_add_u64 v[8:9], s[2:3], 0, v[2:3]
	v_lshl_add_u64 v[10:11], v[10:11], 3, s[16:17]
	v_cndmask_b32_e32 v9, v11, v9, vcc
	v_cndmask_b32_e32 v8, v10, v8, vcc
	v_mov_b32_e32 v13, v3
	v_subrev_co_u32_e32 v14, vcc, s11, v12
	v_mov_b32_e32 v15, v3
	v_lshl_add_u64 v[10:11], v[12:13], 3, s[2:3]
	v_lshl_add_u64 v[14:15], v[14:15], 3, s[16:17]
	v_cndmask_b32_e32 v11, v15, v11, vcc
	v_cndmask_b32_e32 v10, v14, v10, vcc
	global_load_dwordx2 v[8:9], v[8:9], off
	s_add_i32 s13, s26, s11
	global_load_dwordx2 v[10:11], v[10:11], off
	s_load_dwordx2 s[6:7], s[0:1], 0x38
	s_cbranch_execz .LBB1130_12
	s_branch .LBB1130_17
.LBB1130_11:
                                        ; implicit-def: $vgpr10_vgpr11
                                        ; implicit-def: $vgpr8_vgpr9
                                        ; implicit-def: $sgpr13
	s_load_dwordx2 s[6:7], s[0:1], 0x38
.LBB1130_12:
	s_add_i32 s13, s26, s11
	v_cmp_gt_u32_e32 vcc, s13, v0
	s_waitcnt vmcnt(0)
	v_mov_b64_e32 v[10:11], 0
	v_mov_b64_e32 v[8:9], 0
	s_and_saveexec_b64 s[0:1], vcc
	s_cbranch_execz .LBB1130_14
; %bb.13:
	v_mov_b32_e32 v3, 0
	v_subrev_co_u32_e32 v14, vcc, s11, v0
	v_mov_b32_e32 v15, v3
	v_lshl_add_u64 v[8:9], s[2:3], 0, v[2:3]
	v_lshl_add_u64 v[14:15], v[14:15], 3, s[16:17]
	v_cndmask_b32_e32 v9, v15, v9, vcc
	v_cndmask_b32_e32 v8, v14, v8, vcc
	global_load_dwordx2 v[8:9], v[8:9], off
.LBB1130_14:
	s_or_b64 exec, exec, s[0:1]
	v_cmp_gt_u32_e32 vcc, s13, v12
	s_and_saveexec_b64 s[0:1], vcc
	s_cbranch_execz .LBB1130_16
; %bb.15:
	v_mov_b32_e32 v13, 0
	v_lshl_add_u64 v[10:11], v[12:13], 3, s[2:3]
	v_subrev_co_u32_e32 v12, vcc, s11, v12
	v_lshl_add_u64 v[12:13], v[12:13], 3, s[16:17]
	s_nop 0
	v_cndmask_b32_e32 v11, v13, v11, vcc
	v_cndmask_b32_e32 v10, v12, v10, vcc
	global_load_dwordx2 v[10:11], v[10:11], off
.LBB1130_16:
	s_or_b64 exec, exec, s[0:1]
.LBB1130_17:
	v_lshlrev_b32_e32 v1, 1, v0
	v_min_u32_e32 v12, s13, v1
	v_sub_u32_e64 v3, v12, s26 clamp
	v_min_u32_e32 v13, s11, v12
	v_cmp_lt_u32_e32 vcc, v3, v13
	s_waitcnt lgkmcnt(0)
	s_barrier
	s_and_saveexec_b64 s[0:1], vcc
	s_cbranch_execz .LBB1130_21
; %bb.18:
	v_lshlrev_b32_e32 v14, 3, v12
	v_lshl_add_u32 v14, s11, 3, v14
	s_mov_b64 s[2:3], 0
.LBB1130_19:                            ; =>This Inner Loop Header: Depth=1
	v_add_u32_e32 v15, v13, v3
	v_lshrrev_b32_e32 v15, 1, v15
	v_not_b32_e32 v18, v15
	v_lshlrev_b32_e32 v16, 3, v15
	v_lshl_add_u32 v18, v18, 3, v14
	ds_read_b64 v[16:17], v16
	ds_read_b64 v[18:19], v18
	v_add_u32_e32 v20, 1, v15
	s_waitcnt lgkmcnt(1)
	v_and_b32_e32 v17, s7, v17
	v_and_b32_e32 v16, s6, v16
	s_waitcnt lgkmcnt(0)
	v_and_b32_e32 v19, s7, v19
	v_and_b32_e32 v18, s6, v18
	v_cmp_gt_i64_e32 vcc, v[16:17], v[18:19]
	s_nop 1
	v_cndmask_b32_e32 v13, v13, v15, vcc
	v_cndmask_b32_e32 v3, v20, v3, vcc
	v_cmp_ge_u32_e32 vcc, v3, v13
	s_or_b64 s[2:3], vcc, s[2:3]
	s_andn2_b64 exec, exec, s[2:3]
	s_cbranch_execnz .LBB1130_19
; %bb.20:
	s_or_b64 exec, exec, s[2:3]
.LBB1130_21:
	s_or_b64 exec, exec, s[0:1]
	v_sub_u32_e32 v12, v12, v3
	v_add_u32_e32 v14, s11, v12
	v_cmp_ge_u32_e32 vcc, s11, v3
	v_cmp_ge_u32_e64 s[0:1], s13, v14
	s_or_b64 s[0:1], vcc, s[0:1]
	v_mov_b32_e32 v12, 0
	v_mov_b32_e32 v15, 0
	s_and_saveexec_b64 s[16:17], s[0:1]
	s_cbranch_execz .LBB1130_27
; %bb.22:
	v_cmp_gt_u32_e32 vcc, s11, v3
                                        ; implicit-def: $vgpr6_vgpr7
	s_and_saveexec_b64 s[0:1], vcc
; %bb.23:
	v_lshlrev_b32_e32 v4, 3, v3
	ds_read_b64 v[6:7], v4
; %bb.24:
	s_or_b64 exec, exec, s[0:1]
	v_cmp_le_u32_e64 s[0:1], s13, v14
	v_cmp_gt_u32_e64 s[2:3], s13, v14
                                        ; implicit-def: $vgpr12_vgpr13
	s_and_saveexec_b64 s[18:19], s[2:3]
; %bb.25:
	v_lshlrev_b32_e32 v4, 3, v14
	ds_read_b64 v[12:13], v4
; %bb.26:
	s_or_b64 exec, exec, s[18:19]
	s_waitcnt lgkmcnt(0)
	v_and_b32_e32 v5, s7, v13
	v_and_b32_e32 v4, s6, v12
	;; [unrolled: 1-line block ×4, first 2 shown]
	v_cmp_le_i64_e64 s[2:3], v[16:17], v[4:5]
	s_and_b64 s[2:3], vcc, s[2:3]
	s_or_b64 vcc, s[0:1], s[2:3]
	v_mov_b32_e32 v4, s13
	v_mov_b32_e32 v5, s11
	v_cndmask_b32_e32 v15, v14, v3, vcc
	v_cndmask_b32_e32 v4, v4, v5, vcc
	v_add_u32_e32 v18, 1, v15
	v_add_u32_e32 v4, -1, v4
	v_min_u32_e32 v4, v18, v4
	v_lshlrev_b32_e32 v4, 3, v4
	ds_read_b64 v[16:17], v4
	v_cndmask_b32_e32 v5, v13, v7, vcc
	v_cndmask_b32_e32 v4, v12, v6, vcc
	v_cndmask_b32_e32 v3, v3, v18, vcc
	v_cndmask_b32_e32 v14, v18, v14, vcc
	s_waitcnt lgkmcnt(0)
	v_cndmask_b32_e32 v19, v17, v13, vcc
	v_cndmask_b32_e32 v20, v16, v12, vcc
	;; [unrolled: 1-line block ×4, first 2 shown]
	v_and_b32_e32 v7, s7, v19
	v_and_b32_e32 v6, s6, v20
	;; [unrolled: 1-line block ×4, first 2 shown]
	v_cmp_gt_u32_e64 s[0:1], s11, v3
	v_cmp_le_i64_e64 s[2:3], v[12:13], v[6:7]
	v_cmp_le_u32_e32 vcc, s13, v14
	s_and_b64 s[0:1], s[0:1], s[2:3]
	s_or_b64 vcc, vcc, s[0:1]
	v_cndmask_b32_e32 v12, v14, v3, vcc
	v_cndmask_b32_e32 v7, v19, v17, vcc
	;; [unrolled: 1-line block ×3, first 2 shown]
.LBB1130_27:
	s_or_b64 exec, exec, s[16:17]
	s_barrier
	s_waitcnt vmcnt(0)
	ds_write2st64_b64 v2, v[8:9], v[10:11] offset1:8
	v_lshlrev_b32_e32 v3, 3, v15
	v_lshlrev_b32_e32 v10, 3, v12
	s_waitcnt lgkmcnt(0)
	s_barrier
	ds_read_b64 v[8:9], v3
	ds_read_b64 v[10:11], v10
	v_lshrrev_b32_e32 v3, 1, v0
	s_mov_b32 s13, 0
	v_and_b32_e32 v3, 0xf8, v3
	v_or_b32_e32 v14, 0x200, v0
	s_lshl_b64 s[2:3], s[12:13], 3
	v_lshl_add_u32 v12, v1, 3, v3
	v_lshrrev_b32_e32 v3, 2, v14
	s_add_u32 s0, s4, s2
	v_lshrrev_b32_e32 v1, 2, v0
	v_and_b32_e32 v3, 0xf8, v3
	s_addc_u32 s1, s5, s3
	v_and_b32_e32 v1, 0x78, v1
	v_add_u32_e32 v13, v3, v2
	v_mov_b32_e32 v3, 0
	s_waitcnt lgkmcnt(0)
	s_barrier
	s_barrier
	ds_write2_b64 v12, v[4:5], v[6:7] offset1:1
	v_add_u32_e32 v1, v1, v2
	v_lshl_add_u64 v[4:5], s[0:1], 0, v[2:3]
	s_and_b64 vcc, exec, s[14:15]
	s_waitcnt lgkmcnt(0)
	s_cbranch_vccz .LBB1130_29
; %bb.28:
	s_barrier
	ds_read_b64 v[6:7], v1
	ds_read_b64 v[16:17], v13 offset:4096
	s_add_u32 s0, s8, s2
	s_addc_u32 s1, s9, s3
	s_mov_b64 s[4:5], -1
	s_waitcnt lgkmcnt(1)
	global_store_dwordx2 v[4:5], v[6:7], off
	v_add_co_u32_e32 v6, vcc, 0x1000, v4
	s_nop 1
	v_addc_co_u32_e32 v7, vcc, 0, v5, vcc
	s_waitcnt lgkmcnt(0)
	global_store_dwordx2 v[6:7], v[16:17], off
	s_barrier
	ds_write2_b64 v12, v[8:9], v[10:11] offset1:1
	s_waitcnt lgkmcnt(0)
	s_barrier
	ds_read_b64 v[16:17], v1
	ds_read_b64 v[6:7], v13 offset:4096
	s_waitcnt lgkmcnt(1)
	global_store_dwordx2 v2, v[16:17], s[0:1]
	s_cbranch_execz .LBB1130_30
	s_branch .LBB1130_37
.LBB1130_29:
	s_mov_b64 s[4:5], 0
                                        ; implicit-def: $vgpr6_vgpr7
.LBB1130_30:
	s_barrier
	s_waitcnt lgkmcnt(0)
	ds_read_b64 v[6:7], v13 offset:4096
	s_sub_i32 s6, s10, s12
	v_cmp_gt_u32_e64 s[0:1], s6, v0
	s_and_saveexec_b64 s[4:5], s[0:1]
	s_cbranch_execz .LBB1130_32
; %bb.31:
	ds_read_b64 v[16:17], v1
	s_waitcnt lgkmcnt(0)
	global_store_dwordx2 v[4:5], v[16:17], off
.LBB1130_32:
	s_or_b64 exec, exec, s[4:5]
	v_cmp_gt_u32_e64 s[4:5], s6, v14
	s_and_saveexec_b64 s[6:7], s[4:5]
	s_cbranch_execz .LBB1130_34
; %bb.33:
	v_add_co_u32_e32 v4, vcc, 0x1000, v4
	s_nop 1
	v_addc_co_u32_e32 v5, vcc, 0, v5, vcc
	s_waitcnt lgkmcnt(0)
	global_store_dwordx2 v[4:5], v[6:7], off
.LBB1130_34:
	s_or_b64 exec, exec, s[6:7]
	s_waitcnt lgkmcnt(0)
	s_barrier
	ds_write2_b64 v12, v[8:9], v[10:11] offset1:1
	s_waitcnt lgkmcnt(0)
	s_barrier
	ds_read_b64 v[6:7], v13 offset:4096
	s_and_saveexec_b64 s[6:7], s[0:1]
	s_cbranch_execz .LBB1130_36
; %bb.35:
	ds_read_b64 v[0:1], v1
	s_add_u32 s0, s8, s2
	s_addc_u32 s1, s9, s3
	s_waitcnt lgkmcnt(0)
	global_store_dwordx2 v2, v[0:1], s[0:1]
.LBB1130_36:
	s_or_b64 exec, exec, s[6:7]
.LBB1130_37:
	s_and_saveexec_b64 s[0:1], s[4:5]
	s_cbranch_execz .LBB1130_39
; %bb.38:
	s_add_u32 s0, s8, s2
	s_addc_u32 s1, s9, s3
	v_mov_b32_e32 v3, 0
	v_lshl_add_u64 v[0:1], s[0:1], 0, v[2:3]
	v_add_co_u32_e32 v0, vcc, 0x1000, v0
	s_nop 1
	v_addc_co_u32_e32 v1, vcc, 0, v1, vcc
	s_waitcnt lgkmcnt(0)
	global_store_dwordx2 v[0:1], v[6:7], off
.LBB1130_39:
	s_endpgm
	.section	.rodata,"a",@progbits
	.p2align	6, 0x0
	.amdhsa_kernel _ZN7rocprim17ROCPRIM_400000_NS6detail17trampoline_kernelINS0_14default_configENS1_38merge_sort_block_merge_config_selectorIxxEEZZNS1_27merge_sort_block_merge_implIS3_N6thrust23THRUST_200600_302600_NS6detail15normal_iteratorINS8_10device_ptrIxEEEESD_jNS1_19radix_merge_compareILb0ELb1ExNS0_19identity_decomposerEEEEE10hipError_tT0_T1_T2_jT3_P12ihipStream_tbPNSt15iterator_traitsISI_E10value_typeEPNSO_ISJ_E10value_typeEPSK_NS1_7vsmem_tEENKUlT_SI_SJ_SK_E_clIPxSD_S10_SD_EESH_SX_SI_SJ_SK_EUlSX_E0_NS1_11comp_targetILNS1_3genE0ELNS1_11target_archE4294967295ELNS1_3gpuE0ELNS1_3repE0EEENS1_38merge_mergepath_config_static_selectorELNS0_4arch9wavefront6targetE1EEEvSJ_
		.amdhsa_group_segment_fixed_size 8448
		.amdhsa_private_segment_fixed_size 0
		.amdhsa_kernarg_size 328
		.amdhsa_user_sgpr_count 2
		.amdhsa_user_sgpr_dispatch_ptr 0
		.amdhsa_user_sgpr_queue_ptr 0
		.amdhsa_user_sgpr_kernarg_segment_ptr 1
		.amdhsa_user_sgpr_dispatch_id 0
		.amdhsa_user_sgpr_kernarg_preload_length 0
		.amdhsa_user_sgpr_kernarg_preload_offset 0
		.amdhsa_user_sgpr_private_segment_size 0
		.amdhsa_uses_dynamic_stack 0
		.amdhsa_enable_private_segment 0
		.amdhsa_system_sgpr_workgroup_id_x 1
		.amdhsa_system_sgpr_workgroup_id_y 1
		.amdhsa_system_sgpr_workgroup_id_z 1
		.amdhsa_system_sgpr_workgroup_info 0
		.amdhsa_system_vgpr_workitem_id 0
		.amdhsa_next_free_vgpr 21
		.amdhsa_next_free_sgpr 32
		.amdhsa_accum_offset 24
		.amdhsa_reserve_vcc 1
		.amdhsa_float_round_mode_32 0
		.amdhsa_float_round_mode_16_64 0
		.amdhsa_float_denorm_mode_32 3
		.amdhsa_float_denorm_mode_16_64 3
		.amdhsa_dx10_clamp 1
		.amdhsa_ieee_mode 1
		.amdhsa_fp16_overflow 0
		.amdhsa_tg_split 0
		.amdhsa_exception_fp_ieee_invalid_op 0
		.amdhsa_exception_fp_denorm_src 0
		.amdhsa_exception_fp_ieee_div_zero 0
		.amdhsa_exception_fp_ieee_overflow 0
		.amdhsa_exception_fp_ieee_underflow 0
		.amdhsa_exception_fp_ieee_inexact 0
		.amdhsa_exception_int_div_zero 0
	.end_amdhsa_kernel
	.section	.text._ZN7rocprim17ROCPRIM_400000_NS6detail17trampoline_kernelINS0_14default_configENS1_38merge_sort_block_merge_config_selectorIxxEEZZNS1_27merge_sort_block_merge_implIS3_N6thrust23THRUST_200600_302600_NS6detail15normal_iteratorINS8_10device_ptrIxEEEESD_jNS1_19radix_merge_compareILb0ELb1ExNS0_19identity_decomposerEEEEE10hipError_tT0_T1_T2_jT3_P12ihipStream_tbPNSt15iterator_traitsISI_E10value_typeEPNSO_ISJ_E10value_typeEPSK_NS1_7vsmem_tEENKUlT_SI_SJ_SK_E_clIPxSD_S10_SD_EESH_SX_SI_SJ_SK_EUlSX_E0_NS1_11comp_targetILNS1_3genE0ELNS1_11target_archE4294967295ELNS1_3gpuE0ELNS1_3repE0EEENS1_38merge_mergepath_config_static_selectorELNS0_4arch9wavefront6targetE1EEEvSJ_,"axG",@progbits,_ZN7rocprim17ROCPRIM_400000_NS6detail17trampoline_kernelINS0_14default_configENS1_38merge_sort_block_merge_config_selectorIxxEEZZNS1_27merge_sort_block_merge_implIS3_N6thrust23THRUST_200600_302600_NS6detail15normal_iteratorINS8_10device_ptrIxEEEESD_jNS1_19radix_merge_compareILb0ELb1ExNS0_19identity_decomposerEEEEE10hipError_tT0_T1_T2_jT3_P12ihipStream_tbPNSt15iterator_traitsISI_E10value_typeEPNSO_ISJ_E10value_typeEPSK_NS1_7vsmem_tEENKUlT_SI_SJ_SK_E_clIPxSD_S10_SD_EESH_SX_SI_SJ_SK_EUlSX_E0_NS1_11comp_targetILNS1_3genE0ELNS1_11target_archE4294967295ELNS1_3gpuE0ELNS1_3repE0EEENS1_38merge_mergepath_config_static_selectorELNS0_4arch9wavefront6targetE1EEEvSJ_,comdat
.Lfunc_end1130:
	.size	_ZN7rocprim17ROCPRIM_400000_NS6detail17trampoline_kernelINS0_14default_configENS1_38merge_sort_block_merge_config_selectorIxxEEZZNS1_27merge_sort_block_merge_implIS3_N6thrust23THRUST_200600_302600_NS6detail15normal_iteratorINS8_10device_ptrIxEEEESD_jNS1_19radix_merge_compareILb0ELb1ExNS0_19identity_decomposerEEEEE10hipError_tT0_T1_T2_jT3_P12ihipStream_tbPNSt15iterator_traitsISI_E10value_typeEPNSO_ISJ_E10value_typeEPSK_NS1_7vsmem_tEENKUlT_SI_SJ_SK_E_clIPxSD_S10_SD_EESH_SX_SI_SJ_SK_EUlSX_E0_NS1_11comp_targetILNS1_3genE0ELNS1_11target_archE4294967295ELNS1_3gpuE0ELNS1_3repE0EEENS1_38merge_mergepath_config_static_selectorELNS0_4arch9wavefront6targetE1EEEvSJ_, .Lfunc_end1130-_ZN7rocprim17ROCPRIM_400000_NS6detail17trampoline_kernelINS0_14default_configENS1_38merge_sort_block_merge_config_selectorIxxEEZZNS1_27merge_sort_block_merge_implIS3_N6thrust23THRUST_200600_302600_NS6detail15normal_iteratorINS8_10device_ptrIxEEEESD_jNS1_19radix_merge_compareILb0ELb1ExNS0_19identity_decomposerEEEEE10hipError_tT0_T1_T2_jT3_P12ihipStream_tbPNSt15iterator_traitsISI_E10value_typeEPNSO_ISJ_E10value_typeEPSK_NS1_7vsmem_tEENKUlT_SI_SJ_SK_E_clIPxSD_S10_SD_EESH_SX_SI_SJ_SK_EUlSX_E0_NS1_11comp_targetILNS1_3genE0ELNS1_11target_archE4294967295ELNS1_3gpuE0ELNS1_3repE0EEENS1_38merge_mergepath_config_static_selectorELNS0_4arch9wavefront6targetE1EEEvSJ_
                                        ; -- End function
	.set _ZN7rocprim17ROCPRIM_400000_NS6detail17trampoline_kernelINS0_14default_configENS1_38merge_sort_block_merge_config_selectorIxxEEZZNS1_27merge_sort_block_merge_implIS3_N6thrust23THRUST_200600_302600_NS6detail15normal_iteratorINS8_10device_ptrIxEEEESD_jNS1_19radix_merge_compareILb0ELb1ExNS0_19identity_decomposerEEEEE10hipError_tT0_T1_T2_jT3_P12ihipStream_tbPNSt15iterator_traitsISI_E10value_typeEPNSO_ISJ_E10value_typeEPSK_NS1_7vsmem_tEENKUlT_SI_SJ_SK_E_clIPxSD_S10_SD_EESH_SX_SI_SJ_SK_EUlSX_E0_NS1_11comp_targetILNS1_3genE0ELNS1_11target_archE4294967295ELNS1_3gpuE0ELNS1_3repE0EEENS1_38merge_mergepath_config_static_selectorELNS0_4arch9wavefront6targetE1EEEvSJ_.num_vgpr, 21
	.set _ZN7rocprim17ROCPRIM_400000_NS6detail17trampoline_kernelINS0_14default_configENS1_38merge_sort_block_merge_config_selectorIxxEEZZNS1_27merge_sort_block_merge_implIS3_N6thrust23THRUST_200600_302600_NS6detail15normal_iteratorINS8_10device_ptrIxEEEESD_jNS1_19radix_merge_compareILb0ELb1ExNS0_19identity_decomposerEEEEE10hipError_tT0_T1_T2_jT3_P12ihipStream_tbPNSt15iterator_traitsISI_E10value_typeEPNSO_ISJ_E10value_typeEPSK_NS1_7vsmem_tEENKUlT_SI_SJ_SK_E_clIPxSD_S10_SD_EESH_SX_SI_SJ_SK_EUlSX_E0_NS1_11comp_targetILNS1_3genE0ELNS1_11target_archE4294967295ELNS1_3gpuE0ELNS1_3repE0EEENS1_38merge_mergepath_config_static_selectorELNS0_4arch9wavefront6targetE1EEEvSJ_.num_agpr, 0
	.set _ZN7rocprim17ROCPRIM_400000_NS6detail17trampoline_kernelINS0_14default_configENS1_38merge_sort_block_merge_config_selectorIxxEEZZNS1_27merge_sort_block_merge_implIS3_N6thrust23THRUST_200600_302600_NS6detail15normal_iteratorINS8_10device_ptrIxEEEESD_jNS1_19radix_merge_compareILb0ELb1ExNS0_19identity_decomposerEEEEE10hipError_tT0_T1_T2_jT3_P12ihipStream_tbPNSt15iterator_traitsISI_E10value_typeEPNSO_ISJ_E10value_typeEPSK_NS1_7vsmem_tEENKUlT_SI_SJ_SK_E_clIPxSD_S10_SD_EESH_SX_SI_SJ_SK_EUlSX_E0_NS1_11comp_targetILNS1_3genE0ELNS1_11target_archE4294967295ELNS1_3gpuE0ELNS1_3repE0EEENS1_38merge_mergepath_config_static_selectorELNS0_4arch9wavefront6targetE1EEEvSJ_.numbered_sgpr, 32
	.set _ZN7rocprim17ROCPRIM_400000_NS6detail17trampoline_kernelINS0_14default_configENS1_38merge_sort_block_merge_config_selectorIxxEEZZNS1_27merge_sort_block_merge_implIS3_N6thrust23THRUST_200600_302600_NS6detail15normal_iteratorINS8_10device_ptrIxEEEESD_jNS1_19radix_merge_compareILb0ELb1ExNS0_19identity_decomposerEEEEE10hipError_tT0_T1_T2_jT3_P12ihipStream_tbPNSt15iterator_traitsISI_E10value_typeEPNSO_ISJ_E10value_typeEPSK_NS1_7vsmem_tEENKUlT_SI_SJ_SK_E_clIPxSD_S10_SD_EESH_SX_SI_SJ_SK_EUlSX_E0_NS1_11comp_targetILNS1_3genE0ELNS1_11target_archE4294967295ELNS1_3gpuE0ELNS1_3repE0EEENS1_38merge_mergepath_config_static_selectorELNS0_4arch9wavefront6targetE1EEEvSJ_.num_named_barrier, 0
	.set _ZN7rocprim17ROCPRIM_400000_NS6detail17trampoline_kernelINS0_14default_configENS1_38merge_sort_block_merge_config_selectorIxxEEZZNS1_27merge_sort_block_merge_implIS3_N6thrust23THRUST_200600_302600_NS6detail15normal_iteratorINS8_10device_ptrIxEEEESD_jNS1_19radix_merge_compareILb0ELb1ExNS0_19identity_decomposerEEEEE10hipError_tT0_T1_T2_jT3_P12ihipStream_tbPNSt15iterator_traitsISI_E10value_typeEPNSO_ISJ_E10value_typeEPSK_NS1_7vsmem_tEENKUlT_SI_SJ_SK_E_clIPxSD_S10_SD_EESH_SX_SI_SJ_SK_EUlSX_E0_NS1_11comp_targetILNS1_3genE0ELNS1_11target_archE4294967295ELNS1_3gpuE0ELNS1_3repE0EEENS1_38merge_mergepath_config_static_selectorELNS0_4arch9wavefront6targetE1EEEvSJ_.private_seg_size, 0
	.set _ZN7rocprim17ROCPRIM_400000_NS6detail17trampoline_kernelINS0_14default_configENS1_38merge_sort_block_merge_config_selectorIxxEEZZNS1_27merge_sort_block_merge_implIS3_N6thrust23THRUST_200600_302600_NS6detail15normal_iteratorINS8_10device_ptrIxEEEESD_jNS1_19radix_merge_compareILb0ELb1ExNS0_19identity_decomposerEEEEE10hipError_tT0_T1_T2_jT3_P12ihipStream_tbPNSt15iterator_traitsISI_E10value_typeEPNSO_ISJ_E10value_typeEPSK_NS1_7vsmem_tEENKUlT_SI_SJ_SK_E_clIPxSD_S10_SD_EESH_SX_SI_SJ_SK_EUlSX_E0_NS1_11comp_targetILNS1_3genE0ELNS1_11target_archE4294967295ELNS1_3gpuE0ELNS1_3repE0EEENS1_38merge_mergepath_config_static_selectorELNS0_4arch9wavefront6targetE1EEEvSJ_.uses_vcc, 1
	.set _ZN7rocprim17ROCPRIM_400000_NS6detail17trampoline_kernelINS0_14default_configENS1_38merge_sort_block_merge_config_selectorIxxEEZZNS1_27merge_sort_block_merge_implIS3_N6thrust23THRUST_200600_302600_NS6detail15normal_iteratorINS8_10device_ptrIxEEEESD_jNS1_19radix_merge_compareILb0ELb1ExNS0_19identity_decomposerEEEEE10hipError_tT0_T1_T2_jT3_P12ihipStream_tbPNSt15iterator_traitsISI_E10value_typeEPNSO_ISJ_E10value_typeEPSK_NS1_7vsmem_tEENKUlT_SI_SJ_SK_E_clIPxSD_S10_SD_EESH_SX_SI_SJ_SK_EUlSX_E0_NS1_11comp_targetILNS1_3genE0ELNS1_11target_archE4294967295ELNS1_3gpuE0ELNS1_3repE0EEENS1_38merge_mergepath_config_static_selectorELNS0_4arch9wavefront6targetE1EEEvSJ_.uses_flat_scratch, 0
	.set _ZN7rocprim17ROCPRIM_400000_NS6detail17trampoline_kernelINS0_14default_configENS1_38merge_sort_block_merge_config_selectorIxxEEZZNS1_27merge_sort_block_merge_implIS3_N6thrust23THRUST_200600_302600_NS6detail15normal_iteratorINS8_10device_ptrIxEEEESD_jNS1_19radix_merge_compareILb0ELb1ExNS0_19identity_decomposerEEEEE10hipError_tT0_T1_T2_jT3_P12ihipStream_tbPNSt15iterator_traitsISI_E10value_typeEPNSO_ISJ_E10value_typeEPSK_NS1_7vsmem_tEENKUlT_SI_SJ_SK_E_clIPxSD_S10_SD_EESH_SX_SI_SJ_SK_EUlSX_E0_NS1_11comp_targetILNS1_3genE0ELNS1_11target_archE4294967295ELNS1_3gpuE0ELNS1_3repE0EEENS1_38merge_mergepath_config_static_selectorELNS0_4arch9wavefront6targetE1EEEvSJ_.has_dyn_sized_stack, 0
	.set _ZN7rocprim17ROCPRIM_400000_NS6detail17trampoline_kernelINS0_14default_configENS1_38merge_sort_block_merge_config_selectorIxxEEZZNS1_27merge_sort_block_merge_implIS3_N6thrust23THRUST_200600_302600_NS6detail15normal_iteratorINS8_10device_ptrIxEEEESD_jNS1_19radix_merge_compareILb0ELb1ExNS0_19identity_decomposerEEEEE10hipError_tT0_T1_T2_jT3_P12ihipStream_tbPNSt15iterator_traitsISI_E10value_typeEPNSO_ISJ_E10value_typeEPSK_NS1_7vsmem_tEENKUlT_SI_SJ_SK_E_clIPxSD_S10_SD_EESH_SX_SI_SJ_SK_EUlSX_E0_NS1_11comp_targetILNS1_3genE0ELNS1_11target_archE4294967295ELNS1_3gpuE0ELNS1_3repE0EEENS1_38merge_mergepath_config_static_selectorELNS0_4arch9wavefront6targetE1EEEvSJ_.has_recursion, 0
	.set _ZN7rocprim17ROCPRIM_400000_NS6detail17trampoline_kernelINS0_14default_configENS1_38merge_sort_block_merge_config_selectorIxxEEZZNS1_27merge_sort_block_merge_implIS3_N6thrust23THRUST_200600_302600_NS6detail15normal_iteratorINS8_10device_ptrIxEEEESD_jNS1_19radix_merge_compareILb0ELb1ExNS0_19identity_decomposerEEEEE10hipError_tT0_T1_T2_jT3_P12ihipStream_tbPNSt15iterator_traitsISI_E10value_typeEPNSO_ISJ_E10value_typeEPSK_NS1_7vsmem_tEENKUlT_SI_SJ_SK_E_clIPxSD_S10_SD_EESH_SX_SI_SJ_SK_EUlSX_E0_NS1_11comp_targetILNS1_3genE0ELNS1_11target_archE4294967295ELNS1_3gpuE0ELNS1_3repE0EEENS1_38merge_mergepath_config_static_selectorELNS0_4arch9wavefront6targetE1EEEvSJ_.has_indirect_call, 0
	.section	.AMDGPU.csdata,"",@progbits
; Kernel info:
; codeLenInByte = 1816
; TotalNumSgprs: 38
; NumVgprs: 21
; NumAgprs: 0
; TotalNumVgprs: 21
; ScratchSize: 0
; MemoryBound: 0
; FloatMode: 240
; IeeeMode: 1
; LDSByteSize: 8448 bytes/workgroup (compile time only)
; SGPRBlocks: 4
; VGPRBlocks: 2
; NumSGPRsForWavesPerEU: 38
; NumVGPRsForWavesPerEU: 21
; AccumOffset: 24
; Occupancy: 8
; WaveLimiterHint : 1
; COMPUTE_PGM_RSRC2:SCRATCH_EN: 0
; COMPUTE_PGM_RSRC2:USER_SGPR: 2
; COMPUTE_PGM_RSRC2:TRAP_HANDLER: 0
; COMPUTE_PGM_RSRC2:TGID_X_EN: 1
; COMPUTE_PGM_RSRC2:TGID_Y_EN: 1
; COMPUTE_PGM_RSRC2:TGID_Z_EN: 1
; COMPUTE_PGM_RSRC2:TIDIG_COMP_CNT: 0
; COMPUTE_PGM_RSRC3_GFX90A:ACCUM_OFFSET: 5
; COMPUTE_PGM_RSRC3_GFX90A:TG_SPLIT: 0
	.section	.text._ZN7rocprim17ROCPRIM_400000_NS6detail17trampoline_kernelINS0_14default_configENS1_38merge_sort_block_merge_config_selectorIxxEEZZNS1_27merge_sort_block_merge_implIS3_N6thrust23THRUST_200600_302600_NS6detail15normal_iteratorINS8_10device_ptrIxEEEESD_jNS1_19radix_merge_compareILb0ELb1ExNS0_19identity_decomposerEEEEE10hipError_tT0_T1_T2_jT3_P12ihipStream_tbPNSt15iterator_traitsISI_E10value_typeEPNSO_ISJ_E10value_typeEPSK_NS1_7vsmem_tEENKUlT_SI_SJ_SK_E_clIPxSD_S10_SD_EESH_SX_SI_SJ_SK_EUlSX_E0_NS1_11comp_targetILNS1_3genE10ELNS1_11target_archE1201ELNS1_3gpuE5ELNS1_3repE0EEENS1_38merge_mergepath_config_static_selectorELNS0_4arch9wavefront6targetE1EEEvSJ_,"axG",@progbits,_ZN7rocprim17ROCPRIM_400000_NS6detail17trampoline_kernelINS0_14default_configENS1_38merge_sort_block_merge_config_selectorIxxEEZZNS1_27merge_sort_block_merge_implIS3_N6thrust23THRUST_200600_302600_NS6detail15normal_iteratorINS8_10device_ptrIxEEEESD_jNS1_19radix_merge_compareILb0ELb1ExNS0_19identity_decomposerEEEEE10hipError_tT0_T1_T2_jT3_P12ihipStream_tbPNSt15iterator_traitsISI_E10value_typeEPNSO_ISJ_E10value_typeEPSK_NS1_7vsmem_tEENKUlT_SI_SJ_SK_E_clIPxSD_S10_SD_EESH_SX_SI_SJ_SK_EUlSX_E0_NS1_11comp_targetILNS1_3genE10ELNS1_11target_archE1201ELNS1_3gpuE5ELNS1_3repE0EEENS1_38merge_mergepath_config_static_selectorELNS0_4arch9wavefront6targetE1EEEvSJ_,comdat
	.protected	_ZN7rocprim17ROCPRIM_400000_NS6detail17trampoline_kernelINS0_14default_configENS1_38merge_sort_block_merge_config_selectorIxxEEZZNS1_27merge_sort_block_merge_implIS3_N6thrust23THRUST_200600_302600_NS6detail15normal_iteratorINS8_10device_ptrIxEEEESD_jNS1_19radix_merge_compareILb0ELb1ExNS0_19identity_decomposerEEEEE10hipError_tT0_T1_T2_jT3_P12ihipStream_tbPNSt15iterator_traitsISI_E10value_typeEPNSO_ISJ_E10value_typeEPSK_NS1_7vsmem_tEENKUlT_SI_SJ_SK_E_clIPxSD_S10_SD_EESH_SX_SI_SJ_SK_EUlSX_E0_NS1_11comp_targetILNS1_3genE10ELNS1_11target_archE1201ELNS1_3gpuE5ELNS1_3repE0EEENS1_38merge_mergepath_config_static_selectorELNS0_4arch9wavefront6targetE1EEEvSJ_ ; -- Begin function _ZN7rocprim17ROCPRIM_400000_NS6detail17trampoline_kernelINS0_14default_configENS1_38merge_sort_block_merge_config_selectorIxxEEZZNS1_27merge_sort_block_merge_implIS3_N6thrust23THRUST_200600_302600_NS6detail15normal_iteratorINS8_10device_ptrIxEEEESD_jNS1_19radix_merge_compareILb0ELb1ExNS0_19identity_decomposerEEEEE10hipError_tT0_T1_T2_jT3_P12ihipStream_tbPNSt15iterator_traitsISI_E10value_typeEPNSO_ISJ_E10value_typeEPSK_NS1_7vsmem_tEENKUlT_SI_SJ_SK_E_clIPxSD_S10_SD_EESH_SX_SI_SJ_SK_EUlSX_E0_NS1_11comp_targetILNS1_3genE10ELNS1_11target_archE1201ELNS1_3gpuE5ELNS1_3repE0EEENS1_38merge_mergepath_config_static_selectorELNS0_4arch9wavefront6targetE1EEEvSJ_
	.globl	_ZN7rocprim17ROCPRIM_400000_NS6detail17trampoline_kernelINS0_14default_configENS1_38merge_sort_block_merge_config_selectorIxxEEZZNS1_27merge_sort_block_merge_implIS3_N6thrust23THRUST_200600_302600_NS6detail15normal_iteratorINS8_10device_ptrIxEEEESD_jNS1_19radix_merge_compareILb0ELb1ExNS0_19identity_decomposerEEEEE10hipError_tT0_T1_T2_jT3_P12ihipStream_tbPNSt15iterator_traitsISI_E10value_typeEPNSO_ISJ_E10value_typeEPSK_NS1_7vsmem_tEENKUlT_SI_SJ_SK_E_clIPxSD_S10_SD_EESH_SX_SI_SJ_SK_EUlSX_E0_NS1_11comp_targetILNS1_3genE10ELNS1_11target_archE1201ELNS1_3gpuE5ELNS1_3repE0EEENS1_38merge_mergepath_config_static_selectorELNS0_4arch9wavefront6targetE1EEEvSJ_
	.p2align	8
	.type	_ZN7rocprim17ROCPRIM_400000_NS6detail17trampoline_kernelINS0_14default_configENS1_38merge_sort_block_merge_config_selectorIxxEEZZNS1_27merge_sort_block_merge_implIS3_N6thrust23THRUST_200600_302600_NS6detail15normal_iteratorINS8_10device_ptrIxEEEESD_jNS1_19radix_merge_compareILb0ELb1ExNS0_19identity_decomposerEEEEE10hipError_tT0_T1_T2_jT3_P12ihipStream_tbPNSt15iterator_traitsISI_E10value_typeEPNSO_ISJ_E10value_typeEPSK_NS1_7vsmem_tEENKUlT_SI_SJ_SK_E_clIPxSD_S10_SD_EESH_SX_SI_SJ_SK_EUlSX_E0_NS1_11comp_targetILNS1_3genE10ELNS1_11target_archE1201ELNS1_3gpuE5ELNS1_3repE0EEENS1_38merge_mergepath_config_static_selectorELNS0_4arch9wavefront6targetE1EEEvSJ_,@function
_ZN7rocprim17ROCPRIM_400000_NS6detail17trampoline_kernelINS0_14default_configENS1_38merge_sort_block_merge_config_selectorIxxEEZZNS1_27merge_sort_block_merge_implIS3_N6thrust23THRUST_200600_302600_NS6detail15normal_iteratorINS8_10device_ptrIxEEEESD_jNS1_19radix_merge_compareILb0ELb1ExNS0_19identity_decomposerEEEEE10hipError_tT0_T1_T2_jT3_P12ihipStream_tbPNSt15iterator_traitsISI_E10value_typeEPNSO_ISJ_E10value_typeEPSK_NS1_7vsmem_tEENKUlT_SI_SJ_SK_E_clIPxSD_S10_SD_EESH_SX_SI_SJ_SK_EUlSX_E0_NS1_11comp_targetILNS1_3genE10ELNS1_11target_archE1201ELNS1_3gpuE5ELNS1_3repE0EEENS1_38merge_mergepath_config_static_selectorELNS0_4arch9wavefront6targetE1EEEvSJ_: ; @_ZN7rocprim17ROCPRIM_400000_NS6detail17trampoline_kernelINS0_14default_configENS1_38merge_sort_block_merge_config_selectorIxxEEZZNS1_27merge_sort_block_merge_implIS3_N6thrust23THRUST_200600_302600_NS6detail15normal_iteratorINS8_10device_ptrIxEEEESD_jNS1_19radix_merge_compareILb0ELb1ExNS0_19identity_decomposerEEEEE10hipError_tT0_T1_T2_jT3_P12ihipStream_tbPNSt15iterator_traitsISI_E10value_typeEPNSO_ISJ_E10value_typeEPSK_NS1_7vsmem_tEENKUlT_SI_SJ_SK_E_clIPxSD_S10_SD_EESH_SX_SI_SJ_SK_EUlSX_E0_NS1_11comp_targetILNS1_3genE10ELNS1_11target_archE1201ELNS1_3gpuE5ELNS1_3repE0EEENS1_38merge_mergepath_config_static_selectorELNS0_4arch9wavefront6targetE1EEEvSJ_
; %bb.0:
	.section	.rodata,"a",@progbits
	.p2align	6, 0x0
	.amdhsa_kernel _ZN7rocprim17ROCPRIM_400000_NS6detail17trampoline_kernelINS0_14default_configENS1_38merge_sort_block_merge_config_selectorIxxEEZZNS1_27merge_sort_block_merge_implIS3_N6thrust23THRUST_200600_302600_NS6detail15normal_iteratorINS8_10device_ptrIxEEEESD_jNS1_19radix_merge_compareILb0ELb1ExNS0_19identity_decomposerEEEEE10hipError_tT0_T1_T2_jT3_P12ihipStream_tbPNSt15iterator_traitsISI_E10value_typeEPNSO_ISJ_E10value_typeEPSK_NS1_7vsmem_tEENKUlT_SI_SJ_SK_E_clIPxSD_S10_SD_EESH_SX_SI_SJ_SK_EUlSX_E0_NS1_11comp_targetILNS1_3genE10ELNS1_11target_archE1201ELNS1_3gpuE5ELNS1_3repE0EEENS1_38merge_mergepath_config_static_selectorELNS0_4arch9wavefront6targetE1EEEvSJ_
		.amdhsa_group_segment_fixed_size 0
		.amdhsa_private_segment_fixed_size 0
		.amdhsa_kernarg_size 72
		.amdhsa_user_sgpr_count 2
		.amdhsa_user_sgpr_dispatch_ptr 0
		.amdhsa_user_sgpr_queue_ptr 0
		.amdhsa_user_sgpr_kernarg_segment_ptr 1
		.amdhsa_user_sgpr_dispatch_id 0
		.amdhsa_user_sgpr_kernarg_preload_length 0
		.amdhsa_user_sgpr_kernarg_preload_offset 0
		.amdhsa_user_sgpr_private_segment_size 0
		.amdhsa_uses_dynamic_stack 0
		.amdhsa_enable_private_segment 0
		.amdhsa_system_sgpr_workgroup_id_x 1
		.amdhsa_system_sgpr_workgroup_id_y 0
		.amdhsa_system_sgpr_workgroup_id_z 0
		.amdhsa_system_sgpr_workgroup_info 0
		.amdhsa_system_vgpr_workitem_id 0
		.amdhsa_next_free_vgpr 1
		.amdhsa_next_free_sgpr 0
		.amdhsa_accum_offset 4
		.amdhsa_reserve_vcc 0
		.amdhsa_float_round_mode_32 0
		.amdhsa_float_round_mode_16_64 0
		.amdhsa_float_denorm_mode_32 3
		.amdhsa_float_denorm_mode_16_64 3
		.amdhsa_dx10_clamp 1
		.amdhsa_ieee_mode 1
		.amdhsa_fp16_overflow 0
		.amdhsa_tg_split 0
		.amdhsa_exception_fp_ieee_invalid_op 0
		.amdhsa_exception_fp_denorm_src 0
		.amdhsa_exception_fp_ieee_div_zero 0
		.amdhsa_exception_fp_ieee_overflow 0
		.amdhsa_exception_fp_ieee_underflow 0
		.amdhsa_exception_fp_ieee_inexact 0
		.amdhsa_exception_int_div_zero 0
	.end_amdhsa_kernel
	.section	.text._ZN7rocprim17ROCPRIM_400000_NS6detail17trampoline_kernelINS0_14default_configENS1_38merge_sort_block_merge_config_selectorIxxEEZZNS1_27merge_sort_block_merge_implIS3_N6thrust23THRUST_200600_302600_NS6detail15normal_iteratorINS8_10device_ptrIxEEEESD_jNS1_19radix_merge_compareILb0ELb1ExNS0_19identity_decomposerEEEEE10hipError_tT0_T1_T2_jT3_P12ihipStream_tbPNSt15iterator_traitsISI_E10value_typeEPNSO_ISJ_E10value_typeEPSK_NS1_7vsmem_tEENKUlT_SI_SJ_SK_E_clIPxSD_S10_SD_EESH_SX_SI_SJ_SK_EUlSX_E0_NS1_11comp_targetILNS1_3genE10ELNS1_11target_archE1201ELNS1_3gpuE5ELNS1_3repE0EEENS1_38merge_mergepath_config_static_selectorELNS0_4arch9wavefront6targetE1EEEvSJ_,"axG",@progbits,_ZN7rocprim17ROCPRIM_400000_NS6detail17trampoline_kernelINS0_14default_configENS1_38merge_sort_block_merge_config_selectorIxxEEZZNS1_27merge_sort_block_merge_implIS3_N6thrust23THRUST_200600_302600_NS6detail15normal_iteratorINS8_10device_ptrIxEEEESD_jNS1_19radix_merge_compareILb0ELb1ExNS0_19identity_decomposerEEEEE10hipError_tT0_T1_T2_jT3_P12ihipStream_tbPNSt15iterator_traitsISI_E10value_typeEPNSO_ISJ_E10value_typeEPSK_NS1_7vsmem_tEENKUlT_SI_SJ_SK_E_clIPxSD_S10_SD_EESH_SX_SI_SJ_SK_EUlSX_E0_NS1_11comp_targetILNS1_3genE10ELNS1_11target_archE1201ELNS1_3gpuE5ELNS1_3repE0EEENS1_38merge_mergepath_config_static_selectorELNS0_4arch9wavefront6targetE1EEEvSJ_,comdat
.Lfunc_end1131:
	.size	_ZN7rocprim17ROCPRIM_400000_NS6detail17trampoline_kernelINS0_14default_configENS1_38merge_sort_block_merge_config_selectorIxxEEZZNS1_27merge_sort_block_merge_implIS3_N6thrust23THRUST_200600_302600_NS6detail15normal_iteratorINS8_10device_ptrIxEEEESD_jNS1_19radix_merge_compareILb0ELb1ExNS0_19identity_decomposerEEEEE10hipError_tT0_T1_T2_jT3_P12ihipStream_tbPNSt15iterator_traitsISI_E10value_typeEPNSO_ISJ_E10value_typeEPSK_NS1_7vsmem_tEENKUlT_SI_SJ_SK_E_clIPxSD_S10_SD_EESH_SX_SI_SJ_SK_EUlSX_E0_NS1_11comp_targetILNS1_3genE10ELNS1_11target_archE1201ELNS1_3gpuE5ELNS1_3repE0EEENS1_38merge_mergepath_config_static_selectorELNS0_4arch9wavefront6targetE1EEEvSJ_, .Lfunc_end1131-_ZN7rocprim17ROCPRIM_400000_NS6detail17trampoline_kernelINS0_14default_configENS1_38merge_sort_block_merge_config_selectorIxxEEZZNS1_27merge_sort_block_merge_implIS3_N6thrust23THRUST_200600_302600_NS6detail15normal_iteratorINS8_10device_ptrIxEEEESD_jNS1_19radix_merge_compareILb0ELb1ExNS0_19identity_decomposerEEEEE10hipError_tT0_T1_T2_jT3_P12ihipStream_tbPNSt15iterator_traitsISI_E10value_typeEPNSO_ISJ_E10value_typeEPSK_NS1_7vsmem_tEENKUlT_SI_SJ_SK_E_clIPxSD_S10_SD_EESH_SX_SI_SJ_SK_EUlSX_E0_NS1_11comp_targetILNS1_3genE10ELNS1_11target_archE1201ELNS1_3gpuE5ELNS1_3repE0EEENS1_38merge_mergepath_config_static_selectorELNS0_4arch9wavefront6targetE1EEEvSJ_
                                        ; -- End function
	.set _ZN7rocprim17ROCPRIM_400000_NS6detail17trampoline_kernelINS0_14default_configENS1_38merge_sort_block_merge_config_selectorIxxEEZZNS1_27merge_sort_block_merge_implIS3_N6thrust23THRUST_200600_302600_NS6detail15normal_iteratorINS8_10device_ptrIxEEEESD_jNS1_19radix_merge_compareILb0ELb1ExNS0_19identity_decomposerEEEEE10hipError_tT0_T1_T2_jT3_P12ihipStream_tbPNSt15iterator_traitsISI_E10value_typeEPNSO_ISJ_E10value_typeEPSK_NS1_7vsmem_tEENKUlT_SI_SJ_SK_E_clIPxSD_S10_SD_EESH_SX_SI_SJ_SK_EUlSX_E0_NS1_11comp_targetILNS1_3genE10ELNS1_11target_archE1201ELNS1_3gpuE5ELNS1_3repE0EEENS1_38merge_mergepath_config_static_selectorELNS0_4arch9wavefront6targetE1EEEvSJ_.num_vgpr, 0
	.set _ZN7rocprim17ROCPRIM_400000_NS6detail17trampoline_kernelINS0_14default_configENS1_38merge_sort_block_merge_config_selectorIxxEEZZNS1_27merge_sort_block_merge_implIS3_N6thrust23THRUST_200600_302600_NS6detail15normal_iteratorINS8_10device_ptrIxEEEESD_jNS1_19radix_merge_compareILb0ELb1ExNS0_19identity_decomposerEEEEE10hipError_tT0_T1_T2_jT3_P12ihipStream_tbPNSt15iterator_traitsISI_E10value_typeEPNSO_ISJ_E10value_typeEPSK_NS1_7vsmem_tEENKUlT_SI_SJ_SK_E_clIPxSD_S10_SD_EESH_SX_SI_SJ_SK_EUlSX_E0_NS1_11comp_targetILNS1_3genE10ELNS1_11target_archE1201ELNS1_3gpuE5ELNS1_3repE0EEENS1_38merge_mergepath_config_static_selectorELNS0_4arch9wavefront6targetE1EEEvSJ_.num_agpr, 0
	.set _ZN7rocprim17ROCPRIM_400000_NS6detail17trampoline_kernelINS0_14default_configENS1_38merge_sort_block_merge_config_selectorIxxEEZZNS1_27merge_sort_block_merge_implIS3_N6thrust23THRUST_200600_302600_NS6detail15normal_iteratorINS8_10device_ptrIxEEEESD_jNS1_19radix_merge_compareILb0ELb1ExNS0_19identity_decomposerEEEEE10hipError_tT0_T1_T2_jT3_P12ihipStream_tbPNSt15iterator_traitsISI_E10value_typeEPNSO_ISJ_E10value_typeEPSK_NS1_7vsmem_tEENKUlT_SI_SJ_SK_E_clIPxSD_S10_SD_EESH_SX_SI_SJ_SK_EUlSX_E0_NS1_11comp_targetILNS1_3genE10ELNS1_11target_archE1201ELNS1_3gpuE5ELNS1_3repE0EEENS1_38merge_mergepath_config_static_selectorELNS0_4arch9wavefront6targetE1EEEvSJ_.numbered_sgpr, 0
	.set _ZN7rocprim17ROCPRIM_400000_NS6detail17trampoline_kernelINS0_14default_configENS1_38merge_sort_block_merge_config_selectorIxxEEZZNS1_27merge_sort_block_merge_implIS3_N6thrust23THRUST_200600_302600_NS6detail15normal_iteratorINS8_10device_ptrIxEEEESD_jNS1_19radix_merge_compareILb0ELb1ExNS0_19identity_decomposerEEEEE10hipError_tT0_T1_T2_jT3_P12ihipStream_tbPNSt15iterator_traitsISI_E10value_typeEPNSO_ISJ_E10value_typeEPSK_NS1_7vsmem_tEENKUlT_SI_SJ_SK_E_clIPxSD_S10_SD_EESH_SX_SI_SJ_SK_EUlSX_E0_NS1_11comp_targetILNS1_3genE10ELNS1_11target_archE1201ELNS1_3gpuE5ELNS1_3repE0EEENS1_38merge_mergepath_config_static_selectorELNS0_4arch9wavefront6targetE1EEEvSJ_.num_named_barrier, 0
	.set _ZN7rocprim17ROCPRIM_400000_NS6detail17trampoline_kernelINS0_14default_configENS1_38merge_sort_block_merge_config_selectorIxxEEZZNS1_27merge_sort_block_merge_implIS3_N6thrust23THRUST_200600_302600_NS6detail15normal_iteratorINS8_10device_ptrIxEEEESD_jNS1_19radix_merge_compareILb0ELb1ExNS0_19identity_decomposerEEEEE10hipError_tT0_T1_T2_jT3_P12ihipStream_tbPNSt15iterator_traitsISI_E10value_typeEPNSO_ISJ_E10value_typeEPSK_NS1_7vsmem_tEENKUlT_SI_SJ_SK_E_clIPxSD_S10_SD_EESH_SX_SI_SJ_SK_EUlSX_E0_NS1_11comp_targetILNS1_3genE10ELNS1_11target_archE1201ELNS1_3gpuE5ELNS1_3repE0EEENS1_38merge_mergepath_config_static_selectorELNS0_4arch9wavefront6targetE1EEEvSJ_.private_seg_size, 0
	.set _ZN7rocprim17ROCPRIM_400000_NS6detail17trampoline_kernelINS0_14default_configENS1_38merge_sort_block_merge_config_selectorIxxEEZZNS1_27merge_sort_block_merge_implIS3_N6thrust23THRUST_200600_302600_NS6detail15normal_iteratorINS8_10device_ptrIxEEEESD_jNS1_19radix_merge_compareILb0ELb1ExNS0_19identity_decomposerEEEEE10hipError_tT0_T1_T2_jT3_P12ihipStream_tbPNSt15iterator_traitsISI_E10value_typeEPNSO_ISJ_E10value_typeEPSK_NS1_7vsmem_tEENKUlT_SI_SJ_SK_E_clIPxSD_S10_SD_EESH_SX_SI_SJ_SK_EUlSX_E0_NS1_11comp_targetILNS1_3genE10ELNS1_11target_archE1201ELNS1_3gpuE5ELNS1_3repE0EEENS1_38merge_mergepath_config_static_selectorELNS0_4arch9wavefront6targetE1EEEvSJ_.uses_vcc, 0
	.set _ZN7rocprim17ROCPRIM_400000_NS6detail17trampoline_kernelINS0_14default_configENS1_38merge_sort_block_merge_config_selectorIxxEEZZNS1_27merge_sort_block_merge_implIS3_N6thrust23THRUST_200600_302600_NS6detail15normal_iteratorINS8_10device_ptrIxEEEESD_jNS1_19radix_merge_compareILb0ELb1ExNS0_19identity_decomposerEEEEE10hipError_tT0_T1_T2_jT3_P12ihipStream_tbPNSt15iterator_traitsISI_E10value_typeEPNSO_ISJ_E10value_typeEPSK_NS1_7vsmem_tEENKUlT_SI_SJ_SK_E_clIPxSD_S10_SD_EESH_SX_SI_SJ_SK_EUlSX_E0_NS1_11comp_targetILNS1_3genE10ELNS1_11target_archE1201ELNS1_3gpuE5ELNS1_3repE0EEENS1_38merge_mergepath_config_static_selectorELNS0_4arch9wavefront6targetE1EEEvSJ_.uses_flat_scratch, 0
	.set _ZN7rocprim17ROCPRIM_400000_NS6detail17trampoline_kernelINS0_14default_configENS1_38merge_sort_block_merge_config_selectorIxxEEZZNS1_27merge_sort_block_merge_implIS3_N6thrust23THRUST_200600_302600_NS6detail15normal_iteratorINS8_10device_ptrIxEEEESD_jNS1_19radix_merge_compareILb0ELb1ExNS0_19identity_decomposerEEEEE10hipError_tT0_T1_T2_jT3_P12ihipStream_tbPNSt15iterator_traitsISI_E10value_typeEPNSO_ISJ_E10value_typeEPSK_NS1_7vsmem_tEENKUlT_SI_SJ_SK_E_clIPxSD_S10_SD_EESH_SX_SI_SJ_SK_EUlSX_E0_NS1_11comp_targetILNS1_3genE10ELNS1_11target_archE1201ELNS1_3gpuE5ELNS1_3repE0EEENS1_38merge_mergepath_config_static_selectorELNS0_4arch9wavefront6targetE1EEEvSJ_.has_dyn_sized_stack, 0
	.set _ZN7rocprim17ROCPRIM_400000_NS6detail17trampoline_kernelINS0_14default_configENS1_38merge_sort_block_merge_config_selectorIxxEEZZNS1_27merge_sort_block_merge_implIS3_N6thrust23THRUST_200600_302600_NS6detail15normal_iteratorINS8_10device_ptrIxEEEESD_jNS1_19radix_merge_compareILb0ELb1ExNS0_19identity_decomposerEEEEE10hipError_tT0_T1_T2_jT3_P12ihipStream_tbPNSt15iterator_traitsISI_E10value_typeEPNSO_ISJ_E10value_typeEPSK_NS1_7vsmem_tEENKUlT_SI_SJ_SK_E_clIPxSD_S10_SD_EESH_SX_SI_SJ_SK_EUlSX_E0_NS1_11comp_targetILNS1_3genE10ELNS1_11target_archE1201ELNS1_3gpuE5ELNS1_3repE0EEENS1_38merge_mergepath_config_static_selectorELNS0_4arch9wavefront6targetE1EEEvSJ_.has_recursion, 0
	.set _ZN7rocprim17ROCPRIM_400000_NS6detail17trampoline_kernelINS0_14default_configENS1_38merge_sort_block_merge_config_selectorIxxEEZZNS1_27merge_sort_block_merge_implIS3_N6thrust23THRUST_200600_302600_NS6detail15normal_iteratorINS8_10device_ptrIxEEEESD_jNS1_19radix_merge_compareILb0ELb1ExNS0_19identity_decomposerEEEEE10hipError_tT0_T1_T2_jT3_P12ihipStream_tbPNSt15iterator_traitsISI_E10value_typeEPNSO_ISJ_E10value_typeEPSK_NS1_7vsmem_tEENKUlT_SI_SJ_SK_E_clIPxSD_S10_SD_EESH_SX_SI_SJ_SK_EUlSX_E0_NS1_11comp_targetILNS1_3genE10ELNS1_11target_archE1201ELNS1_3gpuE5ELNS1_3repE0EEENS1_38merge_mergepath_config_static_selectorELNS0_4arch9wavefront6targetE1EEEvSJ_.has_indirect_call, 0
	.section	.AMDGPU.csdata,"",@progbits
; Kernel info:
; codeLenInByte = 0
; TotalNumSgprs: 6
; NumVgprs: 0
; NumAgprs: 0
; TotalNumVgprs: 0
; ScratchSize: 0
; MemoryBound: 0
; FloatMode: 240
; IeeeMode: 1
; LDSByteSize: 0 bytes/workgroup (compile time only)
; SGPRBlocks: 0
; VGPRBlocks: 0
; NumSGPRsForWavesPerEU: 6
; NumVGPRsForWavesPerEU: 1
; AccumOffset: 4
; Occupancy: 8
; WaveLimiterHint : 0
; COMPUTE_PGM_RSRC2:SCRATCH_EN: 0
; COMPUTE_PGM_RSRC2:USER_SGPR: 2
; COMPUTE_PGM_RSRC2:TRAP_HANDLER: 0
; COMPUTE_PGM_RSRC2:TGID_X_EN: 1
; COMPUTE_PGM_RSRC2:TGID_Y_EN: 0
; COMPUTE_PGM_RSRC2:TGID_Z_EN: 0
; COMPUTE_PGM_RSRC2:TIDIG_COMP_CNT: 0
; COMPUTE_PGM_RSRC3_GFX90A:ACCUM_OFFSET: 0
; COMPUTE_PGM_RSRC3_GFX90A:TG_SPLIT: 0
	.section	.text._ZN7rocprim17ROCPRIM_400000_NS6detail17trampoline_kernelINS0_14default_configENS1_38merge_sort_block_merge_config_selectorIxxEEZZNS1_27merge_sort_block_merge_implIS3_N6thrust23THRUST_200600_302600_NS6detail15normal_iteratorINS8_10device_ptrIxEEEESD_jNS1_19radix_merge_compareILb0ELb1ExNS0_19identity_decomposerEEEEE10hipError_tT0_T1_T2_jT3_P12ihipStream_tbPNSt15iterator_traitsISI_E10value_typeEPNSO_ISJ_E10value_typeEPSK_NS1_7vsmem_tEENKUlT_SI_SJ_SK_E_clIPxSD_S10_SD_EESH_SX_SI_SJ_SK_EUlSX_E0_NS1_11comp_targetILNS1_3genE5ELNS1_11target_archE942ELNS1_3gpuE9ELNS1_3repE0EEENS1_38merge_mergepath_config_static_selectorELNS0_4arch9wavefront6targetE1EEEvSJ_,"axG",@progbits,_ZN7rocprim17ROCPRIM_400000_NS6detail17trampoline_kernelINS0_14default_configENS1_38merge_sort_block_merge_config_selectorIxxEEZZNS1_27merge_sort_block_merge_implIS3_N6thrust23THRUST_200600_302600_NS6detail15normal_iteratorINS8_10device_ptrIxEEEESD_jNS1_19radix_merge_compareILb0ELb1ExNS0_19identity_decomposerEEEEE10hipError_tT0_T1_T2_jT3_P12ihipStream_tbPNSt15iterator_traitsISI_E10value_typeEPNSO_ISJ_E10value_typeEPSK_NS1_7vsmem_tEENKUlT_SI_SJ_SK_E_clIPxSD_S10_SD_EESH_SX_SI_SJ_SK_EUlSX_E0_NS1_11comp_targetILNS1_3genE5ELNS1_11target_archE942ELNS1_3gpuE9ELNS1_3repE0EEENS1_38merge_mergepath_config_static_selectorELNS0_4arch9wavefront6targetE1EEEvSJ_,comdat
	.protected	_ZN7rocprim17ROCPRIM_400000_NS6detail17trampoline_kernelINS0_14default_configENS1_38merge_sort_block_merge_config_selectorIxxEEZZNS1_27merge_sort_block_merge_implIS3_N6thrust23THRUST_200600_302600_NS6detail15normal_iteratorINS8_10device_ptrIxEEEESD_jNS1_19radix_merge_compareILb0ELb1ExNS0_19identity_decomposerEEEEE10hipError_tT0_T1_T2_jT3_P12ihipStream_tbPNSt15iterator_traitsISI_E10value_typeEPNSO_ISJ_E10value_typeEPSK_NS1_7vsmem_tEENKUlT_SI_SJ_SK_E_clIPxSD_S10_SD_EESH_SX_SI_SJ_SK_EUlSX_E0_NS1_11comp_targetILNS1_3genE5ELNS1_11target_archE942ELNS1_3gpuE9ELNS1_3repE0EEENS1_38merge_mergepath_config_static_selectorELNS0_4arch9wavefront6targetE1EEEvSJ_ ; -- Begin function _ZN7rocprim17ROCPRIM_400000_NS6detail17trampoline_kernelINS0_14default_configENS1_38merge_sort_block_merge_config_selectorIxxEEZZNS1_27merge_sort_block_merge_implIS3_N6thrust23THRUST_200600_302600_NS6detail15normal_iteratorINS8_10device_ptrIxEEEESD_jNS1_19radix_merge_compareILb0ELb1ExNS0_19identity_decomposerEEEEE10hipError_tT0_T1_T2_jT3_P12ihipStream_tbPNSt15iterator_traitsISI_E10value_typeEPNSO_ISJ_E10value_typeEPSK_NS1_7vsmem_tEENKUlT_SI_SJ_SK_E_clIPxSD_S10_SD_EESH_SX_SI_SJ_SK_EUlSX_E0_NS1_11comp_targetILNS1_3genE5ELNS1_11target_archE942ELNS1_3gpuE9ELNS1_3repE0EEENS1_38merge_mergepath_config_static_selectorELNS0_4arch9wavefront6targetE1EEEvSJ_
	.globl	_ZN7rocprim17ROCPRIM_400000_NS6detail17trampoline_kernelINS0_14default_configENS1_38merge_sort_block_merge_config_selectorIxxEEZZNS1_27merge_sort_block_merge_implIS3_N6thrust23THRUST_200600_302600_NS6detail15normal_iteratorINS8_10device_ptrIxEEEESD_jNS1_19radix_merge_compareILb0ELb1ExNS0_19identity_decomposerEEEEE10hipError_tT0_T1_T2_jT3_P12ihipStream_tbPNSt15iterator_traitsISI_E10value_typeEPNSO_ISJ_E10value_typeEPSK_NS1_7vsmem_tEENKUlT_SI_SJ_SK_E_clIPxSD_S10_SD_EESH_SX_SI_SJ_SK_EUlSX_E0_NS1_11comp_targetILNS1_3genE5ELNS1_11target_archE942ELNS1_3gpuE9ELNS1_3repE0EEENS1_38merge_mergepath_config_static_selectorELNS0_4arch9wavefront6targetE1EEEvSJ_
	.p2align	8
	.type	_ZN7rocprim17ROCPRIM_400000_NS6detail17trampoline_kernelINS0_14default_configENS1_38merge_sort_block_merge_config_selectorIxxEEZZNS1_27merge_sort_block_merge_implIS3_N6thrust23THRUST_200600_302600_NS6detail15normal_iteratorINS8_10device_ptrIxEEEESD_jNS1_19radix_merge_compareILb0ELb1ExNS0_19identity_decomposerEEEEE10hipError_tT0_T1_T2_jT3_P12ihipStream_tbPNSt15iterator_traitsISI_E10value_typeEPNSO_ISJ_E10value_typeEPSK_NS1_7vsmem_tEENKUlT_SI_SJ_SK_E_clIPxSD_S10_SD_EESH_SX_SI_SJ_SK_EUlSX_E0_NS1_11comp_targetILNS1_3genE5ELNS1_11target_archE942ELNS1_3gpuE9ELNS1_3repE0EEENS1_38merge_mergepath_config_static_selectorELNS0_4arch9wavefront6targetE1EEEvSJ_,@function
_ZN7rocprim17ROCPRIM_400000_NS6detail17trampoline_kernelINS0_14default_configENS1_38merge_sort_block_merge_config_selectorIxxEEZZNS1_27merge_sort_block_merge_implIS3_N6thrust23THRUST_200600_302600_NS6detail15normal_iteratorINS8_10device_ptrIxEEEESD_jNS1_19radix_merge_compareILb0ELb1ExNS0_19identity_decomposerEEEEE10hipError_tT0_T1_T2_jT3_P12ihipStream_tbPNSt15iterator_traitsISI_E10value_typeEPNSO_ISJ_E10value_typeEPSK_NS1_7vsmem_tEENKUlT_SI_SJ_SK_E_clIPxSD_S10_SD_EESH_SX_SI_SJ_SK_EUlSX_E0_NS1_11comp_targetILNS1_3genE5ELNS1_11target_archE942ELNS1_3gpuE9ELNS1_3repE0EEENS1_38merge_mergepath_config_static_selectorELNS0_4arch9wavefront6targetE1EEEvSJ_: ; @_ZN7rocprim17ROCPRIM_400000_NS6detail17trampoline_kernelINS0_14default_configENS1_38merge_sort_block_merge_config_selectorIxxEEZZNS1_27merge_sort_block_merge_implIS3_N6thrust23THRUST_200600_302600_NS6detail15normal_iteratorINS8_10device_ptrIxEEEESD_jNS1_19radix_merge_compareILb0ELb1ExNS0_19identity_decomposerEEEEE10hipError_tT0_T1_T2_jT3_P12ihipStream_tbPNSt15iterator_traitsISI_E10value_typeEPNSO_ISJ_E10value_typeEPSK_NS1_7vsmem_tEENKUlT_SI_SJ_SK_E_clIPxSD_S10_SD_EESH_SX_SI_SJ_SK_EUlSX_E0_NS1_11comp_targetILNS1_3genE5ELNS1_11target_archE942ELNS1_3gpuE9ELNS1_3repE0EEENS1_38merge_mergepath_config_static_selectorELNS0_4arch9wavefront6targetE1EEEvSJ_
; %bb.0:
	.section	.rodata,"a",@progbits
	.p2align	6, 0x0
	.amdhsa_kernel _ZN7rocprim17ROCPRIM_400000_NS6detail17trampoline_kernelINS0_14default_configENS1_38merge_sort_block_merge_config_selectorIxxEEZZNS1_27merge_sort_block_merge_implIS3_N6thrust23THRUST_200600_302600_NS6detail15normal_iteratorINS8_10device_ptrIxEEEESD_jNS1_19radix_merge_compareILb0ELb1ExNS0_19identity_decomposerEEEEE10hipError_tT0_T1_T2_jT3_P12ihipStream_tbPNSt15iterator_traitsISI_E10value_typeEPNSO_ISJ_E10value_typeEPSK_NS1_7vsmem_tEENKUlT_SI_SJ_SK_E_clIPxSD_S10_SD_EESH_SX_SI_SJ_SK_EUlSX_E0_NS1_11comp_targetILNS1_3genE5ELNS1_11target_archE942ELNS1_3gpuE9ELNS1_3repE0EEENS1_38merge_mergepath_config_static_selectorELNS0_4arch9wavefront6targetE1EEEvSJ_
		.amdhsa_group_segment_fixed_size 0
		.amdhsa_private_segment_fixed_size 0
		.amdhsa_kernarg_size 72
		.amdhsa_user_sgpr_count 2
		.amdhsa_user_sgpr_dispatch_ptr 0
		.amdhsa_user_sgpr_queue_ptr 0
		.amdhsa_user_sgpr_kernarg_segment_ptr 1
		.amdhsa_user_sgpr_dispatch_id 0
		.amdhsa_user_sgpr_kernarg_preload_length 0
		.amdhsa_user_sgpr_kernarg_preload_offset 0
		.amdhsa_user_sgpr_private_segment_size 0
		.amdhsa_uses_dynamic_stack 0
		.amdhsa_enable_private_segment 0
		.amdhsa_system_sgpr_workgroup_id_x 1
		.amdhsa_system_sgpr_workgroup_id_y 0
		.amdhsa_system_sgpr_workgroup_id_z 0
		.amdhsa_system_sgpr_workgroup_info 0
		.amdhsa_system_vgpr_workitem_id 0
		.amdhsa_next_free_vgpr 1
		.amdhsa_next_free_sgpr 0
		.amdhsa_accum_offset 4
		.amdhsa_reserve_vcc 0
		.amdhsa_float_round_mode_32 0
		.amdhsa_float_round_mode_16_64 0
		.amdhsa_float_denorm_mode_32 3
		.amdhsa_float_denorm_mode_16_64 3
		.amdhsa_dx10_clamp 1
		.amdhsa_ieee_mode 1
		.amdhsa_fp16_overflow 0
		.amdhsa_tg_split 0
		.amdhsa_exception_fp_ieee_invalid_op 0
		.amdhsa_exception_fp_denorm_src 0
		.amdhsa_exception_fp_ieee_div_zero 0
		.amdhsa_exception_fp_ieee_overflow 0
		.amdhsa_exception_fp_ieee_underflow 0
		.amdhsa_exception_fp_ieee_inexact 0
		.amdhsa_exception_int_div_zero 0
	.end_amdhsa_kernel
	.section	.text._ZN7rocprim17ROCPRIM_400000_NS6detail17trampoline_kernelINS0_14default_configENS1_38merge_sort_block_merge_config_selectorIxxEEZZNS1_27merge_sort_block_merge_implIS3_N6thrust23THRUST_200600_302600_NS6detail15normal_iteratorINS8_10device_ptrIxEEEESD_jNS1_19radix_merge_compareILb0ELb1ExNS0_19identity_decomposerEEEEE10hipError_tT0_T1_T2_jT3_P12ihipStream_tbPNSt15iterator_traitsISI_E10value_typeEPNSO_ISJ_E10value_typeEPSK_NS1_7vsmem_tEENKUlT_SI_SJ_SK_E_clIPxSD_S10_SD_EESH_SX_SI_SJ_SK_EUlSX_E0_NS1_11comp_targetILNS1_3genE5ELNS1_11target_archE942ELNS1_3gpuE9ELNS1_3repE0EEENS1_38merge_mergepath_config_static_selectorELNS0_4arch9wavefront6targetE1EEEvSJ_,"axG",@progbits,_ZN7rocprim17ROCPRIM_400000_NS6detail17trampoline_kernelINS0_14default_configENS1_38merge_sort_block_merge_config_selectorIxxEEZZNS1_27merge_sort_block_merge_implIS3_N6thrust23THRUST_200600_302600_NS6detail15normal_iteratorINS8_10device_ptrIxEEEESD_jNS1_19radix_merge_compareILb0ELb1ExNS0_19identity_decomposerEEEEE10hipError_tT0_T1_T2_jT3_P12ihipStream_tbPNSt15iterator_traitsISI_E10value_typeEPNSO_ISJ_E10value_typeEPSK_NS1_7vsmem_tEENKUlT_SI_SJ_SK_E_clIPxSD_S10_SD_EESH_SX_SI_SJ_SK_EUlSX_E0_NS1_11comp_targetILNS1_3genE5ELNS1_11target_archE942ELNS1_3gpuE9ELNS1_3repE0EEENS1_38merge_mergepath_config_static_selectorELNS0_4arch9wavefront6targetE1EEEvSJ_,comdat
.Lfunc_end1132:
	.size	_ZN7rocprim17ROCPRIM_400000_NS6detail17trampoline_kernelINS0_14default_configENS1_38merge_sort_block_merge_config_selectorIxxEEZZNS1_27merge_sort_block_merge_implIS3_N6thrust23THRUST_200600_302600_NS6detail15normal_iteratorINS8_10device_ptrIxEEEESD_jNS1_19radix_merge_compareILb0ELb1ExNS0_19identity_decomposerEEEEE10hipError_tT0_T1_T2_jT3_P12ihipStream_tbPNSt15iterator_traitsISI_E10value_typeEPNSO_ISJ_E10value_typeEPSK_NS1_7vsmem_tEENKUlT_SI_SJ_SK_E_clIPxSD_S10_SD_EESH_SX_SI_SJ_SK_EUlSX_E0_NS1_11comp_targetILNS1_3genE5ELNS1_11target_archE942ELNS1_3gpuE9ELNS1_3repE0EEENS1_38merge_mergepath_config_static_selectorELNS0_4arch9wavefront6targetE1EEEvSJ_, .Lfunc_end1132-_ZN7rocprim17ROCPRIM_400000_NS6detail17trampoline_kernelINS0_14default_configENS1_38merge_sort_block_merge_config_selectorIxxEEZZNS1_27merge_sort_block_merge_implIS3_N6thrust23THRUST_200600_302600_NS6detail15normal_iteratorINS8_10device_ptrIxEEEESD_jNS1_19radix_merge_compareILb0ELb1ExNS0_19identity_decomposerEEEEE10hipError_tT0_T1_T2_jT3_P12ihipStream_tbPNSt15iterator_traitsISI_E10value_typeEPNSO_ISJ_E10value_typeEPSK_NS1_7vsmem_tEENKUlT_SI_SJ_SK_E_clIPxSD_S10_SD_EESH_SX_SI_SJ_SK_EUlSX_E0_NS1_11comp_targetILNS1_3genE5ELNS1_11target_archE942ELNS1_3gpuE9ELNS1_3repE0EEENS1_38merge_mergepath_config_static_selectorELNS0_4arch9wavefront6targetE1EEEvSJ_
                                        ; -- End function
	.set _ZN7rocprim17ROCPRIM_400000_NS6detail17trampoline_kernelINS0_14default_configENS1_38merge_sort_block_merge_config_selectorIxxEEZZNS1_27merge_sort_block_merge_implIS3_N6thrust23THRUST_200600_302600_NS6detail15normal_iteratorINS8_10device_ptrIxEEEESD_jNS1_19radix_merge_compareILb0ELb1ExNS0_19identity_decomposerEEEEE10hipError_tT0_T1_T2_jT3_P12ihipStream_tbPNSt15iterator_traitsISI_E10value_typeEPNSO_ISJ_E10value_typeEPSK_NS1_7vsmem_tEENKUlT_SI_SJ_SK_E_clIPxSD_S10_SD_EESH_SX_SI_SJ_SK_EUlSX_E0_NS1_11comp_targetILNS1_3genE5ELNS1_11target_archE942ELNS1_3gpuE9ELNS1_3repE0EEENS1_38merge_mergepath_config_static_selectorELNS0_4arch9wavefront6targetE1EEEvSJ_.num_vgpr, 0
	.set _ZN7rocprim17ROCPRIM_400000_NS6detail17trampoline_kernelINS0_14default_configENS1_38merge_sort_block_merge_config_selectorIxxEEZZNS1_27merge_sort_block_merge_implIS3_N6thrust23THRUST_200600_302600_NS6detail15normal_iteratorINS8_10device_ptrIxEEEESD_jNS1_19radix_merge_compareILb0ELb1ExNS0_19identity_decomposerEEEEE10hipError_tT0_T1_T2_jT3_P12ihipStream_tbPNSt15iterator_traitsISI_E10value_typeEPNSO_ISJ_E10value_typeEPSK_NS1_7vsmem_tEENKUlT_SI_SJ_SK_E_clIPxSD_S10_SD_EESH_SX_SI_SJ_SK_EUlSX_E0_NS1_11comp_targetILNS1_3genE5ELNS1_11target_archE942ELNS1_3gpuE9ELNS1_3repE0EEENS1_38merge_mergepath_config_static_selectorELNS0_4arch9wavefront6targetE1EEEvSJ_.num_agpr, 0
	.set _ZN7rocprim17ROCPRIM_400000_NS6detail17trampoline_kernelINS0_14default_configENS1_38merge_sort_block_merge_config_selectorIxxEEZZNS1_27merge_sort_block_merge_implIS3_N6thrust23THRUST_200600_302600_NS6detail15normal_iteratorINS8_10device_ptrIxEEEESD_jNS1_19radix_merge_compareILb0ELb1ExNS0_19identity_decomposerEEEEE10hipError_tT0_T1_T2_jT3_P12ihipStream_tbPNSt15iterator_traitsISI_E10value_typeEPNSO_ISJ_E10value_typeEPSK_NS1_7vsmem_tEENKUlT_SI_SJ_SK_E_clIPxSD_S10_SD_EESH_SX_SI_SJ_SK_EUlSX_E0_NS1_11comp_targetILNS1_3genE5ELNS1_11target_archE942ELNS1_3gpuE9ELNS1_3repE0EEENS1_38merge_mergepath_config_static_selectorELNS0_4arch9wavefront6targetE1EEEvSJ_.numbered_sgpr, 0
	.set _ZN7rocprim17ROCPRIM_400000_NS6detail17trampoline_kernelINS0_14default_configENS1_38merge_sort_block_merge_config_selectorIxxEEZZNS1_27merge_sort_block_merge_implIS3_N6thrust23THRUST_200600_302600_NS6detail15normal_iteratorINS8_10device_ptrIxEEEESD_jNS1_19radix_merge_compareILb0ELb1ExNS0_19identity_decomposerEEEEE10hipError_tT0_T1_T2_jT3_P12ihipStream_tbPNSt15iterator_traitsISI_E10value_typeEPNSO_ISJ_E10value_typeEPSK_NS1_7vsmem_tEENKUlT_SI_SJ_SK_E_clIPxSD_S10_SD_EESH_SX_SI_SJ_SK_EUlSX_E0_NS1_11comp_targetILNS1_3genE5ELNS1_11target_archE942ELNS1_3gpuE9ELNS1_3repE0EEENS1_38merge_mergepath_config_static_selectorELNS0_4arch9wavefront6targetE1EEEvSJ_.num_named_barrier, 0
	.set _ZN7rocprim17ROCPRIM_400000_NS6detail17trampoline_kernelINS0_14default_configENS1_38merge_sort_block_merge_config_selectorIxxEEZZNS1_27merge_sort_block_merge_implIS3_N6thrust23THRUST_200600_302600_NS6detail15normal_iteratorINS8_10device_ptrIxEEEESD_jNS1_19radix_merge_compareILb0ELb1ExNS0_19identity_decomposerEEEEE10hipError_tT0_T1_T2_jT3_P12ihipStream_tbPNSt15iterator_traitsISI_E10value_typeEPNSO_ISJ_E10value_typeEPSK_NS1_7vsmem_tEENKUlT_SI_SJ_SK_E_clIPxSD_S10_SD_EESH_SX_SI_SJ_SK_EUlSX_E0_NS1_11comp_targetILNS1_3genE5ELNS1_11target_archE942ELNS1_3gpuE9ELNS1_3repE0EEENS1_38merge_mergepath_config_static_selectorELNS0_4arch9wavefront6targetE1EEEvSJ_.private_seg_size, 0
	.set _ZN7rocprim17ROCPRIM_400000_NS6detail17trampoline_kernelINS0_14default_configENS1_38merge_sort_block_merge_config_selectorIxxEEZZNS1_27merge_sort_block_merge_implIS3_N6thrust23THRUST_200600_302600_NS6detail15normal_iteratorINS8_10device_ptrIxEEEESD_jNS1_19radix_merge_compareILb0ELb1ExNS0_19identity_decomposerEEEEE10hipError_tT0_T1_T2_jT3_P12ihipStream_tbPNSt15iterator_traitsISI_E10value_typeEPNSO_ISJ_E10value_typeEPSK_NS1_7vsmem_tEENKUlT_SI_SJ_SK_E_clIPxSD_S10_SD_EESH_SX_SI_SJ_SK_EUlSX_E0_NS1_11comp_targetILNS1_3genE5ELNS1_11target_archE942ELNS1_3gpuE9ELNS1_3repE0EEENS1_38merge_mergepath_config_static_selectorELNS0_4arch9wavefront6targetE1EEEvSJ_.uses_vcc, 0
	.set _ZN7rocprim17ROCPRIM_400000_NS6detail17trampoline_kernelINS0_14default_configENS1_38merge_sort_block_merge_config_selectorIxxEEZZNS1_27merge_sort_block_merge_implIS3_N6thrust23THRUST_200600_302600_NS6detail15normal_iteratorINS8_10device_ptrIxEEEESD_jNS1_19radix_merge_compareILb0ELb1ExNS0_19identity_decomposerEEEEE10hipError_tT0_T1_T2_jT3_P12ihipStream_tbPNSt15iterator_traitsISI_E10value_typeEPNSO_ISJ_E10value_typeEPSK_NS1_7vsmem_tEENKUlT_SI_SJ_SK_E_clIPxSD_S10_SD_EESH_SX_SI_SJ_SK_EUlSX_E0_NS1_11comp_targetILNS1_3genE5ELNS1_11target_archE942ELNS1_3gpuE9ELNS1_3repE0EEENS1_38merge_mergepath_config_static_selectorELNS0_4arch9wavefront6targetE1EEEvSJ_.uses_flat_scratch, 0
	.set _ZN7rocprim17ROCPRIM_400000_NS6detail17trampoline_kernelINS0_14default_configENS1_38merge_sort_block_merge_config_selectorIxxEEZZNS1_27merge_sort_block_merge_implIS3_N6thrust23THRUST_200600_302600_NS6detail15normal_iteratorINS8_10device_ptrIxEEEESD_jNS1_19radix_merge_compareILb0ELb1ExNS0_19identity_decomposerEEEEE10hipError_tT0_T1_T2_jT3_P12ihipStream_tbPNSt15iterator_traitsISI_E10value_typeEPNSO_ISJ_E10value_typeEPSK_NS1_7vsmem_tEENKUlT_SI_SJ_SK_E_clIPxSD_S10_SD_EESH_SX_SI_SJ_SK_EUlSX_E0_NS1_11comp_targetILNS1_3genE5ELNS1_11target_archE942ELNS1_3gpuE9ELNS1_3repE0EEENS1_38merge_mergepath_config_static_selectorELNS0_4arch9wavefront6targetE1EEEvSJ_.has_dyn_sized_stack, 0
	.set _ZN7rocprim17ROCPRIM_400000_NS6detail17trampoline_kernelINS0_14default_configENS1_38merge_sort_block_merge_config_selectorIxxEEZZNS1_27merge_sort_block_merge_implIS3_N6thrust23THRUST_200600_302600_NS6detail15normal_iteratorINS8_10device_ptrIxEEEESD_jNS1_19radix_merge_compareILb0ELb1ExNS0_19identity_decomposerEEEEE10hipError_tT0_T1_T2_jT3_P12ihipStream_tbPNSt15iterator_traitsISI_E10value_typeEPNSO_ISJ_E10value_typeEPSK_NS1_7vsmem_tEENKUlT_SI_SJ_SK_E_clIPxSD_S10_SD_EESH_SX_SI_SJ_SK_EUlSX_E0_NS1_11comp_targetILNS1_3genE5ELNS1_11target_archE942ELNS1_3gpuE9ELNS1_3repE0EEENS1_38merge_mergepath_config_static_selectorELNS0_4arch9wavefront6targetE1EEEvSJ_.has_recursion, 0
	.set _ZN7rocprim17ROCPRIM_400000_NS6detail17trampoline_kernelINS0_14default_configENS1_38merge_sort_block_merge_config_selectorIxxEEZZNS1_27merge_sort_block_merge_implIS3_N6thrust23THRUST_200600_302600_NS6detail15normal_iteratorINS8_10device_ptrIxEEEESD_jNS1_19radix_merge_compareILb0ELb1ExNS0_19identity_decomposerEEEEE10hipError_tT0_T1_T2_jT3_P12ihipStream_tbPNSt15iterator_traitsISI_E10value_typeEPNSO_ISJ_E10value_typeEPSK_NS1_7vsmem_tEENKUlT_SI_SJ_SK_E_clIPxSD_S10_SD_EESH_SX_SI_SJ_SK_EUlSX_E0_NS1_11comp_targetILNS1_3genE5ELNS1_11target_archE942ELNS1_3gpuE9ELNS1_3repE0EEENS1_38merge_mergepath_config_static_selectorELNS0_4arch9wavefront6targetE1EEEvSJ_.has_indirect_call, 0
	.section	.AMDGPU.csdata,"",@progbits
; Kernel info:
; codeLenInByte = 0
; TotalNumSgprs: 6
; NumVgprs: 0
; NumAgprs: 0
; TotalNumVgprs: 0
; ScratchSize: 0
; MemoryBound: 0
; FloatMode: 240
; IeeeMode: 1
; LDSByteSize: 0 bytes/workgroup (compile time only)
; SGPRBlocks: 0
; VGPRBlocks: 0
; NumSGPRsForWavesPerEU: 6
; NumVGPRsForWavesPerEU: 1
; AccumOffset: 4
; Occupancy: 8
; WaveLimiterHint : 0
; COMPUTE_PGM_RSRC2:SCRATCH_EN: 0
; COMPUTE_PGM_RSRC2:USER_SGPR: 2
; COMPUTE_PGM_RSRC2:TRAP_HANDLER: 0
; COMPUTE_PGM_RSRC2:TGID_X_EN: 1
; COMPUTE_PGM_RSRC2:TGID_Y_EN: 0
; COMPUTE_PGM_RSRC2:TGID_Z_EN: 0
; COMPUTE_PGM_RSRC2:TIDIG_COMP_CNT: 0
; COMPUTE_PGM_RSRC3_GFX90A:ACCUM_OFFSET: 0
; COMPUTE_PGM_RSRC3_GFX90A:TG_SPLIT: 0
	.section	.text._ZN7rocprim17ROCPRIM_400000_NS6detail17trampoline_kernelINS0_14default_configENS1_38merge_sort_block_merge_config_selectorIxxEEZZNS1_27merge_sort_block_merge_implIS3_N6thrust23THRUST_200600_302600_NS6detail15normal_iteratorINS8_10device_ptrIxEEEESD_jNS1_19radix_merge_compareILb0ELb1ExNS0_19identity_decomposerEEEEE10hipError_tT0_T1_T2_jT3_P12ihipStream_tbPNSt15iterator_traitsISI_E10value_typeEPNSO_ISJ_E10value_typeEPSK_NS1_7vsmem_tEENKUlT_SI_SJ_SK_E_clIPxSD_S10_SD_EESH_SX_SI_SJ_SK_EUlSX_E0_NS1_11comp_targetILNS1_3genE4ELNS1_11target_archE910ELNS1_3gpuE8ELNS1_3repE0EEENS1_38merge_mergepath_config_static_selectorELNS0_4arch9wavefront6targetE1EEEvSJ_,"axG",@progbits,_ZN7rocprim17ROCPRIM_400000_NS6detail17trampoline_kernelINS0_14default_configENS1_38merge_sort_block_merge_config_selectorIxxEEZZNS1_27merge_sort_block_merge_implIS3_N6thrust23THRUST_200600_302600_NS6detail15normal_iteratorINS8_10device_ptrIxEEEESD_jNS1_19radix_merge_compareILb0ELb1ExNS0_19identity_decomposerEEEEE10hipError_tT0_T1_T2_jT3_P12ihipStream_tbPNSt15iterator_traitsISI_E10value_typeEPNSO_ISJ_E10value_typeEPSK_NS1_7vsmem_tEENKUlT_SI_SJ_SK_E_clIPxSD_S10_SD_EESH_SX_SI_SJ_SK_EUlSX_E0_NS1_11comp_targetILNS1_3genE4ELNS1_11target_archE910ELNS1_3gpuE8ELNS1_3repE0EEENS1_38merge_mergepath_config_static_selectorELNS0_4arch9wavefront6targetE1EEEvSJ_,comdat
	.protected	_ZN7rocprim17ROCPRIM_400000_NS6detail17trampoline_kernelINS0_14default_configENS1_38merge_sort_block_merge_config_selectorIxxEEZZNS1_27merge_sort_block_merge_implIS3_N6thrust23THRUST_200600_302600_NS6detail15normal_iteratorINS8_10device_ptrIxEEEESD_jNS1_19radix_merge_compareILb0ELb1ExNS0_19identity_decomposerEEEEE10hipError_tT0_T1_T2_jT3_P12ihipStream_tbPNSt15iterator_traitsISI_E10value_typeEPNSO_ISJ_E10value_typeEPSK_NS1_7vsmem_tEENKUlT_SI_SJ_SK_E_clIPxSD_S10_SD_EESH_SX_SI_SJ_SK_EUlSX_E0_NS1_11comp_targetILNS1_3genE4ELNS1_11target_archE910ELNS1_3gpuE8ELNS1_3repE0EEENS1_38merge_mergepath_config_static_selectorELNS0_4arch9wavefront6targetE1EEEvSJ_ ; -- Begin function _ZN7rocprim17ROCPRIM_400000_NS6detail17trampoline_kernelINS0_14default_configENS1_38merge_sort_block_merge_config_selectorIxxEEZZNS1_27merge_sort_block_merge_implIS3_N6thrust23THRUST_200600_302600_NS6detail15normal_iteratorINS8_10device_ptrIxEEEESD_jNS1_19radix_merge_compareILb0ELb1ExNS0_19identity_decomposerEEEEE10hipError_tT0_T1_T2_jT3_P12ihipStream_tbPNSt15iterator_traitsISI_E10value_typeEPNSO_ISJ_E10value_typeEPSK_NS1_7vsmem_tEENKUlT_SI_SJ_SK_E_clIPxSD_S10_SD_EESH_SX_SI_SJ_SK_EUlSX_E0_NS1_11comp_targetILNS1_3genE4ELNS1_11target_archE910ELNS1_3gpuE8ELNS1_3repE0EEENS1_38merge_mergepath_config_static_selectorELNS0_4arch9wavefront6targetE1EEEvSJ_
	.globl	_ZN7rocprim17ROCPRIM_400000_NS6detail17trampoline_kernelINS0_14default_configENS1_38merge_sort_block_merge_config_selectorIxxEEZZNS1_27merge_sort_block_merge_implIS3_N6thrust23THRUST_200600_302600_NS6detail15normal_iteratorINS8_10device_ptrIxEEEESD_jNS1_19radix_merge_compareILb0ELb1ExNS0_19identity_decomposerEEEEE10hipError_tT0_T1_T2_jT3_P12ihipStream_tbPNSt15iterator_traitsISI_E10value_typeEPNSO_ISJ_E10value_typeEPSK_NS1_7vsmem_tEENKUlT_SI_SJ_SK_E_clIPxSD_S10_SD_EESH_SX_SI_SJ_SK_EUlSX_E0_NS1_11comp_targetILNS1_3genE4ELNS1_11target_archE910ELNS1_3gpuE8ELNS1_3repE0EEENS1_38merge_mergepath_config_static_selectorELNS0_4arch9wavefront6targetE1EEEvSJ_
	.p2align	8
	.type	_ZN7rocprim17ROCPRIM_400000_NS6detail17trampoline_kernelINS0_14default_configENS1_38merge_sort_block_merge_config_selectorIxxEEZZNS1_27merge_sort_block_merge_implIS3_N6thrust23THRUST_200600_302600_NS6detail15normal_iteratorINS8_10device_ptrIxEEEESD_jNS1_19radix_merge_compareILb0ELb1ExNS0_19identity_decomposerEEEEE10hipError_tT0_T1_T2_jT3_P12ihipStream_tbPNSt15iterator_traitsISI_E10value_typeEPNSO_ISJ_E10value_typeEPSK_NS1_7vsmem_tEENKUlT_SI_SJ_SK_E_clIPxSD_S10_SD_EESH_SX_SI_SJ_SK_EUlSX_E0_NS1_11comp_targetILNS1_3genE4ELNS1_11target_archE910ELNS1_3gpuE8ELNS1_3repE0EEENS1_38merge_mergepath_config_static_selectorELNS0_4arch9wavefront6targetE1EEEvSJ_,@function
_ZN7rocprim17ROCPRIM_400000_NS6detail17trampoline_kernelINS0_14default_configENS1_38merge_sort_block_merge_config_selectorIxxEEZZNS1_27merge_sort_block_merge_implIS3_N6thrust23THRUST_200600_302600_NS6detail15normal_iteratorINS8_10device_ptrIxEEEESD_jNS1_19radix_merge_compareILb0ELb1ExNS0_19identity_decomposerEEEEE10hipError_tT0_T1_T2_jT3_P12ihipStream_tbPNSt15iterator_traitsISI_E10value_typeEPNSO_ISJ_E10value_typeEPSK_NS1_7vsmem_tEENKUlT_SI_SJ_SK_E_clIPxSD_S10_SD_EESH_SX_SI_SJ_SK_EUlSX_E0_NS1_11comp_targetILNS1_3genE4ELNS1_11target_archE910ELNS1_3gpuE8ELNS1_3repE0EEENS1_38merge_mergepath_config_static_selectorELNS0_4arch9wavefront6targetE1EEEvSJ_: ; @_ZN7rocprim17ROCPRIM_400000_NS6detail17trampoline_kernelINS0_14default_configENS1_38merge_sort_block_merge_config_selectorIxxEEZZNS1_27merge_sort_block_merge_implIS3_N6thrust23THRUST_200600_302600_NS6detail15normal_iteratorINS8_10device_ptrIxEEEESD_jNS1_19radix_merge_compareILb0ELb1ExNS0_19identity_decomposerEEEEE10hipError_tT0_T1_T2_jT3_P12ihipStream_tbPNSt15iterator_traitsISI_E10value_typeEPNSO_ISJ_E10value_typeEPSK_NS1_7vsmem_tEENKUlT_SI_SJ_SK_E_clIPxSD_S10_SD_EESH_SX_SI_SJ_SK_EUlSX_E0_NS1_11comp_targetILNS1_3genE4ELNS1_11target_archE910ELNS1_3gpuE8ELNS1_3repE0EEENS1_38merge_mergepath_config_static_selectorELNS0_4arch9wavefront6targetE1EEEvSJ_
; %bb.0:
	.section	.rodata,"a",@progbits
	.p2align	6, 0x0
	.amdhsa_kernel _ZN7rocprim17ROCPRIM_400000_NS6detail17trampoline_kernelINS0_14default_configENS1_38merge_sort_block_merge_config_selectorIxxEEZZNS1_27merge_sort_block_merge_implIS3_N6thrust23THRUST_200600_302600_NS6detail15normal_iteratorINS8_10device_ptrIxEEEESD_jNS1_19radix_merge_compareILb0ELb1ExNS0_19identity_decomposerEEEEE10hipError_tT0_T1_T2_jT3_P12ihipStream_tbPNSt15iterator_traitsISI_E10value_typeEPNSO_ISJ_E10value_typeEPSK_NS1_7vsmem_tEENKUlT_SI_SJ_SK_E_clIPxSD_S10_SD_EESH_SX_SI_SJ_SK_EUlSX_E0_NS1_11comp_targetILNS1_3genE4ELNS1_11target_archE910ELNS1_3gpuE8ELNS1_3repE0EEENS1_38merge_mergepath_config_static_selectorELNS0_4arch9wavefront6targetE1EEEvSJ_
		.amdhsa_group_segment_fixed_size 0
		.amdhsa_private_segment_fixed_size 0
		.amdhsa_kernarg_size 72
		.amdhsa_user_sgpr_count 2
		.amdhsa_user_sgpr_dispatch_ptr 0
		.amdhsa_user_sgpr_queue_ptr 0
		.amdhsa_user_sgpr_kernarg_segment_ptr 1
		.amdhsa_user_sgpr_dispatch_id 0
		.amdhsa_user_sgpr_kernarg_preload_length 0
		.amdhsa_user_sgpr_kernarg_preload_offset 0
		.amdhsa_user_sgpr_private_segment_size 0
		.amdhsa_uses_dynamic_stack 0
		.amdhsa_enable_private_segment 0
		.amdhsa_system_sgpr_workgroup_id_x 1
		.amdhsa_system_sgpr_workgroup_id_y 0
		.amdhsa_system_sgpr_workgroup_id_z 0
		.amdhsa_system_sgpr_workgroup_info 0
		.amdhsa_system_vgpr_workitem_id 0
		.amdhsa_next_free_vgpr 1
		.amdhsa_next_free_sgpr 0
		.amdhsa_accum_offset 4
		.amdhsa_reserve_vcc 0
		.amdhsa_float_round_mode_32 0
		.amdhsa_float_round_mode_16_64 0
		.amdhsa_float_denorm_mode_32 3
		.amdhsa_float_denorm_mode_16_64 3
		.amdhsa_dx10_clamp 1
		.amdhsa_ieee_mode 1
		.amdhsa_fp16_overflow 0
		.amdhsa_tg_split 0
		.amdhsa_exception_fp_ieee_invalid_op 0
		.amdhsa_exception_fp_denorm_src 0
		.amdhsa_exception_fp_ieee_div_zero 0
		.amdhsa_exception_fp_ieee_overflow 0
		.amdhsa_exception_fp_ieee_underflow 0
		.amdhsa_exception_fp_ieee_inexact 0
		.amdhsa_exception_int_div_zero 0
	.end_amdhsa_kernel
	.section	.text._ZN7rocprim17ROCPRIM_400000_NS6detail17trampoline_kernelINS0_14default_configENS1_38merge_sort_block_merge_config_selectorIxxEEZZNS1_27merge_sort_block_merge_implIS3_N6thrust23THRUST_200600_302600_NS6detail15normal_iteratorINS8_10device_ptrIxEEEESD_jNS1_19radix_merge_compareILb0ELb1ExNS0_19identity_decomposerEEEEE10hipError_tT0_T1_T2_jT3_P12ihipStream_tbPNSt15iterator_traitsISI_E10value_typeEPNSO_ISJ_E10value_typeEPSK_NS1_7vsmem_tEENKUlT_SI_SJ_SK_E_clIPxSD_S10_SD_EESH_SX_SI_SJ_SK_EUlSX_E0_NS1_11comp_targetILNS1_3genE4ELNS1_11target_archE910ELNS1_3gpuE8ELNS1_3repE0EEENS1_38merge_mergepath_config_static_selectorELNS0_4arch9wavefront6targetE1EEEvSJ_,"axG",@progbits,_ZN7rocprim17ROCPRIM_400000_NS6detail17trampoline_kernelINS0_14default_configENS1_38merge_sort_block_merge_config_selectorIxxEEZZNS1_27merge_sort_block_merge_implIS3_N6thrust23THRUST_200600_302600_NS6detail15normal_iteratorINS8_10device_ptrIxEEEESD_jNS1_19radix_merge_compareILb0ELb1ExNS0_19identity_decomposerEEEEE10hipError_tT0_T1_T2_jT3_P12ihipStream_tbPNSt15iterator_traitsISI_E10value_typeEPNSO_ISJ_E10value_typeEPSK_NS1_7vsmem_tEENKUlT_SI_SJ_SK_E_clIPxSD_S10_SD_EESH_SX_SI_SJ_SK_EUlSX_E0_NS1_11comp_targetILNS1_3genE4ELNS1_11target_archE910ELNS1_3gpuE8ELNS1_3repE0EEENS1_38merge_mergepath_config_static_selectorELNS0_4arch9wavefront6targetE1EEEvSJ_,comdat
.Lfunc_end1133:
	.size	_ZN7rocprim17ROCPRIM_400000_NS6detail17trampoline_kernelINS0_14default_configENS1_38merge_sort_block_merge_config_selectorIxxEEZZNS1_27merge_sort_block_merge_implIS3_N6thrust23THRUST_200600_302600_NS6detail15normal_iteratorINS8_10device_ptrIxEEEESD_jNS1_19radix_merge_compareILb0ELb1ExNS0_19identity_decomposerEEEEE10hipError_tT0_T1_T2_jT3_P12ihipStream_tbPNSt15iterator_traitsISI_E10value_typeEPNSO_ISJ_E10value_typeEPSK_NS1_7vsmem_tEENKUlT_SI_SJ_SK_E_clIPxSD_S10_SD_EESH_SX_SI_SJ_SK_EUlSX_E0_NS1_11comp_targetILNS1_3genE4ELNS1_11target_archE910ELNS1_3gpuE8ELNS1_3repE0EEENS1_38merge_mergepath_config_static_selectorELNS0_4arch9wavefront6targetE1EEEvSJ_, .Lfunc_end1133-_ZN7rocprim17ROCPRIM_400000_NS6detail17trampoline_kernelINS0_14default_configENS1_38merge_sort_block_merge_config_selectorIxxEEZZNS1_27merge_sort_block_merge_implIS3_N6thrust23THRUST_200600_302600_NS6detail15normal_iteratorINS8_10device_ptrIxEEEESD_jNS1_19radix_merge_compareILb0ELb1ExNS0_19identity_decomposerEEEEE10hipError_tT0_T1_T2_jT3_P12ihipStream_tbPNSt15iterator_traitsISI_E10value_typeEPNSO_ISJ_E10value_typeEPSK_NS1_7vsmem_tEENKUlT_SI_SJ_SK_E_clIPxSD_S10_SD_EESH_SX_SI_SJ_SK_EUlSX_E0_NS1_11comp_targetILNS1_3genE4ELNS1_11target_archE910ELNS1_3gpuE8ELNS1_3repE0EEENS1_38merge_mergepath_config_static_selectorELNS0_4arch9wavefront6targetE1EEEvSJ_
                                        ; -- End function
	.set _ZN7rocprim17ROCPRIM_400000_NS6detail17trampoline_kernelINS0_14default_configENS1_38merge_sort_block_merge_config_selectorIxxEEZZNS1_27merge_sort_block_merge_implIS3_N6thrust23THRUST_200600_302600_NS6detail15normal_iteratorINS8_10device_ptrIxEEEESD_jNS1_19radix_merge_compareILb0ELb1ExNS0_19identity_decomposerEEEEE10hipError_tT0_T1_T2_jT3_P12ihipStream_tbPNSt15iterator_traitsISI_E10value_typeEPNSO_ISJ_E10value_typeEPSK_NS1_7vsmem_tEENKUlT_SI_SJ_SK_E_clIPxSD_S10_SD_EESH_SX_SI_SJ_SK_EUlSX_E0_NS1_11comp_targetILNS1_3genE4ELNS1_11target_archE910ELNS1_3gpuE8ELNS1_3repE0EEENS1_38merge_mergepath_config_static_selectorELNS0_4arch9wavefront6targetE1EEEvSJ_.num_vgpr, 0
	.set _ZN7rocprim17ROCPRIM_400000_NS6detail17trampoline_kernelINS0_14default_configENS1_38merge_sort_block_merge_config_selectorIxxEEZZNS1_27merge_sort_block_merge_implIS3_N6thrust23THRUST_200600_302600_NS6detail15normal_iteratorINS8_10device_ptrIxEEEESD_jNS1_19radix_merge_compareILb0ELb1ExNS0_19identity_decomposerEEEEE10hipError_tT0_T1_T2_jT3_P12ihipStream_tbPNSt15iterator_traitsISI_E10value_typeEPNSO_ISJ_E10value_typeEPSK_NS1_7vsmem_tEENKUlT_SI_SJ_SK_E_clIPxSD_S10_SD_EESH_SX_SI_SJ_SK_EUlSX_E0_NS1_11comp_targetILNS1_3genE4ELNS1_11target_archE910ELNS1_3gpuE8ELNS1_3repE0EEENS1_38merge_mergepath_config_static_selectorELNS0_4arch9wavefront6targetE1EEEvSJ_.num_agpr, 0
	.set _ZN7rocprim17ROCPRIM_400000_NS6detail17trampoline_kernelINS0_14default_configENS1_38merge_sort_block_merge_config_selectorIxxEEZZNS1_27merge_sort_block_merge_implIS3_N6thrust23THRUST_200600_302600_NS6detail15normal_iteratorINS8_10device_ptrIxEEEESD_jNS1_19radix_merge_compareILb0ELb1ExNS0_19identity_decomposerEEEEE10hipError_tT0_T1_T2_jT3_P12ihipStream_tbPNSt15iterator_traitsISI_E10value_typeEPNSO_ISJ_E10value_typeEPSK_NS1_7vsmem_tEENKUlT_SI_SJ_SK_E_clIPxSD_S10_SD_EESH_SX_SI_SJ_SK_EUlSX_E0_NS1_11comp_targetILNS1_3genE4ELNS1_11target_archE910ELNS1_3gpuE8ELNS1_3repE0EEENS1_38merge_mergepath_config_static_selectorELNS0_4arch9wavefront6targetE1EEEvSJ_.numbered_sgpr, 0
	.set _ZN7rocprim17ROCPRIM_400000_NS6detail17trampoline_kernelINS0_14default_configENS1_38merge_sort_block_merge_config_selectorIxxEEZZNS1_27merge_sort_block_merge_implIS3_N6thrust23THRUST_200600_302600_NS6detail15normal_iteratorINS8_10device_ptrIxEEEESD_jNS1_19radix_merge_compareILb0ELb1ExNS0_19identity_decomposerEEEEE10hipError_tT0_T1_T2_jT3_P12ihipStream_tbPNSt15iterator_traitsISI_E10value_typeEPNSO_ISJ_E10value_typeEPSK_NS1_7vsmem_tEENKUlT_SI_SJ_SK_E_clIPxSD_S10_SD_EESH_SX_SI_SJ_SK_EUlSX_E0_NS1_11comp_targetILNS1_3genE4ELNS1_11target_archE910ELNS1_3gpuE8ELNS1_3repE0EEENS1_38merge_mergepath_config_static_selectorELNS0_4arch9wavefront6targetE1EEEvSJ_.num_named_barrier, 0
	.set _ZN7rocprim17ROCPRIM_400000_NS6detail17trampoline_kernelINS0_14default_configENS1_38merge_sort_block_merge_config_selectorIxxEEZZNS1_27merge_sort_block_merge_implIS3_N6thrust23THRUST_200600_302600_NS6detail15normal_iteratorINS8_10device_ptrIxEEEESD_jNS1_19radix_merge_compareILb0ELb1ExNS0_19identity_decomposerEEEEE10hipError_tT0_T1_T2_jT3_P12ihipStream_tbPNSt15iterator_traitsISI_E10value_typeEPNSO_ISJ_E10value_typeEPSK_NS1_7vsmem_tEENKUlT_SI_SJ_SK_E_clIPxSD_S10_SD_EESH_SX_SI_SJ_SK_EUlSX_E0_NS1_11comp_targetILNS1_3genE4ELNS1_11target_archE910ELNS1_3gpuE8ELNS1_3repE0EEENS1_38merge_mergepath_config_static_selectorELNS0_4arch9wavefront6targetE1EEEvSJ_.private_seg_size, 0
	.set _ZN7rocprim17ROCPRIM_400000_NS6detail17trampoline_kernelINS0_14default_configENS1_38merge_sort_block_merge_config_selectorIxxEEZZNS1_27merge_sort_block_merge_implIS3_N6thrust23THRUST_200600_302600_NS6detail15normal_iteratorINS8_10device_ptrIxEEEESD_jNS1_19radix_merge_compareILb0ELb1ExNS0_19identity_decomposerEEEEE10hipError_tT0_T1_T2_jT3_P12ihipStream_tbPNSt15iterator_traitsISI_E10value_typeEPNSO_ISJ_E10value_typeEPSK_NS1_7vsmem_tEENKUlT_SI_SJ_SK_E_clIPxSD_S10_SD_EESH_SX_SI_SJ_SK_EUlSX_E0_NS1_11comp_targetILNS1_3genE4ELNS1_11target_archE910ELNS1_3gpuE8ELNS1_3repE0EEENS1_38merge_mergepath_config_static_selectorELNS0_4arch9wavefront6targetE1EEEvSJ_.uses_vcc, 0
	.set _ZN7rocprim17ROCPRIM_400000_NS6detail17trampoline_kernelINS0_14default_configENS1_38merge_sort_block_merge_config_selectorIxxEEZZNS1_27merge_sort_block_merge_implIS3_N6thrust23THRUST_200600_302600_NS6detail15normal_iteratorINS8_10device_ptrIxEEEESD_jNS1_19radix_merge_compareILb0ELb1ExNS0_19identity_decomposerEEEEE10hipError_tT0_T1_T2_jT3_P12ihipStream_tbPNSt15iterator_traitsISI_E10value_typeEPNSO_ISJ_E10value_typeEPSK_NS1_7vsmem_tEENKUlT_SI_SJ_SK_E_clIPxSD_S10_SD_EESH_SX_SI_SJ_SK_EUlSX_E0_NS1_11comp_targetILNS1_3genE4ELNS1_11target_archE910ELNS1_3gpuE8ELNS1_3repE0EEENS1_38merge_mergepath_config_static_selectorELNS0_4arch9wavefront6targetE1EEEvSJ_.uses_flat_scratch, 0
	.set _ZN7rocprim17ROCPRIM_400000_NS6detail17trampoline_kernelINS0_14default_configENS1_38merge_sort_block_merge_config_selectorIxxEEZZNS1_27merge_sort_block_merge_implIS3_N6thrust23THRUST_200600_302600_NS6detail15normal_iteratorINS8_10device_ptrIxEEEESD_jNS1_19radix_merge_compareILb0ELb1ExNS0_19identity_decomposerEEEEE10hipError_tT0_T1_T2_jT3_P12ihipStream_tbPNSt15iterator_traitsISI_E10value_typeEPNSO_ISJ_E10value_typeEPSK_NS1_7vsmem_tEENKUlT_SI_SJ_SK_E_clIPxSD_S10_SD_EESH_SX_SI_SJ_SK_EUlSX_E0_NS1_11comp_targetILNS1_3genE4ELNS1_11target_archE910ELNS1_3gpuE8ELNS1_3repE0EEENS1_38merge_mergepath_config_static_selectorELNS0_4arch9wavefront6targetE1EEEvSJ_.has_dyn_sized_stack, 0
	.set _ZN7rocprim17ROCPRIM_400000_NS6detail17trampoline_kernelINS0_14default_configENS1_38merge_sort_block_merge_config_selectorIxxEEZZNS1_27merge_sort_block_merge_implIS3_N6thrust23THRUST_200600_302600_NS6detail15normal_iteratorINS8_10device_ptrIxEEEESD_jNS1_19radix_merge_compareILb0ELb1ExNS0_19identity_decomposerEEEEE10hipError_tT0_T1_T2_jT3_P12ihipStream_tbPNSt15iterator_traitsISI_E10value_typeEPNSO_ISJ_E10value_typeEPSK_NS1_7vsmem_tEENKUlT_SI_SJ_SK_E_clIPxSD_S10_SD_EESH_SX_SI_SJ_SK_EUlSX_E0_NS1_11comp_targetILNS1_3genE4ELNS1_11target_archE910ELNS1_3gpuE8ELNS1_3repE0EEENS1_38merge_mergepath_config_static_selectorELNS0_4arch9wavefront6targetE1EEEvSJ_.has_recursion, 0
	.set _ZN7rocprim17ROCPRIM_400000_NS6detail17trampoline_kernelINS0_14default_configENS1_38merge_sort_block_merge_config_selectorIxxEEZZNS1_27merge_sort_block_merge_implIS3_N6thrust23THRUST_200600_302600_NS6detail15normal_iteratorINS8_10device_ptrIxEEEESD_jNS1_19radix_merge_compareILb0ELb1ExNS0_19identity_decomposerEEEEE10hipError_tT0_T1_T2_jT3_P12ihipStream_tbPNSt15iterator_traitsISI_E10value_typeEPNSO_ISJ_E10value_typeEPSK_NS1_7vsmem_tEENKUlT_SI_SJ_SK_E_clIPxSD_S10_SD_EESH_SX_SI_SJ_SK_EUlSX_E0_NS1_11comp_targetILNS1_3genE4ELNS1_11target_archE910ELNS1_3gpuE8ELNS1_3repE0EEENS1_38merge_mergepath_config_static_selectorELNS0_4arch9wavefront6targetE1EEEvSJ_.has_indirect_call, 0
	.section	.AMDGPU.csdata,"",@progbits
; Kernel info:
; codeLenInByte = 0
; TotalNumSgprs: 6
; NumVgprs: 0
; NumAgprs: 0
; TotalNumVgprs: 0
; ScratchSize: 0
; MemoryBound: 0
; FloatMode: 240
; IeeeMode: 1
; LDSByteSize: 0 bytes/workgroup (compile time only)
; SGPRBlocks: 0
; VGPRBlocks: 0
; NumSGPRsForWavesPerEU: 6
; NumVGPRsForWavesPerEU: 1
; AccumOffset: 4
; Occupancy: 8
; WaveLimiterHint : 0
; COMPUTE_PGM_RSRC2:SCRATCH_EN: 0
; COMPUTE_PGM_RSRC2:USER_SGPR: 2
; COMPUTE_PGM_RSRC2:TRAP_HANDLER: 0
; COMPUTE_PGM_RSRC2:TGID_X_EN: 1
; COMPUTE_PGM_RSRC2:TGID_Y_EN: 0
; COMPUTE_PGM_RSRC2:TGID_Z_EN: 0
; COMPUTE_PGM_RSRC2:TIDIG_COMP_CNT: 0
; COMPUTE_PGM_RSRC3_GFX90A:ACCUM_OFFSET: 0
; COMPUTE_PGM_RSRC3_GFX90A:TG_SPLIT: 0
	.section	.text._ZN7rocprim17ROCPRIM_400000_NS6detail17trampoline_kernelINS0_14default_configENS1_38merge_sort_block_merge_config_selectorIxxEEZZNS1_27merge_sort_block_merge_implIS3_N6thrust23THRUST_200600_302600_NS6detail15normal_iteratorINS8_10device_ptrIxEEEESD_jNS1_19radix_merge_compareILb0ELb1ExNS0_19identity_decomposerEEEEE10hipError_tT0_T1_T2_jT3_P12ihipStream_tbPNSt15iterator_traitsISI_E10value_typeEPNSO_ISJ_E10value_typeEPSK_NS1_7vsmem_tEENKUlT_SI_SJ_SK_E_clIPxSD_S10_SD_EESH_SX_SI_SJ_SK_EUlSX_E0_NS1_11comp_targetILNS1_3genE3ELNS1_11target_archE908ELNS1_3gpuE7ELNS1_3repE0EEENS1_38merge_mergepath_config_static_selectorELNS0_4arch9wavefront6targetE1EEEvSJ_,"axG",@progbits,_ZN7rocprim17ROCPRIM_400000_NS6detail17trampoline_kernelINS0_14default_configENS1_38merge_sort_block_merge_config_selectorIxxEEZZNS1_27merge_sort_block_merge_implIS3_N6thrust23THRUST_200600_302600_NS6detail15normal_iteratorINS8_10device_ptrIxEEEESD_jNS1_19radix_merge_compareILb0ELb1ExNS0_19identity_decomposerEEEEE10hipError_tT0_T1_T2_jT3_P12ihipStream_tbPNSt15iterator_traitsISI_E10value_typeEPNSO_ISJ_E10value_typeEPSK_NS1_7vsmem_tEENKUlT_SI_SJ_SK_E_clIPxSD_S10_SD_EESH_SX_SI_SJ_SK_EUlSX_E0_NS1_11comp_targetILNS1_3genE3ELNS1_11target_archE908ELNS1_3gpuE7ELNS1_3repE0EEENS1_38merge_mergepath_config_static_selectorELNS0_4arch9wavefront6targetE1EEEvSJ_,comdat
	.protected	_ZN7rocprim17ROCPRIM_400000_NS6detail17trampoline_kernelINS0_14default_configENS1_38merge_sort_block_merge_config_selectorIxxEEZZNS1_27merge_sort_block_merge_implIS3_N6thrust23THRUST_200600_302600_NS6detail15normal_iteratorINS8_10device_ptrIxEEEESD_jNS1_19radix_merge_compareILb0ELb1ExNS0_19identity_decomposerEEEEE10hipError_tT0_T1_T2_jT3_P12ihipStream_tbPNSt15iterator_traitsISI_E10value_typeEPNSO_ISJ_E10value_typeEPSK_NS1_7vsmem_tEENKUlT_SI_SJ_SK_E_clIPxSD_S10_SD_EESH_SX_SI_SJ_SK_EUlSX_E0_NS1_11comp_targetILNS1_3genE3ELNS1_11target_archE908ELNS1_3gpuE7ELNS1_3repE0EEENS1_38merge_mergepath_config_static_selectorELNS0_4arch9wavefront6targetE1EEEvSJ_ ; -- Begin function _ZN7rocprim17ROCPRIM_400000_NS6detail17trampoline_kernelINS0_14default_configENS1_38merge_sort_block_merge_config_selectorIxxEEZZNS1_27merge_sort_block_merge_implIS3_N6thrust23THRUST_200600_302600_NS6detail15normal_iteratorINS8_10device_ptrIxEEEESD_jNS1_19radix_merge_compareILb0ELb1ExNS0_19identity_decomposerEEEEE10hipError_tT0_T1_T2_jT3_P12ihipStream_tbPNSt15iterator_traitsISI_E10value_typeEPNSO_ISJ_E10value_typeEPSK_NS1_7vsmem_tEENKUlT_SI_SJ_SK_E_clIPxSD_S10_SD_EESH_SX_SI_SJ_SK_EUlSX_E0_NS1_11comp_targetILNS1_3genE3ELNS1_11target_archE908ELNS1_3gpuE7ELNS1_3repE0EEENS1_38merge_mergepath_config_static_selectorELNS0_4arch9wavefront6targetE1EEEvSJ_
	.globl	_ZN7rocprim17ROCPRIM_400000_NS6detail17trampoline_kernelINS0_14default_configENS1_38merge_sort_block_merge_config_selectorIxxEEZZNS1_27merge_sort_block_merge_implIS3_N6thrust23THRUST_200600_302600_NS6detail15normal_iteratorINS8_10device_ptrIxEEEESD_jNS1_19radix_merge_compareILb0ELb1ExNS0_19identity_decomposerEEEEE10hipError_tT0_T1_T2_jT3_P12ihipStream_tbPNSt15iterator_traitsISI_E10value_typeEPNSO_ISJ_E10value_typeEPSK_NS1_7vsmem_tEENKUlT_SI_SJ_SK_E_clIPxSD_S10_SD_EESH_SX_SI_SJ_SK_EUlSX_E0_NS1_11comp_targetILNS1_3genE3ELNS1_11target_archE908ELNS1_3gpuE7ELNS1_3repE0EEENS1_38merge_mergepath_config_static_selectorELNS0_4arch9wavefront6targetE1EEEvSJ_
	.p2align	8
	.type	_ZN7rocprim17ROCPRIM_400000_NS6detail17trampoline_kernelINS0_14default_configENS1_38merge_sort_block_merge_config_selectorIxxEEZZNS1_27merge_sort_block_merge_implIS3_N6thrust23THRUST_200600_302600_NS6detail15normal_iteratorINS8_10device_ptrIxEEEESD_jNS1_19radix_merge_compareILb0ELb1ExNS0_19identity_decomposerEEEEE10hipError_tT0_T1_T2_jT3_P12ihipStream_tbPNSt15iterator_traitsISI_E10value_typeEPNSO_ISJ_E10value_typeEPSK_NS1_7vsmem_tEENKUlT_SI_SJ_SK_E_clIPxSD_S10_SD_EESH_SX_SI_SJ_SK_EUlSX_E0_NS1_11comp_targetILNS1_3genE3ELNS1_11target_archE908ELNS1_3gpuE7ELNS1_3repE0EEENS1_38merge_mergepath_config_static_selectorELNS0_4arch9wavefront6targetE1EEEvSJ_,@function
_ZN7rocprim17ROCPRIM_400000_NS6detail17trampoline_kernelINS0_14default_configENS1_38merge_sort_block_merge_config_selectorIxxEEZZNS1_27merge_sort_block_merge_implIS3_N6thrust23THRUST_200600_302600_NS6detail15normal_iteratorINS8_10device_ptrIxEEEESD_jNS1_19radix_merge_compareILb0ELb1ExNS0_19identity_decomposerEEEEE10hipError_tT0_T1_T2_jT3_P12ihipStream_tbPNSt15iterator_traitsISI_E10value_typeEPNSO_ISJ_E10value_typeEPSK_NS1_7vsmem_tEENKUlT_SI_SJ_SK_E_clIPxSD_S10_SD_EESH_SX_SI_SJ_SK_EUlSX_E0_NS1_11comp_targetILNS1_3genE3ELNS1_11target_archE908ELNS1_3gpuE7ELNS1_3repE0EEENS1_38merge_mergepath_config_static_selectorELNS0_4arch9wavefront6targetE1EEEvSJ_: ; @_ZN7rocprim17ROCPRIM_400000_NS6detail17trampoline_kernelINS0_14default_configENS1_38merge_sort_block_merge_config_selectorIxxEEZZNS1_27merge_sort_block_merge_implIS3_N6thrust23THRUST_200600_302600_NS6detail15normal_iteratorINS8_10device_ptrIxEEEESD_jNS1_19radix_merge_compareILb0ELb1ExNS0_19identity_decomposerEEEEE10hipError_tT0_T1_T2_jT3_P12ihipStream_tbPNSt15iterator_traitsISI_E10value_typeEPNSO_ISJ_E10value_typeEPSK_NS1_7vsmem_tEENKUlT_SI_SJ_SK_E_clIPxSD_S10_SD_EESH_SX_SI_SJ_SK_EUlSX_E0_NS1_11comp_targetILNS1_3genE3ELNS1_11target_archE908ELNS1_3gpuE7ELNS1_3repE0EEENS1_38merge_mergepath_config_static_selectorELNS0_4arch9wavefront6targetE1EEEvSJ_
; %bb.0:
	.section	.rodata,"a",@progbits
	.p2align	6, 0x0
	.amdhsa_kernel _ZN7rocprim17ROCPRIM_400000_NS6detail17trampoline_kernelINS0_14default_configENS1_38merge_sort_block_merge_config_selectorIxxEEZZNS1_27merge_sort_block_merge_implIS3_N6thrust23THRUST_200600_302600_NS6detail15normal_iteratorINS8_10device_ptrIxEEEESD_jNS1_19radix_merge_compareILb0ELb1ExNS0_19identity_decomposerEEEEE10hipError_tT0_T1_T2_jT3_P12ihipStream_tbPNSt15iterator_traitsISI_E10value_typeEPNSO_ISJ_E10value_typeEPSK_NS1_7vsmem_tEENKUlT_SI_SJ_SK_E_clIPxSD_S10_SD_EESH_SX_SI_SJ_SK_EUlSX_E0_NS1_11comp_targetILNS1_3genE3ELNS1_11target_archE908ELNS1_3gpuE7ELNS1_3repE0EEENS1_38merge_mergepath_config_static_selectorELNS0_4arch9wavefront6targetE1EEEvSJ_
		.amdhsa_group_segment_fixed_size 0
		.amdhsa_private_segment_fixed_size 0
		.amdhsa_kernarg_size 72
		.amdhsa_user_sgpr_count 2
		.amdhsa_user_sgpr_dispatch_ptr 0
		.amdhsa_user_sgpr_queue_ptr 0
		.amdhsa_user_sgpr_kernarg_segment_ptr 1
		.amdhsa_user_sgpr_dispatch_id 0
		.amdhsa_user_sgpr_kernarg_preload_length 0
		.amdhsa_user_sgpr_kernarg_preload_offset 0
		.amdhsa_user_sgpr_private_segment_size 0
		.amdhsa_uses_dynamic_stack 0
		.amdhsa_enable_private_segment 0
		.amdhsa_system_sgpr_workgroup_id_x 1
		.amdhsa_system_sgpr_workgroup_id_y 0
		.amdhsa_system_sgpr_workgroup_id_z 0
		.amdhsa_system_sgpr_workgroup_info 0
		.amdhsa_system_vgpr_workitem_id 0
		.amdhsa_next_free_vgpr 1
		.amdhsa_next_free_sgpr 0
		.amdhsa_accum_offset 4
		.amdhsa_reserve_vcc 0
		.amdhsa_float_round_mode_32 0
		.amdhsa_float_round_mode_16_64 0
		.amdhsa_float_denorm_mode_32 3
		.amdhsa_float_denorm_mode_16_64 3
		.amdhsa_dx10_clamp 1
		.amdhsa_ieee_mode 1
		.amdhsa_fp16_overflow 0
		.amdhsa_tg_split 0
		.amdhsa_exception_fp_ieee_invalid_op 0
		.amdhsa_exception_fp_denorm_src 0
		.amdhsa_exception_fp_ieee_div_zero 0
		.amdhsa_exception_fp_ieee_overflow 0
		.amdhsa_exception_fp_ieee_underflow 0
		.amdhsa_exception_fp_ieee_inexact 0
		.amdhsa_exception_int_div_zero 0
	.end_amdhsa_kernel
	.section	.text._ZN7rocprim17ROCPRIM_400000_NS6detail17trampoline_kernelINS0_14default_configENS1_38merge_sort_block_merge_config_selectorIxxEEZZNS1_27merge_sort_block_merge_implIS3_N6thrust23THRUST_200600_302600_NS6detail15normal_iteratorINS8_10device_ptrIxEEEESD_jNS1_19radix_merge_compareILb0ELb1ExNS0_19identity_decomposerEEEEE10hipError_tT0_T1_T2_jT3_P12ihipStream_tbPNSt15iterator_traitsISI_E10value_typeEPNSO_ISJ_E10value_typeEPSK_NS1_7vsmem_tEENKUlT_SI_SJ_SK_E_clIPxSD_S10_SD_EESH_SX_SI_SJ_SK_EUlSX_E0_NS1_11comp_targetILNS1_3genE3ELNS1_11target_archE908ELNS1_3gpuE7ELNS1_3repE0EEENS1_38merge_mergepath_config_static_selectorELNS0_4arch9wavefront6targetE1EEEvSJ_,"axG",@progbits,_ZN7rocprim17ROCPRIM_400000_NS6detail17trampoline_kernelINS0_14default_configENS1_38merge_sort_block_merge_config_selectorIxxEEZZNS1_27merge_sort_block_merge_implIS3_N6thrust23THRUST_200600_302600_NS6detail15normal_iteratorINS8_10device_ptrIxEEEESD_jNS1_19radix_merge_compareILb0ELb1ExNS0_19identity_decomposerEEEEE10hipError_tT0_T1_T2_jT3_P12ihipStream_tbPNSt15iterator_traitsISI_E10value_typeEPNSO_ISJ_E10value_typeEPSK_NS1_7vsmem_tEENKUlT_SI_SJ_SK_E_clIPxSD_S10_SD_EESH_SX_SI_SJ_SK_EUlSX_E0_NS1_11comp_targetILNS1_3genE3ELNS1_11target_archE908ELNS1_3gpuE7ELNS1_3repE0EEENS1_38merge_mergepath_config_static_selectorELNS0_4arch9wavefront6targetE1EEEvSJ_,comdat
.Lfunc_end1134:
	.size	_ZN7rocprim17ROCPRIM_400000_NS6detail17trampoline_kernelINS0_14default_configENS1_38merge_sort_block_merge_config_selectorIxxEEZZNS1_27merge_sort_block_merge_implIS3_N6thrust23THRUST_200600_302600_NS6detail15normal_iteratorINS8_10device_ptrIxEEEESD_jNS1_19radix_merge_compareILb0ELb1ExNS0_19identity_decomposerEEEEE10hipError_tT0_T1_T2_jT3_P12ihipStream_tbPNSt15iterator_traitsISI_E10value_typeEPNSO_ISJ_E10value_typeEPSK_NS1_7vsmem_tEENKUlT_SI_SJ_SK_E_clIPxSD_S10_SD_EESH_SX_SI_SJ_SK_EUlSX_E0_NS1_11comp_targetILNS1_3genE3ELNS1_11target_archE908ELNS1_3gpuE7ELNS1_3repE0EEENS1_38merge_mergepath_config_static_selectorELNS0_4arch9wavefront6targetE1EEEvSJ_, .Lfunc_end1134-_ZN7rocprim17ROCPRIM_400000_NS6detail17trampoline_kernelINS0_14default_configENS1_38merge_sort_block_merge_config_selectorIxxEEZZNS1_27merge_sort_block_merge_implIS3_N6thrust23THRUST_200600_302600_NS6detail15normal_iteratorINS8_10device_ptrIxEEEESD_jNS1_19radix_merge_compareILb0ELb1ExNS0_19identity_decomposerEEEEE10hipError_tT0_T1_T2_jT3_P12ihipStream_tbPNSt15iterator_traitsISI_E10value_typeEPNSO_ISJ_E10value_typeEPSK_NS1_7vsmem_tEENKUlT_SI_SJ_SK_E_clIPxSD_S10_SD_EESH_SX_SI_SJ_SK_EUlSX_E0_NS1_11comp_targetILNS1_3genE3ELNS1_11target_archE908ELNS1_3gpuE7ELNS1_3repE0EEENS1_38merge_mergepath_config_static_selectorELNS0_4arch9wavefront6targetE1EEEvSJ_
                                        ; -- End function
	.set _ZN7rocprim17ROCPRIM_400000_NS6detail17trampoline_kernelINS0_14default_configENS1_38merge_sort_block_merge_config_selectorIxxEEZZNS1_27merge_sort_block_merge_implIS3_N6thrust23THRUST_200600_302600_NS6detail15normal_iteratorINS8_10device_ptrIxEEEESD_jNS1_19radix_merge_compareILb0ELb1ExNS0_19identity_decomposerEEEEE10hipError_tT0_T1_T2_jT3_P12ihipStream_tbPNSt15iterator_traitsISI_E10value_typeEPNSO_ISJ_E10value_typeEPSK_NS1_7vsmem_tEENKUlT_SI_SJ_SK_E_clIPxSD_S10_SD_EESH_SX_SI_SJ_SK_EUlSX_E0_NS1_11comp_targetILNS1_3genE3ELNS1_11target_archE908ELNS1_3gpuE7ELNS1_3repE0EEENS1_38merge_mergepath_config_static_selectorELNS0_4arch9wavefront6targetE1EEEvSJ_.num_vgpr, 0
	.set _ZN7rocprim17ROCPRIM_400000_NS6detail17trampoline_kernelINS0_14default_configENS1_38merge_sort_block_merge_config_selectorIxxEEZZNS1_27merge_sort_block_merge_implIS3_N6thrust23THRUST_200600_302600_NS6detail15normal_iteratorINS8_10device_ptrIxEEEESD_jNS1_19radix_merge_compareILb0ELb1ExNS0_19identity_decomposerEEEEE10hipError_tT0_T1_T2_jT3_P12ihipStream_tbPNSt15iterator_traitsISI_E10value_typeEPNSO_ISJ_E10value_typeEPSK_NS1_7vsmem_tEENKUlT_SI_SJ_SK_E_clIPxSD_S10_SD_EESH_SX_SI_SJ_SK_EUlSX_E0_NS1_11comp_targetILNS1_3genE3ELNS1_11target_archE908ELNS1_3gpuE7ELNS1_3repE0EEENS1_38merge_mergepath_config_static_selectorELNS0_4arch9wavefront6targetE1EEEvSJ_.num_agpr, 0
	.set _ZN7rocprim17ROCPRIM_400000_NS6detail17trampoline_kernelINS0_14default_configENS1_38merge_sort_block_merge_config_selectorIxxEEZZNS1_27merge_sort_block_merge_implIS3_N6thrust23THRUST_200600_302600_NS6detail15normal_iteratorINS8_10device_ptrIxEEEESD_jNS1_19radix_merge_compareILb0ELb1ExNS0_19identity_decomposerEEEEE10hipError_tT0_T1_T2_jT3_P12ihipStream_tbPNSt15iterator_traitsISI_E10value_typeEPNSO_ISJ_E10value_typeEPSK_NS1_7vsmem_tEENKUlT_SI_SJ_SK_E_clIPxSD_S10_SD_EESH_SX_SI_SJ_SK_EUlSX_E0_NS1_11comp_targetILNS1_3genE3ELNS1_11target_archE908ELNS1_3gpuE7ELNS1_3repE0EEENS1_38merge_mergepath_config_static_selectorELNS0_4arch9wavefront6targetE1EEEvSJ_.numbered_sgpr, 0
	.set _ZN7rocprim17ROCPRIM_400000_NS6detail17trampoline_kernelINS0_14default_configENS1_38merge_sort_block_merge_config_selectorIxxEEZZNS1_27merge_sort_block_merge_implIS3_N6thrust23THRUST_200600_302600_NS6detail15normal_iteratorINS8_10device_ptrIxEEEESD_jNS1_19radix_merge_compareILb0ELb1ExNS0_19identity_decomposerEEEEE10hipError_tT0_T1_T2_jT3_P12ihipStream_tbPNSt15iterator_traitsISI_E10value_typeEPNSO_ISJ_E10value_typeEPSK_NS1_7vsmem_tEENKUlT_SI_SJ_SK_E_clIPxSD_S10_SD_EESH_SX_SI_SJ_SK_EUlSX_E0_NS1_11comp_targetILNS1_3genE3ELNS1_11target_archE908ELNS1_3gpuE7ELNS1_3repE0EEENS1_38merge_mergepath_config_static_selectorELNS0_4arch9wavefront6targetE1EEEvSJ_.num_named_barrier, 0
	.set _ZN7rocprim17ROCPRIM_400000_NS6detail17trampoline_kernelINS0_14default_configENS1_38merge_sort_block_merge_config_selectorIxxEEZZNS1_27merge_sort_block_merge_implIS3_N6thrust23THRUST_200600_302600_NS6detail15normal_iteratorINS8_10device_ptrIxEEEESD_jNS1_19radix_merge_compareILb0ELb1ExNS0_19identity_decomposerEEEEE10hipError_tT0_T1_T2_jT3_P12ihipStream_tbPNSt15iterator_traitsISI_E10value_typeEPNSO_ISJ_E10value_typeEPSK_NS1_7vsmem_tEENKUlT_SI_SJ_SK_E_clIPxSD_S10_SD_EESH_SX_SI_SJ_SK_EUlSX_E0_NS1_11comp_targetILNS1_3genE3ELNS1_11target_archE908ELNS1_3gpuE7ELNS1_3repE0EEENS1_38merge_mergepath_config_static_selectorELNS0_4arch9wavefront6targetE1EEEvSJ_.private_seg_size, 0
	.set _ZN7rocprim17ROCPRIM_400000_NS6detail17trampoline_kernelINS0_14default_configENS1_38merge_sort_block_merge_config_selectorIxxEEZZNS1_27merge_sort_block_merge_implIS3_N6thrust23THRUST_200600_302600_NS6detail15normal_iteratorINS8_10device_ptrIxEEEESD_jNS1_19radix_merge_compareILb0ELb1ExNS0_19identity_decomposerEEEEE10hipError_tT0_T1_T2_jT3_P12ihipStream_tbPNSt15iterator_traitsISI_E10value_typeEPNSO_ISJ_E10value_typeEPSK_NS1_7vsmem_tEENKUlT_SI_SJ_SK_E_clIPxSD_S10_SD_EESH_SX_SI_SJ_SK_EUlSX_E0_NS1_11comp_targetILNS1_3genE3ELNS1_11target_archE908ELNS1_3gpuE7ELNS1_3repE0EEENS1_38merge_mergepath_config_static_selectorELNS0_4arch9wavefront6targetE1EEEvSJ_.uses_vcc, 0
	.set _ZN7rocprim17ROCPRIM_400000_NS6detail17trampoline_kernelINS0_14default_configENS1_38merge_sort_block_merge_config_selectorIxxEEZZNS1_27merge_sort_block_merge_implIS3_N6thrust23THRUST_200600_302600_NS6detail15normal_iteratorINS8_10device_ptrIxEEEESD_jNS1_19radix_merge_compareILb0ELb1ExNS0_19identity_decomposerEEEEE10hipError_tT0_T1_T2_jT3_P12ihipStream_tbPNSt15iterator_traitsISI_E10value_typeEPNSO_ISJ_E10value_typeEPSK_NS1_7vsmem_tEENKUlT_SI_SJ_SK_E_clIPxSD_S10_SD_EESH_SX_SI_SJ_SK_EUlSX_E0_NS1_11comp_targetILNS1_3genE3ELNS1_11target_archE908ELNS1_3gpuE7ELNS1_3repE0EEENS1_38merge_mergepath_config_static_selectorELNS0_4arch9wavefront6targetE1EEEvSJ_.uses_flat_scratch, 0
	.set _ZN7rocprim17ROCPRIM_400000_NS6detail17trampoline_kernelINS0_14default_configENS1_38merge_sort_block_merge_config_selectorIxxEEZZNS1_27merge_sort_block_merge_implIS3_N6thrust23THRUST_200600_302600_NS6detail15normal_iteratorINS8_10device_ptrIxEEEESD_jNS1_19radix_merge_compareILb0ELb1ExNS0_19identity_decomposerEEEEE10hipError_tT0_T1_T2_jT3_P12ihipStream_tbPNSt15iterator_traitsISI_E10value_typeEPNSO_ISJ_E10value_typeEPSK_NS1_7vsmem_tEENKUlT_SI_SJ_SK_E_clIPxSD_S10_SD_EESH_SX_SI_SJ_SK_EUlSX_E0_NS1_11comp_targetILNS1_3genE3ELNS1_11target_archE908ELNS1_3gpuE7ELNS1_3repE0EEENS1_38merge_mergepath_config_static_selectorELNS0_4arch9wavefront6targetE1EEEvSJ_.has_dyn_sized_stack, 0
	.set _ZN7rocprim17ROCPRIM_400000_NS6detail17trampoline_kernelINS0_14default_configENS1_38merge_sort_block_merge_config_selectorIxxEEZZNS1_27merge_sort_block_merge_implIS3_N6thrust23THRUST_200600_302600_NS6detail15normal_iteratorINS8_10device_ptrIxEEEESD_jNS1_19radix_merge_compareILb0ELb1ExNS0_19identity_decomposerEEEEE10hipError_tT0_T1_T2_jT3_P12ihipStream_tbPNSt15iterator_traitsISI_E10value_typeEPNSO_ISJ_E10value_typeEPSK_NS1_7vsmem_tEENKUlT_SI_SJ_SK_E_clIPxSD_S10_SD_EESH_SX_SI_SJ_SK_EUlSX_E0_NS1_11comp_targetILNS1_3genE3ELNS1_11target_archE908ELNS1_3gpuE7ELNS1_3repE0EEENS1_38merge_mergepath_config_static_selectorELNS0_4arch9wavefront6targetE1EEEvSJ_.has_recursion, 0
	.set _ZN7rocprim17ROCPRIM_400000_NS6detail17trampoline_kernelINS0_14default_configENS1_38merge_sort_block_merge_config_selectorIxxEEZZNS1_27merge_sort_block_merge_implIS3_N6thrust23THRUST_200600_302600_NS6detail15normal_iteratorINS8_10device_ptrIxEEEESD_jNS1_19radix_merge_compareILb0ELb1ExNS0_19identity_decomposerEEEEE10hipError_tT0_T1_T2_jT3_P12ihipStream_tbPNSt15iterator_traitsISI_E10value_typeEPNSO_ISJ_E10value_typeEPSK_NS1_7vsmem_tEENKUlT_SI_SJ_SK_E_clIPxSD_S10_SD_EESH_SX_SI_SJ_SK_EUlSX_E0_NS1_11comp_targetILNS1_3genE3ELNS1_11target_archE908ELNS1_3gpuE7ELNS1_3repE0EEENS1_38merge_mergepath_config_static_selectorELNS0_4arch9wavefront6targetE1EEEvSJ_.has_indirect_call, 0
	.section	.AMDGPU.csdata,"",@progbits
; Kernel info:
; codeLenInByte = 0
; TotalNumSgprs: 6
; NumVgprs: 0
; NumAgprs: 0
; TotalNumVgprs: 0
; ScratchSize: 0
; MemoryBound: 0
; FloatMode: 240
; IeeeMode: 1
; LDSByteSize: 0 bytes/workgroup (compile time only)
; SGPRBlocks: 0
; VGPRBlocks: 0
; NumSGPRsForWavesPerEU: 6
; NumVGPRsForWavesPerEU: 1
; AccumOffset: 4
; Occupancy: 8
; WaveLimiterHint : 0
; COMPUTE_PGM_RSRC2:SCRATCH_EN: 0
; COMPUTE_PGM_RSRC2:USER_SGPR: 2
; COMPUTE_PGM_RSRC2:TRAP_HANDLER: 0
; COMPUTE_PGM_RSRC2:TGID_X_EN: 1
; COMPUTE_PGM_RSRC2:TGID_Y_EN: 0
; COMPUTE_PGM_RSRC2:TGID_Z_EN: 0
; COMPUTE_PGM_RSRC2:TIDIG_COMP_CNT: 0
; COMPUTE_PGM_RSRC3_GFX90A:ACCUM_OFFSET: 0
; COMPUTE_PGM_RSRC3_GFX90A:TG_SPLIT: 0
	.section	.text._ZN7rocprim17ROCPRIM_400000_NS6detail17trampoline_kernelINS0_14default_configENS1_38merge_sort_block_merge_config_selectorIxxEEZZNS1_27merge_sort_block_merge_implIS3_N6thrust23THRUST_200600_302600_NS6detail15normal_iteratorINS8_10device_ptrIxEEEESD_jNS1_19radix_merge_compareILb0ELb1ExNS0_19identity_decomposerEEEEE10hipError_tT0_T1_T2_jT3_P12ihipStream_tbPNSt15iterator_traitsISI_E10value_typeEPNSO_ISJ_E10value_typeEPSK_NS1_7vsmem_tEENKUlT_SI_SJ_SK_E_clIPxSD_S10_SD_EESH_SX_SI_SJ_SK_EUlSX_E0_NS1_11comp_targetILNS1_3genE2ELNS1_11target_archE906ELNS1_3gpuE6ELNS1_3repE0EEENS1_38merge_mergepath_config_static_selectorELNS0_4arch9wavefront6targetE1EEEvSJ_,"axG",@progbits,_ZN7rocprim17ROCPRIM_400000_NS6detail17trampoline_kernelINS0_14default_configENS1_38merge_sort_block_merge_config_selectorIxxEEZZNS1_27merge_sort_block_merge_implIS3_N6thrust23THRUST_200600_302600_NS6detail15normal_iteratorINS8_10device_ptrIxEEEESD_jNS1_19radix_merge_compareILb0ELb1ExNS0_19identity_decomposerEEEEE10hipError_tT0_T1_T2_jT3_P12ihipStream_tbPNSt15iterator_traitsISI_E10value_typeEPNSO_ISJ_E10value_typeEPSK_NS1_7vsmem_tEENKUlT_SI_SJ_SK_E_clIPxSD_S10_SD_EESH_SX_SI_SJ_SK_EUlSX_E0_NS1_11comp_targetILNS1_3genE2ELNS1_11target_archE906ELNS1_3gpuE6ELNS1_3repE0EEENS1_38merge_mergepath_config_static_selectorELNS0_4arch9wavefront6targetE1EEEvSJ_,comdat
	.protected	_ZN7rocprim17ROCPRIM_400000_NS6detail17trampoline_kernelINS0_14default_configENS1_38merge_sort_block_merge_config_selectorIxxEEZZNS1_27merge_sort_block_merge_implIS3_N6thrust23THRUST_200600_302600_NS6detail15normal_iteratorINS8_10device_ptrIxEEEESD_jNS1_19radix_merge_compareILb0ELb1ExNS0_19identity_decomposerEEEEE10hipError_tT0_T1_T2_jT3_P12ihipStream_tbPNSt15iterator_traitsISI_E10value_typeEPNSO_ISJ_E10value_typeEPSK_NS1_7vsmem_tEENKUlT_SI_SJ_SK_E_clIPxSD_S10_SD_EESH_SX_SI_SJ_SK_EUlSX_E0_NS1_11comp_targetILNS1_3genE2ELNS1_11target_archE906ELNS1_3gpuE6ELNS1_3repE0EEENS1_38merge_mergepath_config_static_selectorELNS0_4arch9wavefront6targetE1EEEvSJ_ ; -- Begin function _ZN7rocprim17ROCPRIM_400000_NS6detail17trampoline_kernelINS0_14default_configENS1_38merge_sort_block_merge_config_selectorIxxEEZZNS1_27merge_sort_block_merge_implIS3_N6thrust23THRUST_200600_302600_NS6detail15normal_iteratorINS8_10device_ptrIxEEEESD_jNS1_19radix_merge_compareILb0ELb1ExNS0_19identity_decomposerEEEEE10hipError_tT0_T1_T2_jT3_P12ihipStream_tbPNSt15iterator_traitsISI_E10value_typeEPNSO_ISJ_E10value_typeEPSK_NS1_7vsmem_tEENKUlT_SI_SJ_SK_E_clIPxSD_S10_SD_EESH_SX_SI_SJ_SK_EUlSX_E0_NS1_11comp_targetILNS1_3genE2ELNS1_11target_archE906ELNS1_3gpuE6ELNS1_3repE0EEENS1_38merge_mergepath_config_static_selectorELNS0_4arch9wavefront6targetE1EEEvSJ_
	.globl	_ZN7rocprim17ROCPRIM_400000_NS6detail17trampoline_kernelINS0_14default_configENS1_38merge_sort_block_merge_config_selectorIxxEEZZNS1_27merge_sort_block_merge_implIS3_N6thrust23THRUST_200600_302600_NS6detail15normal_iteratorINS8_10device_ptrIxEEEESD_jNS1_19radix_merge_compareILb0ELb1ExNS0_19identity_decomposerEEEEE10hipError_tT0_T1_T2_jT3_P12ihipStream_tbPNSt15iterator_traitsISI_E10value_typeEPNSO_ISJ_E10value_typeEPSK_NS1_7vsmem_tEENKUlT_SI_SJ_SK_E_clIPxSD_S10_SD_EESH_SX_SI_SJ_SK_EUlSX_E0_NS1_11comp_targetILNS1_3genE2ELNS1_11target_archE906ELNS1_3gpuE6ELNS1_3repE0EEENS1_38merge_mergepath_config_static_selectorELNS0_4arch9wavefront6targetE1EEEvSJ_
	.p2align	8
	.type	_ZN7rocprim17ROCPRIM_400000_NS6detail17trampoline_kernelINS0_14default_configENS1_38merge_sort_block_merge_config_selectorIxxEEZZNS1_27merge_sort_block_merge_implIS3_N6thrust23THRUST_200600_302600_NS6detail15normal_iteratorINS8_10device_ptrIxEEEESD_jNS1_19radix_merge_compareILb0ELb1ExNS0_19identity_decomposerEEEEE10hipError_tT0_T1_T2_jT3_P12ihipStream_tbPNSt15iterator_traitsISI_E10value_typeEPNSO_ISJ_E10value_typeEPSK_NS1_7vsmem_tEENKUlT_SI_SJ_SK_E_clIPxSD_S10_SD_EESH_SX_SI_SJ_SK_EUlSX_E0_NS1_11comp_targetILNS1_3genE2ELNS1_11target_archE906ELNS1_3gpuE6ELNS1_3repE0EEENS1_38merge_mergepath_config_static_selectorELNS0_4arch9wavefront6targetE1EEEvSJ_,@function
_ZN7rocprim17ROCPRIM_400000_NS6detail17trampoline_kernelINS0_14default_configENS1_38merge_sort_block_merge_config_selectorIxxEEZZNS1_27merge_sort_block_merge_implIS3_N6thrust23THRUST_200600_302600_NS6detail15normal_iteratorINS8_10device_ptrIxEEEESD_jNS1_19radix_merge_compareILb0ELb1ExNS0_19identity_decomposerEEEEE10hipError_tT0_T1_T2_jT3_P12ihipStream_tbPNSt15iterator_traitsISI_E10value_typeEPNSO_ISJ_E10value_typeEPSK_NS1_7vsmem_tEENKUlT_SI_SJ_SK_E_clIPxSD_S10_SD_EESH_SX_SI_SJ_SK_EUlSX_E0_NS1_11comp_targetILNS1_3genE2ELNS1_11target_archE906ELNS1_3gpuE6ELNS1_3repE0EEENS1_38merge_mergepath_config_static_selectorELNS0_4arch9wavefront6targetE1EEEvSJ_: ; @_ZN7rocprim17ROCPRIM_400000_NS6detail17trampoline_kernelINS0_14default_configENS1_38merge_sort_block_merge_config_selectorIxxEEZZNS1_27merge_sort_block_merge_implIS3_N6thrust23THRUST_200600_302600_NS6detail15normal_iteratorINS8_10device_ptrIxEEEESD_jNS1_19radix_merge_compareILb0ELb1ExNS0_19identity_decomposerEEEEE10hipError_tT0_T1_T2_jT3_P12ihipStream_tbPNSt15iterator_traitsISI_E10value_typeEPNSO_ISJ_E10value_typeEPSK_NS1_7vsmem_tEENKUlT_SI_SJ_SK_E_clIPxSD_S10_SD_EESH_SX_SI_SJ_SK_EUlSX_E0_NS1_11comp_targetILNS1_3genE2ELNS1_11target_archE906ELNS1_3gpuE6ELNS1_3repE0EEENS1_38merge_mergepath_config_static_selectorELNS0_4arch9wavefront6targetE1EEEvSJ_
; %bb.0:
	.section	.rodata,"a",@progbits
	.p2align	6, 0x0
	.amdhsa_kernel _ZN7rocprim17ROCPRIM_400000_NS6detail17trampoline_kernelINS0_14default_configENS1_38merge_sort_block_merge_config_selectorIxxEEZZNS1_27merge_sort_block_merge_implIS3_N6thrust23THRUST_200600_302600_NS6detail15normal_iteratorINS8_10device_ptrIxEEEESD_jNS1_19radix_merge_compareILb0ELb1ExNS0_19identity_decomposerEEEEE10hipError_tT0_T1_T2_jT3_P12ihipStream_tbPNSt15iterator_traitsISI_E10value_typeEPNSO_ISJ_E10value_typeEPSK_NS1_7vsmem_tEENKUlT_SI_SJ_SK_E_clIPxSD_S10_SD_EESH_SX_SI_SJ_SK_EUlSX_E0_NS1_11comp_targetILNS1_3genE2ELNS1_11target_archE906ELNS1_3gpuE6ELNS1_3repE0EEENS1_38merge_mergepath_config_static_selectorELNS0_4arch9wavefront6targetE1EEEvSJ_
		.amdhsa_group_segment_fixed_size 0
		.amdhsa_private_segment_fixed_size 0
		.amdhsa_kernarg_size 72
		.amdhsa_user_sgpr_count 2
		.amdhsa_user_sgpr_dispatch_ptr 0
		.amdhsa_user_sgpr_queue_ptr 0
		.amdhsa_user_sgpr_kernarg_segment_ptr 1
		.amdhsa_user_sgpr_dispatch_id 0
		.amdhsa_user_sgpr_kernarg_preload_length 0
		.amdhsa_user_sgpr_kernarg_preload_offset 0
		.amdhsa_user_sgpr_private_segment_size 0
		.amdhsa_uses_dynamic_stack 0
		.amdhsa_enable_private_segment 0
		.amdhsa_system_sgpr_workgroup_id_x 1
		.amdhsa_system_sgpr_workgroup_id_y 0
		.amdhsa_system_sgpr_workgroup_id_z 0
		.amdhsa_system_sgpr_workgroup_info 0
		.amdhsa_system_vgpr_workitem_id 0
		.amdhsa_next_free_vgpr 1
		.amdhsa_next_free_sgpr 0
		.amdhsa_accum_offset 4
		.amdhsa_reserve_vcc 0
		.amdhsa_float_round_mode_32 0
		.amdhsa_float_round_mode_16_64 0
		.amdhsa_float_denorm_mode_32 3
		.amdhsa_float_denorm_mode_16_64 3
		.amdhsa_dx10_clamp 1
		.amdhsa_ieee_mode 1
		.amdhsa_fp16_overflow 0
		.amdhsa_tg_split 0
		.amdhsa_exception_fp_ieee_invalid_op 0
		.amdhsa_exception_fp_denorm_src 0
		.amdhsa_exception_fp_ieee_div_zero 0
		.amdhsa_exception_fp_ieee_overflow 0
		.amdhsa_exception_fp_ieee_underflow 0
		.amdhsa_exception_fp_ieee_inexact 0
		.amdhsa_exception_int_div_zero 0
	.end_amdhsa_kernel
	.section	.text._ZN7rocprim17ROCPRIM_400000_NS6detail17trampoline_kernelINS0_14default_configENS1_38merge_sort_block_merge_config_selectorIxxEEZZNS1_27merge_sort_block_merge_implIS3_N6thrust23THRUST_200600_302600_NS6detail15normal_iteratorINS8_10device_ptrIxEEEESD_jNS1_19radix_merge_compareILb0ELb1ExNS0_19identity_decomposerEEEEE10hipError_tT0_T1_T2_jT3_P12ihipStream_tbPNSt15iterator_traitsISI_E10value_typeEPNSO_ISJ_E10value_typeEPSK_NS1_7vsmem_tEENKUlT_SI_SJ_SK_E_clIPxSD_S10_SD_EESH_SX_SI_SJ_SK_EUlSX_E0_NS1_11comp_targetILNS1_3genE2ELNS1_11target_archE906ELNS1_3gpuE6ELNS1_3repE0EEENS1_38merge_mergepath_config_static_selectorELNS0_4arch9wavefront6targetE1EEEvSJ_,"axG",@progbits,_ZN7rocprim17ROCPRIM_400000_NS6detail17trampoline_kernelINS0_14default_configENS1_38merge_sort_block_merge_config_selectorIxxEEZZNS1_27merge_sort_block_merge_implIS3_N6thrust23THRUST_200600_302600_NS6detail15normal_iteratorINS8_10device_ptrIxEEEESD_jNS1_19radix_merge_compareILb0ELb1ExNS0_19identity_decomposerEEEEE10hipError_tT0_T1_T2_jT3_P12ihipStream_tbPNSt15iterator_traitsISI_E10value_typeEPNSO_ISJ_E10value_typeEPSK_NS1_7vsmem_tEENKUlT_SI_SJ_SK_E_clIPxSD_S10_SD_EESH_SX_SI_SJ_SK_EUlSX_E0_NS1_11comp_targetILNS1_3genE2ELNS1_11target_archE906ELNS1_3gpuE6ELNS1_3repE0EEENS1_38merge_mergepath_config_static_selectorELNS0_4arch9wavefront6targetE1EEEvSJ_,comdat
.Lfunc_end1135:
	.size	_ZN7rocprim17ROCPRIM_400000_NS6detail17trampoline_kernelINS0_14default_configENS1_38merge_sort_block_merge_config_selectorIxxEEZZNS1_27merge_sort_block_merge_implIS3_N6thrust23THRUST_200600_302600_NS6detail15normal_iteratorINS8_10device_ptrIxEEEESD_jNS1_19radix_merge_compareILb0ELb1ExNS0_19identity_decomposerEEEEE10hipError_tT0_T1_T2_jT3_P12ihipStream_tbPNSt15iterator_traitsISI_E10value_typeEPNSO_ISJ_E10value_typeEPSK_NS1_7vsmem_tEENKUlT_SI_SJ_SK_E_clIPxSD_S10_SD_EESH_SX_SI_SJ_SK_EUlSX_E0_NS1_11comp_targetILNS1_3genE2ELNS1_11target_archE906ELNS1_3gpuE6ELNS1_3repE0EEENS1_38merge_mergepath_config_static_selectorELNS0_4arch9wavefront6targetE1EEEvSJ_, .Lfunc_end1135-_ZN7rocprim17ROCPRIM_400000_NS6detail17trampoline_kernelINS0_14default_configENS1_38merge_sort_block_merge_config_selectorIxxEEZZNS1_27merge_sort_block_merge_implIS3_N6thrust23THRUST_200600_302600_NS6detail15normal_iteratorINS8_10device_ptrIxEEEESD_jNS1_19radix_merge_compareILb0ELb1ExNS0_19identity_decomposerEEEEE10hipError_tT0_T1_T2_jT3_P12ihipStream_tbPNSt15iterator_traitsISI_E10value_typeEPNSO_ISJ_E10value_typeEPSK_NS1_7vsmem_tEENKUlT_SI_SJ_SK_E_clIPxSD_S10_SD_EESH_SX_SI_SJ_SK_EUlSX_E0_NS1_11comp_targetILNS1_3genE2ELNS1_11target_archE906ELNS1_3gpuE6ELNS1_3repE0EEENS1_38merge_mergepath_config_static_selectorELNS0_4arch9wavefront6targetE1EEEvSJ_
                                        ; -- End function
	.set _ZN7rocprim17ROCPRIM_400000_NS6detail17trampoline_kernelINS0_14default_configENS1_38merge_sort_block_merge_config_selectorIxxEEZZNS1_27merge_sort_block_merge_implIS3_N6thrust23THRUST_200600_302600_NS6detail15normal_iteratorINS8_10device_ptrIxEEEESD_jNS1_19radix_merge_compareILb0ELb1ExNS0_19identity_decomposerEEEEE10hipError_tT0_T1_T2_jT3_P12ihipStream_tbPNSt15iterator_traitsISI_E10value_typeEPNSO_ISJ_E10value_typeEPSK_NS1_7vsmem_tEENKUlT_SI_SJ_SK_E_clIPxSD_S10_SD_EESH_SX_SI_SJ_SK_EUlSX_E0_NS1_11comp_targetILNS1_3genE2ELNS1_11target_archE906ELNS1_3gpuE6ELNS1_3repE0EEENS1_38merge_mergepath_config_static_selectorELNS0_4arch9wavefront6targetE1EEEvSJ_.num_vgpr, 0
	.set _ZN7rocprim17ROCPRIM_400000_NS6detail17trampoline_kernelINS0_14default_configENS1_38merge_sort_block_merge_config_selectorIxxEEZZNS1_27merge_sort_block_merge_implIS3_N6thrust23THRUST_200600_302600_NS6detail15normal_iteratorINS8_10device_ptrIxEEEESD_jNS1_19radix_merge_compareILb0ELb1ExNS0_19identity_decomposerEEEEE10hipError_tT0_T1_T2_jT3_P12ihipStream_tbPNSt15iterator_traitsISI_E10value_typeEPNSO_ISJ_E10value_typeEPSK_NS1_7vsmem_tEENKUlT_SI_SJ_SK_E_clIPxSD_S10_SD_EESH_SX_SI_SJ_SK_EUlSX_E0_NS1_11comp_targetILNS1_3genE2ELNS1_11target_archE906ELNS1_3gpuE6ELNS1_3repE0EEENS1_38merge_mergepath_config_static_selectorELNS0_4arch9wavefront6targetE1EEEvSJ_.num_agpr, 0
	.set _ZN7rocprim17ROCPRIM_400000_NS6detail17trampoline_kernelINS0_14default_configENS1_38merge_sort_block_merge_config_selectorIxxEEZZNS1_27merge_sort_block_merge_implIS3_N6thrust23THRUST_200600_302600_NS6detail15normal_iteratorINS8_10device_ptrIxEEEESD_jNS1_19radix_merge_compareILb0ELb1ExNS0_19identity_decomposerEEEEE10hipError_tT0_T1_T2_jT3_P12ihipStream_tbPNSt15iterator_traitsISI_E10value_typeEPNSO_ISJ_E10value_typeEPSK_NS1_7vsmem_tEENKUlT_SI_SJ_SK_E_clIPxSD_S10_SD_EESH_SX_SI_SJ_SK_EUlSX_E0_NS1_11comp_targetILNS1_3genE2ELNS1_11target_archE906ELNS1_3gpuE6ELNS1_3repE0EEENS1_38merge_mergepath_config_static_selectorELNS0_4arch9wavefront6targetE1EEEvSJ_.numbered_sgpr, 0
	.set _ZN7rocprim17ROCPRIM_400000_NS6detail17trampoline_kernelINS0_14default_configENS1_38merge_sort_block_merge_config_selectorIxxEEZZNS1_27merge_sort_block_merge_implIS3_N6thrust23THRUST_200600_302600_NS6detail15normal_iteratorINS8_10device_ptrIxEEEESD_jNS1_19radix_merge_compareILb0ELb1ExNS0_19identity_decomposerEEEEE10hipError_tT0_T1_T2_jT3_P12ihipStream_tbPNSt15iterator_traitsISI_E10value_typeEPNSO_ISJ_E10value_typeEPSK_NS1_7vsmem_tEENKUlT_SI_SJ_SK_E_clIPxSD_S10_SD_EESH_SX_SI_SJ_SK_EUlSX_E0_NS1_11comp_targetILNS1_3genE2ELNS1_11target_archE906ELNS1_3gpuE6ELNS1_3repE0EEENS1_38merge_mergepath_config_static_selectorELNS0_4arch9wavefront6targetE1EEEvSJ_.num_named_barrier, 0
	.set _ZN7rocprim17ROCPRIM_400000_NS6detail17trampoline_kernelINS0_14default_configENS1_38merge_sort_block_merge_config_selectorIxxEEZZNS1_27merge_sort_block_merge_implIS3_N6thrust23THRUST_200600_302600_NS6detail15normal_iteratorINS8_10device_ptrIxEEEESD_jNS1_19radix_merge_compareILb0ELb1ExNS0_19identity_decomposerEEEEE10hipError_tT0_T1_T2_jT3_P12ihipStream_tbPNSt15iterator_traitsISI_E10value_typeEPNSO_ISJ_E10value_typeEPSK_NS1_7vsmem_tEENKUlT_SI_SJ_SK_E_clIPxSD_S10_SD_EESH_SX_SI_SJ_SK_EUlSX_E0_NS1_11comp_targetILNS1_3genE2ELNS1_11target_archE906ELNS1_3gpuE6ELNS1_3repE0EEENS1_38merge_mergepath_config_static_selectorELNS0_4arch9wavefront6targetE1EEEvSJ_.private_seg_size, 0
	.set _ZN7rocprim17ROCPRIM_400000_NS6detail17trampoline_kernelINS0_14default_configENS1_38merge_sort_block_merge_config_selectorIxxEEZZNS1_27merge_sort_block_merge_implIS3_N6thrust23THRUST_200600_302600_NS6detail15normal_iteratorINS8_10device_ptrIxEEEESD_jNS1_19radix_merge_compareILb0ELb1ExNS0_19identity_decomposerEEEEE10hipError_tT0_T1_T2_jT3_P12ihipStream_tbPNSt15iterator_traitsISI_E10value_typeEPNSO_ISJ_E10value_typeEPSK_NS1_7vsmem_tEENKUlT_SI_SJ_SK_E_clIPxSD_S10_SD_EESH_SX_SI_SJ_SK_EUlSX_E0_NS1_11comp_targetILNS1_3genE2ELNS1_11target_archE906ELNS1_3gpuE6ELNS1_3repE0EEENS1_38merge_mergepath_config_static_selectorELNS0_4arch9wavefront6targetE1EEEvSJ_.uses_vcc, 0
	.set _ZN7rocprim17ROCPRIM_400000_NS6detail17trampoline_kernelINS0_14default_configENS1_38merge_sort_block_merge_config_selectorIxxEEZZNS1_27merge_sort_block_merge_implIS3_N6thrust23THRUST_200600_302600_NS6detail15normal_iteratorINS8_10device_ptrIxEEEESD_jNS1_19radix_merge_compareILb0ELb1ExNS0_19identity_decomposerEEEEE10hipError_tT0_T1_T2_jT3_P12ihipStream_tbPNSt15iterator_traitsISI_E10value_typeEPNSO_ISJ_E10value_typeEPSK_NS1_7vsmem_tEENKUlT_SI_SJ_SK_E_clIPxSD_S10_SD_EESH_SX_SI_SJ_SK_EUlSX_E0_NS1_11comp_targetILNS1_3genE2ELNS1_11target_archE906ELNS1_3gpuE6ELNS1_3repE0EEENS1_38merge_mergepath_config_static_selectorELNS0_4arch9wavefront6targetE1EEEvSJ_.uses_flat_scratch, 0
	.set _ZN7rocprim17ROCPRIM_400000_NS6detail17trampoline_kernelINS0_14default_configENS1_38merge_sort_block_merge_config_selectorIxxEEZZNS1_27merge_sort_block_merge_implIS3_N6thrust23THRUST_200600_302600_NS6detail15normal_iteratorINS8_10device_ptrIxEEEESD_jNS1_19radix_merge_compareILb0ELb1ExNS0_19identity_decomposerEEEEE10hipError_tT0_T1_T2_jT3_P12ihipStream_tbPNSt15iterator_traitsISI_E10value_typeEPNSO_ISJ_E10value_typeEPSK_NS1_7vsmem_tEENKUlT_SI_SJ_SK_E_clIPxSD_S10_SD_EESH_SX_SI_SJ_SK_EUlSX_E0_NS1_11comp_targetILNS1_3genE2ELNS1_11target_archE906ELNS1_3gpuE6ELNS1_3repE0EEENS1_38merge_mergepath_config_static_selectorELNS0_4arch9wavefront6targetE1EEEvSJ_.has_dyn_sized_stack, 0
	.set _ZN7rocprim17ROCPRIM_400000_NS6detail17trampoline_kernelINS0_14default_configENS1_38merge_sort_block_merge_config_selectorIxxEEZZNS1_27merge_sort_block_merge_implIS3_N6thrust23THRUST_200600_302600_NS6detail15normal_iteratorINS8_10device_ptrIxEEEESD_jNS1_19radix_merge_compareILb0ELb1ExNS0_19identity_decomposerEEEEE10hipError_tT0_T1_T2_jT3_P12ihipStream_tbPNSt15iterator_traitsISI_E10value_typeEPNSO_ISJ_E10value_typeEPSK_NS1_7vsmem_tEENKUlT_SI_SJ_SK_E_clIPxSD_S10_SD_EESH_SX_SI_SJ_SK_EUlSX_E0_NS1_11comp_targetILNS1_3genE2ELNS1_11target_archE906ELNS1_3gpuE6ELNS1_3repE0EEENS1_38merge_mergepath_config_static_selectorELNS0_4arch9wavefront6targetE1EEEvSJ_.has_recursion, 0
	.set _ZN7rocprim17ROCPRIM_400000_NS6detail17trampoline_kernelINS0_14default_configENS1_38merge_sort_block_merge_config_selectorIxxEEZZNS1_27merge_sort_block_merge_implIS3_N6thrust23THRUST_200600_302600_NS6detail15normal_iteratorINS8_10device_ptrIxEEEESD_jNS1_19radix_merge_compareILb0ELb1ExNS0_19identity_decomposerEEEEE10hipError_tT0_T1_T2_jT3_P12ihipStream_tbPNSt15iterator_traitsISI_E10value_typeEPNSO_ISJ_E10value_typeEPSK_NS1_7vsmem_tEENKUlT_SI_SJ_SK_E_clIPxSD_S10_SD_EESH_SX_SI_SJ_SK_EUlSX_E0_NS1_11comp_targetILNS1_3genE2ELNS1_11target_archE906ELNS1_3gpuE6ELNS1_3repE0EEENS1_38merge_mergepath_config_static_selectorELNS0_4arch9wavefront6targetE1EEEvSJ_.has_indirect_call, 0
	.section	.AMDGPU.csdata,"",@progbits
; Kernel info:
; codeLenInByte = 0
; TotalNumSgprs: 6
; NumVgprs: 0
; NumAgprs: 0
; TotalNumVgprs: 0
; ScratchSize: 0
; MemoryBound: 0
; FloatMode: 240
; IeeeMode: 1
; LDSByteSize: 0 bytes/workgroup (compile time only)
; SGPRBlocks: 0
; VGPRBlocks: 0
; NumSGPRsForWavesPerEU: 6
; NumVGPRsForWavesPerEU: 1
; AccumOffset: 4
; Occupancy: 8
; WaveLimiterHint : 0
; COMPUTE_PGM_RSRC2:SCRATCH_EN: 0
; COMPUTE_PGM_RSRC2:USER_SGPR: 2
; COMPUTE_PGM_RSRC2:TRAP_HANDLER: 0
; COMPUTE_PGM_RSRC2:TGID_X_EN: 1
; COMPUTE_PGM_RSRC2:TGID_Y_EN: 0
; COMPUTE_PGM_RSRC2:TGID_Z_EN: 0
; COMPUTE_PGM_RSRC2:TIDIG_COMP_CNT: 0
; COMPUTE_PGM_RSRC3_GFX90A:ACCUM_OFFSET: 0
; COMPUTE_PGM_RSRC3_GFX90A:TG_SPLIT: 0
	.section	.text._ZN7rocprim17ROCPRIM_400000_NS6detail17trampoline_kernelINS0_14default_configENS1_38merge_sort_block_merge_config_selectorIxxEEZZNS1_27merge_sort_block_merge_implIS3_N6thrust23THRUST_200600_302600_NS6detail15normal_iteratorINS8_10device_ptrIxEEEESD_jNS1_19radix_merge_compareILb0ELb1ExNS0_19identity_decomposerEEEEE10hipError_tT0_T1_T2_jT3_P12ihipStream_tbPNSt15iterator_traitsISI_E10value_typeEPNSO_ISJ_E10value_typeEPSK_NS1_7vsmem_tEENKUlT_SI_SJ_SK_E_clIPxSD_S10_SD_EESH_SX_SI_SJ_SK_EUlSX_E0_NS1_11comp_targetILNS1_3genE9ELNS1_11target_archE1100ELNS1_3gpuE3ELNS1_3repE0EEENS1_38merge_mergepath_config_static_selectorELNS0_4arch9wavefront6targetE1EEEvSJ_,"axG",@progbits,_ZN7rocprim17ROCPRIM_400000_NS6detail17trampoline_kernelINS0_14default_configENS1_38merge_sort_block_merge_config_selectorIxxEEZZNS1_27merge_sort_block_merge_implIS3_N6thrust23THRUST_200600_302600_NS6detail15normal_iteratorINS8_10device_ptrIxEEEESD_jNS1_19radix_merge_compareILb0ELb1ExNS0_19identity_decomposerEEEEE10hipError_tT0_T1_T2_jT3_P12ihipStream_tbPNSt15iterator_traitsISI_E10value_typeEPNSO_ISJ_E10value_typeEPSK_NS1_7vsmem_tEENKUlT_SI_SJ_SK_E_clIPxSD_S10_SD_EESH_SX_SI_SJ_SK_EUlSX_E0_NS1_11comp_targetILNS1_3genE9ELNS1_11target_archE1100ELNS1_3gpuE3ELNS1_3repE0EEENS1_38merge_mergepath_config_static_selectorELNS0_4arch9wavefront6targetE1EEEvSJ_,comdat
	.protected	_ZN7rocprim17ROCPRIM_400000_NS6detail17trampoline_kernelINS0_14default_configENS1_38merge_sort_block_merge_config_selectorIxxEEZZNS1_27merge_sort_block_merge_implIS3_N6thrust23THRUST_200600_302600_NS6detail15normal_iteratorINS8_10device_ptrIxEEEESD_jNS1_19radix_merge_compareILb0ELb1ExNS0_19identity_decomposerEEEEE10hipError_tT0_T1_T2_jT3_P12ihipStream_tbPNSt15iterator_traitsISI_E10value_typeEPNSO_ISJ_E10value_typeEPSK_NS1_7vsmem_tEENKUlT_SI_SJ_SK_E_clIPxSD_S10_SD_EESH_SX_SI_SJ_SK_EUlSX_E0_NS1_11comp_targetILNS1_3genE9ELNS1_11target_archE1100ELNS1_3gpuE3ELNS1_3repE0EEENS1_38merge_mergepath_config_static_selectorELNS0_4arch9wavefront6targetE1EEEvSJ_ ; -- Begin function _ZN7rocprim17ROCPRIM_400000_NS6detail17trampoline_kernelINS0_14default_configENS1_38merge_sort_block_merge_config_selectorIxxEEZZNS1_27merge_sort_block_merge_implIS3_N6thrust23THRUST_200600_302600_NS6detail15normal_iteratorINS8_10device_ptrIxEEEESD_jNS1_19radix_merge_compareILb0ELb1ExNS0_19identity_decomposerEEEEE10hipError_tT0_T1_T2_jT3_P12ihipStream_tbPNSt15iterator_traitsISI_E10value_typeEPNSO_ISJ_E10value_typeEPSK_NS1_7vsmem_tEENKUlT_SI_SJ_SK_E_clIPxSD_S10_SD_EESH_SX_SI_SJ_SK_EUlSX_E0_NS1_11comp_targetILNS1_3genE9ELNS1_11target_archE1100ELNS1_3gpuE3ELNS1_3repE0EEENS1_38merge_mergepath_config_static_selectorELNS0_4arch9wavefront6targetE1EEEvSJ_
	.globl	_ZN7rocprim17ROCPRIM_400000_NS6detail17trampoline_kernelINS0_14default_configENS1_38merge_sort_block_merge_config_selectorIxxEEZZNS1_27merge_sort_block_merge_implIS3_N6thrust23THRUST_200600_302600_NS6detail15normal_iteratorINS8_10device_ptrIxEEEESD_jNS1_19radix_merge_compareILb0ELb1ExNS0_19identity_decomposerEEEEE10hipError_tT0_T1_T2_jT3_P12ihipStream_tbPNSt15iterator_traitsISI_E10value_typeEPNSO_ISJ_E10value_typeEPSK_NS1_7vsmem_tEENKUlT_SI_SJ_SK_E_clIPxSD_S10_SD_EESH_SX_SI_SJ_SK_EUlSX_E0_NS1_11comp_targetILNS1_3genE9ELNS1_11target_archE1100ELNS1_3gpuE3ELNS1_3repE0EEENS1_38merge_mergepath_config_static_selectorELNS0_4arch9wavefront6targetE1EEEvSJ_
	.p2align	8
	.type	_ZN7rocprim17ROCPRIM_400000_NS6detail17trampoline_kernelINS0_14default_configENS1_38merge_sort_block_merge_config_selectorIxxEEZZNS1_27merge_sort_block_merge_implIS3_N6thrust23THRUST_200600_302600_NS6detail15normal_iteratorINS8_10device_ptrIxEEEESD_jNS1_19radix_merge_compareILb0ELb1ExNS0_19identity_decomposerEEEEE10hipError_tT0_T1_T2_jT3_P12ihipStream_tbPNSt15iterator_traitsISI_E10value_typeEPNSO_ISJ_E10value_typeEPSK_NS1_7vsmem_tEENKUlT_SI_SJ_SK_E_clIPxSD_S10_SD_EESH_SX_SI_SJ_SK_EUlSX_E0_NS1_11comp_targetILNS1_3genE9ELNS1_11target_archE1100ELNS1_3gpuE3ELNS1_3repE0EEENS1_38merge_mergepath_config_static_selectorELNS0_4arch9wavefront6targetE1EEEvSJ_,@function
_ZN7rocprim17ROCPRIM_400000_NS6detail17trampoline_kernelINS0_14default_configENS1_38merge_sort_block_merge_config_selectorIxxEEZZNS1_27merge_sort_block_merge_implIS3_N6thrust23THRUST_200600_302600_NS6detail15normal_iteratorINS8_10device_ptrIxEEEESD_jNS1_19radix_merge_compareILb0ELb1ExNS0_19identity_decomposerEEEEE10hipError_tT0_T1_T2_jT3_P12ihipStream_tbPNSt15iterator_traitsISI_E10value_typeEPNSO_ISJ_E10value_typeEPSK_NS1_7vsmem_tEENKUlT_SI_SJ_SK_E_clIPxSD_S10_SD_EESH_SX_SI_SJ_SK_EUlSX_E0_NS1_11comp_targetILNS1_3genE9ELNS1_11target_archE1100ELNS1_3gpuE3ELNS1_3repE0EEENS1_38merge_mergepath_config_static_selectorELNS0_4arch9wavefront6targetE1EEEvSJ_: ; @_ZN7rocprim17ROCPRIM_400000_NS6detail17trampoline_kernelINS0_14default_configENS1_38merge_sort_block_merge_config_selectorIxxEEZZNS1_27merge_sort_block_merge_implIS3_N6thrust23THRUST_200600_302600_NS6detail15normal_iteratorINS8_10device_ptrIxEEEESD_jNS1_19radix_merge_compareILb0ELb1ExNS0_19identity_decomposerEEEEE10hipError_tT0_T1_T2_jT3_P12ihipStream_tbPNSt15iterator_traitsISI_E10value_typeEPNSO_ISJ_E10value_typeEPSK_NS1_7vsmem_tEENKUlT_SI_SJ_SK_E_clIPxSD_S10_SD_EESH_SX_SI_SJ_SK_EUlSX_E0_NS1_11comp_targetILNS1_3genE9ELNS1_11target_archE1100ELNS1_3gpuE3ELNS1_3repE0EEENS1_38merge_mergepath_config_static_selectorELNS0_4arch9wavefront6targetE1EEEvSJ_
; %bb.0:
	.section	.rodata,"a",@progbits
	.p2align	6, 0x0
	.amdhsa_kernel _ZN7rocprim17ROCPRIM_400000_NS6detail17trampoline_kernelINS0_14default_configENS1_38merge_sort_block_merge_config_selectorIxxEEZZNS1_27merge_sort_block_merge_implIS3_N6thrust23THRUST_200600_302600_NS6detail15normal_iteratorINS8_10device_ptrIxEEEESD_jNS1_19radix_merge_compareILb0ELb1ExNS0_19identity_decomposerEEEEE10hipError_tT0_T1_T2_jT3_P12ihipStream_tbPNSt15iterator_traitsISI_E10value_typeEPNSO_ISJ_E10value_typeEPSK_NS1_7vsmem_tEENKUlT_SI_SJ_SK_E_clIPxSD_S10_SD_EESH_SX_SI_SJ_SK_EUlSX_E0_NS1_11comp_targetILNS1_3genE9ELNS1_11target_archE1100ELNS1_3gpuE3ELNS1_3repE0EEENS1_38merge_mergepath_config_static_selectorELNS0_4arch9wavefront6targetE1EEEvSJ_
		.amdhsa_group_segment_fixed_size 0
		.amdhsa_private_segment_fixed_size 0
		.amdhsa_kernarg_size 72
		.amdhsa_user_sgpr_count 2
		.amdhsa_user_sgpr_dispatch_ptr 0
		.amdhsa_user_sgpr_queue_ptr 0
		.amdhsa_user_sgpr_kernarg_segment_ptr 1
		.amdhsa_user_sgpr_dispatch_id 0
		.amdhsa_user_sgpr_kernarg_preload_length 0
		.amdhsa_user_sgpr_kernarg_preload_offset 0
		.amdhsa_user_sgpr_private_segment_size 0
		.amdhsa_uses_dynamic_stack 0
		.amdhsa_enable_private_segment 0
		.amdhsa_system_sgpr_workgroup_id_x 1
		.amdhsa_system_sgpr_workgroup_id_y 0
		.amdhsa_system_sgpr_workgroup_id_z 0
		.amdhsa_system_sgpr_workgroup_info 0
		.amdhsa_system_vgpr_workitem_id 0
		.amdhsa_next_free_vgpr 1
		.amdhsa_next_free_sgpr 0
		.amdhsa_accum_offset 4
		.amdhsa_reserve_vcc 0
		.amdhsa_float_round_mode_32 0
		.amdhsa_float_round_mode_16_64 0
		.amdhsa_float_denorm_mode_32 3
		.amdhsa_float_denorm_mode_16_64 3
		.amdhsa_dx10_clamp 1
		.amdhsa_ieee_mode 1
		.amdhsa_fp16_overflow 0
		.amdhsa_tg_split 0
		.amdhsa_exception_fp_ieee_invalid_op 0
		.amdhsa_exception_fp_denorm_src 0
		.amdhsa_exception_fp_ieee_div_zero 0
		.amdhsa_exception_fp_ieee_overflow 0
		.amdhsa_exception_fp_ieee_underflow 0
		.amdhsa_exception_fp_ieee_inexact 0
		.amdhsa_exception_int_div_zero 0
	.end_amdhsa_kernel
	.section	.text._ZN7rocprim17ROCPRIM_400000_NS6detail17trampoline_kernelINS0_14default_configENS1_38merge_sort_block_merge_config_selectorIxxEEZZNS1_27merge_sort_block_merge_implIS3_N6thrust23THRUST_200600_302600_NS6detail15normal_iteratorINS8_10device_ptrIxEEEESD_jNS1_19radix_merge_compareILb0ELb1ExNS0_19identity_decomposerEEEEE10hipError_tT0_T1_T2_jT3_P12ihipStream_tbPNSt15iterator_traitsISI_E10value_typeEPNSO_ISJ_E10value_typeEPSK_NS1_7vsmem_tEENKUlT_SI_SJ_SK_E_clIPxSD_S10_SD_EESH_SX_SI_SJ_SK_EUlSX_E0_NS1_11comp_targetILNS1_3genE9ELNS1_11target_archE1100ELNS1_3gpuE3ELNS1_3repE0EEENS1_38merge_mergepath_config_static_selectorELNS0_4arch9wavefront6targetE1EEEvSJ_,"axG",@progbits,_ZN7rocprim17ROCPRIM_400000_NS6detail17trampoline_kernelINS0_14default_configENS1_38merge_sort_block_merge_config_selectorIxxEEZZNS1_27merge_sort_block_merge_implIS3_N6thrust23THRUST_200600_302600_NS6detail15normal_iteratorINS8_10device_ptrIxEEEESD_jNS1_19radix_merge_compareILb0ELb1ExNS0_19identity_decomposerEEEEE10hipError_tT0_T1_T2_jT3_P12ihipStream_tbPNSt15iterator_traitsISI_E10value_typeEPNSO_ISJ_E10value_typeEPSK_NS1_7vsmem_tEENKUlT_SI_SJ_SK_E_clIPxSD_S10_SD_EESH_SX_SI_SJ_SK_EUlSX_E0_NS1_11comp_targetILNS1_3genE9ELNS1_11target_archE1100ELNS1_3gpuE3ELNS1_3repE0EEENS1_38merge_mergepath_config_static_selectorELNS0_4arch9wavefront6targetE1EEEvSJ_,comdat
.Lfunc_end1136:
	.size	_ZN7rocprim17ROCPRIM_400000_NS6detail17trampoline_kernelINS0_14default_configENS1_38merge_sort_block_merge_config_selectorIxxEEZZNS1_27merge_sort_block_merge_implIS3_N6thrust23THRUST_200600_302600_NS6detail15normal_iteratorINS8_10device_ptrIxEEEESD_jNS1_19radix_merge_compareILb0ELb1ExNS0_19identity_decomposerEEEEE10hipError_tT0_T1_T2_jT3_P12ihipStream_tbPNSt15iterator_traitsISI_E10value_typeEPNSO_ISJ_E10value_typeEPSK_NS1_7vsmem_tEENKUlT_SI_SJ_SK_E_clIPxSD_S10_SD_EESH_SX_SI_SJ_SK_EUlSX_E0_NS1_11comp_targetILNS1_3genE9ELNS1_11target_archE1100ELNS1_3gpuE3ELNS1_3repE0EEENS1_38merge_mergepath_config_static_selectorELNS0_4arch9wavefront6targetE1EEEvSJ_, .Lfunc_end1136-_ZN7rocprim17ROCPRIM_400000_NS6detail17trampoline_kernelINS0_14default_configENS1_38merge_sort_block_merge_config_selectorIxxEEZZNS1_27merge_sort_block_merge_implIS3_N6thrust23THRUST_200600_302600_NS6detail15normal_iteratorINS8_10device_ptrIxEEEESD_jNS1_19radix_merge_compareILb0ELb1ExNS0_19identity_decomposerEEEEE10hipError_tT0_T1_T2_jT3_P12ihipStream_tbPNSt15iterator_traitsISI_E10value_typeEPNSO_ISJ_E10value_typeEPSK_NS1_7vsmem_tEENKUlT_SI_SJ_SK_E_clIPxSD_S10_SD_EESH_SX_SI_SJ_SK_EUlSX_E0_NS1_11comp_targetILNS1_3genE9ELNS1_11target_archE1100ELNS1_3gpuE3ELNS1_3repE0EEENS1_38merge_mergepath_config_static_selectorELNS0_4arch9wavefront6targetE1EEEvSJ_
                                        ; -- End function
	.set _ZN7rocprim17ROCPRIM_400000_NS6detail17trampoline_kernelINS0_14default_configENS1_38merge_sort_block_merge_config_selectorIxxEEZZNS1_27merge_sort_block_merge_implIS3_N6thrust23THRUST_200600_302600_NS6detail15normal_iteratorINS8_10device_ptrIxEEEESD_jNS1_19radix_merge_compareILb0ELb1ExNS0_19identity_decomposerEEEEE10hipError_tT0_T1_T2_jT3_P12ihipStream_tbPNSt15iterator_traitsISI_E10value_typeEPNSO_ISJ_E10value_typeEPSK_NS1_7vsmem_tEENKUlT_SI_SJ_SK_E_clIPxSD_S10_SD_EESH_SX_SI_SJ_SK_EUlSX_E0_NS1_11comp_targetILNS1_3genE9ELNS1_11target_archE1100ELNS1_3gpuE3ELNS1_3repE0EEENS1_38merge_mergepath_config_static_selectorELNS0_4arch9wavefront6targetE1EEEvSJ_.num_vgpr, 0
	.set _ZN7rocprim17ROCPRIM_400000_NS6detail17trampoline_kernelINS0_14default_configENS1_38merge_sort_block_merge_config_selectorIxxEEZZNS1_27merge_sort_block_merge_implIS3_N6thrust23THRUST_200600_302600_NS6detail15normal_iteratorINS8_10device_ptrIxEEEESD_jNS1_19radix_merge_compareILb0ELb1ExNS0_19identity_decomposerEEEEE10hipError_tT0_T1_T2_jT3_P12ihipStream_tbPNSt15iterator_traitsISI_E10value_typeEPNSO_ISJ_E10value_typeEPSK_NS1_7vsmem_tEENKUlT_SI_SJ_SK_E_clIPxSD_S10_SD_EESH_SX_SI_SJ_SK_EUlSX_E0_NS1_11comp_targetILNS1_3genE9ELNS1_11target_archE1100ELNS1_3gpuE3ELNS1_3repE0EEENS1_38merge_mergepath_config_static_selectorELNS0_4arch9wavefront6targetE1EEEvSJ_.num_agpr, 0
	.set _ZN7rocprim17ROCPRIM_400000_NS6detail17trampoline_kernelINS0_14default_configENS1_38merge_sort_block_merge_config_selectorIxxEEZZNS1_27merge_sort_block_merge_implIS3_N6thrust23THRUST_200600_302600_NS6detail15normal_iteratorINS8_10device_ptrIxEEEESD_jNS1_19radix_merge_compareILb0ELb1ExNS0_19identity_decomposerEEEEE10hipError_tT0_T1_T2_jT3_P12ihipStream_tbPNSt15iterator_traitsISI_E10value_typeEPNSO_ISJ_E10value_typeEPSK_NS1_7vsmem_tEENKUlT_SI_SJ_SK_E_clIPxSD_S10_SD_EESH_SX_SI_SJ_SK_EUlSX_E0_NS1_11comp_targetILNS1_3genE9ELNS1_11target_archE1100ELNS1_3gpuE3ELNS1_3repE0EEENS1_38merge_mergepath_config_static_selectorELNS0_4arch9wavefront6targetE1EEEvSJ_.numbered_sgpr, 0
	.set _ZN7rocprim17ROCPRIM_400000_NS6detail17trampoline_kernelINS0_14default_configENS1_38merge_sort_block_merge_config_selectorIxxEEZZNS1_27merge_sort_block_merge_implIS3_N6thrust23THRUST_200600_302600_NS6detail15normal_iteratorINS8_10device_ptrIxEEEESD_jNS1_19radix_merge_compareILb0ELb1ExNS0_19identity_decomposerEEEEE10hipError_tT0_T1_T2_jT3_P12ihipStream_tbPNSt15iterator_traitsISI_E10value_typeEPNSO_ISJ_E10value_typeEPSK_NS1_7vsmem_tEENKUlT_SI_SJ_SK_E_clIPxSD_S10_SD_EESH_SX_SI_SJ_SK_EUlSX_E0_NS1_11comp_targetILNS1_3genE9ELNS1_11target_archE1100ELNS1_3gpuE3ELNS1_3repE0EEENS1_38merge_mergepath_config_static_selectorELNS0_4arch9wavefront6targetE1EEEvSJ_.num_named_barrier, 0
	.set _ZN7rocprim17ROCPRIM_400000_NS6detail17trampoline_kernelINS0_14default_configENS1_38merge_sort_block_merge_config_selectorIxxEEZZNS1_27merge_sort_block_merge_implIS3_N6thrust23THRUST_200600_302600_NS6detail15normal_iteratorINS8_10device_ptrIxEEEESD_jNS1_19radix_merge_compareILb0ELb1ExNS0_19identity_decomposerEEEEE10hipError_tT0_T1_T2_jT3_P12ihipStream_tbPNSt15iterator_traitsISI_E10value_typeEPNSO_ISJ_E10value_typeEPSK_NS1_7vsmem_tEENKUlT_SI_SJ_SK_E_clIPxSD_S10_SD_EESH_SX_SI_SJ_SK_EUlSX_E0_NS1_11comp_targetILNS1_3genE9ELNS1_11target_archE1100ELNS1_3gpuE3ELNS1_3repE0EEENS1_38merge_mergepath_config_static_selectorELNS0_4arch9wavefront6targetE1EEEvSJ_.private_seg_size, 0
	.set _ZN7rocprim17ROCPRIM_400000_NS6detail17trampoline_kernelINS0_14default_configENS1_38merge_sort_block_merge_config_selectorIxxEEZZNS1_27merge_sort_block_merge_implIS3_N6thrust23THRUST_200600_302600_NS6detail15normal_iteratorINS8_10device_ptrIxEEEESD_jNS1_19radix_merge_compareILb0ELb1ExNS0_19identity_decomposerEEEEE10hipError_tT0_T1_T2_jT3_P12ihipStream_tbPNSt15iterator_traitsISI_E10value_typeEPNSO_ISJ_E10value_typeEPSK_NS1_7vsmem_tEENKUlT_SI_SJ_SK_E_clIPxSD_S10_SD_EESH_SX_SI_SJ_SK_EUlSX_E0_NS1_11comp_targetILNS1_3genE9ELNS1_11target_archE1100ELNS1_3gpuE3ELNS1_3repE0EEENS1_38merge_mergepath_config_static_selectorELNS0_4arch9wavefront6targetE1EEEvSJ_.uses_vcc, 0
	.set _ZN7rocprim17ROCPRIM_400000_NS6detail17trampoline_kernelINS0_14default_configENS1_38merge_sort_block_merge_config_selectorIxxEEZZNS1_27merge_sort_block_merge_implIS3_N6thrust23THRUST_200600_302600_NS6detail15normal_iteratorINS8_10device_ptrIxEEEESD_jNS1_19radix_merge_compareILb0ELb1ExNS0_19identity_decomposerEEEEE10hipError_tT0_T1_T2_jT3_P12ihipStream_tbPNSt15iterator_traitsISI_E10value_typeEPNSO_ISJ_E10value_typeEPSK_NS1_7vsmem_tEENKUlT_SI_SJ_SK_E_clIPxSD_S10_SD_EESH_SX_SI_SJ_SK_EUlSX_E0_NS1_11comp_targetILNS1_3genE9ELNS1_11target_archE1100ELNS1_3gpuE3ELNS1_3repE0EEENS1_38merge_mergepath_config_static_selectorELNS0_4arch9wavefront6targetE1EEEvSJ_.uses_flat_scratch, 0
	.set _ZN7rocprim17ROCPRIM_400000_NS6detail17trampoline_kernelINS0_14default_configENS1_38merge_sort_block_merge_config_selectorIxxEEZZNS1_27merge_sort_block_merge_implIS3_N6thrust23THRUST_200600_302600_NS6detail15normal_iteratorINS8_10device_ptrIxEEEESD_jNS1_19radix_merge_compareILb0ELb1ExNS0_19identity_decomposerEEEEE10hipError_tT0_T1_T2_jT3_P12ihipStream_tbPNSt15iterator_traitsISI_E10value_typeEPNSO_ISJ_E10value_typeEPSK_NS1_7vsmem_tEENKUlT_SI_SJ_SK_E_clIPxSD_S10_SD_EESH_SX_SI_SJ_SK_EUlSX_E0_NS1_11comp_targetILNS1_3genE9ELNS1_11target_archE1100ELNS1_3gpuE3ELNS1_3repE0EEENS1_38merge_mergepath_config_static_selectorELNS0_4arch9wavefront6targetE1EEEvSJ_.has_dyn_sized_stack, 0
	.set _ZN7rocprim17ROCPRIM_400000_NS6detail17trampoline_kernelINS0_14default_configENS1_38merge_sort_block_merge_config_selectorIxxEEZZNS1_27merge_sort_block_merge_implIS3_N6thrust23THRUST_200600_302600_NS6detail15normal_iteratorINS8_10device_ptrIxEEEESD_jNS1_19radix_merge_compareILb0ELb1ExNS0_19identity_decomposerEEEEE10hipError_tT0_T1_T2_jT3_P12ihipStream_tbPNSt15iterator_traitsISI_E10value_typeEPNSO_ISJ_E10value_typeEPSK_NS1_7vsmem_tEENKUlT_SI_SJ_SK_E_clIPxSD_S10_SD_EESH_SX_SI_SJ_SK_EUlSX_E0_NS1_11comp_targetILNS1_3genE9ELNS1_11target_archE1100ELNS1_3gpuE3ELNS1_3repE0EEENS1_38merge_mergepath_config_static_selectorELNS0_4arch9wavefront6targetE1EEEvSJ_.has_recursion, 0
	.set _ZN7rocprim17ROCPRIM_400000_NS6detail17trampoline_kernelINS0_14default_configENS1_38merge_sort_block_merge_config_selectorIxxEEZZNS1_27merge_sort_block_merge_implIS3_N6thrust23THRUST_200600_302600_NS6detail15normal_iteratorINS8_10device_ptrIxEEEESD_jNS1_19radix_merge_compareILb0ELb1ExNS0_19identity_decomposerEEEEE10hipError_tT0_T1_T2_jT3_P12ihipStream_tbPNSt15iterator_traitsISI_E10value_typeEPNSO_ISJ_E10value_typeEPSK_NS1_7vsmem_tEENKUlT_SI_SJ_SK_E_clIPxSD_S10_SD_EESH_SX_SI_SJ_SK_EUlSX_E0_NS1_11comp_targetILNS1_3genE9ELNS1_11target_archE1100ELNS1_3gpuE3ELNS1_3repE0EEENS1_38merge_mergepath_config_static_selectorELNS0_4arch9wavefront6targetE1EEEvSJ_.has_indirect_call, 0
	.section	.AMDGPU.csdata,"",@progbits
; Kernel info:
; codeLenInByte = 0
; TotalNumSgprs: 6
; NumVgprs: 0
; NumAgprs: 0
; TotalNumVgprs: 0
; ScratchSize: 0
; MemoryBound: 0
; FloatMode: 240
; IeeeMode: 1
; LDSByteSize: 0 bytes/workgroup (compile time only)
; SGPRBlocks: 0
; VGPRBlocks: 0
; NumSGPRsForWavesPerEU: 6
; NumVGPRsForWavesPerEU: 1
; AccumOffset: 4
; Occupancy: 8
; WaveLimiterHint : 0
; COMPUTE_PGM_RSRC2:SCRATCH_EN: 0
; COMPUTE_PGM_RSRC2:USER_SGPR: 2
; COMPUTE_PGM_RSRC2:TRAP_HANDLER: 0
; COMPUTE_PGM_RSRC2:TGID_X_EN: 1
; COMPUTE_PGM_RSRC2:TGID_Y_EN: 0
; COMPUTE_PGM_RSRC2:TGID_Z_EN: 0
; COMPUTE_PGM_RSRC2:TIDIG_COMP_CNT: 0
; COMPUTE_PGM_RSRC3_GFX90A:ACCUM_OFFSET: 0
; COMPUTE_PGM_RSRC3_GFX90A:TG_SPLIT: 0
	.section	.text._ZN7rocprim17ROCPRIM_400000_NS6detail17trampoline_kernelINS0_14default_configENS1_38merge_sort_block_merge_config_selectorIxxEEZZNS1_27merge_sort_block_merge_implIS3_N6thrust23THRUST_200600_302600_NS6detail15normal_iteratorINS8_10device_ptrIxEEEESD_jNS1_19radix_merge_compareILb0ELb1ExNS0_19identity_decomposerEEEEE10hipError_tT0_T1_T2_jT3_P12ihipStream_tbPNSt15iterator_traitsISI_E10value_typeEPNSO_ISJ_E10value_typeEPSK_NS1_7vsmem_tEENKUlT_SI_SJ_SK_E_clIPxSD_S10_SD_EESH_SX_SI_SJ_SK_EUlSX_E0_NS1_11comp_targetILNS1_3genE8ELNS1_11target_archE1030ELNS1_3gpuE2ELNS1_3repE0EEENS1_38merge_mergepath_config_static_selectorELNS0_4arch9wavefront6targetE1EEEvSJ_,"axG",@progbits,_ZN7rocprim17ROCPRIM_400000_NS6detail17trampoline_kernelINS0_14default_configENS1_38merge_sort_block_merge_config_selectorIxxEEZZNS1_27merge_sort_block_merge_implIS3_N6thrust23THRUST_200600_302600_NS6detail15normal_iteratorINS8_10device_ptrIxEEEESD_jNS1_19radix_merge_compareILb0ELb1ExNS0_19identity_decomposerEEEEE10hipError_tT0_T1_T2_jT3_P12ihipStream_tbPNSt15iterator_traitsISI_E10value_typeEPNSO_ISJ_E10value_typeEPSK_NS1_7vsmem_tEENKUlT_SI_SJ_SK_E_clIPxSD_S10_SD_EESH_SX_SI_SJ_SK_EUlSX_E0_NS1_11comp_targetILNS1_3genE8ELNS1_11target_archE1030ELNS1_3gpuE2ELNS1_3repE0EEENS1_38merge_mergepath_config_static_selectorELNS0_4arch9wavefront6targetE1EEEvSJ_,comdat
	.protected	_ZN7rocprim17ROCPRIM_400000_NS6detail17trampoline_kernelINS0_14default_configENS1_38merge_sort_block_merge_config_selectorIxxEEZZNS1_27merge_sort_block_merge_implIS3_N6thrust23THRUST_200600_302600_NS6detail15normal_iteratorINS8_10device_ptrIxEEEESD_jNS1_19radix_merge_compareILb0ELb1ExNS0_19identity_decomposerEEEEE10hipError_tT0_T1_T2_jT3_P12ihipStream_tbPNSt15iterator_traitsISI_E10value_typeEPNSO_ISJ_E10value_typeEPSK_NS1_7vsmem_tEENKUlT_SI_SJ_SK_E_clIPxSD_S10_SD_EESH_SX_SI_SJ_SK_EUlSX_E0_NS1_11comp_targetILNS1_3genE8ELNS1_11target_archE1030ELNS1_3gpuE2ELNS1_3repE0EEENS1_38merge_mergepath_config_static_selectorELNS0_4arch9wavefront6targetE1EEEvSJ_ ; -- Begin function _ZN7rocprim17ROCPRIM_400000_NS6detail17trampoline_kernelINS0_14default_configENS1_38merge_sort_block_merge_config_selectorIxxEEZZNS1_27merge_sort_block_merge_implIS3_N6thrust23THRUST_200600_302600_NS6detail15normal_iteratorINS8_10device_ptrIxEEEESD_jNS1_19radix_merge_compareILb0ELb1ExNS0_19identity_decomposerEEEEE10hipError_tT0_T1_T2_jT3_P12ihipStream_tbPNSt15iterator_traitsISI_E10value_typeEPNSO_ISJ_E10value_typeEPSK_NS1_7vsmem_tEENKUlT_SI_SJ_SK_E_clIPxSD_S10_SD_EESH_SX_SI_SJ_SK_EUlSX_E0_NS1_11comp_targetILNS1_3genE8ELNS1_11target_archE1030ELNS1_3gpuE2ELNS1_3repE0EEENS1_38merge_mergepath_config_static_selectorELNS0_4arch9wavefront6targetE1EEEvSJ_
	.globl	_ZN7rocprim17ROCPRIM_400000_NS6detail17trampoline_kernelINS0_14default_configENS1_38merge_sort_block_merge_config_selectorIxxEEZZNS1_27merge_sort_block_merge_implIS3_N6thrust23THRUST_200600_302600_NS6detail15normal_iteratorINS8_10device_ptrIxEEEESD_jNS1_19radix_merge_compareILb0ELb1ExNS0_19identity_decomposerEEEEE10hipError_tT0_T1_T2_jT3_P12ihipStream_tbPNSt15iterator_traitsISI_E10value_typeEPNSO_ISJ_E10value_typeEPSK_NS1_7vsmem_tEENKUlT_SI_SJ_SK_E_clIPxSD_S10_SD_EESH_SX_SI_SJ_SK_EUlSX_E0_NS1_11comp_targetILNS1_3genE8ELNS1_11target_archE1030ELNS1_3gpuE2ELNS1_3repE0EEENS1_38merge_mergepath_config_static_selectorELNS0_4arch9wavefront6targetE1EEEvSJ_
	.p2align	8
	.type	_ZN7rocprim17ROCPRIM_400000_NS6detail17trampoline_kernelINS0_14default_configENS1_38merge_sort_block_merge_config_selectorIxxEEZZNS1_27merge_sort_block_merge_implIS3_N6thrust23THRUST_200600_302600_NS6detail15normal_iteratorINS8_10device_ptrIxEEEESD_jNS1_19radix_merge_compareILb0ELb1ExNS0_19identity_decomposerEEEEE10hipError_tT0_T1_T2_jT3_P12ihipStream_tbPNSt15iterator_traitsISI_E10value_typeEPNSO_ISJ_E10value_typeEPSK_NS1_7vsmem_tEENKUlT_SI_SJ_SK_E_clIPxSD_S10_SD_EESH_SX_SI_SJ_SK_EUlSX_E0_NS1_11comp_targetILNS1_3genE8ELNS1_11target_archE1030ELNS1_3gpuE2ELNS1_3repE0EEENS1_38merge_mergepath_config_static_selectorELNS0_4arch9wavefront6targetE1EEEvSJ_,@function
_ZN7rocprim17ROCPRIM_400000_NS6detail17trampoline_kernelINS0_14default_configENS1_38merge_sort_block_merge_config_selectorIxxEEZZNS1_27merge_sort_block_merge_implIS3_N6thrust23THRUST_200600_302600_NS6detail15normal_iteratorINS8_10device_ptrIxEEEESD_jNS1_19radix_merge_compareILb0ELb1ExNS0_19identity_decomposerEEEEE10hipError_tT0_T1_T2_jT3_P12ihipStream_tbPNSt15iterator_traitsISI_E10value_typeEPNSO_ISJ_E10value_typeEPSK_NS1_7vsmem_tEENKUlT_SI_SJ_SK_E_clIPxSD_S10_SD_EESH_SX_SI_SJ_SK_EUlSX_E0_NS1_11comp_targetILNS1_3genE8ELNS1_11target_archE1030ELNS1_3gpuE2ELNS1_3repE0EEENS1_38merge_mergepath_config_static_selectorELNS0_4arch9wavefront6targetE1EEEvSJ_: ; @_ZN7rocprim17ROCPRIM_400000_NS6detail17trampoline_kernelINS0_14default_configENS1_38merge_sort_block_merge_config_selectorIxxEEZZNS1_27merge_sort_block_merge_implIS3_N6thrust23THRUST_200600_302600_NS6detail15normal_iteratorINS8_10device_ptrIxEEEESD_jNS1_19radix_merge_compareILb0ELb1ExNS0_19identity_decomposerEEEEE10hipError_tT0_T1_T2_jT3_P12ihipStream_tbPNSt15iterator_traitsISI_E10value_typeEPNSO_ISJ_E10value_typeEPSK_NS1_7vsmem_tEENKUlT_SI_SJ_SK_E_clIPxSD_S10_SD_EESH_SX_SI_SJ_SK_EUlSX_E0_NS1_11comp_targetILNS1_3genE8ELNS1_11target_archE1030ELNS1_3gpuE2ELNS1_3repE0EEENS1_38merge_mergepath_config_static_selectorELNS0_4arch9wavefront6targetE1EEEvSJ_
; %bb.0:
	.section	.rodata,"a",@progbits
	.p2align	6, 0x0
	.amdhsa_kernel _ZN7rocprim17ROCPRIM_400000_NS6detail17trampoline_kernelINS0_14default_configENS1_38merge_sort_block_merge_config_selectorIxxEEZZNS1_27merge_sort_block_merge_implIS3_N6thrust23THRUST_200600_302600_NS6detail15normal_iteratorINS8_10device_ptrIxEEEESD_jNS1_19radix_merge_compareILb0ELb1ExNS0_19identity_decomposerEEEEE10hipError_tT0_T1_T2_jT3_P12ihipStream_tbPNSt15iterator_traitsISI_E10value_typeEPNSO_ISJ_E10value_typeEPSK_NS1_7vsmem_tEENKUlT_SI_SJ_SK_E_clIPxSD_S10_SD_EESH_SX_SI_SJ_SK_EUlSX_E0_NS1_11comp_targetILNS1_3genE8ELNS1_11target_archE1030ELNS1_3gpuE2ELNS1_3repE0EEENS1_38merge_mergepath_config_static_selectorELNS0_4arch9wavefront6targetE1EEEvSJ_
		.amdhsa_group_segment_fixed_size 0
		.amdhsa_private_segment_fixed_size 0
		.amdhsa_kernarg_size 72
		.amdhsa_user_sgpr_count 2
		.amdhsa_user_sgpr_dispatch_ptr 0
		.amdhsa_user_sgpr_queue_ptr 0
		.amdhsa_user_sgpr_kernarg_segment_ptr 1
		.amdhsa_user_sgpr_dispatch_id 0
		.amdhsa_user_sgpr_kernarg_preload_length 0
		.amdhsa_user_sgpr_kernarg_preload_offset 0
		.amdhsa_user_sgpr_private_segment_size 0
		.amdhsa_uses_dynamic_stack 0
		.amdhsa_enable_private_segment 0
		.amdhsa_system_sgpr_workgroup_id_x 1
		.amdhsa_system_sgpr_workgroup_id_y 0
		.amdhsa_system_sgpr_workgroup_id_z 0
		.amdhsa_system_sgpr_workgroup_info 0
		.amdhsa_system_vgpr_workitem_id 0
		.amdhsa_next_free_vgpr 1
		.amdhsa_next_free_sgpr 0
		.amdhsa_accum_offset 4
		.amdhsa_reserve_vcc 0
		.amdhsa_float_round_mode_32 0
		.amdhsa_float_round_mode_16_64 0
		.amdhsa_float_denorm_mode_32 3
		.amdhsa_float_denorm_mode_16_64 3
		.amdhsa_dx10_clamp 1
		.amdhsa_ieee_mode 1
		.amdhsa_fp16_overflow 0
		.amdhsa_tg_split 0
		.amdhsa_exception_fp_ieee_invalid_op 0
		.amdhsa_exception_fp_denorm_src 0
		.amdhsa_exception_fp_ieee_div_zero 0
		.amdhsa_exception_fp_ieee_overflow 0
		.amdhsa_exception_fp_ieee_underflow 0
		.amdhsa_exception_fp_ieee_inexact 0
		.amdhsa_exception_int_div_zero 0
	.end_amdhsa_kernel
	.section	.text._ZN7rocprim17ROCPRIM_400000_NS6detail17trampoline_kernelINS0_14default_configENS1_38merge_sort_block_merge_config_selectorIxxEEZZNS1_27merge_sort_block_merge_implIS3_N6thrust23THRUST_200600_302600_NS6detail15normal_iteratorINS8_10device_ptrIxEEEESD_jNS1_19radix_merge_compareILb0ELb1ExNS0_19identity_decomposerEEEEE10hipError_tT0_T1_T2_jT3_P12ihipStream_tbPNSt15iterator_traitsISI_E10value_typeEPNSO_ISJ_E10value_typeEPSK_NS1_7vsmem_tEENKUlT_SI_SJ_SK_E_clIPxSD_S10_SD_EESH_SX_SI_SJ_SK_EUlSX_E0_NS1_11comp_targetILNS1_3genE8ELNS1_11target_archE1030ELNS1_3gpuE2ELNS1_3repE0EEENS1_38merge_mergepath_config_static_selectorELNS0_4arch9wavefront6targetE1EEEvSJ_,"axG",@progbits,_ZN7rocprim17ROCPRIM_400000_NS6detail17trampoline_kernelINS0_14default_configENS1_38merge_sort_block_merge_config_selectorIxxEEZZNS1_27merge_sort_block_merge_implIS3_N6thrust23THRUST_200600_302600_NS6detail15normal_iteratorINS8_10device_ptrIxEEEESD_jNS1_19radix_merge_compareILb0ELb1ExNS0_19identity_decomposerEEEEE10hipError_tT0_T1_T2_jT3_P12ihipStream_tbPNSt15iterator_traitsISI_E10value_typeEPNSO_ISJ_E10value_typeEPSK_NS1_7vsmem_tEENKUlT_SI_SJ_SK_E_clIPxSD_S10_SD_EESH_SX_SI_SJ_SK_EUlSX_E0_NS1_11comp_targetILNS1_3genE8ELNS1_11target_archE1030ELNS1_3gpuE2ELNS1_3repE0EEENS1_38merge_mergepath_config_static_selectorELNS0_4arch9wavefront6targetE1EEEvSJ_,comdat
.Lfunc_end1137:
	.size	_ZN7rocprim17ROCPRIM_400000_NS6detail17trampoline_kernelINS0_14default_configENS1_38merge_sort_block_merge_config_selectorIxxEEZZNS1_27merge_sort_block_merge_implIS3_N6thrust23THRUST_200600_302600_NS6detail15normal_iteratorINS8_10device_ptrIxEEEESD_jNS1_19radix_merge_compareILb0ELb1ExNS0_19identity_decomposerEEEEE10hipError_tT0_T1_T2_jT3_P12ihipStream_tbPNSt15iterator_traitsISI_E10value_typeEPNSO_ISJ_E10value_typeEPSK_NS1_7vsmem_tEENKUlT_SI_SJ_SK_E_clIPxSD_S10_SD_EESH_SX_SI_SJ_SK_EUlSX_E0_NS1_11comp_targetILNS1_3genE8ELNS1_11target_archE1030ELNS1_3gpuE2ELNS1_3repE0EEENS1_38merge_mergepath_config_static_selectorELNS0_4arch9wavefront6targetE1EEEvSJ_, .Lfunc_end1137-_ZN7rocprim17ROCPRIM_400000_NS6detail17trampoline_kernelINS0_14default_configENS1_38merge_sort_block_merge_config_selectorIxxEEZZNS1_27merge_sort_block_merge_implIS3_N6thrust23THRUST_200600_302600_NS6detail15normal_iteratorINS8_10device_ptrIxEEEESD_jNS1_19radix_merge_compareILb0ELb1ExNS0_19identity_decomposerEEEEE10hipError_tT0_T1_T2_jT3_P12ihipStream_tbPNSt15iterator_traitsISI_E10value_typeEPNSO_ISJ_E10value_typeEPSK_NS1_7vsmem_tEENKUlT_SI_SJ_SK_E_clIPxSD_S10_SD_EESH_SX_SI_SJ_SK_EUlSX_E0_NS1_11comp_targetILNS1_3genE8ELNS1_11target_archE1030ELNS1_3gpuE2ELNS1_3repE0EEENS1_38merge_mergepath_config_static_selectorELNS0_4arch9wavefront6targetE1EEEvSJ_
                                        ; -- End function
	.set _ZN7rocprim17ROCPRIM_400000_NS6detail17trampoline_kernelINS0_14default_configENS1_38merge_sort_block_merge_config_selectorIxxEEZZNS1_27merge_sort_block_merge_implIS3_N6thrust23THRUST_200600_302600_NS6detail15normal_iteratorINS8_10device_ptrIxEEEESD_jNS1_19radix_merge_compareILb0ELb1ExNS0_19identity_decomposerEEEEE10hipError_tT0_T1_T2_jT3_P12ihipStream_tbPNSt15iterator_traitsISI_E10value_typeEPNSO_ISJ_E10value_typeEPSK_NS1_7vsmem_tEENKUlT_SI_SJ_SK_E_clIPxSD_S10_SD_EESH_SX_SI_SJ_SK_EUlSX_E0_NS1_11comp_targetILNS1_3genE8ELNS1_11target_archE1030ELNS1_3gpuE2ELNS1_3repE0EEENS1_38merge_mergepath_config_static_selectorELNS0_4arch9wavefront6targetE1EEEvSJ_.num_vgpr, 0
	.set _ZN7rocprim17ROCPRIM_400000_NS6detail17trampoline_kernelINS0_14default_configENS1_38merge_sort_block_merge_config_selectorIxxEEZZNS1_27merge_sort_block_merge_implIS3_N6thrust23THRUST_200600_302600_NS6detail15normal_iteratorINS8_10device_ptrIxEEEESD_jNS1_19radix_merge_compareILb0ELb1ExNS0_19identity_decomposerEEEEE10hipError_tT0_T1_T2_jT3_P12ihipStream_tbPNSt15iterator_traitsISI_E10value_typeEPNSO_ISJ_E10value_typeEPSK_NS1_7vsmem_tEENKUlT_SI_SJ_SK_E_clIPxSD_S10_SD_EESH_SX_SI_SJ_SK_EUlSX_E0_NS1_11comp_targetILNS1_3genE8ELNS1_11target_archE1030ELNS1_3gpuE2ELNS1_3repE0EEENS1_38merge_mergepath_config_static_selectorELNS0_4arch9wavefront6targetE1EEEvSJ_.num_agpr, 0
	.set _ZN7rocprim17ROCPRIM_400000_NS6detail17trampoline_kernelINS0_14default_configENS1_38merge_sort_block_merge_config_selectorIxxEEZZNS1_27merge_sort_block_merge_implIS3_N6thrust23THRUST_200600_302600_NS6detail15normal_iteratorINS8_10device_ptrIxEEEESD_jNS1_19radix_merge_compareILb0ELb1ExNS0_19identity_decomposerEEEEE10hipError_tT0_T1_T2_jT3_P12ihipStream_tbPNSt15iterator_traitsISI_E10value_typeEPNSO_ISJ_E10value_typeEPSK_NS1_7vsmem_tEENKUlT_SI_SJ_SK_E_clIPxSD_S10_SD_EESH_SX_SI_SJ_SK_EUlSX_E0_NS1_11comp_targetILNS1_3genE8ELNS1_11target_archE1030ELNS1_3gpuE2ELNS1_3repE0EEENS1_38merge_mergepath_config_static_selectorELNS0_4arch9wavefront6targetE1EEEvSJ_.numbered_sgpr, 0
	.set _ZN7rocprim17ROCPRIM_400000_NS6detail17trampoline_kernelINS0_14default_configENS1_38merge_sort_block_merge_config_selectorIxxEEZZNS1_27merge_sort_block_merge_implIS3_N6thrust23THRUST_200600_302600_NS6detail15normal_iteratorINS8_10device_ptrIxEEEESD_jNS1_19radix_merge_compareILb0ELb1ExNS0_19identity_decomposerEEEEE10hipError_tT0_T1_T2_jT3_P12ihipStream_tbPNSt15iterator_traitsISI_E10value_typeEPNSO_ISJ_E10value_typeEPSK_NS1_7vsmem_tEENKUlT_SI_SJ_SK_E_clIPxSD_S10_SD_EESH_SX_SI_SJ_SK_EUlSX_E0_NS1_11comp_targetILNS1_3genE8ELNS1_11target_archE1030ELNS1_3gpuE2ELNS1_3repE0EEENS1_38merge_mergepath_config_static_selectorELNS0_4arch9wavefront6targetE1EEEvSJ_.num_named_barrier, 0
	.set _ZN7rocprim17ROCPRIM_400000_NS6detail17trampoline_kernelINS0_14default_configENS1_38merge_sort_block_merge_config_selectorIxxEEZZNS1_27merge_sort_block_merge_implIS3_N6thrust23THRUST_200600_302600_NS6detail15normal_iteratorINS8_10device_ptrIxEEEESD_jNS1_19radix_merge_compareILb0ELb1ExNS0_19identity_decomposerEEEEE10hipError_tT0_T1_T2_jT3_P12ihipStream_tbPNSt15iterator_traitsISI_E10value_typeEPNSO_ISJ_E10value_typeEPSK_NS1_7vsmem_tEENKUlT_SI_SJ_SK_E_clIPxSD_S10_SD_EESH_SX_SI_SJ_SK_EUlSX_E0_NS1_11comp_targetILNS1_3genE8ELNS1_11target_archE1030ELNS1_3gpuE2ELNS1_3repE0EEENS1_38merge_mergepath_config_static_selectorELNS0_4arch9wavefront6targetE1EEEvSJ_.private_seg_size, 0
	.set _ZN7rocprim17ROCPRIM_400000_NS6detail17trampoline_kernelINS0_14default_configENS1_38merge_sort_block_merge_config_selectorIxxEEZZNS1_27merge_sort_block_merge_implIS3_N6thrust23THRUST_200600_302600_NS6detail15normal_iteratorINS8_10device_ptrIxEEEESD_jNS1_19radix_merge_compareILb0ELb1ExNS0_19identity_decomposerEEEEE10hipError_tT0_T1_T2_jT3_P12ihipStream_tbPNSt15iterator_traitsISI_E10value_typeEPNSO_ISJ_E10value_typeEPSK_NS1_7vsmem_tEENKUlT_SI_SJ_SK_E_clIPxSD_S10_SD_EESH_SX_SI_SJ_SK_EUlSX_E0_NS1_11comp_targetILNS1_3genE8ELNS1_11target_archE1030ELNS1_3gpuE2ELNS1_3repE0EEENS1_38merge_mergepath_config_static_selectorELNS0_4arch9wavefront6targetE1EEEvSJ_.uses_vcc, 0
	.set _ZN7rocprim17ROCPRIM_400000_NS6detail17trampoline_kernelINS0_14default_configENS1_38merge_sort_block_merge_config_selectorIxxEEZZNS1_27merge_sort_block_merge_implIS3_N6thrust23THRUST_200600_302600_NS6detail15normal_iteratorINS8_10device_ptrIxEEEESD_jNS1_19radix_merge_compareILb0ELb1ExNS0_19identity_decomposerEEEEE10hipError_tT0_T1_T2_jT3_P12ihipStream_tbPNSt15iterator_traitsISI_E10value_typeEPNSO_ISJ_E10value_typeEPSK_NS1_7vsmem_tEENKUlT_SI_SJ_SK_E_clIPxSD_S10_SD_EESH_SX_SI_SJ_SK_EUlSX_E0_NS1_11comp_targetILNS1_3genE8ELNS1_11target_archE1030ELNS1_3gpuE2ELNS1_3repE0EEENS1_38merge_mergepath_config_static_selectorELNS0_4arch9wavefront6targetE1EEEvSJ_.uses_flat_scratch, 0
	.set _ZN7rocprim17ROCPRIM_400000_NS6detail17trampoline_kernelINS0_14default_configENS1_38merge_sort_block_merge_config_selectorIxxEEZZNS1_27merge_sort_block_merge_implIS3_N6thrust23THRUST_200600_302600_NS6detail15normal_iteratorINS8_10device_ptrIxEEEESD_jNS1_19radix_merge_compareILb0ELb1ExNS0_19identity_decomposerEEEEE10hipError_tT0_T1_T2_jT3_P12ihipStream_tbPNSt15iterator_traitsISI_E10value_typeEPNSO_ISJ_E10value_typeEPSK_NS1_7vsmem_tEENKUlT_SI_SJ_SK_E_clIPxSD_S10_SD_EESH_SX_SI_SJ_SK_EUlSX_E0_NS1_11comp_targetILNS1_3genE8ELNS1_11target_archE1030ELNS1_3gpuE2ELNS1_3repE0EEENS1_38merge_mergepath_config_static_selectorELNS0_4arch9wavefront6targetE1EEEvSJ_.has_dyn_sized_stack, 0
	.set _ZN7rocprim17ROCPRIM_400000_NS6detail17trampoline_kernelINS0_14default_configENS1_38merge_sort_block_merge_config_selectorIxxEEZZNS1_27merge_sort_block_merge_implIS3_N6thrust23THRUST_200600_302600_NS6detail15normal_iteratorINS8_10device_ptrIxEEEESD_jNS1_19radix_merge_compareILb0ELb1ExNS0_19identity_decomposerEEEEE10hipError_tT0_T1_T2_jT3_P12ihipStream_tbPNSt15iterator_traitsISI_E10value_typeEPNSO_ISJ_E10value_typeEPSK_NS1_7vsmem_tEENKUlT_SI_SJ_SK_E_clIPxSD_S10_SD_EESH_SX_SI_SJ_SK_EUlSX_E0_NS1_11comp_targetILNS1_3genE8ELNS1_11target_archE1030ELNS1_3gpuE2ELNS1_3repE0EEENS1_38merge_mergepath_config_static_selectorELNS0_4arch9wavefront6targetE1EEEvSJ_.has_recursion, 0
	.set _ZN7rocprim17ROCPRIM_400000_NS6detail17trampoline_kernelINS0_14default_configENS1_38merge_sort_block_merge_config_selectorIxxEEZZNS1_27merge_sort_block_merge_implIS3_N6thrust23THRUST_200600_302600_NS6detail15normal_iteratorINS8_10device_ptrIxEEEESD_jNS1_19radix_merge_compareILb0ELb1ExNS0_19identity_decomposerEEEEE10hipError_tT0_T1_T2_jT3_P12ihipStream_tbPNSt15iterator_traitsISI_E10value_typeEPNSO_ISJ_E10value_typeEPSK_NS1_7vsmem_tEENKUlT_SI_SJ_SK_E_clIPxSD_S10_SD_EESH_SX_SI_SJ_SK_EUlSX_E0_NS1_11comp_targetILNS1_3genE8ELNS1_11target_archE1030ELNS1_3gpuE2ELNS1_3repE0EEENS1_38merge_mergepath_config_static_selectorELNS0_4arch9wavefront6targetE1EEEvSJ_.has_indirect_call, 0
	.section	.AMDGPU.csdata,"",@progbits
; Kernel info:
; codeLenInByte = 0
; TotalNumSgprs: 6
; NumVgprs: 0
; NumAgprs: 0
; TotalNumVgprs: 0
; ScratchSize: 0
; MemoryBound: 0
; FloatMode: 240
; IeeeMode: 1
; LDSByteSize: 0 bytes/workgroup (compile time only)
; SGPRBlocks: 0
; VGPRBlocks: 0
; NumSGPRsForWavesPerEU: 6
; NumVGPRsForWavesPerEU: 1
; AccumOffset: 4
; Occupancy: 8
; WaveLimiterHint : 0
; COMPUTE_PGM_RSRC2:SCRATCH_EN: 0
; COMPUTE_PGM_RSRC2:USER_SGPR: 2
; COMPUTE_PGM_RSRC2:TRAP_HANDLER: 0
; COMPUTE_PGM_RSRC2:TGID_X_EN: 1
; COMPUTE_PGM_RSRC2:TGID_Y_EN: 0
; COMPUTE_PGM_RSRC2:TGID_Z_EN: 0
; COMPUTE_PGM_RSRC2:TIDIG_COMP_CNT: 0
; COMPUTE_PGM_RSRC3_GFX90A:ACCUM_OFFSET: 0
; COMPUTE_PGM_RSRC3_GFX90A:TG_SPLIT: 0
	.section	.text._ZN7rocprim17ROCPRIM_400000_NS6detail17trampoline_kernelINS0_14default_configENS1_38merge_sort_block_merge_config_selectorIxxEEZZNS1_27merge_sort_block_merge_implIS3_N6thrust23THRUST_200600_302600_NS6detail15normal_iteratorINS8_10device_ptrIxEEEESD_jNS1_19radix_merge_compareILb0ELb1ExNS0_19identity_decomposerEEEEE10hipError_tT0_T1_T2_jT3_P12ihipStream_tbPNSt15iterator_traitsISI_E10value_typeEPNSO_ISJ_E10value_typeEPSK_NS1_7vsmem_tEENKUlT_SI_SJ_SK_E_clIPxSD_S10_SD_EESH_SX_SI_SJ_SK_EUlSX_E1_NS1_11comp_targetILNS1_3genE0ELNS1_11target_archE4294967295ELNS1_3gpuE0ELNS1_3repE0EEENS1_36merge_oddeven_config_static_selectorELNS0_4arch9wavefront6targetE1EEEvSJ_,"axG",@progbits,_ZN7rocprim17ROCPRIM_400000_NS6detail17trampoline_kernelINS0_14default_configENS1_38merge_sort_block_merge_config_selectorIxxEEZZNS1_27merge_sort_block_merge_implIS3_N6thrust23THRUST_200600_302600_NS6detail15normal_iteratorINS8_10device_ptrIxEEEESD_jNS1_19radix_merge_compareILb0ELb1ExNS0_19identity_decomposerEEEEE10hipError_tT0_T1_T2_jT3_P12ihipStream_tbPNSt15iterator_traitsISI_E10value_typeEPNSO_ISJ_E10value_typeEPSK_NS1_7vsmem_tEENKUlT_SI_SJ_SK_E_clIPxSD_S10_SD_EESH_SX_SI_SJ_SK_EUlSX_E1_NS1_11comp_targetILNS1_3genE0ELNS1_11target_archE4294967295ELNS1_3gpuE0ELNS1_3repE0EEENS1_36merge_oddeven_config_static_selectorELNS0_4arch9wavefront6targetE1EEEvSJ_,comdat
	.protected	_ZN7rocprim17ROCPRIM_400000_NS6detail17trampoline_kernelINS0_14default_configENS1_38merge_sort_block_merge_config_selectorIxxEEZZNS1_27merge_sort_block_merge_implIS3_N6thrust23THRUST_200600_302600_NS6detail15normal_iteratorINS8_10device_ptrIxEEEESD_jNS1_19radix_merge_compareILb0ELb1ExNS0_19identity_decomposerEEEEE10hipError_tT0_T1_T2_jT3_P12ihipStream_tbPNSt15iterator_traitsISI_E10value_typeEPNSO_ISJ_E10value_typeEPSK_NS1_7vsmem_tEENKUlT_SI_SJ_SK_E_clIPxSD_S10_SD_EESH_SX_SI_SJ_SK_EUlSX_E1_NS1_11comp_targetILNS1_3genE0ELNS1_11target_archE4294967295ELNS1_3gpuE0ELNS1_3repE0EEENS1_36merge_oddeven_config_static_selectorELNS0_4arch9wavefront6targetE1EEEvSJ_ ; -- Begin function _ZN7rocprim17ROCPRIM_400000_NS6detail17trampoline_kernelINS0_14default_configENS1_38merge_sort_block_merge_config_selectorIxxEEZZNS1_27merge_sort_block_merge_implIS3_N6thrust23THRUST_200600_302600_NS6detail15normal_iteratorINS8_10device_ptrIxEEEESD_jNS1_19radix_merge_compareILb0ELb1ExNS0_19identity_decomposerEEEEE10hipError_tT0_T1_T2_jT3_P12ihipStream_tbPNSt15iterator_traitsISI_E10value_typeEPNSO_ISJ_E10value_typeEPSK_NS1_7vsmem_tEENKUlT_SI_SJ_SK_E_clIPxSD_S10_SD_EESH_SX_SI_SJ_SK_EUlSX_E1_NS1_11comp_targetILNS1_3genE0ELNS1_11target_archE4294967295ELNS1_3gpuE0ELNS1_3repE0EEENS1_36merge_oddeven_config_static_selectorELNS0_4arch9wavefront6targetE1EEEvSJ_
	.globl	_ZN7rocprim17ROCPRIM_400000_NS6detail17trampoline_kernelINS0_14default_configENS1_38merge_sort_block_merge_config_selectorIxxEEZZNS1_27merge_sort_block_merge_implIS3_N6thrust23THRUST_200600_302600_NS6detail15normal_iteratorINS8_10device_ptrIxEEEESD_jNS1_19radix_merge_compareILb0ELb1ExNS0_19identity_decomposerEEEEE10hipError_tT0_T1_T2_jT3_P12ihipStream_tbPNSt15iterator_traitsISI_E10value_typeEPNSO_ISJ_E10value_typeEPSK_NS1_7vsmem_tEENKUlT_SI_SJ_SK_E_clIPxSD_S10_SD_EESH_SX_SI_SJ_SK_EUlSX_E1_NS1_11comp_targetILNS1_3genE0ELNS1_11target_archE4294967295ELNS1_3gpuE0ELNS1_3repE0EEENS1_36merge_oddeven_config_static_selectorELNS0_4arch9wavefront6targetE1EEEvSJ_
	.p2align	8
	.type	_ZN7rocprim17ROCPRIM_400000_NS6detail17trampoline_kernelINS0_14default_configENS1_38merge_sort_block_merge_config_selectorIxxEEZZNS1_27merge_sort_block_merge_implIS3_N6thrust23THRUST_200600_302600_NS6detail15normal_iteratorINS8_10device_ptrIxEEEESD_jNS1_19radix_merge_compareILb0ELb1ExNS0_19identity_decomposerEEEEE10hipError_tT0_T1_T2_jT3_P12ihipStream_tbPNSt15iterator_traitsISI_E10value_typeEPNSO_ISJ_E10value_typeEPSK_NS1_7vsmem_tEENKUlT_SI_SJ_SK_E_clIPxSD_S10_SD_EESH_SX_SI_SJ_SK_EUlSX_E1_NS1_11comp_targetILNS1_3genE0ELNS1_11target_archE4294967295ELNS1_3gpuE0ELNS1_3repE0EEENS1_36merge_oddeven_config_static_selectorELNS0_4arch9wavefront6targetE1EEEvSJ_,@function
_ZN7rocprim17ROCPRIM_400000_NS6detail17trampoline_kernelINS0_14default_configENS1_38merge_sort_block_merge_config_selectorIxxEEZZNS1_27merge_sort_block_merge_implIS3_N6thrust23THRUST_200600_302600_NS6detail15normal_iteratorINS8_10device_ptrIxEEEESD_jNS1_19radix_merge_compareILb0ELb1ExNS0_19identity_decomposerEEEEE10hipError_tT0_T1_T2_jT3_P12ihipStream_tbPNSt15iterator_traitsISI_E10value_typeEPNSO_ISJ_E10value_typeEPSK_NS1_7vsmem_tEENKUlT_SI_SJ_SK_E_clIPxSD_S10_SD_EESH_SX_SI_SJ_SK_EUlSX_E1_NS1_11comp_targetILNS1_3genE0ELNS1_11target_archE4294967295ELNS1_3gpuE0ELNS1_3repE0EEENS1_36merge_oddeven_config_static_selectorELNS0_4arch9wavefront6targetE1EEEvSJ_: ; @_ZN7rocprim17ROCPRIM_400000_NS6detail17trampoline_kernelINS0_14default_configENS1_38merge_sort_block_merge_config_selectorIxxEEZZNS1_27merge_sort_block_merge_implIS3_N6thrust23THRUST_200600_302600_NS6detail15normal_iteratorINS8_10device_ptrIxEEEESD_jNS1_19radix_merge_compareILb0ELb1ExNS0_19identity_decomposerEEEEE10hipError_tT0_T1_T2_jT3_P12ihipStream_tbPNSt15iterator_traitsISI_E10value_typeEPNSO_ISJ_E10value_typeEPSK_NS1_7vsmem_tEENKUlT_SI_SJ_SK_E_clIPxSD_S10_SD_EESH_SX_SI_SJ_SK_EUlSX_E1_NS1_11comp_targetILNS1_3genE0ELNS1_11target_archE4294967295ELNS1_3gpuE0ELNS1_3repE0EEENS1_36merge_oddeven_config_static_selectorELNS0_4arch9wavefront6targetE1EEEvSJ_
; %bb.0:
	s_load_dword s20, s[0:1], 0x20
	s_waitcnt lgkmcnt(0)
	s_lshr_b32 s3, s20, 8
	s_cmp_eq_u32 s2, s3
	s_cselect_b64 s[16:17], -1, 0
	s_cmp_lg_u32 s2, s3
	s_cselect_b64 s[4:5], -1, 0
	s_lshl_b32 s18, s2, 8
	s_sub_i32 s3, s20, s18
	v_cmp_gt_u32_e64 s[6:7], s3, v0
	s_or_b64 s[4:5], s[4:5], s[6:7]
	s_and_saveexec_b64 s[8:9], s[4:5]
	s_cbranch_execz .LBB1138_24
; %bb.1:
	s_load_dwordx8 s[8:15], s[0:1], 0x0
	s_mov_b32 s19, 0
	s_lshl_b64 s[4:5], s[18:19], 3
	v_lshlrev_b32_e32 v1, 3, v0
	s_load_dword s19, s[0:1], 0x24
	s_waitcnt lgkmcnt(0)
	s_add_u32 s22, s8, s4
	s_addc_u32 s23, s9, s5
	s_add_u32 s4, s12, s4
	s_addc_u32 s5, s13, s5
	global_load_dwordx2 v[2:3], v1, s[4:5]
	global_load_dwordx2 v[4:5], v1, s[22:23]
	s_lshr_b32 s3, s19, 8
	s_sub_i32 s4, 0, s3
	s_and_b32 s2, s2, s4
	s_and_b32 s3, s2, s3
	s_lshl_b32 s21, s2, 8
	s_sub_i32 s12, 0, s19
	s_cmp_eq_u32 s3, 0
	s_cselect_b64 s[4:5], -1, 0
	s_and_b64 s[2:3], s[4:5], exec
	s_cselect_b32 s12, s19, s12
	s_add_i32 s12, s12, s21
	s_mov_b64 s[2:3], -1
	s_cmp_gt_u32 s20, s12
	v_add_u32_e32 v0, s18, v0
	s_cbranch_scc1 .LBB1138_9
; %bb.2:
	s_and_b64 vcc, exec, s[16:17]
	s_cbranch_vccz .LBB1138_6
; %bb.3:
	v_cmp_gt_u32_e32 vcc, s20, v0
	s_and_saveexec_b64 s[2:3], vcc
	s_cbranch_execz .LBB1138_5
; %bb.4:
	v_mov_b32_e32 v1, 0
	v_lshlrev_b64 v[6:7], 3, v[0:1]
	v_lshl_add_u64 v[8:9], s[10:11], 0, v[6:7]
	v_lshl_add_u64 v[6:7], s[14:15], 0, v[6:7]
	s_waitcnt vmcnt(0)
	global_store_dwordx2 v[8:9], v[4:5], off
	global_store_dwordx2 v[6:7], v[2:3], off
.LBB1138_5:
	s_or_b64 exec, exec, s[2:3]
	s_mov_b64 s[2:3], 0
.LBB1138_6:
	s_andn2_b64 vcc, exec, s[2:3]
	s_cbranch_vccnz .LBB1138_8
; %bb.7:
	v_mov_b32_e32 v1, 0
	v_lshlrev_b64 v[6:7], 3, v[0:1]
	v_lshl_add_u64 v[8:9], s[10:11], 0, v[6:7]
	v_lshl_add_u64 v[6:7], s[14:15], 0, v[6:7]
	s_waitcnt vmcnt(0)
	global_store_dwordx2 v[8:9], v[4:5], off
	global_store_dwordx2 v[6:7], v[2:3], off
.LBB1138_8:
	s_mov_b64 s[2:3], 0
.LBB1138_9:
	s_andn2_b64 vcc, exec, s[2:3]
	s_cbranch_vccnz .LBB1138_24
; %bb.10:
	s_load_dwordx2 s[0:1], s[0:1], 0x28
	s_min_u32 s13, s12, s20
	s_add_i32 s2, s13, s19
	s_min_u32 s18, s2, s20
	s_min_u32 s2, s21, s13
	s_add_i32 s21, s21, s13
	v_subrev_u32_e32 v0, s21, v0
	v_add_u32_e32 v8, s2, v0
	s_waitcnt vmcnt(0) lgkmcnt(0)
	v_and_b32_e32 v1, s1, v5
	v_and_b32_e32 v0, s0, v4
	s_mov_b64 s[2:3], -1
	s_and_b64 vcc, exec, s[16:17]
	s_cbranch_vccz .LBB1138_18
; %bb.11:
	s_and_saveexec_b64 s[2:3], s[6:7]
	s_cbranch_execz .LBB1138_17
; %bb.12:
	s_cmp_ge_u32 s12, s18
	v_mov_b32_e32 v9, s13
	s_cbranch_scc1 .LBB1138_16
; %bb.13:
	s_mov_b64 s[6:7], 0
	v_mov_b32_e32 v10, s18
	v_mov_b32_e32 v9, s13
	;; [unrolled: 1-line block ×3, first 2 shown]
.LBB1138_14:                            ; =>This Inner Loop Header: Depth=1
	v_add_u32_e32 v6, v9, v10
	v_lshrrev_b32_e32 v6, 1, v6
	v_lshl_add_u64 v[12:13], v[6:7], 3, s[8:9]
	global_load_dwordx2 v[12:13], v[12:13], off
	v_add_u32_e32 v11, 1, v6
	s_waitcnt vmcnt(0)
	v_and_b32_e32 v13, s1, v13
	v_and_b32_e32 v12, s0, v12
	v_cmp_gt_i64_e32 vcc, v[0:1], v[12:13]
	s_nop 1
	v_cndmask_b32_e64 v14, 0, 1, vcc
	v_cmp_le_i64_e32 vcc, v[12:13], v[0:1]
	s_nop 1
	v_cndmask_b32_e64 v12, 0, 1, vcc
	v_cndmask_b32_e64 v12, v12, v14, s[4:5]
	v_and_b32_e32 v12, 1, v12
	v_cmp_eq_u32_e32 vcc, 1, v12
	s_nop 1
	v_cndmask_b32_e32 v10, v6, v10, vcc
	v_cndmask_b32_e32 v9, v9, v11, vcc
	v_cmp_ge_u32_e32 vcc, v9, v10
	s_or_b64 s[6:7], vcc, s[6:7]
	s_andn2_b64 exec, exec, s[6:7]
	s_cbranch_execnz .LBB1138_14
; %bb.15:
	s_or_b64 exec, exec, s[6:7]
.LBB1138_16:
	v_add_u32_e32 v6, v9, v8
	v_mov_b32_e32 v7, 0
	v_lshlrev_b64 v[6:7], 3, v[6:7]
	v_lshl_add_u64 v[10:11], s[10:11], 0, v[6:7]
	v_lshl_add_u64 v[6:7], s[14:15], 0, v[6:7]
	global_store_dwordx2 v[10:11], v[4:5], off
	global_store_dwordx2 v[6:7], v[2:3], off
.LBB1138_17:
	s_or_b64 exec, exec, s[2:3]
	s_mov_b64 s[2:3], 0
.LBB1138_18:
	s_andn2_b64 vcc, exec, s[2:3]
	s_cbranch_vccnz .LBB1138_24
; %bb.19:
	s_cmp_ge_u32 s12, s18
	v_mov_b32_e32 v9, s13
	s_cbranch_scc1 .LBB1138_23
; %bb.20:
	s_mov_b64 s[2:3], 0
	v_mov_b32_e32 v10, s18
	v_mov_b32_e32 v9, s13
	;; [unrolled: 1-line block ×3, first 2 shown]
.LBB1138_21:                            ; =>This Inner Loop Header: Depth=1
	v_add_u32_e32 v6, v9, v10
	v_lshrrev_b32_e32 v6, 1, v6
	v_lshl_add_u64 v[12:13], v[6:7], 3, s[8:9]
	global_load_dwordx2 v[12:13], v[12:13], off
	v_add_u32_e32 v11, 1, v6
	s_waitcnt vmcnt(0)
	v_and_b32_e32 v13, s1, v13
	v_and_b32_e32 v12, s0, v12
	v_cmp_gt_i64_e32 vcc, v[0:1], v[12:13]
	s_nop 1
	v_cndmask_b32_e64 v14, 0, 1, vcc
	v_cmp_le_i64_e32 vcc, v[12:13], v[0:1]
	s_nop 1
	v_cndmask_b32_e64 v12, 0, 1, vcc
	v_cndmask_b32_e64 v12, v12, v14, s[4:5]
	v_and_b32_e32 v12, 1, v12
	v_cmp_eq_u32_e32 vcc, 1, v12
	s_nop 1
	v_cndmask_b32_e32 v10, v6, v10, vcc
	v_cndmask_b32_e32 v9, v9, v11, vcc
	v_cmp_ge_u32_e32 vcc, v9, v10
	s_or_b64 s[2:3], vcc, s[2:3]
	s_andn2_b64 exec, exec, s[2:3]
	s_cbranch_execnz .LBB1138_21
; %bb.22:
	s_or_b64 exec, exec, s[2:3]
.LBB1138_23:
	v_add_u32_e32 v0, v9, v8
	v_mov_b32_e32 v1, 0
	v_lshlrev_b64 v[0:1], 3, v[0:1]
	v_lshl_add_u64 v[6:7], s[10:11], 0, v[0:1]
	v_lshl_add_u64 v[0:1], s[14:15], 0, v[0:1]
	global_store_dwordx2 v[6:7], v[4:5], off
	global_store_dwordx2 v[0:1], v[2:3], off
.LBB1138_24:
	s_endpgm
	.section	.rodata,"a",@progbits
	.p2align	6, 0x0
	.amdhsa_kernel _ZN7rocprim17ROCPRIM_400000_NS6detail17trampoline_kernelINS0_14default_configENS1_38merge_sort_block_merge_config_selectorIxxEEZZNS1_27merge_sort_block_merge_implIS3_N6thrust23THRUST_200600_302600_NS6detail15normal_iteratorINS8_10device_ptrIxEEEESD_jNS1_19radix_merge_compareILb0ELb1ExNS0_19identity_decomposerEEEEE10hipError_tT0_T1_T2_jT3_P12ihipStream_tbPNSt15iterator_traitsISI_E10value_typeEPNSO_ISJ_E10value_typeEPSK_NS1_7vsmem_tEENKUlT_SI_SJ_SK_E_clIPxSD_S10_SD_EESH_SX_SI_SJ_SK_EUlSX_E1_NS1_11comp_targetILNS1_3genE0ELNS1_11target_archE4294967295ELNS1_3gpuE0ELNS1_3repE0EEENS1_36merge_oddeven_config_static_selectorELNS0_4arch9wavefront6targetE1EEEvSJ_
		.amdhsa_group_segment_fixed_size 0
		.amdhsa_private_segment_fixed_size 0
		.amdhsa_kernarg_size 48
		.amdhsa_user_sgpr_count 2
		.amdhsa_user_sgpr_dispatch_ptr 0
		.amdhsa_user_sgpr_queue_ptr 0
		.amdhsa_user_sgpr_kernarg_segment_ptr 1
		.amdhsa_user_sgpr_dispatch_id 0
		.amdhsa_user_sgpr_kernarg_preload_length 0
		.amdhsa_user_sgpr_kernarg_preload_offset 0
		.amdhsa_user_sgpr_private_segment_size 0
		.amdhsa_uses_dynamic_stack 0
		.amdhsa_enable_private_segment 0
		.amdhsa_system_sgpr_workgroup_id_x 1
		.amdhsa_system_sgpr_workgroup_id_y 0
		.amdhsa_system_sgpr_workgroup_id_z 0
		.amdhsa_system_sgpr_workgroup_info 0
		.amdhsa_system_vgpr_workitem_id 0
		.amdhsa_next_free_vgpr 15
		.amdhsa_next_free_sgpr 24
		.amdhsa_accum_offset 16
		.amdhsa_reserve_vcc 1
		.amdhsa_float_round_mode_32 0
		.amdhsa_float_round_mode_16_64 0
		.amdhsa_float_denorm_mode_32 3
		.amdhsa_float_denorm_mode_16_64 3
		.amdhsa_dx10_clamp 1
		.amdhsa_ieee_mode 1
		.amdhsa_fp16_overflow 0
		.amdhsa_tg_split 0
		.amdhsa_exception_fp_ieee_invalid_op 0
		.amdhsa_exception_fp_denorm_src 0
		.amdhsa_exception_fp_ieee_div_zero 0
		.amdhsa_exception_fp_ieee_overflow 0
		.amdhsa_exception_fp_ieee_underflow 0
		.amdhsa_exception_fp_ieee_inexact 0
		.amdhsa_exception_int_div_zero 0
	.end_amdhsa_kernel
	.section	.text._ZN7rocprim17ROCPRIM_400000_NS6detail17trampoline_kernelINS0_14default_configENS1_38merge_sort_block_merge_config_selectorIxxEEZZNS1_27merge_sort_block_merge_implIS3_N6thrust23THRUST_200600_302600_NS6detail15normal_iteratorINS8_10device_ptrIxEEEESD_jNS1_19radix_merge_compareILb0ELb1ExNS0_19identity_decomposerEEEEE10hipError_tT0_T1_T2_jT3_P12ihipStream_tbPNSt15iterator_traitsISI_E10value_typeEPNSO_ISJ_E10value_typeEPSK_NS1_7vsmem_tEENKUlT_SI_SJ_SK_E_clIPxSD_S10_SD_EESH_SX_SI_SJ_SK_EUlSX_E1_NS1_11comp_targetILNS1_3genE0ELNS1_11target_archE4294967295ELNS1_3gpuE0ELNS1_3repE0EEENS1_36merge_oddeven_config_static_selectorELNS0_4arch9wavefront6targetE1EEEvSJ_,"axG",@progbits,_ZN7rocprim17ROCPRIM_400000_NS6detail17trampoline_kernelINS0_14default_configENS1_38merge_sort_block_merge_config_selectorIxxEEZZNS1_27merge_sort_block_merge_implIS3_N6thrust23THRUST_200600_302600_NS6detail15normal_iteratorINS8_10device_ptrIxEEEESD_jNS1_19radix_merge_compareILb0ELb1ExNS0_19identity_decomposerEEEEE10hipError_tT0_T1_T2_jT3_P12ihipStream_tbPNSt15iterator_traitsISI_E10value_typeEPNSO_ISJ_E10value_typeEPSK_NS1_7vsmem_tEENKUlT_SI_SJ_SK_E_clIPxSD_S10_SD_EESH_SX_SI_SJ_SK_EUlSX_E1_NS1_11comp_targetILNS1_3genE0ELNS1_11target_archE4294967295ELNS1_3gpuE0ELNS1_3repE0EEENS1_36merge_oddeven_config_static_selectorELNS0_4arch9wavefront6targetE1EEEvSJ_,comdat
.Lfunc_end1138:
	.size	_ZN7rocprim17ROCPRIM_400000_NS6detail17trampoline_kernelINS0_14default_configENS1_38merge_sort_block_merge_config_selectorIxxEEZZNS1_27merge_sort_block_merge_implIS3_N6thrust23THRUST_200600_302600_NS6detail15normal_iteratorINS8_10device_ptrIxEEEESD_jNS1_19radix_merge_compareILb0ELb1ExNS0_19identity_decomposerEEEEE10hipError_tT0_T1_T2_jT3_P12ihipStream_tbPNSt15iterator_traitsISI_E10value_typeEPNSO_ISJ_E10value_typeEPSK_NS1_7vsmem_tEENKUlT_SI_SJ_SK_E_clIPxSD_S10_SD_EESH_SX_SI_SJ_SK_EUlSX_E1_NS1_11comp_targetILNS1_3genE0ELNS1_11target_archE4294967295ELNS1_3gpuE0ELNS1_3repE0EEENS1_36merge_oddeven_config_static_selectorELNS0_4arch9wavefront6targetE1EEEvSJ_, .Lfunc_end1138-_ZN7rocprim17ROCPRIM_400000_NS6detail17trampoline_kernelINS0_14default_configENS1_38merge_sort_block_merge_config_selectorIxxEEZZNS1_27merge_sort_block_merge_implIS3_N6thrust23THRUST_200600_302600_NS6detail15normal_iteratorINS8_10device_ptrIxEEEESD_jNS1_19radix_merge_compareILb0ELb1ExNS0_19identity_decomposerEEEEE10hipError_tT0_T1_T2_jT3_P12ihipStream_tbPNSt15iterator_traitsISI_E10value_typeEPNSO_ISJ_E10value_typeEPSK_NS1_7vsmem_tEENKUlT_SI_SJ_SK_E_clIPxSD_S10_SD_EESH_SX_SI_SJ_SK_EUlSX_E1_NS1_11comp_targetILNS1_3genE0ELNS1_11target_archE4294967295ELNS1_3gpuE0ELNS1_3repE0EEENS1_36merge_oddeven_config_static_selectorELNS0_4arch9wavefront6targetE1EEEvSJ_
                                        ; -- End function
	.set _ZN7rocprim17ROCPRIM_400000_NS6detail17trampoline_kernelINS0_14default_configENS1_38merge_sort_block_merge_config_selectorIxxEEZZNS1_27merge_sort_block_merge_implIS3_N6thrust23THRUST_200600_302600_NS6detail15normal_iteratorINS8_10device_ptrIxEEEESD_jNS1_19radix_merge_compareILb0ELb1ExNS0_19identity_decomposerEEEEE10hipError_tT0_T1_T2_jT3_P12ihipStream_tbPNSt15iterator_traitsISI_E10value_typeEPNSO_ISJ_E10value_typeEPSK_NS1_7vsmem_tEENKUlT_SI_SJ_SK_E_clIPxSD_S10_SD_EESH_SX_SI_SJ_SK_EUlSX_E1_NS1_11comp_targetILNS1_3genE0ELNS1_11target_archE4294967295ELNS1_3gpuE0ELNS1_3repE0EEENS1_36merge_oddeven_config_static_selectorELNS0_4arch9wavefront6targetE1EEEvSJ_.num_vgpr, 15
	.set _ZN7rocprim17ROCPRIM_400000_NS6detail17trampoline_kernelINS0_14default_configENS1_38merge_sort_block_merge_config_selectorIxxEEZZNS1_27merge_sort_block_merge_implIS3_N6thrust23THRUST_200600_302600_NS6detail15normal_iteratorINS8_10device_ptrIxEEEESD_jNS1_19radix_merge_compareILb0ELb1ExNS0_19identity_decomposerEEEEE10hipError_tT0_T1_T2_jT3_P12ihipStream_tbPNSt15iterator_traitsISI_E10value_typeEPNSO_ISJ_E10value_typeEPSK_NS1_7vsmem_tEENKUlT_SI_SJ_SK_E_clIPxSD_S10_SD_EESH_SX_SI_SJ_SK_EUlSX_E1_NS1_11comp_targetILNS1_3genE0ELNS1_11target_archE4294967295ELNS1_3gpuE0ELNS1_3repE0EEENS1_36merge_oddeven_config_static_selectorELNS0_4arch9wavefront6targetE1EEEvSJ_.num_agpr, 0
	.set _ZN7rocprim17ROCPRIM_400000_NS6detail17trampoline_kernelINS0_14default_configENS1_38merge_sort_block_merge_config_selectorIxxEEZZNS1_27merge_sort_block_merge_implIS3_N6thrust23THRUST_200600_302600_NS6detail15normal_iteratorINS8_10device_ptrIxEEEESD_jNS1_19radix_merge_compareILb0ELb1ExNS0_19identity_decomposerEEEEE10hipError_tT0_T1_T2_jT3_P12ihipStream_tbPNSt15iterator_traitsISI_E10value_typeEPNSO_ISJ_E10value_typeEPSK_NS1_7vsmem_tEENKUlT_SI_SJ_SK_E_clIPxSD_S10_SD_EESH_SX_SI_SJ_SK_EUlSX_E1_NS1_11comp_targetILNS1_3genE0ELNS1_11target_archE4294967295ELNS1_3gpuE0ELNS1_3repE0EEENS1_36merge_oddeven_config_static_selectorELNS0_4arch9wavefront6targetE1EEEvSJ_.numbered_sgpr, 24
	.set _ZN7rocprim17ROCPRIM_400000_NS6detail17trampoline_kernelINS0_14default_configENS1_38merge_sort_block_merge_config_selectorIxxEEZZNS1_27merge_sort_block_merge_implIS3_N6thrust23THRUST_200600_302600_NS6detail15normal_iteratorINS8_10device_ptrIxEEEESD_jNS1_19radix_merge_compareILb0ELb1ExNS0_19identity_decomposerEEEEE10hipError_tT0_T1_T2_jT3_P12ihipStream_tbPNSt15iterator_traitsISI_E10value_typeEPNSO_ISJ_E10value_typeEPSK_NS1_7vsmem_tEENKUlT_SI_SJ_SK_E_clIPxSD_S10_SD_EESH_SX_SI_SJ_SK_EUlSX_E1_NS1_11comp_targetILNS1_3genE0ELNS1_11target_archE4294967295ELNS1_3gpuE0ELNS1_3repE0EEENS1_36merge_oddeven_config_static_selectorELNS0_4arch9wavefront6targetE1EEEvSJ_.num_named_barrier, 0
	.set _ZN7rocprim17ROCPRIM_400000_NS6detail17trampoline_kernelINS0_14default_configENS1_38merge_sort_block_merge_config_selectorIxxEEZZNS1_27merge_sort_block_merge_implIS3_N6thrust23THRUST_200600_302600_NS6detail15normal_iteratorINS8_10device_ptrIxEEEESD_jNS1_19radix_merge_compareILb0ELb1ExNS0_19identity_decomposerEEEEE10hipError_tT0_T1_T2_jT3_P12ihipStream_tbPNSt15iterator_traitsISI_E10value_typeEPNSO_ISJ_E10value_typeEPSK_NS1_7vsmem_tEENKUlT_SI_SJ_SK_E_clIPxSD_S10_SD_EESH_SX_SI_SJ_SK_EUlSX_E1_NS1_11comp_targetILNS1_3genE0ELNS1_11target_archE4294967295ELNS1_3gpuE0ELNS1_3repE0EEENS1_36merge_oddeven_config_static_selectorELNS0_4arch9wavefront6targetE1EEEvSJ_.private_seg_size, 0
	.set _ZN7rocprim17ROCPRIM_400000_NS6detail17trampoline_kernelINS0_14default_configENS1_38merge_sort_block_merge_config_selectorIxxEEZZNS1_27merge_sort_block_merge_implIS3_N6thrust23THRUST_200600_302600_NS6detail15normal_iteratorINS8_10device_ptrIxEEEESD_jNS1_19radix_merge_compareILb0ELb1ExNS0_19identity_decomposerEEEEE10hipError_tT0_T1_T2_jT3_P12ihipStream_tbPNSt15iterator_traitsISI_E10value_typeEPNSO_ISJ_E10value_typeEPSK_NS1_7vsmem_tEENKUlT_SI_SJ_SK_E_clIPxSD_S10_SD_EESH_SX_SI_SJ_SK_EUlSX_E1_NS1_11comp_targetILNS1_3genE0ELNS1_11target_archE4294967295ELNS1_3gpuE0ELNS1_3repE0EEENS1_36merge_oddeven_config_static_selectorELNS0_4arch9wavefront6targetE1EEEvSJ_.uses_vcc, 1
	.set _ZN7rocprim17ROCPRIM_400000_NS6detail17trampoline_kernelINS0_14default_configENS1_38merge_sort_block_merge_config_selectorIxxEEZZNS1_27merge_sort_block_merge_implIS3_N6thrust23THRUST_200600_302600_NS6detail15normal_iteratorINS8_10device_ptrIxEEEESD_jNS1_19radix_merge_compareILb0ELb1ExNS0_19identity_decomposerEEEEE10hipError_tT0_T1_T2_jT3_P12ihipStream_tbPNSt15iterator_traitsISI_E10value_typeEPNSO_ISJ_E10value_typeEPSK_NS1_7vsmem_tEENKUlT_SI_SJ_SK_E_clIPxSD_S10_SD_EESH_SX_SI_SJ_SK_EUlSX_E1_NS1_11comp_targetILNS1_3genE0ELNS1_11target_archE4294967295ELNS1_3gpuE0ELNS1_3repE0EEENS1_36merge_oddeven_config_static_selectorELNS0_4arch9wavefront6targetE1EEEvSJ_.uses_flat_scratch, 0
	.set _ZN7rocprim17ROCPRIM_400000_NS6detail17trampoline_kernelINS0_14default_configENS1_38merge_sort_block_merge_config_selectorIxxEEZZNS1_27merge_sort_block_merge_implIS3_N6thrust23THRUST_200600_302600_NS6detail15normal_iteratorINS8_10device_ptrIxEEEESD_jNS1_19radix_merge_compareILb0ELb1ExNS0_19identity_decomposerEEEEE10hipError_tT0_T1_T2_jT3_P12ihipStream_tbPNSt15iterator_traitsISI_E10value_typeEPNSO_ISJ_E10value_typeEPSK_NS1_7vsmem_tEENKUlT_SI_SJ_SK_E_clIPxSD_S10_SD_EESH_SX_SI_SJ_SK_EUlSX_E1_NS1_11comp_targetILNS1_3genE0ELNS1_11target_archE4294967295ELNS1_3gpuE0ELNS1_3repE0EEENS1_36merge_oddeven_config_static_selectorELNS0_4arch9wavefront6targetE1EEEvSJ_.has_dyn_sized_stack, 0
	.set _ZN7rocprim17ROCPRIM_400000_NS6detail17trampoline_kernelINS0_14default_configENS1_38merge_sort_block_merge_config_selectorIxxEEZZNS1_27merge_sort_block_merge_implIS3_N6thrust23THRUST_200600_302600_NS6detail15normal_iteratorINS8_10device_ptrIxEEEESD_jNS1_19radix_merge_compareILb0ELb1ExNS0_19identity_decomposerEEEEE10hipError_tT0_T1_T2_jT3_P12ihipStream_tbPNSt15iterator_traitsISI_E10value_typeEPNSO_ISJ_E10value_typeEPSK_NS1_7vsmem_tEENKUlT_SI_SJ_SK_E_clIPxSD_S10_SD_EESH_SX_SI_SJ_SK_EUlSX_E1_NS1_11comp_targetILNS1_3genE0ELNS1_11target_archE4294967295ELNS1_3gpuE0ELNS1_3repE0EEENS1_36merge_oddeven_config_static_selectorELNS0_4arch9wavefront6targetE1EEEvSJ_.has_recursion, 0
	.set _ZN7rocprim17ROCPRIM_400000_NS6detail17trampoline_kernelINS0_14default_configENS1_38merge_sort_block_merge_config_selectorIxxEEZZNS1_27merge_sort_block_merge_implIS3_N6thrust23THRUST_200600_302600_NS6detail15normal_iteratorINS8_10device_ptrIxEEEESD_jNS1_19radix_merge_compareILb0ELb1ExNS0_19identity_decomposerEEEEE10hipError_tT0_T1_T2_jT3_P12ihipStream_tbPNSt15iterator_traitsISI_E10value_typeEPNSO_ISJ_E10value_typeEPSK_NS1_7vsmem_tEENKUlT_SI_SJ_SK_E_clIPxSD_S10_SD_EESH_SX_SI_SJ_SK_EUlSX_E1_NS1_11comp_targetILNS1_3genE0ELNS1_11target_archE4294967295ELNS1_3gpuE0ELNS1_3repE0EEENS1_36merge_oddeven_config_static_selectorELNS0_4arch9wavefront6targetE1EEEvSJ_.has_indirect_call, 0
	.section	.AMDGPU.csdata,"",@progbits
; Kernel info:
; codeLenInByte = 808
; TotalNumSgprs: 30
; NumVgprs: 15
; NumAgprs: 0
; TotalNumVgprs: 15
; ScratchSize: 0
; MemoryBound: 0
; FloatMode: 240
; IeeeMode: 1
; LDSByteSize: 0 bytes/workgroup (compile time only)
; SGPRBlocks: 3
; VGPRBlocks: 1
; NumSGPRsForWavesPerEU: 30
; NumVGPRsForWavesPerEU: 15
; AccumOffset: 16
; Occupancy: 8
; WaveLimiterHint : 0
; COMPUTE_PGM_RSRC2:SCRATCH_EN: 0
; COMPUTE_PGM_RSRC2:USER_SGPR: 2
; COMPUTE_PGM_RSRC2:TRAP_HANDLER: 0
; COMPUTE_PGM_RSRC2:TGID_X_EN: 1
; COMPUTE_PGM_RSRC2:TGID_Y_EN: 0
; COMPUTE_PGM_RSRC2:TGID_Z_EN: 0
; COMPUTE_PGM_RSRC2:TIDIG_COMP_CNT: 0
; COMPUTE_PGM_RSRC3_GFX90A:ACCUM_OFFSET: 3
; COMPUTE_PGM_RSRC3_GFX90A:TG_SPLIT: 0
	.section	.text._ZN7rocprim17ROCPRIM_400000_NS6detail17trampoline_kernelINS0_14default_configENS1_38merge_sort_block_merge_config_selectorIxxEEZZNS1_27merge_sort_block_merge_implIS3_N6thrust23THRUST_200600_302600_NS6detail15normal_iteratorINS8_10device_ptrIxEEEESD_jNS1_19radix_merge_compareILb0ELb1ExNS0_19identity_decomposerEEEEE10hipError_tT0_T1_T2_jT3_P12ihipStream_tbPNSt15iterator_traitsISI_E10value_typeEPNSO_ISJ_E10value_typeEPSK_NS1_7vsmem_tEENKUlT_SI_SJ_SK_E_clIPxSD_S10_SD_EESH_SX_SI_SJ_SK_EUlSX_E1_NS1_11comp_targetILNS1_3genE10ELNS1_11target_archE1201ELNS1_3gpuE5ELNS1_3repE0EEENS1_36merge_oddeven_config_static_selectorELNS0_4arch9wavefront6targetE1EEEvSJ_,"axG",@progbits,_ZN7rocprim17ROCPRIM_400000_NS6detail17trampoline_kernelINS0_14default_configENS1_38merge_sort_block_merge_config_selectorIxxEEZZNS1_27merge_sort_block_merge_implIS3_N6thrust23THRUST_200600_302600_NS6detail15normal_iteratorINS8_10device_ptrIxEEEESD_jNS1_19radix_merge_compareILb0ELb1ExNS0_19identity_decomposerEEEEE10hipError_tT0_T1_T2_jT3_P12ihipStream_tbPNSt15iterator_traitsISI_E10value_typeEPNSO_ISJ_E10value_typeEPSK_NS1_7vsmem_tEENKUlT_SI_SJ_SK_E_clIPxSD_S10_SD_EESH_SX_SI_SJ_SK_EUlSX_E1_NS1_11comp_targetILNS1_3genE10ELNS1_11target_archE1201ELNS1_3gpuE5ELNS1_3repE0EEENS1_36merge_oddeven_config_static_selectorELNS0_4arch9wavefront6targetE1EEEvSJ_,comdat
	.protected	_ZN7rocprim17ROCPRIM_400000_NS6detail17trampoline_kernelINS0_14default_configENS1_38merge_sort_block_merge_config_selectorIxxEEZZNS1_27merge_sort_block_merge_implIS3_N6thrust23THRUST_200600_302600_NS6detail15normal_iteratorINS8_10device_ptrIxEEEESD_jNS1_19radix_merge_compareILb0ELb1ExNS0_19identity_decomposerEEEEE10hipError_tT0_T1_T2_jT3_P12ihipStream_tbPNSt15iterator_traitsISI_E10value_typeEPNSO_ISJ_E10value_typeEPSK_NS1_7vsmem_tEENKUlT_SI_SJ_SK_E_clIPxSD_S10_SD_EESH_SX_SI_SJ_SK_EUlSX_E1_NS1_11comp_targetILNS1_3genE10ELNS1_11target_archE1201ELNS1_3gpuE5ELNS1_3repE0EEENS1_36merge_oddeven_config_static_selectorELNS0_4arch9wavefront6targetE1EEEvSJ_ ; -- Begin function _ZN7rocprim17ROCPRIM_400000_NS6detail17trampoline_kernelINS0_14default_configENS1_38merge_sort_block_merge_config_selectorIxxEEZZNS1_27merge_sort_block_merge_implIS3_N6thrust23THRUST_200600_302600_NS6detail15normal_iteratorINS8_10device_ptrIxEEEESD_jNS1_19radix_merge_compareILb0ELb1ExNS0_19identity_decomposerEEEEE10hipError_tT0_T1_T2_jT3_P12ihipStream_tbPNSt15iterator_traitsISI_E10value_typeEPNSO_ISJ_E10value_typeEPSK_NS1_7vsmem_tEENKUlT_SI_SJ_SK_E_clIPxSD_S10_SD_EESH_SX_SI_SJ_SK_EUlSX_E1_NS1_11comp_targetILNS1_3genE10ELNS1_11target_archE1201ELNS1_3gpuE5ELNS1_3repE0EEENS1_36merge_oddeven_config_static_selectorELNS0_4arch9wavefront6targetE1EEEvSJ_
	.globl	_ZN7rocprim17ROCPRIM_400000_NS6detail17trampoline_kernelINS0_14default_configENS1_38merge_sort_block_merge_config_selectorIxxEEZZNS1_27merge_sort_block_merge_implIS3_N6thrust23THRUST_200600_302600_NS6detail15normal_iteratorINS8_10device_ptrIxEEEESD_jNS1_19radix_merge_compareILb0ELb1ExNS0_19identity_decomposerEEEEE10hipError_tT0_T1_T2_jT3_P12ihipStream_tbPNSt15iterator_traitsISI_E10value_typeEPNSO_ISJ_E10value_typeEPSK_NS1_7vsmem_tEENKUlT_SI_SJ_SK_E_clIPxSD_S10_SD_EESH_SX_SI_SJ_SK_EUlSX_E1_NS1_11comp_targetILNS1_3genE10ELNS1_11target_archE1201ELNS1_3gpuE5ELNS1_3repE0EEENS1_36merge_oddeven_config_static_selectorELNS0_4arch9wavefront6targetE1EEEvSJ_
	.p2align	8
	.type	_ZN7rocprim17ROCPRIM_400000_NS6detail17trampoline_kernelINS0_14default_configENS1_38merge_sort_block_merge_config_selectorIxxEEZZNS1_27merge_sort_block_merge_implIS3_N6thrust23THRUST_200600_302600_NS6detail15normal_iteratorINS8_10device_ptrIxEEEESD_jNS1_19radix_merge_compareILb0ELb1ExNS0_19identity_decomposerEEEEE10hipError_tT0_T1_T2_jT3_P12ihipStream_tbPNSt15iterator_traitsISI_E10value_typeEPNSO_ISJ_E10value_typeEPSK_NS1_7vsmem_tEENKUlT_SI_SJ_SK_E_clIPxSD_S10_SD_EESH_SX_SI_SJ_SK_EUlSX_E1_NS1_11comp_targetILNS1_3genE10ELNS1_11target_archE1201ELNS1_3gpuE5ELNS1_3repE0EEENS1_36merge_oddeven_config_static_selectorELNS0_4arch9wavefront6targetE1EEEvSJ_,@function
_ZN7rocprim17ROCPRIM_400000_NS6detail17trampoline_kernelINS0_14default_configENS1_38merge_sort_block_merge_config_selectorIxxEEZZNS1_27merge_sort_block_merge_implIS3_N6thrust23THRUST_200600_302600_NS6detail15normal_iteratorINS8_10device_ptrIxEEEESD_jNS1_19radix_merge_compareILb0ELb1ExNS0_19identity_decomposerEEEEE10hipError_tT0_T1_T2_jT3_P12ihipStream_tbPNSt15iterator_traitsISI_E10value_typeEPNSO_ISJ_E10value_typeEPSK_NS1_7vsmem_tEENKUlT_SI_SJ_SK_E_clIPxSD_S10_SD_EESH_SX_SI_SJ_SK_EUlSX_E1_NS1_11comp_targetILNS1_3genE10ELNS1_11target_archE1201ELNS1_3gpuE5ELNS1_3repE0EEENS1_36merge_oddeven_config_static_selectorELNS0_4arch9wavefront6targetE1EEEvSJ_: ; @_ZN7rocprim17ROCPRIM_400000_NS6detail17trampoline_kernelINS0_14default_configENS1_38merge_sort_block_merge_config_selectorIxxEEZZNS1_27merge_sort_block_merge_implIS3_N6thrust23THRUST_200600_302600_NS6detail15normal_iteratorINS8_10device_ptrIxEEEESD_jNS1_19radix_merge_compareILb0ELb1ExNS0_19identity_decomposerEEEEE10hipError_tT0_T1_T2_jT3_P12ihipStream_tbPNSt15iterator_traitsISI_E10value_typeEPNSO_ISJ_E10value_typeEPSK_NS1_7vsmem_tEENKUlT_SI_SJ_SK_E_clIPxSD_S10_SD_EESH_SX_SI_SJ_SK_EUlSX_E1_NS1_11comp_targetILNS1_3genE10ELNS1_11target_archE1201ELNS1_3gpuE5ELNS1_3repE0EEENS1_36merge_oddeven_config_static_selectorELNS0_4arch9wavefront6targetE1EEEvSJ_
; %bb.0:
	.section	.rodata,"a",@progbits
	.p2align	6, 0x0
	.amdhsa_kernel _ZN7rocprim17ROCPRIM_400000_NS6detail17trampoline_kernelINS0_14default_configENS1_38merge_sort_block_merge_config_selectorIxxEEZZNS1_27merge_sort_block_merge_implIS3_N6thrust23THRUST_200600_302600_NS6detail15normal_iteratorINS8_10device_ptrIxEEEESD_jNS1_19radix_merge_compareILb0ELb1ExNS0_19identity_decomposerEEEEE10hipError_tT0_T1_T2_jT3_P12ihipStream_tbPNSt15iterator_traitsISI_E10value_typeEPNSO_ISJ_E10value_typeEPSK_NS1_7vsmem_tEENKUlT_SI_SJ_SK_E_clIPxSD_S10_SD_EESH_SX_SI_SJ_SK_EUlSX_E1_NS1_11comp_targetILNS1_3genE10ELNS1_11target_archE1201ELNS1_3gpuE5ELNS1_3repE0EEENS1_36merge_oddeven_config_static_selectorELNS0_4arch9wavefront6targetE1EEEvSJ_
		.amdhsa_group_segment_fixed_size 0
		.amdhsa_private_segment_fixed_size 0
		.amdhsa_kernarg_size 48
		.amdhsa_user_sgpr_count 2
		.amdhsa_user_sgpr_dispatch_ptr 0
		.amdhsa_user_sgpr_queue_ptr 0
		.amdhsa_user_sgpr_kernarg_segment_ptr 1
		.amdhsa_user_sgpr_dispatch_id 0
		.amdhsa_user_sgpr_kernarg_preload_length 0
		.amdhsa_user_sgpr_kernarg_preload_offset 0
		.amdhsa_user_sgpr_private_segment_size 0
		.amdhsa_uses_dynamic_stack 0
		.amdhsa_enable_private_segment 0
		.amdhsa_system_sgpr_workgroup_id_x 1
		.amdhsa_system_sgpr_workgroup_id_y 0
		.amdhsa_system_sgpr_workgroup_id_z 0
		.amdhsa_system_sgpr_workgroup_info 0
		.amdhsa_system_vgpr_workitem_id 0
		.amdhsa_next_free_vgpr 1
		.amdhsa_next_free_sgpr 0
		.amdhsa_accum_offset 4
		.amdhsa_reserve_vcc 0
		.amdhsa_float_round_mode_32 0
		.amdhsa_float_round_mode_16_64 0
		.amdhsa_float_denorm_mode_32 3
		.amdhsa_float_denorm_mode_16_64 3
		.amdhsa_dx10_clamp 1
		.amdhsa_ieee_mode 1
		.amdhsa_fp16_overflow 0
		.amdhsa_tg_split 0
		.amdhsa_exception_fp_ieee_invalid_op 0
		.amdhsa_exception_fp_denorm_src 0
		.amdhsa_exception_fp_ieee_div_zero 0
		.amdhsa_exception_fp_ieee_overflow 0
		.amdhsa_exception_fp_ieee_underflow 0
		.amdhsa_exception_fp_ieee_inexact 0
		.amdhsa_exception_int_div_zero 0
	.end_amdhsa_kernel
	.section	.text._ZN7rocprim17ROCPRIM_400000_NS6detail17trampoline_kernelINS0_14default_configENS1_38merge_sort_block_merge_config_selectorIxxEEZZNS1_27merge_sort_block_merge_implIS3_N6thrust23THRUST_200600_302600_NS6detail15normal_iteratorINS8_10device_ptrIxEEEESD_jNS1_19radix_merge_compareILb0ELb1ExNS0_19identity_decomposerEEEEE10hipError_tT0_T1_T2_jT3_P12ihipStream_tbPNSt15iterator_traitsISI_E10value_typeEPNSO_ISJ_E10value_typeEPSK_NS1_7vsmem_tEENKUlT_SI_SJ_SK_E_clIPxSD_S10_SD_EESH_SX_SI_SJ_SK_EUlSX_E1_NS1_11comp_targetILNS1_3genE10ELNS1_11target_archE1201ELNS1_3gpuE5ELNS1_3repE0EEENS1_36merge_oddeven_config_static_selectorELNS0_4arch9wavefront6targetE1EEEvSJ_,"axG",@progbits,_ZN7rocprim17ROCPRIM_400000_NS6detail17trampoline_kernelINS0_14default_configENS1_38merge_sort_block_merge_config_selectorIxxEEZZNS1_27merge_sort_block_merge_implIS3_N6thrust23THRUST_200600_302600_NS6detail15normal_iteratorINS8_10device_ptrIxEEEESD_jNS1_19radix_merge_compareILb0ELb1ExNS0_19identity_decomposerEEEEE10hipError_tT0_T1_T2_jT3_P12ihipStream_tbPNSt15iterator_traitsISI_E10value_typeEPNSO_ISJ_E10value_typeEPSK_NS1_7vsmem_tEENKUlT_SI_SJ_SK_E_clIPxSD_S10_SD_EESH_SX_SI_SJ_SK_EUlSX_E1_NS1_11comp_targetILNS1_3genE10ELNS1_11target_archE1201ELNS1_3gpuE5ELNS1_3repE0EEENS1_36merge_oddeven_config_static_selectorELNS0_4arch9wavefront6targetE1EEEvSJ_,comdat
.Lfunc_end1139:
	.size	_ZN7rocprim17ROCPRIM_400000_NS6detail17trampoline_kernelINS0_14default_configENS1_38merge_sort_block_merge_config_selectorIxxEEZZNS1_27merge_sort_block_merge_implIS3_N6thrust23THRUST_200600_302600_NS6detail15normal_iteratorINS8_10device_ptrIxEEEESD_jNS1_19radix_merge_compareILb0ELb1ExNS0_19identity_decomposerEEEEE10hipError_tT0_T1_T2_jT3_P12ihipStream_tbPNSt15iterator_traitsISI_E10value_typeEPNSO_ISJ_E10value_typeEPSK_NS1_7vsmem_tEENKUlT_SI_SJ_SK_E_clIPxSD_S10_SD_EESH_SX_SI_SJ_SK_EUlSX_E1_NS1_11comp_targetILNS1_3genE10ELNS1_11target_archE1201ELNS1_3gpuE5ELNS1_3repE0EEENS1_36merge_oddeven_config_static_selectorELNS0_4arch9wavefront6targetE1EEEvSJ_, .Lfunc_end1139-_ZN7rocprim17ROCPRIM_400000_NS6detail17trampoline_kernelINS0_14default_configENS1_38merge_sort_block_merge_config_selectorIxxEEZZNS1_27merge_sort_block_merge_implIS3_N6thrust23THRUST_200600_302600_NS6detail15normal_iteratorINS8_10device_ptrIxEEEESD_jNS1_19radix_merge_compareILb0ELb1ExNS0_19identity_decomposerEEEEE10hipError_tT0_T1_T2_jT3_P12ihipStream_tbPNSt15iterator_traitsISI_E10value_typeEPNSO_ISJ_E10value_typeEPSK_NS1_7vsmem_tEENKUlT_SI_SJ_SK_E_clIPxSD_S10_SD_EESH_SX_SI_SJ_SK_EUlSX_E1_NS1_11comp_targetILNS1_3genE10ELNS1_11target_archE1201ELNS1_3gpuE5ELNS1_3repE0EEENS1_36merge_oddeven_config_static_selectorELNS0_4arch9wavefront6targetE1EEEvSJ_
                                        ; -- End function
	.set _ZN7rocprim17ROCPRIM_400000_NS6detail17trampoline_kernelINS0_14default_configENS1_38merge_sort_block_merge_config_selectorIxxEEZZNS1_27merge_sort_block_merge_implIS3_N6thrust23THRUST_200600_302600_NS6detail15normal_iteratorINS8_10device_ptrIxEEEESD_jNS1_19radix_merge_compareILb0ELb1ExNS0_19identity_decomposerEEEEE10hipError_tT0_T1_T2_jT3_P12ihipStream_tbPNSt15iterator_traitsISI_E10value_typeEPNSO_ISJ_E10value_typeEPSK_NS1_7vsmem_tEENKUlT_SI_SJ_SK_E_clIPxSD_S10_SD_EESH_SX_SI_SJ_SK_EUlSX_E1_NS1_11comp_targetILNS1_3genE10ELNS1_11target_archE1201ELNS1_3gpuE5ELNS1_3repE0EEENS1_36merge_oddeven_config_static_selectorELNS0_4arch9wavefront6targetE1EEEvSJ_.num_vgpr, 0
	.set _ZN7rocprim17ROCPRIM_400000_NS6detail17trampoline_kernelINS0_14default_configENS1_38merge_sort_block_merge_config_selectorIxxEEZZNS1_27merge_sort_block_merge_implIS3_N6thrust23THRUST_200600_302600_NS6detail15normal_iteratorINS8_10device_ptrIxEEEESD_jNS1_19radix_merge_compareILb0ELb1ExNS0_19identity_decomposerEEEEE10hipError_tT0_T1_T2_jT3_P12ihipStream_tbPNSt15iterator_traitsISI_E10value_typeEPNSO_ISJ_E10value_typeEPSK_NS1_7vsmem_tEENKUlT_SI_SJ_SK_E_clIPxSD_S10_SD_EESH_SX_SI_SJ_SK_EUlSX_E1_NS1_11comp_targetILNS1_3genE10ELNS1_11target_archE1201ELNS1_3gpuE5ELNS1_3repE0EEENS1_36merge_oddeven_config_static_selectorELNS0_4arch9wavefront6targetE1EEEvSJ_.num_agpr, 0
	.set _ZN7rocprim17ROCPRIM_400000_NS6detail17trampoline_kernelINS0_14default_configENS1_38merge_sort_block_merge_config_selectorIxxEEZZNS1_27merge_sort_block_merge_implIS3_N6thrust23THRUST_200600_302600_NS6detail15normal_iteratorINS8_10device_ptrIxEEEESD_jNS1_19radix_merge_compareILb0ELb1ExNS0_19identity_decomposerEEEEE10hipError_tT0_T1_T2_jT3_P12ihipStream_tbPNSt15iterator_traitsISI_E10value_typeEPNSO_ISJ_E10value_typeEPSK_NS1_7vsmem_tEENKUlT_SI_SJ_SK_E_clIPxSD_S10_SD_EESH_SX_SI_SJ_SK_EUlSX_E1_NS1_11comp_targetILNS1_3genE10ELNS1_11target_archE1201ELNS1_3gpuE5ELNS1_3repE0EEENS1_36merge_oddeven_config_static_selectorELNS0_4arch9wavefront6targetE1EEEvSJ_.numbered_sgpr, 0
	.set _ZN7rocprim17ROCPRIM_400000_NS6detail17trampoline_kernelINS0_14default_configENS1_38merge_sort_block_merge_config_selectorIxxEEZZNS1_27merge_sort_block_merge_implIS3_N6thrust23THRUST_200600_302600_NS6detail15normal_iteratorINS8_10device_ptrIxEEEESD_jNS1_19radix_merge_compareILb0ELb1ExNS0_19identity_decomposerEEEEE10hipError_tT0_T1_T2_jT3_P12ihipStream_tbPNSt15iterator_traitsISI_E10value_typeEPNSO_ISJ_E10value_typeEPSK_NS1_7vsmem_tEENKUlT_SI_SJ_SK_E_clIPxSD_S10_SD_EESH_SX_SI_SJ_SK_EUlSX_E1_NS1_11comp_targetILNS1_3genE10ELNS1_11target_archE1201ELNS1_3gpuE5ELNS1_3repE0EEENS1_36merge_oddeven_config_static_selectorELNS0_4arch9wavefront6targetE1EEEvSJ_.num_named_barrier, 0
	.set _ZN7rocprim17ROCPRIM_400000_NS6detail17trampoline_kernelINS0_14default_configENS1_38merge_sort_block_merge_config_selectorIxxEEZZNS1_27merge_sort_block_merge_implIS3_N6thrust23THRUST_200600_302600_NS6detail15normal_iteratorINS8_10device_ptrIxEEEESD_jNS1_19radix_merge_compareILb0ELb1ExNS0_19identity_decomposerEEEEE10hipError_tT0_T1_T2_jT3_P12ihipStream_tbPNSt15iterator_traitsISI_E10value_typeEPNSO_ISJ_E10value_typeEPSK_NS1_7vsmem_tEENKUlT_SI_SJ_SK_E_clIPxSD_S10_SD_EESH_SX_SI_SJ_SK_EUlSX_E1_NS1_11comp_targetILNS1_3genE10ELNS1_11target_archE1201ELNS1_3gpuE5ELNS1_3repE0EEENS1_36merge_oddeven_config_static_selectorELNS0_4arch9wavefront6targetE1EEEvSJ_.private_seg_size, 0
	.set _ZN7rocprim17ROCPRIM_400000_NS6detail17trampoline_kernelINS0_14default_configENS1_38merge_sort_block_merge_config_selectorIxxEEZZNS1_27merge_sort_block_merge_implIS3_N6thrust23THRUST_200600_302600_NS6detail15normal_iteratorINS8_10device_ptrIxEEEESD_jNS1_19radix_merge_compareILb0ELb1ExNS0_19identity_decomposerEEEEE10hipError_tT0_T1_T2_jT3_P12ihipStream_tbPNSt15iterator_traitsISI_E10value_typeEPNSO_ISJ_E10value_typeEPSK_NS1_7vsmem_tEENKUlT_SI_SJ_SK_E_clIPxSD_S10_SD_EESH_SX_SI_SJ_SK_EUlSX_E1_NS1_11comp_targetILNS1_3genE10ELNS1_11target_archE1201ELNS1_3gpuE5ELNS1_3repE0EEENS1_36merge_oddeven_config_static_selectorELNS0_4arch9wavefront6targetE1EEEvSJ_.uses_vcc, 0
	.set _ZN7rocprim17ROCPRIM_400000_NS6detail17trampoline_kernelINS0_14default_configENS1_38merge_sort_block_merge_config_selectorIxxEEZZNS1_27merge_sort_block_merge_implIS3_N6thrust23THRUST_200600_302600_NS6detail15normal_iteratorINS8_10device_ptrIxEEEESD_jNS1_19radix_merge_compareILb0ELb1ExNS0_19identity_decomposerEEEEE10hipError_tT0_T1_T2_jT3_P12ihipStream_tbPNSt15iterator_traitsISI_E10value_typeEPNSO_ISJ_E10value_typeEPSK_NS1_7vsmem_tEENKUlT_SI_SJ_SK_E_clIPxSD_S10_SD_EESH_SX_SI_SJ_SK_EUlSX_E1_NS1_11comp_targetILNS1_3genE10ELNS1_11target_archE1201ELNS1_3gpuE5ELNS1_3repE0EEENS1_36merge_oddeven_config_static_selectorELNS0_4arch9wavefront6targetE1EEEvSJ_.uses_flat_scratch, 0
	.set _ZN7rocprim17ROCPRIM_400000_NS6detail17trampoline_kernelINS0_14default_configENS1_38merge_sort_block_merge_config_selectorIxxEEZZNS1_27merge_sort_block_merge_implIS3_N6thrust23THRUST_200600_302600_NS6detail15normal_iteratorINS8_10device_ptrIxEEEESD_jNS1_19radix_merge_compareILb0ELb1ExNS0_19identity_decomposerEEEEE10hipError_tT0_T1_T2_jT3_P12ihipStream_tbPNSt15iterator_traitsISI_E10value_typeEPNSO_ISJ_E10value_typeEPSK_NS1_7vsmem_tEENKUlT_SI_SJ_SK_E_clIPxSD_S10_SD_EESH_SX_SI_SJ_SK_EUlSX_E1_NS1_11comp_targetILNS1_3genE10ELNS1_11target_archE1201ELNS1_3gpuE5ELNS1_3repE0EEENS1_36merge_oddeven_config_static_selectorELNS0_4arch9wavefront6targetE1EEEvSJ_.has_dyn_sized_stack, 0
	.set _ZN7rocprim17ROCPRIM_400000_NS6detail17trampoline_kernelINS0_14default_configENS1_38merge_sort_block_merge_config_selectorIxxEEZZNS1_27merge_sort_block_merge_implIS3_N6thrust23THRUST_200600_302600_NS6detail15normal_iteratorINS8_10device_ptrIxEEEESD_jNS1_19radix_merge_compareILb0ELb1ExNS0_19identity_decomposerEEEEE10hipError_tT0_T1_T2_jT3_P12ihipStream_tbPNSt15iterator_traitsISI_E10value_typeEPNSO_ISJ_E10value_typeEPSK_NS1_7vsmem_tEENKUlT_SI_SJ_SK_E_clIPxSD_S10_SD_EESH_SX_SI_SJ_SK_EUlSX_E1_NS1_11comp_targetILNS1_3genE10ELNS1_11target_archE1201ELNS1_3gpuE5ELNS1_3repE0EEENS1_36merge_oddeven_config_static_selectorELNS0_4arch9wavefront6targetE1EEEvSJ_.has_recursion, 0
	.set _ZN7rocprim17ROCPRIM_400000_NS6detail17trampoline_kernelINS0_14default_configENS1_38merge_sort_block_merge_config_selectorIxxEEZZNS1_27merge_sort_block_merge_implIS3_N6thrust23THRUST_200600_302600_NS6detail15normal_iteratorINS8_10device_ptrIxEEEESD_jNS1_19radix_merge_compareILb0ELb1ExNS0_19identity_decomposerEEEEE10hipError_tT0_T1_T2_jT3_P12ihipStream_tbPNSt15iterator_traitsISI_E10value_typeEPNSO_ISJ_E10value_typeEPSK_NS1_7vsmem_tEENKUlT_SI_SJ_SK_E_clIPxSD_S10_SD_EESH_SX_SI_SJ_SK_EUlSX_E1_NS1_11comp_targetILNS1_3genE10ELNS1_11target_archE1201ELNS1_3gpuE5ELNS1_3repE0EEENS1_36merge_oddeven_config_static_selectorELNS0_4arch9wavefront6targetE1EEEvSJ_.has_indirect_call, 0
	.section	.AMDGPU.csdata,"",@progbits
; Kernel info:
; codeLenInByte = 0
; TotalNumSgprs: 6
; NumVgprs: 0
; NumAgprs: 0
; TotalNumVgprs: 0
; ScratchSize: 0
; MemoryBound: 0
; FloatMode: 240
; IeeeMode: 1
; LDSByteSize: 0 bytes/workgroup (compile time only)
; SGPRBlocks: 0
; VGPRBlocks: 0
; NumSGPRsForWavesPerEU: 6
; NumVGPRsForWavesPerEU: 1
; AccumOffset: 4
; Occupancy: 8
; WaveLimiterHint : 0
; COMPUTE_PGM_RSRC2:SCRATCH_EN: 0
; COMPUTE_PGM_RSRC2:USER_SGPR: 2
; COMPUTE_PGM_RSRC2:TRAP_HANDLER: 0
; COMPUTE_PGM_RSRC2:TGID_X_EN: 1
; COMPUTE_PGM_RSRC2:TGID_Y_EN: 0
; COMPUTE_PGM_RSRC2:TGID_Z_EN: 0
; COMPUTE_PGM_RSRC2:TIDIG_COMP_CNT: 0
; COMPUTE_PGM_RSRC3_GFX90A:ACCUM_OFFSET: 0
; COMPUTE_PGM_RSRC3_GFX90A:TG_SPLIT: 0
	.section	.text._ZN7rocprim17ROCPRIM_400000_NS6detail17trampoline_kernelINS0_14default_configENS1_38merge_sort_block_merge_config_selectorIxxEEZZNS1_27merge_sort_block_merge_implIS3_N6thrust23THRUST_200600_302600_NS6detail15normal_iteratorINS8_10device_ptrIxEEEESD_jNS1_19radix_merge_compareILb0ELb1ExNS0_19identity_decomposerEEEEE10hipError_tT0_T1_T2_jT3_P12ihipStream_tbPNSt15iterator_traitsISI_E10value_typeEPNSO_ISJ_E10value_typeEPSK_NS1_7vsmem_tEENKUlT_SI_SJ_SK_E_clIPxSD_S10_SD_EESH_SX_SI_SJ_SK_EUlSX_E1_NS1_11comp_targetILNS1_3genE5ELNS1_11target_archE942ELNS1_3gpuE9ELNS1_3repE0EEENS1_36merge_oddeven_config_static_selectorELNS0_4arch9wavefront6targetE1EEEvSJ_,"axG",@progbits,_ZN7rocprim17ROCPRIM_400000_NS6detail17trampoline_kernelINS0_14default_configENS1_38merge_sort_block_merge_config_selectorIxxEEZZNS1_27merge_sort_block_merge_implIS3_N6thrust23THRUST_200600_302600_NS6detail15normal_iteratorINS8_10device_ptrIxEEEESD_jNS1_19radix_merge_compareILb0ELb1ExNS0_19identity_decomposerEEEEE10hipError_tT0_T1_T2_jT3_P12ihipStream_tbPNSt15iterator_traitsISI_E10value_typeEPNSO_ISJ_E10value_typeEPSK_NS1_7vsmem_tEENKUlT_SI_SJ_SK_E_clIPxSD_S10_SD_EESH_SX_SI_SJ_SK_EUlSX_E1_NS1_11comp_targetILNS1_3genE5ELNS1_11target_archE942ELNS1_3gpuE9ELNS1_3repE0EEENS1_36merge_oddeven_config_static_selectorELNS0_4arch9wavefront6targetE1EEEvSJ_,comdat
	.protected	_ZN7rocprim17ROCPRIM_400000_NS6detail17trampoline_kernelINS0_14default_configENS1_38merge_sort_block_merge_config_selectorIxxEEZZNS1_27merge_sort_block_merge_implIS3_N6thrust23THRUST_200600_302600_NS6detail15normal_iteratorINS8_10device_ptrIxEEEESD_jNS1_19radix_merge_compareILb0ELb1ExNS0_19identity_decomposerEEEEE10hipError_tT0_T1_T2_jT3_P12ihipStream_tbPNSt15iterator_traitsISI_E10value_typeEPNSO_ISJ_E10value_typeEPSK_NS1_7vsmem_tEENKUlT_SI_SJ_SK_E_clIPxSD_S10_SD_EESH_SX_SI_SJ_SK_EUlSX_E1_NS1_11comp_targetILNS1_3genE5ELNS1_11target_archE942ELNS1_3gpuE9ELNS1_3repE0EEENS1_36merge_oddeven_config_static_selectorELNS0_4arch9wavefront6targetE1EEEvSJ_ ; -- Begin function _ZN7rocprim17ROCPRIM_400000_NS6detail17trampoline_kernelINS0_14default_configENS1_38merge_sort_block_merge_config_selectorIxxEEZZNS1_27merge_sort_block_merge_implIS3_N6thrust23THRUST_200600_302600_NS6detail15normal_iteratorINS8_10device_ptrIxEEEESD_jNS1_19radix_merge_compareILb0ELb1ExNS0_19identity_decomposerEEEEE10hipError_tT0_T1_T2_jT3_P12ihipStream_tbPNSt15iterator_traitsISI_E10value_typeEPNSO_ISJ_E10value_typeEPSK_NS1_7vsmem_tEENKUlT_SI_SJ_SK_E_clIPxSD_S10_SD_EESH_SX_SI_SJ_SK_EUlSX_E1_NS1_11comp_targetILNS1_3genE5ELNS1_11target_archE942ELNS1_3gpuE9ELNS1_3repE0EEENS1_36merge_oddeven_config_static_selectorELNS0_4arch9wavefront6targetE1EEEvSJ_
	.globl	_ZN7rocprim17ROCPRIM_400000_NS6detail17trampoline_kernelINS0_14default_configENS1_38merge_sort_block_merge_config_selectorIxxEEZZNS1_27merge_sort_block_merge_implIS3_N6thrust23THRUST_200600_302600_NS6detail15normal_iteratorINS8_10device_ptrIxEEEESD_jNS1_19radix_merge_compareILb0ELb1ExNS0_19identity_decomposerEEEEE10hipError_tT0_T1_T2_jT3_P12ihipStream_tbPNSt15iterator_traitsISI_E10value_typeEPNSO_ISJ_E10value_typeEPSK_NS1_7vsmem_tEENKUlT_SI_SJ_SK_E_clIPxSD_S10_SD_EESH_SX_SI_SJ_SK_EUlSX_E1_NS1_11comp_targetILNS1_3genE5ELNS1_11target_archE942ELNS1_3gpuE9ELNS1_3repE0EEENS1_36merge_oddeven_config_static_selectorELNS0_4arch9wavefront6targetE1EEEvSJ_
	.p2align	8
	.type	_ZN7rocprim17ROCPRIM_400000_NS6detail17trampoline_kernelINS0_14default_configENS1_38merge_sort_block_merge_config_selectorIxxEEZZNS1_27merge_sort_block_merge_implIS3_N6thrust23THRUST_200600_302600_NS6detail15normal_iteratorINS8_10device_ptrIxEEEESD_jNS1_19radix_merge_compareILb0ELb1ExNS0_19identity_decomposerEEEEE10hipError_tT0_T1_T2_jT3_P12ihipStream_tbPNSt15iterator_traitsISI_E10value_typeEPNSO_ISJ_E10value_typeEPSK_NS1_7vsmem_tEENKUlT_SI_SJ_SK_E_clIPxSD_S10_SD_EESH_SX_SI_SJ_SK_EUlSX_E1_NS1_11comp_targetILNS1_3genE5ELNS1_11target_archE942ELNS1_3gpuE9ELNS1_3repE0EEENS1_36merge_oddeven_config_static_selectorELNS0_4arch9wavefront6targetE1EEEvSJ_,@function
_ZN7rocprim17ROCPRIM_400000_NS6detail17trampoline_kernelINS0_14default_configENS1_38merge_sort_block_merge_config_selectorIxxEEZZNS1_27merge_sort_block_merge_implIS3_N6thrust23THRUST_200600_302600_NS6detail15normal_iteratorINS8_10device_ptrIxEEEESD_jNS1_19radix_merge_compareILb0ELb1ExNS0_19identity_decomposerEEEEE10hipError_tT0_T1_T2_jT3_P12ihipStream_tbPNSt15iterator_traitsISI_E10value_typeEPNSO_ISJ_E10value_typeEPSK_NS1_7vsmem_tEENKUlT_SI_SJ_SK_E_clIPxSD_S10_SD_EESH_SX_SI_SJ_SK_EUlSX_E1_NS1_11comp_targetILNS1_3genE5ELNS1_11target_archE942ELNS1_3gpuE9ELNS1_3repE0EEENS1_36merge_oddeven_config_static_selectorELNS0_4arch9wavefront6targetE1EEEvSJ_: ; @_ZN7rocprim17ROCPRIM_400000_NS6detail17trampoline_kernelINS0_14default_configENS1_38merge_sort_block_merge_config_selectorIxxEEZZNS1_27merge_sort_block_merge_implIS3_N6thrust23THRUST_200600_302600_NS6detail15normal_iteratorINS8_10device_ptrIxEEEESD_jNS1_19radix_merge_compareILb0ELb1ExNS0_19identity_decomposerEEEEE10hipError_tT0_T1_T2_jT3_P12ihipStream_tbPNSt15iterator_traitsISI_E10value_typeEPNSO_ISJ_E10value_typeEPSK_NS1_7vsmem_tEENKUlT_SI_SJ_SK_E_clIPxSD_S10_SD_EESH_SX_SI_SJ_SK_EUlSX_E1_NS1_11comp_targetILNS1_3genE5ELNS1_11target_archE942ELNS1_3gpuE9ELNS1_3repE0EEENS1_36merge_oddeven_config_static_selectorELNS0_4arch9wavefront6targetE1EEEvSJ_
; %bb.0:
	.section	.rodata,"a",@progbits
	.p2align	6, 0x0
	.amdhsa_kernel _ZN7rocprim17ROCPRIM_400000_NS6detail17trampoline_kernelINS0_14default_configENS1_38merge_sort_block_merge_config_selectorIxxEEZZNS1_27merge_sort_block_merge_implIS3_N6thrust23THRUST_200600_302600_NS6detail15normal_iteratorINS8_10device_ptrIxEEEESD_jNS1_19radix_merge_compareILb0ELb1ExNS0_19identity_decomposerEEEEE10hipError_tT0_T1_T2_jT3_P12ihipStream_tbPNSt15iterator_traitsISI_E10value_typeEPNSO_ISJ_E10value_typeEPSK_NS1_7vsmem_tEENKUlT_SI_SJ_SK_E_clIPxSD_S10_SD_EESH_SX_SI_SJ_SK_EUlSX_E1_NS1_11comp_targetILNS1_3genE5ELNS1_11target_archE942ELNS1_3gpuE9ELNS1_3repE0EEENS1_36merge_oddeven_config_static_selectorELNS0_4arch9wavefront6targetE1EEEvSJ_
		.amdhsa_group_segment_fixed_size 0
		.amdhsa_private_segment_fixed_size 0
		.amdhsa_kernarg_size 48
		.amdhsa_user_sgpr_count 2
		.amdhsa_user_sgpr_dispatch_ptr 0
		.amdhsa_user_sgpr_queue_ptr 0
		.amdhsa_user_sgpr_kernarg_segment_ptr 1
		.amdhsa_user_sgpr_dispatch_id 0
		.amdhsa_user_sgpr_kernarg_preload_length 0
		.amdhsa_user_sgpr_kernarg_preload_offset 0
		.amdhsa_user_sgpr_private_segment_size 0
		.amdhsa_uses_dynamic_stack 0
		.amdhsa_enable_private_segment 0
		.amdhsa_system_sgpr_workgroup_id_x 1
		.amdhsa_system_sgpr_workgroup_id_y 0
		.amdhsa_system_sgpr_workgroup_id_z 0
		.amdhsa_system_sgpr_workgroup_info 0
		.amdhsa_system_vgpr_workitem_id 0
		.amdhsa_next_free_vgpr 1
		.amdhsa_next_free_sgpr 0
		.amdhsa_accum_offset 4
		.amdhsa_reserve_vcc 0
		.amdhsa_float_round_mode_32 0
		.amdhsa_float_round_mode_16_64 0
		.amdhsa_float_denorm_mode_32 3
		.amdhsa_float_denorm_mode_16_64 3
		.amdhsa_dx10_clamp 1
		.amdhsa_ieee_mode 1
		.amdhsa_fp16_overflow 0
		.amdhsa_tg_split 0
		.amdhsa_exception_fp_ieee_invalid_op 0
		.amdhsa_exception_fp_denorm_src 0
		.amdhsa_exception_fp_ieee_div_zero 0
		.amdhsa_exception_fp_ieee_overflow 0
		.amdhsa_exception_fp_ieee_underflow 0
		.amdhsa_exception_fp_ieee_inexact 0
		.amdhsa_exception_int_div_zero 0
	.end_amdhsa_kernel
	.section	.text._ZN7rocprim17ROCPRIM_400000_NS6detail17trampoline_kernelINS0_14default_configENS1_38merge_sort_block_merge_config_selectorIxxEEZZNS1_27merge_sort_block_merge_implIS3_N6thrust23THRUST_200600_302600_NS6detail15normal_iteratorINS8_10device_ptrIxEEEESD_jNS1_19radix_merge_compareILb0ELb1ExNS0_19identity_decomposerEEEEE10hipError_tT0_T1_T2_jT3_P12ihipStream_tbPNSt15iterator_traitsISI_E10value_typeEPNSO_ISJ_E10value_typeEPSK_NS1_7vsmem_tEENKUlT_SI_SJ_SK_E_clIPxSD_S10_SD_EESH_SX_SI_SJ_SK_EUlSX_E1_NS1_11comp_targetILNS1_3genE5ELNS1_11target_archE942ELNS1_3gpuE9ELNS1_3repE0EEENS1_36merge_oddeven_config_static_selectorELNS0_4arch9wavefront6targetE1EEEvSJ_,"axG",@progbits,_ZN7rocprim17ROCPRIM_400000_NS6detail17trampoline_kernelINS0_14default_configENS1_38merge_sort_block_merge_config_selectorIxxEEZZNS1_27merge_sort_block_merge_implIS3_N6thrust23THRUST_200600_302600_NS6detail15normal_iteratorINS8_10device_ptrIxEEEESD_jNS1_19radix_merge_compareILb0ELb1ExNS0_19identity_decomposerEEEEE10hipError_tT0_T1_T2_jT3_P12ihipStream_tbPNSt15iterator_traitsISI_E10value_typeEPNSO_ISJ_E10value_typeEPSK_NS1_7vsmem_tEENKUlT_SI_SJ_SK_E_clIPxSD_S10_SD_EESH_SX_SI_SJ_SK_EUlSX_E1_NS1_11comp_targetILNS1_3genE5ELNS1_11target_archE942ELNS1_3gpuE9ELNS1_3repE0EEENS1_36merge_oddeven_config_static_selectorELNS0_4arch9wavefront6targetE1EEEvSJ_,comdat
.Lfunc_end1140:
	.size	_ZN7rocprim17ROCPRIM_400000_NS6detail17trampoline_kernelINS0_14default_configENS1_38merge_sort_block_merge_config_selectorIxxEEZZNS1_27merge_sort_block_merge_implIS3_N6thrust23THRUST_200600_302600_NS6detail15normal_iteratorINS8_10device_ptrIxEEEESD_jNS1_19radix_merge_compareILb0ELb1ExNS0_19identity_decomposerEEEEE10hipError_tT0_T1_T2_jT3_P12ihipStream_tbPNSt15iterator_traitsISI_E10value_typeEPNSO_ISJ_E10value_typeEPSK_NS1_7vsmem_tEENKUlT_SI_SJ_SK_E_clIPxSD_S10_SD_EESH_SX_SI_SJ_SK_EUlSX_E1_NS1_11comp_targetILNS1_3genE5ELNS1_11target_archE942ELNS1_3gpuE9ELNS1_3repE0EEENS1_36merge_oddeven_config_static_selectorELNS0_4arch9wavefront6targetE1EEEvSJ_, .Lfunc_end1140-_ZN7rocprim17ROCPRIM_400000_NS6detail17trampoline_kernelINS0_14default_configENS1_38merge_sort_block_merge_config_selectorIxxEEZZNS1_27merge_sort_block_merge_implIS3_N6thrust23THRUST_200600_302600_NS6detail15normal_iteratorINS8_10device_ptrIxEEEESD_jNS1_19radix_merge_compareILb0ELb1ExNS0_19identity_decomposerEEEEE10hipError_tT0_T1_T2_jT3_P12ihipStream_tbPNSt15iterator_traitsISI_E10value_typeEPNSO_ISJ_E10value_typeEPSK_NS1_7vsmem_tEENKUlT_SI_SJ_SK_E_clIPxSD_S10_SD_EESH_SX_SI_SJ_SK_EUlSX_E1_NS1_11comp_targetILNS1_3genE5ELNS1_11target_archE942ELNS1_3gpuE9ELNS1_3repE0EEENS1_36merge_oddeven_config_static_selectorELNS0_4arch9wavefront6targetE1EEEvSJ_
                                        ; -- End function
	.set _ZN7rocprim17ROCPRIM_400000_NS6detail17trampoline_kernelINS0_14default_configENS1_38merge_sort_block_merge_config_selectorIxxEEZZNS1_27merge_sort_block_merge_implIS3_N6thrust23THRUST_200600_302600_NS6detail15normal_iteratorINS8_10device_ptrIxEEEESD_jNS1_19radix_merge_compareILb0ELb1ExNS0_19identity_decomposerEEEEE10hipError_tT0_T1_T2_jT3_P12ihipStream_tbPNSt15iterator_traitsISI_E10value_typeEPNSO_ISJ_E10value_typeEPSK_NS1_7vsmem_tEENKUlT_SI_SJ_SK_E_clIPxSD_S10_SD_EESH_SX_SI_SJ_SK_EUlSX_E1_NS1_11comp_targetILNS1_3genE5ELNS1_11target_archE942ELNS1_3gpuE9ELNS1_3repE0EEENS1_36merge_oddeven_config_static_selectorELNS0_4arch9wavefront6targetE1EEEvSJ_.num_vgpr, 0
	.set _ZN7rocprim17ROCPRIM_400000_NS6detail17trampoline_kernelINS0_14default_configENS1_38merge_sort_block_merge_config_selectorIxxEEZZNS1_27merge_sort_block_merge_implIS3_N6thrust23THRUST_200600_302600_NS6detail15normal_iteratorINS8_10device_ptrIxEEEESD_jNS1_19radix_merge_compareILb0ELb1ExNS0_19identity_decomposerEEEEE10hipError_tT0_T1_T2_jT3_P12ihipStream_tbPNSt15iterator_traitsISI_E10value_typeEPNSO_ISJ_E10value_typeEPSK_NS1_7vsmem_tEENKUlT_SI_SJ_SK_E_clIPxSD_S10_SD_EESH_SX_SI_SJ_SK_EUlSX_E1_NS1_11comp_targetILNS1_3genE5ELNS1_11target_archE942ELNS1_3gpuE9ELNS1_3repE0EEENS1_36merge_oddeven_config_static_selectorELNS0_4arch9wavefront6targetE1EEEvSJ_.num_agpr, 0
	.set _ZN7rocprim17ROCPRIM_400000_NS6detail17trampoline_kernelINS0_14default_configENS1_38merge_sort_block_merge_config_selectorIxxEEZZNS1_27merge_sort_block_merge_implIS3_N6thrust23THRUST_200600_302600_NS6detail15normal_iteratorINS8_10device_ptrIxEEEESD_jNS1_19radix_merge_compareILb0ELb1ExNS0_19identity_decomposerEEEEE10hipError_tT0_T1_T2_jT3_P12ihipStream_tbPNSt15iterator_traitsISI_E10value_typeEPNSO_ISJ_E10value_typeEPSK_NS1_7vsmem_tEENKUlT_SI_SJ_SK_E_clIPxSD_S10_SD_EESH_SX_SI_SJ_SK_EUlSX_E1_NS1_11comp_targetILNS1_3genE5ELNS1_11target_archE942ELNS1_3gpuE9ELNS1_3repE0EEENS1_36merge_oddeven_config_static_selectorELNS0_4arch9wavefront6targetE1EEEvSJ_.numbered_sgpr, 0
	.set _ZN7rocprim17ROCPRIM_400000_NS6detail17trampoline_kernelINS0_14default_configENS1_38merge_sort_block_merge_config_selectorIxxEEZZNS1_27merge_sort_block_merge_implIS3_N6thrust23THRUST_200600_302600_NS6detail15normal_iteratorINS8_10device_ptrIxEEEESD_jNS1_19radix_merge_compareILb0ELb1ExNS0_19identity_decomposerEEEEE10hipError_tT0_T1_T2_jT3_P12ihipStream_tbPNSt15iterator_traitsISI_E10value_typeEPNSO_ISJ_E10value_typeEPSK_NS1_7vsmem_tEENKUlT_SI_SJ_SK_E_clIPxSD_S10_SD_EESH_SX_SI_SJ_SK_EUlSX_E1_NS1_11comp_targetILNS1_3genE5ELNS1_11target_archE942ELNS1_3gpuE9ELNS1_3repE0EEENS1_36merge_oddeven_config_static_selectorELNS0_4arch9wavefront6targetE1EEEvSJ_.num_named_barrier, 0
	.set _ZN7rocprim17ROCPRIM_400000_NS6detail17trampoline_kernelINS0_14default_configENS1_38merge_sort_block_merge_config_selectorIxxEEZZNS1_27merge_sort_block_merge_implIS3_N6thrust23THRUST_200600_302600_NS6detail15normal_iteratorINS8_10device_ptrIxEEEESD_jNS1_19radix_merge_compareILb0ELb1ExNS0_19identity_decomposerEEEEE10hipError_tT0_T1_T2_jT3_P12ihipStream_tbPNSt15iterator_traitsISI_E10value_typeEPNSO_ISJ_E10value_typeEPSK_NS1_7vsmem_tEENKUlT_SI_SJ_SK_E_clIPxSD_S10_SD_EESH_SX_SI_SJ_SK_EUlSX_E1_NS1_11comp_targetILNS1_3genE5ELNS1_11target_archE942ELNS1_3gpuE9ELNS1_3repE0EEENS1_36merge_oddeven_config_static_selectorELNS0_4arch9wavefront6targetE1EEEvSJ_.private_seg_size, 0
	.set _ZN7rocprim17ROCPRIM_400000_NS6detail17trampoline_kernelINS0_14default_configENS1_38merge_sort_block_merge_config_selectorIxxEEZZNS1_27merge_sort_block_merge_implIS3_N6thrust23THRUST_200600_302600_NS6detail15normal_iteratorINS8_10device_ptrIxEEEESD_jNS1_19radix_merge_compareILb0ELb1ExNS0_19identity_decomposerEEEEE10hipError_tT0_T1_T2_jT3_P12ihipStream_tbPNSt15iterator_traitsISI_E10value_typeEPNSO_ISJ_E10value_typeEPSK_NS1_7vsmem_tEENKUlT_SI_SJ_SK_E_clIPxSD_S10_SD_EESH_SX_SI_SJ_SK_EUlSX_E1_NS1_11comp_targetILNS1_3genE5ELNS1_11target_archE942ELNS1_3gpuE9ELNS1_3repE0EEENS1_36merge_oddeven_config_static_selectorELNS0_4arch9wavefront6targetE1EEEvSJ_.uses_vcc, 0
	.set _ZN7rocprim17ROCPRIM_400000_NS6detail17trampoline_kernelINS0_14default_configENS1_38merge_sort_block_merge_config_selectorIxxEEZZNS1_27merge_sort_block_merge_implIS3_N6thrust23THRUST_200600_302600_NS6detail15normal_iteratorINS8_10device_ptrIxEEEESD_jNS1_19radix_merge_compareILb0ELb1ExNS0_19identity_decomposerEEEEE10hipError_tT0_T1_T2_jT3_P12ihipStream_tbPNSt15iterator_traitsISI_E10value_typeEPNSO_ISJ_E10value_typeEPSK_NS1_7vsmem_tEENKUlT_SI_SJ_SK_E_clIPxSD_S10_SD_EESH_SX_SI_SJ_SK_EUlSX_E1_NS1_11comp_targetILNS1_3genE5ELNS1_11target_archE942ELNS1_3gpuE9ELNS1_3repE0EEENS1_36merge_oddeven_config_static_selectorELNS0_4arch9wavefront6targetE1EEEvSJ_.uses_flat_scratch, 0
	.set _ZN7rocprim17ROCPRIM_400000_NS6detail17trampoline_kernelINS0_14default_configENS1_38merge_sort_block_merge_config_selectorIxxEEZZNS1_27merge_sort_block_merge_implIS3_N6thrust23THRUST_200600_302600_NS6detail15normal_iteratorINS8_10device_ptrIxEEEESD_jNS1_19radix_merge_compareILb0ELb1ExNS0_19identity_decomposerEEEEE10hipError_tT0_T1_T2_jT3_P12ihipStream_tbPNSt15iterator_traitsISI_E10value_typeEPNSO_ISJ_E10value_typeEPSK_NS1_7vsmem_tEENKUlT_SI_SJ_SK_E_clIPxSD_S10_SD_EESH_SX_SI_SJ_SK_EUlSX_E1_NS1_11comp_targetILNS1_3genE5ELNS1_11target_archE942ELNS1_3gpuE9ELNS1_3repE0EEENS1_36merge_oddeven_config_static_selectorELNS0_4arch9wavefront6targetE1EEEvSJ_.has_dyn_sized_stack, 0
	.set _ZN7rocprim17ROCPRIM_400000_NS6detail17trampoline_kernelINS0_14default_configENS1_38merge_sort_block_merge_config_selectorIxxEEZZNS1_27merge_sort_block_merge_implIS3_N6thrust23THRUST_200600_302600_NS6detail15normal_iteratorINS8_10device_ptrIxEEEESD_jNS1_19radix_merge_compareILb0ELb1ExNS0_19identity_decomposerEEEEE10hipError_tT0_T1_T2_jT3_P12ihipStream_tbPNSt15iterator_traitsISI_E10value_typeEPNSO_ISJ_E10value_typeEPSK_NS1_7vsmem_tEENKUlT_SI_SJ_SK_E_clIPxSD_S10_SD_EESH_SX_SI_SJ_SK_EUlSX_E1_NS1_11comp_targetILNS1_3genE5ELNS1_11target_archE942ELNS1_3gpuE9ELNS1_3repE0EEENS1_36merge_oddeven_config_static_selectorELNS0_4arch9wavefront6targetE1EEEvSJ_.has_recursion, 0
	.set _ZN7rocprim17ROCPRIM_400000_NS6detail17trampoline_kernelINS0_14default_configENS1_38merge_sort_block_merge_config_selectorIxxEEZZNS1_27merge_sort_block_merge_implIS3_N6thrust23THRUST_200600_302600_NS6detail15normal_iteratorINS8_10device_ptrIxEEEESD_jNS1_19radix_merge_compareILb0ELb1ExNS0_19identity_decomposerEEEEE10hipError_tT0_T1_T2_jT3_P12ihipStream_tbPNSt15iterator_traitsISI_E10value_typeEPNSO_ISJ_E10value_typeEPSK_NS1_7vsmem_tEENKUlT_SI_SJ_SK_E_clIPxSD_S10_SD_EESH_SX_SI_SJ_SK_EUlSX_E1_NS1_11comp_targetILNS1_3genE5ELNS1_11target_archE942ELNS1_3gpuE9ELNS1_3repE0EEENS1_36merge_oddeven_config_static_selectorELNS0_4arch9wavefront6targetE1EEEvSJ_.has_indirect_call, 0
	.section	.AMDGPU.csdata,"",@progbits
; Kernel info:
; codeLenInByte = 0
; TotalNumSgprs: 6
; NumVgprs: 0
; NumAgprs: 0
; TotalNumVgprs: 0
; ScratchSize: 0
; MemoryBound: 0
; FloatMode: 240
; IeeeMode: 1
; LDSByteSize: 0 bytes/workgroup (compile time only)
; SGPRBlocks: 0
; VGPRBlocks: 0
; NumSGPRsForWavesPerEU: 6
; NumVGPRsForWavesPerEU: 1
; AccumOffset: 4
; Occupancy: 8
; WaveLimiterHint : 0
; COMPUTE_PGM_RSRC2:SCRATCH_EN: 0
; COMPUTE_PGM_RSRC2:USER_SGPR: 2
; COMPUTE_PGM_RSRC2:TRAP_HANDLER: 0
; COMPUTE_PGM_RSRC2:TGID_X_EN: 1
; COMPUTE_PGM_RSRC2:TGID_Y_EN: 0
; COMPUTE_PGM_RSRC2:TGID_Z_EN: 0
; COMPUTE_PGM_RSRC2:TIDIG_COMP_CNT: 0
; COMPUTE_PGM_RSRC3_GFX90A:ACCUM_OFFSET: 0
; COMPUTE_PGM_RSRC3_GFX90A:TG_SPLIT: 0
	.section	.text._ZN7rocprim17ROCPRIM_400000_NS6detail17trampoline_kernelINS0_14default_configENS1_38merge_sort_block_merge_config_selectorIxxEEZZNS1_27merge_sort_block_merge_implIS3_N6thrust23THRUST_200600_302600_NS6detail15normal_iteratorINS8_10device_ptrIxEEEESD_jNS1_19radix_merge_compareILb0ELb1ExNS0_19identity_decomposerEEEEE10hipError_tT0_T1_T2_jT3_P12ihipStream_tbPNSt15iterator_traitsISI_E10value_typeEPNSO_ISJ_E10value_typeEPSK_NS1_7vsmem_tEENKUlT_SI_SJ_SK_E_clIPxSD_S10_SD_EESH_SX_SI_SJ_SK_EUlSX_E1_NS1_11comp_targetILNS1_3genE4ELNS1_11target_archE910ELNS1_3gpuE8ELNS1_3repE0EEENS1_36merge_oddeven_config_static_selectorELNS0_4arch9wavefront6targetE1EEEvSJ_,"axG",@progbits,_ZN7rocprim17ROCPRIM_400000_NS6detail17trampoline_kernelINS0_14default_configENS1_38merge_sort_block_merge_config_selectorIxxEEZZNS1_27merge_sort_block_merge_implIS3_N6thrust23THRUST_200600_302600_NS6detail15normal_iteratorINS8_10device_ptrIxEEEESD_jNS1_19radix_merge_compareILb0ELb1ExNS0_19identity_decomposerEEEEE10hipError_tT0_T1_T2_jT3_P12ihipStream_tbPNSt15iterator_traitsISI_E10value_typeEPNSO_ISJ_E10value_typeEPSK_NS1_7vsmem_tEENKUlT_SI_SJ_SK_E_clIPxSD_S10_SD_EESH_SX_SI_SJ_SK_EUlSX_E1_NS1_11comp_targetILNS1_3genE4ELNS1_11target_archE910ELNS1_3gpuE8ELNS1_3repE0EEENS1_36merge_oddeven_config_static_selectorELNS0_4arch9wavefront6targetE1EEEvSJ_,comdat
	.protected	_ZN7rocprim17ROCPRIM_400000_NS6detail17trampoline_kernelINS0_14default_configENS1_38merge_sort_block_merge_config_selectorIxxEEZZNS1_27merge_sort_block_merge_implIS3_N6thrust23THRUST_200600_302600_NS6detail15normal_iteratorINS8_10device_ptrIxEEEESD_jNS1_19radix_merge_compareILb0ELb1ExNS0_19identity_decomposerEEEEE10hipError_tT0_T1_T2_jT3_P12ihipStream_tbPNSt15iterator_traitsISI_E10value_typeEPNSO_ISJ_E10value_typeEPSK_NS1_7vsmem_tEENKUlT_SI_SJ_SK_E_clIPxSD_S10_SD_EESH_SX_SI_SJ_SK_EUlSX_E1_NS1_11comp_targetILNS1_3genE4ELNS1_11target_archE910ELNS1_3gpuE8ELNS1_3repE0EEENS1_36merge_oddeven_config_static_selectorELNS0_4arch9wavefront6targetE1EEEvSJ_ ; -- Begin function _ZN7rocprim17ROCPRIM_400000_NS6detail17trampoline_kernelINS0_14default_configENS1_38merge_sort_block_merge_config_selectorIxxEEZZNS1_27merge_sort_block_merge_implIS3_N6thrust23THRUST_200600_302600_NS6detail15normal_iteratorINS8_10device_ptrIxEEEESD_jNS1_19radix_merge_compareILb0ELb1ExNS0_19identity_decomposerEEEEE10hipError_tT0_T1_T2_jT3_P12ihipStream_tbPNSt15iterator_traitsISI_E10value_typeEPNSO_ISJ_E10value_typeEPSK_NS1_7vsmem_tEENKUlT_SI_SJ_SK_E_clIPxSD_S10_SD_EESH_SX_SI_SJ_SK_EUlSX_E1_NS1_11comp_targetILNS1_3genE4ELNS1_11target_archE910ELNS1_3gpuE8ELNS1_3repE0EEENS1_36merge_oddeven_config_static_selectorELNS0_4arch9wavefront6targetE1EEEvSJ_
	.globl	_ZN7rocprim17ROCPRIM_400000_NS6detail17trampoline_kernelINS0_14default_configENS1_38merge_sort_block_merge_config_selectorIxxEEZZNS1_27merge_sort_block_merge_implIS3_N6thrust23THRUST_200600_302600_NS6detail15normal_iteratorINS8_10device_ptrIxEEEESD_jNS1_19radix_merge_compareILb0ELb1ExNS0_19identity_decomposerEEEEE10hipError_tT0_T1_T2_jT3_P12ihipStream_tbPNSt15iterator_traitsISI_E10value_typeEPNSO_ISJ_E10value_typeEPSK_NS1_7vsmem_tEENKUlT_SI_SJ_SK_E_clIPxSD_S10_SD_EESH_SX_SI_SJ_SK_EUlSX_E1_NS1_11comp_targetILNS1_3genE4ELNS1_11target_archE910ELNS1_3gpuE8ELNS1_3repE0EEENS1_36merge_oddeven_config_static_selectorELNS0_4arch9wavefront6targetE1EEEvSJ_
	.p2align	8
	.type	_ZN7rocprim17ROCPRIM_400000_NS6detail17trampoline_kernelINS0_14default_configENS1_38merge_sort_block_merge_config_selectorIxxEEZZNS1_27merge_sort_block_merge_implIS3_N6thrust23THRUST_200600_302600_NS6detail15normal_iteratorINS8_10device_ptrIxEEEESD_jNS1_19radix_merge_compareILb0ELb1ExNS0_19identity_decomposerEEEEE10hipError_tT0_T1_T2_jT3_P12ihipStream_tbPNSt15iterator_traitsISI_E10value_typeEPNSO_ISJ_E10value_typeEPSK_NS1_7vsmem_tEENKUlT_SI_SJ_SK_E_clIPxSD_S10_SD_EESH_SX_SI_SJ_SK_EUlSX_E1_NS1_11comp_targetILNS1_3genE4ELNS1_11target_archE910ELNS1_3gpuE8ELNS1_3repE0EEENS1_36merge_oddeven_config_static_selectorELNS0_4arch9wavefront6targetE1EEEvSJ_,@function
_ZN7rocprim17ROCPRIM_400000_NS6detail17trampoline_kernelINS0_14default_configENS1_38merge_sort_block_merge_config_selectorIxxEEZZNS1_27merge_sort_block_merge_implIS3_N6thrust23THRUST_200600_302600_NS6detail15normal_iteratorINS8_10device_ptrIxEEEESD_jNS1_19radix_merge_compareILb0ELb1ExNS0_19identity_decomposerEEEEE10hipError_tT0_T1_T2_jT3_P12ihipStream_tbPNSt15iterator_traitsISI_E10value_typeEPNSO_ISJ_E10value_typeEPSK_NS1_7vsmem_tEENKUlT_SI_SJ_SK_E_clIPxSD_S10_SD_EESH_SX_SI_SJ_SK_EUlSX_E1_NS1_11comp_targetILNS1_3genE4ELNS1_11target_archE910ELNS1_3gpuE8ELNS1_3repE0EEENS1_36merge_oddeven_config_static_selectorELNS0_4arch9wavefront6targetE1EEEvSJ_: ; @_ZN7rocprim17ROCPRIM_400000_NS6detail17trampoline_kernelINS0_14default_configENS1_38merge_sort_block_merge_config_selectorIxxEEZZNS1_27merge_sort_block_merge_implIS3_N6thrust23THRUST_200600_302600_NS6detail15normal_iteratorINS8_10device_ptrIxEEEESD_jNS1_19radix_merge_compareILb0ELb1ExNS0_19identity_decomposerEEEEE10hipError_tT0_T1_T2_jT3_P12ihipStream_tbPNSt15iterator_traitsISI_E10value_typeEPNSO_ISJ_E10value_typeEPSK_NS1_7vsmem_tEENKUlT_SI_SJ_SK_E_clIPxSD_S10_SD_EESH_SX_SI_SJ_SK_EUlSX_E1_NS1_11comp_targetILNS1_3genE4ELNS1_11target_archE910ELNS1_3gpuE8ELNS1_3repE0EEENS1_36merge_oddeven_config_static_selectorELNS0_4arch9wavefront6targetE1EEEvSJ_
; %bb.0:
	.section	.rodata,"a",@progbits
	.p2align	6, 0x0
	.amdhsa_kernel _ZN7rocprim17ROCPRIM_400000_NS6detail17trampoline_kernelINS0_14default_configENS1_38merge_sort_block_merge_config_selectorIxxEEZZNS1_27merge_sort_block_merge_implIS3_N6thrust23THRUST_200600_302600_NS6detail15normal_iteratorINS8_10device_ptrIxEEEESD_jNS1_19radix_merge_compareILb0ELb1ExNS0_19identity_decomposerEEEEE10hipError_tT0_T1_T2_jT3_P12ihipStream_tbPNSt15iterator_traitsISI_E10value_typeEPNSO_ISJ_E10value_typeEPSK_NS1_7vsmem_tEENKUlT_SI_SJ_SK_E_clIPxSD_S10_SD_EESH_SX_SI_SJ_SK_EUlSX_E1_NS1_11comp_targetILNS1_3genE4ELNS1_11target_archE910ELNS1_3gpuE8ELNS1_3repE0EEENS1_36merge_oddeven_config_static_selectorELNS0_4arch9wavefront6targetE1EEEvSJ_
		.amdhsa_group_segment_fixed_size 0
		.amdhsa_private_segment_fixed_size 0
		.amdhsa_kernarg_size 48
		.amdhsa_user_sgpr_count 2
		.amdhsa_user_sgpr_dispatch_ptr 0
		.amdhsa_user_sgpr_queue_ptr 0
		.amdhsa_user_sgpr_kernarg_segment_ptr 1
		.amdhsa_user_sgpr_dispatch_id 0
		.amdhsa_user_sgpr_kernarg_preload_length 0
		.amdhsa_user_sgpr_kernarg_preload_offset 0
		.amdhsa_user_sgpr_private_segment_size 0
		.amdhsa_uses_dynamic_stack 0
		.amdhsa_enable_private_segment 0
		.amdhsa_system_sgpr_workgroup_id_x 1
		.amdhsa_system_sgpr_workgroup_id_y 0
		.amdhsa_system_sgpr_workgroup_id_z 0
		.amdhsa_system_sgpr_workgroup_info 0
		.amdhsa_system_vgpr_workitem_id 0
		.amdhsa_next_free_vgpr 1
		.amdhsa_next_free_sgpr 0
		.amdhsa_accum_offset 4
		.amdhsa_reserve_vcc 0
		.amdhsa_float_round_mode_32 0
		.amdhsa_float_round_mode_16_64 0
		.amdhsa_float_denorm_mode_32 3
		.amdhsa_float_denorm_mode_16_64 3
		.amdhsa_dx10_clamp 1
		.amdhsa_ieee_mode 1
		.amdhsa_fp16_overflow 0
		.amdhsa_tg_split 0
		.amdhsa_exception_fp_ieee_invalid_op 0
		.amdhsa_exception_fp_denorm_src 0
		.amdhsa_exception_fp_ieee_div_zero 0
		.amdhsa_exception_fp_ieee_overflow 0
		.amdhsa_exception_fp_ieee_underflow 0
		.amdhsa_exception_fp_ieee_inexact 0
		.amdhsa_exception_int_div_zero 0
	.end_amdhsa_kernel
	.section	.text._ZN7rocprim17ROCPRIM_400000_NS6detail17trampoline_kernelINS0_14default_configENS1_38merge_sort_block_merge_config_selectorIxxEEZZNS1_27merge_sort_block_merge_implIS3_N6thrust23THRUST_200600_302600_NS6detail15normal_iteratorINS8_10device_ptrIxEEEESD_jNS1_19radix_merge_compareILb0ELb1ExNS0_19identity_decomposerEEEEE10hipError_tT0_T1_T2_jT3_P12ihipStream_tbPNSt15iterator_traitsISI_E10value_typeEPNSO_ISJ_E10value_typeEPSK_NS1_7vsmem_tEENKUlT_SI_SJ_SK_E_clIPxSD_S10_SD_EESH_SX_SI_SJ_SK_EUlSX_E1_NS1_11comp_targetILNS1_3genE4ELNS1_11target_archE910ELNS1_3gpuE8ELNS1_3repE0EEENS1_36merge_oddeven_config_static_selectorELNS0_4arch9wavefront6targetE1EEEvSJ_,"axG",@progbits,_ZN7rocprim17ROCPRIM_400000_NS6detail17trampoline_kernelINS0_14default_configENS1_38merge_sort_block_merge_config_selectorIxxEEZZNS1_27merge_sort_block_merge_implIS3_N6thrust23THRUST_200600_302600_NS6detail15normal_iteratorINS8_10device_ptrIxEEEESD_jNS1_19radix_merge_compareILb0ELb1ExNS0_19identity_decomposerEEEEE10hipError_tT0_T1_T2_jT3_P12ihipStream_tbPNSt15iterator_traitsISI_E10value_typeEPNSO_ISJ_E10value_typeEPSK_NS1_7vsmem_tEENKUlT_SI_SJ_SK_E_clIPxSD_S10_SD_EESH_SX_SI_SJ_SK_EUlSX_E1_NS1_11comp_targetILNS1_3genE4ELNS1_11target_archE910ELNS1_3gpuE8ELNS1_3repE0EEENS1_36merge_oddeven_config_static_selectorELNS0_4arch9wavefront6targetE1EEEvSJ_,comdat
.Lfunc_end1141:
	.size	_ZN7rocprim17ROCPRIM_400000_NS6detail17trampoline_kernelINS0_14default_configENS1_38merge_sort_block_merge_config_selectorIxxEEZZNS1_27merge_sort_block_merge_implIS3_N6thrust23THRUST_200600_302600_NS6detail15normal_iteratorINS8_10device_ptrIxEEEESD_jNS1_19radix_merge_compareILb0ELb1ExNS0_19identity_decomposerEEEEE10hipError_tT0_T1_T2_jT3_P12ihipStream_tbPNSt15iterator_traitsISI_E10value_typeEPNSO_ISJ_E10value_typeEPSK_NS1_7vsmem_tEENKUlT_SI_SJ_SK_E_clIPxSD_S10_SD_EESH_SX_SI_SJ_SK_EUlSX_E1_NS1_11comp_targetILNS1_3genE4ELNS1_11target_archE910ELNS1_3gpuE8ELNS1_3repE0EEENS1_36merge_oddeven_config_static_selectorELNS0_4arch9wavefront6targetE1EEEvSJ_, .Lfunc_end1141-_ZN7rocprim17ROCPRIM_400000_NS6detail17trampoline_kernelINS0_14default_configENS1_38merge_sort_block_merge_config_selectorIxxEEZZNS1_27merge_sort_block_merge_implIS3_N6thrust23THRUST_200600_302600_NS6detail15normal_iteratorINS8_10device_ptrIxEEEESD_jNS1_19radix_merge_compareILb0ELb1ExNS0_19identity_decomposerEEEEE10hipError_tT0_T1_T2_jT3_P12ihipStream_tbPNSt15iterator_traitsISI_E10value_typeEPNSO_ISJ_E10value_typeEPSK_NS1_7vsmem_tEENKUlT_SI_SJ_SK_E_clIPxSD_S10_SD_EESH_SX_SI_SJ_SK_EUlSX_E1_NS1_11comp_targetILNS1_3genE4ELNS1_11target_archE910ELNS1_3gpuE8ELNS1_3repE0EEENS1_36merge_oddeven_config_static_selectorELNS0_4arch9wavefront6targetE1EEEvSJ_
                                        ; -- End function
	.set _ZN7rocprim17ROCPRIM_400000_NS6detail17trampoline_kernelINS0_14default_configENS1_38merge_sort_block_merge_config_selectorIxxEEZZNS1_27merge_sort_block_merge_implIS3_N6thrust23THRUST_200600_302600_NS6detail15normal_iteratorINS8_10device_ptrIxEEEESD_jNS1_19radix_merge_compareILb0ELb1ExNS0_19identity_decomposerEEEEE10hipError_tT0_T1_T2_jT3_P12ihipStream_tbPNSt15iterator_traitsISI_E10value_typeEPNSO_ISJ_E10value_typeEPSK_NS1_7vsmem_tEENKUlT_SI_SJ_SK_E_clIPxSD_S10_SD_EESH_SX_SI_SJ_SK_EUlSX_E1_NS1_11comp_targetILNS1_3genE4ELNS1_11target_archE910ELNS1_3gpuE8ELNS1_3repE0EEENS1_36merge_oddeven_config_static_selectorELNS0_4arch9wavefront6targetE1EEEvSJ_.num_vgpr, 0
	.set _ZN7rocprim17ROCPRIM_400000_NS6detail17trampoline_kernelINS0_14default_configENS1_38merge_sort_block_merge_config_selectorIxxEEZZNS1_27merge_sort_block_merge_implIS3_N6thrust23THRUST_200600_302600_NS6detail15normal_iteratorINS8_10device_ptrIxEEEESD_jNS1_19radix_merge_compareILb0ELb1ExNS0_19identity_decomposerEEEEE10hipError_tT0_T1_T2_jT3_P12ihipStream_tbPNSt15iterator_traitsISI_E10value_typeEPNSO_ISJ_E10value_typeEPSK_NS1_7vsmem_tEENKUlT_SI_SJ_SK_E_clIPxSD_S10_SD_EESH_SX_SI_SJ_SK_EUlSX_E1_NS1_11comp_targetILNS1_3genE4ELNS1_11target_archE910ELNS1_3gpuE8ELNS1_3repE0EEENS1_36merge_oddeven_config_static_selectorELNS0_4arch9wavefront6targetE1EEEvSJ_.num_agpr, 0
	.set _ZN7rocprim17ROCPRIM_400000_NS6detail17trampoline_kernelINS0_14default_configENS1_38merge_sort_block_merge_config_selectorIxxEEZZNS1_27merge_sort_block_merge_implIS3_N6thrust23THRUST_200600_302600_NS6detail15normal_iteratorINS8_10device_ptrIxEEEESD_jNS1_19radix_merge_compareILb0ELb1ExNS0_19identity_decomposerEEEEE10hipError_tT0_T1_T2_jT3_P12ihipStream_tbPNSt15iterator_traitsISI_E10value_typeEPNSO_ISJ_E10value_typeEPSK_NS1_7vsmem_tEENKUlT_SI_SJ_SK_E_clIPxSD_S10_SD_EESH_SX_SI_SJ_SK_EUlSX_E1_NS1_11comp_targetILNS1_3genE4ELNS1_11target_archE910ELNS1_3gpuE8ELNS1_3repE0EEENS1_36merge_oddeven_config_static_selectorELNS0_4arch9wavefront6targetE1EEEvSJ_.numbered_sgpr, 0
	.set _ZN7rocprim17ROCPRIM_400000_NS6detail17trampoline_kernelINS0_14default_configENS1_38merge_sort_block_merge_config_selectorIxxEEZZNS1_27merge_sort_block_merge_implIS3_N6thrust23THRUST_200600_302600_NS6detail15normal_iteratorINS8_10device_ptrIxEEEESD_jNS1_19radix_merge_compareILb0ELb1ExNS0_19identity_decomposerEEEEE10hipError_tT0_T1_T2_jT3_P12ihipStream_tbPNSt15iterator_traitsISI_E10value_typeEPNSO_ISJ_E10value_typeEPSK_NS1_7vsmem_tEENKUlT_SI_SJ_SK_E_clIPxSD_S10_SD_EESH_SX_SI_SJ_SK_EUlSX_E1_NS1_11comp_targetILNS1_3genE4ELNS1_11target_archE910ELNS1_3gpuE8ELNS1_3repE0EEENS1_36merge_oddeven_config_static_selectorELNS0_4arch9wavefront6targetE1EEEvSJ_.num_named_barrier, 0
	.set _ZN7rocprim17ROCPRIM_400000_NS6detail17trampoline_kernelINS0_14default_configENS1_38merge_sort_block_merge_config_selectorIxxEEZZNS1_27merge_sort_block_merge_implIS3_N6thrust23THRUST_200600_302600_NS6detail15normal_iteratorINS8_10device_ptrIxEEEESD_jNS1_19radix_merge_compareILb0ELb1ExNS0_19identity_decomposerEEEEE10hipError_tT0_T1_T2_jT3_P12ihipStream_tbPNSt15iterator_traitsISI_E10value_typeEPNSO_ISJ_E10value_typeEPSK_NS1_7vsmem_tEENKUlT_SI_SJ_SK_E_clIPxSD_S10_SD_EESH_SX_SI_SJ_SK_EUlSX_E1_NS1_11comp_targetILNS1_3genE4ELNS1_11target_archE910ELNS1_3gpuE8ELNS1_3repE0EEENS1_36merge_oddeven_config_static_selectorELNS0_4arch9wavefront6targetE1EEEvSJ_.private_seg_size, 0
	.set _ZN7rocprim17ROCPRIM_400000_NS6detail17trampoline_kernelINS0_14default_configENS1_38merge_sort_block_merge_config_selectorIxxEEZZNS1_27merge_sort_block_merge_implIS3_N6thrust23THRUST_200600_302600_NS6detail15normal_iteratorINS8_10device_ptrIxEEEESD_jNS1_19radix_merge_compareILb0ELb1ExNS0_19identity_decomposerEEEEE10hipError_tT0_T1_T2_jT3_P12ihipStream_tbPNSt15iterator_traitsISI_E10value_typeEPNSO_ISJ_E10value_typeEPSK_NS1_7vsmem_tEENKUlT_SI_SJ_SK_E_clIPxSD_S10_SD_EESH_SX_SI_SJ_SK_EUlSX_E1_NS1_11comp_targetILNS1_3genE4ELNS1_11target_archE910ELNS1_3gpuE8ELNS1_3repE0EEENS1_36merge_oddeven_config_static_selectorELNS0_4arch9wavefront6targetE1EEEvSJ_.uses_vcc, 0
	.set _ZN7rocprim17ROCPRIM_400000_NS6detail17trampoline_kernelINS0_14default_configENS1_38merge_sort_block_merge_config_selectorIxxEEZZNS1_27merge_sort_block_merge_implIS3_N6thrust23THRUST_200600_302600_NS6detail15normal_iteratorINS8_10device_ptrIxEEEESD_jNS1_19radix_merge_compareILb0ELb1ExNS0_19identity_decomposerEEEEE10hipError_tT0_T1_T2_jT3_P12ihipStream_tbPNSt15iterator_traitsISI_E10value_typeEPNSO_ISJ_E10value_typeEPSK_NS1_7vsmem_tEENKUlT_SI_SJ_SK_E_clIPxSD_S10_SD_EESH_SX_SI_SJ_SK_EUlSX_E1_NS1_11comp_targetILNS1_3genE4ELNS1_11target_archE910ELNS1_3gpuE8ELNS1_3repE0EEENS1_36merge_oddeven_config_static_selectorELNS0_4arch9wavefront6targetE1EEEvSJ_.uses_flat_scratch, 0
	.set _ZN7rocprim17ROCPRIM_400000_NS6detail17trampoline_kernelINS0_14default_configENS1_38merge_sort_block_merge_config_selectorIxxEEZZNS1_27merge_sort_block_merge_implIS3_N6thrust23THRUST_200600_302600_NS6detail15normal_iteratorINS8_10device_ptrIxEEEESD_jNS1_19radix_merge_compareILb0ELb1ExNS0_19identity_decomposerEEEEE10hipError_tT0_T1_T2_jT3_P12ihipStream_tbPNSt15iterator_traitsISI_E10value_typeEPNSO_ISJ_E10value_typeEPSK_NS1_7vsmem_tEENKUlT_SI_SJ_SK_E_clIPxSD_S10_SD_EESH_SX_SI_SJ_SK_EUlSX_E1_NS1_11comp_targetILNS1_3genE4ELNS1_11target_archE910ELNS1_3gpuE8ELNS1_3repE0EEENS1_36merge_oddeven_config_static_selectorELNS0_4arch9wavefront6targetE1EEEvSJ_.has_dyn_sized_stack, 0
	.set _ZN7rocprim17ROCPRIM_400000_NS6detail17trampoline_kernelINS0_14default_configENS1_38merge_sort_block_merge_config_selectorIxxEEZZNS1_27merge_sort_block_merge_implIS3_N6thrust23THRUST_200600_302600_NS6detail15normal_iteratorINS8_10device_ptrIxEEEESD_jNS1_19radix_merge_compareILb0ELb1ExNS0_19identity_decomposerEEEEE10hipError_tT0_T1_T2_jT3_P12ihipStream_tbPNSt15iterator_traitsISI_E10value_typeEPNSO_ISJ_E10value_typeEPSK_NS1_7vsmem_tEENKUlT_SI_SJ_SK_E_clIPxSD_S10_SD_EESH_SX_SI_SJ_SK_EUlSX_E1_NS1_11comp_targetILNS1_3genE4ELNS1_11target_archE910ELNS1_3gpuE8ELNS1_3repE0EEENS1_36merge_oddeven_config_static_selectorELNS0_4arch9wavefront6targetE1EEEvSJ_.has_recursion, 0
	.set _ZN7rocprim17ROCPRIM_400000_NS6detail17trampoline_kernelINS0_14default_configENS1_38merge_sort_block_merge_config_selectorIxxEEZZNS1_27merge_sort_block_merge_implIS3_N6thrust23THRUST_200600_302600_NS6detail15normal_iteratorINS8_10device_ptrIxEEEESD_jNS1_19radix_merge_compareILb0ELb1ExNS0_19identity_decomposerEEEEE10hipError_tT0_T1_T2_jT3_P12ihipStream_tbPNSt15iterator_traitsISI_E10value_typeEPNSO_ISJ_E10value_typeEPSK_NS1_7vsmem_tEENKUlT_SI_SJ_SK_E_clIPxSD_S10_SD_EESH_SX_SI_SJ_SK_EUlSX_E1_NS1_11comp_targetILNS1_3genE4ELNS1_11target_archE910ELNS1_3gpuE8ELNS1_3repE0EEENS1_36merge_oddeven_config_static_selectorELNS0_4arch9wavefront6targetE1EEEvSJ_.has_indirect_call, 0
	.section	.AMDGPU.csdata,"",@progbits
; Kernel info:
; codeLenInByte = 0
; TotalNumSgprs: 6
; NumVgprs: 0
; NumAgprs: 0
; TotalNumVgprs: 0
; ScratchSize: 0
; MemoryBound: 0
; FloatMode: 240
; IeeeMode: 1
; LDSByteSize: 0 bytes/workgroup (compile time only)
; SGPRBlocks: 0
; VGPRBlocks: 0
; NumSGPRsForWavesPerEU: 6
; NumVGPRsForWavesPerEU: 1
; AccumOffset: 4
; Occupancy: 8
; WaveLimiterHint : 0
; COMPUTE_PGM_RSRC2:SCRATCH_EN: 0
; COMPUTE_PGM_RSRC2:USER_SGPR: 2
; COMPUTE_PGM_RSRC2:TRAP_HANDLER: 0
; COMPUTE_PGM_RSRC2:TGID_X_EN: 1
; COMPUTE_PGM_RSRC2:TGID_Y_EN: 0
; COMPUTE_PGM_RSRC2:TGID_Z_EN: 0
; COMPUTE_PGM_RSRC2:TIDIG_COMP_CNT: 0
; COMPUTE_PGM_RSRC3_GFX90A:ACCUM_OFFSET: 0
; COMPUTE_PGM_RSRC3_GFX90A:TG_SPLIT: 0
	.section	.text._ZN7rocprim17ROCPRIM_400000_NS6detail17trampoline_kernelINS0_14default_configENS1_38merge_sort_block_merge_config_selectorIxxEEZZNS1_27merge_sort_block_merge_implIS3_N6thrust23THRUST_200600_302600_NS6detail15normal_iteratorINS8_10device_ptrIxEEEESD_jNS1_19radix_merge_compareILb0ELb1ExNS0_19identity_decomposerEEEEE10hipError_tT0_T1_T2_jT3_P12ihipStream_tbPNSt15iterator_traitsISI_E10value_typeEPNSO_ISJ_E10value_typeEPSK_NS1_7vsmem_tEENKUlT_SI_SJ_SK_E_clIPxSD_S10_SD_EESH_SX_SI_SJ_SK_EUlSX_E1_NS1_11comp_targetILNS1_3genE3ELNS1_11target_archE908ELNS1_3gpuE7ELNS1_3repE0EEENS1_36merge_oddeven_config_static_selectorELNS0_4arch9wavefront6targetE1EEEvSJ_,"axG",@progbits,_ZN7rocprim17ROCPRIM_400000_NS6detail17trampoline_kernelINS0_14default_configENS1_38merge_sort_block_merge_config_selectorIxxEEZZNS1_27merge_sort_block_merge_implIS3_N6thrust23THRUST_200600_302600_NS6detail15normal_iteratorINS8_10device_ptrIxEEEESD_jNS1_19radix_merge_compareILb0ELb1ExNS0_19identity_decomposerEEEEE10hipError_tT0_T1_T2_jT3_P12ihipStream_tbPNSt15iterator_traitsISI_E10value_typeEPNSO_ISJ_E10value_typeEPSK_NS1_7vsmem_tEENKUlT_SI_SJ_SK_E_clIPxSD_S10_SD_EESH_SX_SI_SJ_SK_EUlSX_E1_NS1_11comp_targetILNS1_3genE3ELNS1_11target_archE908ELNS1_3gpuE7ELNS1_3repE0EEENS1_36merge_oddeven_config_static_selectorELNS0_4arch9wavefront6targetE1EEEvSJ_,comdat
	.protected	_ZN7rocprim17ROCPRIM_400000_NS6detail17trampoline_kernelINS0_14default_configENS1_38merge_sort_block_merge_config_selectorIxxEEZZNS1_27merge_sort_block_merge_implIS3_N6thrust23THRUST_200600_302600_NS6detail15normal_iteratorINS8_10device_ptrIxEEEESD_jNS1_19radix_merge_compareILb0ELb1ExNS0_19identity_decomposerEEEEE10hipError_tT0_T1_T2_jT3_P12ihipStream_tbPNSt15iterator_traitsISI_E10value_typeEPNSO_ISJ_E10value_typeEPSK_NS1_7vsmem_tEENKUlT_SI_SJ_SK_E_clIPxSD_S10_SD_EESH_SX_SI_SJ_SK_EUlSX_E1_NS1_11comp_targetILNS1_3genE3ELNS1_11target_archE908ELNS1_3gpuE7ELNS1_3repE0EEENS1_36merge_oddeven_config_static_selectorELNS0_4arch9wavefront6targetE1EEEvSJ_ ; -- Begin function _ZN7rocprim17ROCPRIM_400000_NS6detail17trampoline_kernelINS0_14default_configENS1_38merge_sort_block_merge_config_selectorIxxEEZZNS1_27merge_sort_block_merge_implIS3_N6thrust23THRUST_200600_302600_NS6detail15normal_iteratorINS8_10device_ptrIxEEEESD_jNS1_19radix_merge_compareILb0ELb1ExNS0_19identity_decomposerEEEEE10hipError_tT0_T1_T2_jT3_P12ihipStream_tbPNSt15iterator_traitsISI_E10value_typeEPNSO_ISJ_E10value_typeEPSK_NS1_7vsmem_tEENKUlT_SI_SJ_SK_E_clIPxSD_S10_SD_EESH_SX_SI_SJ_SK_EUlSX_E1_NS1_11comp_targetILNS1_3genE3ELNS1_11target_archE908ELNS1_3gpuE7ELNS1_3repE0EEENS1_36merge_oddeven_config_static_selectorELNS0_4arch9wavefront6targetE1EEEvSJ_
	.globl	_ZN7rocprim17ROCPRIM_400000_NS6detail17trampoline_kernelINS0_14default_configENS1_38merge_sort_block_merge_config_selectorIxxEEZZNS1_27merge_sort_block_merge_implIS3_N6thrust23THRUST_200600_302600_NS6detail15normal_iteratorINS8_10device_ptrIxEEEESD_jNS1_19radix_merge_compareILb0ELb1ExNS0_19identity_decomposerEEEEE10hipError_tT0_T1_T2_jT3_P12ihipStream_tbPNSt15iterator_traitsISI_E10value_typeEPNSO_ISJ_E10value_typeEPSK_NS1_7vsmem_tEENKUlT_SI_SJ_SK_E_clIPxSD_S10_SD_EESH_SX_SI_SJ_SK_EUlSX_E1_NS1_11comp_targetILNS1_3genE3ELNS1_11target_archE908ELNS1_3gpuE7ELNS1_3repE0EEENS1_36merge_oddeven_config_static_selectorELNS0_4arch9wavefront6targetE1EEEvSJ_
	.p2align	8
	.type	_ZN7rocprim17ROCPRIM_400000_NS6detail17trampoline_kernelINS0_14default_configENS1_38merge_sort_block_merge_config_selectorIxxEEZZNS1_27merge_sort_block_merge_implIS3_N6thrust23THRUST_200600_302600_NS6detail15normal_iteratorINS8_10device_ptrIxEEEESD_jNS1_19radix_merge_compareILb0ELb1ExNS0_19identity_decomposerEEEEE10hipError_tT0_T1_T2_jT3_P12ihipStream_tbPNSt15iterator_traitsISI_E10value_typeEPNSO_ISJ_E10value_typeEPSK_NS1_7vsmem_tEENKUlT_SI_SJ_SK_E_clIPxSD_S10_SD_EESH_SX_SI_SJ_SK_EUlSX_E1_NS1_11comp_targetILNS1_3genE3ELNS1_11target_archE908ELNS1_3gpuE7ELNS1_3repE0EEENS1_36merge_oddeven_config_static_selectorELNS0_4arch9wavefront6targetE1EEEvSJ_,@function
_ZN7rocprim17ROCPRIM_400000_NS6detail17trampoline_kernelINS0_14default_configENS1_38merge_sort_block_merge_config_selectorIxxEEZZNS1_27merge_sort_block_merge_implIS3_N6thrust23THRUST_200600_302600_NS6detail15normal_iteratorINS8_10device_ptrIxEEEESD_jNS1_19radix_merge_compareILb0ELb1ExNS0_19identity_decomposerEEEEE10hipError_tT0_T1_T2_jT3_P12ihipStream_tbPNSt15iterator_traitsISI_E10value_typeEPNSO_ISJ_E10value_typeEPSK_NS1_7vsmem_tEENKUlT_SI_SJ_SK_E_clIPxSD_S10_SD_EESH_SX_SI_SJ_SK_EUlSX_E1_NS1_11comp_targetILNS1_3genE3ELNS1_11target_archE908ELNS1_3gpuE7ELNS1_3repE0EEENS1_36merge_oddeven_config_static_selectorELNS0_4arch9wavefront6targetE1EEEvSJ_: ; @_ZN7rocprim17ROCPRIM_400000_NS6detail17trampoline_kernelINS0_14default_configENS1_38merge_sort_block_merge_config_selectorIxxEEZZNS1_27merge_sort_block_merge_implIS3_N6thrust23THRUST_200600_302600_NS6detail15normal_iteratorINS8_10device_ptrIxEEEESD_jNS1_19radix_merge_compareILb0ELb1ExNS0_19identity_decomposerEEEEE10hipError_tT0_T1_T2_jT3_P12ihipStream_tbPNSt15iterator_traitsISI_E10value_typeEPNSO_ISJ_E10value_typeEPSK_NS1_7vsmem_tEENKUlT_SI_SJ_SK_E_clIPxSD_S10_SD_EESH_SX_SI_SJ_SK_EUlSX_E1_NS1_11comp_targetILNS1_3genE3ELNS1_11target_archE908ELNS1_3gpuE7ELNS1_3repE0EEENS1_36merge_oddeven_config_static_selectorELNS0_4arch9wavefront6targetE1EEEvSJ_
; %bb.0:
	.section	.rodata,"a",@progbits
	.p2align	6, 0x0
	.amdhsa_kernel _ZN7rocprim17ROCPRIM_400000_NS6detail17trampoline_kernelINS0_14default_configENS1_38merge_sort_block_merge_config_selectorIxxEEZZNS1_27merge_sort_block_merge_implIS3_N6thrust23THRUST_200600_302600_NS6detail15normal_iteratorINS8_10device_ptrIxEEEESD_jNS1_19radix_merge_compareILb0ELb1ExNS0_19identity_decomposerEEEEE10hipError_tT0_T1_T2_jT3_P12ihipStream_tbPNSt15iterator_traitsISI_E10value_typeEPNSO_ISJ_E10value_typeEPSK_NS1_7vsmem_tEENKUlT_SI_SJ_SK_E_clIPxSD_S10_SD_EESH_SX_SI_SJ_SK_EUlSX_E1_NS1_11comp_targetILNS1_3genE3ELNS1_11target_archE908ELNS1_3gpuE7ELNS1_3repE0EEENS1_36merge_oddeven_config_static_selectorELNS0_4arch9wavefront6targetE1EEEvSJ_
		.amdhsa_group_segment_fixed_size 0
		.amdhsa_private_segment_fixed_size 0
		.amdhsa_kernarg_size 48
		.amdhsa_user_sgpr_count 2
		.amdhsa_user_sgpr_dispatch_ptr 0
		.amdhsa_user_sgpr_queue_ptr 0
		.amdhsa_user_sgpr_kernarg_segment_ptr 1
		.amdhsa_user_sgpr_dispatch_id 0
		.amdhsa_user_sgpr_kernarg_preload_length 0
		.amdhsa_user_sgpr_kernarg_preload_offset 0
		.amdhsa_user_sgpr_private_segment_size 0
		.amdhsa_uses_dynamic_stack 0
		.amdhsa_enable_private_segment 0
		.amdhsa_system_sgpr_workgroup_id_x 1
		.amdhsa_system_sgpr_workgroup_id_y 0
		.amdhsa_system_sgpr_workgroup_id_z 0
		.amdhsa_system_sgpr_workgroup_info 0
		.amdhsa_system_vgpr_workitem_id 0
		.amdhsa_next_free_vgpr 1
		.amdhsa_next_free_sgpr 0
		.amdhsa_accum_offset 4
		.amdhsa_reserve_vcc 0
		.amdhsa_float_round_mode_32 0
		.amdhsa_float_round_mode_16_64 0
		.amdhsa_float_denorm_mode_32 3
		.amdhsa_float_denorm_mode_16_64 3
		.amdhsa_dx10_clamp 1
		.amdhsa_ieee_mode 1
		.amdhsa_fp16_overflow 0
		.amdhsa_tg_split 0
		.amdhsa_exception_fp_ieee_invalid_op 0
		.amdhsa_exception_fp_denorm_src 0
		.amdhsa_exception_fp_ieee_div_zero 0
		.amdhsa_exception_fp_ieee_overflow 0
		.amdhsa_exception_fp_ieee_underflow 0
		.amdhsa_exception_fp_ieee_inexact 0
		.amdhsa_exception_int_div_zero 0
	.end_amdhsa_kernel
	.section	.text._ZN7rocprim17ROCPRIM_400000_NS6detail17trampoline_kernelINS0_14default_configENS1_38merge_sort_block_merge_config_selectorIxxEEZZNS1_27merge_sort_block_merge_implIS3_N6thrust23THRUST_200600_302600_NS6detail15normal_iteratorINS8_10device_ptrIxEEEESD_jNS1_19radix_merge_compareILb0ELb1ExNS0_19identity_decomposerEEEEE10hipError_tT0_T1_T2_jT3_P12ihipStream_tbPNSt15iterator_traitsISI_E10value_typeEPNSO_ISJ_E10value_typeEPSK_NS1_7vsmem_tEENKUlT_SI_SJ_SK_E_clIPxSD_S10_SD_EESH_SX_SI_SJ_SK_EUlSX_E1_NS1_11comp_targetILNS1_3genE3ELNS1_11target_archE908ELNS1_3gpuE7ELNS1_3repE0EEENS1_36merge_oddeven_config_static_selectorELNS0_4arch9wavefront6targetE1EEEvSJ_,"axG",@progbits,_ZN7rocprim17ROCPRIM_400000_NS6detail17trampoline_kernelINS0_14default_configENS1_38merge_sort_block_merge_config_selectorIxxEEZZNS1_27merge_sort_block_merge_implIS3_N6thrust23THRUST_200600_302600_NS6detail15normal_iteratorINS8_10device_ptrIxEEEESD_jNS1_19radix_merge_compareILb0ELb1ExNS0_19identity_decomposerEEEEE10hipError_tT0_T1_T2_jT3_P12ihipStream_tbPNSt15iterator_traitsISI_E10value_typeEPNSO_ISJ_E10value_typeEPSK_NS1_7vsmem_tEENKUlT_SI_SJ_SK_E_clIPxSD_S10_SD_EESH_SX_SI_SJ_SK_EUlSX_E1_NS1_11comp_targetILNS1_3genE3ELNS1_11target_archE908ELNS1_3gpuE7ELNS1_3repE0EEENS1_36merge_oddeven_config_static_selectorELNS0_4arch9wavefront6targetE1EEEvSJ_,comdat
.Lfunc_end1142:
	.size	_ZN7rocprim17ROCPRIM_400000_NS6detail17trampoline_kernelINS0_14default_configENS1_38merge_sort_block_merge_config_selectorIxxEEZZNS1_27merge_sort_block_merge_implIS3_N6thrust23THRUST_200600_302600_NS6detail15normal_iteratorINS8_10device_ptrIxEEEESD_jNS1_19radix_merge_compareILb0ELb1ExNS0_19identity_decomposerEEEEE10hipError_tT0_T1_T2_jT3_P12ihipStream_tbPNSt15iterator_traitsISI_E10value_typeEPNSO_ISJ_E10value_typeEPSK_NS1_7vsmem_tEENKUlT_SI_SJ_SK_E_clIPxSD_S10_SD_EESH_SX_SI_SJ_SK_EUlSX_E1_NS1_11comp_targetILNS1_3genE3ELNS1_11target_archE908ELNS1_3gpuE7ELNS1_3repE0EEENS1_36merge_oddeven_config_static_selectorELNS0_4arch9wavefront6targetE1EEEvSJ_, .Lfunc_end1142-_ZN7rocprim17ROCPRIM_400000_NS6detail17trampoline_kernelINS0_14default_configENS1_38merge_sort_block_merge_config_selectorIxxEEZZNS1_27merge_sort_block_merge_implIS3_N6thrust23THRUST_200600_302600_NS6detail15normal_iteratorINS8_10device_ptrIxEEEESD_jNS1_19radix_merge_compareILb0ELb1ExNS0_19identity_decomposerEEEEE10hipError_tT0_T1_T2_jT3_P12ihipStream_tbPNSt15iterator_traitsISI_E10value_typeEPNSO_ISJ_E10value_typeEPSK_NS1_7vsmem_tEENKUlT_SI_SJ_SK_E_clIPxSD_S10_SD_EESH_SX_SI_SJ_SK_EUlSX_E1_NS1_11comp_targetILNS1_3genE3ELNS1_11target_archE908ELNS1_3gpuE7ELNS1_3repE0EEENS1_36merge_oddeven_config_static_selectorELNS0_4arch9wavefront6targetE1EEEvSJ_
                                        ; -- End function
	.set _ZN7rocprim17ROCPRIM_400000_NS6detail17trampoline_kernelINS0_14default_configENS1_38merge_sort_block_merge_config_selectorIxxEEZZNS1_27merge_sort_block_merge_implIS3_N6thrust23THRUST_200600_302600_NS6detail15normal_iteratorINS8_10device_ptrIxEEEESD_jNS1_19radix_merge_compareILb0ELb1ExNS0_19identity_decomposerEEEEE10hipError_tT0_T1_T2_jT3_P12ihipStream_tbPNSt15iterator_traitsISI_E10value_typeEPNSO_ISJ_E10value_typeEPSK_NS1_7vsmem_tEENKUlT_SI_SJ_SK_E_clIPxSD_S10_SD_EESH_SX_SI_SJ_SK_EUlSX_E1_NS1_11comp_targetILNS1_3genE3ELNS1_11target_archE908ELNS1_3gpuE7ELNS1_3repE0EEENS1_36merge_oddeven_config_static_selectorELNS0_4arch9wavefront6targetE1EEEvSJ_.num_vgpr, 0
	.set _ZN7rocprim17ROCPRIM_400000_NS6detail17trampoline_kernelINS0_14default_configENS1_38merge_sort_block_merge_config_selectorIxxEEZZNS1_27merge_sort_block_merge_implIS3_N6thrust23THRUST_200600_302600_NS6detail15normal_iteratorINS8_10device_ptrIxEEEESD_jNS1_19radix_merge_compareILb0ELb1ExNS0_19identity_decomposerEEEEE10hipError_tT0_T1_T2_jT3_P12ihipStream_tbPNSt15iterator_traitsISI_E10value_typeEPNSO_ISJ_E10value_typeEPSK_NS1_7vsmem_tEENKUlT_SI_SJ_SK_E_clIPxSD_S10_SD_EESH_SX_SI_SJ_SK_EUlSX_E1_NS1_11comp_targetILNS1_3genE3ELNS1_11target_archE908ELNS1_3gpuE7ELNS1_3repE0EEENS1_36merge_oddeven_config_static_selectorELNS0_4arch9wavefront6targetE1EEEvSJ_.num_agpr, 0
	.set _ZN7rocprim17ROCPRIM_400000_NS6detail17trampoline_kernelINS0_14default_configENS1_38merge_sort_block_merge_config_selectorIxxEEZZNS1_27merge_sort_block_merge_implIS3_N6thrust23THRUST_200600_302600_NS6detail15normal_iteratorINS8_10device_ptrIxEEEESD_jNS1_19radix_merge_compareILb0ELb1ExNS0_19identity_decomposerEEEEE10hipError_tT0_T1_T2_jT3_P12ihipStream_tbPNSt15iterator_traitsISI_E10value_typeEPNSO_ISJ_E10value_typeEPSK_NS1_7vsmem_tEENKUlT_SI_SJ_SK_E_clIPxSD_S10_SD_EESH_SX_SI_SJ_SK_EUlSX_E1_NS1_11comp_targetILNS1_3genE3ELNS1_11target_archE908ELNS1_3gpuE7ELNS1_3repE0EEENS1_36merge_oddeven_config_static_selectorELNS0_4arch9wavefront6targetE1EEEvSJ_.numbered_sgpr, 0
	.set _ZN7rocprim17ROCPRIM_400000_NS6detail17trampoline_kernelINS0_14default_configENS1_38merge_sort_block_merge_config_selectorIxxEEZZNS1_27merge_sort_block_merge_implIS3_N6thrust23THRUST_200600_302600_NS6detail15normal_iteratorINS8_10device_ptrIxEEEESD_jNS1_19radix_merge_compareILb0ELb1ExNS0_19identity_decomposerEEEEE10hipError_tT0_T1_T2_jT3_P12ihipStream_tbPNSt15iterator_traitsISI_E10value_typeEPNSO_ISJ_E10value_typeEPSK_NS1_7vsmem_tEENKUlT_SI_SJ_SK_E_clIPxSD_S10_SD_EESH_SX_SI_SJ_SK_EUlSX_E1_NS1_11comp_targetILNS1_3genE3ELNS1_11target_archE908ELNS1_3gpuE7ELNS1_3repE0EEENS1_36merge_oddeven_config_static_selectorELNS0_4arch9wavefront6targetE1EEEvSJ_.num_named_barrier, 0
	.set _ZN7rocprim17ROCPRIM_400000_NS6detail17trampoline_kernelINS0_14default_configENS1_38merge_sort_block_merge_config_selectorIxxEEZZNS1_27merge_sort_block_merge_implIS3_N6thrust23THRUST_200600_302600_NS6detail15normal_iteratorINS8_10device_ptrIxEEEESD_jNS1_19radix_merge_compareILb0ELb1ExNS0_19identity_decomposerEEEEE10hipError_tT0_T1_T2_jT3_P12ihipStream_tbPNSt15iterator_traitsISI_E10value_typeEPNSO_ISJ_E10value_typeEPSK_NS1_7vsmem_tEENKUlT_SI_SJ_SK_E_clIPxSD_S10_SD_EESH_SX_SI_SJ_SK_EUlSX_E1_NS1_11comp_targetILNS1_3genE3ELNS1_11target_archE908ELNS1_3gpuE7ELNS1_3repE0EEENS1_36merge_oddeven_config_static_selectorELNS0_4arch9wavefront6targetE1EEEvSJ_.private_seg_size, 0
	.set _ZN7rocprim17ROCPRIM_400000_NS6detail17trampoline_kernelINS0_14default_configENS1_38merge_sort_block_merge_config_selectorIxxEEZZNS1_27merge_sort_block_merge_implIS3_N6thrust23THRUST_200600_302600_NS6detail15normal_iteratorINS8_10device_ptrIxEEEESD_jNS1_19radix_merge_compareILb0ELb1ExNS0_19identity_decomposerEEEEE10hipError_tT0_T1_T2_jT3_P12ihipStream_tbPNSt15iterator_traitsISI_E10value_typeEPNSO_ISJ_E10value_typeEPSK_NS1_7vsmem_tEENKUlT_SI_SJ_SK_E_clIPxSD_S10_SD_EESH_SX_SI_SJ_SK_EUlSX_E1_NS1_11comp_targetILNS1_3genE3ELNS1_11target_archE908ELNS1_3gpuE7ELNS1_3repE0EEENS1_36merge_oddeven_config_static_selectorELNS0_4arch9wavefront6targetE1EEEvSJ_.uses_vcc, 0
	.set _ZN7rocprim17ROCPRIM_400000_NS6detail17trampoline_kernelINS0_14default_configENS1_38merge_sort_block_merge_config_selectorIxxEEZZNS1_27merge_sort_block_merge_implIS3_N6thrust23THRUST_200600_302600_NS6detail15normal_iteratorINS8_10device_ptrIxEEEESD_jNS1_19radix_merge_compareILb0ELb1ExNS0_19identity_decomposerEEEEE10hipError_tT0_T1_T2_jT3_P12ihipStream_tbPNSt15iterator_traitsISI_E10value_typeEPNSO_ISJ_E10value_typeEPSK_NS1_7vsmem_tEENKUlT_SI_SJ_SK_E_clIPxSD_S10_SD_EESH_SX_SI_SJ_SK_EUlSX_E1_NS1_11comp_targetILNS1_3genE3ELNS1_11target_archE908ELNS1_3gpuE7ELNS1_3repE0EEENS1_36merge_oddeven_config_static_selectorELNS0_4arch9wavefront6targetE1EEEvSJ_.uses_flat_scratch, 0
	.set _ZN7rocprim17ROCPRIM_400000_NS6detail17trampoline_kernelINS0_14default_configENS1_38merge_sort_block_merge_config_selectorIxxEEZZNS1_27merge_sort_block_merge_implIS3_N6thrust23THRUST_200600_302600_NS6detail15normal_iteratorINS8_10device_ptrIxEEEESD_jNS1_19radix_merge_compareILb0ELb1ExNS0_19identity_decomposerEEEEE10hipError_tT0_T1_T2_jT3_P12ihipStream_tbPNSt15iterator_traitsISI_E10value_typeEPNSO_ISJ_E10value_typeEPSK_NS1_7vsmem_tEENKUlT_SI_SJ_SK_E_clIPxSD_S10_SD_EESH_SX_SI_SJ_SK_EUlSX_E1_NS1_11comp_targetILNS1_3genE3ELNS1_11target_archE908ELNS1_3gpuE7ELNS1_3repE0EEENS1_36merge_oddeven_config_static_selectorELNS0_4arch9wavefront6targetE1EEEvSJ_.has_dyn_sized_stack, 0
	.set _ZN7rocprim17ROCPRIM_400000_NS6detail17trampoline_kernelINS0_14default_configENS1_38merge_sort_block_merge_config_selectorIxxEEZZNS1_27merge_sort_block_merge_implIS3_N6thrust23THRUST_200600_302600_NS6detail15normal_iteratorINS8_10device_ptrIxEEEESD_jNS1_19radix_merge_compareILb0ELb1ExNS0_19identity_decomposerEEEEE10hipError_tT0_T1_T2_jT3_P12ihipStream_tbPNSt15iterator_traitsISI_E10value_typeEPNSO_ISJ_E10value_typeEPSK_NS1_7vsmem_tEENKUlT_SI_SJ_SK_E_clIPxSD_S10_SD_EESH_SX_SI_SJ_SK_EUlSX_E1_NS1_11comp_targetILNS1_3genE3ELNS1_11target_archE908ELNS1_3gpuE7ELNS1_3repE0EEENS1_36merge_oddeven_config_static_selectorELNS0_4arch9wavefront6targetE1EEEvSJ_.has_recursion, 0
	.set _ZN7rocprim17ROCPRIM_400000_NS6detail17trampoline_kernelINS0_14default_configENS1_38merge_sort_block_merge_config_selectorIxxEEZZNS1_27merge_sort_block_merge_implIS3_N6thrust23THRUST_200600_302600_NS6detail15normal_iteratorINS8_10device_ptrIxEEEESD_jNS1_19radix_merge_compareILb0ELb1ExNS0_19identity_decomposerEEEEE10hipError_tT0_T1_T2_jT3_P12ihipStream_tbPNSt15iterator_traitsISI_E10value_typeEPNSO_ISJ_E10value_typeEPSK_NS1_7vsmem_tEENKUlT_SI_SJ_SK_E_clIPxSD_S10_SD_EESH_SX_SI_SJ_SK_EUlSX_E1_NS1_11comp_targetILNS1_3genE3ELNS1_11target_archE908ELNS1_3gpuE7ELNS1_3repE0EEENS1_36merge_oddeven_config_static_selectorELNS0_4arch9wavefront6targetE1EEEvSJ_.has_indirect_call, 0
	.section	.AMDGPU.csdata,"",@progbits
; Kernel info:
; codeLenInByte = 0
; TotalNumSgprs: 6
; NumVgprs: 0
; NumAgprs: 0
; TotalNumVgprs: 0
; ScratchSize: 0
; MemoryBound: 0
; FloatMode: 240
; IeeeMode: 1
; LDSByteSize: 0 bytes/workgroup (compile time only)
; SGPRBlocks: 0
; VGPRBlocks: 0
; NumSGPRsForWavesPerEU: 6
; NumVGPRsForWavesPerEU: 1
; AccumOffset: 4
; Occupancy: 8
; WaveLimiterHint : 0
; COMPUTE_PGM_RSRC2:SCRATCH_EN: 0
; COMPUTE_PGM_RSRC2:USER_SGPR: 2
; COMPUTE_PGM_RSRC2:TRAP_HANDLER: 0
; COMPUTE_PGM_RSRC2:TGID_X_EN: 1
; COMPUTE_PGM_RSRC2:TGID_Y_EN: 0
; COMPUTE_PGM_RSRC2:TGID_Z_EN: 0
; COMPUTE_PGM_RSRC2:TIDIG_COMP_CNT: 0
; COMPUTE_PGM_RSRC3_GFX90A:ACCUM_OFFSET: 0
; COMPUTE_PGM_RSRC3_GFX90A:TG_SPLIT: 0
	.section	.text._ZN7rocprim17ROCPRIM_400000_NS6detail17trampoline_kernelINS0_14default_configENS1_38merge_sort_block_merge_config_selectorIxxEEZZNS1_27merge_sort_block_merge_implIS3_N6thrust23THRUST_200600_302600_NS6detail15normal_iteratorINS8_10device_ptrIxEEEESD_jNS1_19radix_merge_compareILb0ELb1ExNS0_19identity_decomposerEEEEE10hipError_tT0_T1_T2_jT3_P12ihipStream_tbPNSt15iterator_traitsISI_E10value_typeEPNSO_ISJ_E10value_typeEPSK_NS1_7vsmem_tEENKUlT_SI_SJ_SK_E_clIPxSD_S10_SD_EESH_SX_SI_SJ_SK_EUlSX_E1_NS1_11comp_targetILNS1_3genE2ELNS1_11target_archE906ELNS1_3gpuE6ELNS1_3repE0EEENS1_36merge_oddeven_config_static_selectorELNS0_4arch9wavefront6targetE1EEEvSJ_,"axG",@progbits,_ZN7rocprim17ROCPRIM_400000_NS6detail17trampoline_kernelINS0_14default_configENS1_38merge_sort_block_merge_config_selectorIxxEEZZNS1_27merge_sort_block_merge_implIS3_N6thrust23THRUST_200600_302600_NS6detail15normal_iteratorINS8_10device_ptrIxEEEESD_jNS1_19radix_merge_compareILb0ELb1ExNS0_19identity_decomposerEEEEE10hipError_tT0_T1_T2_jT3_P12ihipStream_tbPNSt15iterator_traitsISI_E10value_typeEPNSO_ISJ_E10value_typeEPSK_NS1_7vsmem_tEENKUlT_SI_SJ_SK_E_clIPxSD_S10_SD_EESH_SX_SI_SJ_SK_EUlSX_E1_NS1_11comp_targetILNS1_3genE2ELNS1_11target_archE906ELNS1_3gpuE6ELNS1_3repE0EEENS1_36merge_oddeven_config_static_selectorELNS0_4arch9wavefront6targetE1EEEvSJ_,comdat
	.protected	_ZN7rocprim17ROCPRIM_400000_NS6detail17trampoline_kernelINS0_14default_configENS1_38merge_sort_block_merge_config_selectorIxxEEZZNS1_27merge_sort_block_merge_implIS3_N6thrust23THRUST_200600_302600_NS6detail15normal_iteratorINS8_10device_ptrIxEEEESD_jNS1_19radix_merge_compareILb0ELb1ExNS0_19identity_decomposerEEEEE10hipError_tT0_T1_T2_jT3_P12ihipStream_tbPNSt15iterator_traitsISI_E10value_typeEPNSO_ISJ_E10value_typeEPSK_NS1_7vsmem_tEENKUlT_SI_SJ_SK_E_clIPxSD_S10_SD_EESH_SX_SI_SJ_SK_EUlSX_E1_NS1_11comp_targetILNS1_3genE2ELNS1_11target_archE906ELNS1_3gpuE6ELNS1_3repE0EEENS1_36merge_oddeven_config_static_selectorELNS0_4arch9wavefront6targetE1EEEvSJ_ ; -- Begin function _ZN7rocprim17ROCPRIM_400000_NS6detail17trampoline_kernelINS0_14default_configENS1_38merge_sort_block_merge_config_selectorIxxEEZZNS1_27merge_sort_block_merge_implIS3_N6thrust23THRUST_200600_302600_NS6detail15normal_iteratorINS8_10device_ptrIxEEEESD_jNS1_19radix_merge_compareILb0ELb1ExNS0_19identity_decomposerEEEEE10hipError_tT0_T1_T2_jT3_P12ihipStream_tbPNSt15iterator_traitsISI_E10value_typeEPNSO_ISJ_E10value_typeEPSK_NS1_7vsmem_tEENKUlT_SI_SJ_SK_E_clIPxSD_S10_SD_EESH_SX_SI_SJ_SK_EUlSX_E1_NS1_11comp_targetILNS1_3genE2ELNS1_11target_archE906ELNS1_3gpuE6ELNS1_3repE0EEENS1_36merge_oddeven_config_static_selectorELNS0_4arch9wavefront6targetE1EEEvSJ_
	.globl	_ZN7rocprim17ROCPRIM_400000_NS6detail17trampoline_kernelINS0_14default_configENS1_38merge_sort_block_merge_config_selectorIxxEEZZNS1_27merge_sort_block_merge_implIS3_N6thrust23THRUST_200600_302600_NS6detail15normal_iteratorINS8_10device_ptrIxEEEESD_jNS1_19radix_merge_compareILb0ELb1ExNS0_19identity_decomposerEEEEE10hipError_tT0_T1_T2_jT3_P12ihipStream_tbPNSt15iterator_traitsISI_E10value_typeEPNSO_ISJ_E10value_typeEPSK_NS1_7vsmem_tEENKUlT_SI_SJ_SK_E_clIPxSD_S10_SD_EESH_SX_SI_SJ_SK_EUlSX_E1_NS1_11comp_targetILNS1_3genE2ELNS1_11target_archE906ELNS1_3gpuE6ELNS1_3repE0EEENS1_36merge_oddeven_config_static_selectorELNS0_4arch9wavefront6targetE1EEEvSJ_
	.p2align	8
	.type	_ZN7rocprim17ROCPRIM_400000_NS6detail17trampoline_kernelINS0_14default_configENS1_38merge_sort_block_merge_config_selectorIxxEEZZNS1_27merge_sort_block_merge_implIS3_N6thrust23THRUST_200600_302600_NS6detail15normal_iteratorINS8_10device_ptrIxEEEESD_jNS1_19radix_merge_compareILb0ELb1ExNS0_19identity_decomposerEEEEE10hipError_tT0_T1_T2_jT3_P12ihipStream_tbPNSt15iterator_traitsISI_E10value_typeEPNSO_ISJ_E10value_typeEPSK_NS1_7vsmem_tEENKUlT_SI_SJ_SK_E_clIPxSD_S10_SD_EESH_SX_SI_SJ_SK_EUlSX_E1_NS1_11comp_targetILNS1_3genE2ELNS1_11target_archE906ELNS1_3gpuE6ELNS1_3repE0EEENS1_36merge_oddeven_config_static_selectorELNS0_4arch9wavefront6targetE1EEEvSJ_,@function
_ZN7rocprim17ROCPRIM_400000_NS6detail17trampoline_kernelINS0_14default_configENS1_38merge_sort_block_merge_config_selectorIxxEEZZNS1_27merge_sort_block_merge_implIS3_N6thrust23THRUST_200600_302600_NS6detail15normal_iteratorINS8_10device_ptrIxEEEESD_jNS1_19radix_merge_compareILb0ELb1ExNS0_19identity_decomposerEEEEE10hipError_tT0_T1_T2_jT3_P12ihipStream_tbPNSt15iterator_traitsISI_E10value_typeEPNSO_ISJ_E10value_typeEPSK_NS1_7vsmem_tEENKUlT_SI_SJ_SK_E_clIPxSD_S10_SD_EESH_SX_SI_SJ_SK_EUlSX_E1_NS1_11comp_targetILNS1_3genE2ELNS1_11target_archE906ELNS1_3gpuE6ELNS1_3repE0EEENS1_36merge_oddeven_config_static_selectorELNS0_4arch9wavefront6targetE1EEEvSJ_: ; @_ZN7rocprim17ROCPRIM_400000_NS6detail17trampoline_kernelINS0_14default_configENS1_38merge_sort_block_merge_config_selectorIxxEEZZNS1_27merge_sort_block_merge_implIS3_N6thrust23THRUST_200600_302600_NS6detail15normal_iteratorINS8_10device_ptrIxEEEESD_jNS1_19radix_merge_compareILb0ELb1ExNS0_19identity_decomposerEEEEE10hipError_tT0_T1_T2_jT3_P12ihipStream_tbPNSt15iterator_traitsISI_E10value_typeEPNSO_ISJ_E10value_typeEPSK_NS1_7vsmem_tEENKUlT_SI_SJ_SK_E_clIPxSD_S10_SD_EESH_SX_SI_SJ_SK_EUlSX_E1_NS1_11comp_targetILNS1_3genE2ELNS1_11target_archE906ELNS1_3gpuE6ELNS1_3repE0EEENS1_36merge_oddeven_config_static_selectorELNS0_4arch9wavefront6targetE1EEEvSJ_
; %bb.0:
	.section	.rodata,"a",@progbits
	.p2align	6, 0x0
	.amdhsa_kernel _ZN7rocprim17ROCPRIM_400000_NS6detail17trampoline_kernelINS0_14default_configENS1_38merge_sort_block_merge_config_selectorIxxEEZZNS1_27merge_sort_block_merge_implIS3_N6thrust23THRUST_200600_302600_NS6detail15normal_iteratorINS8_10device_ptrIxEEEESD_jNS1_19radix_merge_compareILb0ELb1ExNS0_19identity_decomposerEEEEE10hipError_tT0_T1_T2_jT3_P12ihipStream_tbPNSt15iterator_traitsISI_E10value_typeEPNSO_ISJ_E10value_typeEPSK_NS1_7vsmem_tEENKUlT_SI_SJ_SK_E_clIPxSD_S10_SD_EESH_SX_SI_SJ_SK_EUlSX_E1_NS1_11comp_targetILNS1_3genE2ELNS1_11target_archE906ELNS1_3gpuE6ELNS1_3repE0EEENS1_36merge_oddeven_config_static_selectorELNS0_4arch9wavefront6targetE1EEEvSJ_
		.amdhsa_group_segment_fixed_size 0
		.amdhsa_private_segment_fixed_size 0
		.amdhsa_kernarg_size 48
		.amdhsa_user_sgpr_count 2
		.amdhsa_user_sgpr_dispatch_ptr 0
		.amdhsa_user_sgpr_queue_ptr 0
		.amdhsa_user_sgpr_kernarg_segment_ptr 1
		.amdhsa_user_sgpr_dispatch_id 0
		.amdhsa_user_sgpr_kernarg_preload_length 0
		.amdhsa_user_sgpr_kernarg_preload_offset 0
		.amdhsa_user_sgpr_private_segment_size 0
		.amdhsa_uses_dynamic_stack 0
		.amdhsa_enable_private_segment 0
		.amdhsa_system_sgpr_workgroup_id_x 1
		.amdhsa_system_sgpr_workgroup_id_y 0
		.amdhsa_system_sgpr_workgroup_id_z 0
		.amdhsa_system_sgpr_workgroup_info 0
		.amdhsa_system_vgpr_workitem_id 0
		.amdhsa_next_free_vgpr 1
		.amdhsa_next_free_sgpr 0
		.amdhsa_accum_offset 4
		.amdhsa_reserve_vcc 0
		.amdhsa_float_round_mode_32 0
		.amdhsa_float_round_mode_16_64 0
		.amdhsa_float_denorm_mode_32 3
		.amdhsa_float_denorm_mode_16_64 3
		.amdhsa_dx10_clamp 1
		.amdhsa_ieee_mode 1
		.amdhsa_fp16_overflow 0
		.amdhsa_tg_split 0
		.amdhsa_exception_fp_ieee_invalid_op 0
		.amdhsa_exception_fp_denorm_src 0
		.amdhsa_exception_fp_ieee_div_zero 0
		.amdhsa_exception_fp_ieee_overflow 0
		.amdhsa_exception_fp_ieee_underflow 0
		.amdhsa_exception_fp_ieee_inexact 0
		.amdhsa_exception_int_div_zero 0
	.end_amdhsa_kernel
	.section	.text._ZN7rocprim17ROCPRIM_400000_NS6detail17trampoline_kernelINS0_14default_configENS1_38merge_sort_block_merge_config_selectorIxxEEZZNS1_27merge_sort_block_merge_implIS3_N6thrust23THRUST_200600_302600_NS6detail15normal_iteratorINS8_10device_ptrIxEEEESD_jNS1_19radix_merge_compareILb0ELb1ExNS0_19identity_decomposerEEEEE10hipError_tT0_T1_T2_jT3_P12ihipStream_tbPNSt15iterator_traitsISI_E10value_typeEPNSO_ISJ_E10value_typeEPSK_NS1_7vsmem_tEENKUlT_SI_SJ_SK_E_clIPxSD_S10_SD_EESH_SX_SI_SJ_SK_EUlSX_E1_NS1_11comp_targetILNS1_3genE2ELNS1_11target_archE906ELNS1_3gpuE6ELNS1_3repE0EEENS1_36merge_oddeven_config_static_selectorELNS0_4arch9wavefront6targetE1EEEvSJ_,"axG",@progbits,_ZN7rocprim17ROCPRIM_400000_NS6detail17trampoline_kernelINS0_14default_configENS1_38merge_sort_block_merge_config_selectorIxxEEZZNS1_27merge_sort_block_merge_implIS3_N6thrust23THRUST_200600_302600_NS6detail15normal_iteratorINS8_10device_ptrIxEEEESD_jNS1_19radix_merge_compareILb0ELb1ExNS0_19identity_decomposerEEEEE10hipError_tT0_T1_T2_jT3_P12ihipStream_tbPNSt15iterator_traitsISI_E10value_typeEPNSO_ISJ_E10value_typeEPSK_NS1_7vsmem_tEENKUlT_SI_SJ_SK_E_clIPxSD_S10_SD_EESH_SX_SI_SJ_SK_EUlSX_E1_NS1_11comp_targetILNS1_3genE2ELNS1_11target_archE906ELNS1_3gpuE6ELNS1_3repE0EEENS1_36merge_oddeven_config_static_selectorELNS0_4arch9wavefront6targetE1EEEvSJ_,comdat
.Lfunc_end1143:
	.size	_ZN7rocprim17ROCPRIM_400000_NS6detail17trampoline_kernelINS0_14default_configENS1_38merge_sort_block_merge_config_selectorIxxEEZZNS1_27merge_sort_block_merge_implIS3_N6thrust23THRUST_200600_302600_NS6detail15normal_iteratorINS8_10device_ptrIxEEEESD_jNS1_19radix_merge_compareILb0ELb1ExNS0_19identity_decomposerEEEEE10hipError_tT0_T1_T2_jT3_P12ihipStream_tbPNSt15iterator_traitsISI_E10value_typeEPNSO_ISJ_E10value_typeEPSK_NS1_7vsmem_tEENKUlT_SI_SJ_SK_E_clIPxSD_S10_SD_EESH_SX_SI_SJ_SK_EUlSX_E1_NS1_11comp_targetILNS1_3genE2ELNS1_11target_archE906ELNS1_3gpuE6ELNS1_3repE0EEENS1_36merge_oddeven_config_static_selectorELNS0_4arch9wavefront6targetE1EEEvSJ_, .Lfunc_end1143-_ZN7rocprim17ROCPRIM_400000_NS6detail17trampoline_kernelINS0_14default_configENS1_38merge_sort_block_merge_config_selectorIxxEEZZNS1_27merge_sort_block_merge_implIS3_N6thrust23THRUST_200600_302600_NS6detail15normal_iteratorINS8_10device_ptrIxEEEESD_jNS1_19radix_merge_compareILb0ELb1ExNS0_19identity_decomposerEEEEE10hipError_tT0_T1_T2_jT3_P12ihipStream_tbPNSt15iterator_traitsISI_E10value_typeEPNSO_ISJ_E10value_typeEPSK_NS1_7vsmem_tEENKUlT_SI_SJ_SK_E_clIPxSD_S10_SD_EESH_SX_SI_SJ_SK_EUlSX_E1_NS1_11comp_targetILNS1_3genE2ELNS1_11target_archE906ELNS1_3gpuE6ELNS1_3repE0EEENS1_36merge_oddeven_config_static_selectorELNS0_4arch9wavefront6targetE1EEEvSJ_
                                        ; -- End function
	.set _ZN7rocprim17ROCPRIM_400000_NS6detail17trampoline_kernelINS0_14default_configENS1_38merge_sort_block_merge_config_selectorIxxEEZZNS1_27merge_sort_block_merge_implIS3_N6thrust23THRUST_200600_302600_NS6detail15normal_iteratorINS8_10device_ptrIxEEEESD_jNS1_19radix_merge_compareILb0ELb1ExNS0_19identity_decomposerEEEEE10hipError_tT0_T1_T2_jT3_P12ihipStream_tbPNSt15iterator_traitsISI_E10value_typeEPNSO_ISJ_E10value_typeEPSK_NS1_7vsmem_tEENKUlT_SI_SJ_SK_E_clIPxSD_S10_SD_EESH_SX_SI_SJ_SK_EUlSX_E1_NS1_11comp_targetILNS1_3genE2ELNS1_11target_archE906ELNS1_3gpuE6ELNS1_3repE0EEENS1_36merge_oddeven_config_static_selectorELNS0_4arch9wavefront6targetE1EEEvSJ_.num_vgpr, 0
	.set _ZN7rocprim17ROCPRIM_400000_NS6detail17trampoline_kernelINS0_14default_configENS1_38merge_sort_block_merge_config_selectorIxxEEZZNS1_27merge_sort_block_merge_implIS3_N6thrust23THRUST_200600_302600_NS6detail15normal_iteratorINS8_10device_ptrIxEEEESD_jNS1_19radix_merge_compareILb0ELb1ExNS0_19identity_decomposerEEEEE10hipError_tT0_T1_T2_jT3_P12ihipStream_tbPNSt15iterator_traitsISI_E10value_typeEPNSO_ISJ_E10value_typeEPSK_NS1_7vsmem_tEENKUlT_SI_SJ_SK_E_clIPxSD_S10_SD_EESH_SX_SI_SJ_SK_EUlSX_E1_NS1_11comp_targetILNS1_3genE2ELNS1_11target_archE906ELNS1_3gpuE6ELNS1_3repE0EEENS1_36merge_oddeven_config_static_selectorELNS0_4arch9wavefront6targetE1EEEvSJ_.num_agpr, 0
	.set _ZN7rocprim17ROCPRIM_400000_NS6detail17trampoline_kernelINS0_14default_configENS1_38merge_sort_block_merge_config_selectorIxxEEZZNS1_27merge_sort_block_merge_implIS3_N6thrust23THRUST_200600_302600_NS6detail15normal_iteratorINS8_10device_ptrIxEEEESD_jNS1_19radix_merge_compareILb0ELb1ExNS0_19identity_decomposerEEEEE10hipError_tT0_T1_T2_jT3_P12ihipStream_tbPNSt15iterator_traitsISI_E10value_typeEPNSO_ISJ_E10value_typeEPSK_NS1_7vsmem_tEENKUlT_SI_SJ_SK_E_clIPxSD_S10_SD_EESH_SX_SI_SJ_SK_EUlSX_E1_NS1_11comp_targetILNS1_3genE2ELNS1_11target_archE906ELNS1_3gpuE6ELNS1_3repE0EEENS1_36merge_oddeven_config_static_selectorELNS0_4arch9wavefront6targetE1EEEvSJ_.numbered_sgpr, 0
	.set _ZN7rocprim17ROCPRIM_400000_NS6detail17trampoline_kernelINS0_14default_configENS1_38merge_sort_block_merge_config_selectorIxxEEZZNS1_27merge_sort_block_merge_implIS3_N6thrust23THRUST_200600_302600_NS6detail15normal_iteratorINS8_10device_ptrIxEEEESD_jNS1_19radix_merge_compareILb0ELb1ExNS0_19identity_decomposerEEEEE10hipError_tT0_T1_T2_jT3_P12ihipStream_tbPNSt15iterator_traitsISI_E10value_typeEPNSO_ISJ_E10value_typeEPSK_NS1_7vsmem_tEENKUlT_SI_SJ_SK_E_clIPxSD_S10_SD_EESH_SX_SI_SJ_SK_EUlSX_E1_NS1_11comp_targetILNS1_3genE2ELNS1_11target_archE906ELNS1_3gpuE6ELNS1_3repE0EEENS1_36merge_oddeven_config_static_selectorELNS0_4arch9wavefront6targetE1EEEvSJ_.num_named_barrier, 0
	.set _ZN7rocprim17ROCPRIM_400000_NS6detail17trampoline_kernelINS0_14default_configENS1_38merge_sort_block_merge_config_selectorIxxEEZZNS1_27merge_sort_block_merge_implIS3_N6thrust23THRUST_200600_302600_NS6detail15normal_iteratorINS8_10device_ptrIxEEEESD_jNS1_19radix_merge_compareILb0ELb1ExNS0_19identity_decomposerEEEEE10hipError_tT0_T1_T2_jT3_P12ihipStream_tbPNSt15iterator_traitsISI_E10value_typeEPNSO_ISJ_E10value_typeEPSK_NS1_7vsmem_tEENKUlT_SI_SJ_SK_E_clIPxSD_S10_SD_EESH_SX_SI_SJ_SK_EUlSX_E1_NS1_11comp_targetILNS1_3genE2ELNS1_11target_archE906ELNS1_3gpuE6ELNS1_3repE0EEENS1_36merge_oddeven_config_static_selectorELNS0_4arch9wavefront6targetE1EEEvSJ_.private_seg_size, 0
	.set _ZN7rocprim17ROCPRIM_400000_NS6detail17trampoline_kernelINS0_14default_configENS1_38merge_sort_block_merge_config_selectorIxxEEZZNS1_27merge_sort_block_merge_implIS3_N6thrust23THRUST_200600_302600_NS6detail15normal_iteratorINS8_10device_ptrIxEEEESD_jNS1_19radix_merge_compareILb0ELb1ExNS0_19identity_decomposerEEEEE10hipError_tT0_T1_T2_jT3_P12ihipStream_tbPNSt15iterator_traitsISI_E10value_typeEPNSO_ISJ_E10value_typeEPSK_NS1_7vsmem_tEENKUlT_SI_SJ_SK_E_clIPxSD_S10_SD_EESH_SX_SI_SJ_SK_EUlSX_E1_NS1_11comp_targetILNS1_3genE2ELNS1_11target_archE906ELNS1_3gpuE6ELNS1_3repE0EEENS1_36merge_oddeven_config_static_selectorELNS0_4arch9wavefront6targetE1EEEvSJ_.uses_vcc, 0
	.set _ZN7rocprim17ROCPRIM_400000_NS6detail17trampoline_kernelINS0_14default_configENS1_38merge_sort_block_merge_config_selectorIxxEEZZNS1_27merge_sort_block_merge_implIS3_N6thrust23THRUST_200600_302600_NS6detail15normal_iteratorINS8_10device_ptrIxEEEESD_jNS1_19radix_merge_compareILb0ELb1ExNS0_19identity_decomposerEEEEE10hipError_tT0_T1_T2_jT3_P12ihipStream_tbPNSt15iterator_traitsISI_E10value_typeEPNSO_ISJ_E10value_typeEPSK_NS1_7vsmem_tEENKUlT_SI_SJ_SK_E_clIPxSD_S10_SD_EESH_SX_SI_SJ_SK_EUlSX_E1_NS1_11comp_targetILNS1_3genE2ELNS1_11target_archE906ELNS1_3gpuE6ELNS1_3repE0EEENS1_36merge_oddeven_config_static_selectorELNS0_4arch9wavefront6targetE1EEEvSJ_.uses_flat_scratch, 0
	.set _ZN7rocprim17ROCPRIM_400000_NS6detail17trampoline_kernelINS0_14default_configENS1_38merge_sort_block_merge_config_selectorIxxEEZZNS1_27merge_sort_block_merge_implIS3_N6thrust23THRUST_200600_302600_NS6detail15normal_iteratorINS8_10device_ptrIxEEEESD_jNS1_19radix_merge_compareILb0ELb1ExNS0_19identity_decomposerEEEEE10hipError_tT0_T1_T2_jT3_P12ihipStream_tbPNSt15iterator_traitsISI_E10value_typeEPNSO_ISJ_E10value_typeEPSK_NS1_7vsmem_tEENKUlT_SI_SJ_SK_E_clIPxSD_S10_SD_EESH_SX_SI_SJ_SK_EUlSX_E1_NS1_11comp_targetILNS1_3genE2ELNS1_11target_archE906ELNS1_3gpuE6ELNS1_3repE0EEENS1_36merge_oddeven_config_static_selectorELNS0_4arch9wavefront6targetE1EEEvSJ_.has_dyn_sized_stack, 0
	.set _ZN7rocprim17ROCPRIM_400000_NS6detail17trampoline_kernelINS0_14default_configENS1_38merge_sort_block_merge_config_selectorIxxEEZZNS1_27merge_sort_block_merge_implIS3_N6thrust23THRUST_200600_302600_NS6detail15normal_iteratorINS8_10device_ptrIxEEEESD_jNS1_19radix_merge_compareILb0ELb1ExNS0_19identity_decomposerEEEEE10hipError_tT0_T1_T2_jT3_P12ihipStream_tbPNSt15iterator_traitsISI_E10value_typeEPNSO_ISJ_E10value_typeEPSK_NS1_7vsmem_tEENKUlT_SI_SJ_SK_E_clIPxSD_S10_SD_EESH_SX_SI_SJ_SK_EUlSX_E1_NS1_11comp_targetILNS1_3genE2ELNS1_11target_archE906ELNS1_3gpuE6ELNS1_3repE0EEENS1_36merge_oddeven_config_static_selectorELNS0_4arch9wavefront6targetE1EEEvSJ_.has_recursion, 0
	.set _ZN7rocprim17ROCPRIM_400000_NS6detail17trampoline_kernelINS0_14default_configENS1_38merge_sort_block_merge_config_selectorIxxEEZZNS1_27merge_sort_block_merge_implIS3_N6thrust23THRUST_200600_302600_NS6detail15normal_iteratorINS8_10device_ptrIxEEEESD_jNS1_19radix_merge_compareILb0ELb1ExNS0_19identity_decomposerEEEEE10hipError_tT0_T1_T2_jT3_P12ihipStream_tbPNSt15iterator_traitsISI_E10value_typeEPNSO_ISJ_E10value_typeEPSK_NS1_7vsmem_tEENKUlT_SI_SJ_SK_E_clIPxSD_S10_SD_EESH_SX_SI_SJ_SK_EUlSX_E1_NS1_11comp_targetILNS1_3genE2ELNS1_11target_archE906ELNS1_3gpuE6ELNS1_3repE0EEENS1_36merge_oddeven_config_static_selectorELNS0_4arch9wavefront6targetE1EEEvSJ_.has_indirect_call, 0
	.section	.AMDGPU.csdata,"",@progbits
; Kernel info:
; codeLenInByte = 0
; TotalNumSgprs: 6
; NumVgprs: 0
; NumAgprs: 0
; TotalNumVgprs: 0
; ScratchSize: 0
; MemoryBound: 0
; FloatMode: 240
; IeeeMode: 1
; LDSByteSize: 0 bytes/workgroup (compile time only)
; SGPRBlocks: 0
; VGPRBlocks: 0
; NumSGPRsForWavesPerEU: 6
; NumVGPRsForWavesPerEU: 1
; AccumOffset: 4
; Occupancy: 8
; WaveLimiterHint : 0
; COMPUTE_PGM_RSRC2:SCRATCH_EN: 0
; COMPUTE_PGM_RSRC2:USER_SGPR: 2
; COMPUTE_PGM_RSRC2:TRAP_HANDLER: 0
; COMPUTE_PGM_RSRC2:TGID_X_EN: 1
; COMPUTE_PGM_RSRC2:TGID_Y_EN: 0
; COMPUTE_PGM_RSRC2:TGID_Z_EN: 0
; COMPUTE_PGM_RSRC2:TIDIG_COMP_CNT: 0
; COMPUTE_PGM_RSRC3_GFX90A:ACCUM_OFFSET: 0
; COMPUTE_PGM_RSRC3_GFX90A:TG_SPLIT: 0
	.section	.text._ZN7rocprim17ROCPRIM_400000_NS6detail17trampoline_kernelINS0_14default_configENS1_38merge_sort_block_merge_config_selectorIxxEEZZNS1_27merge_sort_block_merge_implIS3_N6thrust23THRUST_200600_302600_NS6detail15normal_iteratorINS8_10device_ptrIxEEEESD_jNS1_19radix_merge_compareILb0ELb1ExNS0_19identity_decomposerEEEEE10hipError_tT0_T1_T2_jT3_P12ihipStream_tbPNSt15iterator_traitsISI_E10value_typeEPNSO_ISJ_E10value_typeEPSK_NS1_7vsmem_tEENKUlT_SI_SJ_SK_E_clIPxSD_S10_SD_EESH_SX_SI_SJ_SK_EUlSX_E1_NS1_11comp_targetILNS1_3genE9ELNS1_11target_archE1100ELNS1_3gpuE3ELNS1_3repE0EEENS1_36merge_oddeven_config_static_selectorELNS0_4arch9wavefront6targetE1EEEvSJ_,"axG",@progbits,_ZN7rocprim17ROCPRIM_400000_NS6detail17trampoline_kernelINS0_14default_configENS1_38merge_sort_block_merge_config_selectorIxxEEZZNS1_27merge_sort_block_merge_implIS3_N6thrust23THRUST_200600_302600_NS6detail15normal_iteratorINS8_10device_ptrIxEEEESD_jNS1_19radix_merge_compareILb0ELb1ExNS0_19identity_decomposerEEEEE10hipError_tT0_T1_T2_jT3_P12ihipStream_tbPNSt15iterator_traitsISI_E10value_typeEPNSO_ISJ_E10value_typeEPSK_NS1_7vsmem_tEENKUlT_SI_SJ_SK_E_clIPxSD_S10_SD_EESH_SX_SI_SJ_SK_EUlSX_E1_NS1_11comp_targetILNS1_3genE9ELNS1_11target_archE1100ELNS1_3gpuE3ELNS1_3repE0EEENS1_36merge_oddeven_config_static_selectorELNS0_4arch9wavefront6targetE1EEEvSJ_,comdat
	.protected	_ZN7rocprim17ROCPRIM_400000_NS6detail17trampoline_kernelINS0_14default_configENS1_38merge_sort_block_merge_config_selectorIxxEEZZNS1_27merge_sort_block_merge_implIS3_N6thrust23THRUST_200600_302600_NS6detail15normal_iteratorINS8_10device_ptrIxEEEESD_jNS1_19radix_merge_compareILb0ELb1ExNS0_19identity_decomposerEEEEE10hipError_tT0_T1_T2_jT3_P12ihipStream_tbPNSt15iterator_traitsISI_E10value_typeEPNSO_ISJ_E10value_typeEPSK_NS1_7vsmem_tEENKUlT_SI_SJ_SK_E_clIPxSD_S10_SD_EESH_SX_SI_SJ_SK_EUlSX_E1_NS1_11comp_targetILNS1_3genE9ELNS1_11target_archE1100ELNS1_3gpuE3ELNS1_3repE0EEENS1_36merge_oddeven_config_static_selectorELNS0_4arch9wavefront6targetE1EEEvSJ_ ; -- Begin function _ZN7rocprim17ROCPRIM_400000_NS6detail17trampoline_kernelINS0_14default_configENS1_38merge_sort_block_merge_config_selectorIxxEEZZNS1_27merge_sort_block_merge_implIS3_N6thrust23THRUST_200600_302600_NS6detail15normal_iteratorINS8_10device_ptrIxEEEESD_jNS1_19radix_merge_compareILb0ELb1ExNS0_19identity_decomposerEEEEE10hipError_tT0_T1_T2_jT3_P12ihipStream_tbPNSt15iterator_traitsISI_E10value_typeEPNSO_ISJ_E10value_typeEPSK_NS1_7vsmem_tEENKUlT_SI_SJ_SK_E_clIPxSD_S10_SD_EESH_SX_SI_SJ_SK_EUlSX_E1_NS1_11comp_targetILNS1_3genE9ELNS1_11target_archE1100ELNS1_3gpuE3ELNS1_3repE0EEENS1_36merge_oddeven_config_static_selectorELNS0_4arch9wavefront6targetE1EEEvSJ_
	.globl	_ZN7rocprim17ROCPRIM_400000_NS6detail17trampoline_kernelINS0_14default_configENS1_38merge_sort_block_merge_config_selectorIxxEEZZNS1_27merge_sort_block_merge_implIS3_N6thrust23THRUST_200600_302600_NS6detail15normal_iteratorINS8_10device_ptrIxEEEESD_jNS1_19radix_merge_compareILb0ELb1ExNS0_19identity_decomposerEEEEE10hipError_tT0_T1_T2_jT3_P12ihipStream_tbPNSt15iterator_traitsISI_E10value_typeEPNSO_ISJ_E10value_typeEPSK_NS1_7vsmem_tEENKUlT_SI_SJ_SK_E_clIPxSD_S10_SD_EESH_SX_SI_SJ_SK_EUlSX_E1_NS1_11comp_targetILNS1_3genE9ELNS1_11target_archE1100ELNS1_3gpuE3ELNS1_3repE0EEENS1_36merge_oddeven_config_static_selectorELNS0_4arch9wavefront6targetE1EEEvSJ_
	.p2align	8
	.type	_ZN7rocprim17ROCPRIM_400000_NS6detail17trampoline_kernelINS0_14default_configENS1_38merge_sort_block_merge_config_selectorIxxEEZZNS1_27merge_sort_block_merge_implIS3_N6thrust23THRUST_200600_302600_NS6detail15normal_iteratorINS8_10device_ptrIxEEEESD_jNS1_19radix_merge_compareILb0ELb1ExNS0_19identity_decomposerEEEEE10hipError_tT0_T1_T2_jT3_P12ihipStream_tbPNSt15iterator_traitsISI_E10value_typeEPNSO_ISJ_E10value_typeEPSK_NS1_7vsmem_tEENKUlT_SI_SJ_SK_E_clIPxSD_S10_SD_EESH_SX_SI_SJ_SK_EUlSX_E1_NS1_11comp_targetILNS1_3genE9ELNS1_11target_archE1100ELNS1_3gpuE3ELNS1_3repE0EEENS1_36merge_oddeven_config_static_selectorELNS0_4arch9wavefront6targetE1EEEvSJ_,@function
_ZN7rocprim17ROCPRIM_400000_NS6detail17trampoline_kernelINS0_14default_configENS1_38merge_sort_block_merge_config_selectorIxxEEZZNS1_27merge_sort_block_merge_implIS3_N6thrust23THRUST_200600_302600_NS6detail15normal_iteratorINS8_10device_ptrIxEEEESD_jNS1_19radix_merge_compareILb0ELb1ExNS0_19identity_decomposerEEEEE10hipError_tT0_T1_T2_jT3_P12ihipStream_tbPNSt15iterator_traitsISI_E10value_typeEPNSO_ISJ_E10value_typeEPSK_NS1_7vsmem_tEENKUlT_SI_SJ_SK_E_clIPxSD_S10_SD_EESH_SX_SI_SJ_SK_EUlSX_E1_NS1_11comp_targetILNS1_3genE9ELNS1_11target_archE1100ELNS1_3gpuE3ELNS1_3repE0EEENS1_36merge_oddeven_config_static_selectorELNS0_4arch9wavefront6targetE1EEEvSJ_: ; @_ZN7rocprim17ROCPRIM_400000_NS6detail17trampoline_kernelINS0_14default_configENS1_38merge_sort_block_merge_config_selectorIxxEEZZNS1_27merge_sort_block_merge_implIS3_N6thrust23THRUST_200600_302600_NS6detail15normal_iteratorINS8_10device_ptrIxEEEESD_jNS1_19radix_merge_compareILb0ELb1ExNS0_19identity_decomposerEEEEE10hipError_tT0_T1_T2_jT3_P12ihipStream_tbPNSt15iterator_traitsISI_E10value_typeEPNSO_ISJ_E10value_typeEPSK_NS1_7vsmem_tEENKUlT_SI_SJ_SK_E_clIPxSD_S10_SD_EESH_SX_SI_SJ_SK_EUlSX_E1_NS1_11comp_targetILNS1_3genE9ELNS1_11target_archE1100ELNS1_3gpuE3ELNS1_3repE0EEENS1_36merge_oddeven_config_static_selectorELNS0_4arch9wavefront6targetE1EEEvSJ_
; %bb.0:
	.section	.rodata,"a",@progbits
	.p2align	6, 0x0
	.amdhsa_kernel _ZN7rocprim17ROCPRIM_400000_NS6detail17trampoline_kernelINS0_14default_configENS1_38merge_sort_block_merge_config_selectorIxxEEZZNS1_27merge_sort_block_merge_implIS3_N6thrust23THRUST_200600_302600_NS6detail15normal_iteratorINS8_10device_ptrIxEEEESD_jNS1_19radix_merge_compareILb0ELb1ExNS0_19identity_decomposerEEEEE10hipError_tT0_T1_T2_jT3_P12ihipStream_tbPNSt15iterator_traitsISI_E10value_typeEPNSO_ISJ_E10value_typeEPSK_NS1_7vsmem_tEENKUlT_SI_SJ_SK_E_clIPxSD_S10_SD_EESH_SX_SI_SJ_SK_EUlSX_E1_NS1_11comp_targetILNS1_3genE9ELNS1_11target_archE1100ELNS1_3gpuE3ELNS1_3repE0EEENS1_36merge_oddeven_config_static_selectorELNS0_4arch9wavefront6targetE1EEEvSJ_
		.amdhsa_group_segment_fixed_size 0
		.amdhsa_private_segment_fixed_size 0
		.amdhsa_kernarg_size 48
		.amdhsa_user_sgpr_count 2
		.amdhsa_user_sgpr_dispatch_ptr 0
		.amdhsa_user_sgpr_queue_ptr 0
		.amdhsa_user_sgpr_kernarg_segment_ptr 1
		.amdhsa_user_sgpr_dispatch_id 0
		.amdhsa_user_sgpr_kernarg_preload_length 0
		.amdhsa_user_sgpr_kernarg_preload_offset 0
		.amdhsa_user_sgpr_private_segment_size 0
		.amdhsa_uses_dynamic_stack 0
		.amdhsa_enable_private_segment 0
		.amdhsa_system_sgpr_workgroup_id_x 1
		.amdhsa_system_sgpr_workgroup_id_y 0
		.amdhsa_system_sgpr_workgroup_id_z 0
		.amdhsa_system_sgpr_workgroup_info 0
		.amdhsa_system_vgpr_workitem_id 0
		.amdhsa_next_free_vgpr 1
		.amdhsa_next_free_sgpr 0
		.amdhsa_accum_offset 4
		.amdhsa_reserve_vcc 0
		.amdhsa_float_round_mode_32 0
		.amdhsa_float_round_mode_16_64 0
		.amdhsa_float_denorm_mode_32 3
		.amdhsa_float_denorm_mode_16_64 3
		.amdhsa_dx10_clamp 1
		.amdhsa_ieee_mode 1
		.amdhsa_fp16_overflow 0
		.amdhsa_tg_split 0
		.amdhsa_exception_fp_ieee_invalid_op 0
		.amdhsa_exception_fp_denorm_src 0
		.amdhsa_exception_fp_ieee_div_zero 0
		.amdhsa_exception_fp_ieee_overflow 0
		.amdhsa_exception_fp_ieee_underflow 0
		.amdhsa_exception_fp_ieee_inexact 0
		.amdhsa_exception_int_div_zero 0
	.end_amdhsa_kernel
	.section	.text._ZN7rocprim17ROCPRIM_400000_NS6detail17trampoline_kernelINS0_14default_configENS1_38merge_sort_block_merge_config_selectorIxxEEZZNS1_27merge_sort_block_merge_implIS3_N6thrust23THRUST_200600_302600_NS6detail15normal_iteratorINS8_10device_ptrIxEEEESD_jNS1_19radix_merge_compareILb0ELb1ExNS0_19identity_decomposerEEEEE10hipError_tT0_T1_T2_jT3_P12ihipStream_tbPNSt15iterator_traitsISI_E10value_typeEPNSO_ISJ_E10value_typeEPSK_NS1_7vsmem_tEENKUlT_SI_SJ_SK_E_clIPxSD_S10_SD_EESH_SX_SI_SJ_SK_EUlSX_E1_NS1_11comp_targetILNS1_3genE9ELNS1_11target_archE1100ELNS1_3gpuE3ELNS1_3repE0EEENS1_36merge_oddeven_config_static_selectorELNS0_4arch9wavefront6targetE1EEEvSJ_,"axG",@progbits,_ZN7rocprim17ROCPRIM_400000_NS6detail17trampoline_kernelINS0_14default_configENS1_38merge_sort_block_merge_config_selectorIxxEEZZNS1_27merge_sort_block_merge_implIS3_N6thrust23THRUST_200600_302600_NS6detail15normal_iteratorINS8_10device_ptrIxEEEESD_jNS1_19radix_merge_compareILb0ELb1ExNS0_19identity_decomposerEEEEE10hipError_tT0_T1_T2_jT3_P12ihipStream_tbPNSt15iterator_traitsISI_E10value_typeEPNSO_ISJ_E10value_typeEPSK_NS1_7vsmem_tEENKUlT_SI_SJ_SK_E_clIPxSD_S10_SD_EESH_SX_SI_SJ_SK_EUlSX_E1_NS1_11comp_targetILNS1_3genE9ELNS1_11target_archE1100ELNS1_3gpuE3ELNS1_3repE0EEENS1_36merge_oddeven_config_static_selectorELNS0_4arch9wavefront6targetE1EEEvSJ_,comdat
.Lfunc_end1144:
	.size	_ZN7rocprim17ROCPRIM_400000_NS6detail17trampoline_kernelINS0_14default_configENS1_38merge_sort_block_merge_config_selectorIxxEEZZNS1_27merge_sort_block_merge_implIS3_N6thrust23THRUST_200600_302600_NS6detail15normal_iteratorINS8_10device_ptrIxEEEESD_jNS1_19radix_merge_compareILb0ELb1ExNS0_19identity_decomposerEEEEE10hipError_tT0_T1_T2_jT3_P12ihipStream_tbPNSt15iterator_traitsISI_E10value_typeEPNSO_ISJ_E10value_typeEPSK_NS1_7vsmem_tEENKUlT_SI_SJ_SK_E_clIPxSD_S10_SD_EESH_SX_SI_SJ_SK_EUlSX_E1_NS1_11comp_targetILNS1_3genE9ELNS1_11target_archE1100ELNS1_3gpuE3ELNS1_3repE0EEENS1_36merge_oddeven_config_static_selectorELNS0_4arch9wavefront6targetE1EEEvSJ_, .Lfunc_end1144-_ZN7rocprim17ROCPRIM_400000_NS6detail17trampoline_kernelINS0_14default_configENS1_38merge_sort_block_merge_config_selectorIxxEEZZNS1_27merge_sort_block_merge_implIS3_N6thrust23THRUST_200600_302600_NS6detail15normal_iteratorINS8_10device_ptrIxEEEESD_jNS1_19radix_merge_compareILb0ELb1ExNS0_19identity_decomposerEEEEE10hipError_tT0_T1_T2_jT3_P12ihipStream_tbPNSt15iterator_traitsISI_E10value_typeEPNSO_ISJ_E10value_typeEPSK_NS1_7vsmem_tEENKUlT_SI_SJ_SK_E_clIPxSD_S10_SD_EESH_SX_SI_SJ_SK_EUlSX_E1_NS1_11comp_targetILNS1_3genE9ELNS1_11target_archE1100ELNS1_3gpuE3ELNS1_3repE0EEENS1_36merge_oddeven_config_static_selectorELNS0_4arch9wavefront6targetE1EEEvSJ_
                                        ; -- End function
	.set _ZN7rocprim17ROCPRIM_400000_NS6detail17trampoline_kernelINS0_14default_configENS1_38merge_sort_block_merge_config_selectorIxxEEZZNS1_27merge_sort_block_merge_implIS3_N6thrust23THRUST_200600_302600_NS6detail15normal_iteratorINS8_10device_ptrIxEEEESD_jNS1_19radix_merge_compareILb0ELb1ExNS0_19identity_decomposerEEEEE10hipError_tT0_T1_T2_jT3_P12ihipStream_tbPNSt15iterator_traitsISI_E10value_typeEPNSO_ISJ_E10value_typeEPSK_NS1_7vsmem_tEENKUlT_SI_SJ_SK_E_clIPxSD_S10_SD_EESH_SX_SI_SJ_SK_EUlSX_E1_NS1_11comp_targetILNS1_3genE9ELNS1_11target_archE1100ELNS1_3gpuE3ELNS1_3repE0EEENS1_36merge_oddeven_config_static_selectorELNS0_4arch9wavefront6targetE1EEEvSJ_.num_vgpr, 0
	.set _ZN7rocprim17ROCPRIM_400000_NS6detail17trampoline_kernelINS0_14default_configENS1_38merge_sort_block_merge_config_selectorIxxEEZZNS1_27merge_sort_block_merge_implIS3_N6thrust23THRUST_200600_302600_NS6detail15normal_iteratorINS8_10device_ptrIxEEEESD_jNS1_19radix_merge_compareILb0ELb1ExNS0_19identity_decomposerEEEEE10hipError_tT0_T1_T2_jT3_P12ihipStream_tbPNSt15iterator_traitsISI_E10value_typeEPNSO_ISJ_E10value_typeEPSK_NS1_7vsmem_tEENKUlT_SI_SJ_SK_E_clIPxSD_S10_SD_EESH_SX_SI_SJ_SK_EUlSX_E1_NS1_11comp_targetILNS1_3genE9ELNS1_11target_archE1100ELNS1_3gpuE3ELNS1_3repE0EEENS1_36merge_oddeven_config_static_selectorELNS0_4arch9wavefront6targetE1EEEvSJ_.num_agpr, 0
	.set _ZN7rocprim17ROCPRIM_400000_NS6detail17trampoline_kernelINS0_14default_configENS1_38merge_sort_block_merge_config_selectorIxxEEZZNS1_27merge_sort_block_merge_implIS3_N6thrust23THRUST_200600_302600_NS6detail15normal_iteratorINS8_10device_ptrIxEEEESD_jNS1_19radix_merge_compareILb0ELb1ExNS0_19identity_decomposerEEEEE10hipError_tT0_T1_T2_jT3_P12ihipStream_tbPNSt15iterator_traitsISI_E10value_typeEPNSO_ISJ_E10value_typeEPSK_NS1_7vsmem_tEENKUlT_SI_SJ_SK_E_clIPxSD_S10_SD_EESH_SX_SI_SJ_SK_EUlSX_E1_NS1_11comp_targetILNS1_3genE9ELNS1_11target_archE1100ELNS1_3gpuE3ELNS1_3repE0EEENS1_36merge_oddeven_config_static_selectorELNS0_4arch9wavefront6targetE1EEEvSJ_.numbered_sgpr, 0
	.set _ZN7rocprim17ROCPRIM_400000_NS6detail17trampoline_kernelINS0_14default_configENS1_38merge_sort_block_merge_config_selectorIxxEEZZNS1_27merge_sort_block_merge_implIS3_N6thrust23THRUST_200600_302600_NS6detail15normal_iteratorINS8_10device_ptrIxEEEESD_jNS1_19radix_merge_compareILb0ELb1ExNS0_19identity_decomposerEEEEE10hipError_tT0_T1_T2_jT3_P12ihipStream_tbPNSt15iterator_traitsISI_E10value_typeEPNSO_ISJ_E10value_typeEPSK_NS1_7vsmem_tEENKUlT_SI_SJ_SK_E_clIPxSD_S10_SD_EESH_SX_SI_SJ_SK_EUlSX_E1_NS1_11comp_targetILNS1_3genE9ELNS1_11target_archE1100ELNS1_3gpuE3ELNS1_3repE0EEENS1_36merge_oddeven_config_static_selectorELNS0_4arch9wavefront6targetE1EEEvSJ_.num_named_barrier, 0
	.set _ZN7rocprim17ROCPRIM_400000_NS6detail17trampoline_kernelINS0_14default_configENS1_38merge_sort_block_merge_config_selectorIxxEEZZNS1_27merge_sort_block_merge_implIS3_N6thrust23THRUST_200600_302600_NS6detail15normal_iteratorINS8_10device_ptrIxEEEESD_jNS1_19radix_merge_compareILb0ELb1ExNS0_19identity_decomposerEEEEE10hipError_tT0_T1_T2_jT3_P12ihipStream_tbPNSt15iterator_traitsISI_E10value_typeEPNSO_ISJ_E10value_typeEPSK_NS1_7vsmem_tEENKUlT_SI_SJ_SK_E_clIPxSD_S10_SD_EESH_SX_SI_SJ_SK_EUlSX_E1_NS1_11comp_targetILNS1_3genE9ELNS1_11target_archE1100ELNS1_3gpuE3ELNS1_3repE0EEENS1_36merge_oddeven_config_static_selectorELNS0_4arch9wavefront6targetE1EEEvSJ_.private_seg_size, 0
	.set _ZN7rocprim17ROCPRIM_400000_NS6detail17trampoline_kernelINS0_14default_configENS1_38merge_sort_block_merge_config_selectorIxxEEZZNS1_27merge_sort_block_merge_implIS3_N6thrust23THRUST_200600_302600_NS6detail15normal_iteratorINS8_10device_ptrIxEEEESD_jNS1_19radix_merge_compareILb0ELb1ExNS0_19identity_decomposerEEEEE10hipError_tT0_T1_T2_jT3_P12ihipStream_tbPNSt15iterator_traitsISI_E10value_typeEPNSO_ISJ_E10value_typeEPSK_NS1_7vsmem_tEENKUlT_SI_SJ_SK_E_clIPxSD_S10_SD_EESH_SX_SI_SJ_SK_EUlSX_E1_NS1_11comp_targetILNS1_3genE9ELNS1_11target_archE1100ELNS1_3gpuE3ELNS1_3repE0EEENS1_36merge_oddeven_config_static_selectorELNS0_4arch9wavefront6targetE1EEEvSJ_.uses_vcc, 0
	.set _ZN7rocprim17ROCPRIM_400000_NS6detail17trampoline_kernelINS0_14default_configENS1_38merge_sort_block_merge_config_selectorIxxEEZZNS1_27merge_sort_block_merge_implIS3_N6thrust23THRUST_200600_302600_NS6detail15normal_iteratorINS8_10device_ptrIxEEEESD_jNS1_19radix_merge_compareILb0ELb1ExNS0_19identity_decomposerEEEEE10hipError_tT0_T1_T2_jT3_P12ihipStream_tbPNSt15iterator_traitsISI_E10value_typeEPNSO_ISJ_E10value_typeEPSK_NS1_7vsmem_tEENKUlT_SI_SJ_SK_E_clIPxSD_S10_SD_EESH_SX_SI_SJ_SK_EUlSX_E1_NS1_11comp_targetILNS1_3genE9ELNS1_11target_archE1100ELNS1_3gpuE3ELNS1_3repE0EEENS1_36merge_oddeven_config_static_selectorELNS0_4arch9wavefront6targetE1EEEvSJ_.uses_flat_scratch, 0
	.set _ZN7rocprim17ROCPRIM_400000_NS6detail17trampoline_kernelINS0_14default_configENS1_38merge_sort_block_merge_config_selectorIxxEEZZNS1_27merge_sort_block_merge_implIS3_N6thrust23THRUST_200600_302600_NS6detail15normal_iteratorINS8_10device_ptrIxEEEESD_jNS1_19radix_merge_compareILb0ELb1ExNS0_19identity_decomposerEEEEE10hipError_tT0_T1_T2_jT3_P12ihipStream_tbPNSt15iterator_traitsISI_E10value_typeEPNSO_ISJ_E10value_typeEPSK_NS1_7vsmem_tEENKUlT_SI_SJ_SK_E_clIPxSD_S10_SD_EESH_SX_SI_SJ_SK_EUlSX_E1_NS1_11comp_targetILNS1_3genE9ELNS1_11target_archE1100ELNS1_3gpuE3ELNS1_3repE0EEENS1_36merge_oddeven_config_static_selectorELNS0_4arch9wavefront6targetE1EEEvSJ_.has_dyn_sized_stack, 0
	.set _ZN7rocprim17ROCPRIM_400000_NS6detail17trampoline_kernelINS0_14default_configENS1_38merge_sort_block_merge_config_selectorIxxEEZZNS1_27merge_sort_block_merge_implIS3_N6thrust23THRUST_200600_302600_NS6detail15normal_iteratorINS8_10device_ptrIxEEEESD_jNS1_19radix_merge_compareILb0ELb1ExNS0_19identity_decomposerEEEEE10hipError_tT0_T1_T2_jT3_P12ihipStream_tbPNSt15iterator_traitsISI_E10value_typeEPNSO_ISJ_E10value_typeEPSK_NS1_7vsmem_tEENKUlT_SI_SJ_SK_E_clIPxSD_S10_SD_EESH_SX_SI_SJ_SK_EUlSX_E1_NS1_11comp_targetILNS1_3genE9ELNS1_11target_archE1100ELNS1_3gpuE3ELNS1_3repE0EEENS1_36merge_oddeven_config_static_selectorELNS0_4arch9wavefront6targetE1EEEvSJ_.has_recursion, 0
	.set _ZN7rocprim17ROCPRIM_400000_NS6detail17trampoline_kernelINS0_14default_configENS1_38merge_sort_block_merge_config_selectorIxxEEZZNS1_27merge_sort_block_merge_implIS3_N6thrust23THRUST_200600_302600_NS6detail15normal_iteratorINS8_10device_ptrIxEEEESD_jNS1_19radix_merge_compareILb0ELb1ExNS0_19identity_decomposerEEEEE10hipError_tT0_T1_T2_jT3_P12ihipStream_tbPNSt15iterator_traitsISI_E10value_typeEPNSO_ISJ_E10value_typeEPSK_NS1_7vsmem_tEENKUlT_SI_SJ_SK_E_clIPxSD_S10_SD_EESH_SX_SI_SJ_SK_EUlSX_E1_NS1_11comp_targetILNS1_3genE9ELNS1_11target_archE1100ELNS1_3gpuE3ELNS1_3repE0EEENS1_36merge_oddeven_config_static_selectorELNS0_4arch9wavefront6targetE1EEEvSJ_.has_indirect_call, 0
	.section	.AMDGPU.csdata,"",@progbits
; Kernel info:
; codeLenInByte = 0
; TotalNumSgprs: 6
; NumVgprs: 0
; NumAgprs: 0
; TotalNumVgprs: 0
; ScratchSize: 0
; MemoryBound: 0
; FloatMode: 240
; IeeeMode: 1
; LDSByteSize: 0 bytes/workgroup (compile time only)
; SGPRBlocks: 0
; VGPRBlocks: 0
; NumSGPRsForWavesPerEU: 6
; NumVGPRsForWavesPerEU: 1
; AccumOffset: 4
; Occupancy: 8
; WaveLimiterHint : 0
; COMPUTE_PGM_RSRC2:SCRATCH_EN: 0
; COMPUTE_PGM_RSRC2:USER_SGPR: 2
; COMPUTE_PGM_RSRC2:TRAP_HANDLER: 0
; COMPUTE_PGM_RSRC2:TGID_X_EN: 1
; COMPUTE_PGM_RSRC2:TGID_Y_EN: 0
; COMPUTE_PGM_RSRC2:TGID_Z_EN: 0
; COMPUTE_PGM_RSRC2:TIDIG_COMP_CNT: 0
; COMPUTE_PGM_RSRC3_GFX90A:ACCUM_OFFSET: 0
; COMPUTE_PGM_RSRC3_GFX90A:TG_SPLIT: 0
	.section	.text._ZN7rocprim17ROCPRIM_400000_NS6detail17trampoline_kernelINS0_14default_configENS1_38merge_sort_block_merge_config_selectorIxxEEZZNS1_27merge_sort_block_merge_implIS3_N6thrust23THRUST_200600_302600_NS6detail15normal_iteratorINS8_10device_ptrIxEEEESD_jNS1_19radix_merge_compareILb0ELb1ExNS0_19identity_decomposerEEEEE10hipError_tT0_T1_T2_jT3_P12ihipStream_tbPNSt15iterator_traitsISI_E10value_typeEPNSO_ISJ_E10value_typeEPSK_NS1_7vsmem_tEENKUlT_SI_SJ_SK_E_clIPxSD_S10_SD_EESH_SX_SI_SJ_SK_EUlSX_E1_NS1_11comp_targetILNS1_3genE8ELNS1_11target_archE1030ELNS1_3gpuE2ELNS1_3repE0EEENS1_36merge_oddeven_config_static_selectorELNS0_4arch9wavefront6targetE1EEEvSJ_,"axG",@progbits,_ZN7rocprim17ROCPRIM_400000_NS6detail17trampoline_kernelINS0_14default_configENS1_38merge_sort_block_merge_config_selectorIxxEEZZNS1_27merge_sort_block_merge_implIS3_N6thrust23THRUST_200600_302600_NS6detail15normal_iteratorINS8_10device_ptrIxEEEESD_jNS1_19radix_merge_compareILb0ELb1ExNS0_19identity_decomposerEEEEE10hipError_tT0_T1_T2_jT3_P12ihipStream_tbPNSt15iterator_traitsISI_E10value_typeEPNSO_ISJ_E10value_typeEPSK_NS1_7vsmem_tEENKUlT_SI_SJ_SK_E_clIPxSD_S10_SD_EESH_SX_SI_SJ_SK_EUlSX_E1_NS1_11comp_targetILNS1_3genE8ELNS1_11target_archE1030ELNS1_3gpuE2ELNS1_3repE0EEENS1_36merge_oddeven_config_static_selectorELNS0_4arch9wavefront6targetE1EEEvSJ_,comdat
	.protected	_ZN7rocprim17ROCPRIM_400000_NS6detail17trampoline_kernelINS0_14default_configENS1_38merge_sort_block_merge_config_selectorIxxEEZZNS1_27merge_sort_block_merge_implIS3_N6thrust23THRUST_200600_302600_NS6detail15normal_iteratorINS8_10device_ptrIxEEEESD_jNS1_19radix_merge_compareILb0ELb1ExNS0_19identity_decomposerEEEEE10hipError_tT0_T1_T2_jT3_P12ihipStream_tbPNSt15iterator_traitsISI_E10value_typeEPNSO_ISJ_E10value_typeEPSK_NS1_7vsmem_tEENKUlT_SI_SJ_SK_E_clIPxSD_S10_SD_EESH_SX_SI_SJ_SK_EUlSX_E1_NS1_11comp_targetILNS1_3genE8ELNS1_11target_archE1030ELNS1_3gpuE2ELNS1_3repE0EEENS1_36merge_oddeven_config_static_selectorELNS0_4arch9wavefront6targetE1EEEvSJ_ ; -- Begin function _ZN7rocprim17ROCPRIM_400000_NS6detail17trampoline_kernelINS0_14default_configENS1_38merge_sort_block_merge_config_selectorIxxEEZZNS1_27merge_sort_block_merge_implIS3_N6thrust23THRUST_200600_302600_NS6detail15normal_iteratorINS8_10device_ptrIxEEEESD_jNS1_19radix_merge_compareILb0ELb1ExNS0_19identity_decomposerEEEEE10hipError_tT0_T1_T2_jT3_P12ihipStream_tbPNSt15iterator_traitsISI_E10value_typeEPNSO_ISJ_E10value_typeEPSK_NS1_7vsmem_tEENKUlT_SI_SJ_SK_E_clIPxSD_S10_SD_EESH_SX_SI_SJ_SK_EUlSX_E1_NS1_11comp_targetILNS1_3genE8ELNS1_11target_archE1030ELNS1_3gpuE2ELNS1_3repE0EEENS1_36merge_oddeven_config_static_selectorELNS0_4arch9wavefront6targetE1EEEvSJ_
	.globl	_ZN7rocprim17ROCPRIM_400000_NS6detail17trampoline_kernelINS0_14default_configENS1_38merge_sort_block_merge_config_selectorIxxEEZZNS1_27merge_sort_block_merge_implIS3_N6thrust23THRUST_200600_302600_NS6detail15normal_iteratorINS8_10device_ptrIxEEEESD_jNS1_19radix_merge_compareILb0ELb1ExNS0_19identity_decomposerEEEEE10hipError_tT0_T1_T2_jT3_P12ihipStream_tbPNSt15iterator_traitsISI_E10value_typeEPNSO_ISJ_E10value_typeEPSK_NS1_7vsmem_tEENKUlT_SI_SJ_SK_E_clIPxSD_S10_SD_EESH_SX_SI_SJ_SK_EUlSX_E1_NS1_11comp_targetILNS1_3genE8ELNS1_11target_archE1030ELNS1_3gpuE2ELNS1_3repE0EEENS1_36merge_oddeven_config_static_selectorELNS0_4arch9wavefront6targetE1EEEvSJ_
	.p2align	8
	.type	_ZN7rocprim17ROCPRIM_400000_NS6detail17trampoline_kernelINS0_14default_configENS1_38merge_sort_block_merge_config_selectorIxxEEZZNS1_27merge_sort_block_merge_implIS3_N6thrust23THRUST_200600_302600_NS6detail15normal_iteratorINS8_10device_ptrIxEEEESD_jNS1_19radix_merge_compareILb0ELb1ExNS0_19identity_decomposerEEEEE10hipError_tT0_T1_T2_jT3_P12ihipStream_tbPNSt15iterator_traitsISI_E10value_typeEPNSO_ISJ_E10value_typeEPSK_NS1_7vsmem_tEENKUlT_SI_SJ_SK_E_clIPxSD_S10_SD_EESH_SX_SI_SJ_SK_EUlSX_E1_NS1_11comp_targetILNS1_3genE8ELNS1_11target_archE1030ELNS1_3gpuE2ELNS1_3repE0EEENS1_36merge_oddeven_config_static_selectorELNS0_4arch9wavefront6targetE1EEEvSJ_,@function
_ZN7rocprim17ROCPRIM_400000_NS6detail17trampoline_kernelINS0_14default_configENS1_38merge_sort_block_merge_config_selectorIxxEEZZNS1_27merge_sort_block_merge_implIS3_N6thrust23THRUST_200600_302600_NS6detail15normal_iteratorINS8_10device_ptrIxEEEESD_jNS1_19radix_merge_compareILb0ELb1ExNS0_19identity_decomposerEEEEE10hipError_tT0_T1_T2_jT3_P12ihipStream_tbPNSt15iterator_traitsISI_E10value_typeEPNSO_ISJ_E10value_typeEPSK_NS1_7vsmem_tEENKUlT_SI_SJ_SK_E_clIPxSD_S10_SD_EESH_SX_SI_SJ_SK_EUlSX_E1_NS1_11comp_targetILNS1_3genE8ELNS1_11target_archE1030ELNS1_3gpuE2ELNS1_3repE0EEENS1_36merge_oddeven_config_static_selectorELNS0_4arch9wavefront6targetE1EEEvSJ_: ; @_ZN7rocprim17ROCPRIM_400000_NS6detail17trampoline_kernelINS0_14default_configENS1_38merge_sort_block_merge_config_selectorIxxEEZZNS1_27merge_sort_block_merge_implIS3_N6thrust23THRUST_200600_302600_NS6detail15normal_iteratorINS8_10device_ptrIxEEEESD_jNS1_19radix_merge_compareILb0ELb1ExNS0_19identity_decomposerEEEEE10hipError_tT0_T1_T2_jT3_P12ihipStream_tbPNSt15iterator_traitsISI_E10value_typeEPNSO_ISJ_E10value_typeEPSK_NS1_7vsmem_tEENKUlT_SI_SJ_SK_E_clIPxSD_S10_SD_EESH_SX_SI_SJ_SK_EUlSX_E1_NS1_11comp_targetILNS1_3genE8ELNS1_11target_archE1030ELNS1_3gpuE2ELNS1_3repE0EEENS1_36merge_oddeven_config_static_selectorELNS0_4arch9wavefront6targetE1EEEvSJ_
; %bb.0:
	.section	.rodata,"a",@progbits
	.p2align	6, 0x0
	.amdhsa_kernel _ZN7rocprim17ROCPRIM_400000_NS6detail17trampoline_kernelINS0_14default_configENS1_38merge_sort_block_merge_config_selectorIxxEEZZNS1_27merge_sort_block_merge_implIS3_N6thrust23THRUST_200600_302600_NS6detail15normal_iteratorINS8_10device_ptrIxEEEESD_jNS1_19radix_merge_compareILb0ELb1ExNS0_19identity_decomposerEEEEE10hipError_tT0_T1_T2_jT3_P12ihipStream_tbPNSt15iterator_traitsISI_E10value_typeEPNSO_ISJ_E10value_typeEPSK_NS1_7vsmem_tEENKUlT_SI_SJ_SK_E_clIPxSD_S10_SD_EESH_SX_SI_SJ_SK_EUlSX_E1_NS1_11comp_targetILNS1_3genE8ELNS1_11target_archE1030ELNS1_3gpuE2ELNS1_3repE0EEENS1_36merge_oddeven_config_static_selectorELNS0_4arch9wavefront6targetE1EEEvSJ_
		.amdhsa_group_segment_fixed_size 0
		.amdhsa_private_segment_fixed_size 0
		.amdhsa_kernarg_size 48
		.amdhsa_user_sgpr_count 2
		.amdhsa_user_sgpr_dispatch_ptr 0
		.amdhsa_user_sgpr_queue_ptr 0
		.amdhsa_user_sgpr_kernarg_segment_ptr 1
		.amdhsa_user_sgpr_dispatch_id 0
		.amdhsa_user_sgpr_kernarg_preload_length 0
		.amdhsa_user_sgpr_kernarg_preload_offset 0
		.amdhsa_user_sgpr_private_segment_size 0
		.amdhsa_uses_dynamic_stack 0
		.amdhsa_enable_private_segment 0
		.amdhsa_system_sgpr_workgroup_id_x 1
		.amdhsa_system_sgpr_workgroup_id_y 0
		.amdhsa_system_sgpr_workgroup_id_z 0
		.amdhsa_system_sgpr_workgroup_info 0
		.amdhsa_system_vgpr_workitem_id 0
		.amdhsa_next_free_vgpr 1
		.amdhsa_next_free_sgpr 0
		.amdhsa_accum_offset 4
		.amdhsa_reserve_vcc 0
		.amdhsa_float_round_mode_32 0
		.amdhsa_float_round_mode_16_64 0
		.amdhsa_float_denorm_mode_32 3
		.amdhsa_float_denorm_mode_16_64 3
		.amdhsa_dx10_clamp 1
		.amdhsa_ieee_mode 1
		.amdhsa_fp16_overflow 0
		.amdhsa_tg_split 0
		.amdhsa_exception_fp_ieee_invalid_op 0
		.amdhsa_exception_fp_denorm_src 0
		.amdhsa_exception_fp_ieee_div_zero 0
		.amdhsa_exception_fp_ieee_overflow 0
		.amdhsa_exception_fp_ieee_underflow 0
		.amdhsa_exception_fp_ieee_inexact 0
		.amdhsa_exception_int_div_zero 0
	.end_amdhsa_kernel
	.section	.text._ZN7rocprim17ROCPRIM_400000_NS6detail17trampoline_kernelINS0_14default_configENS1_38merge_sort_block_merge_config_selectorIxxEEZZNS1_27merge_sort_block_merge_implIS3_N6thrust23THRUST_200600_302600_NS6detail15normal_iteratorINS8_10device_ptrIxEEEESD_jNS1_19radix_merge_compareILb0ELb1ExNS0_19identity_decomposerEEEEE10hipError_tT0_T1_T2_jT3_P12ihipStream_tbPNSt15iterator_traitsISI_E10value_typeEPNSO_ISJ_E10value_typeEPSK_NS1_7vsmem_tEENKUlT_SI_SJ_SK_E_clIPxSD_S10_SD_EESH_SX_SI_SJ_SK_EUlSX_E1_NS1_11comp_targetILNS1_3genE8ELNS1_11target_archE1030ELNS1_3gpuE2ELNS1_3repE0EEENS1_36merge_oddeven_config_static_selectorELNS0_4arch9wavefront6targetE1EEEvSJ_,"axG",@progbits,_ZN7rocprim17ROCPRIM_400000_NS6detail17trampoline_kernelINS0_14default_configENS1_38merge_sort_block_merge_config_selectorIxxEEZZNS1_27merge_sort_block_merge_implIS3_N6thrust23THRUST_200600_302600_NS6detail15normal_iteratorINS8_10device_ptrIxEEEESD_jNS1_19radix_merge_compareILb0ELb1ExNS0_19identity_decomposerEEEEE10hipError_tT0_T1_T2_jT3_P12ihipStream_tbPNSt15iterator_traitsISI_E10value_typeEPNSO_ISJ_E10value_typeEPSK_NS1_7vsmem_tEENKUlT_SI_SJ_SK_E_clIPxSD_S10_SD_EESH_SX_SI_SJ_SK_EUlSX_E1_NS1_11comp_targetILNS1_3genE8ELNS1_11target_archE1030ELNS1_3gpuE2ELNS1_3repE0EEENS1_36merge_oddeven_config_static_selectorELNS0_4arch9wavefront6targetE1EEEvSJ_,comdat
.Lfunc_end1145:
	.size	_ZN7rocprim17ROCPRIM_400000_NS6detail17trampoline_kernelINS0_14default_configENS1_38merge_sort_block_merge_config_selectorIxxEEZZNS1_27merge_sort_block_merge_implIS3_N6thrust23THRUST_200600_302600_NS6detail15normal_iteratorINS8_10device_ptrIxEEEESD_jNS1_19radix_merge_compareILb0ELb1ExNS0_19identity_decomposerEEEEE10hipError_tT0_T1_T2_jT3_P12ihipStream_tbPNSt15iterator_traitsISI_E10value_typeEPNSO_ISJ_E10value_typeEPSK_NS1_7vsmem_tEENKUlT_SI_SJ_SK_E_clIPxSD_S10_SD_EESH_SX_SI_SJ_SK_EUlSX_E1_NS1_11comp_targetILNS1_3genE8ELNS1_11target_archE1030ELNS1_3gpuE2ELNS1_3repE0EEENS1_36merge_oddeven_config_static_selectorELNS0_4arch9wavefront6targetE1EEEvSJ_, .Lfunc_end1145-_ZN7rocprim17ROCPRIM_400000_NS6detail17trampoline_kernelINS0_14default_configENS1_38merge_sort_block_merge_config_selectorIxxEEZZNS1_27merge_sort_block_merge_implIS3_N6thrust23THRUST_200600_302600_NS6detail15normal_iteratorINS8_10device_ptrIxEEEESD_jNS1_19radix_merge_compareILb0ELb1ExNS0_19identity_decomposerEEEEE10hipError_tT0_T1_T2_jT3_P12ihipStream_tbPNSt15iterator_traitsISI_E10value_typeEPNSO_ISJ_E10value_typeEPSK_NS1_7vsmem_tEENKUlT_SI_SJ_SK_E_clIPxSD_S10_SD_EESH_SX_SI_SJ_SK_EUlSX_E1_NS1_11comp_targetILNS1_3genE8ELNS1_11target_archE1030ELNS1_3gpuE2ELNS1_3repE0EEENS1_36merge_oddeven_config_static_selectorELNS0_4arch9wavefront6targetE1EEEvSJ_
                                        ; -- End function
	.set _ZN7rocprim17ROCPRIM_400000_NS6detail17trampoline_kernelINS0_14default_configENS1_38merge_sort_block_merge_config_selectorIxxEEZZNS1_27merge_sort_block_merge_implIS3_N6thrust23THRUST_200600_302600_NS6detail15normal_iteratorINS8_10device_ptrIxEEEESD_jNS1_19radix_merge_compareILb0ELb1ExNS0_19identity_decomposerEEEEE10hipError_tT0_T1_T2_jT3_P12ihipStream_tbPNSt15iterator_traitsISI_E10value_typeEPNSO_ISJ_E10value_typeEPSK_NS1_7vsmem_tEENKUlT_SI_SJ_SK_E_clIPxSD_S10_SD_EESH_SX_SI_SJ_SK_EUlSX_E1_NS1_11comp_targetILNS1_3genE8ELNS1_11target_archE1030ELNS1_3gpuE2ELNS1_3repE0EEENS1_36merge_oddeven_config_static_selectorELNS0_4arch9wavefront6targetE1EEEvSJ_.num_vgpr, 0
	.set _ZN7rocprim17ROCPRIM_400000_NS6detail17trampoline_kernelINS0_14default_configENS1_38merge_sort_block_merge_config_selectorIxxEEZZNS1_27merge_sort_block_merge_implIS3_N6thrust23THRUST_200600_302600_NS6detail15normal_iteratorINS8_10device_ptrIxEEEESD_jNS1_19radix_merge_compareILb0ELb1ExNS0_19identity_decomposerEEEEE10hipError_tT0_T1_T2_jT3_P12ihipStream_tbPNSt15iterator_traitsISI_E10value_typeEPNSO_ISJ_E10value_typeEPSK_NS1_7vsmem_tEENKUlT_SI_SJ_SK_E_clIPxSD_S10_SD_EESH_SX_SI_SJ_SK_EUlSX_E1_NS1_11comp_targetILNS1_3genE8ELNS1_11target_archE1030ELNS1_3gpuE2ELNS1_3repE0EEENS1_36merge_oddeven_config_static_selectorELNS0_4arch9wavefront6targetE1EEEvSJ_.num_agpr, 0
	.set _ZN7rocprim17ROCPRIM_400000_NS6detail17trampoline_kernelINS0_14default_configENS1_38merge_sort_block_merge_config_selectorIxxEEZZNS1_27merge_sort_block_merge_implIS3_N6thrust23THRUST_200600_302600_NS6detail15normal_iteratorINS8_10device_ptrIxEEEESD_jNS1_19radix_merge_compareILb0ELb1ExNS0_19identity_decomposerEEEEE10hipError_tT0_T1_T2_jT3_P12ihipStream_tbPNSt15iterator_traitsISI_E10value_typeEPNSO_ISJ_E10value_typeEPSK_NS1_7vsmem_tEENKUlT_SI_SJ_SK_E_clIPxSD_S10_SD_EESH_SX_SI_SJ_SK_EUlSX_E1_NS1_11comp_targetILNS1_3genE8ELNS1_11target_archE1030ELNS1_3gpuE2ELNS1_3repE0EEENS1_36merge_oddeven_config_static_selectorELNS0_4arch9wavefront6targetE1EEEvSJ_.numbered_sgpr, 0
	.set _ZN7rocprim17ROCPRIM_400000_NS6detail17trampoline_kernelINS0_14default_configENS1_38merge_sort_block_merge_config_selectorIxxEEZZNS1_27merge_sort_block_merge_implIS3_N6thrust23THRUST_200600_302600_NS6detail15normal_iteratorINS8_10device_ptrIxEEEESD_jNS1_19radix_merge_compareILb0ELb1ExNS0_19identity_decomposerEEEEE10hipError_tT0_T1_T2_jT3_P12ihipStream_tbPNSt15iterator_traitsISI_E10value_typeEPNSO_ISJ_E10value_typeEPSK_NS1_7vsmem_tEENKUlT_SI_SJ_SK_E_clIPxSD_S10_SD_EESH_SX_SI_SJ_SK_EUlSX_E1_NS1_11comp_targetILNS1_3genE8ELNS1_11target_archE1030ELNS1_3gpuE2ELNS1_3repE0EEENS1_36merge_oddeven_config_static_selectorELNS0_4arch9wavefront6targetE1EEEvSJ_.num_named_barrier, 0
	.set _ZN7rocprim17ROCPRIM_400000_NS6detail17trampoline_kernelINS0_14default_configENS1_38merge_sort_block_merge_config_selectorIxxEEZZNS1_27merge_sort_block_merge_implIS3_N6thrust23THRUST_200600_302600_NS6detail15normal_iteratorINS8_10device_ptrIxEEEESD_jNS1_19radix_merge_compareILb0ELb1ExNS0_19identity_decomposerEEEEE10hipError_tT0_T1_T2_jT3_P12ihipStream_tbPNSt15iterator_traitsISI_E10value_typeEPNSO_ISJ_E10value_typeEPSK_NS1_7vsmem_tEENKUlT_SI_SJ_SK_E_clIPxSD_S10_SD_EESH_SX_SI_SJ_SK_EUlSX_E1_NS1_11comp_targetILNS1_3genE8ELNS1_11target_archE1030ELNS1_3gpuE2ELNS1_3repE0EEENS1_36merge_oddeven_config_static_selectorELNS0_4arch9wavefront6targetE1EEEvSJ_.private_seg_size, 0
	.set _ZN7rocprim17ROCPRIM_400000_NS6detail17trampoline_kernelINS0_14default_configENS1_38merge_sort_block_merge_config_selectorIxxEEZZNS1_27merge_sort_block_merge_implIS3_N6thrust23THRUST_200600_302600_NS6detail15normal_iteratorINS8_10device_ptrIxEEEESD_jNS1_19radix_merge_compareILb0ELb1ExNS0_19identity_decomposerEEEEE10hipError_tT0_T1_T2_jT3_P12ihipStream_tbPNSt15iterator_traitsISI_E10value_typeEPNSO_ISJ_E10value_typeEPSK_NS1_7vsmem_tEENKUlT_SI_SJ_SK_E_clIPxSD_S10_SD_EESH_SX_SI_SJ_SK_EUlSX_E1_NS1_11comp_targetILNS1_3genE8ELNS1_11target_archE1030ELNS1_3gpuE2ELNS1_3repE0EEENS1_36merge_oddeven_config_static_selectorELNS0_4arch9wavefront6targetE1EEEvSJ_.uses_vcc, 0
	.set _ZN7rocprim17ROCPRIM_400000_NS6detail17trampoline_kernelINS0_14default_configENS1_38merge_sort_block_merge_config_selectorIxxEEZZNS1_27merge_sort_block_merge_implIS3_N6thrust23THRUST_200600_302600_NS6detail15normal_iteratorINS8_10device_ptrIxEEEESD_jNS1_19radix_merge_compareILb0ELb1ExNS0_19identity_decomposerEEEEE10hipError_tT0_T1_T2_jT3_P12ihipStream_tbPNSt15iterator_traitsISI_E10value_typeEPNSO_ISJ_E10value_typeEPSK_NS1_7vsmem_tEENKUlT_SI_SJ_SK_E_clIPxSD_S10_SD_EESH_SX_SI_SJ_SK_EUlSX_E1_NS1_11comp_targetILNS1_3genE8ELNS1_11target_archE1030ELNS1_3gpuE2ELNS1_3repE0EEENS1_36merge_oddeven_config_static_selectorELNS0_4arch9wavefront6targetE1EEEvSJ_.uses_flat_scratch, 0
	.set _ZN7rocprim17ROCPRIM_400000_NS6detail17trampoline_kernelINS0_14default_configENS1_38merge_sort_block_merge_config_selectorIxxEEZZNS1_27merge_sort_block_merge_implIS3_N6thrust23THRUST_200600_302600_NS6detail15normal_iteratorINS8_10device_ptrIxEEEESD_jNS1_19radix_merge_compareILb0ELb1ExNS0_19identity_decomposerEEEEE10hipError_tT0_T1_T2_jT3_P12ihipStream_tbPNSt15iterator_traitsISI_E10value_typeEPNSO_ISJ_E10value_typeEPSK_NS1_7vsmem_tEENKUlT_SI_SJ_SK_E_clIPxSD_S10_SD_EESH_SX_SI_SJ_SK_EUlSX_E1_NS1_11comp_targetILNS1_3genE8ELNS1_11target_archE1030ELNS1_3gpuE2ELNS1_3repE0EEENS1_36merge_oddeven_config_static_selectorELNS0_4arch9wavefront6targetE1EEEvSJ_.has_dyn_sized_stack, 0
	.set _ZN7rocprim17ROCPRIM_400000_NS6detail17trampoline_kernelINS0_14default_configENS1_38merge_sort_block_merge_config_selectorIxxEEZZNS1_27merge_sort_block_merge_implIS3_N6thrust23THRUST_200600_302600_NS6detail15normal_iteratorINS8_10device_ptrIxEEEESD_jNS1_19radix_merge_compareILb0ELb1ExNS0_19identity_decomposerEEEEE10hipError_tT0_T1_T2_jT3_P12ihipStream_tbPNSt15iterator_traitsISI_E10value_typeEPNSO_ISJ_E10value_typeEPSK_NS1_7vsmem_tEENKUlT_SI_SJ_SK_E_clIPxSD_S10_SD_EESH_SX_SI_SJ_SK_EUlSX_E1_NS1_11comp_targetILNS1_3genE8ELNS1_11target_archE1030ELNS1_3gpuE2ELNS1_3repE0EEENS1_36merge_oddeven_config_static_selectorELNS0_4arch9wavefront6targetE1EEEvSJ_.has_recursion, 0
	.set _ZN7rocprim17ROCPRIM_400000_NS6detail17trampoline_kernelINS0_14default_configENS1_38merge_sort_block_merge_config_selectorIxxEEZZNS1_27merge_sort_block_merge_implIS3_N6thrust23THRUST_200600_302600_NS6detail15normal_iteratorINS8_10device_ptrIxEEEESD_jNS1_19radix_merge_compareILb0ELb1ExNS0_19identity_decomposerEEEEE10hipError_tT0_T1_T2_jT3_P12ihipStream_tbPNSt15iterator_traitsISI_E10value_typeEPNSO_ISJ_E10value_typeEPSK_NS1_7vsmem_tEENKUlT_SI_SJ_SK_E_clIPxSD_S10_SD_EESH_SX_SI_SJ_SK_EUlSX_E1_NS1_11comp_targetILNS1_3genE8ELNS1_11target_archE1030ELNS1_3gpuE2ELNS1_3repE0EEENS1_36merge_oddeven_config_static_selectorELNS0_4arch9wavefront6targetE1EEEvSJ_.has_indirect_call, 0
	.section	.AMDGPU.csdata,"",@progbits
; Kernel info:
; codeLenInByte = 0
; TotalNumSgprs: 6
; NumVgprs: 0
; NumAgprs: 0
; TotalNumVgprs: 0
; ScratchSize: 0
; MemoryBound: 0
; FloatMode: 240
; IeeeMode: 1
; LDSByteSize: 0 bytes/workgroup (compile time only)
; SGPRBlocks: 0
; VGPRBlocks: 0
; NumSGPRsForWavesPerEU: 6
; NumVGPRsForWavesPerEU: 1
; AccumOffset: 4
; Occupancy: 8
; WaveLimiterHint : 0
; COMPUTE_PGM_RSRC2:SCRATCH_EN: 0
; COMPUTE_PGM_RSRC2:USER_SGPR: 2
; COMPUTE_PGM_RSRC2:TRAP_HANDLER: 0
; COMPUTE_PGM_RSRC2:TGID_X_EN: 1
; COMPUTE_PGM_RSRC2:TGID_Y_EN: 0
; COMPUTE_PGM_RSRC2:TGID_Z_EN: 0
; COMPUTE_PGM_RSRC2:TIDIG_COMP_CNT: 0
; COMPUTE_PGM_RSRC3_GFX90A:ACCUM_OFFSET: 0
; COMPUTE_PGM_RSRC3_GFX90A:TG_SPLIT: 0
	.section	.text._ZN7rocprim17ROCPRIM_400000_NS6detail17trampoline_kernelINS0_14default_configENS1_38merge_sort_block_merge_config_selectorIxxEEZZNS1_27merge_sort_block_merge_implIS3_N6thrust23THRUST_200600_302600_NS6detail15normal_iteratorINS8_10device_ptrIxEEEESD_jNS1_19radix_merge_compareILb0ELb1ExNS0_19identity_decomposerEEEEE10hipError_tT0_T1_T2_jT3_P12ihipStream_tbPNSt15iterator_traitsISI_E10value_typeEPNSO_ISJ_E10value_typeEPSK_NS1_7vsmem_tEENKUlT_SI_SJ_SK_E_clISD_PxSD_S10_EESH_SX_SI_SJ_SK_EUlSX_E_NS1_11comp_targetILNS1_3genE0ELNS1_11target_archE4294967295ELNS1_3gpuE0ELNS1_3repE0EEENS1_48merge_mergepath_partition_config_static_selectorELNS0_4arch9wavefront6targetE1EEEvSJ_,"axG",@progbits,_ZN7rocprim17ROCPRIM_400000_NS6detail17trampoline_kernelINS0_14default_configENS1_38merge_sort_block_merge_config_selectorIxxEEZZNS1_27merge_sort_block_merge_implIS3_N6thrust23THRUST_200600_302600_NS6detail15normal_iteratorINS8_10device_ptrIxEEEESD_jNS1_19radix_merge_compareILb0ELb1ExNS0_19identity_decomposerEEEEE10hipError_tT0_T1_T2_jT3_P12ihipStream_tbPNSt15iterator_traitsISI_E10value_typeEPNSO_ISJ_E10value_typeEPSK_NS1_7vsmem_tEENKUlT_SI_SJ_SK_E_clISD_PxSD_S10_EESH_SX_SI_SJ_SK_EUlSX_E_NS1_11comp_targetILNS1_3genE0ELNS1_11target_archE4294967295ELNS1_3gpuE0ELNS1_3repE0EEENS1_48merge_mergepath_partition_config_static_selectorELNS0_4arch9wavefront6targetE1EEEvSJ_,comdat
	.protected	_ZN7rocprim17ROCPRIM_400000_NS6detail17trampoline_kernelINS0_14default_configENS1_38merge_sort_block_merge_config_selectorIxxEEZZNS1_27merge_sort_block_merge_implIS3_N6thrust23THRUST_200600_302600_NS6detail15normal_iteratorINS8_10device_ptrIxEEEESD_jNS1_19radix_merge_compareILb0ELb1ExNS0_19identity_decomposerEEEEE10hipError_tT0_T1_T2_jT3_P12ihipStream_tbPNSt15iterator_traitsISI_E10value_typeEPNSO_ISJ_E10value_typeEPSK_NS1_7vsmem_tEENKUlT_SI_SJ_SK_E_clISD_PxSD_S10_EESH_SX_SI_SJ_SK_EUlSX_E_NS1_11comp_targetILNS1_3genE0ELNS1_11target_archE4294967295ELNS1_3gpuE0ELNS1_3repE0EEENS1_48merge_mergepath_partition_config_static_selectorELNS0_4arch9wavefront6targetE1EEEvSJ_ ; -- Begin function _ZN7rocprim17ROCPRIM_400000_NS6detail17trampoline_kernelINS0_14default_configENS1_38merge_sort_block_merge_config_selectorIxxEEZZNS1_27merge_sort_block_merge_implIS3_N6thrust23THRUST_200600_302600_NS6detail15normal_iteratorINS8_10device_ptrIxEEEESD_jNS1_19radix_merge_compareILb0ELb1ExNS0_19identity_decomposerEEEEE10hipError_tT0_T1_T2_jT3_P12ihipStream_tbPNSt15iterator_traitsISI_E10value_typeEPNSO_ISJ_E10value_typeEPSK_NS1_7vsmem_tEENKUlT_SI_SJ_SK_E_clISD_PxSD_S10_EESH_SX_SI_SJ_SK_EUlSX_E_NS1_11comp_targetILNS1_3genE0ELNS1_11target_archE4294967295ELNS1_3gpuE0ELNS1_3repE0EEENS1_48merge_mergepath_partition_config_static_selectorELNS0_4arch9wavefront6targetE1EEEvSJ_
	.globl	_ZN7rocprim17ROCPRIM_400000_NS6detail17trampoline_kernelINS0_14default_configENS1_38merge_sort_block_merge_config_selectorIxxEEZZNS1_27merge_sort_block_merge_implIS3_N6thrust23THRUST_200600_302600_NS6detail15normal_iteratorINS8_10device_ptrIxEEEESD_jNS1_19radix_merge_compareILb0ELb1ExNS0_19identity_decomposerEEEEE10hipError_tT0_T1_T2_jT3_P12ihipStream_tbPNSt15iterator_traitsISI_E10value_typeEPNSO_ISJ_E10value_typeEPSK_NS1_7vsmem_tEENKUlT_SI_SJ_SK_E_clISD_PxSD_S10_EESH_SX_SI_SJ_SK_EUlSX_E_NS1_11comp_targetILNS1_3genE0ELNS1_11target_archE4294967295ELNS1_3gpuE0ELNS1_3repE0EEENS1_48merge_mergepath_partition_config_static_selectorELNS0_4arch9wavefront6targetE1EEEvSJ_
	.p2align	8
	.type	_ZN7rocprim17ROCPRIM_400000_NS6detail17trampoline_kernelINS0_14default_configENS1_38merge_sort_block_merge_config_selectorIxxEEZZNS1_27merge_sort_block_merge_implIS3_N6thrust23THRUST_200600_302600_NS6detail15normal_iteratorINS8_10device_ptrIxEEEESD_jNS1_19radix_merge_compareILb0ELb1ExNS0_19identity_decomposerEEEEE10hipError_tT0_T1_T2_jT3_P12ihipStream_tbPNSt15iterator_traitsISI_E10value_typeEPNSO_ISJ_E10value_typeEPSK_NS1_7vsmem_tEENKUlT_SI_SJ_SK_E_clISD_PxSD_S10_EESH_SX_SI_SJ_SK_EUlSX_E_NS1_11comp_targetILNS1_3genE0ELNS1_11target_archE4294967295ELNS1_3gpuE0ELNS1_3repE0EEENS1_48merge_mergepath_partition_config_static_selectorELNS0_4arch9wavefront6targetE1EEEvSJ_,@function
_ZN7rocprim17ROCPRIM_400000_NS6detail17trampoline_kernelINS0_14default_configENS1_38merge_sort_block_merge_config_selectorIxxEEZZNS1_27merge_sort_block_merge_implIS3_N6thrust23THRUST_200600_302600_NS6detail15normal_iteratorINS8_10device_ptrIxEEEESD_jNS1_19radix_merge_compareILb0ELb1ExNS0_19identity_decomposerEEEEE10hipError_tT0_T1_T2_jT3_P12ihipStream_tbPNSt15iterator_traitsISI_E10value_typeEPNSO_ISJ_E10value_typeEPSK_NS1_7vsmem_tEENKUlT_SI_SJ_SK_E_clISD_PxSD_S10_EESH_SX_SI_SJ_SK_EUlSX_E_NS1_11comp_targetILNS1_3genE0ELNS1_11target_archE4294967295ELNS1_3gpuE0ELNS1_3repE0EEENS1_48merge_mergepath_partition_config_static_selectorELNS0_4arch9wavefront6targetE1EEEvSJ_: ; @_ZN7rocprim17ROCPRIM_400000_NS6detail17trampoline_kernelINS0_14default_configENS1_38merge_sort_block_merge_config_selectorIxxEEZZNS1_27merge_sort_block_merge_implIS3_N6thrust23THRUST_200600_302600_NS6detail15normal_iteratorINS8_10device_ptrIxEEEESD_jNS1_19radix_merge_compareILb0ELb1ExNS0_19identity_decomposerEEEEE10hipError_tT0_T1_T2_jT3_P12ihipStream_tbPNSt15iterator_traitsISI_E10value_typeEPNSO_ISJ_E10value_typeEPSK_NS1_7vsmem_tEENKUlT_SI_SJ_SK_E_clISD_PxSD_S10_EESH_SX_SI_SJ_SK_EUlSX_E_NS1_11comp_targetILNS1_3genE0ELNS1_11target_archE4294967295ELNS1_3gpuE0ELNS1_3repE0EEENS1_48merge_mergepath_partition_config_static_selectorELNS0_4arch9wavefront6targetE1EEEvSJ_
; %bb.0:
	s_load_dword s3, s[0:1], 0x0
	v_lshl_or_b32 v0, s2, 7, v0
	s_waitcnt lgkmcnt(0)
	v_cmp_gt_u32_e32 vcc, s3, v0
	s_and_saveexec_b64 s[2:3], vcc
	s_cbranch_execz .LBB1146_6
; %bb.1:
	s_load_dwordx2 s[2:3], s[0:1], 0x4
	s_load_dwordx4 s[4:7], s[0:1], 0x18
	s_waitcnt lgkmcnt(0)
	s_lshr_b32 s8, s2, 9
	s_and_b32 s8, s8, 0x7ffffe
	s_add_i32 s9, s8, -1
	s_sub_i32 s8, 0, s8
	v_and_b32_e32 v1, s8, v0
	v_lshlrev_b32_e32 v1, 10, v1
	v_min_u32_e32 v2, s3, v1
	v_add_u32_e32 v1, s2, v1
	v_min_u32_e32 v4, s3, v1
	v_add_u32_e32 v1, s2, v4
	v_and_b32_e32 v3, s9, v0
	v_min_u32_e32 v1, s3, v1
	v_sub_u32_e32 v5, v1, v2
	v_lshlrev_b32_e32 v3, 10, v3
	v_min_u32_e32 v10, v5, v3
	v_sub_u32_e32 v3, v4, v2
	v_sub_u32_e32 v1, v1, v4
	v_sub_u32_e64 v1, v10, v1 clamp
	v_min_u32_e32 v11, v10, v3
	v_cmp_lt_u32_e32 vcc, v1, v11
	s_and_saveexec_b64 s[2:3], vcc
	s_cbranch_execz .LBB1146_5
; %bb.2:
	s_load_dwordx2 s[0:1], s[0:1], 0x10
	v_mov_b32_e32 v5, 0
	v_mov_b32_e32 v3, v5
	s_waitcnt lgkmcnt(0)
	v_lshl_add_u64 v[6:7], v[2:3], 3, s[0:1]
	v_lshl_add_u64 v[8:9], v[4:5], 3, s[0:1]
	s_mov_b64 s[0:1], 0
.LBB1146_3:                             ; =>This Inner Loop Header: Depth=1
	v_add_u32_e32 v3, v11, v1
	v_lshrrev_b32_e32 v4, 1, v3
	v_mov_b32_e32 v13, v5
	v_xad_u32 v12, v4, -1, v10
	v_lshl_add_u64 v[14:15], v[4:5], 3, v[6:7]
	v_lshl_add_u64 v[12:13], v[12:13], 3, v[8:9]
	flat_load_dwordx2 v[14:15], v[14:15]
	v_add_u32_e32 v3, 1, v4
	flat_load_dwordx2 v[12:13], v[12:13]
	s_waitcnt vmcnt(0) lgkmcnt(0)
	v_and_b32_e32 v15, s5, v15
	v_and_b32_e32 v14, s4, v14
	;; [unrolled: 1-line block ×4, first 2 shown]
	v_cmp_gt_i64_e32 vcc, v[14:15], v[12:13]
	s_nop 1
	v_cndmask_b32_e32 v11, v11, v4, vcc
	v_cndmask_b32_e32 v1, v3, v1, vcc
	v_cmp_ge_u32_e32 vcc, v1, v11
	s_or_b64 s[0:1], vcc, s[0:1]
	s_andn2_b64 exec, exec, s[0:1]
	s_cbranch_execnz .LBB1146_3
; %bb.4:
	s_or_b64 exec, exec, s[0:1]
.LBB1146_5:
	s_or_b64 exec, exec, s[2:3]
	v_mov_b32_e32 v4, s6
	v_mov_b32_e32 v5, s7
	v_add_u32_e32 v2, v1, v2
	v_mov_b32_e32 v1, 0
	v_lshl_add_u64 v[0:1], v[0:1], 2, v[4:5]
	global_store_dword v[0:1], v2, off
.LBB1146_6:
	s_endpgm
	.section	.rodata,"a",@progbits
	.p2align	6, 0x0
	.amdhsa_kernel _ZN7rocprim17ROCPRIM_400000_NS6detail17trampoline_kernelINS0_14default_configENS1_38merge_sort_block_merge_config_selectorIxxEEZZNS1_27merge_sort_block_merge_implIS3_N6thrust23THRUST_200600_302600_NS6detail15normal_iteratorINS8_10device_ptrIxEEEESD_jNS1_19radix_merge_compareILb0ELb1ExNS0_19identity_decomposerEEEEE10hipError_tT0_T1_T2_jT3_P12ihipStream_tbPNSt15iterator_traitsISI_E10value_typeEPNSO_ISJ_E10value_typeEPSK_NS1_7vsmem_tEENKUlT_SI_SJ_SK_E_clISD_PxSD_S10_EESH_SX_SI_SJ_SK_EUlSX_E_NS1_11comp_targetILNS1_3genE0ELNS1_11target_archE4294967295ELNS1_3gpuE0ELNS1_3repE0EEENS1_48merge_mergepath_partition_config_static_selectorELNS0_4arch9wavefront6targetE1EEEvSJ_
		.amdhsa_group_segment_fixed_size 0
		.amdhsa_private_segment_fixed_size 0
		.amdhsa_kernarg_size 40
		.amdhsa_user_sgpr_count 2
		.amdhsa_user_sgpr_dispatch_ptr 0
		.amdhsa_user_sgpr_queue_ptr 0
		.amdhsa_user_sgpr_kernarg_segment_ptr 1
		.amdhsa_user_sgpr_dispatch_id 0
		.amdhsa_user_sgpr_kernarg_preload_length 0
		.amdhsa_user_sgpr_kernarg_preload_offset 0
		.amdhsa_user_sgpr_private_segment_size 0
		.amdhsa_uses_dynamic_stack 0
		.amdhsa_enable_private_segment 0
		.amdhsa_system_sgpr_workgroup_id_x 1
		.amdhsa_system_sgpr_workgroup_id_y 0
		.amdhsa_system_sgpr_workgroup_id_z 0
		.amdhsa_system_sgpr_workgroup_info 0
		.amdhsa_system_vgpr_workitem_id 0
		.amdhsa_next_free_vgpr 16
		.amdhsa_next_free_sgpr 10
		.amdhsa_accum_offset 16
		.amdhsa_reserve_vcc 1
		.amdhsa_float_round_mode_32 0
		.amdhsa_float_round_mode_16_64 0
		.amdhsa_float_denorm_mode_32 3
		.amdhsa_float_denorm_mode_16_64 3
		.amdhsa_dx10_clamp 1
		.amdhsa_ieee_mode 1
		.amdhsa_fp16_overflow 0
		.amdhsa_tg_split 0
		.amdhsa_exception_fp_ieee_invalid_op 0
		.amdhsa_exception_fp_denorm_src 0
		.amdhsa_exception_fp_ieee_div_zero 0
		.amdhsa_exception_fp_ieee_overflow 0
		.amdhsa_exception_fp_ieee_underflow 0
		.amdhsa_exception_fp_ieee_inexact 0
		.amdhsa_exception_int_div_zero 0
	.end_amdhsa_kernel
	.section	.text._ZN7rocprim17ROCPRIM_400000_NS6detail17trampoline_kernelINS0_14default_configENS1_38merge_sort_block_merge_config_selectorIxxEEZZNS1_27merge_sort_block_merge_implIS3_N6thrust23THRUST_200600_302600_NS6detail15normal_iteratorINS8_10device_ptrIxEEEESD_jNS1_19radix_merge_compareILb0ELb1ExNS0_19identity_decomposerEEEEE10hipError_tT0_T1_T2_jT3_P12ihipStream_tbPNSt15iterator_traitsISI_E10value_typeEPNSO_ISJ_E10value_typeEPSK_NS1_7vsmem_tEENKUlT_SI_SJ_SK_E_clISD_PxSD_S10_EESH_SX_SI_SJ_SK_EUlSX_E_NS1_11comp_targetILNS1_3genE0ELNS1_11target_archE4294967295ELNS1_3gpuE0ELNS1_3repE0EEENS1_48merge_mergepath_partition_config_static_selectorELNS0_4arch9wavefront6targetE1EEEvSJ_,"axG",@progbits,_ZN7rocprim17ROCPRIM_400000_NS6detail17trampoline_kernelINS0_14default_configENS1_38merge_sort_block_merge_config_selectorIxxEEZZNS1_27merge_sort_block_merge_implIS3_N6thrust23THRUST_200600_302600_NS6detail15normal_iteratorINS8_10device_ptrIxEEEESD_jNS1_19radix_merge_compareILb0ELb1ExNS0_19identity_decomposerEEEEE10hipError_tT0_T1_T2_jT3_P12ihipStream_tbPNSt15iterator_traitsISI_E10value_typeEPNSO_ISJ_E10value_typeEPSK_NS1_7vsmem_tEENKUlT_SI_SJ_SK_E_clISD_PxSD_S10_EESH_SX_SI_SJ_SK_EUlSX_E_NS1_11comp_targetILNS1_3genE0ELNS1_11target_archE4294967295ELNS1_3gpuE0ELNS1_3repE0EEENS1_48merge_mergepath_partition_config_static_selectorELNS0_4arch9wavefront6targetE1EEEvSJ_,comdat
.Lfunc_end1146:
	.size	_ZN7rocprim17ROCPRIM_400000_NS6detail17trampoline_kernelINS0_14default_configENS1_38merge_sort_block_merge_config_selectorIxxEEZZNS1_27merge_sort_block_merge_implIS3_N6thrust23THRUST_200600_302600_NS6detail15normal_iteratorINS8_10device_ptrIxEEEESD_jNS1_19radix_merge_compareILb0ELb1ExNS0_19identity_decomposerEEEEE10hipError_tT0_T1_T2_jT3_P12ihipStream_tbPNSt15iterator_traitsISI_E10value_typeEPNSO_ISJ_E10value_typeEPSK_NS1_7vsmem_tEENKUlT_SI_SJ_SK_E_clISD_PxSD_S10_EESH_SX_SI_SJ_SK_EUlSX_E_NS1_11comp_targetILNS1_3genE0ELNS1_11target_archE4294967295ELNS1_3gpuE0ELNS1_3repE0EEENS1_48merge_mergepath_partition_config_static_selectorELNS0_4arch9wavefront6targetE1EEEvSJ_, .Lfunc_end1146-_ZN7rocprim17ROCPRIM_400000_NS6detail17trampoline_kernelINS0_14default_configENS1_38merge_sort_block_merge_config_selectorIxxEEZZNS1_27merge_sort_block_merge_implIS3_N6thrust23THRUST_200600_302600_NS6detail15normal_iteratorINS8_10device_ptrIxEEEESD_jNS1_19radix_merge_compareILb0ELb1ExNS0_19identity_decomposerEEEEE10hipError_tT0_T1_T2_jT3_P12ihipStream_tbPNSt15iterator_traitsISI_E10value_typeEPNSO_ISJ_E10value_typeEPSK_NS1_7vsmem_tEENKUlT_SI_SJ_SK_E_clISD_PxSD_S10_EESH_SX_SI_SJ_SK_EUlSX_E_NS1_11comp_targetILNS1_3genE0ELNS1_11target_archE4294967295ELNS1_3gpuE0ELNS1_3repE0EEENS1_48merge_mergepath_partition_config_static_selectorELNS0_4arch9wavefront6targetE1EEEvSJ_
                                        ; -- End function
	.set _ZN7rocprim17ROCPRIM_400000_NS6detail17trampoline_kernelINS0_14default_configENS1_38merge_sort_block_merge_config_selectorIxxEEZZNS1_27merge_sort_block_merge_implIS3_N6thrust23THRUST_200600_302600_NS6detail15normal_iteratorINS8_10device_ptrIxEEEESD_jNS1_19radix_merge_compareILb0ELb1ExNS0_19identity_decomposerEEEEE10hipError_tT0_T1_T2_jT3_P12ihipStream_tbPNSt15iterator_traitsISI_E10value_typeEPNSO_ISJ_E10value_typeEPSK_NS1_7vsmem_tEENKUlT_SI_SJ_SK_E_clISD_PxSD_S10_EESH_SX_SI_SJ_SK_EUlSX_E_NS1_11comp_targetILNS1_3genE0ELNS1_11target_archE4294967295ELNS1_3gpuE0ELNS1_3repE0EEENS1_48merge_mergepath_partition_config_static_selectorELNS0_4arch9wavefront6targetE1EEEvSJ_.num_vgpr, 16
	.set _ZN7rocprim17ROCPRIM_400000_NS6detail17trampoline_kernelINS0_14default_configENS1_38merge_sort_block_merge_config_selectorIxxEEZZNS1_27merge_sort_block_merge_implIS3_N6thrust23THRUST_200600_302600_NS6detail15normal_iteratorINS8_10device_ptrIxEEEESD_jNS1_19radix_merge_compareILb0ELb1ExNS0_19identity_decomposerEEEEE10hipError_tT0_T1_T2_jT3_P12ihipStream_tbPNSt15iterator_traitsISI_E10value_typeEPNSO_ISJ_E10value_typeEPSK_NS1_7vsmem_tEENKUlT_SI_SJ_SK_E_clISD_PxSD_S10_EESH_SX_SI_SJ_SK_EUlSX_E_NS1_11comp_targetILNS1_3genE0ELNS1_11target_archE4294967295ELNS1_3gpuE0ELNS1_3repE0EEENS1_48merge_mergepath_partition_config_static_selectorELNS0_4arch9wavefront6targetE1EEEvSJ_.num_agpr, 0
	.set _ZN7rocprim17ROCPRIM_400000_NS6detail17trampoline_kernelINS0_14default_configENS1_38merge_sort_block_merge_config_selectorIxxEEZZNS1_27merge_sort_block_merge_implIS3_N6thrust23THRUST_200600_302600_NS6detail15normal_iteratorINS8_10device_ptrIxEEEESD_jNS1_19radix_merge_compareILb0ELb1ExNS0_19identity_decomposerEEEEE10hipError_tT0_T1_T2_jT3_P12ihipStream_tbPNSt15iterator_traitsISI_E10value_typeEPNSO_ISJ_E10value_typeEPSK_NS1_7vsmem_tEENKUlT_SI_SJ_SK_E_clISD_PxSD_S10_EESH_SX_SI_SJ_SK_EUlSX_E_NS1_11comp_targetILNS1_3genE0ELNS1_11target_archE4294967295ELNS1_3gpuE0ELNS1_3repE0EEENS1_48merge_mergepath_partition_config_static_selectorELNS0_4arch9wavefront6targetE1EEEvSJ_.numbered_sgpr, 10
	.set _ZN7rocprim17ROCPRIM_400000_NS6detail17trampoline_kernelINS0_14default_configENS1_38merge_sort_block_merge_config_selectorIxxEEZZNS1_27merge_sort_block_merge_implIS3_N6thrust23THRUST_200600_302600_NS6detail15normal_iteratorINS8_10device_ptrIxEEEESD_jNS1_19radix_merge_compareILb0ELb1ExNS0_19identity_decomposerEEEEE10hipError_tT0_T1_T2_jT3_P12ihipStream_tbPNSt15iterator_traitsISI_E10value_typeEPNSO_ISJ_E10value_typeEPSK_NS1_7vsmem_tEENKUlT_SI_SJ_SK_E_clISD_PxSD_S10_EESH_SX_SI_SJ_SK_EUlSX_E_NS1_11comp_targetILNS1_3genE0ELNS1_11target_archE4294967295ELNS1_3gpuE0ELNS1_3repE0EEENS1_48merge_mergepath_partition_config_static_selectorELNS0_4arch9wavefront6targetE1EEEvSJ_.num_named_barrier, 0
	.set _ZN7rocprim17ROCPRIM_400000_NS6detail17trampoline_kernelINS0_14default_configENS1_38merge_sort_block_merge_config_selectorIxxEEZZNS1_27merge_sort_block_merge_implIS3_N6thrust23THRUST_200600_302600_NS6detail15normal_iteratorINS8_10device_ptrIxEEEESD_jNS1_19radix_merge_compareILb0ELb1ExNS0_19identity_decomposerEEEEE10hipError_tT0_T1_T2_jT3_P12ihipStream_tbPNSt15iterator_traitsISI_E10value_typeEPNSO_ISJ_E10value_typeEPSK_NS1_7vsmem_tEENKUlT_SI_SJ_SK_E_clISD_PxSD_S10_EESH_SX_SI_SJ_SK_EUlSX_E_NS1_11comp_targetILNS1_3genE0ELNS1_11target_archE4294967295ELNS1_3gpuE0ELNS1_3repE0EEENS1_48merge_mergepath_partition_config_static_selectorELNS0_4arch9wavefront6targetE1EEEvSJ_.private_seg_size, 0
	.set _ZN7rocprim17ROCPRIM_400000_NS6detail17trampoline_kernelINS0_14default_configENS1_38merge_sort_block_merge_config_selectorIxxEEZZNS1_27merge_sort_block_merge_implIS3_N6thrust23THRUST_200600_302600_NS6detail15normal_iteratorINS8_10device_ptrIxEEEESD_jNS1_19radix_merge_compareILb0ELb1ExNS0_19identity_decomposerEEEEE10hipError_tT0_T1_T2_jT3_P12ihipStream_tbPNSt15iterator_traitsISI_E10value_typeEPNSO_ISJ_E10value_typeEPSK_NS1_7vsmem_tEENKUlT_SI_SJ_SK_E_clISD_PxSD_S10_EESH_SX_SI_SJ_SK_EUlSX_E_NS1_11comp_targetILNS1_3genE0ELNS1_11target_archE4294967295ELNS1_3gpuE0ELNS1_3repE0EEENS1_48merge_mergepath_partition_config_static_selectorELNS0_4arch9wavefront6targetE1EEEvSJ_.uses_vcc, 1
	.set _ZN7rocprim17ROCPRIM_400000_NS6detail17trampoline_kernelINS0_14default_configENS1_38merge_sort_block_merge_config_selectorIxxEEZZNS1_27merge_sort_block_merge_implIS3_N6thrust23THRUST_200600_302600_NS6detail15normal_iteratorINS8_10device_ptrIxEEEESD_jNS1_19radix_merge_compareILb0ELb1ExNS0_19identity_decomposerEEEEE10hipError_tT0_T1_T2_jT3_P12ihipStream_tbPNSt15iterator_traitsISI_E10value_typeEPNSO_ISJ_E10value_typeEPSK_NS1_7vsmem_tEENKUlT_SI_SJ_SK_E_clISD_PxSD_S10_EESH_SX_SI_SJ_SK_EUlSX_E_NS1_11comp_targetILNS1_3genE0ELNS1_11target_archE4294967295ELNS1_3gpuE0ELNS1_3repE0EEENS1_48merge_mergepath_partition_config_static_selectorELNS0_4arch9wavefront6targetE1EEEvSJ_.uses_flat_scratch, 0
	.set _ZN7rocprim17ROCPRIM_400000_NS6detail17trampoline_kernelINS0_14default_configENS1_38merge_sort_block_merge_config_selectorIxxEEZZNS1_27merge_sort_block_merge_implIS3_N6thrust23THRUST_200600_302600_NS6detail15normal_iteratorINS8_10device_ptrIxEEEESD_jNS1_19radix_merge_compareILb0ELb1ExNS0_19identity_decomposerEEEEE10hipError_tT0_T1_T2_jT3_P12ihipStream_tbPNSt15iterator_traitsISI_E10value_typeEPNSO_ISJ_E10value_typeEPSK_NS1_7vsmem_tEENKUlT_SI_SJ_SK_E_clISD_PxSD_S10_EESH_SX_SI_SJ_SK_EUlSX_E_NS1_11comp_targetILNS1_3genE0ELNS1_11target_archE4294967295ELNS1_3gpuE0ELNS1_3repE0EEENS1_48merge_mergepath_partition_config_static_selectorELNS0_4arch9wavefront6targetE1EEEvSJ_.has_dyn_sized_stack, 0
	.set _ZN7rocprim17ROCPRIM_400000_NS6detail17trampoline_kernelINS0_14default_configENS1_38merge_sort_block_merge_config_selectorIxxEEZZNS1_27merge_sort_block_merge_implIS3_N6thrust23THRUST_200600_302600_NS6detail15normal_iteratorINS8_10device_ptrIxEEEESD_jNS1_19radix_merge_compareILb0ELb1ExNS0_19identity_decomposerEEEEE10hipError_tT0_T1_T2_jT3_P12ihipStream_tbPNSt15iterator_traitsISI_E10value_typeEPNSO_ISJ_E10value_typeEPSK_NS1_7vsmem_tEENKUlT_SI_SJ_SK_E_clISD_PxSD_S10_EESH_SX_SI_SJ_SK_EUlSX_E_NS1_11comp_targetILNS1_3genE0ELNS1_11target_archE4294967295ELNS1_3gpuE0ELNS1_3repE0EEENS1_48merge_mergepath_partition_config_static_selectorELNS0_4arch9wavefront6targetE1EEEvSJ_.has_recursion, 0
	.set _ZN7rocprim17ROCPRIM_400000_NS6detail17trampoline_kernelINS0_14default_configENS1_38merge_sort_block_merge_config_selectorIxxEEZZNS1_27merge_sort_block_merge_implIS3_N6thrust23THRUST_200600_302600_NS6detail15normal_iteratorINS8_10device_ptrIxEEEESD_jNS1_19radix_merge_compareILb0ELb1ExNS0_19identity_decomposerEEEEE10hipError_tT0_T1_T2_jT3_P12ihipStream_tbPNSt15iterator_traitsISI_E10value_typeEPNSO_ISJ_E10value_typeEPSK_NS1_7vsmem_tEENKUlT_SI_SJ_SK_E_clISD_PxSD_S10_EESH_SX_SI_SJ_SK_EUlSX_E_NS1_11comp_targetILNS1_3genE0ELNS1_11target_archE4294967295ELNS1_3gpuE0ELNS1_3repE0EEENS1_48merge_mergepath_partition_config_static_selectorELNS0_4arch9wavefront6targetE1EEEvSJ_.has_indirect_call, 0
	.section	.AMDGPU.csdata,"",@progbits
; Kernel info:
; codeLenInByte = 340
; TotalNumSgprs: 16
; NumVgprs: 16
; NumAgprs: 0
; TotalNumVgprs: 16
; ScratchSize: 0
; MemoryBound: 0
; FloatMode: 240
; IeeeMode: 1
; LDSByteSize: 0 bytes/workgroup (compile time only)
; SGPRBlocks: 1
; VGPRBlocks: 1
; NumSGPRsForWavesPerEU: 16
; NumVGPRsForWavesPerEU: 16
; AccumOffset: 16
; Occupancy: 8
; WaveLimiterHint : 0
; COMPUTE_PGM_RSRC2:SCRATCH_EN: 0
; COMPUTE_PGM_RSRC2:USER_SGPR: 2
; COMPUTE_PGM_RSRC2:TRAP_HANDLER: 0
; COMPUTE_PGM_RSRC2:TGID_X_EN: 1
; COMPUTE_PGM_RSRC2:TGID_Y_EN: 0
; COMPUTE_PGM_RSRC2:TGID_Z_EN: 0
; COMPUTE_PGM_RSRC2:TIDIG_COMP_CNT: 0
; COMPUTE_PGM_RSRC3_GFX90A:ACCUM_OFFSET: 3
; COMPUTE_PGM_RSRC3_GFX90A:TG_SPLIT: 0
	.section	.text._ZN7rocprim17ROCPRIM_400000_NS6detail17trampoline_kernelINS0_14default_configENS1_38merge_sort_block_merge_config_selectorIxxEEZZNS1_27merge_sort_block_merge_implIS3_N6thrust23THRUST_200600_302600_NS6detail15normal_iteratorINS8_10device_ptrIxEEEESD_jNS1_19radix_merge_compareILb0ELb1ExNS0_19identity_decomposerEEEEE10hipError_tT0_T1_T2_jT3_P12ihipStream_tbPNSt15iterator_traitsISI_E10value_typeEPNSO_ISJ_E10value_typeEPSK_NS1_7vsmem_tEENKUlT_SI_SJ_SK_E_clISD_PxSD_S10_EESH_SX_SI_SJ_SK_EUlSX_E_NS1_11comp_targetILNS1_3genE10ELNS1_11target_archE1201ELNS1_3gpuE5ELNS1_3repE0EEENS1_48merge_mergepath_partition_config_static_selectorELNS0_4arch9wavefront6targetE1EEEvSJ_,"axG",@progbits,_ZN7rocprim17ROCPRIM_400000_NS6detail17trampoline_kernelINS0_14default_configENS1_38merge_sort_block_merge_config_selectorIxxEEZZNS1_27merge_sort_block_merge_implIS3_N6thrust23THRUST_200600_302600_NS6detail15normal_iteratorINS8_10device_ptrIxEEEESD_jNS1_19radix_merge_compareILb0ELb1ExNS0_19identity_decomposerEEEEE10hipError_tT0_T1_T2_jT3_P12ihipStream_tbPNSt15iterator_traitsISI_E10value_typeEPNSO_ISJ_E10value_typeEPSK_NS1_7vsmem_tEENKUlT_SI_SJ_SK_E_clISD_PxSD_S10_EESH_SX_SI_SJ_SK_EUlSX_E_NS1_11comp_targetILNS1_3genE10ELNS1_11target_archE1201ELNS1_3gpuE5ELNS1_3repE0EEENS1_48merge_mergepath_partition_config_static_selectorELNS0_4arch9wavefront6targetE1EEEvSJ_,comdat
	.protected	_ZN7rocprim17ROCPRIM_400000_NS6detail17trampoline_kernelINS0_14default_configENS1_38merge_sort_block_merge_config_selectorIxxEEZZNS1_27merge_sort_block_merge_implIS3_N6thrust23THRUST_200600_302600_NS6detail15normal_iteratorINS8_10device_ptrIxEEEESD_jNS1_19radix_merge_compareILb0ELb1ExNS0_19identity_decomposerEEEEE10hipError_tT0_T1_T2_jT3_P12ihipStream_tbPNSt15iterator_traitsISI_E10value_typeEPNSO_ISJ_E10value_typeEPSK_NS1_7vsmem_tEENKUlT_SI_SJ_SK_E_clISD_PxSD_S10_EESH_SX_SI_SJ_SK_EUlSX_E_NS1_11comp_targetILNS1_3genE10ELNS1_11target_archE1201ELNS1_3gpuE5ELNS1_3repE0EEENS1_48merge_mergepath_partition_config_static_selectorELNS0_4arch9wavefront6targetE1EEEvSJ_ ; -- Begin function _ZN7rocprim17ROCPRIM_400000_NS6detail17trampoline_kernelINS0_14default_configENS1_38merge_sort_block_merge_config_selectorIxxEEZZNS1_27merge_sort_block_merge_implIS3_N6thrust23THRUST_200600_302600_NS6detail15normal_iteratorINS8_10device_ptrIxEEEESD_jNS1_19radix_merge_compareILb0ELb1ExNS0_19identity_decomposerEEEEE10hipError_tT0_T1_T2_jT3_P12ihipStream_tbPNSt15iterator_traitsISI_E10value_typeEPNSO_ISJ_E10value_typeEPSK_NS1_7vsmem_tEENKUlT_SI_SJ_SK_E_clISD_PxSD_S10_EESH_SX_SI_SJ_SK_EUlSX_E_NS1_11comp_targetILNS1_3genE10ELNS1_11target_archE1201ELNS1_3gpuE5ELNS1_3repE0EEENS1_48merge_mergepath_partition_config_static_selectorELNS0_4arch9wavefront6targetE1EEEvSJ_
	.globl	_ZN7rocprim17ROCPRIM_400000_NS6detail17trampoline_kernelINS0_14default_configENS1_38merge_sort_block_merge_config_selectorIxxEEZZNS1_27merge_sort_block_merge_implIS3_N6thrust23THRUST_200600_302600_NS6detail15normal_iteratorINS8_10device_ptrIxEEEESD_jNS1_19radix_merge_compareILb0ELb1ExNS0_19identity_decomposerEEEEE10hipError_tT0_T1_T2_jT3_P12ihipStream_tbPNSt15iterator_traitsISI_E10value_typeEPNSO_ISJ_E10value_typeEPSK_NS1_7vsmem_tEENKUlT_SI_SJ_SK_E_clISD_PxSD_S10_EESH_SX_SI_SJ_SK_EUlSX_E_NS1_11comp_targetILNS1_3genE10ELNS1_11target_archE1201ELNS1_3gpuE5ELNS1_3repE0EEENS1_48merge_mergepath_partition_config_static_selectorELNS0_4arch9wavefront6targetE1EEEvSJ_
	.p2align	8
	.type	_ZN7rocprim17ROCPRIM_400000_NS6detail17trampoline_kernelINS0_14default_configENS1_38merge_sort_block_merge_config_selectorIxxEEZZNS1_27merge_sort_block_merge_implIS3_N6thrust23THRUST_200600_302600_NS6detail15normal_iteratorINS8_10device_ptrIxEEEESD_jNS1_19radix_merge_compareILb0ELb1ExNS0_19identity_decomposerEEEEE10hipError_tT0_T1_T2_jT3_P12ihipStream_tbPNSt15iterator_traitsISI_E10value_typeEPNSO_ISJ_E10value_typeEPSK_NS1_7vsmem_tEENKUlT_SI_SJ_SK_E_clISD_PxSD_S10_EESH_SX_SI_SJ_SK_EUlSX_E_NS1_11comp_targetILNS1_3genE10ELNS1_11target_archE1201ELNS1_3gpuE5ELNS1_3repE0EEENS1_48merge_mergepath_partition_config_static_selectorELNS0_4arch9wavefront6targetE1EEEvSJ_,@function
_ZN7rocprim17ROCPRIM_400000_NS6detail17trampoline_kernelINS0_14default_configENS1_38merge_sort_block_merge_config_selectorIxxEEZZNS1_27merge_sort_block_merge_implIS3_N6thrust23THRUST_200600_302600_NS6detail15normal_iteratorINS8_10device_ptrIxEEEESD_jNS1_19radix_merge_compareILb0ELb1ExNS0_19identity_decomposerEEEEE10hipError_tT0_T1_T2_jT3_P12ihipStream_tbPNSt15iterator_traitsISI_E10value_typeEPNSO_ISJ_E10value_typeEPSK_NS1_7vsmem_tEENKUlT_SI_SJ_SK_E_clISD_PxSD_S10_EESH_SX_SI_SJ_SK_EUlSX_E_NS1_11comp_targetILNS1_3genE10ELNS1_11target_archE1201ELNS1_3gpuE5ELNS1_3repE0EEENS1_48merge_mergepath_partition_config_static_selectorELNS0_4arch9wavefront6targetE1EEEvSJ_: ; @_ZN7rocprim17ROCPRIM_400000_NS6detail17trampoline_kernelINS0_14default_configENS1_38merge_sort_block_merge_config_selectorIxxEEZZNS1_27merge_sort_block_merge_implIS3_N6thrust23THRUST_200600_302600_NS6detail15normal_iteratorINS8_10device_ptrIxEEEESD_jNS1_19radix_merge_compareILb0ELb1ExNS0_19identity_decomposerEEEEE10hipError_tT0_T1_T2_jT3_P12ihipStream_tbPNSt15iterator_traitsISI_E10value_typeEPNSO_ISJ_E10value_typeEPSK_NS1_7vsmem_tEENKUlT_SI_SJ_SK_E_clISD_PxSD_S10_EESH_SX_SI_SJ_SK_EUlSX_E_NS1_11comp_targetILNS1_3genE10ELNS1_11target_archE1201ELNS1_3gpuE5ELNS1_3repE0EEENS1_48merge_mergepath_partition_config_static_selectorELNS0_4arch9wavefront6targetE1EEEvSJ_
; %bb.0:
	.section	.rodata,"a",@progbits
	.p2align	6, 0x0
	.amdhsa_kernel _ZN7rocprim17ROCPRIM_400000_NS6detail17trampoline_kernelINS0_14default_configENS1_38merge_sort_block_merge_config_selectorIxxEEZZNS1_27merge_sort_block_merge_implIS3_N6thrust23THRUST_200600_302600_NS6detail15normal_iteratorINS8_10device_ptrIxEEEESD_jNS1_19radix_merge_compareILb0ELb1ExNS0_19identity_decomposerEEEEE10hipError_tT0_T1_T2_jT3_P12ihipStream_tbPNSt15iterator_traitsISI_E10value_typeEPNSO_ISJ_E10value_typeEPSK_NS1_7vsmem_tEENKUlT_SI_SJ_SK_E_clISD_PxSD_S10_EESH_SX_SI_SJ_SK_EUlSX_E_NS1_11comp_targetILNS1_3genE10ELNS1_11target_archE1201ELNS1_3gpuE5ELNS1_3repE0EEENS1_48merge_mergepath_partition_config_static_selectorELNS0_4arch9wavefront6targetE1EEEvSJ_
		.amdhsa_group_segment_fixed_size 0
		.amdhsa_private_segment_fixed_size 0
		.amdhsa_kernarg_size 40
		.amdhsa_user_sgpr_count 2
		.amdhsa_user_sgpr_dispatch_ptr 0
		.amdhsa_user_sgpr_queue_ptr 0
		.amdhsa_user_sgpr_kernarg_segment_ptr 1
		.amdhsa_user_sgpr_dispatch_id 0
		.amdhsa_user_sgpr_kernarg_preload_length 0
		.amdhsa_user_sgpr_kernarg_preload_offset 0
		.amdhsa_user_sgpr_private_segment_size 0
		.amdhsa_uses_dynamic_stack 0
		.amdhsa_enable_private_segment 0
		.amdhsa_system_sgpr_workgroup_id_x 1
		.amdhsa_system_sgpr_workgroup_id_y 0
		.amdhsa_system_sgpr_workgroup_id_z 0
		.amdhsa_system_sgpr_workgroup_info 0
		.amdhsa_system_vgpr_workitem_id 0
		.amdhsa_next_free_vgpr 1
		.amdhsa_next_free_sgpr 0
		.amdhsa_accum_offset 4
		.amdhsa_reserve_vcc 0
		.amdhsa_float_round_mode_32 0
		.amdhsa_float_round_mode_16_64 0
		.amdhsa_float_denorm_mode_32 3
		.amdhsa_float_denorm_mode_16_64 3
		.amdhsa_dx10_clamp 1
		.amdhsa_ieee_mode 1
		.amdhsa_fp16_overflow 0
		.amdhsa_tg_split 0
		.amdhsa_exception_fp_ieee_invalid_op 0
		.amdhsa_exception_fp_denorm_src 0
		.amdhsa_exception_fp_ieee_div_zero 0
		.amdhsa_exception_fp_ieee_overflow 0
		.amdhsa_exception_fp_ieee_underflow 0
		.amdhsa_exception_fp_ieee_inexact 0
		.amdhsa_exception_int_div_zero 0
	.end_amdhsa_kernel
	.section	.text._ZN7rocprim17ROCPRIM_400000_NS6detail17trampoline_kernelINS0_14default_configENS1_38merge_sort_block_merge_config_selectorIxxEEZZNS1_27merge_sort_block_merge_implIS3_N6thrust23THRUST_200600_302600_NS6detail15normal_iteratorINS8_10device_ptrIxEEEESD_jNS1_19radix_merge_compareILb0ELb1ExNS0_19identity_decomposerEEEEE10hipError_tT0_T1_T2_jT3_P12ihipStream_tbPNSt15iterator_traitsISI_E10value_typeEPNSO_ISJ_E10value_typeEPSK_NS1_7vsmem_tEENKUlT_SI_SJ_SK_E_clISD_PxSD_S10_EESH_SX_SI_SJ_SK_EUlSX_E_NS1_11comp_targetILNS1_3genE10ELNS1_11target_archE1201ELNS1_3gpuE5ELNS1_3repE0EEENS1_48merge_mergepath_partition_config_static_selectorELNS0_4arch9wavefront6targetE1EEEvSJ_,"axG",@progbits,_ZN7rocprim17ROCPRIM_400000_NS6detail17trampoline_kernelINS0_14default_configENS1_38merge_sort_block_merge_config_selectorIxxEEZZNS1_27merge_sort_block_merge_implIS3_N6thrust23THRUST_200600_302600_NS6detail15normal_iteratorINS8_10device_ptrIxEEEESD_jNS1_19radix_merge_compareILb0ELb1ExNS0_19identity_decomposerEEEEE10hipError_tT0_T1_T2_jT3_P12ihipStream_tbPNSt15iterator_traitsISI_E10value_typeEPNSO_ISJ_E10value_typeEPSK_NS1_7vsmem_tEENKUlT_SI_SJ_SK_E_clISD_PxSD_S10_EESH_SX_SI_SJ_SK_EUlSX_E_NS1_11comp_targetILNS1_3genE10ELNS1_11target_archE1201ELNS1_3gpuE5ELNS1_3repE0EEENS1_48merge_mergepath_partition_config_static_selectorELNS0_4arch9wavefront6targetE1EEEvSJ_,comdat
.Lfunc_end1147:
	.size	_ZN7rocprim17ROCPRIM_400000_NS6detail17trampoline_kernelINS0_14default_configENS1_38merge_sort_block_merge_config_selectorIxxEEZZNS1_27merge_sort_block_merge_implIS3_N6thrust23THRUST_200600_302600_NS6detail15normal_iteratorINS8_10device_ptrIxEEEESD_jNS1_19radix_merge_compareILb0ELb1ExNS0_19identity_decomposerEEEEE10hipError_tT0_T1_T2_jT3_P12ihipStream_tbPNSt15iterator_traitsISI_E10value_typeEPNSO_ISJ_E10value_typeEPSK_NS1_7vsmem_tEENKUlT_SI_SJ_SK_E_clISD_PxSD_S10_EESH_SX_SI_SJ_SK_EUlSX_E_NS1_11comp_targetILNS1_3genE10ELNS1_11target_archE1201ELNS1_3gpuE5ELNS1_3repE0EEENS1_48merge_mergepath_partition_config_static_selectorELNS0_4arch9wavefront6targetE1EEEvSJ_, .Lfunc_end1147-_ZN7rocprim17ROCPRIM_400000_NS6detail17trampoline_kernelINS0_14default_configENS1_38merge_sort_block_merge_config_selectorIxxEEZZNS1_27merge_sort_block_merge_implIS3_N6thrust23THRUST_200600_302600_NS6detail15normal_iteratorINS8_10device_ptrIxEEEESD_jNS1_19radix_merge_compareILb0ELb1ExNS0_19identity_decomposerEEEEE10hipError_tT0_T1_T2_jT3_P12ihipStream_tbPNSt15iterator_traitsISI_E10value_typeEPNSO_ISJ_E10value_typeEPSK_NS1_7vsmem_tEENKUlT_SI_SJ_SK_E_clISD_PxSD_S10_EESH_SX_SI_SJ_SK_EUlSX_E_NS1_11comp_targetILNS1_3genE10ELNS1_11target_archE1201ELNS1_3gpuE5ELNS1_3repE0EEENS1_48merge_mergepath_partition_config_static_selectorELNS0_4arch9wavefront6targetE1EEEvSJ_
                                        ; -- End function
	.set _ZN7rocprim17ROCPRIM_400000_NS6detail17trampoline_kernelINS0_14default_configENS1_38merge_sort_block_merge_config_selectorIxxEEZZNS1_27merge_sort_block_merge_implIS3_N6thrust23THRUST_200600_302600_NS6detail15normal_iteratorINS8_10device_ptrIxEEEESD_jNS1_19radix_merge_compareILb0ELb1ExNS0_19identity_decomposerEEEEE10hipError_tT0_T1_T2_jT3_P12ihipStream_tbPNSt15iterator_traitsISI_E10value_typeEPNSO_ISJ_E10value_typeEPSK_NS1_7vsmem_tEENKUlT_SI_SJ_SK_E_clISD_PxSD_S10_EESH_SX_SI_SJ_SK_EUlSX_E_NS1_11comp_targetILNS1_3genE10ELNS1_11target_archE1201ELNS1_3gpuE5ELNS1_3repE0EEENS1_48merge_mergepath_partition_config_static_selectorELNS0_4arch9wavefront6targetE1EEEvSJ_.num_vgpr, 0
	.set _ZN7rocprim17ROCPRIM_400000_NS6detail17trampoline_kernelINS0_14default_configENS1_38merge_sort_block_merge_config_selectorIxxEEZZNS1_27merge_sort_block_merge_implIS3_N6thrust23THRUST_200600_302600_NS6detail15normal_iteratorINS8_10device_ptrIxEEEESD_jNS1_19radix_merge_compareILb0ELb1ExNS0_19identity_decomposerEEEEE10hipError_tT0_T1_T2_jT3_P12ihipStream_tbPNSt15iterator_traitsISI_E10value_typeEPNSO_ISJ_E10value_typeEPSK_NS1_7vsmem_tEENKUlT_SI_SJ_SK_E_clISD_PxSD_S10_EESH_SX_SI_SJ_SK_EUlSX_E_NS1_11comp_targetILNS1_3genE10ELNS1_11target_archE1201ELNS1_3gpuE5ELNS1_3repE0EEENS1_48merge_mergepath_partition_config_static_selectorELNS0_4arch9wavefront6targetE1EEEvSJ_.num_agpr, 0
	.set _ZN7rocprim17ROCPRIM_400000_NS6detail17trampoline_kernelINS0_14default_configENS1_38merge_sort_block_merge_config_selectorIxxEEZZNS1_27merge_sort_block_merge_implIS3_N6thrust23THRUST_200600_302600_NS6detail15normal_iteratorINS8_10device_ptrIxEEEESD_jNS1_19radix_merge_compareILb0ELb1ExNS0_19identity_decomposerEEEEE10hipError_tT0_T1_T2_jT3_P12ihipStream_tbPNSt15iterator_traitsISI_E10value_typeEPNSO_ISJ_E10value_typeEPSK_NS1_7vsmem_tEENKUlT_SI_SJ_SK_E_clISD_PxSD_S10_EESH_SX_SI_SJ_SK_EUlSX_E_NS1_11comp_targetILNS1_3genE10ELNS1_11target_archE1201ELNS1_3gpuE5ELNS1_3repE0EEENS1_48merge_mergepath_partition_config_static_selectorELNS0_4arch9wavefront6targetE1EEEvSJ_.numbered_sgpr, 0
	.set _ZN7rocprim17ROCPRIM_400000_NS6detail17trampoline_kernelINS0_14default_configENS1_38merge_sort_block_merge_config_selectorIxxEEZZNS1_27merge_sort_block_merge_implIS3_N6thrust23THRUST_200600_302600_NS6detail15normal_iteratorINS8_10device_ptrIxEEEESD_jNS1_19radix_merge_compareILb0ELb1ExNS0_19identity_decomposerEEEEE10hipError_tT0_T1_T2_jT3_P12ihipStream_tbPNSt15iterator_traitsISI_E10value_typeEPNSO_ISJ_E10value_typeEPSK_NS1_7vsmem_tEENKUlT_SI_SJ_SK_E_clISD_PxSD_S10_EESH_SX_SI_SJ_SK_EUlSX_E_NS1_11comp_targetILNS1_3genE10ELNS1_11target_archE1201ELNS1_3gpuE5ELNS1_3repE0EEENS1_48merge_mergepath_partition_config_static_selectorELNS0_4arch9wavefront6targetE1EEEvSJ_.num_named_barrier, 0
	.set _ZN7rocprim17ROCPRIM_400000_NS6detail17trampoline_kernelINS0_14default_configENS1_38merge_sort_block_merge_config_selectorIxxEEZZNS1_27merge_sort_block_merge_implIS3_N6thrust23THRUST_200600_302600_NS6detail15normal_iteratorINS8_10device_ptrIxEEEESD_jNS1_19radix_merge_compareILb0ELb1ExNS0_19identity_decomposerEEEEE10hipError_tT0_T1_T2_jT3_P12ihipStream_tbPNSt15iterator_traitsISI_E10value_typeEPNSO_ISJ_E10value_typeEPSK_NS1_7vsmem_tEENKUlT_SI_SJ_SK_E_clISD_PxSD_S10_EESH_SX_SI_SJ_SK_EUlSX_E_NS1_11comp_targetILNS1_3genE10ELNS1_11target_archE1201ELNS1_3gpuE5ELNS1_3repE0EEENS1_48merge_mergepath_partition_config_static_selectorELNS0_4arch9wavefront6targetE1EEEvSJ_.private_seg_size, 0
	.set _ZN7rocprim17ROCPRIM_400000_NS6detail17trampoline_kernelINS0_14default_configENS1_38merge_sort_block_merge_config_selectorIxxEEZZNS1_27merge_sort_block_merge_implIS3_N6thrust23THRUST_200600_302600_NS6detail15normal_iteratorINS8_10device_ptrIxEEEESD_jNS1_19radix_merge_compareILb0ELb1ExNS0_19identity_decomposerEEEEE10hipError_tT0_T1_T2_jT3_P12ihipStream_tbPNSt15iterator_traitsISI_E10value_typeEPNSO_ISJ_E10value_typeEPSK_NS1_7vsmem_tEENKUlT_SI_SJ_SK_E_clISD_PxSD_S10_EESH_SX_SI_SJ_SK_EUlSX_E_NS1_11comp_targetILNS1_3genE10ELNS1_11target_archE1201ELNS1_3gpuE5ELNS1_3repE0EEENS1_48merge_mergepath_partition_config_static_selectorELNS0_4arch9wavefront6targetE1EEEvSJ_.uses_vcc, 0
	.set _ZN7rocprim17ROCPRIM_400000_NS6detail17trampoline_kernelINS0_14default_configENS1_38merge_sort_block_merge_config_selectorIxxEEZZNS1_27merge_sort_block_merge_implIS3_N6thrust23THRUST_200600_302600_NS6detail15normal_iteratorINS8_10device_ptrIxEEEESD_jNS1_19radix_merge_compareILb0ELb1ExNS0_19identity_decomposerEEEEE10hipError_tT0_T1_T2_jT3_P12ihipStream_tbPNSt15iterator_traitsISI_E10value_typeEPNSO_ISJ_E10value_typeEPSK_NS1_7vsmem_tEENKUlT_SI_SJ_SK_E_clISD_PxSD_S10_EESH_SX_SI_SJ_SK_EUlSX_E_NS1_11comp_targetILNS1_3genE10ELNS1_11target_archE1201ELNS1_3gpuE5ELNS1_3repE0EEENS1_48merge_mergepath_partition_config_static_selectorELNS0_4arch9wavefront6targetE1EEEvSJ_.uses_flat_scratch, 0
	.set _ZN7rocprim17ROCPRIM_400000_NS6detail17trampoline_kernelINS0_14default_configENS1_38merge_sort_block_merge_config_selectorIxxEEZZNS1_27merge_sort_block_merge_implIS3_N6thrust23THRUST_200600_302600_NS6detail15normal_iteratorINS8_10device_ptrIxEEEESD_jNS1_19radix_merge_compareILb0ELb1ExNS0_19identity_decomposerEEEEE10hipError_tT0_T1_T2_jT3_P12ihipStream_tbPNSt15iterator_traitsISI_E10value_typeEPNSO_ISJ_E10value_typeEPSK_NS1_7vsmem_tEENKUlT_SI_SJ_SK_E_clISD_PxSD_S10_EESH_SX_SI_SJ_SK_EUlSX_E_NS1_11comp_targetILNS1_3genE10ELNS1_11target_archE1201ELNS1_3gpuE5ELNS1_3repE0EEENS1_48merge_mergepath_partition_config_static_selectorELNS0_4arch9wavefront6targetE1EEEvSJ_.has_dyn_sized_stack, 0
	.set _ZN7rocprim17ROCPRIM_400000_NS6detail17trampoline_kernelINS0_14default_configENS1_38merge_sort_block_merge_config_selectorIxxEEZZNS1_27merge_sort_block_merge_implIS3_N6thrust23THRUST_200600_302600_NS6detail15normal_iteratorINS8_10device_ptrIxEEEESD_jNS1_19radix_merge_compareILb0ELb1ExNS0_19identity_decomposerEEEEE10hipError_tT0_T1_T2_jT3_P12ihipStream_tbPNSt15iterator_traitsISI_E10value_typeEPNSO_ISJ_E10value_typeEPSK_NS1_7vsmem_tEENKUlT_SI_SJ_SK_E_clISD_PxSD_S10_EESH_SX_SI_SJ_SK_EUlSX_E_NS1_11comp_targetILNS1_3genE10ELNS1_11target_archE1201ELNS1_3gpuE5ELNS1_3repE0EEENS1_48merge_mergepath_partition_config_static_selectorELNS0_4arch9wavefront6targetE1EEEvSJ_.has_recursion, 0
	.set _ZN7rocprim17ROCPRIM_400000_NS6detail17trampoline_kernelINS0_14default_configENS1_38merge_sort_block_merge_config_selectorIxxEEZZNS1_27merge_sort_block_merge_implIS3_N6thrust23THRUST_200600_302600_NS6detail15normal_iteratorINS8_10device_ptrIxEEEESD_jNS1_19radix_merge_compareILb0ELb1ExNS0_19identity_decomposerEEEEE10hipError_tT0_T1_T2_jT3_P12ihipStream_tbPNSt15iterator_traitsISI_E10value_typeEPNSO_ISJ_E10value_typeEPSK_NS1_7vsmem_tEENKUlT_SI_SJ_SK_E_clISD_PxSD_S10_EESH_SX_SI_SJ_SK_EUlSX_E_NS1_11comp_targetILNS1_3genE10ELNS1_11target_archE1201ELNS1_3gpuE5ELNS1_3repE0EEENS1_48merge_mergepath_partition_config_static_selectorELNS0_4arch9wavefront6targetE1EEEvSJ_.has_indirect_call, 0
	.section	.AMDGPU.csdata,"",@progbits
; Kernel info:
; codeLenInByte = 0
; TotalNumSgprs: 6
; NumVgprs: 0
; NumAgprs: 0
; TotalNumVgprs: 0
; ScratchSize: 0
; MemoryBound: 0
; FloatMode: 240
; IeeeMode: 1
; LDSByteSize: 0 bytes/workgroup (compile time only)
; SGPRBlocks: 0
; VGPRBlocks: 0
; NumSGPRsForWavesPerEU: 6
; NumVGPRsForWavesPerEU: 1
; AccumOffset: 4
; Occupancy: 8
; WaveLimiterHint : 0
; COMPUTE_PGM_RSRC2:SCRATCH_EN: 0
; COMPUTE_PGM_RSRC2:USER_SGPR: 2
; COMPUTE_PGM_RSRC2:TRAP_HANDLER: 0
; COMPUTE_PGM_RSRC2:TGID_X_EN: 1
; COMPUTE_PGM_RSRC2:TGID_Y_EN: 0
; COMPUTE_PGM_RSRC2:TGID_Z_EN: 0
; COMPUTE_PGM_RSRC2:TIDIG_COMP_CNT: 0
; COMPUTE_PGM_RSRC3_GFX90A:ACCUM_OFFSET: 0
; COMPUTE_PGM_RSRC3_GFX90A:TG_SPLIT: 0
	.section	.text._ZN7rocprim17ROCPRIM_400000_NS6detail17trampoline_kernelINS0_14default_configENS1_38merge_sort_block_merge_config_selectorIxxEEZZNS1_27merge_sort_block_merge_implIS3_N6thrust23THRUST_200600_302600_NS6detail15normal_iteratorINS8_10device_ptrIxEEEESD_jNS1_19radix_merge_compareILb0ELb1ExNS0_19identity_decomposerEEEEE10hipError_tT0_T1_T2_jT3_P12ihipStream_tbPNSt15iterator_traitsISI_E10value_typeEPNSO_ISJ_E10value_typeEPSK_NS1_7vsmem_tEENKUlT_SI_SJ_SK_E_clISD_PxSD_S10_EESH_SX_SI_SJ_SK_EUlSX_E_NS1_11comp_targetILNS1_3genE5ELNS1_11target_archE942ELNS1_3gpuE9ELNS1_3repE0EEENS1_48merge_mergepath_partition_config_static_selectorELNS0_4arch9wavefront6targetE1EEEvSJ_,"axG",@progbits,_ZN7rocprim17ROCPRIM_400000_NS6detail17trampoline_kernelINS0_14default_configENS1_38merge_sort_block_merge_config_selectorIxxEEZZNS1_27merge_sort_block_merge_implIS3_N6thrust23THRUST_200600_302600_NS6detail15normal_iteratorINS8_10device_ptrIxEEEESD_jNS1_19radix_merge_compareILb0ELb1ExNS0_19identity_decomposerEEEEE10hipError_tT0_T1_T2_jT3_P12ihipStream_tbPNSt15iterator_traitsISI_E10value_typeEPNSO_ISJ_E10value_typeEPSK_NS1_7vsmem_tEENKUlT_SI_SJ_SK_E_clISD_PxSD_S10_EESH_SX_SI_SJ_SK_EUlSX_E_NS1_11comp_targetILNS1_3genE5ELNS1_11target_archE942ELNS1_3gpuE9ELNS1_3repE0EEENS1_48merge_mergepath_partition_config_static_selectorELNS0_4arch9wavefront6targetE1EEEvSJ_,comdat
	.protected	_ZN7rocprim17ROCPRIM_400000_NS6detail17trampoline_kernelINS0_14default_configENS1_38merge_sort_block_merge_config_selectorIxxEEZZNS1_27merge_sort_block_merge_implIS3_N6thrust23THRUST_200600_302600_NS6detail15normal_iteratorINS8_10device_ptrIxEEEESD_jNS1_19radix_merge_compareILb0ELb1ExNS0_19identity_decomposerEEEEE10hipError_tT0_T1_T2_jT3_P12ihipStream_tbPNSt15iterator_traitsISI_E10value_typeEPNSO_ISJ_E10value_typeEPSK_NS1_7vsmem_tEENKUlT_SI_SJ_SK_E_clISD_PxSD_S10_EESH_SX_SI_SJ_SK_EUlSX_E_NS1_11comp_targetILNS1_3genE5ELNS1_11target_archE942ELNS1_3gpuE9ELNS1_3repE0EEENS1_48merge_mergepath_partition_config_static_selectorELNS0_4arch9wavefront6targetE1EEEvSJ_ ; -- Begin function _ZN7rocprim17ROCPRIM_400000_NS6detail17trampoline_kernelINS0_14default_configENS1_38merge_sort_block_merge_config_selectorIxxEEZZNS1_27merge_sort_block_merge_implIS3_N6thrust23THRUST_200600_302600_NS6detail15normal_iteratorINS8_10device_ptrIxEEEESD_jNS1_19radix_merge_compareILb0ELb1ExNS0_19identity_decomposerEEEEE10hipError_tT0_T1_T2_jT3_P12ihipStream_tbPNSt15iterator_traitsISI_E10value_typeEPNSO_ISJ_E10value_typeEPSK_NS1_7vsmem_tEENKUlT_SI_SJ_SK_E_clISD_PxSD_S10_EESH_SX_SI_SJ_SK_EUlSX_E_NS1_11comp_targetILNS1_3genE5ELNS1_11target_archE942ELNS1_3gpuE9ELNS1_3repE0EEENS1_48merge_mergepath_partition_config_static_selectorELNS0_4arch9wavefront6targetE1EEEvSJ_
	.globl	_ZN7rocprim17ROCPRIM_400000_NS6detail17trampoline_kernelINS0_14default_configENS1_38merge_sort_block_merge_config_selectorIxxEEZZNS1_27merge_sort_block_merge_implIS3_N6thrust23THRUST_200600_302600_NS6detail15normal_iteratorINS8_10device_ptrIxEEEESD_jNS1_19radix_merge_compareILb0ELb1ExNS0_19identity_decomposerEEEEE10hipError_tT0_T1_T2_jT3_P12ihipStream_tbPNSt15iterator_traitsISI_E10value_typeEPNSO_ISJ_E10value_typeEPSK_NS1_7vsmem_tEENKUlT_SI_SJ_SK_E_clISD_PxSD_S10_EESH_SX_SI_SJ_SK_EUlSX_E_NS1_11comp_targetILNS1_3genE5ELNS1_11target_archE942ELNS1_3gpuE9ELNS1_3repE0EEENS1_48merge_mergepath_partition_config_static_selectorELNS0_4arch9wavefront6targetE1EEEvSJ_
	.p2align	8
	.type	_ZN7rocprim17ROCPRIM_400000_NS6detail17trampoline_kernelINS0_14default_configENS1_38merge_sort_block_merge_config_selectorIxxEEZZNS1_27merge_sort_block_merge_implIS3_N6thrust23THRUST_200600_302600_NS6detail15normal_iteratorINS8_10device_ptrIxEEEESD_jNS1_19radix_merge_compareILb0ELb1ExNS0_19identity_decomposerEEEEE10hipError_tT0_T1_T2_jT3_P12ihipStream_tbPNSt15iterator_traitsISI_E10value_typeEPNSO_ISJ_E10value_typeEPSK_NS1_7vsmem_tEENKUlT_SI_SJ_SK_E_clISD_PxSD_S10_EESH_SX_SI_SJ_SK_EUlSX_E_NS1_11comp_targetILNS1_3genE5ELNS1_11target_archE942ELNS1_3gpuE9ELNS1_3repE0EEENS1_48merge_mergepath_partition_config_static_selectorELNS0_4arch9wavefront6targetE1EEEvSJ_,@function
_ZN7rocprim17ROCPRIM_400000_NS6detail17trampoline_kernelINS0_14default_configENS1_38merge_sort_block_merge_config_selectorIxxEEZZNS1_27merge_sort_block_merge_implIS3_N6thrust23THRUST_200600_302600_NS6detail15normal_iteratorINS8_10device_ptrIxEEEESD_jNS1_19radix_merge_compareILb0ELb1ExNS0_19identity_decomposerEEEEE10hipError_tT0_T1_T2_jT3_P12ihipStream_tbPNSt15iterator_traitsISI_E10value_typeEPNSO_ISJ_E10value_typeEPSK_NS1_7vsmem_tEENKUlT_SI_SJ_SK_E_clISD_PxSD_S10_EESH_SX_SI_SJ_SK_EUlSX_E_NS1_11comp_targetILNS1_3genE5ELNS1_11target_archE942ELNS1_3gpuE9ELNS1_3repE0EEENS1_48merge_mergepath_partition_config_static_selectorELNS0_4arch9wavefront6targetE1EEEvSJ_: ; @_ZN7rocprim17ROCPRIM_400000_NS6detail17trampoline_kernelINS0_14default_configENS1_38merge_sort_block_merge_config_selectorIxxEEZZNS1_27merge_sort_block_merge_implIS3_N6thrust23THRUST_200600_302600_NS6detail15normal_iteratorINS8_10device_ptrIxEEEESD_jNS1_19radix_merge_compareILb0ELb1ExNS0_19identity_decomposerEEEEE10hipError_tT0_T1_T2_jT3_P12ihipStream_tbPNSt15iterator_traitsISI_E10value_typeEPNSO_ISJ_E10value_typeEPSK_NS1_7vsmem_tEENKUlT_SI_SJ_SK_E_clISD_PxSD_S10_EESH_SX_SI_SJ_SK_EUlSX_E_NS1_11comp_targetILNS1_3genE5ELNS1_11target_archE942ELNS1_3gpuE9ELNS1_3repE0EEENS1_48merge_mergepath_partition_config_static_selectorELNS0_4arch9wavefront6targetE1EEEvSJ_
; %bb.0:
	.section	.rodata,"a",@progbits
	.p2align	6, 0x0
	.amdhsa_kernel _ZN7rocprim17ROCPRIM_400000_NS6detail17trampoline_kernelINS0_14default_configENS1_38merge_sort_block_merge_config_selectorIxxEEZZNS1_27merge_sort_block_merge_implIS3_N6thrust23THRUST_200600_302600_NS6detail15normal_iteratorINS8_10device_ptrIxEEEESD_jNS1_19radix_merge_compareILb0ELb1ExNS0_19identity_decomposerEEEEE10hipError_tT0_T1_T2_jT3_P12ihipStream_tbPNSt15iterator_traitsISI_E10value_typeEPNSO_ISJ_E10value_typeEPSK_NS1_7vsmem_tEENKUlT_SI_SJ_SK_E_clISD_PxSD_S10_EESH_SX_SI_SJ_SK_EUlSX_E_NS1_11comp_targetILNS1_3genE5ELNS1_11target_archE942ELNS1_3gpuE9ELNS1_3repE0EEENS1_48merge_mergepath_partition_config_static_selectorELNS0_4arch9wavefront6targetE1EEEvSJ_
		.amdhsa_group_segment_fixed_size 0
		.amdhsa_private_segment_fixed_size 0
		.amdhsa_kernarg_size 40
		.amdhsa_user_sgpr_count 2
		.amdhsa_user_sgpr_dispatch_ptr 0
		.amdhsa_user_sgpr_queue_ptr 0
		.amdhsa_user_sgpr_kernarg_segment_ptr 1
		.amdhsa_user_sgpr_dispatch_id 0
		.amdhsa_user_sgpr_kernarg_preload_length 0
		.amdhsa_user_sgpr_kernarg_preload_offset 0
		.amdhsa_user_sgpr_private_segment_size 0
		.amdhsa_uses_dynamic_stack 0
		.amdhsa_enable_private_segment 0
		.amdhsa_system_sgpr_workgroup_id_x 1
		.amdhsa_system_sgpr_workgroup_id_y 0
		.amdhsa_system_sgpr_workgroup_id_z 0
		.amdhsa_system_sgpr_workgroup_info 0
		.amdhsa_system_vgpr_workitem_id 0
		.amdhsa_next_free_vgpr 1
		.amdhsa_next_free_sgpr 0
		.amdhsa_accum_offset 4
		.amdhsa_reserve_vcc 0
		.amdhsa_float_round_mode_32 0
		.amdhsa_float_round_mode_16_64 0
		.amdhsa_float_denorm_mode_32 3
		.amdhsa_float_denorm_mode_16_64 3
		.amdhsa_dx10_clamp 1
		.amdhsa_ieee_mode 1
		.amdhsa_fp16_overflow 0
		.amdhsa_tg_split 0
		.amdhsa_exception_fp_ieee_invalid_op 0
		.amdhsa_exception_fp_denorm_src 0
		.amdhsa_exception_fp_ieee_div_zero 0
		.amdhsa_exception_fp_ieee_overflow 0
		.amdhsa_exception_fp_ieee_underflow 0
		.amdhsa_exception_fp_ieee_inexact 0
		.amdhsa_exception_int_div_zero 0
	.end_amdhsa_kernel
	.section	.text._ZN7rocprim17ROCPRIM_400000_NS6detail17trampoline_kernelINS0_14default_configENS1_38merge_sort_block_merge_config_selectorIxxEEZZNS1_27merge_sort_block_merge_implIS3_N6thrust23THRUST_200600_302600_NS6detail15normal_iteratorINS8_10device_ptrIxEEEESD_jNS1_19radix_merge_compareILb0ELb1ExNS0_19identity_decomposerEEEEE10hipError_tT0_T1_T2_jT3_P12ihipStream_tbPNSt15iterator_traitsISI_E10value_typeEPNSO_ISJ_E10value_typeEPSK_NS1_7vsmem_tEENKUlT_SI_SJ_SK_E_clISD_PxSD_S10_EESH_SX_SI_SJ_SK_EUlSX_E_NS1_11comp_targetILNS1_3genE5ELNS1_11target_archE942ELNS1_3gpuE9ELNS1_3repE0EEENS1_48merge_mergepath_partition_config_static_selectorELNS0_4arch9wavefront6targetE1EEEvSJ_,"axG",@progbits,_ZN7rocprim17ROCPRIM_400000_NS6detail17trampoline_kernelINS0_14default_configENS1_38merge_sort_block_merge_config_selectorIxxEEZZNS1_27merge_sort_block_merge_implIS3_N6thrust23THRUST_200600_302600_NS6detail15normal_iteratorINS8_10device_ptrIxEEEESD_jNS1_19radix_merge_compareILb0ELb1ExNS0_19identity_decomposerEEEEE10hipError_tT0_T1_T2_jT3_P12ihipStream_tbPNSt15iterator_traitsISI_E10value_typeEPNSO_ISJ_E10value_typeEPSK_NS1_7vsmem_tEENKUlT_SI_SJ_SK_E_clISD_PxSD_S10_EESH_SX_SI_SJ_SK_EUlSX_E_NS1_11comp_targetILNS1_3genE5ELNS1_11target_archE942ELNS1_3gpuE9ELNS1_3repE0EEENS1_48merge_mergepath_partition_config_static_selectorELNS0_4arch9wavefront6targetE1EEEvSJ_,comdat
.Lfunc_end1148:
	.size	_ZN7rocprim17ROCPRIM_400000_NS6detail17trampoline_kernelINS0_14default_configENS1_38merge_sort_block_merge_config_selectorIxxEEZZNS1_27merge_sort_block_merge_implIS3_N6thrust23THRUST_200600_302600_NS6detail15normal_iteratorINS8_10device_ptrIxEEEESD_jNS1_19radix_merge_compareILb0ELb1ExNS0_19identity_decomposerEEEEE10hipError_tT0_T1_T2_jT3_P12ihipStream_tbPNSt15iterator_traitsISI_E10value_typeEPNSO_ISJ_E10value_typeEPSK_NS1_7vsmem_tEENKUlT_SI_SJ_SK_E_clISD_PxSD_S10_EESH_SX_SI_SJ_SK_EUlSX_E_NS1_11comp_targetILNS1_3genE5ELNS1_11target_archE942ELNS1_3gpuE9ELNS1_3repE0EEENS1_48merge_mergepath_partition_config_static_selectorELNS0_4arch9wavefront6targetE1EEEvSJ_, .Lfunc_end1148-_ZN7rocprim17ROCPRIM_400000_NS6detail17trampoline_kernelINS0_14default_configENS1_38merge_sort_block_merge_config_selectorIxxEEZZNS1_27merge_sort_block_merge_implIS3_N6thrust23THRUST_200600_302600_NS6detail15normal_iteratorINS8_10device_ptrIxEEEESD_jNS1_19radix_merge_compareILb0ELb1ExNS0_19identity_decomposerEEEEE10hipError_tT0_T1_T2_jT3_P12ihipStream_tbPNSt15iterator_traitsISI_E10value_typeEPNSO_ISJ_E10value_typeEPSK_NS1_7vsmem_tEENKUlT_SI_SJ_SK_E_clISD_PxSD_S10_EESH_SX_SI_SJ_SK_EUlSX_E_NS1_11comp_targetILNS1_3genE5ELNS1_11target_archE942ELNS1_3gpuE9ELNS1_3repE0EEENS1_48merge_mergepath_partition_config_static_selectorELNS0_4arch9wavefront6targetE1EEEvSJ_
                                        ; -- End function
	.set _ZN7rocprim17ROCPRIM_400000_NS6detail17trampoline_kernelINS0_14default_configENS1_38merge_sort_block_merge_config_selectorIxxEEZZNS1_27merge_sort_block_merge_implIS3_N6thrust23THRUST_200600_302600_NS6detail15normal_iteratorINS8_10device_ptrIxEEEESD_jNS1_19radix_merge_compareILb0ELb1ExNS0_19identity_decomposerEEEEE10hipError_tT0_T1_T2_jT3_P12ihipStream_tbPNSt15iterator_traitsISI_E10value_typeEPNSO_ISJ_E10value_typeEPSK_NS1_7vsmem_tEENKUlT_SI_SJ_SK_E_clISD_PxSD_S10_EESH_SX_SI_SJ_SK_EUlSX_E_NS1_11comp_targetILNS1_3genE5ELNS1_11target_archE942ELNS1_3gpuE9ELNS1_3repE0EEENS1_48merge_mergepath_partition_config_static_selectorELNS0_4arch9wavefront6targetE1EEEvSJ_.num_vgpr, 0
	.set _ZN7rocprim17ROCPRIM_400000_NS6detail17trampoline_kernelINS0_14default_configENS1_38merge_sort_block_merge_config_selectorIxxEEZZNS1_27merge_sort_block_merge_implIS3_N6thrust23THRUST_200600_302600_NS6detail15normal_iteratorINS8_10device_ptrIxEEEESD_jNS1_19radix_merge_compareILb0ELb1ExNS0_19identity_decomposerEEEEE10hipError_tT0_T1_T2_jT3_P12ihipStream_tbPNSt15iterator_traitsISI_E10value_typeEPNSO_ISJ_E10value_typeEPSK_NS1_7vsmem_tEENKUlT_SI_SJ_SK_E_clISD_PxSD_S10_EESH_SX_SI_SJ_SK_EUlSX_E_NS1_11comp_targetILNS1_3genE5ELNS1_11target_archE942ELNS1_3gpuE9ELNS1_3repE0EEENS1_48merge_mergepath_partition_config_static_selectorELNS0_4arch9wavefront6targetE1EEEvSJ_.num_agpr, 0
	.set _ZN7rocprim17ROCPRIM_400000_NS6detail17trampoline_kernelINS0_14default_configENS1_38merge_sort_block_merge_config_selectorIxxEEZZNS1_27merge_sort_block_merge_implIS3_N6thrust23THRUST_200600_302600_NS6detail15normal_iteratorINS8_10device_ptrIxEEEESD_jNS1_19radix_merge_compareILb0ELb1ExNS0_19identity_decomposerEEEEE10hipError_tT0_T1_T2_jT3_P12ihipStream_tbPNSt15iterator_traitsISI_E10value_typeEPNSO_ISJ_E10value_typeEPSK_NS1_7vsmem_tEENKUlT_SI_SJ_SK_E_clISD_PxSD_S10_EESH_SX_SI_SJ_SK_EUlSX_E_NS1_11comp_targetILNS1_3genE5ELNS1_11target_archE942ELNS1_3gpuE9ELNS1_3repE0EEENS1_48merge_mergepath_partition_config_static_selectorELNS0_4arch9wavefront6targetE1EEEvSJ_.numbered_sgpr, 0
	.set _ZN7rocprim17ROCPRIM_400000_NS6detail17trampoline_kernelINS0_14default_configENS1_38merge_sort_block_merge_config_selectorIxxEEZZNS1_27merge_sort_block_merge_implIS3_N6thrust23THRUST_200600_302600_NS6detail15normal_iteratorINS8_10device_ptrIxEEEESD_jNS1_19radix_merge_compareILb0ELb1ExNS0_19identity_decomposerEEEEE10hipError_tT0_T1_T2_jT3_P12ihipStream_tbPNSt15iterator_traitsISI_E10value_typeEPNSO_ISJ_E10value_typeEPSK_NS1_7vsmem_tEENKUlT_SI_SJ_SK_E_clISD_PxSD_S10_EESH_SX_SI_SJ_SK_EUlSX_E_NS1_11comp_targetILNS1_3genE5ELNS1_11target_archE942ELNS1_3gpuE9ELNS1_3repE0EEENS1_48merge_mergepath_partition_config_static_selectorELNS0_4arch9wavefront6targetE1EEEvSJ_.num_named_barrier, 0
	.set _ZN7rocprim17ROCPRIM_400000_NS6detail17trampoline_kernelINS0_14default_configENS1_38merge_sort_block_merge_config_selectorIxxEEZZNS1_27merge_sort_block_merge_implIS3_N6thrust23THRUST_200600_302600_NS6detail15normal_iteratorINS8_10device_ptrIxEEEESD_jNS1_19radix_merge_compareILb0ELb1ExNS0_19identity_decomposerEEEEE10hipError_tT0_T1_T2_jT3_P12ihipStream_tbPNSt15iterator_traitsISI_E10value_typeEPNSO_ISJ_E10value_typeEPSK_NS1_7vsmem_tEENKUlT_SI_SJ_SK_E_clISD_PxSD_S10_EESH_SX_SI_SJ_SK_EUlSX_E_NS1_11comp_targetILNS1_3genE5ELNS1_11target_archE942ELNS1_3gpuE9ELNS1_3repE0EEENS1_48merge_mergepath_partition_config_static_selectorELNS0_4arch9wavefront6targetE1EEEvSJ_.private_seg_size, 0
	.set _ZN7rocprim17ROCPRIM_400000_NS6detail17trampoline_kernelINS0_14default_configENS1_38merge_sort_block_merge_config_selectorIxxEEZZNS1_27merge_sort_block_merge_implIS3_N6thrust23THRUST_200600_302600_NS6detail15normal_iteratorINS8_10device_ptrIxEEEESD_jNS1_19radix_merge_compareILb0ELb1ExNS0_19identity_decomposerEEEEE10hipError_tT0_T1_T2_jT3_P12ihipStream_tbPNSt15iterator_traitsISI_E10value_typeEPNSO_ISJ_E10value_typeEPSK_NS1_7vsmem_tEENKUlT_SI_SJ_SK_E_clISD_PxSD_S10_EESH_SX_SI_SJ_SK_EUlSX_E_NS1_11comp_targetILNS1_3genE5ELNS1_11target_archE942ELNS1_3gpuE9ELNS1_3repE0EEENS1_48merge_mergepath_partition_config_static_selectorELNS0_4arch9wavefront6targetE1EEEvSJ_.uses_vcc, 0
	.set _ZN7rocprim17ROCPRIM_400000_NS6detail17trampoline_kernelINS0_14default_configENS1_38merge_sort_block_merge_config_selectorIxxEEZZNS1_27merge_sort_block_merge_implIS3_N6thrust23THRUST_200600_302600_NS6detail15normal_iteratorINS8_10device_ptrIxEEEESD_jNS1_19radix_merge_compareILb0ELb1ExNS0_19identity_decomposerEEEEE10hipError_tT0_T1_T2_jT3_P12ihipStream_tbPNSt15iterator_traitsISI_E10value_typeEPNSO_ISJ_E10value_typeEPSK_NS1_7vsmem_tEENKUlT_SI_SJ_SK_E_clISD_PxSD_S10_EESH_SX_SI_SJ_SK_EUlSX_E_NS1_11comp_targetILNS1_3genE5ELNS1_11target_archE942ELNS1_3gpuE9ELNS1_3repE0EEENS1_48merge_mergepath_partition_config_static_selectorELNS0_4arch9wavefront6targetE1EEEvSJ_.uses_flat_scratch, 0
	.set _ZN7rocprim17ROCPRIM_400000_NS6detail17trampoline_kernelINS0_14default_configENS1_38merge_sort_block_merge_config_selectorIxxEEZZNS1_27merge_sort_block_merge_implIS3_N6thrust23THRUST_200600_302600_NS6detail15normal_iteratorINS8_10device_ptrIxEEEESD_jNS1_19radix_merge_compareILb0ELb1ExNS0_19identity_decomposerEEEEE10hipError_tT0_T1_T2_jT3_P12ihipStream_tbPNSt15iterator_traitsISI_E10value_typeEPNSO_ISJ_E10value_typeEPSK_NS1_7vsmem_tEENKUlT_SI_SJ_SK_E_clISD_PxSD_S10_EESH_SX_SI_SJ_SK_EUlSX_E_NS1_11comp_targetILNS1_3genE5ELNS1_11target_archE942ELNS1_3gpuE9ELNS1_3repE0EEENS1_48merge_mergepath_partition_config_static_selectorELNS0_4arch9wavefront6targetE1EEEvSJ_.has_dyn_sized_stack, 0
	.set _ZN7rocprim17ROCPRIM_400000_NS6detail17trampoline_kernelINS0_14default_configENS1_38merge_sort_block_merge_config_selectorIxxEEZZNS1_27merge_sort_block_merge_implIS3_N6thrust23THRUST_200600_302600_NS6detail15normal_iteratorINS8_10device_ptrIxEEEESD_jNS1_19radix_merge_compareILb0ELb1ExNS0_19identity_decomposerEEEEE10hipError_tT0_T1_T2_jT3_P12ihipStream_tbPNSt15iterator_traitsISI_E10value_typeEPNSO_ISJ_E10value_typeEPSK_NS1_7vsmem_tEENKUlT_SI_SJ_SK_E_clISD_PxSD_S10_EESH_SX_SI_SJ_SK_EUlSX_E_NS1_11comp_targetILNS1_3genE5ELNS1_11target_archE942ELNS1_3gpuE9ELNS1_3repE0EEENS1_48merge_mergepath_partition_config_static_selectorELNS0_4arch9wavefront6targetE1EEEvSJ_.has_recursion, 0
	.set _ZN7rocprim17ROCPRIM_400000_NS6detail17trampoline_kernelINS0_14default_configENS1_38merge_sort_block_merge_config_selectorIxxEEZZNS1_27merge_sort_block_merge_implIS3_N6thrust23THRUST_200600_302600_NS6detail15normal_iteratorINS8_10device_ptrIxEEEESD_jNS1_19radix_merge_compareILb0ELb1ExNS0_19identity_decomposerEEEEE10hipError_tT0_T1_T2_jT3_P12ihipStream_tbPNSt15iterator_traitsISI_E10value_typeEPNSO_ISJ_E10value_typeEPSK_NS1_7vsmem_tEENKUlT_SI_SJ_SK_E_clISD_PxSD_S10_EESH_SX_SI_SJ_SK_EUlSX_E_NS1_11comp_targetILNS1_3genE5ELNS1_11target_archE942ELNS1_3gpuE9ELNS1_3repE0EEENS1_48merge_mergepath_partition_config_static_selectorELNS0_4arch9wavefront6targetE1EEEvSJ_.has_indirect_call, 0
	.section	.AMDGPU.csdata,"",@progbits
; Kernel info:
; codeLenInByte = 0
; TotalNumSgprs: 6
; NumVgprs: 0
; NumAgprs: 0
; TotalNumVgprs: 0
; ScratchSize: 0
; MemoryBound: 0
; FloatMode: 240
; IeeeMode: 1
; LDSByteSize: 0 bytes/workgroup (compile time only)
; SGPRBlocks: 0
; VGPRBlocks: 0
; NumSGPRsForWavesPerEU: 6
; NumVGPRsForWavesPerEU: 1
; AccumOffset: 4
; Occupancy: 8
; WaveLimiterHint : 0
; COMPUTE_PGM_RSRC2:SCRATCH_EN: 0
; COMPUTE_PGM_RSRC2:USER_SGPR: 2
; COMPUTE_PGM_RSRC2:TRAP_HANDLER: 0
; COMPUTE_PGM_RSRC2:TGID_X_EN: 1
; COMPUTE_PGM_RSRC2:TGID_Y_EN: 0
; COMPUTE_PGM_RSRC2:TGID_Z_EN: 0
; COMPUTE_PGM_RSRC2:TIDIG_COMP_CNT: 0
; COMPUTE_PGM_RSRC3_GFX90A:ACCUM_OFFSET: 0
; COMPUTE_PGM_RSRC3_GFX90A:TG_SPLIT: 0
	.section	.text._ZN7rocprim17ROCPRIM_400000_NS6detail17trampoline_kernelINS0_14default_configENS1_38merge_sort_block_merge_config_selectorIxxEEZZNS1_27merge_sort_block_merge_implIS3_N6thrust23THRUST_200600_302600_NS6detail15normal_iteratorINS8_10device_ptrIxEEEESD_jNS1_19radix_merge_compareILb0ELb1ExNS0_19identity_decomposerEEEEE10hipError_tT0_T1_T2_jT3_P12ihipStream_tbPNSt15iterator_traitsISI_E10value_typeEPNSO_ISJ_E10value_typeEPSK_NS1_7vsmem_tEENKUlT_SI_SJ_SK_E_clISD_PxSD_S10_EESH_SX_SI_SJ_SK_EUlSX_E_NS1_11comp_targetILNS1_3genE4ELNS1_11target_archE910ELNS1_3gpuE8ELNS1_3repE0EEENS1_48merge_mergepath_partition_config_static_selectorELNS0_4arch9wavefront6targetE1EEEvSJ_,"axG",@progbits,_ZN7rocprim17ROCPRIM_400000_NS6detail17trampoline_kernelINS0_14default_configENS1_38merge_sort_block_merge_config_selectorIxxEEZZNS1_27merge_sort_block_merge_implIS3_N6thrust23THRUST_200600_302600_NS6detail15normal_iteratorINS8_10device_ptrIxEEEESD_jNS1_19radix_merge_compareILb0ELb1ExNS0_19identity_decomposerEEEEE10hipError_tT0_T1_T2_jT3_P12ihipStream_tbPNSt15iterator_traitsISI_E10value_typeEPNSO_ISJ_E10value_typeEPSK_NS1_7vsmem_tEENKUlT_SI_SJ_SK_E_clISD_PxSD_S10_EESH_SX_SI_SJ_SK_EUlSX_E_NS1_11comp_targetILNS1_3genE4ELNS1_11target_archE910ELNS1_3gpuE8ELNS1_3repE0EEENS1_48merge_mergepath_partition_config_static_selectorELNS0_4arch9wavefront6targetE1EEEvSJ_,comdat
	.protected	_ZN7rocprim17ROCPRIM_400000_NS6detail17trampoline_kernelINS0_14default_configENS1_38merge_sort_block_merge_config_selectorIxxEEZZNS1_27merge_sort_block_merge_implIS3_N6thrust23THRUST_200600_302600_NS6detail15normal_iteratorINS8_10device_ptrIxEEEESD_jNS1_19radix_merge_compareILb0ELb1ExNS0_19identity_decomposerEEEEE10hipError_tT0_T1_T2_jT3_P12ihipStream_tbPNSt15iterator_traitsISI_E10value_typeEPNSO_ISJ_E10value_typeEPSK_NS1_7vsmem_tEENKUlT_SI_SJ_SK_E_clISD_PxSD_S10_EESH_SX_SI_SJ_SK_EUlSX_E_NS1_11comp_targetILNS1_3genE4ELNS1_11target_archE910ELNS1_3gpuE8ELNS1_3repE0EEENS1_48merge_mergepath_partition_config_static_selectorELNS0_4arch9wavefront6targetE1EEEvSJ_ ; -- Begin function _ZN7rocprim17ROCPRIM_400000_NS6detail17trampoline_kernelINS0_14default_configENS1_38merge_sort_block_merge_config_selectorIxxEEZZNS1_27merge_sort_block_merge_implIS3_N6thrust23THRUST_200600_302600_NS6detail15normal_iteratorINS8_10device_ptrIxEEEESD_jNS1_19radix_merge_compareILb0ELb1ExNS0_19identity_decomposerEEEEE10hipError_tT0_T1_T2_jT3_P12ihipStream_tbPNSt15iterator_traitsISI_E10value_typeEPNSO_ISJ_E10value_typeEPSK_NS1_7vsmem_tEENKUlT_SI_SJ_SK_E_clISD_PxSD_S10_EESH_SX_SI_SJ_SK_EUlSX_E_NS1_11comp_targetILNS1_3genE4ELNS1_11target_archE910ELNS1_3gpuE8ELNS1_3repE0EEENS1_48merge_mergepath_partition_config_static_selectorELNS0_4arch9wavefront6targetE1EEEvSJ_
	.globl	_ZN7rocprim17ROCPRIM_400000_NS6detail17trampoline_kernelINS0_14default_configENS1_38merge_sort_block_merge_config_selectorIxxEEZZNS1_27merge_sort_block_merge_implIS3_N6thrust23THRUST_200600_302600_NS6detail15normal_iteratorINS8_10device_ptrIxEEEESD_jNS1_19radix_merge_compareILb0ELb1ExNS0_19identity_decomposerEEEEE10hipError_tT0_T1_T2_jT3_P12ihipStream_tbPNSt15iterator_traitsISI_E10value_typeEPNSO_ISJ_E10value_typeEPSK_NS1_7vsmem_tEENKUlT_SI_SJ_SK_E_clISD_PxSD_S10_EESH_SX_SI_SJ_SK_EUlSX_E_NS1_11comp_targetILNS1_3genE4ELNS1_11target_archE910ELNS1_3gpuE8ELNS1_3repE0EEENS1_48merge_mergepath_partition_config_static_selectorELNS0_4arch9wavefront6targetE1EEEvSJ_
	.p2align	8
	.type	_ZN7rocprim17ROCPRIM_400000_NS6detail17trampoline_kernelINS0_14default_configENS1_38merge_sort_block_merge_config_selectorIxxEEZZNS1_27merge_sort_block_merge_implIS3_N6thrust23THRUST_200600_302600_NS6detail15normal_iteratorINS8_10device_ptrIxEEEESD_jNS1_19radix_merge_compareILb0ELb1ExNS0_19identity_decomposerEEEEE10hipError_tT0_T1_T2_jT3_P12ihipStream_tbPNSt15iterator_traitsISI_E10value_typeEPNSO_ISJ_E10value_typeEPSK_NS1_7vsmem_tEENKUlT_SI_SJ_SK_E_clISD_PxSD_S10_EESH_SX_SI_SJ_SK_EUlSX_E_NS1_11comp_targetILNS1_3genE4ELNS1_11target_archE910ELNS1_3gpuE8ELNS1_3repE0EEENS1_48merge_mergepath_partition_config_static_selectorELNS0_4arch9wavefront6targetE1EEEvSJ_,@function
_ZN7rocprim17ROCPRIM_400000_NS6detail17trampoline_kernelINS0_14default_configENS1_38merge_sort_block_merge_config_selectorIxxEEZZNS1_27merge_sort_block_merge_implIS3_N6thrust23THRUST_200600_302600_NS6detail15normal_iteratorINS8_10device_ptrIxEEEESD_jNS1_19radix_merge_compareILb0ELb1ExNS0_19identity_decomposerEEEEE10hipError_tT0_T1_T2_jT3_P12ihipStream_tbPNSt15iterator_traitsISI_E10value_typeEPNSO_ISJ_E10value_typeEPSK_NS1_7vsmem_tEENKUlT_SI_SJ_SK_E_clISD_PxSD_S10_EESH_SX_SI_SJ_SK_EUlSX_E_NS1_11comp_targetILNS1_3genE4ELNS1_11target_archE910ELNS1_3gpuE8ELNS1_3repE0EEENS1_48merge_mergepath_partition_config_static_selectorELNS0_4arch9wavefront6targetE1EEEvSJ_: ; @_ZN7rocprim17ROCPRIM_400000_NS6detail17trampoline_kernelINS0_14default_configENS1_38merge_sort_block_merge_config_selectorIxxEEZZNS1_27merge_sort_block_merge_implIS3_N6thrust23THRUST_200600_302600_NS6detail15normal_iteratorINS8_10device_ptrIxEEEESD_jNS1_19radix_merge_compareILb0ELb1ExNS0_19identity_decomposerEEEEE10hipError_tT0_T1_T2_jT3_P12ihipStream_tbPNSt15iterator_traitsISI_E10value_typeEPNSO_ISJ_E10value_typeEPSK_NS1_7vsmem_tEENKUlT_SI_SJ_SK_E_clISD_PxSD_S10_EESH_SX_SI_SJ_SK_EUlSX_E_NS1_11comp_targetILNS1_3genE4ELNS1_11target_archE910ELNS1_3gpuE8ELNS1_3repE0EEENS1_48merge_mergepath_partition_config_static_selectorELNS0_4arch9wavefront6targetE1EEEvSJ_
; %bb.0:
	.section	.rodata,"a",@progbits
	.p2align	6, 0x0
	.amdhsa_kernel _ZN7rocprim17ROCPRIM_400000_NS6detail17trampoline_kernelINS0_14default_configENS1_38merge_sort_block_merge_config_selectorIxxEEZZNS1_27merge_sort_block_merge_implIS3_N6thrust23THRUST_200600_302600_NS6detail15normal_iteratorINS8_10device_ptrIxEEEESD_jNS1_19radix_merge_compareILb0ELb1ExNS0_19identity_decomposerEEEEE10hipError_tT0_T1_T2_jT3_P12ihipStream_tbPNSt15iterator_traitsISI_E10value_typeEPNSO_ISJ_E10value_typeEPSK_NS1_7vsmem_tEENKUlT_SI_SJ_SK_E_clISD_PxSD_S10_EESH_SX_SI_SJ_SK_EUlSX_E_NS1_11comp_targetILNS1_3genE4ELNS1_11target_archE910ELNS1_3gpuE8ELNS1_3repE0EEENS1_48merge_mergepath_partition_config_static_selectorELNS0_4arch9wavefront6targetE1EEEvSJ_
		.amdhsa_group_segment_fixed_size 0
		.amdhsa_private_segment_fixed_size 0
		.amdhsa_kernarg_size 40
		.amdhsa_user_sgpr_count 2
		.amdhsa_user_sgpr_dispatch_ptr 0
		.amdhsa_user_sgpr_queue_ptr 0
		.amdhsa_user_sgpr_kernarg_segment_ptr 1
		.amdhsa_user_sgpr_dispatch_id 0
		.amdhsa_user_sgpr_kernarg_preload_length 0
		.amdhsa_user_sgpr_kernarg_preload_offset 0
		.amdhsa_user_sgpr_private_segment_size 0
		.amdhsa_uses_dynamic_stack 0
		.amdhsa_enable_private_segment 0
		.amdhsa_system_sgpr_workgroup_id_x 1
		.amdhsa_system_sgpr_workgroup_id_y 0
		.amdhsa_system_sgpr_workgroup_id_z 0
		.amdhsa_system_sgpr_workgroup_info 0
		.amdhsa_system_vgpr_workitem_id 0
		.amdhsa_next_free_vgpr 1
		.amdhsa_next_free_sgpr 0
		.amdhsa_accum_offset 4
		.amdhsa_reserve_vcc 0
		.amdhsa_float_round_mode_32 0
		.amdhsa_float_round_mode_16_64 0
		.amdhsa_float_denorm_mode_32 3
		.amdhsa_float_denorm_mode_16_64 3
		.amdhsa_dx10_clamp 1
		.amdhsa_ieee_mode 1
		.amdhsa_fp16_overflow 0
		.amdhsa_tg_split 0
		.amdhsa_exception_fp_ieee_invalid_op 0
		.amdhsa_exception_fp_denorm_src 0
		.amdhsa_exception_fp_ieee_div_zero 0
		.amdhsa_exception_fp_ieee_overflow 0
		.amdhsa_exception_fp_ieee_underflow 0
		.amdhsa_exception_fp_ieee_inexact 0
		.amdhsa_exception_int_div_zero 0
	.end_amdhsa_kernel
	.section	.text._ZN7rocprim17ROCPRIM_400000_NS6detail17trampoline_kernelINS0_14default_configENS1_38merge_sort_block_merge_config_selectorIxxEEZZNS1_27merge_sort_block_merge_implIS3_N6thrust23THRUST_200600_302600_NS6detail15normal_iteratorINS8_10device_ptrIxEEEESD_jNS1_19radix_merge_compareILb0ELb1ExNS0_19identity_decomposerEEEEE10hipError_tT0_T1_T2_jT3_P12ihipStream_tbPNSt15iterator_traitsISI_E10value_typeEPNSO_ISJ_E10value_typeEPSK_NS1_7vsmem_tEENKUlT_SI_SJ_SK_E_clISD_PxSD_S10_EESH_SX_SI_SJ_SK_EUlSX_E_NS1_11comp_targetILNS1_3genE4ELNS1_11target_archE910ELNS1_3gpuE8ELNS1_3repE0EEENS1_48merge_mergepath_partition_config_static_selectorELNS0_4arch9wavefront6targetE1EEEvSJ_,"axG",@progbits,_ZN7rocprim17ROCPRIM_400000_NS6detail17trampoline_kernelINS0_14default_configENS1_38merge_sort_block_merge_config_selectorIxxEEZZNS1_27merge_sort_block_merge_implIS3_N6thrust23THRUST_200600_302600_NS6detail15normal_iteratorINS8_10device_ptrIxEEEESD_jNS1_19radix_merge_compareILb0ELb1ExNS0_19identity_decomposerEEEEE10hipError_tT0_T1_T2_jT3_P12ihipStream_tbPNSt15iterator_traitsISI_E10value_typeEPNSO_ISJ_E10value_typeEPSK_NS1_7vsmem_tEENKUlT_SI_SJ_SK_E_clISD_PxSD_S10_EESH_SX_SI_SJ_SK_EUlSX_E_NS1_11comp_targetILNS1_3genE4ELNS1_11target_archE910ELNS1_3gpuE8ELNS1_3repE0EEENS1_48merge_mergepath_partition_config_static_selectorELNS0_4arch9wavefront6targetE1EEEvSJ_,comdat
.Lfunc_end1149:
	.size	_ZN7rocprim17ROCPRIM_400000_NS6detail17trampoline_kernelINS0_14default_configENS1_38merge_sort_block_merge_config_selectorIxxEEZZNS1_27merge_sort_block_merge_implIS3_N6thrust23THRUST_200600_302600_NS6detail15normal_iteratorINS8_10device_ptrIxEEEESD_jNS1_19radix_merge_compareILb0ELb1ExNS0_19identity_decomposerEEEEE10hipError_tT0_T1_T2_jT3_P12ihipStream_tbPNSt15iterator_traitsISI_E10value_typeEPNSO_ISJ_E10value_typeEPSK_NS1_7vsmem_tEENKUlT_SI_SJ_SK_E_clISD_PxSD_S10_EESH_SX_SI_SJ_SK_EUlSX_E_NS1_11comp_targetILNS1_3genE4ELNS1_11target_archE910ELNS1_3gpuE8ELNS1_3repE0EEENS1_48merge_mergepath_partition_config_static_selectorELNS0_4arch9wavefront6targetE1EEEvSJ_, .Lfunc_end1149-_ZN7rocprim17ROCPRIM_400000_NS6detail17trampoline_kernelINS0_14default_configENS1_38merge_sort_block_merge_config_selectorIxxEEZZNS1_27merge_sort_block_merge_implIS3_N6thrust23THRUST_200600_302600_NS6detail15normal_iteratorINS8_10device_ptrIxEEEESD_jNS1_19radix_merge_compareILb0ELb1ExNS0_19identity_decomposerEEEEE10hipError_tT0_T1_T2_jT3_P12ihipStream_tbPNSt15iterator_traitsISI_E10value_typeEPNSO_ISJ_E10value_typeEPSK_NS1_7vsmem_tEENKUlT_SI_SJ_SK_E_clISD_PxSD_S10_EESH_SX_SI_SJ_SK_EUlSX_E_NS1_11comp_targetILNS1_3genE4ELNS1_11target_archE910ELNS1_3gpuE8ELNS1_3repE0EEENS1_48merge_mergepath_partition_config_static_selectorELNS0_4arch9wavefront6targetE1EEEvSJ_
                                        ; -- End function
	.set _ZN7rocprim17ROCPRIM_400000_NS6detail17trampoline_kernelINS0_14default_configENS1_38merge_sort_block_merge_config_selectorIxxEEZZNS1_27merge_sort_block_merge_implIS3_N6thrust23THRUST_200600_302600_NS6detail15normal_iteratorINS8_10device_ptrIxEEEESD_jNS1_19radix_merge_compareILb0ELb1ExNS0_19identity_decomposerEEEEE10hipError_tT0_T1_T2_jT3_P12ihipStream_tbPNSt15iterator_traitsISI_E10value_typeEPNSO_ISJ_E10value_typeEPSK_NS1_7vsmem_tEENKUlT_SI_SJ_SK_E_clISD_PxSD_S10_EESH_SX_SI_SJ_SK_EUlSX_E_NS1_11comp_targetILNS1_3genE4ELNS1_11target_archE910ELNS1_3gpuE8ELNS1_3repE0EEENS1_48merge_mergepath_partition_config_static_selectorELNS0_4arch9wavefront6targetE1EEEvSJ_.num_vgpr, 0
	.set _ZN7rocprim17ROCPRIM_400000_NS6detail17trampoline_kernelINS0_14default_configENS1_38merge_sort_block_merge_config_selectorIxxEEZZNS1_27merge_sort_block_merge_implIS3_N6thrust23THRUST_200600_302600_NS6detail15normal_iteratorINS8_10device_ptrIxEEEESD_jNS1_19radix_merge_compareILb0ELb1ExNS0_19identity_decomposerEEEEE10hipError_tT0_T1_T2_jT3_P12ihipStream_tbPNSt15iterator_traitsISI_E10value_typeEPNSO_ISJ_E10value_typeEPSK_NS1_7vsmem_tEENKUlT_SI_SJ_SK_E_clISD_PxSD_S10_EESH_SX_SI_SJ_SK_EUlSX_E_NS1_11comp_targetILNS1_3genE4ELNS1_11target_archE910ELNS1_3gpuE8ELNS1_3repE0EEENS1_48merge_mergepath_partition_config_static_selectorELNS0_4arch9wavefront6targetE1EEEvSJ_.num_agpr, 0
	.set _ZN7rocprim17ROCPRIM_400000_NS6detail17trampoline_kernelINS0_14default_configENS1_38merge_sort_block_merge_config_selectorIxxEEZZNS1_27merge_sort_block_merge_implIS3_N6thrust23THRUST_200600_302600_NS6detail15normal_iteratorINS8_10device_ptrIxEEEESD_jNS1_19radix_merge_compareILb0ELb1ExNS0_19identity_decomposerEEEEE10hipError_tT0_T1_T2_jT3_P12ihipStream_tbPNSt15iterator_traitsISI_E10value_typeEPNSO_ISJ_E10value_typeEPSK_NS1_7vsmem_tEENKUlT_SI_SJ_SK_E_clISD_PxSD_S10_EESH_SX_SI_SJ_SK_EUlSX_E_NS1_11comp_targetILNS1_3genE4ELNS1_11target_archE910ELNS1_3gpuE8ELNS1_3repE0EEENS1_48merge_mergepath_partition_config_static_selectorELNS0_4arch9wavefront6targetE1EEEvSJ_.numbered_sgpr, 0
	.set _ZN7rocprim17ROCPRIM_400000_NS6detail17trampoline_kernelINS0_14default_configENS1_38merge_sort_block_merge_config_selectorIxxEEZZNS1_27merge_sort_block_merge_implIS3_N6thrust23THRUST_200600_302600_NS6detail15normal_iteratorINS8_10device_ptrIxEEEESD_jNS1_19radix_merge_compareILb0ELb1ExNS0_19identity_decomposerEEEEE10hipError_tT0_T1_T2_jT3_P12ihipStream_tbPNSt15iterator_traitsISI_E10value_typeEPNSO_ISJ_E10value_typeEPSK_NS1_7vsmem_tEENKUlT_SI_SJ_SK_E_clISD_PxSD_S10_EESH_SX_SI_SJ_SK_EUlSX_E_NS1_11comp_targetILNS1_3genE4ELNS1_11target_archE910ELNS1_3gpuE8ELNS1_3repE0EEENS1_48merge_mergepath_partition_config_static_selectorELNS0_4arch9wavefront6targetE1EEEvSJ_.num_named_barrier, 0
	.set _ZN7rocprim17ROCPRIM_400000_NS6detail17trampoline_kernelINS0_14default_configENS1_38merge_sort_block_merge_config_selectorIxxEEZZNS1_27merge_sort_block_merge_implIS3_N6thrust23THRUST_200600_302600_NS6detail15normal_iteratorINS8_10device_ptrIxEEEESD_jNS1_19radix_merge_compareILb0ELb1ExNS0_19identity_decomposerEEEEE10hipError_tT0_T1_T2_jT3_P12ihipStream_tbPNSt15iterator_traitsISI_E10value_typeEPNSO_ISJ_E10value_typeEPSK_NS1_7vsmem_tEENKUlT_SI_SJ_SK_E_clISD_PxSD_S10_EESH_SX_SI_SJ_SK_EUlSX_E_NS1_11comp_targetILNS1_3genE4ELNS1_11target_archE910ELNS1_3gpuE8ELNS1_3repE0EEENS1_48merge_mergepath_partition_config_static_selectorELNS0_4arch9wavefront6targetE1EEEvSJ_.private_seg_size, 0
	.set _ZN7rocprim17ROCPRIM_400000_NS6detail17trampoline_kernelINS0_14default_configENS1_38merge_sort_block_merge_config_selectorIxxEEZZNS1_27merge_sort_block_merge_implIS3_N6thrust23THRUST_200600_302600_NS6detail15normal_iteratorINS8_10device_ptrIxEEEESD_jNS1_19radix_merge_compareILb0ELb1ExNS0_19identity_decomposerEEEEE10hipError_tT0_T1_T2_jT3_P12ihipStream_tbPNSt15iterator_traitsISI_E10value_typeEPNSO_ISJ_E10value_typeEPSK_NS1_7vsmem_tEENKUlT_SI_SJ_SK_E_clISD_PxSD_S10_EESH_SX_SI_SJ_SK_EUlSX_E_NS1_11comp_targetILNS1_3genE4ELNS1_11target_archE910ELNS1_3gpuE8ELNS1_3repE0EEENS1_48merge_mergepath_partition_config_static_selectorELNS0_4arch9wavefront6targetE1EEEvSJ_.uses_vcc, 0
	.set _ZN7rocprim17ROCPRIM_400000_NS6detail17trampoline_kernelINS0_14default_configENS1_38merge_sort_block_merge_config_selectorIxxEEZZNS1_27merge_sort_block_merge_implIS3_N6thrust23THRUST_200600_302600_NS6detail15normal_iteratorINS8_10device_ptrIxEEEESD_jNS1_19radix_merge_compareILb0ELb1ExNS0_19identity_decomposerEEEEE10hipError_tT0_T1_T2_jT3_P12ihipStream_tbPNSt15iterator_traitsISI_E10value_typeEPNSO_ISJ_E10value_typeEPSK_NS1_7vsmem_tEENKUlT_SI_SJ_SK_E_clISD_PxSD_S10_EESH_SX_SI_SJ_SK_EUlSX_E_NS1_11comp_targetILNS1_3genE4ELNS1_11target_archE910ELNS1_3gpuE8ELNS1_3repE0EEENS1_48merge_mergepath_partition_config_static_selectorELNS0_4arch9wavefront6targetE1EEEvSJ_.uses_flat_scratch, 0
	.set _ZN7rocprim17ROCPRIM_400000_NS6detail17trampoline_kernelINS0_14default_configENS1_38merge_sort_block_merge_config_selectorIxxEEZZNS1_27merge_sort_block_merge_implIS3_N6thrust23THRUST_200600_302600_NS6detail15normal_iteratorINS8_10device_ptrIxEEEESD_jNS1_19radix_merge_compareILb0ELb1ExNS0_19identity_decomposerEEEEE10hipError_tT0_T1_T2_jT3_P12ihipStream_tbPNSt15iterator_traitsISI_E10value_typeEPNSO_ISJ_E10value_typeEPSK_NS1_7vsmem_tEENKUlT_SI_SJ_SK_E_clISD_PxSD_S10_EESH_SX_SI_SJ_SK_EUlSX_E_NS1_11comp_targetILNS1_3genE4ELNS1_11target_archE910ELNS1_3gpuE8ELNS1_3repE0EEENS1_48merge_mergepath_partition_config_static_selectorELNS0_4arch9wavefront6targetE1EEEvSJ_.has_dyn_sized_stack, 0
	.set _ZN7rocprim17ROCPRIM_400000_NS6detail17trampoline_kernelINS0_14default_configENS1_38merge_sort_block_merge_config_selectorIxxEEZZNS1_27merge_sort_block_merge_implIS3_N6thrust23THRUST_200600_302600_NS6detail15normal_iteratorINS8_10device_ptrIxEEEESD_jNS1_19radix_merge_compareILb0ELb1ExNS0_19identity_decomposerEEEEE10hipError_tT0_T1_T2_jT3_P12ihipStream_tbPNSt15iterator_traitsISI_E10value_typeEPNSO_ISJ_E10value_typeEPSK_NS1_7vsmem_tEENKUlT_SI_SJ_SK_E_clISD_PxSD_S10_EESH_SX_SI_SJ_SK_EUlSX_E_NS1_11comp_targetILNS1_3genE4ELNS1_11target_archE910ELNS1_3gpuE8ELNS1_3repE0EEENS1_48merge_mergepath_partition_config_static_selectorELNS0_4arch9wavefront6targetE1EEEvSJ_.has_recursion, 0
	.set _ZN7rocprim17ROCPRIM_400000_NS6detail17trampoline_kernelINS0_14default_configENS1_38merge_sort_block_merge_config_selectorIxxEEZZNS1_27merge_sort_block_merge_implIS3_N6thrust23THRUST_200600_302600_NS6detail15normal_iteratorINS8_10device_ptrIxEEEESD_jNS1_19radix_merge_compareILb0ELb1ExNS0_19identity_decomposerEEEEE10hipError_tT0_T1_T2_jT3_P12ihipStream_tbPNSt15iterator_traitsISI_E10value_typeEPNSO_ISJ_E10value_typeEPSK_NS1_7vsmem_tEENKUlT_SI_SJ_SK_E_clISD_PxSD_S10_EESH_SX_SI_SJ_SK_EUlSX_E_NS1_11comp_targetILNS1_3genE4ELNS1_11target_archE910ELNS1_3gpuE8ELNS1_3repE0EEENS1_48merge_mergepath_partition_config_static_selectorELNS0_4arch9wavefront6targetE1EEEvSJ_.has_indirect_call, 0
	.section	.AMDGPU.csdata,"",@progbits
; Kernel info:
; codeLenInByte = 0
; TotalNumSgprs: 6
; NumVgprs: 0
; NumAgprs: 0
; TotalNumVgprs: 0
; ScratchSize: 0
; MemoryBound: 0
; FloatMode: 240
; IeeeMode: 1
; LDSByteSize: 0 bytes/workgroup (compile time only)
; SGPRBlocks: 0
; VGPRBlocks: 0
; NumSGPRsForWavesPerEU: 6
; NumVGPRsForWavesPerEU: 1
; AccumOffset: 4
; Occupancy: 8
; WaveLimiterHint : 0
; COMPUTE_PGM_RSRC2:SCRATCH_EN: 0
; COMPUTE_PGM_RSRC2:USER_SGPR: 2
; COMPUTE_PGM_RSRC2:TRAP_HANDLER: 0
; COMPUTE_PGM_RSRC2:TGID_X_EN: 1
; COMPUTE_PGM_RSRC2:TGID_Y_EN: 0
; COMPUTE_PGM_RSRC2:TGID_Z_EN: 0
; COMPUTE_PGM_RSRC2:TIDIG_COMP_CNT: 0
; COMPUTE_PGM_RSRC3_GFX90A:ACCUM_OFFSET: 0
; COMPUTE_PGM_RSRC3_GFX90A:TG_SPLIT: 0
	.section	.text._ZN7rocprim17ROCPRIM_400000_NS6detail17trampoline_kernelINS0_14default_configENS1_38merge_sort_block_merge_config_selectorIxxEEZZNS1_27merge_sort_block_merge_implIS3_N6thrust23THRUST_200600_302600_NS6detail15normal_iteratorINS8_10device_ptrIxEEEESD_jNS1_19radix_merge_compareILb0ELb1ExNS0_19identity_decomposerEEEEE10hipError_tT0_T1_T2_jT3_P12ihipStream_tbPNSt15iterator_traitsISI_E10value_typeEPNSO_ISJ_E10value_typeEPSK_NS1_7vsmem_tEENKUlT_SI_SJ_SK_E_clISD_PxSD_S10_EESH_SX_SI_SJ_SK_EUlSX_E_NS1_11comp_targetILNS1_3genE3ELNS1_11target_archE908ELNS1_3gpuE7ELNS1_3repE0EEENS1_48merge_mergepath_partition_config_static_selectorELNS0_4arch9wavefront6targetE1EEEvSJ_,"axG",@progbits,_ZN7rocprim17ROCPRIM_400000_NS6detail17trampoline_kernelINS0_14default_configENS1_38merge_sort_block_merge_config_selectorIxxEEZZNS1_27merge_sort_block_merge_implIS3_N6thrust23THRUST_200600_302600_NS6detail15normal_iteratorINS8_10device_ptrIxEEEESD_jNS1_19radix_merge_compareILb0ELb1ExNS0_19identity_decomposerEEEEE10hipError_tT0_T1_T2_jT3_P12ihipStream_tbPNSt15iterator_traitsISI_E10value_typeEPNSO_ISJ_E10value_typeEPSK_NS1_7vsmem_tEENKUlT_SI_SJ_SK_E_clISD_PxSD_S10_EESH_SX_SI_SJ_SK_EUlSX_E_NS1_11comp_targetILNS1_3genE3ELNS1_11target_archE908ELNS1_3gpuE7ELNS1_3repE0EEENS1_48merge_mergepath_partition_config_static_selectorELNS0_4arch9wavefront6targetE1EEEvSJ_,comdat
	.protected	_ZN7rocprim17ROCPRIM_400000_NS6detail17trampoline_kernelINS0_14default_configENS1_38merge_sort_block_merge_config_selectorIxxEEZZNS1_27merge_sort_block_merge_implIS3_N6thrust23THRUST_200600_302600_NS6detail15normal_iteratorINS8_10device_ptrIxEEEESD_jNS1_19radix_merge_compareILb0ELb1ExNS0_19identity_decomposerEEEEE10hipError_tT0_T1_T2_jT3_P12ihipStream_tbPNSt15iterator_traitsISI_E10value_typeEPNSO_ISJ_E10value_typeEPSK_NS1_7vsmem_tEENKUlT_SI_SJ_SK_E_clISD_PxSD_S10_EESH_SX_SI_SJ_SK_EUlSX_E_NS1_11comp_targetILNS1_3genE3ELNS1_11target_archE908ELNS1_3gpuE7ELNS1_3repE0EEENS1_48merge_mergepath_partition_config_static_selectorELNS0_4arch9wavefront6targetE1EEEvSJ_ ; -- Begin function _ZN7rocprim17ROCPRIM_400000_NS6detail17trampoline_kernelINS0_14default_configENS1_38merge_sort_block_merge_config_selectorIxxEEZZNS1_27merge_sort_block_merge_implIS3_N6thrust23THRUST_200600_302600_NS6detail15normal_iteratorINS8_10device_ptrIxEEEESD_jNS1_19radix_merge_compareILb0ELb1ExNS0_19identity_decomposerEEEEE10hipError_tT0_T1_T2_jT3_P12ihipStream_tbPNSt15iterator_traitsISI_E10value_typeEPNSO_ISJ_E10value_typeEPSK_NS1_7vsmem_tEENKUlT_SI_SJ_SK_E_clISD_PxSD_S10_EESH_SX_SI_SJ_SK_EUlSX_E_NS1_11comp_targetILNS1_3genE3ELNS1_11target_archE908ELNS1_3gpuE7ELNS1_3repE0EEENS1_48merge_mergepath_partition_config_static_selectorELNS0_4arch9wavefront6targetE1EEEvSJ_
	.globl	_ZN7rocprim17ROCPRIM_400000_NS6detail17trampoline_kernelINS0_14default_configENS1_38merge_sort_block_merge_config_selectorIxxEEZZNS1_27merge_sort_block_merge_implIS3_N6thrust23THRUST_200600_302600_NS6detail15normal_iteratorINS8_10device_ptrIxEEEESD_jNS1_19radix_merge_compareILb0ELb1ExNS0_19identity_decomposerEEEEE10hipError_tT0_T1_T2_jT3_P12ihipStream_tbPNSt15iterator_traitsISI_E10value_typeEPNSO_ISJ_E10value_typeEPSK_NS1_7vsmem_tEENKUlT_SI_SJ_SK_E_clISD_PxSD_S10_EESH_SX_SI_SJ_SK_EUlSX_E_NS1_11comp_targetILNS1_3genE3ELNS1_11target_archE908ELNS1_3gpuE7ELNS1_3repE0EEENS1_48merge_mergepath_partition_config_static_selectorELNS0_4arch9wavefront6targetE1EEEvSJ_
	.p2align	8
	.type	_ZN7rocprim17ROCPRIM_400000_NS6detail17trampoline_kernelINS0_14default_configENS1_38merge_sort_block_merge_config_selectorIxxEEZZNS1_27merge_sort_block_merge_implIS3_N6thrust23THRUST_200600_302600_NS6detail15normal_iteratorINS8_10device_ptrIxEEEESD_jNS1_19radix_merge_compareILb0ELb1ExNS0_19identity_decomposerEEEEE10hipError_tT0_T1_T2_jT3_P12ihipStream_tbPNSt15iterator_traitsISI_E10value_typeEPNSO_ISJ_E10value_typeEPSK_NS1_7vsmem_tEENKUlT_SI_SJ_SK_E_clISD_PxSD_S10_EESH_SX_SI_SJ_SK_EUlSX_E_NS1_11comp_targetILNS1_3genE3ELNS1_11target_archE908ELNS1_3gpuE7ELNS1_3repE0EEENS1_48merge_mergepath_partition_config_static_selectorELNS0_4arch9wavefront6targetE1EEEvSJ_,@function
_ZN7rocprim17ROCPRIM_400000_NS6detail17trampoline_kernelINS0_14default_configENS1_38merge_sort_block_merge_config_selectorIxxEEZZNS1_27merge_sort_block_merge_implIS3_N6thrust23THRUST_200600_302600_NS6detail15normal_iteratorINS8_10device_ptrIxEEEESD_jNS1_19radix_merge_compareILb0ELb1ExNS0_19identity_decomposerEEEEE10hipError_tT0_T1_T2_jT3_P12ihipStream_tbPNSt15iterator_traitsISI_E10value_typeEPNSO_ISJ_E10value_typeEPSK_NS1_7vsmem_tEENKUlT_SI_SJ_SK_E_clISD_PxSD_S10_EESH_SX_SI_SJ_SK_EUlSX_E_NS1_11comp_targetILNS1_3genE3ELNS1_11target_archE908ELNS1_3gpuE7ELNS1_3repE0EEENS1_48merge_mergepath_partition_config_static_selectorELNS0_4arch9wavefront6targetE1EEEvSJ_: ; @_ZN7rocprim17ROCPRIM_400000_NS6detail17trampoline_kernelINS0_14default_configENS1_38merge_sort_block_merge_config_selectorIxxEEZZNS1_27merge_sort_block_merge_implIS3_N6thrust23THRUST_200600_302600_NS6detail15normal_iteratorINS8_10device_ptrIxEEEESD_jNS1_19radix_merge_compareILb0ELb1ExNS0_19identity_decomposerEEEEE10hipError_tT0_T1_T2_jT3_P12ihipStream_tbPNSt15iterator_traitsISI_E10value_typeEPNSO_ISJ_E10value_typeEPSK_NS1_7vsmem_tEENKUlT_SI_SJ_SK_E_clISD_PxSD_S10_EESH_SX_SI_SJ_SK_EUlSX_E_NS1_11comp_targetILNS1_3genE3ELNS1_11target_archE908ELNS1_3gpuE7ELNS1_3repE0EEENS1_48merge_mergepath_partition_config_static_selectorELNS0_4arch9wavefront6targetE1EEEvSJ_
; %bb.0:
	.section	.rodata,"a",@progbits
	.p2align	6, 0x0
	.amdhsa_kernel _ZN7rocprim17ROCPRIM_400000_NS6detail17trampoline_kernelINS0_14default_configENS1_38merge_sort_block_merge_config_selectorIxxEEZZNS1_27merge_sort_block_merge_implIS3_N6thrust23THRUST_200600_302600_NS6detail15normal_iteratorINS8_10device_ptrIxEEEESD_jNS1_19radix_merge_compareILb0ELb1ExNS0_19identity_decomposerEEEEE10hipError_tT0_T1_T2_jT3_P12ihipStream_tbPNSt15iterator_traitsISI_E10value_typeEPNSO_ISJ_E10value_typeEPSK_NS1_7vsmem_tEENKUlT_SI_SJ_SK_E_clISD_PxSD_S10_EESH_SX_SI_SJ_SK_EUlSX_E_NS1_11comp_targetILNS1_3genE3ELNS1_11target_archE908ELNS1_3gpuE7ELNS1_3repE0EEENS1_48merge_mergepath_partition_config_static_selectorELNS0_4arch9wavefront6targetE1EEEvSJ_
		.amdhsa_group_segment_fixed_size 0
		.amdhsa_private_segment_fixed_size 0
		.amdhsa_kernarg_size 40
		.amdhsa_user_sgpr_count 2
		.amdhsa_user_sgpr_dispatch_ptr 0
		.amdhsa_user_sgpr_queue_ptr 0
		.amdhsa_user_sgpr_kernarg_segment_ptr 1
		.amdhsa_user_sgpr_dispatch_id 0
		.amdhsa_user_sgpr_kernarg_preload_length 0
		.amdhsa_user_sgpr_kernarg_preload_offset 0
		.amdhsa_user_sgpr_private_segment_size 0
		.amdhsa_uses_dynamic_stack 0
		.amdhsa_enable_private_segment 0
		.amdhsa_system_sgpr_workgroup_id_x 1
		.amdhsa_system_sgpr_workgroup_id_y 0
		.amdhsa_system_sgpr_workgroup_id_z 0
		.amdhsa_system_sgpr_workgroup_info 0
		.amdhsa_system_vgpr_workitem_id 0
		.amdhsa_next_free_vgpr 1
		.amdhsa_next_free_sgpr 0
		.amdhsa_accum_offset 4
		.amdhsa_reserve_vcc 0
		.amdhsa_float_round_mode_32 0
		.amdhsa_float_round_mode_16_64 0
		.amdhsa_float_denorm_mode_32 3
		.amdhsa_float_denorm_mode_16_64 3
		.amdhsa_dx10_clamp 1
		.amdhsa_ieee_mode 1
		.amdhsa_fp16_overflow 0
		.amdhsa_tg_split 0
		.amdhsa_exception_fp_ieee_invalid_op 0
		.amdhsa_exception_fp_denorm_src 0
		.amdhsa_exception_fp_ieee_div_zero 0
		.amdhsa_exception_fp_ieee_overflow 0
		.amdhsa_exception_fp_ieee_underflow 0
		.amdhsa_exception_fp_ieee_inexact 0
		.amdhsa_exception_int_div_zero 0
	.end_amdhsa_kernel
	.section	.text._ZN7rocprim17ROCPRIM_400000_NS6detail17trampoline_kernelINS0_14default_configENS1_38merge_sort_block_merge_config_selectorIxxEEZZNS1_27merge_sort_block_merge_implIS3_N6thrust23THRUST_200600_302600_NS6detail15normal_iteratorINS8_10device_ptrIxEEEESD_jNS1_19radix_merge_compareILb0ELb1ExNS0_19identity_decomposerEEEEE10hipError_tT0_T1_T2_jT3_P12ihipStream_tbPNSt15iterator_traitsISI_E10value_typeEPNSO_ISJ_E10value_typeEPSK_NS1_7vsmem_tEENKUlT_SI_SJ_SK_E_clISD_PxSD_S10_EESH_SX_SI_SJ_SK_EUlSX_E_NS1_11comp_targetILNS1_3genE3ELNS1_11target_archE908ELNS1_3gpuE7ELNS1_3repE0EEENS1_48merge_mergepath_partition_config_static_selectorELNS0_4arch9wavefront6targetE1EEEvSJ_,"axG",@progbits,_ZN7rocprim17ROCPRIM_400000_NS6detail17trampoline_kernelINS0_14default_configENS1_38merge_sort_block_merge_config_selectorIxxEEZZNS1_27merge_sort_block_merge_implIS3_N6thrust23THRUST_200600_302600_NS6detail15normal_iteratorINS8_10device_ptrIxEEEESD_jNS1_19radix_merge_compareILb0ELb1ExNS0_19identity_decomposerEEEEE10hipError_tT0_T1_T2_jT3_P12ihipStream_tbPNSt15iterator_traitsISI_E10value_typeEPNSO_ISJ_E10value_typeEPSK_NS1_7vsmem_tEENKUlT_SI_SJ_SK_E_clISD_PxSD_S10_EESH_SX_SI_SJ_SK_EUlSX_E_NS1_11comp_targetILNS1_3genE3ELNS1_11target_archE908ELNS1_3gpuE7ELNS1_3repE0EEENS1_48merge_mergepath_partition_config_static_selectorELNS0_4arch9wavefront6targetE1EEEvSJ_,comdat
.Lfunc_end1150:
	.size	_ZN7rocprim17ROCPRIM_400000_NS6detail17trampoline_kernelINS0_14default_configENS1_38merge_sort_block_merge_config_selectorIxxEEZZNS1_27merge_sort_block_merge_implIS3_N6thrust23THRUST_200600_302600_NS6detail15normal_iteratorINS8_10device_ptrIxEEEESD_jNS1_19radix_merge_compareILb0ELb1ExNS0_19identity_decomposerEEEEE10hipError_tT0_T1_T2_jT3_P12ihipStream_tbPNSt15iterator_traitsISI_E10value_typeEPNSO_ISJ_E10value_typeEPSK_NS1_7vsmem_tEENKUlT_SI_SJ_SK_E_clISD_PxSD_S10_EESH_SX_SI_SJ_SK_EUlSX_E_NS1_11comp_targetILNS1_3genE3ELNS1_11target_archE908ELNS1_3gpuE7ELNS1_3repE0EEENS1_48merge_mergepath_partition_config_static_selectorELNS0_4arch9wavefront6targetE1EEEvSJ_, .Lfunc_end1150-_ZN7rocprim17ROCPRIM_400000_NS6detail17trampoline_kernelINS0_14default_configENS1_38merge_sort_block_merge_config_selectorIxxEEZZNS1_27merge_sort_block_merge_implIS3_N6thrust23THRUST_200600_302600_NS6detail15normal_iteratorINS8_10device_ptrIxEEEESD_jNS1_19radix_merge_compareILb0ELb1ExNS0_19identity_decomposerEEEEE10hipError_tT0_T1_T2_jT3_P12ihipStream_tbPNSt15iterator_traitsISI_E10value_typeEPNSO_ISJ_E10value_typeEPSK_NS1_7vsmem_tEENKUlT_SI_SJ_SK_E_clISD_PxSD_S10_EESH_SX_SI_SJ_SK_EUlSX_E_NS1_11comp_targetILNS1_3genE3ELNS1_11target_archE908ELNS1_3gpuE7ELNS1_3repE0EEENS1_48merge_mergepath_partition_config_static_selectorELNS0_4arch9wavefront6targetE1EEEvSJ_
                                        ; -- End function
	.set _ZN7rocprim17ROCPRIM_400000_NS6detail17trampoline_kernelINS0_14default_configENS1_38merge_sort_block_merge_config_selectorIxxEEZZNS1_27merge_sort_block_merge_implIS3_N6thrust23THRUST_200600_302600_NS6detail15normal_iteratorINS8_10device_ptrIxEEEESD_jNS1_19radix_merge_compareILb0ELb1ExNS0_19identity_decomposerEEEEE10hipError_tT0_T1_T2_jT3_P12ihipStream_tbPNSt15iterator_traitsISI_E10value_typeEPNSO_ISJ_E10value_typeEPSK_NS1_7vsmem_tEENKUlT_SI_SJ_SK_E_clISD_PxSD_S10_EESH_SX_SI_SJ_SK_EUlSX_E_NS1_11comp_targetILNS1_3genE3ELNS1_11target_archE908ELNS1_3gpuE7ELNS1_3repE0EEENS1_48merge_mergepath_partition_config_static_selectorELNS0_4arch9wavefront6targetE1EEEvSJ_.num_vgpr, 0
	.set _ZN7rocprim17ROCPRIM_400000_NS6detail17trampoline_kernelINS0_14default_configENS1_38merge_sort_block_merge_config_selectorIxxEEZZNS1_27merge_sort_block_merge_implIS3_N6thrust23THRUST_200600_302600_NS6detail15normal_iteratorINS8_10device_ptrIxEEEESD_jNS1_19radix_merge_compareILb0ELb1ExNS0_19identity_decomposerEEEEE10hipError_tT0_T1_T2_jT3_P12ihipStream_tbPNSt15iterator_traitsISI_E10value_typeEPNSO_ISJ_E10value_typeEPSK_NS1_7vsmem_tEENKUlT_SI_SJ_SK_E_clISD_PxSD_S10_EESH_SX_SI_SJ_SK_EUlSX_E_NS1_11comp_targetILNS1_3genE3ELNS1_11target_archE908ELNS1_3gpuE7ELNS1_3repE0EEENS1_48merge_mergepath_partition_config_static_selectorELNS0_4arch9wavefront6targetE1EEEvSJ_.num_agpr, 0
	.set _ZN7rocprim17ROCPRIM_400000_NS6detail17trampoline_kernelINS0_14default_configENS1_38merge_sort_block_merge_config_selectorIxxEEZZNS1_27merge_sort_block_merge_implIS3_N6thrust23THRUST_200600_302600_NS6detail15normal_iteratorINS8_10device_ptrIxEEEESD_jNS1_19radix_merge_compareILb0ELb1ExNS0_19identity_decomposerEEEEE10hipError_tT0_T1_T2_jT3_P12ihipStream_tbPNSt15iterator_traitsISI_E10value_typeEPNSO_ISJ_E10value_typeEPSK_NS1_7vsmem_tEENKUlT_SI_SJ_SK_E_clISD_PxSD_S10_EESH_SX_SI_SJ_SK_EUlSX_E_NS1_11comp_targetILNS1_3genE3ELNS1_11target_archE908ELNS1_3gpuE7ELNS1_3repE0EEENS1_48merge_mergepath_partition_config_static_selectorELNS0_4arch9wavefront6targetE1EEEvSJ_.numbered_sgpr, 0
	.set _ZN7rocprim17ROCPRIM_400000_NS6detail17trampoline_kernelINS0_14default_configENS1_38merge_sort_block_merge_config_selectorIxxEEZZNS1_27merge_sort_block_merge_implIS3_N6thrust23THRUST_200600_302600_NS6detail15normal_iteratorINS8_10device_ptrIxEEEESD_jNS1_19radix_merge_compareILb0ELb1ExNS0_19identity_decomposerEEEEE10hipError_tT0_T1_T2_jT3_P12ihipStream_tbPNSt15iterator_traitsISI_E10value_typeEPNSO_ISJ_E10value_typeEPSK_NS1_7vsmem_tEENKUlT_SI_SJ_SK_E_clISD_PxSD_S10_EESH_SX_SI_SJ_SK_EUlSX_E_NS1_11comp_targetILNS1_3genE3ELNS1_11target_archE908ELNS1_3gpuE7ELNS1_3repE0EEENS1_48merge_mergepath_partition_config_static_selectorELNS0_4arch9wavefront6targetE1EEEvSJ_.num_named_barrier, 0
	.set _ZN7rocprim17ROCPRIM_400000_NS6detail17trampoline_kernelINS0_14default_configENS1_38merge_sort_block_merge_config_selectorIxxEEZZNS1_27merge_sort_block_merge_implIS3_N6thrust23THRUST_200600_302600_NS6detail15normal_iteratorINS8_10device_ptrIxEEEESD_jNS1_19radix_merge_compareILb0ELb1ExNS0_19identity_decomposerEEEEE10hipError_tT0_T1_T2_jT3_P12ihipStream_tbPNSt15iterator_traitsISI_E10value_typeEPNSO_ISJ_E10value_typeEPSK_NS1_7vsmem_tEENKUlT_SI_SJ_SK_E_clISD_PxSD_S10_EESH_SX_SI_SJ_SK_EUlSX_E_NS1_11comp_targetILNS1_3genE3ELNS1_11target_archE908ELNS1_3gpuE7ELNS1_3repE0EEENS1_48merge_mergepath_partition_config_static_selectorELNS0_4arch9wavefront6targetE1EEEvSJ_.private_seg_size, 0
	.set _ZN7rocprim17ROCPRIM_400000_NS6detail17trampoline_kernelINS0_14default_configENS1_38merge_sort_block_merge_config_selectorIxxEEZZNS1_27merge_sort_block_merge_implIS3_N6thrust23THRUST_200600_302600_NS6detail15normal_iteratorINS8_10device_ptrIxEEEESD_jNS1_19radix_merge_compareILb0ELb1ExNS0_19identity_decomposerEEEEE10hipError_tT0_T1_T2_jT3_P12ihipStream_tbPNSt15iterator_traitsISI_E10value_typeEPNSO_ISJ_E10value_typeEPSK_NS1_7vsmem_tEENKUlT_SI_SJ_SK_E_clISD_PxSD_S10_EESH_SX_SI_SJ_SK_EUlSX_E_NS1_11comp_targetILNS1_3genE3ELNS1_11target_archE908ELNS1_3gpuE7ELNS1_3repE0EEENS1_48merge_mergepath_partition_config_static_selectorELNS0_4arch9wavefront6targetE1EEEvSJ_.uses_vcc, 0
	.set _ZN7rocprim17ROCPRIM_400000_NS6detail17trampoline_kernelINS0_14default_configENS1_38merge_sort_block_merge_config_selectorIxxEEZZNS1_27merge_sort_block_merge_implIS3_N6thrust23THRUST_200600_302600_NS6detail15normal_iteratorINS8_10device_ptrIxEEEESD_jNS1_19radix_merge_compareILb0ELb1ExNS0_19identity_decomposerEEEEE10hipError_tT0_T1_T2_jT3_P12ihipStream_tbPNSt15iterator_traitsISI_E10value_typeEPNSO_ISJ_E10value_typeEPSK_NS1_7vsmem_tEENKUlT_SI_SJ_SK_E_clISD_PxSD_S10_EESH_SX_SI_SJ_SK_EUlSX_E_NS1_11comp_targetILNS1_3genE3ELNS1_11target_archE908ELNS1_3gpuE7ELNS1_3repE0EEENS1_48merge_mergepath_partition_config_static_selectorELNS0_4arch9wavefront6targetE1EEEvSJ_.uses_flat_scratch, 0
	.set _ZN7rocprim17ROCPRIM_400000_NS6detail17trampoline_kernelINS0_14default_configENS1_38merge_sort_block_merge_config_selectorIxxEEZZNS1_27merge_sort_block_merge_implIS3_N6thrust23THRUST_200600_302600_NS6detail15normal_iteratorINS8_10device_ptrIxEEEESD_jNS1_19radix_merge_compareILb0ELb1ExNS0_19identity_decomposerEEEEE10hipError_tT0_T1_T2_jT3_P12ihipStream_tbPNSt15iterator_traitsISI_E10value_typeEPNSO_ISJ_E10value_typeEPSK_NS1_7vsmem_tEENKUlT_SI_SJ_SK_E_clISD_PxSD_S10_EESH_SX_SI_SJ_SK_EUlSX_E_NS1_11comp_targetILNS1_3genE3ELNS1_11target_archE908ELNS1_3gpuE7ELNS1_3repE0EEENS1_48merge_mergepath_partition_config_static_selectorELNS0_4arch9wavefront6targetE1EEEvSJ_.has_dyn_sized_stack, 0
	.set _ZN7rocprim17ROCPRIM_400000_NS6detail17trampoline_kernelINS0_14default_configENS1_38merge_sort_block_merge_config_selectorIxxEEZZNS1_27merge_sort_block_merge_implIS3_N6thrust23THRUST_200600_302600_NS6detail15normal_iteratorINS8_10device_ptrIxEEEESD_jNS1_19radix_merge_compareILb0ELb1ExNS0_19identity_decomposerEEEEE10hipError_tT0_T1_T2_jT3_P12ihipStream_tbPNSt15iterator_traitsISI_E10value_typeEPNSO_ISJ_E10value_typeEPSK_NS1_7vsmem_tEENKUlT_SI_SJ_SK_E_clISD_PxSD_S10_EESH_SX_SI_SJ_SK_EUlSX_E_NS1_11comp_targetILNS1_3genE3ELNS1_11target_archE908ELNS1_3gpuE7ELNS1_3repE0EEENS1_48merge_mergepath_partition_config_static_selectorELNS0_4arch9wavefront6targetE1EEEvSJ_.has_recursion, 0
	.set _ZN7rocprim17ROCPRIM_400000_NS6detail17trampoline_kernelINS0_14default_configENS1_38merge_sort_block_merge_config_selectorIxxEEZZNS1_27merge_sort_block_merge_implIS3_N6thrust23THRUST_200600_302600_NS6detail15normal_iteratorINS8_10device_ptrIxEEEESD_jNS1_19radix_merge_compareILb0ELb1ExNS0_19identity_decomposerEEEEE10hipError_tT0_T1_T2_jT3_P12ihipStream_tbPNSt15iterator_traitsISI_E10value_typeEPNSO_ISJ_E10value_typeEPSK_NS1_7vsmem_tEENKUlT_SI_SJ_SK_E_clISD_PxSD_S10_EESH_SX_SI_SJ_SK_EUlSX_E_NS1_11comp_targetILNS1_3genE3ELNS1_11target_archE908ELNS1_3gpuE7ELNS1_3repE0EEENS1_48merge_mergepath_partition_config_static_selectorELNS0_4arch9wavefront6targetE1EEEvSJ_.has_indirect_call, 0
	.section	.AMDGPU.csdata,"",@progbits
; Kernel info:
; codeLenInByte = 0
; TotalNumSgprs: 6
; NumVgprs: 0
; NumAgprs: 0
; TotalNumVgprs: 0
; ScratchSize: 0
; MemoryBound: 0
; FloatMode: 240
; IeeeMode: 1
; LDSByteSize: 0 bytes/workgroup (compile time only)
; SGPRBlocks: 0
; VGPRBlocks: 0
; NumSGPRsForWavesPerEU: 6
; NumVGPRsForWavesPerEU: 1
; AccumOffset: 4
; Occupancy: 8
; WaveLimiterHint : 0
; COMPUTE_PGM_RSRC2:SCRATCH_EN: 0
; COMPUTE_PGM_RSRC2:USER_SGPR: 2
; COMPUTE_PGM_RSRC2:TRAP_HANDLER: 0
; COMPUTE_PGM_RSRC2:TGID_X_EN: 1
; COMPUTE_PGM_RSRC2:TGID_Y_EN: 0
; COMPUTE_PGM_RSRC2:TGID_Z_EN: 0
; COMPUTE_PGM_RSRC2:TIDIG_COMP_CNT: 0
; COMPUTE_PGM_RSRC3_GFX90A:ACCUM_OFFSET: 0
; COMPUTE_PGM_RSRC3_GFX90A:TG_SPLIT: 0
	.section	.text._ZN7rocprim17ROCPRIM_400000_NS6detail17trampoline_kernelINS0_14default_configENS1_38merge_sort_block_merge_config_selectorIxxEEZZNS1_27merge_sort_block_merge_implIS3_N6thrust23THRUST_200600_302600_NS6detail15normal_iteratorINS8_10device_ptrIxEEEESD_jNS1_19radix_merge_compareILb0ELb1ExNS0_19identity_decomposerEEEEE10hipError_tT0_T1_T2_jT3_P12ihipStream_tbPNSt15iterator_traitsISI_E10value_typeEPNSO_ISJ_E10value_typeEPSK_NS1_7vsmem_tEENKUlT_SI_SJ_SK_E_clISD_PxSD_S10_EESH_SX_SI_SJ_SK_EUlSX_E_NS1_11comp_targetILNS1_3genE2ELNS1_11target_archE906ELNS1_3gpuE6ELNS1_3repE0EEENS1_48merge_mergepath_partition_config_static_selectorELNS0_4arch9wavefront6targetE1EEEvSJ_,"axG",@progbits,_ZN7rocprim17ROCPRIM_400000_NS6detail17trampoline_kernelINS0_14default_configENS1_38merge_sort_block_merge_config_selectorIxxEEZZNS1_27merge_sort_block_merge_implIS3_N6thrust23THRUST_200600_302600_NS6detail15normal_iteratorINS8_10device_ptrIxEEEESD_jNS1_19radix_merge_compareILb0ELb1ExNS0_19identity_decomposerEEEEE10hipError_tT0_T1_T2_jT3_P12ihipStream_tbPNSt15iterator_traitsISI_E10value_typeEPNSO_ISJ_E10value_typeEPSK_NS1_7vsmem_tEENKUlT_SI_SJ_SK_E_clISD_PxSD_S10_EESH_SX_SI_SJ_SK_EUlSX_E_NS1_11comp_targetILNS1_3genE2ELNS1_11target_archE906ELNS1_3gpuE6ELNS1_3repE0EEENS1_48merge_mergepath_partition_config_static_selectorELNS0_4arch9wavefront6targetE1EEEvSJ_,comdat
	.protected	_ZN7rocprim17ROCPRIM_400000_NS6detail17trampoline_kernelINS0_14default_configENS1_38merge_sort_block_merge_config_selectorIxxEEZZNS1_27merge_sort_block_merge_implIS3_N6thrust23THRUST_200600_302600_NS6detail15normal_iteratorINS8_10device_ptrIxEEEESD_jNS1_19radix_merge_compareILb0ELb1ExNS0_19identity_decomposerEEEEE10hipError_tT0_T1_T2_jT3_P12ihipStream_tbPNSt15iterator_traitsISI_E10value_typeEPNSO_ISJ_E10value_typeEPSK_NS1_7vsmem_tEENKUlT_SI_SJ_SK_E_clISD_PxSD_S10_EESH_SX_SI_SJ_SK_EUlSX_E_NS1_11comp_targetILNS1_3genE2ELNS1_11target_archE906ELNS1_3gpuE6ELNS1_3repE0EEENS1_48merge_mergepath_partition_config_static_selectorELNS0_4arch9wavefront6targetE1EEEvSJ_ ; -- Begin function _ZN7rocprim17ROCPRIM_400000_NS6detail17trampoline_kernelINS0_14default_configENS1_38merge_sort_block_merge_config_selectorIxxEEZZNS1_27merge_sort_block_merge_implIS3_N6thrust23THRUST_200600_302600_NS6detail15normal_iteratorINS8_10device_ptrIxEEEESD_jNS1_19radix_merge_compareILb0ELb1ExNS0_19identity_decomposerEEEEE10hipError_tT0_T1_T2_jT3_P12ihipStream_tbPNSt15iterator_traitsISI_E10value_typeEPNSO_ISJ_E10value_typeEPSK_NS1_7vsmem_tEENKUlT_SI_SJ_SK_E_clISD_PxSD_S10_EESH_SX_SI_SJ_SK_EUlSX_E_NS1_11comp_targetILNS1_3genE2ELNS1_11target_archE906ELNS1_3gpuE6ELNS1_3repE0EEENS1_48merge_mergepath_partition_config_static_selectorELNS0_4arch9wavefront6targetE1EEEvSJ_
	.globl	_ZN7rocprim17ROCPRIM_400000_NS6detail17trampoline_kernelINS0_14default_configENS1_38merge_sort_block_merge_config_selectorIxxEEZZNS1_27merge_sort_block_merge_implIS3_N6thrust23THRUST_200600_302600_NS6detail15normal_iteratorINS8_10device_ptrIxEEEESD_jNS1_19radix_merge_compareILb0ELb1ExNS0_19identity_decomposerEEEEE10hipError_tT0_T1_T2_jT3_P12ihipStream_tbPNSt15iterator_traitsISI_E10value_typeEPNSO_ISJ_E10value_typeEPSK_NS1_7vsmem_tEENKUlT_SI_SJ_SK_E_clISD_PxSD_S10_EESH_SX_SI_SJ_SK_EUlSX_E_NS1_11comp_targetILNS1_3genE2ELNS1_11target_archE906ELNS1_3gpuE6ELNS1_3repE0EEENS1_48merge_mergepath_partition_config_static_selectorELNS0_4arch9wavefront6targetE1EEEvSJ_
	.p2align	8
	.type	_ZN7rocprim17ROCPRIM_400000_NS6detail17trampoline_kernelINS0_14default_configENS1_38merge_sort_block_merge_config_selectorIxxEEZZNS1_27merge_sort_block_merge_implIS3_N6thrust23THRUST_200600_302600_NS6detail15normal_iteratorINS8_10device_ptrIxEEEESD_jNS1_19radix_merge_compareILb0ELb1ExNS0_19identity_decomposerEEEEE10hipError_tT0_T1_T2_jT3_P12ihipStream_tbPNSt15iterator_traitsISI_E10value_typeEPNSO_ISJ_E10value_typeEPSK_NS1_7vsmem_tEENKUlT_SI_SJ_SK_E_clISD_PxSD_S10_EESH_SX_SI_SJ_SK_EUlSX_E_NS1_11comp_targetILNS1_3genE2ELNS1_11target_archE906ELNS1_3gpuE6ELNS1_3repE0EEENS1_48merge_mergepath_partition_config_static_selectorELNS0_4arch9wavefront6targetE1EEEvSJ_,@function
_ZN7rocprim17ROCPRIM_400000_NS6detail17trampoline_kernelINS0_14default_configENS1_38merge_sort_block_merge_config_selectorIxxEEZZNS1_27merge_sort_block_merge_implIS3_N6thrust23THRUST_200600_302600_NS6detail15normal_iteratorINS8_10device_ptrIxEEEESD_jNS1_19radix_merge_compareILb0ELb1ExNS0_19identity_decomposerEEEEE10hipError_tT0_T1_T2_jT3_P12ihipStream_tbPNSt15iterator_traitsISI_E10value_typeEPNSO_ISJ_E10value_typeEPSK_NS1_7vsmem_tEENKUlT_SI_SJ_SK_E_clISD_PxSD_S10_EESH_SX_SI_SJ_SK_EUlSX_E_NS1_11comp_targetILNS1_3genE2ELNS1_11target_archE906ELNS1_3gpuE6ELNS1_3repE0EEENS1_48merge_mergepath_partition_config_static_selectorELNS0_4arch9wavefront6targetE1EEEvSJ_: ; @_ZN7rocprim17ROCPRIM_400000_NS6detail17trampoline_kernelINS0_14default_configENS1_38merge_sort_block_merge_config_selectorIxxEEZZNS1_27merge_sort_block_merge_implIS3_N6thrust23THRUST_200600_302600_NS6detail15normal_iteratorINS8_10device_ptrIxEEEESD_jNS1_19radix_merge_compareILb0ELb1ExNS0_19identity_decomposerEEEEE10hipError_tT0_T1_T2_jT3_P12ihipStream_tbPNSt15iterator_traitsISI_E10value_typeEPNSO_ISJ_E10value_typeEPSK_NS1_7vsmem_tEENKUlT_SI_SJ_SK_E_clISD_PxSD_S10_EESH_SX_SI_SJ_SK_EUlSX_E_NS1_11comp_targetILNS1_3genE2ELNS1_11target_archE906ELNS1_3gpuE6ELNS1_3repE0EEENS1_48merge_mergepath_partition_config_static_selectorELNS0_4arch9wavefront6targetE1EEEvSJ_
; %bb.0:
	.section	.rodata,"a",@progbits
	.p2align	6, 0x0
	.amdhsa_kernel _ZN7rocprim17ROCPRIM_400000_NS6detail17trampoline_kernelINS0_14default_configENS1_38merge_sort_block_merge_config_selectorIxxEEZZNS1_27merge_sort_block_merge_implIS3_N6thrust23THRUST_200600_302600_NS6detail15normal_iteratorINS8_10device_ptrIxEEEESD_jNS1_19radix_merge_compareILb0ELb1ExNS0_19identity_decomposerEEEEE10hipError_tT0_T1_T2_jT3_P12ihipStream_tbPNSt15iterator_traitsISI_E10value_typeEPNSO_ISJ_E10value_typeEPSK_NS1_7vsmem_tEENKUlT_SI_SJ_SK_E_clISD_PxSD_S10_EESH_SX_SI_SJ_SK_EUlSX_E_NS1_11comp_targetILNS1_3genE2ELNS1_11target_archE906ELNS1_3gpuE6ELNS1_3repE0EEENS1_48merge_mergepath_partition_config_static_selectorELNS0_4arch9wavefront6targetE1EEEvSJ_
		.amdhsa_group_segment_fixed_size 0
		.amdhsa_private_segment_fixed_size 0
		.amdhsa_kernarg_size 40
		.amdhsa_user_sgpr_count 2
		.amdhsa_user_sgpr_dispatch_ptr 0
		.amdhsa_user_sgpr_queue_ptr 0
		.amdhsa_user_sgpr_kernarg_segment_ptr 1
		.amdhsa_user_sgpr_dispatch_id 0
		.amdhsa_user_sgpr_kernarg_preload_length 0
		.amdhsa_user_sgpr_kernarg_preload_offset 0
		.amdhsa_user_sgpr_private_segment_size 0
		.amdhsa_uses_dynamic_stack 0
		.amdhsa_enable_private_segment 0
		.amdhsa_system_sgpr_workgroup_id_x 1
		.amdhsa_system_sgpr_workgroup_id_y 0
		.amdhsa_system_sgpr_workgroup_id_z 0
		.amdhsa_system_sgpr_workgroup_info 0
		.amdhsa_system_vgpr_workitem_id 0
		.amdhsa_next_free_vgpr 1
		.amdhsa_next_free_sgpr 0
		.amdhsa_accum_offset 4
		.amdhsa_reserve_vcc 0
		.amdhsa_float_round_mode_32 0
		.amdhsa_float_round_mode_16_64 0
		.amdhsa_float_denorm_mode_32 3
		.amdhsa_float_denorm_mode_16_64 3
		.amdhsa_dx10_clamp 1
		.amdhsa_ieee_mode 1
		.amdhsa_fp16_overflow 0
		.amdhsa_tg_split 0
		.amdhsa_exception_fp_ieee_invalid_op 0
		.amdhsa_exception_fp_denorm_src 0
		.amdhsa_exception_fp_ieee_div_zero 0
		.amdhsa_exception_fp_ieee_overflow 0
		.amdhsa_exception_fp_ieee_underflow 0
		.amdhsa_exception_fp_ieee_inexact 0
		.amdhsa_exception_int_div_zero 0
	.end_amdhsa_kernel
	.section	.text._ZN7rocprim17ROCPRIM_400000_NS6detail17trampoline_kernelINS0_14default_configENS1_38merge_sort_block_merge_config_selectorIxxEEZZNS1_27merge_sort_block_merge_implIS3_N6thrust23THRUST_200600_302600_NS6detail15normal_iteratorINS8_10device_ptrIxEEEESD_jNS1_19radix_merge_compareILb0ELb1ExNS0_19identity_decomposerEEEEE10hipError_tT0_T1_T2_jT3_P12ihipStream_tbPNSt15iterator_traitsISI_E10value_typeEPNSO_ISJ_E10value_typeEPSK_NS1_7vsmem_tEENKUlT_SI_SJ_SK_E_clISD_PxSD_S10_EESH_SX_SI_SJ_SK_EUlSX_E_NS1_11comp_targetILNS1_3genE2ELNS1_11target_archE906ELNS1_3gpuE6ELNS1_3repE0EEENS1_48merge_mergepath_partition_config_static_selectorELNS0_4arch9wavefront6targetE1EEEvSJ_,"axG",@progbits,_ZN7rocprim17ROCPRIM_400000_NS6detail17trampoline_kernelINS0_14default_configENS1_38merge_sort_block_merge_config_selectorIxxEEZZNS1_27merge_sort_block_merge_implIS3_N6thrust23THRUST_200600_302600_NS6detail15normal_iteratorINS8_10device_ptrIxEEEESD_jNS1_19radix_merge_compareILb0ELb1ExNS0_19identity_decomposerEEEEE10hipError_tT0_T1_T2_jT3_P12ihipStream_tbPNSt15iterator_traitsISI_E10value_typeEPNSO_ISJ_E10value_typeEPSK_NS1_7vsmem_tEENKUlT_SI_SJ_SK_E_clISD_PxSD_S10_EESH_SX_SI_SJ_SK_EUlSX_E_NS1_11comp_targetILNS1_3genE2ELNS1_11target_archE906ELNS1_3gpuE6ELNS1_3repE0EEENS1_48merge_mergepath_partition_config_static_selectorELNS0_4arch9wavefront6targetE1EEEvSJ_,comdat
.Lfunc_end1151:
	.size	_ZN7rocprim17ROCPRIM_400000_NS6detail17trampoline_kernelINS0_14default_configENS1_38merge_sort_block_merge_config_selectorIxxEEZZNS1_27merge_sort_block_merge_implIS3_N6thrust23THRUST_200600_302600_NS6detail15normal_iteratorINS8_10device_ptrIxEEEESD_jNS1_19radix_merge_compareILb0ELb1ExNS0_19identity_decomposerEEEEE10hipError_tT0_T1_T2_jT3_P12ihipStream_tbPNSt15iterator_traitsISI_E10value_typeEPNSO_ISJ_E10value_typeEPSK_NS1_7vsmem_tEENKUlT_SI_SJ_SK_E_clISD_PxSD_S10_EESH_SX_SI_SJ_SK_EUlSX_E_NS1_11comp_targetILNS1_3genE2ELNS1_11target_archE906ELNS1_3gpuE6ELNS1_3repE0EEENS1_48merge_mergepath_partition_config_static_selectorELNS0_4arch9wavefront6targetE1EEEvSJ_, .Lfunc_end1151-_ZN7rocprim17ROCPRIM_400000_NS6detail17trampoline_kernelINS0_14default_configENS1_38merge_sort_block_merge_config_selectorIxxEEZZNS1_27merge_sort_block_merge_implIS3_N6thrust23THRUST_200600_302600_NS6detail15normal_iteratorINS8_10device_ptrIxEEEESD_jNS1_19radix_merge_compareILb0ELb1ExNS0_19identity_decomposerEEEEE10hipError_tT0_T1_T2_jT3_P12ihipStream_tbPNSt15iterator_traitsISI_E10value_typeEPNSO_ISJ_E10value_typeEPSK_NS1_7vsmem_tEENKUlT_SI_SJ_SK_E_clISD_PxSD_S10_EESH_SX_SI_SJ_SK_EUlSX_E_NS1_11comp_targetILNS1_3genE2ELNS1_11target_archE906ELNS1_3gpuE6ELNS1_3repE0EEENS1_48merge_mergepath_partition_config_static_selectorELNS0_4arch9wavefront6targetE1EEEvSJ_
                                        ; -- End function
	.set _ZN7rocprim17ROCPRIM_400000_NS6detail17trampoline_kernelINS0_14default_configENS1_38merge_sort_block_merge_config_selectorIxxEEZZNS1_27merge_sort_block_merge_implIS3_N6thrust23THRUST_200600_302600_NS6detail15normal_iteratorINS8_10device_ptrIxEEEESD_jNS1_19radix_merge_compareILb0ELb1ExNS0_19identity_decomposerEEEEE10hipError_tT0_T1_T2_jT3_P12ihipStream_tbPNSt15iterator_traitsISI_E10value_typeEPNSO_ISJ_E10value_typeEPSK_NS1_7vsmem_tEENKUlT_SI_SJ_SK_E_clISD_PxSD_S10_EESH_SX_SI_SJ_SK_EUlSX_E_NS1_11comp_targetILNS1_3genE2ELNS1_11target_archE906ELNS1_3gpuE6ELNS1_3repE0EEENS1_48merge_mergepath_partition_config_static_selectorELNS0_4arch9wavefront6targetE1EEEvSJ_.num_vgpr, 0
	.set _ZN7rocprim17ROCPRIM_400000_NS6detail17trampoline_kernelINS0_14default_configENS1_38merge_sort_block_merge_config_selectorIxxEEZZNS1_27merge_sort_block_merge_implIS3_N6thrust23THRUST_200600_302600_NS6detail15normal_iteratorINS8_10device_ptrIxEEEESD_jNS1_19radix_merge_compareILb0ELb1ExNS0_19identity_decomposerEEEEE10hipError_tT0_T1_T2_jT3_P12ihipStream_tbPNSt15iterator_traitsISI_E10value_typeEPNSO_ISJ_E10value_typeEPSK_NS1_7vsmem_tEENKUlT_SI_SJ_SK_E_clISD_PxSD_S10_EESH_SX_SI_SJ_SK_EUlSX_E_NS1_11comp_targetILNS1_3genE2ELNS1_11target_archE906ELNS1_3gpuE6ELNS1_3repE0EEENS1_48merge_mergepath_partition_config_static_selectorELNS0_4arch9wavefront6targetE1EEEvSJ_.num_agpr, 0
	.set _ZN7rocprim17ROCPRIM_400000_NS6detail17trampoline_kernelINS0_14default_configENS1_38merge_sort_block_merge_config_selectorIxxEEZZNS1_27merge_sort_block_merge_implIS3_N6thrust23THRUST_200600_302600_NS6detail15normal_iteratorINS8_10device_ptrIxEEEESD_jNS1_19radix_merge_compareILb0ELb1ExNS0_19identity_decomposerEEEEE10hipError_tT0_T1_T2_jT3_P12ihipStream_tbPNSt15iterator_traitsISI_E10value_typeEPNSO_ISJ_E10value_typeEPSK_NS1_7vsmem_tEENKUlT_SI_SJ_SK_E_clISD_PxSD_S10_EESH_SX_SI_SJ_SK_EUlSX_E_NS1_11comp_targetILNS1_3genE2ELNS1_11target_archE906ELNS1_3gpuE6ELNS1_3repE0EEENS1_48merge_mergepath_partition_config_static_selectorELNS0_4arch9wavefront6targetE1EEEvSJ_.numbered_sgpr, 0
	.set _ZN7rocprim17ROCPRIM_400000_NS6detail17trampoline_kernelINS0_14default_configENS1_38merge_sort_block_merge_config_selectorIxxEEZZNS1_27merge_sort_block_merge_implIS3_N6thrust23THRUST_200600_302600_NS6detail15normal_iteratorINS8_10device_ptrIxEEEESD_jNS1_19radix_merge_compareILb0ELb1ExNS0_19identity_decomposerEEEEE10hipError_tT0_T1_T2_jT3_P12ihipStream_tbPNSt15iterator_traitsISI_E10value_typeEPNSO_ISJ_E10value_typeEPSK_NS1_7vsmem_tEENKUlT_SI_SJ_SK_E_clISD_PxSD_S10_EESH_SX_SI_SJ_SK_EUlSX_E_NS1_11comp_targetILNS1_3genE2ELNS1_11target_archE906ELNS1_3gpuE6ELNS1_3repE0EEENS1_48merge_mergepath_partition_config_static_selectorELNS0_4arch9wavefront6targetE1EEEvSJ_.num_named_barrier, 0
	.set _ZN7rocprim17ROCPRIM_400000_NS6detail17trampoline_kernelINS0_14default_configENS1_38merge_sort_block_merge_config_selectorIxxEEZZNS1_27merge_sort_block_merge_implIS3_N6thrust23THRUST_200600_302600_NS6detail15normal_iteratorINS8_10device_ptrIxEEEESD_jNS1_19radix_merge_compareILb0ELb1ExNS0_19identity_decomposerEEEEE10hipError_tT0_T1_T2_jT3_P12ihipStream_tbPNSt15iterator_traitsISI_E10value_typeEPNSO_ISJ_E10value_typeEPSK_NS1_7vsmem_tEENKUlT_SI_SJ_SK_E_clISD_PxSD_S10_EESH_SX_SI_SJ_SK_EUlSX_E_NS1_11comp_targetILNS1_3genE2ELNS1_11target_archE906ELNS1_3gpuE6ELNS1_3repE0EEENS1_48merge_mergepath_partition_config_static_selectorELNS0_4arch9wavefront6targetE1EEEvSJ_.private_seg_size, 0
	.set _ZN7rocprim17ROCPRIM_400000_NS6detail17trampoline_kernelINS0_14default_configENS1_38merge_sort_block_merge_config_selectorIxxEEZZNS1_27merge_sort_block_merge_implIS3_N6thrust23THRUST_200600_302600_NS6detail15normal_iteratorINS8_10device_ptrIxEEEESD_jNS1_19radix_merge_compareILb0ELb1ExNS0_19identity_decomposerEEEEE10hipError_tT0_T1_T2_jT3_P12ihipStream_tbPNSt15iterator_traitsISI_E10value_typeEPNSO_ISJ_E10value_typeEPSK_NS1_7vsmem_tEENKUlT_SI_SJ_SK_E_clISD_PxSD_S10_EESH_SX_SI_SJ_SK_EUlSX_E_NS1_11comp_targetILNS1_3genE2ELNS1_11target_archE906ELNS1_3gpuE6ELNS1_3repE0EEENS1_48merge_mergepath_partition_config_static_selectorELNS0_4arch9wavefront6targetE1EEEvSJ_.uses_vcc, 0
	.set _ZN7rocprim17ROCPRIM_400000_NS6detail17trampoline_kernelINS0_14default_configENS1_38merge_sort_block_merge_config_selectorIxxEEZZNS1_27merge_sort_block_merge_implIS3_N6thrust23THRUST_200600_302600_NS6detail15normal_iteratorINS8_10device_ptrIxEEEESD_jNS1_19radix_merge_compareILb0ELb1ExNS0_19identity_decomposerEEEEE10hipError_tT0_T1_T2_jT3_P12ihipStream_tbPNSt15iterator_traitsISI_E10value_typeEPNSO_ISJ_E10value_typeEPSK_NS1_7vsmem_tEENKUlT_SI_SJ_SK_E_clISD_PxSD_S10_EESH_SX_SI_SJ_SK_EUlSX_E_NS1_11comp_targetILNS1_3genE2ELNS1_11target_archE906ELNS1_3gpuE6ELNS1_3repE0EEENS1_48merge_mergepath_partition_config_static_selectorELNS0_4arch9wavefront6targetE1EEEvSJ_.uses_flat_scratch, 0
	.set _ZN7rocprim17ROCPRIM_400000_NS6detail17trampoline_kernelINS0_14default_configENS1_38merge_sort_block_merge_config_selectorIxxEEZZNS1_27merge_sort_block_merge_implIS3_N6thrust23THRUST_200600_302600_NS6detail15normal_iteratorINS8_10device_ptrIxEEEESD_jNS1_19radix_merge_compareILb0ELb1ExNS0_19identity_decomposerEEEEE10hipError_tT0_T1_T2_jT3_P12ihipStream_tbPNSt15iterator_traitsISI_E10value_typeEPNSO_ISJ_E10value_typeEPSK_NS1_7vsmem_tEENKUlT_SI_SJ_SK_E_clISD_PxSD_S10_EESH_SX_SI_SJ_SK_EUlSX_E_NS1_11comp_targetILNS1_3genE2ELNS1_11target_archE906ELNS1_3gpuE6ELNS1_3repE0EEENS1_48merge_mergepath_partition_config_static_selectorELNS0_4arch9wavefront6targetE1EEEvSJ_.has_dyn_sized_stack, 0
	.set _ZN7rocprim17ROCPRIM_400000_NS6detail17trampoline_kernelINS0_14default_configENS1_38merge_sort_block_merge_config_selectorIxxEEZZNS1_27merge_sort_block_merge_implIS3_N6thrust23THRUST_200600_302600_NS6detail15normal_iteratorINS8_10device_ptrIxEEEESD_jNS1_19radix_merge_compareILb0ELb1ExNS0_19identity_decomposerEEEEE10hipError_tT0_T1_T2_jT3_P12ihipStream_tbPNSt15iterator_traitsISI_E10value_typeEPNSO_ISJ_E10value_typeEPSK_NS1_7vsmem_tEENKUlT_SI_SJ_SK_E_clISD_PxSD_S10_EESH_SX_SI_SJ_SK_EUlSX_E_NS1_11comp_targetILNS1_3genE2ELNS1_11target_archE906ELNS1_3gpuE6ELNS1_3repE0EEENS1_48merge_mergepath_partition_config_static_selectorELNS0_4arch9wavefront6targetE1EEEvSJ_.has_recursion, 0
	.set _ZN7rocprim17ROCPRIM_400000_NS6detail17trampoline_kernelINS0_14default_configENS1_38merge_sort_block_merge_config_selectorIxxEEZZNS1_27merge_sort_block_merge_implIS3_N6thrust23THRUST_200600_302600_NS6detail15normal_iteratorINS8_10device_ptrIxEEEESD_jNS1_19radix_merge_compareILb0ELb1ExNS0_19identity_decomposerEEEEE10hipError_tT0_T1_T2_jT3_P12ihipStream_tbPNSt15iterator_traitsISI_E10value_typeEPNSO_ISJ_E10value_typeEPSK_NS1_7vsmem_tEENKUlT_SI_SJ_SK_E_clISD_PxSD_S10_EESH_SX_SI_SJ_SK_EUlSX_E_NS1_11comp_targetILNS1_3genE2ELNS1_11target_archE906ELNS1_3gpuE6ELNS1_3repE0EEENS1_48merge_mergepath_partition_config_static_selectorELNS0_4arch9wavefront6targetE1EEEvSJ_.has_indirect_call, 0
	.section	.AMDGPU.csdata,"",@progbits
; Kernel info:
; codeLenInByte = 0
; TotalNumSgprs: 6
; NumVgprs: 0
; NumAgprs: 0
; TotalNumVgprs: 0
; ScratchSize: 0
; MemoryBound: 0
; FloatMode: 240
; IeeeMode: 1
; LDSByteSize: 0 bytes/workgroup (compile time only)
; SGPRBlocks: 0
; VGPRBlocks: 0
; NumSGPRsForWavesPerEU: 6
; NumVGPRsForWavesPerEU: 1
; AccumOffset: 4
; Occupancy: 8
; WaveLimiterHint : 0
; COMPUTE_PGM_RSRC2:SCRATCH_EN: 0
; COMPUTE_PGM_RSRC2:USER_SGPR: 2
; COMPUTE_PGM_RSRC2:TRAP_HANDLER: 0
; COMPUTE_PGM_RSRC2:TGID_X_EN: 1
; COMPUTE_PGM_RSRC2:TGID_Y_EN: 0
; COMPUTE_PGM_RSRC2:TGID_Z_EN: 0
; COMPUTE_PGM_RSRC2:TIDIG_COMP_CNT: 0
; COMPUTE_PGM_RSRC3_GFX90A:ACCUM_OFFSET: 0
; COMPUTE_PGM_RSRC3_GFX90A:TG_SPLIT: 0
	.section	.text._ZN7rocprim17ROCPRIM_400000_NS6detail17trampoline_kernelINS0_14default_configENS1_38merge_sort_block_merge_config_selectorIxxEEZZNS1_27merge_sort_block_merge_implIS3_N6thrust23THRUST_200600_302600_NS6detail15normal_iteratorINS8_10device_ptrIxEEEESD_jNS1_19radix_merge_compareILb0ELb1ExNS0_19identity_decomposerEEEEE10hipError_tT0_T1_T2_jT3_P12ihipStream_tbPNSt15iterator_traitsISI_E10value_typeEPNSO_ISJ_E10value_typeEPSK_NS1_7vsmem_tEENKUlT_SI_SJ_SK_E_clISD_PxSD_S10_EESH_SX_SI_SJ_SK_EUlSX_E_NS1_11comp_targetILNS1_3genE9ELNS1_11target_archE1100ELNS1_3gpuE3ELNS1_3repE0EEENS1_48merge_mergepath_partition_config_static_selectorELNS0_4arch9wavefront6targetE1EEEvSJ_,"axG",@progbits,_ZN7rocprim17ROCPRIM_400000_NS6detail17trampoline_kernelINS0_14default_configENS1_38merge_sort_block_merge_config_selectorIxxEEZZNS1_27merge_sort_block_merge_implIS3_N6thrust23THRUST_200600_302600_NS6detail15normal_iteratorINS8_10device_ptrIxEEEESD_jNS1_19radix_merge_compareILb0ELb1ExNS0_19identity_decomposerEEEEE10hipError_tT0_T1_T2_jT3_P12ihipStream_tbPNSt15iterator_traitsISI_E10value_typeEPNSO_ISJ_E10value_typeEPSK_NS1_7vsmem_tEENKUlT_SI_SJ_SK_E_clISD_PxSD_S10_EESH_SX_SI_SJ_SK_EUlSX_E_NS1_11comp_targetILNS1_3genE9ELNS1_11target_archE1100ELNS1_3gpuE3ELNS1_3repE0EEENS1_48merge_mergepath_partition_config_static_selectorELNS0_4arch9wavefront6targetE1EEEvSJ_,comdat
	.protected	_ZN7rocprim17ROCPRIM_400000_NS6detail17trampoline_kernelINS0_14default_configENS1_38merge_sort_block_merge_config_selectorIxxEEZZNS1_27merge_sort_block_merge_implIS3_N6thrust23THRUST_200600_302600_NS6detail15normal_iteratorINS8_10device_ptrIxEEEESD_jNS1_19radix_merge_compareILb0ELb1ExNS0_19identity_decomposerEEEEE10hipError_tT0_T1_T2_jT3_P12ihipStream_tbPNSt15iterator_traitsISI_E10value_typeEPNSO_ISJ_E10value_typeEPSK_NS1_7vsmem_tEENKUlT_SI_SJ_SK_E_clISD_PxSD_S10_EESH_SX_SI_SJ_SK_EUlSX_E_NS1_11comp_targetILNS1_3genE9ELNS1_11target_archE1100ELNS1_3gpuE3ELNS1_3repE0EEENS1_48merge_mergepath_partition_config_static_selectorELNS0_4arch9wavefront6targetE1EEEvSJ_ ; -- Begin function _ZN7rocprim17ROCPRIM_400000_NS6detail17trampoline_kernelINS0_14default_configENS1_38merge_sort_block_merge_config_selectorIxxEEZZNS1_27merge_sort_block_merge_implIS3_N6thrust23THRUST_200600_302600_NS6detail15normal_iteratorINS8_10device_ptrIxEEEESD_jNS1_19radix_merge_compareILb0ELb1ExNS0_19identity_decomposerEEEEE10hipError_tT0_T1_T2_jT3_P12ihipStream_tbPNSt15iterator_traitsISI_E10value_typeEPNSO_ISJ_E10value_typeEPSK_NS1_7vsmem_tEENKUlT_SI_SJ_SK_E_clISD_PxSD_S10_EESH_SX_SI_SJ_SK_EUlSX_E_NS1_11comp_targetILNS1_3genE9ELNS1_11target_archE1100ELNS1_3gpuE3ELNS1_3repE0EEENS1_48merge_mergepath_partition_config_static_selectorELNS0_4arch9wavefront6targetE1EEEvSJ_
	.globl	_ZN7rocprim17ROCPRIM_400000_NS6detail17trampoline_kernelINS0_14default_configENS1_38merge_sort_block_merge_config_selectorIxxEEZZNS1_27merge_sort_block_merge_implIS3_N6thrust23THRUST_200600_302600_NS6detail15normal_iteratorINS8_10device_ptrIxEEEESD_jNS1_19radix_merge_compareILb0ELb1ExNS0_19identity_decomposerEEEEE10hipError_tT0_T1_T2_jT3_P12ihipStream_tbPNSt15iterator_traitsISI_E10value_typeEPNSO_ISJ_E10value_typeEPSK_NS1_7vsmem_tEENKUlT_SI_SJ_SK_E_clISD_PxSD_S10_EESH_SX_SI_SJ_SK_EUlSX_E_NS1_11comp_targetILNS1_3genE9ELNS1_11target_archE1100ELNS1_3gpuE3ELNS1_3repE0EEENS1_48merge_mergepath_partition_config_static_selectorELNS0_4arch9wavefront6targetE1EEEvSJ_
	.p2align	8
	.type	_ZN7rocprim17ROCPRIM_400000_NS6detail17trampoline_kernelINS0_14default_configENS1_38merge_sort_block_merge_config_selectorIxxEEZZNS1_27merge_sort_block_merge_implIS3_N6thrust23THRUST_200600_302600_NS6detail15normal_iteratorINS8_10device_ptrIxEEEESD_jNS1_19radix_merge_compareILb0ELb1ExNS0_19identity_decomposerEEEEE10hipError_tT0_T1_T2_jT3_P12ihipStream_tbPNSt15iterator_traitsISI_E10value_typeEPNSO_ISJ_E10value_typeEPSK_NS1_7vsmem_tEENKUlT_SI_SJ_SK_E_clISD_PxSD_S10_EESH_SX_SI_SJ_SK_EUlSX_E_NS1_11comp_targetILNS1_3genE9ELNS1_11target_archE1100ELNS1_3gpuE3ELNS1_3repE0EEENS1_48merge_mergepath_partition_config_static_selectorELNS0_4arch9wavefront6targetE1EEEvSJ_,@function
_ZN7rocprim17ROCPRIM_400000_NS6detail17trampoline_kernelINS0_14default_configENS1_38merge_sort_block_merge_config_selectorIxxEEZZNS1_27merge_sort_block_merge_implIS3_N6thrust23THRUST_200600_302600_NS6detail15normal_iteratorINS8_10device_ptrIxEEEESD_jNS1_19radix_merge_compareILb0ELb1ExNS0_19identity_decomposerEEEEE10hipError_tT0_T1_T2_jT3_P12ihipStream_tbPNSt15iterator_traitsISI_E10value_typeEPNSO_ISJ_E10value_typeEPSK_NS1_7vsmem_tEENKUlT_SI_SJ_SK_E_clISD_PxSD_S10_EESH_SX_SI_SJ_SK_EUlSX_E_NS1_11comp_targetILNS1_3genE9ELNS1_11target_archE1100ELNS1_3gpuE3ELNS1_3repE0EEENS1_48merge_mergepath_partition_config_static_selectorELNS0_4arch9wavefront6targetE1EEEvSJ_: ; @_ZN7rocprim17ROCPRIM_400000_NS6detail17trampoline_kernelINS0_14default_configENS1_38merge_sort_block_merge_config_selectorIxxEEZZNS1_27merge_sort_block_merge_implIS3_N6thrust23THRUST_200600_302600_NS6detail15normal_iteratorINS8_10device_ptrIxEEEESD_jNS1_19radix_merge_compareILb0ELb1ExNS0_19identity_decomposerEEEEE10hipError_tT0_T1_T2_jT3_P12ihipStream_tbPNSt15iterator_traitsISI_E10value_typeEPNSO_ISJ_E10value_typeEPSK_NS1_7vsmem_tEENKUlT_SI_SJ_SK_E_clISD_PxSD_S10_EESH_SX_SI_SJ_SK_EUlSX_E_NS1_11comp_targetILNS1_3genE9ELNS1_11target_archE1100ELNS1_3gpuE3ELNS1_3repE0EEENS1_48merge_mergepath_partition_config_static_selectorELNS0_4arch9wavefront6targetE1EEEvSJ_
; %bb.0:
	.section	.rodata,"a",@progbits
	.p2align	6, 0x0
	.amdhsa_kernel _ZN7rocprim17ROCPRIM_400000_NS6detail17trampoline_kernelINS0_14default_configENS1_38merge_sort_block_merge_config_selectorIxxEEZZNS1_27merge_sort_block_merge_implIS3_N6thrust23THRUST_200600_302600_NS6detail15normal_iteratorINS8_10device_ptrIxEEEESD_jNS1_19radix_merge_compareILb0ELb1ExNS0_19identity_decomposerEEEEE10hipError_tT0_T1_T2_jT3_P12ihipStream_tbPNSt15iterator_traitsISI_E10value_typeEPNSO_ISJ_E10value_typeEPSK_NS1_7vsmem_tEENKUlT_SI_SJ_SK_E_clISD_PxSD_S10_EESH_SX_SI_SJ_SK_EUlSX_E_NS1_11comp_targetILNS1_3genE9ELNS1_11target_archE1100ELNS1_3gpuE3ELNS1_3repE0EEENS1_48merge_mergepath_partition_config_static_selectorELNS0_4arch9wavefront6targetE1EEEvSJ_
		.amdhsa_group_segment_fixed_size 0
		.amdhsa_private_segment_fixed_size 0
		.amdhsa_kernarg_size 40
		.amdhsa_user_sgpr_count 2
		.amdhsa_user_sgpr_dispatch_ptr 0
		.amdhsa_user_sgpr_queue_ptr 0
		.amdhsa_user_sgpr_kernarg_segment_ptr 1
		.amdhsa_user_sgpr_dispatch_id 0
		.amdhsa_user_sgpr_kernarg_preload_length 0
		.amdhsa_user_sgpr_kernarg_preload_offset 0
		.amdhsa_user_sgpr_private_segment_size 0
		.amdhsa_uses_dynamic_stack 0
		.amdhsa_enable_private_segment 0
		.amdhsa_system_sgpr_workgroup_id_x 1
		.amdhsa_system_sgpr_workgroup_id_y 0
		.amdhsa_system_sgpr_workgroup_id_z 0
		.amdhsa_system_sgpr_workgroup_info 0
		.amdhsa_system_vgpr_workitem_id 0
		.amdhsa_next_free_vgpr 1
		.amdhsa_next_free_sgpr 0
		.amdhsa_accum_offset 4
		.amdhsa_reserve_vcc 0
		.amdhsa_float_round_mode_32 0
		.amdhsa_float_round_mode_16_64 0
		.amdhsa_float_denorm_mode_32 3
		.amdhsa_float_denorm_mode_16_64 3
		.amdhsa_dx10_clamp 1
		.amdhsa_ieee_mode 1
		.amdhsa_fp16_overflow 0
		.amdhsa_tg_split 0
		.amdhsa_exception_fp_ieee_invalid_op 0
		.amdhsa_exception_fp_denorm_src 0
		.amdhsa_exception_fp_ieee_div_zero 0
		.amdhsa_exception_fp_ieee_overflow 0
		.amdhsa_exception_fp_ieee_underflow 0
		.amdhsa_exception_fp_ieee_inexact 0
		.amdhsa_exception_int_div_zero 0
	.end_amdhsa_kernel
	.section	.text._ZN7rocprim17ROCPRIM_400000_NS6detail17trampoline_kernelINS0_14default_configENS1_38merge_sort_block_merge_config_selectorIxxEEZZNS1_27merge_sort_block_merge_implIS3_N6thrust23THRUST_200600_302600_NS6detail15normal_iteratorINS8_10device_ptrIxEEEESD_jNS1_19radix_merge_compareILb0ELb1ExNS0_19identity_decomposerEEEEE10hipError_tT0_T1_T2_jT3_P12ihipStream_tbPNSt15iterator_traitsISI_E10value_typeEPNSO_ISJ_E10value_typeEPSK_NS1_7vsmem_tEENKUlT_SI_SJ_SK_E_clISD_PxSD_S10_EESH_SX_SI_SJ_SK_EUlSX_E_NS1_11comp_targetILNS1_3genE9ELNS1_11target_archE1100ELNS1_3gpuE3ELNS1_3repE0EEENS1_48merge_mergepath_partition_config_static_selectorELNS0_4arch9wavefront6targetE1EEEvSJ_,"axG",@progbits,_ZN7rocprim17ROCPRIM_400000_NS6detail17trampoline_kernelINS0_14default_configENS1_38merge_sort_block_merge_config_selectorIxxEEZZNS1_27merge_sort_block_merge_implIS3_N6thrust23THRUST_200600_302600_NS6detail15normal_iteratorINS8_10device_ptrIxEEEESD_jNS1_19radix_merge_compareILb0ELb1ExNS0_19identity_decomposerEEEEE10hipError_tT0_T1_T2_jT3_P12ihipStream_tbPNSt15iterator_traitsISI_E10value_typeEPNSO_ISJ_E10value_typeEPSK_NS1_7vsmem_tEENKUlT_SI_SJ_SK_E_clISD_PxSD_S10_EESH_SX_SI_SJ_SK_EUlSX_E_NS1_11comp_targetILNS1_3genE9ELNS1_11target_archE1100ELNS1_3gpuE3ELNS1_3repE0EEENS1_48merge_mergepath_partition_config_static_selectorELNS0_4arch9wavefront6targetE1EEEvSJ_,comdat
.Lfunc_end1152:
	.size	_ZN7rocprim17ROCPRIM_400000_NS6detail17trampoline_kernelINS0_14default_configENS1_38merge_sort_block_merge_config_selectorIxxEEZZNS1_27merge_sort_block_merge_implIS3_N6thrust23THRUST_200600_302600_NS6detail15normal_iteratorINS8_10device_ptrIxEEEESD_jNS1_19radix_merge_compareILb0ELb1ExNS0_19identity_decomposerEEEEE10hipError_tT0_T1_T2_jT3_P12ihipStream_tbPNSt15iterator_traitsISI_E10value_typeEPNSO_ISJ_E10value_typeEPSK_NS1_7vsmem_tEENKUlT_SI_SJ_SK_E_clISD_PxSD_S10_EESH_SX_SI_SJ_SK_EUlSX_E_NS1_11comp_targetILNS1_3genE9ELNS1_11target_archE1100ELNS1_3gpuE3ELNS1_3repE0EEENS1_48merge_mergepath_partition_config_static_selectorELNS0_4arch9wavefront6targetE1EEEvSJ_, .Lfunc_end1152-_ZN7rocprim17ROCPRIM_400000_NS6detail17trampoline_kernelINS0_14default_configENS1_38merge_sort_block_merge_config_selectorIxxEEZZNS1_27merge_sort_block_merge_implIS3_N6thrust23THRUST_200600_302600_NS6detail15normal_iteratorINS8_10device_ptrIxEEEESD_jNS1_19radix_merge_compareILb0ELb1ExNS0_19identity_decomposerEEEEE10hipError_tT0_T1_T2_jT3_P12ihipStream_tbPNSt15iterator_traitsISI_E10value_typeEPNSO_ISJ_E10value_typeEPSK_NS1_7vsmem_tEENKUlT_SI_SJ_SK_E_clISD_PxSD_S10_EESH_SX_SI_SJ_SK_EUlSX_E_NS1_11comp_targetILNS1_3genE9ELNS1_11target_archE1100ELNS1_3gpuE3ELNS1_3repE0EEENS1_48merge_mergepath_partition_config_static_selectorELNS0_4arch9wavefront6targetE1EEEvSJ_
                                        ; -- End function
	.set _ZN7rocprim17ROCPRIM_400000_NS6detail17trampoline_kernelINS0_14default_configENS1_38merge_sort_block_merge_config_selectorIxxEEZZNS1_27merge_sort_block_merge_implIS3_N6thrust23THRUST_200600_302600_NS6detail15normal_iteratorINS8_10device_ptrIxEEEESD_jNS1_19radix_merge_compareILb0ELb1ExNS0_19identity_decomposerEEEEE10hipError_tT0_T1_T2_jT3_P12ihipStream_tbPNSt15iterator_traitsISI_E10value_typeEPNSO_ISJ_E10value_typeEPSK_NS1_7vsmem_tEENKUlT_SI_SJ_SK_E_clISD_PxSD_S10_EESH_SX_SI_SJ_SK_EUlSX_E_NS1_11comp_targetILNS1_3genE9ELNS1_11target_archE1100ELNS1_3gpuE3ELNS1_3repE0EEENS1_48merge_mergepath_partition_config_static_selectorELNS0_4arch9wavefront6targetE1EEEvSJ_.num_vgpr, 0
	.set _ZN7rocprim17ROCPRIM_400000_NS6detail17trampoline_kernelINS0_14default_configENS1_38merge_sort_block_merge_config_selectorIxxEEZZNS1_27merge_sort_block_merge_implIS3_N6thrust23THRUST_200600_302600_NS6detail15normal_iteratorINS8_10device_ptrIxEEEESD_jNS1_19radix_merge_compareILb0ELb1ExNS0_19identity_decomposerEEEEE10hipError_tT0_T1_T2_jT3_P12ihipStream_tbPNSt15iterator_traitsISI_E10value_typeEPNSO_ISJ_E10value_typeEPSK_NS1_7vsmem_tEENKUlT_SI_SJ_SK_E_clISD_PxSD_S10_EESH_SX_SI_SJ_SK_EUlSX_E_NS1_11comp_targetILNS1_3genE9ELNS1_11target_archE1100ELNS1_3gpuE3ELNS1_3repE0EEENS1_48merge_mergepath_partition_config_static_selectorELNS0_4arch9wavefront6targetE1EEEvSJ_.num_agpr, 0
	.set _ZN7rocprim17ROCPRIM_400000_NS6detail17trampoline_kernelINS0_14default_configENS1_38merge_sort_block_merge_config_selectorIxxEEZZNS1_27merge_sort_block_merge_implIS3_N6thrust23THRUST_200600_302600_NS6detail15normal_iteratorINS8_10device_ptrIxEEEESD_jNS1_19radix_merge_compareILb0ELb1ExNS0_19identity_decomposerEEEEE10hipError_tT0_T1_T2_jT3_P12ihipStream_tbPNSt15iterator_traitsISI_E10value_typeEPNSO_ISJ_E10value_typeEPSK_NS1_7vsmem_tEENKUlT_SI_SJ_SK_E_clISD_PxSD_S10_EESH_SX_SI_SJ_SK_EUlSX_E_NS1_11comp_targetILNS1_3genE9ELNS1_11target_archE1100ELNS1_3gpuE3ELNS1_3repE0EEENS1_48merge_mergepath_partition_config_static_selectorELNS0_4arch9wavefront6targetE1EEEvSJ_.numbered_sgpr, 0
	.set _ZN7rocprim17ROCPRIM_400000_NS6detail17trampoline_kernelINS0_14default_configENS1_38merge_sort_block_merge_config_selectorIxxEEZZNS1_27merge_sort_block_merge_implIS3_N6thrust23THRUST_200600_302600_NS6detail15normal_iteratorINS8_10device_ptrIxEEEESD_jNS1_19radix_merge_compareILb0ELb1ExNS0_19identity_decomposerEEEEE10hipError_tT0_T1_T2_jT3_P12ihipStream_tbPNSt15iterator_traitsISI_E10value_typeEPNSO_ISJ_E10value_typeEPSK_NS1_7vsmem_tEENKUlT_SI_SJ_SK_E_clISD_PxSD_S10_EESH_SX_SI_SJ_SK_EUlSX_E_NS1_11comp_targetILNS1_3genE9ELNS1_11target_archE1100ELNS1_3gpuE3ELNS1_3repE0EEENS1_48merge_mergepath_partition_config_static_selectorELNS0_4arch9wavefront6targetE1EEEvSJ_.num_named_barrier, 0
	.set _ZN7rocprim17ROCPRIM_400000_NS6detail17trampoline_kernelINS0_14default_configENS1_38merge_sort_block_merge_config_selectorIxxEEZZNS1_27merge_sort_block_merge_implIS3_N6thrust23THRUST_200600_302600_NS6detail15normal_iteratorINS8_10device_ptrIxEEEESD_jNS1_19radix_merge_compareILb0ELb1ExNS0_19identity_decomposerEEEEE10hipError_tT0_T1_T2_jT3_P12ihipStream_tbPNSt15iterator_traitsISI_E10value_typeEPNSO_ISJ_E10value_typeEPSK_NS1_7vsmem_tEENKUlT_SI_SJ_SK_E_clISD_PxSD_S10_EESH_SX_SI_SJ_SK_EUlSX_E_NS1_11comp_targetILNS1_3genE9ELNS1_11target_archE1100ELNS1_3gpuE3ELNS1_3repE0EEENS1_48merge_mergepath_partition_config_static_selectorELNS0_4arch9wavefront6targetE1EEEvSJ_.private_seg_size, 0
	.set _ZN7rocprim17ROCPRIM_400000_NS6detail17trampoline_kernelINS0_14default_configENS1_38merge_sort_block_merge_config_selectorIxxEEZZNS1_27merge_sort_block_merge_implIS3_N6thrust23THRUST_200600_302600_NS6detail15normal_iteratorINS8_10device_ptrIxEEEESD_jNS1_19radix_merge_compareILb0ELb1ExNS0_19identity_decomposerEEEEE10hipError_tT0_T1_T2_jT3_P12ihipStream_tbPNSt15iterator_traitsISI_E10value_typeEPNSO_ISJ_E10value_typeEPSK_NS1_7vsmem_tEENKUlT_SI_SJ_SK_E_clISD_PxSD_S10_EESH_SX_SI_SJ_SK_EUlSX_E_NS1_11comp_targetILNS1_3genE9ELNS1_11target_archE1100ELNS1_3gpuE3ELNS1_3repE0EEENS1_48merge_mergepath_partition_config_static_selectorELNS0_4arch9wavefront6targetE1EEEvSJ_.uses_vcc, 0
	.set _ZN7rocprim17ROCPRIM_400000_NS6detail17trampoline_kernelINS0_14default_configENS1_38merge_sort_block_merge_config_selectorIxxEEZZNS1_27merge_sort_block_merge_implIS3_N6thrust23THRUST_200600_302600_NS6detail15normal_iteratorINS8_10device_ptrIxEEEESD_jNS1_19radix_merge_compareILb0ELb1ExNS0_19identity_decomposerEEEEE10hipError_tT0_T1_T2_jT3_P12ihipStream_tbPNSt15iterator_traitsISI_E10value_typeEPNSO_ISJ_E10value_typeEPSK_NS1_7vsmem_tEENKUlT_SI_SJ_SK_E_clISD_PxSD_S10_EESH_SX_SI_SJ_SK_EUlSX_E_NS1_11comp_targetILNS1_3genE9ELNS1_11target_archE1100ELNS1_3gpuE3ELNS1_3repE0EEENS1_48merge_mergepath_partition_config_static_selectorELNS0_4arch9wavefront6targetE1EEEvSJ_.uses_flat_scratch, 0
	.set _ZN7rocprim17ROCPRIM_400000_NS6detail17trampoline_kernelINS0_14default_configENS1_38merge_sort_block_merge_config_selectorIxxEEZZNS1_27merge_sort_block_merge_implIS3_N6thrust23THRUST_200600_302600_NS6detail15normal_iteratorINS8_10device_ptrIxEEEESD_jNS1_19radix_merge_compareILb0ELb1ExNS0_19identity_decomposerEEEEE10hipError_tT0_T1_T2_jT3_P12ihipStream_tbPNSt15iterator_traitsISI_E10value_typeEPNSO_ISJ_E10value_typeEPSK_NS1_7vsmem_tEENKUlT_SI_SJ_SK_E_clISD_PxSD_S10_EESH_SX_SI_SJ_SK_EUlSX_E_NS1_11comp_targetILNS1_3genE9ELNS1_11target_archE1100ELNS1_3gpuE3ELNS1_3repE0EEENS1_48merge_mergepath_partition_config_static_selectorELNS0_4arch9wavefront6targetE1EEEvSJ_.has_dyn_sized_stack, 0
	.set _ZN7rocprim17ROCPRIM_400000_NS6detail17trampoline_kernelINS0_14default_configENS1_38merge_sort_block_merge_config_selectorIxxEEZZNS1_27merge_sort_block_merge_implIS3_N6thrust23THRUST_200600_302600_NS6detail15normal_iteratorINS8_10device_ptrIxEEEESD_jNS1_19radix_merge_compareILb0ELb1ExNS0_19identity_decomposerEEEEE10hipError_tT0_T1_T2_jT3_P12ihipStream_tbPNSt15iterator_traitsISI_E10value_typeEPNSO_ISJ_E10value_typeEPSK_NS1_7vsmem_tEENKUlT_SI_SJ_SK_E_clISD_PxSD_S10_EESH_SX_SI_SJ_SK_EUlSX_E_NS1_11comp_targetILNS1_3genE9ELNS1_11target_archE1100ELNS1_3gpuE3ELNS1_3repE0EEENS1_48merge_mergepath_partition_config_static_selectorELNS0_4arch9wavefront6targetE1EEEvSJ_.has_recursion, 0
	.set _ZN7rocprim17ROCPRIM_400000_NS6detail17trampoline_kernelINS0_14default_configENS1_38merge_sort_block_merge_config_selectorIxxEEZZNS1_27merge_sort_block_merge_implIS3_N6thrust23THRUST_200600_302600_NS6detail15normal_iteratorINS8_10device_ptrIxEEEESD_jNS1_19radix_merge_compareILb0ELb1ExNS0_19identity_decomposerEEEEE10hipError_tT0_T1_T2_jT3_P12ihipStream_tbPNSt15iterator_traitsISI_E10value_typeEPNSO_ISJ_E10value_typeEPSK_NS1_7vsmem_tEENKUlT_SI_SJ_SK_E_clISD_PxSD_S10_EESH_SX_SI_SJ_SK_EUlSX_E_NS1_11comp_targetILNS1_3genE9ELNS1_11target_archE1100ELNS1_3gpuE3ELNS1_3repE0EEENS1_48merge_mergepath_partition_config_static_selectorELNS0_4arch9wavefront6targetE1EEEvSJ_.has_indirect_call, 0
	.section	.AMDGPU.csdata,"",@progbits
; Kernel info:
; codeLenInByte = 0
; TotalNumSgprs: 6
; NumVgprs: 0
; NumAgprs: 0
; TotalNumVgprs: 0
; ScratchSize: 0
; MemoryBound: 0
; FloatMode: 240
; IeeeMode: 1
; LDSByteSize: 0 bytes/workgroup (compile time only)
; SGPRBlocks: 0
; VGPRBlocks: 0
; NumSGPRsForWavesPerEU: 6
; NumVGPRsForWavesPerEU: 1
; AccumOffset: 4
; Occupancy: 8
; WaveLimiterHint : 0
; COMPUTE_PGM_RSRC2:SCRATCH_EN: 0
; COMPUTE_PGM_RSRC2:USER_SGPR: 2
; COMPUTE_PGM_RSRC2:TRAP_HANDLER: 0
; COMPUTE_PGM_RSRC2:TGID_X_EN: 1
; COMPUTE_PGM_RSRC2:TGID_Y_EN: 0
; COMPUTE_PGM_RSRC2:TGID_Z_EN: 0
; COMPUTE_PGM_RSRC2:TIDIG_COMP_CNT: 0
; COMPUTE_PGM_RSRC3_GFX90A:ACCUM_OFFSET: 0
; COMPUTE_PGM_RSRC3_GFX90A:TG_SPLIT: 0
	.section	.text._ZN7rocprim17ROCPRIM_400000_NS6detail17trampoline_kernelINS0_14default_configENS1_38merge_sort_block_merge_config_selectorIxxEEZZNS1_27merge_sort_block_merge_implIS3_N6thrust23THRUST_200600_302600_NS6detail15normal_iteratorINS8_10device_ptrIxEEEESD_jNS1_19radix_merge_compareILb0ELb1ExNS0_19identity_decomposerEEEEE10hipError_tT0_T1_T2_jT3_P12ihipStream_tbPNSt15iterator_traitsISI_E10value_typeEPNSO_ISJ_E10value_typeEPSK_NS1_7vsmem_tEENKUlT_SI_SJ_SK_E_clISD_PxSD_S10_EESH_SX_SI_SJ_SK_EUlSX_E_NS1_11comp_targetILNS1_3genE8ELNS1_11target_archE1030ELNS1_3gpuE2ELNS1_3repE0EEENS1_48merge_mergepath_partition_config_static_selectorELNS0_4arch9wavefront6targetE1EEEvSJ_,"axG",@progbits,_ZN7rocprim17ROCPRIM_400000_NS6detail17trampoline_kernelINS0_14default_configENS1_38merge_sort_block_merge_config_selectorIxxEEZZNS1_27merge_sort_block_merge_implIS3_N6thrust23THRUST_200600_302600_NS6detail15normal_iteratorINS8_10device_ptrIxEEEESD_jNS1_19radix_merge_compareILb0ELb1ExNS0_19identity_decomposerEEEEE10hipError_tT0_T1_T2_jT3_P12ihipStream_tbPNSt15iterator_traitsISI_E10value_typeEPNSO_ISJ_E10value_typeEPSK_NS1_7vsmem_tEENKUlT_SI_SJ_SK_E_clISD_PxSD_S10_EESH_SX_SI_SJ_SK_EUlSX_E_NS1_11comp_targetILNS1_3genE8ELNS1_11target_archE1030ELNS1_3gpuE2ELNS1_3repE0EEENS1_48merge_mergepath_partition_config_static_selectorELNS0_4arch9wavefront6targetE1EEEvSJ_,comdat
	.protected	_ZN7rocprim17ROCPRIM_400000_NS6detail17trampoline_kernelINS0_14default_configENS1_38merge_sort_block_merge_config_selectorIxxEEZZNS1_27merge_sort_block_merge_implIS3_N6thrust23THRUST_200600_302600_NS6detail15normal_iteratorINS8_10device_ptrIxEEEESD_jNS1_19radix_merge_compareILb0ELb1ExNS0_19identity_decomposerEEEEE10hipError_tT0_T1_T2_jT3_P12ihipStream_tbPNSt15iterator_traitsISI_E10value_typeEPNSO_ISJ_E10value_typeEPSK_NS1_7vsmem_tEENKUlT_SI_SJ_SK_E_clISD_PxSD_S10_EESH_SX_SI_SJ_SK_EUlSX_E_NS1_11comp_targetILNS1_3genE8ELNS1_11target_archE1030ELNS1_3gpuE2ELNS1_3repE0EEENS1_48merge_mergepath_partition_config_static_selectorELNS0_4arch9wavefront6targetE1EEEvSJ_ ; -- Begin function _ZN7rocprim17ROCPRIM_400000_NS6detail17trampoline_kernelINS0_14default_configENS1_38merge_sort_block_merge_config_selectorIxxEEZZNS1_27merge_sort_block_merge_implIS3_N6thrust23THRUST_200600_302600_NS6detail15normal_iteratorINS8_10device_ptrIxEEEESD_jNS1_19radix_merge_compareILb0ELb1ExNS0_19identity_decomposerEEEEE10hipError_tT0_T1_T2_jT3_P12ihipStream_tbPNSt15iterator_traitsISI_E10value_typeEPNSO_ISJ_E10value_typeEPSK_NS1_7vsmem_tEENKUlT_SI_SJ_SK_E_clISD_PxSD_S10_EESH_SX_SI_SJ_SK_EUlSX_E_NS1_11comp_targetILNS1_3genE8ELNS1_11target_archE1030ELNS1_3gpuE2ELNS1_3repE0EEENS1_48merge_mergepath_partition_config_static_selectorELNS0_4arch9wavefront6targetE1EEEvSJ_
	.globl	_ZN7rocprim17ROCPRIM_400000_NS6detail17trampoline_kernelINS0_14default_configENS1_38merge_sort_block_merge_config_selectorIxxEEZZNS1_27merge_sort_block_merge_implIS3_N6thrust23THRUST_200600_302600_NS6detail15normal_iteratorINS8_10device_ptrIxEEEESD_jNS1_19radix_merge_compareILb0ELb1ExNS0_19identity_decomposerEEEEE10hipError_tT0_T1_T2_jT3_P12ihipStream_tbPNSt15iterator_traitsISI_E10value_typeEPNSO_ISJ_E10value_typeEPSK_NS1_7vsmem_tEENKUlT_SI_SJ_SK_E_clISD_PxSD_S10_EESH_SX_SI_SJ_SK_EUlSX_E_NS1_11comp_targetILNS1_3genE8ELNS1_11target_archE1030ELNS1_3gpuE2ELNS1_3repE0EEENS1_48merge_mergepath_partition_config_static_selectorELNS0_4arch9wavefront6targetE1EEEvSJ_
	.p2align	8
	.type	_ZN7rocprim17ROCPRIM_400000_NS6detail17trampoline_kernelINS0_14default_configENS1_38merge_sort_block_merge_config_selectorIxxEEZZNS1_27merge_sort_block_merge_implIS3_N6thrust23THRUST_200600_302600_NS6detail15normal_iteratorINS8_10device_ptrIxEEEESD_jNS1_19radix_merge_compareILb0ELb1ExNS0_19identity_decomposerEEEEE10hipError_tT0_T1_T2_jT3_P12ihipStream_tbPNSt15iterator_traitsISI_E10value_typeEPNSO_ISJ_E10value_typeEPSK_NS1_7vsmem_tEENKUlT_SI_SJ_SK_E_clISD_PxSD_S10_EESH_SX_SI_SJ_SK_EUlSX_E_NS1_11comp_targetILNS1_3genE8ELNS1_11target_archE1030ELNS1_3gpuE2ELNS1_3repE0EEENS1_48merge_mergepath_partition_config_static_selectorELNS0_4arch9wavefront6targetE1EEEvSJ_,@function
_ZN7rocprim17ROCPRIM_400000_NS6detail17trampoline_kernelINS0_14default_configENS1_38merge_sort_block_merge_config_selectorIxxEEZZNS1_27merge_sort_block_merge_implIS3_N6thrust23THRUST_200600_302600_NS6detail15normal_iteratorINS8_10device_ptrIxEEEESD_jNS1_19radix_merge_compareILb0ELb1ExNS0_19identity_decomposerEEEEE10hipError_tT0_T1_T2_jT3_P12ihipStream_tbPNSt15iterator_traitsISI_E10value_typeEPNSO_ISJ_E10value_typeEPSK_NS1_7vsmem_tEENKUlT_SI_SJ_SK_E_clISD_PxSD_S10_EESH_SX_SI_SJ_SK_EUlSX_E_NS1_11comp_targetILNS1_3genE8ELNS1_11target_archE1030ELNS1_3gpuE2ELNS1_3repE0EEENS1_48merge_mergepath_partition_config_static_selectorELNS0_4arch9wavefront6targetE1EEEvSJ_: ; @_ZN7rocprim17ROCPRIM_400000_NS6detail17trampoline_kernelINS0_14default_configENS1_38merge_sort_block_merge_config_selectorIxxEEZZNS1_27merge_sort_block_merge_implIS3_N6thrust23THRUST_200600_302600_NS6detail15normal_iteratorINS8_10device_ptrIxEEEESD_jNS1_19radix_merge_compareILb0ELb1ExNS0_19identity_decomposerEEEEE10hipError_tT0_T1_T2_jT3_P12ihipStream_tbPNSt15iterator_traitsISI_E10value_typeEPNSO_ISJ_E10value_typeEPSK_NS1_7vsmem_tEENKUlT_SI_SJ_SK_E_clISD_PxSD_S10_EESH_SX_SI_SJ_SK_EUlSX_E_NS1_11comp_targetILNS1_3genE8ELNS1_11target_archE1030ELNS1_3gpuE2ELNS1_3repE0EEENS1_48merge_mergepath_partition_config_static_selectorELNS0_4arch9wavefront6targetE1EEEvSJ_
; %bb.0:
	.section	.rodata,"a",@progbits
	.p2align	6, 0x0
	.amdhsa_kernel _ZN7rocprim17ROCPRIM_400000_NS6detail17trampoline_kernelINS0_14default_configENS1_38merge_sort_block_merge_config_selectorIxxEEZZNS1_27merge_sort_block_merge_implIS3_N6thrust23THRUST_200600_302600_NS6detail15normal_iteratorINS8_10device_ptrIxEEEESD_jNS1_19radix_merge_compareILb0ELb1ExNS0_19identity_decomposerEEEEE10hipError_tT0_T1_T2_jT3_P12ihipStream_tbPNSt15iterator_traitsISI_E10value_typeEPNSO_ISJ_E10value_typeEPSK_NS1_7vsmem_tEENKUlT_SI_SJ_SK_E_clISD_PxSD_S10_EESH_SX_SI_SJ_SK_EUlSX_E_NS1_11comp_targetILNS1_3genE8ELNS1_11target_archE1030ELNS1_3gpuE2ELNS1_3repE0EEENS1_48merge_mergepath_partition_config_static_selectorELNS0_4arch9wavefront6targetE1EEEvSJ_
		.amdhsa_group_segment_fixed_size 0
		.amdhsa_private_segment_fixed_size 0
		.amdhsa_kernarg_size 40
		.amdhsa_user_sgpr_count 2
		.amdhsa_user_sgpr_dispatch_ptr 0
		.amdhsa_user_sgpr_queue_ptr 0
		.amdhsa_user_sgpr_kernarg_segment_ptr 1
		.amdhsa_user_sgpr_dispatch_id 0
		.amdhsa_user_sgpr_kernarg_preload_length 0
		.amdhsa_user_sgpr_kernarg_preload_offset 0
		.amdhsa_user_sgpr_private_segment_size 0
		.amdhsa_uses_dynamic_stack 0
		.amdhsa_enable_private_segment 0
		.amdhsa_system_sgpr_workgroup_id_x 1
		.amdhsa_system_sgpr_workgroup_id_y 0
		.amdhsa_system_sgpr_workgroup_id_z 0
		.amdhsa_system_sgpr_workgroup_info 0
		.amdhsa_system_vgpr_workitem_id 0
		.amdhsa_next_free_vgpr 1
		.amdhsa_next_free_sgpr 0
		.amdhsa_accum_offset 4
		.amdhsa_reserve_vcc 0
		.amdhsa_float_round_mode_32 0
		.amdhsa_float_round_mode_16_64 0
		.amdhsa_float_denorm_mode_32 3
		.amdhsa_float_denorm_mode_16_64 3
		.amdhsa_dx10_clamp 1
		.amdhsa_ieee_mode 1
		.amdhsa_fp16_overflow 0
		.amdhsa_tg_split 0
		.amdhsa_exception_fp_ieee_invalid_op 0
		.amdhsa_exception_fp_denorm_src 0
		.amdhsa_exception_fp_ieee_div_zero 0
		.amdhsa_exception_fp_ieee_overflow 0
		.amdhsa_exception_fp_ieee_underflow 0
		.amdhsa_exception_fp_ieee_inexact 0
		.amdhsa_exception_int_div_zero 0
	.end_amdhsa_kernel
	.section	.text._ZN7rocprim17ROCPRIM_400000_NS6detail17trampoline_kernelINS0_14default_configENS1_38merge_sort_block_merge_config_selectorIxxEEZZNS1_27merge_sort_block_merge_implIS3_N6thrust23THRUST_200600_302600_NS6detail15normal_iteratorINS8_10device_ptrIxEEEESD_jNS1_19radix_merge_compareILb0ELb1ExNS0_19identity_decomposerEEEEE10hipError_tT0_T1_T2_jT3_P12ihipStream_tbPNSt15iterator_traitsISI_E10value_typeEPNSO_ISJ_E10value_typeEPSK_NS1_7vsmem_tEENKUlT_SI_SJ_SK_E_clISD_PxSD_S10_EESH_SX_SI_SJ_SK_EUlSX_E_NS1_11comp_targetILNS1_3genE8ELNS1_11target_archE1030ELNS1_3gpuE2ELNS1_3repE0EEENS1_48merge_mergepath_partition_config_static_selectorELNS0_4arch9wavefront6targetE1EEEvSJ_,"axG",@progbits,_ZN7rocprim17ROCPRIM_400000_NS6detail17trampoline_kernelINS0_14default_configENS1_38merge_sort_block_merge_config_selectorIxxEEZZNS1_27merge_sort_block_merge_implIS3_N6thrust23THRUST_200600_302600_NS6detail15normal_iteratorINS8_10device_ptrIxEEEESD_jNS1_19radix_merge_compareILb0ELb1ExNS0_19identity_decomposerEEEEE10hipError_tT0_T1_T2_jT3_P12ihipStream_tbPNSt15iterator_traitsISI_E10value_typeEPNSO_ISJ_E10value_typeEPSK_NS1_7vsmem_tEENKUlT_SI_SJ_SK_E_clISD_PxSD_S10_EESH_SX_SI_SJ_SK_EUlSX_E_NS1_11comp_targetILNS1_3genE8ELNS1_11target_archE1030ELNS1_3gpuE2ELNS1_3repE0EEENS1_48merge_mergepath_partition_config_static_selectorELNS0_4arch9wavefront6targetE1EEEvSJ_,comdat
.Lfunc_end1153:
	.size	_ZN7rocprim17ROCPRIM_400000_NS6detail17trampoline_kernelINS0_14default_configENS1_38merge_sort_block_merge_config_selectorIxxEEZZNS1_27merge_sort_block_merge_implIS3_N6thrust23THRUST_200600_302600_NS6detail15normal_iteratorINS8_10device_ptrIxEEEESD_jNS1_19radix_merge_compareILb0ELb1ExNS0_19identity_decomposerEEEEE10hipError_tT0_T1_T2_jT3_P12ihipStream_tbPNSt15iterator_traitsISI_E10value_typeEPNSO_ISJ_E10value_typeEPSK_NS1_7vsmem_tEENKUlT_SI_SJ_SK_E_clISD_PxSD_S10_EESH_SX_SI_SJ_SK_EUlSX_E_NS1_11comp_targetILNS1_3genE8ELNS1_11target_archE1030ELNS1_3gpuE2ELNS1_3repE0EEENS1_48merge_mergepath_partition_config_static_selectorELNS0_4arch9wavefront6targetE1EEEvSJ_, .Lfunc_end1153-_ZN7rocprim17ROCPRIM_400000_NS6detail17trampoline_kernelINS0_14default_configENS1_38merge_sort_block_merge_config_selectorIxxEEZZNS1_27merge_sort_block_merge_implIS3_N6thrust23THRUST_200600_302600_NS6detail15normal_iteratorINS8_10device_ptrIxEEEESD_jNS1_19radix_merge_compareILb0ELb1ExNS0_19identity_decomposerEEEEE10hipError_tT0_T1_T2_jT3_P12ihipStream_tbPNSt15iterator_traitsISI_E10value_typeEPNSO_ISJ_E10value_typeEPSK_NS1_7vsmem_tEENKUlT_SI_SJ_SK_E_clISD_PxSD_S10_EESH_SX_SI_SJ_SK_EUlSX_E_NS1_11comp_targetILNS1_3genE8ELNS1_11target_archE1030ELNS1_3gpuE2ELNS1_3repE0EEENS1_48merge_mergepath_partition_config_static_selectorELNS0_4arch9wavefront6targetE1EEEvSJ_
                                        ; -- End function
	.set _ZN7rocprim17ROCPRIM_400000_NS6detail17trampoline_kernelINS0_14default_configENS1_38merge_sort_block_merge_config_selectorIxxEEZZNS1_27merge_sort_block_merge_implIS3_N6thrust23THRUST_200600_302600_NS6detail15normal_iteratorINS8_10device_ptrIxEEEESD_jNS1_19radix_merge_compareILb0ELb1ExNS0_19identity_decomposerEEEEE10hipError_tT0_T1_T2_jT3_P12ihipStream_tbPNSt15iterator_traitsISI_E10value_typeEPNSO_ISJ_E10value_typeEPSK_NS1_7vsmem_tEENKUlT_SI_SJ_SK_E_clISD_PxSD_S10_EESH_SX_SI_SJ_SK_EUlSX_E_NS1_11comp_targetILNS1_3genE8ELNS1_11target_archE1030ELNS1_3gpuE2ELNS1_3repE0EEENS1_48merge_mergepath_partition_config_static_selectorELNS0_4arch9wavefront6targetE1EEEvSJ_.num_vgpr, 0
	.set _ZN7rocprim17ROCPRIM_400000_NS6detail17trampoline_kernelINS0_14default_configENS1_38merge_sort_block_merge_config_selectorIxxEEZZNS1_27merge_sort_block_merge_implIS3_N6thrust23THRUST_200600_302600_NS6detail15normal_iteratorINS8_10device_ptrIxEEEESD_jNS1_19radix_merge_compareILb0ELb1ExNS0_19identity_decomposerEEEEE10hipError_tT0_T1_T2_jT3_P12ihipStream_tbPNSt15iterator_traitsISI_E10value_typeEPNSO_ISJ_E10value_typeEPSK_NS1_7vsmem_tEENKUlT_SI_SJ_SK_E_clISD_PxSD_S10_EESH_SX_SI_SJ_SK_EUlSX_E_NS1_11comp_targetILNS1_3genE8ELNS1_11target_archE1030ELNS1_3gpuE2ELNS1_3repE0EEENS1_48merge_mergepath_partition_config_static_selectorELNS0_4arch9wavefront6targetE1EEEvSJ_.num_agpr, 0
	.set _ZN7rocprim17ROCPRIM_400000_NS6detail17trampoline_kernelINS0_14default_configENS1_38merge_sort_block_merge_config_selectorIxxEEZZNS1_27merge_sort_block_merge_implIS3_N6thrust23THRUST_200600_302600_NS6detail15normal_iteratorINS8_10device_ptrIxEEEESD_jNS1_19radix_merge_compareILb0ELb1ExNS0_19identity_decomposerEEEEE10hipError_tT0_T1_T2_jT3_P12ihipStream_tbPNSt15iterator_traitsISI_E10value_typeEPNSO_ISJ_E10value_typeEPSK_NS1_7vsmem_tEENKUlT_SI_SJ_SK_E_clISD_PxSD_S10_EESH_SX_SI_SJ_SK_EUlSX_E_NS1_11comp_targetILNS1_3genE8ELNS1_11target_archE1030ELNS1_3gpuE2ELNS1_3repE0EEENS1_48merge_mergepath_partition_config_static_selectorELNS0_4arch9wavefront6targetE1EEEvSJ_.numbered_sgpr, 0
	.set _ZN7rocprim17ROCPRIM_400000_NS6detail17trampoline_kernelINS0_14default_configENS1_38merge_sort_block_merge_config_selectorIxxEEZZNS1_27merge_sort_block_merge_implIS3_N6thrust23THRUST_200600_302600_NS6detail15normal_iteratorINS8_10device_ptrIxEEEESD_jNS1_19radix_merge_compareILb0ELb1ExNS0_19identity_decomposerEEEEE10hipError_tT0_T1_T2_jT3_P12ihipStream_tbPNSt15iterator_traitsISI_E10value_typeEPNSO_ISJ_E10value_typeEPSK_NS1_7vsmem_tEENKUlT_SI_SJ_SK_E_clISD_PxSD_S10_EESH_SX_SI_SJ_SK_EUlSX_E_NS1_11comp_targetILNS1_3genE8ELNS1_11target_archE1030ELNS1_3gpuE2ELNS1_3repE0EEENS1_48merge_mergepath_partition_config_static_selectorELNS0_4arch9wavefront6targetE1EEEvSJ_.num_named_barrier, 0
	.set _ZN7rocprim17ROCPRIM_400000_NS6detail17trampoline_kernelINS0_14default_configENS1_38merge_sort_block_merge_config_selectorIxxEEZZNS1_27merge_sort_block_merge_implIS3_N6thrust23THRUST_200600_302600_NS6detail15normal_iteratorINS8_10device_ptrIxEEEESD_jNS1_19radix_merge_compareILb0ELb1ExNS0_19identity_decomposerEEEEE10hipError_tT0_T1_T2_jT3_P12ihipStream_tbPNSt15iterator_traitsISI_E10value_typeEPNSO_ISJ_E10value_typeEPSK_NS1_7vsmem_tEENKUlT_SI_SJ_SK_E_clISD_PxSD_S10_EESH_SX_SI_SJ_SK_EUlSX_E_NS1_11comp_targetILNS1_3genE8ELNS1_11target_archE1030ELNS1_3gpuE2ELNS1_3repE0EEENS1_48merge_mergepath_partition_config_static_selectorELNS0_4arch9wavefront6targetE1EEEvSJ_.private_seg_size, 0
	.set _ZN7rocprim17ROCPRIM_400000_NS6detail17trampoline_kernelINS0_14default_configENS1_38merge_sort_block_merge_config_selectorIxxEEZZNS1_27merge_sort_block_merge_implIS3_N6thrust23THRUST_200600_302600_NS6detail15normal_iteratorINS8_10device_ptrIxEEEESD_jNS1_19radix_merge_compareILb0ELb1ExNS0_19identity_decomposerEEEEE10hipError_tT0_T1_T2_jT3_P12ihipStream_tbPNSt15iterator_traitsISI_E10value_typeEPNSO_ISJ_E10value_typeEPSK_NS1_7vsmem_tEENKUlT_SI_SJ_SK_E_clISD_PxSD_S10_EESH_SX_SI_SJ_SK_EUlSX_E_NS1_11comp_targetILNS1_3genE8ELNS1_11target_archE1030ELNS1_3gpuE2ELNS1_3repE0EEENS1_48merge_mergepath_partition_config_static_selectorELNS0_4arch9wavefront6targetE1EEEvSJ_.uses_vcc, 0
	.set _ZN7rocprim17ROCPRIM_400000_NS6detail17trampoline_kernelINS0_14default_configENS1_38merge_sort_block_merge_config_selectorIxxEEZZNS1_27merge_sort_block_merge_implIS3_N6thrust23THRUST_200600_302600_NS6detail15normal_iteratorINS8_10device_ptrIxEEEESD_jNS1_19radix_merge_compareILb0ELb1ExNS0_19identity_decomposerEEEEE10hipError_tT0_T1_T2_jT3_P12ihipStream_tbPNSt15iterator_traitsISI_E10value_typeEPNSO_ISJ_E10value_typeEPSK_NS1_7vsmem_tEENKUlT_SI_SJ_SK_E_clISD_PxSD_S10_EESH_SX_SI_SJ_SK_EUlSX_E_NS1_11comp_targetILNS1_3genE8ELNS1_11target_archE1030ELNS1_3gpuE2ELNS1_3repE0EEENS1_48merge_mergepath_partition_config_static_selectorELNS0_4arch9wavefront6targetE1EEEvSJ_.uses_flat_scratch, 0
	.set _ZN7rocprim17ROCPRIM_400000_NS6detail17trampoline_kernelINS0_14default_configENS1_38merge_sort_block_merge_config_selectorIxxEEZZNS1_27merge_sort_block_merge_implIS3_N6thrust23THRUST_200600_302600_NS6detail15normal_iteratorINS8_10device_ptrIxEEEESD_jNS1_19radix_merge_compareILb0ELb1ExNS0_19identity_decomposerEEEEE10hipError_tT0_T1_T2_jT3_P12ihipStream_tbPNSt15iterator_traitsISI_E10value_typeEPNSO_ISJ_E10value_typeEPSK_NS1_7vsmem_tEENKUlT_SI_SJ_SK_E_clISD_PxSD_S10_EESH_SX_SI_SJ_SK_EUlSX_E_NS1_11comp_targetILNS1_3genE8ELNS1_11target_archE1030ELNS1_3gpuE2ELNS1_3repE0EEENS1_48merge_mergepath_partition_config_static_selectorELNS0_4arch9wavefront6targetE1EEEvSJ_.has_dyn_sized_stack, 0
	.set _ZN7rocprim17ROCPRIM_400000_NS6detail17trampoline_kernelINS0_14default_configENS1_38merge_sort_block_merge_config_selectorIxxEEZZNS1_27merge_sort_block_merge_implIS3_N6thrust23THRUST_200600_302600_NS6detail15normal_iteratorINS8_10device_ptrIxEEEESD_jNS1_19radix_merge_compareILb0ELb1ExNS0_19identity_decomposerEEEEE10hipError_tT0_T1_T2_jT3_P12ihipStream_tbPNSt15iterator_traitsISI_E10value_typeEPNSO_ISJ_E10value_typeEPSK_NS1_7vsmem_tEENKUlT_SI_SJ_SK_E_clISD_PxSD_S10_EESH_SX_SI_SJ_SK_EUlSX_E_NS1_11comp_targetILNS1_3genE8ELNS1_11target_archE1030ELNS1_3gpuE2ELNS1_3repE0EEENS1_48merge_mergepath_partition_config_static_selectorELNS0_4arch9wavefront6targetE1EEEvSJ_.has_recursion, 0
	.set _ZN7rocprim17ROCPRIM_400000_NS6detail17trampoline_kernelINS0_14default_configENS1_38merge_sort_block_merge_config_selectorIxxEEZZNS1_27merge_sort_block_merge_implIS3_N6thrust23THRUST_200600_302600_NS6detail15normal_iteratorINS8_10device_ptrIxEEEESD_jNS1_19radix_merge_compareILb0ELb1ExNS0_19identity_decomposerEEEEE10hipError_tT0_T1_T2_jT3_P12ihipStream_tbPNSt15iterator_traitsISI_E10value_typeEPNSO_ISJ_E10value_typeEPSK_NS1_7vsmem_tEENKUlT_SI_SJ_SK_E_clISD_PxSD_S10_EESH_SX_SI_SJ_SK_EUlSX_E_NS1_11comp_targetILNS1_3genE8ELNS1_11target_archE1030ELNS1_3gpuE2ELNS1_3repE0EEENS1_48merge_mergepath_partition_config_static_selectorELNS0_4arch9wavefront6targetE1EEEvSJ_.has_indirect_call, 0
	.section	.AMDGPU.csdata,"",@progbits
; Kernel info:
; codeLenInByte = 0
; TotalNumSgprs: 6
; NumVgprs: 0
; NumAgprs: 0
; TotalNumVgprs: 0
; ScratchSize: 0
; MemoryBound: 0
; FloatMode: 240
; IeeeMode: 1
; LDSByteSize: 0 bytes/workgroup (compile time only)
; SGPRBlocks: 0
; VGPRBlocks: 0
; NumSGPRsForWavesPerEU: 6
; NumVGPRsForWavesPerEU: 1
; AccumOffset: 4
; Occupancy: 8
; WaveLimiterHint : 0
; COMPUTE_PGM_RSRC2:SCRATCH_EN: 0
; COMPUTE_PGM_RSRC2:USER_SGPR: 2
; COMPUTE_PGM_RSRC2:TRAP_HANDLER: 0
; COMPUTE_PGM_RSRC2:TGID_X_EN: 1
; COMPUTE_PGM_RSRC2:TGID_Y_EN: 0
; COMPUTE_PGM_RSRC2:TGID_Z_EN: 0
; COMPUTE_PGM_RSRC2:TIDIG_COMP_CNT: 0
; COMPUTE_PGM_RSRC3_GFX90A:ACCUM_OFFSET: 0
; COMPUTE_PGM_RSRC3_GFX90A:TG_SPLIT: 0
	.section	.text._ZN7rocprim17ROCPRIM_400000_NS6detail17trampoline_kernelINS0_14default_configENS1_38merge_sort_block_merge_config_selectorIxxEEZZNS1_27merge_sort_block_merge_implIS3_N6thrust23THRUST_200600_302600_NS6detail15normal_iteratorINS8_10device_ptrIxEEEESD_jNS1_19radix_merge_compareILb0ELb1ExNS0_19identity_decomposerEEEEE10hipError_tT0_T1_T2_jT3_P12ihipStream_tbPNSt15iterator_traitsISI_E10value_typeEPNSO_ISJ_E10value_typeEPSK_NS1_7vsmem_tEENKUlT_SI_SJ_SK_E_clISD_PxSD_S10_EESH_SX_SI_SJ_SK_EUlSX_E0_NS1_11comp_targetILNS1_3genE0ELNS1_11target_archE4294967295ELNS1_3gpuE0ELNS1_3repE0EEENS1_38merge_mergepath_config_static_selectorELNS0_4arch9wavefront6targetE1EEEvSJ_,"axG",@progbits,_ZN7rocprim17ROCPRIM_400000_NS6detail17trampoline_kernelINS0_14default_configENS1_38merge_sort_block_merge_config_selectorIxxEEZZNS1_27merge_sort_block_merge_implIS3_N6thrust23THRUST_200600_302600_NS6detail15normal_iteratorINS8_10device_ptrIxEEEESD_jNS1_19radix_merge_compareILb0ELb1ExNS0_19identity_decomposerEEEEE10hipError_tT0_T1_T2_jT3_P12ihipStream_tbPNSt15iterator_traitsISI_E10value_typeEPNSO_ISJ_E10value_typeEPSK_NS1_7vsmem_tEENKUlT_SI_SJ_SK_E_clISD_PxSD_S10_EESH_SX_SI_SJ_SK_EUlSX_E0_NS1_11comp_targetILNS1_3genE0ELNS1_11target_archE4294967295ELNS1_3gpuE0ELNS1_3repE0EEENS1_38merge_mergepath_config_static_selectorELNS0_4arch9wavefront6targetE1EEEvSJ_,comdat
	.protected	_ZN7rocprim17ROCPRIM_400000_NS6detail17trampoline_kernelINS0_14default_configENS1_38merge_sort_block_merge_config_selectorIxxEEZZNS1_27merge_sort_block_merge_implIS3_N6thrust23THRUST_200600_302600_NS6detail15normal_iteratorINS8_10device_ptrIxEEEESD_jNS1_19radix_merge_compareILb0ELb1ExNS0_19identity_decomposerEEEEE10hipError_tT0_T1_T2_jT3_P12ihipStream_tbPNSt15iterator_traitsISI_E10value_typeEPNSO_ISJ_E10value_typeEPSK_NS1_7vsmem_tEENKUlT_SI_SJ_SK_E_clISD_PxSD_S10_EESH_SX_SI_SJ_SK_EUlSX_E0_NS1_11comp_targetILNS1_3genE0ELNS1_11target_archE4294967295ELNS1_3gpuE0ELNS1_3repE0EEENS1_38merge_mergepath_config_static_selectorELNS0_4arch9wavefront6targetE1EEEvSJ_ ; -- Begin function _ZN7rocprim17ROCPRIM_400000_NS6detail17trampoline_kernelINS0_14default_configENS1_38merge_sort_block_merge_config_selectorIxxEEZZNS1_27merge_sort_block_merge_implIS3_N6thrust23THRUST_200600_302600_NS6detail15normal_iteratorINS8_10device_ptrIxEEEESD_jNS1_19radix_merge_compareILb0ELb1ExNS0_19identity_decomposerEEEEE10hipError_tT0_T1_T2_jT3_P12ihipStream_tbPNSt15iterator_traitsISI_E10value_typeEPNSO_ISJ_E10value_typeEPSK_NS1_7vsmem_tEENKUlT_SI_SJ_SK_E_clISD_PxSD_S10_EESH_SX_SI_SJ_SK_EUlSX_E0_NS1_11comp_targetILNS1_3genE0ELNS1_11target_archE4294967295ELNS1_3gpuE0ELNS1_3repE0EEENS1_38merge_mergepath_config_static_selectorELNS0_4arch9wavefront6targetE1EEEvSJ_
	.globl	_ZN7rocprim17ROCPRIM_400000_NS6detail17trampoline_kernelINS0_14default_configENS1_38merge_sort_block_merge_config_selectorIxxEEZZNS1_27merge_sort_block_merge_implIS3_N6thrust23THRUST_200600_302600_NS6detail15normal_iteratorINS8_10device_ptrIxEEEESD_jNS1_19radix_merge_compareILb0ELb1ExNS0_19identity_decomposerEEEEE10hipError_tT0_T1_T2_jT3_P12ihipStream_tbPNSt15iterator_traitsISI_E10value_typeEPNSO_ISJ_E10value_typeEPSK_NS1_7vsmem_tEENKUlT_SI_SJ_SK_E_clISD_PxSD_S10_EESH_SX_SI_SJ_SK_EUlSX_E0_NS1_11comp_targetILNS1_3genE0ELNS1_11target_archE4294967295ELNS1_3gpuE0ELNS1_3repE0EEENS1_38merge_mergepath_config_static_selectorELNS0_4arch9wavefront6targetE1EEEvSJ_
	.p2align	8
	.type	_ZN7rocprim17ROCPRIM_400000_NS6detail17trampoline_kernelINS0_14default_configENS1_38merge_sort_block_merge_config_selectorIxxEEZZNS1_27merge_sort_block_merge_implIS3_N6thrust23THRUST_200600_302600_NS6detail15normal_iteratorINS8_10device_ptrIxEEEESD_jNS1_19radix_merge_compareILb0ELb1ExNS0_19identity_decomposerEEEEE10hipError_tT0_T1_T2_jT3_P12ihipStream_tbPNSt15iterator_traitsISI_E10value_typeEPNSO_ISJ_E10value_typeEPSK_NS1_7vsmem_tEENKUlT_SI_SJ_SK_E_clISD_PxSD_S10_EESH_SX_SI_SJ_SK_EUlSX_E0_NS1_11comp_targetILNS1_3genE0ELNS1_11target_archE4294967295ELNS1_3gpuE0ELNS1_3repE0EEENS1_38merge_mergepath_config_static_selectorELNS0_4arch9wavefront6targetE1EEEvSJ_,@function
_ZN7rocprim17ROCPRIM_400000_NS6detail17trampoline_kernelINS0_14default_configENS1_38merge_sort_block_merge_config_selectorIxxEEZZNS1_27merge_sort_block_merge_implIS3_N6thrust23THRUST_200600_302600_NS6detail15normal_iteratorINS8_10device_ptrIxEEEESD_jNS1_19radix_merge_compareILb0ELb1ExNS0_19identity_decomposerEEEEE10hipError_tT0_T1_T2_jT3_P12ihipStream_tbPNSt15iterator_traitsISI_E10value_typeEPNSO_ISJ_E10value_typeEPSK_NS1_7vsmem_tEENKUlT_SI_SJ_SK_E_clISD_PxSD_S10_EESH_SX_SI_SJ_SK_EUlSX_E0_NS1_11comp_targetILNS1_3genE0ELNS1_11target_archE4294967295ELNS1_3gpuE0ELNS1_3repE0EEENS1_38merge_mergepath_config_static_selectorELNS0_4arch9wavefront6targetE1EEEvSJ_: ; @_ZN7rocprim17ROCPRIM_400000_NS6detail17trampoline_kernelINS0_14default_configENS1_38merge_sort_block_merge_config_selectorIxxEEZZNS1_27merge_sort_block_merge_implIS3_N6thrust23THRUST_200600_302600_NS6detail15normal_iteratorINS8_10device_ptrIxEEEESD_jNS1_19radix_merge_compareILb0ELb1ExNS0_19identity_decomposerEEEEE10hipError_tT0_T1_T2_jT3_P12ihipStream_tbPNSt15iterator_traitsISI_E10value_typeEPNSO_ISJ_E10value_typeEPSK_NS1_7vsmem_tEENKUlT_SI_SJ_SK_E_clISD_PxSD_S10_EESH_SX_SI_SJ_SK_EUlSX_E0_NS1_11comp_targetILNS1_3genE0ELNS1_11target_archE4294967295ELNS1_3gpuE0ELNS1_3repE0EEENS1_38merge_mergepath_config_static_selectorELNS0_4arch9wavefront6targetE1EEEvSJ_
; %bb.0:
	s_load_dwordx2 s[30:31], s[0:1], 0x48
	s_load_dword s5, s[0:1], 0x30
	s_add_u32 s26, s0, 0x48
	s_addc_u32 s27, s1, 0
	s_waitcnt lgkmcnt(0)
	s_mul_i32 s4, s31, s4
	s_add_i32 s3, s4, s3
	s_mul_i32 s3, s3, s30
	s_add_i32 s28, s3, s2
	s_cmp_ge_u32 s28, s5
	s_cbranch_scc1 .LBB1154_39
; %bb.1:
	s_load_dwordx8 s[4:11], s[0:1], 0x10
	s_load_dwordx2 s[22:23], s[0:1], 0x8
	s_load_dwordx2 s[12:13], s[0:1], 0x40
	s_mov_b32 s29, 0
	s_mov_b32 s25, s29
	s_waitcnt lgkmcnt(0)
	s_lshr_b32 s31, s10, 10
	s_cmp_lg_u32 s28, s31
	s_cselect_b64 s[14:15], -1, 0
	s_lshl_b64 s[16:17], s[28:29], 2
	s_add_u32 s12, s12, s16
	s_addc_u32 s13, s13, s17
	s_lshr_b32 s3, s11, 9
	s_and_b32 s3, s3, 0x7ffffe
	s_load_dwordx2 s[16:17], s[12:13], 0x0
	s_sub_i32 s3, 0, s3
	s_and_b32 s13, s28, s3
	s_lshl_b32 s18, s13, 10
	s_lshl_b32 s12, s28, 10
	;; [unrolled: 1-line block ×3, first 2 shown]
	s_sub_i32 s19, s12, s18
	s_add_i32 s13, s13, s11
	s_add_i32 s19, s13, s19
	s_waitcnt lgkmcnt(0)
	s_sub_i32 s20, s19, s16
	s_sub_i32 s19, s19, s17
	s_sub_i32 s13, s13, s18
	s_min_u32 s24, s10, s20
	s_addk_i32 s19, 0x400
	s_or_b32 s3, s28, s3
	s_min_u32 s18, s10, s13
	s_add_i32 s13, s13, s11
	s_cmp_eq_u32 s3, -1
	s_cselect_b32 s3, s13, s19
	s_cselect_b32 s11, s18, s17
	s_mov_b32 s17, s29
	s_min_u32 s13, s3, s10
	s_sub_i32 s11, s11, s16
	s_lshl_b64 s[16:17], s[16:17], 3
	s_add_u32 s20, s22, s16
	s_addc_u32 s21, s23, s17
	s_lshl_b64 s[18:19], s[24:25], 3
	s_add_u32 s22, s22, s18
	s_addc_u32 s23, s23, s19
	s_cmp_lt_u32 s2, s30
	v_mov_b32_e32 v5, 0
	s_cselect_b32 s2, 12, 18
	global_load_dword v1, v5, s[26:27] offset:14
	s_add_u32 s2, s26, s2
	s_addc_u32 s3, s27, 0
	global_load_ushort v2, v5, s[2:3]
	s_cmp_eq_u32 s28, s31
	s_waitcnt vmcnt(1)
	v_lshrrev_b32_e32 v3, 16, v1
	v_and_b32_e32 v1, 0xffff, v1
	v_mul_lo_u32 v1, v1, v3
	s_waitcnt vmcnt(0)
	v_mul_lo_u32 v10, v1, v2
	v_lshlrev_b32_e32 v2, 3, v0
	v_add_u32_e32 v1, v10, v0
	s_cbranch_scc1 .LBB1154_3
; %bb.2:
	v_mov_b32_e32 v3, v5
	v_subrev_co_u32_e32 v4, vcc, s11, v0
	v_lshl_add_u64 v[6:7], s[20:21], 0, v[2:3]
	v_lshl_add_u64 v[4:5], v[4:5], 3, s[22:23]
	v_cndmask_b32_e32 v5, v5, v7, vcc
	v_cndmask_b32_e32 v4, v4, v6, vcc
	global_load_dwordx2 v[4:5], v[4:5], off
	v_add_u32_e32 v8, v10, v0
	s_mov_b64 s[2:3], -1
	s_sub_i32 s13, s13, s24
	s_cbranch_execz .LBB1154_4
	s_branch .LBB1154_7
.LBB1154_3:
	s_mov_b64 s[2:3], 0
                                        ; implicit-def: $vgpr8
                                        ; implicit-def: $vgpr4_vgpr5
	s_sub_i32 s13, s13, s24
.LBB1154_4:
	s_add_i32 s24, s13, s11
	v_cmp_gt_u32_e32 vcc, s24, v0
	s_waitcnt vmcnt(0)
	v_mov_b64_e32 v[4:5], 0
	s_and_saveexec_b64 s[2:3], vcc
	s_cbranch_execz .LBB1154_6
; %bb.5:
	v_mov_b32_e32 v3, 0
	v_subrev_co_u32_e32 v6, vcc, s11, v0
	v_mov_b32_e32 v7, v3
	v_lshl_add_u64 v[4:5], s[20:21], 0, v[2:3]
	v_lshl_add_u64 v[6:7], v[6:7], 3, s[22:23]
	v_cndmask_b32_e32 v5, v7, v5, vcc
	v_cndmask_b32_e32 v4, v6, v4, vcc
	global_load_dwordx2 v[4:5], v[4:5], off
.LBB1154_6:
	s_or_b64 exec, exec, s[2:3]
	v_add_u32_e32 v8, v10, v0
	v_cmp_gt_u32_e64 s[2:3], s24, v8
.LBB1154_7:
	v_mov_b64_e32 v[6:7], 0
	s_and_saveexec_b64 s[24:25], s[2:3]
	s_cbranch_execz .LBB1154_9
; %bb.8:
	v_mov_b32_e32 v7, 0
	v_mov_b32_e32 v9, v7
	v_subrev_co_u32_e32 v6, vcc, s11, v8
	v_lshl_add_u64 v[12:13], v[8:9], 3, s[20:21]
	v_lshl_add_u64 v[6:7], v[6:7], 3, s[22:23]
	v_cndmask_b32_e32 v7, v7, v13, vcc
	v_cndmask_b32_e32 v6, v6, v12, vcc
	global_load_dwordx2 v[6:7], v[6:7], off
.LBB1154_9:
	s_or_b64 exec, exec, s[24:25]
	s_add_u32 s2, s6, s16
	s_addc_u32 s3, s7, s17
	s_add_u32 s16, s6, s18
	v_mov_b32_e32 v9, 0
	s_addc_u32 s17, s7, s19
	s_andn2_b64 vcc, exec, s[14:15]
	s_waitcnt vmcnt(0)
	ds_write2st64_b64 v2, v[4:5], v[6:7] offset1:8
	s_cbranch_vccnz .LBB1154_11
; %bb.10:
	v_mov_b32_e32 v3, v9
	v_subrev_co_u32_e32 v8, vcc, s11, v0
	v_lshl_add_u64 v[12:13], s[2:3], 0, v[2:3]
	v_lshl_add_u64 v[8:9], v[8:9], 3, s[16:17]
	v_cndmask_b32_e32 v9, v9, v13, vcc
	v_cndmask_b32_e32 v8, v8, v12, vcc
	global_load_dwordx2 v[8:9], v[8:9], off
	s_add_i32 s20, s13, s11
	v_add_u32_e32 v12, v10, v0
	s_mov_b64 s[18:19], -1
	v_mov_b32_e32 v3, s20
	s_cbranch_execz .LBB1154_12
	s_branch .LBB1154_15
.LBB1154_11:
	s_mov_b64 s[18:19], 0
                                        ; implicit-def: $vgpr12
                                        ; implicit-def: $vgpr8_vgpr9
                                        ; implicit-def: $vgpr3
.LBB1154_12:
	s_add_i32 s20, s13, s11
	v_cmp_gt_u32_e32 vcc, s20, v0
	s_waitcnt vmcnt(0)
	v_mov_b64_e32 v[8:9], 0
	s_and_saveexec_b64 s[6:7], vcc
	s_cbranch_execz .LBB1154_14
; %bb.13:
	v_mov_b32_e32 v3, 0
	v_subrev_co_u32_e32 v10, vcc, s11, v0
	v_mov_b32_e32 v11, v3
	v_lshl_add_u64 v[8:9], s[2:3], 0, v[2:3]
	v_lshl_add_u64 v[10:11], v[10:11], 3, s[16:17]
	v_cndmask_b32_e32 v9, v11, v9, vcc
	v_cndmask_b32_e32 v8, v10, v8, vcc
	global_load_dwordx2 v[8:9], v[8:9], off
.LBB1154_14:
	s_or_b64 exec, exec, s[6:7]
	v_cmp_gt_u32_e64 s[18:19], s20, v1
	v_mov_b32_e32 v3, s20
	v_mov_b32_e32 v12, v1
.LBB1154_15:
	s_load_dwordx2 s[6:7], s[0:1], 0x38
	v_mov_b64_e32 v[10:11], 0
	s_and_saveexec_b64 s[0:1], s[18:19]
	s_cbranch_execz .LBB1154_17
; %bb.16:
	v_mov_b32_e32 v11, 0
	v_mov_b32_e32 v13, v11
	v_subrev_co_u32_e32 v10, vcc, s11, v12
	v_lshl_add_u64 v[14:15], v[12:13], 3, s[2:3]
	v_lshl_add_u64 v[10:11], v[10:11], 3, s[16:17]
	v_cndmask_b32_e32 v11, v11, v15, vcc
	v_cndmask_b32_e32 v10, v10, v14, vcc
	global_load_dwordx2 v[10:11], v[10:11], off
.LBB1154_17:
	s_or_b64 exec, exec, s[0:1]
	v_lshlrev_b32_e32 v1, 1, v0
	v_min_u32_e32 v12, v3, v1
	v_sub_u32_e64 v14, v12, s13 clamp
	v_min_u32_e32 v13, s11, v12
	v_cmp_lt_u32_e32 vcc, v14, v13
	s_waitcnt lgkmcnt(0)
	s_barrier
	s_and_saveexec_b64 s[0:1], vcc
	s_cbranch_execz .LBB1154_21
; %bb.18:
	v_lshlrev_b32_e32 v15, 3, v12
	v_lshl_add_u32 v15, s11, 3, v15
	s_mov_b64 s[2:3], 0
.LBB1154_19:                            ; =>This Inner Loop Header: Depth=1
	v_add_u32_e32 v16, v13, v14
	v_lshrrev_b32_e32 v20, 1, v16
	v_not_b32_e32 v18, v20
	v_lshlrev_b32_e32 v16, 3, v20
	v_lshl_add_u32 v18, v18, 3, v15
	ds_read_b64 v[16:17], v16
	ds_read_b64 v[18:19], v18
	v_add_u32_e32 v21, 1, v20
	s_waitcnt lgkmcnt(1)
	v_and_b32_e32 v17, s7, v17
	v_and_b32_e32 v16, s6, v16
	s_waitcnt lgkmcnt(0)
	v_and_b32_e32 v19, s7, v19
	v_and_b32_e32 v18, s6, v18
	v_cmp_gt_i64_e32 vcc, v[16:17], v[18:19]
	s_nop 1
	v_cndmask_b32_e32 v13, v13, v20, vcc
	v_cndmask_b32_e32 v14, v21, v14, vcc
	v_cmp_ge_u32_e32 vcc, v14, v13
	s_or_b64 s[2:3], vcc, s[2:3]
	s_andn2_b64 exec, exec, s[2:3]
	s_cbranch_execnz .LBB1154_19
; %bb.20:
	s_or_b64 exec, exec, s[2:3]
.LBB1154_21:
	s_or_b64 exec, exec, s[0:1]
	v_sub_u32_e32 v12, v12, v14
	v_add_u32_e32 v15, s11, v12
	v_cmp_ge_u32_e32 vcc, s11, v14
	v_cmp_le_u32_e64 s[0:1], v15, v3
	s_or_b64 s[0:1], vcc, s[0:1]
	v_mov_b32_e32 v12, 0
	v_mov_b32_e32 v16, 0
	s_and_saveexec_b64 s[16:17], s[0:1]
	s_cbranch_execz .LBB1154_27
; %bb.22:
	v_cmp_gt_u32_e32 vcc, s11, v14
                                        ; implicit-def: $vgpr6_vgpr7
	s_and_saveexec_b64 s[0:1], vcc
; %bb.23:
	v_lshlrev_b32_e32 v4, 3, v14
	ds_read_b64 v[6:7], v4
; %bb.24:
	s_or_b64 exec, exec, s[0:1]
	v_cmp_ge_u32_e64 s[0:1], v15, v3
	v_cmp_lt_u32_e64 s[2:3], v15, v3
                                        ; implicit-def: $vgpr12_vgpr13
	s_and_saveexec_b64 s[18:19], s[2:3]
; %bb.25:
	v_lshlrev_b32_e32 v4, 3, v15
	ds_read_b64 v[12:13], v4
; %bb.26:
	s_or_b64 exec, exec, s[18:19]
	s_waitcnt lgkmcnt(0)
	v_and_b32_e32 v5, s7, v13
	v_and_b32_e32 v4, s6, v12
	v_and_b32_e32 v17, s7, v7
	v_and_b32_e32 v16, s6, v6
	v_cmp_le_i64_e64 s[2:3], v[16:17], v[4:5]
	s_and_b64 s[2:3], vcc, s[2:3]
	s_or_b64 vcc, s[0:1], s[2:3]
	v_mov_b32_e32 v4, s11
	v_cndmask_b32_e32 v16, v15, v14, vcc
	v_cndmask_b32_e32 v4, v3, v4, vcc
	v_add_u32_e32 v17, 1, v16
	v_add_u32_e32 v4, -1, v4
	v_min_u32_e32 v4, v17, v4
	v_lshlrev_b32_e32 v4, 3, v4
	ds_read_b64 v[18:19], v4
	v_cndmask_b32_e32 v5, v13, v7, vcc
	v_cndmask_b32_e32 v4, v12, v6, vcc
	;; [unrolled: 1-line block ×4, first 2 shown]
	s_waitcnt lgkmcnt(0)
	v_cndmask_b32_e32 v20, v19, v13, vcc
	v_cndmask_b32_e32 v21, v18, v12, vcc
	v_cndmask_b32_e32 v19, v7, v19, vcc
	v_cndmask_b32_e32 v18, v6, v18, vcc
	v_and_b32_e32 v7, s7, v20
	v_and_b32_e32 v6, s6, v21
	v_and_b32_e32 v13, s7, v19
	v_and_b32_e32 v12, s6, v18
	v_cmp_gt_u32_e64 s[0:1], s11, v14
	v_cmp_le_i64_e64 s[2:3], v[12:13], v[6:7]
	v_cmp_ge_u32_e32 vcc, v15, v3
	s_and_b64 s[0:1], s[0:1], s[2:3]
	s_or_b64 vcc, vcc, s[0:1]
	v_cndmask_b32_e32 v12, v15, v14, vcc
	v_cndmask_b32_e32 v7, v20, v19, vcc
	;; [unrolled: 1-line block ×3, first 2 shown]
.LBB1154_27:
	s_or_b64 exec, exec, s[16:17]
	s_barrier
	s_waitcnt vmcnt(0)
	ds_write2st64_b64 v2, v[8:9], v[10:11] offset1:8
	v_lshlrev_b32_e32 v3, 3, v16
	v_lshlrev_b32_e32 v10, 3, v12
	s_waitcnt lgkmcnt(0)
	s_barrier
	ds_read_b64 v[8:9], v3
	ds_read_b64 v[10:11], v10
	v_lshrrev_b32_e32 v3, 1, v0
	s_mov_b32 s13, 0
	v_and_b32_e32 v3, 0xf8, v3
	v_or_b32_e32 v14, 0x200, v0
	s_lshl_b64 s[2:3], s[12:13], 3
	v_lshl_add_u32 v12, v1, 3, v3
	v_lshrrev_b32_e32 v3, 2, v14
	s_add_u32 s0, s4, s2
	v_lshrrev_b32_e32 v1, 2, v0
	v_and_b32_e32 v3, 0xf8, v3
	s_addc_u32 s1, s5, s3
	v_and_b32_e32 v1, 0x78, v1
	v_add_u32_e32 v13, v3, v2
	v_mov_b32_e32 v3, 0
	s_waitcnt lgkmcnt(0)
	s_barrier
	s_barrier
	ds_write2_b64 v12, v[4:5], v[6:7] offset1:1
	v_add_u32_e32 v1, v1, v2
	v_lshl_add_u64 v[4:5], s[0:1], 0, v[2:3]
	s_and_b64 vcc, exec, s[14:15]
	s_waitcnt lgkmcnt(0)
	s_cbranch_vccz .LBB1154_29
; %bb.28:
	s_barrier
	ds_read_b64 v[6:7], v1
	ds_read_b64 v[16:17], v13 offset:4096
	s_add_u32 s0, s8, s2
	s_addc_u32 s1, s9, s3
	s_mov_b64 s[4:5], -1
	s_waitcnt lgkmcnt(1)
	global_store_dwordx2 v[4:5], v[6:7], off
	v_add_co_u32_e32 v6, vcc, 0x1000, v4
	s_nop 1
	v_addc_co_u32_e32 v7, vcc, 0, v5, vcc
	s_waitcnt lgkmcnt(0)
	global_store_dwordx2 v[6:7], v[16:17], off
	s_barrier
	ds_write2_b64 v12, v[8:9], v[10:11] offset1:1
	s_waitcnt lgkmcnt(0)
	s_barrier
	ds_read_b64 v[16:17], v1
	ds_read_b64 v[6:7], v13 offset:4096
	s_waitcnt lgkmcnt(1)
	global_store_dwordx2 v2, v[16:17], s[0:1]
	s_cbranch_execz .LBB1154_30
	s_branch .LBB1154_37
.LBB1154_29:
	s_mov_b64 s[4:5], 0
                                        ; implicit-def: $vgpr6_vgpr7
.LBB1154_30:
	s_barrier
	s_waitcnt lgkmcnt(0)
	ds_read_b64 v[6:7], v13 offset:4096
	s_sub_i32 s6, s10, s12
	v_cmp_gt_u32_e64 s[0:1], s6, v0
	s_and_saveexec_b64 s[4:5], s[0:1]
	s_cbranch_execz .LBB1154_32
; %bb.31:
	ds_read_b64 v[16:17], v1
	s_waitcnt lgkmcnt(0)
	global_store_dwordx2 v[4:5], v[16:17], off
.LBB1154_32:
	s_or_b64 exec, exec, s[4:5]
	v_cmp_gt_u32_e64 s[4:5], s6, v14
	s_and_saveexec_b64 s[6:7], s[4:5]
	s_cbranch_execz .LBB1154_34
; %bb.33:
	v_add_co_u32_e32 v4, vcc, 0x1000, v4
	s_nop 1
	v_addc_co_u32_e32 v5, vcc, 0, v5, vcc
	s_waitcnt lgkmcnt(0)
	global_store_dwordx2 v[4:5], v[6:7], off
.LBB1154_34:
	s_or_b64 exec, exec, s[6:7]
	s_waitcnt lgkmcnt(0)
	s_barrier
	ds_write2_b64 v12, v[8:9], v[10:11] offset1:1
	s_waitcnt lgkmcnt(0)
	s_barrier
	ds_read_b64 v[6:7], v13 offset:4096
	s_and_saveexec_b64 s[6:7], s[0:1]
	s_cbranch_execz .LBB1154_36
; %bb.35:
	ds_read_b64 v[0:1], v1
	s_add_u32 s0, s8, s2
	s_addc_u32 s1, s9, s3
	s_waitcnt lgkmcnt(0)
	global_store_dwordx2 v2, v[0:1], s[0:1]
.LBB1154_36:
	s_or_b64 exec, exec, s[6:7]
.LBB1154_37:
	s_and_saveexec_b64 s[0:1], s[4:5]
	s_cbranch_execz .LBB1154_39
; %bb.38:
	s_add_u32 s0, s8, s2
	s_addc_u32 s1, s9, s3
	v_mov_b32_e32 v3, 0
	v_lshl_add_u64 v[0:1], s[0:1], 0, v[2:3]
	v_add_co_u32_e32 v0, vcc, 0x1000, v0
	s_nop 1
	v_addc_co_u32_e32 v1, vcc, 0, v1, vcc
	s_waitcnt lgkmcnt(0)
	global_store_dwordx2 v[0:1], v[6:7], off
.LBB1154_39:
	s_endpgm
	.section	.rodata,"a",@progbits
	.p2align	6, 0x0
	.amdhsa_kernel _ZN7rocprim17ROCPRIM_400000_NS6detail17trampoline_kernelINS0_14default_configENS1_38merge_sort_block_merge_config_selectorIxxEEZZNS1_27merge_sort_block_merge_implIS3_N6thrust23THRUST_200600_302600_NS6detail15normal_iteratorINS8_10device_ptrIxEEEESD_jNS1_19radix_merge_compareILb0ELb1ExNS0_19identity_decomposerEEEEE10hipError_tT0_T1_T2_jT3_P12ihipStream_tbPNSt15iterator_traitsISI_E10value_typeEPNSO_ISJ_E10value_typeEPSK_NS1_7vsmem_tEENKUlT_SI_SJ_SK_E_clISD_PxSD_S10_EESH_SX_SI_SJ_SK_EUlSX_E0_NS1_11comp_targetILNS1_3genE0ELNS1_11target_archE4294967295ELNS1_3gpuE0ELNS1_3repE0EEENS1_38merge_mergepath_config_static_selectorELNS0_4arch9wavefront6targetE1EEEvSJ_
		.amdhsa_group_segment_fixed_size 8448
		.amdhsa_private_segment_fixed_size 0
		.amdhsa_kernarg_size 328
		.amdhsa_user_sgpr_count 2
		.amdhsa_user_sgpr_dispatch_ptr 0
		.amdhsa_user_sgpr_queue_ptr 0
		.amdhsa_user_sgpr_kernarg_segment_ptr 1
		.amdhsa_user_sgpr_dispatch_id 0
		.amdhsa_user_sgpr_kernarg_preload_length 0
		.amdhsa_user_sgpr_kernarg_preload_offset 0
		.amdhsa_user_sgpr_private_segment_size 0
		.amdhsa_uses_dynamic_stack 0
		.amdhsa_enable_private_segment 0
		.amdhsa_system_sgpr_workgroup_id_x 1
		.amdhsa_system_sgpr_workgroup_id_y 1
		.amdhsa_system_sgpr_workgroup_id_z 1
		.amdhsa_system_sgpr_workgroup_info 0
		.amdhsa_system_vgpr_workitem_id 0
		.amdhsa_next_free_vgpr 22
		.amdhsa_next_free_sgpr 32
		.amdhsa_accum_offset 24
		.amdhsa_reserve_vcc 1
		.amdhsa_float_round_mode_32 0
		.amdhsa_float_round_mode_16_64 0
		.amdhsa_float_denorm_mode_32 3
		.amdhsa_float_denorm_mode_16_64 3
		.amdhsa_dx10_clamp 1
		.amdhsa_ieee_mode 1
		.amdhsa_fp16_overflow 0
		.amdhsa_tg_split 0
		.amdhsa_exception_fp_ieee_invalid_op 0
		.amdhsa_exception_fp_denorm_src 0
		.amdhsa_exception_fp_ieee_div_zero 0
		.amdhsa_exception_fp_ieee_overflow 0
		.amdhsa_exception_fp_ieee_underflow 0
		.amdhsa_exception_fp_ieee_inexact 0
		.amdhsa_exception_int_div_zero 0
	.end_amdhsa_kernel
	.section	.text._ZN7rocprim17ROCPRIM_400000_NS6detail17trampoline_kernelINS0_14default_configENS1_38merge_sort_block_merge_config_selectorIxxEEZZNS1_27merge_sort_block_merge_implIS3_N6thrust23THRUST_200600_302600_NS6detail15normal_iteratorINS8_10device_ptrIxEEEESD_jNS1_19radix_merge_compareILb0ELb1ExNS0_19identity_decomposerEEEEE10hipError_tT0_T1_T2_jT3_P12ihipStream_tbPNSt15iterator_traitsISI_E10value_typeEPNSO_ISJ_E10value_typeEPSK_NS1_7vsmem_tEENKUlT_SI_SJ_SK_E_clISD_PxSD_S10_EESH_SX_SI_SJ_SK_EUlSX_E0_NS1_11comp_targetILNS1_3genE0ELNS1_11target_archE4294967295ELNS1_3gpuE0ELNS1_3repE0EEENS1_38merge_mergepath_config_static_selectorELNS0_4arch9wavefront6targetE1EEEvSJ_,"axG",@progbits,_ZN7rocprim17ROCPRIM_400000_NS6detail17trampoline_kernelINS0_14default_configENS1_38merge_sort_block_merge_config_selectorIxxEEZZNS1_27merge_sort_block_merge_implIS3_N6thrust23THRUST_200600_302600_NS6detail15normal_iteratorINS8_10device_ptrIxEEEESD_jNS1_19radix_merge_compareILb0ELb1ExNS0_19identity_decomposerEEEEE10hipError_tT0_T1_T2_jT3_P12ihipStream_tbPNSt15iterator_traitsISI_E10value_typeEPNSO_ISJ_E10value_typeEPSK_NS1_7vsmem_tEENKUlT_SI_SJ_SK_E_clISD_PxSD_S10_EESH_SX_SI_SJ_SK_EUlSX_E0_NS1_11comp_targetILNS1_3genE0ELNS1_11target_archE4294967295ELNS1_3gpuE0ELNS1_3repE0EEENS1_38merge_mergepath_config_static_selectorELNS0_4arch9wavefront6targetE1EEEvSJ_,comdat
.Lfunc_end1154:
	.size	_ZN7rocprim17ROCPRIM_400000_NS6detail17trampoline_kernelINS0_14default_configENS1_38merge_sort_block_merge_config_selectorIxxEEZZNS1_27merge_sort_block_merge_implIS3_N6thrust23THRUST_200600_302600_NS6detail15normal_iteratorINS8_10device_ptrIxEEEESD_jNS1_19radix_merge_compareILb0ELb1ExNS0_19identity_decomposerEEEEE10hipError_tT0_T1_T2_jT3_P12ihipStream_tbPNSt15iterator_traitsISI_E10value_typeEPNSO_ISJ_E10value_typeEPSK_NS1_7vsmem_tEENKUlT_SI_SJ_SK_E_clISD_PxSD_S10_EESH_SX_SI_SJ_SK_EUlSX_E0_NS1_11comp_targetILNS1_3genE0ELNS1_11target_archE4294967295ELNS1_3gpuE0ELNS1_3repE0EEENS1_38merge_mergepath_config_static_selectorELNS0_4arch9wavefront6targetE1EEEvSJ_, .Lfunc_end1154-_ZN7rocprim17ROCPRIM_400000_NS6detail17trampoline_kernelINS0_14default_configENS1_38merge_sort_block_merge_config_selectorIxxEEZZNS1_27merge_sort_block_merge_implIS3_N6thrust23THRUST_200600_302600_NS6detail15normal_iteratorINS8_10device_ptrIxEEEESD_jNS1_19radix_merge_compareILb0ELb1ExNS0_19identity_decomposerEEEEE10hipError_tT0_T1_T2_jT3_P12ihipStream_tbPNSt15iterator_traitsISI_E10value_typeEPNSO_ISJ_E10value_typeEPSK_NS1_7vsmem_tEENKUlT_SI_SJ_SK_E_clISD_PxSD_S10_EESH_SX_SI_SJ_SK_EUlSX_E0_NS1_11comp_targetILNS1_3genE0ELNS1_11target_archE4294967295ELNS1_3gpuE0ELNS1_3repE0EEENS1_38merge_mergepath_config_static_selectorELNS0_4arch9wavefront6targetE1EEEvSJ_
                                        ; -- End function
	.set _ZN7rocprim17ROCPRIM_400000_NS6detail17trampoline_kernelINS0_14default_configENS1_38merge_sort_block_merge_config_selectorIxxEEZZNS1_27merge_sort_block_merge_implIS3_N6thrust23THRUST_200600_302600_NS6detail15normal_iteratorINS8_10device_ptrIxEEEESD_jNS1_19radix_merge_compareILb0ELb1ExNS0_19identity_decomposerEEEEE10hipError_tT0_T1_T2_jT3_P12ihipStream_tbPNSt15iterator_traitsISI_E10value_typeEPNSO_ISJ_E10value_typeEPSK_NS1_7vsmem_tEENKUlT_SI_SJ_SK_E_clISD_PxSD_S10_EESH_SX_SI_SJ_SK_EUlSX_E0_NS1_11comp_targetILNS1_3genE0ELNS1_11target_archE4294967295ELNS1_3gpuE0ELNS1_3repE0EEENS1_38merge_mergepath_config_static_selectorELNS0_4arch9wavefront6targetE1EEEvSJ_.num_vgpr, 22
	.set _ZN7rocprim17ROCPRIM_400000_NS6detail17trampoline_kernelINS0_14default_configENS1_38merge_sort_block_merge_config_selectorIxxEEZZNS1_27merge_sort_block_merge_implIS3_N6thrust23THRUST_200600_302600_NS6detail15normal_iteratorINS8_10device_ptrIxEEEESD_jNS1_19radix_merge_compareILb0ELb1ExNS0_19identity_decomposerEEEEE10hipError_tT0_T1_T2_jT3_P12ihipStream_tbPNSt15iterator_traitsISI_E10value_typeEPNSO_ISJ_E10value_typeEPSK_NS1_7vsmem_tEENKUlT_SI_SJ_SK_E_clISD_PxSD_S10_EESH_SX_SI_SJ_SK_EUlSX_E0_NS1_11comp_targetILNS1_3genE0ELNS1_11target_archE4294967295ELNS1_3gpuE0ELNS1_3repE0EEENS1_38merge_mergepath_config_static_selectorELNS0_4arch9wavefront6targetE1EEEvSJ_.num_agpr, 0
	.set _ZN7rocprim17ROCPRIM_400000_NS6detail17trampoline_kernelINS0_14default_configENS1_38merge_sort_block_merge_config_selectorIxxEEZZNS1_27merge_sort_block_merge_implIS3_N6thrust23THRUST_200600_302600_NS6detail15normal_iteratorINS8_10device_ptrIxEEEESD_jNS1_19radix_merge_compareILb0ELb1ExNS0_19identity_decomposerEEEEE10hipError_tT0_T1_T2_jT3_P12ihipStream_tbPNSt15iterator_traitsISI_E10value_typeEPNSO_ISJ_E10value_typeEPSK_NS1_7vsmem_tEENKUlT_SI_SJ_SK_E_clISD_PxSD_S10_EESH_SX_SI_SJ_SK_EUlSX_E0_NS1_11comp_targetILNS1_3genE0ELNS1_11target_archE4294967295ELNS1_3gpuE0ELNS1_3repE0EEENS1_38merge_mergepath_config_static_selectorELNS0_4arch9wavefront6targetE1EEEvSJ_.numbered_sgpr, 32
	.set _ZN7rocprim17ROCPRIM_400000_NS6detail17trampoline_kernelINS0_14default_configENS1_38merge_sort_block_merge_config_selectorIxxEEZZNS1_27merge_sort_block_merge_implIS3_N6thrust23THRUST_200600_302600_NS6detail15normal_iteratorINS8_10device_ptrIxEEEESD_jNS1_19radix_merge_compareILb0ELb1ExNS0_19identity_decomposerEEEEE10hipError_tT0_T1_T2_jT3_P12ihipStream_tbPNSt15iterator_traitsISI_E10value_typeEPNSO_ISJ_E10value_typeEPSK_NS1_7vsmem_tEENKUlT_SI_SJ_SK_E_clISD_PxSD_S10_EESH_SX_SI_SJ_SK_EUlSX_E0_NS1_11comp_targetILNS1_3genE0ELNS1_11target_archE4294967295ELNS1_3gpuE0ELNS1_3repE0EEENS1_38merge_mergepath_config_static_selectorELNS0_4arch9wavefront6targetE1EEEvSJ_.num_named_barrier, 0
	.set _ZN7rocprim17ROCPRIM_400000_NS6detail17trampoline_kernelINS0_14default_configENS1_38merge_sort_block_merge_config_selectorIxxEEZZNS1_27merge_sort_block_merge_implIS3_N6thrust23THRUST_200600_302600_NS6detail15normal_iteratorINS8_10device_ptrIxEEEESD_jNS1_19radix_merge_compareILb0ELb1ExNS0_19identity_decomposerEEEEE10hipError_tT0_T1_T2_jT3_P12ihipStream_tbPNSt15iterator_traitsISI_E10value_typeEPNSO_ISJ_E10value_typeEPSK_NS1_7vsmem_tEENKUlT_SI_SJ_SK_E_clISD_PxSD_S10_EESH_SX_SI_SJ_SK_EUlSX_E0_NS1_11comp_targetILNS1_3genE0ELNS1_11target_archE4294967295ELNS1_3gpuE0ELNS1_3repE0EEENS1_38merge_mergepath_config_static_selectorELNS0_4arch9wavefront6targetE1EEEvSJ_.private_seg_size, 0
	.set _ZN7rocprim17ROCPRIM_400000_NS6detail17trampoline_kernelINS0_14default_configENS1_38merge_sort_block_merge_config_selectorIxxEEZZNS1_27merge_sort_block_merge_implIS3_N6thrust23THRUST_200600_302600_NS6detail15normal_iteratorINS8_10device_ptrIxEEEESD_jNS1_19radix_merge_compareILb0ELb1ExNS0_19identity_decomposerEEEEE10hipError_tT0_T1_T2_jT3_P12ihipStream_tbPNSt15iterator_traitsISI_E10value_typeEPNSO_ISJ_E10value_typeEPSK_NS1_7vsmem_tEENKUlT_SI_SJ_SK_E_clISD_PxSD_S10_EESH_SX_SI_SJ_SK_EUlSX_E0_NS1_11comp_targetILNS1_3genE0ELNS1_11target_archE4294967295ELNS1_3gpuE0ELNS1_3repE0EEENS1_38merge_mergepath_config_static_selectorELNS0_4arch9wavefront6targetE1EEEvSJ_.uses_vcc, 1
	.set _ZN7rocprim17ROCPRIM_400000_NS6detail17trampoline_kernelINS0_14default_configENS1_38merge_sort_block_merge_config_selectorIxxEEZZNS1_27merge_sort_block_merge_implIS3_N6thrust23THRUST_200600_302600_NS6detail15normal_iteratorINS8_10device_ptrIxEEEESD_jNS1_19radix_merge_compareILb0ELb1ExNS0_19identity_decomposerEEEEE10hipError_tT0_T1_T2_jT3_P12ihipStream_tbPNSt15iterator_traitsISI_E10value_typeEPNSO_ISJ_E10value_typeEPSK_NS1_7vsmem_tEENKUlT_SI_SJ_SK_E_clISD_PxSD_S10_EESH_SX_SI_SJ_SK_EUlSX_E0_NS1_11comp_targetILNS1_3genE0ELNS1_11target_archE4294967295ELNS1_3gpuE0ELNS1_3repE0EEENS1_38merge_mergepath_config_static_selectorELNS0_4arch9wavefront6targetE1EEEvSJ_.uses_flat_scratch, 0
	.set _ZN7rocprim17ROCPRIM_400000_NS6detail17trampoline_kernelINS0_14default_configENS1_38merge_sort_block_merge_config_selectorIxxEEZZNS1_27merge_sort_block_merge_implIS3_N6thrust23THRUST_200600_302600_NS6detail15normal_iteratorINS8_10device_ptrIxEEEESD_jNS1_19radix_merge_compareILb0ELb1ExNS0_19identity_decomposerEEEEE10hipError_tT0_T1_T2_jT3_P12ihipStream_tbPNSt15iterator_traitsISI_E10value_typeEPNSO_ISJ_E10value_typeEPSK_NS1_7vsmem_tEENKUlT_SI_SJ_SK_E_clISD_PxSD_S10_EESH_SX_SI_SJ_SK_EUlSX_E0_NS1_11comp_targetILNS1_3genE0ELNS1_11target_archE4294967295ELNS1_3gpuE0ELNS1_3repE0EEENS1_38merge_mergepath_config_static_selectorELNS0_4arch9wavefront6targetE1EEEvSJ_.has_dyn_sized_stack, 0
	.set _ZN7rocprim17ROCPRIM_400000_NS6detail17trampoline_kernelINS0_14default_configENS1_38merge_sort_block_merge_config_selectorIxxEEZZNS1_27merge_sort_block_merge_implIS3_N6thrust23THRUST_200600_302600_NS6detail15normal_iteratorINS8_10device_ptrIxEEEESD_jNS1_19radix_merge_compareILb0ELb1ExNS0_19identity_decomposerEEEEE10hipError_tT0_T1_T2_jT3_P12ihipStream_tbPNSt15iterator_traitsISI_E10value_typeEPNSO_ISJ_E10value_typeEPSK_NS1_7vsmem_tEENKUlT_SI_SJ_SK_E_clISD_PxSD_S10_EESH_SX_SI_SJ_SK_EUlSX_E0_NS1_11comp_targetILNS1_3genE0ELNS1_11target_archE4294967295ELNS1_3gpuE0ELNS1_3repE0EEENS1_38merge_mergepath_config_static_selectorELNS0_4arch9wavefront6targetE1EEEvSJ_.has_recursion, 0
	.set _ZN7rocprim17ROCPRIM_400000_NS6detail17trampoline_kernelINS0_14default_configENS1_38merge_sort_block_merge_config_selectorIxxEEZZNS1_27merge_sort_block_merge_implIS3_N6thrust23THRUST_200600_302600_NS6detail15normal_iteratorINS8_10device_ptrIxEEEESD_jNS1_19radix_merge_compareILb0ELb1ExNS0_19identity_decomposerEEEEE10hipError_tT0_T1_T2_jT3_P12ihipStream_tbPNSt15iterator_traitsISI_E10value_typeEPNSO_ISJ_E10value_typeEPSK_NS1_7vsmem_tEENKUlT_SI_SJ_SK_E_clISD_PxSD_S10_EESH_SX_SI_SJ_SK_EUlSX_E0_NS1_11comp_targetILNS1_3genE0ELNS1_11target_archE4294967295ELNS1_3gpuE0ELNS1_3repE0EEENS1_38merge_mergepath_config_static_selectorELNS0_4arch9wavefront6targetE1EEEvSJ_.has_indirect_call, 0
	.section	.AMDGPU.csdata,"",@progbits
; Kernel info:
; codeLenInByte = 1788
; TotalNumSgprs: 38
; NumVgprs: 22
; NumAgprs: 0
; TotalNumVgprs: 22
; ScratchSize: 0
; MemoryBound: 0
; FloatMode: 240
; IeeeMode: 1
; LDSByteSize: 8448 bytes/workgroup (compile time only)
; SGPRBlocks: 4
; VGPRBlocks: 2
; NumSGPRsForWavesPerEU: 38
; NumVGPRsForWavesPerEU: 22
; AccumOffset: 24
; Occupancy: 8
; WaveLimiterHint : 1
; COMPUTE_PGM_RSRC2:SCRATCH_EN: 0
; COMPUTE_PGM_RSRC2:USER_SGPR: 2
; COMPUTE_PGM_RSRC2:TRAP_HANDLER: 0
; COMPUTE_PGM_RSRC2:TGID_X_EN: 1
; COMPUTE_PGM_RSRC2:TGID_Y_EN: 1
; COMPUTE_PGM_RSRC2:TGID_Z_EN: 1
; COMPUTE_PGM_RSRC2:TIDIG_COMP_CNT: 0
; COMPUTE_PGM_RSRC3_GFX90A:ACCUM_OFFSET: 5
; COMPUTE_PGM_RSRC3_GFX90A:TG_SPLIT: 0
	.section	.text._ZN7rocprim17ROCPRIM_400000_NS6detail17trampoline_kernelINS0_14default_configENS1_38merge_sort_block_merge_config_selectorIxxEEZZNS1_27merge_sort_block_merge_implIS3_N6thrust23THRUST_200600_302600_NS6detail15normal_iteratorINS8_10device_ptrIxEEEESD_jNS1_19radix_merge_compareILb0ELb1ExNS0_19identity_decomposerEEEEE10hipError_tT0_T1_T2_jT3_P12ihipStream_tbPNSt15iterator_traitsISI_E10value_typeEPNSO_ISJ_E10value_typeEPSK_NS1_7vsmem_tEENKUlT_SI_SJ_SK_E_clISD_PxSD_S10_EESH_SX_SI_SJ_SK_EUlSX_E0_NS1_11comp_targetILNS1_3genE10ELNS1_11target_archE1201ELNS1_3gpuE5ELNS1_3repE0EEENS1_38merge_mergepath_config_static_selectorELNS0_4arch9wavefront6targetE1EEEvSJ_,"axG",@progbits,_ZN7rocprim17ROCPRIM_400000_NS6detail17trampoline_kernelINS0_14default_configENS1_38merge_sort_block_merge_config_selectorIxxEEZZNS1_27merge_sort_block_merge_implIS3_N6thrust23THRUST_200600_302600_NS6detail15normal_iteratorINS8_10device_ptrIxEEEESD_jNS1_19radix_merge_compareILb0ELb1ExNS0_19identity_decomposerEEEEE10hipError_tT0_T1_T2_jT3_P12ihipStream_tbPNSt15iterator_traitsISI_E10value_typeEPNSO_ISJ_E10value_typeEPSK_NS1_7vsmem_tEENKUlT_SI_SJ_SK_E_clISD_PxSD_S10_EESH_SX_SI_SJ_SK_EUlSX_E0_NS1_11comp_targetILNS1_3genE10ELNS1_11target_archE1201ELNS1_3gpuE5ELNS1_3repE0EEENS1_38merge_mergepath_config_static_selectorELNS0_4arch9wavefront6targetE1EEEvSJ_,comdat
	.protected	_ZN7rocprim17ROCPRIM_400000_NS6detail17trampoline_kernelINS0_14default_configENS1_38merge_sort_block_merge_config_selectorIxxEEZZNS1_27merge_sort_block_merge_implIS3_N6thrust23THRUST_200600_302600_NS6detail15normal_iteratorINS8_10device_ptrIxEEEESD_jNS1_19radix_merge_compareILb0ELb1ExNS0_19identity_decomposerEEEEE10hipError_tT0_T1_T2_jT3_P12ihipStream_tbPNSt15iterator_traitsISI_E10value_typeEPNSO_ISJ_E10value_typeEPSK_NS1_7vsmem_tEENKUlT_SI_SJ_SK_E_clISD_PxSD_S10_EESH_SX_SI_SJ_SK_EUlSX_E0_NS1_11comp_targetILNS1_3genE10ELNS1_11target_archE1201ELNS1_3gpuE5ELNS1_3repE0EEENS1_38merge_mergepath_config_static_selectorELNS0_4arch9wavefront6targetE1EEEvSJ_ ; -- Begin function _ZN7rocprim17ROCPRIM_400000_NS6detail17trampoline_kernelINS0_14default_configENS1_38merge_sort_block_merge_config_selectorIxxEEZZNS1_27merge_sort_block_merge_implIS3_N6thrust23THRUST_200600_302600_NS6detail15normal_iteratorINS8_10device_ptrIxEEEESD_jNS1_19radix_merge_compareILb0ELb1ExNS0_19identity_decomposerEEEEE10hipError_tT0_T1_T2_jT3_P12ihipStream_tbPNSt15iterator_traitsISI_E10value_typeEPNSO_ISJ_E10value_typeEPSK_NS1_7vsmem_tEENKUlT_SI_SJ_SK_E_clISD_PxSD_S10_EESH_SX_SI_SJ_SK_EUlSX_E0_NS1_11comp_targetILNS1_3genE10ELNS1_11target_archE1201ELNS1_3gpuE5ELNS1_3repE0EEENS1_38merge_mergepath_config_static_selectorELNS0_4arch9wavefront6targetE1EEEvSJ_
	.globl	_ZN7rocprim17ROCPRIM_400000_NS6detail17trampoline_kernelINS0_14default_configENS1_38merge_sort_block_merge_config_selectorIxxEEZZNS1_27merge_sort_block_merge_implIS3_N6thrust23THRUST_200600_302600_NS6detail15normal_iteratorINS8_10device_ptrIxEEEESD_jNS1_19radix_merge_compareILb0ELb1ExNS0_19identity_decomposerEEEEE10hipError_tT0_T1_T2_jT3_P12ihipStream_tbPNSt15iterator_traitsISI_E10value_typeEPNSO_ISJ_E10value_typeEPSK_NS1_7vsmem_tEENKUlT_SI_SJ_SK_E_clISD_PxSD_S10_EESH_SX_SI_SJ_SK_EUlSX_E0_NS1_11comp_targetILNS1_3genE10ELNS1_11target_archE1201ELNS1_3gpuE5ELNS1_3repE0EEENS1_38merge_mergepath_config_static_selectorELNS0_4arch9wavefront6targetE1EEEvSJ_
	.p2align	8
	.type	_ZN7rocprim17ROCPRIM_400000_NS6detail17trampoline_kernelINS0_14default_configENS1_38merge_sort_block_merge_config_selectorIxxEEZZNS1_27merge_sort_block_merge_implIS3_N6thrust23THRUST_200600_302600_NS6detail15normal_iteratorINS8_10device_ptrIxEEEESD_jNS1_19radix_merge_compareILb0ELb1ExNS0_19identity_decomposerEEEEE10hipError_tT0_T1_T2_jT3_P12ihipStream_tbPNSt15iterator_traitsISI_E10value_typeEPNSO_ISJ_E10value_typeEPSK_NS1_7vsmem_tEENKUlT_SI_SJ_SK_E_clISD_PxSD_S10_EESH_SX_SI_SJ_SK_EUlSX_E0_NS1_11comp_targetILNS1_3genE10ELNS1_11target_archE1201ELNS1_3gpuE5ELNS1_3repE0EEENS1_38merge_mergepath_config_static_selectorELNS0_4arch9wavefront6targetE1EEEvSJ_,@function
_ZN7rocprim17ROCPRIM_400000_NS6detail17trampoline_kernelINS0_14default_configENS1_38merge_sort_block_merge_config_selectorIxxEEZZNS1_27merge_sort_block_merge_implIS3_N6thrust23THRUST_200600_302600_NS6detail15normal_iteratorINS8_10device_ptrIxEEEESD_jNS1_19radix_merge_compareILb0ELb1ExNS0_19identity_decomposerEEEEE10hipError_tT0_T1_T2_jT3_P12ihipStream_tbPNSt15iterator_traitsISI_E10value_typeEPNSO_ISJ_E10value_typeEPSK_NS1_7vsmem_tEENKUlT_SI_SJ_SK_E_clISD_PxSD_S10_EESH_SX_SI_SJ_SK_EUlSX_E0_NS1_11comp_targetILNS1_3genE10ELNS1_11target_archE1201ELNS1_3gpuE5ELNS1_3repE0EEENS1_38merge_mergepath_config_static_selectorELNS0_4arch9wavefront6targetE1EEEvSJ_: ; @_ZN7rocprim17ROCPRIM_400000_NS6detail17trampoline_kernelINS0_14default_configENS1_38merge_sort_block_merge_config_selectorIxxEEZZNS1_27merge_sort_block_merge_implIS3_N6thrust23THRUST_200600_302600_NS6detail15normal_iteratorINS8_10device_ptrIxEEEESD_jNS1_19radix_merge_compareILb0ELb1ExNS0_19identity_decomposerEEEEE10hipError_tT0_T1_T2_jT3_P12ihipStream_tbPNSt15iterator_traitsISI_E10value_typeEPNSO_ISJ_E10value_typeEPSK_NS1_7vsmem_tEENKUlT_SI_SJ_SK_E_clISD_PxSD_S10_EESH_SX_SI_SJ_SK_EUlSX_E0_NS1_11comp_targetILNS1_3genE10ELNS1_11target_archE1201ELNS1_3gpuE5ELNS1_3repE0EEENS1_38merge_mergepath_config_static_selectorELNS0_4arch9wavefront6targetE1EEEvSJ_
; %bb.0:
	.section	.rodata,"a",@progbits
	.p2align	6, 0x0
	.amdhsa_kernel _ZN7rocprim17ROCPRIM_400000_NS6detail17trampoline_kernelINS0_14default_configENS1_38merge_sort_block_merge_config_selectorIxxEEZZNS1_27merge_sort_block_merge_implIS3_N6thrust23THRUST_200600_302600_NS6detail15normal_iteratorINS8_10device_ptrIxEEEESD_jNS1_19radix_merge_compareILb0ELb1ExNS0_19identity_decomposerEEEEE10hipError_tT0_T1_T2_jT3_P12ihipStream_tbPNSt15iterator_traitsISI_E10value_typeEPNSO_ISJ_E10value_typeEPSK_NS1_7vsmem_tEENKUlT_SI_SJ_SK_E_clISD_PxSD_S10_EESH_SX_SI_SJ_SK_EUlSX_E0_NS1_11comp_targetILNS1_3genE10ELNS1_11target_archE1201ELNS1_3gpuE5ELNS1_3repE0EEENS1_38merge_mergepath_config_static_selectorELNS0_4arch9wavefront6targetE1EEEvSJ_
		.amdhsa_group_segment_fixed_size 0
		.amdhsa_private_segment_fixed_size 0
		.amdhsa_kernarg_size 72
		.amdhsa_user_sgpr_count 2
		.amdhsa_user_sgpr_dispatch_ptr 0
		.amdhsa_user_sgpr_queue_ptr 0
		.amdhsa_user_sgpr_kernarg_segment_ptr 1
		.amdhsa_user_sgpr_dispatch_id 0
		.amdhsa_user_sgpr_kernarg_preload_length 0
		.amdhsa_user_sgpr_kernarg_preload_offset 0
		.amdhsa_user_sgpr_private_segment_size 0
		.amdhsa_uses_dynamic_stack 0
		.amdhsa_enable_private_segment 0
		.amdhsa_system_sgpr_workgroup_id_x 1
		.amdhsa_system_sgpr_workgroup_id_y 0
		.amdhsa_system_sgpr_workgroup_id_z 0
		.amdhsa_system_sgpr_workgroup_info 0
		.amdhsa_system_vgpr_workitem_id 0
		.amdhsa_next_free_vgpr 1
		.amdhsa_next_free_sgpr 0
		.amdhsa_accum_offset 4
		.amdhsa_reserve_vcc 0
		.amdhsa_float_round_mode_32 0
		.amdhsa_float_round_mode_16_64 0
		.amdhsa_float_denorm_mode_32 3
		.amdhsa_float_denorm_mode_16_64 3
		.amdhsa_dx10_clamp 1
		.amdhsa_ieee_mode 1
		.amdhsa_fp16_overflow 0
		.amdhsa_tg_split 0
		.amdhsa_exception_fp_ieee_invalid_op 0
		.amdhsa_exception_fp_denorm_src 0
		.amdhsa_exception_fp_ieee_div_zero 0
		.amdhsa_exception_fp_ieee_overflow 0
		.amdhsa_exception_fp_ieee_underflow 0
		.amdhsa_exception_fp_ieee_inexact 0
		.amdhsa_exception_int_div_zero 0
	.end_amdhsa_kernel
	.section	.text._ZN7rocprim17ROCPRIM_400000_NS6detail17trampoline_kernelINS0_14default_configENS1_38merge_sort_block_merge_config_selectorIxxEEZZNS1_27merge_sort_block_merge_implIS3_N6thrust23THRUST_200600_302600_NS6detail15normal_iteratorINS8_10device_ptrIxEEEESD_jNS1_19radix_merge_compareILb0ELb1ExNS0_19identity_decomposerEEEEE10hipError_tT0_T1_T2_jT3_P12ihipStream_tbPNSt15iterator_traitsISI_E10value_typeEPNSO_ISJ_E10value_typeEPSK_NS1_7vsmem_tEENKUlT_SI_SJ_SK_E_clISD_PxSD_S10_EESH_SX_SI_SJ_SK_EUlSX_E0_NS1_11comp_targetILNS1_3genE10ELNS1_11target_archE1201ELNS1_3gpuE5ELNS1_3repE0EEENS1_38merge_mergepath_config_static_selectorELNS0_4arch9wavefront6targetE1EEEvSJ_,"axG",@progbits,_ZN7rocprim17ROCPRIM_400000_NS6detail17trampoline_kernelINS0_14default_configENS1_38merge_sort_block_merge_config_selectorIxxEEZZNS1_27merge_sort_block_merge_implIS3_N6thrust23THRUST_200600_302600_NS6detail15normal_iteratorINS8_10device_ptrIxEEEESD_jNS1_19radix_merge_compareILb0ELb1ExNS0_19identity_decomposerEEEEE10hipError_tT0_T1_T2_jT3_P12ihipStream_tbPNSt15iterator_traitsISI_E10value_typeEPNSO_ISJ_E10value_typeEPSK_NS1_7vsmem_tEENKUlT_SI_SJ_SK_E_clISD_PxSD_S10_EESH_SX_SI_SJ_SK_EUlSX_E0_NS1_11comp_targetILNS1_3genE10ELNS1_11target_archE1201ELNS1_3gpuE5ELNS1_3repE0EEENS1_38merge_mergepath_config_static_selectorELNS0_4arch9wavefront6targetE1EEEvSJ_,comdat
.Lfunc_end1155:
	.size	_ZN7rocprim17ROCPRIM_400000_NS6detail17trampoline_kernelINS0_14default_configENS1_38merge_sort_block_merge_config_selectorIxxEEZZNS1_27merge_sort_block_merge_implIS3_N6thrust23THRUST_200600_302600_NS6detail15normal_iteratorINS8_10device_ptrIxEEEESD_jNS1_19radix_merge_compareILb0ELb1ExNS0_19identity_decomposerEEEEE10hipError_tT0_T1_T2_jT3_P12ihipStream_tbPNSt15iterator_traitsISI_E10value_typeEPNSO_ISJ_E10value_typeEPSK_NS1_7vsmem_tEENKUlT_SI_SJ_SK_E_clISD_PxSD_S10_EESH_SX_SI_SJ_SK_EUlSX_E0_NS1_11comp_targetILNS1_3genE10ELNS1_11target_archE1201ELNS1_3gpuE5ELNS1_3repE0EEENS1_38merge_mergepath_config_static_selectorELNS0_4arch9wavefront6targetE1EEEvSJ_, .Lfunc_end1155-_ZN7rocprim17ROCPRIM_400000_NS6detail17trampoline_kernelINS0_14default_configENS1_38merge_sort_block_merge_config_selectorIxxEEZZNS1_27merge_sort_block_merge_implIS3_N6thrust23THRUST_200600_302600_NS6detail15normal_iteratorINS8_10device_ptrIxEEEESD_jNS1_19radix_merge_compareILb0ELb1ExNS0_19identity_decomposerEEEEE10hipError_tT0_T1_T2_jT3_P12ihipStream_tbPNSt15iterator_traitsISI_E10value_typeEPNSO_ISJ_E10value_typeEPSK_NS1_7vsmem_tEENKUlT_SI_SJ_SK_E_clISD_PxSD_S10_EESH_SX_SI_SJ_SK_EUlSX_E0_NS1_11comp_targetILNS1_3genE10ELNS1_11target_archE1201ELNS1_3gpuE5ELNS1_3repE0EEENS1_38merge_mergepath_config_static_selectorELNS0_4arch9wavefront6targetE1EEEvSJ_
                                        ; -- End function
	.set _ZN7rocprim17ROCPRIM_400000_NS6detail17trampoline_kernelINS0_14default_configENS1_38merge_sort_block_merge_config_selectorIxxEEZZNS1_27merge_sort_block_merge_implIS3_N6thrust23THRUST_200600_302600_NS6detail15normal_iteratorINS8_10device_ptrIxEEEESD_jNS1_19radix_merge_compareILb0ELb1ExNS0_19identity_decomposerEEEEE10hipError_tT0_T1_T2_jT3_P12ihipStream_tbPNSt15iterator_traitsISI_E10value_typeEPNSO_ISJ_E10value_typeEPSK_NS1_7vsmem_tEENKUlT_SI_SJ_SK_E_clISD_PxSD_S10_EESH_SX_SI_SJ_SK_EUlSX_E0_NS1_11comp_targetILNS1_3genE10ELNS1_11target_archE1201ELNS1_3gpuE5ELNS1_3repE0EEENS1_38merge_mergepath_config_static_selectorELNS0_4arch9wavefront6targetE1EEEvSJ_.num_vgpr, 0
	.set _ZN7rocprim17ROCPRIM_400000_NS6detail17trampoline_kernelINS0_14default_configENS1_38merge_sort_block_merge_config_selectorIxxEEZZNS1_27merge_sort_block_merge_implIS3_N6thrust23THRUST_200600_302600_NS6detail15normal_iteratorINS8_10device_ptrIxEEEESD_jNS1_19radix_merge_compareILb0ELb1ExNS0_19identity_decomposerEEEEE10hipError_tT0_T1_T2_jT3_P12ihipStream_tbPNSt15iterator_traitsISI_E10value_typeEPNSO_ISJ_E10value_typeEPSK_NS1_7vsmem_tEENKUlT_SI_SJ_SK_E_clISD_PxSD_S10_EESH_SX_SI_SJ_SK_EUlSX_E0_NS1_11comp_targetILNS1_3genE10ELNS1_11target_archE1201ELNS1_3gpuE5ELNS1_3repE0EEENS1_38merge_mergepath_config_static_selectorELNS0_4arch9wavefront6targetE1EEEvSJ_.num_agpr, 0
	.set _ZN7rocprim17ROCPRIM_400000_NS6detail17trampoline_kernelINS0_14default_configENS1_38merge_sort_block_merge_config_selectorIxxEEZZNS1_27merge_sort_block_merge_implIS3_N6thrust23THRUST_200600_302600_NS6detail15normal_iteratorINS8_10device_ptrIxEEEESD_jNS1_19radix_merge_compareILb0ELb1ExNS0_19identity_decomposerEEEEE10hipError_tT0_T1_T2_jT3_P12ihipStream_tbPNSt15iterator_traitsISI_E10value_typeEPNSO_ISJ_E10value_typeEPSK_NS1_7vsmem_tEENKUlT_SI_SJ_SK_E_clISD_PxSD_S10_EESH_SX_SI_SJ_SK_EUlSX_E0_NS1_11comp_targetILNS1_3genE10ELNS1_11target_archE1201ELNS1_3gpuE5ELNS1_3repE0EEENS1_38merge_mergepath_config_static_selectorELNS0_4arch9wavefront6targetE1EEEvSJ_.numbered_sgpr, 0
	.set _ZN7rocprim17ROCPRIM_400000_NS6detail17trampoline_kernelINS0_14default_configENS1_38merge_sort_block_merge_config_selectorIxxEEZZNS1_27merge_sort_block_merge_implIS3_N6thrust23THRUST_200600_302600_NS6detail15normal_iteratorINS8_10device_ptrIxEEEESD_jNS1_19radix_merge_compareILb0ELb1ExNS0_19identity_decomposerEEEEE10hipError_tT0_T1_T2_jT3_P12ihipStream_tbPNSt15iterator_traitsISI_E10value_typeEPNSO_ISJ_E10value_typeEPSK_NS1_7vsmem_tEENKUlT_SI_SJ_SK_E_clISD_PxSD_S10_EESH_SX_SI_SJ_SK_EUlSX_E0_NS1_11comp_targetILNS1_3genE10ELNS1_11target_archE1201ELNS1_3gpuE5ELNS1_3repE0EEENS1_38merge_mergepath_config_static_selectorELNS0_4arch9wavefront6targetE1EEEvSJ_.num_named_barrier, 0
	.set _ZN7rocprim17ROCPRIM_400000_NS6detail17trampoline_kernelINS0_14default_configENS1_38merge_sort_block_merge_config_selectorIxxEEZZNS1_27merge_sort_block_merge_implIS3_N6thrust23THRUST_200600_302600_NS6detail15normal_iteratorINS8_10device_ptrIxEEEESD_jNS1_19radix_merge_compareILb0ELb1ExNS0_19identity_decomposerEEEEE10hipError_tT0_T1_T2_jT3_P12ihipStream_tbPNSt15iterator_traitsISI_E10value_typeEPNSO_ISJ_E10value_typeEPSK_NS1_7vsmem_tEENKUlT_SI_SJ_SK_E_clISD_PxSD_S10_EESH_SX_SI_SJ_SK_EUlSX_E0_NS1_11comp_targetILNS1_3genE10ELNS1_11target_archE1201ELNS1_3gpuE5ELNS1_3repE0EEENS1_38merge_mergepath_config_static_selectorELNS0_4arch9wavefront6targetE1EEEvSJ_.private_seg_size, 0
	.set _ZN7rocprim17ROCPRIM_400000_NS6detail17trampoline_kernelINS0_14default_configENS1_38merge_sort_block_merge_config_selectorIxxEEZZNS1_27merge_sort_block_merge_implIS3_N6thrust23THRUST_200600_302600_NS6detail15normal_iteratorINS8_10device_ptrIxEEEESD_jNS1_19radix_merge_compareILb0ELb1ExNS0_19identity_decomposerEEEEE10hipError_tT0_T1_T2_jT3_P12ihipStream_tbPNSt15iterator_traitsISI_E10value_typeEPNSO_ISJ_E10value_typeEPSK_NS1_7vsmem_tEENKUlT_SI_SJ_SK_E_clISD_PxSD_S10_EESH_SX_SI_SJ_SK_EUlSX_E0_NS1_11comp_targetILNS1_3genE10ELNS1_11target_archE1201ELNS1_3gpuE5ELNS1_3repE0EEENS1_38merge_mergepath_config_static_selectorELNS0_4arch9wavefront6targetE1EEEvSJ_.uses_vcc, 0
	.set _ZN7rocprim17ROCPRIM_400000_NS6detail17trampoline_kernelINS0_14default_configENS1_38merge_sort_block_merge_config_selectorIxxEEZZNS1_27merge_sort_block_merge_implIS3_N6thrust23THRUST_200600_302600_NS6detail15normal_iteratorINS8_10device_ptrIxEEEESD_jNS1_19radix_merge_compareILb0ELb1ExNS0_19identity_decomposerEEEEE10hipError_tT0_T1_T2_jT3_P12ihipStream_tbPNSt15iterator_traitsISI_E10value_typeEPNSO_ISJ_E10value_typeEPSK_NS1_7vsmem_tEENKUlT_SI_SJ_SK_E_clISD_PxSD_S10_EESH_SX_SI_SJ_SK_EUlSX_E0_NS1_11comp_targetILNS1_3genE10ELNS1_11target_archE1201ELNS1_3gpuE5ELNS1_3repE0EEENS1_38merge_mergepath_config_static_selectorELNS0_4arch9wavefront6targetE1EEEvSJ_.uses_flat_scratch, 0
	.set _ZN7rocprim17ROCPRIM_400000_NS6detail17trampoline_kernelINS0_14default_configENS1_38merge_sort_block_merge_config_selectorIxxEEZZNS1_27merge_sort_block_merge_implIS3_N6thrust23THRUST_200600_302600_NS6detail15normal_iteratorINS8_10device_ptrIxEEEESD_jNS1_19radix_merge_compareILb0ELb1ExNS0_19identity_decomposerEEEEE10hipError_tT0_T1_T2_jT3_P12ihipStream_tbPNSt15iterator_traitsISI_E10value_typeEPNSO_ISJ_E10value_typeEPSK_NS1_7vsmem_tEENKUlT_SI_SJ_SK_E_clISD_PxSD_S10_EESH_SX_SI_SJ_SK_EUlSX_E0_NS1_11comp_targetILNS1_3genE10ELNS1_11target_archE1201ELNS1_3gpuE5ELNS1_3repE0EEENS1_38merge_mergepath_config_static_selectorELNS0_4arch9wavefront6targetE1EEEvSJ_.has_dyn_sized_stack, 0
	.set _ZN7rocprim17ROCPRIM_400000_NS6detail17trampoline_kernelINS0_14default_configENS1_38merge_sort_block_merge_config_selectorIxxEEZZNS1_27merge_sort_block_merge_implIS3_N6thrust23THRUST_200600_302600_NS6detail15normal_iteratorINS8_10device_ptrIxEEEESD_jNS1_19radix_merge_compareILb0ELb1ExNS0_19identity_decomposerEEEEE10hipError_tT0_T1_T2_jT3_P12ihipStream_tbPNSt15iterator_traitsISI_E10value_typeEPNSO_ISJ_E10value_typeEPSK_NS1_7vsmem_tEENKUlT_SI_SJ_SK_E_clISD_PxSD_S10_EESH_SX_SI_SJ_SK_EUlSX_E0_NS1_11comp_targetILNS1_3genE10ELNS1_11target_archE1201ELNS1_3gpuE5ELNS1_3repE0EEENS1_38merge_mergepath_config_static_selectorELNS0_4arch9wavefront6targetE1EEEvSJ_.has_recursion, 0
	.set _ZN7rocprim17ROCPRIM_400000_NS6detail17trampoline_kernelINS0_14default_configENS1_38merge_sort_block_merge_config_selectorIxxEEZZNS1_27merge_sort_block_merge_implIS3_N6thrust23THRUST_200600_302600_NS6detail15normal_iteratorINS8_10device_ptrIxEEEESD_jNS1_19radix_merge_compareILb0ELb1ExNS0_19identity_decomposerEEEEE10hipError_tT0_T1_T2_jT3_P12ihipStream_tbPNSt15iterator_traitsISI_E10value_typeEPNSO_ISJ_E10value_typeEPSK_NS1_7vsmem_tEENKUlT_SI_SJ_SK_E_clISD_PxSD_S10_EESH_SX_SI_SJ_SK_EUlSX_E0_NS1_11comp_targetILNS1_3genE10ELNS1_11target_archE1201ELNS1_3gpuE5ELNS1_3repE0EEENS1_38merge_mergepath_config_static_selectorELNS0_4arch9wavefront6targetE1EEEvSJ_.has_indirect_call, 0
	.section	.AMDGPU.csdata,"",@progbits
; Kernel info:
; codeLenInByte = 0
; TotalNumSgprs: 6
; NumVgprs: 0
; NumAgprs: 0
; TotalNumVgprs: 0
; ScratchSize: 0
; MemoryBound: 0
; FloatMode: 240
; IeeeMode: 1
; LDSByteSize: 0 bytes/workgroup (compile time only)
; SGPRBlocks: 0
; VGPRBlocks: 0
; NumSGPRsForWavesPerEU: 6
; NumVGPRsForWavesPerEU: 1
; AccumOffset: 4
; Occupancy: 8
; WaveLimiterHint : 0
; COMPUTE_PGM_RSRC2:SCRATCH_EN: 0
; COMPUTE_PGM_RSRC2:USER_SGPR: 2
; COMPUTE_PGM_RSRC2:TRAP_HANDLER: 0
; COMPUTE_PGM_RSRC2:TGID_X_EN: 1
; COMPUTE_PGM_RSRC2:TGID_Y_EN: 0
; COMPUTE_PGM_RSRC2:TGID_Z_EN: 0
; COMPUTE_PGM_RSRC2:TIDIG_COMP_CNT: 0
; COMPUTE_PGM_RSRC3_GFX90A:ACCUM_OFFSET: 0
; COMPUTE_PGM_RSRC3_GFX90A:TG_SPLIT: 0
	.section	.text._ZN7rocprim17ROCPRIM_400000_NS6detail17trampoline_kernelINS0_14default_configENS1_38merge_sort_block_merge_config_selectorIxxEEZZNS1_27merge_sort_block_merge_implIS3_N6thrust23THRUST_200600_302600_NS6detail15normal_iteratorINS8_10device_ptrIxEEEESD_jNS1_19radix_merge_compareILb0ELb1ExNS0_19identity_decomposerEEEEE10hipError_tT0_T1_T2_jT3_P12ihipStream_tbPNSt15iterator_traitsISI_E10value_typeEPNSO_ISJ_E10value_typeEPSK_NS1_7vsmem_tEENKUlT_SI_SJ_SK_E_clISD_PxSD_S10_EESH_SX_SI_SJ_SK_EUlSX_E0_NS1_11comp_targetILNS1_3genE5ELNS1_11target_archE942ELNS1_3gpuE9ELNS1_3repE0EEENS1_38merge_mergepath_config_static_selectorELNS0_4arch9wavefront6targetE1EEEvSJ_,"axG",@progbits,_ZN7rocprim17ROCPRIM_400000_NS6detail17trampoline_kernelINS0_14default_configENS1_38merge_sort_block_merge_config_selectorIxxEEZZNS1_27merge_sort_block_merge_implIS3_N6thrust23THRUST_200600_302600_NS6detail15normal_iteratorINS8_10device_ptrIxEEEESD_jNS1_19radix_merge_compareILb0ELb1ExNS0_19identity_decomposerEEEEE10hipError_tT0_T1_T2_jT3_P12ihipStream_tbPNSt15iterator_traitsISI_E10value_typeEPNSO_ISJ_E10value_typeEPSK_NS1_7vsmem_tEENKUlT_SI_SJ_SK_E_clISD_PxSD_S10_EESH_SX_SI_SJ_SK_EUlSX_E0_NS1_11comp_targetILNS1_3genE5ELNS1_11target_archE942ELNS1_3gpuE9ELNS1_3repE0EEENS1_38merge_mergepath_config_static_selectorELNS0_4arch9wavefront6targetE1EEEvSJ_,comdat
	.protected	_ZN7rocprim17ROCPRIM_400000_NS6detail17trampoline_kernelINS0_14default_configENS1_38merge_sort_block_merge_config_selectorIxxEEZZNS1_27merge_sort_block_merge_implIS3_N6thrust23THRUST_200600_302600_NS6detail15normal_iteratorINS8_10device_ptrIxEEEESD_jNS1_19radix_merge_compareILb0ELb1ExNS0_19identity_decomposerEEEEE10hipError_tT0_T1_T2_jT3_P12ihipStream_tbPNSt15iterator_traitsISI_E10value_typeEPNSO_ISJ_E10value_typeEPSK_NS1_7vsmem_tEENKUlT_SI_SJ_SK_E_clISD_PxSD_S10_EESH_SX_SI_SJ_SK_EUlSX_E0_NS1_11comp_targetILNS1_3genE5ELNS1_11target_archE942ELNS1_3gpuE9ELNS1_3repE0EEENS1_38merge_mergepath_config_static_selectorELNS0_4arch9wavefront6targetE1EEEvSJ_ ; -- Begin function _ZN7rocprim17ROCPRIM_400000_NS6detail17trampoline_kernelINS0_14default_configENS1_38merge_sort_block_merge_config_selectorIxxEEZZNS1_27merge_sort_block_merge_implIS3_N6thrust23THRUST_200600_302600_NS6detail15normal_iteratorINS8_10device_ptrIxEEEESD_jNS1_19radix_merge_compareILb0ELb1ExNS0_19identity_decomposerEEEEE10hipError_tT0_T1_T2_jT3_P12ihipStream_tbPNSt15iterator_traitsISI_E10value_typeEPNSO_ISJ_E10value_typeEPSK_NS1_7vsmem_tEENKUlT_SI_SJ_SK_E_clISD_PxSD_S10_EESH_SX_SI_SJ_SK_EUlSX_E0_NS1_11comp_targetILNS1_3genE5ELNS1_11target_archE942ELNS1_3gpuE9ELNS1_3repE0EEENS1_38merge_mergepath_config_static_selectorELNS0_4arch9wavefront6targetE1EEEvSJ_
	.globl	_ZN7rocprim17ROCPRIM_400000_NS6detail17trampoline_kernelINS0_14default_configENS1_38merge_sort_block_merge_config_selectorIxxEEZZNS1_27merge_sort_block_merge_implIS3_N6thrust23THRUST_200600_302600_NS6detail15normal_iteratorINS8_10device_ptrIxEEEESD_jNS1_19radix_merge_compareILb0ELb1ExNS0_19identity_decomposerEEEEE10hipError_tT0_T1_T2_jT3_P12ihipStream_tbPNSt15iterator_traitsISI_E10value_typeEPNSO_ISJ_E10value_typeEPSK_NS1_7vsmem_tEENKUlT_SI_SJ_SK_E_clISD_PxSD_S10_EESH_SX_SI_SJ_SK_EUlSX_E0_NS1_11comp_targetILNS1_3genE5ELNS1_11target_archE942ELNS1_3gpuE9ELNS1_3repE0EEENS1_38merge_mergepath_config_static_selectorELNS0_4arch9wavefront6targetE1EEEvSJ_
	.p2align	8
	.type	_ZN7rocprim17ROCPRIM_400000_NS6detail17trampoline_kernelINS0_14default_configENS1_38merge_sort_block_merge_config_selectorIxxEEZZNS1_27merge_sort_block_merge_implIS3_N6thrust23THRUST_200600_302600_NS6detail15normal_iteratorINS8_10device_ptrIxEEEESD_jNS1_19radix_merge_compareILb0ELb1ExNS0_19identity_decomposerEEEEE10hipError_tT0_T1_T2_jT3_P12ihipStream_tbPNSt15iterator_traitsISI_E10value_typeEPNSO_ISJ_E10value_typeEPSK_NS1_7vsmem_tEENKUlT_SI_SJ_SK_E_clISD_PxSD_S10_EESH_SX_SI_SJ_SK_EUlSX_E0_NS1_11comp_targetILNS1_3genE5ELNS1_11target_archE942ELNS1_3gpuE9ELNS1_3repE0EEENS1_38merge_mergepath_config_static_selectorELNS0_4arch9wavefront6targetE1EEEvSJ_,@function
_ZN7rocprim17ROCPRIM_400000_NS6detail17trampoline_kernelINS0_14default_configENS1_38merge_sort_block_merge_config_selectorIxxEEZZNS1_27merge_sort_block_merge_implIS3_N6thrust23THRUST_200600_302600_NS6detail15normal_iteratorINS8_10device_ptrIxEEEESD_jNS1_19radix_merge_compareILb0ELb1ExNS0_19identity_decomposerEEEEE10hipError_tT0_T1_T2_jT3_P12ihipStream_tbPNSt15iterator_traitsISI_E10value_typeEPNSO_ISJ_E10value_typeEPSK_NS1_7vsmem_tEENKUlT_SI_SJ_SK_E_clISD_PxSD_S10_EESH_SX_SI_SJ_SK_EUlSX_E0_NS1_11comp_targetILNS1_3genE5ELNS1_11target_archE942ELNS1_3gpuE9ELNS1_3repE0EEENS1_38merge_mergepath_config_static_selectorELNS0_4arch9wavefront6targetE1EEEvSJ_: ; @_ZN7rocprim17ROCPRIM_400000_NS6detail17trampoline_kernelINS0_14default_configENS1_38merge_sort_block_merge_config_selectorIxxEEZZNS1_27merge_sort_block_merge_implIS3_N6thrust23THRUST_200600_302600_NS6detail15normal_iteratorINS8_10device_ptrIxEEEESD_jNS1_19radix_merge_compareILb0ELb1ExNS0_19identity_decomposerEEEEE10hipError_tT0_T1_T2_jT3_P12ihipStream_tbPNSt15iterator_traitsISI_E10value_typeEPNSO_ISJ_E10value_typeEPSK_NS1_7vsmem_tEENKUlT_SI_SJ_SK_E_clISD_PxSD_S10_EESH_SX_SI_SJ_SK_EUlSX_E0_NS1_11comp_targetILNS1_3genE5ELNS1_11target_archE942ELNS1_3gpuE9ELNS1_3repE0EEENS1_38merge_mergepath_config_static_selectorELNS0_4arch9wavefront6targetE1EEEvSJ_
; %bb.0:
	.section	.rodata,"a",@progbits
	.p2align	6, 0x0
	.amdhsa_kernel _ZN7rocprim17ROCPRIM_400000_NS6detail17trampoline_kernelINS0_14default_configENS1_38merge_sort_block_merge_config_selectorIxxEEZZNS1_27merge_sort_block_merge_implIS3_N6thrust23THRUST_200600_302600_NS6detail15normal_iteratorINS8_10device_ptrIxEEEESD_jNS1_19radix_merge_compareILb0ELb1ExNS0_19identity_decomposerEEEEE10hipError_tT0_T1_T2_jT3_P12ihipStream_tbPNSt15iterator_traitsISI_E10value_typeEPNSO_ISJ_E10value_typeEPSK_NS1_7vsmem_tEENKUlT_SI_SJ_SK_E_clISD_PxSD_S10_EESH_SX_SI_SJ_SK_EUlSX_E0_NS1_11comp_targetILNS1_3genE5ELNS1_11target_archE942ELNS1_3gpuE9ELNS1_3repE0EEENS1_38merge_mergepath_config_static_selectorELNS0_4arch9wavefront6targetE1EEEvSJ_
		.amdhsa_group_segment_fixed_size 0
		.amdhsa_private_segment_fixed_size 0
		.amdhsa_kernarg_size 72
		.amdhsa_user_sgpr_count 2
		.amdhsa_user_sgpr_dispatch_ptr 0
		.amdhsa_user_sgpr_queue_ptr 0
		.amdhsa_user_sgpr_kernarg_segment_ptr 1
		.amdhsa_user_sgpr_dispatch_id 0
		.amdhsa_user_sgpr_kernarg_preload_length 0
		.amdhsa_user_sgpr_kernarg_preload_offset 0
		.amdhsa_user_sgpr_private_segment_size 0
		.amdhsa_uses_dynamic_stack 0
		.amdhsa_enable_private_segment 0
		.amdhsa_system_sgpr_workgroup_id_x 1
		.amdhsa_system_sgpr_workgroup_id_y 0
		.amdhsa_system_sgpr_workgroup_id_z 0
		.amdhsa_system_sgpr_workgroup_info 0
		.amdhsa_system_vgpr_workitem_id 0
		.amdhsa_next_free_vgpr 1
		.amdhsa_next_free_sgpr 0
		.amdhsa_accum_offset 4
		.amdhsa_reserve_vcc 0
		.amdhsa_float_round_mode_32 0
		.amdhsa_float_round_mode_16_64 0
		.amdhsa_float_denorm_mode_32 3
		.amdhsa_float_denorm_mode_16_64 3
		.amdhsa_dx10_clamp 1
		.amdhsa_ieee_mode 1
		.amdhsa_fp16_overflow 0
		.amdhsa_tg_split 0
		.amdhsa_exception_fp_ieee_invalid_op 0
		.amdhsa_exception_fp_denorm_src 0
		.amdhsa_exception_fp_ieee_div_zero 0
		.amdhsa_exception_fp_ieee_overflow 0
		.amdhsa_exception_fp_ieee_underflow 0
		.amdhsa_exception_fp_ieee_inexact 0
		.amdhsa_exception_int_div_zero 0
	.end_amdhsa_kernel
	.section	.text._ZN7rocprim17ROCPRIM_400000_NS6detail17trampoline_kernelINS0_14default_configENS1_38merge_sort_block_merge_config_selectorIxxEEZZNS1_27merge_sort_block_merge_implIS3_N6thrust23THRUST_200600_302600_NS6detail15normal_iteratorINS8_10device_ptrIxEEEESD_jNS1_19radix_merge_compareILb0ELb1ExNS0_19identity_decomposerEEEEE10hipError_tT0_T1_T2_jT3_P12ihipStream_tbPNSt15iterator_traitsISI_E10value_typeEPNSO_ISJ_E10value_typeEPSK_NS1_7vsmem_tEENKUlT_SI_SJ_SK_E_clISD_PxSD_S10_EESH_SX_SI_SJ_SK_EUlSX_E0_NS1_11comp_targetILNS1_3genE5ELNS1_11target_archE942ELNS1_3gpuE9ELNS1_3repE0EEENS1_38merge_mergepath_config_static_selectorELNS0_4arch9wavefront6targetE1EEEvSJ_,"axG",@progbits,_ZN7rocprim17ROCPRIM_400000_NS6detail17trampoline_kernelINS0_14default_configENS1_38merge_sort_block_merge_config_selectorIxxEEZZNS1_27merge_sort_block_merge_implIS3_N6thrust23THRUST_200600_302600_NS6detail15normal_iteratorINS8_10device_ptrIxEEEESD_jNS1_19radix_merge_compareILb0ELb1ExNS0_19identity_decomposerEEEEE10hipError_tT0_T1_T2_jT3_P12ihipStream_tbPNSt15iterator_traitsISI_E10value_typeEPNSO_ISJ_E10value_typeEPSK_NS1_7vsmem_tEENKUlT_SI_SJ_SK_E_clISD_PxSD_S10_EESH_SX_SI_SJ_SK_EUlSX_E0_NS1_11comp_targetILNS1_3genE5ELNS1_11target_archE942ELNS1_3gpuE9ELNS1_3repE0EEENS1_38merge_mergepath_config_static_selectorELNS0_4arch9wavefront6targetE1EEEvSJ_,comdat
.Lfunc_end1156:
	.size	_ZN7rocprim17ROCPRIM_400000_NS6detail17trampoline_kernelINS0_14default_configENS1_38merge_sort_block_merge_config_selectorIxxEEZZNS1_27merge_sort_block_merge_implIS3_N6thrust23THRUST_200600_302600_NS6detail15normal_iteratorINS8_10device_ptrIxEEEESD_jNS1_19radix_merge_compareILb0ELb1ExNS0_19identity_decomposerEEEEE10hipError_tT0_T1_T2_jT3_P12ihipStream_tbPNSt15iterator_traitsISI_E10value_typeEPNSO_ISJ_E10value_typeEPSK_NS1_7vsmem_tEENKUlT_SI_SJ_SK_E_clISD_PxSD_S10_EESH_SX_SI_SJ_SK_EUlSX_E0_NS1_11comp_targetILNS1_3genE5ELNS1_11target_archE942ELNS1_3gpuE9ELNS1_3repE0EEENS1_38merge_mergepath_config_static_selectorELNS0_4arch9wavefront6targetE1EEEvSJ_, .Lfunc_end1156-_ZN7rocprim17ROCPRIM_400000_NS6detail17trampoline_kernelINS0_14default_configENS1_38merge_sort_block_merge_config_selectorIxxEEZZNS1_27merge_sort_block_merge_implIS3_N6thrust23THRUST_200600_302600_NS6detail15normal_iteratorINS8_10device_ptrIxEEEESD_jNS1_19radix_merge_compareILb0ELb1ExNS0_19identity_decomposerEEEEE10hipError_tT0_T1_T2_jT3_P12ihipStream_tbPNSt15iterator_traitsISI_E10value_typeEPNSO_ISJ_E10value_typeEPSK_NS1_7vsmem_tEENKUlT_SI_SJ_SK_E_clISD_PxSD_S10_EESH_SX_SI_SJ_SK_EUlSX_E0_NS1_11comp_targetILNS1_3genE5ELNS1_11target_archE942ELNS1_3gpuE9ELNS1_3repE0EEENS1_38merge_mergepath_config_static_selectorELNS0_4arch9wavefront6targetE1EEEvSJ_
                                        ; -- End function
	.set _ZN7rocprim17ROCPRIM_400000_NS6detail17trampoline_kernelINS0_14default_configENS1_38merge_sort_block_merge_config_selectorIxxEEZZNS1_27merge_sort_block_merge_implIS3_N6thrust23THRUST_200600_302600_NS6detail15normal_iteratorINS8_10device_ptrIxEEEESD_jNS1_19radix_merge_compareILb0ELb1ExNS0_19identity_decomposerEEEEE10hipError_tT0_T1_T2_jT3_P12ihipStream_tbPNSt15iterator_traitsISI_E10value_typeEPNSO_ISJ_E10value_typeEPSK_NS1_7vsmem_tEENKUlT_SI_SJ_SK_E_clISD_PxSD_S10_EESH_SX_SI_SJ_SK_EUlSX_E0_NS1_11comp_targetILNS1_3genE5ELNS1_11target_archE942ELNS1_3gpuE9ELNS1_3repE0EEENS1_38merge_mergepath_config_static_selectorELNS0_4arch9wavefront6targetE1EEEvSJ_.num_vgpr, 0
	.set _ZN7rocprim17ROCPRIM_400000_NS6detail17trampoline_kernelINS0_14default_configENS1_38merge_sort_block_merge_config_selectorIxxEEZZNS1_27merge_sort_block_merge_implIS3_N6thrust23THRUST_200600_302600_NS6detail15normal_iteratorINS8_10device_ptrIxEEEESD_jNS1_19radix_merge_compareILb0ELb1ExNS0_19identity_decomposerEEEEE10hipError_tT0_T1_T2_jT3_P12ihipStream_tbPNSt15iterator_traitsISI_E10value_typeEPNSO_ISJ_E10value_typeEPSK_NS1_7vsmem_tEENKUlT_SI_SJ_SK_E_clISD_PxSD_S10_EESH_SX_SI_SJ_SK_EUlSX_E0_NS1_11comp_targetILNS1_3genE5ELNS1_11target_archE942ELNS1_3gpuE9ELNS1_3repE0EEENS1_38merge_mergepath_config_static_selectorELNS0_4arch9wavefront6targetE1EEEvSJ_.num_agpr, 0
	.set _ZN7rocprim17ROCPRIM_400000_NS6detail17trampoline_kernelINS0_14default_configENS1_38merge_sort_block_merge_config_selectorIxxEEZZNS1_27merge_sort_block_merge_implIS3_N6thrust23THRUST_200600_302600_NS6detail15normal_iteratorINS8_10device_ptrIxEEEESD_jNS1_19radix_merge_compareILb0ELb1ExNS0_19identity_decomposerEEEEE10hipError_tT0_T1_T2_jT3_P12ihipStream_tbPNSt15iterator_traitsISI_E10value_typeEPNSO_ISJ_E10value_typeEPSK_NS1_7vsmem_tEENKUlT_SI_SJ_SK_E_clISD_PxSD_S10_EESH_SX_SI_SJ_SK_EUlSX_E0_NS1_11comp_targetILNS1_3genE5ELNS1_11target_archE942ELNS1_3gpuE9ELNS1_3repE0EEENS1_38merge_mergepath_config_static_selectorELNS0_4arch9wavefront6targetE1EEEvSJ_.numbered_sgpr, 0
	.set _ZN7rocprim17ROCPRIM_400000_NS6detail17trampoline_kernelINS0_14default_configENS1_38merge_sort_block_merge_config_selectorIxxEEZZNS1_27merge_sort_block_merge_implIS3_N6thrust23THRUST_200600_302600_NS6detail15normal_iteratorINS8_10device_ptrIxEEEESD_jNS1_19radix_merge_compareILb0ELb1ExNS0_19identity_decomposerEEEEE10hipError_tT0_T1_T2_jT3_P12ihipStream_tbPNSt15iterator_traitsISI_E10value_typeEPNSO_ISJ_E10value_typeEPSK_NS1_7vsmem_tEENKUlT_SI_SJ_SK_E_clISD_PxSD_S10_EESH_SX_SI_SJ_SK_EUlSX_E0_NS1_11comp_targetILNS1_3genE5ELNS1_11target_archE942ELNS1_3gpuE9ELNS1_3repE0EEENS1_38merge_mergepath_config_static_selectorELNS0_4arch9wavefront6targetE1EEEvSJ_.num_named_barrier, 0
	.set _ZN7rocprim17ROCPRIM_400000_NS6detail17trampoline_kernelINS0_14default_configENS1_38merge_sort_block_merge_config_selectorIxxEEZZNS1_27merge_sort_block_merge_implIS3_N6thrust23THRUST_200600_302600_NS6detail15normal_iteratorINS8_10device_ptrIxEEEESD_jNS1_19radix_merge_compareILb0ELb1ExNS0_19identity_decomposerEEEEE10hipError_tT0_T1_T2_jT3_P12ihipStream_tbPNSt15iterator_traitsISI_E10value_typeEPNSO_ISJ_E10value_typeEPSK_NS1_7vsmem_tEENKUlT_SI_SJ_SK_E_clISD_PxSD_S10_EESH_SX_SI_SJ_SK_EUlSX_E0_NS1_11comp_targetILNS1_3genE5ELNS1_11target_archE942ELNS1_3gpuE9ELNS1_3repE0EEENS1_38merge_mergepath_config_static_selectorELNS0_4arch9wavefront6targetE1EEEvSJ_.private_seg_size, 0
	.set _ZN7rocprim17ROCPRIM_400000_NS6detail17trampoline_kernelINS0_14default_configENS1_38merge_sort_block_merge_config_selectorIxxEEZZNS1_27merge_sort_block_merge_implIS3_N6thrust23THRUST_200600_302600_NS6detail15normal_iteratorINS8_10device_ptrIxEEEESD_jNS1_19radix_merge_compareILb0ELb1ExNS0_19identity_decomposerEEEEE10hipError_tT0_T1_T2_jT3_P12ihipStream_tbPNSt15iterator_traitsISI_E10value_typeEPNSO_ISJ_E10value_typeEPSK_NS1_7vsmem_tEENKUlT_SI_SJ_SK_E_clISD_PxSD_S10_EESH_SX_SI_SJ_SK_EUlSX_E0_NS1_11comp_targetILNS1_3genE5ELNS1_11target_archE942ELNS1_3gpuE9ELNS1_3repE0EEENS1_38merge_mergepath_config_static_selectorELNS0_4arch9wavefront6targetE1EEEvSJ_.uses_vcc, 0
	.set _ZN7rocprim17ROCPRIM_400000_NS6detail17trampoline_kernelINS0_14default_configENS1_38merge_sort_block_merge_config_selectorIxxEEZZNS1_27merge_sort_block_merge_implIS3_N6thrust23THRUST_200600_302600_NS6detail15normal_iteratorINS8_10device_ptrIxEEEESD_jNS1_19radix_merge_compareILb0ELb1ExNS0_19identity_decomposerEEEEE10hipError_tT0_T1_T2_jT3_P12ihipStream_tbPNSt15iterator_traitsISI_E10value_typeEPNSO_ISJ_E10value_typeEPSK_NS1_7vsmem_tEENKUlT_SI_SJ_SK_E_clISD_PxSD_S10_EESH_SX_SI_SJ_SK_EUlSX_E0_NS1_11comp_targetILNS1_3genE5ELNS1_11target_archE942ELNS1_3gpuE9ELNS1_3repE0EEENS1_38merge_mergepath_config_static_selectorELNS0_4arch9wavefront6targetE1EEEvSJ_.uses_flat_scratch, 0
	.set _ZN7rocprim17ROCPRIM_400000_NS6detail17trampoline_kernelINS0_14default_configENS1_38merge_sort_block_merge_config_selectorIxxEEZZNS1_27merge_sort_block_merge_implIS3_N6thrust23THRUST_200600_302600_NS6detail15normal_iteratorINS8_10device_ptrIxEEEESD_jNS1_19radix_merge_compareILb0ELb1ExNS0_19identity_decomposerEEEEE10hipError_tT0_T1_T2_jT3_P12ihipStream_tbPNSt15iterator_traitsISI_E10value_typeEPNSO_ISJ_E10value_typeEPSK_NS1_7vsmem_tEENKUlT_SI_SJ_SK_E_clISD_PxSD_S10_EESH_SX_SI_SJ_SK_EUlSX_E0_NS1_11comp_targetILNS1_3genE5ELNS1_11target_archE942ELNS1_3gpuE9ELNS1_3repE0EEENS1_38merge_mergepath_config_static_selectorELNS0_4arch9wavefront6targetE1EEEvSJ_.has_dyn_sized_stack, 0
	.set _ZN7rocprim17ROCPRIM_400000_NS6detail17trampoline_kernelINS0_14default_configENS1_38merge_sort_block_merge_config_selectorIxxEEZZNS1_27merge_sort_block_merge_implIS3_N6thrust23THRUST_200600_302600_NS6detail15normal_iteratorINS8_10device_ptrIxEEEESD_jNS1_19radix_merge_compareILb0ELb1ExNS0_19identity_decomposerEEEEE10hipError_tT0_T1_T2_jT3_P12ihipStream_tbPNSt15iterator_traitsISI_E10value_typeEPNSO_ISJ_E10value_typeEPSK_NS1_7vsmem_tEENKUlT_SI_SJ_SK_E_clISD_PxSD_S10_EESH_SX_SI_SJ_SK_EUlSX_E0_NS1_11comp_targetILNS1_3genE5ELNS1_11target_archE942ELNS1_3gpuE9ELNS1_3repE0EEENS1_38merge_mergepath_config_static_selectorELNS0_4arch9wavefront6targetE1EEEvSJ_.has_recursion, 0
	.set _ZN7rocprim17ROCPRIM_400000_NS6detail17trampoline_kernelINS0_14default_configENS1_38merge_sort_block_merge_config_selectorIxxEEZZNS1_27merge_sort_block_merge_implIS3_N6thrust23THRUST_200600_302600_NS6detail15normal_iteratorINS8_10device_ptrIxEEEESD_jNS1_19radix_merge_compareILb0ELb1ExNS0_19identity_decomposerEEEEE10hipError_tT0_T1_T2_jT3_P12ihipStream_tbPNSt15iterator_traitsISI_E10value_typeEPNSO_ISJ_E10value_typeEPSK_NS1_7vsmem_tEENKUlT_SI_SJ_SK_E_clISD_PxSD_S10_EESH_SX_SI_SJ_SK_EUlSX_E0_NS1_11comp_targetILNS1_3genE5ELNS1_11target_archE942ELNS1_3gpuE9ELNS1_3repE0EEENS1_38merge_mergepath_config_static_selectorELNS0_4arch9wavefront6targetE1EEEvSJ_.has_indirect_call, 0
	.section	.AMDGPU.csdata,"",@progbits
; Kernel info:
; codeLenInByte = 0
; TotalNumSgprs: 6
; NumVgprs: 0
; NumAgprs: 0
; TotalNumVgprs: 0
; ScratchSize: 0
; MemoryBound: 0
; FloatMode: 240
; IeeeMode: 1
; LDSByteSize: 0 bytes/workgroup (compile time only)
; SGPRBlocks: 0
; VGPRBlocks: 0
; NumSGPRsForWavesPerEU: 6
; NumVGPRsForWavesPerEU: 1
; AccumOffset: 4
; Occupancy: 8
; WaveLimiterHint : 0
; COMPUTE_PGM_RSRC2:SCRATCH_EN: 0
; COMPUTE_PGM_RSRC2:USER_SGPR: 2
; COMPUTE_PGM_RSRC2:TRAP_HANDLER: 0
; COMPUTE_PGM_RSRC2:TGID_X_EN: 1
; COMPUTE_PGM_RSRC2:TGID_Y_EN: 0
; COMPUTE_PGM_RSRC2:TGID_Z_EN: 0
; COMPUTE_PGM_RSRC2:TIDIG_COMP_CNT: 0
; COMPUTE_PGM_RSRC3_GFX90A:ACCUM_OFFSET: 0
; COMPUTE_PGM_RSRC3_GFX90A:TG_SPLIT: 0
	.section	.text._ZN7rocprim17ROCPRIM_400000_NS6detail17trampoline_kernelINS0_14default_configENS1_38merge_sort_block_merge_config_selectorIxxEEZZNS1_27merge_sort_block_merge_implIS3_N6thrust23THRUST_200600_302600_NS6detail15normal_iteratorINS8_10device_ptrIxEEEESD_jNS1_19radix_merge_compareILb0ELb1ExNS0_19identity_decomposerEEEEE10hipError_tT0_T1_T2_jT3_P12ihipStream_tbPNSt15iterator_traitsISI_E10value_typeEPNSO_ISJ_E10value_typeEPSK_NS1_7vsmem_tEENKUlT_SI_SJ_SK_E_clISD_PxSD_S10_EESH_SX_SI_SJ_SK_EUlSX_E0_NS1_11comp_targetILNS1_3genE4ELNS1_11target_archE910ELNS1_3gpuE8ELNS1_3repE0EEENS1_38merge_mergepath_config_static_selectorELNS0_4arch9wavefront6targetE1EEEvSJ_,"axG",@progbits,_ZN7rocprim17ROCPRIM_400000_NS6detail17trampoline_kernelINS0_14default_configENS1_38merge_sort_block_merge_config_selectorIxxEEZZNS1_27merge_sort_block_merge_implIS3_N6thrust23THRUST_200600_302600_NS6detail15normal_iteratorINS8_10device_ptrIxEEEESD_jNS1_19radix_merge_compareILb0ELb1ExNS0_19identity_decomposerEEEEE10hipError_tT0_T1_T2_jT3_P12ihipStream_tbPNSt15iterator_traitsISI_E10value_typeEPNSO_ISJ_E10value_typeEPSK_NS1_7vsmem_tEENKUlT_SI_SJ_SK_E_clISD_PxSD_S10_EESH_SX_SI_SJ_SK_EUlSX_E0_NS1_11comp_targetILNS1_3genE4ELNS1_11target_archE910ELNS1_3gpuE8ELNS1_3repE0EEENS1_38merge_mergepath_config_static_selectorELNS0_4arch9wavefront6targetE1EEEvSJ_,comdat
	.protected	_ZN7rocprim17ROCPRIM_400000_NS6detail17trampoline_kernelINS0_14default_configENS1_38merge_sort_block_merge_config_selectorIxxEEZZNS1_27merge_sort_block_merge_implIS3_N6thrust23THRUST_200600_302600_NS6detail15normal_iteratorINS8_10device_ptrIxEEEESD_jNS1_19radix_merge_compareILb0ELb1ExNS0_19identity_decomposerEEEEE10hipError_tT0_T1_T2_jT3_P12ihipStream_tbPNSt15iterator_traitsISI_E10value_typeEPNSO_ISJ_E10value_typeEPSK_NS1_7vsmem_tEENKUlT_SI_SJ_SK_E_clISD_PxSD_S10_EESH_SX_SI_SJ_SK_EUlSX_E0_NS1_11comp_targetILNS1_3genE4ELNS1_11target_archE910ELNS1_3gpuE8ELNS1_3repE0EEENS1_38merge_mergepath_config_static_selectorELNS0_4arch9wavefront6targetE1EEEvSJ_ ; -- Begin function _ZN7rocprim17ROCPRIM_400000_NS6detail17trampoline_kernelINS0_14default_configENS1_38merge_sort_block_merge_config_selectorIxxEEZZNS1_27merge_sort_block_merge_implIS3_N6thrust23THRUST_200600_302600_NS6detail15normal_iteratorINS8_10device_ptrIxEEEESD_jNS1_19radix_merge_compareILb0ELb1ExNS0_19identity_decomposerEEEEE10hipError_tT0_T1_T2_jT3_P12ihipStream_tbPNSt15iterator_traitsISI_E10value_typeEPNSO_ISJ_E10value_typeEPSK_NS1_7vsmem_tEENKUlT_SI_SJ_SK_E_clISD_PxSD_S10_EESH_SX_SI_SJ_SK_EUlSX_E0_NS1_11comp_targetILNS1_3genE4ELNS1_11target_archE910ELNS1_3gpuE8ELNS1_3repE0EEENS1_38merge_mergepath_config_static_selectorELNS0_4arch9wavefront6targetE1EEEvSJ_
	.globl	_ZN7rocprim17ROCPRIM_400000_NS6detail17trampoline_kernelINS0_14default_configENS1_38merge_sort_block_merge_config_selectorIxxEEZZNS1_27merge_sort_block_merge_implIS3_N6thrust23THRUST_200600_302600_NS6detail15normal_iteratorINS8_10device_ptrIxEEEESD_jNS1_19radix_merge_compareILb0ELb1ExNS0_19identity_decomposerEEEEE10hipError_tT0_T1_T2_jT3_P12ihipStream_tbPNSt15iterator_traitsISI_E10value_typeEPNSO_ISJ_E10value_typeEPSK_NS1_7vsmem_tEENKUlT_SI_SJ_SK_E_clISD_PxSD_S10_EESH_SX_SI_SJ_SK_EUlSX_E0_NS1_11comp_targetILNS1_3genE4ELNS1_11target_archE910ELNS1_3gpuE8ELNS1_3repE0EEENS1_38merge_mergepath_config_static_selectorELNS0_4arch9wavefront6targetE1EEEvSJ_
	.p2align	8
	.type	_ZN7rocprim17ROCPRIM_400000_NS6detail17trampoline_kernelINS0_14default_configENS1_38merge_sort_block_merge_config_selectorIxxEEZZNS1_27merge_sort_block_merge_implIS3_N6thrust23THRUST_200600_302600_NS6detail15normal_iteratorINS8_10device_ptrIxEEEESD_jNS1_19radix_merge_compareILb0ELb1ExNS0_19identity_decomposerEEEEE10hipError_tT0_T1_T2_jT3_P12ihipStream_tbPNSt15iterator_traitsISI_E10value_typeEPNSO_ISJ_E10value_typeEPSK_NS1_7vsmem_tEENKUlT_SI_SJ_SK_E_clISD_PxSD_S10_EESH_SX_SI_SJ_SK_EUlSX_E0_NS1_11comp_targetILNS1_3genE4ELNS1_11target_archE910ELNS1_3gpuE8ELNS1_3repE0EEENS1_38merge_mergepath_config_static_selectorELNS0_4arch9wavefront6targetE1EEEvSJ_,@function
_ZN7rocprim17ROCPRIM_400000_NS6detail17trampoline_kernelINS0_14default_configENS1_38merge_sort_block_merge_config_selectorIxxEEZZNS1_27merge_sort_block_merge_implIS3_N6thrust23THRUST_200600_302600_NS6detail15normal_iteratorINS8_10device_ptrIxEEEESD_jNS1_19radix_merge_compareILb0ELb1ExNS0_19identity_decomposerEEEEE10hipError_tT0_T1_T2_jT3_P12ihipStream_tbPNSt15iterator_traitsISI_E10value_typeEPNSO_ISJ_E10value_typeEPSK_NS1_7vsmem_tEENKUlT_SI_SJ_SK_E_clISD_PxSD_S10_EESH_SX_SI_SJ_SK_EUlSX_E0_NS1_11comp_targetILNS1_3genE4ELNS1_11target_archE910ELNS1_3gpuE8ELNS1_3repE0EEENS1_38merge_mergepath_config_static_selectorELNS0_4arch9wavefront6targetE1EEEvSJ_: ; @_ZN7rocprim17ROCPRIM_400000_NS6detail17trampoline_kernelINS0_14default_configENS1_38merge_sort_block_merge_config_selectorIxxEEZZNS1_27merge_sort_block_merge_implIS3_N6thrust23THRUST_200600_302600_NS6detail15normal_iteratorINS8_10device_ptrIxEEEESD_jNS1_19radix_merge_compareILb0ELb1ExNS0_19identity_decomposerEEEEE10hipError_tT0_T1_T2_jT3_P12ihipStream_tbPNSt15iterator_traitsISI_E10value_typeEPNSO_ISJ_E10value_typeEPSK_NS1_7vsmem_tEENKUlT_SI_SJ_SK_E_clISD_PxSD_S10_EESH_SX_SI_SJ_SK_EUlSX_E0_NS1_11comp_targetILNS1_3genE4ELNS1_11target_archE910ELNS1_3gpuE8ELNS1_3repE0EEENS1_38merge_mergepath_config_static_selectorELNS0_4arch9wavefront6targetE1EEEvSJ_
; %bb.0:
	.section	.rodata,"a",@progbits
	.p2align	6, 0x0
	.amdhsa_kernel _ZN7rocprim17ROCPRIM_400000_NS6detail17trampoline_kernelINS0_14default_configENS1_38merge_sort_block_merge_config_selectorIxxEEZZNS1_27merge_sort_block_merge_implIS3_N6thrust23THRUST_200600_302600_NS6detail15normal_iteratorINS8_10device_ptrIxEEEESD_jNS1_19radix_merge_compareILb0ELb1ExNS0_19identity_decomposerEEEEE10hipError_tT0_T1_T2_jT3_P12ihipStream_tbPNSt15iterator_traitsISI_E10value_typeEPNSO_ISJ_E10value_typeEPSK_NS1_7vsmem_tEENKUlT_SI_SJ_SK_E_clISD_PxSD_S10_EESH_SX_SI_SJ_SK_EUlSX_E0_NS1_11comp_targetILNS1_3genE4ELNS1_11target_archE910ELNS1_3gpuE8ELNS1_3repE0EEENS1_38merge_mergepath_config_static_selectorELNS0_4arch9wavefront6targetE1EEEvSJ_
		.amdhsa_group_segment_fixed_size 0
		.amdhsa_private_segment_fixed_size 0
		.amdhsa_kernarg_size 72
		.amdhsa_user_sgpr_count 2
		.amdhsa_user_sgpr_dispatch_ptr 0
		.amdhsa_user_sgpr_queue_ptr 0
		.amdhsa_user_sgpr_kernarg_segment_ptr 1
		.amdhsa_user_sgpr_dispatch_id 0
		.amdhsa_user_sgpr_kernarg_preload_length 0
		.amdhsa_user_sgpr_kernarg_preload_offset 0
		.amdhsa_user_sgpr_private_segment_size 0
		.amdhsa_uses_dynamic_stack 0
		.amdhsa_enable_private_segment 0
		.amdhsa_system_sgpr_workgroup_id_x 1
		.amdhsa_system_sgpr_workgroup_id_y 0
		.amdhsa_system_sgpr_workgroup_id_z 0
		.amdhsa_system_sgpr_workgroup_info 0
		.amdhsa_system_vgpr_workitem_id 0
		.amdhsa_next_free_vgpr 1
		.amdhsa_next_free_sgpr 0
		.amdhsa_accum_offset 4
		.amdhsa_reserve_vcc 0
		.amdhsa_float_round_mode_32 0
		.amdhsa_float_round_mode_16_64 0
		.amdhsa_float_denorm_mode_32 3
		.amdhsa_float_denorm_mode_16_64 3
		.amdhsa_dx10_clamp 1
		.amdhsa_ieee_mode 1
		.amdhsa_fp16_overflow 0
		.amdhsa_tg_split 0
		.amdhsa_exception_fp_ieee_invalid_op 0
		.amdhsa_exception_fp_denorm_src 0
		.amdhsa_exception_fp_ieee_div_zero 0
		.amdhsa_exception_fp_ieee_overflow 0
		.amdhsa_exception_fp_ieee_underflow 0
		.amdhsa_exception_fp_ieee_inexact 0
		.amdhsa_exception_int_div_zero 0
	.end_amdhsa_kernel
	.section	.text._ZN7rocprim17ROCPRIM_400000_NS6detail17trampoline_kernelINS0_14default_configENS1_38merge_sort_block_merge_config_selectorIxxEEZZNS1_27merge_sort_block_merge_implIS3_N6thrust23THRUST_200600_302600_NS6detail15normal_iteratorINS8_10device_ptrIxEEEESD_jNS1_19radix_merge_compareILb0ELb1ExNS0_19identity_decomposerEEEEE10hipError_tT0_T1_T2_jT3_P12ihipStream_tbPNSt15iterator_traitsISI_E10value_typeEPNSO_ISJ_E10value_typeEPSK_NS1_7vsmem_tEENKUlT_SI_SJ_SK_E_clISD_PxSD_S10_EESH_SX_SI_SJ_SK_EUlSX_E0_NS1_11comp_targetILNS1_3genE4ELNS1_11target_archE910ELNS1_3gpuE8ELNS1_3repE0EEENS1_38merge_mergepath_config_static_selectorELNS0_4arch9wavefront6targetE1EEEvSJ_,"axG",@progbits,_ZN7rocprim17ROCPRIM_400000_NS6detail17trampoline_kernelINS0_14default_configENS1_38merge_sort_block_merge_config_selectorIxxEEZZNS1_27merge_sort_block_merge_implIS3_N6thrust23THRUST_200600_302600_NS6detail15normal_iteratorINS8_10device_ptrIxEEEESD_jNS1_19radix_merge_compareILb0ELb1ExNS0_19identity_decomposerEEEEE10hipError_tT0_T1_T2_jT3_P12ihipStream_tbPNSt15iterator_traitsISI_E10value_typeEPNSO_ISJ_E10value_typeEPSK_NS1_7vsmem_tEENKUlT_SI_SJ_SK_E_clISD_PxSD_S10_EESH_SX_SI_SJ_SK_EUlSX_E0_NS1_11comp_targetILNS1_3genE4ELNS1_11target_archE910ELNS1_3gpuE8ELNS1_3repE0EEENS1_38merge_mergepath_config_static_selectorELNS0_4arch9wavefront6targetE1EEEvSJ_,comdat
.Lfunc_end1157:
	.size	_ZN7rocprim17ROCPRIM_400000_NS6detail17trampoline_kernelINS0_14default_configENS1_38merge_sort_block_merge_config_selectorIxxEEZZNS1_27merge_sort_block_merge_implIS3_N6thrust23THRUST_200600_302600_NS6detail15normal_iteratorINS8_10device_ptrIxEEEESD_jNS1_19radix_merge_compareILb0ELb1ExNS0_19identity_decomposerEEEEE10hipError_tT0_T1_T2_jT3_P12ihipStream_tbPNSt15iterator_traitsISI_E10value_typeEPNSO_ISJ_E10value_typeEPSK_NS1_7vsmem_tEENKUlT_SI_SJ_SK_E_clISD_PxSD_S10_EESH_SX_SI_SJ_SK_EUlSX_E0_NS1_11comp_targetILNS1_3genE4ELNS1_11target_archE910ELNS1_3gpuE8ELNS1_3repE0EEENS1_38merge_mergepath_config_static_selectorELNS0_4arch9wavefront6targetE1EEEvSJ_, .Lfunc_end1157-_ZN7rocprim17ROCPRIM_400000_NS6detail17trampoline_kernelINS0_14default_configENS1_38merge_sort_block_merge_config_selectorIxxEEZZNS1_27merge_sort_block_merge_implIS3_N6thrust23THRUST_200600_302600_NS6detail15normal_iteratorINS8_10device_ptrIxEEEESD_jNS1_19radix_merge_compareILb0ELb1ExNS0_19identity_decomposerEEEEE10hipError_tT0_T1_T2_jT3_P12ihipStream_tbPNSt15iterator_traitsISI_E10value_typeEPNSO_ISJ_E10value_typeEPSK_NS1_7vsmem_tEENKUlT_SI_SJ_SK_E_clISD_PxSD_S10_EESH_SX_SI_SJ_SK_EUlSX_E0_NS1_11comp_targetILNS1_3genE4ELNS1_11target_archE910ELNS1_3gpuE8ELNS1_3repE0EEENS1_38merge_mergepath_config_static_selectorELNS0_4arch9wavefront6targetE1EEEvSJ_
                                        ; -- End function
	.set _ZN7rocprim17ROCPRIM_400000_NS6detail17trampoline_kernelINS0_14default_configENS1_38merge_sort_block_merge_config_selectorIxxEEZZNS1_27merge_sort_block_merge_implIS3_N6thrust23THRUST_200600_302600_NS6detail15normal_iteratorINS8_10device_ptrIxEEEESD_jNS1_19radix_merge_compareILb0ELb1ExNS0_19identity_decomposerEEEEE10hipError_tT0_T1_T2_jT3_P12ihipStream_tbPNSt15iterator_traitsISI_E10value_typeEPNSO_ISJ_E10value_typeEPSK_NS1_7vsmem_tEENKUlT_SI_SJ_SK_E_clISD_PxSD_S10_EESH_SX_SI_SJ_SK_EUlSX_E0_NS1_11comp_targetILNS1_3genE4ELNS1_11target_archE910ELNS1_3gpuE8ELNS1_3repE0EEENS1_38merge_mergepath_config_static_selectorELNS0_4arch9wavefront6targetE1EEEvSJ_.num_vgpr, 0
	.set _ZN7rocprim17ROCPRIM_400000_NS6detail17trampoline_kernelINS0_14default_configENS1_38merge_sort_block_merge_config_selectorIxxEEZZNS1_27merge_sort_block_merge_implIS3_N6thrust23THRUST_200600_302600_NS6detail15normal_iteratorINS8_10device_ptrIxEEEESD_jNS1_19radix_merge_compareILb0ELb1ExNS0_19identity_decomposerEEEEE10hipError_tT0_T1_T2_jT3_P12ihipStream_tbPNSt15iterator_traitsISI_E10value_typeEPNSO_ISJ_E10value_typeEPSK_NS1_7vsmem_tEENKUlT_SI_SJ_SK_E_clISD_PxSD_S10_EESH_SX_SI_SJ_SK_EUlSX_E0_NS1_11comp_targetILNS1_3genE4ELNS1_11target_archE910ELNS1_3gpuE8ELNS1_3repE0EEENS1_38merge_mergepath_config_static_selectorELNS0_4arch9wavefront6targetE1EEEvSJ_.num_agpr, 0
	.set _ZN7rocprim17ROCPRIM_400000_NS6detail17trampoline_kernelINS0_14default_configENS1_38merge_sort_block_merge_config_selectorIxxEEZZNS1_27merge_sort_block_merge_implIS3_N6thrust23THRUST_200600_302600_NS6detail15normal_iteratorINS8_10device_ptrIxEEEESD_jNS1_19radix_merge_compareILb0ELb1ExNS0_19identity_decomposerEEEEE10hipError_tT0_T1_T2_jT3_P12ihipStream_tbPNSt15iterator_traitsISI_E10value_typeEPNSO_ISJ_E10value_typeEPSK_NS1_7vsmem_tEENKUlT_SI_SJ_SK_E_clISD_PxSD_S10_EESH_SX_SI_SJ_SK_EUlSX_E0_NS1_11comp_targetILNS1_3genE4ELNS1_11target_archE910ELNS1_3gpuE8ELNS1_3repE0EEENS1_38merge_mergepath_config_static_selectorELNS0_4arch9wavefront6targetE1EEEvSJ_.numbered_sgpr, 0
	.set _ZN7rocprim17ROCPRIM_400000_NS6detail17trampoline_kernelINS0_14default_configENS1_38merge_sort_block_merge_config_selectorIxxEEZZNS1_27merge_sort_block_merge_implIS3_N6thrust23THRUST_200600_302600_NS6detail15normal_iteratorINS8_10device_ptrIxEEEESD_jNS1_19radix_merge_compareILb0ELb1ExNS0_19identity_decomposerEEEEE10hipError_tT0_T1_T2_jT3_P12ihipStream_tbPNSt15iterator_traitsISI_E10value_typeEPNSO_ISJ_E10value_typeEPSK_NS1_7vsmem_tEENKUlT_SI_SJ_SK_E_clISD_PxSD_S10_EESH_SX_SI_SJ_SK_EUlSX_E0_NS1_11comp_targetILNS1_3genE4ELNS1_11target_archE910ELNS1_3gpuE8ELNS1_3repE0EEENS1_38merge_mergepath_config_static_selectorELNS0_4arch9wavefront6targetE1EEEvSJ_.num_named_barrier, 0
	.set _ZN7rocprim17ROCPRIM_400000_NS6detail17trampoline_kernelINS0_14default_configENS1_38merge_sort_block_merge_config_selectorIxxEEZZNS1_27merge_sort_block_merge_implIS3_N6thrust23THRUST_200600_302600_NS6detail15normal_iteratorINS8_10device_ptrIxEEEESD_jNS1_19radix_merge_compareILb0ELb1ExNS0_19identity_decomposerEEEEE10hipError_tT0_T1_T2_jT3_P12ihipStream_tbPNSt15iterator_traitsISI_E10value_typeEPNSO_ISJ_E10value_typeEPSK_NS1_7vsmem_tEENKUlT_SI_SJ_SK_E_clISD_PxSD_S10_EESH_SX_SI_SJ_SK_EUlSX_E0_NS1_11comp_targetILNS1_3genE4ELNS1_11target_archE910ELNS1_3gpuE8ELNS1_3repE0EEENS1_38merge_mergepath_config_static_selectorELNS0_4arch9wavefront6targetE1EEEvSJ_.private_seg_size, 0
	.set _ZN7rocprim17ROCPRIM_400000_NS6detail17trampoline_kernelINS0_14default_configENS1_38merge_sort_block_merge_config_selectorIxxEEZZNS1_27merge_sort_block_merge_implIS3_N6thrust23THRUST_200600_302600_NS6detail15normal_iteratorINS8_10device_ptrIxEEEESD_jNS1_19radix_merge_compareILb0ELb1ExNS0_19identity_decomposerEEEEE10hipError_tT0_T1_T2_jT3_P12ihipStream_tbPNSt15iterator_traitsISI_E10value_typeEPNSO_ISJ_E10value_typeEPSK_NS1_7vsmem_tEENKUlT_SI_SJ_SK_E_clISD_PxSD_S10_EESH_SX_SI_SJ_SK_EUlSX_E0_NS1_11comp_targetILNS1_3genE4ELNS1_11target_archE910ELNS1_3gpuE8ELNS1_3repE0EEENS1_38merge_mergepath_config_static_selectorELNS0_4arch9wavefront6targetE1EEEvSJ_.uses_vcc, 0
	.set _ZN7rocprim17ROCPRIM_400000_NS6detail17trampoline_kernelINS0_14default_configENS1_38merge_sort_block_merge_config_selectorIxxEEZZNS1_27merge_sort_block_merge_implIS3_N6thrust23THRUST_200600_302600_NS6detail15normal_iteratorINS8_10device_ptrIxEEEESD_jNS1_19radix_merge_compareILb0ELb1ExNS0_19identity_decomposerEEEEE10hipError_tT0_T1_T2_jT3_P12ihipStream_tbPNSt15iterator_traitsISI_E10value_typeEPNSO_ISJ_E10value_typeEPSK_NS1_7vsmem_tEENKUlT_SI_SJ_SK_E_clISD_PxSD_S10_EESH_SX_SI_SJ_SK_EUlSX_E0_NS1_11comp_targetILNS1_3genE4ELNS1_11target_archE910ELNS1_3gpuE8ELNS1_3repE0EEENS1_38merge_mergepath_config_static_selectorELNS0_4arch9wavefront6targetE1EEEvSJ_.uses_flat_scratch, 0
	.set _ZN7rocprim17ROCPRIM_400000_NS6detail17trampoline_kernelINS0_14default_configENS1_38merge_sort_block_merge_config_selectorIxxEEZZNS1_27merge_sort_block_merge_implIS3_N6thrust23THRUST_200600_302600_NS6detail15normal_iteratorINS8_10device_ptrIxEEEESD_jNS1_19radix_merge_compareILb0ELb1ExNS0_19identity_decomposerEEEEE10hipError_tT0_T1_T2_jT3_P12ihipStream_tbPNSt15iterator_traitsISI_E10value_typeEPNSO_ISJ_E10value_typeEPSK_NS1_7vsmem_tEENKUlT_SI_SJ_SK_E_clISD_PxSD_S10_EESH_SX_SI_SJ_SK_EUlSX_E0_NS1_11comp_targetILNS1_3genE4ELNS1_11target_archE910ELNS1_3gpuE8ELNS1_3repE0EEENS1_38merge_mergepath_config_static_selectorELNS0_4arch9wavefront6targetE1EEEvSJ_.has_dyn_sized_stack, 0
	.set _ZN7rocprim17ROCPRIM_400000_NS6detail17trampoline_kernelINS0_14default_configENS1_38merge_sort_block_merge_config_selectorIxxEEZZNS1_27merge_sort_block_merge_implIS3_N6thrust23THRUST_200600_302600_NS6detail15normal_iteratorINS8_10device_ptrIxEEEESD_jNS1_19radix_merge_compareILb0ELb1ExNS0_19identity_decomposerEEEEE10hipError_tT0_T1_T2_jT3_P12ihipStream_tbPNSt15iterator_traitsISI_E10value_typeEPNSO_ISJ_E10value_typeEPSK_NS1_7vsmem_tEENKUlT_SI_SJ_SK_E_clISD_PxSD_S10_EESH_SX_SI_SJ_SK_EUlSX_E0_NS1_11comp_targetILNS1_3genE4ELNS1_11target_archE910ELNS1_3gpuE8ELNS1_3repE0EEENS1_38merge_mergepath_config_static_selectorELNS0_4arch9wavefront6targetE1EEEvSJ_.has_recursion, 0
	.set _ZN7rocprim17ROCPRIM_400000_NS6detail17trampoline_kernelINS0_14default_configENS1_38merge_sort_block_merge_config_selectorIxxEEZZNS1_27merge_sort_block_merge_implIS3_N6thrust23THRUST_200600_302600_NS6detail15normal_iteratorINS8_10device_ptrIxEEEESD_jNS1_19radix_merge_compareILb0ELb1ExNS0_19identity_decomposerEEEEE10hipError_tT0_T1_T2_jT3_P12ihipStream_tbPNSt15iterator_traitsISI_E10value_typeEPNSO_ISJ_E10value_typeEPSK_NS1_7vsmem_tEENKUlT_SI_SJ_SK_E_clISD_PxSD_S10_EESH_SX_SI_SJ_SK_EUlSX_E0_NS1_11comp_targetILNS1_3genE4ELNS1_11target_archE910ELNS1_3gpuE8ELNS1_3repE0EEENS1_38merge_mergepath_config_static_selectorELNS0_4arch9wavefront6targetE1EEEvSJ_.has_indirect_call, 0
	.section	.AMDGPU.csdata,"",@progbits
; Kernel info:
; codeLenInByte = 0
; TotalNumSgprs: 6
; NumVgprs: 0
; NumAgprs: 0
; TotalNumVgprs: 0
; ScratchSize: 0
; MemoryBound: 0
; FloatMode: 240
; IeeeMode: 1
; LDSByteSize: 0 bytes/workgroup (compile time only)
; SGPRBlocks: 0
; VGPRBlocks: 0
; NumSGPRsForWavesPerEU: 6
; NumVGPRsForWavesPerEU: 1
; AccumOffset: 4
; Occupancy: 8
; WaveLimiterHint : 0
; COMPUTE_PGM_RSRC2:SCRATCH_EN: 0
; COMPUTE_PGM_RSRC2:USER_SGPR: 2
; COMPUTE_PGM_RSRC2:TRAP_HANDLER: 0
; COMPUTE_PGM_RSRC2:TGID_X_EN: 1
; COMPUTE_PGM_RSRC2:TGID_Y_EN: 0
; COMPUTE_PGM_RSRC2:TGID_Z_EN: 0
; COMPUTE_PGM_RSRC2:TIDIG_COMP_CNT: 0
; COMPUTE_PGM_RSRC3_GFX90A:ACCUM_OFFSET: 0
; COMPUTE_PGM_RSRC3_GFX90A:TG_SPLIT: 0
	.section	.text._ZN7rocprim17ROCPRIM_400000_NS6detail17trampoline_kernelINS0_14default_configENS1_38merge_sort_block_merge_config_selectorIxxEEZZNS1_27merge_sort_block_merge_implIS3_N6thrust23THRUST_200600_302600_NS6detail15normal_iteratorINS8_10device_ptrIxEEEESD_jNS1_19radix_merge_compareILb0ELb1ExNS0_19identity_decomposerEEEEE10hipError_tT0_T1_T2_jT3_P12ihipStream_tbPNSt15iterator_traitsISI_E10value_typeEPNSO_ISJ_E10value_typeEPSK_NS1_7vsmem_tEENKUlT_SI_SJ_SK_E_clISD_PxSD_S10_EESH_SX_SI_SJ_SK_EUlSX_E0_NS1_11comp_targetILNS1_3genE3ELNS1_11target_archE908ELNS1_3gpuE7ELNS1_3repE0EEENS1_38merge_mergepath_config_static_selectorELNS0_4arch9wavefront6targetE1EEEvSJ_,"axG",@progbits,_ZN7rocprim17ROCPRIM_400000_NS6detail17trampoline_kernelINS0_14default_configENS1_38merge_sort_block_merge_config_selectorIxxEEZZNS1_27merge_sort_block_merge_implIS3_N6thrust23THRUST_200600_302600_NS6detail15normal_iteratorINS8_10device_ptrIxEEEESD_jNS1_19radix_merge_compareILb0ELb1ExNS0_19identity_decomposerEEEEE10hipError_tT0_T1_T2_jT3_P12ihipStream_tbPNSt15iterator_traitsISI_E10value_typeEPNSO_ISJ_E10value_typeEPSK_NS1_7vsmem_tEENKUlT_SI_SJ_SK_E_clISD_PxSD_S10_EESH_SX_SI_SJ_SK_EUlSX_E0_NS1_11comp_targetILNS1_3genE3ELNS1_11target_archE908ELNS1_3gpuE7ELNS1_3repE0EEENS1_38merge_mergepath_config_static_selectorELNS0_4arch9wavefront6targetE1EEEvSJ_,comdat
	.protected	_ZN7rocprim17ROCPRIM_400000_NS6detail17trampoline_kernelINS0_14default_configENS1_38merge_sort_block_merge_config_selectorIxxEEZZNS1_27merge_sort_block_merge_implIS3_N6thrust23THRUST_200600_302600_NS6detail15normal_iteratorINS8_10device_ptrIxEEEESD_jNS1_19radix_merge_compareILb0ELb1ExNS0_19identity_decomposerEEEEE10hipError_tT0_T1_T2_jT3_P12ihipStream_tbPNSt15iterator_traitsISI_E10value_typeEPNSO_ISJ_E10value_typeEPSK_NS1_7vsmem_tEENKUlT_SI_SJ_SK_E_clISD_PxSD_S10_EESH_SX_SI_SJ_SK_EUlSX_E0_NS1_11comp_targetILNS1_3genE3ELNS1_11target_archE908ELNS1_3gpuE7ELNS1_3repE0EEENS1_38merge_mergepath_config_static_selectorELNS0_4arch9wavefront6targetE1EEEvSJ_ ; -- Begin function _ZN7rocprim17ROCPRIM_400000_NS6detail17trampoline_kernelINS0_14default_configENS1_38merge_sort_block_merge_config_selectorIxxEEZZNS1_27merge_sort_block_merge_implIS3_N6thrust23THRUST_200600_302600_NS6detail15normal_iteratorINS8_10device_ptrIxEEEESD_jNS1_19radix_merge_compareILb0ELb1ExNS0_19identity_decomposerEEEEE10hipError_tT0_T1_T2_jT3_P12ihipStream_tbPNSt15iterator_traitsISI_E10value_typeEPNSO_ISJ_E10value_typeEPSK_NS1_7vsmem_tEENKUlT_SI_SJ_SK_E_clISD_PxSD_S10_EESH_SX_SI_SJ_SK_EUlSX_E0_NS1_11comp_targetILNS1_3genE3ELNS1_11target_archE908ELNS1_3gpuE7ELNS1_3repE0EEENS1_38merge_mergepath_config_static_selectorELNS0_4arch9wavefront6targetE1EEEvSJ_
	.globl	_ZN7rocprim17ROCPRIM_400000_NS6detail17trampoline_kernelINS0_14default_configENS1_38merge_sort_block_merge_config_selectorIxxEEZZNS1_27merge_sort_block_merge_implIS3_N6thrust23THRUST_200600_302600_NS6detail15normal_iteratorINS8_10device_ptrIxEEEESD_jNS1_19radix_merge_compareILb0ELb1ExNS0_19identity_decomposerEEEEE10hipError_tT0_T1_T2_jT3_P12ihipStream_tbPNSt15iterator_traitsISI_E10value_typeEPNSO_ISJ_E10value_typeEPSK_NS1_7vsmem_tEENKUlT_SI_SJ_SK_E_clISD_PxSD_S10_EESH_SX_SI_SJ_SK_EUlSX_E0_NS1_11comp_targetILNS1_3genE3ELNS1_11target_archE908ELNS1_3gpuE7ELNS1_3repE0EEENS1_38merge_mergepath_config_static_selectorELNS0_4arch9wavefront6targetE1EEEvSJ_
	.p2align	8
	.type	_ZN7rocprim17ROCPRIM_400000_NS6detail17trampoline_kernelINS0_14default_configENS1_38merge_sort_block_merge_config_selectorIxxEEZZNS1_27merge_sort_block_merge_implIS3_N6thrust23THRUST_200600_302600_NS6detail15normal_iteratorINS8_10device_ptrIxEEEESD_jNS1_19radix_merge_compareILb0ELb1ExNS0_19identity_decomposerEEEEE10hipError_tT0_T1_T2_jT3_P12ihipStream_tbPNSt15iterator_traitsISI_E10value_typeEPNSO_ISJ_E10value_typeEPSK_NS1_7vsmem_tEENKUlT_SI_SJ_SK_E_clISD_PxSD_S10_EESH_SX_SI_SJ_SK_EUlSX_E0_NS1_11comp_targetILNS1_3genE3ELNS1_11target_archE908ELNS1_3gpuE7ELNS1_3repE0EEENS1_38merge_mergepath_config_static_selectorELNS0_4arch9wavefront6targetE1EEEvSJ_,@function
_ZN7rocprim17ROCPRIM_400000_NS6detail17trampoline_kernelINS0_14default_configENS1_38merge_sort_block_merge_config_selectorIxxEEZZNS1_27merge_sort_block_merge_implIS3_N6thrust23THRUST_200600_302600_NS6detail15normal_iteratorINS8_10device_ptrIxEEEESD_jNS1_19radix_merge_compareILb0ELb1ExNS0_19identity_decomposerEEEEE10hipError_tT0_T1_T2_jT3_P12ihipStream_tbPNSt15iterator_traitsISI_E10value_typeEPNSO_ISJ_E10value_typeEPSK_NS1_7vsmem_tEENKUlT_SI_SJ_SK_E_clISD_PxSD_S10_EESH_SX_SI_SJ_SK_EUlSX_E0_NS1_11comp_targetILNS1_3genE3ELNS1_11target_archE908ELNS1_3gpuE7ELNS1_3repE0EEENS1_38merge_mergepath_config_static_selectorELNS0_4arch9wavefront6targetE1EEEvSJ_: ; @_ZN7rocprim17ROCPRIM_400000_NS6detail17trampoline_kernelINS0_14default_configENS1_38merge_sort_block_merge_config_selectorIxxEEZZNS1_27merge_sort_block_merge_implIS3_N6thrust23THRUST_200600_302600_NS6detail15normal_iteratorINS8_10device_ptrIxEEEESD_jNS1_19radix_merge_compareILb0ELb1ExNS0_19identity_decomposerEEEEE10hipError_tT0_T1_T2_jT3_P12ihipStream_tbPNSt15iterator_traitsISI_E10value_typeEPNSO_ISJ_E10value_typeEPSK_NS1_7vsmem_tEENKUlT_SI_SJ_SK_E_clISD_PxSD_S10_EESH_SX_SI_SJ_SK_EUlSX_E0_NS1_11comp_targetILNS1_3genE3ELNS1_11target_archE908ELNS1_3gpuE7ELNS1_3repE0EEENS1_38merge_mergepath_config_static_selectorELNS0_4arch9wavefront6targetE1EEEvSJ_
; %bb.0:
	.section	.rodata,"a",@progbits
	.p2align	6, 0x0
	.amdhsa_kernel _ZN7rocprim17ROCPRIM_400000_NS6detail17trampoline_kernelINS0_14default_configENS1_38merge_sort_block_merge_config_selectorIxxEEZZNS1_27merge_sort_block_merge_implIS3_N6thrust23THRUST_200600_302600_NS6detail15normal_iteratorINS8_10device_ptrIxEEEESD_jNS1_19radix_merge_compareILb0ELb1ExNS0_19identity_decomposerEEEEE10hipError_tT0_T1_T2_jT3_P12ihipStream_tbPNSt15iterator_traitsISI_E10value_typeEPNSO_ISJ_E10value_typeEPSK_NS1_7vsmem_tEENKUlT_SI_SJ_SK_E_clISD_PxSD_S10_EESH_SX_SI_SJ_SK_EUlSX_E0_NS1_11comp_targetILNS1_3genE3ELNS1_11target_archE908ELNS1_3gpuE7ELNS1_3repE0EEENS1_38merge_mergepath_config_static_selectorELNS0_4arch9wavefront6targetE1EEEvSJ_
		.amdhsa_group_segment_fixed_size 0
		.amdhsa_private_segment_fixed_size 0
		.amdhsa_kernarg_size 72
		.amdhsa_user_sgpr_count 2
		.amdhsa_user_sgpr_dispatch_ptr 0
		.amdhsa_user_sgpr_queue_ptr 0
		.amdhsa_user_sgpr_kernarg_segment_ptr 1
		.amdhsa_user_sgpr_dispatch_id 0
		.amdhsa_user_sgpr_kernarg_preload_length 0
		.amdhsa_user_sgpr_kernarg_preload_offset 0
		.amdhsa_user_sgpr_private_segment_size 0
		.amdhsa_uses_dynamic_stack 0
		.amdhsa_enable_private_segment 0
		.amdhsa_system_sgpr_workgroup_id_x 1
		.amdhsa_system_sgpr_workgroup_id_y 0
		.amdhsa_system_sgpr_workgroup_id_z 0
		.amdhsa_system_sgpr_workgroup_info 0
		.amdhsa_system_vgpr_workitem_id 0
		.amdhsa_next_free_vgpr 1
		.amdhsa_next_free_sgpr 0
		.amdhsa_accum_offset 4
		.amdhsa_reserve_vcc 0
		.amdhsa_float_round_mode_32 0
		.amdhsa_float_round_mode_16_64 0
		.amdhsa_float_denorm_mode_32 3
		.amdhsa_float_denorm_mode_16_64 3
		.amdhsa_dx10_clamp 1
		.amdhsa_ieee_mode 1
		.amdhsa_fp16_overflow 0
		.amdhsa_tg_split 0
		.amdhsa_exception_fp_ieee_invalid_op 0
		.amdhsa_exception_fp_denorm_src 0
		.amdhsa_exception_fp_ieee_div_zero 0
		.amdhsa_exception_fp_ieee_overflow 0
		.amdhsa_exception_fp_ieee_underflow 0
		.amdhsa_exception_fp_ieee_inexact 0
		.amdhsa_exception_int_div_zero 0
	.end_amdhsa_kernel
	.section	.text._ZN7rocprim17ROCPRIM_400000_NS6detail17trampoline_kernelINS0_14default_configENS1_38merge_sort_block_merge_config_selectorIxxEEZZNS1_27merge_sort_block_merge_implIS3_N6thrust23THRUST_200600_302600_NS6detail15normal_iteratorINS8_10device_ptrIxEEEESD_jNS1_19radix_merge_compareILb0ELb1ExNS0_19identity_decomposerEEEEE10hipError_tT0_T1_T2_jT3_P12ihipStream_tbPNSt15iterator_traitsISI_E10value_typeEPNSO_ISJ_E10value_typeEPSK_NS1_7vsmem_tEENKUlT_SI_SJ_SK_E_clISD_PxSD_S10_EESH_SX_SI_SJ_SK_EUlSX_E0_NS1_11comp_targetILNS1_3genE3ELNS1_11target_archE908ELNS1_3gpuE7ELNS1_3repE0EEENS1_38merge_mergepath_config_static_selectorELNS0_4arch9wavefront6targetE1EEEvSJ_,"axG",@progbits,_ZN7rocprim17ROCPRIM_400000_NS6detail17trampoline_kernelINS0_14default_configENS1_38merge_sort_block_merge_config_selectorIxxEEZZNS1_27merge_sort_block_merge_implIS3_N6thrust23THRUST_200600_302600_NS6detail15normal_iteratorINS8_10device_ptrIxEEEESD_jNS1_19radix_merge_compareILb0ELb1ExNS0_19identity_decomposerEEEEE10hipError_tT0_T1_T2_jT3_P12ihipStream_tbPNSt15iterator_traitsISI_E10value_typeEPNSO_ISJ_E10value_typeEPSK_NS1_7vsmem_tEENKUlT_SI_SJ_SK_E_clISD_PxSD_S10_EESH_SX_SI_SJ_SK_EUlSX_E0_NS1_11comp_targetILNS1_3genE3ELNS1_11target_archE908ELNS1_3gpuE7ELNS1_3repE0EEENS1_38merge_mergepath_config_static_selectorELNS0_4arch9wavefront6targetE1EEEvSJ_,comdat
.Lfunc_end1158:
	.size	_ZN7rocprim17ROCPRIM_400000_NS6detail17trampoline_kernelINS0_14default_configENS1_38merge_sort_block_merge_config_selectorIxxEEZZNS1_27merge_sort_block_merge_implIS3_N6thrust23THRUST_200600_302600_NS6detail15normal_iteratorINS8_10device_ptrIxEEEESD_jNS1_19radix_merge_compareILb0ELb1ExNS0_19identity_decomposerEEEEE10hipError_tT0_T1_T2_jT3_P12ihipStream_tbPNSt15iterator_traitsISI_E10value_typeEPNSO_ISJ_E10value_typeEPSK_NS1_7vsmem_tEENKUlT_SI_SJ_SK_E_clISD_PxSD_S10_EESH_SX_SI_SJ_SK_EUlSX_E0_NS1_11comp_targetILNS1_3genE3ELNS1_11target_archE908ELNS1_3gpuE7ELNS1_3repE0EEENS1_38merge_mergepath_config_static_selectorELNS0_4arch9wavefront6targetE1EEEvSJ_, .Lfunc_end1158-_ZN7rocprim17ROCPRIM_400000_NS6detail17trampoline_kernelINS0_14default_configENS1_38merge_sort_block_merge_config_selectorIxxEEZZNS1_27merge_sort_block_merge_implIS3_N6thrust23THRUST_200600_302600_NS6detail15normal_iteratorINS8_10device_ptrIxEEEESD_jNS1_19radix_merge_compareILb0ELb1ExNS0_19identity_decomposerEEEEE10hipError_tT0_T1_T2_jT3_P12ihipStream_tbPNSt15iterator_traitsISI_E10value_typeEPNSO_ISJ_E10value_typeEPSK_NS1_7vsmem_tEENKUlT_SI_SJ_SK_E_clISD_PxSD_S10_EESH_SX_SI_SJ_SK_EUlSX_E0_NS1_11comp_targetILNS1_3genE3ELNS1_11target_archE908ELNS1_3gpuE7ELNS1_3repE0EEENS1_38merge_mergepath_config_static_selectorELNS0_4arch9wavefront6targetE1EEEvSJ_
                                        ; -- End function
	.set _ZN7rocprim17ROCPRIM_400000_NS6detail17trampoline_kernelINS0_14default_configENS1_38merge_sort_block_merge_config_selectorIxxEEZZNS1_27merge_sort_block_merge_implIS3_N6thrust23THRUST_200600_302600_NS6detail15normal_iteratorINS8_10device_ptrIxEEEESD_jNS1_19radix_merge_compareILb0ELb1ExNS0_19identity_decomposerEEEEE10hipError_tT0_T1_T2_jT3_P12ihipStream_tbPNSt15iterator_traitsISI_E10value_typeEPNSO_ISJ_E10value_typeEPSK_NS1_7vsmem_tEENKUlT_SI_SJ_SK_E_clISD_PxSD_S10_EESH_SX_SI_SJ_SK_EUlSX_E0_NS1_11comp_targetILNS1_3genE3ELNS1_11target_archE908ELNS1_3gpuE7ELNS1_3repE0EEENS1_38merge_mergepath_config_static_selectorELNS0_4arch9wavefront6targetE1EEEvSJ_.num_vgpr, 0
	.set _ZN7rocprim17ROCPRIM_400000_NS6detail17trampoline_kernelINS0_14default_configENS1_38merge_sort_block_merge_config_selectorIxxEEZZNS1_27merge_sort_block_merge_implIS3_N6thrust23THRUST_200600_302600_NS6detail15normal_iteratorINS8_10device_ptrIxEEEESD_jNS1_19radix_merge_compareILb0ELb1ExNS0_19identity_decomposerEEEEE10hipError_tT0_T1_T2_jT3_P12ihipStream_tbPNSt15iterator_traitsISI_E10value_typeEPNSO_ISJ_E10value_typeEPSK_NS1_7vsmem_tEENKUlT_SI_SJ_SK_E_clISD_PxSD_S10_EESH_SX_SI_SJ_SK_EUlSX_E0_NS1_11comp_targetILNS1_3genE3ELNS1_11target_archE908ELNS1_3gpuE7ELNS1_3repE0EEENS1_38merge_mergepath_config_static_selectorELNS0_4arch9wavefront6targetE1EEEvSJ_.num_agpr, 0
	.set _ZN7rocprim17ROCPRIM_400000_NS6detail17trampoline_kernelINS0_14default_configENS1_38merge_sort_block_merge_config_selectorIxxEEZZNS1_27merge_sort_block_merge_implIS3_N6thrust23THRUST_200600_302600_NS6detail15normal_iteratorINS8_10device_ptrIxEEEESD_jNS1_19radix_merge_compareILb0ELb1ExNS0_19identity_decomposerEEEEE10hipError_tT0_T1_T2_jT3_P12ihipStream_tbPNSt15iterator_traitsISI_E10value_typeEPNSO_ISJ_E10value_typeEPSK_NS1_7vsmem_tEENKUlT_SI_SJ_SK_E_clISD_PxSD_S10_EESH_SX_SI_SJ_SK_EUlSX_E0_NS1_11comp_targetILNS1_3genE3ELNS1_11target_archE908ELNS1_3gpuE7ELNS1_3repE0EEENS1_38merge_mergepath_config_static_selectorELNS0_4arch9wavefront6targetE1EEEvSJ_.numbered_sgpr, 0
	.set _ZN7rocprim17ROCPRIM_400000_NS6detail17trampoline_kernelINS0_14default_configENS1_38merge_sort_block_merge_config_selectorIxxEEZZNS1_27merge_sort_block_merge_implIS3_N6thrust23THRUST_200600_302600_NS6detail15normal_iteratorINS8_10device_ptrIxEEEESD_jNS1_19radix_merge_compareILb0ELb1ExNS0_19identity_decomposerEEEEE10hipError_tT0_T1_T2_jT3_P12ihipStream_tbPNSt15iterator_traitsISI_E10value_typeEPNSO_ISJ_E10value_typeEPSK_NS1_7vsmem_tEENKUlT_SI_SJ_SK_E_clISD_PxSD_S10_EESH_SX_SI_SJ_SK_EUlSX_E0_NS1_11comp_targetILNS1_3genE3ELNS1_11target_archE908ELNS1_3gpuE7ELNS1_3repE0EEENS1_38merge_mergepath_config_static_selectorELNS0_4arch9wavefront6targetE1EEEvSJ_.num_named_barrier, 0
	.set _ZN7rocprim17ROCPRIM_400000_NS6detail17trampoline_kernelINS0_14default_configENS1_38merge_sort_block_merge_config_selectorIxxEEZZNS1_27merge_sort_block_merge_implIS3_N6thrust23THRUST_200600_302600_NS6detail15normal_iteratorINS8_10device_ptrIxEEEESD_jNS1_19radix_merge_compareILb0ELb1ExNS0_19identity_decomposerEEEEE10hipError_tT0_T1_T2_jT3_P12ihipStream_tbPNSt15iterator_traitsISI_E10value_typeEPNSO_ISJ_E10value_typeEPSK_NS1_7vsmem_tEENKUlT_SI_SJ_SK_E_clISD_PxSD_S10_EESH_SX_SI_SJ_SK_EUlSX_E0_NS1_11comp_targetILNS1_3genE3ELNS1_11target_archE908ELNS1_3gpuE7ELNS1_3repE0EEENS1_38merge_mergepath_config_static_selectorELNS0_4arch9wavefront6targetE1EEEvSJ_.private_seg_size, 0
	.set _ZN7rocprim17ROCPRIM_400000_NS6detail17trampoline_kernelINS0_14default_configENS1_38merge_sort_block_merge_config_selectorIxxEEZZNS1_27merge_sort_block_merge_implIS3_N6thrust23THRUST_200600_302600_NS6detail15normal_iteratorINS8_10device_ptrIxEEEESD_jNS1_19radix_merge_compareILb0ELb1ExNS0_19identity_decomposerEEEEE10hipError_tT0_T1_T2_jT3_P12ihipStream_tbPNSt15iterator_traitsISI_E10value_typeEPNSO_ISJ_E10value_typeEPSK_NS1_7vsmem_tEENKUlT_SI_SJ_SK_E_clISD_PxSD_S10_EESH_SX_SI_SJ_SK_EUlSX_E0_NS1_11comp_targetILNS1_3genE3ELNS1_11target_archE908ELNS1_3gpuE7ELNS1_3repE0EEENS1_38merge_mergepath_config_static_selectorELNS0_4arch9wavefront6targetE1EEEvSJ_.uses_vcc, 0
	.set _ZN7rocprim17ROCPRIM_400000_NS6detail17trampoline_kernelINS0_14default_configENS1_38merge_sort_block_merge_config_selectorIxxEEZZNS1_27merge_sort_block_merge_implIS3_N6thrust23THRUST_200600_302600_NS6detail15normal_iteratorINS8_10device_ptrIxEEEESD_jNS1_19radix_merge_compareILb0ELb1ExNS0_19identity_decomposerEEEEE10hipError_tT0_T1_T2_jT3_P12ihipStream_tbPNSt15iterator_traitsISI_E10value_typeEPNSO_ISJ_E10value_typeEPSK_NS1_7vsmem_tEENKUlT_SI_SJ_SK_E_clISD_PxSD_S10_EESH_SX_SI_SJ_SK_EUlSX_E0_NS1_11comp_targetILNS1_3genE3ELNS1_11target_archE908ELNS1_3gpuE7ELNS1_3repE0EEENS1_38merge_mergepath_config_static_selectorELNS0_4arch9wavefront6targetE1EEEvSJ_.uses_flat_scratch, 0
	.set _ZN7rocprim17ROCPRIM_400000_NS6detail17trampoline_kernelINS0_14default_configENS1_38merge_sort_block_merge_config_selectorIxxEEZZNS1_27merge_sort_block_merge_implIS3_N6thrust23THRUST_200600_302600_NS6detail15normal_iteratorINS8_10device_ptrIxEEEESD_jNS1_19radix_merge_compareILb0ELb1ExNS0_19identity_decomposerEEEEE10hipError_tT0_T1_T2_jT3_P12ihipStream_tbPNSt15iterator_traitsISI_E10value_typeEPNSO_ISJ_E10value_typeEPSK_NS1_7vsmem_tEENKUlT_SI_SJ_SK_E_clISD_PxSD_S10_EESH_SX_SI_SJ_SK_EUlSX_E0_NS1_11comp_targetILNS1_3genE3ELNS1_11target_archE908ELNS1_3gpuE7ELNS1_3repE0EEENS1_38merge_mergepath_config_static_selectorELNS0_4arch9wavefront6targetE1EEEvSJ_.has_dyn_sized_stack, 0
	.set _ZN7rocprim17ROCPRIM_400000_NS6detail17trampoline_kernelINS0_14default_configENS1_38merge_sort_block_merge_config_selectorIxxEEZZNS1_27merge_sort_block_merge_implIS3_N6thrust23THRUST_200600_302600_NS6detail15normal_iteratorINS8_10device_ptrIxEEEESD_jNS1_19radix_merge_compareILb0ELb1ExNS0_19identity_decomposerEEEEE10hipError_tT0_T1_T2_jT3_P12ihipStream_tbPNSt15iterator_traitsISI_E10value_typeEPNSO_ISJ_E10value_typeEPSK_NS1_7vsmem_tEENKUlT_SI_SJ_SK_E_clISD_PxSD_S10_EESH_SX_SI_SJ_SK_EUlSX_E0_NS1_11comp_targetILNS1_3genE3ELNS1_11target_archE908ELNS1_3gpuE7ELNS1_3repE0EEENS1_38merge_mergepath_config_static_selectorELNS0_4arch9wavefront6targetE1EEEvSJ_.has_recursion, 0
	.set _ZN7rocprim17ROCPRIM_400000_NS6detail17trampoline_kernelINS0_14default_configENS1_38merge_sort_block_merge_config_selectorIxxEEZZNS1_27merge_sort_block_merge_implIS3_N6thrust23THRUST_200600_302600_NS6detail15normal_iteratorINS8_10device_ptrIxEEEESD_jNS1_19radix_merge_compareILb0ELb1ExNS0_19identity_decomposerEEEEE10hipError_tT0_T1_T2_jT3_P12ihipStream_tbPNSt15iterator_traitsISI_E10value_typeEPNSO_ISJ_E10value_typeEPSK_NS1_7vsmem_tEENKUlT_SI_SJ_SK_E_clISD_PxSD_S10_EESH_SX_SI_SJ_SK_EUlSX_E0_NS1_11comp_targetILNS1_3genE3ELNS1_11target_archE908ELNS1_3gpuE7ELNS1_3repE0EEENS1_38merge_mergepath_config_static_selectorELNS0_4arch9wavefront6targetE1EEEvSJ_.has_indirect_call, 0
	.section	.AMDGPU.csdata,"",@progbits
; Kernel info:
; codeLenInByte = 0
; TotalNumSgprs: 6
; NumVgprs: 0
; NumAgprs: 0
; TotalNumVgprs: 0
; ScratchSize: 0
; MemoryBound: 0
; FloatMode: 240
; IeeeMode: 1
; LDSByteSize: 0 bytes/workgroup (compile time only)
; SGPRBlocks: 0
; VGPRBlocks: 0
; NumSGPRsForWavesPerEU: 6
; NumVGPRsForWavesPerEU: 1
; AccumOffset: 4
; Occupancy: 8
; WaveLimiterHint : 0
; COMPUTE_PGM_RSRC2:SCRATCH_EN: 0
; COMPUTE_PGM_RSRC2:USER_SGPR: 2
; COMPUTE_PGM_RSRC2:TRAP_HANDLER: 0
; COMPUTE_PGM_RSRC2:TGID_X_EN: 1
; COMPUTE_PGM_RSRC2:TGID_Y_EN: 0
; COMPUTE_PGM_RSRC2:TGID_Z_EN: 0
; COMPUTE_PGM_RSRC2:TIDIG_COMP_CNT: 0
; COMPUTE_PGM_RSRC3_GFX90A:ACCUM_OFFSET: 0
; COMPUTE_PGM_RSRC3_GFX90A:TG_SPLIT: 0
	.section	.text._ZN7rocprim17ROCPRIM_400000_NS6detail17trampoline_kernelINS0_14default_configENS1_38merge_sort_block_merge_config_selectorIxxEEZZNS1_27merge_sort_block_merge_implIS3_N6thrust23THRUST_200600_302600_NS6detail15normal_iteratorINS8_10device_ptrIxEEEESD_jNS1_19radix_merge_compareILb0ELb1ExNS0_19identity_decomposerEEEEE10hipError_tT0_T1_T2_jT3_P12ihipStream_tbPNSt15iterator_traitsISI_E10value_typeEPNSO_ISJ_E10value_typeEPSK_NS1_7vsmem_tEENKUlT_SI_SJ_SK_E_clISD_PxSD_S10_EESH_SX_SI_SJ_SK_EUlSX_E0_NS1_11comp_targetILNS1_3genE2ELNS1_11target_archE906ELNS1_3gpuE6ELNS1_3repE0EEENS1_38merge_mergepath_config_static_selectorELNS0_4arch9wavefront6targetE1EEEvSJ_,"axG",@progbits,_ZN7rocprim17ROCPRIM_400000_NS6detail17trampoline_kernelINS0_14default_configENS1_38merge_sort_block_merge_config_selectorIxxEEZZNS1_27merge_sort_block_merge_implIS3_N6thrust23THRUST_200600_302600_NS6detail15normal_iteratorINS8_10device_ptrIxEEEESD_jNS1_19radix_merge_compareILb0ELb1ExNS0_19identity_decomposerEEEEE10hipError_tT0_T1_T2_jT3_P12ihipStream_tbPNSt15iterator_traitsISI_E10value_typeEPNSO_ISJ_E10value_typeEPSK_NS1_7vsmem_tEENKUlT_SI_SJ_SK_E_clISD_PxSD_S10_EESH_SX_SI_SJ_SK_EUlSX_E0_NS1_11comp_targetILNS1_3genE2ELNS1_11target_archE906ELNS1_3gpuE6ELNS1_3repE0EEENS1_38merge_mergepath_config_static_selectorELNS0_4arch9wavefront6targetE1EEEvSJ_,comdat
	.protected	_ZN7rocprim17ROCPRIM_400000_NS6detail17trampoline_kernelINS0_14default_configENS1_38merge_sort_block_merge_config_selectorIxxEEZZNS1_27merge_sort_block_merge_implIS3_N6thrust23THRUST_200600_302600_NS6detail15normal_iteratorINS8_10device_ptrIxEEEESD_jNS1_19radix_merge_compareILb0ELb1ExNS0_19identity_decomposerEEEEE10hipError_tT0_T1_T2_jT3_P12ihipStream_tbPNSt15iterator_traitsISI_E10value_typeEPNSO_ISJ_E10value_typeEPSK_NS1_7vsmem_tEENKUlT_SI_SJ_SK_E_clISD_PxSD_S10_EESH_SX_SI_SJ_SK_EUlSX_E0_NS1_11comp_targetILNS1_3genE2ELNS1_11target_archE906ELNS1_3gpuE6ELNS1_3repE0EEENS1_38merge_mergepath_config_static_selectorELNS0_4arch9wavefront6targetE1EEEvSJ_ ; -- Begin function _ZN7rocprim17ROCPRIM_400000_NS6detail17trampoline_kernelINS0_14default_configENS1_38merge_sort_block_merge_config_selectorIxxEEZZNS1_27merge_sort_block_merge_implIS3_N6thrust23THRUST_200600_302600_NS6detail15normal_iteratorINS8_10device_ptrIxEEEESD_jNS1_19radix_merge_compareILb0ELb1ExNS0_19identity_decomposerEEEEE10hipError_tT0_T1_T2_jT3_P12ihipStream_tbPNSt15iterator_traitsISI_E10value_typeEPNSO_ISJ_E10value_typeEPSK_NS1_7vsmem_tEENKUlT_SI_SJ_SK_E_clISD_PxSD_S10_EESH_SX_SI_SJ_SK_EUlSX_E0_NS1_11comp_targetILNS1_3genE2ELNS1_11target_archE906ELNS1_3gpuE6ELNS1_3repE0EEENS1_38merge_mergepath_config_static_selectorELNS0_4arch9wavefront6targetE1EEEvSJ_
	.globl	_ZN7rocprim17ROCPRIM_400000_NS6detail17trampoline_kernelINS0_14default_configENS1_38merge_sort_block_merge_config_selectorIxxEEZZNS1_27merge_sort_block_merge_implIS3_N6thrust23THRUST_200600_302600_NS6detail15normal_iteratorINS8_10device_ptrIxEEEESD_jNS1_19radix_merge_compareILb0ELb1ExNS0_19identity_decomposerEEEEE10hipError_tT0_T1_T2_jT3_P12ihipStream_tbPNSt15iterator_traitsISI_E10value_typeEPNSO_ISJ_E10value_typeEPSK_NS1_7vsmem_tEENKUlT_SI_SJ_SK_E_clISD_PxSD_S10_EESH_SX_SI_SJ_SK_EUlSX_E0_NS1_11comp_targetILNS1_3genE2ELNS1_11target_archE906ELNS1_3gpuE6ELNS1_3repE0EEENS1_38merge_mergepath_config_static_selectorELNS0_4arch9wavefront6targetE1EEEvSJ_
	.p2align	8
	.type	_ZN7rocprim17ROCPRIM_400000_NS6detail17trampoline_kernelINS0_14default_configENS1_38merge_sort_block_merge_config_selectorIxxEEZZNS1_27merge_sort_block_merge_implIS3_N6thrust23THRUST_200600_302600_NS6detail15normal_iteratorINS8_10device_ptrIxEEEESD_jNS1_19radix_merge_compareILb0ELb1ExNS0_19identity_decomposerEEEEE10hipError_tT0_T1_T2_jT3_P12ihipStream_tbPNSt15iterator_traitsISI_E10value_typeEPNSO_ISJ_E10value_typeEPSK_NS1_7vsmem_tEENKUlT_SI_SJ_SK_E_clISD_PxSD_S10_EESH_SX_SI_SJ_SK_EUlSX_E0_NS1_11comp_targetILNS1_3genE2ELNS1_11target_archE906ELNS1_3gpuE6ELNS1_3repE0EEENS1_38merge_mergepath_config_static_selectorELNS0_4arch9wavefront6targetE1EEEvSJ_,@function
_ZN7rocprim17ROCPRIM_400000_NS6detail17trampoline_kernelINS0_14default_configENS1_38merge_sort_block_merge_config_selectorIxxEEZZNS1_27merge_sort_block_merge_implIS3_N6thrust23THRUST_200600_302600_NS6detail15normal_iteratorINS8_10device_ptrIxEEEESD_jNS1_19radix_merge_compareILb0ELb1ExNS0_19identity_decomposerEEEEE10hipError_tT0_T1_T2_jT3_P12ihipStream_tbPNSt15iterator_traitsISI_E10value_typeEPNSO_ISJ_E10value_typeEPSK_NS1_7vsmem_tEENKUlT_SI_SJ_SK_E_clISD_PxSD_S10_EESH_SX_SI_SJ_SK_EUlSX_E0_NS1_11comp_targetILNS1_3genE2ELNS1_11target_archE906ELNS1_3gpuE6ELNS1_3repE0EEENS1_38merge_mergepath_config_static_selectorELNS0_4arch9wavefront6targetE1EEEvSJ_: ; @_ZN7rocprim17ROCPRIM_400000_NS6detail17trampoline_kernelINS0_14default_configENS1_38merge_sort_block_merge_config_selectorIxxEEZZNS1_27merge_sort_block_merge_implIS3_N6thrust23THRUST_200600_302600_NS6detail15normal_iteratorINS8_10device_ptrIxEEEESD_jNS1_19radix_merge_compareILb0ELb1ExNS0_19identity_decomposerEEEEE10hipError_tT0_T1_T2_jT3_P12ihipStream_tbPNSt15iterator_traitsISI_E10value_typeEPNSO_ISJ_E10value_typeEPSK_NS1_7vsmem_tEENKUlT_SI_SJ_SK_E_clISD_PxSD_S10_EESH_SX_SI_SJ_SK_EUlSX_E0_NS1_11comp_targetILNS1_3genE2ELNS1_11target_archE906ELNS1_3gpuE6ELNS1_3repE0EEENS1_38merge_mergepath_config_static_selectorELNS0_4arch9wavefront6targetE1EEEvSJ_
; %bb.0:
	.section	.rodata,"a",@progbits
	.p2align	6, 0x0
	.amdhsa_kernel _ZN7rocprim17ROCPRIM_400000_NS6detail17trampoline_kernelINS0_14default_configENS1_38merge_sort_block_merge_config_selectorIxxEEZZNS1_27merge_sort_block_merge_implIS3_N6thrust23THRUST_200600_302600_NS6detail15normal_iteratorINS8_10device_ptrIxEEEESD_jNS1_19radix_merge_compareILb0ELb1ExNS0_19identity_decomposerEEEEE10hipError_tT0_T1_T2_jT3_P12ihipStream_tbPNSt15iterator_traitsISI_E10value_typeEPNSO_ISJ_E10value_typeEPSK_NS1_7vsmem_tEENKUlT_SI_SJ_SK_E_clISD_PxSD_S10_EESH_SX_SI_SJ_SK_EUlSX_E0_NS1_11comp_targetILNS1_3genE2ELNS1_11target_archE906ELNS1_3gpuE6ELNS1_3repE0EEENS1_38merge_mergepath_config_static_selectorELNS0_4arch9wavefront6targetE1EEEvSJ_
		.amdhsa_group_segment_fixed_size 0
		.amdhsa_private_segment_fixed_size 0
		.amdhsa_kernarg_size 72
		.amdhsa_user_sgpr_count 2
		.amdhsa_user_sgpr_dispatch_ptr 0
		.amdhsa_user_sgpr_queue_ptr 0
		.amdhsa_user_sgpr_kernarg_segment_ptr 1
		.amdhsa_user_sgpr_dispatch_id 0
		.amdhsa_user_sgpr_kernarg_preload_length 0
		.amdhsa_user_sgpr_kernarg_preload_offset 0
		.amdhsa_user_sgpr_private_segment_size 0
		.amdhsa_uses_dynamic_stack 0
		.amdhsa_enable_private_segment 0
		.amdhsa_system_sgpr_workgroup_id_x 1
		.amdhsa_system_sgpr_workgroup_id_y 0
		.amdhsa_system_sgpr_workgroup_id_z 0
		.amdhsa_system_sgpr_workgroup_info 0
		.amdhsa_system_vgpr_workitem_id 0
		.amdhsa_next_free_vgpr 1
		.amdhsa_next_free_sgpr 0
		.amdhsa_accum_offset 4
		.amdhsa_reserve_vcc 0
		.amdhsa_float_round_mode_32 0
		.amdhsa_float_round_mode_16_64 0
		.amdhsa_float_denorm_mode_32 3
		.amdhsa_float_denorm_mode_16_64 3
		.amdhsa_dx10_clamp 1
		.amdhsa_ieee_mode 1
		.amdhsa_fp16_overflow 0
		.amdhsa_tg_split 0
		.amdhsa_exception_fp_ieee_invalid_op 0
		.amdhsa_exception_fp_denorm_src 0
		.amdhsa_exception_fp_ieee_div_zero 0
		.amdhsa_exception_fp_ieee_overflow 0
		.amdhsa_exception_fp_ieee_underflow 0
		.amdhsa_exception_fp_ieee_inexact 0
		.amdhsa_exception_int_div_zero 0
	.end_amdhsa_kernel
	.section	.text._ZN7rocprim17ROCPRIM_400000_NS6detail17trampoline_kernelINS0_14default_configENS1_38merge_sort_block_merge_config_selectorIxxEEZZNS1_27merge_sort_block_merge_implIS3_N6thrust23THRUST_200600_302600_NS6detail15normal_iteratorINS8_10device_ptrIxEEEESD_jNS1_19radix_merge_compareILb0ELb1ExNS0_19identity_decomposerEEEEE10hipError_tT0_T1_T2_jT3_P12ihipStream_tbPNSt15iterator_traitsISI_E10value_typeEPNSO_ISJ_E10value_typeEPSK_NS1_7vsmem_tEENKUlT_SI_SJ_SK_E_clISD_PxSD_S10_EESH_SX_SI_SJ_SK_EUlSX_E0_NS1_11comp_targetILNS1_3genE2ELNS1_11target_archE906ELNS1_3gpuE6ELNS1_3repE0EEENS1_38merge_mergepath_config_static_selectorELNS0_4arch9wavefront6targetE1EEEvSJ_,"axG",@progbits,_ZN7rocprim17ROCPRIM_400000_NS6detail17trampoline_kernelINS0_14default_configENS1_38merge_sort_block_merge_config_selectorIxxEEZZNS1_27merge_sort_block_merge_implIS3_N6thrust23THRUST_200600_302600_NS6detail15normal_iteratorINS8_10device_ptrIxEEEESD_jNS1_19radix_merge_compareILb0ELb1ExNS0_19identity_decomposerEEEEE10hipError_tT0_T1_T2_jT3_P12ihipStream_tbPNSt15iterator_traitsISI_E10value_typeEPNSO_ISJ_E10value_typeEPSK_NS1_7vsmem_tEENKUlT_SI_SJ_SK_E_clISD_PxSD_S10_EESH_SX_SI_SJ_SK_EUlSX_E0_NS1_11comp_targetILNS1_3genE2ELNS1_11target_archE906ELNS1_3gpuE6ELNS1_3repE0EEENS1_38merge_mergepath_config_static_selectorELNS0_4arch9wavefront6targetE1EEEvSJ_,comdat
.Lfunc_end1159:
	.size	_ZN7rocprim17ROCPRIM_400000_NS6detail17trampoline_kernelINS0_14default_configENS1_38merge_sort_block_merge_config_selectorIxxEEZZNS1_27merge_sort_block_merge_implIS3_N6thrust23THRUST_200600_302600_NS6detail15normal_iteratorINS8_10device_ptrIxEEEESD_jNS1_19radix_merge_compareILb0ELb1ExNS0_19identity_decomposerEEEEE10hipError_tT0_T1_T2_jT3_P12ihipStream_tbPNSt15iterator_traitsISI_E10value_typeEPNSO_ISJ_E10value_typeEPSK_NS1_7vsmem_tEENKUlT_SI_SJ_SK_E_clISD_PxSD_S10_EESH_SX_SI_SJ_SK_EUlSX_E0_NS1_11comp_targetILNS1_3genE2ELNS1_11target_archE906ELNS1_3gpuE6ELNS1_3repE0EEENS1_38merge_mergepath_config_static_selectorELNS0_4arch9wavefront6targetE1EEEvSJ_, .Lfunc_end1159-_ZN7rocprim17ROCPRIM_400000_NS6detail17trampoline_kernelINS0_14default_configENS1_38merge_sort_block_merge_config_selectorIxxEEZZNS1_27merge_sort_block_merge_implIS3_N6thrust23THRUST_200600_302600_NS6detail15normal_iteratorINS8_10device_ptrIxEEEESD_jNS1_19radix_merge_compareILb0ELb1ExNS0_19identity_decomposerEEEEE10hipError_tT0_T1_T2_jT3_P12ihipStream_tbPNSt15iterator_traitsISI_E10value_typeEPNSO_ISJ_E10value_typeEPSK_NS1_7vsmem_tEENKUlT_SI_SJ_SK_E_clISD_PxSD_S10_EESH_SX_SI_SJ_SK_EUlSX_E0_NS1_11comp_targetILNS1_3genE2ELNS1_11target_archE906ELNS1_3gpuE6ELNS1_3repE0EEENS1_38merge_mergepath_config_static_selectorELNS0_4arch9wavefront6targetE1EEEvSJ_
                                        ; -- End function
	.set _ZN7rocprim17ROCPRIM_400000_NS6detail17trampoline_kernelINS0_14default_configENS1_38merge_sort_block_merge_config_selectorIxxEEZZNS1_27merge_sort_block_merge_implIS3_N6thrust23THRUST_200600_302600_NS6detail15normal_iteratorINS8_10device_ptrIxEEEESD_jNS1_19radix_merge_compareILb0ELb1ExNS0_19identity_decomposerEEEEE10hipError_tT0_T1_T2_jT3_P12ihipStream_tbPNSt15iterator_traitsISI_E10value_typeEPNSO_ISJ_E10value_typeEPSK_NS1_7vsmem_tEENKUlT_SI_SJ_SK_E_clISD_PxSD_S10_EESH_SX_SI_SJ_SK_EUlSX_E0_NS1_11comp_targetILNS1_3genE2ELNS1_11target_archE906ELNS1_3gpuE6ELNS1_3repE0EEENS1_38merge_mergepath_config_static_selectorELNS0_4arch9wavefront6targetE1EEEvSJ_.num_vgpr, 0
	.set _ZN7rocprim17ROCPRIM_400000_NS6detail17trampoline_kernelINS0_14default_configENS1_38merge_sort_block_merge_config_selectorIxxEEZZNS1_27merge_sort_block_merge_implIS3_N6thrust23THRUST_200600_302600_NS6detail15normal_iteratorINS8_10device_ptrIxEEEESD_jNS1_19radix_merge_compareILb0ELb1ExNS0_19identity_decomposerEEEEE10hipError_tT0_T1_T2_jT3_P12ihipStream_tbPNSt15iterator_traitsISI_E10value_typeEPNSO_ISJ_E10value_typeEPSK_NS1_7vsmem_tEENKUlT_SI_SJ_SK_E_clISD_PxSD_S10_EESH_SX_SI_SJ_SK_EUlSX_E0_NS1_11comp_targetILNS1_3genE2ELNS1_11target_archE906ELNS1_3gpuE6ELNS1_3repE0EEENS1_38merge_mergepath_config_static_selectorELNS0_4arch9wavefront6targetE1EEEvSJ_.num_agpr, 0
	.set _ZN7rocprim17ROCPRIM_400000_NS6detail17trampoline_kernelINS0_14default_configENS1_38merge_sort_block_merge_config_selectorIxxEEZZNS1_27merge_sort_block_merge_implIS3_N6thrust23THRUST_200600_302600_NS6detail15normal_iteratorINS8_10device_ptrIxEEEESD_jNS1_19radix_merge_compareILb0ELb1ExNS0_19identity_decomposerEEEEE10hipError_tT0_T1_T2_jT3_P12ihipStream_tbPNSt15iterator_traitsISI_E10value_typeEPNSO_ISJ_E10value_typeEPSK_NS1_7vsmem_tEENKUlT_SI_SJ_SK_E_clISD_PxSD_S10_EESH_SX_SI_SJ_SK_EUlSX_E0_NS1_11comp_targetILNS1_3genE2ELNS1_11target_archE906ELNS1_3gpuE6ELNS1_3repE0EEENS1_38merge_mergepath_config_static_selectorELNS0_4arch9wavefront6targetE1EEEvSJ_.numbered_sgpr, 0
	.set _ZN7rocprim17ROCPRIM_400000_NS6detail17trampoline_kernelINS0_14default_configENS1_38merge_sort_block_merge_config_selectorIxxEEZZNS1_27merge_sort_block_merge_implIS3_N6thrust23THRUST_200600_302600_NS6detail15normal_iteratorINS8_10device_ptrIxEEEESD_jNS1_19radix_merge_compareILb0ELb1ExNS0_19identity_decomposerEEEEE10hipError_tT0_T1_T2_jT3_P12ihipStream_tbPNSt15iterator_traitsISI_E10value_typeEPNSO_ISJ_E10value_typeEPSK_NS1_7vsmem_tEENKUlT_SI_SJ_SK_E_clISD_PxSD_S10_EESH_SX_SI_SJ_SK_EUlSX_E0_NS1_11comp_targetILNS1_3genE2ELNS1_11target_archE906ELNS1_3gpuE6ELNS1_3repE0EEENS1_38merge_mergepath_config_static_selectorELNS0_4arch9wavefront6targetE1EEEvSJ_.num_named_barrier, 0
	.set _ZN7rocprim17ROCPRIM_400000_NS6detail17trampoline_kernelINS0_14default_configENS1_38merge_sort_block_merge_config_selectorIxxEEZZNS1_27merge_sort_block_merge_implIS3_N6thrust23THRUST_200600_302600_NS6detail15normal_iteratorINS8_10device_ptrIxEEEESD_jNS1_19radix_merge_compareILb0ELb1ExNS0_19identity_decomposerEEEEE10hipError_tT0_T1_T2_jT3_P12ihipStream_tbPNSt15iterator_traitsISI_E10value_typeEPNSO_ISJ_E10value_typeEPSK_NS1_7vsmem_tEENKUlT_SI_SJ_SK_E_clISD_PxSD_S10_EESH_SX_SI_SJ_SK_EUlSX_E0_NS1_11comp_targetILNS1_3genE2ELNS1_11target_archE906ELNS1_3gpuE6ELNS1_3repE0EEENS1_38merge_mergepath_config_static_selectorELNS0_4arch9wavefront6targetE1EEEvSJ_.private_seg_size, 0
	.set _ZN7rocprim17ROCPRIM_400000_NS6detail17trampoline_kernelINS0_14default_configENS1_38merge_sort_block_merge_config_selectorIxxEEZZNS1_27merge_sort_block_merge_implIS3_N6thrust23THRUST_200600_302600_NS6detail15normal_iteratorINS8_10device_ptrIxEEEESD_jNS1_19radix_merge_compareILb0ELb1ExNS0_19identity_decomposerEEEEE10hipError_tT0_T1_T2_jT3_P12ihipStream_tbPNSt15iterator_traitsISI_E10value_typeEPNSO_ISJ_E10value_typeEPSK_NS1_7vsmem_tEENKUlT_SI_SJ_SK_E_clISD_PxSD_S10_EESH_SX_SI_SJ_SK_EUlSX_E0_NS1_11comp_targetILNS1_3genE2ELNS1_11target_archE906ELNS1_3gpuE6ELNS1_3repE0EEENS1_38merge_mergepath_config_static_selectorELNS0_4arch9wavefront6targetE1EEEvSJ_.uses_vcc, 0
	.set _ZN7rocprim17ROCPRIM_400000_NS6detail17trampoline_kernelINS0_14default_configENS1_38merge_sort_block_merge_config_selectorIxxEEZZNS1_27merge_sort_block_merge_implIS3_N6thrust23THRUST_200600_302600_NS6detail15normal_iteratorINS8_10device_ptrIxEEEESD_jNS1_19radix_merge_compareILb0ELb1ExNS0_19identity_decomposerEEEEE10hipError_tT0_T1_T2_jT3_P12ihipStream_tbPNSt15iterator_traitsISI_E10value_typeEPNSO_ISJ_E10value_typeEPSK_NS1_7vsmem_tEENKUlT_SI_SJ_SK_E_clISD_PxSD_S10_EESH_SX_SI_SJ_SK_EUlSX_E0_NS1_11comp_targetILNS1_3genE2ELNS1_11target_archE906ELNS1_3gpuE6ELNS1_3repE0EEENS1_38merge_mergepath_config_static_selectorELNS0_4arch9wavefront6targetE1EEEvSJ_.uses_flat_scratch, 0
	.set _ZN7rocprim17ROCPRIM_400000_NS6detail17trampoline_kernelINS0_14default_configENS1_38merge_sort_block_merge_config_selectorIxxEEZZNS1_27merge_sort_block_merge_implIS3_N6thrust23THRUST_200600_302600_NS6detail15normal_iteratorINS8_10device_ptrIxEEEESD_jNS1_19radix_merge_compareILb0ELb1ExNS0_19identity_decomposerEEEEE10hipError_tT0_T1_T2_jT3_P12ihipStream_tbPNSt15iterator_traitsISI_E10value_typeEPNSO_ISJ_E10value_typeEPSK_NS1_7vsmem_tEENKUlT_SI_SJ_SK_E_clISD_PxSD_S10_EESH_SX_SI_SJ_SK_EUlSX_E0_NS1_11comp_targetILNS1_3genE2ELNS1_11target_archE906ELNS1_3gpuE6ELNS1_3repE0EEENS1_38merge_mergepath_config_static_selectorELNS0_4arch9wavefront6targetE1EEEvSJ_.has_dyn_sized_stack, 0
	.set _ZN7rocprim17ROCPRIM_400000_NS6detail17trampoline_kernelINS0_14default_configENS1_38merge_sort_block_merge_config_selectorIxxEEZZNS1_27merge_sort_block_merge_implIS3_N6thrust23THRUST_200600_302600_NS6detail15normal_iteratorINS8_10device_ptrIxEEEESD_jNS1_19radix_merge_compareILb0ELb1ExNS0_19identity_decomposerEEEEE10hipError_tT0_T1_T2_jT3_P12ihipStream_tbPNSt15iterator_traitsISI_E10value_typeEPNSO_ISJ_E10value_typeEPSK_NS1_7vsmem_tEENKUlT_SI_SJ_SK_E_clISD_PxSD_S10_EESH_SX_SI_SJ_SK_EUlSX_E0_NS1_11comp_targetILNS1_3genE2ELNS1_11target_archE906ELNS1_3gpuE6ELNS1_3repE0EEENS1_38merge_mergepath_config_static_selectorELNS0_4arch9wavefront6targetE1EEEvSJ_.has_recursion, 0
	.set _ZN7rocprim17ROCPRIM_400000_NS6detail17trampoline_kernelINS0_14default_configENS1_38merge_sort_block_merge_config_selectorIxxEEZZNS1_27merge_sort_block_merge_implIS3_N6thrust23THRUST_200600_302600_NS6detail15normal_iteratorINS8_10device_ptrIxEEEESD_jNS1_19radix_merge_compareILb0ELb1ExNS0_19identity_decomposerEEEEE10hipError_tT0_T1_T2_jT3_P12ihipStream_tbPNSt15iterator_traitsISI_E10value_typeEPNSO_ISJ_E10value_typeEPSK_NS1_7vsmem_tEENKUlT_SI_SJ_SK_E_clISD_PxSD_S10_EESH_SX_SI_SJ_SK_EUlSX_E0_NS1_11comp_targetILNS1_3genE2ELNS1_11target_archE906ELNS1_3gpuE6ELNS1_3repE0EEENS1_38merge_mergepath_config_static_selectorELNS0_4arch9wavefront6targetE1EEEvSJ_.has_indirect_call, 0
	.section	.AMDGPU.csdata,"",@progbits
; Kernel info:
; codeLenInByte = 0
; TotalNumSgprs: 6
; NumVgprs: 0
; NumAgprs: 0
; TotalNumVgprs: 0
; ScratchSize: 0
; MemoryBound: 0
; FloatMode: 240
; IeeeMode: 1
; LDSByteSize: 0 bytes/workgroup (compile time only)
; SGPRBlocks: 0
; VGPRBlocks: 0
; NumSGPRsForWavesPerEU: 6
; NumVGPRsForWavesPerEU: 1
; AccumOffset: 4
; Occupancy: 8
; WaveLimiterHint : 0
; COMPUTE_PGM_RSRC2:SCRATCH_EN: 0
; COMPUTE_PGM_RSRC2:USER_SGPR: 2
; COMPUTE_PGM_RSRC2:TRAP_HANDLER: 0
; COMPUTE_PGM_RSRC2:TGID_X_EN: 1
; COMPUTE_PGM_RSRC2:TGID_Y_EN: 0
; COMPUTE_PGM_RSRC2:TGID_Z_EN: 0
; COMPUTE_PGM_RSRC2:TIDIG_COMP_CNT: 0
; COMPUTE_PGM_RSRC3_GFX90A:ACCUM_OFFSET: 0
; COMPUTE_PGM_RSRC3_GFX90A:TG_SPLIT: 0
	.section	.text._ZN7rocprim17ROCPRIM_400000_NS6detail17trampoline_kernelINS0_14default_configENS1_38merge_sort_block_merge_config_selectorIxxEEZZNS1_27merge_sort_block_merge_implIS3_N6thrust23THRUST_200600_302600_NS6detail15normal_iteratorINS8_10device_ptrIxEEEESD_jNS1_19radix_merge_compareILb0ELb1ExNS0_19identity_decomposerEEEEE10hipError_tT0_T1_T2_jT3_P12ihipStream_tbPNSt15iterator_traitsISI_E10value_typeEPNSO_ISJ_E10value_typeEPSK_NS1_7vsmem_tEENKUlT_SI_SJ_SK_E_clISD_PxSD_S10_EESH_SX_SI_SJ_SK_EUlSX_E0_NS1_11comp_targetILNS1_3genE9ELNS1_11target_archE1100ELNS1_3gpuE3ELNS1_3repE0EEENS1_38merge_mergepath_config_static_selectorELNS0_4arch9wavefront6targetE1EEEvSJ_,"axG",@progbits,_ZN7rocprim17ROCPRIM_400000_NS6detail17trampoline_kernelINS0_14default_configENS1_38merge_sort_block_merge_config_selectorIxxEEZZNS1_27merge_sort_block_merge_implIS3_N6thrust23THRUST_200600_302600_NS6detail15normal_iteratorINS8_10device_ptrIxEEEESD_jNS1_19radix_merge_compareILb0ELb1ExNS0_19identity_decomposerEEEEE10hipError_tT0_T1_T2_jT3_P12ihipStream_tbPNSt15iterator_traitsISI_E10value_typeEPNSO_ISJ_E10value_typeEPSK_NS1_7vsmem_tEENKUlT_SI_SJ_SK_E_clISD_PxSD_S10_EESH_SX_SI_SJ_SK_EUlSX_E0_NS1_11comp_targetILNS1_3genE9ELNS1_11target_archE1100ELNS1_3gpuE3ELNS1_3repE0EEENS1_38merge_mergepath_config_static_selectorELNS0_4arch9wavefront6targetE1EEEvSJ_,comdat
	.protected	_ZN7rocprim17ROCPRIM_400000_NS6detail17trampoline_kernelINS0_14default_configENS1_38merge_sort_block_merge_config_selectorIxxEEZZNS1_27merge_sort_block_merge_implIS3_N6thrust23THRUST_200600_302600_NS6detail15normal_iteratorINS8_10device_ptrIxEEEESD_jNS1_19radix_merge_compareILb0ELb1ExNS0_19identity_decomposerEEEEE10hipError_tT0_T1_T2_jT3_P12ihipStream_tbPNSt15iterator_traitsISI_E10value_typeEPNSO_ISJ_E10value_typeEPSK_NS1_7vsmem_tEENKUlT_SI_SJ_SK_E_clISD_PxSD_S10_EESH_SX_SI_SJ_SK_EUlSX_E0_NS1_11comp_targetILNS1_3genE9ELNS1_11target_archE1100ELNS1_3gpuE3ELNS1_3repE0EEENS1_38merge_mergepath_config_static_selectorELNS0_4arch9wavefront6targetE1EEEvSJ_ ; -- Begin function _ZN7rocprim17ROCPRIM_400000_NS6detail17trampoline_kernelINS0_14default_configENS1_38merge_sort_block_merge_config_selectorIxxEEZZNS1_27merge_sort_block_merge_implIS3_N6thrust23THRUST_200600_302600_NS6detail15normal_iteratorINS8_10device_ptrIxEEEESD_jNS1_19radix_merge_compareILb0ELb1ExNS0_19identity_decomposerEEEEE10hipError_tT0_T1_T2_jT3_P12ihipStream_tbPNSt15iterator_traitsISI_E10value_typeEPNSO_ISJ_E10value_typeEPSK_NS1_7vsmem_tEENKUlT_SI_SJ_SK_E_clISD_PxSD_S10_EESH_SX_SI_SJ_SK_EUlSX_E0_NS1_11comp_targetILNS1_3genE9ELNS1_11target_archE1100ELNS1_3gpuE3ELNS1_3repE0EEENS1_38merge_mergepath_config_static_selectorELNS0_4arch9wavefront6targetE1EEEvSJ_
	.globl	_ZN7rocprim17ROCPRIM_400000_NS6detail17trampoline_kernelINS0_14default_configENS1_38merge_sort_block_merge_config_selectorIxxEEZZNS1_27merge_sort_block_merge_implIS3_N6thrust23THRUST_200600_302600_NS6detail15normal_iteratorINS8_10device_ptrIxEEEESD_jNS1_19radix_merge_compareILb0ELb1ExNS0_19identity_decomposerEEEEE10hipError_tT0_T1_T2_jT3_P12ihipStream_tbPNSt15iterator_traitsISI_E10value_typeEPNSO_ISJ_E10value_typeEPSK_NS1_7vsmem_tEENKUlT_SI_SJ_SK_E_clISD_PxSD_S10_EESH_SX_SI_SJ_SK_EUlSX_E0_NS1_11comp_targetILNS1_3genE9ELNS1_11target_archE1100ELNS1_3gpuE3ELNS1_3repE0EEENS1_38merge_mergepath_config_static_selectorELNS0_4arch9wavefront6targetE1EEEvSJ_
	.p2align	8
	.type	_ZN7rocprim17ROCPRIM_400000_NS6detail17trampoline_kernelINS0_14default_configENS1_38merge_sort_block_merge_config_selectorIxxEEZZNS1_27merge_sort_block_merge_implIS3_N6thrust23THRUST_200600_302600_NS6detail15normal_iteratorINS8_10device_ptrIxEEEESD_jNS1_19radix_merge_compareILb0ELb1ExNS0_19identity_decomposerEEEEE10hipError_tT0_T1_T2_jT3_P12ihipStream_tbPNSt15iterator_traitsISI_E10value_typeEPNSO_ISJ_E10value_typeEPSK_NS1_7vsmem_tEENKUlT_SI_SJ_SK_E_clISD_PxSD_S10_EESH_SX_SI_SJ_SK_EUlSX_E0_NS1_11comp_targetILNS1_3genE9ELNS1_11target_archE1100ELNS1_3gpuE3ELNS1_3repE0EEENS1_38merge_mergepath_config_static_selectorELNS0_4arch9wavefront6targetE1EEEvSJ_,@function
_ZN7rocprim17ROCPRIM_400000_NS6detail17trampoline_kernelINS0_14default_configENS1_38merge_sort_block_merge_config_selectorIxxEEZZNS1_27merge_sort_block_merge_implIS3_N6thrust23THRUST_200600_302600_NS6detail15normal_iteratorINS8_10device_ptrIxEEEESD_jNS1_19radix_merge_compareILb0ELb1ExNS0_19identity_decomposerEEEEE10hipError_tT0_T1_T2_jT3_P12ihipStream_tbPNSt15iterator_traitsISI_E10value_typeEPNSO_ISJ_E10value_typeEPSK_NS1_7vsmem_tEENKUlT_SI_SJ_SK_E_clISD_PxSD_S10_EESH_SX_SI_SJ_SK_EUlSX_E0_NS1_11comp_targetILNS1_3genE9ELNS1_11target_archE1100ELNS1_3gpuE3ELNS1_3repE0EEENS1_38merge_mergepath_config_static_selectorELNS0_4arch9wavefront6targetE1EEEvSJ_: ; @_ZN7rocprim17ROCPRIM_400000_NS6detail17trampoline_kernelINS0_14default_configENS1_38merge_sort_block_merge_config_selectorIxxEEZZNS1_27merge_sort_block_merge_implIS3_N6thrust23THRUST_200600_302600_NS6detail15normal_iteratorINS8_10device_ptrIxEEEESD_jNS1_19radix_merge_compareILb0ELb1ExNS0_19identity_decomposerEEEEE10hipError_tT0_T1_T2_jT3_P12ihipStream_tbPNSt15iterator_traitsISI_E10value_typeEPNSO_ISJ_E10value_typeEPSK_NS1_7vsmem_tEENKUlT_SI_SJ_SK_E_clISD_PxSD_S10_EESH_SX_SI_SJ_SK_EUlSX_E0_NS1_11comp_targetILNS1_3genE9ELNS1_11target_archE1100ELNS1_3gpuE3ELNS1_3repE0EEENS1_38merge_mergepath_config_static_selectorELNS0_4arch9wavefront6targetE1EEEvSJ_
; %bb.0:
	.section	.rodata,"a",@progbits
	.p2align	6, 0x0
	.amdhsa_kernel _ZN7rocprim17ROCPRIM_400000_NS6detail17trampoline_kernelINS0_14default_configENS1_38merge_sort_block_merge_config_selectorIxxEEZZNS1_27merge_sort_block_merge_implIS3_N6thrust23THRUST_200600_302600_NS6detail15normal_iteratorINS8_10device_ptrIxEEEESD_jNS1_19radix_merge_compareILb0ELb1ExNS0_19identity_decomposerEEEEE10hipError_tT0_T1_T2_jT3_P12ihipStream_tbPNSt15iterator_traitsISI_E10value_typeEPNSO_ISJ_E10value_typeEPSK_NS1_7vsmem_tEENKUlT_SI_SJ_SK_E_clISD_PxSD_S10_EESH_SX_SI_SJ_SK_EUlSX_E0_NS1_11comp_targetILNS1_3genE9ELNS1_11target_archE1100ELNS1_3gpuE3ELNS1_3repE0EEENS1_38merge_mergepath_config_static_selectorELNS0_4arch9wavefront6targetE1EEEvSJ_
		.amdhsa_group_segment_fixed_size 0
		.amdhsa_private_segment_fixed_size 0
		.amdhsa_kernarg_size 72
		.amdhsa_user_sgpr_count 2
		.amdhsa_user_sgpr_dispatch_ptr 0
		.amdhsa_user_sgpr_queue_ptr 0
		.amdhsa_user_sgpr_kernarg_segment_ptr 1
		.amdhsa_user_sgpr_dispatch_id 0
		.amdhsa_user_sgpr_kernarg_preload_length 0
		.amdhsa_user_sgpr_kernarg_preload_offset 0
		.amdhsa_user_sgpr_private_segment_size 0
		.amdhsa_uses_dynamic_stack 0
		.amdhsa_enable_private_segment 0
		.amdhsa_system_sgpr_workgroup_id_x 1
		.amdhsa_system_sgpr_workgroup_id_y 0
		.amdhsa_system_sgpr_workgroup_id_z 0
		.amdhsa_system_sgpr_workgroup_info 0
		.amdhsa_system_vgpr_workitem_id 0
		.amdhsa_next_free_vgpr 1
		.amdhsa_next_free_sgpr 0
		.amdhsa_accum_offset 4
		.amdhsa_reserve_vcc 0
		.amdhsa_float_round_mode_32 0
		.amdhsa_float_round_mode_16_64 0
		.amdhsa_float_denorm_mode_32 3
		.amdhsa_float_denorm_mode_16_64 3
		.amdhsa_dx10_clamp 1
		.amdhsa_ieee_mode 1
		.amdhsa_fp16_overflow 0
		.amdhsa_tg_split 0
		.amdhsa_exception_fp_ieee_invalid_op 0
		.amdhsa_exception_fp_denorm_src 0
		.amdhsa_exception_fp_ieee_div_zero 0
		.amdhsa_exception_fp_ieee_overflow 0
		.amdhsa_exception_fp_ieee_underflow 0
		.amdhsa_exception_fp_ieee_inexact 0
		.amdhsa_exception_int_div_zero 0
	.end_amdhsa_kernel
	.section	.text._ZN7rocprim17ROCPRIM_400000_NS6detail17trampoline_kernelINS0_14default_configENS1_38merge_sort_block_merge_config_selectorIxxEEZZNS1_27merge_sort_block_merge_implIS3_N6thrust23THRUST_200600_302600_NS6detail15normal_iteratorINS8_10device_ptrIxEEEESD_jNS1_19radix_merge_compareILb0ELb1ExNS0_19identity_decomposerEEEEE10hipError_tT0_T1_T2_jT3_P12ihipStream_tbPNSt15iterator_traitsISI_E10value_typeEPNSO_ISJ_E10value_typeEPSK_NS1_7vsmem_tEENKUlT_SI_SJ_SK_E_clISD_PxSD_S10_EESH_SX_SI_SJ_SK_EUlSX_E0_NS1_11comp_targetILNS1_3genE9ELNS1_11target_archE1100ELNS1_3gpuE3ELNS1_3repE0EEENS1_38merge_mergepath_config_static_selectorELNS0_4arch9wavefront6targetE1EEEvSJ_,"axG",@progbits,_ZN7rocprim17ROCPRIM_400000_NS6detail17trampoline_kernelINS0_14default_configENS1_38merge_sort_block_merge_config_selectorIxxEEZZNS1_27merge_sort_block_merge_implIS3_N6thrust23THRUST_200600_302600_NS6detail15normal_iteratorINS8_10device_ptrIxEEEESD_jNS1_19radix_merge_compareILb0ELb1ExNS0_19identity_decomposerEEEEE10hipError_tT0_T1_T2_jT3_P12ihipStream_tbPNSt15iterator_traitsISI_E10value_typeEPNSO_ISJ_E10value_typeEPSK_NS1_7vsmem_tEENKUlT_SI_SJ_SK_E_clISD_PxSD_S10_EESH_SX_SI_SJ_SK_EUlSX_E0_NS1_11comp_targetILNS1_3genE9ELNS1_11target_archE1100ELNS1_3gpuE3ELNS1_3repE0EEENS1_38merge_mergepath_config_static_selectorELNS0_4arch9wavefront6targetE1EEEvSJ_,comdat
.Lfunc_end1160:
	.size	_ZN7rocprim17ROCPRIM_400000_NS6detail17trampoline_kernelINS0_14default_configENS1_38merge_sort_block_merge_config_selectorIxxEEZZNS1_27merge_sort_block_merge_implIS3_N6thrust23THRUST_200600_302600_NS6detail15normal_iteratorINS8_10device_ptrIxEEEESD_jNS1_19radix_merge_compareILb0ELb1ExNS0_19identity_decomposerEEEEE10hipError_tT0_T1_T2_jT3_P12ihipStream_tbPNSt15iterator_traitsISI_E10value_typeEPNSO_ISJ_E10value_typeEPSK_NS1_7vsmem_tEENKUlT_SI_SJ_SK_E_clISD_PxSD_S10_EESH_SX_SI_SJ_SK_EUlSX_E0_NS1_11comp_targetILNS1_3genE9ELNS1_11target_archE1100ELNS1_3gpuE3ELNS1_3repE0EEENS1_38merge_mergepath_config_static_selectorELNS0_4arch9wavefront6targetE1EEEvSJ_, .Lfunc_end1160-_ZN7rocprim17ROCPRIM_400000_NS6detail17trampoline_kernelINS0_14default_configENS1_38merge_sort_block_merge_config_selectorIxxEEZZNS1_27merge_sort_block_merge_implIS3_N6thrust23THRUST_200600_302600_NS6detail15normal_iteratorINS8_10device_ptrIxEEEESD_jNS1_19radix_merge_compareILb0ELb1ExNS0_19identity_decomposerEEEEE10hipError_tT0_T1_T2_jT3_P12ihipStream_tbPNSt15iterator_traitsISI_E10value_typeEPNSO_ISJ_E10value_typeEPSK_NS1_7vsmem_tEENKUlT_SI_SJ_SK_E_clISD_PxSD_S10_EESH_SX_SI_SJ_SK_EUlSX_E0_NS1_11comp_targetILNS1_3genE9ELNS1_11target_archE1100ELNS1_3gpuE3ELNS1_3repE0EEENS1_38merge_mergepath_config_static_selectorELNS0_4arch9wavefront6targetE1EEEvSJ_
                                        ; -- End function
	.set _ZN7rocprim17ROCPRIM_400000_NS6detail17trampoline_kernelINS0_14default_configENS1_38merge_sort_block_merge_config_selectorIxxEEZZNS1_27merge_sort_block_merge_implIS3_N6thrust23THRUST_200600_302600_NS6detail15normal_iteratorINS8_10device_ptrIxEEEESD_jNS1_19radix_merge_compareILb0ELb1ExNS0_19identity_decomposerEEEEE10hipError_tT0_T1_T2_jT3_P12ihipStream_tbPNSt15iterator_traitsISI_E10value_typeEPNSO_ISJ_E10value_typeEPSK_NS1_7vsmem_tEENKUlT_SI_SJ_SK_E_clISD_PxSD_S10_EESH_SX_SI_SJ_SK_EUlSX_E0_NS1_11comp_targetILNS1_3genE9ELNS1_11target_archE1100ELNS1_3gpuE3ELNS1_3repE0EEENS1_38merge_mergepath_config_static_selectorELNS0_4arch9wavefront6targetE1EEEvSJ_.num_vgpr, 0
	.set _ZN7rocprim17ROCPRIM_400000_NS6detail17trampoline_kernelINS0_14default_configENS1_38merge_sort_block_merge_config_selectorIxxEEZZNS1_27merge_sort_block_merge_implIS3_N6thrust23THRUST_200600_302600_NS6detail15normal_iteratorINS8_10device_ptrIxEEEESD_jNS1_19radix_merge_compareILb0ELb1ExNS0_19identity_decomposerEEEEE10hipError_tT0_T1_T2_jT3_P12ihipStream_tbPNSt15iterator_traitsISI_E10value_typeEPNSO_ISJ_E10value_typeEPSK_NS1_7vsmem_tEENKUlT_SI_SJ_SK_E_clISD_PxSD_S10_EESH_SX_SI_SJ_SK_EUlSX_E0_NS1_11comp_targetILNS1_3genE9ELNS1_11target_archE1100ELNS1_3gpuE3ELNS1_3repE0EEENS1_38merge_mergepath_config_static_selectorELNS0_4arch9wavefront6targetE1EEEvSJ_.num_agpr, 0
	.set _ZN7rocprim17ROCPRIM_400000_NS6detail17trampoline_kernelINS0_14default_configENS1_38merge_sort_block_merge_config_selectorIxxEEZZNS1_27merge_sort_block_merge_implIS3_N6thrust23THRUST_200600_302600_NS6detail15normal_iteratorINS8_10device_ptrIxEEEESD_jNS1_19radix_merge_compareILb0ELb1ExNS0_19identity_decomposerEEEEE10hipError_tT0_T1_T2_jT3_P12ihipStream_tbPNSt15iterator_traitsISI_E10value_typeEPNSO_ISJ_E10value_typeEPSK_NS1_7vsmem_tEENKUlT_SI_SJ_SK_E_clISD_PxSD_S10_EESH_SX_SI_SJ_SK_EUlSX_E0_NS1_11comp_targetILNS1_3genE9ELNS1_11target_archE1100ELNS1_3gpuE3ELNS1_3repE0EEENS1_38merge_mergepath_config_static_selectorELNS0_4arch9wavefront6targetE1EEEvSJ_.numbered_sgpr, 0
	.set _ZN7rocprim17ROCPRIM_400000_NS6detail17trampoline_kernelINS0_14default_configENS1_38merge_sort_block_merge_config_selectorIxxEEZZNS1_27merge_sort_block_merge_implIS3_N6thrust23THRUST_200600_302600_NS6detail15normal_iteratorINS8_10device_ptrIxEEEESD_jNS1_19radix_merge_compareILb0ELb1ExNS0_19identity_decomposerEEEEE10hipError_tT0_T1_T2_jT3_P12ihipStream_tbPNSt15iterator_traitsISI_E10value_typeEPNSO_ISJ_E10value_typeEPSK_NS1_7vsmem_tEENKUlT_SI_SJ_SK_E_clISD_PxSD_S10_EESH_SX_SI_SJ_SK_EUlSX_E0_NS1_11comp_targetILNS1_3genE9ELNS1_11target_archE1100ELNS1_3gpuE3ELNS1_3repE0EEENS1_38merge_mergepath_config_static_selectorELNS0_4arch9wavefront6targetE1EEEvSJ_.num_named_barrier, 0
	.set _ZN7rocprim17ROCPRIM_400000_NS6detail17trampoline_kernelINS0_14default_configENS1_38merge_sort_block_merge_config_selectorIxxEEZZNS1_27merge_sort_block_merge_implIS3_N6thrust23THRUST_200600_302600_NS6detail15normal_iteratorINS8_10device_ptrIxEEEESD_jNS1_19radix_merge_compareILb0ELb1ExNS0_19identity_decomposerEEEEE10hipError_tT0_T1_T2_jT3_P12ihipStream_tbPNSt15iterator_traitsISI_E10value_typeEPNSO_ISJ_E10value_typeEPSK_NS1_7vsmem_tEENKUlT_SI_SJ_SK_E_clISD_PxSD_S10_EESH_SX_SI_SJ_SK_EUlSX_E0_NS1_11comp_targetILNS1_3genE9ELNS1_11target_archE1100ELNS1_3gpuE3ELNS1_3repE0EEENS1_38merge_mergepath_config_static_selectorELNS0_4arch9wavefront6targetE1EEEvSJ_.private_seg_size, 0
	.set _ZN7rocprim17ROCPRIM_400000_NS6detail17trampoline_kernelINS0_14default_configENS1_38merge_sort_block_merge_config_selectorIxxEEZZNS1_27merge_sort_block_merge_implIS3_N6thrust23THRUST_200600_302600_NS6detail15normal_iteratorINS8_10device_ptrIxEEEESD_jNS1_19radix_merge_compareILb0ELb1ExNS0_19identity_decomposerEEEEE10hipError_tT0_T1_T2_jT3_P12ihipStream_tbPNSt15iterator_traitsISI_E10value_typeEPNSO_ISJ_E10value_typeEPSK_NS1_7vsmem_tEENKUlT_SI_SJ_SK_E_clISD_PxSD_S10_EESH_SX_SI_SJ_SK_EUlSX_E0_NS1_11comp_targetILNS1_3genE9ELNS1_11target_archE1100ELNS1_3gpuE3ELNS1_3repE0EEENS1_38merge_mergepath_config_static_selectorELNS0_4arch9wavefront6targetE1EEEvSJ_.uses_vcc, 0
	.set _ZN7rocprim17ROCPRIM_400000_NS6detail17trampoline_kernelINS0_14default_configENS1_38merge_sort_block_merge_config_selectorIxxEEZZNS1_27merge_sort_block_merge_implIS3_N6thrust23THRUST_200600_302600_NS6detail15normal_iteratorINS8_10device_ptrIxEEEESD_jNS1_19radix_merge_compareILb0ELb1ExNS0_19identity_decomposerEEEEE10hipError_tT0_T1_T2_jT3_P12ihipStream_tbPNSt15iterator_traitsISI_E10value_typeEPNSO_ISJ_E10value_typeEPSK_NS1_7vsmem_tEENKUlT_SI_SJ_SK_E_clISD_PxSD_S10_EESH_SX_SI_SJ_SK_EUlSX_E0_NS1_11comp_targetILNS1_3genE9ELNS1_11target_archE1100ELNS1_3gpuE3ELNS1_3repE0EEENS1_38merge_mergepath_config_static_selectorELNS0_4arch9wavefront6targetE1EEEvSJ_.uses_flat_scratch, 0
	.set _ZN7rocprim17ROCPRIM_400000_NS6detail17trampoline_kernelINS0_14default_configENS1_38merge_sort_block_merge_config_selectorIxxEEZZNS1_27merge_sort_block_merge_implIS3_N6thrust23THRUST_200600_302600_NS6detail15normal_iteratorINS8_10device_ptrIxEEEESD_jNS1_19radix_merge_compareILb0ELb1ExNS0_19identity_decomposerEEEEE10hipError_tT0_T1_T2_jT3_P12ihipStream_tbPNSt15iterator_traitsISI_E10value_typeEPNSO_ISJ_E10value_typeEPSK_NS1_7vsmem_tEENKUlT_SI_SJ_SK_E_clISD_PxSD_S10_EESH_SX_SI_SJ_SK_EUlSX_E0_NS1_11comp_targetILNS1_3genE9ELNS1_11target_archE1100ELNS1_3gpuE3ELNS1_3repE0EEENS1_38merge_mergepath_config_static_selectorELNS0_4arch9wavefront6targetE1EEEvSJ_.has_dyn_sized_stack, 0
	.set _ZN7rocprim17ROCPRIM_400000_NS6detail17trampoline_kernelINS0_14default_configENS1_38merge_sort_block_merge_config_selectorIxxEEZZNS1_27merge_sort_block_merge_implIS3_N6thrust23THRUST_200600_302600_NS6detail15normal_iteratorINS8_10device_ptrIxEEEESD_jNS1_19radix_merge_compareILb0ELb1ExNS0_19identity_decomposerEEEEE10hipError_tT0_T1_T2_jT3_P12ihipStream_tbPNSt15iterator_traitsISI_E10value_typeEPNSO_ISJ_E10value_typeEPSK_NS1_7vsmem_tEENKUlT_SI_SJ_SK_E_clISD_PxSD_S10_EESH_SX_SI_SJ_SK_EUlSX_E0_NS1_11comp_targetILNS1_3genE9ELNS1_11target_archE1100ELNS1_3gpuE3ELNS1_3repE0EEENS1_38merge_mergepath_config_static_selectorELNS0_4arch9wavefront6targetE1EEEvSJ_.has_recursion, 0
	.set _ZN7rocprim17ROCPRIM_400000_NS6detail17trampoline_kernelINS0_14default_configENS1_38merge_sort_block_merge_config_selectorIxxEEZZNS1_27merge_sort_block_merge_implIS3_N6thrust23THRUST_200600_302600_NS6detail15normal_iteratorINS8_10device_ptrIxEEEESD_jNS1_19radix_merge_compareILb0ELb1ExNS0_19identity_decomposerEEEEE10hipError_tT0_T1_T2_jT3_P12ihipStream_tbPNSt15iterator_traitsISI_E10value_typeEPNSO_ISJ_E10value_typeEPSK_NS1_7vsmem_tEENKUlT_SI_SJ_SK_E_clISD_PxSD_S10_EESH_SX_SI_SJ_SK_EUlSX_E0_NS1_11comp_targetILNS1_3genE9ELNS1_11target_archE1100ELNS1_3gpuE3ELNS1_3repE0EEENS1_38merge_mergepath_config_static_selectorELNS0_4arch9wavefront6targetE1EEEvSJ_.has_indirect_call, 0
	.section	.AMDGPU.csdata,"",@progbits
; Kernel info:
; codeLenInByte = 0
; TotalNumSgprs: 6
; NumVgprs: 0
; NumAgprs: 0
; TotalNumVgprs: 0
; ScratchSize: 0
; MemoryBound: 0
; FloatMode: 240
; IeeeMode: 1
; LDSByteSize: 0 bytes/workgroup (compile time only)
; SGPRBlocks: 0
; VGPRBlocks: 0
; NumSGPRsForWavesPerEU: 6
; NumVGPRsForWavesPerEU: 1
; AccumOffset: 4
; Occupancy: 8
; WaveLimiterHint : 0
; COMPUTE_PGM_RSRC2:SCRATCH_EN: 0
; COMPUTE_PGM_RSRC2:USER_SGPR: 2
; COMPUTE_PGM_RSRC2:TRAP_HANDLER: 0
; COMPUTE_PGM_RSRC2:TGID_X_EN: 1
; COMPUTE_PGM_RSRC2:TGID_Y_EN: 0
; COMPUTE_PGM_RSRC2:TGID_Z_EN: 0
; COMPUTE_PGM_RSRC2:TIDIG_COMP_CNT: 0
; COMPUTE_PGM_RSRC3_GFX90A:ACCUM_OFFSET: 0
; COMPUTE_PGM_RSRC3_GFX90A:TG_SPLIT: 0
	.section	.text._ZN7rocprim17ROCPRIM_400000_NS6detail17trampoline_kernelINS0_14default_configENS1_38merge_sort_block_merge_config_selectorIxxEEZZNS1_27merge_sort_block_merge_implIS3_N6thrust23THRUST_200600_302600_NS6detail15normal_iteratorINS8_10device_ptrIxEEEESD_jNS1_19radix_merge_compareILb0ELb1ExNS0_19identity_decomposerEEEEE10hipError_tT0_T1_T2_jT3_P12ihipStream_tbPNSt15iterator_traitsISI_E10value_typeEPNSO_ISJ_E10value_typeEPSK_NS1_7vsmem_tEENKUlT_SI_SJ_SK_E_clISD_PxSD_S10_EESH_SX_SI_SJ_SK_EUlSX_E0_NS1_11comp_targetILNS1_3genE8ELNS1_11target_archE1030ELNS1_3gpuE2ELNS1_3repE0EEENS1_38merge_mergepath_config_static_selectorELNS0_4arch9wavefront6targetE1EEEvSJ_,"axG",@progbits,_ZN7rocprim17ROCPRIM_400000_NS6detail17trampoline_kernelINS0_14default_configENS1_38merge_sort_block_merge_config_selectorIxxEEZZNS1_27merge_sort_block_merge_implIS3_N6thrust23THRUST_200600_302600_NS6detail15normal_iteratorINS8_10device_ptrIxEEEESD_jNS1_19radix_merge_compareILb0ELb1ExNS0_19identity_decomposerEEEEE10hipError_tT0_T1_T2_jT3_P12ihipStream_tbPNSt15iterator_traitsISI_E10value_typeEPNSO_ISJ_E10value_typeEPSK_NS1_7vsmem_tEENKUlT_SI_SJ_SK_E_clISD_PxSD_S10_EESH_SX_SI_SJ_SK_EUlSX_E0_NS1_11comp_targetILNS1_3genE8ELNS1_11target_archE1030ELNS1_3gpuE2ELNS1_3repE0EEENS1_38merge_mergepath_config_static_selectorELNS0_4arch9wavefront6targetE1EEEvSJ_,comdat
	.protected	_ZN7rocprim17ROCPRIM_400000_NS6detail17trampoline_kernelINS0_14default_configENS1_38merge_sort_block_merge_config_selectorIxxEEZZNS1_27merge_sort_block_merge_implIS3_N6thrust23THRUST_200600_302600_NS6detail15normal_iteratorINS8_10device_ptrIxEEEESD_jNS1_19radix_merge_compareILb0ELb1ExNS0_19identity_decomposerEEEEE10hipError_tT0_T1_T2_jT3_P12ihipStream_tbPNSt15iterator_traitsISI_E10value_typeEPNSO_ISJ_E10value_typeEPSK_NS1_7vsmem_tEENKUlT_SI_SJ_SK_E_clISD_PxSD_S10_EESH_SX_SI_SJ_SK_EUlSX_E0_NS1_11comp_targetILNS1_3genE8ELNS1_11target_archE1030ELNS1_3gpuE2ELNS1_3repE0EEENS1_38merge_mergepath_config_static_selectorELNS0_4arch9wavefront6targetE1EEEvSJ_ ; -- Begin function _ZN7rocprim17ROCPRIM_400000_NS6detail17trampoline_kernelINS0_14default_configENS1_38merge_sort_block_merge_config_selectorIxxEEZZNS1_27merge_sort_block_merge_implIS3_N6thrust23THRUST_200600_302600_NS6detail15normal_iteratorINS8_10device_ptrIxEEEESD_jNS1_19radix_merge_compareILb0ELb1ExNS0_19identity_decomposerEEEEE10hipError_tT0_T1_T2_jT3_P12ihipStream_tbPNSt15iterator_traitsISI_E10value_typeEPNSO_ISJ_E10value_typeEPSK_NS1_7vsmem_tEENKUlT_SI_SJ_SK_E_clISD_PxSD_S10_EESH_SX_SI_SJ_SK_EUlSX_E0_NS1_11comp_targetILNS1_3genE8ELNS1_11target_archE1030ELNS1_3gpuE2ELNS1_3repE0EEENS1_38merge_mergepath_config_static_selectorELNS0_4arch9wavefront6targetE1EEEvSJ_
	.globl	_ZN7rocprim17ROCPRIM_400000_NS6detail17trampoline_kernelINS0_14default_configENS1_38merge_sort_block_merge_config_selectorIxxEEZZNS1_27merge_sort_block_merge_implIS3_N6thrust23THRUST_200600_302600_NS6detail15normal_iteratorINS8_10device_ptrIxEEEESD_jNS1_19radix_merge_compareILb0ELb1ExNS0_19identity_decomposerEEEEE10hipError_tT0_T1_T2_jT3_P12ihipStream_tbPNSt15iterator_traitsISI_E10value_typeEPNSO_ISJ_E10value_typeEPSK_NS1_7vsmem_tEENKUlT_SI_SJ_SK_E_clISD_PxSD_S10_EESH_SX_SI_SJ_SK_EUlSX_E0_NS1_11comp_targetILNS1_3genE8ELNS1_11target_archE1030ELNS1_3gpuE2ELNS1_3repE0EEENS1_38merge_mergepath_config_static_selectorELNS0_4arch9wavefront6targetE1EEEvSJ_
	.p2align	8
	.type	_ZN7rocprim17ROCPRIM_400000_NS6detail17trampoline_kernelINS0_14default_configENS1_38merge_sort_block_merge_config_selectorIxxEEZZNS1_27merge_sort_block_merge_implIS3_N6thrust23THRUST_200600_302600_NS6detail15normal_iteratorINS8_10device_ptrIxEEEESD_jNS1_19radix_merge_compareILb0ELb1ExNS0_19identity_decomposerEEEEE10hipError_tT0_T1_T2_jT3_P12ihipStream_tbPNSt15iterator_traitsISI_E10value_typeEPNSO_ISJ_E10value_typeEPSK_NS1_7vsmem_tEENKUlT_SI_SJ_SK_E_clISD_PxSD_S10_EESH_SX_SI_SJ_SK_EUlSX_E0_NS1_11comp_targetILNS1_3genE8ELNS1_11target_archE1030ELNS1_3gpuE2ELNS1_3repE0EEENS1_38merge_mergepath_config_static_selectorELNS0_4arch9wavefront6targetE1EEEvSJ_,@function
_ZN7rocprim17ROCPRIM_400000_NS6detail17trampoline_kernelINS0_14default_configENS1_38merge_sort_block_merge_config_selectorIxxEEZZNS1_27merge_sort_block_merge_implIS3_N6thrust23THRUST_200600_302600_NS6detail15normal_iteratorINS8_10device_ptrIxEEEESD_jNS1_19radix_merge_compareILb0ELb1ExNS0_19identity_decomposerEEEEE10hipError_tT0_T1_T2_jT3_P12ihipStream_tbPNSt15iterator_traitsISI_E10value_typeEPNSO_ISJ_E10value_typeEPSK_NS1_7vsmem_tEENKUlT_SI_SJ_SK_E_clISD_PxSD_S10_EESH_SX_SI_SJ_SK_EUlSX_E0_NS1_11comp_targetILNS1_3genE8ELNS1_11target_archE1030ELNS1_3gpuE2ELNS1_3repE0EEENS1_38merge_mergepath_config_static_selectorELNS0_4arch9wavefront6targetE1EEEvSJ_: ; @_ZN7rocprim17ROCPRIM_400000_NS6detail17trampoline_kernelINS0_14default_configENS1_38merge_sort_block_merge_config_selectorIxxEEZZNS1_27merge_sort_block_merge_implIS3_N6thrust23THRUST_200600_302600_NS6detail15normal_iteratorINS8_10device_ptrIxEEEESD_jNS1_19radix_merge_compareILb0ELb1ExNS0_19identity_decomposerEEEEE10hipError_tT0_T1_T2_jT3_P12ihipStream_tbPNSt15iterator_traitsISI_E10value_typeEPNSO_ISJ_E10value_typeEPSK_NS1_7vsmem_tEENKUlT_SI_SJ_SK_E_clISD_PxSD_S10_EESH_SX_SI_SJ_SK_EUlSX_E0_NS1_11comp_targetILNS1_3genE8ELNS1_11target_archE1030ELNS1_3gpuE2ELNS1_3repE0EEENS1_38merge_mergepath_config_static_selectorELNS0_4arch9wavefront6targetE1EEEvSJ_
; %bb.0:
	.section	.rodata,"a",@progbits
	.p2align	6, 0x0
	.amdhsa_kernel _ZN7rocprim17ROCPRIM_400000_NS6detail17trampoline_kernelINS0_14default_configENS1_38merge_sort_block_merge_config_selectorIxxEEZZNS1_27merge_sort_block_merge_implIS3_N6thrust23THRUST_200600_302600_NS6detail15normal_iteratorINS8_10device_ptrIxEEEESD_jNS1_19radix_merge_compareILb0ELb1ExNS0_19identity_decomposerEEEEE10hipError_tT0_T1_T2_jT3_P12ihipStream_tbPNSt15iterator_traitsISI_E10value_typeEPNSO_ISJ_E10value_typeEPSK_NS1_7vsmem_tEENKUlT_SI_SJ_SK_E_clISD_PxSD_S10_EESH_SX_SI_SJ_SK_EUlSX_E0_NS1_11comp_targetILNS1_3genE8ELNS1_11target_archE1030ELNS1_3gpuE2ELNS1_3repE0EEENS1_38merge_mergepath_config_static_selectorELNS0_4arch9wavefront6targetE1EEEvSJ_
		.amdhsa_group_segment_fixed_size 0
		.amdhsa_private_segment_fixed_size 0
		.amdhsa_kernarg_size 72
		.amdhsa_user_sgpr_count 2
		.amdhsa_user_sgpr_dispatch_ptr 0
		.amdhsa_user_sgpr_queue_ptr 0
		.amdhsa_user_sgpr_kernarg_segment_ptr 1
		.amdhsa_user_sgpr_dispatch_id 0
		.amdhsa_user_sgpr_kernarg_preload_length 0
		.amdhsa_user_sgpr_kernarg_preload_offset 0
		.amdhsa_user_sgpr_private_segment_size 0
		.amdhsa_uses_dynamic_stack 0
		.amdhsa_enable_private_segment 0
		.amdhsa_system_sgpr_workgroup_id_x 1
		.amdhsa_system_sgpr_workgroup_id_y 0
		.amdhsa_system_sgpr_workgroup_id_z 0
		.amdhsa_system_sgpr_workgroup_info 0
		.amdhsa_system_vgpr_workitem_id 0
		.amdhsa_next_free_vgpr 1
		.amdhsa_next_free_sgpr 0
		.amdhsa_accum_offset 4
		.amdhsa_reserve_vcc 0
		.amdhsa_float_round_mode_32 0
		.amdhsa_float_round_mode_16_64 0
		.amdhsa_float_denorm_mode_32 3
		.amdhsa_float_denorm_mode_16_64 3
		.amdhsa_dx10_clamp 1
		.amdhsa_ieee_mode 1
		.amdhsa_fp16_overflow 0
		.amdhsa_tg_split 0
		.amdhsa_exception_fp_ieee_invalid_op 0
		.amdhsa_exception_fp_denorm_src 0
		.amdhsa_exception_fp_ieee_div_zero 0
		.amdhsa_exception_fp_ieee_overflow 0
		.amdhsa_exception_fp_ieee_underflow 0
		.amdhsa_exception_fp_ieee_inexact 0
		.amdhsa_exception_int_div_zero 0
	.end_amdhsa_kernel
	.section	.text._ZN7rocprim17ROCPRIM_400000_NS6detail17trampoline_kernelINS0_14default_configENS1_38merge_sort_block_merge_config_selectorIxxEEZZNS1_27merge_sort_block_merge_implIS3_N6thrust23THRUST_200600_302600_NS6detail15normal_iteratorINS8_10device_ptrIxEEEESD_jNS1_19radix_merge_compareILb0ELb1ExNS0_19identity_decomposerEEEEE10hipError_tT0_T1_T2_jT3_P12ihipStream_tbPNSt15iterator_traitsISI_E10value_typeEPNSO_ISJ_E10value_typeEPSK_NS1_7vsmem_tEENKUlT_SI_SJ_SK_E_clISD_PxSD_S10_EESH_SX_SI_SJ_SK_EUlSX_E0_NS1_11comp_targetILNS1_3genE8ELNS1_11target_archE1030ELNS1_3gpuE2ELNS1_3repE0EEENS1_38merge_mergepath_config_static_selectorELNS0_4arch9wavefront6targetE1EEEvSJ_,"axG",@progbits,_ZN7rocprim17ROCPRIM_400000_NS6detail17trampoline_kernelINS0_14default_configENS1_38merge_sort_block_merge_config_selectorIxxEEZZNS1_27merge_sort_block_merge_implIS3_N6thrust23THRUST_200600_302600_NS6detail15normal_iteratorINS8_10device_ptrIxEEEESD_jNS1_19radix_merge_compareILb0ELb1ExNS0_19identity_decomposerEEEEE10hipError_tT0_T1_T2_jT3_P12ihipStream_tbPNSt15iterator_traitsISI_E10value_typeEPNSO_ISJ_E10value_typeEPSK_NS1_7vsmem_tEENKUlT_SI_SJ_SK_E_clISD_PxSD_S10_EESH_SX_SI_SJ_SK_EUlSX_E0_NS1_11comp_targetILNS1_3genE8ELNS1_11target_archE1030ELNS1_3gpuE2ELNS1_3repE0EEENS1_38merge_mergepath_config_static_selectorELNS0_4arch9wavefront6targetE1EEEvSJ_,comdat
.Lfunc_end1161:
	.size	_ZN7rocprim17ROCPRIM_400000_NS6detail17trampoline_kernelINS0_14default_configENS1_38merge_sort_block_merge_config_selectorIxxEEZZNS1_27merge_sort_block_merge_implIS3_N6thrust23THRUST_200600_302600_NS6detail15normal_iteratorINS8_10device_ptrIxEEEESD_jNS1_19radix_merge_compareILb0ELb1ExNS0_19identity_decomposerEEEEE10hipError_tT0_T1_T2_jT3_P12ihipStream_tbPNSt15iterator_traitsISI_E10value_typeEPNSO_ISJ_E10value_typeEPSK_NS1_7vsmem_tEENKUlT_SI_SJ_SK_E_clISD_PxSD_S10_EESH_SX_SI_SJ_SK_EUlSX_E0_NS1_11comp_targetILNS1_3genE8ELNS1_11target_archE1030ELNS1_3gpuE2ELNS1_3repE0EEENS1_38merge_mergepath_config_static_selectorELNS0_4arch9wavefront6targetE1EEEvSJ_, .Lfunc_end1161-_ZN7rocprim17ROCPRIM_400000_NS6detail17trampoline_kernelINS0_14default_configENS1_38merge_sort_block_merge_config_selectorIxxEEZZNS1_27merge_sort_block_merge_implIS3_N6thrust23THRUST_200600_302600_NS6detail15normal_iteratorINS8_10device_ptrIxEEEESD_jNS1_19radix_merge_compareILb0ELb1ExNS0_19identity_decomposerEEEEE10hipError_tT0_T1_T2_jT3_P12ihipStream_tbPNSt15iterator_traitsISI_E10value_typeEPNSO_ISJ_E10value_typeEPSK_NS1_7vsmem_tEENKUlT_SI_SJ_SK_E_clISD_PxSD_S10_EESH_SX_SI_SJ_SK_EUlSX_E0_NS1_11comp_targetILNS1_3genE8ELNS1_11target_archE1030ELNS1_3gpuE2ELNS1_3repE0EEENS1_38merge_mergepath_config_static_selectorELNS0_4arch9wavefront6targetE1EEEvSJ_
                                        ; -- End function
	.set _ZN7rocprim17ROCPRIM_400000_NS6detail17trampoline_kernelINS0_14default_configENS1_38merge_sort_block_merge_config_selectorIxxEEZZNS1_27merge_sort_block_merge_implIS3_N6thrust23THRUST_200600_302600_NS6detail15normal_iteratorINS8_10device_ptrIxEEEESD_jNS1_19radix_merge_compareILb0ELb1ExNS0_19identity_decomposerEEEEE10hipError_tT0_T1_T2_jT3_P12ihipStream_tbPNSt15iterator_traitsISI_E10value_typeEPNSO_ISJ_E10value_typeEPSK_NS1_7vsmem_tEENKUlT_SI_SJ_SK_E_clISD_PxSD_S10_EESH_SX_SI_SJ_SK_EUlSX_E0_NS1_11comp_targetILNS1_3genE8ELNS1_11target_archE1030ELNS1_3gpuE2ELNS1_3repE0EEENS1_38merge_mergepath_config_static_selectorELNS0_4arch9wavefront6targetE1EEEvSJ_.num_vgpr, 0
	.set _ZN7rocprim17ROCPRIM_400000_NS6detail17trampoline_kernelINS0_14default_configENS1_38merge_sort_block_merge_config_selectorIxxEEZZNS1_27merge_sort_block_merge_implIS3_N6thrust23THRUST_200600_302600_NS6detail15normal_iteratorINS8_10device_ptrIxEEEESD_jNS1_19radix_merge_compareILb0ELb1ExNS0_19identity_decomposerEEEEE10hipError_tT0_T1_T2_jT3_P12ihipStream_tbPNSt15iterator_traitsISI_E10value_typeEPNSO_ISJ_E10value_typeEPSK_NS1_7vsmem_tEENKUlT_SI_SJ_SK_E_clISD_PxSD_S10_EESH_SX_SI_SJ_SK_EUlSX_E0_NS1_11comp_targetILNS1_3genE8ELNS1_11target_archE1030ELNS1_3gpuE2ELNS1_3repE0EEENS1_38merge_mergepath_config_static_selectorELNS0_4arch9wavefront6targetE1EEEvSJ_.num_agpr, 0
	.set _ZN7rocprim17ROCPRIM_400000_NS6detail17trampoline_kernelINS0_14default_configENS1_38merge_sort_block_merge_config_selectorIxxEEZZNS1_27merge_sort_block_merge_implIS3_N6thrust23THRUST_200600_302600_NS6detail15normal_iteratorINS8_10device_ptrIxEEEESD_jNS1_19radix_merge_compareILb0ELb1ExNS0_19identity_decomposerEEEEE10hipError_tT0_T1_T2_jT3_P12ihipStream_tbPNSt15iterator_traitsISI_E10value_typeEPNSO_ISJ_E10value_typeEPSK_NS1_7vsmem_tEENKUlT_SI_SJ_SK_E_clISD_PxSD_S10_EESH_SX_SI_SJ_SK_EUlSX_E0_NS1_11comp_targetILNS1_3genE8ELNS1_11target_archE1030ELNS1_3gpuE2ELNS1_3repE0EEENS1_38merge_mergepath_config_static_selectorELNS0_4arch9wavefront6targetE1EEEvSJ_.numbered_sgpr, 0
	.set _ZN7rocprim17ROCPRIM_400000_NS6detail17trampoline_kernelINS0_14default_configENS1_38merge_sort_block_merge_config_selectorIxxEEZZNS1_27merge_sort_block_merge_implIS3_N6thrust23THRUST_200600_302600_NS6detail15normal_iteratorINS8_10device_ptrIxEEEESD_jNS1_19radix_merge_compareILb0ELb1ExNS0_19identity_decomposerEEEEE10hipError_tT0_T1_T2_jT3_P12ihipStream_tbPNSt15iterator_traitsISI_E10value_typeEPNSO_ISJ_E10value_typeEPSK_NS1_7vsmem_tEENKUlT_SI_SJ_SK_E_clISD_PxSD_S10_EESH_SX_SI_SJ_SK_EUlSX_E0_NS1_11comp_targetILNS1_3genE8ELNS1_11target_archE1030ELNS1_3gpuE2ELNS1_3repE0EEENS1_38merge_mergepath_config_static_selectorELNS0_4arch9wavefront6targetE1EEEvSJ_.num_named_barrier, 0
	.set _ZN7rocprim17ROCPRIM_400000_NS6detail17trampoline_kernelINS0_14default_configENS1_38merge_sort_block_merge_config_selectorIxxEEZZNS1_27merge_sort_block_merge_implIS3_N6thrust23THRUST_200600_302600_NS6detail15normal_iteratorINS8_10device_ptrIxEEEESD_jNS1_19radix_merge_compareILb0ELb1ExNS0_19identity_decomposerEEEEE10hipError_tT0_T1_T2_jT3_P12ihipStream_tbPNSt15iterator_traitsISI_E10value_typeEPNSO_ISJ_E10value_typeEPSK_NS1_7vsmem_tEENKUlT_SI_SJ_SK_E_clISD_PxSD_S10_EESH_SX_SI_SJ_SK_EUlSX_E0_NS1_11comp_targetILNS1_3genE8ELNS1_11target_archE1030ELNS1_3gpuE2ELNS1_3repE0EEENS1_38merge_mergepath_config_static_selectorELNS0_4arch9wavefront6targetE1EEEvSJ_.private_seg_size, 0
	.set _ZN7rocprim17ROCPRIM_400000_NS6detail17trampoline_kernelINS0_14default_configENS1_38merge_sort_block_merge_config_selectorIxxEEZZNS1_27merge_sort_block_merge_implIS3_N6thrust23THRUST_200600_302600_NS6detail15normal_iteratorINS8_10device_ptrIxEEEESD_jNS1_19radix_merge_compareILb0ELb1ExNS0_19identity_decomposerEEEEE10hipError_tT0_T1_T2_jT3_P12ihipStream_tbPNSt15iterator_traitsISI_E10value_typeEPNSO_ISJ_E10value_typeEPSK_NS1_7vsmem_tEENKUlT_SI_SJ_SK_E_clISD_PxSD_S10_EESH_SX_SI_SJ_SK_EUlSX_E0_NS1_11comp_targetILNS1_3genE8ELNS1_11target_archE1030ELNS1_3gpuE2ELNS1_3repE0EEENS1_38merge_mergepath_config_static_selectorELNS0_4arch9wavefront6targetE1EEEvSJ_.uses_vcc, 0
	.set _ZN7rocprim17ROCPRIM_400000_NS6detail17trampoline_kernelINS0_14default_configENS1_38merge_sort_block_merge_config_selectorIxxEEZZNS1_27merge_sort_block_merge_implIS3_N6thrust23THRUST_200600_302600_NS6detail15normal_iteratorINS8_10device_ptrIxEEEESD_jNS1_19radix_merge_compareILb0ELb1ExNS0_19identity_decomposerEEEEE10hipError_tT0_T1_T2_jT3_P12ihipStream_tbPNSt15iterator_traitsISI_E10value_typeEPNSO_ISJ_E10value_typeEPSK_NS1_7vsmem_tEENKUlT_SI_SJ_SK_E_clISD_PxSD_S10_EESH_SX_SI_SJ_SK_EUlSX_E0_NS1_11comp_targetILNS1_3genE8ELNS1_11target_archE1030ELNS1_3gpuE2ELNS1_3repE0EEENS1_38merge_mergepath_config_static_selectorELNS0_4arch9wavefront6targetE1EEEvSJ_.uses_flat_scratch, 0
	.set _ZN7rocprim17ROCPRIM_400000_NS6detail17trampoline_kernelINS0_14default_configENS1_38merge_sort_block_merge_config_selectorIxxEEZZNS1_27merge_sort_block_merge_implIS3_N6thrust23THRUST_200600_302600_NS6detail15normal_iteratorINS8_10device_ptrIxEEEESD_jNS1_19radix_merge_compareILb0ELb1ExNS0_19identity_decomposerEEEEE10hipError_tT0_T1_T2_jT3_P12ihipStream_tbPNSt15iterator_traitsISI_E10value_typeEPNSO_ISJ_E10value_typeEPSK_NS1_7vsmem_tEENKUlT_SI_SJ_SK_E_clISD_PxSD_S10_EESH_SX_SI_SJ_SK_EUlSX_E0_NS1_11comp_targetILNS1_3genE8ELNS1_11target_archE1030ELNS1_3gpuE2ELNS1_3repE0EEENS1_38merge_mergepath_config_static_selectorELNS0_4arch9wavefront6targetE1EEEvSJ_.has_dyn_sized_stack, 0
	.set _ZN7rocprim17ROCPRIM_400000_NS6detail17trampoline_kernelINS0_14default_configENS1_38merge_sort_block_merge_config_selectorIxxEEZZNS1_27merge_sort_block_merge_implIS3_N6thrust23THRUST_200600_302600_NS6detail15normal_iteratorINS8_10device_ptrIxEEEESD_jNS1_19radix_merge_compareILb0ELb1ExNS0_19identity_decomposerEEEEE10hipError_tT0_T1_T2_jT3_P12ihipStream_tbPNSt15iterator_traitsISI_E10value_typeEPNSO_ISJ_E10value_typeEPSK_NS1_7vsmem_tEENKUlT_SI_SJ_SK_E_clISD_PxSD_S10_EESH_SX_SI_SJ_SK_EUlSX_E0_NS1_11comp_targetILNS1_3genE8ELNS1_11target_archE1030ELNS1_3gpuE2ELNS1_3repE0EEENS1_38merge_mergepath_config_static_selectorELNS0_4arch9wavefront6targetE1EEEvSJ_.has_recursion, 0
	.set _ZN7rocprim17ROCPRIM_400000_NS6detail17trampoline_kernelINS0_14default_configENS1_38merge_sort_block_merge_config_selectorIxxEEZZNS1_27merge_sort_block_merge_implIS3_N6thrust23THRUST_200600_302600_NS6detail15normal_iteratorINS8_10device_ptrIxEEEESD_jNS1_19radix_merge_compareILb0ELb1ExNS0_19identity_decomposerEEEEE10hipError_tT0_T1_T2_jT3_P12ihipStream_tbPNSt15iterator_traitsISI_E10value_typeEPNSO_ISJ_E10value_typeEPSK_NS1_7vsmem_tEENKUlT_SI_SJ_SK_E_clISD_PxSD_S10_EESH_SX_SI_SJ_SK_EUlSX_E0_NS1_11comp_targetILNS1_3genE8ELNS1_11target_archE1030ELNS1_3gpuE2ELNS1_3repE0EEENS1_38merge_mergepath_config_static_selectorELNS0_4arch9wavefront6targetE1EEEvSJ_.has_indirect_call, 0
	.section	.AMDGPU.csdata,"",@progbits
; Kernel info:
; codeLenInByte = 0
; TotalNumSgprs: 6
; NumVgprs: 0
; NumAgprs: 0
; TotalNumVgprs: 0
; ScratchSize: 0
; MemoryBound: 0
; FloatMode: 240
; IeeeMode: 1
; LDSByteSize: 0 bytes/workgroup (compile time only)
; SGPRBlocks: 0
; VGPRBlocks: 0
; NumSGPRsForWavesPerEU: 6
; NumVGPRsForWavesPerEU: 1
; AccumOffset: 4
; Occupancy: 8
; WaveLimiterHint : 0
; COMPUTE_PGM_RSRC2:SCRATCH_EN: 0
; COMPUTE_PGM_RSRC2:USER_SGPR: 2
; COMPUTE_PGM_RSRC2:TRAP_HANDLER: 0
; COMPUTE_PGM_RSRC2:TGID_X_EN: 1
; COMPUTE_PGM_RSRC2:TGID_Y_EN: 0
; COMPUTE_PGM_RSRC2:TGID_Z_EN: 0
; COMPUTE_PGM_RSRC2:TIDIG_COMP_CNT: 0
; COMPUTE_PGM_RSRC3_GFX90A:ACCUM_OFFSET: 0
; COMPUTE_PGM_RSRC3_GFX90A:TG_SPLIT: 0
	.section	.text._ZN7rocprim17ROCPRIM_400000_NS6detail17trampoline_kernelINS0_14default_configENS1_38merge_sort_block_merge_config_selectorIxxEEZZNS1_27merge_sort_block_merge_implIS3_N6thrust23THRUST_200600_302600_NS6detail15normal_iteratorINS8_10device_ptrIxEEEESD_jNS1_19radix_merge_compareILb0ELb1ExNS0_19identity_decomposerEEEEE10hipError_tT0_T1_T2_jT3_P12ihipStream_tbPNSt15iterator_traitsISI_E10value_typeEPNSO_ISJ_E10value_typeEPSK_NS1_7vsmem_tEENKUlT_SI_SJ_SK_E_clISD_PxSD_S10_EESH_SX_SI_SJ_SK_EUlSX_E1_NS1_11comp_targetILNS1_3genE0ELNS1_11target_archE4294967295ELNS1_3gpuE0ELNS1_3repE0EEENS1_36merge_oddeven_config_static_selectorELNS0_4arch9wavefront6targetE1EEEvSJ_,"axG",@progbits,_ZN7rocprim17ROCPRIM_400000_NS6detail17trampoline_kernelINS0_14default_configENS1_38merge_sort_block_merge_config_selectorIxxEEZZNS1_27merge_sort_block_merge_implIS3_N6thrust23THRUST_200600_302600_NS6detail15normal_iteratorINS8_10device_ptrIxEEEESD_jNS1_19radix_merge_compareILb0ELb1ExNS0_19identity_decomposerEEEEE10hipError_tT0_T1_T2_jT3_P12ihipStream_tbPNSt15iterator_traitsISI_E10value_typeEPNSO_ISJ_E10value_typeEPSK_NS1_7vsmem_tEENKUlT_SI_SJ_SK_E_clISD_PxSD_S10_EESH_SX_SI_SJ_SK_EUlSX_E1_NS1_11comp_targetILNS1_3genE0ELNS1_11target_archE4294967295ELNS1_3gpuE0ELNS1_3repE0EEENS1_36merge_oddeven_config_static_selectorELNS0_4arch9wavefront6targetE1EEEvSJ_,comdat
	.protected	_ZN7rocprim17ROCPRIM_400000_NS6detail17trampoline_kernelINS0_14default_configENS1_38merge_sort_block_merge_config_selectorIxxEEZZNS1_27merge_sort_block_merge_implIS3_N6thrust23THRUST_200600_302600_NS6detail15normal_iteratorINS8_10device_ptrIxEEEESD_jNS1_19radix_merge_compareILb0ELb1ExNS0_19identity_decomposerEEEEE10hipError_tT0_T1_T2_jT3_P12ihipStream_tbPNSt15iterator_traitsISI_E10value_typeEPNSO_ISJ_E10value_typeEPSK_NS1_7vsmem_tEENKUlT_SI_SJ_SK_E_clISD_PxSD_S10_EESH_SX_SI_SJ_SK_EUlSX_E1_NS1_11comp_targetILNS1_3genE0ELNS1_11target_archE4294967295ELNS1_3gpuE0ELNS1_3repE0EEENS1_36merge_oddeven_config_static_selectorELNS0_4arch9wavefront6targetE1EEEvSJ_ ; -- Begin function _ZN7rocprim17ROCPRIM_400000_NS6detail17trampoline_kernelINS0_14default_configENS1_38merge_sort_block_merge_config_selectorIxxEEZZNS1_27merge_sort_block_merge_implIS3_N6thrust23THRUST_200600_302600_NS6detail15normal_iteratorINS8_10device_ptrIxEEEESD_jNS1_19radix_merge_compareILb0ELb1ExNS0_19identity_decomposerEEEEE10hipError_tT0_T1_T2_jT3_P12ihipStream_tbPNSt15iterator_traitsISI_E10value_typeEPNSO_ISJ_E10value_typeEPSK_NS1_7vsmem_tEENKUlT_SI_SJ_SK_E_clISD_PxSD_S10_EESH_SX_SI_SJ_SK_EUlSX_E1_NS1_11comp_targetILNS1_3genE0ELNS1_11target_archE4294967295ELNS1_3gpuE0ELNS1_3repE0EEENS1_36merge_oddeven_config_static_selectorELNS0_4arch9wavefront6targetE1EEEvSJ_
	.globl	_ZN7rocprim17ROCPRIM_400000_NS6detail17trampoline_kernelINS0_14default_configENS1_38merge_sort_block_merge_config_selectorIxxEEZZNS1_27merge_sort_block_merge_implIS3_N6thrust23THRUST_200600_302600_NS6detail15normal_iteratorINS8_10device_ptrIxEEEESD_jNS1_19radix_merge_compareILb0ELb1ExNS0_19identity_decomposerEEEEE10hipError_tT0_T1_T2_jT3_P12ihipStream_tbPNSt15iterator_traitsISI_E10value_typeEPNSO_ISJ_E10value_typeEPSK_NS1_7vsmem_tEENKUlT_SI_SJ_SK_E_clISD_PxSD_S10_EESH_SX_SI_SJ_SK_EUlSX_E1_NS1_11comp_targetILNS1_3genE0ELNS1_11target_archE4294967295ELNS1_3gpuE0ELNS1_3repE0EEENS1_36merge_oddeven_config_static_selectorELNS0_4arch9wavefront6targetE1EEEvSJ_
	.p2align	8
	.type	_ZN7rocprim17ROCPRIM_400000_NS6detail17trampoline_kernelINS0_14default_configENS1_38merge_sort_block_merge_config_selectorIxxEEZZNS1_27merge_sort_block_merge_implIS3_N6thrust23THRUST_200600_302600_NS6detail15normal_iteratorINS8_10device_ptrIxEEEESD_jNS1_19radix_merge_compareILb0ELb1ExNS0_19identity_decomposerEEEEE10hipError_tT0_T1_T2_jT3_P12ihipStream_tbPNSt15iterator_traitsISI_E10value_typeEPNSO_ISJ_E10value_typeEPSK_NS1_7vsmem_tEENKUlT_SI_SJ_SK_E_clISD_PxSD_S10_EESH_SX_SI_SJ_SK_EUlSX_E1_NS1_11comp_targetILNS1_3genE0ELNS1_11target_archE4294967295ELNS1_3gpuE0ELNS1_3repE0EEENS1_36merge_oddeven_config_static_selectorELNS0_4arch9wavefront6targetE1EEEvSJ_,@function
_ZN7rocprim17ROCPRIM_400000_NS6detail17trampoline_kernelINS0_14default_configENS1_38merge_sort_block_merge_config_selectorIxxEEZZNS1_27merge_sort_block_merge_implIS3_N6thrust23THRUST_200600_302600_NS6detail15normal_iteratorINS8_10device_ptrIxEEEESD_jNS1_19radix_merge_compareILb0ELb1ExNS0_19identity_decomposerEEEEE10hipError_tT0_T1_T2_jT3_P12ihipStream_tbPNSt15iterator_traitsISI_E10value_typeEPNSO_ISJ_E10value_typeEPSK_NS1_7vsmem_tEENKUlT_SI_SJ_SK_E_clISD_PxSD_S10_EESH_SX_SI_SJ_SK_EUlSX_E1_NS1_11comp_targetILNS1_3genE0ELNS1_11target_archE4294967295ELNS1_3gpuE0ELNS1_3repE0EEENS1_36merge_oddeven_config_static_selectorELNS0_4arch9wavefront6targetE1EEEvSJ_: ; @_ZN7rocprim17ROCPRIM_400000_NS6detail17trampoline_kernelINS0_14default_configENS1_38merge_sort_block_merge_config_selectorIxxEEZZNS1_27merge_sort_block_merge_implIS3_N6thrust23THRUST_200600_302600_NS6detail15normal_iteratorINS8_10device_ptrIxEEEESD_jNS1_19radix_merge_compareILb0ELb1ExNS0_19identity_decomposerEEEEE10hipError_tT0_T1_T2_jT3_P12ihipStream_tbPNSt15iterator_traitsISI_E10value_typeEPNSO_ISJ_E10value_typeEPSK_NS1_7vsmem_tEENKUlT_SI_SJ_SK_E_clISD_PxSD_S10_EESH_SX_SI_SJ_SK_EUlSX_E1_NS1_11comp_targetILNS1_3genE0ELNS1_11target_archE4294967295ELNS1_3gpuE0ELNS1_3repE0EEENS1_36merge_oddeven_config_static_selectorELNS0_4arch9wavefront6targetE1EEEvSJ_
; %bb.0:
	s_load_dword s20, s[0:1], 0x20
	s_waitcnt lgkmcnt(0)
	s_lshr_b32 s3, s20, 8
	s_cmp_eq_u32 s2, s3
	s_cselect_b64 s[16:17], -1, 0
	s_cmp_lg_u32 s2, s3
	s_cselect_b64 s[4:5], -1, 0
	s_lshl_b32 s18, s2, 8
	s_sub_i32 s3, s20, s18
	v_cmp_gt_u32_e64 s[6:7], s3, v0
	s_or_b64 s[4:5], s[4:5], s[6:7]
	s_and_saveexec_b64 s[8:9], s[4:5]
	s_cbranch_execz .LBB1162_24
; %bb.1:
	s_load_dwordx8 s[8:15], s[0:1], 0x0
	s_mov_b32 s19, 0
	s_lshl_b64 s[4:5], s[18:19], 3
	v_lshlrev_b32_e32 v1, 3, v0
	s_load_dword s19, s[0:1], 0x24
	s_waitcnt lgkmcnt(0)
	s_add_u32 s22, s8, s4
	s_addc_u32 s23, s9, s5
	s_add_u32 s4, s12, s4
	s_addc_u32 s5, s13, s5
	global_load_dwordx2 v[2:3], v1, s[4:5]
	global_load_dwordx2 v[4:5], v1, s[22:23]
	s_lshr_b32 s3, s19, 8
	s_sub_i32 s4, 0, s3
	s_and_b32 s2, s2, s4
	s_and_b32 s3, s2, s3
	s_lshl_b32 s21, s2, 8
	s_sub_i32 s12, 0, s19
	s_cmp_eq_u32 s3, 0
	s_cselect_b64 s[4:5], -1, 0
	s_and_b64 s[2:3], s[4:5], exec
	s_cselect_b32 s12, s19, s12
	s_add_i32 s12, s12, s21
	s_mov_b64 s[2:3], -1
	s_cmp_gt_u32 s20, s12
	v_add_u32_e32 v0, s18, v0
	s_cbranch_scc1 .LBB1162_9
; %bb.2:
	s_and_b64 vcc, exec, s[16:17]
	s_cbranch_vccz .LBB1162_6
; %bb.3:
	v_cmp_gt_u32_e32 vcc, s20, v0
	s_and_saveexec_b64 s[2:3], vcc
	s_cbranch_execz .LBB1162_5
; %bb.4:
	v_mov_b32_e32 v1, 0
	v_lshlrev_b64 v[6:7], 3, v[0:1]
	v_lshl_add_u64 v[8:9], s[10:11], 0, v[6:7]
	v_lshl_add_u64 v[6:7], s[14:15], 0, v[6:7]
	s_waitcnt vmcnt(0)
	global_store_dwordx2 v[8:9], v[4:5], off
	global_store_dwordx2 v[6:7], v[2:3], off
.LBB1162_5:
	s_or_b64 exec, exec, s[2:3]
	s_mov_b64 s[2:3], 0
.LBB1162_6:
	s_andn2_b64 vcc, exec, s[2:3]
	s_cbranch_vccnz .LBB1162_8
; %bb.7:
	v_mov_b32_e32 v1, 0
	v_lshlrev_b64 v[6:7], 3, v[0:1]
	v_lshl_add_u64 v[8:9], s[10:11], 0, v[6:7]
	v_lshl_add_u64 v[6:7], s[14:15], 0, v[6:7]
	s_waitcnt vmcnt(0)
	global_store_dwordx2 v[8:9], v[4:5], off
	global_store_dwordx2 v[6:7], v[2:3], off
.LBB1162_8:
	s_mov_b64 s[2:3], 0
.LBB1162_9:
	s_andn2_b64 vcc, exec, s[2:3]
	s_cbranch_vccnz .LBB1162_24
; %bb.10:
	s_load_dwordx2 s[0:1], s[0:1], 0x28
	s_min_u32 s13, s12, s20
	s_add_i32 s2, s13, s19
	s_min_u32 s18, s2, s20
	s_min_u32 s2, s21, s13
	s_add_i32 s21, s21, s13
	v_subrev_u32_e32 v0, s21, v0
	v_add_u32_e32 v8, s2, v0
	s_waitcnt vmcnt(0) lgkmcnt(0)
	v_and_b32_e32 v1, s1, v5
	v_and_b32_e32 v0, s0, v4
	s_mov_b64 s[2:3], -1
	s_and_b64 vcc, exec, s[16:17]
	s_cbranch_vccz .LBB1162_18
; %bb.11:
	s_and_saveexec_b64 s[2:3], s[6:7]
	s_cbranch_execz .LBB1162_17
; %bb.12:
	s_cmp_ge_u32 s12, s18
	v_mov_b32_e32 v9, s13
	s_cbranch_scc1 .LBB1162_16
; %bb.13:
	s_mov_b64 s[6:7], 0
	v_mov_b32_e32 v10, s18
	v_mov_b32_e32 v9, s13
	;; [unrolled: 1-line block ×3, first 2 shown]
.LBB1162_14:                            ; =>This Inner Loop Header: Depth=1
	v_add_u32_e32 v6, v9, v10
	v_lshrrev_b32_e32 v6, 1, v6
	v_lshl_add_u64 v[12:13], v[6:7], 3, s[8:9]
	global_load_dwordx2 v[12:13], v[12:13], off
	v_add_u32_e32 v11, 1, v6
	s_waitcnt vmcnt(0)
	v_and_b32_e32 v13, s1, v13
	v_and_b32_e32 v12, s0, v12
	v_cmp_gt_i64_e32 vcc, v[0:1], v[12:13]
	s_nop 1
	v_cndmask_b32_e64 v14, 0, 1, vcc
	v_cmp_le_i64_e32 vcc, v[12:13], v[0:1]
	s_nop 1
	v_cndmask_b32_e64 v12, 0, 1, vcc
	v_cndmask_b32_e64 v12, v12, v14, s[4:5]
	v_and_b32_e32 v12, 1, v12
	v_cmp_eq_u32_e32 vcc, 1, v12
	s_nop 1
	v_cndmask_b32_e32 v10, v6, v10, vcc
	v_cndmask_b32_e32 v9, v9, v11, vcc
	v_cmp_ge_u32_e32 vcc, v9, v10
	s_or_b64 s[6:7], vcc, s[6:7]
	s_andn2_b64 exec, exec, s[6:7]
	s_cbranch_execnz .LBB1162_14
; %bb.15:
	s_or_b64 exec, exec, s[6:7]
.LBB1162_16:
	v_add_u32_e32 v6, v9, v8
	v_mov_b32_e32 v7, 0
	v_lshlrev_b64 v[6:7], 3, v[6:7]
	v_lshl_add_u64 v[10:11], s[10:11], 0, v[6:7]
	v_lshl_add_u64 v[6:7], s[14:15], 0, v[6:7]
	global_store_dwordx2 v[10:11], v[4:5], off
	global_store_dwordx2 v[6:7], v[2:3], off
.LBB1162_17:
	s_or_b64 exec, exec, s[2:3]
	s_mov_b64 s[2:3], 0
.LBB1162_18:
	s_andn2_b64 vcc, exec, s[2:3]
	s_cbranch_vccnz .LBB1162_24
; %bb.19:
	s_cmp_ge_u32 s12, s18
	v_mov_b32_e32 v9, s13
	s_cbranch_scc1 .LBB1162_23
; %bb.20:
	s_mov_b64 s[2:3], 0
	v_mov_b32_e32 v10, s18
	v_mov_b32_e32 v9, s13
	v_mov_b32_e32 v7, 0
.LBB1162_21:                            ; =>This Inner Loop Header: Depth=1
	v_add_u32_e32 v6, v9, v10
	v_lshrrev_b32_e32 v6, 1, v6
	v_lshl_add_u64 v[12:13], v[6:7], 3, s[8:9]
	global_load_dwordx2 v[12:13], v[12:13], off
	v_add_u32_e32 v11, 1, v6
	s_waitcnt vmcnt(0)
	v_and_b32_e32 v13, s1, v13
	v_and_b32_e32 v12, s0, v12
	v_cmp_gt_i64_e32 vcc, v[0:1], v[12:13]
	s_nop 1
	v_cndmask_b32_e64 v14, 0, 1, vcc
	v_cmp_le_i64_e32 vcc, v[12:13], v[0:1]
	s_nop 1
	v_cndmask_b32_e64 v12, 0, 1, vcc
	v_cndmask_b32_e64 v12, v12, v14, s[4:5]
	v_and_b32_e32 v12, 1, v12
	v_cmp_eq_u32_e32 vcc, 1, v12
	s_nop 1
	v_cndmask_b32_e32 v10, v6, v10, vcc
	v_cndmask_b32_e32 v9, v9, v11, vcc
	v_cmp_ge_u32_e32 vcc, v9, v10
	s_or_b64 s[2:3], vcc, s[2:3]
	s_andn2_b64 exec, exec, s[2:3]
	s_cbranch_execnz .LBB1162_21
; %bb.22:
	s_or_b64 exec, exec, s[2:3]
.LBB1162_23:
	v_add_u32_e32 v0, v9, v8
	v_mov_b32_e32 v1, 0
	v_lshlrev_b64 v[0:1], 3, v[0:1]
	v_lshl_add_u64 v[6:7], s[10:11], 0, v[0:1]
	v_lshl_add_u64 v[0:1], s[14:15], 0, v[0:1]
	global_store_dwordx2 v[6:7], v[4:5], off
	global_store_dwordx2 v[0:1], v[2:3], off
.LBB1162_24:
	s_endpgm
	.section	.rodata,"a",@progbits
	.p2align	6, 0x0
	.amdhsa_kernel _ZN7rocprim17ROCPRIM_400000_NS6detail17trampoline_kernelINS0_14default_configENS1_38merge_sort_block_merge_config_selectorIxxEEZZNS1_27merge_sort_block_merge_implIS3_N6thrust23THRUST_200600_302600_NS6detail15normal_iteratorINS8_10device_ptrIxEEEESD_jNS1_19radix_merge_compareILb0ELb1ExNS0_19identity_decomposerEEEEE10hipError_tT0_T1_T2_jT3_P12ihipStream_tbPNSt15iterator_traitsISI_E10value_typeEPNSO_ISJ_E10value_typeEPSK_NS1_7vsmem_tEENKUlT_SI_SJ_SK_E_clISD_PxSD_S10_EESH_SX_SI_SJ_SK_EUlSX_E1_NS1_11comp_targetILNS1_3genE0ELNS1_11target_archE4294967295ELNS1_3gpuE0ELNS1_3repE0EEENS1_36merge_oddeven_config_static_selectorELNS0_4arch9wavefront6targetE1EEEvSJ_
		.amdhsa_group_segment_fixed_size 0
		.amdhsa_private_segment_fixed_size 0
		.amdhsa_kernarg_size 48
		.amdhsa_user_sgpr_count 2
		.amdhsa_user_sgpr_dispatch_ptr 0
		.amdhsa_user_sgpr_queue_ptr 0
		.amdhsa_user_sgpr_kernarg_segment_ptr 1
		.amdhsa_user_sgpr_dispatch_id 0
		.amdhsa_user_sgpr_kernarg_preload_length 0
		.amdhsa_user_sgpr_kernarg_preload_offset 0
		.amdhsa_user_sgpr_private_segment_size 0
		.amdhsa_uses_dynamic_stack 0
		.amdhsa_enable_private_segment 0
		.amdhsa_system_sgpr_workgroup_id_x 1
		.amdhsa_system_sgpr_workgroup_id_y 0
		.amdhsa_system_sgpr_workgroup_id_z 0
		.amdhsa_system_sgpr_workgroup_info 0
		.amdhsa_system_vgpr_workitem_id 0
		.amdhsa_next_free_vgpr 15
		.amdhsa_next_free_sgpr 24
		.amdhsa_accum_offset 16
		.amdhsa_reserve_vcc 1
		.amdhsa_float_round_mode_32 0
		.amdhsa_float_round_mode_16_64 0
		.amdhsa_float_denorm_mode_32 3
		.amdhsa_float_denorm_mode_16_64 3
		.amdhsa_dx10_clamp 1
		.amdhsa_ieee_mode 1
		.amdhsa_fp16_overflow 0
		.amdhsa_tg_split 0
		.amdhsa_exception_fp_ieee_invalid_op 0
		.amdhsa_exception_fp_denorm_src 0
		.amdhsa_exception_fp_ieee_div_zero 0
		.amdhsa_exception_fp_ieee_overflow 0
		.amdhsa_exception_fp_ieee_underflow 0
		.amdhsa_exception_fp_ieee_inexact 0
		.amdhsa_exception_int_div_zero 0
	.end_amdhsa_kernel
	.section	.text._ZN7rocprim17ROCPRIM_400000_NS6detail17trampoline_kernelINS0_14default_configENS1_38merge_sort_block_merge_config_selectorIxxEEZZNS1_27merge_sort_block_merge_implIS3_N6thrust23THRUST_200600_302600_NS6detail15normal_iteratorINS8_10device_ptrIxEEEESD_jNS1_19radix_merge_compareILb0ELb1ExNS0_19identity_decomposerEEEEE10hipError_tT0_T1_T2_jT3_P12ihipStream_tbPNSt15iterator_traitsISI_E10value_typeEPNSO_ISJ_E10value_typeEPSK_NS1_7vsmem_tEENKUlT_SI_SJ_SK_E_clISD_PxSD_S10_EESH_SX_SI_SJ_SK_EUlSX_E1_NS1_11comp_targetILNS1_3genE0ELNS1_11target_archE4294967295ELNS1_3gpuE0ELNS1_3repE0EEENS1_36merge_oddeven_config_static_selectorELNS0_4arch9wavefront6targetE1EEEvSJ_,"axG",@progbits,_ZN7rocprim17ROCPRIM_400000_NS6detail17trampoline_kernelINS0_14default_configENS1_38merge_sort_block_merge_config_selectorIxxEEZZNS1_27merge_sort_block_merge_implIS3_N6thrust23THRUST_200600_302600_NS6detail15normal_iteratorINS8_10device_ptrIxEEEESD_jNS1_19radix_merge_compareILb0ELb1ExNS0_19identity_decomposerEEEEE10hipError_tT0_T1_T2_jT3_P12ihipStream_tbPNSt15iterator_traitsISI_E10value_typeEPNSO_ISJ_E10value_typeEPSK_NS1_7vsmem_tEENKUlT_SI_SJ_SK_E_clISD_PxSD_S10_EESH_SX_SI_SJ_SK_EUlSX_E1_NS1_11comp_targetILNS1_3genE0ELNS1_11target_archE4294967295ELNS1_3gpuE0ELNS1_3repE0EEENS1_36merge_oddeven_config_static_selectorELNS0_4arch9wavefront6targetE1EEEvSJ_,comdat
.Lfunc_end1162:
	.size	_ZN7rocprim17ROCPRIM_400000_NS6detail17trampoline_kernelINS0_14default_configENS1_38merge_sort_block_merge_config_selectorIxxEEZZNS1_27merge_sort_block_merge_implIS3_N6thrust23THRUST_200600_302600_NS6detail15normal_iteratorINS8_10device_ptrIxEEEESD_jNS1_19radix_merge_compareILb0ELb1ExNS0_19identity_decomposerEEEEE10hipError_tT0_T1_T2_jT3_P12ihipStream_tbPNSt15iterator_traitsISI_E10value_typeEPNSO_ISJ_E10value_typeEPSK_NS1_7vsmem_tEENKUlT_SI_SJ_SK_E_clISD_PxSD_S10_EESH_SX_SI_SJ_SK_EUlSX_E1_NS1_11comp_targetILNS1_3genE0ELNS1_11target_archE4294967295ELNS1_3gpuE0ELNS1_3repE0EEENS1_36merge_oddeven_config_static_selectorELNS0_4arch9wavefront6targetE1EEEvSJ_, .Lfunc_end1162-_ZN7rocprim17ROCPRIM_400000_NS6detail17trampoline_kernelINS0_14default_configENS1_38merge_sort_block_merge_config_selectorIxxEEZZNS1_27merge_sort_block_merge_implIS3_N6thrust23THRUST_200600_302600_NS6detail15normal_iteratorINS8_10device_ptrIxEEEESD_jNS1_19radix_merge_compareILb0ELb1ExNS0_19identity_decomposerEEEEE10hipError_tT0_T1_T2_jT3_P12ihipStream_tbPNSt15iterator_traitsISI_E10value_typeEPNSO_ISJ_E10value_typeEPSK_NS1_7vsmem_tEENKUlT_SI_SJ_SK_E_clISD_PxSD_S10_EESH_SX_SI_SJ_SK_EUlSX_E1_NS1_11comp_targetILNS1_3genE0ELNS1_11target_archE4294967295ELNS1_3gpuE0ELNS1_3repE0EEENS1_36merge_oddeven_config_static_selectorELNS0_4arch9wavefront6targetE1EEEvSJ_
                                        ; -- End function
	.set _ZN7rocprim17ROCPRIM_400000_NS6detail17trampoline_kernelINS0_14default_configENS1_38merge_sort_block_merge_config_selectorIxxEEZZNS1_27merge_sort_block_merge_implIS3_N6thrust23THRUST_200600_302600_NS6detail15normal_iteratorINS8_10device_ptrIxEEEESD_jNS1_19radix_merge_compareILb0ELb1ExNS0_19identity_decomposerEEEEE10hipError_tT0_T1_T2_jT3_P12ihipStream_tbPNSt15iterator_traitsISI_E10value_typeEPNSO_ISJ_E10value_typeEPSK_NS1_7vsmem_tEENKUlT_SI_SJ_SK_E_clISD_PxSD_S10_EESH_SX_SI_SJ_SK_EUlSX_E1_NS1_11comp_targetILNS1_3genE0ELNS1_11target_archE4294967295ELNS1_3gpuE0ELNS1_3repE0EEENS1_36merge_oddeven_config_static_selectorELNS0_4arch9wavefront6targetE1EEEvSJ_.num_vgpr, 15
	.set _ZN7rocprim17ROCPRIM_400000_NS6detail17trampoline_kernelINS0_14default_configENS1_38merge_sort_block_merge_config_selectorIxxEEZZNS1_27merge_sort_block_merge_implIS3_N6thrust23THRUST_200600_302600_NS6detail15normal_iteratorINS8_10device_ptrIxEEEESD_jNS1_19radix_merge_compareILb0ELb1ExNS0_19identity_decomposerEEEEE10hipError_tT0_T1_T2_jT3_P12ihipStream_tbPNSt15iterator_traitsISI_E10value_typeEPNSO_ISJ_E10value_typeEPSK_NS1_7vsmem_tEENKUlT_SI_SJ_SK_E_clISD_PxSD_S10_EESH_SX_SI_SJ_SK_EUlSX_E1_NS1_11comp_targetILNS1_3genE0ELNS1_11target_archE4294967295ELNS1_3gpuE0ELNS1_3repE0EEENS1_36merge_oddeven_config_static_selectorELNS0_4arch9wavefront6targetE1EEEvSJ_.num_agpr, 0
	.set _ZN7rocprim17ROCPRIM_400000_NS6detail17trampoline_kernelINS0_14default_configENS1_38merge_sort_block_merge_config_selectorIxxEEZZNS1_27merge_sort_block_merge_implIS3_N6thrust23THRUST_200600_302600_NS6detail15normal_iteratorINS8_10device_ptrIxEEEESD_jNS1_19radix_merge_compareILb0ELb1ExNS0_19identity_decomposerEEEEE10hipError_tT0_T1_T2_jT3_P12ihipStream_tbPNSt15iterator_traitsISI_E10value_typeEPNSO_ISJ_E10value_typeEPSK_NS1_7vsmem_tEENKUlT_SI_SJ_SK_E_clISD_PxSD_S10_EESH_SX_SI_SJ_SK_EUlSX_E1_NS1_11comp_targetILNS1_3genE0ELNS1_11target_archE4294967295ELNS1_3gpuE0ELNS1_3repE0EEENS1_36merge_oddeven_config_static_selectorELNS0_4arch9wavefront6targetE1EEEvSJ_.numbered_sgpr, 24
	.set _ZN7rocprim17ROCPRIM_400000_NS6detail17trampoline_kernelINS0_14default_configENS1_38merge_sort_block_merge_config_selectorIxxEEZZNS1_27merge_sort_block_merge_implIS3_N6thrust23THRUST_200600_302600_NS6detail15normal_iteratorINS8_10device_ptrIxEEEESD_jNS1_19radix_merge_compareILb0ELb1ExNS0_19identity_decomposerEEEEE10hipError_tT0_T1_T2_jT3_P12ihipStream_tbPNSt15iterator_traitsISI_E10value_typeEPNSO_ISJ_E10value_typeEPSK_NS1_7vsmem_tEENKUlT_SI_SJ_SK_E_clISD_PxSD_S10_EESH_SX_SI_SJ_SK_EUlSX_E1_NS1_11comp_targetILNS1_3genE0ELNS1_11target_archE4294967295ELNS1_3gpuE0ELNS1_3repE0EEENS1_36merge_oddeven_config_static_selectorELNS0_4arch9wavefront6targetE1EEEvSJ_.num_named_barrier, 0
	.set _ZN7rocprim17ROCPRIM_400000_NS6detail17trampoline_kernelINS0_14default_configENS1_38merge_sort_block_merge_config_selectorIxxEEZZNS1_27merge_sort_block_merge_implIS3_N6thrust23THRUST_200600_302600_NS6detail15normal_iteratorINS8_10device_ptrIxEEEESD_jNS1_19radix_merge_compareILb0ELb1ExNS0_19identity_decomposerEEEEE10hipError_tT0_T1_T2_jT3_P12ihipStream_tbPNSt15iterator_traitsISI_E10value_typeEPNSO_ISJ_E10value_typeEPSK_NS1_7vsmem_tEENKUlT_SI_SJ_SK_E_clISD_PxSD_S10_EESH_SX_SI_SJ_SK_EUlSX_E1_NS1_11comp_targetILNS1_3genE0ELNS1_11target_archE4294967295ELNS1_3gpuE0ELNS1_3repE0EEENS1_36merge_oddeven_config_static_selectorELNS0_4arch9wavefront6targetE1EEEvSJ_.private_seg_size, 0
	.set _ZN7rocprim17ROCPRIM_400000_NS6detail17trampoline_kernelINS0_14default_configENS1_38merge_sort_block_merge_config_selectorIxxEEZZNS1_27merge_sort_block_merge_implIS3_N6thrust23THRUST_200600_302600_NS6detail15normal_iteratorINS8_10device_ptrIxEEEESD_jNS1_19radix_merge_compareILb0ELb1ExNS0_19identity_decomposerEEEEE10hipError_tT0_T1_T2_jT3_P12ihipStream_tbPNSt15iterator_traitsISI_E10value_typeEPNSO_ISJ_E10value_typeEPSK_NS1_7vsmem_tEENKUlT_SI_SJ_SK_E_clISD_PxSD_S10_EESH_SX_SI_SJ_SK_EUlSX_E1_NS1_11comp_targetILNS1_3genE0ELNS1_11target_archE4294967295ELNS1_3gpuE0ELNS1_3repE0EEENS1_36merge_oddeven_config_static_selectorELNS0_4arch9wavefront6targetE1EEEvSJ_.uses_vcc, 1
	.set _ZN7rocprim17ROCPRIM_400000_NS6detail17trampoline_kernelINS0_14default_configENS1_38merge_sort_block_merge_config_selectorIxxEEZZNS1_27merge_sort_block_merge_implIS3_N6thrust23THRUST_200600_302600_NS6detail15normal_iteratorINS8_10device_ptrIxEEEESD_jNS1_19radix_merge_compareILb0ELb1ExNS0_19identity_decomposerEEEEE10hipError_tT0_T1_T2_jT3_P12ihipStream_tbPNSt15iterator_traitsISI_E10value_typeEPNSO_ISJ_E10value_typeEPSK_NS1_7vsmem_tEENKUlT_SI_SJ_SK_E_clISD_PxSD_S10_EESH_SX_SI_SJ_SK_EUlSX_E1_NS1_11comp_targetILNS1_3genE0ELNS1_11target_archE4294967295ELNS1_3gpuE0ELNS1_3repE0EEENS1_36merge_oddeven_config_static_selectorELNS0_4arch9wavefront6targetE1EEEvSJ_.uses_flat_scratch, 0
	.set _ZN7rocprim17ROCPRIM_400000_NS6detail17trampoline_kernelINS0_14default_configENS1_38merge_sort_block_merge_config_selectorIxxEEZZNS1_27merge_sort_block_merge_implIS3_N6thrust23THRUST_200600_302600_NS6detail15normal_iteratorINS8_10device_ptrIxEEEESD_jNS1_19radix_merge_compareILb0ELb1ExNS0_19identity_decomposerEEEEE10hipError_tT0_T1_T2_jT3_P12ihipStream_tbPNSt15iterator_traitsISI_E10value_typeEPNSO_ISJ_E10value_typeEPSK_NS1_7vsmem_tEENKUlT_SI_SJ_SK_E_clISD_PxSD_S10_EESH_SX_SI_SJ_SK_EUlSX_E1_NS1_11comp_targetILNS1_3genE0ELNS1_11target_archE4294967295ELNS1_3gpuE0ELNS1_3repE0EEENS1_36merge_oddeven_config_static_selectorELNS0_4arch9wavefront6targetE1EEEvSJ_.has_dyn_sized_stack, 0
	.set _ZN7rocprim17ROCPRIM_400000_NS6detail17trampoline_kernelINS0_14default_configENS1_38merge_sort_block_merge_config_selectorIxxEEZZNS1_27merge_sort_block_merge_implIS3_N6thrust23THRUST_200600_302600_NS6detail15normal_iteratorINS8_10device_ptrIxEEEESD_jNS1_19radix_merge_compareILb0ELb1ExNS0_19identity_decomposerEEEEE10hipError_tT0_T1_T2_jT3_P12ihipStream_tbPNSt15iterator_traitsISI_E10value_typeEPNSO_ISJ_E10value_typeEPSK_NS1_7vsmem_tEENKUlT_SI_SJ_SK_E_clISD_PxSD_S10_EESH_SX_SI_SJ_SK_EUlSX_E1_NS1_11comp_targetILNS1_3genE0ELNS1_11target_archE4294967295ELNS1_3gpuE0ELNS1_3repE0EEENS1_36merge_oddeven_config_static_selectorELNS0_4arch9wavefront6targetE1EEEvSJ_.has_recursion, 0
	.set _ZN7rocprim17ROCPRIM_400000_NS6detail17trampoline_kernelINS0_14default_configENS1_38merge_sort_block_merge_config_selectorIxxEEZZNS1_27merge_sort_block_merge_implIS3_N6thrust23THRUST_200600_302600_NS6detail15normal_iteratorINS8_10device_ptrIxEEEESD_jNS1_19radix_merge_compareILb0ELb1ExNS0_19identity_decomposerEEEEE10hipError_tT0_T1_T2_jT3_P12ihipStream_tbPNSt15iterator_traitsISI_E10value_typeEPNSO_ISJ_E10value_typeEPSK_NS1_7vsmem_tEENKUlT_SI_SJ_SK_E_clISD_PxSD_S10_EESH_SX_SI_SJ_SK_EUlSX_E1_NS1_11comp_targetILNS1_3genE0ELNS1_11target_archE4294967295ELNS1_3gpuE0ELNS1_3repE0EEENS1_36merge_oddeven_config_static_selectorELNS0_4arch9wavefront6targetE1EEEvSJ_.has_indirect_call, 0
	.section	.AMDGPU.csdata,"",@progbits
; Kernel info:
; codeLenInByte = 808
; TotalNumSgprs: 30
; NumVgprs: 15
; NumAgprs: 0
; TotalNumVgprs: 15
; ScratchSize: 0
; MemoryBound: 0
; FloatMode: 240
; IeeeMode: 1
; LDSByteSize: 0 bytes/workgroup (compile time only)
; SGPRBlocks: 3
; VGPRBlocks: 1
; NumSGPRsForWavesPerEU: 30
; NumVGPRsForWavesPerEU: 15
; AccumOffset: 16
; Occupancy: 8
; WaveLimiterHint : 0
; COMPUTE_PGM_RSRC2:SCRATCH_EN: 0
; COMPUTE_PGM_RSRC2:USER_SGPR: 2
; COMPUTE_PGM_RSRC2:TRAP_HANDLER: 0
; COMPUTE_PGM_RSRC2:TGID_X_EN: 1
; COMPUTE_PGM_RSRC2:TGID_Y_EN: 0
; COMPUTE_PGM_RSRC2:TGID_Z_EN: 0
; COMPUTE_PGM_RSRC2:TIDIG_COMP_CNT: 0
; COMPUTE_PGM_RSRC3_GFX90A:ACCUM_OFFSET: 3
; COMPUTE_PGM_RSRC3_GFX90A:TG_SPLIT: 0
	.section	.text._ZN7rocprim17ROCPRIM_400000_NS6detail17trampoline_kernelINS0_14default_configENS1_38merge_sort_block_merge_config_selectorIxxEEZZNS1_27merge_sort_block_merge_implIS3_N6thrust23THRUST_200600_302600_NS6detail15normal_iteratorINS8_10device_ptrIxEEEESD_jNS1_19radix_merge_compareILb0ELb1ExNS0_19identity_decomposerEEEEE10hipError_tT0_T1_T2_jT3_P12ihipStream_tbPNSt15iterator_traitsISI_E10value_typeEPNSO_ISJ_E10value_typeEPSK_NS1_7vsmem_tEENKUlT_SI_SJ_SK_E_clISD_PxSD_S10_EESH_SX_SI_SJ_SK_EUlSX_E1_NS1_11comp_targetILNS1_3genE10ELNS1_11target_archE1201ELNS1_3gpuE5ELNS1_3repE0EEENS1_36merge_oddeven_config_static_selectorELNS0_4arch9wavefront6targetE1EEEvSJ_,"axG",@progbits,_ZN7rocprim17ROCPRIM_400000_NS6detail17trampoline_kernelINS0_14default_configENS1_38merge_sort_block_merge_config_selectorIxxEEZZNS1_27merge_sort_block_merge_implIS3_N6thrust23THRUST_200600_302600_NS6detail15normal_iteratorINS8_10device_ptrIxEEEESD_jNS1_19radix_merge_compareILb0ELb1ExNS0_19identity_decomposerEEEEE10hipError_tT0_T1_T2_jT3_P12ihipStream_tbPNSt15iterator_traitsISI_E10value_typeEPNSO_ISJ_E10value_typeEPSK_NS1_7vsmem_tEENKUlT_SI_SJ_SK_E_clISD_PxSD_S10_EESH_SX_SI_SJ_SK_EUlSX_E1_NS1_11comp_targetILNS1_3genE10ELNS1_11target_archE1201ELNS1_3gpuE5ELNS1_3repE0EEENS1_36merge_oddeven_config_static_selectorELNS0_4arch9wavefront6targetE1EEEvSJ_,comdat
	.protected	_ZN7rocprim17ROCPRIM_400000_NS6detail17trampoline_kernelINS0_14default_configENS1_38merge_sort_block_merge_config_selectorIxxEEZZNS1_27merge_sort_block_merge_implIS3_N6thrust23THRUST_200600_302600_NS6detail15normal_iteratorINS8_10device_ptrIxEEEESD_jNS1_19radix_merge_compareILb0ELb1ExNS0_19identity_decomposerEEEEE10hipError_tT0_T1_T2_jT3_P12ihipStream_tbPNSt15iterator_traitsISI_E10value_typeEPNSO_ISJ_E10value_typeEPSK_NS1_7vsmem_tEENKUlT_SI_SJ_SK_E_clISD_PxSD_S10_EESH_SX_SI_SJ_SK_EUlSX_E1_NS1_11comp_targetILNS1_3genE10ELNS1_11target_archE1201ELNS1_3gpuE5ELNS1_3repE0EEENS1_36merge_oddeven_config_static_selectorELNS0_4arch9wavefront6targetE1EEEvSJ_ ; -- Begin function _ZN7rocprim17ROCPRIM_400000_NS6detail17trampoline_kernelINS0_14default_configENS1_38merge_sort_block_merge_config_selectorIxxEEZZNS1_27merge_sort_block_merge_implIS3_N6thrust23THRUST_200600_302600_NS6detail15normal_iteratorINS8_10device_ptrIxEEEESD_jNS1_19radix_merge_compareILb0ELb1ExNS0_19identity_decomposerEEEEE10hipError_tT0_T1_T2_jT3_P12ihipStream_tbPNSt15iterator_traitsISI_E10value_typeEPNSO_ISJ_E10value_typeEPSK_NS1_7vsmem_tEENKUlT_SI_SJ_SK_E_clISD_PxSD_S10_EESH_SX_SI_SJ_SK_EUlSX_E1_NS1_11comp_targetILNS1_3genE10ELNS1_11target_archE1201ELNS1_3gpuE5ELNS1_3repE0EEENS1_36merge_oddeven_config_static_selectorELNS0_4arch9wavefront6targetE1EEEvSJ_
	.globl	_ZN7rocprim17ROCPRIM_400000_NS6detail17trampoline_kernelINS0_14default_configENS1_38merge_sort_block_merge_config_selectorIxxEEZZNS1_27merge_sort_block_merge_implIS3_N6thrust23THRUST_200600_302600_NS6detail15normal_iteratorINS8_10device_ptrIxEEEESD_jNS1_19radix_merge_compareILb0ELb1ExNS0_19identity_decomposerEEEEE10hipError_tT0_T1_T2_jT3_P12ihipStream_tbPNSt15iterator_traitsISI_E10value_typeEPNSO_ISJ_E10value_typeEPSK_NS1_7vsmem_tEENKUlT_SI_SJ_SK_E_clISD_PxSD_S10_EESH_SX_SI_SJ_SK_EUlSX_E1_NS1_11comp_targetILNS1_3genE10ELNS1_11target_archE1201ELNS1_3gpuE5ELNS1_3repE0EEENS1_36merge_oddeven_config_static_selectorELNS0_4arch9wavefront6targetE1EEEvSJ_
	.p2align	8
	.type	_ZN7rocprim17ROCPRIM_400000_NS6detail17trampoline_kernelINS0_14default_configENS1_38merge_sort_block_merge_config_selectorIxxEEZZNS1_27merge_sort_block_merge_implIS3_N6thrust23THRUST_200600_302600_NS6detail15normal_iteratorINS8_10device_ptrIxEEEESD_jNS1_19radix_merge_compareILb0ELb1ExNS0_19identity_decomposerEEEEE10hipError_tT0_T1_T2_jT3_P12ihipStream_tbPNSt15iterator_traitsISI_E10value_typeEPNSO_ISJ_E10value_typeEPSK_NS1_7vsmem_tEENKUlT_SI_SJ_SK_E_clISD_PxSD_S10_EESH_SX_SI_SJ_SK_EUlSX_E1_NS1_11comp_targetILNS1_3genE10ELNS1_11target_archE1201ELNS1_3gpuE5ELNS1_3repE0EEENS1_36merge_oddeven_config_static_selectorELNS0_4arch9wavefront6targetE1EEEvSJ_,@function
_ZN7rocprim17ROCPRIM_400000_NS6detail17trampoline_kernelINS0_14default_configENS1_38merge_sort_block_merge_config_selectorIxxEEZZNS1_27merge_sort_block_merge_implIS3_N6thrust23THRUST_200600_302600_NS6detail15normal_iteratorINS8_10device_ptrIxEEEESD_jNS1_19radix_merge_compareILb0ELb1ExNS0_19identity_decomposerEEEEE10hipError_tT0_T1_T2_jT3_P12ihipStream_tbPNSt15iterator_traitsISI_E10value_typeEPNSO_ISJ_E10value_typeEPSK_NS1_7vsmem_tEENKUlT_SI_SJ_SK_E_clISD_PxSD_S10_EESH_SX_SI_SJ_SK_EUlSX_E1_NS1_11comp_targetILNS1_3genE10ELNS1_11target_archE1201ELNS1_3gpuE5ELNS1_3repE0EEENS1_36merge_oddeven_config_static_selectorELNS0_4arch9wavefront6targetE1EEEvSJ_: ; @_ZN7rocprim17ROCPRIM_400000_NS6detail17trampoline_kernelINS0_14default_configENS1_38merge_sort_block_merge_config_selectorIxxEEZZNS1_27merge_sort_block_merge_implIS3_N6thrust23THRUST_200600_302600_NS6detail15normal_iteratorINS8_10device_ptrIxEEEESD_jNS1_19radix_merge_compareILb0ELb1ExNS0_19identity_decomposerEEEEE10hipError_tT0_T1_T2_jT3_P12ihipStream_tbPNSt15iterator_traitsISI_E10value_typeEPNSO_ISJ_E10value_typeEPSK_NS1_7vsmem_tEENKUlT_SI_SJ_SK_E_clISD_PxSD_S10_EESH_SX_SI_SJ_SK_EUlSX_E1_NS1_11comp_targetILNS1_3genE10ELNS1_11target_archE1201ELNS1_3gpuE5ELNS1_3repE0EEENS1_36merge_oddeven_config_static_selectorELNS0_4arch9wavefront6targetE1EEEvSJ_
; %bb.0:
	.section	.rodata,"a",@progbits
	.p2align	6, 0x0
	.amdhsa_kernel _ZN7rocprim17ROCPRIM_400000_NS6detail17trampoline_kernelINS0_14default_configENS1_38merge_sort_block_merge_config_selectorIxxEEZZNS1_27merge_sort_block_merge_implIS3_N6thrust23THRUST_200600_302600_NS6detail15normal_iteratorINS8_10device_ptrIxEEEESD_jNS1_19radix_merge_compareILb0ELb1ExNS0_19identity_decomposerEEEEE10hipError_tT0_T1_T2_jT3_P12ihipStream_tbPNSt15iterator_traitsISI_E10value_typeEPNSO_ISJ_E10value_typeEPSK_NS1_7vsmem_tEENKUlT_SI_SJ_SK_E_clISD_PxSD_S10_EESH_SX_SI_SJ_SK_EUlSX_E1_NS1_11comp_targetILNS1_3genE10ELNS1_11target_archE1201ELNS1_3gpuE5ELNS1_3repE0EEENS1_36merge_oddeven_config_static_selectorELNS0_4arch9wavefront6targetE1EEEvSJ_
		.amdhsa_group_segment_fixed_size 0
		.amdhsa_private_segment_fixed_size 0
		.amdhsa_kernarg_size 48
		.amdhsa_user_sgpr_count 2
		.amdhsa_user_sgpr_dispatch_ptr 0
		.amdhsa_user_sgpr_queue_ptr 0
		.amdhsa_user_sgpr_kernarg_segment_ptr 1
		.amdhsa_user_sgpr_dispatch_id 0
		.amdhsa_user_sgpr_kernarg_preload_length 0
		.amdhsa_user_sgpr_kernarg_preload_offset 0
		.amdhsa_user_sgpr_private_segment_size 0
		.amdhsa_uses_dynamic_stack 0
		.amdhsa_enable_private_segment 0
		.amdhsa_system_sgpr_workgroup_id_x 1
		.amdhsa_system_sgpr_workgroup_id_y 0
		.amdhsa_system_sgpr_workgroup_id_z 0
		.amdhsa_system_sgpr_workgroup_info 0
		.amdhsa_system_vgpr_workitem_id 0
		.amdhsa_next_free_vgpr 1
		.amdhsa_next_free_sgpr 0
		.amdhsa_accum_offset 4
		.amdhsa_reserve_vcc 0
		.amdhsa_float_round_mode_32 0
		.amdhsa_float_round_mode_16_64 0
		.amdhsa_float_denorm_mode_32 3
		.amdhsa_float_denorm_mode_16_64 3
		.amdhsa_dx10_clamp 1
		.amdhsa_ieee_mode 1
		.amdhsa_fp16_overflow 0
		.amdhsa_tg_split 0
		.amdhsa_exception_fp_ieee_invalid_op 0
		.amdhsa_exception_fp_denorm_src 0
		.amdhsa_exception_fp_ieee_div_zero 0
		.amdhsa_exception_fp_ieee_overflow 0
		.amdhsa_exception_fp_ieee_underflow 0
		.amdhsa_exception_fp_ieee_inexact 0
		.amdhsa_exception_int_div_zero 0
	.end_amdhsa_kernel
	.section	.text._ZN7rocprim17ROCPRIM_400000_NS6detail17trampoline_kernelINS0_14default_configENS1_38merge_sort_block_merge_config_selectorIxxEEZZNS1_27merge_sort_block_merge_implIS3_N6thrust23THRUST_200600_302600_NS6detail15normal_iteratorINS8_10device_ptrIxEEEESD_jNS1_19radix_merge_compareILb0ELb1ExNS0_19identity_decomposerEEEEE10hipError_tT0_T1_T2_jT3_P12ihipStream_tbPNSt15iterator_traitsISI_E10value_typeEPNSO_ISJ_E10value_typeEPSK_NS1_7vsmem_tEENKUlT_SI_SJ_SK_E_clISD_PxSD_S10_EESH_SX_SI_SJ_SK_EUlSX_E1_NS1_11comp_targetILNS1_3genE10ELNS1_11target_archE1201ELNS1_3gpuE5ELNS1_3repE0EEENS1_36merge_oddeven_config_static_selectorELNS0_4arch9wavefront6targetE1EEEvSJ_,"axG",@progbits,_ZN7rocprim17ROCPRIM_400000_NS6detail17trampoline_kernelINS0_14default_configENS1_38merge_sort_block_merge_config_selectorIxxEEZZNS1_27merge_sort_block_merge_implIS3_N6thrust23THRUST_200600_302600_NS6detail15normal_iteratorINS8_10device_ptrIxEEEESD_jNS1_19radix_merge_compareILb0ELb1ExNS0_19identity_decomposerEEEEE10hipError_tT0_T1_T2_jT3_P12ihipStream_tbPNSt15iterator_traitsISI_E10value_typeEPNSO_ISJ_E10value_typeEPSK_NS1_7vsmem_tEENKUlT_SI_SJ_SK_E_clISD_PxSD_S10_EESH_SX_SI_SJ_SK_EUlSX_E1_NS1_11comp_targetILNS1_3genE10ELNS1_11target_archE1201ELNS1_3gpuE5ELNS1_3repE0EEENS1_36merge_oddeven_config_static_selectorELNS0_4arch9wavefront6targetE1EEEvSJ_,comdat
.Lfunc_end1163:
	.size	_ZN7rocprim17ROCPRIM_400000_NS6detail17trampoline_kernelINS0_14default_configENS1_38merge_sort_block_merge_config_selectorIxxEEZZNS1_27merge_sort_block_merge_implIS3_N6thrust23THRUST_200600_302600_NS6detail15normal_iteratorINS8_10device_ptrIxEEEESD_jNS1_19radix_merge_compareILb0ELb1ExNS0_19identity_decomposerEEEEE10hipError_tT0_T1_T2_jT3_P12ihipStream_tbPNSt15iterator_traitsISI_E10value_typeEPNSO_ISJ_E10value_typeEPSK_NS1_7vsmem_tEENKUlT_SI_SJ_SK_E_clISD_PxSD_S10_EESH_SX_SI_SJ_SK_EUlSX_E1_NS1_11comp_targetILNS1_3genE10ELNS1_11target_archE1201ELNS1_3gpuE5ELNS1_3repE0EEENS1_36merge_oddeven_config_static_selectorELNS0_4arch9wavefront6targetE1EEEvSJ_, .Lfunc_end1163-_ZN7rocprim17ROCPRIM_400000_NS6detail17trampoline_kernelINS0_14default_configENS1_38merge_sort_block_merge_config_selectorIxxEEZZNS1_27merge_sort_block_merge_implIS3_N6thrust23THRUST_200600_302600_NS6detail15normal_iteratorINS8_10device_ptrIxEEEESD_jNS1_19radix_merge_compareILb0ELb1ExNS0_19identity_decomposerEEEEE10hipError_tT0_T1_T2_jT3_P12ihipStream_tbPNSt15iterator_traitsISI_E10value_typeEPNSO_ISJ_E10value_typeEPSK_NS1_7vsmem_tEENKUlT_SI_SJ_SK_E_clISD_PxSD_S10_EESH_SX_SI_SJ_SK_EUlSX_E1_NS1_11comp_targetILNS1_3genE10ELNS1_11target_archE1201ELNS1_3gpuE5ELNS1_3repE0EEENS1_36merge_oddeven_config_static_selectorELNS0_4arch9wavefront6targetE1EEEvSJ_
                                        ; -- End function
	.set _ZN7rocprim17ROCPRIM_400000_NS6detail17trampoline_kernelINS0_14default_configENS1_38merge_sort_block_merge_config_selectorIxxEEZZNS1_27merge_sort_block_merge_implIS3_N6thrust23THRUST_200600_302600_NS6detail15normal_iteratorINS8_10device_ptrIxEEEESD_jNS1_19radix_merge_compareILb0ELb1ExNS0_19identity_decomposerEEEEE10hipError_tT0_T1_T2_jT3_P12ihipStream_tbPNSt15iterator_traitsISI_E10value_typeEPNSO_ISJ_E10value_typeEPSK_NS1_7vsmem_tEENKUlT_SI_SJ_SK_E_clISD_PxSD_S10_EESH_SX_SI_SJ_SK_EUlSX_E1_NS1_11comp_targetILNS1_3genE10ELNS1_11target_archE1201ELNS1_3gpuE5ELNS1_3repE0EEENS1_36merge_oddeven_config_static_selectorELNS0_4arch9wavefront6targetE1EEEvSJ_.num_vgpr, 0
	.set _ZN7rocprim17ROCPRIM_400000_NS6detail17trampoline_kernelINS0_14default_configENS1_38merge_sort_block_merge_config_selectorIxxEEZZNS1_27merge_sort_block_merge_implIS3_N6thrust23THRUST_200600_302600_NS6detail15normal_iteratorINS8_10device_ptrIxEEEESD_jNS1_19radix_merge_compareILb0ELb1ExNS0_19identity_decomposerEEEEE10hipError_tT0_T1_T2_jT3_P12ihipStream_tbPNSt15iterator_traitsISI_E10value_typeEPNSO_ISJ_E10value_typeEPSK_NS1_7vsmem_tEENKUlT_SI_SJ_SK_E_clISD_PxSD_S10_EESH_SX_SI_SJ_SK_EUlSX_E1_NS1_11comp_targetILNS1_3genE10ELNS1_11target_archE1201ELNS1_3gpuE5ELNS1_3repE0EEENS1_36merge_oddeven_config_static_selectorELNS0_4arch9wavefront6targetE1EEEvSJ_.num_agpr, 0
	.set _ZN7rocprim17ROCPRIM_400000_NS6detail17trampoline_kernelINS0_14default_configENS1_38merge_sort_block_merge_config_selectorIxxEEZZNS1_27merge_sort_block_merge_implIS3_N6thrust23THRUST_200600_302600_NS6detail15normal_iteratorINS8_10device_ptrIxEEEESD_jNS1_19radix_merge_compareILb0ELb1ExNS0_19identity_decomposerEEEEE10hipError_tT0_T1_T2_jT3_P12ihipStream_tbPNSt15iterator_traitsISI_E10value_typeEPNSO_ISJ_E10value_typeEPSK_NS1_7vsmem_tEENKUlT_SI_SJ_SK_E_clISD_PxSD_S10_EESH_SX_SI_SJ_SK_EUlSX_E1_NS1_11comp_targetILNS1_3genE10ELNS1_11target_archE1201ELNS1_3gpuE5ELNS1_3repE0EEENS1_36merge_oddeven_config_static_selectorELNS0_4arch9wavefront6targetE1EEEvSJ_.numbered_sgpr, 0
	.set _ZN7rocprim17ROCPRIM_400000_NS6detail17trampoline_kernelINS0_14default_configENS1_38merge_sort_block_merge_config_selectorIxxEEZZNS1_27merge_sort_block_merge_implIS3_N6thrust23THRUST_200600_302600_NS6detail15normal_iteratorINS8_10device_ptrIxEEEESD_jNS1_19radix_merge_compareILb0ELb1ExNS0_19identity_decomposerEEEEE10hipError_tT0_T1_T2_jT3_P12ihipStream_tbPNSt15iterator_traitsISI_E10value_typeEPNSO_ISJ_E10value_typeEPSK_NS1_7vsmem_tEENKUlT_SI_SJ_SK_E_clISD_PxSD_S10_EESH_SX_SI_SJ_SK_EUlSX_E1_NS1_11comp_targetILNS1_3genE10ELNS1_11target_archE1201ELNS1_3gpuE5ELNS1_3repE0EEENS1_36merge_oddeven_config_static_selectorELNS0_4arch9wavefront6targetE1EEEvSJ_.num_named_barrier, 0
	.set _ZN7rocprim17ROCPRIM_400000_NS6detail17trampoline_kernelINS0_14default_configENS1_38merge_sort_block_merge_config_selectorIxxEEZZNS1_27merge_sort_block_merge_implIS3_N6thrust23THRUST_200600_302600_NS6detail15normal_iteratorINS8_10device_ptrIxEEEESD_jNS1_19radix_merge_compareILb0ELb1ExNS0_19identity_decomposerEEEEE10hipError_tT0_T1_T2_jT3_P12ihipStream_tbPNSt15iterator_traitsISI_E10value_typeEPNSO_ISJ_E10value_typeEPSK_NS1_7vsmem_tEENKUlT_SI_SJ_SK_E_clISD_PxSD_S10_EESH_SX_SI_SJ_SK_EUlSX_E1_NS1_11comp_targetILNS1_3genE10ELNS1_11target_archE1201ELNS1_3gpuE5ELNS1_3repE0EEENS1_36merge_oddeven_config_static_selectorELNS0_4arch9wavefront6targetE1EEEvSJ_.private_seg_size, 0
	.set _ZN7rocprim17ROCPRIM_400000_NS6detail17trampoline_kernelINS0_14default_configENS1_38merge_sort_block_merge_config_selectorIxxEEZZNS1_27merge_sort_block_merge_implIS3_N6thrust23THRUST_200600_302600_NS6detail15normal_iteratorINS8_10device_ptrIxEEEESD_jNS1_19radix_merge_compareILb0ELb1ExNS0_19identity_decomposerEEEEE10hipError_tT0_T1_T2_jT3_P12ihipStream_tbPNSt15iterator_traitsISI_E10value_typeEPNSO_ISJ_E10value_typeEPSK_NS1_7vsmem_tEENKUlT_SI_SJ_SK_E_clISD_PxSD_S10_EESH_SX_SI_SJ_SK_EUlSX_E1_NS1_11comp_targetILNS1_3genE10ELNS1_11target_archE1201ELNS1_3gpuE5ELNS1_3repE0EEENS1_36merge_oddeven_config_static_selectorELNS0_4arch9wavefront6targetE1EEEvSJ_.uses_vcc, 0
	.set _ZN7rocprim17ROCPRIM_400000_NS6detail17trampoline_kernelINS0_14default_configENS1_38merge_sort_block_merge_config_selectorIxxEEZZNS1_27merge_sort_block_merge_implIS3_N6thrust23THRUST_200600_302600_NS6detail15normal_iteratorINS8_10device_ptrIxEEEESD_jNS1_19radix_merge_compareILb0ELb1ExNS0_19identity_decomposerEEEEE10hipError_tT0_T1_T2_jT3_P12ihipStream_tbPNSt15iterator_traitsISI_E10value_typeEPNSO_ISJ_E10value_typeEPSK_NS1_7vsmem_tEENKUlT_SI_SJ_SK_E_clISD_PxSD_S10_EESH_SX_SI_SJ_SK_EUlSX_E1_NS1_11comp_targetILNS1_3genE10ELNS1_11target_archE1201ELNS1_3gpuE5ELNS1_3repE0EEENS1_36merge_oddeven_config_static_selectorELNS0_4arch9wavefront6targetE1EEEvSJ_.uses_flat_scratch, 0
	.set _ZN7rocprim17ROCPRIM_400000_NS6detail17trampoline_kernelINS0_14default_configENS1_38merge_sort_block_merge_config_selectorIxxEEZZNS1_27merge_sort_block_merge_implIS3_N6thrust23THRUST_200600_302600_NS6detail15normal_iteratorINS8_10device_ptrIxEEEESD_jNS1_19radix_merge_compareILb0ELb1ExNS0_19identity_decomposerEEEEE10hipError_tT0_T1_T2_jT3_P12ihipStream_tbPNSt15iterator_traitsISI_E10value_typeEPNSO_ISJ_E10value_typeEPSK_NS1_7vsmem_tEENKUlT_SI_SJ_SK_E_clISD_PxSD_S10_EESH_SX_SI_SJ_SK_EUlSX_E1_NS1_11comp_targetILNS1_3genE10ELNS1_11target_archE1201ELNS1_3gpuE5ELNS1_3repE0EEENS1_36merge_oddeven_config_static_selectorELNS0_4arch9wavefront6targetE1EEEvSJ_.has_dyn_sized_stack, 0
	.set _ZN7rocprim17ROCPRIM_400000_NS6detail17trampoline_kernelINS0_14default_configENS1_38merge_sort_block_merge_config_selectorIxxEEZZNS1_27merge_sort_block_merge_implIS3_N6thrust23THRUST_200600_302600_NS6detail15normal_iteratorINS8_10device_ptrIxEEEESD_jNS1_19radix_merge_compareILb0ELb1ExNS0_19identity_decomposerEEEEE10hipError_tT0_T1_T2_jT3_P12ihipStream_tbPNSt15iterator_traitsISI_E10value_typeEPNSO_ISJ_E10value_typeEPSK_NS1_7vsmem_tEENKUlT_SI_SJ_SK_E_clISD_PxSD_S10_EESH_SX_SI_SJ_SK_EUlSX_E1_NS1_11comp_targetILNS1_3genE10ELNS1_11target_archE1201ELNS1_3gpuE5ELNS1_3repE0EEENS1_36merge_oddeven_config_static_selectorELNS0_4arch9wavefront6targetE1EEEvSJ_.has_recursion, 0
	.set _ZN7rocprim17ROCPRIM_400000_NS6detail17trampoline_kernelINS0_14default_configENS1_38merge_sort_block_merge_config_selectorIxxEEZZNS1_27merge_sort_block_merge_implIS3_N6thrust23THRUST_200600_302600_NS6detail15normal_iteratorINS8_10device_ptrIxEEEESD_jNS1_19radix_merge_compareILb0ELb1ExNS0_19identity_decomposerEEEEE10hipError_tT0_T1_T2_jT3_P12ihipStream_tbPNSt15iterator_traitsISI_E10value_typeEPNSO_ISJ_E10value_typeEPSK_NS1_7vsmem_tEENKUlT_SI_SJ_SK_E_clISD_PxSD_S10_EESH_SX_SI_SJ_SK_EUlSX_E1_NS1_11comp_targetILNS1_3genE10ELNS1_11target_archE1201ELNS1_3gpuE5ELNS1_3repE0EEENS1_36merge_oddeven_config_static_selectorELNS0_4arch9wavefront6targetE1EEEvSJ_.has_indirect_call, 0
	.section	.AMDGPU.csdata,"",@progbits
; Kernel info:
; codeLenInByte = 0
; TotalNumSgprs: 6
; NumVgprs: 0
; NumAgprs: 0
; TotalNumVgprs: 0
; ScratchSize: 0
; MemoryBound: 0
; FloatMode: 240
; IeeeMode: 1
; LDSByteSize: 0 bytes/workgroup (compile time only)
; SGPRBlocks: 0
; VGPRBlocks: 0
; NumSGPRsForWavesPerEU: 6
; NumVGPRsForWavesPerEU: 1
; AccumOffset: 4
; Occupancy: 8
; WaveLimiterHint : 0
; COMPUTE_PGM_RSRC2:SCRATCH_EN: 0
; COMPUTE_PGM_RSRC2:USER_SGPR: 2
; COMPUTE_PGM_RSRC2:TRAP_HANDLER: 0
; COMPUTE_PGM_RSRC2:TGID_X_EN: 1
; COMPUTE_PGM_RSRC2:TGID_Y_EN: 0
; COMPUTE_PGM_RSRC2:TGID_Z_EN: 0
; COMPUTE_PGM_RSRC2:TIDIG_COMP_CNT: 0
; COMPUTE_PGM_RSRC3_GFX90A:ACCUM_OFFSET: 0
; COMPUTE_PGM_RSRC3_GFX90A:TG_SPLIT: 0
	.section	.text._ZN7rocprim17ROCPRIM_400000_NS6detail17trampoline_kernelINS0_14default_configENS1_38merge_sort_block_merge_config_selectorIxxEEZZNS1_27merge_sort_block_merge_implIS3_N6thrust23THRUST_200600_302600_NS6detail15normal_iteratorINS8_10device_ptrIxEEEESD_jNS1_19radix_merge_compareILb0ELb1ExNS0_19identity_decomposerEEEEE10hipError_tT0_T1_T2_jT3_P12ihipStream_tbPNSt15iterator_traitsISI_E10value_typeEPNSO_ISJ_E10value_typeEPSK_NS1_7vsmem_tEENKUlT_SI_SJ_SK_E_clISD_PxSD_S10_EESH_SX_SI_SJ_SK_EUlSX_E1_NS1_11comp_targetILNS1_3genE5ELNS1_11target_archE942ELNS1_3gpuE9ELNS1_3repE0EEENS1_36merge_oddeven_config_static_selectorELNS0_4arch9wavefront6targetE1EEEvSJ_,"axG",@progbits,_ZN7rocprim17ROCPRIM_400000_NS6detail17trampoline_kernelINS0_14default_configENS1_38merge_sort_block_merge_config_selectorIxxEEZZNS1_27merge_sort_block_merge_implIS3_N6thrust23THRUST_200600_302600_NS6detail15normal_iteratorINS8_10device_ptrIxEEEESD_jNS1_19radix_merge_compareILb0ELb1ExNS0_19identity_decomposerEEEEE10hipError_tT0_T1_T2_jT3_P12ihipStream_tbPNSt15iterator_traitsISI_E10value_typeEPNSO_ISJ_E10value_typeEPSK_NS1_7vsmem_tEENKUlT_SI_SJ_SK_E_clISD_PxSD_S10_EESH_SX_SI_SJ_SK_EUlSX_E1_NS1_11comp_targetILNS1_3genE5ELNS1_11target_archE942ELNS1_3gpuE9ELNS1_3repE0EEENS1_36merge_oddeven_config_static_selectorELNS0_4arch9wavefront6targetE1EEEvSJ_,comdat
	.protected	_ZN7rocprim17ROCPRIM_400000_NS6detail17trampoline_kernelINS0_14default_configENS1_38merge_sort_block_merge_config_selectorIxxEEZZNS1_27merge_sort_block_merge_implIS3_N6thrust23THRUST_200600_302600_NS6detail15normal_iteratorINS8_10device_ptrIxEEEESD_jNS1_19radix_merge_compareILb0ELb1ExNS0_19identity_decomposerEEEEE10hipError_tT0_T1_T2_jT3_P12ihipStream_tbPNSt15iterator_traitsISI_E10value_typeEPNSO_ISJ_E10value_typeEPSK_NS1_7vsmem_tEENKUlT_SI_SJ_SK_E_clISD_PxSD_S10_EESH_SX_SI_SJ_SK_EUlSX_E1_NS1_11comp_targetILNS1_3genE5ELNS1_11target_archE942ELNS1_3gpuE9ELNS1_3repE0EEENS1_36merge_oddeven_config_static_selectorELNS0_4arch9wavefront6targetE1EEEvSJ_ ; -- Begin function _ZN7rocprim17ROCPRIM_400000_NS6detail17trampoline_kernelINS0_14default_configENS1_38merge_sort_block_merge_config_selectorIxxEEZZNS1_27merge_sort_block_merge_implIS3_N6thrust23THRUST_200600_302600_NS6detail15normal_iteratorINS8_10device_ptrIxEEEESD_jNS1_19radix_merge_compareILb0ELb1ExNS0_19identity_decomposerEEEEE10hipError_tT0_T1_T2_jT3_P12ihipStream_tbPNSt15iterator_traitsISI_E10value_typeEPNSO_ISJ_E10value_typeEPSK_NS1_7vsmem_tEENKUlT_SI_SJ_SK_E_clISD_PxSD_S10_EESH_SX_SI_SJ_SK_EUlSX_E1_NS1_11comp_targetILNS1_3genE5ELNS1_11target_archE942ELNS1_3gpuE9ELNS1_3repE0EEENS1_36merge_oddeven_config_static_selectorELNS0_4arch9wavefront6targetE1EEEvSJ_
	.globl	_ZN7rocprim17ROCPRIM_400000_NS6detail17trampoline_kernelINS0_14default_configENS1_38merge_sort_block_merge_config_selectorIxxEEZZNS1_27merge_sort_block_merge_implIS3_N6thrust23THRUST_200600_302600_NS6detail15normal_iteratorINS8_10device_ptrIxEEEESD_jNS1_19radix_merge_compareILb0ELb1ExNS0_19identity_decomposerEEEEE10hipError_tT0_T1_T2_jT3_P12ihipStream_tbPNSt15iterator_traitsISI_E10value_typeEPNSO_ISJ_E10value_typeEPSK_NS1_7vsmem_tEENKUlT_SI_SJ_SK_E_clISD_PxSD_S10_EESH_SX_SI_SJ_SK_EUlSX_E1_NS1_11comp_targetILNS1_3genE5ELNS1_11target_archE942ELNS1_3gpuE9ELNS1_3repE0EEENS1_36merge_oddeven_config_static_selectorELNS0_4arch9wavefront6targetE1EEEvSJ_
	.p2align	8
	.type	_ZN7rocprim17ROCPRIM_400000_NS6detail17trampoline_kernelINS0_14default_configENS1_38merge_sort_block_merge_config_selectorIxxEEZZNS1_27merge_sort_block_merge_implIS3_N6thrust23THRUST_200600_302600_NS6detail15normal_iteratorINS8_10device_ptrIxEEEESD_jNS1_19radix_merge_compareILb0ELb1ExNS0_19identity_decomposerEEEEE10hipError_tT0_T1_T2_jT3_P12ihipStream_tbPNSt15iterator_traitsISI_E10value_typeEPNSO_ISJ_E10value_typeEPSK_NS1_7vsmem_tEENKUlT_SI_SJ_SK_E_clISD_PxSD_S10_EESH_SX_SI_SJ_SK_EUlSX_E1_NS1_11comp_targetILNS1_3genE5ELNS1_11target_archE942ELNS1_3gpuE9ELNS1_3repE0EEENS1_36merge_oddeven_config_static_selectorELNS0_4arch9wavefront6targetE1EEEvSJ_,@function
_ZN7rocprim17ROCPRIM_400000_NS6detail17trampoline_kernelINS0_14default_configENS1_38merge_sort_block_merge_config_selectorIxxEEZZNS1_27merge_sort_block_merge_implIS3_N6thrust23THRUST_200600_302600_NS6detail15normal_iteratorINS8_10device_ptrIxEEEESD_jNS1_19radix_merge_compareILb0ELb1ExNS0_19identity_decomposerEEEEE10hipError_tT0_T1_T2_jT3_P12ihipStream_tbPNSt15iterator_traitsISI_E10value_typeEPNSO_ISJ_E10value_typeEPSK_NS1_7vsmem_tEENKUlT_SI_SJ_SK_E_clISD_PxSD_S10_EESH_SX_SI_SJ_SK_EUlSX_E1_NS1_11comp_targetILNS1_3genE5ELNS1_11target_archE942ELNS1_3gpuE9ELNS1_3repE0EEENS1_36merge_oddeven_config_static_selectorELNS0_4arch9wavefront6targetE1EEEvSJ_: ; @_ZN7rocprim17ROCPRIM_400000_NS6detail17trampoline_kernelINS0_14default_configENS1_38merge_sort_block_merge_config_selectorIxxEEZZNS1_27merge_sort_block_merge_implIS3_N6thrust23THRUST_200600_302600_NS6detail15normal_iteratorINS8_10device_ptrIxEEEESD_jNS1_19radix_merge_compareILb0ELb1ExNS0_19identity_decomposerEEEEE10hipError_tT0_T1_T2_jT3_P12ihipStream_tbPNSt15iterator_traitsISI_E10value_typeEPNSO_ISJ_E10value_typeEPSK_NS1_7vsmem_tEENKUlT_SI_SJ_SK_E_clISD_PxSD_S10_EESH_SX_SI_SJ_SK_EUlSX_E1_NS1_11comp_targetILNS1_3genE5ELNS1_11target_archE942ELNS1_3gpuE9ELNS1_3repE0EEENS1_36merge_oddeven_config_static_selectorELNS0_4arch9wavefront6targetE1EEEvSJ_
; %bb.0:
	.section	.rodata,"a",@progbits
	.p2align	6, 0x0
	.amdhsa_kernel _ZN7rocprim17ROCPRIM_400000_NS6detail17trampoline_kernelINS0_14default_configENS1_38merge_sort_block_merge_config_selectorIxxEEZZNS1_27merge_sort_block_merge_implIS3_N6thrust23THRUST_200600_302600_NS6detail15normal_iteratorINS8_10device_ptrIxEEEESD_jNS1_19radix_merge_compareILb0ELb1ExNS0_19identity_decomposerEEEEE10hipError_tT0_T1_T2_jT3_P12ihipStream_tbPNSt15iterator_traitsISI_E10value_typeEPNSO_ISJ_E10value_typeEPSK_NS1_7vsmem_tEENKUlT_SI_SJ_SK_E_clISD_PxSD_S10_EESH_SX_SI_SJ_SK_EUlSX_E1_NS1_11comp_targetILNS1_3genE5ELNS1_11target_archE942ELNS1_3gpuE9ELNS1_3repE0EEENS1_36merge_oddeven_config_static_selectorELNS0_4arch9wavefront6targetE1EEEvSJ_
		.amdhsa_group_segment_fixed_size 0
		.amdhsa_private_segment_fixed_size 0
		.amdhsa_kernarg_size 48
		.amdhsa_user_sgpr_count 2
		.amdhsa_user_sgpr_dispatch_ptr 0
		.amdhsa_user_sgpr_queue_ptr 0
		.amdhsa_user_sgpr_kernarg_segment_ptr 1
		.amdhsa_user_sgpr_dispatch_id 0
		.amdhsa_user_sgpr_kernarg_preload_length 0
		.amdhsa_user_sgpr_kernarg_preload_offset 0
		.amdhsa_user_sgpr_private_segment_size 0
		.amdhsa_uses_dynamic_stack 0
		.amdhsa_enable_private_segment 0
		.amdhsa_system_sgpr_workgroup_id_x 1
		.amdhsa_system_sgpr_workgroup_id_y 0
		.amdhsa_system_sgpr_workgroup_id_z 0
		.amdhsa_system_sgpr_workgroup_info 0
		.amdhsa_system_vgpr_workitem_id 0
		.amdhsa_next_free_vgpr 1
		.amdhsa_next_free_sgpr 0
		.amdhsa_accum_offset 4
		.amdhsa_reserve_vcc 0
		.amdhsa_float_round_mode_32 0
		.amdhsa_float_round_mode_16_64 0
		.amdhsa_float_denorm_mode_32 3
		.amdhsa_float_denorm_mode_16_64 3
		.amdhsa_dx10_clamp 1
		.amdhsa_ieee_mode 1
		.amdhsa_fp16_overflow 0
		.amdhsa_tg_split 0
		.amdhsa_exception_fp_ieee_invalid_op 0
		.amdhsa_exception_fp_denorm_src 0
		.amdhsa_exception_fp_ieee_div_zero 0
		.amdhsa_exception_fp_ieee_overflow 0
		.amdhsa_exception_fp_ieee_underflow 0
		.amdhsa_exception_fp_ieee_inexact 0
		.amdhsa_exception_int_div_zero 0
	.end_amdhsa_kernel
	.section	.text._ZN7rocprim17ROCPRIM_400000_NS6detail17trampoline_kernelINS0_14default_configENS1_38merge_sort_block_merge_config_selectorIxxEEZZNS1_27merge_sort_block_merge_implIS3_N6thrust23THRUST_200600_302600_NS6detail15normal_iteratorINS8_10device_ptrIxEEEESD_jNS1_19radix_merge_compareILb0ELb1ExNS0_19identity_decomposerEEEEE10hipError_tT0_T1_T2_jT3_P12ihipStream_tbPNSt15iterator_traitsISI_E10value_typeEPNSO_ISJ_E10value_typeEPSK_NS1_7vsmem_tEENKUlT_SI_SJ_SK_E_clISD_PxSD_S10_EESH_SX_SI_SJ_SK_EUlSX_E1_NS1_11comp_targetILNS1_3genE5ELNS1_11target_archE942ELNS1_3gpuE9ELNS1_3repE0EEENS1_36merge_oddeven_config_static_selectorELNS0_4arch9wavefront6targetE1EEEvSJ_,"axG",@progbits,_ZN7rocprim17ROCPRIM_400000_NS6detail17trampoline_kernelINS0_14default_configENS1_38merge_sort_block_merge_config_selectorIxxEEZZNS1_27merge_sort_block_merge_implIS3_N6thrust23THRUST_200600_302600_NS6detail15normal_iteratorINS8_10device_ptrIxEEEESD_jNS1_19radix_merge_compareILb0ELb1ExNS0_19identity_decomposerEEEEE10hipError_tT0_T1_T2_jT3_P12ihipStream_tbPNSt15iterator_traitsISI_E10value_typeEPNSO_ISJ_E10value_typeEPSK_NS1_7vsmem_tEENKUlT_SI_SJ_SK_E_clISD_PxSD_S10_EESH_SX_SI_SJ_SK_EUlSX_E1_NS1_11comp_targetILNS1_3genE5ELNS1_11target_archE942ELNS1_3gpuE9ELNS1_3repE0EEENS1_36merge_oddeven_config_static_selectorELNS0_4arch9wavefront6targetE1EEEvSJ_,comdat
.Lfunc_end1164:
	.size	_ZN7rocprim17ROCPRIM_400000_NS6detail17trampoline_kernelINS0_14default_configENS1_38merge_sort_block_merge_config_selectorIxxEEZZNS1_27merge_sort_block_merge_implIS3_N6thrust23THRUST_200600_302600_NS6detail15normal_iteratorINS8_10device_ptrIxEEEESD_jNS1_19radix_merge_compareILb0ELb1ExNS0_19identity_decomposerEEEEE10hipError_tT0_T1_T2_jT3_P12ihipStream_tbPNSt15iterator_traitsISI_E10value_typeEPNSO_ISJ_E10value_typeEPSK_NS1_7vsmem_tEENKUlT_SI_SJ_SK_E_clISD_PxSD_S10_EESH_SX_SI_SJ_SK_EUlSX_E1_NS1_11comp_targetILNS1_3genE5ELNS1_11target_archE942ELNS1_3gpuE9ELNS1_3repE0EEENS1_36merge_oddeven_config_static_selectorELNS0_4arch9wavefront6targetE1EEEvSJ_, .Lfunc_end1164-_ZN7rocprim17ROCPRIM_400000_NS6detail17trampoline_kernelINS0_14default_configENS1_38merge_sort_block_merge_config_selectorIxxEEZZNS1_27merge_sort_block_merge_implIS3_N6thrust23THRUST_200600_302600_NS6detail15normal_iteratorINS8_10device_ptrIxEEEESD_jNS1_19radix_merge_compareILb0ELb1ExNS0_19identity_decomposerEEEEE10hipError_tT0_T1_T2_jT3_P12ihipStream_tbPNSt15iterator_traitsISI_E10value_typeEPNSO_ISJ_E10value_typeEPSK_NS1_7vsmem_tEENKUlT_SI_SJ_SK_E_clISD_PxSD_S10_EESH_SX_SI_SJ_SK_EUlSX_E1_NS1_11comp_targetILNS1_3genE5ELNS1_11target_archE942ELNS1_3gpuE9ELNS1_3repE0EEENS1_36merge_oddeven_config_static_selectorELNS0_4arch9wavefront6targetE1EEEvSJ_
                                        ; -- End function
	.set _ZN7rocprim17ROCPRIM_400000_NS6detail17trampoline_kernelINS0_14default_configENS1_38merge_sort_block_merge_config_selectorIxxEEZZNS1_27merge_sort_block_merge_implIS3_N6thrust23THRUST_200600_302600_NS6detail15normal_iteratorINS8_10device_ptrIxEEEESD_jNS1_19radix_merge_compareILb0ELb1ExNS0_19identity_decomposerEEEEE10hipError_tT0_T1_T2_jT3_P12ihipStream_tbPNSt15iterator_traitsISI_E10value_typeEPNSO_ISJ_E10value_typeEPSK_NS1_7vsmem_tEENKUlT_SI_SJ_SK_E_clISD_PxSD_S10_EESH_SX_SI_SJ_SK_EUlSX_E1_NS1_11comp_targetILNS1_3genE5ELNS1_11target_archE942ELNS1_3gpuE9ELNS1_3repE0EEENS1_36merge_oddeven_config_static_selectorELNS0_4arch9wavefront6targetE1EEEvSJ_.num_vgpr, 0
	.set _ZN7rocprim17ROCPRIM_400000_NS6detail17trampoline_kernelINS0_14default_configENS1_38merge_sort_block_merge_config_selectorIxxEEZZNS1_27merge_sort_block_merge_implIS3_N6thrust23THRUST_200600_302600_NS6detail15normal_iteratorINS8_10device_ptrIxEEEESD_jNS1_19radix_merge_compareILb0ELb1ExNS0_19identity_decomposerEEEEE10hipError_tT0_T1_T2_jT3_P12ihipStream_tbPNSt15iterator_traitsISI_E10value_typeEPNSO_ISJ_E10value_typeEPSK_NS1_7vsmem_tEENKUlT_SI_SJ_SK_E_clISD_PxSD_S10_EESH_SX_SI_SJ_SK_EUlSX_E1_NS1_11comp_targetILNS1_3genE5ELNS1_11target_archE942ELNS1_3gpuE9ELNS1_3repE0EEENS1_36merge_oddeven_config_static_selectorELNS0_4arch9wavefront6targetE1EEEvSJ_.num_agpr, 0
	.set _ZN7rocprim17ROCPRIM_400000_NS6detail17trampoline_kernelINS0_14default_configENS1_38merge_sort_block_merge_config_selectorIxxEEZZNS1_27merge_sort_block_merge_implIS3_N6thrust23THRUST_200600_302600_NS6detail15normal_iteratorINS8_10device_ptrIxEEEESD_jNS1_19radix_merge_compareILb0ELb1ExNS0_19identity_decomposerEEEEE10hipError_tT0_T1_T2_jT3_P12ihipStream_tbPNSt15iterator_traitsISI_E10value_typeEPNSO_ISJ_E10value_typeEPSK_NS1_7vsmem_tEENKUlT_SI_SJ_SK_E_clISD_PxSD_S10_EESH_SX_SI_SJ_SK_EUlSX_E1_NS1_11comp_targetILNS1_3genE5ELNS1_11target_archE942ELNS1_3gpuE9ELNS1_3repE0EEENS1_36merge_oddeven_config_static_selectorELNS0_4arch9wavefront6targetE1EEEvSJ_.numbered_sgpr, 0
	.set _ZN7rocprim17ROCPRIM_400000_NS6detail17trampoline_kernelINS0_14default_configENS1_38merge_sort_block_merge_config_selectorIxxEEZZNS1_27merge_sort_block_merge_implIS3_N6thrust23THRUST_200600_302600_NS6detail15normal_iteratorINS8_10device_ptrIxEEEESD_jNS1_19radix_merge_compareILb0ELb1ExNS0_19identity_decomposerEEEEE10hipError_tT0_T1_T2_jT3_P12ihipStream_tbPNSt15iterator_traitsISI_E10value_typeEPNSO_ISJ_E10value_typeEPSK_NS1_7vsmem_tEENKUlT_SI_SJ_SK_E_clISD_PxSD_S10_EESH_SX_SI_SJ_SK_EUlSX_E1_NS1_11comp_targetILNS1_3genE5ELNS1_11target_archE942ELNS1_3gpuE9ELNS1_3repE0EEENS1_36merge_oddeven_config_static_selectorELNS0_4arch9wavefront6targetE1EEEvSJ_.num_named_barrier, 0
	.set _ZN7rocprim17ROCPRIM_400000_NS6detail17trampoline_kernelINS0_14default_configENS1_38merge_sort_block_merge_config_selectorIxxEEZZNS1_27merge_sort_block_merge_implIS3_N6thrust23THRUST_200600_302600_NS6detail15normal_iteratorINS8_10device_ptrIxEEEESD_jNS1_19radix_merge_compareILb0ELb1ExNS0_19identity_decomposerEEEEE10hipError_tT0_T1_T2_jT3_P12ihipStream_tbPNSt15iterator_traitsISI_E10value_typeEPNSO_ISJ_E10value_typeEPSK_NS1_7vsmem_tEENKUlT_SI_SJ_SK_E_clISD_PxSD_S10_EESH_SX_SI_SJ_SK_EUlSX_E1_NS1_11comp_targetILNS1_3genE5ELNS1_11target_archE942ELNS1_3gpuE9ELNS1_3repE0EEENS1_36merge_oddeven_config_static_selectorELNS0_4arch9wavefront6targetE1EEEvSJ_.private_seg_size, 0
	.set _ZN7rocprim17ROCPRIM_400000_NS6detail17trampoline_kernelINS0_14default_configENS1_38merge_sort_block_merge_config_selectorIxxEEZZNS1_27merge_sort_block_merge_implIS3_N6thrust23THRUST_200600_302600_NS6detail15normal_iteratorINS8_10device_ptrIxEEEESD_jNS1_19radix_merge_compareILb0ELb1ExNS0_19identity_decomposerEEEEE10hipError_tT0_T1_T2_jT3_P12ihipStream_tbPNSt15iterator_traitsISI_E10value_typeEPNSO_ISJ_E10value_typeEPSK_NS1_7vsmem_tEENKUlT_SI_SJ_SK_E_clISD_PxSD_S10_EESH_SX_SI_SJ_SK_EUlSX_E1_NS1_11comp_targetILNS1_3genE5ELNS1_11target_archE942ELNS1_3gpuE9ELNS1_3repE0EEENS1_36merge_oddeven_config_static_selectorELNS0_4arch9wavefront6targetE1EEEvSJ_.uses_vcc, 0
	.set _ZN7rocprim17ROCPRIM_400000_NS6detail17trampoline_kernelINS0_14default_configENS1_38merge_sort_block_merge_config_selectorIxxEEZZNS1_27merge_sort_block_merge_implIS3_N6thrust23THRUST_200600_302600_NS6detail15normal_iteratorINS8_10device_ptrIxEEEESD_jNS1_19radix_merge_compareILb0ELb1ExNS0_19identity_decomposerEEEEE10hipError_tT0_T1_T2_jT3_P12ihipStream_tbPNSt15iterator_traitsISI_E10value_typeEPNSO_ISJ_E10value_typeEPSK_NS1_7vsmem_tEENKUlT_SI_SJ_SK_E_clISD_PxSD_S10_EESH_SX_SI_SJ_SK_EUlSX_E1_NS1_11comp_targetILNS1_3genE5ELNS1_11target_archE942ELNS1_3gpuE9ELNS1_3repE0EEENS1_36merge_oddeven_config_static_selectorELNS0_4arch9wavefront6targetE1EEEvSJ_.uses_flat_scratch, 0
	.set _ZN7rocprim17ROCPRIM_400000_NS6detail17trampoline_kernelINS0_14default_configENS1_38merge_sort_block_merge_config_selectorIxxEEZZNS1_27merge_sort_block_merge_implIS3_N6thrust23THRUST_200600_302600_NS6detail15normal_iteratorINS8_10device_ptrIxEEEESD_jNS1_19radix_merge_compareILb0ELb1ExNS0_19identity_decomposerEEEEE10hipError_tT0_T1_T2_jT3_P12ihipStream_tbPNSt15iterator_traitsISI_E10value_typeEPNSO_ISJ_E10value_typeEPSK_NS1_7vsmem_tEENKUlT_SI_SJ_SK_E_clISD_PxSD_S10_EESH_SX_SI_SJ_SK_EUlSX_E1_NS1_11comp_targetILNS1_3genE5ELNS1_11target_archE942ELNS1_3gpuE9ELNS1_3repE0EEENS1_36merge_oddeven_config_static_selectorELNS0_4arch9wavefront6targetE1EEEvSJ_.has_dyn_sized_stack, 0
	.set _ZN7rocprim17ROCPRIM_400000_NS6detail17trampoline_kernelINS0_14default_configENS1_38merge_sort_block_merge_config_selectorIxxEEZZNS1_27merge_sort_block_merge_implIS3_N6thrust23THRUST_200600_302600_NS6detail15normal_iteratorINS8_10device_ptrIxEEEESD_jNS1_19radix_merge_compareILb0ELb1ExNS0_19identity_decomposerEEEEE10hipError_tT0_T1_T2_jT3_P12ihipStream_tbPNSt15iterator_traitsISI_E10value_typeEPNSO_ISJ_E10value_typeEPSK_NS1_7vsmem_tEENKUlT_SI_SJ_SK_E_clISD_PxSD_S10_EESH_SX_SI_SJ_SK_EUlSX_E1_NS1_11comp_targetILNS1_3genE5ELNS1_11target_archE942ELNS1_3gpuE9ELNS1_3repE0EEENS1_36merge_oddeven_config_static_selectorELNS0_4arch9wavefront6targetE1EEEvSJ_.has_recursion, 0
	.set _ZN7rocprim17ROCPRIM_400000_NS6detail17trampoline_kernelINS0_14default_configENS1_38merge_sort_block_merge_config_selectorIxxEEZZNS1_27merge_sort_block_merge_implIS3_N6thrust23THRUST_200600_302600_NS6detail15normal_iteratorINS8_10device_ptrIxEEEESD_jNS1_19radix_merge_compareILb0ELb1ExNS0_19identity_decomposerEEEEE10hipError_tT0_T1_T2_jT3_P12ihipStream_tbPNSt15iterator_traitsISI_E10value_typeEPNSO_ISJ_E10value_typeEPSK_NS1_7vsmem_tEENKUlT_SI_SJ_SK_E_clISD_PxSD_S10_EESH_SX_SI_SJ_SK_EUlSX_E1_NS1_11comp_targetILNS1_3genE5ELNS1_11target_archE942ELNS1_3gpuE9ELNS1_3repE0EEENS1_36merge_oddeven_config_static_selectorELNS0_4arch9wavefront6targetE1EEEvSJ_.has_indirect_call, 0
	.section	.AMDGPU.csdata,"",@progbits
; Kernel info:
; codeLenInByte = 0
; TotalNumSgprs: 6
; NumVgprs: 0
; NumAgprs: 0
; TotalNumVgprs: 0
; ScratchSize: 0
; MemoryBound: 0
; FloatMode: 240
; IeeeMode: 1
; LDSByteSize: 0 bytes/workgroup (compile time only)
; SGPRBlocks: 0
; VGPRBlocks: 0
; NumSGPRsForWavesPerEU: 6
; NumVGPRsForWavesPerEU: 1
; AccumOffset: 4
; Occupancy: 8
; WaveLimiterHint : 0
; COMPUTE_PGM_RSRC2:SCRATCH_EN: 0
; COMPUTE_PGM_RSRC2:USER_SGPR: 2
; COMPUTE_PGM_RSRC2:TRAP_HANDLER: 0
; COMPUTE_PGM_RSRC2:TGID_X_EN: 1
; COMPUTE_PGM_RSRC2:TGID_Y_EN: 0
; COMPUTE_PGM_RSRC2:TGID_Z_EN: 0
; COMPUTE_PGM_RSRC2:TIDIG_COMP_CNT: 0
; COMPUTE_PGM_RSRC3_GFX90A:ACCUM_OFFSET: 0
; COMPUTE_PGM_RSRC3_GFX90A:TG_SPLIT: 0
	.section	.text._ZN7rocprim17ROCPRIM_400000_NS6detail17trampoline_kernelINS0_14default_configENS1_38merge_sort_block_merge_config_selectorIxxEEZZNS1_27merge_sort_block_merge_implIS3_N6thrust23THRUST_200600_302600_NS6detail15normal_iteratorINS8_10device_ptrIxEEEESD_jNS1_19radix_merge_compareILb0ELb1ExNS0_19identity_decomposerEEEEE10hipError_tT0_T1_T2_jT3_P12ihipStream_tbPNSt15iterator_traitsISI_E10value_typeEPNSO_ISJ_E10value_typeEPSK_NS1_7vsmem_tEENKUlT_SI_SJ_SK_E_clISD_PxSD_S10_EESH_SX_SI_SJ_SK_EUlSX_E1_NS1_11comp_targetILNS1_3genE4ELNS1_11target_archE910ELNS1_3gpuE8ELNS1_3repE0EEENS1_36merge_oddeven_config_static_selectorELNS0_4arch9wavefront6targetE1EEEvSJ_,"axG",@progbits,_ZN7rocprim17ROCPRIM_400000_NS6detail17trampoline_kernelINS0_14default_configENS1_38merge_sort_block_merge_config_selectorIxxEEZZNS1_27merge_sort_block_merge_implIS3_N6thrust23THRUST_200600_302600_NS6detail15normal_iteratorINS8_10device_ptrIxEEEESD_jNS1_19radix_merge_compareILb0ELb1ExNS0_19identity_decomposerEEEEE10hipError_tT0_T1_T2_jT3_P12ihipStream_tbPNSt15iterator_traitsISI_E10value_typeEPNSO_ISJ_E10value_typeEPSK_NS1_7vsmem_tEENKUlT_SI_SJ_SK_E_clISD_PxSD_S10_EESH_SX_SI_SJ_SK_EUlSX_E1_NS1_11comp_targetILNS1_3genE4ELNS1_11target_archE910ELNS1_3gpuE8ELNS1_3repE0EEENS1_36merge_oddeven_config_static_selectorELNS0_4arch9wavefront6targetE1EEEvSJ_,comdat
	.protected	_ZN7rocprim17ROCPRIM_400000_NS6detail17trampoline_kernelINS0_14default_configENS1_38merge_sort_block_merge_config_selectorIxxEEZZNS1_27merge_sort_block_merge_implIS3_N6thrust23THRUST_200600_302600_NS6detail15normal_iteratorINS8_10device_ptrIxEEEESD_jNS1_19radix_merge_compareILb0ELb1ExNS0_19identity_decomposerEEEEE10hipError_tT0_T1_T2_jT3_P12ihipStream_tbPNSt15iterator_traitsISI_E10value_typeEPNSO_ISJ_E10value_typeEPSK_NS1_7vsmem_tEENKUlT_SI_SJ_SK_E_clISD_PxSD_S10_EESH_SX_SI_SJ_SK_EUlSX_E1_NS1_11comp_targetILNS1_3genE4ELNS1_11target_archE910ELNS1_3gpuE8ELNS1_3repE0EEENS1_36merge_oddeven_config_static_selectorELNS0_4arch9wavefront6targetE1EEEvSJ_ ; -- Begin function _ZN7rocprim17ROCPRIM_400000_NS6detail17trampoline_kernelINS0_14default_configENS1_38merge_sort_block_merge_config_selectorIxxEEZZNS1_27merge_sort_block_merge_implIS3_N6thrust23THRUST_200600_302600_NS6detail15normal_iteratorINS8_10device_ptrIxEEEESD_jNS1_19radix_merge_compareILb0ELb1ExNS0_19identity_decomposerEEEEE10hipError_tT0_T1_T2_jT3_P12ihipStream_tbPNSt15iterator_traitsISI_E10value_typeEPNSO_ISJ_E10value_typeEPSK_NS1_7vsmem_tEENKUlT_SI_SJ_SK_E_clISD_PxSD_S10_EESH_SX_SI_SJ_SK_EUlSX_E1_NS1_11comp_targetILNS1_3genE4ELNS1_11target_archE910ELNS1_3gpuE8ELNS1_3repE0EEENS1_36merge_oddeven_config_static_selectorELNS0_4arch9wavefront6targetE1EEEvSJ_
	.globl	_ZN7rocprim17ROCPRIM_400000_NS6detail17trampoline_kernelINS0_14default_configENS1_38merge_sort_block_merge_config_selectorIxxEEZZNS1_27merge_sort_block_merge_implIS3_N6thrust23THRUST_200600_302600_NS6detail15normal_iteratorINS8_10device_ptrIxEEEESD_jNS1_19radix_merge_compareILb0ELb1ExNS0_19identity_decomposerEEEEE10hipError_tT0_T1_T2_jT3_P12ihipStream_tbPNSt15iterator_traitsISI_E10value_typeEPNSO_ISJ_E10value_typeEPSK_NS1_7vsmem_tEENKUlT_SI_SJ_SK_E_clISD_PxSD_S10_EESH_SX_SI_SJ_SK_EUlSX_E1_NS1_11comp_targetILNS1_3genE4ELNS1_11target_archE910ELNS1_3gpuE8ELNS1_3repE0EEENS1_36merge_oddeven_config_static_selectorELNS0_4arch9wavefront6targetE1EEEvSJ_
	.p2align	8
	.type	_ZN7rocprim17ROCPRIM_400000_NS6detail17trampoline_kernelINS0_14default_configENS1_38merge_sort_block_merge_config_selectorIxxEEZZNS1_27merge_sort_block_merge_implIS3_N6thrust23THRUST_200600_302600_NS6detail15normal_iteratorINS8_10device_ptrIxEEEESD_jNS1_19radix_merge_compareILb0ELb1ExNS0_19identity_decomposerEEEEE10hipError_tT0_T1_T2_jT3_P12ihipStream_tbPNSt15iterator_traitsISI_E10value_typeEPNSO_ISJ_E10value_typeEPSK_NS1_7vsmem_tEENKUlT_SI_SJ_SK_E_clISD_PxSD_S10_EESH_SX_SI_SJ_SK_EUlSX_E1_NS1_11comp_targetILNS1_3genE4ELNS1_11target_archE910ELNS1_3gpuE8ELNS1_3repE0EEENS1_36merge_oddeven_config_static_selectorELNS0_4arch9wavefront6targetE1EEEvSJ_,@function
_ZN7rocprim17ROCPRIM_400000_NS6detail17trampoline_kernelINS0_14default_configENS1_38merge_sort_block_merge_config_selectorIxxEEZZNS1_27merge_sort_block_merge_implIS3_N6thrust23THRUST_200600_302600_NS6detail15normal_iteratorINS8_10device_ptrIxEEEESD_jNS1_19radix_merge_compareILb0ELb1ExNS0_19identity_decomposerEEEEE10hipError_tT0_T1_T2_jT3_P12ihipStream_tbPNSt15iterator_traitsISI_E10value_typeEPNSO_ISJ_E10value_typeEPSK_NS1_7vsmem_tEENKUlT_SI_SJ_SK_E_clISD_PxSD_S10_EESH_SX_SI_SJ_SK_EUlSX_E1_NS1_11comp_targetILNS1_3genE4ELNS1_11target_archE910ELNS1_3gpuE8ELNS1_3repE0EEENS1_36merge_oddeven_config_static_selectorELNS0_4arch9wavefront6targetE1EEEvSJ_: ; @_ZN7rocprim17ROCPRIM_400000_NS6detail17trampoline_kernelINS0_14default_configENS1_38merge_sort_block_merge_config_selectorIxxEEZZNS1_27merge_sort_block_merge_implIS3_N6thrust23THRUST_200600_302600_NS6detail15normal_iteratorINS8_10device_ptrIxEEEESD_jNS1_19radix_merge_compareILb0ELb1ExNS0_19identity_decomposerEEEEE10hipError_tT0_T1_T2_jT3_P12ihipStream_tbPNSt15iterator_traitsISI_E10value_typeEPNSO_ISJ_E10value_typeEPSK_NS1_7vsmem_tEENKUlT_SI_SJ_SK_E_clISD_PxSD_S10_EESH_SX_SI_SJ_SK_EUlSX_E1_NS1_11comp_targetILNS1_3genE4ELNS1_11target_archE910ELNS1_3gpuE8ELNS1_3repE0EEENS1_36merge_oddeven_config_static_selectorELNS0_4arch9wavefront6targetE1EEEvSJ_
; %bb.0:
	.section	.rodata,"a",@progbits
	.p2align	6, 0x0
	.amdhsa_kernel _ZN7rocprim17ROCPRIM_400000_NS6detail17trampoline_kernelINS0_14default_configENS1_38merge_sort_block_merge_config_selectorIxxEEZZNS1_27merge_sort_block_merge_implIS3_N6thrust23THRUST_200600_302600_NS6detail15normal_iteratorINS8_10device_ptrIxEEEESD_jNS1_19radix_merge_compareILb0ELb1ExNS0_19identity_decomposerEEEEE10hipError_tT0_T1_T2_jT3_P12ihipStream_tbPNSt15iterator_traitsISI_E10value_typeEPNSO_ISJ_E10value_typeEPSK_NS1_7vsmem_tEENKUlT_SI_SJ_SK_E_clISD_PxSD_S10_EESH_SX_SI_SJ_SK_EUlSX_E1_NS1_11comp_targetILNS1_3genE4ELNS1_11target_archE910ELNS1_3gpuE8ELNS1_3repE0EEENS1_36merge_oddeven_config_static_selectorELNS0_4arch9wavefront6targetE1EEEvSJ_
		.amdhsa_group_segment_fixed_size 0
		.amdhsa_private_segment_fixed_size 0
		.amdhsa_kernarg_size 48
		.amdhsa_user_sgpr_count 2
		.amdhsa_user_sgpr_dispatch_ptr 0
		.amdhsa_user_sgpr_queue_ptr 0
		.amdhsa_user_sgpr_kernarg_segment_ptr 1
		.amdhsa_user_sgpr_dispatch_id 0
		.amdhsa_user_sgpr_kernarg_preload_length 0
		.amdhsa_user_sgpr_kernarg_preload_offset 0
		.amdhsa_user_sgpr_private_segment_size 0
		.amdhsa_uses_dynamic_stack 0
		.amdhsa_enable_private_segment 0
		.amdhsa_system_sgpr_workgroup_id_x 1
		.amdhsa_system_sgpr_workgroup_id_y 0
		.amdhsa_system_sgpr_workgroup_id_z 0
		.amdhsa_system_sgpr_workgroup_info 0
		.amdhsa_system_vgpr_workitem_id 0
		.amdhsa_next_free_vgpr 1
		.amdhsa_next_free_sgpr 0
		.amdhsa_accum_offset 4
		.amdhsa_reserve_vcc 0
		.amdhsa_float_round_mode_32 0
		.amdhsa_float_round_mode_16_64 0
		.amdhsa_float_denorm_mode_32 3
		.amdhsa_float_denorm_mode_16_64 3
		.amdhsa_dx10_clamp 1
		.amdhsa_ieee_mode 1
		.amdhsa_fp16_overflow 0
		.amdhsa_tg_split 0
		.amdhsa_exception_fp_ieee_invalid_op 0
		.amdhsa_exception_fp_denorm_src 0
		.amdhsa_exception_fp_ieee_div_zero 0
		.amdhsa_exception_fp_ieee_overflow 0
		.amdhsa_exception_fp_ieee_underflow 0
		.amdhsa_exception_fp_ieee_inexact 0
		.amdhsa_exception_int_div_zero 0
	.end_amdhsa_kernel
	.section	.text._ZN7rocprim17ROCPRIM_400000_NS6detail17trampoline_kernelINS0_14default_configENS1_38merge_sort_block_merge_config_selectorIxxEEZZNS1_27merge_sort_block_merge_implIS3_N6thrust23THRUST_200600_302600_NS6detail15normal_iteratorINS8_10device_ptrIxEEEESD_jNS1_19radix_merge_compareILb0ELb1ExNS0_19identity_decomposerEEEEE10hipError_tT0_T1_T2_jT3_P12ihipStream_tbPNSt15iterator_traitsISI_E10value_typeEPNSO_ISJ_E10value_typeEPSK_NS1_7vsmem_tEENKUlT_SI_SJ_SK_E_clISD_PxSD_S10_EESH_SX_SI_SJ_SK_EUlSX_E1_NS1_11comp_targetILNS1_3genE4ELNS1_11target_archE910ELNS1_3gpuE8ELNS1_3repE0EEENS1_36merge_oddeven_config_static_selectorELNS0_4arch9wavefront6targetE1EEEvSJ_,"axG",@progbits,_ZN7rocprim17ROCPRIM_400000_NS6detail17trampoline_kernelINS0_14default_configENS1_38merge_sort_block_merge_config_selectorIxxEEZZNS1_27merge_sort_block_merge_implIS3_N6thrust23THRUST_200600_302600_NS6detail15normal_iteratorINS8_10device_ptrIxEEEESD_jNS1_19radix_merge_compareILb0ELb1ExNS0_19identity_decomposerEEEEE10hipError_tT0_T1_T2_jT3_P12ihipStream_tbPNSt15iterator_traitsISI_E10value_typeEPNSO_ISJ_E10value_typeEPSK_NS1_7vsmem_tEENKUlT_SI_SJ_SK_E_clISD_PxSD_S10_EESH_SX_SI_SJ_SK_EUlSX_E1_NS1_11comp_targetILNS1_3genE4ELNS1_11target_archE910ELNS1_3gpuE8ELNS1_3repE0EEENS1_36merge_oddeven_config_static_selectorELNS0_4arch9wavefront6targetE1EEEvSJ_,comdat
.Lfunc_end1165:
	.size	_ZN7rocprim17ROCPRIM_400000_NS6detail17trampoline_kernelINS0_14default_configENS1_38merge_sort_block_merge_config_selectorIxxEEZZNS1_27merge_sort_block_merge_implIS3_N6thrust23THRUST_200600_302600_NS6detail15normal_iteratorINS8_10device_ptrIxEEEESD_jNS1_19radix_merge_compareILb0ELb1ExNS0_19identity_decomposerEEEEE10hipError_tT0_T1_T2_jT3_P12ihipStream_tbPNSt15iterator_traitsISI_E10value_typeEPNSO_ISJ_E10value_typeEPSK_NS1_7vsmem_tEENKUlT_SI_SJ_SK_E_clISD_PxSD_S10_EESH_SX_SI_SJ_SK_EUlSX_E1_NS1_11comp_targetILNS1_3genE4ELNS1_11target_archE910ELNS1_3gpuE8ELNS1_3repE0EEENS1_36merge_oddeven_config_static_selectorELNS0_4arch9wavefront6targetE1EEEvSJ_, .Lfunc_end1165-_ZN7rocprim17ROCPRIM_400000_NS6detail17trampoline_kernelINS0_14default_configENS1_38merge_sort_block_merge_config_selectorIxxEEZZNS1_27merge_sort_block_merge_implIS3_N6thrust23THRUST_200600_302600_NS6detail15normal_iteratorINS8_10device_ptrIxEEEESD_jNS1_19radix_merge_compareILb0ELb1ExNS0_19identity_decomposerEEEEE10hipError_tT0_T1_T2_jT3_P12ihipStream_tbPNSt15iterator_traitsISI_E10value_typeEPNSO_ISJ_E10value_typeEPSK_NS1_7vsmem_tEENKUlT_SI_SJ_SK_E_clISD_PxSD_S10_EESH_SX_SI_SJ_SK_EUlSX_E1_NS1_11comp_targetILNS1_3genE4ELNS1_11target_archE910ELNS1_3gpuE8ELNS1_3repE0EEENS1_36merge_oddeven_config_static_selectorELNS0_4arch9wavefront6targetE1EEEvSJ_
                                        ; -- End function
	.set _ZN7rocprim17ROCPRIM_400000_NS6detail17trampoline_kernelINS0_14default_configENS1_38merge_sort_block_merge_config_selectorIxxEEZZNS1_27merge_sort_block_merge_implIS3_N6thrust23THRUST_200600_302600_NS6detail15normal_iteratorINS8_10device_ptrIxEEEESD_jNS1_19radix_merge_compareILb0ELb1ExNS0_19identity_decomposerEEEEE10hipError_tT0_T1_T2_jT3_P12ihipStream_tbPNSt15iterator_traitsISI_E10value_typeEPNSO_ISJ_E10value_typeEPSK_NS1_7vsmem_tEENKUlT_SI_SJ_SK_E_clISD_PxSD_S10_EESH_SX_SI_SJ_SK_EUlSX_E1_NS1_11comp_targetILNS1_3genE4ELNS1_11target_archE910ELNS1_3gpuE8ELNS1_3repE0EEENS1_36merge_oddeven_config_static_selectorELNS0_4arch9wavefront6targetE1EEEvSJ_.num_vgpr, 0
	.set _ZN7rocprim17ROCPRIM_400000_NS6detail17trampoline_kernelINS0_14default_configENS1_38merge_sort_block_merge_config_selectorIxxEEZZNS1_27merge_sort_block_merge_implIS3_N6thrust23THRUST_200600_302600_NS6detail15normal_iteratorINS8_10device_ptrIxEEEESD_jNS1_19radix_merge_compareILb0ELb1ExNS0_19identity_decomposerEEEEE10hipError_tT0_T1_T2_jT3_P12ihipStream_tbPNSt15iterator_traitsISI_E10value_typeEPNSO_ISJ_E10value_typeEPSK_NS1_7vsmem_tEENKUlT_SI_SJ_SK_E_clISD_PxSD_S10_EESH_SX_SI_SJ_SK_EUlSX_E1_NS1_11comp_targetILNS1_3genE4ELNS1_11target_archE910ELNS1_3gpuE8ELNS1_3repE0EEENS1_36merge_oddeven_config_static_selectorELNS0_4arch9wavefront6targetE1EEEvSJ_.num_agpr, 0
	.set _ZN7rocprim17ROCPRIM_400000_NS6detail17trampoline_kernelINS0_14default_configENS1_38merge_sort_block_merge_config_selectorIxxEEZZNS1_27merge_sort_block_merge_implIS3_N6thrust23THRUST_200600_302600_NS6detail15normal_iteratorINS8_10device_ptrIxEEEESD_jNS1_19radix_merge_compareILb0ELb1ExNS0_19identity_decomposerEEEEE10hipError_tT0_T1_T2_jT3_P12ihipStream_tbPNSt15iterator_traitsISI_E10value_typeEPNSO_ISJ_E10value_typeEPSK_NS1_7vsmem_tEENKUlT_SI_SJ_SK_E_clISD_PxSD_S10_EESH_SX_SI_SJ_SK_EUlSX_E1_NS1_11comp_targetILNS1_3genE4ELNS1_11target_archE910ELNS1_3gpuE8ELNS1_3repE0EEENS1_36merge_oddeven_config_static_selectorELNS0_4arch9wavefront6targetE1EEEvSJ_.numbered_sgpr, 0
	.set _ZN7rocprim17ROCPRIM_400000_NS6detail17trampoline_kernelINS0_14default_configENS1_38merge_sort_block_merge_config_selectorIxxEEZZNS1_27merge_sort_block_merge_implIS3_N6thrust23THRUST_200600_302600_NS6detail15normal_iteratorINS8_10device_ptrIxEEEESD_jNS1_19radix_merge_compareILb0ELb1ExNS0_19identity_decomposerEEEEE10hipError_tT0_T1_T2_jT3_P12ihipStream_tbPNSt15iterator_traitsISI_E10value_typeEPNSO_ISJ_E10value_typeEPSK_NS1_7vsmem_tEENKUlT_SI_SJ_SK_E_clISD_PxSD_S10_EESH_SX_SI_SJ_SK_EUlSX_E1_NS1_11comp_targetILNS1_3genE4ELNS1_11target_archE910ELNS1_3gpuE8ELNS1_3repE0EEENS1_36merge_oddeven_config_static_selectorELNS0_4arch9wavefront6targetE1EEEvSJ_.num_named_barrier, 0
	.set _ZN7rocprim17ROCPRIM_400000_NS6detail17trampoline_kernelINS0_14default_configENS1_38merge_sort_block_merge_config_selectorIxxEEZZNS1_27merge_sort_block_merge_implIS3_N6thrust23THRUST_200600_302600_NS6detail15normal_iteratorINS8_10device_ptrIxEEEESD_jNS1_19radix_merge_compareILb0ELb1ExNS0_19identity_decomposerEEEEE10hipError_tT0_T1_T2_jT3_P12ihipStream_tbPNSt15iterator_traitsISI_E10value_typeEPNSO_ISJ_E10value_typeEPSK_NS1_7vsmem_tEENKUlT_SI_SJ_SK_E_clISD_PxSD_S10_EESH_SX_SI_SJ_SK_EUlSX_E1_NS1_11comp_targetILNS1_3genE4ELNS1_11target_archE910ELNS1_3gpuE8ELNS1_3repE0EEENS1_36merge_oddeven_config_static_selectorELNS0_4arch9wavefront6targetE1EEEvSJ_.private_seg_size, 0
	.set _ZN7rocprim17ROCPRIM_400000_NS6detail17trampoline_kernelINS0_14default_configENS1_38merge_sort_block_merge_config_selectorIxxEEZZNS1_27merge_sort_block_merge_implIS3_N6thrust23THRUST_200600_302600_NS6detail15normal_iteratorINS8_10device_ptrIxEEEESD_jNS1_19radix_merge_compareILb0ELb1ExNS0_19identity_decomposerEEEEE10hipError_tT0_T1_T2_jT3_P12ihipStream_tbPNSt15iterator_traitsISI_E10value_typeEPNSO_ISJ_E10value_typeEPSK_NS1_7vsmem_tEENKUlT_SI_SJ_SK_E_clISD_PxSD_S10_EESH_SX_SI_SJ_SK_EUlSX_E1_NS1_11comp_targetILNS1_3genE4ELNS1_11target_archE910ELNS1_3gpuE8ELNS1_3repE0EEENS1_36merge_oddeven_config_static_selectorELNS0_4arch9wavefront6targetE1EEEvSJ_.uses_vcc, 0
	.set _ZN7rocprim17ROCPRIM_400000_NS6detail17trampoline_kernelINS0_14default_configENS1_38merge_sort_block_merge_config_selectorIxxEEZZNS1_27merge_sort_block_merge_implIS3_N6thrust23THRUST_200600_302600_NS6detail15normal_iteratorINS8_10device_ptrIxEEEESD_jNS1_19radix_merge_compareILb0ELb1ExNS0_19identity_decomposerEEEEE10hipError_tT0_T1_T2_jT3_P12ihipStream_tbPNSt15iterator_traitsISI_E10value_typeEPNSO_ISJ_E10value_typeEPSK_NS1_7vsmem_tEENKUlT_SI_SJ_SK_E_clISD_PxSD_S10_EESH_SX_SI_SJ_SK_EUlSX_E1_NS1_11comp_targetILNS1_3genE4ELNS1_11target_archE910ELNS1_3gpuE8ELNS1_3repE0EEENS1_36merge_oddeven_config_static_selectorELNS0_4arch9wavefront6targetE1EEEvSJ_.uses_flat_scratch, 0
	.set _ZN7rocprim17ROCPRIM_400000_NS6detail17trampoline_kernelINS0_14default_configENS1_38merge_sort_block_merge_config_selectorIxxEEZZNS1_27merge_sort_block_merge_implIS3_N6thrust23THRUST_200600_302600_NS6detail15normal_iteratorINS8_10device_ptrIxEEEESD_jNS1_19radix_merge_compareILb0ELb1ExNS0_19identity_decomposerEEEEE10hipError_tT0_T1_T2_jT3_P12ihipStream_tbPNSt15iterator_traitsISI_E10value_typeEPNSO_ISJ_E10value_typeEPSK_NS1_7vsmem_tEENKUlT_SI_SJ_SK_E_clISD_PxSD_S10_EESH_SX_SI_SJ_SK_EUlSX_E1_NS1_11comp_targetILNS1_3genE4ELNS1_11target_archE910ELNS1_3gpuE8ELNS1_3repE0EEENS1_36merge_oddeven_config_static_selectorELNS0_4arch9wavefront6targetE1EEEvSJ_.has_dyn_sized_stack, 0
	.set _ZN7rocprim17ROCPRIM_400000_NS6detail17trampoline_kernelINS0_14default_configENS1_38merge_sort_block_merge_config_selectorIxxEEZZNS1_27merge_sort_block_merge_implIS3_N6thrust23THRUST_200600_302600_NS6detail15normal_iteratorINS8_10device_ptrIxEEEESD_jNS1_19radix_merge_compareILb0ELb1ExNS0_19identity_decomposerEEEEE10hipError_tT0_T1_T2_jT3_P12ihipStream_tbPNSt15iterator_traitsISI_E10value_typeEPNSO_ISJ_E10value_typeEPSK_NS1_7vsmem_tEENKUlT_SI_SJ_SK_E_clISD_PxSD_S10_EESH_SX_SI_SJ_SK_EUlSX_E1_NS1_11comp_targetILNS1_3genE4ELNS1_11target_archE910ELNS1_3gpuE8ELNS1_3repE0EEENS1_36merge_oddeven_config_static_selectorELNS0_4arch9wavefront6targetE1EEEvSJ_.has_recursion, 0
	.set _ZN7rocprim17ROCPRIM_400000_NS6detail17trampoline_kernelINS0_14default_configENS1_38merge_sort_block_merge_config_selectorIxxEEZZNS1_27merge_sort_block_merge_implIS3_N6thrust23THRUST_200600_302600_NS6detail15normal_iteratorINS8_10device_ptrIxEEEESD_jNS1_19radix_merge_compareILb0ELb1ExNS0_19identity_decomposerEEEEE10hipError_tT0_T1_T2_jT3_P12ihipStream_tbPNSt15iterator_traitsISI_E10value_typeEPNSO_ISJ_E10value_typeEPSK_NS1_7vsmem_tEENKUlT_SI_SJ_SK_E_clISD_PxSD_S10_EESH_SX_SI_SJ_SK_EUlSX_E1_NS1_11comp_targetILNS1_3genE4ELNS1_11target_archE910ELNS1_3gpuE8ELNS1_3repE0EEENS1_36merge_oddeven_config_static_selectorELNS0_4arch9wavefront6targetE1EEEvSJ_.has_indirect_call, 0
	.section	.AMDGPU.csdata,"",@progbits
; Kernel info:
; codeLenInByte = 0
; TotalNumSgprs: 6
; NumVgprs: 0
; NumAgprs: 0
; TotalNumVgprs: 0
; ScratchSize: 0
; MemoryBound: 0
; FloatMode: 240
; IeeeMode: 1
; LDSByteSize: 0 bytes/workgroup (compile time only)
; SGPRBlocks: 0
; VGPRBlocks: 0
; NumSGPRsForWavesPerEU: 6
; NumVGPRsForWavesPerEU: 1
; AccumOffset: 4
; Occupancy: 8
; WaveLimiterHint : 0
; COMPUTE_PGM_RSRC2:SCRATCH_EN: 0
; COMPUTE_PGM_RSRC2:USER_SGPR: 2
; COMPUTE_PGM_RSRC2:TRAP_HANDLER: 0
; COMPUTE_PGM_RSRC2:TGID_X_EN: 1
; COMPUTE_PGM_RSRC2:TGID_Y_EN: 0
; COMPUTE_PGM_RSRC2:TGID_Z_EN: 0
; COMPUTE_PGM_RSRC2:TIDIG_COMP_CNT: 0
; COMPUTE_PGM_RSRC3_GFX90A:ACCUM_OFFSET: 0
; COMPUTE_PGM_RSRC3_GFX90A:TG_SPLIT: 0
	.section	.text._ZN7rocprim17ROCPRIM_400000_NS6detail17trampoline_kernelINS0_14default_configENS1_38merge_sort_block_merge_config_selectorIxxEEZZNS1_27merge_sort_block_merge_implIS3_N6thrust23THRUST_200600_302600_NS6detail15normal_iteratorINS8_10device_ptrIxEEEESD_jNS1_19radix_merge_compareILb0ELb1ExNS0_19identity_decomposerEEEEE10hipError_tT0_T1_T2_jT3_P12ihipStream_tbPNSt15iterator_traitsISI_E10value_typeEPNSO_ISJ_E10value_typeEPSK_NS1_7vsmem_tEENKUlT_SI_SJ_SK_E_clISD_PxSD_S10_EESH_SX_SI_SJ_SK_EUlSX_E1_NS1_11comp_targetILNS1_3genE3ELNS1_11target_archE908ELNS1_3gpuE7ELNS1_3repE0EEENS1_36merge_oddeven_config_static_selectorELNS0_4arch9wavefront6targetE1EEEvSJ_,"axG",@progbits,_ZN7rocprim17ROCPRIM_400000_NS6detail17trampoline_kernelINS0_14default_configENS1_38merge_sort_block_merge_config_selectorIxxEEZZNS1_27merge_sort_block_merge_implIS3_N6thrust23THRUST_200600_302600_NS6detail15normal_iteratorINS8_10device_ptrIxEEEESD_jNS1_19radix_merge_compareILb0ELb1ExNS0_19identity_decomposerEEEEE10hipError_tT0_T1_T2_jT3_P12ihipStream_tbPNSt15iterator_traitsISI_E10value_typeEPNSO_ISJ_E10value_typeEPSK_NS1_7vsmem_tEENKUlT_SI_SJ_SK_E_clISD_PxSD_S10_EESH_SX_SI_SJ_SK_EUlSX_E1_NS1_11comp_targetILNS1_3genE3ELNS1_11target_archE908ELNS1_3gpuE7ELNS1_3repE0EEENS1_36merge_oddeven_config_static_selectorELNS0_4arch9wavefront6targetE1EEEvSJ_,comdat
	.protected	_ZN7rocprim17ROCPRIM_400000_NS6detail17trampoline_kernelINS0_14default_configENS1_38merge_sort_block_merge_config_selectorIxxEEZZNS1_27merge_sort_block_merge_implIS3_N6thrust23THRUST_200600_302600_NS6detail15normal_iteratorINS8_10device_ptrIxEEEESD_jNS1_19radix_merge_compareILb0ELb1ExNS0_19identity_decomposerEEEEE10hipError_tT0_T1_T2_jT3_P12ihipStream_tbPNSt15iterator_traitsISI_E10value_typeEPNSO_ISJ_E10value_typeEPSK_NS1_7vsmem_tEENKUlT_SI_SJ_SK_E_clISD_PxSD_S10_EESH_SX_SI_SJ_SK_EUlSX_E1_NS1_11comp_targetILNS1_3genE3ELNS1_11target_archE908ELNS1_3gpuE7ELNS1_3repE0EEENS1_36merge_oddeven_config_static_selectorELNS0_4arch9wavefront6targetE1EEEvSJ_ ; -- Begin function _ZN7rocprim17ROCPRIM_400000_NS6detail17trampoline_kernelINS0_14default_configENS1_38merge_sort_block_merge_config_selectorIxxEEZZNS1_27merge_sort_block_merge_implIS3_N6thrust23THRUST_200600_302600_NS6detail15normal_iteratorINS8_10device_ptrIxEEEESD_jNS1_19radix_merge_compareILb0ELb1ExNS0_19identity_decomposerEEEEE10hipError_tT0_T1_T2_jT3_P12ihipStream_tbPNSt15iterator_traitsISI_E10value_typeEPNSO_ISJ_E10value_typeEPSK_NS1_7vsmem_tEENKUlT_SI_SJ_SK_E_clISD_PxSD_S10_EESH_SX_SI_SJ_SK_EUlSX_E1_NS1_11comp_targetILNS1_3genE3ELNS1_11target_archE908ELNS1_3gpuE7ELNS1_3repE0EEENS1_36merge_oddeven_config_static_selectorELNS0_4arch9wavefront6targetE1EEEvSJ_
	.globl	_ZN7rocprim17ROCPRIM_400000_NS6detail17trampoline_kernelINS0_14default_configENS1_38merge_sort_block_merge_config_selectorIxxEEZZNS1_27merge_sort_block_merge_implIS3_N6thrust23THRUST_200600_302600_NS6detail15normal_iteratorINS8_10device_ptrIxEEEESD_jNS1_19radix_merge_compareILb0ELb1ExNS0_19identity_decomposerEEEEE10hipError_tT0_T1_T2_jT3_P12ihipStream_tbPNSt15iterator_traitsISI_E10value_typeEPNSO_ISJ_E10value_typeEPSK_NS1_7vsmem_tEENKUlT_SI_SJ_SK_E_clISD_PxSD_S10_EESH_SX_SI_SJ_SK_EUlSX_E1_NS1_11comp_targetILNS1_3genE3ELNS1_11target_archE908ELNS1_3gpuE7ELNS1_3repE0EEENS1_36merge_oddeven_config_static_selectorELNS0_4arch9wavefront6targetE1EEEvSJ_
	.p2align	8
	.type	_ZN7rocprim17ROCPRIM_400000_NS6detail17trampoline_kernelINS0_14default_configENS1_38merge_sort_block_merge_config_selectorIxxEEZZNS1_27merge_sort_block_merge_implIS3_N6thrust23THRUST_200600_302600_NS6detail15normal_iteratorINS8_10device_ptrIxEEEESD_jNS1_19radix_merge_compareILb0ELb1ExNS0_19identity_decomposerEEEEE10hipError_tT0_T1_T2_jT3_P12ihipStream_tbPNSt15iterator_traitsISI_E10value_typeEPNSO_ISJ_E10value_typeEPSK_NS1_7vsmem_tEENKUlT_SI_SJ_SK_E_clISD_PxSD_S10_EESH_SX_SI_SJ_SK_EUlSX_E1_NS1_11comp_targetILNS1_3genE3ELNS1_11target_archE908ELNS1_3gpuE7ELNS1_3repE0EEENS1_36merge_oddeven_config_static_selectorELNS0_4arch9wavefront6targetE1EEEvSJ_,@function
_ZN7rocprim17ROCPRIM_400000_NS6detail17trampoline_kernelINS0_14default_configENS1_38merge_sort_block_merge_config_selectorIxxEEZZNS1_27merge_sort_block_merge_implIS3_N6thrust23THRUST_200600_302600_NS6detail15normal_iteratorINS8_10device_ptrIxEEEESD_jNS1_19radix_merge_compareILb0ELb1ExNS0_19identity_decomposerEEEEE10hipError_tT0_T1_T2_jT3_P12ihipStream_tbPNSt15iterator_traitsISI_E10value_typeEPNSO_ISJ_E10value_typeEPSK_NS1_7vsmem_tEENKUlT_SI_SJ_SK_E_clISD_PxSD_S10_EESH_SX_SI_SJ_SK_EUlSX_E1_NS1_11comp_targetILNS1_3genE3ELNS1_11target_archE908ELNS1_3gpuE7ELNS1_3repE0EEENS1_36merge_oddeven_config_static_selectorELNS0_4arch9wavefront6targetE1EEEvSJ_: ; @_ZN7rocprim17ROCPRIM_400000_NS6detail17trampoline_kernelINS0_14default_configENS1_38merge_sort_block_merge_config_selectorIxxEEZZNS1_27merge_sort_block_merge_implIS3_N6thrust23THRUST_200600_302600_NS6detail15normal_iteratorINS8_10device_ptrIxEEEESD_jNS1_19radix_merge_compareILb0ELb1ExNS0_19identity_decomposerEEEEE10hipError_tT0_T1_T2_jT3_P12ihipStream_tbPNSt15iterator_traitsISI_E10value_typeEPNSO_ISJ_E10value_typeEPSK_NS1_7vsmem_tEENKUlT_SI_SJ_SK_E_clISD_PxSD_S10_EESH_SX_SI_SJ_SK_EUlSX_E1_NS1_11comp_targetILNS1_3genE3ELNS1_11target_archE908ELNS1_3gpuE7ELNS1_3repE0EEENS1_36merge_oddeven_config_static_selectorELNS0_4arch9wavefront6targetE1EEEvSJ_
; %bb.0:
	.section	.rodata,"a",@progbits
	.p2align	6, 0x0
	.amdhsa_kernel _ZN7rocprim17ROCPRIM_400000_NS6detail17trampoline_kernelINS0_14default_configENS1_38merge_sort_block_merge_config_selectorIxxEEZZNS1_27merge_sort_block_merge_implIS3_N6thrust23THRUST_200600_302600_NS6detail15normal_iteratorINS8_10device_ptrIxEEEESD_jNS1_19radix_merge_compareILb0ELb1ExNS0_19identity_decomposerEEEEE10hipError_tT0_T1_T2_jT3_P12ihipStream_tbPNSt15iterator_traitsISI_E10value_typeEPNSO_ISJ_E10value_typeEPSK_NS1_7vsmem_tEENKUlT_SI_SJ_SK_E_clISD_PxSD_S10_EESH_SX_SI_SJ_SK_EUlSX_E1_NS1_11comp_targetILNS1_3genE3ELNS1_11target_archE908ELNS1_3gpuE7ELNS1_3repE0EEENS1_36merge_oddeven_config_static_selectorELNS0_4arch9wavefront6targetE1EEEvSJ_
		.amdhsa_group_segment_fixed_size 0
		.amdhsa_private_segment_fixed_size 0
		.amdhsa_kernarg_size 48
		.amdhsa_user_sgpr_count 2
		.amdhsa_user_sgpr_dispatch_ptr 0
		.amdhsa_user_sgpr_queue_ptr 0
		.amdhsa_user_sgpr_kernarg_segment_ptr 1
		.amdhsa_user_sgpr_dispatch_id 0
		.amdhsa_user_sgpr_kernarg_preload_length 0
		.amdhsa_user_sgpr_kernarg_preload_offset 0
		.amdhsa_user_sgpr_private_segment_size 0
		.amdhsa_uses_dynamic_stack 0
		.amdhsa_enable_private_segment 0
		.amdhsa_system_sgpr_workgroup_id_x 1
		.amdhsa_system_sgpr_workgroup_id_y 0
		.amdhsa_system_sgpr_workgroup_id_z 0
		.amdhsa_system_sgpr_workgroup_info 0
		.amdhsa_system_vgpr_workitem_id 0
		.amdhsa_next_free_vgpr 1
		.amdhsa_next_free_sgpr 0
		.amdhsa_accum_offset 4
		.amdhsa_reserve_vcc 0
		.amdhsa_float_round_mode_32 0
		.amdhsa_float_round_mode_16_64 0
		.amdhsa_float_denorm_mode_32 3
		.amdhsa_float_denorm_mode_16_64 3
		.amdhsa_dx10_clamp 1
		.amdhsa_ieee_mode 1
		.amdhsa_fp16_overflow 0
		.amdhsa_tg_split 0
		.amdhsa_exception_fp_ieee_invalid_op 0
		.amdhsa_exception_fp_denorm_src 0
		.amdhsa_exception_fp_ieee_div_zero 0
		.amdhsa_exception_fp_ieee_overflow 0
		.amdhsa_exception_fp_ieee_underflow 0
		.amdhsa_exception_fp_ieee_inexact 0
		.amdhsa_exception_int_div_zero 0
	.end_amdhsa_kernel
	.section	.text._ZN7rocprim17ROCPRIM_400000_NS6detail17trampoline_kernelINS0_14default_configENS1_38merge_sort_block_merge_config_selectorIxxEEZZNS1_27merge_sort_block_merge_implIS3_N6thrust23THRUST_200600_302600_NS6detail15normal_iteratorINS8_10device_ptrIxEEEESD_jNS1_19radix_merge_compareILb0ELb1ExNS0_19identity_decomposerEEEEE10hipError_tT0_T1_T2_jT3_P12ihipStream_tbPNSt15iterator_traitsISI_E10value_typeEPNSO_ISJ_E10value_typeEPSK_NS1_7vsmem_tEENKUlT_SI_SJ_SK_E_clISD_PxSD_S10_EESH_SX_SI_SJ_SK_EUlSX_E1_NS1_11comp_targetILNS1_3genE3ELNS1_11target_archE908ELNS1_3gpuE7ELNS1_3repE0EEENS1_36merge_oddeven_config_static_selectorELNS0_4arch9wavefront6targetE1EEEvSJ_,"axG",@progbits,_ZN7rocprim17ROCPRIM_400000_NS6detail17trampoline_kernelINS0_14default_configENS1_38merge_sort_block_merge_config_selectorIxxEEZZNS1_27merge_sort_block_merge_implIS3_N6thrust23THRUST_200600_302600_NS6detail15normal_iteratorINS8_10device_ptrIxEEEESD_jNS1_19radix_merge_compareILb0ELb1ExNS0_19identity_decomposerEEEEE10hipError_tT0_T1_T2_jT3_P12ihipStream_tbPNSt15iterator_traitsISI_E10value_typeEPNSO_ISJ_E10value_typeEPSK_NS1_7vsmem_tEENKUlT_SI_SJ_SK_E_clISD_PxSD_S10_EESH_SX_SI_SJ_SK_EUlSX_E1_NS1_11comp_targetILNS1_3genE3ELNS1_11target_archE908ELNS1_3gpuE7ELNS1_3repE0EEENS1_36merge_oddeven_config_static_selectorELNS0_4arch9wavefront6targetE1EEEvSJ_,comdat
.Lfunc_end1166:
	.size	_ZN7rocprim17ROCPRIM_400000_NS6detail17trampoline_kernelINS0_14default_configENS1_38merge_sort_block_merge_config_selectorIxxEEZZNS1_27merge_sort_block_merge_implIS3_N6thrust23THRUST_200600_302600_NS6detail15normal_iteratorINS8_10device_ptrIxEEEESD_jNS1_19radix_merge_compareILb0ELb1ExNS0_19identity_decomposerEEEEE10hipError_tT0_T1_T2_jT3_P12ihipStream_tbPNSt15iterator_traitsISI_E10value_typeEPNSO_ISJ_E10value_typeEPSK_NS1_7vsmem_tEENKUlT_SI_SJ_SK_E_clISD_PxSD_S10_EESH_SX_SI_SJ_SK_EUlSX_E1_NS1_11comp_targetILNS1_3genE3ELNS1_11target_archE908ELNS1_3gpuE7ELNS1_3repE0EEENS1_36merge_oddeven_config_static_selectorELNS0_4arch9wavefront6targetE1EEEvSJ_, .Lfunc_end1166-_ZN7rocprim17ROCPRIM_400000_NS6detail17trampoline_kernelINS0_14default_configENS1_38merge_sort_block_merge_config_selectorIxxEEZZNS1_27merge_sort_block_merge_implIS3_N6thrust23THRUST_200600_302600_NS6detail15normal_iteratorINS8_10device_ptrIxEEEESD_jNS1_19radix_merge_compareILb0ELb1ExNS0_19identity_decomposerEEEEE10hipError_tT0_T1_T2_jT3_P12ihipStream_tbPNSt15iterator_traitsISI_E10value_typeEPNSO_ISJ_E10value_typeEPSK_NS1_7vsmem_tEENKUlT_SI_SJ_SK_E_clISD_PxSD_S10_EESH_SX_SI_SJ_SK_EUlSX_E1_NS1_11comp_targetILNS1_3genE3ELNS1_11target_archE908ELNS1_3gpuE7ELNS1_3repE0EEENS1_36merge_oddeven_config_static_selectorELNS0_4arch9wavefront6targetE1EEEvSJ_
                                        ; -- End function
	.set _ZN7rocprim17ROCPRIM_400000_NS6detail17trampoline_kernelINS0_14default_configENS1_38merge_sort_block_merge_config_selectorIxxEEZZNS1_27merge_sort_block_merge_implIS3_N6thrust23THRUST_200600_302600_NS6detail15normal_iteratorINS8_10device_ptrIxEEEESD_jNS1_19radix_merge_compareILb0ELb1ExNS0_19identity_decomposerEEEEE10hipError_tT0_T1_T2_jT3_P12ihipStream_tbPNSt15iterator_traitsISI_E10value_typeEPNSO_ISJ_E10value_typeEPSK_NS1_7vsmem_tEENKUlT_SI_SJ_SK_E_clISD_PxSD_S10_EESH_SX_SI_SJ_SK_EUlSX_E1_NS1_11comp_targetILNS1_3genE3ELNS1_11target_archE908ELNS1_3gpuE7ELNS1_3repE0EEENS1_36merge_oddeven_config_static_selectorELNS0_4arch9wavefront6targetE1EEEvSJ_.num_vgpr, 0
	.set _ZN7rocprim17ROCPRIM_400000_NS6detail17trampoline_kernelINS0_14default_configENS1_38merge_sort_block_merge_config_selectorIxxEEZZNS1_27merge_sort_block_merge_implIS3_N6thrust23THRUST_200600_302600_NS6detail15normal_iteratorINS8_10device_ptrIxEEEESD_jNS1_19radix_merge_compareILb0ELb1ExNS0_19identity_decomposerEEEEE10hipError_tT0_T1_T2_jT3_P12ihipStream_tbPNSt15iterator_traitsISI_E10value_typeEPNSO_ISJ_E10value_typeEPSK_NS1_7vsmem_tEENKUlT_SI_SJ_SK_E_clISD_PxSD_S10_EESH_SX_SI_SJ_SK_EUlSX_E1_NS1_11comp_targetILNS1_3genE3ELNS1_11target_archE908ELNS1_3gpuE7ELNS1_3repE0EEENS1_36merge_oddeven_config_static_selectorELNS0_4arch9wavefront6targetE1EEEvSJ_.num_agpr, 0
	.set _ZN7rocprim17ROCPRIM_400000_NS6detail17trampoline_kernelINS0_14default_configENS1_38merge_sort_block_merge_config_selectorIxxEEZZNS1_27merge_sort_block_merge_implIS3_N6thrust23THRUST_200600_302600_NS6detail15normal_iteratorINS8_10device_ptrIxEEEESD_jNS1_19radix_merge_compareILb0ELb1ExNS0_19identity_decomposerEEEEE10hipError_tT0_T1_T2_jT3_P12ihipStream_tbPNSt15iterator_traitsISI_E10value_typeEPNSO_ISJ_E10value_typeEPSK_NS1_7vsmem_tEENKUlT_SI_SJ_SK_E_clISD_PxSD_S10_EESH_SX_SI_SJ_SK_EUlSX_E1_NS1_11comp_targetILNS1_3genE3ELNS1_11target_archE908ELNS1_3gpuE7ELNS1_3repE0EEENS1_36merge_oddeven_config_static_selectorELNS0_4arch9wavefront6targetE1EEEvSJ_.numbered_sgpr, 0
	.set _ZN7rocprim17ROCPRIM_400000_NS6detail17trampoline_kernelINS0_14default_configENS1_38merge_sort_block_merge_config_selectorIxxEEZZNS1_27merge_sort_block_merge_implIS3_N6thrust23THRUST_200600_302600_NS6detail15normal_iteratorINS8_10device_ptrIxEEEESD_jNS1_19radix_merge_compareILb0ELb1ExNS0_19identity_decomposerEEEEE10hipError_tT0_T1_T2_jT3_P12ihipStream_tbPNSt15iterator_traitsISI_E10value_typeEPNSO_ISJ_E10value_typeEPSK_NS1_7vsmem_tEENKUlT_SI_SJ_SK_E_clISD_PxSD_S10_EESH_SX_SI_SJ_SK_EUlSX_E1_NS1_11comp_targetILNS1_3genE3ELNS1_11target_archE908ELNS1_3gpuE7ELNS1_3repE0EEENS1_36merge_oddeven_config_static_selectorELNS0_4arch9wavefront6targetE1EEEvSJ_.num_named_barrier, 0
	.set _ZN7rocprim17ROCPRIM_400000_NS6detail17trampoline_kernelINS0_14default_configENS1_38merge_sort_block_merge_config_selectorIxxEEZZNS1_27merge_sort_block_merge_implIS3_N6thrust23THRUST_200600_302600_NS6detail15normal_iteratorINS8_10device_ptrIxEEEESD_jNS1_19radix_merge_compareILb0ELb1ExNS0_19identity_decomposerEEEEE10hipError_tT0_T1_T2_jT3_P12ihipStream_tbPNSt15iterator_traitsISI_E10value_typeEPNSO_ISJ_E10value_typeEPSK_NS1_7vsmem_tEENKUlT_SI_SJ_SK_E_clISD_PxSD_S10_EESH_SX_SI_SJ_SK_EUlSX_E1_NS1_11comp_targetILNS1_3genE3ELNS1_11target_archE908ELNS1_3gpuE7ELNS1_3repE0EEENS1_36merge_oddeven_config_static_selectorELNS0_4arch9wavefront6targetE1EEEvSJ_.private_seg_size, 0
	.set _ZN7rocprim17ROCPRIM_400000_NS6detail17trampoline_kernelINS0_14default_configENS1_38merge_sort_block_merge_config_selectorIxxEEZZNS1_27merge_sort_block_merge_implIS3_N6thrust23THRUST_200600_302600_NS6detail15normal_iteratorINS8_10device_ptrIxEEEESD_jNS1_19radix_merge_compareILb0ELb1ExNS0_19identity_decomposerEEEEE10hipError_tT0_T1_T2_jT3_P12ihipStream_tbPNSt15iterator_traitsISI_E10value_typeEPNSO_ISJ_E10value_typeEPSK_NS1_7vsmem_tEENKUlT_SI_SJ_SK_E_clISD_PxSD_S10_EESH_SX_SI_SJ_SK_EUlSX_E1_NS1_11comp_targetILNS1_3genE3ELNS1_11target_archE908ELNS1_3gpuE7ELNS1_3repE0EEENS1_36merge_oddeven_config_static_selectorELNS0_4arch9wavefront6targetE1EEEvSJ_.uses_vcc, 0
	.set _ZN7rocprim17ROCPRIM_400000_NS6detail17trampoline_kernelINS0_14default_configENS1_38merge_sort_block_merge_config_selectorIxxEEZZNS1_27merge_sort_block_merge_implIS3_N6thrust23THRUST_200600_302600_NS6detail15normal_iteratorINS8_10device_ptrIxEEEESD_jNS1_19radix_merge_compareILb0ELb1ExNS0_19identity_decomposerEEEEE10hipError_tT0_T1_T2_jT3_P12ihipStream_tbPNSt15iterator_traitsISI_E10value_typeEPNSO_ISJ_E10value_typeEPSK_NS1_7vsmem_tEENKUlT_SI_SJ_SK_E_clISD_PxSD_S10_EESH_SX_SI_SJ_SK_EUlSX_E1_NS1_11comp_targetILNS1_3genE3ELNS1_11target_archE908ELNS1_3gpuE7ELNS1_3repE0EEENS1_36merge_oddeven_config_static_selectorELNS0_4arch9wavefront6targetE1EEEvSJ_.uses_flat_scratch, 0
	.set _ZN7rocprim17ROCPRIM_400000_NS6detail17trampoline_kernelINS0_14default_configENS1_38merge_sort_block_merge_config_selectorIxxEEZZNS1_27merge_sort_block_merge_implIS3_N6thrust23THRUST_200600_302600_NS6detail15normal_iteratorINS8_10device_ptrIxEEEESD_jNS1_19radix_merge_compareILb0ELb1ExNS0_19identity_decomposerEEEEE10hipError_tT0_T1_T2_jT3_P12ihipStream_tbPNSt15iterator_traitsISI_E10value_typeEPNSO_ISJ_E10value_typeEPSK_NS1_7vsmem_tEENKUlT_SI_SJ_SK_E_clISD_PxSD_S10_EESH_SX_SI_SJ_SK_EUlSX_E1_NS1_11comp_targetILNS1_3genE3ELNS1_11target_archE908ELNS1_3gpuE7ELNS1_3repE0EEENS1_36merge_oddeven_config_static_selectorELNS0_4arch9wavefront6targetE1EEEvSJ_.has_dyn_sized_stack, 0
	.set _ZN7rocprim17ROCPRIM_400000_NS6detail17trampoline_kernelINS0_14default_configENS1_38merge_sort_block_merge_config_selectorIxxEEZZNS1_27merge_sort_block_merge_implIS3_N6thrust23THRUST_200600_302600_NS6detail15normal_iteratorINS8_10device_ptrIxEEEESD_jNS1_19radix_merge_compareILb0ELb1ExNS0_19identity_decomposerEEEEE10hipError_tT0_T1_T2_jT3_P12ihipStream_tbPNSt15iterator_traitsISI_E10value_typeEPNSO_ISJ_E10value_typeEPSK_NS1_7vsmem_tEENKUlT_SI_SJ_SK_E_clISD_PxSD_S10_EESH_SX_SI_SJ_SK_EUlSX_E1_NS1_11comp_targetILNS1_3genE3ELNS1_11target_archE908ELNS1_3gpuE7ELNS1_3repE0EEENS1_36merge_oddeven_config_static_selectorELNS0_4arch9wavefront6targetE1EEEvSJ_.has_recursion, 0
	.set _ZN7rocprim17ROCPRIM_400000_NS6detail17trampoline_kernelINS0_14default_configENS1_38merge_sort_block_merge_config_selectorIxxEEZZNS1_27merge_sort_block_merge_implIS3_N6thrust23THRUST_200600_302600_NS6detail15normal_iteratorINS8_10device_ptrIxEEEESD_jNS1_19radix_merge_compareILb0ELb1ExNS0_19identity_decomposerEEEEE10hipError_tT0_T1_T2_jT3_P12ihipStream_tbPNSt15iterator_traitsISI_E10value_typeEPNSO_ISJ_E10value_typeEPSK_NS1_7vsmem_tEENKUlT_SI_SJ_SK_E_clISD_PxSD_S10_EESH_SX_SI_SJ_SK_EUlSX_E1_NS1_11comp_targetILNS1_3genE3ELNS1_11target_archE908ELNS1_3gpuE7ELNS1_3repE0EEENS1_36merge_oddeven_config_static_selectorELNS0_4arch9wavefront6targetE1EEEvSJ_.has_indirect_call, 0
	.section	.AMDGPU.csdata,"",@progbits
; Kernel info:
; codeLenInByte = 0
; TotalNumSgprs: 6
; NumVgprs: 0
; NumAgprs: 0
; TotalNumVgprs: 0
; ScratchSize: 0
; MemoryBound: 0
; FloatMode: 240
; IeeeMode: 1
; LDSByteSize: 0 bytes/workgroup (compile time only)
; SGPRBlocks: 0
; VGPRBlocks: 0
; NumSGPRsForWavesPerEU: 6
; NumVGPRsForWavesPerEU: 1
; AccumOffset: 4
; Occupancy: 8
; WaveLimiterHint : 0
; COMPUTE_PGM_RSRC2:SCRATCH_EN: 0
; COMPUTE_PGM_RSRC2:USER_SGPR: 2
; COMPUTE_PGM_RSRC2:TRAP_HANDLER: 0
; COMPUTE_PGM_RSRC2:TGID_X_EN: 1
; COMPUTE_PGM_RSRC2:TGID_Y_EN: 0
; COMPUTE_PGM_RSRC2:TGID_Z_EN: 0
; COMPUTE_PGM_RSRC2:TIDIG_COMP_CNT: 0
; COMPUTE_PGM_RSRC3_GFX90A:ACCUM_OFFSET: 0
; COMPUTE_PGM_RSRC3_GFX90A:TG_SPLIT: 0
	.section	.text._ZN7rocprim17ROCPRIM_400000_NS6detail17trampoline_kernelINS0_14default_configENS1_38merge_sort_block_merge_config_selectorIxxEEZZNS1_27merge_sort_block_merge_implIS3_N6thrust23THRUST_200600_302600_NS6detail15normal_iteratorINS8_10device_ptrIxEEEESD_jNS1_19radix_merge_compareILb0ELb1ExNS0_19identity_decomposerEEEEE10hipError_tT0_T1_T2_jT3_P12ihipStream_tbPNSt15iterator_traitsISI_E10value_typeEPNSO_ISJ_E10value_typeEPSK_NS1_7vsmem_tEENKUlT_SI_SJ_SK_E_clISD_PxSD_S10_EESH_SX_SI_SJ_SK_EUlSX_E1_NS1_11comp_targetILNS1_3genE2ELNS1_11target_archE906ELNS1_3gpuE6ELNS1_3repE0EEENS1_36merge_oddeven_config_static_selectorELNS0_4arch9wavefront6targetE1EEEvSJ_,"axG",@progbits,_ZN7rocprim17ROCPRIM_400000_NS6detail17trampoline_kernelINS0_14default_configENS1_38merge_sort_block_merge_config_selectorIxxEEZZNS1_27merge_sort_block_merge_implIS3_N6thrust23THRUST_200600_302600_NS6detail15normal_iteratorINS8_10device_ptrIxEEEESD_jNS1_19radix_merge_compareILb0ELb1ExNS0_19identity_decomposerEEEEE10hipError_tT0_T1_T2_jT3_P12ihipStream_tbPNSt15iterator_traitsISI_E10value_typeEPNSO_ISJ_E10value_typeEPSK_NS1_7vsmem_tEENKUlT_SI_SJ_SK_E_clISD_PxSD_S10_EESH_SX_SI_SJ_SK_EUlSX_E1_NS1_11comp_targetILNS1_3genE2ELNS1_11target_archE906ELNS1_3gpuE6ELNS1_3repE0EEENS1_36merge_oddeven_config_static_selectorELNS0_4arch9wavefront6targetE1EEEvSJ_,comdat
	.protected	_ZN7rocprim17ROCPRIM_400000_NS6detail17trampoline_kernelINS0_14default_configENS1_38merge_sort_block_merge_config_selectorIxxEEZZNS1_27merge_sort_block_merge_implIS3_N6thrust23THRUST_200600_302600_NS6detail15normal_iteratorINS8_10device_ptrIxEEEESD_jNS1_19radix_merge_compareILb0ELb1ExNS0_19identity_decomposerEEEEE10hipError_tT0_T1_T2_jT3_P12ihipStream_tbPNSt15iterator_traitsISI_E10value_typeEPNSO_ISJ_E10value_typeEPSK_NS1_7vsmem_tEENKUlT_SI_SJ_SK_E_clISD_PxSD_S10_EESH_SX_SI_SJ_SK_EUlSX_E1_NS1_11comp_targetILNS1_3genE2ELNS1_11target_archE906ELNS1_3gpuE6ELNS1_3repE0EEENS1_36merge_oddeven_config_static_selectorELNS0_4arch9wavefront6targetE1EEEvSJ_ ; -- Begin function _ZN7rocprim17ROCPRIM_400000_NS6detail17trampoline_kernelINS0_14default_configENS1_38merge_sort_block_merge_config_selectorIxxEEZZNS1_27merge_sort_block_merge_implIS3_N6thrust23THRUST_200600_302600_NS6detail15normal_iteratorINS8_10device_ptrIxEEEESD_jNS1_19radix_merge_compareILb0ELb1ExNS0_19identity_decomposerEEEEE10hipError_tT0_T1_T2_jT3_P12ihipStream_tbPNSt15iterator_traitsISI_E10value_typeEPNSO_ISJ_E10value_typeEPSK_NS1_7vsmem_tEENKUlT_SI_SJ_SK_E_clISD_PxSD_S10_EESH_SX_SI_SJ_SK_EUlSX_E1_NS1_11comp_targetILNS1_3genE2ELNS1_11target_archE906ELNS1_3gpuE6ELNS1_3repE0EEENS1_36merge_oddeven_config_static_selectorELNS0_4arch9wavefront6targetE1EEEvSJ_
	.globl	_ZN7rocprim17ROCPRIM_400000_NS6detail17trampoline_kernelINS0_14default_configENS1_38merge_sort_block_merge_config_selectorIxxEEZZNS1_27merge_sort_block_merge_implIS3_N6thrust23THRUST_200600_302600_NS6detail15normal_iteratorINS8_10device_ptrIxEEEESD_jNS1_19radix_merge_compareILb0ELb1ExNS0_19identity_decomposerEEEEE10hipError_tT0_T1_T2_jT3_P12ihipStream_tbPNSt15iterator_traitsISI_E10value_typeEPNSO_ISJ_E10value_typeEPSK_NS1_7vsmem_tEENKUlT_SI_SJ_SK_E_clISD_PxSD_S10_EESH_SX_SI_SJ_SK_EUlSX_E1_NS1_11comp_targetILNS1_3genE2ELNS1_11target_archE906ELNS1_3gpuE6ELNS1_3repE0EEENS1_36merge_oddeven_config_static_selectorELNS0_4arch9wavefront6targetE1EEEvSJ_
	.p2align	8
	.type	_ZN7rocprim17ROCPRIM_400000_NS6detail17trampoline_kernelINS0_14default_configENS1_38merge_sort_block_merge_config_selectorIxxEEZZNS1_27merge_sort_block_merge_implIS3_N6thrust23THRUST_200600_302600_NS6detail15normal_iteratorINS8_10device_ptrIxEEEESD_jNS1_19radix_merge_compareILb0ELb1ExNS0_19identity_decomposerEEEEE10hipError_tT0_T1_T2_jT3_P12ihipStream_tbPNSt15iterator_traitsISI_E10value_typeEPNSO_ISJ_E10value_typeEPSK_NS1_7vsmem_tEENKUlT_SI_SJ_SK_E_clISD_PxSD_S10_EESH_SX_SI_SJ_SK_EUlSX_E1_NS1_11comp_targetILNS1_3genE2ELNS1_11target_archE906ELNS1_3gpuE6ELNS1_3repE0EEENS1_36merge_oddeven_config_static_selectorELNS0_4arch9wavefront6targetE1EEEvSJ_,@function
_ZN7rocprim17ROCPRIM_400000_NS6detail17trampoline_kernelINS0_14default_configENS1_38merge_sort_block_merge_config_selectorIxxEEZZNS1_27merge_sort_block_merge_implIS3_N6thrust23THRUST_200600_302600_NS6detail15normal_iteratorINS8_10device_ptrIxEEEESD_jNS1_19radix_merge_compareILb0ELb1ExNS0_19identity_decomposerEEEEE10hipError_tT0_T1_T2_jT3_P12ihipStream_tbPNSt15iterator_traitsISI_E10value_typeEPNSO_ISJ_E10value_typeEPSK_NS1_7vsmem_tEENKUlT_SI_SJ_SK_E_clISD_PxSD_S10_EESH_SX_SI_SJ_SK_EUlSX_E1_NS1_11comp_targetILNS1_3genE2ELNS1_11target_archE906ELNS1_3gpuE6ELNS1_3repE0EEENS1_36merge_oddeven_config_static_selectorELNS0_4arch9wavefront6targetE1EEEvSJ_: ; @_ZN7rocprim17ROCPRIM_400000_NS6detail17trampoline_kernelINS0_14default_configENS1_38merge_sort_block_merge_config_selectorIxxEEZZNS1_27merge_sort_block_merge_implIS3_N6thrust23THRUST_200600_302600_NS6detail15normal_iteratorINS8_10device_ptrIxEEEESD_jNS1_19radix_merge_compareILb0ELb1ExNS0_19identity_decomposerEEEEE10hipError_tT0_T1_T2_jT3_P12ihipStream_tbPNSt15iterator_traitsISI_E10value_typeEPNSO_ISJ_E10value_typeEPSK_NS1_7vsmem_tEENKUlT_SI_SJ_SK_E_clISD_PxSD_S10_EESH_SX_SI_SJ_SK_EUlSX_E1_NS1_11comp_targetILNS1_3genE2ELNS1_11target_archE906ELNS1_3gpuE6ELNS1_3repE0EEENS1_36merge_oddeven_config_static_selectorELNS0_4arch9wavefront6targetE1EEEvSJ_
; %bb.0:
	.section	.rodata,"a",@progbits
	.p2align	6, 0x0
	.amdhsa_kernel _ZN7rocprim17ROCPRIM_400000_NS6detail17trampoline_kernelINS0_14default_configENS1_38merge_sort_block_merge_config_selectorIxxEEZZNS1_27merge_sort_block_merge_implIS3_N6thrust23THRUST_200600_302600_NS6detail15normal_iteratorINS8_10device_ptrIxEEEESD_jNS1_19radix_merge_compareILb0ELb1ExNS0_19identity_decomposerEEEEE10hipError_tT0_T1_T2_jT3_P12ihipStream_tbPNSt15iterator_traitsISI_E10value_typeEPNSO_ISJ_E10value_typeEPSK_NS1_7vsmem_tEENKUlT_SI_SJ_SK_E_clISD_PxSD_S10_EESH_SX_SI_SJ_SK_EUlSX_E1_NS1_11comp_targetILNS1_3genE2ELNS1_11target_archE906ELNS1_3gpuE6ELNS1_3repE0EEENS1_36merge_oddeven_config_static_selectorELNS0_4arch9wavefront6targetE1EEEvSJ_
		.amdhsa_group_segment_fixed_size 0
		.amdhsa_private_segment_fixed_size 0
		.amdhsa_kernarg_size 48
		.amdhsa_user_sgpr_count 2
		.amdhsa_user_sgpr_dispatch_ptr 0
		.amdhsa_user_sgpr_queue_ptr 0
		.amdhsa_user_sgpr_kernarg_segment_ptr 1
		.amdhsa_user_sgpr_dispatch_id 0
		.amdhsa_user_sgpr_kernarg_preload_length 0
		.amdhsa_user_sgpr_kernarg_preload_offset 0
		.amdhsa_user_sgpr_private_segment_size 0
		.amdhsa_uses_dynamic_stack 0
		.amdhsa_enable_private_segment 0
		.amdhsa_system_sgpr_workgroup_id_x 1
		.amdhsa_system_sgpr_workgroup_id_y 0
		.amdhsa_system_sgpr_workgroup_id_z 0
		.amdhsa_system_sgpr_workgroup_info 0
		.amdhsa_system_vgpr_workitem_id 0
		.amdhsa_next_free_vgpr 1
		.amdhsa_next_free_sgpr 0
		.amdhsa_accum_offset 4
		.amdhsa_reserve_vcc 0
		.amdhsa_float_round_mode_32 0
		.amdhsa_float_round_mode_16_64 0
		.amdhsa_float_denorm_mode_32 3
		.amdhsa_float_denorm_mode_16_64 3
		.amdhsa_dx10_clamp 1
		.amdhsa_ieee_mode 1
		.amdhsa_fp16_overflow 0
		.amdhsa_tg_split 0
		.amdhsa_exception_fp_ieee_invalid_op 0
		.amdhsa_exception_fp_denorm_src 0
		.amdhsa_exception_fp_ieee_div_zero 0
		.amdhsa_exception_fp_ieee_overflow 0
		.amdhsa_exception_fp_ieee_underflow 0
		.amdhsa_exception_fp_ieee_inexact 0
		.amdhsa_exception_int_div_zero 0
	.end_amdhsa_kernel
	.section	.text._ZN7rocprim17ROCPRIM_400000_NS6detail17trampoline_kernelINS0_14default_configENS1_38merge_sort_block_merge_config_selectorIxxEEZZNS1_27merge_sort_block_merge_implIS3_N6thrust23THRUST_200600_302600_NS6detail15normal_iteratorINS8_10device_ptrIxEEEESD_jNS1_19radix_merge_compareILb0ELb1ExNS0_19identity_decomposerEEEEE10hipError_tT0_T1_T2_jT3_P12ihipStream_tbPNSt15iterator_traitsISI_E10value_typeEPNSO_ISJ_E10value_typeEPSK_NS1_7vsmem_tEENKUlT_SI_SJ_SK_E_clISD_PxSD_S10_EESH_SX_SI_SJ_SK_EUlSX_E1_NS1_11comp_targetILNS1_3genE2ELNS1_11target_archE906ELNS1_3gpuE6ELNS1_3repE0EEENS1_36merge_oddeven_config_static_selectorELNS0_4arch9wavefront6targetE1EEEvSJ_,"axG",@progbits,_ZN7rocprim17ROCPRIM_400000_NS6detail17trampoline_kernelINS0_14default_configENS1_38merge_sort_block_merge_config_selectorIxxEEZZNS1_27merge_sort_block_merge_implIS3_N6thrust23THRUST_200600_302600_NS6detail15normal_iteratorINS8_10device_ptrIxEEEESD_jNS1_19radix_merge_compareILb0ELb1ExNS0_19identity_decomposerEEEEE10hipError_tT0_T1_T2_jT3_P12ihipStream_tbPNSt15iterator_traitsISI_E10value_typeEPNSO_ISJ_E10value_typeEPSK_NS1_7vsmem_tEENKUlT_SI_SJ_SK_E_clISD_PxSD_S10_EESH_SX_SI_SJ_SK_EUlSX_E1_NS1_11comp_targetILNS1_3genE2ELNS1_11target_archE906ELNS1_3gpuE6ELNS1_3repE0EEENS1_36merge_oddeven_config_static_selectorELNS0_4arch9wavefront6targetE1EEEvSJ_,comdat
.Lfunc_end1167:
	.size	_ZN7rocprim17ROCPRIM_400000_NS6detail17trampoline_kernelINS0_14default_configENS1_38merge_sort_block_merge_config_selectorIxxEEZZNS1_27merge_sort_block_merge_implIS3_N6thrust23THRUST_200600_302600_NS6detail15normal_iteratorINS8_10device_ptrIxEEEESD_jNS1_19radix_merge_compareILb0ELb1ExNS0_19identity_decomposerEEEEE10hipError_tT0_T1_T2_jT3_P12ihipStream_tbPNSt15iterator_traitsISI_E10value_typeEPNSO_ISJ_E10value_typeEPSK_NS1_7vsmem_tEENKUlT_SI_SJ_SK_E_clISD_PxSD_S10_EESH_SX_SI_SJ_SK_EUlSX_E1_NS1_11comp_targetILNS1_3genE2ELNS1_11target_archE906ELNS1_3gpuE6ELNS1_3repE0EEENS1_36merge_oddeven_config_static_selectorELNS0_4arch9wavefront6targetE1EEEvSJ_, .Lfunc_end1167-_ZN7rocprim17ROCPRIM_400000_NS6detail17trampoline_kernelINS0_14default_configENS1_38merge_sort_block_merge_config_selectorIxxEEZZNS1_27merge_sort_block_merge_implIS3_N6thrust23THRUST_200600_302600_NS6detail15normal_iteratorINS8_10device_ptrIxEEEESD_jNS1_19radix_merge_compareILb0ELb1ExNS0_19identity_decomposerEEEEE10hipError_tT0_T1_T2_jT3_P12ihipStream_tbPNSt15iterator_traitsISI_E10value_typeEPNSO_ISJ_E10value_typeEPSK_NS1_7vsmem_tEENKUlT_SI_SJ_SK_E_clISD_PxSD_S10_EESH_SX_SI_SJ_SK_EUlSX_E1_NS1_11comp_targetILNS1_3genE2ELNS1_11target_archE906ELNS1_3gpuE6ELNS1_3repE0EEENS1_36merge_oddeven_config_static_selectorELNS0_4arch9wavefront6targetE1EEEvSJ_
                                        ; -- End function
	.set _ZN7rocprim17ROCPRIM_400000_NS6detail17trampoline_kernelINS0_14default_configENS1_38merge_sort_block_merge_config_selectorIxxEEZZNS1_27merge_sort_block_merge_implIS3_N6thrust23THRUST_200600_302600_NS6detail15normal_iteratorINS8_10device_ptrIxEEEESD_jNS1_19radix_merge_compareILb0ELb1ExNS0_19identity_decomposerEEEEE10hipError_tT0_T1_T2_jT3_P12ihipStream_tbPNSt15iterator_traitsISI_E10value_typeEPNSO_ISJ_E10value_typeEPSK_NS1_7vsmem_tEENKUlT_SI_SJ_SK_E_clISD_PxSD_S10_EESH_SX_SI_SJ_SK_EUlSX_E1_NS1_11comp_targetILNS1_3genE2ELNS1_11target_archE906ELNS1_3gpuE6ELNS1_3repE0EEENS1_36merge_oddeven_config_static_selectorELNS0_4arch9wavefront6targetE1EEEvSJ_.num_vgpr, 0
	.set _ZN7rocprim17ROCPRIM_400000_NS6detail17trampoline_kernelINS0_14default_configENS1_38merge_sort_block_merge_config_selectorIxxEEZZNS1_27merge_sort_block_merge_implIS3_N6thrust23THRUST_200600_302600_NS6detail15normal_iteratorINS8_10device_ptrIxEEEESD_jNS1_19radix_merge_compareILb0ELb1ExNS0_19identity_decomposerEEEEE10hipError_tT0_T1_T2_jT3_P12ihipStream_tbPNSt15iterator_traitsISI_E10value_typeEPNSO_ISJ_E10value_typeEPSK_NS1_7vsmem_tEENKUlT_SI_SJ_SK_E_clISD_PxSD_S10_EESH_SX_SI_SJ_SK_EUlSX_E1_NS1_11comp_targetILNS1_3genE2ELNS1_11target_archE906ELNS1_3gpuE6ELNS1_3repE0EEENS1_36merge_oddeven_config_static_selectorELNS0_4arch9wavefront6targetE1EEEvSJ_.num_agpr, 0
	.set _ZN7rocprim17ROCPRIM_400000_NS6detail17trampoline_kernelINS0_14default_configENS1_38merge_sort_block_merge_config_selectorIxxEEZZNS1_27merge_sort_block_merge_implIS3_N6thrust23THRUST_200600_302600_NS6detail15normal_iteratorINS8_10device_ptrIxEEEESD_jNS1_19radix_merge_compareILb0ELb1ExNS0_19identity_decomposerEEEEE10hipError_tT0_T1_T2_jT3_P12ihipStream_tbPNSt15iterator_traitsISI_E10value_typeEPNSO_ISJ_E10value_typeEPSK_NS1_7vsmem_tEENKUlT_SI_SJ_SK_E_clISD_PxSD_S10_EESH_SX_SI_SJ_SK_EUlSX_E1_NS1_11comp_targetILNS1_3genE2ELNS1_11target_archE906ELNS1_3gpuE6ELNS1_3repE0EEENS1_36merge_oddeven_config_static_selectorELNS0_4arch9wavefront6targetE1EEEvSJ_.numbered_sgpr, 0
	.set _ZN7rocprim17ROCPRIM_400000_NS6detail17trampoline_kernelINS0_14default_configENS1_38merge_sort_block_merge_config_selectorIxxEEZZNS1_27merge_sort_block_merge_implIS3_N6thrust23THRUST_200600_302600_NS6detail15normal_iteratorINS8_10device_ptrIxEEEESD_jNS1_19radix_merge_compareILb0ELb1ExNS0_19identity_decomposerEEEEE10hipError_tT0_T1_T2_jT3_P12ihipStream_tbPNSt15iterator_traitsISI_E10value_typeEPNSO_ISJ_E10value_typeEPSK_NS1_7vsmem_tEENKUlT_SI_SJ_SK_E_clISD_PxSD_S10_EESH_SX_SI_SJ_SK_EUlSX_E1_NS1_11comp_targetILNS1_3genE2ELNS1_11target_archE906ELNS1_3gpuE6ELNS1_3repE0EEENS1_36merge_oddeven_config_static_selectorELNS0_4arch9wavefront6targetE1EEEvSJ_.num_named_barrier, 0
	.set _ZN7rocprim17ROCPRIM_400000_NS6detail17trampoline_kernelINS0_14default_configENS1_38merge_sort_block_merge_config_selectorIxxEEZZNS1_27merge_sort_block_merge_implIS3_N6thrust23THRUST_200600_302600_NS6detail15normal_iteratorINS8_10device_ptrIxEEEESD_jNS1_19radix_merge_compareILb0ELb1ExNS0_19identity_decomposerEEEEE10hipError_tT0_T1_T2_jT3_P12ihipStream_tbPNSt15iterator_traitsISI_E10value_typeEPNSO_ISJ_E10value_typeEPSK_NS1_7vsmem_tEENKUlT_SI_SJ_SK_E_clISD_PxSD_S10_EESH_SX_SI_SJ_SK_EUlSX_E1_NS1_11comp_targetILNS1_3genE2ELNS1_11target_archE906ELNS1_3gpuE6ELNS1_3repE0EEENS1_36merge_oddeven_config_static_selectorELNS0_4arch9wavefront6targetE1EEEvSJ_.private_seg_size, 0
	.set _ZN7rocprim17ROCPRIM_400000_NS6detail17trampoline_kernelINS0_14default_configENS1_38merge_sort_block_merge_config_selectorIxxEEZZNS1_27merge_sort_block_merge_implIS3_N6thrust23THRUST_200600_302600_NS6detail15normal_iteratorINS8_10device_ptrIxEEEESD_jNS1_19radix_merge_compareILb0ELb1ExNS0_19identity_decomposerEEEEE10hipError_tT0_T1_T2_jT3_P12ihipStream_tbPNSt15iterator_traitsISI_E10value_typeEPNSO_ISJ_E10value_typeEPSK_NS1_7vsmem_tEENKUlT_SI_SJ_SK_E_clISD_PxSD_S10_EESH_SX_SI_SJ_SK_EUlSX_E1_NS1_11comp_targetILNS1_3genE2ELNS1_11target_archE906ELNS1_3gpuE6ELNS1_3repE0EEENS1_36merge_oddeven_config_static_selectorELNS0_4arch9wavefront6targetE1EEEvSJ_.uses_vcc, 0
	.set _ZN7rocprim17ROCPRIM_400000_NS6detail17trampoline_kernelINS0_14default_configENS1_38merge_sort_block_merge_config_selectorIxxEEZZNS1_27merge_sort_block_merge_implIS3_N6thrust23THRUST_200600_302600_NS6detail15normal_iteratorINS8_10device_ptrIxEEEESD_jNS1_19radix_merge_compareILb0ELb1ExNS0_19identity_decomposerEEEEE10hipError_tT0_T1_T2_jT3_P12ihipStream_tbPNSt15iterator_traitsISI_E10value_typeEPNSO_ISJ_E10value_typeEPSK_NS1_7vsmem_tEENKUlT_SI_SJ_SK_E_clISD_PxSD_S10_EESH_SX_SI_SJ_SK_EUlSX_E1_NS1_11comp_targetILNS1_3genE2ELNS1_11target_archE906ELNS1_3gpuE6ELNS1_3repE0EEENS1_36merge_oddeven_config_static_selectorELNS0_4arch9wavefront6targetE1EEEvSJ_.uses_flat_scratch, 0
	.set _ZN7rocprim17ROCPRIM_400000_NS6detail17trampoline_kernelINS0_14default_configENS1_38merge_sort_block_merge_config_selectorIxxEEZZNS1_27merge_sort_block_merge_implIS3_N6thrust23THRUST_200600_302600_NS6detail15normal_iteratorINS8_10device_ptrIxEEEESD_jNS1_19radix_merge_compareILb0ELb1ExNS0_19identity_decomposerEEEEE10hipError_tT0_T1_T2_jT3_P12ihipStream_tbPNSt15iterator_traitsISI_E10value_typeEPNSO_ISJ_E10value_typeEPSK_NS1_7vsmem_tEENKUlT_SI_SJ_SK_E_clISD_PxSD_S10_EESH_SX_SI_SJ_SK_EUlSX_E1_NS1_11comp_targetILNS1_3genE2ELNS1_11target_archE906ELNS1_3gpuE6ELNS1_3repE0EEENS1_36merge_oddeven_config_static_selectorELNS0_4arch9wavefront6targetE1EEEvSJ_.has_dyn_sized_stack, 0
	.set _ZN7rocprim17ROCPRIM_400000_NS6detail17trampoline_kernelINS0_14default_configENS1_38merge_sort_block_merge_config_selectorIxxEEZZNS1_27merge_sort_block_merge_implIS3_N6thrust23THRUST_200600_302600_NS6detail15normal_iteratorINS8_10device_ptrIxEEEESD_jNS1_19radix_merge_compareILb0ELb1ExNS0_19identity_decomposerEEEEE10hipError_tT0_T1_T2_jT3_P12ihipStream_tbPNSt15iterator_traitsISI_E10value_typeEPNSO_ISJ_E10value_typeEPSK_NS1_7vsmem_tEENKUlT_SI_SJ_SK_E_clISD_PxSD_S10_EESH_SX_SI_SJ_SK_EUlSX_E1_NS1_11comp_targetILNS1_3genE2ELNS1_11target_archE906ELNS1_3gpuE6ELNS1_3repE0EEENS1_36merge_oddeven_config_static_selectorELNS0_4arch9wavefront6targetE1EEEvSJ_.has_recursion, 0
	.set _ZN7rocprim17ROCPRIM_400000_NS6detail17trampoline_kernelINS0_14default_configENS1_38merge_sort_block_merge_config_selectorIxxEEZZNS1_27merge_sort_block_merge_implIS3_N6thrust23THRUST_200600_302600_NS6detail15normal_iteratorINS8_10device_ptrIxEEEESD_jNS1_19radix_merge_compareILb0ELb1ExNS0_19identity_decomposerEEEEE10hipError_tT0_T1_T2_jT3_P12ihipStream_tbPNSt15iterator_traitsISI_E10value_typeEPNSO_ISJ_E10value_typeEPSK_NS1_7vsmem_tEENKUlT_SI_SJ_SK_E_clISD_PxSD_S10_EESH_SX_SI_SJ_SK_EUlSX_E1_NS1_11comp_targetILNS1_3genE2ELNS1_11target_archE906ELNS1_3gpuE6ELNS1_3repE0EEENS1_36merge_oddeven_config_static_selectorELNS0_4arch9wavefront6targetE1EEEvSJ_.has_indirect_call, 0
	.section	.AMDGPU.csdata,"",@progbits
; Kernel info:
; codeLenInByte = 0
; TotalNumSgprs: 6
; NumVgprs: 0
; NumAgprs: 0
; TotalNumVgprs: 0
; ScratchSize: 0
; MemoryBound: 0
; FloatMode: 240
; IeeeMode: 1
; LDSByteSize: 0 bytes/workgroup (compile time only)
; SGPRBlocks: 0
; VGPRBlocks: 0
; NumSGPRsForWavesPerEU: 6
; NumVGPRsForWavesPerEU: 1
; AccumOffset: 4
; Occupancy: 8
; WaveLimiterHint : 0
; COMPUTE_PGM_RSRC2:SCRATCH_EN: 0
; COMPUTE_PGM_RSRC2:USER_SGPR: 2
; COMPUTE_PGM_RSRC2:TRAP_HANDLER: 0
; COMPUTE_PGM_RSRC2:TGID_X_EN: 1
; COMPUTE_PGM_RSRC2:TGID_Y_EN: 0
; COMPUTE_PGM_RSRC2:TGID_Z_EN: 0
; COMPUTE_PGM_RSRC2:TIDIG_COMP_CNT: 0
; COMPUTE_PGM_RSRC3_GFX90A:ACCUM_OFFSET: 0
; COMPUTE_PGM_RSRC3_GFX90A:TG_SPLIT: 0
	.section	.text._ZN7rocprim17ROCPRIM_400000_NS6detail17trampoline_kernelINS0_14default_configENS1_38merge_sort_block_merge_config_selectorIxxEEZZNS1_27merge_sort_block_merge_implIS3_N6thrust23THRUST_200600_302600_NS6detail15normal_iteratorINS8_10device_ptrIxEEEESD_jNS1_19radix_merge_compareILb0ELb1ExNS0_19identity_decomposerEEEEE10hipError_tT0_T1_T2_jT3_P12ihipStream_tbPNSt15iterator_traitsISI_E10value_typeEPNSO_ISJ_E10value_typeEPSK_NS1_7vsmem_tEENKUlT_SI_SJ_SK_E_clISD_PxSD_S10_EESH_SX_SI_SJ_SK_EUlSX_E1_NS1_11comp_targetILNS1_3genE9ELNS1_11target_archE1100ELNS1_3gpuE3ELNS1_3repE0EEENS1_36merge_oddeven_config_static_selectorELNS0_4arch9wavefront6targetE1EEEvSJ_,"axG",@progbits,_ZN7rocprim17ROCPRIM_400000_NS6detail17trampoline_kernelINS0_14default_configENS1_38merge_sort_block_merge_config_selectorIxxEEZZNS1_27merge_sort_block_merge_implIS3_N6thrust23THRUST_200600_302600_NS6detail15normal_iteratorINS8_10device_ptrIxEEEESD_jNS1_19radix_merge_compareILb0ELb1ExNS0_19identity_decomposerEEEEE10hipError_tT0_T1_T2_jT3_P12ihipStream_tbPNSt15iterator_traitsISI_E10value_typeEPNSO_ISJ_E10value_typeEPSK_NS1_7vsmem_tEENKUlT_SI_SJ_SK_E_clISD_PxSD_S10_EESH_SX_SI_SJ_SK_EUlSX_E1_NS1_11comp_targetILNS1_3genE9ELNS1_11target_archE1100ELNS1_3gpuE3ELNS1_3repE0EEENS1_36merge_oddeven_config_static_selectorELNS0_4arch9wavefront6targetE1EEEvSJ_,comdat
	.protected	_ZN7rocprim17ROCPRIM_400000_NS6detail17trampoline_kernelINS0_14default_configENS1_38merge_sort_block_merge_config_selectorIxxEEZZNS1_27merge_sort_block_merge_implIS3_N6thrust23THRUST_200600_302600_NS6detail15normal_iteratorINS8_10device_ptrIxEEEESD_jNS1_19radix_merge_compareILb0ELb1ExNS0_19identity_decomposerEEEEE10hipError_tT0_T1_T2_jT3_P12ihipStream_tbPNSt15iterator_traitsISI_E10value_typeEPNSO_ISJ_E10value_typeEPSK_NS1_7vsmem_tEENKUlT_SI_SJ_SK_E_clISD_PxSD_S10_EESH_SX_SI_SJ_SK_EUlSX_E1_NS1_11comp_targetILNS1_3genE9ELNS1_11target_archE1100ELNS1_3gpuE3ELNS1_3repE0EEENS1_36merge_oddeven_config_static_selectorELNS0_4arch9wavefront6targetE1EEEvSJ_ ; -- Begin function _ZN7rocprim17ROCPRIM_400000_NS6detail17trampoline_kernelINS0_14default_configENS1_38merge_sort_block_merge_config_selectorIxxEEZZNS1_27merge_sort_block_merge_implIS3_N6thrust23THRUST_200600_302600_NS6detail15normal_iteratorINS8_10device_ptrIxEEEESD_jNS1_19radix_merge_compareILb0ELb1ExNS0_19identity_decomposerEEEEE10hipError_tT0_T1_T2_jT3_P12ihipStream_tbPNSt15iterator_traitsISI_E10value_typeEPNSO_ISJ_E10value_typeEPSK_NS1_7vsmem_tEENKUlT_SI_SJ_SK_E_clISD_PxSD_S10_EESH_SX_SI_SJ_SK_EUlSX_E1_NS1_11comp_targetILNS1_3genE9ELNS1_11target_archE1100ELNS1_3gpuE3ELNS1_3repE0EEENS1_36merge_oddeven_config_static_selectorELNS0_4arch9wavefront6targetE1EEEvSJ_
	.globl	_ZN7rocprim17ROCPRIM_400000_NS6detail17trampoline_kernelINS0_14default_configENS1_38merge_sort_block_merge_config_selectorIxxEEZZNS1_27merge_sort_block_merge_implIS3_N6thrust23THRUST_200600_302600_NS6detail15normal_iteratorINS8_10device_ptrIxEEEESD_jNS1_19radix_merge_compareILb0ELb1ExNS0_19identity_decomposerEEEEE10hipError_tT0_T1_T2_jT3_P12ihipStream_tbPNSt15iterator_traitsISI_E10value_typeEPNSO_ISJ_E10value_typeEPSK_NS1_7vsmem_tEENKUlT_SI_SJ_SK_E_clISD_PxSD_S10_EESH_SX_SI_SJ_SK_EUlSX_E1_NS1_11comp_targetILNS1_3genE9ELNS1_11target_archE1100ELNS1_3gpuE3ELNS1_3repE0EEENS1_36merge_oddeven_config_static_selectorELNS0_4arch9wavefront6targetE1EEEvSJ_
	.p2align	8
	.type	_ZN7rocprim17ROCPRIM_400000_NS6detail17trampoline_kernelINS0_14default_configENS1_38merge_sort_block_merge_config_selectorIxxEEZZNS1_27merge_sort_block_merge_implIS3_N6thrust23THRUST_200600_302600_NS6detail15normal_iteratorINS8_10device_ptrIxEEEESD_jNS1_19radix_merge_compareILb0ELb1ExNS0_19identity_decomposerEEEEE10hipError_tT0_T1_T2_jT3_P12ihipStream_tbPNSt15iterator_traitsISI_E10value_typeEPNSO_ISJ_E10value_typeEPSK_NS1_7vsmem_tEENKUlT_SI_SJ_SK_E_clISD_PxSD_S10_EESH_SX_SI_SJ_SK_EUlSX_E1_NS1_11comp_targetILNS1_3genE9ELNS1_11target_archE1100ELNS1_3gpuE3ELNS1_3repE0EEENS1_36merge_oddeven_config_static_selectorELNS0_4arch9wavefront6targetE1EEEvSJ_,@function
_ZN7rocprim17ROCPRIM_400000_NS6detail17trampoline_kernelINS0_14default_configENS1_38merge_sort_block_merge_config_selectorIxxEEZZNS1_27merge_sort_block_merge_implIS3_N6thrust23THRUST_200600_302600_NS6detail15normal_iteratorINS8_10device_ptrIxEEEESD_jNS1_19radix_merge_compareILb0ELb1ExNS0_19identity_decomposerEEEEE10hipError_tT0_T1_T2_jT3_P12ihipStream_tbPNSt15iterator_traitsISI_E10value_typeEPNSO_ISJ_E10value_typeEPSK_NS1_7vsmem_tEENKUlT_SI_SJ_SK_E_clISD_PxSD_S10_EESH_SX_SI_SJ_SK_EUlSX_E1_NS1_11comp_targetILNS1_3genE9ELNS1_11target_archE1100ELNS1_3gpuE3ELNS1_3repE0EEENS1_36merge_oddeven_config_static_selectorELNS0_4arch9wavefront6targetE1EEEvSJ_: ; @_ZN7rocprim17ROCPRIM_400000_NS6detail17trampoline_kernelINS0_14default_configENS1_38merge_sort_block_merge_config_selectorIxxEEZZNS1_27merge_sort_block_merge_implIS3_N6thrust23THRUST_200600_302600_NS6detail15normal_iteratorINS8_10device_ptrIxEEEESD_jNS1_19radix_merge_compareILb0ELb1ExNS0_19identity_decomposerEEEEE10hipError_tT0_T1_T2_jT3_P12ihipStream_tbPNSt15iterator_traitsISI_E10value_typeEPNSO_ISJ_E10value_typeEPSK_NS1_7vsmem_tEENKUlT_SI_SJ_SK_E_clISD_PxSD_S10_EESH_SX_SI_SJ_SK_EUlSX_E1_NS1_11comp_targetILNS1_3genE9ELNS1_11target_archE1100ELNS1_3gpuE3ELNS1_3repE0EEENS1_36merge_oddeven_config_static_selectorELNS0_4arch9wavefront6targetE1EEEvSJ_
; %bb.0:
	.section	.rodata,"a",@progbits
	.p2align	6, 0x0
	.amdhsa_kernel _ZN7rocprim17ROCPRIM_400000_NS6detail17trampoline_kernelINS0_14default_configENS1_38merge_sort_block_merge_config_selectorIxxEEZZNS1_27merge_sort_block_merge_implIS3_N6thrust23THRUST_200600_302600_NS6detail15normal_iteratorINS8_10device_ptrIxEEEESD_jNS1_19radix_merge_compareILb0ELb1ExNS0_19identity_decomposerEEEEE10hipError_tT0_T1_T2_jT3_P12ihipStream_tbPNSt15iterator_traitsISI_E10value_typeEPNSO_ISJ_E10value_typeEPSK_NS1_7vsmem_tEENKUlT_SI_SJ_SK_E_clISD_PxSD_S10_EESH_SX_SI_SJ_SK_EUlSX_E1_NS1_11comp_targetILNS1_3genE9ELNS1_11target_archE1100ELNS1_3gpuE3ELNS1_3repE0EEENS1_36merge_oddeven_config_static_selectorELNS0_4arch9wavefront6targetE1EEEvSJ_
		.amdhsa_group_segment_fixed_size 0
		.amdhsa_private_segment_fixed_size 0
		.amdhsa_kernarg_size 48
		.amdhsa_user_sgpr_count 2
		.amdhsa_user_sgpr_dispatch_ptr 0
		.amdhsa_user_sgpr_queue_ptr 0
		.amdhsa_user_sgpr_kernarg_segment_ptr 1
		.amdhsa_user_sgpr_dispatch_id 0
		.amdhsa_user_sgpr_kernarg_preload_length 0
		.amdhsa_user_sgpr_kernarg_preload_offset 0
		.amdhsa_user_sgpr_private_segment_size 0
		.amdhsa_uses_dynamic_stack 0
		.amdhsa_enable_private_segment 0
		.amdhsa_system_sgpr_workgroup_id_x 1
		.amdhsa_system_sgpr_workgroup_id_y 0
		.amdhsa_system_sgpr_workgroup_id_z 0
		.amdhsa_system_sgpr_workgroup_info 0
		.amdhsa_system_vgpr_workitem_id 0
		.amdhsa_next_free_vgpr 1
		.amdhsa_next_free_sgpr 0
		.amdhsa_accum_offset 4
		.amdhsa_reserve_vcc 0
		.amdhsa_float_round_mode_32 0
		.amdhsa_float_round_mode_16_64 0
		.amdhsa_float_denorm_mode_32 3
		.amdhsa_float_denorm_mode_16_64 3
		.amdhsa_dx10_clamp 1
		.amdhsa_ieee_mode 1
		.amdhsa_fp16_overflow 0
		.amdhsa_tg_split 0
		.amdhsa_exception_fp_ieee_invalid_op 0
		.amdhsa_exception_fp_denorm_src 0
		.amdhsa_exception_fp_ieee_div_zero 0
		.amdhsa_exception_fp_ieee_overflow 0
		.amdhsa_exception_fp_ieee_underflow 0
		.amdhsa_exception_fp_ieee_inexact 0
		.amdhsa_exception_int_div_zero 0
	.end_amdhsa_kernel
	.section	.text._ZN7rocprim17ROCPRIM_400000_NS6detail17trampoline_kernelINS0_14default_configENS1_38merge_sort_block_merge_config_selectorIxxEEZZNS1_27merge_sort_block_merge_implIS3_N6thrust23THRUST_200600_302600_NS6detail15normal_iteratorINS8_10device_ptrIxEEEESD_jNS1_19radix_merge_compareILb0ELb1ExNS0_19identity_decomposerEEEEE10hipError_tT0_T1_T2_jT3_P12ihipStream_tbPNSt15iterator_traitsISI_E10value_typeEPNSO_ISJ_E10value_typeEPSK_NS1_7vsmem_tEENKUlT_SI_SJ_SK_E_clISD_PxSD_S10_EESH_SX_SI_SJ_SK_EUlSX_E1_NS1_11comp_targetILNS1_3genE9ELNS1_11target_archE1100ELNS1_3gpuE3ELNS1_3repE0EEENS1_36merge_oddeven_config_static_selectorELNS0_4arch9wavefront6targetE1EEEvSJ_,"axG",@progbits,_ZN7rocprim17ROCPRIM_400000_NS6detail17trampoline_kernelINS0_14default_configENS1_38merge_sort_block_merge_config_selectorIxxEEZZNS1_27merge_sort_block_merge_implIS3_N6thrust23THRUST_200600_302600_NS6detail15normal_iteratorINS8_10device_ptrIxEEEESD_jNS1_19radix_merge_compareILb0ELb1ExNS0_19identity_decomposerEEEEE10hipError_tT0_T1_T2_jT3_P12ihipStream_tbPNSt15iterator_traitsISI_E10value_typeEPNSO_ISJ_E10value_typeEPSK_NS1_7vsmem_tEENKUlT_SI_SJ_SK_E_clISD_PxSD_S10_EESH_SX_SI_SJ_SK_EUlSX_E1_NS1_11comp_targetILNS1_3genE9ELNS1_11target_archE1100ELNS1_3gpuE3ELNS1_3repE0EEENS1_36merge_oddeven_config_static_selectorELNS0_4arch9wavefront6targetE1EEEvSJ_,comdat
.Lfunc_end1168:
	.size	_ZN7rocprim17ROCPRIM_400000_NS6detail17trampoline_kernelINS0_14default_configENS1_38merge_sort_block_merge_config_selectorIxxEEZZNS1_27merge_sort_block_merge_implIS3_N6thrust23THRUST_200600_302600_NS6detail15normal_iteratorINS8_10device_ptrIxEEEESD_jNS1_19radix_merge_compareILb0ELb1ExNS0_19identity_decomposerEEEEE10hipError_tT0_T1_T2_jT3_P12ihipStream_tbPNSt15iterator_traitsISI_E10value_typeEPNSO_ISJ_E10value_typeEPSK_NS1_7vsmem_tEENKUlT_SI_SJ_SK_E_clISD_PxSD_S10_EESH_SX_SI_SJ_SK_EUlSX_E1_NS1_11comp_targetILNS1_3genE9ELNS1_11target_archE1100ELNS1_3gpuE3ELNS1_3repE0EEENS1_36merge_oddeven_config_static_selectorELNS0_4arch9wavefront6targetE1EEEvSJ_, .Lfunc_end1168-_ZN7rocprim17ROCPRIM_400000_NS6detail17trampoline_kernelINS0_14default_configENS1_38merge_sort_block_merge_config_selectorIxxEEZZNS1_27merge_sort_block_merge_implIS3_N6thrust23THRUST_200600_302600_NS6detail15normal_iteratorINS8_10device_ptrIxEEEESD_jNS1_19radix_merge_compareILb0ELb1ExNS0_19identity_decomposerEEEEE10hipError_tT0_T1_T2_jT3_P12ihipStream_tbPNSt15iterator_traitsISI_E10value_typeEPNSO_ISJ_E10value_typeEPSK_NS1_7vsmem_tEENKUlT_SI_SJ_SK_E_clISD_PxSD_S10_EESH_SX_SI_SJ_SK_EUlSX_E1_NS1_11comp_targetILNS1_3genE9ELNS1_11target_archE1100ELNS1_3gpuE3ELNS1_3repE0EEENS1_36merge_oddeven_config_static_selectorELNS0_4arch9wavefront6targetE1EEEvSJ_
                                        ; -- End function
	.set _ZN7rocprim17ROCPRIM_400000_NS6detail17trampoline_kernelINS0_14default_configENS1_38merge_sort_block_merge_config_selectorIxxEEZZNS1_27merge_sort_block_merge_implIS3_N6thrust23THRUST_200600_302600_NS6detail15normal_iteratorINS8_10device_ptrIxEEEESD_jNS1_19radix_merge_compareILb0ELb1ExNS0_19identity_decomposerEEEEE10hipError_tT0_T1_T2_jT3_P12ihipStream_tbPNSt15iterator_traitsISI_E10value_typeEPNSO_ISJ_E10value_typeEPSK_NS1_7vsmem_tEENKUlT_SI_SJ_SK_E_clISD_PxSD_S10_EESH_SX_SI_SJ_SK_EUlSX_E1_NS1_11comp_targetILNS1_3genE9ELNS1_11target_archE1100ELNS1_3gpuE3ELNS1_3repE0EEENS1_36merge_oddeven_config_static_selectorELNS0_4arch9wavefront6targetE1EEEvSJ_.num_vgpr, 0
	.set _ZN7rocprim17ROCPRIM_400000_NS6detail17trampoline_kernelINS0_14default_configENS1_38merge_sort_block_merge_config_selectorIxxEEZZNS1_27merge_sort_block_merge_implIS3_N6thrust23THRUST_200600_302600_NS6detail15normal_iteratorINS8_10device_ptrIxEEEESD_jNS1_19radix_merge_compareILb0ELb1ExNS0_19identity_decomposerEEEEE10hipError_tT0_T1_T2_jT3_P12ihipStream_tbPNSt15iterator_traitsISI_E10value_typeEPNSO_ISJ_E10value_typeEPSK_NS1_7vsmem_tEENKUlT_SI_SJ_SK_E_clISD_PxSD_S10_EESH_SX_SI_SJ_SK_EUlSX_E1_NS1_11comp_targetILNS1_3genE9ELNS1_11target_archE1100ELNS1_3gpuE3ELNS1_3repE0EEENS1_36merge_oddeven_config_static_selectorELNS0_4arch9wavefront6targetE1EEEvSJ_.num_agpr, 0
	.set _ZN7rocprim17ROCPRIM_400000_NS6detail17trampoline_kernelINS0_14default_configENS1_38merge_sort_block_merge_config_selectorIxxEEZZNS1_27merge_sort_block_merge_implIS3_N6thrust23THRUST_200600_302600_NS6detail15normal_iteratorINS8_10device_ptrIxEEEESD_jNS1_19radix_merge_compareILb0ELb1ExNS0_19identity_decomposerEEEEE10hipError_tT0_T1_T2_jT3_P12ihipStream_tbPNSt15iterator_traitsISI_E10value_typeEPNSO_ISJ_E10value_typeEPSK_NS1_7vsmem_tEENKUlT_SI_SJ_SK_E_clISD_PxSD_S10_EESH_SX_SI_SJ_SK_EUlSX_E1_NS1_11comp_targetILNS1_3genE9ELNS1_11target_archE1100ELNS1_3gpuE3ELNS1_3repE0EEENS1_36merge_oddeven_config_static_selectorELNS0_4arch9wavefront6targetE1EEEvSJ_.numbered_sgpr, 0
	.set _ZN7rocprim17ROCPRIM_400000_NS6detail17trampoline_kernelINS0_14default_configENS1_38merge_sort_block_merge_config_selectorIxxEEZZNS1_27merge_sort_block_merge_implIS3_N6thrust23THRUST_200600_302600_NS6detail15normal_iteratorINS8_10device_ptrIxEEEESD_jNS1_19radix_merge_compareILb0ELb1ExNS0_19identity_decomposerEEEEE10hipError_tT0_T1_T2_jT3_P12ihipStream_tbPNSt15iterator_traitsISI_E10value_typeEPNSO_ISJ_E10value_typeEPSK_NS1_7vsmem_tEENKUlT_SI_SJ_SK_E_clISD_PxSD_S10_EESH_SX_SI_SJ_SK_EUlSX_E1_NS1_11comp_targetILNS1_3genE9ELNS1_11target_archE1100ELNS1_3gpuE3ELNS1_3repE0EEENS1_36merge_oddeven_config_static_selectorELNS0_4arch9wavefront6targetE1EEEvSJ_.num_named_barrier, 0
	.set _ZN7rocprim17ROCPRIM_400000_NS6detail17trampoline_kernelINS0_14default_configENS1_38merge_sort_block_merge_config_selectorIxxEEZZNS1_27merge_sort_block_merge_implIS3_N6thrust23THRUST_200600_302600_NS6detail15normal_iteratorINS8_10device_ptrIxEEEESD_jNS1_19radix_merge_compareILb0ELb1ExNS0_19identity_decomposerEEEEE10hipError_tT0_T1_T2_jT3_P12ihipStream_tbPNSt15iterator_traitsISI_E10value_typeEPNSO_ISJ_E10value_typeEPSK_NS1_7vsmem_tEENKUlT_SI_SJ_SK_E_clISD_PxSD_S10_EESH_SX_SI_SJ_SK_EUlSX_E1_NS1_11comp_targetILNS1_3genE9ELNS1_11target_archE1100ELNS1_3gpuE3ELNS1_3repE0EEENS1_36merge_oddeven_config_static_selectorELNS0_4arch9wavefront6targetE1EEEvSJ_.private_seg_size, 0
	.set _ZN7rocprim17ROCPRIM_400000_NS6detail17trampoline_kernelINS0_14default_configENS1_38merge_sort_block_merge_config_selectorIxxEEZZNS1_27merge_sort_block_merge_implIS3_N6thrust23THRUST_200600_302600_NS6detail15normal_iteratorINS8_10device_ptrIxEEEESD_jNS1_19radix_merge_compareILb0ELb1ExNS0_19identity_decomposerEEEEE10hipError_tT0_T1_T2_jT3_P12ihipStream_tbPNSt15iterator_traitsISI_E10value_typeEPNSO_ISJ_E10value_typeEPSK_NS1_7vsmem_tEENKUlT_SI_SJ_SK_E_clISD_PxSD_S10_EESH_SX_SI_SJ_SK_EUlSX_E1_NS1_11comp_targetILNS1_3genE9ELNS1_11target_archE1100ELNS1_3gpuE3ELNS1_3repE0EEENS1_36merge_oddeven_config_static_selectorELNS0_4arch9wavefront6targetE1EEEvSJ_.uses_vcc, 0
	.set _ZN7rocprim17ROCPRIM_400000_NS6detail17trampoline_kernelINS0_14default_configENS1_38merge_sort_block_merge_config_selectorIxxEEZZNS1_27merge_sort_block_merge_implIS3_N6thrust23THRUST_200600_302600_NS6detail15normal_iteratorINS8_10device_ptrIxEEEESD_jNS1_19radix_merge_compareILb0ELb1ExNS0_19identity_decomposerEEEEE10hipError_tT0_T1_T2_jT3_P12ihipStream_tbPNSt15iterator_traitsISI_E10value_typeEPNSO_ISJ_E10value_typeEPSK_NS1_7vsmem_tEENKUlT_SI_SJ_SK_E_clISD_PxSD_S10_EESH_SX_SI_SJ_SK_EUlSX_E1_NS1_11comp_targetILNS1_3genE9ELNS1_11target_archE1100ELNS1_3gpuE3ELNS1_3repE0EEENS1_36merge_oddeven_config_static_selectorELNS0_4arch9wavefront6targetE1EEEvSJ_.uses_flat_scratch, 0
	.set _ZN7rocprim17ROCPRIM_400000_NS6detail17trampoline_kernelINS0_14default_configENS1_38merge_sort_block_merge_config_selectorIxxEEZZNS1_27merge_sort_block_merge_implIS3_N6thrust23THRUST_200600_302600_NS6detail15normal_iteratorINS8_10device_ptrIxEEEESD_jNS1_19radix_merge_compareILb0ELb1ExNS0_19identity_decomposerEEEEE10hipError_tT0_T1_T2_jT3_P12ihipStream_tbPNSt15iterator_traitsISI_E10value_typeEPNSO_ISJ_E10value_typeEPSK_NS1_7vsmem_tEENKUlT_SI_SJ_SK_E_clISD_PxSD_S10_EESH_SX_SI_SJ_SK_EUlSX_E1_NS1_11comp_targetILNS1_3genE9ELNS1_11target_archE1100ELNS1_3gpuE3ELNS1_3repE0EEENS1_36merge_oddeven_config_static_selectorELNS0_4arch9wavefront6targetE1EEEvSJ_.has_dyn_sized_stack, 0
	.set _ZN7rocprim17ROCPRIM_400000_NS6detail17trampoline_kernelINS0_14default_configENS1_38merge_sort_block_merge_config_selectorIxxEEZZNS1_27merge_sort_block_merge_implIS3_N6thrust23THRUST_200600_302600_NS6detail15normal_iteratorINS8_10device_ptrIxEEEESD_jNS1_19radix_merge_compareILb0ELb1ExNS0_19identity_decomposerEEEEE10hipError_tT0_T1_T2_jT3_P12ihipStream_tbPNSt15iterator_traitsISI_E10value_typeEPNSO_ISJ_E10value_typeEPSK_NS1_7vsmem_tEENKUlT_SI_SJ_SK_E_clISD_PxSD_S10_EESH_SX_SI_SJ_SK_EUlSX_E1_NS1_11comp_targetILNS1_3genE9ELNS1_11target_archE1100ELNS1_3gpuE3ELNS1_3repE0EEENS1_36merge_oddeven_config_static_selectorELNS0_4arch9wavefront6targetE1EEEvSJ_.has_recursion, 0
	.set _ZN7rocprim17ROCPRIM_400000_NS6detail17trampoline_kernelINS0_14default_configENS1_38merge_sort_block_merge_config_selectorIxxEEZZNS1_27merge_sort_block_merge_implIS3_N6thrust23THRUST_200600_302600_NS6detail15normal_iteratorINS8_10device_ptrIxEEEESD_jNS1_19radix_merge_compareILb0ELb1ExNS0_19identity_decomposerEEEEE10hipError_tT0_T1_T2_jT3_P12ihipStream_tbPNSt15iterator_traitsISI_E10value_typeEPNSO_ISJ_E10value_typeEPSK_NS1_7vsmem_tEENKUlT_SI_SJ_SK_E_clISD_PxSD_S10_EESH_SX_SI_SJ_SK_EUlSX_E1_NS1_11comp_targetILNS1_3genE9ELNS1_11target_archE1100ELNS1_3gpuE3ELNS1_3repE0EEENS1_36merge_oddeven_config_static_selectorELNS0_4arch9wavefront6targetE1EEEvSJ_.has_indirect_call, 0
	.section	.AMDGPU.csdata,"",@progbits
; Kernel info:
; codeLenInByte = 0
; TotalNumSgprs: 6
; NumVgprs: 0
; NumAgprs: 0
; TotalNumVgprs: 0
; ScratchSize: 0
; MemoryBound: 0
; FloatMode: 240
; IeeeMode: 1
; LDSByteSize: 0 bytes/workgroup (compile time only)
; SGPRBlocks: 0
; VGPRBlocks: 0
; NumSGPRsForWavesPerEU: 6
; NumVGPRsForWavesPerEU: 1
; AccumOffset: 4
; Occupancy: 8
; WaveLimiterHint : 0
; COMPUTE_PGM_RSRC2:SCRATCH_EN: 0
; COMPUTE_PGM_RSRC2:USER_SGPR: 2
; COMPUTE_PGM_RSRC2:TRAP_HANDLER: 0
; COMPUTE_PGM_RSRC2:TGID_X_EN: 1
; COMPUTE_PGM_RSRC2:TGID_Y_EN: 0
; COMPUTE_PGM_RSRC2:TGID_Z_EN: 0
; COMPUTE_PGM_RSRC2:TIDIG_COMP_CNT: 0
; COMPUTE_PGM_RSRC3_GFX90A:ACCUM_OFFSET: 0
; COMPUTE_PGM_RSRC3_GFX90A:TG_SPLIT: 0
	.section	.text._ZN7rocprim17ROCPRIM_400000_NS6detail17trampoline_kernelINS0_14default_configENS1_38merge_sort_block_merge_config_selectorIxxEEZZNS1_27merge_sort_block_merge_implIS3_N6thrust23THRUST_200600_302600_NS6detail15normal_iteratorINS8_10device_ptrIxEEEESD_jNS1_19radix_merge_compareILb0ELb1ExNS0_19identity_decomposerEEEEE10hipError_tT0_T1_T2_jT3_P12ihipStream_tbPNSt15iterator_traitsISI_E10value_typeEPNSO_ISJ_E10value_typeEPSK_NS1_7vsmem_tEENKUlT_SI_SJ_SK_E_clISD_PxSD_S10_EESH_SX_SI_SJ_SK_EUlSX_E1_NS1_11comp_targetILNS1_3genE8ELNS1_11target_archE1030ELNS1_3gpuE2ELNS1_3repE0EEENS1_36merge_oddeven_config_static_selectorELNS0_4arch9wavefront6targetE1EEEvSJ_,"axG",@progbits,_ZN7rocprim17ROCPRIM_400000_NS6detail17trampoline_kernelINS0_14default_configENS1_38merge_sort_block_merge_config_selectorIxxEEZZNS1_27merge_sort_block_merge_implIS3_N6thrust23THRUST_200600_302600_NS6detail15normal_iteratorINS8_10device_ptrIxEEEESD_jNS1_19radix_merge_compareILb0ELb1ExNS0_19identity_decomposerEEEEE10hipError_tT0_T1_T2_jT3_P12ihipStream_tbPNSt15iterator_traitsISI_E10value_typeEPNSO_ISJ_E10value_typeEPSK_NS1_7vsmem_tEENKUlT_SI_SJ_SK_E_clISD_PxSD_S10_EESH_SX_SI_SJ_SK_EUlSX_E1_NS1_11comp_targetILNS1_3genE8ELNS1_11target_archE1030ELNS1_3gpuE2ELNS1_3repE0EEENS1_36merge_oddeven_config_static_selectorELNS0_4arch9wavefront6targetE1EEEvSJ_,comdat
	.protected	_ZN7rocprim17ROCPRIM_400000_NS6detail17trampoline_kernelINS0_14default_configENS1_38merge_sort_block_merge_config_selectorIxxEEZZNS1_27merge_sort_block_merge_implIS3_N6thrust23THRUST_200600_302600_NS6detail15normal_iteratorINS8_10device_ptrIxEEEESD_jNS1_19radix_merge_compareILb0ELb1ExNS0_19identity_decomposerEEEEE10hipError_tT0_T1_T2_jT3_P12ihipStream_tbPNSt15iterator_traitsISI_E10value_typeEPNSO_ISJ_E10value_typeEPSK_NS1_7vsmem_tEENKUlT_SI_SJ_SK_E_clISD_PxSD_S10_EESH_SX_SI_SJ_SK_EUlSX_E1_NS1_11comp_targetILNS1_3genE8ELNS1_11target_archE1030ELNS1_3gpuE2ELNS1_3repE0EEENS1_36merge_oddeven_config_static_selectorELNS0_4arch9wavefront6targetE1EEEvSJ_ ; -- Begin function _ZN7rocprim17ROCPRIM_400000_NS6detail17trampoline_kernelINS0_14default_configENS1_38merge_sort_block_merge_config_selectorIxxEEZZNS1_27merge_sort_block_merge_implIS3_N6thrust23THRUST_200600_302600_NS6detail15normal_iteratorINS8_10device_ptrIxEEEESD_jNS1_19radix_merge_compareILb0ELb1ExNS0_19identity_decomposerEEEEE10hipError_tT0_T1_T2_jT3_P12ihipStream_tbPNSt15iterator_traitsISI_E10value_typeEPNSO_ISJ_E10value_typeEPSK_NS1_7vsmem_tEENKUlT_SI_SJ_SK_E_clISD_PxSD_S10_EESH_SX_SI_SJ_SK_EUlSX_E1_NS1_11comp_targetILNS1_3genE8ELNS1_11target_archE1030ELNS1_3gpuE2ELNS1_3repE0EEENS1_36merge_oddeven_config_static_selectorELNS0_4arch9wavefront6targetE1EEEvSJ_
	.globl	_ZN7rocprim17ROCPRIM_400000_NS6detail17trampoline_kernelINS0_14default_configENS1_38merge_sort_block_merge_config_selectorIxxEEZZNS1_27merge_sort_block_merge_implIS3_N6thrust23THRUST_200600_302600_NS6detail15normal_iteratorINS8_10device_ptrIxEEEESD_jNS1_19radix_merge_compareILb0ELb1ExNS0_19identity_decomposerEEEEE10hipError_tT0_T1_T2_jT3_P12ihipStream_tbPNSt15iterator_traitsISI_E10value_typeEPNSO_ISJ_E10value_typeEPSK_NS1_7vsmem_tEENKUlT_SI_SJ_SK_E_clISD_PxSD_S10_EESH_SX_SI_SJ_SK_EUlSX_E1_NS1_11comp_targetILNS1_3genE8ELNS1_11target_archE1030ELNS1_3gpuE2ELNS1_3repE0EEENS1_36merge_oddeven_config_static_selectorELNS0_4arch9wavefront6targetE1EEEvSJ_
	.p2align	8
	.type	_ZN7rocprim17ROCPRIM_400000_NS6detail17trampoline_kernelINS0_14default_configENS1_38merge_sort_block_merge_config_selectorIxxEEZZNS1_27merge_sort_block_merge_implIS3_N6thrust23THRUST_200600_302600_NS6detail15normal_iteratorINS8_10device_ptrIxEEEESD_jNS1_19radix_merge_compareILb0ELb1ExNS0_19identity_decomposerEEEEE10hipError_tT0_T1_T2_jT3_P12ihipStream_tbPNSt15iterator_traitsISI_E10value_typeEPNSO_ISJ_E10value_typeEPSK_NS1_7vsmem_tEENKUlT_SI_SJ_SK_E_clISD_PxSD_S10_EESH_SX_SI_SJ_SK_EUlSX_E1_NS1_11comp_targetILNS1_3genE8ELNS1_11target_archE1030ELNS1_3gpuE2ELNS1_3repE0EEENS1_36merge_oddeven_config_static_selectorELNS0_4arch9wavefront6targetE1EEEvSJ_,@function
_ZN7rocprim17ROCPRIM_400000_NS6detail17trampoline_kernelINS0_14default_configENS1_38merge_sort_block_merge_config_selectorIxxEEZZNS1_27merge_sort_block_merge_implIS3_N6thrust23THRUST_200600_302600_NS6detail15normal_iteratorINS8_10device_ptrIxEEEESD_jNS1_19radix_merge_compareILb0ELb1ExNS0_19identity_decomposerEEEEE10hipError_tT0_T1_T2_jT3_P12ihipStream_tbPNSt15iterator_traitsISI_E10value_typeEPNSO_ISJ_E10value_typeEPSK_NS1_7vsmem_tEENKUlT_SI_SJ_SK_E_clISD_PxSD_S10_EESH_SX_SI_SJ_SK_EUlSX_E1_NS1_11comp_targetILNS1_3genE8ELNS1_11target_archE1030ELNS1_3gpuE2ELNS1_3repE0EEENS1_36merge_oddeven_config_static_selectorELNS0_4arch9wavefront6targetE1EEEvSJ_: ; @_ZN7rocprim17ROCPRIM_400000_NS6detail17trampoline_kernelINS0_14default_configENS1_38merge_sort_block_merge_config_selectorIxxEEZZNS1_27merge_sort_block_merge_implIS3_N6thrust23THRUST_200600_302600_NS6detail15normal_iteratorINS8_10device_ptrIxEEEESD_jNS1_19radix_merge_compareILb0ELb1ExNS0_19identity_decomposerEEEEE10hipError_tT0_T1_T2_jT3_P12ihipStream_tbPNSt15iterator_traitsISI_E10value_typeEPNSO_ISJ_E10value_typeEPSK_NS1_7vsmem_tEENKUlT_SI_SJ_SK_E_clISD_PxSD_S10_EESH_SX_SI_SJ_SK_EUlSX_E1_NS1_11comp_targetILNS1_3genE8ELNS1_11target_archE1030ELNS1_3gpuE2ELNS1_3repE0EEENS1_36merge_oddeven_config_static_selectorELNS0_4arch9wavefront6targetE1EEEvSJ_
; %bb.0:
	.section	.rodata,"a",@progbits
	.p2align	6, 0x0
	.amdhsa_kernel _ZN7rocprim17ROCPRIM_400000_NS6detail17trampoline_kernelINS0_14default_configENS1_38merge_sort_block_merge_config_selectorIxxEEZZNS1_27merge_sort_block_merge_implIS3_N6thrust23THRUST_200600_302600_NS6detail15normal_iteratorINS8_10device_ptrIxEEEESD_jNS1_19radix_merge_compareILb0ELb1ExNS0_19identity_decomposerEEEEE10hipError_tT0_T1_T2_jT3_P12ihipStream_tbPNSt15iterator_traitsISI_E10value_typeEPNSO_ISJ_E10value_typeEPSK_NS1_7vsmem_tEENKUlT_SI_SJ_SK_E_clISD_PxSD_S10_EESH_SX_SI_SJ_SK_EUlSX_E1_NS1_11comp_targetILNS1_3genE8ELNS1_11target_archE1030ELNS1_3gpuE2ELNS1_3repE0EEENS1_36merge_oddeven_config_static_selectorELNS0_4arch9wavefront6targetE1EEEvSJ_
		.amdhsa_group_segment_fixed_size 0
		.amdhsa_private_segment_fixed_size 0
		.amdhsa_kernarg_size 48
		.amdhsa_user_sgpr_count 2
		.amdhsa_user_sgpr_dispatch_ptr 0
		.amdhsa_user_sgpr_queue_ptr 0
		.amdhsa_user_sgpr_kernarg_segment_ptr 1
		.amdhsa_user_sgpr_dispatch_id 0
		.amdhsa_user_sgpr_kernarg_preload_length 0
		.amdhsa_user_sgpr_kernarg_preload_offset 0
		.amdhsa_user_sgpr_private_segment_size 0
		.amdhsa_uses_dynamic_stack 0
		.amdhsa_enable_private_segment 0
		.amdhsa_system_sgpr_workgroup_id_x 1
		.amdhsa_system_sgpr_workgroup_id_y 0
		.amdhsa_system_sgpr_workgroup_id_z 0
		.amdhsa_system_sgpr_workgroup_info 0
		.amdhsa_system_vgpr_workitem_id 0
		.amdhsa_next_free_vgpr 1
		.amdhsa_next_free_sgpr 0
		.amdhsa_accum_offset 4
		.amdhsa_reserve_vcc 0
		.amdhsa_float_round_mode_32 0
		.amdhsa_float_round_mode_16_64 0
		.amdhsa_float_denorm_mode_32 3
		.amdhsa_float_denorm_mode_16_64 3
		.amdhsa_dx10_clamp 1
		.amdhsa_ieee_mode 1
		.amdhsa_fp16_overflow 0
		.amdhsa_tg_split 0
		.amdhsa_exception_fp_ieee_invalid_op 0
		.amdhsa_exception_fp_denorm_src 0
		.amdhsa_exception_fp_ieee_div_zero 0
		.amdhsa_exception_fp_ieee_overflow 0
		.amdhsa_exception_fp_ieee_underflow 0
		.amdhsa_exception_fp_ieee_inexact 0
		.amdhsa_exception_int_div_zero 0
	.end_amdhsa_kernel
	.section	.text._ZN7rocprim17ROCPRIM_400000_NS6detail17trampoline_kernelINS0_14default_configENS1_38merge_sort_block_merge_config_selectorIxxEEZZNS1_27merge_sort_block_merge_implIS3_N6thrust23THRUST_200600_302600_NS6detail15normal_iteratorINS8_10device_ptrIxEEEESD_jNS1_19radix_merge_compareILb0ELb1ExNS0_19identity_decomposerEEEEE10hipError_tT0_T1_T2_jT3_P12ihipStream_tbPNSt15iterator_traitsISI_E10value_typeEPNSO_ISJ_E10value_typeEPSK_NS1_7vsmem_tEENKUlT_SI_SJ_SK_E_clISD_PxSD_S10_EESH_SX_SI_SJ_SK_EUlSX_E1_NS1_11comp_targetILNS1_3genE8ELNS1_11target_archE1030ELNS1_3gpuE2ELNS1_3repE0EEENS1_36merge_oddeven_config_static_selectorELNS0_4arch9wavefront6targetE1EEEvSJ_,"axG",@progbits,_ZN7rocprim17ROCPRIM_400000_NS6detail17trampoline_kernelINS0_14default_configENS1_38merge_sort_block_merge_config_selectorIxxEEZZNS1_27merge_sort_block_merge_implIS3_N6thrust23THRUST_200600_302600_NS6detail15normal_iteratorINS8_10device_ptrIxEEEESD_jNS1_19radix_merge_compareILb0ELb1ExNS0_19identity_decomposerEEEEE10hipError_tT0_T1_T2_jT3_P12ihipStream_tbPNSt15iterator_traitsISI_E10value_typeEPNSO_ISJ_E10value_typeEPSK_NS1_7vsmem_tEENKUlT_SI_SJ_SK_E_clISD_PxSD_S10_EESH_SX_SI_SJ_SK_EUlSX_E1_NS1_11comp_targetILNS1_3genE8ELNS1_11target_archE1030ELNS1_3gpuE2ELNS1_3repE0EEENS1_36merge_oddeven_config_static_selectorELNS0_4arch9wavefront6targetE1EEEvSJ_,comdat
.Lfunc_end1169:
	.size	_ZN7rocprim17ROCPRIM_400000_NS6detail17trampoline_kernelINS0_14default_configENS1_38merge_sort_block_merge_config_selectorIxxEEZZNS1_27merge_sort_block_merge_implIS3_N6thrust23THRUST_200600_302600_NS6detail15normal_iteratorINS8_10device_ptrIxEEEESD_jNS1_19radix_merge_compareILb0ELb1ExNS0_19identity_decomposerEEEEE10hipError_tT0_T1_T2_jT3_P12ihipStream_tbPNSt15iterator_traitsISI_E10value_typeEPNSO_ISJ_E10value_typeEPSK_NS1_7vsmem_tEENKUlT_SI_SJ_SK_E_clISD_PxSD_S10_EESH_SX_SI_SJ_SK_EUlSX_E1_NS1_11comp_targetILNS1_3genE8ELNS1_11target_archE1030ELNS1_3gpuE2ELNS1_3repE0EEENS1_36merge_oddeven_config_static_selectorELNS0_4arch9wavefront6targetE1EEEvSJ_, .Lfunc_end1169-_ZN7rocprim17ROCPRIM_400000_NS6detail17trampoline_kernelINS0_14default_configENS1_38merge_sort_block_merge_config_selectorIxxEEZZNS1_27merge_sort_block_merge_implIS3_N6thrust23THRUST_200600_302600_NS6detail15normal_iteratorINS8_10device_ptrIxEEEESD_jNS1_19radix_merge_compareILb0ELb1ExNS0_19identity_decomposerEEEEE10hipError_tT0_T1_T2_jT3_P12ihipStream_tbPNSt15iterator_traitsISI_E10value_typeEPNSO_ISJ_E10value_typeEPSK_NS1_7vsmem_tEENKUlT_SI_SJ_SK_E_clISD_PxSD_S10_EESH_SX_SI_SJ_SK_EUlSX_E1_NS1_11comp_targetILNS1_3genE8ELNS1_11target_archE1030ELNS1_3gpuE2ELNS1_3repE0EEENS1_36merge_oddeven_config_static_selectorELNS0_4arch9wavefront6targetE1EEEvSJ_
                                        ; -- End function
	.set _ZN7rocprim17ROCPRIM_400000_NS6detail17trampoline_kernelINS0_14default_configENS1_38merge_sort_block_merge_config_selectorIxxEEZZNS1_27merge_sort_block_merge_implIS3_N6thrust23THRUST_200600_302600_NS6detail15normal_iteratorINS8_10device_ptrIxEEEESD_jNS1_19radix_merge_compareILb0ELb1ExNS0_19identity_decomposerEEEEE10hipError_tT0_T1_T2_jT3_P12ihipStream_tbPNSt15iterator_traitsISI_E10value_typeEPNSO_ISJ_E10value_typeEPSK_NS1_7vsmem_tEENKUlT_SI_SJ_SK_E_clISD_PxSD_S10_EESH_SX_SI_SJ_SK_EUlSX_E1_NS1_11comp_targetILNS1_3genE8ELNS1_11target_archE1030ELNS1_3gpuE2ELNS1_3repE0EEENS1_36merge_oddeven_config_static_selectorELNS0_4arch9wavefront6targetE1EEEvSJ_.num_vgpr, 0
	.set _ZN7rocprim17ROCPRIM_400000_NS6detail17trampoline_kernelINS0_14default_configENS1_38merge_sort_block_merge_config_selectorIxxEEZZNS1_27merge_sort_block_merge_implIS3_N6thrust23THRUST_200600_302600_NS6detail15normal_iteratorINS8_10device_ptrIxEEEESD_jNS1_19radix_merge_compareILb0ELb1ExNS0_19identity_decomposerEEEEE10hipError_tT0_T1_T2_jT3_P12ihipStream_tbPNSt15iterator_traitsISI_E10value_typeEPNSO_ISJ_E10value_typeEPSK_NS1_7vsmem_tEENKUlT_SI_SJ_SK_E_clISD_PxSD_S10_EESH_SX_SI_SJ_SK_EUlSX_E1_NS1_11comp_targetILNS1_3genE8ELNS1_11target_archE1030ELNS1_3gpuE2ELNS1_3repE0EEENS1_36merge_oddeven_config_static_selectorELNS0_4arch9wavefront6targetE1EEEvSJ_.num_agpr, 0
	.set _ZN7rocprim17ROCPRIM_400000_NS6detail17trampoline_kernelINS0_14default_configENS1_38merge_sort_block_merge_config_selectorIxxEEZZNS1_27merge_sort_block_merge_implIS3_N6thrust23THRUST_200600_302600_NS6detail15normal_iteratorINS8_10device_ptrIxEEEESD_jNS1_19radix_merge_compareILb0ELb1ExNS0_19identity_decomposerEEEEE10hipError_tT0_T1_T2_jT3_P12ihipStream_tbPNSt15iterator_traitsISI_E10value_typeEPNSO_ISJ_E10value_typeEPSK_NS1_7vsmem_tEENKUlT_SI_SJ_SK_E_clISD_PxSD_S10_EESH_SX_SI_SJ_SK_EUlSX_E1_NS1_11comp_targetILNS1_3genE8ELNS1_11target_archE1030ELNS1_3gpuE2ELNS1_3repE0EEENS1_36merge_oddeven_config_static_selectorELNS0_4arch9wavefront6targetE1EEEvSJ_.numbered_sgpr, 0
	.set _ZN7rocprim17ROCPRIM_400000_NS6detail17trampoline_kernelINS0_14default_configENS1_38merge_sort_block_merge_config_selectorIxxEEZZNS1_27merge_sort_block_merge_implIS3_N6thrust23THRUST_200600_302600_NS6detail15normal_iteratorINS8_10device_ptrIxEEEESD_jNS1_19radix_merge_compareILb0ELb1ExNS0_19identity_decomposerEEEEE10hipError_tT0_T1_T2_jT3_P12ihipStream_tbPNSt15iterator_traitsISI_E10value_typeEPNSO_ISJ_E10value_typeEPSK_NS1_7vsmem_tEENKUlT_SI_SJ_SK_E_clISD_PxSD_S10_EESH_SX_SI_SJ_SK_EUlSX_E1_NS1_11comp_targetILNS1_3genE8ELNS1_11target_archE1030ELNS1_3gpuE2ELNS1_3repE0EEENS1_36merge_oddeven_config_static_selectorELNS0_4arch9wavefront6targetE1EEEvSJ_.num_named_barrier, 0
	.set _ZN7rocprim17ROCPRIM_400000_NS6detail17trampoline_kernelINS0_14default_configENS1_38merge_sort_block_merge_config_selectorIxxEEZZNS1_27merge_sort_block_merge_implIS3_N6thrust23THRUST_200600_302600_NS6detail15normal_iteratorINS8_10device_ptrIxEEEESD_jNS1_19radix_merge_compareILb0ELb1ExNS0_19identity_decomposerEEEEE10hipError_tT0_T1_T2_jT3_P12ihipStream_tbPNSt15iterator_traitsISI_E10value_typeEPNSO_ISJ_E10value_typeEPSK_NS1_7vsmem_tEENKUlT_SI_SJ_SK_E_clISD_PxSD_S10_EESH_SX_SI_SJ_SK_EUlSX_E1_NS1_11comp_targetILNS1_3genE8ELNS1_11target_archE1030ELNS1_3gpuE2ELNS1_3repE0EEENS1_36merge_oddeven_config_static_selectorELNS0_4arch9wavefront6targetE1EEEvSJ_.private_seg_size, 0
	.set _ZN7rocprim17ROCPRIM_400000_NS6detail17trampoline_kernelINS0_14default_configENS1_38merge_sort_block_merge_config_selectorIxxEEZZNS1_27merge_sort_block_merge_implIS3_N6thrust23THRUST_200600_302600_NS6detail15normal_iteratorINS8_10device_ptrIxEEEESD_jNS1_19radix_merge_compareILb0ELb1ExNS0_19identity_decomposerEEEEE10hipError_tT0_T1_T2_jT3_P12ihipStream_tbPNSt15iterator_traitsISI_E10value_typeEPNSO_ISJ_E10value_typeEPSK_NS1_7vsmem_tEENKUlT_SI_SJ_SK_E_clISD_PxSD_S10_EESH_SX_SI_SJ_SK_EUlSX_E1_NS1_11comp_targetILNS1_3genE8ELNS1_11target_archE1030ELNS1_3gpuE2ELNS1_3repE0EEENS1_36merge_oddeven_config_static_selectorELNS0_4arch9wavefront6targetE1EEEvSJ_.uses_vcc, 0
	.set _ZN7rocprim17ROCPRIM_400000_NS6detail17trampoline_kernelINS0_14default_configENS1_38merge_sort_block_merge_config_selectorIxxEEZZNS1_27merge_sort_block_merge_implIS3_N6thrust23THRUST_200600_302600_NS6detail15normal_iteratorINS8_10device_ptrIxEEEESD_jNS1_19radix_merge_compareILb0ELb1ExNS0_19identity_decomposerEEEEE10hipError_tT0_T1_T2_jT3_P12ihipStream_tbPNSt15iterator_traitsISI_E10value_typeEPNSO_ISJ_E10value_typeEPSK_NS1_7vsmem_tEENKUlT_SI_SJ_SK_E_clISD_PxSD_S10_EESH_SX_SI_SJ_SK_EUlSX_E1_NS1_11comp_targetILNS1_3genE8ELNS1_11target_archE1030ELNS1_3gpuE2ELNS1_3repE0EEENS1_36merge_oddeven_config_static_selectorELNS0_4arch9wavefront6targetE1EEEvSJ_.uses_flat_scratch, 0
	.set _ZN7rocprim17ROCPRIM_400000_NS6detail17trampoline_kernelINS0_14default_configENS1_38merge_sort_block_merge_config_selectorIxxEEZZNS1_27merge_sort_block_merge_implIS3_N6thrust23THRUST_200600_302600_NS6detail15normal_iteratorINS8_10device_ptrIxEEEESD_jNS1_19radix_merge_compareILb0ELb1ExNS0_19identity_decomposerEEEEE10hipError_tT0_T1_T2_jT3_P12ihipStream_tbPNSt15iterator_traitsISI_E10value_typeEPNSO_ISJ_E10value_typeEPSK_NS1_7vsmem_tEENKUlT_SI_SJ_SK_E_clISD_PxSD_S10_EESH_SX_SI_SJ_SK_EUlSX_E1_NS1_11comp_targetILNS1_3genE8ELNS1_11target_archE1030ELNS1_3gpuE2ELNS1_3repE0EEENS1_36merge_oddeven_config_static_selectorELNS0_4arch9wavefront6targetE1EEEvSJ_.has_dyn_sized_stack, 0
	.set _ZN7rocprim17ROCPRIM_400000_NS6detail17trampoline_kernelINS0_14default_configENS1_38merge_sort_block_merge_config_selectorIxxEEZZNS1_27merge_sort_block_merge_implIS3_N6thrust23THRUST_200600_302600_NS6detail15normal_iteratorINS8_10device_ptrIxEEEESD_jNS1_19radix_merge_compareILb0ELb1ExNS0_19identity_decomposerEEEEE10hipError_tT0_T1_T2_jT3_P12ihipStream_tbPNSt15iterator_traitsISI_E10value_typeEPNSO_ISJ_E10value_typeEPSK_NS1_7vsmem_tEENKUlT_SI_SJ_SK_E_clISD_PxSD_S10_EESH_SX_SI_SJ_SK_EUlSX_E1_NS1_11comp_targetILNS1_3genE8ELNS1_11target_archE1030ELNS1_3gpuE2ELNS1_3repE0EEENS1_36merge_oddeven_config_static_selectorELNS0_4arch9wavefront6targetE1EEEvSJ_.has_recursion, 0
	.set _ZN7rocprim17ROCPRIM_400000_NS6detail17trampoline_kernelINS0_14default_configENS1_38merge_sort_block_merge_config_selectorIxxEEZZNS1_27merge_sort_block_merge_implIS3_N6thrust23THRUST_200600_302600_NS6detail15normal_iteratorINS8_10device_ptrIxEEEESD_jNS1_19radix_merge_compareILb0ELb1ExNS0_19identity_decomposerEEEEE10hipError_tT0_T1_T2_jT3_P12ihipStream_tbPNSt15iterator_traitsISI_E10value_typeEPNSO_ISJ_E10value_typeEPSK_NS1_7vsmem_tEENKUlT_SI_SJ_SK_E_clISD_PxSD_S10_EESH_SX_SI_SJ_SK_EUlSX_E1_NS1_11comp_targetILNS1_3genE8ELNS1_11target_archE1030ELNS1_3gpuE2ELNS1_3repE0EEENS1_36merge_oddeven_config_static_selectorELNS0_4arch9wavefront6targetE1EEEvSJ_.has_indirect_call, 0
	.section	.AMDGPU.csdata,"",@progbits
; Kernel info:
; codeLenInByte = 0
; TotalNumSgprs: 6
; NumVgprs: 0
; NumAgprs: 0
; TotalNumVgprs: 0
; ScratchSize: 0
; MemoryBound: 0
; FloatMode: 240
; IeeeMode: 1
; LDSByteSize: 0 bytes/workgroup (compile time only)
; SGPRBlocks: 0
; VGPRBlocks: 0
; NumSGPRsForWavesPerEU: 6
; NumVGPRsForWavesPerEU: 1
; AccumOffset: 4
; Occupancy: 8
; WaveLimiterHint : 0
; COMPUTE_PGM_RSRC2:SCRATCH_EN: 0
; COMPUTE_PGM_RSRC2:USER_SGPR: 2
; COMPUTE_PGM_RSRC2:TRAP_HANDLER: 0
; COMPUTE_PGM_RSRC2:TGID_X_EN: 1
; COMPUTE_PGM_RSRC2:TGID_Y_EN: 0
; COMPUTE_PGM_RSRC2:TGID_Z_EN: 0
; COMPUTE_PGM_RSRC2:TIDIG_COMP_CNT: 0
; COMPUTE_PGM_RSRC3_GFX90A:ACCUM_OFFSET: 0
; COMPUTE_PGM_RSRC3_GFX90A:TG_SPLIT: 0
	.section	.text._ZN7rocprim17ROCPRIM_400000_NS6detail17trampoline_kernelINS0_14default_configENS1_35radix_sort_onesweep_config_selectorIxxEEZNS1_34radix_sort_onesweep_global_offsetsIS3_Lb0EN6thrust23THRUST_200600_302600_NS6detail15normal_iteratorINS8_10device_ptrIxEEEESD_jNS0_19identity_decomposerEEE10hipError_tT1_T2_PT3_SI_jT4_jjP12ihipStream_tbEUlT_E_NS1_11comp_targetILNS1_3genE0ELNS1_11target_archE4294967295ELNS1_3gpuE0ELNS1_3repE0EEENS1_52radix_sort_onesweep_histogram_config_static_selectorELNS0_4arch9wavefront6targetE1EEEvSG_,"axG",@progbits,_ZN7rocprim17ROCPRIM_400000_NS6detail17trampoline_kernelINS0_14default_configENS1_35radix_sort_onesweep_config_selectorIxxEEZNS1_34radix_sort_onesweep_global_offsetsIS3_Lb0EN6thrust23THRUST_200600_302600_NS6detail15normal_iteratorINS8_10device_ptrIxEEEESD_jNS0_19identity_decomposerEEE10hipError_tT1_T2_PT3_SI_jT4_jjP12ihipStream_tbEUlT_E_NS1_11comp_targetILNS1_3genE0ELNS1_11target_archE4294967295ELNS1_3gpuE0ELNS1_3repE0EEENS1_52radix_sort_onesweep_histogram_config_static_selectorELNS0_4arch9wavefront6targetE1EEEvSG_,comdat
	.protected	_ZN7rocprim17ROCPRIM_400000_NS6detail17trampoline_kernelINS0_14default_configENS1_35radix_sort_onesweep_config_selectorIxxEEZNS1_34radix_sort_onesweep_global_offsetsIS3_Lb0EN6thrust23THRUST_200600_302600_NS6detail15normal_iteratorINS8_10device_ptrIxEEEESD_jNS0_19identity_decomposerEEE10hipError_tT1_T2_PT3_SI_jT4_jjP12ihipStream_tbEUlT_E_NS1_11comp_targetILNS1_3genE0ELNS1_11target_archE4294967295ELNS1_3gpuE0ELNS1_3repE0EEENS1_52radix_sort_onesweep_histogram_config_static_selectorELNS0_4arch9wavefront6targetE1EEEvSG_ ; -- Begin function _ZN7rocprim17ROCPRIM_400000_NS6detail17trampoline_kernelINS0_14default_configENS1_35radix_sort_onesweep_config_selectorIxxEEZNS1_34radix_sort_onesweep_global_offsetsIS3_Lb0EN6thrust23THRUST_200600_302600_NS6detail15normal_iteratorINS8_10device_ptrIxEEEESD_jNS0_19identity_decomposerEEE10hipError_tT1_T2_PT3_SI_jT4_jjP12ihipStream_tbEUlT_E_NS1_11comp_targetILNS1_3genE0ELNS1_11target_archE4294967295ELNS1_3gpuE0ELNS1_3repE0EEENS1_52radix_sort_onesweep_histogram_config_static_selectorELNS0_4arch9wavefront6targetE1EEEvSG_
	.globl	_ZN7rocprim17ROCPRIM_400000_NS6detail17trampoline_kernelINS0_14default_configENS1_35radix_sort_onesweep_config_selectorIxxEEZNS1_34radix_sort_onesweep_global_offsetsIS3_Lb0EN6thrust23THRUST_200600_302600_NS6detail15normal_iteratorINS8_10device_ptrIxEEEESD_jNS0_19identity_decomposerEEE10hipError_tT1_T2_PT3_SI_jT4_jjP12ihipStream_tbEUlT_E_NS1_11comp_targetILNS1_3genE0ELNS1_11target_archE4294967295ELNS1_3gpuE0ELNS1_3repE0EEENS1_52radix_sort_onesweep_histogram_config_static_selectorELNS0_4arch9wavefront6targetE1EEEvSG_
	.p2align	8
	.type	_ZN7rocprim17ROCPRIM_400000_NS6detail17trampoline_kernelINS0_14default_configENS1_35radix_sort_onesweep_config_selectorIxxEEZNS1_34radix_sort_onesweep_global_offsetsIS3_Lb0EN6thrust23THRUST_200600_302600_NS6detail15normal_iteratorINS8_10device_ptrIxEEEESD_jNS0_19identity_decomposerEEE10hipError_tT1_T2_PT3_SI_jT4_jjP12ihipStream_tbEUlT_E_NS1_11comp_targetILNS1_3genE0ELNS1_11target_archE4294967295ELNS1_3gpuE0ELNS1_3repE0EEENS1_52radix_sort_onesweep_histogram_config_static_selectorELNS0_4arch9wavefront6targetE1EEEvSG_,@function
_ZN7rocprim17ROCPRIM_400000_NS6detail17trampoline_kernelINS0_14default_configENS1_35radix_sort_onesweep_config_selectorIxxEEZNS1_34radix_sort_onesweep_global_offsetsIS3_Lb0EN6thrust23THRUST_200600_302600_NS6detail15normal_iteratorINS8_10device_ptrIxEEEESD_jNS0_19identity_decomposerEEE10hipError_tT1_T2_PT3_SI_jT4_jjP12ihipStream_tbEUlT_E_NS1_11comp_targetILNS1_3genE0ELNS1_11target_archE4294967295ELNS1_3gpuE0ELNS1_3repE0EEENS1_52radix_sort_onesweep_histogram_config_static_selectorELNS0_4arch9wavefront6targetE1EEEvSG_: ; @_ZN7rocprim17ROCPRIM_400000_NS6detail17trampoline_kernelINS0_14default_configENS1_35radix_sort_onesweep_config_selectorIxxEEZNS1_34radix_sort_onesweep_global_offsetsIS3_Lb0EN6thrust23THRUST_200600_302600_NS6detail15normal_iteratorINS8_10device_ptrIxEEEESD_jNS0_19identity_decomposerEEE10hipError_tT1_T2_PT3_SI_jT4_jjP12ihipStream_tbEUlT_E_NS1_11comp_targetILNS1_3genE0ELNS1_11target_archE4294967295ELNS1_3gpuE0ELNS1_3repE0EEENS1_52radix_sort_onesweep_histogram_config_static_selectorELNS0_4arch9wavefront6targetE1EEEvSG_
; %bb.0:
	.section	.rodata,"a",@progbits
	.p2align	6, 0x0
	.amdhsa_kernel _ZN7rocprim17ROCPRIM_400000_NS6detail17trampoline_kernelINS0_14default_configENS1_35radix_sort_onesweep_config_selectorIxxEEZNS1_34radix_sort_onesweep_global_offsetsIS3_Lb0EN6thrust23THRUST_200600_302600_NS6detail15normal_iteratorINS8_10device_ptrIxEEEESD_jNS0_19identity_decomposerEEE10hipError_tT1_T2_PT3_SI_jT4_jjP12ihipStream_tbEUlT_E_NS1_11comp_targetILNS1_3genE0ELNS1_11target_archE4294967295ELNS1_3gpuE0ELNS1_3repE0EEENS1_52radix_sort_onesweep_histogram_config_static_selectorELNS0_4arch9wavefront6targetE1EEEvSG_
		.amdhsa_group_segment_fixed_size 0
		.amdhsa_private_segment_fixed_size 0
		.amdhsa_kernarg_size 40
		.amdhsa_user_sgpr_count 2
		.amdhsa_user_sgpr_dispatch_ptr 0
		.amdhsa_user_sgpr_queue_ptr 0
		.amdhsa_user_sgpr_kernarg_segment_ptr 1
		.amdhsa_user_sgpr_dispatch_id 0
		.amdhsa_user_sgpr_kernarg_preload_length 0
		.amdhsa_user_sgpr_kernarg_preload_offset 0
		.amdhsa_user_sgpr_private_segment_size 0
		.amdhsa_uses_dynamic_stack 0
		.amdhsa_enable_private_segment 0
		.amdhsa_system_sgpr_workgroup_id_x 1
		.amdhsa_system_sgpr_workgroup_id_y 0
		.amdhsa_system_sgpr_workgroup_id_z 0
		.amdhsa_system_sgpr_workgroup_info 0
		.amdhsa_system_vgpr_workitem_id 0
		.amdhsa_next_free_vgpr 1
		.amdhsa_next_free_sgpr 0
		.amdhsa_accum_offset 4
		.amdhsa_reserve_vcc 0
		.amdhsa_float_round_mode_32 0
		.amdhsa_float_round_mode_16_64 0
		.amdhsa_float_denorm_mode_32 3
		.amdhsa_float_denorm_mode_16_64 3
		.amdhsa_dx10_clamp 1
		.amdhsa_ieee_mode 1
		.amdhsa_fp16_overflow 0
		.amdhsa_tg_split 0
		.amdhsa_exception_fp_ieee_invalid_op 0
		.amdhsa_exception_fp_denorm_src 0
		.amdhsa_exception_fp_ieee_div_zero 0
		.amdhsa_exception_fp_ieee_overflow 0
		.amdhsa_exception_fp_ieee_underflow 0
		.amdhsa_exception_fp_ieee_inexact 0
		.amdhsa_exception_int_div_zero 0
	.end_amdhsa_kernel
	.section	.text._ZN7rocprim17ROCPRIM_400000_NS6detail17trampoline_kernelINS0_14default_configENS1_35radix_sort_onesweep_config_selectorIxxEEZNS1_34radix_sort_onesweep_global_offsetsIS3_Lb0EN6thrust23THRUST_200600_302600_NS6detail15normal_iteratorINS8_10device_ptrIxEEEESD_jNS0_19identity_decomposerEEE10hipError_tT1_T2_PT3_SI_jT4_jjP12ihipStream_tbEUlT_E_NS1_11comp_targetILNS1_3genE0ELNS1_11target_archE4294967295ELNS1_3gpuE0ELNS1_3repE0EEENS1_52radix_sort_onesweep_histogram_config_static_selectorELNS0_4arch9wavefront6targetE1EEEvSG_,"axG",@progbits,_ZN7rocprim17ROCPRIM_400000_NS6detail17trampoline_kernelINS0_14default_configENS1_35radix_sort_onesweep_config_selectorIxxEEZNS1_34radix_sort_onesweep_global_offsetsIS3_Lb0EN6thrust23THRUST_200600_302600_NS6detail15normal_iteratorINS8_10device_ptrIxEEEESD_jNS0_19identity_decomposerEEE10hipError_tT1_T2_PT3_SI_jT4_jjP12ihipStream_tbEUlT_E_NS1_11comp_targetILNS1_3genE0ELNS1_11target_archE4294967295ELNS1_3gpuE0ELNS1_3repE0EEENS1_52radix_sort_onesweep_histogram_config_static_selectorELNS0_4arch9wavefront6targetE1EEEvSG_,comdat
.Lfunc_end1170:
	.size	_ZN7rocprim17ROCPRIM_400000_NS6detail17trampoline_kernelINS0_14default_configENS1_35radix_sort_onesweep_config_selectorIxxEEZNS1_34radix_sort_onesweep_global_offsetsIS3_Lb0EN6thrust23THRUST_200600_302600_NS6detail15normal_iteratorINS8_10device_ptrIxEEEESD_jNS0_19identity_decomposerEEE10hipError_tT1_T2_PT3_SI_jT4_jjP12ihipStream_tbEUlT_E_NS1_11comp_targetILNS1_3genE0ELNS1_11target_archE4294967295ELNS1_3gpuE0ELNS1_3repE0EEENS1_52radix_sort_onesweep_histogram_config_static_selectorELNS0_4arch9wavefront6targetE1EEEvSG_, .Lfunc_end1170-_ZN7rocprim17ROCPRIM_400000_NS6detail17trampoline_kernelINS0_14default_configENS1_35radix_sort_onesweep_config_selectorIxxEEZNS1_34radix_sort_onesweep_global_offsetsIS3_Lb0EN6thrust23THRUST_200600_302600_NS6detail15normal_iteratorINS8_10device_ptrIxEEEESD_jNS0_19identity_decomposerEEE10hipError_tT1_T2_PT3_SI_jT4_jjP12ihipStream_tbEUlT_E_NS1_11comp_targetILNS1_3genE0ELNS1_11target_archE4294967295ELNS1_3gpuE0ELNS1_3repE0EEENS1_52radix_sort_onesweep_histogram_config_static_selectorELNS0_4arch9wavefront6targetE1EEEvSG_
                                        ; -- End function
	.set _ZN7rocprim17ROCPRIM_400000_NS6detail17trampoline_kernelINS0_14default_configENS1_35radix_sort_onesweep_config_selectorIxxEEZNS1_34radix_sort_onesweep_global_offsetsIS3_Lb0EN6thrust23THRUST_200600_302600_NS6detail15normal_iteratorINS8_10device_ptrIxEEEESD_jNS0_19identity_decomposerEEE10hipError_tT1_T2_PT3_SI_jT4_jjP12ihipStream_tbEUlT_E_NS1_11comp_targetILNS1_3genE0ELNS1_11target_archE4294967295ELNS1_3gpuE0ELNS1_3repE0EEENS1_52radix_sort_onesweep_histogram_config_static_selectorELNS0_4arch9wavefront6targetE1EEEvSG_.num_vgpr, 0
	.set _ZN7rocprim17ROCPRIM_400000_NS6detail17trampoline_kernelINS0_14default_configENS1_35radix_sort_onesweep_config_selectorIxxEEZNS1_34radix_sort_onesweep_global_offsetsIS3_Lb0EN6thrust23THRUST_200600_302600_NS6detail15normal_iteratorINS8_10device_ptrIxEEEESD_jNS0_19identity_decomposerEEE10hipError_tT1_T2_PT3_SI_jT4_jjP12ihipStream_tbEUlT_E_NS1_11comp_targetILNS1_3genE0ELNS1_11target_archE4294967295ELNS1_3gpuE0ELNS1_3repE0EEENS1_52radix_sort_onesweep_histogram_config_static_selectorELNS0_4arch9wavefront6targetE1EEEvSG_.num_agpr, 0
	.set _ZN7rocprim17ROCPRIM_400000_NS6detail17trampoline_kernelINS0_14default_configENS1_35radix_sort_onesweep_config_selectorIxxEEZNS1_34radix_sort_onesweep_global_offsetsIS3_Lb0EN6thrust23THRUST_200600_302600_NS6detail15normal_iteratorINS8_10device_ptrIxEEEESD_jNS0_19identity_decomposerEEE10hipError_tT1_T2_PT3_SI_jT4_jjP12ihipStream_tbEUlT_E_NS1_11comp_targetILNS1_3genE0ELNS1_11target_archE4294967295ELNS1_3gpuE0ELNS1_3repE0EEENS1_52radix_sort_onesweep_histogram_config_static_selectorELNS0_4arch9wavefront6targetE1EEEvSG_.numbered_sgpr, 0
	.set _ZN7rocprim17ROCPRIM_400000_NS6detail17trampoline_kernelINS0_14default_configENS1_35radix_sort_onesweep_config_selectorIxxEEZNS1_34radix_sort_onesweep_global_offsetsIS3_Lb0EN6thrust23THRUST_200600_302600_NS6detail15normal_iteratorINS8_10device_ptrIxEEEESD_jNS0_19identity_decomposerEEE10hipError_tT1_T2_PT3_SI_jT4_jjP12ihipStream_tbEUlT_E_NS1_11comp_targetILNS1_3genE0ELNS1_11target_archE4294967295ELNS1_3gpuE0ELNS1_3repE0EEENS1_52radix_sort_onesweep_histogram_config_static_selectorELNS0_4arch9wavefront6targetE1EEEvSG_.num_named_barrier, 0
	.set _ZN7rocprim17ROCPRIM_400000_NS6detail17trampoline_kernelINS0_14default_configENS1_35radix_sort_onesweep_config_selectorIxxEEZNS1_34radix_sort_onesweep_global_offsetsIS3_Lb0EN6thrust23THRUST_200600_302600_NS6detail15normal_iteratorINS8_10device_ptrIxEEEESD_jNS0_19identity_decomposerEEE10hipError_tT1_T2_PT3_SI_jT4_jjP12ihipStream_tbEUlT_E_NS1_11comp_targetILNS1_3genE0ELNS1_11target_archE4294967295ELNS1_3gpuE0ELNS1_3repE0EEENS1_52radix_sort_onesweep_histogram_config_static_selectorELNS0_4arch9wavefront6targetE1EEEvSG_.private_seg_size, 0
	.set _ZN7rocprim17ROCPRIM_400000_NS6detail17trampoline_kernelINS0_14default_configENS1_35radix_sort_onesweep_config_selectorIxxEEZNS1_34radix_sort_onesweep_global_offsetsIS3_Lb0EN6thrust23THRUST_200600_302600_NS6detail15normal_iteratorINS8_10device_ptrIxEEEESD_jNS0_19identity_decomposerEEE10hipError_tT1_T2_PT3_SI_jT4_jjP12ihipStream_tbEUlT_E_NS1_11comp_targetILNS1_3genE0ELNS1_11target_archE4294967295ELNS1_3gpuE0ELNS1_3repE0EEENS1_52radix_sort_onesweep_histogram_config_static_selectorELNS0_4arch9wavefront6targetE1EEEvSG_.uses_vcc, 0
	.set _ZN7rocprim17ROCPRIM_400000_NS6detail17trampoline_kernelINS0_14default_configENS1_35radix_sort_onesweep_config_selectorIxxEEZNS1_34radix_sort_onesweep_global_offsetsIS3_Lb0EN6thrust23THRUST_200600_302600_NS6detail15normal_iteratorINS8_10device_ptrIxEEEESD_jNS0_19identity_decomposerEEE10hipError_tT1_T2_PT3_SI_jT4_jjP12ihipStream_tbEUlT_E_NS1_11comp_targetILNS1_3genE0ELNS1_11target_archE4294967295ELNS1_3gpuE0ELNS1_3repE0EEENS1_52radix_sort_onesweep_histogram_config_static_selectorELNS0_4arch9wavefront6targetE1EEEvSG_.uses_flat_scratch, 0
	.set _ZN7rocprim17ROCPRIM_400000_NS6detail17trampoline_kernelINS0_14default_configENS1_35radix_sort_onesweep_config_selectorIxxEEZNS1_34radix_sort_onesweep_global_offsetsIS3_Lb0EN6thrust23THRUST_200600_302600_NS6detail15normal_iteratorINS8_10device_ptrIxEEEESD_jNS0_19identity_decomposerEEE10hipError_tT1_T2_PT3_SI_jT4_jjP12ihipStream_tbEUlT_E_NS1_11comp_targetILNS1_3genE0ELNS1_11target_archE4294967295ELNS1_3gpuE0ELNS1_3repE0EEENS1_52radix_sort_onesweep_histogram_config_static_selectorELNS0_4arch9wavefront6targetE1EEEvSG_.has_dyn_sized_stack, 0
	.set _ZN7rocprim17ROCPRIM_400000_NS6detail17trampoline_kernelINS0_14default_configENS1_35radix_sort_onesweep_config_selectorIxxEEZNS1_34radix_sort_onesweep_global_offsetsIS3_Lb0EN6thrust23THRUST_200600_302600_NS6detail15normal_iteratorINS8_10device_ptrIxEEEESD_jNS0_19identity_decomposerEEE10hipError_tT1_T2_PT3_SI_jT4_jjP12ihipStream_tbEUlT_E_NS1_11comp_targetILNS1_3genE0ELNS1_11target_archE4294967295ELNS1_3gpuE0ELNS1_3repE0EEENS1_52radix_sort_onesweep_histogram_config_static_selectorELNS0_4arch9wavefront6targetE1EEEvSG_.has_recursion, 0
	.set _ZN7rocprim17ROCPRIM_400000_NS6detail17trampoline_kernelINS0_14default_configENS1_35radix_sort_onesweep_config_selectorIxxEEZNS1_34radix_sort_onesweep_global_offsetsIS3_Lb0EN6thrust23THRUST_200600_302600_NS6detail15normal_iteratorINS8_10device_ptrIxEEEESD_jNS0_19identity_decomposerEEE10hipError_tT1_T2_PT3_SI_jT4_jjP12ihipStream_tbEUlT_E_NS1_11comp_targetILNS1_3genE0ELNS1_11target_archE4294967295ELNS1_3gpuE0ELNS1_3repE0EEENS1_52radix_sort_onesweep_histogram_config_static_selectorELNS0_4arch9wavefront6targetE1EEEvSG_.has_indirect_call, 0
	.section	.AMDGPU.csdata,"",@progbits
; Kernel info:
; codeLenInByte = 0
; TotalNumSgprs: 6
; NumVgprs: 0
; NumAgprs: 0
; TotalNumVgprs: 0
; ScratchSize: 0
; MemoryBound: 0
; FloatMode: 240
; IeeeMode: 1
; LDSByteSize: 0 bytes/workgroup (compile time only)
; SGPRBlocks: 0
; VGPRBlocks: 0
; NumSGPRsForWavesPerEU: 6
; NumVGPRsForWavesPerEU: 1
; AccumOffset: 4
; Occupancy: 8
; WaveLimiterHint : 0
; COMPUTE_PGM_RSRC2:SCRATCH_EN: 0
; COMPUTE_PGM_RSRC2:USER_SGPR: 2
; COMPUTE_PGM_RSRC2:TRAP_HANDLER: 0
; COMPUTE_PGM_RSRC2:TGID_X_EN: 1
; COMPUTE_PGM_RSRC2:TGID_Y_EN: 0
; COMPUTE_PGM_RSRC2:TGID_Z_EN: 0
; COMPUTE_PGM_RSRC2:TIDIG_COMP_CNT: 0
; COMPUTE_PGM_RSRC3_GFX90A:ACCUM_OFFSET: 0
; COMPUTE_PGM_RSRC3_GFX90A:TG_SPLIT: 0
	.section	.text._ZN7rocprim17ROCPRIM_400000_NS6detail17trampoline_kernelINS0_14default_configENS1_35radix_sort_onesweep_config_selectorIxxEEZNS1_34radix_sort_onesweep_global_offsetsIS3_Lb0EN6thrust23THRUST_200600_302600_NS6detail15normal_iteratorINS8_10device_ptrIxEEEESD_jNS0_19identity_decomposerEEE10hipError_tT1_T2_PT3_SI_jT4_jjP12ihipStream_tbEUlT_E_NS1_11comp_targetILNS1_3genE6ELNS1_11target_archE950ELNS1_3gpuE13ELNS1_3repE0EEENS1_52radix_sort_onesweep_histogram_config_static_selectorELNS0_4arch9wavefront6targetE1EEEvSG_,"axG",@progbits,_ZN7rocprim17ROCPRIM_400000_NS6detail17trampoline_kernelINS0_14default_configENS1_35radix_sort_onesweep_config_selectorIxxEEZNS1_34radix_sort_onesweep_global_offsetsIS3_Lb0EN6thrust23THRUST_200600_302600_NS6detail15normal_iteratorINS8_10device_ptrIxEEEESD_jNS0_19identity_decomposerEEE10hipError_tT1_T2_PT3_SI_jT4_jjP12ihipStream_tbEUlT_E_NS1_11comp_targetILNS1_3genE6ELNS1_11target_archE950ELNS1_3gpuE13ELNS1_3repE0EEENS1_52radix_sort_onesweep_histogram_config_static_selectorELNS0_4arch9wavefront6targetE1EEEvSG_,comdat
	.protected	_ZN7rocprim17ROCPRIM_400000_NS6detail17trampoline_kernelINS0_14default_configENS1_35radix_sort_onesweep_config_selectorIxxEEZNS1_34radix_sort_onesweep_global_offsetsIS3_Lb0EN6thrust23THRUST_200600_302600_NS6detail15normal_iteratorINS8_10device_ptrIxEEEESD_jNS0_19identity_decomposerEEE10hipError_tT1_T2_PT3_SI_jT4_jjP12ihipStream_tbEUlT_E_NS1_11comp_targetILNS1_3genE6ELNS1_11target_archE950ELNS1_3gpuE13ELNS1_3repE0EEENS1_52radix_sort_onesweep_histogram_config_static_selectorELNS0_4arch9wavefront6targetE1EEEvSG_ ; -- Begin function _ZN7rocprim17ROCPRIM_400000_NS6detail17trampoline_kernelINS0_14default_configENS1_35radix_sort_onesweep_config_selectorIxxEEZNS1_34radix_sort_onesweep_global_offsetsIS3_Lb0EN6thrust23THRUST_200600_302600_NS6detail15normal_iteratorINS8_10device_ptrIxEEEESD_jNS0_19identity_decomposerEEE10hipError_tT1_T2_PT3_SI_jT4_jjP12ihipStream_tbEUlT_E_NS1_11comp_targetILNS1_3genE6ELNS1_11target_archE950ELNS1_3gpuE13ELNS1_3repE0EEENS1_52radix_sort_onesweep_histogram_config_static_selectorELNS0_4arch9wavefront6targetE1EEEvSG_
	.globl	_ZN7rocprim17ROCPRIM_400000_NS6detail17trampoline_kernelINS0_14default_configENS1_35radix_sort_onesweep_config_selectorIxxEEZNS1_34radix_sort_onesweep_global_offsetsIS3_Lb0EN6thrust23THRUST_200600_302600_NS6detail15normal_iteratorINS8_10device_ptrIxEEEESD_jNS0_19identity_decomposerEEE10hipError_tT1_T2_PT3_SI_jT4_jjP12ihipStream_tbEUlT_E_NS1_11comp_targetILNS1_3genE6ELNS1_11target_archE950ELNS1_3gpuE13ELNS1_3repE0EEENS1_52radix_sort_onesweep_histogram_config_static_selectorELNS0_4arch9wavefront6targetE1EEEvSG_
	.p2align	8
	.type	_ZN7rocprim17ROCPRIM_400000_NS6detail17trampoline_kernelINS0_14default_configENS1_35radix_sort_onesweep_config_selectorIxxEEZNS1_34radix_sort_onesweep_global_offsetsIS3_Lb0EN6thrust23THRUST_200600_302600_NS6detail15normal_iteratorINS8_10device_ptrIxEEEESD_jNS0_19identity_decomposerEEE10hipError_tT1_T2_PT3_SI_jT4_jjP12ihipStream_tbEUlT_E_NS1_11comp_targetILNS1_3genE6ELNS1_11target_archE950ELNS1_3gpuE13ELNS1_3repE0EEENS1_52radix_sort_onesweep_histogram_config_static_selectorELNS0_4arch9wavefront6targetE1EEEvSG_,@function
_ZN7rocprim17ROCPRIM_400000_NS6detail17trampoline_kernelINS0_14default_configENS1_35radix_sort_onesweep_config_selectorIxxEEZNS1_34radix_sort_onesweep_global_offsetsIS3_Lb0EN6thrust23THRUST_200600_302600_NS6detail15normal_iteratorINS8_10device_ptrIxEEEESD_jNS0_19identity_decomposerEEE10hipError_tT1_T2_PT3_SI_jT4_jjP12ihipStream_tbEUlT_E_NS1_11comp_targetILNS1_3genE6ELNS1_11target_archE950ELNS1_3gpuE13ELNS1_3repE0EEENS1_52radix_sort_onesweep_histogram_config_static_selectorELNS0_4arch9wavefront6targetE1EEEvSG_: ; @_ZN7rocprim17ROCPRIM_400000_NS6detail17trampoline_kernelINS0_14default_configENS1_35radix_sort_onesweep_config_selectorIxxEEZNS1_34radix_sort_onesweep_global_offsetsIS3_Lb0EN6thrust23THRUST_200600_302600_NS6detail15normal_iteratorINS8_10device_ptrIxEEEESD_jNS0_19identity_decomposerEEE10hipError_tT1_T2_PT3_SI_jT4_jjP12ihipStream_tbEUlT_E_NS1_11comp_targetILNS1_3genE6ELNS1_11target_archE950ELNS1_3gpuE13ELNS1_3repE0EEENS1_52radix_sort_onesweep_histogram_config_static_selectorELNS0_4arch9wavefront6targetE1EEEvSG_
; %bb.0:
	s_load_dword s11, s[0:1], 0x14
	s_load_dwordx4 s[4:7], s[0:1], 0x0
	s_load_dwordx2 s[8:9], s[0:1], 0x1c
	s_lshl_b32 s10, s2, 13
	s_waitcnt lgkmcnt(0)
	s_cmp_ge_u32 s2, s11
	s_mov_b64 s[2:3], -1
	s_cbranch_scc0 .LBB1171_319
; %bb.1:
	s_load_dword s2, s[0:1], 0x10
	s_lshl_b32 s3, s11, 13
	s_mov_b32 s11, 0
	s_lshl_b64 s[0:1], s[10:11], 3
                                        ; implicit-def: $vgpr16_vgpr17
	s_waitcnt lgkmcnt(0)
	s_sub_i32 s11, s2, s3
	s_add_u32 s0, s4, s0
	s_addc_u32 s1, s5, s1
	v_cmp_gt_u32_e32 vcc, s11, v0
	s_and_saveexec_b64 s[2:3], vcc
	s_cbranch_execz .LBB1171_3
; %bb.2:
	v_lshlrev_b32_e32 v1, 3, v0
	global_load_dwordx2 v[16:17], v1, s[0:1]
	s_waitcnt vmcnt(0)
	v_xor_b32_e32 v17, 0x80000000, v17
.LBB1171_3:
	s_or_b64 exec, exec, s[2:3]
	v_or_b32_e32 v25, 0x400, v0
	v_cmp_gt_u32_e32 vcc, s11, v25
                                        ; implicit-def: $vgpr14_vgpr15
	s_and_saveexec_b64 s[2:3], vcc
	s_cbranch_execz .LBB1171_5
; %bb.4:
	v_lshlrev_b32_e32 v1, 3, v25
	global_load_dwordx2 v[14:15], v1, s[0:1]
	s_waitcnt vmcnt(0)
	v_xor_b32_e32 v15, 0x80000000, v15
.LBB1171_5:
	s_or_b64 exec, exec, s[2:3]
	v_or_b32_e32 v24, 0x800, v0
	v_cmp_gt_u32_e32 vcc, s11, v24
                                        ; implicit-def: $vgpr12_vgpr13
	s_and_saveexec_b64 s[2:3], vcc
	s_cbranch_execz .LBB1171_7
; %bb.6:
	v_lshlrev_b32_e32 v1, 3, v24
	global_load_dwordx2 v[12:13], v1, s[0:1]
	s_waitcnt vmcnt(0)
	v_xor_b32_e32 v13, 0x80000000, v13
.LBB1171_7:
	s_or_b64 exec, exec, s[2:3]
	v_or_b32_e32 v23, 0xc00, v0
	v_cmp_gt_u32_e32 vcc, s11, v23
                                        ; implicit-def: $vgpr10_vgpr11
	s_and_saveexec_b64 s[2:3], vcc
	s_cbranch_execz .LBB1171_9
; %bb.8:
	v_lshlrev_b32_e32 v1, 3, v23
	global_load_dwordx2 v[10:11], v1, s[0:1]
	s_waitcnt vmcnt(0)
	v_xor_b32_e32 v11, 0x80000000, v11
.LBB1171_9:
	s_or_b64 exec, exec, s[2:3]
	v_or_b32_e32 v22, 0x1000, v0
	v_cmp_gt_u32_e32 vcc, s11, v22
                                        ; implicit-def: $vgpr8_vgpr9
	s_and_saveexec_b64 s[2:3], vcc
	s_cbranch_execz .LBB1171_11
; %bb.10:
	v_lshlrev_b32_e32 v1, 3, v22
	global_load_dwordx2 v[8:9], v1, s[0:1]
	s_waitcnt vmcnt(0)
	v_xor_b32_e32 v9, 0x80000000, v9
.LBB1171_11:
	s_or_b64 exec, exec, s[2:3]
	v_or_b32_e32 v21, 0x1400, v0
	v_cmp_gt_u32_e32 vcc, s11, v21
                                        ; implicit-def: $vgpr6_vgpr7
	s_and_saveexec_b64 s[2:3], vcc
	s_cbranch_execz .LBB1171_13
; %bb.12:
	v_lshlrev_b32_e32 v1, 3, v21
	global_load_dwordx2 v[6:7], v1, s[0:1]
	s_waitcnt vmcnt(0)
	v_xor_b32_e32 v7, 0x80000000, v7
.LBB1171_13:
	s_or_b64 exec, exec, s[2:3]
	v_or_b32_e32 v20, 0x1800, v0
	v_cmp_gt_u32_e32 vcc, s11, v20
                                        ; implicit-def: $vgpr4_vgpr5
	s_and_saveexec_b64 s[2:3], vcc
	s_cbranch_execz .LBB1171_15
; %bb.14:
	v_lshlrev_b32_e32 v1, 3, v20
	global_load_dwordx2 v[4:5], v1, s[0:1]
	s_waitcnt vmcnt(0)
	v_xor_b32_e32 v5, 0x80000000, v5
.LBB1171_15:
	s_or_b64 exec, exec, s[2:3]
	v_or_b32_e32 v19, 0x1c00, v0
	v_cmp_gt_u32_e32 vcc, s11, v19
                                        ; implicit-def: $vgpr2_vgpr3
	s_and_saveexec_b64 s[2:3], vcc
	s_cbranch_execz .LBB1171_17
; %bb.16:
	v_lshlrev_b32_e32 v1, 3, v19
	global_load_dwordx2 v[2:3], v1, s[0:1]
	s_waitcnt vmcnt(0)
	v_xor_b32_e32 v3, 0x80000000, v3
.LBB1171_17:
	s_or_b64 exec, exec, s[2:3]
	s_cmp_le_u32 s9, s8
	s_cselect_b64 s[2:3], -1, 0
	s_and_b64 s[0:1], s[2:3], exec
	v_lshlrev_b32_e32 v1, 2, v0
	v_mov_b32_e32 v26, 0
	v_cmp_le_u32_e32 vcc, s11, v0
	s_cselect_b32 s18, 8, 10
	v_and_b32_e32 v18, 3, v0
	ds_write2st64_b32 v1, v26, v26 offset1:16
	ds_write2st64_b32 v1, v26, v26 offset0:32 offset1:48
	ds_write2st64_b32 v1, v26, v26 offset0:64 offset1:80
	;; [unrolled: 1-line block ×3, first 2 shown]
	s_nor_b64 s[12:13], s[2:3], vcc
	v_mov_b32_e32 v26, s18
	s_waitcnt lgkmcnt(0)
	s_barrier
	s_and_saveexec_b64 s[0:1], s[12:13]
	s_cbranch_execz .LBB1171_19
; %bb.18:
	s_sub_i32 s12, s9, s8
	s_min_u32 s12, s12, 8
	v_lshrrev_b64 v[26:27], s8, v[16:17]
	v_bfe_u32 v26, v26, 0, s12
	v_lshlrev_b32_e32 v27, 2, v18
	v_lshl_or_b32 v26, v26, 4, v27
	v_mov_b32_e32 v27, 1
	ds_add_u32 v26, v27
	v_mov_b32_e32 v26, 0
.LBB1171_19:
	s_or_b64 exec, exec, s[0:1]
	v_cmp_gt_i32_e64 s[0:1], 10, v26
	s_mov_b64 s[14:15], -1
	s_and_saveexec_b64 s[12:13], s[0:1]
; %bb.20:
	v_cmp_eq_u32_e64 s[0:1], 0, v26
	s_orn2_b64 s[14:15], s[0:1], exec
; %bb.21:
	s_or_b64 exec, exec, s[12:13]
	s_and_saveexec_b64 s[12:13], s[14:15]
	s_cbranch_execz .LBB1171_54
; %bb.22:
	s_add_i32 s14, s8, 8
	s_cmp_le_u32 s9, s14
	s_cselect_b64 s[0:1], -1, 0
	s_and_b64 s[16:17], s[0:1], exec
	s_cselect_b32 s15, 8, 10
	s_nor_b64 s[16:17], s[0:1], vcc
	v_mov_b32_e32 v26, s15
	s_and_saveexec_b64 s[0:1], s[16:17]
	s_cbranch_execz .LBB1171_24
; %bb.23:
	s_sub_i32 s15, s9, s14
	s_min_u32 s15, s15, 8
	v_lshrrev_b64 v[26:27], s14, v[16:17]
	v_bfe_u32 v26, v26, 0, s15
	v_lshlrev_b32_e32 v27, 2, v18
	v_lshl_or_b32 v26, v26, 4, v27
	v_mov_b32_e32 v27, 1
	ds_add_u32 v26, v27 offset:4096
	v_mov_b32_e32 v26, 0
.LBB1171_24:
	s_or_b64 exec, exec, s[0:1]
	v_cmp_gt_i32_e64 s[0:1], 10, v26
	s_mov_b64 s[14:15], -1
	s_and_saveexec_b64 s[16:17], s[0:1]
; %bb.25:
	v_cmp_eq_u32_e64 s[0:1], 0, v26
	s_orn2_b64 s[14:15], s[0:1], exec
; %bb.26:
	s_or_b64 exec, exec, s[16:17]
	s_and_b64 exec, exec, s[14:15]
	s_cbranch_execz .LBB1171_54
; %bb.27:
	s_add_i32 s14, s8, 16
	s_cmp_le_u32 s9, s14
	s_cselect_b64 s[0:1], -1, 0
	s_and_b64 s[16:17], s[0:1], exec
	s_cselect_b32 s15, 8, 10
	s_nor_b64 s[16:17], s[0:1], vcc
	v_mov_b32_e32 v26, s15
	s_and_saveexec_b64 s[0:1], s[16:17]
	s_cbranch_execz .LBB1171_29
; %bb.28:
	s_sub_i32 s15, s9, s14
	s_min_u32 s15, s15, 8
	v_lshrrev_b64 v[26:27], s14, v[16:17]
	v_bfe_u32 v26, v26, 0, s15
	v_lshlrev_b32_e32 v27, 2, v18
	v_lshl_or_b32 v26, v26, 4, v27
	v_mov_b32_e32 v27, 1
	ds_add_u32 v26, v27 offset:8192
	v_mov_b32_e32 v26, 0
.LBB1171_29:
	s_or_b64 exec, exec, s[0:1]
	v_cmp_gt_i32_e64 s[0:1], 10, v26
	s_mov_b64 s[14:15], -1
	s_and_saveexec_b64 s[16:17], s[0:1]
; %bb.30:
	v_cmp_eq_u32_e64 s[0:1], 0, v26
	s_orn2_b64 s[14:15], s[0:1], exec
; %bb.31:
	s_or_b64 exec, exec, s[16:17]
	s_and_b64 exec, exec, s[14:15]
	;; [unrolled: 32-line block ×6, first 2 shown]
	s_cbranch_execz .LBB1171_54
; %bb.52:
	s_add_i32 s0, s8, 56
	s_cmp_gt_u32 s9, s0
	s_cselect_b64 s[14:15], -1, 0
	s_xor_b64 s[16:17], vcc, -1
	s_and_b64 s[14:15], s[14:15], s[16:17]
	s_and_b64 exec, exec, s[14:15]
	s_cbranch_execz .LBB1171_54
; %bb.53:
	s_sub_i32 s1, s9, s0
	s_min_u32 s1, s1, 8
	v_lshrrev_b64 v[16:17], s0, v[16:17]
	v_bfe_u32 v16, v16, 0, s1
	v_lshlrev_b32_e32 v17, 2, v18
	v_lshl_or_b32 v16, v16, 4, v17
	v_mov_b32_e32 v17, 1
	ds_add_u32 v16, v17 offset:28672
.LBB1171_54:
	s_or_b64 exec, exec, s[12:13]
	v_cmp_le_u32_e32 vcc, s11, v25
	s_nor_b64 s[12:13], s[2:3], vcc
	v_mov_b32_e32 v16, s18
	s_and_saveexec_b64 s[0:1], s[12:13]
	s_cbranch_execz .LBB1171_56
; %bb.55:
	s_sub_i32 s12, s9, s8
	s_min_u32 s12, s12, 8
	v_lshrrev_b64 v[16:17], s8, v[14:15]
	v_bfe_u32 v16, v16, 0, s12
	v_lshlrev_b32_e32 v17, 2, v18
	v_lshl_or_b32 v16, v16, 4, v17
	v_mov_b32_e32 v17, 1
	ds_add_u32 v16, v17
	v_mov_b32_e32 v16, 0
.LBB1171_56:
	s_or_b64 exec, exec, s[0:1]
	v_cmp_gt_i32_e64 s[0:1], 10, v16
	s_mov_b64 s[14:15], -1
	s_and_saveexec_b64 s[12:13], s[0:1]
; %bb.57:
	v_cmp_eq_u32_e64 s[0:1], 0, v16
	s_orn2_b64 s[14:15], s[0:1], exec
; %bb.58:
	s_or_b64 exec, exec, s[12:13]
	s_and_saveexec_b64 s[12:13], s[14:15]
	s_cbranch_execz .LBB1171_91
; %bb.59:
	s_add_i32 s14, s8, 8
	s_cmp_le_u32 s9, s14
	s_cselect_b64 s[0:1], -1, 0
	s_and_b64 s[16:17], s[0:1], exec
	s_cselect_b32 s15, 8, 10
	s_nor_b64 s[16:17], s[0:1], vcc
	v_mov_b32_e32 v16, s15
	s_and_saveexec_b64 s[0:1], s[16:17]
	s_cbranch_execz .LBB1171_61
; %bb.60:
	s_sub_i32 s15, s9, s14
	s_min_u32 s15, s15, 8
	v_lshrrev_b64 v[16:17], s14, v[14:15]
	v_bfe_u32 v16, v16, 0, s15
	v_lshlrev_b32_e32 v17, 2, v18
	v_lshl_or_b32 v16, v16, 4, v17
	v_mov_b32_e32 v17, 1
	ds_add_u32 v16, v17 offset:4096
	v_mov_b32_e32 v16, 0
.LBB1171_61:
	s_or_b64 exec, exec, s[0:1]
	v_cmp_gt_i32_e64 s[0:1], 10, v16
	s_mov_b64 s[14:15], -1
	s_and_saveexec_b64 s[16:17], s[0:1]
; %bb.62:
	v_cmp_eq_u32_e64 s[0:1], 0, v16
	s_orn2_b64 s[14:15], s[0:1], exec
; %bb.63:
	s_or_b64 exec, exec, s[16:17]
	s_and_b64 exec, exec, s[14:15]
	s_cbranch_execz .LBB1171_91
; %bb.64:
	s_add_i32 s14, s8, 16
	s_cmp_le_u32 s9, s14
	s_cselect_b64 s[0:1], -1, 0
	s_and_b64 s[16:17], s[0:1], exec
	s_cselect_b32 s15, 8, 10
	s_nor_b64 s[16:17], s[0:1], vcc
	v_mov_b32_e32 v16, s15
	s_and_saveexec_b64 s[0:1], s[16:17]
	s_cbranch_execz .LBB1171_66
; %bb.65:
	s_sub_i32 s15, s9, s14
	s_min_u32 s15, s15, 8
	v_lshrrev_b64 v[16:17], s14, v[14:15]
	v_bfe_u32 v16, v16, 0, s15
	v_lshlrev_b32_e32 v17, 2, v18
	v_lshl_or_b32 v16, v16, 4, v17
	v_mov_b32_e32 v17, 1
	ds_add_u32 v16, v17 offset:8192
	v_mov_b32_e32 v16, 0
.LBB1171_66:
	s_or_b64 exec, exec, s[0:1]
	v_cmp_gt_i32_e64 s[0:1], 10, v16
	s_mov_b64 s[14:15], -1
	s_and_saveexec_b64 s[16:17], s[0:1]
; %bb.67:
	v_cmp_eq_u32_e64 s[0:1], 0, v16
	s_orn2_b64 s[14:15], s[0:1], exec
; %bb.68:
	s_or_b64 exec, exec, s[16:17]
	s_and_b64 exec, exec, s[14:15]
	;; [unrolled: 32-line block ×6, first 2 shown]
	s_cbranch_execz .LBB1171_91
; %bb.89:
	s_add_i32 s0, s8, 56
	s_cmp_gt_u32 s9, s0
	s_cselect_b64 s[14:15], -1, 0
	s_xor_b64 s[16:17], vcc, -1
	s_and_b64 s[14:15], s[14:15], s[16:17]
	s_and_b64 exec, exec, s[14:15]
	s_cbranch_execz .LBB1171_91
; %bb.90:
	s_sub_i32 s1, s9, s0
	s_min_u32 s1, s1, 8
	v_lshrrev_b64 v[14:15], s0, v[14:15]
	v_bfe_u32 v14, v14, 0, s1
	v_lshlrev_b32_e32 v15, 2, v18
	v_lshl_or_b32 v14, v14, 4, v15
	v_mov_b32_e32 v15, 1
	ds_add_u32 v14, v15 offset:28672
.LBB1171_91:
	s_or_b64 exec, exec, s[12:13]
	v_cmp_le_u32_e32 vcc, s11, v24
	s_nor_b64 s[12:13], s[2:3], vcc
	v_mov_b32_e32 v14, s18
	s_and_saveexec_b64 s[0:1], s[12:13]
	s_cbranch_execz .LBB1171_93
; %bb.92:
	s_sub_i32 s12, s9, s8
	s_min_u32 s12, s12, 8
	v_lshrrev_b64 v[14:15], s8, v[12:13]
	v_bfe_u32 v14, v14, 0, s12
	v_lshlrev_b32_e32 v15, 2, v18
	v_lshl_or_b32 v14, v14, 4, v15
	v_mov_b32_e32 v15, 1
	ds_add_u32 v14, v15
	v_mov_b32_e32 v14, 0
.LBB1171_93:
	s_or_b64 exec, exec, s[0:1]
	v_cmp_gt_i32_e64 s[0:1], 10, v14
	s_mov_b64 s[14:15], -1
	s_and_saveexec_b64 s[12:13], s[0:1]
; %bb.94:
	v_cmp_eq_u32_e64 s[0:1], 0, v14
	s_orn2_b64 s[14:15], s[0:1], exec
; %bb.95:
	s_or_b64 exec, exec, s[12:13]
	s_and_saveexec_b64 s[12:13], s[14:15]
	s_cbranch_execz .LBB1171_128
; %bb.96:
	s_add_i32 s14, s8, 8
	s_cmp_le_u32 s9, s14
	s_cselect_b64 s[0:1], -1, 0
	s_and_b64 s[16:17], s[0:1], exec
	s_cselect_b32 s15, 8, 10
	s_nor_b64 s[16:17], s[0:1], vcc
	v_mov_b32_e32 v14, s15
	s_and_saveexec_b64 s[0:1], s[16:17]
	s_cbranch_execz .LBB1171_98
; %bb.97:
	s_sub_i32 s15, s9, s14
	s_min_u32 s15, s15, 8
	v_lshrrev_b64 v[14:15], s14, v[12:13]
	v_bfe_u32 v14, v14, 0, s15
	v_lshlrev_b32_e32 v15, 2, v18
	v_lshl_or_b32 v14, v14, 4, v15
	v_mov_b32_e32 v15, 1
	ds_add_u32 v14, v15 offset:4096
	v_mov_b32_e32 v14, 0
.LBB1171_98:
	s_or_b64 exec, exec, s[0:1]
	v_cmp_gt_i32_e64 s[0:1], 10, v14
	s_mov_b64 s[14:15], -1
	s_and_saveexec_b64 s[16:17], s[0:1]
; %bb.99:
	v_cmp_eq_u32_e64 s[0:1], 0, v14
	s_orn2_b64 s[14:15], s[0:1], exec
; %bb.100:
	s_or_b64 exec, exec, s[16:17]
	s_and_b64 exec, exec, s[14:15]
	s_cbranch_execz .LBB1171_128
; %bb.101:
	s_add_i32 s14, s8, 16
	s_cmp_le_u32 s9, s14
	s_cselect_b64 s[0:1], -1, 0
	s_and_b64 s[16:17], s[0:1], exec
	s_cselect_b32 s15, 8, 10
	s_nor_b64 s[16:17], s[0:1], vcc
	v_mov_b32_e32 v14, s15
	s_and_saveexec_b64 s[0:1], s[16:17]
	s_cbranch_execz .LBB1171_103
; %bb.102:
	s_sub_i32 s15, s9, s14
	s_min_u32 s15, s15, 8
	v_lshrrev_b64 v[14:15], s14, v[12:13]
	v_bfe_u32 v14, v14, 0, s15
	v_lshlrev_b32_e32 v15, 2, v18
	v_lshl_or_b32 v14, v14, 4, v15
	v_mov_b32_e32 v15, 1
	ds_add_u32 v14, v15 offset:8192
	v_mov_b32_e32 v14, 0
.LBB1171_103:
	s_or_b64 exec, exec, s[0:1]
	v_cmp_gt_i32_e64 s[0:1], 10, v14
	s_mov_b64 s[14:15], -1
	s_and_saveexec_b64 s[16:17], s[0:1]
; %bb.104:
	v_cmp_eq_u32_e64 s[0:1], 0, v14
	s_orn2_b64 s[14:15], s[0:1], exec
; %bb.105:
	s_or_b64 exec, exec, s[16:17]
	s_and_b64 exec, exec, s[14:15]
	;; [unrolled: 32-line block ×6, first 2 shown]
	s_cbranch_execz .LBB1171_128
; %bb.126:
	s_add_i32 s0, s8, 56
	s_cmp_gt_u32 s9, s0
	s_cselect_b64 s[14:15], -1, 0
	s_xor_b64 s[16:17], vcc, -1
	s_and_b64 s[14:15], s[14:15], s[16:17]
	s_and_b64 exec, exec, s[14:15]
	s_cbranch_execz .LBB1171_128
; %bb.127:
	s_sub_i32 s1, s9, s0
	s_min_u32 s1, s1, 8
	v_lshrrev_b64 v[12:13], s0, v[12:13]
	v_bfe_u32 v12, v12, 0, s1
	v_lshlrev_b32_e32 v13, 2, v18
	v_lshl_or_b32 v12, v12, 4, v13
	v_mov_b32_e32 v13, 1
	ds_add_u32 v12, v13 offset:28672
.LBB1171_128:
	s_or_b64 exec, exec, s[12:13]
	v_cmp_le_u32_e32 vcc, s11, v23
	s_nor_b64 s[12:13], s[2:3], vcc
	v_mov_b32_e32 v12, s18
	s_and_saveexec_b64 s[0:1], s[12:13]
	s_cbranch_execz .LBB1171_130
; %bb.129:
	s_sub_i32 s12, s9, s8
	s_min_u32 s12, s12, 8
	v_lshrrev_b64 v[12:13], s8, v[10:11]
	v_bfe_u32 v12, v12, 0, s12
	v_lshlrev_b32_e32 v13, 2, v18
	v_lshl_or_b32 v12, v12, 4, v13
	v_mov_b32_e32 v13, 1
	ds_add_u32 v12, v13
	v_mov_b32_e32 v12, 0
.LBB1171_130:
	s_or_b64 exec, exec, s[0:1]
	v_cmp_gt_i32_e64 s[0:1], 10, v12
	s_mov_b64 s[14:15], -1
	s_and_saveexec_b64 s[12:13], s[0:1]
; %bb.131:
	v_cmp_eq_u32_e64 s[0:1], 0, v12
	s_orn2_b64 s[14:15], s[0:1], exec
; %bb.132:
	s_or_b64 exec, exec, s[12:13]
	s_and_saveexec_b64 s[12:13], s[14:15]
	s_cbranch_execz .LBB1171_165
; %bb.133:
	s_add_i32 s14, s8, 8
	s_cmp_le_u32 s9, s14
	s_cselect_b64 s[0:1], -1, 0
	s_and_b64 s[16:17], s[0:1], exec
	s_cselect_b32 s15, 8, 10
	s_nor_b64 s[16:17], s[0:1], vcc
	v_mov_b32_e32 v12, s15
	s_and_saveexec_b64 s[0:1], s[16:17]
	s_cbranch_execz .LBB1171_135
; %bb.134:
	s_sub_i32 s15, s9, s14
	s_min_u32 s15, s15, 8
	v_lshrrev_b64 v[12:13], s14, v[10:11]
	v_bfe_u32 v12, v12, 0, s15
	v_lshlrev_b32_e32 v13, 2, v18
	v_lshl_or_b32 v12, v12, 4, v13
	v_mov_b32_e32 v13, 1
	ds_add_u32 v12, v13 offset:4096
	v_mov_b32_e32 v12, 0
.LBB1171_135:
	s_or_b64 exec, exec, s[0:1]
	v_cmp_gt_i32_e64 s[0:1], 10, v12
	s_mov_b64 s[14:15], -1
	s_and_saveexec_b64 s[16:17], s[0:1]
; %bb.136:
	v_cmp_eq_u32_e64 s[0:1], 0, v12
	s_orn2_b64 s[14:15], s[0:1], exec
; %bb.137:
	s_or_b64 exec, exec, s[16:17]
	s_and_b64 exec, exec, s[14:15]
	s_cbranch_execz .LBB1171_165
; %bb.138:
	s_add_i32 s14, s8, 16
	s_cmp_le_u32 s9, s14
	s_cselect_b64 s[0:1], -1, 0
	s_and_b64 s[16:17], s[0:1], exec
	s_cselect_b32 s15, 8, 10
	s_nor_b64 s[16:17], s[0:1], vcc
	v_mov_b32_e32 v12, s15
	s_and_saveexec_b64 s[0:1], s[16:17]
	s_cbranch_execz .LBB1171_140
; %bb.139:
	s_sub_i32 s15, s9, s14
	s_min_u32 s15, s15, 8
	v_lshrrev_b64 v[12:13], s14, v[10:11]
	v_bfe_u32 v12, v12, 0, s15
	v_lshlrev_b32_e32 v13, 2, v18
	v_lshl_or_b32 v12, v12, 4, v13
	v_mov_b32_e32 v13, 1
	ds_add_u32 v12, v13 offset:8192
	v_mov_b32_e32 v12, 0
.LBB1171_140:
	s_or_b64 exec, exec, s[0:1]
	v_cmp_gt_i32_e64 s[0:1], 10, v12
	s_mov_b64 s[14:15], -1
	s_and_saveexec_b64 s[16:17], s[0:1]
; %bb.141:
	v_cmp_eq_u32_e64 s[0:1], 0, v12
	s_orn2_b64 s[14:15], s[0:1], exec
; %bb.142:
	s_or_b64 exec, exec, s[16:17]
	s_and_b64 exec, exec, s[14:15]
	;; [unrolled: 32-line block ×6, first 2 shown]
	s_cbranch_execz .LBB1171_165
; %bb.163:
	s_add_i32 s0, s8, 56
	s_cmp_gt_u32 s9, s0
	s_cselect_b64 s[14:15], -1, 0
	s_xor_b64 s[16:17], vcc, -1
	s_and_b64 s[14:15], s[14:15], s[16:17]
	s_and_b64 exec, exec, s[14:15]
	s_cbranch_execz .LBB1171_165
; %bb.164:
	s_sub_i32 s1, s9, s0
	s_min_u32 s1, s1, 8
	v_lshrrev_b64 v[10:11], s0, v[10:11]
	v_bfe_u32 v10, v10, 0, s1
	v_lshlrev_b32_e32 v11, 2, v18
	v_lshl_or_b32 v10, v10, 4, v11
	v_mov_b32_e32 v11, 1
	ds_add_u32 v10, v11 offset:28672
.LBB1171_165:
	s_or_b64 exec, exec, s[12:13]
	v_cmp_le_u32_e32 vcc, s11, v22
	s_nor_b64 s[12:13], s[2:3], vcc
	v_mov_b32_e32 v10, s18
	s_and_saveexec_b64 s[0:1], s[12:13]
	s_cbranch_execz .LBB1171_167
; %bb.166:
	s_sub_i32 s12, s9, s8
	s_min_u32 s12, s12, 8
	v_lshrrev_b64 v[10:11], s8, v[8:9]
	v_bfe_u32 v10, v10, 0, s12
	v_lshlrev_b32_e32 v11, 2, v18
	v_lshl_or_b32 v10, v10, 4, v11
	v_mov_b32_e32 v11, 1
	ds_add_u32 v10, v11
	v_mov_b32_e32 v10, 0
.LBB1171_167:
	s_or_b64 exec, exec, s[0:1]
	v_cmp_gt_i32_e64 s[0:1], 10, v10
	s_mov_b64 s[14:15], -1
	s_and_saveexec_b64 s[12:13], s[0:1]
; %bb.168:
	v_cmp_eq_u32_e64 s[0:1], 0, v10
	s_orn2_b64 s[14:15], s[0:1], exec
; %bb.169:
	s_or_b64 exec, exec, s[12:13]
	s_and_saveexec_b64 s[12:13], s[14:15]
	s_cbranch_execz .LBB1171_202
; %bb.170:
	s_add_i32 s14, s8, 8
	s_cmp_le_u32 s9, s14
	s_cselect_b64 s[0:1], -1, 0
	s_and_b64 s[16:17], s[0:1], exec
	s_cselect_b32 s15, 8, 10
	s_nor_b64 s[16:17], s[0:1], vcc
	v_mov_b32_e32 v10, s15
	s_and_saveexec_b64 s[0:1], s[16:17]
	s_cbranch_execz .LBB1171_172
; %bb.171:
	s_sub_i32 s15, s9, s14
	s_min_u32 s15, s15, 8
	v_lshrrev_b64 v[10:11], s14, v[8:9]
	v_bfe_u32 v10, v10, 0, s15
	v_lshlrev_b32_e32 v11, 2, v18
	v_lshl_or_b32 v10, v10, 4, v11
	v_mov_b32_e32 v11, 1
	ds_add_u32 v10, v11 offset:4096
	v_mov_b32_e32 v10, 0
.LBB1171_172:
	s_or_b64 exec, exec, s[0:1]
	v_cmp_gt_i32_e64 s[0:1], 10, v10
	s_mov_b64 s[14:15], -1
	s_and_saveexec_b64 s[16:17], s[0:1]
; %bb.173:
	v_cmp_eq_u32_e64 s[0:1], 0, v10
	s_orn2_b64 s[14:15], s[0:1], exec
; %bb.174:
	s_or_b64 exec, exec, s[16:17]
	s_and_b64 exec, exec, s[14:15]
	s_cbranch_execz .LBB1171_202
; %bb.175:
	s_add_i32 s14, s8, 16
	s_cmp_le_u32 s9, s14
	s_cselect_b64 s[0:1], -1, 0
	s_and_b64 s[16:17], s[0:1], exec
	s_cselect_b32 s15, 8, 10
	s_nor_b64 s[16:17], s[0:1], vcc
	v_mov_b32_e32 v10, s15
	s_and_saveexec_b64 s[0:1], s[16:17]
	s_cbranch_execz .LBB1171_177
; %bb.176:
	s_sub_i32 s15, s9, s14
	s_min_u32 s15, s15, 8
	v_lshrrev_b64 v[10:11], s14, v[8:9]
	v_bfe_u32 v10, v10, 0, s15
	v_lshlrev_b32_e32 v11, 2, v18
	v_lshl_or_b32 v10, v10, 4, v11
	v_mov_b32_e32 v11, 1
	ds_add_u32 v10, v11 offset:8192
	v_mov_b32_e32 v10, 0
.LBB1171_177:
	s_or_b64 exec, exec, s[0:1]
	v_cmp_gt_i32_e64 s[0:1], 10, v10
	s_mov_b64 s[14:15], -1
	s_and_saveexec_b64 s[16:17], s[0:1]
; %bb.178:
	v_cmp_eq_u32_e64 s[0:1], 0, v10
	s_orn2_b64 s[14:15], s[0:1], exec
; %bb.179:
	s_or_b64 exec, exec, s[16:17]
	s_and_b64 exec, exec, s[14:15]
	;; [unrolled: 32-line block ×6, first 2 shown]
	s_cbranch_execz .LBB1171_202
; %bb.200:
	s_add_i32 s0, s8, 56
	s_cmp_gt_u32 s9, s0
	s_cselect_b64 s[14:15], -1, 0
	s_xor_b64 s[16:17], vcc, -1
	s_and_b64 s[14:15], s[14:15], s[16:17]
	s_and_b64 exec, exec, s[14:15]
	s_cbranch_execz .LBB1171_202
; %bb.201:
	s_sub_i32 s1, s9, s0
	s_min_u32 s1, s1, 8
	v_lshrrev_b64 v[8:9], s0, v[8:9]
	v_bfe_u32 v8, v8, 0, s1
	v_lshlrev_b32_e32 v9, 2, v18
	v_lshl_or_b32 v8, v8, 4, v9
	v_mov_b32_e32 v9, 1
	ds_add_u32 v8, v9 offset:28672
.LBB1171_202:
	s_or_b64 exec, exec, s[12:13]
	v_cmp_le_u32_e32 vcc, s11, v21
	s_nor_b64 s[12:13], s[2:3], vcc
	v_mov_b32_e32 v8, s18
	s_and_saveexec_b64 s[0:1], s[12:13]
	s_cbranch_execz .LBB1171_204
; %bb.203:
	s_sub_i32 s12, s9, s8
	s_min_u32 s12, s12, 8
	v_lshrrev_b64 v[8:9], s8, v[6:7]
	v_bfe_u32 v8, v8, 0, s12
	v_lshlrev_b32_e32 v9, 2, v18
	v_lshl_or_b32 v8, v8, 4, v9
	v_mov_b32_e32 v9, 1
	ds_add_u32 v8, v9
	v_mov_b32_e32 v8, 0
.LBB1171_204:
	s_or_b64 exec, exec, s[0:1]
	v_cmp_gt_i32_e64 s[0:1], 10, v8
	s_mov_b64 s[14:15], -1
	s_and_saveexec_b64 s[12:13], s[0:1]
; %bb.205:
	v_cmp_eq_u32_e64 s[0:1], 0, v8
	s_orn2_b64 s[14:15], s[0:1], exec
; %bb.206:
	s_or_b64 exec, exec, s[12:13]
	s_and_saveexec_b64 s[12:13], s[14:15]
	s_cbranch_execz .LBB1171_239
; %bb.207:
	s_add_i32 s14, s8, 8
	s_cmp_le_u32 s9, s14
	s_cselect_b64 s[0:1], -1, 0
	s_and_b64 s[16:17], s[0:1], exec
	s_cselect_b32 s15, 8, 10
	s_nor_b64 s[16:17], s[0:1], vcc
	v_mov_b32_e32 v8, s15
	s_and_saveexec_b64 s[0:1], s[16:17]
	s_cbranch_execz .LBB1171_209
; %bb.208:
	s_sub_i32 s15, s9, s14
	s_min_u32 s15, s15, 8
	v_lshrrev_b64 v[8:9], s14, v[6:7]
	v_bfe_u32 v8, v8, 0, s15
	v_lshlrev_b32_e32 v9, 2, v18
	v_lshl_or_b32 v8, v8, 4, v9
	v_mov_b32_e32 v9, 1
	ds_add_u32 v8, v9 offset:4096
	v_mov_b32_e32 v8, 0
.LBB1171_209:
	s_or_b64 exec, exec, s[0:1]
	v_cmp_gt_i32_e64 s[0:1], 10, v8
	s_mov_b64 s[14:15], -1
	s_and_saveexec_b64 s[16:17], s[0:1]
; %bb.210:
	v_cmp_eq_u32_e64 s[0:1], 0, v8
	s_orn2_b64 s[14:15], s[0:1], exec
; %bb.211:
	s_or_b64 exec, exec, s[16:17]
	s_and_b64 exec, exec, s[14:15]
	s_cbranch_execz .LBB1171_239
; %bb.212:
	s_add_i32 s14, s8, 16
	s_cmp_le_u32 s9, s14
	s_cselect_b64 s[0:1], -1, 0
	s_and_b64 s[16:17], s[0:1], exec
	s_cselect_b32 s15, 8, 10
	s_nor_b64 s[16:17], s[0:1], vcc
	v_mov_b32_e32 v8, s15
	s_and_saveexec_b64 s[0:1], s[16:17]
	s_cbranch_execz .LBB1171_214
; %bb.213:
	s_sub_i32 s15, s9, s14
	s_min_u32 s15, s15, 8
	v_lshrrev_b64 v[8:9], s14, v[6:7]
	v_bfe_u32 v8, v8, 0, s15
	v_lshlrev_b32_e32 v9, 2, v18
	v_lshl_or_b32 v8, v8, 4, v9
	v_mov_b32_e32 v9, 1
	ds_add_u32 v8, v9 offset:8192
	v_mov_b32_e32 v8, 0
.LBB1171_214:
	s_or_b64 exec, exec, s[0:1]
	v_cmp_gt_i32_e64 s[0:1], 10, v8
	s_mov_b64 s[14:15], -1
	s_and_saveexec_b64 s[16:17], s[0:1]
; %bb.215:
	v_cmp_eq_u32_e64 s[0:1], 0, v8
	s_orn2_b64 s[14:15], s[0:1], exec
; %bb.216:
	s_or_b64 exec, exec, s[16:17]
	s_and_b64 exec, exec, s[14:15]
	;; [unrolled: 32-line block ×6, first 2 shown]
	s_cbranch_execz .LBB1171_239
; %bb.237:
	s_add_i32 s0, s8, 56
	s_cmp_gt_u32 s9, s0
	s_cselect_b64 s[14:15], -1, 0
	s_xor_b64 s[16:17], vcc, -1
	s_and_b64 s[14:15], s[14:15], s[16:17]
	s_and_b64 exec, exec, s[14:15]
	s_cbranch_execz .LBB1171_239
; %bb.238:
	s_sub_i32 s1, s9, s0
	s_min_u32 s1, s1, 8
	v_lshrrev_b64 v[6:7], s0, v[6:7]
	v_bfe_u32 v6, v6, 0, s1
	v_lshlrev_b32_e32 v7, 2, v18
	v_lshl_or_b32 v6, v6, 4, v7
	v_mov_b32_e32 v7, 1
	ds_add_u32 v6, v7 offset:28672
.LBB1171_239:
	s_or_b64 exec, exec, s[12:13]
	v_cmp_le_u32_e32 vcc, s11, v20
	s_nor_b64 s[12:13], s[2:3], vcc
	v_mov_b32_e32 v6, s18
	s_and_saveexec_b64 s[0:1], s[12:13]
	s_cbranch_execz .LBB1171_241
; %bb.240:
	s_sub_i32 s12, s9, s8
	s_min_u32 s12, s12, 8
	v_lshrrev_b64 v[6:7], s8, v[4:5]
	v_bfe_u32 v6, v6, 0, s12
	v_lshlrev_b32_e32 v7, 2, v18
	v_lshl_or_b32 v6, v6, 4, v7
	v_mov_b32_e32 v7, 1
	ds_add_u32 v6, v7
	v_mov_b32_e32 v6, 0
.LBB1171_241:
	s_or_b64 exec, exec, s[0:1]
	v_cmp_gt_i32_e64 s[0:1], 10, v6
	s_mov_b64 s[14:15], -1
	s_and_saveexec_b64 s[12:13], s[0:1]
; %bb.242:
	v_cmp_eq_u32_e64 s[0:1], 0, v6
	s_orn2_b64 s[14:15], s[0:1], exec
; %bb.243:
	s_or_b64 exec, exec, s[12:13]
	s_and_saveexec_b64 s[12:13], s[14:15]
	s_cbranch_execz .LBB1171_276
; %bb.244:
	s_add_i32 s14, s8, 8
	s_cmp_le_u32 s9, s14
	s_cselect_b64 s[0:1], -1, 0
	s_and_b64 s[16:17], s[0:1], exec
	s_cselect_b32 s15, 8, 10
	s_nor_b64 s[16:17], s[0:1], vcc
	v_mov_b32_e32 v6, s15
	s_and_saveexec_b64 s[0:1], s[16:17]
	s_cbranch_execz .LBB1171_246
; %bb.245:
	s_sub_i32 s15, s9, s14
	s_min_u32 s15, s15, 8
	v_lshrrev_b64 v[6:7], s14, v[4:5]
	v_bfe_u32 v6, v6, 0, s15
	v_lshlrev_b32_e32 v7, 2, v18
	v_lshl_or_b32 v6, v6, 4, v7
	v_mov_b32_e32 v7, 1
	ds_add_u32 v6, v7 offset:4096
	v_mov_b32_e32 v6, 0
.LBB1171_246:
	s_or_b64 exec, exec, s[0:1]
	v_cmp_gt_i32_e64 s[0:1], 10, v6
	s_mov_b64 s[14:15], -1
	s_and_saveexec_b64 s[16:17], s[0:1]
; %bb.247:
	v_cmp_eq_u32_e64 s[0:1], 0, v6
	s_orn2_b64 s[14:15], s[0:1], exec
; %bb.248:
	s_or_b64 exec, exec, s[16:17]
	s_and_b64 exec, exec, s[14:15]
	s_cbranch_execz .LBB1171_276
; %bb.249:
	s_add_i32 s14, s8, 16
	s_cmp_le_u32 s9, s14
	s_cselect_b64 s[0:1], -1, 0
	s_and_b64 s[16:17], s[0:1], exec
	s_cselect_b32 s15, 8, 10
	s_nor_b64 s[16:17], s[0:1], vcc
	v_mov_b32_e32 v6, s15
	s_and_saveexec_b64 s[0:1], s[16:17]
	s_cbranch_execz .LBB1171_251
; %bb.250:
	s_sub_i32 s15, s9, s14
	s_min_u32 s15, s15, 8
	v_lshrrev_b64 v[6:7], s14, v[4:5]
	v_bfe_u32 v6, v6, 0, s15
	v_lshlrev_b32_e32 v7, 2, v18
	v_lshl_or_b32 v6, v6, 4, v7
	v_mov_b32_e32 v7, 1
	ds_add_u32 v6, v7 offset:8192
	v_mov_b32_e32 v6, 0
.LBB1171_251:
	s_or_b64 exec, exec, s[0:1]
	v_cmp_gt_i32_e64 s[0:1], 10, v6
	s_mov_b64 s[14:15], -1
	s_and_saveexec_b64 s[16:17], s[0:1]
; %bb.252:
	v_cmp_eq_u32_e64 s[0:1], 0, v6
	s_orn2_b64 s[14:15], s[0:1], exec
; %bb.253:
	s_or_b64 exec, exec, s[16:17]
	s_and_b64 exec, exec, s[14:15]
	;; [unrolled: 32-line block ×6, first 2 shown]
	s_cbranch_execz .LBB1171_276
; %bb.274:
	s_add_i32 s0, s8, 56
	s_cmp_gt_u32 s9, s0
	s_cselect_b64 s[14:15], -1, 0
	s_xor_b64 s[16:17], vcc, -1
	s_and_b64 s[14:15], s[14:15], s[16:17]
	s_and_b64 exec, exec, s[14:15]
	s_cbranch_execz .LBB1171_276
; %bb.275:
	s_sub_i32 s1, s9, s0
	s_min_u32 s1, s1, 8
	v_lshrrev_b64 v[4:5], s0, v[4:5]
	v_bfe_u32 v4, v4, 0, s1
	v_lshlrev_b32_e32 v5, 2, v18
	v_lshl_or_b32 v4, v4, 4, v5
	v_mov_b32_e32 v5, 1
	ds_add_u32 v4, v5 offset:28672
.LBB1171_276:
	s_or_b64 exec, exec, s[12:13]
	v_cmp_le_u32_e32 vcc, s11, v19
	s_nor_b64 s[2:3], s[2:3], vcc
	v_mov_b32_e32 v4, s18
	s_and_saveexec_b64 s[0:1], s[2:3]
	s_cbranch_execz .LBB1171_278
; %bb.277:
	s_sub_i32 s2, s9, s8
	s_min_u32 s2, s2, 8
	v_lshrrev_b64 v[4:5], s8, v[2:3]
	v_bfe_u32 v4, v4, 0, s2
	v_lshlrev_b32_e32 v5, 2, v18
	v_lshl_or_b32 v4, v4, 4, v5
	v_mov_b32_e32 v5, 1
	ds_add_u32 v4, v5
	v_mov_b32_e32 v4, 0
.LBB1171_278:
	s_or_b64 exec, exec, s[0:1]
	v_cmp_gt_i32_e64 s[0:1], 10, v4
	s_mov_b64 s[12:13], -1
	s_and_saveexec_b64 s[2:3], s[0:1]
; %bb.279:
	v_cmp_eq_u32_e64 s[0:1], 0, v4
	s_orn2_b64 s[12:13], s[0:1], exec
; %bb.280:
	s_or_b64 exec, exec, s[2:3]
	s_and_saveexec_b64 s[2:3], s[12:13]
	s_cbranch_execz .LBB1171_313
; %bb.281:
	s_add_i32 s11, s8, 8
	s_cmp_le_u32 s9, s11
	s_cselect_b64 s[0:1], -1, 0
	s_and_b64 s[12:13], s[0:1], exec
	s_cselect_b32 s14, 8, 10
	s_nor_b64 s[12:13], s[0:1], vcc
	v_mov_b32_e32 v4, s14
	s_and_saveexec_b64 s[0:1], s[12:13]
	s_cbranch_execz .LBB1171_283
; %bb.282:
	s_sub_i32 s12, s9, s11
	s_min_u32 s12, s12, 8
	v_lshrrev_b64 v[4:5], s11, v[2:3]
	v_bfe_u32 v4, v4, 0, s12
	v_lshlrev_b32_e32 v5, 2, v18
	v_lshl_or_b32 v4, v4, 4, v5
	v_mov_b32_e32 v5, 1
	ds_add_u32 v4, v5 offset:4096
	v_mov_b32_e32 v4, 0
.LBB1171_283:
	s_or_b64 exec, exec, s[0:1]
	v_cmp_gt_i32_e64 s[0:1], 10, v4
	s_mov_b64 s[12:13], -1
	s_and_saveexec_b64 s[14:15], s[0:1]
; %bb.284:
	v_cmp_eq_u32_e64 s[0:1], 0, v4
	s_orn2_b64 s[12:13], s[0:1], exec
; %bb.285:
	s_or_b64 exec, exec, s[14:15]
	s_and_b64 exec, exec, s[12:13]
	s_cbranch_execz .LBB1171_313
; %bb.286:
	s_add_i32 s11, s8, 16
	s_cmp_le_u32 s9, s11
	s_cselect_b64 s[0:1], -1, 0
	s_and_b64 s[12:13], s[0:1], exec
	s_cselect_b32 s14, 8, 10
	s_nor_b64 s[12:13], s[0:1], vcc
	v_mov_b32_e32 v4, s14
	s_and_saveexec_b64 s[0:1], s[12:13]
	s_cbranch_execz .LBB1171_288
; %bb.287:
	s_sub_i32 s12, s9, s11
	s_min_u32 s12, s12, 8
	v_lshrrev_b64 v[4:5], s11, v[2:3]
	v_bfe_u32 v4, v4, 0, s12
	v_lshlrev_b32_e32 v5, 2, v18
	v_lshl_or_b32 v4, v4, 4, v5
	v_mov_b32_e32 v5, 1
	ds_add_u32 v4, v5 offset:8192
	v_mov_b32_e32 v4, 0
.LBB1171_288:
	s_or_b64 exec, exec, s[0:1]
	v_cmp_gt_i32_e64 s[0:1], 10, v4
	s_mov_b64 s[12:13], -1
	s_and_saveexec_b64 s[14:15], s[0:1]
; %bb.289:
	v_cmp_eq_u32_e64 s[0:1], 0, v4
	s_orn2_b64 s[12:13], s[0:1], exec
; %bb.290:
	s_or_b64 exec, exec, s[14:15]
	s_and_b64 exec, exec, s[12:13]
	;; [unrolled: 32-line block ×6, first 2 shown]
	s_cbranch_execz .LBB1171_313
; %bb.311:
	s_add_i32 s0, s8, 56
	s_cmp_gt_u32 s9, s0
	s_cselect_b64 s[12:13], -1, 0
	s_xor_b64 s[14:15], vcc, -1
	s_and_b64 s[12:13], s[12:13], s[14:15]
	s_and_b64 exec, exec, s[12:13]
	s_cbranch_execz .LBB1171_313
; %bb.312:
	s_sub_i32 s1, s9, s0
	s_min_u32 s1, s1, 8
	v_lshrrev_b64 v[2:3], s0, v[2:3]
	v_bfe_u32 v2, v2, 0, s1
	v_lshlrev_b32_e32 v3, 2, v18
	v_lshl_or_b32 v2, v2, 4, v3
	v_mov_b32_e32 v3, 1
	ds_add_u32 v2, v3 offset:28672
.LBB1171_313:
	s_or_b64 exec, exec, s[2:3]
	s_cmp_gt_u32 s9, s8
	s_waitcnt lgkmcnt(0)
	s_barrier
	s_cbranch_scc0 .LBB1171_318
; %bb.314:
	s_movk_i32 s0, 0x100
	v_cmp_gt_u32_e32 vcc, s0, v0
	v_mad_u32_u24 v1, v0, 12, v1
	v_mov_b32_e32 v3, 0
	v_mov_b32_e32 v2, v0
	s_mov_b32 s2, s8
	s_branch .LBB1171_316
.LBB1171_315:                           ;   in Loop: Header=BB1171_316 Depth=1
	s_or_b64 exec, exec, s[0:1]
	s_add_i32 s2, s2, 8
	v_add_u32_e32 v2, 0x100, v2
	s_cmp_lt_u32 s2, s9
	v_add_u32_e32 v1, 0x1000, v1
	s_cbranch_scc0 .LBB1171_318
.LBB1171_316:                           ; =>This Inner Loop Header: Depth=1
	s_and_saveexec_b64 s[0:1], vcc
	s_cbranch_execz .LBB1171_315
; %bb.317:                              ;   in Loop: Header=BB1171_316 Depth=1
	ds_read2_b32 v[4:5], v1 offset1:1
	ds_read2_b32 v[6:7], v1 offset0:2 offset1:3
	s_waitcnt lgkmcnt(1)
	v_add_u32_e32 v4, v5, v4
	s_waitcnt lgkmcnt(0)
	v_add3_u32 v6, v4, v6, v7
	v_lshl_add_u64 v[4:5], v[2:3], 2, s[6:7]
	global_atomic_add v[4:5], v6, off
	s_branch .LBB1171_315
.LBB1171_318:
	s_mov_b64 s[2:3], 0
.LBB1171_319:
	s_and_b64 vcc, exec, s[2:3]
	s_cbranch_vccz .LBB1171_411
; %bb.320:
	s_cmp_eq_u32 s8, 0
	s_cselect_b64 s[0:1], -1, 0
	s_cmp_eq_u32 s9, 64
	s_mov_b32 s11, 0
	s_cselect_b64 s[2:3], -1, 0
	s_and_b64 s[2:3], s[0:1], s[2:3]
	s_lshl_b64 s[0:1], s[10:11], 3
	s_add_u32 s0, s4, s0
	s_addc_u32 s1, s5, s1
	v_mov_b32_e32 v3, 0
	v_lshlrev_b32_e32 v2, 3, v0
	v_lshl_add_u64 v[4:5], s[0:1], 0, v[2:3]
	s_movk_i32 s4, 0x2000
	v_add_co_u32_e32 v6, vcc, s4, v4
	s_movk_i32 s4, 0x4000
	s_nop 0
	v_addc_co_u32_e32 v7, vcc, 0, v5, vcc
	v_add_co_u32_e32 v8, vcc, s4, v4
	s_movk_i32 s4, 0x6000
	s_nop 0
	v_addc_co_u32_e32 v9, vcc, 0, v5, vcc
	v_add_co_u32_e32 v18, vcc, s4, v4
	s_mov_b32 s4, 0x8000
	s_nop 0
	v_addc_co_u32_e32 v19, vcc, 0, v5, vcc
	v_add_co_u32_e32 v20, vcc, s4, v4
	s_mov_b32 s4, 0xa000
	s_nop 0
	v_addc_co_u32_e32 v21, vcc, 0, v5, vcc
	global_load_dwordx2 v[16:17], v[6:7], off
	global_load_dwordx2 v[14:15], v[8:9], off
	;; [unrolled: 1-line block ×4, first 2 shown]
	v_add_co_u32_e32 v20, vcc, s4, v4
	s_nop 1
	v_addc_co_u32_e32 v21, vcc, 0, v5, vcc
	v_add_co_u32_e32 v22, vcc, 0xc000, v4
	s_nop 1
	v_addc_co_u32_e32 v23, vcc, 0, v5, vcc
	;; [unrolled: 3-line block ×3, first 2 shown]
	global_load_dwordx2 v[18:19], v2, s[0:1]
	global_load_dwordx2 v[8:9], v[20:21], off
	global_load_dwordx2 v[6:7], v[22:23], off
	global_load_dwordx2 v[4:5], v[24:25], off
	s_mov_b64 s[0:1], -1
	s_and_b64 vcc, exec, s[2:3]
	v_lshlrev_b32_e32 v2, 2, v0
	s_cbranch_vccnz .LBB1171_408
; %bb.321:
	s_cmp_gt_u32 s9, s8
	s_cselect_b64 s[0:1], -1, 0
	s_and_b64 vcc, exec, s[0:1]
	ds_write2st64_b32 v2, v3, v3 offset1:16
	ds_write2st64_b32 v2, v3, v3 offset0:32 offset1:48
	ds_write2st64_b32 v2, v3, v3 offset0:64 offset1:80
	ds_write2st64_b32 v2, v3, v3 offset0:96 offset1:112
	s_waitcnt lgkmcnt(0)
	s_barrier
	s_cbranch_vccz .LBB1171_402
; %bb.322:
	s_sub_i32 s2, s9, s8
	s_waitcnt vmcnt(3)
	v_xor_b32_e32 v23, 0x80000000, v19
	v_mov_b32_e32 v22, v18
	s_min_u32 s2, s2, 8
	v_and_b32_e32 v1, 3, v0
	s_lshl_b32 s2, -1, s2
	v_lshrrev_b64 v[24:25], s8, v[22:23]
	v_bitop3_b32 v24, v24, s2, v24 bitop3:0x30
	v_lshlrev_b32_e32 v3, 2, v1
	v_lshl_or_b32 v24, v24, 4, v3
	v_mov_b32_e32 v25, 1
	s_not_b32 s12, s2
	ds_add_u32 v24, v25
	s_add_i32 s13, s8, 8
	s_cmp_le_u32 s9, s13
	v_xor_b32_e32 v21, 0x80000000, v17
	v_mov_b32_e32 v20, v16
	s_cselect_b64 s[2:3], -1, 0
	s_and_b64 vcc, exec, s[2:3]
	v_lshrrev_b64 v[24:25], s8, v[20:21]
	s_cbranch_vccz .LBB1171_324
; %bb.323:
	v_and_b32_e32 v25, s12, v24
	v_lshlrev_b32_e32 v25, 4, v25
	s_mov_b64 s[4:5], -1
	s_cbranch_execz .LBB1171_325
	s_branch .LBB1171_340
.LBB1171_324:
	s_mov_b64 s[4:5], 0
                                        ; implicit-def: $vgpr25
.LBB1171_325:
	s_sub_i32 s10, s9, s13
	s_min_u32 s10, s10, 8
	s_lshl_b32 s10, -1, s10
	v_lshrrev_b64 v[26:27], s13, v[22:23]
	v_bitop3_b32 v25, v26, s10, v26 bitop3:0x30
	v_lshl_or_b32 v26, v25, 4, v3
	v_mov_b32_e32 v25, 1
	ds_add_u32 v26, v25 offset:4096
	s_not_b32 s15, s10
	s_add_i32 s14, s8, 16
	s_cmp_gt_u32 s9, s14
	s_cselect_b64 s[10:11], -1, 0
	s_cmp_le_u32 s9, s14
	s_cbranch_scc1 .LBB1171_332
; %bb.326:
	s_sub_i32 s16, s9, s14
	s_min_u32 s16, s16, 8
	v_lshrrev_b64 v[26:27], s14, v[22:23]
	v_bfe_u32 v26, v26, 0, s16
	v_lshl_or_b32 v26, v26, 4, v3
	ds_add_u32 v26, v25 offset:8192
	s_add_i32 s16, s8, 24
	s_cmp_le_u32 s9, s16
	s_cbranch_scc1 .LBB1171_332
; %bb.327:
	s_sub_i32 s17, s9, s16
	s_min_u32 s17, s17, 8
	v_lshrrev_b64 v[26:27], s16, v[22:23]
	v_bfe_u32 v26, v26, 0, s17
	v_lshl_or_b32 v27, v26, 4, v3
	v_mov_b32_e32 v26, 1
	ds_add_u32 v27, v26 offset:12288
	s_add_i32 s16, s8, 32
	s_cmp_le_u32 s9, s16
	s_cbranch_scc1 .LBB1171_332
; %bb.328:
	s_sub_i32 s17, s9, s16
	s_min_u32 s17, s17, 8
	v_lshrrev_b64 v[28:29], s16, v[22:23]
	v_bfe_u32 v27, v28, 0, s17
	v_lshl_or_b32 v27, v27, 4, v3
	ds_add_u32 v27, v26 offset:16384
	s_add_i32 s16, s8, 40
	s_cmp_le_u32 s9, s16
	s_cbranch_scc1 .LBB1171_332
; %bb.329:
	s_sub_i32 s17, s9, s16
	s_min_u32 s17, s17, 8
	v_lshrrev_b64 v[26:27], s16, v[22:23]
	v_bfe_u32 v26, v26, 0, s17
	v_lshl_or_b32 v27, v26, 4, v3
	v_mov_b32_e32 v26, 1
	ds_add_u32 v27, v26 offset:20480
	s_add_i32 s16, s8, 48
	s_cmp_le_u32 s9, s16
	s_cbranch_scc1 .LBB1171_332
; %bb.330:
	s_sub_i32 s17, s9, s16
	s_min_u32 s17, s17, 8
	v_lshrrev_b64 v[28:29], s16, v[22:23]
	v_bfe_u32 v27, v28, 0, s17
	v_lshl_or_b32 v27, v27, 4, v3
	ds_add_u32 v27, v26 offset:24576
	s_add_i32 s16, s8, 56
	s_cmp_le_u32 s9, s16
	s_cbranch_scc1 .LBB1171_332
; %bb.331:
	s_sub_i32 s17, s9, s16
	s_min_u32 s17, s17, 8
	v_lshrrev_b64 v[22:23], s16, v[22:23]
	v_bfe_u32 v22, v22, 0, s17
	v_lshl_or_b32 v22, v22, 4, v3
	v_mov_b32_e32 v23, 1
	ds_add_u32 v22, v23 offset:28672
.LBB1171_332:
	v_and_b32_e32 v22, s12, v24
	v_lshl_or_b32 v22, v22, 4, v3
	ds_add_u32 v22, v25
	v_lshrrev_b64 v[22:23], s13, v[20:21]
	v_and_b32_e32 v22, s15, v22
	v_lshl_or_b32 v22, v22, 4, v3
	ds_add_u32 v22, v25 offset:4096
	s_andn2_b64 vcc, exec, s[10:11]
	s_cbranch_vccnz .LBB1171_339
; %bb.333:
	s_sub_i32 s10, s9, s14
	s_min_u32 s10, s10, 8
	v_lshrrev_b64 v[22:23], s14, v[20:21]
	v_bfe_u32 v22, v22, 0, s10
	v_lshl_or_b32 v23, v22, 4, v3
	v_mov_b32_e32 v22, 1
	ds_add_u32 v23, v22 offset:8192
	s_add_i32 s10, s8, 24
	s_cmp_gt_u32 s9, s10
	s_cbranch_scc0 .LBB1171_339
; %bb.334:
	s_sub_i32 s11, s9, s10
	s_min_u32 s11, s11, 8
	v_lshrrev_b64 v[24:25], s10, v[20:21]
	v_bfe_u32 v23, v24, 0, s11
	v_lshl_or_b32 v23, v23, 4, v3
	ds_add_u32 v23, v22 offset:12288
	s_add_i32 s10, s8, 32
	s_cmp_gt_u32 s9, s10
	s_cbranch_scc0 .LBB1171_339
; %bb.335:
	s_sub_i32 s11, s9, s10
	s_min_u32 s11, s11, 8
	v_lshrrev_b64 v[22:23], s10, v[20:21]
	v_bfe_u32 v22, v22, 0, s11
	v_lshl_or_b32 v23, v22, 4, v3
	v_mov_b32_e32 v22, 1
	ds_add_u32 v23, v22 offset:16384
	s_add_i32 s10, s8, 40
	s_cmp_gt_u32 s9, s10
	s_cbranch_scc0 .LBB1171_339
; %bb.336:
	s_sub_i32 s11, s9, s10
	s_min_u32 s11, s11, 8
	v_lshrrev_b64 v[24:25], s10, v[20:21]
	v_bfe_u32 v23, v24, 0, s11
	v_lshl_or_b32 v23, v23, 4, v3
	ds_add_u32 v23, v22 offset:20480
	s_add_i32 s10, s8, 48
	s_cmp_gt_u32 s9, s10
	s_cbranch_scc0 .LBB1171_339
; %bb.337:
	s_sub_i32 s11, s9, s10
	s_min_u32 s11, s11, 8
	v_lshrrev_b64 v[22:23], s10, v[20:21]
	v_bfe_u32 v22, v22, 0, s11
	v_lshl_or_b32 v22, v22, 4, v3
	v_mov_b32_e32 v23, 1
	ds_add_u32 v22, v23 offset:24576
	s_add_i32 s10, s8, 56
	s_cmp_gt_u32 s9, s10
                                        ; implicit-def: $vgpr25
	s_cbranch_scc0 .LBB1171_340
; %bb.338:
	s_sub_i32 s4, s9, s10
	s_min_u32 s4, s4, 8
	v_lshrrev_b64 v[20:21], s10, v[20:21]
	v_bfe_u32 v20, v20, 0, s4
	v_mov_b32_e32 v21, 0x7000
	v_lshl_add_u32 v25, v20, 4, v21
	s_mov_b64 s[4:5], -1
	s_branch .LBB1171_340
.LBB1171_339:
                                        ; implicit-def: $vgpr25
.LBB1171_340:
	s_and_b64 vcc, exec, s[4:5]
	s_cbranch_vccz .LBB1171_342
; %bb.341:
	v_lshl_add_u32 v20, v1, 2, v25
	v_mov_b32_e32 v21, 1
	ds_add_u32 v20, v21
.LBB1171_342:
	v_xor_b32_e32 v23, 0x80000000, v15
	v_mov_b32_e32 v22, v14
	v_lshrrev_b64 v[24:25], s8, v[22:23]
	v_and_b32_e32 v24, s12, v24
	v_lshl_or_b32 v24, v24, 4, v3
	v_mov_b32_e32 v25, 1
	ds_add_u32 v24, v25
	v_xor_b32_e32 v21, 0x80000000, v13
	v_mov_b32_e32 v20, v12
	s_and_b64 vcc, exec, s[2:3]
	v_lshrrev_b64 v[24:25], s8, v[20:21]
	s_cbranch_vccz .LBB1171_344
; %bb.343:
	v_and_b32_e32 v25, s12, v24
	v_lshlrev_b32_e32 v25, 4, v25
	s_mov_b64 s[4:5], -1
	s_cbranch_execz .LBB1171_345
	s_branch .LBB1171_360
.LBB1171_344:
	s_mov_b64 s[4:5], 0
                                        ; implicit-def: $vgpr25
.LBB1171_345:
	s_sub_i32 s10, s9, s13
	s_min_u32 s10, s10, 8
	s_lshl_b32 s10, -1, s10
	v_lshrrev_b64 v[26:27], s13, v[22:23]
	v_bitop3_b32 v25, v26, s10, v26 bitop3:0x30
	v_lshl_or_b32 v26, v25, 4, v3
	v_mov_b32_e32 v25, 1
	ds_add_u32 v26, v25 offset:4096
	s_not_b32 s15, s10
	s_add_i32 s14, s8, 16
	s_cmp_gt_u32 s9, s14
	s_cselect_b64 s[10:11], -1, 0
	s_cmp_le_u32 s9, s14
	s_cbranch_scc1 .LBB1171_352
; %bb.346:
	s_sub_i32 s16, s9, s14
	s_min_u32 s16, s16, 8
	v_lshrrev_b64 v[26:27], s14, v[22:23]
	v_bfe_u32 v26, v26, 0, s16
	v_lshl_or_b32 v26, v26, 4, v3
	ds_add_u32 v26, v25 offset:8192
	s_add_i32 s16, s8, 24
	s_cmp_le_u32 s9, s16
	s_cbranch_scc1 .LBB1171_352
; %bb.347:
	s_sub_i32 s17, s9, s16
	s_min_u32 s17, s17, 8
	v_lshrrev_b64 v[26:27], s16, v[22:23]
	v_bfe_u32 v26, v26, 0, s17
	v_lshl_or_b32 v27, v26, 4, v3
	v_mov_b32_e32 v26, 1
	ds_add_u32 v27, v26 offset:12288
	s_add_i32 s16, s8, 32
	s_cmp_le_u32 s9, s16
	s_cbranch_scc1 .LBB1171_352
; %bb.348:
	s_sub_i32 s17, s9, s16
	s_min_u32 s17, s17, 8
	v_lshrrev_b64 v[28:29], s16, v[22:23]
	v_bfe_u32 v27, v28, 0, s17
	v_lshl_or_b32 v27, v27, 4, v3
	ds_add_u32 v27, v26 offset:16384
	s_add_i32 s16, s8, 40
	s_cmp_le_u32 s9, s16
	s_cbranch_scc1 .LBB1171_352
; %bb.349:
	s_sub_i32 s17, s9, s16
	s_min_u32 s17, s17, 8
	v_lshrrev_b64 v[26:27], s16, v[22:23]
	v_bfe_u32 v26, v26, 0, s17
	v_lshl_or_b32 v27, v26, 4, v3
	v_mov_b32_e32 v26, 1
	ds_add_u32 v27, v26 offset:20480
	s_add_i32 s16, s8, 48
	s_cmp_le_u32 s9, s16
	s_cbranch_scc1 .LBB1171_352
; %bb.350:
	s_sub_i32 s17, s9, s16
	s_min_u32 s17, s17, 8
	v_lshrrev_b64 v[28:29], s16, v[22:23]
	v_bfe_u32 v27, v28, 0, s17
	v_lshl_or_b32 v27, v27, 4, v3
	ds_add_u32 v27, v26 offset:24576
	s_add_i32 s16, s8, 56
	s_cmp_le_u32 s9, s16
	s_cbranch_scc1 .LBB1171_352
; %bb.351:
	s_sub_i32 s17, s9, s16
	s_min_u32 s17, s17, 8
	v_lshrrev_b64 v[22:23], s16, v[22:23]
	v_bfe_u32 v22, v22, 0, s17
	v_lshl_or_b32 v22, v22, 4, v3
	v_mov_b32_e32 v23, 1
	ds_add_u32 v22, v23 offset:28672
.LBB1171_352:
	v_and_b32_e32 v22, s12, v24
	v_lshl_or_b32 v22, v22, 4, v3
	ds_add_u32 v22, v25
	v_lshrrev_b64 v[22:23], s13, v[20:21]
	v_and_b32_e32 v22, s15, v22
	v_lshl_or_b32 v22, v22, 4, v3
	ds_add_u32 v22, v25 offset:4096
	s_andn2_b64 vcc, exec, s[10:11]
	s_cbranch_vccnz .LBB1171_359
; %bb.353:
	s_sub_i32 s10, s9, s14
	s_min_u32 s10, s10, 8
	v_lshrrev_b64 v[22:23], s14, v[20:21]
	v_bfe_u32 v22, v22, 0, s10
	v_lshl_or_b32 v23, v22, 4, v3
	v_mov_b32_e32 v22, 1
	ds_add_u32 v23, v22 offset:8192
	s_add_i32 s10, s8, 24
	s_cmp_gt_u32 s9, s10
	s_cbranch_scc0 .LBB1171_359
; %bb.354:
	s_sub_i32 s11, s9, s10
	s_min_u32 s11, s11, 8
	v_lshrrev_b64 v[24:25], s10, v[20:21]
	v_bfe_u32 v23, v24, 0, s11
	v_lshl_or_b32 v23, v23, 4, v3
	ds_add_u32 v23, v22 offset:12288
	s_add_i32 s10, s8, 32
	s_cmp_gt_u32 s9, s10
	s_cbranch_scc0 .LBB1171_359
; %bb.355:
	s_sub_i32 s11, s9, s10
	s_min_u32 s11, s11, 8
	v_lshrrev_b64 v[22:23], s10, v[20:21]
	v_bfe_u32 v22, v22, 0, s11
	v_lshl_or_b32 v23, v22, 4, v3
	v_mov_b32_e32 v22, 1
	ds_add_u32 v23, v22 offset:16384
	s_add_i32 s10, s8, 40
	s_cmp_gt_u32 s9, s10
	s_cbranch_scc0 .LBB1171_359
; %bb.356:
	s_sub_i32 s11, s9, s10
	s_min_u32 s11, s11, 8
	v_lshrrev_b64 v[24:25], s10, v[20:21]
	v_bfe_u32 v23, v24, 0, s11
	v_lshl_or_b32 v23, v23, 4, v3
	ds_add_u32 v23, v22 offset:20480
	s_add_i32 s10, s8, 48
	s_cmp_gt_u32 s9, s10
	s_cbranch_scc0 .LBB1171_359
; %bb.357:
	s_sub_i32 s11, s9, s10
	s_min_u32 s11, s11, 8
	v_lshrrev_b64 v[22:23], s10, v[20:21]
	v_bfe_u32 v22, v22, 0, s11
	v_lshl_or_b32 v22, v22, 4, v3
	v_mov_b32_e32 v23, 1
	ds_add_u32 v22, v23 offset:24576
	s_add_i32 s10, s8, 56
	s_cmp_gt_u32 s9, s10
                                        ; implicit-def: $vgpr25
	s_cbranch_scc0 .LBB1171_360
; %bb.358:
	s_sub_i32 s4, s9, s10
	s_min_u32 s4, s4, 8
	v_lshrrev_b64 v[20:21], s10, v[20:21]
	v_bfe_u32 v20, v20, 0, s4
	v_mov_b32_e32 v21, 0x7000
	v_lshl_add_u32 v25, v20, 4, v21
	s_mov_b64 s[4:5], -1
	s_branch .LBB1171_360
.LBB1171_359:
                                        ; implicit-def: $vgpr25
.LBB1171_360:
	s_and_b64 vcc, exec, s[4:5]
	s_cbranch_vccz .LBB1171_362
; %bb.361:
	v_lshl_add_u32 v20, v1, 2, v25
	v_mov_b32_e32 v21, 1
	ds_add_u32 v20, v21
.LBB1171_362:
	v_xor_b32_e32 v23, 0x80000000, v11
	v_mov_b32_e32 v22, v10
	v_lshrrev_b64 v[24:25], s8, v[22:23]
	v_and_b32_e32 v24, s12, v24
	v_lshl_or_b32 v24, v24, 4, v3
	v_mov_b32_e32 v25, 1
	ds_add_u32 v24, v25
	s_waitcnt vmcnt(2)
	v_xor_b32_e32 v21, 0x80000000, v9
	v_mov_b32_e32 v20, v8
	s_and_b64 vcc, exec, s[2:3]
	v_lshrrev_b64 v[24:25], s8, v[20:21]
	s_cbranch_vccz .LBB1171_364
; %bb.363:
	v_and_b32_e32 v25, s12, v24
	v_lshlrev_b32_e32 v25, 4, v25
	s_mov_b64 s[4:5], -1
	s_cbranch_execz .LBB1171_365
	s_branch .LBB1171_380
.LBB1171_364:
	s_mov_b64 s[4:5], 0
                                        ; implicit-def: $vgpr25
.LBB1171_365:
	s_sub_i32 s10, s9, s13
	s_min_u32 s10, s10, 8
	s_lshl_b32 s10, -1, s10
	v_lshrrev_b64 v[26:27], s13, v[22:23]
	v_bitop3_b32 v25, v26, s10, v26 bitop3:0x30
	v_lshl_or_b32 v26, v25, 4, v3
	v_mov_b32_e32 v25, 1
	ds_add_u32 v26, v25 offset:4096
	s_not_b32 s15, s10
	s_add_i32 s14, s8, 16
	s_cmp_gt_u32 s9, s14
	s_cselect_b64 s[10:11], -1, 0
	s_cmp_le_u32 s9, s14
	s_cbranch_scc1 .LBB1171_372
; %bb.366:
	s_sub_i32 s16, s9, s14
	s_min_u32 s16, s16, 8
	v_lshrrev_b64 v[26:27], s14, v[22:23]
	v_bfe_u32 v26, v26, 0, s16
	v_lshl_or_b32 v26, v26, 4, v3
	ds_add_u32 v26, v25 offset:8192
	s_add_i32 s16, s8, 24
	s_cmp_le_u32 s9, s16
	s_cbranch_scc1 .LBB1171_372
; %bb.367:
	s_sub_i32 s17, s9, s16
	s_min_u32 s17, s17, 8
	v_lshrrev_b64 v[26:27], s16, v[22:23]
	v_bfe_u32 v26, v26, 0, s17
	v_lshl_or_b32 v27, v26, 4, v3
	v_mov_b32_e32 v26, 1
	ds_add_u32 v27, v26 offset:12288
	s_add_i32 s16, s8, 32
	s_cmp_le_u32 s9, s16
	s_cbranch_scc1 .LBB1171_372
; %bb.368:
	s_sub_i32 s17, s9, s16
	s_min_u32 s17, s17, 8
	v_lshrrev_b64 v[28:29], s16, v[22:23]
	v_bfe_u32 v27, v28, 0, s17
	v_lshl_or_b32 v27, v27, 4, v3
	ds_add_u32 v27, v26 offset:16384
	s_add_i32 s16, s8, 40
	s_cmp_le_u32 s9, s16
	s_cbranch_scc1 .LBB1171_372
; %bb.369:
	s_sub_i32 s17, s9, s16
	s_min_u32 s17, s17, 8
	v_lshrrev_b64 v[26:27], s16, v[22:23]
	v_bfe_u32 v26, v26, 0, s17
	v_lshl_or_b32 v27, v26, 4, v3
	v_mov_b32_e32 v26, 1
	ds_add_u32 v27, v26 offset:20480
	s_add_i32 s16, s8, 48
	s_cmp_le_u32 s9, s16
	s_cbranch_scc1 .LBB1171_372
; %bb.370:
	s_sub_i32 s17, s9, s16
	s_min_u32 s17, s17, 8
	v_lshrrev_b64 v[28:29], s16, v[22:23]
	v_bfe_u32 v27, v28, 0, s17
	v_lshl_or_b32 v27, v27, 4, v3
	ds_add_u32 v27, v26 offset:24576
	s_add_i32 s16, s8, 56
	s_cmp_le_u32 s9, s16
	s_cbranch_scc1 .LBB1171_372
; %bb.371:
	s_sub_i32 s17, s9, s16
	s_min_u32 s17, s17, 8
	v_lshrrev_b64 v[22:23], s16, v[22:23]
	v_bfe_u32 v22, v22, 0, s17
	v_lshl_or_b32 v22, v22, 4, v3
	v_mov_b32_e32 v23, 1
	ds_add_u32 v22, v23 offset:28672
.LBB1171_372:
	v_and_b32_e32 v22, s12, v24
	v_lshl_or_b32 v22, v22, 4, v3
	ds_add_u32 v22, v25
	v_lshrrev_b64 v[22:23], s13, v[20:21]
	v_and_b32_e32 v22, s15, v22
	v_lshl_or_b32 v22, v22, 4, v3
	ds_add_u32 v22, v25 offset:4096
	s_andn2_b64 vcc, exec, s[10:11]
	s_cbranch_vccnz .LBB1171_379
; %bb.373:
	s_sub_i32 s10, s9, s14
	s_min_u32 s10, s10, 8
	v_lshrrev_b64 v[22:23], s14, v[20:21]
	v_bfe_u32 v22, v22, 0, s10
	v_lshl_or_b32 v23, v22, 4, v3
	v_mov_b32_e32 v22, 1
	ds_add_u32 v23, v22 offset:8192
	s_add_i32 s10, s8, 24
	s_cmp_gt_u32 s9, s10
	s_cbranch_scc0 .LBB1171_379
; %bb.374:
	s_sub_i32 s11, s9, s10
	s_min_u32 s11, s11, 8
	v_lshrrev_b64 v[24:25], s10, v[20:21]
	v_bfe_u32 v23, v24, 0, s11
	v_lshl_or_b32 v23, v23, 4, v3
	ds_add_u32 v23, v22 offset:12288
	s_add_i32 s10, s8, 32
	s_cmp_gt_u32 s9, s10
	s_cbranch_scc0 .LBB1171_379
; %bb.375:
	s_sub_i32 s11, s9, s10
	s_min_u32 s11, s11, 8
	v_lshrrev_b64 v[22:23], s10, v[20:21]
	v_bfe_u32 v22, v22, 0, s11
	v_lshl_or_b32 v23, v22, 4, v3
	v_mov_b32_e32 v22, 1
	ds_add_u32 v23, v22 offset:16384
	s_add_i32 s10, s8, 40
	s_cmp_gt_u32 s9, s10
	s_cbranch_scc0 .LBB1171_379
; %bb.376:
	s_sub_i32 s11, s9, s10
	s_min_u32 s11, s11, 8
	v_lshrrev_b64 v[24:25], s10, v[20:21]
	v_bfe_u32 v23, v24, 0, s11
	v_lshl_or_b32 v23, v23, 4, v3
	ds_add_u32 v23, v22 offset:20480
	s_add_i32 s10, s8, 48
	s_cmp_gt_u32 s9, s10
	s_cbranch_scc0 .LBB1171_379
; %bb.377:
	s_sub_i32 s11, s9, s10
	s_min_u32 s11, s11, 8
	v_lshrrev_b64 v[22:23], s10, v[20:21]
	v_bfe_u32 v22, v22, 0, s11
	v_lshl_or_b32 v22, v22, 4, v3
	v_mov_b32_e32 v23, 1
	ds_add_u32 v22, v23 offset:24576
	s_add_i32 s10, s8, 56
	s_cmp_gt_u32 s9, s10
                                        ; implicit-def: $vgpr25
	s_cbranch_scc0 .LBB1171_380
; %bb.378:
	s_sub_i32 s4, s9, s10
	s_min_u32 s4, s4, 8
	v_lshrrev_b64 v[20:21], s10, v[20:21]
	v_bfe_u32 v20, v20, 0, s4
	v_mov_b32_e32 v21, 0x7000
	v_lshl_add_u32 v25, v20, 4, v21
	s_mov_b64 s[4:5], -1
	s_branch .LBB1171_380
.LBB1171_379:
                                        ; implicit-def: $vgpr25
.LBB1171_380:
	s_and_b64 vcc, exec, s[4:5]
	s_cbranch_vccz .LBB1171_382
; %bb.381:
	v_lshl_add_u32 v20, v1, 2, v25
	v_mov_b32_e32 v21, 1
	ds_add_u32 v20, v21
.LBB1171_382:
	s_waitcnt vmcnt(1)
	v_xor_b32_e32 v23, 0x80000000, v7
	v_mov_b32_e32 v22, v6
	v_lshrrev_b64 v[24:25], s8, v[22:23]
	v_and_b32_e32 v24, s12, v24
	v_lshl_or_b32 v24, v24, 4, v3
	v_mov_b32_e32 v25, 1
	ds_add_u32 v24, v25
	s_waitcnt vmcnt(0)
	v_xor_b32_e32 v21, 0x80000000, v5
	v_mov_b32_e32 v20, v4
	s_and_b64 vcc, exec, s[2:3]
	v_lshrrev_b64 v[24:25], s8, v[20:21]
	s_cbranch_vccz .LBB1171_384
; %bb.383:
	v_and_b32_e32 v25, s12, v24
	v_lshlrev_b32_e32 v25, 4, v25
	s_mov_b64 s[2:3], -1
	s_cbranch_execz .LBB1171_385
	s_branch .LBB1171_400
.LBB1171_384:
	s_mov_b64 s[2:3], 0
                                        ; implicit-def: $vgpr25
.LBB1171_385:
	s_sub_i32 s4, s9, s13
	s_min_u32 s4, s4, 8
	s_lshl_b32 s4, -1, s4
	v_lshrrev_b64 v[26:27], s13, v[22:23]
	v_bitop3_b32 v25, v26, s4, v26 bitop3:0x30
	v_lshl_or_b32 v26, v25, 4, v3
	v_mov_b32_e32 v25, 1
	ds_add_u32 v26, v25 offset:4096
	s_not_b32 s11, s4
	s_add_i32 s10, s8, 16
	s_cmp_gt_u32 s9, s10
	s_cselect_b64 s[4:5], -1, 0
	s_cmp_le_u32 s9, s10
	s_cbranch_scc1 .LBB1171_392
; %bb.386:
	s_sub_i32 s14, s9, s10
	s_min_u32 s14, s14, 8
	v_lshrrev_b64 v[26:27], s10, v[22:23]
	v_bfe_u32 v26, v26, 0, s14
	v_lshl_or_b32 v26, v26, 4, v3
	ds_add_u32 v26, v25 offset:8192
	s_add_i32 s14, s8, 24
	s_cmp_le_u32 s9, s14
	s_cbranch_scc1 .LBB1171_392
; %bb.387:
	s_sub_i32 s15, s9, s14
	s_min_u32 s15, s15, 8
	v_lshrrev_b64 v[26:27], s14, v[22:23]
	v_bfe_u32 v26, v26, 0, s15
	v_lshl_or_b32 v27, v26, 4, v3
	v_mov_b32_e32 v26, 1
	ds_add_u32 v27, v26 offset:12288
	s_add_i32 s14, s8, 32
	s_cmp_le_u32 s9, s14
	s_cbranch_scc1 .LBB1171_392
; %bb.388:
	s_sub_i32 s15, s9, s14
	s_min_u32 s15, s15, 8
	v_lshrrev_b64 v[28:29], s14, v[22:23]
	v_bfe_u32 v27, v28, 0, s15
	v_lshl_or_b32 v27, v27, 4, v3
	ds_add_u32 v27, v26 offset:16384
	s_add_i32 s14, s8, 40
	s_cmp_le_u32 s9, s14
	s_cbranch_scc1 .LBB1171_392
; %bb.389:
	s_sub_i32 s15, s9, s14
	s_min_u32 s15, s15, 8
	v_lshrrev_b64 v[26:27], s14, v[22:23]
	v_bfe_u32 v26, v26, 0, s15
	v_lshl_or_b32 v27, v26, 4, v3
	v_mov_b32_e32 v26, 1
	ds_add_u32 v27, v26 offset:20480
	s_add_i32 s14, s8, 48
	s_cmp_le_u32 s9, s14
	s_cbranch_scc1 .LBB1171_392
; %bb.390:
	s_sub_i32 s15, s9, s14
	s_min_u32 s15, s15, 8
	v_lshrrev_b64 v[28:29], s14, v[22:23]
	v_bfe_u32 v27, v28, 0, s15
	v_lshl_or_b32 v27, v27, 4, v3
	ds_add_u32 v27, v26 offset:24576
	s_add_i32 s14, s8, 56
	s_cmp_le_u32 s9, s14
	s_cbranch_scc1 .LBB1171_392
; %bb.391:
	s_sub_i32 s15, s9, s14
	s_min_u32 s15, s15, 8
	v_lshrrev_b64 v[22:23], s14, v[22:23]
	v_bfe_u32 v22, v22, 0, s15
	v_lshl_or_b32 v22, v22, 4, v3
	v_mov_b32_e32 v23, 1
	ds_add_u32 v22, v23 offset:28672
.LBB1171_392:
	v_and_b32_e32 v22, s12, v24
	v_lshl_or_b32 v22, v22, 4, v3
	ds_add_u32 v22, v25
	v_lshrrev_b64 v[22:23], s13, v[20:21]
	v_and_b32_e32 v22, s11, v22
	v_lshl_or_b32 v22, v22, 4, v3
	ds_add_u32 v22, v25 offset:4096
	s_andn2_b64 vcc, exec, s[4:5]
	s_cbranch_vccnz .LBB1171_399
; %bb.393:
	s_sub_i32 s4, s9, s10
	s_min_u32 s4, s4, 8
	v_lshrrev_b64 v[22:23], s10, v[20:21]
	v_bfe_u32 v22, v22, 0, s4
	v_lshl_or_b32 v23, v22, 4, v3
	v_mov_b32_e32 v22, 1
	ds_add_u32 v23, v22 offset:8192
	s_add_i32 s4, s8, 24
	s_cmp_gt_u32 s9, s4
	s_cbranch_scc0 .LBB1171_399
; %bb.394:
	s_sub_i32 s5, s9, s4
	s_min_u32 s5, s5, 8
	v_lshrrev_b64 v[24:25], s4, v[20:21]
	v_bfe_u32 v23, v24, 0, s5
	v_lshl_or_b32 v23, v23, 4, v3
	ds_add_u32 v23, v22 offset:12288
	s_add_i32 s4, s8, 32
	s_cmp_gt_u32 s9, s4
	s_cbranch_scc0 .LBB1171_399
; %bb.395:
	s_sub_i32 s5, s9, s4
	s_min_u32 s5, s5, 8
	v_lshrrev_b64 v[22:23], s4, v[20:21]
	v_bfe_u32 v22, v22, 0, s5
	v_lshl_or_b32 v23, v22, 4, v3
	v_mov_b32_e32 v22, 1
	ds_add_u32 v23, v22 offset:16384
	s_add_i32 s4, s8, 40
	s_cmp_gt_u32 s9, s4
	s_cbranch_scc0 .LBB1171_399
; %bb.396:
	s_sub_i32 s5, s9, s4
	s_min_u32 s5, s5, 8
	v_lshrrev_b64 v[24:25], s4, v[20:21]
	v_bfe_u32 v23, v24, 0, s5
	v_lshl_or_b32 v23, v23, 4, v3
	ds_add_u32 v23, v22 offset:20480
	s_add_i32 s4, s8, 48
	s_cmp_gt_u32 s9, s4
	s_cbranch_scc0 .LBB1171_399
; %bb.397:
	s_sub_i32 s5, s9, s4
	s_min_u32 s5, s5, 8
	v_lshrrev_b64 v[22:23], s4, v[20:21]
	v_bfe_u32 v22, v22, 0, s5
	v_lshl_or_b32 v3, v22, 4, v3
	v_mov_b32_e32 v22, 1
	ds_add_u32 v3, v22 offset:24576
	s_add_i32 s4, s8, 56
	s_cmp_gt_u32 s9, s4
                                        ; implicit-def: $vgpr25
	s_cbranch_scc0 .LBB1171_400
; %bb.398:
	s_sub_i32 s2, s9, s4
	s_min_u32 s2, s2, 8
	v_lshrrev_b64 v[20:21], s4, v[20:21]
	v_bfe_u32 v3, v20, 0, s2
	v_mov_b32_e32 v20, 0x7000
	v_lshl_add_u32 v25, v3, 4, v20
	s_mov_b64 s[2:3], -1
	s_branch .LBB1171_400
.LBB1171_399:
                                        ; implicit-def: $vgpr25
.LBB1171_400:
	s_and_b64 vcc, exec, s[2:3]
	s_cbranch_vccz .LBB1171_402
; %bb.401:
	v_lshl_add_u32 v1, v1, 2, v25
	v_mov_b32_e32 v3, 1
	ds_add_u32 v1, v3
.LBB1171_402:
	s_and_b64 vcc, exec, s[0:1]
	s_waitcnt lgkmcnt(0)
	s_barrier
	s_cbranch_vccz .LBB1171_407
; %bb.403:
	s_movk_i32 s0, 0x100
	v_cmp_gt_u32_e32 vcc, s0, v0
	v_lshlrev_b32_e32 v1, 4, v0
	v_mov_b32_e32 v21, 0
	v_mov_b32_e32 v20, v0
	s_branch .LBB1171_405
.LBB1171_404:                           ;   in Loop: Header=BB1171_405 Depth=1
	s_or_b64 exec, exec, s[0:1]
	s_add_i32 s8, s8, 8
	v_add_u32_e32 v20, 0x100, v20
	s_cmp_ge_u32 s8, s9
	v_add_u32_e32 v1, 0x1000, v1
	s_cbranch_scc1 .LBB1171_407
.LBB1171_405:                           ; =>This Inner Loop Header: Depth=1
	s_and_saveexec_b64 s[0:1], vcc
	s_cbranch_execz .LBB1171_404
; %bb.406:                              ;   in Loop: Header=BB1171_405 Depth=1
	ds_read2_b32 v[22:23], v1 offset1:1
	ds_read2_b32 v[24:25], v1 offset0:2 offset1:3
	s_waitcnt lgkmcnt(1)
	v_add_u32_e32 v3, v23, v22
	s_waitcnt lgkmcnt(0)
	v_add3_u32 v3, v3, v24, v25
	v_lshl_add_u64 v[22:23], v[20:21], 2, s[6:7]
	global_atomic_add v[22:23], v3, off
	s_branch .LBB1171_404
.LBB1171_407:
	s_mov_b64 s[0:1], 0
.LBB1171_408:
	s_and_b64 vcc, exec, s[0:1]
	s_cbranch_vccz .LBB1171_411
; %bb.409:
	v_and_b32_e32 v1, 3, v0
	s_waitcnt vmcnt(3)
	v_lshlrev_b32_e32 v20, 4, v18
	v_lshlrev_b32_e32 v1, 2, v1
	s_movk_i32 s0, 0xff0
	v_mov_b32_e32 v3, 0
	v_and_or_b32 v20, v20, s0, v1
	v_mov_b32_e32 v21, 1
	ds_write2st64_b32 v2, v3, v3 offset1:16
	ds_write2st64_b32 v2, v3, v3 offset0:32 offset1:48
	ds_write2st64_b32 v2, v3, v3 offset0:64 offset1:80
	;; [unrolled: 1-line block ×3, first 2 shown]
	s_waitcnt lgkmcnt(0)
	s_barrier
	ds_add_u32 v20, v21
	v_bfe_u32 v20, v18, 8, 8
	v_lshl_or_b32 v20, v20, 4, v1
	ds_add_u32 v20, v21 offset:4096
	v_bfe_u32 v20, v18, 16, 8
	v_lshl_or_b32 v20, v20, 4, v1
	ds_add_u32 v20, v21 offset:8192
	v_lshrrev_b32_e32 v20, 24, v18
	v_alignbit_b32 v18, v19, v18, 30
	v_lshl_or_b32 v20, v20, 4, v1
	v_and_b32_e32 v18, 0x3fc, v18
	ds_add_u32 v20, v21 offset:12288
	v_lshl_or_b32 v18, v18, 2, v1
	ds_add_u32 v18, v21 offset:16384
	v_bfe_u32 v18, v19, 8, 8
	v_lshl_or_b32 v18, v18, 4, v1
	ds_add_u32 v18, v21 offset:20480
	v_bfe_u32 v18, v19, 16, 8
	v_lshl_or_b32 v18, v18, 4, v1
	ds_add_u32 v18, v21 offset:24576
	v_mov_b32_e32 v18, 2
	v_lshlrev_b32_sdwa v19, v18, v19 dst_sel:DWORD dst_unused:UNUSED_PAD src0_sel:DWORD src1_sel:BYTE_3
	v_xor_b32_e32 v19, 0x200, v19
	v_lshl_or_b32 v19, v19, 2, v1
	ds_add_u32 v19, v21 offset:28672
	v_lshlrev_b32_e32 v19, 4, v16
	v_and_or_b32 v19, v19, s0, v1
	ds_add_u32 v19, v21
	v_bfe_u32 v19, v16, 8, 8
	v_lshl_or_b32 v19, v19, 4, v1
	ds_add_u32 v19, v21 offset:4096
	v_bfe_u32 v19, v16, 16, 8
	v_lshl_or_b32 v19, v19, 4, v1
	ds_add_u32 v19, v21 offset:8192
	v_lshrrev_b32_e32 v19, 24, v16
	v_alignbit_b32 v16, v17, v16, 30
	v_lshl_or_b32 v19, v19, 4, v1
	v_and_b32_e32 v16, 0x3fc, v16
	ds_add_u32 v19, v21 offset:12288
	v_lshl_or_b32 v16, v16, 2, v1
	ds_add_u32 v16, v21 offset:16384
	v_bfe_u32 v16, v17, 8, 8
	v_lshl_or_b32 v16, v16, 4, v1
	ds_add_u32 v16, v21 offset:20480
	v_bfe_u32 v16, v17, 16, 8
	v_lshl_or_b32 v16, v16, 4, v1
	ds_add_u32 v16, v21 offset:24576
	v_lshlrev_b32_sdwa v16, v18, v17 dst_sel:DWORD dst_unused:UNUSED_PAD src0_sel:DWORD src1_sel:BYTE_3
	v_xor_b32_e32 v16, 0x200, v16
	v_lshl_or_b32 v16, v16, 2, v1
	ds_add_u32 v16, v21 offset:28672
	v_lshlrev_b32_e32 v16, 4, v14
	v_and_or_b32 v16, v16, s0, v1
	ds_add_u32 v16, v21
	v_bfe_u32 v16, v14, 8, 8
	v_lshl_or_b32 v16, v16, 4, v1
	ds_add_u32 v16, v21 offset:4096
	v_bfe_u32 v16, v14, 16, 8
	v_lshl_or_b32 v16, v16, 4, v1
	ds_add_u32 v16, v21 offset:8192
	v_lshrrev_b32_e32 v16, 24, v14
	v_alignbit_b32 v14, v15, v14, 30
	v_lshl_or_b32 v16, v16, 4, v1
	v_and_b32_e32 v14, 0x3fc, v14
	ds_add_u32 v16, v21 offset:12288
	v_lshl_or_b32 v14, v14, 2, v1
	ds_add_u32 v14, v21 offset:16384
	v_bfe_u32 v14, v15, 8, 8
	v_lshl_or_b32 v14, v14, 4, v1
	ds_add_u32 v14, v21 offset:20480
	v_bfe_u32 v14, v15, 16, 8
	v_lshl_or_b32 v14, v14, 4, v1
	ds_add_u32 v14, v21 offset:24576
	;; [unrolled: 26-line block ×4, first 2 shown]
	v_lshlrev_b32_sdwa v10, v18, v11 dst_sel:DWORD dst_unused:UNUSED_PAD src0_sel:DWORD src1_sel:BYTE_3
	v_xor_b32_e32 v10, 0x200, v10
	v_lshl_or_b32 v10, v10, 2, v1
	ds_add_u32 v10, v21 offset:28672
	s_waitcnt vmcnt(2)
	v_lshlrev_b32_e32 v10, 4, v8
	v_and_or_b32 v10, v10, s0, v1
	ds_add_u32 v10, v21
	v_bfe_u32 v10, v8, 8, 8
	v_lshl_or_b32 v10, v10, 4, v1
	ds_add_u32 v10, v21 offset:4096
	v_bfe_u32 v10, v8, 16, 8
	v_lshl_or_b32 v10, v10, 4, v1
	ds_add_u32 v10, v21 offset:8192
	v_lshrrev_b32_e32 v10, 24, v8
	v_alignbit_b32 v8, v9, v8, 30
	v_lshl_or_b32 v10, v10, 4, v1
	v_and_b32_e32 v8, 0x3fc, v8
	ds_add_u32 v10, v21 offset:12288
	v_lshl_or_b32 v8, v8, 2, v1
	ds_add_u32 v8, v21 offset:16384
	v_bfe_u32 v8, v9, 8, 8
	v_lshl_or_b32 v8, v8, 4, v1
	ds_add_u32 v8, v21 offset:20480
	v_bfe_u32 v8, v9, 16, 8
	v_lshl_or_b32 v8, v8, 4, v1
	ds_add_u32 v8, v21 offset:24576
	v_lshlrev_b32_sdwa v8, v18, v9 dst_sel:DWORD dst_unused:UNUSED_PAD src0_sel:DWORD src1_sel:BYTE_3
	v_xor_b32_e32 v8, 0x200, v8
	v_lshl_or_b32 v8, v8, 2, v1
	ds_add_u32 v8, v21 offset:28672
	s_waitcnt vmcnt(1)
	v_lshlrev_b32_e32 v8, 4, v6
	v_and_or_b32 v8, v8, s0, v1
	ds_add_u32 v8, v21
	v_bfe_u32 v8, v6, 8, 8
	v_lshl_or_b32 v8, v8, 4, v1
	ds_add_u32 v8, v21 offset:4096
	v_bfe_u32 v8, v6, 16, 8
	v_lshl_or_b32 v8, v8, 4, v1
	ds_add_u32 v8, v21 offset:8192
	v_lshrrev_b32_e32 v8, 24, v6
	v_alignbit_b32 v6, v7, v6, 30
	v_lshl_or_b32 v8, v8, 4, v1
	v_and_b32_e32 v6, 0x3fc, v6
	ds_add_u32 v8, v21 offset:12288
	v_lshl_or_b32 v6, v6, 2, v1
	ds_add_u32 v6, v21 offset:16384
	v_bfe_u32 v6, v7, 8, 8
	v_lshl_or_b32 v6, v6, 4, v1
	ds_add_u32 v6, v21 offset:20480
	v_bfe_u32 v6, v7, 16, 8
	v_lshl_or_b32 v6, v6, 4, v1
	ds_add_u32 v6, v21 offset:24576
	;; [unrolled: 27-line block ×3, first 2 shown]
	v_lshlrev_b32_sdwa v4, v18, v5 dst_sel:DWORD dst_unused:UNUSED_PAD src0_sel:DWORD src1_sel:BYTE_3
	v_xor_b32_e32 v4, 0x200, v4
	v_lshl_or_b32 v1, v4, 2, v1
	ds_add_u32 v1, v21 offset:28672
	s_movk_i32 s0, 0x100
	v_cmp_gt_u32_e32 vcc, s0, v0
	s_waitcnt lgkmcnt(0)
	s_barrier
	s_and_saveexec_b64 s[0:1], vcc
	s_cbranch_execz .LBB1171_411
; %bb.410:
	v_lshlrev_b32_e32 v8, 4, v0
	ds_read2_b32 v[0:1], v8 offset1:1
	ds_read2_b32 v[4:5], v8 offset0:2 offset1:3
	v_add_u32_e32 v6, 0x1000, v8
	v_add_u32_e32 v7, 0x1008, v8
	;; [unrolled: 1-line block ×3, first 2 shown]
	s_waitcnt lgkmcnt(1)
	v_add_u32_e32 v0, v1, v0
	s_waitcnt lgkmcnt(0)
	v_add3_u32 v0, v0, v4, v5
	global_atomic_add v2, v0, s[6:7]
	ds_read2_b32 v[0:1], v6 offset1:1
	ds_read2_b32 v[4:5], v7 offset1:1
	v_add_u32_e32 v6, 0x2000, v8
	v_add_u32_e32 v7, 0x2008, v8
	s_movk_i32 s0, 0x1000
	s_waitcnt lgkmcnt(1)
	v_add_u32_e32 v0, v1, v0
	s_waitcnt lgkmcnt(0)
	v_add3_u32 v0, v0, v4, v5
	global_atomic_add v2, v0, s[6:7] offset:1024
	ds_read2_b32 v[0:1], v6 offset1:1
	ds_read2_b32 v[4:5], v7 offset1:1
	v_lshl_add_u64 v[6:7], s[6:7], 0, v[2:3]
	v_add_u32_e32 v3, 0x3000, v8
	s_waitcnt lgkmcnt(1)
	v_add_u32_e32 v0, v1, v0
	s_waitcnt lgkmcnt(0)
	v_add3_u32 v0, v0, v4, v5
	global_atomic_add v2, v0, s[6:7] offset:2048
	ds_read2_b32 v[0:1], v3 offset1:1
	ds_read2_b32 v[4:5], v9 offset1:1
	v_or_b32_e32 v3, 0x4000, v8
	v_or_b32_e32 v9, 0x4008, v8
	s_waitcnt lgkmcnt(1)
	v_add_u32_e32 v0, v1, v0
	s_waitcnt lgkmcnt(0)
	v_add3_u32 v0, v0, v4, v5
	global_atomic_add v2, v0, s[6:7] offset:3072
	ds_read2_b32 v[0:1], v3 offset1:1
	ds_read2_b32 v[2:3], v9 offset1:1
	v_add_co_u32_e32 v4, vcc, s0, v6
	v_add_u32_e32 v6, 0x5000, v8
	s_waitcnt lgkmcnt(1)
	v_add_u32_e32 v0, v1, v0
	v_addc_co_u32_e32 v5, vcc, 0, v7, vcc
	s_waitcnt lgkmcnt(0)
	v_add3_u32 v0, v0, v2, v3
	global_atomic_add v[4:5], v0, off
	v_add_u32_e32 v2, 0x5008, v8
	ds_read2_b32 v[0:1], v6 offset1:1
	ds_read2_b32 v[2:3], v2 offset1:1
	v_add_u32_e32 v6, 0x6000, v8
	v_add_u32_e32 v7, 0x6008, v8
	s_waitcnt lgkmcnt(1)
	v_add_u32_e32 v0, v1, v0
	s_waitcnt lgkmcnt(0)
	v_add3_u32 v0, v0, v2, v3
	global_atomic_add v[4:5], v0, off offset:1024
	ds_read2_b32 v[0:1], v6 offset1:1
	ds_read2_b32 v[2:3], v7 offset1:1
	v_add_u32_e32 v6, 0x7000, v8
	s_waitcnt lgkmcnt(1)
	v_add_u32_e32 v0, v1, v0
	s_waitcnt lgkmcnt(0)
	v_add3_u32 v0, v0, v2, v3
	global_atomic_add v[4:5], v0, off offset:2048
	v_add_u32_e32 v2, 0x7008, v8
	ds_read2_b32 v[0:1], v6 offset1:1
	ds_read2_b32 v[2:3], v2 offset1:1
	s_waitcnt lgkmcnt(1)
	v_add_u32_e32 v0, v1, v0
	s_waitcnt lgkmcnt(0)
	v_add3_u32 v0, v0, v2, v3
	global_atomic_add v[4:5], v0, off offset:3072
.LBB1171_411:
	s_endpgm
	.section	.rodata,"a",@progbits
	.p2align	6, 0x0
	.amdhsa_kernel _ZN7rocprim17ROCPRIM_400000_NS6detail17trampoline_kernelINS0_14default_configENS1_35radix_sort_onesweep_config_selectorIxxEEZNS1_34radix_sort_onesweep_global_offsetsIS3_Lb0EN6thrust23THRUST_200600_302600_NS6detail15normal_iteratorINS8_10device_ptrIxEEEESD_jNS0_19identity_decomposerEEE10hipError_tT1_T2_PT3_SI_jT4_jjP12ihipStream_tbEUlT_E_NS1_11comp_targetILNS1_3genE6ELNS1_11target_archE950ELNS1_3gpuE13ELNS1_3repE0EEENS1_52radix_sort_onesweep_histogram_config_static_selectorELNS0_4arch9wavefront6targetE1EEEvSG_
		.amdhsa_group_segment_fixed_size 32768
		.amdhsa_private_segment_fixed_size 0
		.amdhsa_kernarg_size 40
		.amdhsa_user_sgpr_count 2
		.amdhsa_user_sgpr_dispatch_ptr 0
		.amdhsa_user_sgpr_queue_ptr 0
		.amdhsa_user_sgpr_kernarg_segment_ptr 1
		.amdhsa_user_sgpr_dispatch_id 0
		.amdhsa_user_sgpr_kernarg_preload_length 0
		.amdhsa_user_sgpr_kernarg_preload_offset 0
		.amdhsa_user_sgpr_private_segment_size 0
		.amdhsa_uses_dynamic_stack 0
		.amdhsa_enable_private_segment 0
		.amdhsa_system_sgpr_workgroup_id_x 1
		.amdhsa_system_sgpr_workgroup_id_y 0
		.amdhsa_system_sgpr_workgroup_id_z 0
		.amdhsa_system_sgpr_workgroup_info 0
		.amdhsa_system_vgpr_workitem_id 0
		.amdhsa_next_free_vgpr 30
		.amdhsa_next_free_sgpr 19
		.amdhsa_accum_offset 32
		.amdhsa_reserve_vcc 1
		.amdhsa_float_round_mode_32 0
		.amdhsa_float_round_mode_16_64 0
		.amdhsa_float_denorm_mode_32 3
		.amdhsa_float_denorm_mode_16_64 3
		.amdhsa_dx10_clamp 1
		.amdhsa_ieee_mode 1
		.amdhsa_fp16_overflow 0
		.amdhsa_tg_split 0
		.amdhsa_exception_fp_ieee_invalid_op 0
		.amdhsa_exception_fp_denorm_src 0
		.amdhsa_exception_fp_ieee_div_zero 0
		.amdhsa_exception_fp_ieee_overflow 0
		.amdhsa_exception_fp_ieee_underflow 0
		.amdhsa_exception_fp_ieee_inexact 0
		.amdhsa_exception_int_div_zero 0
	.end_amdhsa_kernel
	.section	.text._ZN7rocprim17ROCPRIM_400000_NS6detail17trampoline_kernelINS0_14default_configENS1_35radix_sort_onesweep_config_selectorIxxEEZNS1_34radix_sort_onesweep_global_offsetsIS3_Lb0EN6thrust23THRUST_200600_302600_NS6detail15normal_iteratorINS8_10device_ptrIxEEEESD_jNS0_19identity_decomposerEEE10hipError_tT1_T2_PT3_SI_jT4_jjP12ihipStream_tbEUlT_E_NS1_11comp_targetILNS1_3genE6ELNS1_11target_archE950ELNS1_3gpuE13ELNS1_3repE0EEENS1_52radix_sort_onesweep_histogram_config_static_selectorELNS0_4arch9wavefront6targetE1EEEvSG_,"axG",@progbits,_ZN7rocprim17ROCPRIM_400000_NS6detail17trampoline_kernelINS0_14default_configENS1_35radix_sort_onesweep_config_selectorIxxEEZNS1_34radix_sort_onesweep_global_offsetsIS3_Lb0EN6thrust23THRUST_200600_302600_NS6detail15normal_iteratorINS8_10device_ptrIxEEEESD_jNS0_19identity_decomposerEEE10hipError_tT1_T2_PT3_SI_jT4_jjP12ihipStream_tbEUlT_E_NS1_11comp_targetILNS1_3genE6ELNS1_11target_archE950ELNS1_3gpuE13ELNS1_3repE0EEENS1_52radix_sort_onesweep_histogram_config_static_selectorELNS0_4arch9wavefront6targetE1EEEvSG_,comdat
.Lfunc_end1171:
	.size	_ZN7rocprim17ROCPRIM_400000_NS6detail17trampoline_kernelINS0_14default_configENS1_35radix_sort_onesweep_config_selectorIxxEEZNS1_34radix_sort_onesweep_global_offsetsIS3_Lb0EN6thrust23THRUST_200600_302600_NS6detail15normal_iteratorINS8_10device_ptrIxEEEESD_jNS0_19identity_decomposerEEE10hipError_tT1_T2_PT3_SI_jT4_jjP12ihipStream_tbEUlT_E_NS1_11comp_targetILNS1_3genE6ELNS1_11target_archE950ELNS1_3gpuE13ELNS1_3repE0EEENS1_52radix_sort_onesweep_histogram_config_static_selectorELNS0_4arch9wavefront6targetE1EEEvSG_, .Lfunc_end1171-_ZN7rocprim17ROCPRIM_400000_NS6detail17trampoline_kernelINS0_14default_configENS1_35radix_sort_onesweep_config_selectorIxxEEZNS1_34radix_sort_onesweep_global_offsetsIS3_Lb0EN6thrust23THRUST_200600_302600_NS6detail15normal_iteratorINS8_10device_ptrIxEEEESD_jNS0_19identity_decomposerEEE10hipError_tT1_T2_PT3_SI_jT4_jjP12ihipStream_tbEUlT_E_NS1_11comp_targetILNS1_3genE6ELNS1_11target_archE950ELNS1_3gpuE13ELNS1_3repE0EEENS1_52radix_sort_onesweep_histogram_config_static_selectorELNS0_4arch9wavefront6targetE1EEEvSG_
                                        ; -- End function
	.set _ZN7rocprim17ROCPRIM_400000_NS6detail17trampoline_kernelINS0_14default_configENS1_35radix_sort_onesweep_config_selectorIxxEEZNS1_34radix_sort_onesweep_global_offsetsIS3_Lb0EN6thrust23THRUST_200600_302600_NS6detail15normal_iteratorINS8_10device_ptrIxEEEESD_jNS0_19identity_decomposerEEE10hipError_tT1_T2_PT3_SI_jT4_jjP12ihipStream_tbEUlT_E_NS1_11comp_targetILNS1_3genE6ELNS1_11target_archE950ELNS1_3gpuE13ELNS1_3repE0EEENS1_52radix_sort_onesweep_histogram_config_static_selectorELNS0_4arch9wavefront6targetE1EEEvSG_.num_vgpr, 30
	.set _ZN7rocprim17ROCPRIM_400000_NS6detail17trampoline_kernelINS0_14default_configENS1_35radix_sort_onesweep_config_selectorIxxEEZNS1_34radix_sort_onesweep_global_offsetsIS3_Lb0EN6thrust23THRUST_200600_302600_NS6detail15normal_iteratorINS8_10device_ptrIxEEEESD_jNS0_19identity_decomposerEEE10hipError_tT1_T2_PT3_SI_jT4_jjP12ihipStream_tbEUlT_E_NS1_11comp_targetILNS1_3genE6ELNS1_11target_archE950ELNS1_3gpuE13ELNS1_3repE0EEENS1_52radix_sort_onesweep_histogram_config_static_selectorELNS0_4arch9wavefront6targetE1EEEvSG_.num_agpr, 0
	.set _ZN7rocprim17ROCPRIM_400000_NS6detail17trampoline_kernelINS0_14default_configENS1_35radix_sort_onesweep_config_selectorIxxEEZNS1_34radix_sort_onesweep_global_offsetsIS3_Lb0EN6thrust23THRUST_200600_302600_NS6detail15normal_iteratorINS8_10device_ptrIxEEEESD_jNS0_19identity_decomposerEEE10hipError_tT1_T2_PT3_SI_jT4_jjP12ihipStream_tbEUlT_E_NS1_11comp_targetILNS1_3genE6ELNS1_11target_archE950ELNS1_3gpuE13ELNS1_3repE0EEENS1_52radix_sort_onesweep_histogram_config_static_selectorELNS0_4arch9wavefront6targetE1EEEvSG_.numbered_sgpr, 19
	.set _ZN7rocprim17ROCPRIM_400000_NS6detail17trampoline_kernelINS0_14default_configENS1_35radix_sort_onesweep_config_selectorIxxEEZNS1_34radix_sort_onesweep_global_offsetsIS3_Lb0EN6thrust23THRUST_200600_302600_NS6detail15normal_iteratorINS8_10device_ptrIxEEEESD_jNS0_19identity_decomposerEEE10hipError_tT1_T2_PT3_SI_jT4_jjP12ihipStream_tbEUlT_E_NS1_11comp_targetILNS1_3genE6ELNS1_11target_archE950ELNS1_3gpuE13ELNS1_3repE0EEENS1_52radix_sort_onesweep_histogram_config_static_selectorELNS0_4arch9wavefront6targetE1EEEvSG_.num_named_barrier, 0
	.set _ZN7rocprim17ROCPRIM_400000_NS6detail17trampoline_kernelINS0_14default_configENS1_35radix_sort_onesweep_config_selectorIxxEEZNS1_34radix_sort_onesweep_global_offsetsIS3_Lb0EN6thrust23THRUST_200600_302600_NS6detail15normal_iteratorINS8_10device_ptrIxEEEESD_jNS0_19identity_decomposerEEE10hipError_tT1_T2_PT3_SI_jT4_jjP12ihipStream_tbEUlT_E_NS1_11comp_targetILNS1_3genE6ELNS1_11target_archE950ELNS1_3gpuE13ELNS1_3repE0EEENS1_52radix_sort_onesweep_histogram_config_static_selectorELNS0_4arch9wavefront6targetE1EEEvSG_.private_seg_size, 0
	.set _ZN7rocprim17ROCPRIM_400000_NS6detail17trampoline_kernelINS0_14default_configENS1_35radix_sort_onesweep_config_selectorIxxEEZNS1_34radix_sort_onesweep_global_offsetsIS3_Lb0EN6thrust23THRUST_200600_302600_NS6detail15normal_iteratorINS8_10device_ptrIxEEEESD_jNS0_19identity_decomposerEEE10hipError_tT1_T2_PT3_SI_jT4_jjP12ihipStream_tbEUlT_E_NS1_11comp_targetILNS1_3genE6ELNS1_11target_archE950ELNS1_3gpuE13ELNS1_3repE0EEENS1_52radix_sort_onesweep_histogram_config_static_selectorELNS0_4arch9wavefront6targetE1EEEvSG_.uses_vcc, 1
	.set _ZN7rocprim17ROCPRIM_400000_NS6detail17trampoline_kernelINS0_14default_configENS1_35radix_sort_onesweep_config_selectorIxxEEZNS1_34radix_sort_onesweep_global_offsetsIS3_Lb0EN6thrust23THRUST_200600_302600_NS6detail15normal_iteratorINS8_10device_ptrIxEEEESD_jNS0_19identity_decomposerEEE10hipError_tT1_T2_PT3_SI_jT4_jjP12ihipStream_tbEUlT_E_NS1_11comp_targetILNS1_3genE6ELNS1_11target_archE950ELNS1_3gpuE13ELNS1_3repE0EEENS1_52radix_sort_onesweep_histogram_config_static_selectorELNS0_4arch9wavefront6targetE1EEEvSG_.uses_flat_scratch, 0
	.set _ZN7rocprim17ROCPRIM_400000_NS6detail17trampoline_kernelINS0_14default_configENS1_35radix_sort_onesweep_config_selectorIxxEEZNS1_34radix_sort_onesweep_global_offsetsIS3_Lb0EN6thrust23THRUST_200600_302600_NS6detail15normal_iteratorINS8_10device_ptrIxEEEESD_jNS0_19identity_decomposerEEE10hipError_tT1_T2_PT3_SI_jT4_jjP12ihipStream_tbEUlT_E_NS1_11comp_targetILNS1_3genE6ELNS1_11target_archE950ELNS1_3gpuE13ELNS1_3repE0EEENS1_52radix_sort_onesweep_histogram_config_static_selectorELNS0_4arch9wavefront6targetE1EEEvSG_.has_dyn_sized_stack, 0
	.set _ZN7rocprim17ROCPRIM_400000_NS6detail17trampoline_kernelINS0_14default_configENS1_35radix_sort_onesweep_config_selectorIxxEEZNS1_34radix_sort_onesweep_global_offsetsIS3_Lb0EN6thrust23THRUST_200600_302600_NS6detail15normal_iteratorINS8_10device_ptrIxEEEESD_jNS0_19identity_decomposerEEE10hipError_tT1_T2_PT3_SI_jT4_jjP12ihipStream_tbEUlT_E_NS1_11comp_targetILNS1_3genE6ELNS1_11target_archE950ELNS1_3gpuE13ELNS1_3repE0EEENS1_52radix_sort_onesweep_histogram_config_static_selectorELNS0_4arch9wavefront6targetE1EEEvSG_.has_recursion, 0
	.set _ZN7rocprim17ROCPRIM_400000_NS6detail17trampoline_kernelINS0_14default_configENS1_35radix_sort_onesweep_config_selectorIxxEEZNS1_34radix_sort_onesweep_global_offsetsIS3_Lb0EN6thrust23THRUST_200600_302600_NS6detail15normal_iteratorINS8_10device_ptrIxEEEESD_jNS0_19identity_decomposerEEE10hipError_tT1_T2_PT3_SI_jT4_jjP12ihipStream_tbEUlT_E_NS1_11comp_targetILNS1_3genE6ELNS1_11target_archE950ELNS1_3gpuE13ELNS1_3repE0EEENS1_52radix_sort_onesweep_histogram_config_static_selectorELNS0_4arch9wavefront6targetE1EEEvSG_.has_indirect_call, 0
	.section	.AMDGPU.csdata,"",@progbits
; Kernel info:
; codeLenInByte = 14828
; TotalNumSgprs: 25
; NumVgprs: 30
; NumAgprs: 0
; TotalNumVgprs: 30
; ScratchSize: 0
; MemoryBound: 0
; FloatMode: 240
; IeeeMode: 1
; LDSByteSize: 32768 bytes/workgroup (compile time only)
; SGPRBlocks: 3
; VGPRBlocks: 3
; NumSGPRsForWavesPerEU: 25
; NumVGPRsForWavesPerEU: 30
; AccumOffset: 32
; Occupancy: 8
; WaveLimiterHint : 1
; COMPUTE_PGM_RSRC2:SCRATCH_EN: 0
; COMPUTE_PGM_RSRC2:USER_SGPR: 2
; COMPUTE_PGM_RSRC2:TRAP_HANDLER: 0
; COMPUTE_PGM_RSRC2:TGID_X_EN: 1
; COMPUTE_PGM_RSRC2:TGID_Y_EN: 0
; COMPUTE_PGM_RSRC2:TGID_Z_EN: 0
; COMPUTE_PGM_RSRC2:TIDIG_COMP_CNT: 0
; COMPUTE_PGM_RSRC3_GFX90A:ACCUM_OFFSET: 7
; COMPUTE_PGM_RSRC3_GFX90A:TG_SPLIT: 0
	.section	.text._ZN7rocprim17ROCPRIM_400000_NS6detail17trampoline_kernelINS0_14default_configENS1_35radix_sort_onesweep_config_selectorIxxEEZNS1_34radix_sort_onesweep_global_offsetsIS3_Lb0EN6thrust23THRUST_200600_302600_NS6detail15normal_iteratorINS8_10device_ptrIxEEEESD_jNS0_19identity_decomposerEEE10hipError_tT1_T2_PT3_SI_jT4_jjP12ihipStream_tbEUlT_E_NS1_11comp_targetILNS1_3genE5ELNS1_11target_archE942ELNS1_3gpuE9ELNS1_3repE0EEENS1_52radix_sort_onesweep_histogram_config_static_selectorELNS0_4arch9wavefront6targetE1EEEvSG_,"axG",@progbits,_ZN7rocprim17ROCPRIM_400000_NS6detail17trampoline_kernelINS0_14default_configENS1_35radix_sort_onesweep_config_selectorIxxEEZNS1_34radix_sort_onesweep_global_offsetsIS3_Lb0EN6thrust23THRUST_200600_302600_NS6detail15normal_iteratorINS8_10device_ptrIxEEEESD_jNS0_19identity_decomposerEEE10hipError_tT1_T2_PT3_SI_jT4_jjP12ihipStream_tbEUlT_E_NS1_11comp_targetILNS1_3genE5ELNS1_11target_archE942ELNS1_3gpuE9ELNS1_3repE0EEENS1_52radix_sort_onesweep_histogram_config_static_selectorELNS0_4arch9wavefront6targetE1EEEvSG_,comdat
	.protected	_ZN7rocprim17ROCPRIM_400000_NS6detail17trampoline_kernelINS0_14default_configENS1_35radix_sort_onesweep_config_selectorIxxEEZNS1_34radix_sort_onesweep_global_offsetsIS3_Lb0EN6thrust23THRUST_200600_302600_NS6detail15normal_iteratorINS8_10device_ptrIxEEEESD_jNS0_19identity_decomposerEEE10hipError_tT1_T2_PT3_SI_jT4_jjP12ihipStream_tbEUlT_E_NS1_11comp_targetILNS1_3genE5ELNS1_11target_archE942ELNS1_3gpuE9ELNS1_3repE0EEENS1_52radix_sort_onesweep_histogram_config_static_selectorELNS0_4arch9wavefront6targetE1EEEvSG_ ; -- Begin function _ZN7rocprim17ROCPRIM_400000_NS6detail17trampoline_kernelINS0_14default_configENS1_35radix_sort_onesweep_config_selectorIxxEEZNS1_34radix_sort_onesweep_global_offsetsIS3_Lb0EN6thrust23THRUST_200600_302600_NS6detail15normal_iteratorINS8_10device_ptrIxEEEESD_jNS0_19identity_decomposerEEE10hipError_tT1_T2_PT3_SI_jT4_jjP12ihipStream_tbEUlT_E_NS1_11comp_targetILNS1_3genE5ELNS1_11target_archE942ELNS1_3gpuE9ELNS1_3repE0EEENS1_52radix_sort_onesweep_histogram_config_static_selectorELNS0_4arch9wavefront6targetE1EEEvSG_
	.globl	_ZN7rocprim17ROCPRIM_400000_NS6detail17trampoline_kernelINS0_14default_configENS1_35radix_sort_onesweep_config_selectorIxxEEZNS1_34radix_sort_onesweep_global_offsetsIS3_Lb0EN6thrust23THRUST_200600_302600_NS6detail15normal_iteratorINS8_10device_ptrIxEEEESD_jNS0_19identity_decomposerEEE10hipError_tT1_T2_PT3_SI_jT4_jjP12ihipStream_tbEUlT_E_NS1_11comp_targetILNS1_3genE5ELNS1_11target_archE942ELNS1_3gpuE9ELNS1_3repE0EEENS1_52radix_sort_onesweep_histogram_config_static_selectorELNS0_4arch9wavefront6targetE1EEEvSG_
	.p2align	8
	.type	_ZN7rocprim17ROCPRIM_400000_NS6detail17trampoline_kernelINS0_14default_configENS1_35radix_sort_onesweep_config_selectorIxxEEZNS1_34radix_sort_onesweep_global_offsetsIS3_Lb0EN6thrust23THRUST_200600_302600_NS6detail15normal_iteratorINS8_10device_ptrIxEEEESD_jNS0_19identity_decomposerEEE10hipError_tT1_T2_PT3_SI_jT4_jjP12ihipStream_tbEUlT_E_NS1_11comp_targetILNS1_3genE5ELNS1_11target_archE942ELNS1_3gpuE9ELNS1_3repE0EEENS1_52radix_sort_onesweep_histogram_config_static_selectorELNS0_4arch9wavefront6targetE1EEEvSG_,@function
_ZN7rocprim17ROCPRIM_400000_NS6detail17trampoline_kernelINS0_14default_configENS1_35radix_sort_onesweep_config_selectorIxxEEZNS1_34radix_sort_onesweep_global_offsetsIS3_Lb0EN6thrust23THRUST_200600_302600_NS6detail15normal_iteratorINS8_10device_ptrIxEEEESD_jNS0_19identity_decomposerEEE10hipError_tT1_T2_PT3_SI_jT4_jjP12ihipStream_tbEUlT_E_NS1_11comp_targetILNS1_3genE5ELNS1_11target_archE942ELNS1_3gpuE9ELNS1_3repE0EEENS1_52radix_sort_onesweep_histogram_config_static_selectorELNS0_4arch9wavefront6targetE1EEEvSG_: ; @_ZN7rocprim17ROCPRIM_400000_NS6detail17trampoline_kernelINS0_14default_configENS1_35radix_sort_onesweep_config_selectorIxxEEZNS1_34radix_sort_onesweep_global_offsetsIS3_Lb0EN6thrust23THRUST_200600_302600_NS6detail15normal_iteratorINS8_10device_ptrIxEEEESD_jNS0_19identity_decomposerEEE10hipError_tT1_T2_PT3_SI_jT4_jjP12ihipStream_tbEUlT_E_NS1_11comp_targetILNS1_3genE5ELNS1_11target_archE942ELNS1_3gpuE9ELNS1_3repE0EEENS1_52radix_sort_onesweep_histogram_config_static_selectorELNS0_4arch9wavefront6targetE1EEEvSG_
; %bb.0:
	.section	.rodata,"a",@progbits
	.p2align	6, 0x0
	.amdhsa_kernel _ZN7rocprim17ROCPRIM_400000_NS6detail17trampoline_kernelINS0_14default_configENS1_35radix_sort_onesweep_config_selectorIxxEEZNS1_34radix_sort_onesweep_global_offsetsIS3_Lb0EN6thrust23THRUST_200600_302600_NS6detail15normal_iteratorINS8_10device_ptrIxEEEESD_jNS0_19identity_decomposerEEE10hipError_tT1_T2_PT3_SI_jT4_jjP12ihipStream_tbEUlT_E_NS1_11comp_targetILNS1_3genE5ELNS1_11target_archE942ELNS1_3gpuE9ELNS1_3repE0EEENS1_52radix_sort_onesweep_histogram_config_static_selectorELNS0_4arch9wavefront6targetE1EEEvSG_
		.amdhsa_group_segment_fixed_size 0
		.amdhsa_private_segment_fixed_size 0
		.amdhsa_kernarg_size 40
		.amdhsa_user_sgpr_count 2
		.amdhsa_user_sgpr_dispatch_ptr 0
		.amdhsa_user_sgpr_queue_ptr 0
		.amdhsa_user_sgpr_kernarg_segment_ptr 1
		.amdhsa_user_sgpr_dispatch_id 0
		.amdhsa_user_sgpr_kernarg_preload_length 0
		.amdhsa_user_sgpr_kernarg_preload_offset 0
		.amdhsa_user_sgpr_private_segment_size 0
		.amdhsa_uses_dynamic_stack 0
		.amdhsa_enable_private_segment 0
		.amdhsa_system_sgpr_workgroup_id_x 1
		.amdhsa_system_sgpr_workgroup_id_y 0
		.amdhsa_system_sgpr_workgroup_id_z 0
		.amdhsa_system_sgpr_workgroup_info 0
		.amdhsa_system_vgpr_workitem_id 0
		.amdhsa_next_free_vgpr 1
		.amdhsa_next_free_sgpr 0
		.amdhsa_accum_offset 4
		.amdhsa_reserve_vcc 0
		.amdhsa_float_round_mode_32 0
		.amdhsa_float_round_mode_16_64 0
		.amdhsa_float_denorm_mode_32 3
		.amdhsa_float_denorm_mode_16_64 3
		.amdhsa_dx10_clamp 1
		.amdhsa_ieee_mode 1
		.amdhsa_fp16_overflow 0
		.amdhsa_tg_split 0
		.amdhsa_exception_fp_ieee_invalid_op 0
		.amdhsa_exception_fp_denorm_src 0
		.amdhsa_exception_fp_ieee_div_zero 0
		.amdhsa_exception_fp_ieee_overflow 0
		.amdhsa_exception_fp_ieee_underflow 0
		.amdhsa_exception_fp_ieee_inexact 0
		.amdhsa_exception_int_div_zero 0
	.end_amdhsa_kernel
	.section	.text._ZN7rocprim17ROCPRIM_400000_NS6detail17trampoline_kernelINS0_14default_configENS1_35radix_sort_onesweep_config_selectorIxxEEZNS1_34radix_sort_onesweep_global_offsetsIS3_Lb0EN6thrust23THRUST_200600_302600_NS6detail15normal_iteratorINS8_10device_ptrIxEEEESD_jNS0_19identity_decomposerEEE10hipError_tT1_T2_PT3_SI_jT4_jjP12ihipStream_tbEUlT_E_NS1_11comp_targetILNS1_3genE5ELNS1_11target_archE942ELNS1_3gpuE9ELNS1_3repE0EEENS1_52radix_sort_onesweep_histogram_config_static_selectorELNS0_4arch9wavefront6targetE1EEEvSG_,"axG",@progbits,_ZN7rocprim17ROCPRIM_400000_NS6detail17trampoline_kernelINS0_14default_configENS1_35radix_sort_onesweep_config_selectorIxxEEZNS1_34radix_sort_onesweep_global_offsetsIS3_Lb0EN6thrust23THRUST_200600_302600_NS6detail15normal_iteratorINS8_10device_ptrIxEEEESD_jNS0_19identity_decomposerEEE10hipError_tT1_T2_PT3_SI_jT4_jjP12ihipStream_tbEUlT_E_NS1_11comp_targetILNS1_3genE5ELNS1_11target_archE942ELNS1_3gpuE9ELNS1_3repE0EEENS1_52radix_sort_onesweep_histogram_config_static_selectorELNS0_4arch9wavefront6targetE1EEEvSG_,comdat
.Lfunc_end1172:
	.size	_ZN7rocprim17ROCPRIM_400000_NS6detail17trampoline_kernelINS0_14default_configENS1_35radix_sort_onesweep_config_selectorIxxEEZNS1_34radix_sort_onesweep_global_offsetsIS3_Lb0EN6thrust23THRUST_200600_302600_NS6detail15normal_iteratorINS8_10device_ptrIxEEEESD_jNS0_19identity_decomposerEEE10hipError_tT1_T2_PT3_SI_jT4_jjP12ihipStream_tbEUlT_E_NS1_11comp_targetILNS1_3genE5ELNS1_11target_archE942ELNS1_3gpuE9ELNS1_3repE0EEENS1_52radix_sort_onesweep_histogram_config_static_selectorELNS0_4arch9wavefront6targetE1EEEvSG_, .Lfunc_end1172-_ZN7rocprim17ROCPRIM_400000_NS6detail17trampoline_kernelINS0_14default_configENS1_35radix_sort_onesweep_config_selectorIxxEEZNS1_34radix_sort_onesweep_global_offsetsIS3_Lb0EN6thrust23THRUST_200600_302600_NS6detail15normal_iteratorINS8_10device_ptrIxEEEESD_jNS0_19identity_decomposerEEE10hipError_tT1_T2_PT3_SI_jT4_jjP12ihipStream_tbEUlT_E_NS1_11comp_targetILNS1_3genE5ELNS1_11target_archE942ELNS1_3gpuE9ELNS1_3repE0EEENS1_52radix_sort_onesweep_histogram_config_static_selectorELNS0_4arch9wavefront6targetE1EEEvSG_
                                        ; -- End function
	.set _ZN7rocprim17ROCPRIM_400000_NS6detail17trampoline_kernelINS0_14default_configENS1_35radix_sort_onesweep_config_selectorIxxEEZNS1_34radix_sort_onesweep_global_offsetsIS3_Lb0EN6thrust23THRUST_200600_302600_NS6detail15normal_iteratorINS8_10device_ptrIxEEEESD_jNS0_19identity_decomposerEEE10hipError_tT1_T2_PT3_SI_jT4_jjP12ihipStream_tbEUlT_E_NS1_11comp_targetILNS1_3genE5ELNS1_11target_archE942ELNS1_3gpuE9ELNS1_3repE0EEENS1_52radix_sort_onesweep_histogram_config_static_selectorELNS0_4arch9wavefront6targetE1EEEvSG_.num_vgpr, 0
	.set _ZN7rocprim17ROCPRIM_400000_NS6detail17trampoline_kernelINS0_14default_configENS1_35radix_sort_onesweep_config_selectorIxxEEZNS1_34radix_sort_onesweep_global_offsetsIS3_Lb0EN6thrust23THRUST_200600_302600_NS6detail15normal_iteratorINS8_10device_ptrIxEEEESD_jNS0_19identity_decomposerEEE10hipError_tT1_T2_PT3_SI_jT4_jjP12ihipStream_tbEUlT_E_NS1_11comp_targetILNS1_3genE5ELNS1_11target_archE942ELNS1_3gpuE9ELNS1_3repE0EEENS1_52radix_sort_onesweep_histogram_config_static_selectorELNS0_4arch9wavefront6targetE1EEEvSG_.num_agpr, 0
	.set _ZN7rocprim17ROCPRIM_400000_NS6detail17trampoline_kernelINS0_14default_configENS1_35radix_sort_onesweep_config_selectorIxxEEZNS1_34radix_sort_onesweep_global_offsetsIS3_Lb0EN6thrust23THRUST_200600_302600_NS6detail15normal_iteratorINS8_10device_ptrIxEEEESD_jNS0_19identity_decomposerEEE10hipError_tT1_T2_PT3_SI_jT4_jjP12ihipStream_tbEUlT_E_NS1_11comp_targetILNS1_3genE5ELNS1_11target_archE942ELNS1_3gpuE9ELNS1_3repE0EEENS1_52radix_sort_onesweep_histogram_config_static_selectorELNS0_4arch9wavefront6targetE1EEEvSG_.numbered_sgpr, 0
	.set _ZN7rocprim17ROCPRIM_400000_NS6detail17trampoline_kernelINS0_14default_configENS1_35radix_sort_onesweep_config_selectorIxxEEZNS1_34radix_sort_onesweep_global_offsetsIS3_Lb0EN6thrust23THRUST_200600_302600_NS6detail15normal_iteratorINS8_10device_ptrIxEEEESD_jNS0_19identity_decomposerEEE10hipError_tT1_T2_PT3_SI_jT4_jjP12ihipStream_tbEUlT_E_NS1_11comp_targetILNS1_3genE5ELNS1_11target_archE942ELNS1_3gpuE9ELNS1_3repE0EEENS1_52radix_sort_onesweep_histogram_config_static_selectorELNS0_4arch9wavefront6targetE1EEEvSG_.num_named_barrier, 0
	.set _ZN7rocprim17ROCPRIM_400000_NS6detail17trampoline_kernelINS0_14default_configENS1_35radix_sort_onesweep_config_selectorIxxEEZNS1_34radix_sort_onesweep_global_offsetsIS3_Lb0EN6thrust23THRUST_200600_302600_NS6detail15normal_iteratorINS8_10device_ptrIxEEEESD_jNS0_19identity_decomposerEEE10hipError_tT1_T2_PT3_SI_jT4_jjP12ihipStream_tbEUlT_E_NS1_11comp_targetILNS1_3genE5ELNS1_11target_archE942ELNS1_3gpuE9ELNS1_3repE0EEENS1_52radix_sort_onesweep_histogram_config_static_selectorELNS0_4arch9wavefront6targetE1EEEvSG_.private_seg_size, 0
	.set _ZN7rocprim17ROCPRIM_400000_NS6detail17trampoline_kernelINS0_14default_configENS1_35radix_sort_onesweep_config_selectorIxxEEZNS1_34radix_sort_onesweep_global_offsetsIS3_Lb0EN6thrust23THRUST_200600_302600_NS6detail15normal_iteratorINS8_10device_ptrIxEEEESD_jNS0_19identity_decomposerEEE10hipError_tT1_T2_PT3_SI_jT4_jjP12ihipStream_tbEUlT_E_NS1_11comp_targetILNS1_3genE5ELNS1_11target_archE942ELNS1_3gpuE9ELNS1_3repE0EEENS1_52radix_sort_onesweep_histogram_config_static_selectorELNS0_4arch9wavefront6targetE1EEEvSG_.uses_vcc, 0
	.set _ZN7rocprim17ROCPRIM_400000_NS6detail17trampoline_kernelINS0_14default_configENS1_35radix_sort_onesweep_config_selectorIxxEEZNS1_34radix_sort_onesweep_global_offsetsIS3_Lb0EN6thrust23THRUST_200600_302600_NS6detail15normal_iteratorINS8_10device_ptrIxEEEESD_jNS0_19identity_decomposerEEE10hipError_tT1_T2_PT3_SI_jT4_jjP12ihipStream_tbEUlT_E_NS1_11comp_targetILNS1_3genE5ELNS1_11target_archE942ELNS1_3gpuE9ELNS1_3repE0EEENS1_52radix_sort_onesweep_histogram_config_static_selectorELNS0_4arch9wavefront6targetE1EEEvSG_.uses_flat_scratch, 0
	.set _ZN7rocprim17ROCPRIM_400000_NS6detail17trampoline_kernelINS0_14default_configENS1_35radix_sort_onesweep_config_selectorIxxEEZNS1_34radix_sort_onesweep_global_offsetsIS3_Lb0EN6thrust23THRUST_200600_302600_NS6detail15normal_iteratorINS8_10device_ptrIxEEEESD_jNS0_19identity_decomposerEEE10hipError_tT1_T2_PT3_SI_jT4_jjP12ihipStream_tbEUlT_E_NS1_11comp_targetILNS1_3genE5ELNS1_11target_archE942ELNS1_3gpuE9ELNS1_3repE0EEENS1_52radix_sort_onesweep_histogram_config_static_selectorELNS0_4arch9wavefront6targetE1EEEvSG_.has_dyn_sized_stack, 0
	.set _ZN7rocprim17ROCPRIM_400000_NS6detail17trampoline_kernelINS0_14default_configENS1_35radix_sort_onesweep_config_selectorIxxEEZNS1_34radix_sort_onesweep_global_offsetsIS3_Lb0EN6thrust23THRUST_200600_302600_NS6detail15normal_iteratorINS8_10device_ptrIxEEEESD_jNS0_19identity_decomposerEEE10hipError_tT1_T2_PT3_SI_jT4_jjP12ihipStream_tbEUlT_E_NS1_11comp_targetILNS1_3genE5ELNS1_11target_archE942ELNS1_3gpuE9ELNS1_3repE0EEENS1_52radix_sort_onesweep_histogram_config_static_selectorELNS0_4arch9wavefront6targetE1EEEvSG_.has_recursion, 0
	.set _ZN7rocprim17ROCPRIM_400000_NS6detail17trampoline_kernelINS0_14default_configENS1_35radix_sort_onesweep_config_selectorIxxEEZNS1_34radix_sort_onesweep_global_offsetsIS3_Lb0EN6thrust23THRUST_200600_302600_NS6detail15normal_iteratorINS8_10device_ptrIxEEEESD_jNS0_19identity_decomposerEEE10hipError_tT1_T2_PT3_SI_jT4_jjP12ihipStream_tbEUlT_E_NS1_11comp_targetILNS1_3genE5ELNS1_11target_archE942ELNS1_3gpuE9ELNS1_3repE0EEENS1_52radix_sort_onesweep_histogram_config_static_selectorELNS0_4arch9wavefront6targetE1EEEvSG_.has_indirect_call, 0
	.section	.AMDGPU.csdata,"",@progbits
; Kernel info:
; codeLenInByte = 0
; TotalNumSgprs: 6
; NumVgprs: 0
; NumAgprs: 0
; TotalNumVgprs: 0
; ScratchSize: 0
; MemoryBound: 0
; FloatMode: 240
; IeeeMode: 1
; LDSByteSize: 0 bytes/workgroup (compile time only)
; SGPRBlocks: 0
; VGPRBlocks: 0
; NumSGPRsForWavesPerEU: 6
; NumVGPRsForWavesPerEU: 1
; AccumOffset: 4
; Occupancy: 8
; WaveLimiterHint : 0
; COMPUTE_PGM_RSRC2:SCRATCH_EN: 0
; COMPUTE_PGM_RSRC2:USER_SGPR: 2
; COMPUTE_PGM_RSRC2:TRAP_HANDLER: 0
; COMPUTE_PGM_RSRC2:TGID_X_EN: 1
; COMPUTE_PGM_RSRC2:TGID_Y_EN: 0
; COMPUTE_PGM_RSRC2:TGID_Z_EN: 0
; COMPUTE_PGM_RSRC2:TIDIG_COMP_CNT: 0
; COMPUTE_PGM_RSRC3_GFX90A:ACCUM_OFFSET: 0
; COMPUTE_PGM_RSRC3_GFX90A:TG_SPLIT: 0
	.section	.text._ZN7rocprim17ROCPRIM_400000_NS6detail17trampoline_kernelINS0_14default_configENS1_35radix_sort_onesweep_config_selectorIxxEEZNS1_34radix_sort_onesweep_global_offsetsIS3_Lb0EN6thrust23THRUST_200600_302600_NS6detail15normal_iteratorINS8_10device_ptrIxEEEESD_jNS0_19identity_decomposerEEE10hipError_tT1_T2_PT3_SI_jT4_jjP12ihipStream_tbEUlT_E_NS1_11comp_targetILNS1_3genE2ELNS1_11target_archE906ELNS1_3gpuE6ELNS1_3repE0EEENS1_52radix_sort_onesweep_histogram_config_static_selectorELNS0_4arch9wavefront6targetE1EEEvSG_,"axG",@progbits,_ZN7rocprim17ROCPRIM_400000_NS6detail17trampoline_kernelINS0_14default_configENS1_35radix_sort_onesweep_config_selectorIxxEEZNS1_34radix_sort_onesweep_global_offsetsIS3_Lb0EN6thrust23THRUST_200600_302600_NS6detail15normal_iteratorINS8_10device_ptrIxEEEESD_jNS0_19identity_decomposerEEE10hipError_tT1_T2_PT3_SI_jT4_jjP12ihipStream_tbEUlT_E_NS1_11comp_targetILNS1_3genE2ELNS1_11target_archE906ELNS1_3gpuE6ELNS1_3repE0EEENS1_52radix_sort_onesweep_histogram_config_static_selectorELNS0_4arch9wavefront6targetE1EEEvSG_,comdat
	.protected	_ZN7rocprim17ROCPRIM_400000_NS6detail17trampoline_kernelINS0_14default_configENS1_35radix_sort_onesweep_config_selectorIxxEEZNS1_34radix_sort_onesweep_global_offsetsIS3_Lb0EN6thrust23THRUST_200600_302600_NS6detail15normal_iteratorINS8_10device_ptrIxEEEESD_jNS0_19identity_decomposerEEE10hipError_tT1_T2_PT3_SI_jT4_jjP12ihipStream_tbEUlT_E_NS1_11comp_targetILNS1_3genE2ELNS1_11target_archE906ELNS1_3gpuE6ELNS1_3repE0EEENS1_52radix_sort_onesweep_histogram_config_static_selectorELNS0_4arch9wavefront6targetE1EEEvSG_ ; -- Begin function _ZN7rocprim17ROCPRIM_400000_NS6detail17trampoline_kernelINS0_14default_configENS1_35radix_sort_onesweep_config_selectorIxxEEZNS1_34radix_sort_onesweep_global_offsetsIS3_Lb0EN6thrust23THRUST_200600_302600_NS6detail15normal_iteratorINS8_10device_ptrIxEEEESD_jNS0_19identity_decomposerEEE10hipError_tT1_T2_PT3_SI_jT4_jjP12ihipStream_tbEUlT_E_NS1_11comp_targetILNS1_3genE2ELNS1_11target_archE906ELNS1_3gpuE6ELNS1_3repE0EEENS1_52radix_sort_onesweep_histogram_config_static_selectorELNS0_4arch9wavefront6targetE1EEEvSG_
	.globl	_ZN7rocprim17ROCPRIM_400000_NS6detail17trampoline_kernelINS0_14default_configENS1_35radix_sort_onesweep_config_selectorIxxEEZNS1_34radix_sort_onesweep_global_offsetsIS3_Lb0EN6thrust23THRUST_200600_302600_NS6detail15normal_iteratorINS8_10device_ptrIxEEEESD_jNS0_19identity_decomposerEEE10hipError_tT1_T2_PT3_SI_jT4_jjP12ihipStream_tbEUlT_E_NS1_11comp_targetILNS1_3genE2ELNS1_11target_archE906ELNS1_3gpuE6ELNS1_3repE0EEENS1_52radix_sort_onesweep_histogram_config_static_selectorELNS0_4arch9wavefront6targetE1EEEvSG_
	.p2align	8
	.type	_ZN7rocprim17ROCPRIM_400000_NS6detail17trampoline_kernelINS0_14default_configENS1_35radix_sort_onesweep_config_selectorIxxEEZNS1_34radix_sort_onesweep_global_offsetsIS3_Lb0EN6thrust23THRUST_200600_302600_NS6detail15normal_iteratorINS8_10device_ptrIxEEEESD_jNS0_19identity_decomposerEEE10hipError_tT1_T2_PT3_SI_jT4_jjP12ihipStream_tbEUlT_E_NS1_11comp_targetILNS1_3genE2ELNS1_11target_archE906ELNS1_3gpuE6ELNS1_3repE0EEENS1_52radix_sort_onesweep_histogram_config_static_selectorELNS0_4arch9wavefront6targetE1EEEvSG_,@function
_ZN7rocprim17ROCPRIM_400000_NS6detail17trampoline_kernelINS0_14default_configENS1_35radix_sort_onesweep_config_selectorIxxEEZNS1_34radix_sort_onesweep_global_offsetsIS3_Lb0EN6thrust23THRUST_200600_302600_NS6detail15normal_iteratorINS8_10device_ptrIxEEEESD_jNS0_19identity_decomposerEEE10hipError_tT1_T2_PT3_SI_jT4_jjP12ihipStream_tbEUlT_E_NS1_11comp_targetILNS1_3genE2ELNS1_11target_archE906ELNS1_3gpuE6ELNS1_3repE0EEENS1_52radix_sort_onesweep_histogram_config_static_selectorELNS0_4arch9wavefront6targetE1EEEvSG_: ; @_ZN7rocprim17ROCPRIM_400000_NS6detail17trampoline_kernelINS0_14default_configENS1_35radix_sort_onesweep_config_selectorIxxEEZNS1_34radix_sort_onesweep_global_offsetsIS3_Lb0EN6thrust23THRUST_200600_302600_NS6detail15normal_iteratorINS8_10device_ptrIxEEEESD_jNS0_19identity_decomposerEEE10hipError_tT1_T2_PT3_SI_jT4_jjP12ihipStream_tbEUlT_E_NS1_11comp_targetILNS1_3genE2ELNS1_11target_archE906ELNS1_3gpuE6ELNS1_3repE0EEENS1_52radix_sort_onesweep_histogram_config_static_selectorELNS0_4arch9wavefront6targetE1EEEvSG_
; %bb.0:
	.section	.rodata,"a",@progbits
	.p2align	6, 0x0
	.amdhsa_kernel _ZN7rocprim17ROCPRIM_400000_NS6detail17trampoline_kernelINS0_14default_configENS1_35radix_sort_onesweep_config_selectorIxxEEZNS1_34radix_sort_onesweep_global_offsetsIS3_Lb0EN6thrust23THRUST_200600_302600_NS6detail15normal_iteratorINS8_10device_ptrIxEEEESD_jNS0_19identity_decomposerEEE10hipError_tT1_T2_PT3_SI_jT4_jjP12ihipStream_tbEUlT_E_NS1_11comp_targetILNS1_3genE2ELNS1_11target_archE906ELNS1_3gpuE6ELNS1_3repE0EEENS1_52radix_sort_onesweep_histogram_config_static_selectorELNS0_4arch9wavefront6targetE1EEEvSG_
		.amdhsa_group_segment_fixed_size 0
		.amdhsa_private_segment_fixed_size 0
		.amdhsa_kernarg_size 40
		.amdhsa_user_sgpr_count 2
		.amdhsa_user_sgpr_dispatch_ptr 0
		.amdhsa_user_sgpr_queue_ptr 0
		.amdhsa_user_sgpr_kernarg_segment_ptr 1
		.amdhsa_user_sgpr_dispatch_id 0
		.amdhsa_user_sgpr_kernarg_preload_length 0
		.amdhsa_user_sgpr_kernarg_preload_offset 0
		.amdhsa_user_sgpr_private_segment_size 0
		.amdhsa_uses_dynamic_stack 0
		.amdhsa_enable_private_segment 0
		.amdhsa_system_sgpr_workgroup_id_x 1
		.amdhsa_system_sgpr_workgroup_id_y 0
		.amdhsa_system_sgpr_workgroup_id_z 0
		.amdhsa_system_sgpr_workgroup_info 0
		.amdhsa_system_vgpr_workitem_id 0
		.amdhsa_next_free_vgpr 1
		.amdhsa_next_free_sgpr 0
		.amdhsa_accum_offset 4
		.amdhsa_reserve_vcc 0
		.amdhsa_float_round_mode_32 0
		.amdhsa_float_round_mode_16_64 0
		.amdhsa_float_denorm_mode_32 3
		.amdhsa_float_denorm_mode_16_64 3
		.amdhsa_dx10_clamp 1
		.amdhsa_ieee_mode 1
		.amdhsa_fp16_overflow 0
		.amdhsa_tg_split 0
		.amdhsa_exception_fp_ieee_invalid_op 0
		.amdhsa_exception_fp_denorm_src 0
		.amdhsa_exception_fp_ieee_div_zero 0
		.amdhsa_exception_fp_ieee_overflow 0
		.amdhsa_exception_fp_ieee_underflow 0
		.amdhsa_exception_fp_ieee_inexact 0
		.amdhsa_exception_int_div_zero 0
	.end_amdhsa_kernel
	.section	.text._ZN7rocprim17ROCPRIM_400000_NS6detail17trampoline_kernelINS0_14default_configENS1_35radix_sort_onesweep_config_selectorIxxEEZNS1_34radix_sort_onesweep_global_offsetsIS3_Lb0EN6thrust23THRUST_200600_302600_NS6detail15normal_iteratorINS8_10device_ptrIxEEEESD_jNS0_19identity_decomposerEEE10hipError_tT1_T2_PT3_SI_jT4_jjP12ihipStream_tbEUlT_E_NS1_11comp_targetILNS1_3genE2ELNS1_11target_archE906ELNS1_3gpuE6ELNS1_3repE0EEENS1_52radix_sort_onesweep_histogram_config_static_selectorELNS0_4arch9wavefront6targetE1EEEvSG_,"axG",@progbits,_ZN7rocprim17ROCPRIM_400000_NS6detail17trampoline_kernelINS0_14default_configENS1_35radix_sort_onesweep_config_selectorIxxEEZNS1_34radix_sort_onesweep_global_offsetsIS3_Lb0EN6thrust23THRUST_200600_302600_NS6detail15normal_iteratorINS8_10device_ptrIxEEEESD_jNS0_19identity_decomposerEEE10hipError_tT1_T2_PT3_SI_jT4_jjP12ihipStream_tbEUlT_E_NS1_11comp_targetILNS1_3genE2ELNS1_11target_archE906ELNS1_3gpuE6ELNS1_3repE0EEENS1_52radix_sort_onesweep_histogram_config_static_selectorELNS0_4arch9wavefront6targetE1EEEvSG_,comdat
.Lfunc_end1173:
	.size	_ZN7rocprim17ROCPRIM_400000_NS6detail17trampoline_kernelINS0_14default_configENS1_35radix_sort_onesweep_config_selectorIxxEEZNS1_34radix_sort_onesweep_global_offsetsIS3_Lb0EN6thrust23THRUST_200600_302600_NS6detail15normal_iteratorINS8_10device_ptrIxEEEESD_jNS0_19identity_decomposerEEE10hipError_tT1_T2_PT3_SI_jT4_jjP12ihipStream_tbEUlT_E_NS1_11comp_targetILNS1_3genE2ELNS1_11target_archE906ELNS1_3gpuE6ELNS1_3repE0EEENS1_52radix_sort_onesweep_histogram_config_static_selectorELNS0_4arch9wavefront6targetE1EEEvSG_, .Lfunc_end1173-_ZN7rocprim17ROCPRIM_400000_NS6detail17trampoline_kernelINS0_14default_configENS1_35radix_sort_onesweep_config_selectorIxxEEZNS1_34radix_sort_onesweep_global_offsetsIS3_Lb0EN6thrust23THRUST_200600_302600_NS6detail15normal_iteratorINS8_10device_ptrIxEEEESD_jNS0_19identity_decomposerEEE10hipError_tT1_T2_PT3_SI_jT4_jjP12ihipStream_tbEUlT_E_NS1_11comp_targetILNS1_3genE2ELNS1_11target_archE906ELNS1_3gpuE6ELNS1_3repE0EEENS1_52radix_sort_onesweep_histogram_config_static_selectorELNS0_4arch9wavefront6targetE1EEEvSG_
                                        ; -- End function
	.set _ZN7rocprim17ROCPRIM_400000_NS6detail17trampoline_kernelINS0_14default_configENS1_35radix_sort_onesweep_config_selectorIxxEEZNS1_34radix_sort_onesweep_global_offsetsIS3_Lb0EN6thrust23THRUST_200600_302600_NS6detail15normal_iteratorINS8_10device_ptrIxEEEESD_jNS0_19identity_decomposerEEE10hipError_tT1_T2_PT3_SI_jT4_jjP12ihipStream_tbEUlT_E_NS1_11comp_targetILNS1_3genE2ELNS1_11target_archE906ELNS1_3gpuE6ELNS1_3repE0EEENS1_52radix_sort_onesweep_histogram_config_static_selectorELNS0_4arch9wavefront6targetE1EEEvSG_.num_vgpr, 0
	.set _ZN7rocprim17ROCPRIM_400000_NS6detail17trampoline_kernelINS0_14default_configENS1_35radix_sort_onesweep_config_selectorIxxEEZNS1_34radix_sort_onesweep_global_offsetsIS3_Lb0EN6thrust23THRUST_200600_302600_NS6detail15normal_iteratorINS8_10device_ptrIxEEEESD_jNS0_19identity_decomposerEEE10hipError_tT1_T2_PT3_SI_jT4_jjP12ihipStream_tbEUlT_E_NS1_11comp_targetILNS1_3genE2ELNS1_11target_archE906ELNS1_3gpuE6ELNS1_3repE0EEENS1_52radix_sort_onesweep_histogram_config_static_selectorELNS0_4arch9wavefront6targetE1EEEvSG_.num_agpr, 0
	.set _ZN7rocprim17ROCPRIM_400000_NS6detail17trampoline_kernelINS0_14default_configENS1_35radix_sort_onesweep_config_selectorIxxEEZNS1_34radix_sort_onesweep_global_offsetsIS3_Lb0EN6thrust23THRUST_200600_302600_NS6detail15normal_iteratorINS8_10device_ptrIxEEEESD_jNS0_19identity_decomposerEEE10hipError_tT1_T2_PT3_SI_jT4_jjP12ihipStream_tbEUlT_E_NS1_11comp_targetILNS1_3genE2ELNS1_11target_archE906ELNS1_3gpuE6ELNS1_3repE0EEENS1_52radix_sort_onesweep_histogram_config_static_selectorELNS0_4arch9wavefront6targetE1EEEvSG_.numbered_sgpr, 0
	.set _ZN7rocprim17ROCPRIM_400000_NS6detail17trampoline_kernelINS0_14default_configENS1_35radix_sort_onesweep_config_selectorIxxEEZNS1_34radix_sort_onesweep_global_offsetsIS3_Lb0EN6thrust23THRUST_200600_302600_NS6detail15normal_iteratorINS8_10device_ptrIxEEEESD_jNS0_19identity_decomposerEEE10hipError_tT1_T2_PT3_SI_jT4_jjP12ihipStream_tbEUlT_E_NS1_11comp_targetILNS1_3genE2ELNS1_11target_archE906ELNS1_3gpuE6ELNS1_3repE0EEENS1_52radix_sort_onesweep_histogram_config_static_selectorELNS0_4arch9wavefront6targetE1EEEvSG_.num_named_barrier, 0
	.set _ZN7rocprim17ROCPRIM_400000_NS6detail17trampoline_kernelINS0_14default_configENS1_35radix_sort_onesweep_config_selectorIxxEEZNS1_34radix_sort_onesweep_global_offsetsIS3_Lb0EN6thrust23THRUST_200600_302600_NS6detail15normal_iteratorINS8_10device_ptrIxEEEESD_jNS0_19identity_decomposerEEE10hipError_tT1_T2_PT3_SI_jT4_jjP12ihipStream_tbEUlT_E_NS1_11comp_targetILNS1_3genE2ELNS1_11target_archE906ELNS1_3gpuE6ELNS1_3repE0EEENS1_52radix_sort_onesweep_histogram_config_static_selectorELNS0_4arch9wavefront6targetE1EEEvSG_.private_seg_size, 0
	.set _ZN7rocprim17ROCPRIM_400000_NS6detail17trampoline_kernelINS0_14default_configENS1_35radix_sort_onesweep_config_selectorIxxEEZNS1_34radix_sort_onesweep_global_offsetsIS3_Lb0EN6thrust23THRUST_200600_302600_NS6detail15normal_iteratorINS8_10device_ptrIxEEEESD_jNS0_19identity_decomposerEEE10hipError_tT1_T2_PT3_SI_jT4_jjP12ihipStream_tbEUlT_E_NS1_11comp_targetILNS1_3genE2ELNS1_11target_archE906ELNS1_3gpuE6ELNS1_3repE0EEENS1_52radix_sort_onesweep_histogram_config_static_selectorELNS0_4arch9wavefront6targetE1EEEvSG_.uses_vcc, 0
	.set _ZN7rocprim17ROCPRIM_400000_NS6detail17trampoline_kernelINS0_14default_configENS1_35radix_sort_onesweep_config_selectorIxxEEZNS1_34radix_sort_onesweep_global_offsetsIS3_Lb0EN6thrust23THRUST_200600_302600_NS6detail15normal_iteratorINS8_10device_ptrIxEEEESD_jNS0_19identity_decomposerEEE10hipError_tT1_T2_PT3_SI_jT4_jjP12ihipStream_tbEUlT_E_NS1_11comp_targetILNS1_3genE2ELNS1_11target_archE906ELNS1_3gpuE6ELNS1_3repE0EEENS1_52radix_sort_onesweep_histogram_config_static_selectorELNS0_4arch9wavefront6targetE1EEEvSG_.uses_flat_scratch, 0
	.set _ZN7rocprim17ROCPRIM_400000_NS6detail17trampoline_kernelINS0_14default_configENS1_35radix_sort_onesweep_config_selectorIxxEEZNS1_34radix_sort_onesweep_global_offsetsIS3_Lb0EN6thrust23THRUST_200600_302600_NS6detail15normal_iteratorINS8_10device_ptrIxEEEESD_jNS0_19identity_decomposerEEE10hipError_tT1_T2_PT3_SI_jT4_jjP12ihipStream_tbEUlT_E_NS1_11comp_targetILNS1_3genE2ELNS1_11target_archE906ELNS1_3gpuE6ELNS1_3repE0EEENS1_52radix_sort_onesweep_histogram_config_static_selectorELNS0_4arch9wavefront6targetE1EEEvSG_.has_dyn_sized_stack, 0
	.set _ZN7rocprim17ROCPRIM_400000_NS6detail17trampoline_kernelINS0_14default_configENS1_35radix_sort_onesweep_config_selectorIxxEEZNS1_34radix_sort_onesweep_global_offsetsIS3_Lb0EN6thrust23THRUST_200600_302600_NS6detail15normal_iteratorINS8_10device_ptrIxEEEESD_jNS0_19identity_decomposerEEE10hipError_tT1_T2_PT3_SI_jT4_jjP12ihipStream_tbEUlT_E_NS1_11comp_targetILNS1_3genE2ELNS1_11target_archE906ELNS1_3gpuE6ELNS1_3repE0EEENS1_52radix_sort_onesweep_histogram_config_static_selectorELNS0_4arch9wavefront6targetE1EEEvSG_.has_recursion, 0
	.set _ZN7rocprim17ROCPRIM_400000_NS6detail17trampoline_kernelINS0_14default_configENS1_35radix_sort_onesweep_config_selectorIxxEEZNS1_34radix_sort_onesweep_global_offsetsIS3_Lb0EN6thrust23THRUST_200600_302600_NS6detail15normal_iteratorINS8_10device_ptrIxEEEESD_jNS0_19identity_decomposerEEE10hipError_tT1_T2_PT3_SI_jT4_jjP12ihipStream_tbEUlT_E_NS1_11comp_targetILNS1_3genE2ELNS1_11target_archE906ELNS1_3gpuE6ELNS1_3repE0EEENS1_52radix_sort_onesweep_histogram_config_static_selectorELNS0_4arch9wavefront6targetE1EEEvSG_.has_indirect_call, 0
	.section	.AMDGPU.csdata,"",@progbits
; Kernel info:
; codeLenInByte = 0
; TotalNumSgprs: 6
; NumVgprs: 0
; NumAgprs: 0
; TotalNumVgprs: 0
; ScratchSize: 0
; MemoryBound: 0
; FloatMode: 240
; IeeeMode: 1
; LDSByteSize: 0 bytes/workgroup (compile time only)
; SGPRBlocks: 0
; VGPRBlocks: 0
; NumSGPRsForWavesPerEU: 6
; NumVGPRsForWavesPerEU: 1
; AccumOffset: 4
; Occupancy: 8
; WaveLimiterHint : 0
; COMPUTE_PGM_RSRC2:SCRATCH_EN: 0
; COMPUTE_PGM_RSRC2:USER_SGPR: 2
; COMPUTE_PGM_RSRC2:TRAP_HANDLER: 0
; COMPUTE_PGM_RSRC2:TGID_X_EN: 1
; COMPUTE_PGM_RSRC2:TGID_Y_EN: 0
; COMPUTE_PGM_RSRC2:TGID_Z_EN: 0
; COMPUTE_PGM_RSRC2:TIDIG_COMP_CNT: 0
; COMPUTE_PGM_RSRC3_GFX90A:ACCUM_OFFSET: 0
; COMPUTE_PGM_RSRC3_GFX90A:TG_SPLIT: 0
	.section	.text._ZN7rocprim17ROCPRIM_400000_NS6detail17trampoline_kernelINS0_14default_configENS1_35radix_sort_onesweep_config_selectorIxxEEZNS1_34radix_sort_onesweep_global_offsetsIS3_Lb0EN6thrust23THRUST_200600_302600_NS6detail15normal_iteratorINS8_10device_ptrIxEEEESD_jNS0_19identity_decomposerEEE10hipError_tT1_T2_PT3_SI_jT4_jjP12ihipStream_tbEUlT_E_NS1_11comp_targetILNS1_3genE4ELNS1_11target_archE910ELNS1_3gpuE8ELNS1_3repE0EEENS1_52radix_sort_onesweep_histogram_config_static_selectorELNS0_4arch9wavefront6targetE1EEEvSG_,"axG",@progbits,_ZN7rocprim17ROCPRIM_400000_NS6detail17trampoline_kernelINS0_14default_configENS1_35radix_sort_onesweep_config_selectorIxxEEZNS1_34radix_sort_onesweep_global_offsetsIS3_Lb0EN6thrust23THRUST_200600_302600_NS6detail15normal_iteratorINS8_10device_ptrIxEEEESD_jNS0_19identity_decomposerEEE10hipError_tT1_T2_PT3_SI_jT4_jjP12ihipStream_tbEUlT_E_NS1_11comp_targetILNS1_3genE4ELNS1_11target_archE910ELNS1_3gpuE8ELNS1_3repE0EEENS1_52radix_sort_onesweep_histogram_config_static_selectorELNS0_4arch9wavefront6targetE1EEEvSG_,comdat
	.protected	_ZN7rocprim17ROCPRIM_400000_NS6detail17trampoline_kernelINS0_14default_configENS1_35radix_sort_onesweep_config_selectorIxxEEZNS1_34radix_sort_onesweep_global_offsetsIS3_Lb0EN6thrust23THRUST_200600_302600_NS6detail15normal_iteratorINS8_10device_ptrIxEEEESD_jNS0_19identity_decomposerEEE10hipError_tT1_T2_PT3_SI_jT4_jjP12ihipStream_tbEUlT_E_NS1_11comp_targetILNS1_3genE4ELNS1_11target_archE910ELNS1_3gpuE8ELNS1_3repE0EEENS1_52radix_sort_onesweep_histogram_config_static_selectorELNS0_4arch9wavefront6targetE1EEEvSG_ ; -- Begin function _ZN7rocprim17ROCPRIM_400000_NS6detail17trampoline_kernelINS0_14default_configENS1_35radix_sort_onesweep_config_selectorIxxEEZNS1_34radix_sort_onesweep_global_offsetsIS3_Lb0EN6thrust23THRUST_200600_302600_NS6detail15normal_iteratorINS8_10device_ptrIxEEEESD_jNS0_19identity_decomposerEEE10hipError_tT1_T2_PT3_SI_jT4_jjP12ihipStream_tbEUlT_E_NS1_11comp_targetILNS1_3genE4ELNS1_11target_archE910ELNS1_3gpuE8ELNS1_3repE0EEENS1_52radix_sort_onesweep_histogram_config_static_selectorELNS0_4arch9wavefront6targetE1EEEvSG_
	.globl	_ZN7rocprim17ROCPRIM_400000_NS6detail17trampoline_kernelINS0_14default_configENS1_35radix_sort_onesweep_config_selectorIxxEEZNS1_34radix_sort_onesweep_global_offsetsIS3_Lb0EN6thrust23THRUST_200600_302600_NS6detail15normal_iteratorINS8_10device_ptrIxEEEESD_jNS0_19identity_decomposerEEE10hipError_tT1_T2_PT3_SI_jT4_jjP12ihipStream_tbEUlT_E_NS1_11comp_targetILNS1_3genE4ELNS1_11target_archE910ELNS1_3gpuE8ELNS1_3repE0EEENS1_52radix_sort_onesweep_histogram_config_static_selectorELNS0_4arch9wavefront6targetE1EEEvSG_
	.p2align	8
	.type	_ZN7rocprim17ROCPRIM_400000_NS6detail17trampoline_kernelINS0_14default_configENS1_35radix_sort_onesweep_config_selectorIxxEEZNS1_34radix_sort_onesweep_global_offsetsIS3_Lb0EN6thrust23THRUST_200600_302600_NS6detail15normal_iteratorINS8_10device_ptrIxEEEESD_jNS0_19identity_decomposerEEE10hipError_tT1_T2_PT3_SI_jT4_jjP12ihipStream_tbEUlT_E_NS1_11comp_targetILNS1_3genE4ELNS1_11target_archE910ELNS1_3gpuE8ELNS1_3repE0EEENS1_52radix_sort_onesweep_histogram_config_static_selectorELNS0_4arch9wavefront6targetE1EEEvSG_,@function
_ZN7rocprim17ROCPRIM_400000_NS6detail17trampoline_kernelINS0_14default_configENS1_35radix_sort_onesweep_config_selectorIxxEEZNS1_34radix_sort_onesweep_global_offsetsIS3_Lb0EN6thrust23THRUST_200600_302600_NS6detail15normal_iteratorINS8_10device_ptrIxEEEESD_jNS0_19identity_decomposerEEE10hipError_tT1_T2_PT3_SI_jT4_jjP12ihipStream_tbEUlT_E_NS1_11comp_targetILNS1_3genE4ELNS1_11target_archE910ELNS1_3gpuE8ELNS1_3repE0EEENS1_52radix_sort_onesweep_histogram_config_static_selectorELNS0_4arch9wavefront6targetE1EEEvSG_: ; @_ZN7rocprim17ROCPRIM_400000_NS6detail17trampoline_kernelINS0_14default_configENS1_35radix_sort_onesweep_config_selectorIxxEEZNS1_34radix_sort_onesweep_global_offsetsIS3_Lb0EN6thrust23THRUST_200600_302600_NS6detail15normal_iteratorINS8_10device_ptrIxEEEESD_jNS0_19identity_decomposerEEE10hipError_tT1_T2_PT3_SI_jT4_jjP12ihipStream_tbEUlT_E_NS1_11comp_targetILNS1_3genE4ELNS1_11target_archE910ELNS1_3gpuE8ELNS1_3repE0EEENS1_52radix_sort_onesweep_histogram_config_static_selectorELNS0_4arch9wavefront6targetE1EEEvSG_
; %bb.0:
	.section	.rodata,"a",@progbits
	.p2align	6, 0x0
	.amdhsa_kernel _ZN7rocprim17ROCPRIM_400000_NS6detail17trampoline_kernelINS0_14default_configENS1_35radix_sort_onesweep_config_selectorIxxEEZNS1_34radix_sort_onesweep_global_offsetsIS3_Lb0EN6thrust23THRUST_200600_302600_NS6detail15normal_iteratorINS8_10device_ptrIxEEEESD_jNS0_19identity_decomposerEEE10hipError_tT1_T2_PT3_SI_jT4_jjP12ihipStream_tbEUlT_E_NS1_11comp_targetILNS1_3genE4ELNS1_11target_archE910ELNS1_3gpuE8ELNS1_3repE0EEENS1_52radix_sort_onesweep_histogram_config_static_selectorELNS0_4arch9wavefront6targetE1EEEvSG_
		.amdhsa_group_segment_fixed_size 0
		.amdhsa_private_segment_fixed_size 0
		.amdhsa_kernarg_size 40
		.amdhsa_user_sgpr_count 2
		.amdhsa_user_sgpr_dispatch_ptr 0
		.amdhsa_user_sgpr_queue_ptr 0
		.amdhsa_user_sgpr_kernarg_segment_ptr 1
		.amdhsa_user_sgpr_dispatch_id 0
		.amdhsa_user_sgpr_kernarg_preload_length 0
		.amdhsa_user_sgpr_kernarg_preload_offset 0
		.amdhsa_user_sgpr_private_segment_size 0
		.amdhsa_uses_dynamic_stack 0
		.amdhsa_enable_private_segment 0
		.amdhsa_system_sgpr_workgroup_id_x 1
		.amdhsa_system_sgpr_workgroup_id_y 0
		.amdhsa_system_sgpr_workgroup_id_z 0
		.amdhsa_system_sgpr_workgroup_info 0
		.amdhsa_system_vgpr_workitem_id 0
		.amdhsa_next_free_vgpr 1
		.amdhsa_next_free_sgpr 0
		.amdhsa_accum_offset 4
		.amdhsa_reserve_vcc 0
		.amdhsa_float_round_mode_32 0
		.amdhsa_float_round_mode_16_64 0
		.amdhsa_float_denorm_mode_32 3
		.amdhsa_float_denorm_mode_16_64 3
		.amdhsa_dx10_clamp 1
		.amdhsa_ieee_mode 1
		.amdhsa_fp16_overflow 0
		.amdhsa_tg_split 0
		.amdhsa_exception_fp_ieee_invalid_op 0
		.amdhsa_exception_fp_denorm_src 0
		.amdhsa_exception_fp_ieee_div_zero 0
		.amdhsa_exception_fp_ieee_overflow 0
		.amdhsa_exception_fp_ieee_underflow 0
		.amdhsa_exception_fp_ieee_inexact 0
		.amdhsa_exception_int_div_zero 0
	.end_amdhsa_kernel
	.section	.text._ZN7rocprim17ROCPRIM_400000_NS6detail17trampoline_kernelINS0_14default_configENS1_35radix_sort_onesweep_config_selectorIxxEEZNS1_34radix_sort_onesweep_global_offsetsIS3_Lb0EN6thrust23THRUST_200600_302600_NS6detail15normal_iteratorINS8_10device_ptrIxEEEESD_jNS0_19identity_decomposerEEE10hipError_tT1_T2_PT3_SI_jT4_jjP12ihipStream_tbEUlT_E_NS1_11comp_targetILNS1_3genE4ELNS1_11target_archE910ELNS1_3gpuE8ELNS1_3repE0EEENS1_52radix_sort_onesweep_histogram_config_static_selectorELNS0_4arch9wavefront6targetE1EEEvSG_,"axG",@progbits,_ZN7rocprim17ROCPRIM_400000_NS6detail17trampoline_kernelINS0_14default_configENS1_35radix_sort_onesweep_config_selectorIxxEEZNS1_34radix_sort_onesweep_global_offsetsIS3_Lb0EN6thrust23THRUST_200600_302600_NS6detail15normal_iteratorINS8_10device_ptrIxEEEESD_jNS0_19identity_decomposerEEE10hipError_tT1_T2_PT3_SI_jT4_jjP12ihipStream_tbEUlT_E_NS1_11comp_targetILNS1_3genE4ELNS1_11target_archE910ELNS1_3gpuE8ELNS1_3repE0EEENS1_52radix_sort_onesweep_histogram_config_static_selectorELNS0_4arch9wavefront6targetE1EEEvSG_,comdat
.Lfunc_end1174:
	.size	_ZN7rocprim17ROCPRIM_400000_NS6detail17trampoline_kernelINS0_14default_configENS1_35radix_sort_onesweep_config_selectorIxxEEZNS1_34radix_sort_onesweep_global_offsetsIS3_Lb0EN6thrust23THRUST_200600_302600_NS6detail15normal_iteratorINS8_10device_ptrIxEEEESD_jNS0_19identity_decomposerEEE10hipError_tT1_T2_PT3_SI_jT4_jjP12ihipStream_tbEUlT_E_NS1_11comp_targetILNS1_3genE4ELNS1_11target_archE910ELNS1_3gpuE8ELNS1_3repE0EEENS1_52radix_sort_onesweep_histogram_config_static_selectorELNS0_4arch9wavefront6targetE1EEEvSG_, .Lfunc_end1174-_ZN7rocprim17ROCPRIM_400000_NS6detail17trampoline_kernelINS0_14default_configENS1_35radix_sort_onesweep_config_selectorIxxEEZNS1_34radix_sort_onesweep_global_offsetsIS3_Lb0EN6thrust23THRUST_200600_302600_NS6detail15normal_iteratorINS8_10device_ptrIxEEEESD_jNS0_19identity_decomposerEEE10hipError_tT1_T2_PT3_SI_jT4_jjP12ihipStream_tbEUlT_E_NS1_11comp_targetILNS1_3genE4ELNS1_11target_archE910ELNS1_3gpuE8ELNS1_3repE0EEENS1_52radix_sort_onesweep_histogram_config_static_selectorELNS0_4arch9wavefront6targetE1EEEvSG_
                                        ; -- End function
	.set _ZN7rocprim17ROCPRIM_400000_NS6detail17trampoline_kernelINS0_14default_configENS1_35radix_sort_onesweep_config_selectorIxxEEZNS1_34radix_sort_onesweep_global_offsetsIS3_Lb0EN6thrust23THRUST_200600_302600_NS6detail15normal_iteratorINS8_10device_ptrIxEEEESD_jNS0_19identity_decomposerEEE10hipError_tT1_T2_PT3_SI_jT4_jjP12ihipStream_tbEUlT_E_NS1_11comp_targetILNS1_3genE4ELNS1_11target_archE910ELNS1_3gpuE8ELNS1_3repE0EEENS1_52radix_sort_onesweep_histogram_config_static_selectorELNS0_4arch9wavefront6targetE1EEEvSG_.num_vgpr, 0
	.set _ZN7rocprim17ROCPRIM_400000_NS6detail17trampoline_kernelINS0_14default_configENS1_35radix_sort_onesweep_config_selectorIxxEEZNS1_34radix_sort_onesweep_global_offsetsIS3_Lb0EN6thrust23THRUST_200600_302600_NS6detail15normal_iteratorINS8_10device_ptrIxEEEESD_jNS0_19identity_decomposerEEE10hipError_tT1_T2_PT3_SI_jT4_jjP12ihipStream_tbEUlT_E_NS1_11comp_targetILNS1_3genE4ELNS1_11target_archE910ELNS1_3gpuE8ELNS1_3repE0EEENS1_52radix_sort_onesweep_histogram_config_static_selectorELNS0_4arch9wavefront6targetE1EEEvSG_.num_agpr, 0
	.set _ZN7rocprim17ROCPRIM_400000_NS6detail17trampoline_kernelINS0_14default_configENS1_35radix_sort_onesweep_config_selectorIxxEEZNS1_34radix_sort_onesweep_global_offsetsIS3_Lb0EN6thrust23THRUST_200600_302600_NS6detail15normal_iteratorINS8_10device_ptrIxEEEESD_jNS0_19identity_decomposerEEE10hipError_tT1_T2_PT3_SI_jT4_jjP12ihipStream_tbEUlT_E_NS1_11comp_targetILNS1_3genE4ELNS1_11target_archE910ELNS1_3gpuE8ELNS1_3repE0EEENS1_52radix_sort_onesweep_histogram_config_static_selectorELNS0_4arch9wavefront6targetE1EEEvSG_.numbered_sgpr, 0
	.set _ZN7rocprim17ROCPRIM_400000_NS6detail17trampoline_kernelINS0_14default_configENS1_35radix_sort_onesweep_config_selectorIxxEEZNS1_34radix_sort_onesweep_global_offsetsIS3_Lb0EN6thrust23THRUST_200600_302600_NS6detail15normal_iteratorINS8_10device_ptrIxEEEESD_jNS0_19identity_decomposerEEE10hipError_tT1_T2_PT3_SI_jT4_jjP12ihipStream_tbEUlT_E_NS1_11comp_targetILNS1_3genE4ELNS1_11target_archE910ELNS1_3gpuE8ELNS1_3repE0EEENS1_52radix_sort_onesweep_histogram_config_static_selectorELNS0_4arch9wavefront6targetE1EEEvSG_.num_named_barrier, 0
	.set _ZN7rocprim17ROCPRIM_400000_NS6detail17trampoline_kernelINS0_14default_configENS1_35radix_sort_onesweep_config_selectorIxxEEZNS1_34radix_sort_onesweep_global_offsetsIS3_Lb0EN6thrust23THRUST_200600_302600_NS6detail15normal_iteratorINS8_10device_ptrIxEEEESD_jNS0_19identity_decomposerEEE10hipError_tT1_T2_PT3_SI_jT4_jjP12ihipStream_tbEUlT_E_NS1_11comp_targetILNS1_3genE4ELNS1_11target_archE910ELNS1_3gpuE8ELNS1_3repE0EEENS1_52radix_sort_onesweep_histogram_config_static_selectorELNS0_4arch9wavefront6targetE1EEEvSG_.private_seg_size, 0
	.set _ZN7rocprim17ROCPRIM_400000_NS6detail17trampoline_kernelINS0_14default_configENS1_35radix_sort_onesweep_config_selectorIxxEEZNS1_34radix_sort_onesweep_global_offsetsIS3_Lb0EN6thrust23THRUST_200600_302600_NS6detail15normal_iteratorINS8_10device_ptrIxEEEESD_jNS0_19identity_decomposerEEE10hipError_tT1_T2_PT3_SI_jT4_jjP12ihipStream_tbEUlT_E_NS1_11comp_targetILNS1_3genE4ELNS1_11target_archE910ELNS1_3gpuE8ELNS1_3repE0EEENS1_52radix_sort_onesweep_histogram_config_static_selectorELNS0_4arch9wavefront6targetE1EEEvSG_.uses_vcc, 0
	.set _ZN7rocprim17ROCPRIM_400000_NS6detail17trampoline_kernelINS0_14default_configENS1_35radix_sort_onesweep_config_selectorIxxEEZNS1_34radix_sort_onesweep_global_offsetsIS3_Lb0EN6thrust23THRUST_200600_302600_NS6detail15normal_iteratorINS8_10device_ptrIxEEEESD_jNS0_19identity_decomposerEEE10hipError_tT1_T2_PT3_SI_jT4_jjP12ihipStream_tbEUlT_E_NS1_11comp_targetILNS1_3genE4ELNS1_11target_archE910ELNS1_3gpuE8ELNS1_3repE0EEENS1_52radix_sort_onesweep_histogram_config_static_selectorELNS0_4arch9wavefront6targetE1EEEvSG_.uses_flat_scratch, 0
	.set _ZN7rocprim17ROCPRIM_400000_NS6detail17trampoline_kernelINS0_14default_configENS1_35radix_sort_onesweep_config_selectorIxxEEZNS1_34radix_sort_onesweep_global_offsetsIS3_Lb0EN6thrust23THRUST_200600_302600_NS6detail15normal_iteratorINS8_10device_ptrIxEEEESD_jNS0_19identity_decomposerEEE10hipError_tT1_T2_PT3_SI_jT4_jjP12ihipStream_tbEUlT_E_NS1_11comp_targetILNS1_3genE4ELNS1_11target_archE910ELNS1_3gpuE8ELNS1_3repE0EEENS1_52radix_sort_onesweep_histogram_config_static_selectorELNS0_4arch9wavefront6targetE1EEEvSG_.has_dyn_sized_stack, 0
	.set _ZN7rocprim17ROCPRIM_400000_NS6detail17trampoline_kernelINS0_14default_configENS1_35radix_sort_onesweep_config_selectorIxxEEZNS1_34radix_sort_onesweep_global_offsetsIS3_Lb0EN6thrust23THRUST_200600_302600_NS6detail15normal_iteratorINS8_10device_ptrIxEEEESD_jNS0_19identity_decomposerEEE10hipError_tT1_T2_PT3_SI_jT4_jjP12ihipStream_tbEUlT_E_NS1_11comp_targetILNS1_3genE4ELNS1_11target_archE910ELNS1_3gpuE8ELNS1_3repE0EEENS1_52radix_sort_onesweep_histogram_config_static_selectorELNS0_4arch9wavefront6targetE1EEEvSG_.has_recursion, 0
	.set _ZN7rocprim17ROCPRIM_400000_NS6detail17trampoline_kernelINS0_14default_configENS1_35radix_sort_onesweep_config_selectorIxxEEZNS1_34radix_sort_onesweep_global_offsetsIS3_Lb0EN6thrust23THRUST_200600_302600_NS6detail15normal_iteratorINS8_10device_ptrIxEEEESD_jNS0_19identity_decomposerEEE10hipError_tT1_T2_PT3_SI_jT4_jjP12ihipStream_tbEUlT_E_NS1_11comp_targetILNS1_3genE4ELNS1_11target_archE910ELNS1_3gpuE8ELNS1_3repE0EEENS1_52radix_sort_onesweep_histogram_config_static_selectorELNS0_4arch9wavefront6targetE1EEEvSG_.has_indirect_call, 0
	.section	.AMDGPU.csdata,"",@progbits
; Kernel info:
; codeLenInByte = 0
; TotalNumSgprs: 6
; NumVgprs: 0
; NumAgprs: 0
; TotalNumVgprs: 0
; ScratchSize: 0
; MemoryBound: 0
; FloatMode: 240
; IeeeMode: 1
; LDSByteSize: 0 bytes/workgroup (compile time only)
; SGPRBlocks: 0
; VGPRBlocks: 0
; NumSGPRsForWavesPerEU: 6
; NumVGPRsForWavesPerEU: 1
; AccumOffset: 4
; Occupancy: 8
; WaveLimiterHint : 0
; COMPUTE_PGM_RSRC2:SCRATCH_EN: 0
; COMPUTE_PGM_RSRC2:USER_SGPR: 2
; COMPUTE_PGM_RSRC2:TRAP_HANDLER: 0
; COMPUTE_PGM_RSRC2:TGID_X_EN: 1
; COMPUTE_PGM_RSRC2:TGID_Y_EN: 0
; COMPUTE_PGM_RSRC2:TGID_Z_EN: 0
; COMPUTE_PGM_RSRC2:TIDIG_COMP_CNT: 0
; COMPUTE_PGM_RSRC3_GFX90A:ACCUM_OFFSET: 0
; COMPUTE_PGM_RSRC3_GFX90A:TG_SPLIT: 0
	.section	.text._ZN7rocprim17ROCPRIM_400000_NS6detail17trampoline_kernelINS0_14default_configENS1_35radix_sort_onesweep_config_selectorIxxEEZNS1_34radix_sort_onesweep_global_offsetsIS3_Lb0EN6thrust23THRUST_200600_302600_NS6detail15normal_iteratorINS8_10device_ptrIxEEEESD_jNS0_19identity_decomposerEEE10hipError_tT1_T2_PT3_SI_jT4_jjP12ihipStream_tbEUlT_E_NS1_11comp_targetILNS1_3genE3ELNS1_11target_archE908ELNS1_3gpuE7ELNS1_3repE0EEENS1_52radix_sort_onesweep_histogram_config_static_selectorELNS0_4arch9wavefront6targetE1EEEvSG_,"axG",@progbits,_ZN7rocprim17ROCPRIM_400000_NS6detail17trampoline_kernelINS0_14default_configENS1_35radix_sort_onesweep_config_selectorIxxEEZNS1_34radix_sort_onesweep_global_offsetsIS3_Lb0EN6thrust23THRUST_200600_302600_NS6detail15normal_iteratorINS8_10device_ptrIxEEEESD_jNS0_19identity_decomposerEEE10hipError_tT1_T2_PT3_SI_jT4_jjP12ihipStream_tbEUlT_E_NS1_11comp_targetILNS1_3genE3ELNS1_11target_archE908ELNS1_3gpuE7ELNS1_3repE0EEENS1_52radix_sort_onesweep_histogram_config_static_selectorELNS0_4arch9wavefront6targetE1EEEvSG_,comdat
	.protected	_ZN7rocprim17ROCPRIM_400000_NS6detail17trampoline_kernelINS0_14default_configENS1_35radix_sort_onesweep_config_selectorIxxEEZNS1_34radix_sort_onesweep_global_offsetsIS3_Lb0EN6thrust23THRUST_200600_302600_NS6detail15normal_iteratorINS8_10device_ptrIxEEEESD_jNS0_19identity_decomposerEEE10hipError_tT1_T2_PT3_SI_jT4_jjP12ihipStream_tbEUlT_E_NS1_11comp_targetILNS1_3genE3ELNS1_11target_archE908ELNS1_3gpuE7ELNS1_3repE0EEENS1_52radix_sort_onesweep_histogram_config_static_selectorELNS0_4arch9wavefront6targetE1EEEvSG_ ; -- Begin function _ZN7rocprim17ROCPRIM_400000_NS6detail17trampoline_kernelINS0_14default_configENS1_35radix_sort_onesweep_config_selectorIxxEEZNS1_34radix_sort_onesweep_global_offsetsIS3_Lb0EN6thrust23THRUST_200600_302600_NS6detail15normal_iteratorINS8_10device_ptrIxEEEESD_jNS0_19identity_decomposerEEE10hipError_tT1_T2_PT3_SI_jT4_jjP12ihipStream_tbEUlT_E_NS1_11comp_targetILNS1_3genE3ELNS1_11target_archE908ELNS1_3gpuE7ELNS1_3repE0EEENS1_52radix_sort_onesweep_histogram_config_static_selectorELNS0_4arch9wavefront6targetE1EEEvSG_
	.globl	_ZN7rocprim17ROCPRIM_400000_NS6detail17trampoline_kernelINS0_14default_configENS1_35radix_sort_onesweep_config_selectorIxxEEZNS1_34radix_sort_onesweep_global_offsetsIS3_Lb0EN6thrust23THRUST_200600_302600_NS6detail15normal_iteratorINS8_10device_ptrIxEEEESD_jNS0_19identity_decomposerEEE10hipError_tT1_T2_PT3_SI_jT4_jjP12ihipStream_tbEUlT_E_NS1_11comp_targetILNS1_3genE3ELNS1_11target_archE908ELNS1_3gpuE7ELNS1_3repE0EEENS1_52radix_sort_onesweep_histogram_config_static_selectorELNS0_4arch9wavefront6targetE1EEEvSG_
	.p2align	8
	.type	_ZN7rocprim17ROCPRIM_400000_NS6detail17trampoline_kernelINS0_14default_configENS1_35radix_sort_onesweep_config_selectorIxxEEZNS1_34radix_sort_onesweep_global_offsetsIS3_Lb0EN6thrust23THRUST_200600_302600_NS6detail15normal_iteratorINS8_10device_ptrIxEEEESD_jNS0_19identity_decomposerEEE10hipError_tT1_T2_PT3_SI_jT4_jjP12ihipStream_tbEUlT_E_NS1_11comp_targetILNS1_3genE3ELNS1_11target_archE908ELNS1_3gpuE7ELNS1_3repE0EEENS1_52radix_sort_onesweep_histogram_config_static_selectorELNS0_4arch9wavefront6targetE1EEEvSG_,@function
_ZN7rocprim17ROCPRIM_400000_NS6detail17trampoline_kernelINS0_14default_configENS1_35radix_sort_onesweep_config_selectorIxxEEZNS1_34radix_sort_onesweep_global_offsetsIS3_Lb0EN6thrust23THRUST_200600_302600_NS6detail15normal_iteratorINS8_10device_ptrIxEEEESD_jNS0_19identity_decomposerEEE10hipError_tT1_T2_PT3_SI_jT4_jjP12ihipStream_tbEUlT_E_NS1_11comp_targetILNS1_3genE3ELNS1_11target_archE908ELNS1_3gpuE7ELNS1_3repE0EEENS1_52radix_sort_onesweep_histogram_config_static_selectorELNS0_4arch9wavefront6targetE1EEEvSG_: ; @_ZN7rocprim17ROCPRIM_400000_NS6detail17trampoline_kernelINS0_14default_configENS1_35radix_sort_onesweep_config_selectorIxxEEZNS1_34radix_sort_onesweep_global_offsetsIS3_Lb0EN6thrust23THRUST_200600_302600_NS6detail15normal_iteratorINS8_10device_ptrIxEEEESD_jNS0_19identity_decomposerEEE10hipError_tT1_T2_PT3_SI_jT4_jjP12ihipStream_tbEUlT_E_NS1_11comp_targetILNS1_3genE3ELNS1_11target_archE908ELNS1_3gpuE7ELNS1_3repE0EEENS1_52radix_sort_onesweep_histogram_config_static_selectorELNS0_4arch9wavefront6targetE1EEEvSG_
; %bb.0:
	.section	.rodata,"a",@progbits
	.p2align	6, 0x0
	.amdhsa_kernel _ZN7rocprim17ROCPRIM_400000_NS6detail17trampoline_kernelINS0_14default_configENS1_35radix_sort_onesweep_config_selectorIxxEEZNS1_34radix_sort_onesweep_global_offsetsIS3_Lb0EN6thrust23THRUST_200600_302600_NS6detail15normal_iteratorINS8_10device_ptrIxEEEESD_jNS0_19identity_decomposerEEE10hipError_tT1_T2_PT3_SI_jT4_jjP12ihipStream_tbEUlT_E_NS1_11comp_targetILNS1_3genE3ELNS1_11target_archE908ELNS1_3gpuE7ELNS1_3repE0EEENS1_52radix_sort_onesweep_histogram_config_static_selectorELNS0_4arch9wavefront6targetE1EEEvSG_
		.amdhsa_group_segment_fixed_size 0
		.amdhsa_private_segment_fixed_size 0
		.amdhsa_kernarg_size 40
		.amdhsa_user_sgpr_count 2
		.amdhsa_user_sgpr_dispatch_ptr 0
		.amdhsa_user_sgpr_queue_ptr 0
		.amdhsa_user_sgpr_kernarg_segment_ptr 1
		.amdhsa_user_sgpr_dispatch_id 0
		.amdhsa_user_sgpr_kernarg_preload_length 0
		.amdhsa_user_sgpr_kernarg_preload_offset 0
		.amdhsa_user_sgpr_private_segment_size 0
		.amdhsa_uses_dynamic_stack 0
		.amdhsa_enable_private_segment 0
		.amdhsa_system_sgpr_workgroup_id_x 1
		.amdhsa_system_sgpr_workgroup_id_y 0
		.amdhsa_system_sgpr_workgroup_id_z 0
		.amdhsa_system_sgpr_workgroup_info 0
		.amdhsa_system_vgpr_workitem_id 0
		.amdhsa_next_free_vgpr 1
		.amdhsa_next_free_sgpr 0
		.amdhsa_accum_offset 4
		.amdhsa_reserve_vcc 0
		.amdhsa_float_round_mode_32 0
		.amdhsa_float_round_mode_16_64 0
		.amdhsa_float_denorm_mode_32 3
		.amdhsa_float_denorm_mode_16_64 3
		.amdhsa_dx10_clamp 1
		.amdhsa_ieee_mode 1
		.amdhsa_fp16_overflow 0
		.amdhsa_tg_split 0
		.amdhsa_exception_fp_ieee_invalid_op 0
		.amdhsa_exception_fp_denorm_src 0
		.amdhsa_exception_fp_ieee_div_zero 0
		.amdhsa_exception_fp_ieee_overflow 0
		.amdhsa_exception_fp_ieee_underflow 0
		.amdhsa_exception_fp_ieee_inexact 0
		.amdhsa_exception_int_div_zero 0
	.end_amdhsa_kernel
	.section	.text._ZN7rocprim17ROCPRIM_400000_NS6detail17trampoline_kernelINS0_14default_configENS1_35radix_sort_onesweep_config_selectorIxxEEZNS1_34radix_sort_onesweep_global_offsetsIS3_Lb0EN6thrust23THRUST_200600_302600_NS6detail15normal_iteratorINS8_10device_ptrIxEEEESD_jNS0_19identity_decomposerEEE10hipError_tT1_T2_PT3_SI_jT4_jjP12ihipStream_tbEUlT_E_NS1_11comp_targetILNS1_3genE3ELNS1_11target_archE908ELNS1_3gpuE7ELNS1_3repE0EEENS1_52radix_sort_onesweep_histogram_config_static_selectorELNS0_4arch9wavefront6targetE1EEEvSG_,"axG",@progbits,_ZN7rocprim17ROCPRIM_400000_NS6detail17trampoline_kernelINS0_14default_configENS1_35radix_sort_onesweep_config_selectorIxxEEZNS1_34radix_sort_onesweep_global_offsetsIS3_Lb0EN6thrust23THRUST_200600_302600_NS6detail15normal_iteratorINS8_10device_ptrIxEEEESD_jNS0_19identity_decomposerEEE10hipError_tT1_T2_PT3_SI_jT4_jjP12ihipStream_tbEUlT_E_NS1_11comp_targetILNS1_3genE3ELNS1_11target_archE908ELNS1_3gpuE7ELNS1_3repE0EEENS1_52radix_sort_onesweep_histogram_config_static_selectorELNS0_4arch9wavefront6targetE1EEEvSG_,comdat
.Lfunc_end1175:
	.size	_ZN7rocprim17ROCPRIM_400000_NS6detail17trampoline_kernelINS0_14default_configENS1_35radix_sort_onesweep_config_selectorIxxEEZNS1_34radix_sort_onesweep_global_offsetsIS3_Lb0EN6thrust23THRUST_200600_302600_NS6detail15normal_iteratorINS8_10device_ptrIxEEEESD_jNS0_19identity_decomposerEEE10hipError_tT1_T2_PT3_SI_jT4_jjP12ihipStream_tbEUlT_E_NS1_11comp_targetILNS1_3genE3ELNS1_11target_archE908ELNS1_3gpuE7ELNS1_3repE0EEENS1_52radix_sort_onesweep_histogram_config_static_selectorELNS0_4arch9wavefront6targetE1EEEvSG_, .Lfunc_end1175-_ZN7rocprim17ROCPRIM_400000_NS6detail17trampoline_kernelINS0_14default_configENS1_35radix_sort_onesweep_config_selectorIxxEEZNS1_34radix_sort_onesweep_global_offsetsIS3_Lb0EN6thrust23THRUST_200600_302600_NS6detail15normal_iteratorINS8_10device_ptrIxEEEESD_jNS0_19identity_decomposerEEE10hipError_tT1_T2_PT3_SI_jT4_jjP12ihipStream_tbEUlT_E_NS1_11comp_targetILNS1_3genE3ELNS1_11target_archE908ELNS1_3gpuE7ELNS1_3repE0EEENS1_52radix_sort_onesweep_histogram_config_static_selectorELNS0_4arch9wavefront6targetE1EEEvSG_
                                        ; -- End function
	.set _ZN7rocprim17ROCPRIM_400000_NS6detail17trampoline_kernelINS0_14default_configENS1_35radix_sort_onesweep_config_selectorIxxEEZNS1_34radix_sort_onesweep_global_offsetsIS3_Lb0EN6thrust23THRUST_200600_302600_NS6detail15normal_iteratorINS8_10device_ptrIxEEEESD_jNS0_19identity_decomposerEEE10hipError_tT1_T2_PT3_SI_jT4_jjP12ihipStream_tbEUlT_E_NS1_11comp_targetILNS1_3genE3ELNS1_11target_archE908ELNS1_3gpuE7ELNS1_3repE0EEENS1_52radix_sort_onesweep_histogram_config_static_selectorELNS0_4arch9wavefront6targetE1EEEvSG_.num_vgpr, 0
	.set _ZN7rocprim17ROCPRIM_400000_NS6detail17trampoline_kernelINS0_14default_configENS1_35radix_sort_onesweep_config_selectorIxxEEZNS1_34radix_sort_onesweep_global_offsetsIS3_Lb0EN6thrust23THRUST_200600_302600_NS6detail15normal_iteratorINS8_10device_ptrIxEEEESD_jNS0_19identity_decomposerEEE10hipError_tT1_T2_PT3_SI_jT4_jjP12ihipStream_tbEUlT_E_NS1_11comp_targetILNS1_3genE3ELNS1_11target_archE908ELNS1_3gpuE7ELNS1_3repE0EEENS1_52radix_sort_onesweep_histogram_config_static_selectorELNS0_4arch9wavefront6targetE1EEEvSG_.num_agpr, 0
	.set _ZN7rocprim17ROCPRIM_400000_NS6detail17trampoline_kernelINS0_14default_configENS1_35radix_sort_onesweep_config_selectorIxxEEZNS1_34radix_sort_onesweep_global_offsetsIS3_Lb0EN6thrust23THRUST_200600_302600_NS6detail15normal_iteratorINS8_10device_ptrIxEEEESD_jNS0_19identity_decomposerEEE10hipError_tT1_T2_PT3_SI_jT4_jjP12ihipStream_tbEUlT_E_NS1_11comp_targetILNS1_3genE3ELNS1_11target_archE908ELNS1_3gpuE7ELNS1_3repE0EEENS1_52radix_sort_onesweep_histogram_config_static_selectorELNS0_4arch9wavefront6targetE1EEEvSG_.numbered_sgpr, 0
	.set _ZN7rocprim17ROCPRIM_400000_NS6detail17trampoline_kernelINS0_14default_configENS1_35radix_sort_onesweep_config_selectorIxxEEZNS1_34radix_sort_onesweep_global_offsetsIS3_Lb0EN6thrust23THRUST_200600_302600_NS6detail15normal_iteratorINS8_10device_ptrIxEEEESD_jNS0_19identity_decomposerEEE10hipError_tT1_T2_PT3_SI_jT4_jjP12ihipStream_tbEUlT_E_NS1_11comp_targetILNS1_3genE3ELNS1_11target_archE908ELNS1_3gpuE7ELNS1_3repE0EEENS1_52radix_sort_onesweep_histogram_config_static_selectorELNS0_4arch9wavefront6targetE1EEEvSG_.num_named_barrier, 0
	.set _ZN7rocprim17ROCPRIM_400000_NS6detail17trampoline_kernelINS0_14default_configENS1_35radix_sort_onesweep_config_selectorIxxEEZNS1_34radix_sort_onesweep_global_offsetsIS3_Lb0EN6thrust23THRUST_200600_302600_NS6detail15normal_iteratorINS8_10device_ptrIxEEEESD_jNS0_19identity_decomposerEEE10hipError_tT1_T2_PT3_SI_jT4_jjP12ihipStream_tbEUlT_E_NS1_11comp_targetILNS1_3genE3ELNS1_11target_archE908ELNS1_3gpuE7ELNS1_3repE0EEENS1_52radix_sort_onesweep_histogram_config_static_selectorELNS0_4arch9wavefront6targetE1EEEvSG_.private_seg_size, 0
	.set _ZN7rocprim17ROCPRIM_400000_NS6detail17trampoline_kernelINS0_14default_configENS1_35radix_sort_onesweep_config_selectorIxxEEZNS1_34radix_sort_onesweep_global_offsetsIS3_Lb0EN6thrust23THRUST_200600_302600_NS6detail15normal_iteratorINS8_10device_ptrIxEEEESD_jNS0_19identity_decomposerEEE10hipError_tT1_T2_PT3_SI_jT4_jjP12ihipStream_tbEUlT_E_NS1_11comp_targetILNS1_3genE3ELNS1_11target_archE908ELNS1_3gpuE7ELNS1_3repE0EEENS1_52radix_sort_onesweep_histogram_config_static_selectorELNS0_4arch9wavefront6targetE1EEEvSG_.uses_vcc, 0
	.set _ZN7rocprim17ROCPRIM_400000_NS6detail17trampoline_kernelINS0_14default_configENS1_35radix_sort_onesweep_config_selectorIxxEEZNS1_34radix_sort_onesweep_global_offsetsIS3_Lb0EN6thrust23THRUST_200600_302600_NS6detail15normal_iteratorINS8_10device_ptrIxEEEESD_jNS0_19identity_decomposerEEE10hipError_tT1_T2_PT3_SI_jT4_jjP12ihipStream_tbEUlT_E_NS1_11comp_targetILNS1_3genE3ELNS1_11target_archE908ELNS1_3gpuE7ELNS1_3repE0EEENS1_52radix_sort_onesweep_histogram_config_static_selectorELNS0_4arch9wavefront6targetE1EEEvSG_.uses_flat_scratch, 0
	.set _ZN7rocprim17ROCPRIM_400000_NS6detail17trampoline_kernelINS0_14default_configENS1_35radix_sort_onesweep_config_selectorIxxEEZNS1_34radix_sort_onesweep_global_offsetsIS3_Lb0EN6thrust23THRUST_200600_302600_NS6detail15normal_iteratorINS8_10device_ptrIxEEEESD_jNS0_19identity_decomposerEEE10hipError_tT1_T2_PT3_SI_jT4_jjP12ihipStream_tbEUlT_E_NS1_11comp_targetILNS1_3genE3ELNS1_11target_archE908ELNS1_3gpuE7ELNS1_3repE0EEENS1_52radix_sort_onesweep_histogram_config_static_selectorELNS0_4arch9wavefront6targetE1EEEvSG_.has_dyn_sized_stack, 0
	.set _ZN7rocprim17ROCPRIM_400000_NS6detail17trampoline_kernelINS0_14default_configENS1_35radix_sort_onesweep_config_selectorIxxEEZNS1_34radix_sort_onesweep_global_offsetsIS3_Lb0EN6thrust23THRUST_200600_302600_NS6detail15normal_iteratorINS8_10device_ptrIxEEEESD_jNS0_19identity_decomposerEEE10hipError_tT1_T2_PT3_SI_jT4_jjP12ihipStream_tbEUlT_E_NS1_11comp_targetILNS1_3genE3ELNS1_11target_archE908ELNS1_3gpuE7ELNS1_3repE0EEENS1_52radix_sort_onesweep_histogram_config_static_selectorELNS0_4arch9wavefront6targetE1EEEvSG_.has_recursion, 0
	.set _ZN7rocprim17ROCPRIM_400000_NS6detail17trampoline_kernelINS0_14default_configENS1_35radix_sort_onesweep_config_selectorIxxEEZNS1_34radix_sort_onesweep_global_offsetsIS3_Lb0EN6thrust23THRUST_200600_302600_NS6detail15normal_iteratorINS8_10device_ptrIxEEEESD_jNS0_19identity_decomposerEEE10hipError_tT1_T2_PT3_SI_jT4_jjP12ihipStream_tbEUlT_E_NS1_11comp_targetILNS1_3genE3ELNS1_11target_archE908ELNS1_3gpuE7ELNS1_3repE0EEENS1_52radix_sort_onesweep_histogram_config_static_selectorELNS0_4arch9wavefront6targetE1EEEvSG_.has_indirect_call, 0
	.section	.AMDGPU.csdata,"",@progbits
; Kernel info:
; codeLenInByte = 0
; TotalNumSgprs: 6
; NumVgprs: 0
; NumAgprs: 0
; TotalNumVgprs: 0
; ScratchSize: 0
; MemoryBound: 0
; FloatMode: 240
; IeeeMode: 1
; LDSByteSize: 0 bytes/workgroup (compile time only)
; SGPRBlocks: 0
; VGPRBlocks: 0
; NumSGPRsForWavesPerEU: 6
; NumVGPRsForWavesPerEU: 1
; AccumOffset: 4
; Occupancy: 8
; WaveLimiterHint : 0
; COMPUTE_PGM_RSRC2:SCRATCH_EN: 0
; COMPUTE_PGM_RSRC2:USER_SGPR: 2
; COMPUTE_PGM_RSRC2:TRAP_HANDLER: 0
; COMPUTE_PGM_RSRC2:TGID_X_EN: 1
; COMPUTE_PGM_RSRC2:TGID_Y_EN: 0
; COMPUTE_PGM_RSRC2:TGID_Z_EN: 0
; COMPUTE_PGM_RSRC2:TIDIG_COMP_CNT: 0
; COMPUTE_PGM_RSRC3_GFX90A:ACCUM_OFFSET: 0
; COMPUTE_PGM_RSRC3_GFX90A:TG_SPLIT: 0
	.section	.text._ZN7rocprim17ROCPRIM_400000_NS6detail17trampoline_kernelINS0_14default_configENS1_35radix_sort_onesweep_config_selectorIxxEEZNS1_34radix_sort_onesweep_global_offsetsIS3_Lb0EN6thrust23THRUST_200600_302600_NS6detail15normal_iteratorINS8_10device_ptrIxEEEESD_jNS0_19identity_decomposerEEE10hipError_tT1_T2_PT3_SI_jT4_jjP12ihipStream_tbEUlT_E_NS1_11comp_targetILNS1_3genE10ELNS1_11target_archE1201ELNS1_3gpuE5ELNS1_3repE0EEENS1_52radix_sort_onesweep_histogram_config_static_selectorELNS0_4arch9wavefront6targetE1EEEvSG_,"axG",@progbits,_ZN7rocprim17ROCPRIM_400000_NS6detail17trampoline_kernelINS0_14default_configENS1_35radix_sort_onesweep_config_selectorIxxEEZNS1_34radix_sort_onesweep_global_offsetsIS3_Lb0EN6thrust23THRUST_200600_302600_NS6detail15normal_iteratorINS8_10device_ptrIxEEEESD_jNS0_19identity_decomposerEEE10hipError_tT1_T2_PT3_SI_jT4_jjP12ihipStream_tbEUlT_E_NS1_11comp_targetILNS1_3genE10ELNS1_11target_archE1201ELNS1_3gpuE5ELNS1_3repE0EEENS1_52radix_sort_onesweep_histogram_config_static_selectorELNS0_4arch9wavefront6targetE1EEEvSG_,comdat
	.protected	_ZN7rocprim17ROCPRIM_400000_NS6detail17trampoline_kernelINS0_14default_configENS1_35radix_sort_onesweep_config_selectorIxxEEZNS1_34radix_sort_onesweep_global_offsetsIS3_Lb0EN6thrust23THRUST_200600_302600_NS6detail15normal_iteratorINS8_10device_ptrIxEEEESD_jNS0_19identity_decomposerEEE10hipError_tT1_T2_PT3_SI_jT4_jjP12ihipStream_tbEUlT_E_NS1_11comp_targetILNS1_3genE10ELNS1_11target_archE1201ELNS1_3gpuE5ELNS1_3repE0EEENS1_52radix_sort_onesweep_histogram_config_static_selectorELNS0_4arch9wavefront6targetE1EEEvSG_ ; -- Begin function _ZN7rocprim17ROCPRIM_400000_NS6detail17trampoline_kernelINS0_14default_configENS1_35radix_sort_onesweep_config_selectorIxxEEZNS1_34radix_sort_onesweep_global_offsetsIS3_Lb0EN6thrust23THRUST_200600_302600_NS6detail15normal_iteratorINS8_10device_ptrIxEEEESD_jNS0_19identity_decomposerEEE10hipError_tT1_T2_PT3_SI_jT4_jjP12ihipStream_tbEUlT_E_NS1_11comp_targetILNS1_3genE10ELNS1_11target_archE1201ELNS1_3gpuE5ELNS1_3repE0EEENS1_52radix_sort_onesweep_histogram_config_static_selectorELNS0_4arch9wavefront6targetE1EEEvSG_
	.globl	_ZN7rocprim17ROCPRIM_400000_NS6detail17trampoline_kernelINS0_14default_configENS1_35radix_sort_onesweep_config_selectorIxxEEZNS1_34radix_sort_onesweep_global_offsetsIS3_Lb0EN6thrust23THRUST_200600_302600_NS6detail15normal_iteratorINS8_10device_ptrIxEEEESD_jNS0_19identity_decomposerEEE10hipError_tT1_T2_PT3_SI_jT4_jjP12ihipStream_tbEUlT_E_NS1_11comp_targetILNS1_3genE10ELNS1_11target_archE1201ELNS1_3gpuE5ELNS1_3repE0EEENS1_52radix_sort_onesweep_histogram_config_static_selectorELNS0_4arch9wavefront6targetE1EEEvSG_
	.p2align	8
	.type	_ZN7rocprim17ROCPRIM_400000_NS6detail17trampoline_kernelINS0_14default_configENS1_35radix_sort_onesweep_config_selectorIxxEEZNS1_34radix_sort_onesweep_global_offsetsIS3_Lb0EN6thrust23THRUST_200600_302600_NS6detail15normal_iteratorINS8_10device_ptrIxEEEESD_jNS0_19identity_decomposerEEE10hipError_tT1_T2_PT3_SI_jT4_jjP12ihipStream_tbEUlT_E_NS1_11comp_targetILNS1_3genE10ELNS1_11target_archE1201ELNS1_3gpuE5ELNS1_3repE0EEENS1_52radix_sort_onesweep_histogram_config_static_selectorELNS0_4arch9wavefront6targetE1EEEvSG_,@function
_ZN7rocprim17ROCPRIM_400000_NS6detail17trampoline_kernelINS0_14default_configENS1_35radix_sort_onesweep_config_selectorIxxEEZNS1_34radix_sort_onesweep_global_offsetsIS3_Lb0EN6thrust23THRUST_200600_302600_NS6detail15normal_iteratorINS8_10device_ptrIxEEEESD_jNS0_19identity_decomposerEEE10hipError_tT1_T2_PT3_SI_jT4_jjP12ihipStream_tbEUlT_E_NS1_11comp_targetILNS1_3genE10ELNS1_11target_archE1201ELNS1_3gpuE5ELNS1_3repE0EEENS1_52radix_sort_onesweep_histogram_config_static_selectorELNS0_4arch9wavefront6targetE1EEEvSG_: ; @_ZN7rocprim17ROCPRIM_400000_NS6detail17trampoline_kernelINS0_14default_configENS1_35radix_sort_onesweep_config_selectorIxxEEZNS1_34radix_sort_onesweep_global_offsetsIS3_Lb0EN6thrust23THRUST_200600_302600_NS6detail15normal_iteratorINS8_10device_ptrIxEEEESD_jNS0_19identity_decomposerEEE10hipError_tT1_T2_PT3_SI_jT4_jjP12ihipStream_tbEUlT_E_NS1_11comp_targetILNS1_3genE10ELNS1_11target_archE1201ELNS1_3gpuE5ELNS1_3repE0EEENS1_52radix_sort_onesweep_histogram_config_static_selectorELNS0_4arch9wavefront6targetE1EEEvSG_
; %bb.0:
	.section	.rodata,"a",@progbits
	.p2align	6, 0x0
	.amdhsa_kernel _ZN7rocprim17ROCPRIM_400000_NS6detail17trampoline_kernelINS0_14default_configENS1_35radix_sort_onesweep_config_selectorIxxEEZNS1_34radix_sort_onesweep_global_offsetsIS3_Lb0EN6thrust23THRUST_200600_302600_NS6detail15normal_iteratorINS8_10device_ptrIxEEEESD_jNS0_19identity_decomposerEEE10hipError_tT1_T2_PT3_SI_jT4_jjP12ihipStream_tbEUlT_E_NS1_11comp_targetILNS1_3genE10ELNS1_11target_archE1201ELNS1_3gpuE5ELNS1_3repE0EEENS1_52radix_sort_onesweep_histogram_config_static_selectorELNS0_4arch9wavefront6targetE1EEEvSG_
		.amdhsa_group_segment_fixed_size 0
		.amdhsa_private_segment_fixed_size 0
		.amdhsa_kernarg_size 40
		.amdhsa_user_sgpr_count 2
		.amdhsa_user_sgpr_dispatch_ptr 0
		.amdhsa_user_sgpr_queue_ptr 0
		.amdhsa_user_sgpr_kernarg_segment_ptr 1
		.amdhsa_user_sgpr_dispatch_id 0
		.amdhsa_user_sgpr_kernarg_preload_length 0
		.amdhsa_user_sgpr_kernarg_preload_offset 0
		.amdhsa_user_sgpr_private_segment_size 0
		.amdhsa_uses_dynamic_stack 0
		.amdhsa_enable_private_segment 0
		.amdhsa_system_sgpr_workgroup_id_x 1
		.amdhsa_system_sgpr_workgroup_id_y 0
		.amdhsa_system_sgpr_workgroup_id_z 0
		.amdhsa_system_sgpr_workgroup_info 0
		.amdhsa_system_vgpr_workitem_id 0
		.amdhsa_next_free_vgpr 1
		.amdhsa_next_free_sgpr 0
		.amdhsa_accum_offset 4
		.amdhsa_reserve_vcc 0
		.amdhsa_float_round_mode_32 0
		.amdhsa_float_round_mode_16_64 0
		.amdhsa_float_denorm_mode_32 3
		.amdhsa_float_denorm_mode_16_64 3
		.amdhsa_dx10_clamp 1
		.amdhsa_ieee_mode 1
		.amdhsa_fp16_overflow 0
		.amdhsa_tg_split 0
		.amdhsa_exception_fp_ieee_invalid_op 0
		.amdhsa_exception_fp_denorm_src 0
		.amdhsa_exception_fp_ieee_div_zero 0
		.amdhsa_exception_fp_ieee_overflow 0
		.amdhsa_exception_fp_ieee_underflow 0
		.amdhsa_exception_fp_ieee_inexact 0
		.amdhsa_exception_int_div_zero 0
	.end_amdhsa_kernel
	.section	.text._ZN7rocprim17ROCPRIM_400000_NS6detail17trampoline_kernelINS0_14default_configENS1_35radix_sort_onesweep_config_selectorIxxEEZNS1_34radix_sort_onesweep_global_offsetsIS3_Lb0EN6thrust23THRUST_200600_302600_NS6detail15normal_iteratorINS8_10device_ptrIxEEEESD_jNS0_19identity_decomposerEEE10hipError_tT1_T2_PT3_SI_jT4_jjP12ihipStream_tbEUlT_E_NS1_11comp_targetILNS1_3genE10ELNS1_11target_archE1201ELNS1_3gpuE5ELNS1_3repE0EEENS1_52radix_sort_onesweep_histogram_config_static_selectorELNS0_4arch9wavefront6targetE1EEEvSG_,"axG",@progbits,_ZN7rocprim17ROCPRIM_400000_NS6detail17trampoline_kernelINS0_14default_configENS1_35radix_sort_onesweep_config_selectorIxxEEZNS1_34radix_sort_onesweep_global_offsetsIS3_Lb0EN6thrust23THRUST_200600_302600_NS6detail15normal_iteratorINS8_10device_ptrIxEEEESD_jNS0_19identity_decomposerEEE10hipError_tT1_T2_PT3_SI_jT4_jjP12ihipStream_tbEUlT_E_NS1_11comp_targetILNS1_3genE10ELNS1_11target_archE1201ELNS1_3gpuE5ELNS1_3repE0EEENS1_52radix_sort_onesweep_histogram_config_static_selectorELNS0_4arch9wavefront6targetE1EEEvSG_,comdat
.Lfunc_end1176:
	.size	_ZN7rocprim17ROCPRIM_400000_NS6detail17trampoline_kernelINS0_14default_configENS1_35radix_sort_onesweep_config_selectorIxxEEZNS1_34radix_sort_onesweep_global_offsetsIS3_Lb0EN6thrust23THRUST_200600_302600_NS6detail15normal_iteratorINS8_10device_ptrIxEEEESD_jNS0_19identity_decomposerEEE10hipError_tT1_T2_PT3_SI_jT4_jjP12ihipStream_tbEUlT_E_NS1_11comp_targetILNS1_3genE10ELNS1_11target_archE1201ELNS1_3gpuE5ELNS1_3repE0EEENS1_52radix_sort_onesweep_histogram_config_static_selectorELNS0_4arch9wavefront6targetE1EEEvSG_, .Lfunc_end1176-_ZN7rocprim17ROCPRIM_400000_NS6detail17trampoline_kernelINS0_14default_configENS1_35radix_sort_onesweep_config_selectorIxxEEZNS1_34radix_sort_onesweep_global_offsetsIS3_Lb0EN6thrust23THRUST_200600_302600_NS6detail15normal_iteratorINS8_10device_ptrIxEEEESD_jNS0_19identity_decomposerEEE10hipError_tT1_T2_PT3_SI_jT4_jjP12ihipStream_tbEUlT_E_NS1_11comp_targetILNS1_3genE10ELNS1_11target_archE1201ELNS1_3gpuE5ELNS1_3repE0EEENS1_52radix_sort_onesweep_histogram_config_static_selectorELNS0_4arch9wavefront6targetE1EEEvSG_
                                        ; -- End function
	.set _ZN7rocprim17ROCPRIM_400000_NS6detail17trampoline_kernelINS0_14default_configENS1_35radix_sort_onesweep_config_selectorIxxEEZNS1_34radix_sort_onesweep_global_offsetsIS3_Lb0EN6thrust23THRUST_200600_302600_NS6detail15normal_iteratorINS8_10device_ptrIxEEEESD_jNS0_19identity_decomposerEEE10hipError_tT1_T2_PT3_SI_jT4_jjP12ihipStream_tbEUlT_E_NS1_11comp_targetILNS1_3genE10ELNS1_11target_archE1201ELNS1_3gpuE5ELNS1_3repE0EEENS1_52radix_sort_onesweep_histogram_config_static_selectorELNS0_4arch9wavefront6targetE1EEEvSG_.num_vgpr, 0
	.set _ZN7rocprim17ROCPRIM_400000_NS6detail17trampoline_kernelINS0_14default_configENS1_35radix_sort_onesweep_config_selectorIxxEEZNS1_34radix_sort_onesweep_global_offsetsIS3_Lb0EN6thrust23THRUST_200600_302600_NS6detail15normal_iteratorINS8_10device_ptrIxEEEESD_jNS0_19identity_decomposerEEE10hipError_tT1_T2_PT3_SI_jT4_jjP12ihipStream_tbEUlT_E_NS1_11comp_targetILNS1_3genE10ELNS1_11target_archE1201ELNS1_3gpuE5ELNS1_3repE0EEENS1_52radix_sort_onesweep_histogram_config_static_selectorELNS0_4arch9wavefront6targetE1EEEvSG_.num_agpr, 0
	.set _ZN7rocprim17ROCPRIM_400000_NS6detail17trampoline_kernelINS0_14default_configENS1_35radix_sort_onesweep_config_selectorIxxEEZNS1_34radix_sort_onesweep_global_offsetsIS3_Lb0EN6thrust23THRUST_200600_302600_NS6detail15normal_iteratorINS8_10device_ptrIxEEEESD_jNS0_19identity_decomposerEEE10hipError_tT1_T2_PT3_SI_jT4_jjP12ihipStream_tbEUlT_E_NS1_11comp_targetILNS1_3genE10ELNS1_11target_archE1201ELNS1_3gpuE5ELNS1_3repE0EEENS1_52radix_sort_onesweep_histogram_config_static_selectorELNS0_4arch9wavefront6targetE1EEEvSG_.numbered_sgpr, 0
	.set _ZN7rocprim17ROCPRIM_400000_NS6detail17trampoline_kernelINS0_14default_configENS1_35radix_sort_onesweep_config_selectorIxxEEZNS1_34radix_sort_onesweep_global_offsetsIS3_Lb0EN6thrust23THRUST_200600_302600_NS6detail15normal_iteratorINS8_10device_ptrIxEEEESD_jNS0_19identity_decomposerEEE10hipError_tT1_T2_PT3_SI_jT4_jjP12ihipStream_tbEUlT_E_NS1_11comp_targetILNS1_3genE10ELNS1_11target_archE1201ELNS1_3gpuE5ELNS1_3repE0EEENS1_52radix_sort_onesweep_histogram_config_static_selectorELNS0_4arch9wavefront6targetE1EEEvSG_.num_named_barrier, 0
	.set _ZN7rocprim17ROCPRIM_400000_NS6detail17trampoline_kernelINS0_14default_configENS1_35radix_sort_onesweep_config_selectorIxxEEZNS1_34radix_sort_onesweep_global_offsetsIS3_Lb0EN6thrust23THRUST_200600_302600_NS6detail15normal_iteratorINS8_10device_ptrIxEEEESD_jNS0_19identity_decomposerEEE10hipError_tT1_T2_PT3_SI_jT4_jjP12ihipStream_tbEUlT_E_NS1_11comp_targetILNS1_3genE10ELNS1_11target_archE1201ELNS1_3gpuE5ELNS1_3repE0EEENS1_52radix_sort_onesweep_histogram_config_static_selectorELNS0_4arch9wavefront6targetE1EEEvSG_.private_seg_size, 0
	.set _ZN7rocprim17ROCPRIM_400000_NS6detail17trampoline_kernelINS0_14default_configENS1_35radix_sort_onesweep_config_selectorIxxEEZNS1_34radix_sort_onesweep_global_offsetsIS3_Lb0EN6thrust23THRUST_200600_302600_NS6detail15normal_iteratorINS8_10device_ptrIxEEEESD_jNS0_19identity_decomposerEEE10hipError_tT1_T2_PT3_SI_jT4_jjP12ihipStream_tbEUlT_E_NS1_11comp_targetILNS1_3genE10ELNS1_11target_archE1201ELNS1_3gpuE5ELNS1_3repE0EEENS1_52radix_sort_onesweep_histogram_config_static_selectorELNS0_4arch9wavefront6targetE1EEEvSG_.uses_vcc, 0
	.set _ZN7rocprim17ROCPRIM_400000_NS6detail17trampoline_kernelINS0_14default_configENS1_35radix_sort_onesweep_config_selectorIxxEEZNS1_34radix_sort_onesweep_global_offsetsIS3_Lb0EN6thrust23THRUST_200600_302600_NS6detail15normal_iteratorINS8_10device_ptrIxEEEESD_jNS0_19identity_decomposerEEE10hipError_tT1_T2_PT3_SI_jT4_jjP12ihipStream_tbEUlT_E_NS1_11comp_targetILNS1_3genE10ELNS1_11target_archE1201ELNS1_3gpuE5ELNS1_3repE0EEENS1_52radix_sort_onesweep_histogram_config_static_selectorELNS0_4arch9wavefront6targetE1EEEvSG_.uses_flat_scratch, 0
	.set _ZN7rocprim17ROCPRIM_400000_NS6detail17trampoline_kernelINS0_14default_configENS1_35radix_sort_onesweep_config_selectorIxxEEZNS1_34radix_sort_onesweep_global_offsetsIS3_Lb0EN6thrust23THRUST_200600_302600_NS6detail15normal_iteratorINS8_10device_ptrIxEEEESD_jNS0_19identity_decomposerEEE10hipError_tT1_T2_PT3_SI_jT4_jjP12ihipStream_tbEUlT_E_NS1_11comp_targetILNS1_3genE10ELNS1_11target_archE1201ELNS1_3gpuE5ELNS1_3repE0EEENS1_52radix_sort_onesweep_histogram_config_static_selectorELNS0_4arch9wavefront6targetE1EEEvSG_.has_dyn_sized_stack, 0
	.set _ZN7rocprim17ROCPRIM_400000_NS6detail17trampoline_kernelINS0_14default_configENS1_35radix_sort_onesweep_config_selectorIxxEEZNS1_34radix_sort_onesweep_global_offsetsIS3_Lb0EN6thrust23THRUST_200600_302600_NS6detail15normal_iteratorINS8_10device_ptrIxEEEESD_jNS0_19identity_decomposerEEE10hipError_tT1_T2_PT3_SI_jT4_jjP12ihipStream_tbEUlT_E_NS1_11comp_targetILNS1_3genE10ELNS1_11target_archE1201ELNS1_3gpuE5ELNS1_3repE0EEENS1_52radix_sort_onesweep_histogram_config_static_selectorELNS0_4arch9wavefront6targetE1EEEvSG_.has_recursion, 0
	.set _ZN7rocprim17ROCPRIM_400000_NS6detail17trampoline_kernelINS0_14default_configENS1_35radix_sort_onesweep_config_selectorIxxEEZNS1_34radix_sort_onesweep_global_offsetsIS3_Lb0EN6thrust23THRUST_200600_302600_NS6detail15normal_iteratorINS8_10device_ptrIxEEEESD_jNS0_19identity_decomposerEEE10hipError_tT1_T2_PT3_SI_jT4_jjP12ihipStream_tbEUlT_E_NS1_11comp_targetILNS1_3genE10ELNS1_11target_archE1201ELNS1_3gpuE5ELNS1_3repE0EEENS1_52radix_sort_onesweep_histogram_config_static_selectorELNS0_4arch9wavefront6targetE1EEEvSG_.has_indirect_call, 0
	.section	.AMDGPU.csdata,"",@progbits
; Kernel info:
; codeLenInByte = 0
; TotalNumSgprs: 6
; NumVgprs: 0
; NumAgprs: 0
; TotalNumVgprs: 0
; ScratchSize: 0
; MemoryBound: 0
; FloatMode: 240
; IeeeMode: 1
; LDSByteSize: 0 bytes/workgroup (compile time only)
; SGPRBlocks: 0
; VGPRBlocks: 0
; NumSGPRsForWavesPerEU: 6
; NumVGPRsForWavesPerEU: 1
; AccumOffset: 4
; Occupancy: 8
; WaveLimiterHint : 0
; COMPUTE_PGM_RSRC2:SCRATCH_EN: 0
; COMPUTE_PGM_RSRC2:USER_SGPR: 2
; COMPUTE_PGM_RSRC2:TRAP_HANDLER: 0
; COMPUTE_PGM_RSRC2:TGID_X_EN: 1
; COMPUTE_PGM_RSRC2:TGID_Y_EN: 0
; COMPUTE_PGM_RSRC2:TGID_Z_EN: 0
; COMPUTE_PGM_RSRC2:TIDIG_COMP_CNT: 0
; COMPUTE_PGM_RSRC3_GFX90A:ACCUM_OFFSET: 0
; COMPUTE_PGM_RSRC3_GFX90A:TG_SPLIT: 0
	.section	.text._ZN7rocprim17ROCPRIM_400000_NS6detail17trampoline_kernelINS0_14default_configENS1_35radix_sort_onesweep_config_selectorIxxEEZNS1_34radix_sort_onesweep_global_offsetsIS3_Lb0EN6thrust23THRUST_200600_302600_NS6detail15normal_iteratorINS8_10device_ptrIxEEEESD_jNS0_19identity_decomposerEEE10hipError_tT1_T2_PT3_SI_jT4_jjP12ihipStream_tbEUlT_E_NS1_11comp_targetILNS1_3genE9ELNS1_11target_archE1100ELNS1_3gpuE3ELNS1_3repE0EEENS1_52radix_sort_onesweep_histogram_config_static_selectorELNS0_4arch9wavefront6targetE1EEEvSG_,"axG",@progbits,_ZN7rocprim17ROCPRIM_400000_NS6detail17trampoline_kernelINS0_14default_configENS1_35radix_sort_onesweep_config_selectorIxxEEZNS1_34radix_sort_onesweep_global_offsetsIS3_Lb0EN6thrust23THRUST_200600_302600_NS6detail15normal_iteratorINS8_10device_ptrIxEEEESD_jNS0_19identity_decomposerEEE10hipError_tT1_T2_PT3_SI_jT4_jjP12ihipStream_tbEUlT_E_NS1_11comp_targetILNS1_3genE9ELNS1_11target_archE1100ELNS1_3gpuE3ELNS1_3repE0EEENS1_52radix_sort_onesweep_histogram_config_static_selectorELNS0_4arch9wavefront6targetE1EEEvSG_,comdat
	.protected	_ZN7rocprim17ROCPRIM_400000_NS6detail17trampoline_kernelINS0_14default_configENS1_35radix_sort_onesweep_config_selectorIxxEEZNS1_34radix_sort_onesweep_global_offsetsIS3_Lb0EN6thrust23THRUST_200600_302600_NS6detail15normal_iteratorINS8_10device_ptrIxEEEESD_jNS0_19identity_decomposerEEE10hipError_tT1_T2_PT3_SI_jT4_jjP12ihipStream_tbEUlT_E_NS1_11comp_targetILNS1_3genE9ELNS1_11target_archE1100ELNS1_3gpuE3ELNS1_3repE0EEENS1_52radix_sort_onesweep_histogram_config_static_selectorELNS0_4arch9wavefront6targetE1EEEvSG_ ; -- Begin function _ZN7rocprim17ROCPRIM_400000_NS6detail17trampoline_kernelINS0_14default_configENS1_35radix_sort_onesweep_config_selectorIxxEEZNS1_34radix_sort_onesweep_global_offsetsIS3_Lb0EN6thrust23THRUST_200600_302600_NS6detail15normal_iteratorINS8_10device_ptrIxEEEESD_jNS0_19identity_decomposerEEE10hipError_tT1_T2_PT3_SI_jT4_jjP12ihipStream_tbEUlT_E_NS1_11comp_targetILNS1_3genE9ELNS1_11target_archE1100ELNS1_3gpuE3ELNS1_3repE0EEENS1_52radix_sort_onesweep_histogram_config_static_selectorELNS0_4arch9wavefront6targetE1EEEvSG_
	.globl	_ZN7rocprim17ROCPRIM_400000_NS6detail17trampoline_kernelINS0_14default_configENS1_35radix_sort_onesweep_config_selectorIxxEEZNS1_34radix_sort_onesweep_global_offsetsIS3_Lb0EN6thrust23THRUST_200600_302600_NS6detail15normal_iteratorINS8_10device_ptrIxEEEESD_jNS0_19identity_decomposerEEE10hipError_tT1_T2_PT3_SI_jT4_jjP12ihipStream_tbEUlT_E_NS1_11comp_targetILNS1_3genE9ELNS1_11target_archE1100ELNS1_3gpuE3ELNS1_3repE0EEENS1_52radix_sort_onesweep_histogram_config_static_selectorELNS0_4arch9wavefront6targetE1EEEvSG_
	.p2align	8
	.type	_ZN7rocprim17ROCPRIM_400000_NS6detail17trampoline_kernelINS0_14default_configENS1_35radix_sort_onesweep_config_selectorIxxEEZNS1_34radix_sort_onesweep_global_offsetsIS3_Lb0EN6thrust23THRUST_200600_302600_NS6detail15normal_iteratorINS8_10device_ptrIxEEEESD_jNS0_19identity_decomposerEEE10hipError_tT1_T2_PT3_SI_jT4_jjP12ihipStream_tbEUlT_E_NS1_11comp_targetILNS1_3genE9ELNS1_11target_archE1100ELNS1_3gpuE3ELNS1_3repE0EEENS1_52radix_sort_onesweep_histogram_config_static_selectorELNS0_4arch9wavefront6targetE1EEEvSG_,@function
_ZN7rocprim17ROCPRIM_400000_NS6detail17trampoline_kernelINS0_14default_configENS1_35radix_sort_onesweep_config_selectorIxxEEZNS1_34radix_sort_onesweep_global_offsetsIS3_Lb0EN6thrust23THRUST_200600_302600_NS6detail15normal_iteratorINS8_10device_ptrIxEEEESD_jNS0_19identity_decomposerEEE10hipError_tT1_T2_PT3_SI_jT4_jjP12ihipStream_tbEUlT_E_NS1_11comp_targetILNS1_3genE9ELNS1_11target_archE1100ELNS1_3gpuE3ELNS1_3repE0EEENS1_52radix_sort_onesweep_histogram_config_static_selectorELNS0_4arch9wavefront6targetE1EEEvSG_: ; @_ZN7rocprim17ROCPRIM_400000_NS6detail17trampoline_kernelINS0_14default_configENS1_35radix_sort_onesweep_config_selectorIxxEEZNS1_34radix_sort_onesweep_global_offsetsIS3_Lb0EN6thrust23THRUST_200600_302600_NS6detail15normal_iteratorINS8_10device_ptrIxEEEESD_jNS0_19identity_decomposerEEE10hipError_tT1_T2_PT3_SI_jT4_jjP12ihipStream_tbEUlT_E_NS1_11comp_targetILNS1_3genE9ELNS1_11target_archE1100ELNS1_3gpuE3ELNS1_3repE0EEENS1_52radix_sort_onesweep_histogram_config_static_selectorELNS0_4arch9wavefront6targetE1EEEvSG_
; %bb.0:
	.section	.rodata,"a",@progbits
	.p2align	6, 0x0
	.amdhsa_kernel _ZN7rocprim17ROCPRIM_400000_NS6detail17trampoline_kernelINS0_14default_configENS1_35radix_sort_onesweep_config_selectorIxxEEZNS1_34radix_sort_onesweep_global_offsetsIS3_Lb0EN6thrust23THRUST_200600_302600_NS6detail15normal_iteratorINS8_10device_ptrIxEEEESD_jNS0_19identity_decomposerEEE10hipError_tT1_T2_PT3_SI_jT4_jjP12ihipStream_tbEUlT_E_NS1_11comp_targetILNS1_3genE9ELNS1_11target_archE1100ELNS1_3gpuE3ELNS1_3repE0EEENS1_52radix_sort_onesweep_histogram_config_static_selectorELNS0_4arch9wavefront6targetE1EEEvSG_
		.amdhsa_group_segment_fixed_size 0
		.amdhsa_private_segment_fixed_size 0
		.amdhsa_kernarg_size 40
		.amdhsa_user_sgpr_count 2
		.amdhsa_user_sgpr_dispatch_ptr 0
		.amdhsa_user_sgpr_queue_ptr 0
		.amdhsa_user_sgpr_kernarg_segment_ptr 1
		.amdhsa_user_sgpr_dispatch_id 0
		.amdhsa_user_sgpr_kernarg_preload_length 0
		.amdhsa_user_sgpr_kernarg_preload_offset 0
		.amdhsa_user_sgpr_private_segment_size 0
		.amdhsa_uses_dynamic_stack 0
		.amdhsa_enable_private_segment 0
		.amdhsa_system_sgpr_workgroup_id_x 1
		.amdhsa_system_sgpr_workgroup_id_y 0
		.amdhsa_system_sgpr_workgroup_id_z 0
		.amdhsa_system_sgpr_workgroup_info 0
		.amdhsa_system_vgpr_workitem_id 0
		.amdhsa_next_free_vgpr 1
		.amdhsa_next_free_sgpr 0
		.amdhsa_accum_offset 4
		.amdhsa_reserve_vcc 0
		.amdhsa_float_round_mode_32 0
		.amdhsa_float_round_mode_16_64 0
		.amdhsa_float_denorm_mode_32 3
		.amdhsa_float_denorm_mode_16_64 3
		.amdhsa_dx10_clamp 1
		.amdhsa_ieee_mode 1
		.amdhsa_fp16_overflow 0
		.amdhsa_tg_split 0
		.amdhsa_exception_fp_ieee_invalid_op 0
		.amdhsa_exception_fp_denorm_src 0
		.amdhsa_exception_fp_ieee_div_zero 0
		.amdhsa_exception_fp_ieee_overflow 0
		.amdhsa_exception_fp_ieee_underflow 0
		.amdhsa_exception_fp_ieee_inexact 0
		.amdhsa_exception_int_div_zero 0
	.end_amdhsa_kernel
	.section	.text._ZN7rocprim17ROCPRIM_400000_NS6detail17trampoline_kernelINS0_14default_configENS1_35radix_sort_onesweep_config_selectorIxxEEZNS1_34radix_sort_onesweep_global_offsetsIS3_Lb0EN6thrust23THRUST_200600_302600_NS6detail15normal_iteratorINS8_10device_ptrIxEEEESD_jNS0_19identity_decomposerEEE10hipError_tT1_T2_PT3_SI_jT4_jjP12ihipStream_tbEUlT_E_NS1_11comp_targetILNS1_3genE9ELNS1_11target_archE1100ELNS1_3gpuE3ELNS1_3repE0EEENS1_52radix_sort_onesweep_histogram_config_static_selectorELNS0_4arch9wavefront6targetE1EEEvSG_,"axG",@progbits,_ZN7rocprim17ROCPRIM_400000_NS6detail17trampoline_kernelINS0_14default_configENS1_35radix_sort_onesweep_config_selectorIxxEEZNS1_34radix_sort_onesweep_global_offsetsIS3_Lb0EN6thrust23THRUST_200600_302600_NS6detail15normal_iteratorINS8_10device_ptrIxEEEESD_jNS0_19identity_decomposerEEE10hipError_tT1_T2_PT3_SI_jT4_jjP12ihipStream_tbEUlT_E_NS1_11comp_targetILNS1_3genE9ELNS1_11target_archE1100ELNS1_3gpuE3ELNS1_3repE0EEENS1_52radix_sort_onesweep_histogram_config_static_selectorELNS0_4arch9wavefront6targetE1EEEvSG_,comdat
.Lfunc_end1177:
	.size	_ZN7rocprim17ROCPRIM_400000_NS6detail17trampoline_kernelINS0_14default_configENS1_35radix_sort_onesweep_config_selectorIxxEEZNS1_34radix_sort_onesweep_global_offsetsIS3_Lb0EN6thrust23THRUST_200600_302600_NS6detail15normal_iteratorINS8_10device_ptrIxEEEESD_jNS0_19identity_decomposerEEE10hipError_tT1_T2_PT3_SI_jT4_jjP12ihipStream_tbEUlT_E_NS1_11comp_targetILNS1_3genE9ELNS1_11target_archE1100ELNS1_3gpuE3ELNS1_3repE0EEENS1_52radix_sort_onesweep_histogram_config_static_selectorELNS0_4arch9wavefront6targetE1EEEvSG_, .Lfunc_end1177-_ZN7rocprim17ROCPRIM_400000_NS6detail17trampoline_kernelINS0_14default_configENS1_35radix_sort_onesweep_config_selectorIxxEEZNS1_34radix_sort_onesweep_global_offsetsIS3_Lb0EN6thrust23THRUST_200600_302600_NS6detail15normal_iteratorINS8_10device_ptrIxEEEESD_jNS0_19identity_decomposerEEE10hipError_tT1_T2_PT3_SI_jT4_jjP12ihipStream_tbEUlT_E_NS1_11comp_targetILNS1_3genE9ELNS1_11target_archE1100ELNS1_3gpuE3ELNS1_3repE0EEENS1_52radix_sort_onesweep_histogram_config_static_selectorELNS0_4arch9wavefront6targetE1EEEvSG_
                                        ; -- End function
	.set _ZN7rocprim17ROCPRIM_400000_NS6detail17trampoline_kernelINS0_14default_configENS1_35radix_sort_onesweep_config_selectorIxxEEZNS1_34radix_sort_onesweep_global_offsetsIS3_Lb0EN6thrust23THRUST_200600_302600_NS6detail15normal_iteratorINS8_10device_ptrIxEEEESD_jNS0_19identity_decomposerEEE10hipError_tT1_T2_PT3_SI_jT4_jjP12ihipStream_tbEUlT_E_NS1_11comp_targetILNS1_3genE9ELNS1_11target_archE1100ELNS1_3gpuE3ELNS1_3repE0EEENS1_52radix_sort_onesweep_histogram_config_static_selectorELNS0_4arch9wavefront6targetE1EEEvSG_.num_vgpr, 0
	.set _ZN7rocprim17ROCPRIM_400000_NS6detail17trampoline_kernelINS0_14default_configENS1_35radix_sort_onesweep_config_selectorIxxEEZNS1_34radix_sort_onesweep_global_offsetsIS3_Lb0EN6thrust23THRUST_200600_302600_NS6detail15normal_iteratorINS8_10device_ptrIxEEEESD_jNS0_19identity_decomposerEEE10hipError_tT1_T2_PT3_SI_jT4_jjP12ihipStream_tbEUlT_E_NS1_11comp_targetILNS1_3genE9ELNS1_11target_archE1100ELNS1_3gpuE3ELNS1_3repE0EEENS1_52radix_sort_onesweep_histogram_config_static_selectorELNS0_4arch9wavefront6targetE1EEEvSG_.num_agpr, 0
	.set _ZN7rocprim17ROCPRIM_400000_NS6detail17trampoline_kernelINS0_14default_configENS1_35radix_sort_onesweep_config_selectorIxxEEZNS1_34radix_sort_onesweep_global_offsetsIS3_Lb0EN6thrust23THRUST_200600_302600_NS6detail15normal_iteratorINS8_10device_ptrIxEEEESD_jNS0_19identity_decomposerEEE10hipError_tT1_T2_PT3_SI_jT4_jjP12ihipStream_tbEUlT_E_NS1_11comp_targetILNS1_3genE9ELNS1_11target_archE1100ELNS1_3gpuE3ELNS1_3repE0EEENS1_52radix_sort_onesweep_histogram_config_static_selectorELNS0_4arch9wavefront6targetE1EEEvSG_.numbered_sgpr, 0
	.set _ZN7rocprim17ROCPRIM_400000_NS6detail17trampoline_kernelINS0_14default_configENS1_35radix_sort_onesweep_config_selectorIxxEEZNS1_34radix_sort_onesweep_global_offsetsIS3_Lb0EN6thrust23THRUST_200600_302600_NS6detail15normal_iteratorINS8_10device_ptrIxEEEESD_jNS0_19identity_decomposerEEE10hipError_tT1_T2_PT3_SI_jT4_jjP12ihipStream_tbEUlT_E_NS1_11comp_targetILNS1_3genE9ELNS1_11target_archE1100ELNS1_3gpuE3ELNS1_3repE0EEENS1_52radix_sort_onesweep_histogram_config_static_selectorELNS0_4arch9wavefront6targetE1EEEvSG_.num_named_barrier, 0
	.set _ZN7rocprim17ROCPRIM_400000_NS6detail17trampoline_kernelINS0_14default_configENS1_35radix_sort_onesweep_config_selectorIxxEEZNS1_34radix_sort_onesweep_global_offsetsIS3_Lb0EN6thrust23THRUST_200600_302600_NS6detail15normal_iteratorINS8_10device_ptrIxEEEESD_jNS0_19identity_decomposerEEE10hipError_tT1_T2_PT3_SI_jT4_jjP12ihipStream_tbEUlT_E_NS1_11comp_targetILNS1_3genE9ELNS1_11target_archE1100ELNS1_3gpuE3ELNS1_3repE0EEENS1_52radix_sort_onesweep_histogram_config_static_selectorELNS0_4arch9wavefront6targetE1EEEvSG_.private_seg_size, 0
	.set _ZN7rocprim17ROCPRIM_400000_NS6detail17trampoline_kernelINS0_14default_configENS1_35radix_sort_onesweep_config_selectorIxxEEZNS1_34radix_sort_onesweep_global_offsetsIS3_Lb0EN6thrust23THRUST_200600_302600_NS6detail15normal_iteratorINS8_10device_ptrIxEEEESD_jNS0_19identity_decomposerEEE10hipError_tT1_T2_PT3_SI_jT4_jjP12ihipStream_tbEUlT_E_NS1_11comp_targetILNS1_3genE9ELNS1_11target_archE1100ELNS1_3gpuE3ELNS1_3repE0EEENS1_52radix_sort_onesweep_histogram_config_static_selectorELNS0_4arch9wavefront6targetE1EEEvSG_.uses_vcc, 0
	.set _ZN7rocprim17ROCPRIM_400000_NS6detail17trampoline_kernelINS0_14default_configENS1_35radix_sort_onesweep_config_selectorIxxEEZNS1_34radix_sort_onesweep_global_offsetsIS3_Lb0EN6thrust23THRUST_200600_302600_NS6detail15normal_iteratorINS8_10device_ptrIxEEEESD_jNS0_19identity_decomposerEEE10hipError_tT1_T2_PT3_SI_jT4_jjP12ihipStream_tbEUlT_E_NS1_11comp_targetILNS1_3genE9ELNS1_11target_archE1100ELNS1_3gpuE3ELNS1_3repE0EEENS1_52radix_sort_onesweep_histogram_config_static_selectorELNS0_4arch9wavefront6targetE1EEEvSG_.uses_flat_scratch, 0
	.set _ZN7rocprim17ROCPRIM_400000_NS6detail17trampoline_kernelINS0_14default_configENS1_35radix_sort_onesweep_config_selectorIxxEEZNS1_34radix_sort_onesweep_global_offsetsIS3_Lb0EN6thrust23THRUST_200600_302600_NS6detail15normal_iteratorINS8_10device_ptrIxEEEESD_jNS0_19identity_decomposerEEE10hipError_tT1_T2_PT3_SI_jT4_jjP12ihipStream_tbEUlT_E_NS1_11comp_targetILNS1_3genE9ELNS1_11target_archE1100ELNS1_3gpuE3ELNS1_3repE0EEENS1_52radix_sort_onesweep_histogram_config_static_selectorELNS0_4arch9wavefront6targetE1EEEvSG_.has_dyn_sized_stack, 0
	.set _ZN7rocprim17ROCPRIM_400000_NS6detail17trampoline_kernelINS0_14default_configENS1_35radix_sort_onesweep_config_selectorIxxEEZNS1_34radix_sort_onesweep_global_offsetsIS3_Lb0EN6thrust23THRUST_200600_302600_NS6detail15normal_iteratorINS8_10device_ptrIxEEEESD_jNS0_19identity_decomposerEEE10hipError_tT1_T2_PT3_SI_jT4_jjP12ihipStream_tbEUlT_E_NS1_11comp_targetILNS1_3genE9ELNS1_11target_archE1100ELNS1_3gpuE3ELNS1_3repE0EEENS1_52radix_sort_onesweep_histogram_config_static_selectorELNS0_4arch9wavefront6targetE1EEEvSG_.has_recursion, 0
	.set _ZN7rocprim17ROCPRIM_400000_NS6detail17trampoline_kernelINS0_14default_configENS1_35radix_sort_onesweep_config_selectorIxxEEZNS1_34radix_sort_onesweep_global_offsetsIS3_Lb0EN6thrust23THRUST_200600_302600_NS6detail15normal_iteratorINS8_10device_ptrIxEEEESD_jNS0_19identity_decomposerEEE10hipError_tT1_T2_PT3_SI_jT4_jjP12ihipStream_tbEUlT_E_NS1_11comp_targetILNS1_3genE9ELNS1_11target_archE1100ELNS1_3gpuE3ELNS1_3repE0EEENS1_52radix_sort_onesweep_histogram_config_static_selectorELNS0_4arch9wavefront6targetE1EEEvSG_.has_indirect_call, 0
	.section	.AMDGPU.csdata,"",@progbits
; Kernel info:
; codeLenInByte = 0
; TotalNumSgprs: 6
; NumVgprs: 0
; NumAgprs: 0
; TotalNumVgprs: 0
; ScratchSize: 0
; MemoryBound: 0
; FloatMode: 240
; IeeeMode: 1
; LDSByteSize: 0 bytes/workgroup (compile time only)
; SGPRBlocks: 0
; VGPRBlocks: 0
; NumSGPRsForWavesPerEU: 6
; NumVGPRsForWavesPerEU: 1
; AccumOffset: 4
; Occupancy: 8
; WaveLimiterHint : 0
; COMPUTE_PGM_RSRC2:SCRATCH_EN: 0
; COMPUTE_PGM_RSRC2:USER_SGPR: 2
; COMPUTE_PGM_RSRC2:TRAP_HANDLER: 0
; COMPUTE_PGM_RSRC2:TGID_X_EN: 1
; COMPUTE_PGM_RSRC2:TGID_Y_EN: 0
; COMPUTE_PGM_RSRC2:TGID_Z_EN: 0
; COMPUTE_PGM_RSRC2:TIDIG_COMP_CNT: 0
; COMPUTE_PGM_RSRC3_GFX90A:ACCUM_OFFSET: 0
; COMPUTE_PGM_RSRC3_GFX90A:TG_SPLIT: 0
	.section	.text._ZN7rocprim17ROCPRIM_400000_NS6detail17trampoline_kernelINS0_14default_configENS1_35radix_sort_onesweep_config_selectorIxxEEZNS1_34radix_sort_onesweep_global_offsetsIS3_Lb0EN6thrust23THRUST_200600_302600_NS6detail15normal_iteratorINS8_10device_ptrIxEEEESD_jNS0_19identity_decomposerEEE10hipError_tT1_T2_PT3_SI_jT4_jjP12ihipStream_tbEUlT_E_NS1_11comp_targetILNS1_3genE8ELNS1_11target_archE1030ELNS1_3gpuE2ELNS1_3repE0EEENS1_52radix_sort_onesweep_histogram_config_static_selectorELNS0_4arch9wavefront6targetE1EEEvSG_,"axG",@progbits,_ZN7rocprim17ROCPRIM_400000_NS6detail17trampoline_kernelINS0_14default_configENS1_35radix_sort_onesweep_config_selectorIxxEEZNS1_34radix_sort_onesweep_global_offsetsIS3_Lb0EN6thrust23THRUST_200600_302600_NS6detail15normal_iteratorINS8_10device_ptrIxEEEESD_jNS0_19identity_decomposerEEE10hipError_tT1_T2_PT3_SI_jT4_jjP12ihipStream_tbEUlT_E_NS1_11comp_targetILNS1_3genE8ELNS1_11target_archE1030ELNS1_3gpuE2ELNS1_3repE0EEENS1_52radix_sort_onesweep_histogram_config_static_selectorELNS0_4arch9wavefront6targetE1EEEvSG_,comdat
	.protected	_ZN7rocprim17ROCPRIM_400000_NS6detail17trampoline_kernelINS0_14default_configENS1_35radix_sort_onesweep_config_selectorIxxEEZNS1_34radix_sort_onesweep_global_offsetsIS3_Lb0EN6thrust23THRUST_200600_302600_NS6detail15normal_iteratorINS8_10device_ptrIxEEEESD_jNS0_19identity_decomposerEEE10hipError_tT1_T2_PT3_SI_jT4_jjP12ihipStream_tbEUlT_E_NS1_11comp_targetILNS1_3genE8ELNS1_11target_archE1030ELNS1_3gpuE2ELNS1_3repE0EEENS1_52radix_sort_onesweep_histogram_config_static_selectorELNS0_4arch9wavefront6targetE1EEEvSG_ ; -- Begin function _ZN7rocprim17ROCPRIM_400000_NS6detail17trampoline_kernelINS0_14default_configENS1_35radix_sort_onesweep_config_selectorIxxEEZNS1_34radix_sort_onesweep_global_offsetsIS3_Lb0EN6thrust23THRUST_200600_302600_NS6detail15normal_iteratorINS8_10device_ptrIxEEEESD_jNS0_19identity_decomposerEEE10hipError_tT1_T2_PT3_SI_jT4_jjP12ihipStream_tbEUlT_E_NS1_11comp_targetILNS1_3genE8ELNS1_11target_archE1030ELNS1_3gpuE2ELNS1_3repE0EEENS1_52radix_sort_onesweep_histogram_config_static_selectorELNS0_4arch9wavefront6targetE1EEEvSG_
	.globl	_ZN7rocprim17ROCPRIM_400000_NS6detail17trampoline_kernelINS0_14default_configENS1_35radix_sort_onesweep_config_selectorIxxEEZNS1_34radix_sort_onesweep_global_offsetsIS3_Lb0EN6thrust23THRUST_200600_302600_NS6detail15normal_iteratorINS8_10device_ptrIxEEEESD_jNS0_19identity_decomposerEEE10hipError_tT1_T2_PT3_SI_jT4_jjP12ihipStream_tbEUlT_E_NS1_11comp_targetILNS1_3genE8ELNS1_11target_archE1030ELNS1_3gpuE2ELNS1_3repE0EEENS1_52radix_sort_onesweep_histogram_config_static_selectorELNS0_4arch9wavefront6targetE1EEEvSG_
	.p2align	8
	.type	_ZN7rocprim17ROCPRIM_400000_NS6detail17trampoline_kernelINS0_14default_configENS1_35radix_sort_onesweep_config_selectorIxxEEZNS1_34radix_sort_onesweep_global_offsetsIS3_Lb0EN6thrust23THRUST_200600_302600_NS6detail15normal_iteratorINS8_10device_ptrIxEEEESD_jNS0_19identity_decomposerEEE10hipError_tT1_T2_PT3_SI_jT4_jjP12ihipStream_tbEUlT_E_NS1_11comp_targetILNS1_3genE8ELNS1_11target_archE1030ELNS1_3gpuE2ELNS1_3repE0EEENS1_52radix_sort_onesweep_histogram_config_static_selectorELNS0_4arch9wavefront6targetE1EEEvSG_,@function
_ZN7rocprim17ROCPRIM_400000_NS6detail17trampoline_kernelINS0_14default_configENS1_35radix_sort_onesweep_config_selectorIxxEEZNS1_34radix_sort_onesweep_global_offsetsIS3_Lb0EN6thrust23THRUST_200600_302600_NS6detail15normal_iteratorINS8_10device_ptrIxEEEESD_jNS0_19identity_decomposerEEE10hipError_tT1_T2_PT3_SI_jT4_jjP12ihipStream_tbEUlT_E_NS1_11comp_targetILNS1_3genE8ELNS1_11target_archE1030ELNS1_3gpuE2ELNS1_3repE0EEENS1_52radix_sort_onesweep_histogram_config_static_selectorELNS0_4arch9wavefront6targetE1EEEvSG_: ; @_ZN7rocprim17ROCPRIM_400000_NS6detail17trampoline_kernelINS0_14default_configENS1_35radix_sort_onesweep_config_selectorIxxEEZNS1_34radix_sort_onesweep_global_offsetsIS3_Lb0EN6thrust23THRUST_200600_302600_NS6detail15normal_iteratorINS8_10device_ptrIxEEEESD_jNS0_19identity_decomposerEEE10hipError_tT1_T2_PT3_SI_jT4_jjP12ihipStream_tbEUlT_E_NS1_11comp_targetILNS1_3genE8ELNS1_11target_archE1030ELNS1_3gpuE2ELNS1_3repE0EEENS1_52radix_sort_onesweep_histogram_config_static_selectorELNS0_4arch9wavefront6targetE1EEEvSG_
; %bb.0:
	.section	.rodata,"a",@progbits
	.p2align	6, 0x0
	.amdhsa_kernel _ZN7rocprim17ROCPRIM_400000_NS6detail17trampoline_kernelINS0_14default_configENS1_35radix_sort_onesweep_config_selectorIxxEEZNS1_34radix_sort_onesweep_global_offsetsIS3_Lb0EN6thrust23THRUST_200600_302600_NS6detail15normal_iteratorINS8_10device_ptrIxEEEESD_jNS0_19identity_decomposerEEE10hipError_tT1_T2_PT3_SI_jT4_jjP12ihipStream_tbEUlT_E_NS1_11comp_targetILNS1_3genE8ELNS1_11target_archE1030ELNS1_3gpuE2ELNS1_3repE0EEENS1_52radix_sort_onesweep_histogram_config_static_selectorELNS0_4arch9wavefront6targetE1EEEvSG_
		.amdhsa_group_segment_fixed_size 0
		.amdhsa_private_segment_fixed_size 0
		.amdhsa_kernarg_size 40
		.amdhsa_user_sgpr_count 2
		.amdhsa_user_sgpr_dispatch_ptr 0
		.amdhsa_user_sgpr_queue_ptr 0
		.amdhsa_user_sgpr_kernarg_segment_ptr 1
		.amdhsa_user_sgpr_dispatch_id 0
		.amdhsa_user_sgpr_kernarg_preload_length 0
		.amdhsa_user_sgpr_kernarg_preload_offset 0
		.amdhsa_user_sgpr_private_segment_size 0
		.amdhsa_uses_dynamic_stack 0
		.amdhsa_enable_private_segment 0
		.amdhsa_system_sgpr_workgroup_id_x 1
		.amdhsa_system_sgpr_workgroup_id_y 0
		.amdhsa_system_sgpr_workgroup_id_z 0
		.amdhsa_system_sgpr_workgroup_info 0
		.amdhsa_system_vgpr_workitem_id 0
		.amdhsa_next_free_vgpr 1
		.amdhsa_next_free_sgpr 0
		.amdhsa_accum_offset 4
		.amdhsa_reserve_vcc 0
		.amdhsa_float_round_mode_32 0
		.amdhsa_float_round_mode_16_64 0
		.amdhsa_float_denorm_mode_32 3
		.amdhsa_float_denorm_mode_16_64 3
		.amdhsa_dx10_clamp 1
		.amdhsa_ieee_mode 1
		.amdhsa_fp16_overflow 0
		.amdhsa_tg_split 0
		.amdhsa_exception_fp_ieee_invalid_op 0
		.amdhsa_exception_fp_denorm_src 0
		.amdhsa_exception_fp_ieee_div_zero 0
		.amdhsa_exception_fp_ieee_overflow 0
		.amdhsa_exception_fp_ieee_underflow 0
		.amdhsa_exception_fp_ieee_inexact 0
		.amdhsa_exception_int_div_zero 0
	.end_amdhsa_kernel
	.section	.text._ZN7rocprim17ROCPRIM_400000_NS6detail17trampoline_kernelINS0_14default_configENS1_35radix_sort_onesweep_config_selectorIxxEEZNS1_34radix_sort_onesweep_global_offsetsIS3_Lb0EN6thrust23THRUST_200600_302600_NS6detail15normal_iteratorINS8_10device_ptrIxEEEESD_jNS0_19identity_decomposerEEE10hipError_tT1_T2_PT3_SI_jT4_jjP12ihipStream_tbEUlT_E_NS1_11comp_targetILNS1_3genE8ELNS1_11target_archE1030ELNS1_3gpuE2ELNS1_3repE0EEENS1_52radix_sort_onesweep_histogram_config_static_selectorELNS0_4arch9wavefront6targetE1EEEvSG_,"axG",@progbits,_ZN7rocprim17ROCPRIM_400000_NS6detail17trampoline_kernelINS0_14default_configENS1_35radix_sort_onesweep_config_selectorIxxEEZNS1_34radix_sort_onesweep_global_offsetsIS3_Lb0EN6thrust23THRUST_200600_302600_NS6detail15normal_iteratorINS8_10device_ptrIxEEEESD_jNS0_19identity_decomposerEEE10hipError_tT1_T2_PT3_SI_jT4_jjP12ihipStream_tbEUlT_E_NS1_11comp_targetILNS1_3genE8ELNS1_11target_archE1030ELNS1_3gpuE2ELNS1_3repE0EEENS1_52radix_sort_onesweep_histogram_config_static_selectorELNS0_4arch9wavefront6targetE1EEEvSG_,comdat
.Lfunc_end1178:
	.size	_ZN7rocprim17ROCPRIM_400000_NS6detail17trampoline_kernelINS0_14default_configENS1_35radix_sort_onesweep_config_selectorIxxEEZNS1_34radix_sort_onesweep_global_offsetsIS3_Lb0EN6thrust23THRUST_200600_302600_NS6detail15normal_iteratorINS8_10device_ptrIxEEEESD_jNS0_19identity_decomposerEEE10hipError_tT1_T2_PT3_SI_jT4_jjP12ihipStream_tbEUlT_E_NS1_11comp_targetILNS1_3genE8ELNS1_11target_archE1030ELNS1_3gpuE2ELNS1_3repE0EEENS1_52radix_sort_onesweep_histogram_config_static_selectorELNS0_4arch9wavefront6targetE1EEEvSG_, .Lfunc_end1178-_ZN7rocprim17ROCPRIM_400000_NS6detail17trampoline_kernelINS0_14default_configENS1_35radix_sort_onesweep_config_selectorIxxEEZNS1_34radix_sort_onesweep_global_offsetsIS3_Lb0EN6thrust23THRUST_200600_302600_NS6detail15normal_iteratorINS8_10device_ptrIxEEEESD_jNS0_19identity_decomposerEEE10hipError_tT1_T2_PT3_SI_jT4_jjP12ihipStream_tbEUlT_E_NS1_11comp_targetILNS1_3genE8ELNS1_11target_archE1030ELNS1_3gpuE2ELNS1_3repE0EEENS1_52radix_sort_onesweep_histogram_config_static_selectorELNS0_4arch9wavefront6targetE1EEEvSG_
                                        ; -- End function
	.set _ZN7rocprim17ROCPRIM_400000_NS6detail17trampoline_kernelINS0_14default_configENS1_35radix_sort_onesweep_config_selectorIxxEEZNS1_34radix_sort_onesweep_global_offsetsIS3_Lb0EN6thrust23THRUST_200600_302600_NS6detail15normal_iteratorINS8_10device_ptrIxEEEESD_jNS0_19identity_decomposerEEE10hipError_tT1_T2_PT3_SI_jT4_jjP12ihipStream_tbEUlT_E_NS1_11comp_targetILNS1_3genE8ELNS1_11target_archE1030ELNS1_3gpuE2ELNS1_3repE0EEENS1_52radix_sort_onesweep_histogram_config_static_selectorELNS0_4arch9wavefront6targetE1EEEvSG_.num_vgpr, 0
	.set _ZN7rocprim17ROCPRIM_400000_NS6detail17trampoline_kernelINS0_14default_configENS1_35radix_sort_onesweep_config_selectorIxxEEZNS1_34radix_sort_onesweep_global_offsetsIS3_Lb0EN6thrust23THRUST_200600_302600_NS6detail15normal_iteratorINS8_10device_ptrIxEEEESD_jNS0_19identity_decomposerEEE10hipError_tT1_T2_PT3_SI_jT4_jjP12ihipStream_tbEUlT_E_NS1_11comp_targetILNS1_3genE8ELNS1_11target_archE1030ELNS1_3gpuE2ELNS1_3repE0EEENS1_52radix_sort_onesweep_histogram_config_static_selectorELNS0_4arch9wavefront6targetE1EEEvSG_.num_agpr, 0
	.set _ZN7rocprim17ROCPRIM_400000_NS6detail17trampoline_kernelINS0_14default_configENS1_35radix_sort_onesweep_config_selectorIxxEEZNS1_34radix_sort_onesweep_global_offsetsIS3_Lb0EN6thrust23THRUST_200600_302600_NS6detail15normal_iteratorINS8_10device_ptrIxEEEESD_jNS0_19identity_decomposerEEE10hipError_tT1_T2_PT3_SI_jT4_jjP12ihipStream_tbEUlT_E_NS1_11comp_targetILNS1_3genE8ELNS1_11target_archE1030ELNS1_3gpuE2ELNS1_3repE0EEENS1_52radix_sort_onesweep_histogram_config_static_selectorELNS0_4arch9wavefront6targetE1EEEvSG_.numbered_sgpr, 0
	.set _ZN7rocprim17ROCPRIM_400000_NS6detail17trampoline_kernelINS0_14default_configENS1_35radix_sort_onesweep_config_selectorIxxEEZNS1_34radix_sort_onesweep_global_offsetsIS3_Lb0EN6thrust23THRUST_200600_302600_NS6detail15normal_iteratorINS8_10device_ptrIxEEEESD_jNS0_19identity_decomposerEEE10hipError_tT1_T2_PT3_SI_jT4_jjP12ihipStream_tbEUlT_E_NS1_11comp_targetILNS1_3genE8ELNS1_11target_archE1030ELNS1_3gpuE2ELNS1_3repE0EEENS1_52radix_sort_onesweep_histogram_config_static_selectorELNS0_4arch9wavefront6targetE1EEEvSG_.num_named_barrier, 0
	.set _ZN7rocprim17ROCPRIM_400000_NS6detail17trampoline_kernelINS0_14default_configENS1_35radix_sort_onesweep_config_selectorIxxEEZNS1_34radix_sort_onesweep_global_offsetsIS3_Lb0EN6thrust23THRUST_200600_302600_NS6detail15normal_iteratorINS8_10device_ptrIxEEEESD_jNS0_19identity_decomposerEEE10hipError_tT1_T2_PT3_SI_jT4_jjP12ihipStream_tbEUlT_E_NS1_11comp_targetILNS1_3genE8ELNS1_11target_archE1030ELNS1_3gpuE2ELNS1_3repE0EEENS1_52radix_sort_onesweep_histogram_config_static_selectorELNS0_4arch9wavefront6targetE1EEEvSG_.private_seg_size, 0
	.set _ZN7rocprim17ROCPRIM_400000_NS6detail17trampoline_kernelINS0_14default_configENS1_35radix_sort_onesweep_config_selectorIxxEEZNS1_34radix_sort_onesweep_global_offsetsIS3_Lb0EN6thrust23THRUST_200600_302600_NS6detail15normal_iteratorINS8_10device_ptrIxEEEESD_jNS0_19identity_decomposerEEE10hipError_tT1_T2_PT3_SI_jT4_jjP12ihipStream_tbEUlT_E_NS1_11comp_targetILNS1_3genE8ELNS1_11target_archE1030ELNS1_3gpuE2ELNS1_3repE0EEENS1_52radix_sort_onesweep_histogram_config_static_selectorELNS0_4arch9wavefront6targetE1EEEvSG_.uses_vcc, 0
	.set _ZN7rocprim17ROCPRIM_400000_NS6detail17trampoline_kernelINS0_14default_configENS1_35radix_sort_onesweep_config_selectorIxxEEZNS1_34radix_sort_onesweep_global_offsetsIS3_Lb0EN6thrust23THRUST_200600_302600_NS6detail15normal_iteratorINS8_10device_ptrIxEEEESD_jNS0_19identity_decomposerEEE10hipError_tT1_T2_PT3_SI_jT4_jjP12ihipStream_tbEUlT_E_NS1_11comp_targetILNS1_3genE8ELNS1_11target_archE1030ELNS1_3gpuE2ELNS1_3repE0EEENS1_52radix_sort_onesweep_histogram_config_static_selectorELNS0_4arch9wavefront6targetE1EEEvSG_.uses_flat_scratch, 0
	.set _ZN7rocprim17ROCPRIM_400000_NS6detail17trampoline_kernelINS0_14default_configENS1_35radix_sort_onesweep_config_selectorIxxEEZNS1_34radix_sort_onesweep_global_offsetsIS3_Lb0EN6thrust23THRUST_200600_302600_NS6detail15normal_iteratorINS8_10device_ptrIxEEEESD_jNS0_19identity_decomposerEEE10hipError_tT1_T2_PT3_SI_jT4_jjP12ihipStream_tbEUlT_E_NS1_11comp_targetILNS1_3genE8ELNS1_11target_archE1030ELNS1_3gpuE2ELNS1_3repE0EEENS1_52radix_sort_onesweep_histogram_config_static_selectorELNS0_4arch9wavefront6targetE1EEEvSG_.has_dyn_sized_stack, 0
	.set _ZN7rocprim17ROCPRIM_400000_NS6detail17trampoline_kernelINS0_14default_configENS1_35radix_sort_onesweep_config_selectorIxxEEZNS1_34radix_sort_onesweep_global_offsetsIS3_Lb0EN6thrust23THRUST_200600_302600_NS6detail15normal_iteratorINS8_10device_ptrIxEEEESD_jNS0_19identity_decomposerEEE10hipError_tT1_T2_PT3_SI_jT4_jjP12ihipStream_tbEUlT_E_NS1_11comp_targetILNS1_3genE8ELNS1_11target_archE1030ELNS1_3gpuE2ELNS1_3repE0EEENS1_52radix_sort_onesweep_histogram_config_static_selectorELNS0_4arch9wavefront6targetE1EEEvSG_.has_recursion, 0
	.set _ZN7rocprim17ROCPRIM_400000_NS6detail17trampoline_kernelINS0_14default_configENS1_35radix_sort_onesweep_config_selectorIxxEEZNS1_34radix_sort_onesweep_global_offsetsIS3_Lb0EN6thrust23THRUST_200600_302600_NS6detail15normal_iteratorINS8_10device_ptrIxEEEESD_jNS0_19identity_decomposerEEE10hipError_tT1_T2_PT3_SI_jT4_jjP12ihipStream_tbEUlT_E_NS1_11comp_targetILNS1_3genE8ELNS1_11target_archE1030ELNS1_3gpuE2ELNS1_3repE0EEENS1_52radix_sort_onesweep_histogram_config_static_selectorELNS0_4arch9wavefront6targetE1EEEvSG_.has_indirect_call, 0
	.section	.AMDGPU.csdata,"",@progbits
; Kernel info:
; codeLenInByte = 0
; TotalNumSgprs: 6
; NumVgprs: 0
; NumAgprs: 0
; TotalNumVgprs: 0
; ScratchSize: 0
; MemoryBound: 0
; FloatMode: 240
; IeeeMode: 1
; LDSByteSize: 0 bytes/workgroup (compile time only)
; SGPRBlocks: 0
; VGPRBlocks: 0
; NumSGPRsForWavesPerEU: 6
; NumVGPRsForWavesPerEU: 1
; AccumOffset: 4
; Occupancy: 8
; WaveLimiterHint : 0
; COMPUTE_PGM_RSRC2:SCRATCH_EN: 0
; COMPUTE_PGM_RSRC2:USER_SGPR: 2
; COMPUTE_PGM_RSRC2:TRAP_HANDLER: 0
; COMPUTE_PGM_RSRC2:TGID_X_EN: 1
; COMPUTE_PGM_RSRC2:TGID_Y_EN: 0
; COMPUTE_PGM_RSRC2:TGID_Z_EN: 0
; COMPUTE_PGM_RSRC2:TIDIG_COMP_CNT: 0
; COMPUTE_PGM_RSRC3_GFX90A:ACCUM_OFFSET: 0
; COMPUTE_PGM_RSRC3_GFX90A:TG_SPLIT: 0
	.section	.text._ZN7rocprim17ROCPRIM_400000_NS6detail17trampoline_kernelINS0_14default_configENS1_35radix_sort_onesweep_config_selectorIxxEEZNS1_34radix_sort_onesweep_global_offsetsIS3_Lb0EN6thrust23THRUST_200600_302600_NS6detail15normal_iteratorINS8_10device_ptrIxEEEESD_jNS0_19identity_decomposerEEE10hipError_tT1_T2_PT3_SI_jT4_jjP12ihipStream_tbEUlT_E0_NS1_11comp_targetILNS1_3genE0ELNS1_11target_archE4294967295ELNS1_3gpuE0ELNS1_3repE0EEENS1_52radix_sort_onesweep_histogram_config_static_selectorELNS0_4arch9wavefront6targetE1EEEvSG_,"axG",@progbits,_ZN7rocprim17ROCPRIM_400000_NS6detail17trampoline_kernelINS0_14default_configENS1_35radix_sort_onesweep_config_selectorIxxEEZNS1_34radix_sort_onesweep_global_offsetsIS3_Lb0EN6thrust23THRUST_200600_302600_NS6detail15normal_iteratorINS8_10device_ptrIxEEEESD_jNS0_19identity_decomposerEEE10hipError_tT1_T2_PT3_SI_jT4_jjP12ihipStream_tbEUlT_E0_NS1_11comp_targetILNS1_3genE0ELNS1_11target_archE4294967295ELNS1_3gpuE0ELNS1_3repE0EEENS1_52radix_sort_onesweep_histogram_config_static_selectorELNS0_4arch9wavefront6targetE1EEEvSG_,comdat
	.protected	_ZN7rocprim17ROCPRIM_400000_NS6detail17trampoline_kernelINS0_14default_configENS1_35radix_sort_onesweep_config_selectorIxxEEZNS1_34radix_sort_onesweep_global_offsetsIS3_Lb0EN6thrust23THRUST_200600_302600_NS6detail15normal_iteratorINS8_10device_ptrIxEEEESD_jNS0_19identity_decomposerEEE10hipError_tT1_T2_PT3_SI_jT4_jjP12ihipStream_tbEUlT_E0_NS1_11comp_targetILNS1_3genE0ELNS1_11target_archE4294967295ELNS1_3gpuE0ELNS1_3repE0EEENS1_52radix_sort_onesweep_histogram_config_static_selectorELNS0_4arch9wavefront6targetE1EEEvSG_ ; -- Begin function _ZN7rocprim17ROCPRIM_400000_NS6detail17trampoline_kernelINS0_14default_configENS1_35radix_sort_onesweep_config_selectorIxxEEZNS1_34radix_sort_onesweep_global_offsetsIS3_Lb0EN6thrust23THRUST_200600_302600_NS6detail15normal_iteratorINS8_10device_ptrIxEEEESD_jNS0_19identity_decomposerEEE10hipError_tT1_T2_PT3_SI_jT4_jjP12ihipStream_tbEUlT_E0_NS1_11comp_targetILNS1_3genE0ELNS1_11target_archE4294967295ELNS1_3gpuE0ELNS1_3repE0EEENS1_52radix_sort_onesweep_histogram_config_static_selectorELNS0_4arch9wavefront6targetE1EEEvSG_
	.globl	_ZN7rocprim17ROCPRIM_400000_NS6detail17trampoline_kernelINS0_14default_configENS1_35radix_sort_onesweep_config_selectorIxxEEZNS1_34radix_sort_onesweep_global_offsetsIS3_Lb0EN6thrust23THRUST_200600_302600_NS6detail15normal_iteratorINS8_10device_ptrIxEEEESD_jNS0_19identity_decomposerEEE10hipError_tT1_T2_PT3_SI_jT4_jjP12ihipStream_tbEUlT_E0_NS1_11comp_targetILNS1_3genE0ELNS1_11target_archE4294967295ELNS1_3gpuE0ELNS1_3repE0EEENS1_52radix_sort_onesweep_histogram_config_static_selectorELNS0_4arch9wavefront6targetE1EEEvSG_
	.p2align	8
	.type	_ZN7rocprim17ROCPRIM_400000_NS6detail17trampoline_kernelINS0_14default_configENS1_35radix_sort_onesweep_config_selectorIxxEEZNS1_34radix_sort_onesweep_global_offsetsIS3_Lb0EN6thrust23THRUST_200600_302600_NS6detail15normal_iteratorINS8_10device_ptrIxEEEESD_jNS0_19identity_decomposerEEE10hipError_tT1_T2_PT3_SI_jT4_jjP12ihipStream_tbEUlT_E0_NS1_11comp_targetILNS1_3genE0ELNS1_11target_archE4294967295ELNS1_3gpuE0ELNS1_3repE0EEENS1_52radix_sort_onesweep_histogram_config_static_selectorELNS0_4arch9wavefront6targetE1EEEvSG_,@function
_ZN7rocprim17ROCPRIM_400000_NS6detail17trampoline_kernelINS0_14default_configENS1_35radix_sort_onesweep_config_selectorIxxEEZNS1_34radix_sort_onesweep_global_offsetsIS3_Lb0EN6thrust23THRUST_200600_302600_NS6detail15normal_iteratorINS8_10device_ptrIxEEEESD_jNS0_19identity_decomposerEEE10hipError_tT1_T2_PT3_SI_jT4_jjP12ihipStream_tbEUlT_E0_NS1_11comp_targetILNS1_3genE0ELNS1_11target_archE4294967295ELNS1_3gpuE0ELNS1_3repE0EEENS1_52radix_sort_onesweep_histogram_config_static_selectorELNS0_4arch9wavefront6targetE1EEEvSG_: ; @_ZN7rocprim17ROCPRIM_400000_NS6detail17trampoline_kernelINS0_14default_configENS1_35radix_sort_onesweep_config_selectorIxxEEZNS1_34radix_sort_onesweep_global_offsetsIS3_Lb0EN6thrust23THRUST_200600_302600_NS6detail15normal_iteratorINS8_10device_ptrIxEEEESD_jNS0_19identity_decomposerEEE10hipError_tT1_T2_PT3_SI_jT4_jjP12ihipStream_tbEUlT_E0_NS1_11comp_targetILNS1_3genE0ELNS1_11target_archE4294967295ELNS1_3gpuE0ELNS1_3repE0EEENS1_52radix_sort_onesweep_histogram_config_static_selectorELNS0_4arch9wavefront6targetE1EEEvSG_
; %bb.0:
	.section	.rodata,"a",@progbits
	.p2align	6, 0x0
	.amdhsa_kernel _ZN7rocprim17ROCPRIM_400000_NS6detail17trampoline_kernelINS0_14default_configENS1_35radix_sort_onesweep_config_selectorIxxEEZNS1_34radix_sort_onesweep_global_offsetsIS3_Lb0EN6thrust23THRUST_200600_302600_NS6detail15normal_iteratorINS8_10device_ptrIxEEEESD_jNS0_19identity_decomposerEEE10hipError_tT1_T2_PT3_SI_jT4_jjP12ihipStream_tbEUlT_E0_NS1_11comp_targetILNS1_3genE0ELNS1_11target_archE4294967295ELNS1_3gpuE0ELNS1_3repE0EEENS1_52radix_sort_onesweep_histogram_config_static_selectorELNS0_4arch9wavefront6targetE1EEEvSG_
		.amdhsa_group_segment_fixed_size 0
		.amdhsa_private_segment_fixed_size 0
		.amdhsa_kernarg_size 8
		.amdhsa_user_sgpr_count 2
		.amdhsa_user_sgpr_dispatch_ptr 0
		.amdhsa_user_sgpr_queue_ptr 0
		.amdhsa_user_sgpr_kernarg_segment_ptr 1
		.amdhsa_user_sgpr_dispatch_id 0
		.amdhsa_user_sgpr_kernarg_preload_length 0
		.amdhsa_user_sgpr_kernarg_preload_offset 0
		.amdhsa_user_sgpr_private_segment_size 0
		.amdhsa_uses_dynamic_stack 0
		.amdhsa_enable_private_segment 0
		.amdhsa_system_sgpr_workgroup_id_x 1
		.amdhsa_system_sgpr_workgroup_id_y 0
		.amdhsa_system_sgpr_workgroup_id_z 0
		.amdhsa_system_sgpr_workgroup_info 0
		.amdhsa_system_vgpr_workitem_id 0
		.amdhsa_next_free_vgpr 1
		.amdhsa_next_free_sgpr 0
		.amdhsa_accum_offset 4
		.amdhsa_reserve_vcc 0
		.amdhsa_float_round_mode_32 0
		.amdhsa_float_round_mode_16_64 0
		.amdhsa_float_denorm_mode_32 3
		.amdhsa_float_denorm_mode_16_64 3
		.amdhsa_dx10_clamp 1
		.amdhsa_ieee_mode 1
		.amdhsa_fp16_overflow 0
		.amdhsa_tg_split 0
		.amdhsa_exception_fp_ieee_invalid_op 0
		.amdhsa_exception_fp_denorm_src 0
		.amdhsa_exception_fp_ieee_div_zero 0
		.amdhsa_exception_fp_ieee_overflow 0
		.amdhsa_exception_fp_ieee_underflow 0
		.amdhsa_exception_fp_ieee_inexact 0
		.amdhsa_exception_int_div_zero 0
	.end_amdhsa_kernel
	.section	.text._ZN7rocprim17ROCPRIM_400000_NS6detail17trampoline_kernelINS0_14default_configENS1_35radix_sort_onesweep_config_selectorIxxEEZNS1_34radix_sort_onesweep_global_offsetsIS3_Lb0EN6thrust23THRUST_200600_302600_NS6detail15normal_iteratorINS8_10device_ptrIxEEEESD_jNS0_19identity_decomposerEEE10hipError_tT1_T2_PT3_SI_jT4_jjP12ihipStream_tbEUlT_E0_NS1_11comp_targetILNS1_3genE0ELNS1_11target_archE4294967295ELNS1_3gpuE0ELNS1_3repE0EEENS1_52radix_sort_onesweep_histogram_config_static_selectorELNS0_4arch9wavefront6targetE1EEEvSG_,"axG",@progbits,_ZN7rocprim17ROCPRIM_400000_NS6detail17trampoline_kernelINS0_14default_configENS1_35radix_sort_onesweep_config_selectorIxxEEZNS1_34radix_sort_onesweep_global_offsetsIS3_Lb0EN6thrust23THRUST_200600_302600_NS6detail15normal_iteratorINS8_10device_ptrIxEEEESD_jNS0_19identity_decomposerEEE10hipError_tT1_T2_PT3_SI_jT4_jjP12ihipStream_tbEUlT_E0_NS1_11comp_targetILNS1_3genE0ELNS1_11target_archE4294967295ELNS1_3gpuE0ELNS1_3repE0EEENS1_52radix_sort_onesweep_histogram_config_static_selectorELNS0_4arch9wavefront6targetE1EEEvSG_,comdat
.Lfunc_end1179:
	.size	_ZN7rocprim17ROCPRIM_400000_NS6detail17trampoline_kernelINS0_14default_configENS1_35radix_sort_onesweep_config_selectorIxxEEZNS1_34radix_sort_onesweep_global_offsetsIS3_Lb0EN6thrust23THRUST_200600_302600_NS6detail15normal_iteratorINS8_10device_ptrIxEEEESD_jNS0_19identity_decomposerEEE10hipError_tT1_T2_PT3_SI_jT4_jjP12ihipStream_tbEUlT_E0_NS1_11comp_targetILNS1_3genE0ELNS1_11target_archE4294967295ELNS1_3gpuE0ELNS1_3repE0EEENS1_52radix_sort_onesweep_histogram_config_static_selectorELNS0_4arch9wavefront6targetE1EEEvSG_, .Lfunc_end1179-_ZN7rocprim17ROCPRIM_400000_NS6detail17trampoline_kernelINS0_14default_configENS1_35radix_sort_onesweep_config_selectorIxxEEZNS1_34radix_sort_onesweep_global_offsetsIS3_Lb0EN6thrust23THRUST_200600_302600_NS6detail15normal_iteratorINS8_10device_ptrIxEEEESD_jNS0_19identity_decomposerEEE10hipError_tT1_T2_PT3_SI_jT4_jjP12ihipStream_tbEUlT_E0_NS1_11comp_targetILNS1_3genE0ELNS1_11target_archE4294967295ELNS1_3gpuE0ELNS1_3repE0EEENS1_52radix_sort_onesweep_histogram_config_static_selectorELNS0_4arch9wavefront6targetE1EEEvSG_
                                        ; -- End function
	.set _ZN7rocprim17ROCPRIM_400000_NS6detail17trampoline_kernelINS0_14default_configENS1_35radix_sort_onesweep_config_selectorIxxEEZNS1_34radix_sort_onesweep_global_offsetsIS3_Lb0EN6thrust23THRUST_200600_302600_NS6detail15normal_iteratorINS8_10device_ptrIxEEEESD_jNS0_19identity_decomposerEEE10hipError_tT1_T2_PT3_SI_jT4_jjP12ihipStream_tbEUlT_E0_NS1_11comp_targetILNS1_3genE0ELNS1_11target_archE4294967295ELNS1_3gpuE0ELNS1_3repE0EEENS1_52radix_sort_onesweep_histogram_config_static_selectorELNS0_4arch9wavefront6targetE1EEEvSG_.num_vgpr, 0
	.set _ZN7rocprim17ROCPRIM_400000_NS6detail17trampoline_kernelINS0_14default_configENS1_35radix_sort_onesweep_config_selectorIxxEEZNS1_34radix_sort_onesweep_global_offsetsIS3_Lb0EN6thrust23THRUST_200600_302600_NS6detail15normal_iteratorINS8_10device_ptrIxEEEESD_jNS0_19identity_decomposerEEE10hipError_tT1_T2_PT3_SI_jT4_jjP12ihipStream_tbEUlT_E0_NS1_11comp_targetILNS1_3genE0ELNS1_11target_archE4294967295ELNS1_3gpuE0ELNS1_3repE0EEENS1_52radix_sort_onesweep_histogram_config_static_selectorELNS0_4arch9wavefront6targetE1EEEvSG_.num_agpr, 0
	.set _ZN7rocprim17ROCPRIM_400000_NS6detail17trampoline_kernelINS0_14default_configENS1_35radix_sort_onesweep_config_selectorIxxEEZNS1_34radix_sort_onesweep_global_offsetsIS3_Lb0EN6thrust23THRUST_200600_302600_NS6detail15normal_iteratorINS8_10device_ptrIxEEEESD_jNS0_19identity_decomposerEEE10hipError_tT1_T2_PT3_SI_jT4_jjP12ihipStream_tbEUlT_E0_NS1_11comp_targetILNS1_3genE0ELNS1_11target_archE4294967295ELNS1_3gpuE0ELNS1_3repE0EEENS1_52radix_sort_onesweep_histogram_config_static_selectorELNS0_4arch9wavefront6targetE1EEEvSG_.numbered_sgpr, 0
	.set _ZN7rocprim17ROCPRIM_400000_NS6detail17trampoline_kernelINS0_14default_configENS1_35radix_sort_onesweep_config_selectorIxxEEZNS1_34radix_sort_onesweep_global_offsetsIS3_Lb0EN6thrust23THRUST_200600_302600_NS6detail15normal_iteratorINS8_10device_ptrIxEEEESD_jNS0_19identity_decomposerEEE10hipError_tT1_T2_PT3_SI_jT4_jjP12ihipStream_tbEUlT_E0_NS1_11comp_targetILNS1_3genE0ELNS1_11target_archE4294967295ELNS1_3gpuE0ELNS1_3repE0EEENS1_52radix_sort_onesweep_histogram_config_static_selectorELNS0_4arch9wavefront6targetE1EEEvSG_.num_named_barrier, 0
	.set _ZN7rocprim17ROCPRIM_400000_NS6detail17trampoline_kernelINS0_14default_configENS1_35radix_sort_onesweep_config_selectorIxxEEZNS1_34radix_sort_onesweep_global_offsetsIS3_Lb0EN6thrust23THRUST_200600_302600_NS6detail15normal_iteratorINS8_10device_ptrIxEEEESD_jNS0_19identity_decomposerEEE10hipError_tT1_T2_PT3_SI_jT4_jjP12ihipStream_tbEUlT_E0_NS1_11comp_targetILNS1_3genE0ELNS1_11target_archE4294967295ELNS1_3gpuE0ELNS1_3repE0EEENS1_52radix_sort_onesweep_histogram_config_static_selectorELNS0_4arch9wavefront6targetE1EEEvSG_.private_seg_size, 0
	.set _ZN7rocprim17ROCPRIM_400000_NS6detail17trampoline_kernelINS0_14default_configENS1_35radix_sort_onesweep_config_selectorIxxEEZNS1_34radix_sort_onesweep_global_offsetsIS3_Lb0EN6thrust23THRUST_200600_302600_NS6detail15normal_iteratorINS8_10device_ptrIxEEEESD_jNS0_19identity_decomposerEEE10hipError_tT1_T2_PT3_SI_jT4_jjP12ihipStream_tbEUlT_E0_NS1_11comp_targetILNS1_3genE0ELNS1_11target_archE4294967295ELNS1_3gpuE0ELNS1_3repE0EEENS1_52radix_sort_onesweep_histogram_config_static_selectorELNS0_4arch9wavefront6targetE1EEEvSG_.uses_vcc, 0
	.set _ZN7rocprim17ROCPRIM_400000_NS6detail17trampoline_kernelINS0_14default_configENS1_35radix_sort_onesweep_config_selectorIxxEEZNS1_34radix_sort_onesweep_global_offsetsIS3_Lb0EN6thrust23THRUST_200600_302600_NS6detail15normal_iteratorINS8_10device_ptrIxEEEESD_jNS0_19identity_decomposerEEE10hipError_tT1_T2_PT3_SI_jT4_jjP12ihipStream_tbEUlT_E0_NS1_11comp_targetILNS1_3genE0ELNS1_11target_archE4294967295ELNS1_3gpuE0ELNS1_3repE0EEENS1_52radix_sort_onesweep_histogram_config_static_selectorELNS0_4arch9wavefront6targetE1EEEvSG_.uses_flat_scratch, 0
	.set _ZN7rocprim17ROCPRIM_400000_NS6detail17trampoline_kernelINS0_14default_configENS1_35radix_sort_onesweep_config_selectorIxxEEZNS1_34radix_sort_onesweep_global_offsetsIS3_Lb0EN6thrust23THRUST_200600_302600_NS6detail15normal_iteratorINS8_10device_ptrIxEEEESD_jNS0_19identity_decomposerEEE10hipError_tT1_T2_PT3_SI_jT4_jjP12ihipStream_tbEUlT_E0_NS1_11comp_targetILNS1_3genE0ELNS1_11target_archE4294967295ELNS1_3gpuE0ELNS1_3repE0EEENS1_52radix_sort_onesweep_histogram_config_static_selectorELNS0_4arch9wavefront6targetE1EEEvSG_.has_dyn_sized_stack, 0
	.set _ZN7rocprim17ROCPRIM_400000_NS6detail17trampoline_kernelINS0_14default_configENS1_35radix_sort_onesweep_config_selectorIxxEEZNS1_34radix_sort_onesweep_global_offsetsIS3_Lb0EN6thrust23THRUST_200600_302600_NS6detail15normal_iteratorINS8_10device_ptrIxEEEESD_jNS0_19identity_decomposerEEE10hipError_tT1_T2_PT3_SI_jT4_jjP12ihipStream_tbEUlT_E0_NS1_11comp_targetILNS1_3genE0ELNS1_11target_archE4294967295ELNS1_3gpuE0ELNS1_3repE0EEENS1_52radix_sort_onesweep_histogram_config_static_selectorELNS0_4arch9wavefront6targetE1EEEvSG_.has_recursion, 0
	.set _ZN7rocprim17ROCPRIM_400000_NS6detail17trampoline_kernelINS0_14default_configENS1_35radix_sort_onesweep_config_selectorIxxEEZNS1_34radix_sort_onesweep_global_offsetsIS3_Lb0EN6thrust23THRUST_200600_302600_NS6detail15normal_iteratorINS8_10device_ptrIxEEEESD_jNS0_19identity_decomposerEEE10hipError_tT1_T2_PT3_SI_jT4_jjP12ihipStream_tbEUlT_E0_NS1_11comp_targetILNS1_3genE0ELNS1_11target_archE4294967295ELNS1_3gpuE0ELNS1_3repE0EEENS1_52radix_sort_onesweep_histogram_config_static_selectorELNS0_4arch9wavefront6targetE1EEEvSG_.has_indirect_call, 0
	.section	.AMDGPU.csdata,"",@progbits
; Kernel info:
; codeLenInByte = 0
; TotalNumSgprs: 6
; NumVgprs: 0
; NumAgprs: 0
; TotalNumVgprs: 0
; ScratchSize: 0
; MemoryBound: 0
; FloatMode: 240
; IeeeMode: 1
; LDSByteSize: 0 bytes/workgroup (compile time only)
; SGPRBlocks: 0
; VGPRBlocks: 0
; NumSGPRsForWavesPerEU: 6
; NumVGPRsForWavesPerEU: 1
; AccumOffset: 4
; Occupancy: 8
; WaveLimiterHint : 0
; COMPUTE_PGM_RSRC2:SCRATCH_EN: 0
; COMPUTE_PGM_RSRC2:USER_SGPR: 2
; COMPUTE_PGM_RSRC2:TRAP_HANDLER: 0
; COMPUTE_PGM_RSRC2:TGID_X_EN: 1
; COMPUTE_PGM_RSRC2:TGID_Y_EN: 0
; COMPUTE_PGM_RSRC2:TGID_Z_EN: 0
; COMPUTE_PGM_RSRC2:TIDIG_COMP_CNT: 0
; COMPUTE_PGM_RSRC3_GFX90A:ACCUM_OFFSET: 0
; COMPUTE_PGM_RSRC3_GFX90A:TG_SPLIT: 0
	.section	.text._ZN7rocprim17ROCPRIM_400000_NS6detail17trampoline_kernelINS0_14default_configENS1_35radix_sort_onesweep_config_selectorIxxEEZNS1_34radix_sort_onesweep_global_offsetsIS3_Lb0EN6thrust23THRUST_200600_302600_NS6detail15normal_iteratorINS8_10device_ptrIxEEEESD_jNS0_19identity_decomposerEEE10hipError_tT1_T2_PT3_SI_jT4_jjP12ihipStream_tbEUlT_E0_NS1_11comp_targetILNS1_3genE6ELNS1_11target_archE950ELNS1_3gpuE13ELNS1_3repE0EEENS1_52radix_sort_onesweep_histogram_config_static_selectorELNS0_4arch9wavefront6targetE1EEEvSG_,"axG",@progbits,_ZN7rocprim17ROCPRIM_400000_NS6detail17trampoline_kernelINS0_14default_configENS1_35radix_sort_onesweep_config_selectorIxxEEZNS1_34radix_sort_onesweep_global_offsetsIS3_Lb0EN6thrust23THRUST_200600_302600_NS6detail15normal_iteratorINS8_10device_ptrIxEEEESD_jNS0_19identity_decomposerEEE10hipError_tT1_T2_PT3_SI_jT4_jjP12ihipStream_tbEUlT_E0_NS1_11comp_targetILNS1_3genE6ELNS1_11target_archE950ELNS1_3gpuE13ELNS1_3repE0EEENS1_52radix_sort_onesweep_histogram_config_static_selectorELNS0_4arch9wavefront6targetE1EEEvSG_,comdat
	.protected	_ZN7rocprim17ROCPRIM_400000_NS6detail17trampoline_kernelINS0_14default_configENS1_35radix_sort_onesweep_config_selectorIxxEEZNS1_34radix_sort_onesweep_global_offsetsIS3_Lb0EN6thrust23THRUST_200600_302600_NS6detail15normal_iteratorINS8_10device_ptrIxEEEESD_jNS0_19identity_decomposerEEE10hipError_tT1_T2_PT3_SI_jT4_jjP12ihipStream_tbEUlT_E0_NS1_11comp_targetILNS1_3genE6ELNS1_11target_archE950ELNS1_3gpuE13ELNS1_3repE0EEENS1_52radix_sort_onesweep_histogram_config_static_selectorELNS0_4arch9wavefront6targetE1EEEvSG_ ; -- Begin function _ZN7rocprim17ROCPRIM_400000_NS6detail17trampoline_kernelINS0_14default_configENS1_35radix_sort_onesweep_config_selectorIxxEEZNS1_34radix_sort_onesweep_global_offsetsIS3_Lb0EN6thrust23THRUST_200600_302600_NS6detail15normal_iteratorINS8_10device_ptrIxEEEESD_jNS0_19identity_decomposerEEE10hipError_tT1_T2_PT3_SI_jT4_jjP12ihipStream_tbEUlT_E0_NS1_11comp_targetILNS1_3genE6ELNS1_11target_archE950ELNS1_3gpuE13ELNS1_3repE0EEENS1_52radix_sort_onesweep_histogram_config_static_selectorELNS0_4arch9wavefront6targetE1EEEvSG_
	.globl	_ZN7rocprim17ROCPRIM_400000_NS6detail17trampoline_kernelINS0_14default_configENS1_35radix_sort_onesweep_config_selectorIxxEEZNS1_34radix_sort_onesweep_global_offsetsIS3_Lb0EN6thrust23THRUST_200600_302600_NS6detail15normal_iteratorINS8_10device_ptrIxEEEESD_jNS0_19identity_decomposerEEE10hipError_tT1_T2_PT3_SI_jT4_jjP12ihipStream_tbEUlT_E0_NS1_11comp_targetILNS1_3genE6ELNS1_11target_archE950ELNS1_3gpuE13ELNS1_3repE0EEENS1_52radix_sort_onesweep_histogram_config_static_selectorELNS0_4arch9wavefront6targetE1EEEvSG_
	.p2align	8
	.type	_ZN7rocprim17ROCPRIM_400000_NS6detail17trampoline_kernelINS0_14default_configENS1_35radix_sort_onesweep_config_selectorIxxEEZNS1_34radix_sort_onesweep_global_offsetsIS3_Lb0EN6thrust23THRUST_200600_302600_NS6detail15normal_iteratorINS8_10device_ptrIxEEEESD_jNS0_19identity_decomposerEEE10hipError_tT1_T2_PT3_SI_jT4_jjP12ihipStream_tbEUlT_E0_NS1_11comp_targetILNS1_3genE6ELNS1_11target_archE950ELNS1_3gpuE13ELNS1_3repE0EEENS1_52radix_sort_onesweep_histogram_config_static_selectorELNS0_4arch9wavefront6targetE1EEEvSG_,@function
_ZN7rocprim17ROCPRIM_400000_NS6detail17trampoline_kernelINS0_14default_configENS1_35radix_sort_onesweep_config_selectorIxxEEZNS1_34radix_sort_onesweep_global_offsetsIS3_Lb0EN6thrust23THRUST_200600_302600_NS6detail15normal_iteratorINS8_10device_ptrIxEEEESD_jNS0_19identity_decomposerEEE10hipError_tT1_T2_PT3_SI_jT4_jjP12ihipStream_tbEUlT_E0_NS1_11comp_targetILNS1_3genE6ELNS1_11target_archE950ELNS1_3gpuE13ELNS1_3repE0EEENS1_52radix_sort_onesweep_histogram_config_static_selectorELNS0_4arch9wavefront6targetE1EEEvSG_: ; @_ZN7rocprim17ROCPRIM_400000_NS6detail17trampoline_kernelINS0_14default_configENS1_35radix_sort_onesweep_config_selectorIxxEEZNS1_34radix_sort_onesweep_global_offsetsIS3_Lb0EN6thrust23THRUST_200600_302600_NS6detail15normal_iteratorINS8_10device_ptrIxEEEESD_jNS0_19identity_decomposerEEE10hipError_tT1_T2_PT3_SI_jT4_jjP12ihipStream_tbEUlT_E0_NS1_11comp_targetILNS1_3genE6ELNS1_11target_archE950ELNS1_3gpuE13ELNS1_3repE0EEENS1_52radix_sort_onesweep_histogram_config_static_selectorELNS0_4arch9wavefront6targetE1EEEvSG_
; %bb.0:
	s_load_dwordx2 s[0:1], s[0:1], 0x0
	s_lshl_b32 s2, s2, 8
	s_mov_b32 s3, 0
	s_lshl_b64 s[2:3], s[2:3], 2
	v_lshlrev_b32_e32 v1, 2, v0
	s_waitcnt lgkmcnt(0)
	s_add_u32 s10, s0, s2
	s_movk_i32 s0, 0x100
	s_addc_u32 s11, s1, s3
	v_cmp_gt_u32_e32 vcc, s0, v0
                                        ; implicit-def: $vgpr3
	s_and_saveexec_b64 s[0:1], vcc
	s_cbranch_execz .LBB1180_2
; %bb.1:
	global_load_dword v3, v1, s[10:11]
.LBB1180_2:
	s_or_b64 exec, exec, s[0:1]
	v_mbcnt_lo_u32_b32 v2, -1, 0
	v_mbcnt_hi_u32_b32 v2, -1, v2
	v_and_b32_e32 v4, 15, v2
	s_waitcnt vmcnt(0)
	v_mov_b32_dpp v5, v3 row_shr:1 row_mask:0xf bank_mask:0xf
	v_cmp_eq_u32_e64 s[0:1], 0, v4
	v_cmp_lt_u32_e64 s[2:3], 1, v4
	v_cmp_lt_u32_e64 s[4:5], 3, v4
	v_cndmask_b32_e64 v5, v5, 0, s[0:1]
	v_add_u32_e32 v3, v5, v3
	v_cmp_lt_u32_e64 s[6:7], 7, v4
	v_cmp_lt_u32_e64 s[8:9], 31, v2
	v_mov_b32_dpp v5, v3 row_shr:2 row_mask:0xf bank_mask:0xf
	v_cndmask_b32_e64 v5, 0, v5, s[2:3]
	v_add_u32_e32 v3, v3, v5
	s_nop 1
	v_mov_b32_dpp v5, v3 row_shr:4 row_mask:0xf bank_mask:0xf
	v_cndmask_b32_e64 v5, 0, v5, s[4:5]
	v_add_u32_e32 v3, v3, v5
	s_nop 1
	v_mov_b32_dpp v5, v3 row_shr:8 row_mask:0xf bank_mask:0xf
	v_cndmask_b32_e64 v4, 0, v5, s[6:7]
	v_add_u32_e32 v3, v3, v4
	v_bfe_i32 v5, v2, 4, 1
	s_nop 0
	v_mov_b32_dpp v4, v3 row_bcast:15 row_mask:0xf bank_mask:0xf
	v_and_b32_e32 v4, v5, v4
	v_add_u32_e32 v3, v3, v4
	v_and_b32_e32 v5, 63, v0
	s_nop 0
	v_mov_b32_dpp v4, v3 row_bcast:31 row_mask:0xf bank_mask:0xf
	v_cndmask_b32_e64 v4, 0, v4, s[8:9]
	v_add_u32_e32 v3, v3, v4
	v_lshrrev_b32_e32 v4, 6, v0
	v_cmp_eq_u32_e64 s[8:9], 63, v5
	s_and_saveexec_b64 s[12:13], s[8:9]
; %bb.3:
	v_lshlrev_b32_e32 v5, 2, v4
	ds_write_b32 v5, v3
; %bb.4:
	s_or_b64 exec, exec, s[12:13]
	v_cmp_gt_u32_e64 s[8:9], 16, v0
	s_waitcnt lgkmcnt(0)
	s_barrier
	s_and_saveexec_b64 s[12:13], s[8:9]
	s_cbranch_execz .LBB1180_6
; %bb.5:
	ds_read_b32 v5, v1
	s_waitcnt lgkmcnt(0)
	s_nop 0
	v_mov_b32_dpp v6, v5 row_shr:1 row_mask:0xf bank_mask:0xf
	v_cndmask_b32_e64 v6, v6, 0, s[0:1]
	v_add_u32_e32 v5, v6, v5
	s_nop 1
	v_mov_b32_dpp v6, v5 row_shr:2 row_mask:0xf bank_mask:0xf
	v_cndmask_b32_e64 v6, 0, v6, s[2:3]
	v_add_u32_e32 v5, v5, v6
	;; [unrolled: 4-line block ×4, first 2 shown]
	ds_write_b32 v1, v5
.LBB1180_6:
	s_or_b64 exec, exec, s[12:13]
	v_cmp_lt_u32_e64 s[0:1], 63, v0
	v_mov_b32_e32 v0, 0
	s_waitcnt lgkmcnt(0)
	s_barrier
	s_and_saveexec_b64 s[2:3], s[0:1]
; %bb.7:
	v_lshl_add_u32 v0, v4, 2, -4
	ds_read_b32 v0, v0
; %bb.8:
	s_or_b64 exec, exec, s[2:3]
	v_add_u32_e32 v4, -1, v2
	v_and_b32_e32 v5, 64, v2
	v_cmp_lt_i32_e64 s[0:1], v4, v5
	s_waitcnt lgkmcnt(0)
	v_add_u32_e32 v3, v0, v3
	v_cndmask_b32_e64 v4, v4, v2, s[0:1]
	v_lshlrev_b32_e32 v4, 2, v4
	ds_bpermute_b32 v3, v4, v3
	s_and_saveexec_b64 s[0:1], vcc
	s_cbranch_execz .LBB1180_10
; %bb.9:
	v_cmp_eq_u32_e32 vcc, 0, v2
	s_waitcnt lgkmcnt(0)
	s_nop 0
	v_cndmask_b32_e32 v0, v3, v0, vcc
	global_store_dword v1, v0, s[10:11]
.LBB1180_10:
	s_endpgm
	.section	.rodata,"a",@progbits
	.p2align	6, 0x0
	.amdhsa_kernel _ZN7rocprim17ROCPRIM_400000_NS6detail17trampoline_kernelINS0_14default_configENS1_35radix_sort_onesweep_config_selectorIxxEEZNS1_34radix_sort_onesweep_global_offsetsIS3_Lb0EN6thrust23THRUST_200600_302600_NS6detail15normal_iteratorINS8_10device_ptrIxEEEESD_jNS0_19identity_decomposerEEE10hipError_tT1_T2_PT3_SI_jT4_jjP12ihipStream_tbEUlT_E0_NS1_11comp_targetILNS1_3genE6ELNS1_11target_archE950ELNS1_3gpuE13ELNS1_3repE0EEENS1_52radix_sort_onesweep_histogram_config_static_selectorELNS0_4arch9wavefront6targetE1EEEvSG_
		.amdhsa_group_segment_fixed_size 64
		.amdhsa_private_segment_fixed_size 0
		.amdhsa_kernarg_size 8
		.amdhsa_user_sgpr_count 2
		.amdhsa_user_sgpr_dispatch_ptr 0
		.amdhsa_user_sgpr_queue_ptr 0
		.amdhsa_user_sgpr_kernarg_segment_ptr 1
		.amdhsa_user_sgpr_dispatch_id 0
		.amdhsa_user_sgpr_kernarg_preload_length 0
		.amdhsa_user_sgpr_kernarg_preload_offset 0
		.amdhsa_user_sgpr_private_segment_size 0
		.amdhsa_uses_dynamic_stack 0
		.amdhsa_enable_private_segment 0
		.amdhsa_system_sgpr_workgroup_id_x 1
		.amdhsa_system_sgpr_workgroup_id_y 0
		.amdhsa_system_sgpr_workgroup_id_z 0
		.amdhsa_system_sgpr_workgroup_info 0
		.amdhsa_system_vgpr_workitem_id 0
		.amdhsa_next_free_vgpr 7
		.amdhsa_next_free_sgpr 14
		.amdhsa_accum_offset 8
		.amdhsa_reserve_vcc 1
		.amdhsa_float_round_mode_32 0
		.amdhsa_float_round_mode_16_64 0
		.amdhsa_float_denorm_mode_32 3
		.amdhsa_float_denorm_mode_16_64 3
		.amdhsa_dx10_clamp 1
		.amdhsa_ieee_mode 1
		.amdhsa_fp16_overflow 0
		.amdhsa_tg_split 0
		.amdhsa_exception_fp_ieee_invalid_op 0
		.amdhsa_exception_fp_denorm_src 0
		.amdhsa_exception_fp_ieee_div_zero 0
		.amdhsa_exception_fp_ieee_overflow 0
		.amdhsa_exception_fp_ieee_underflow 0
		.amdhsa_exception_fp_ieee_inexact 0
		.amdhsa_exception_int_div_zero 0
	.end_amdhsa_kernel
	.section	.text._ZN7rocprim17ROCPRIM_400000_NS6detail17trampoline_kernelINS0_14default_configENS1_35radix_sort_onesweep_config_selectorIxxEEZNS1_34radix_sort_onesweep_global_offsetsIS3_Lb0EN6thrust23THRUST_200600_302600_NS6detail15normal_iteratorINS8_10device_ptrIxEEEESD_jNS0_19identity_decomposerEEE10hipError_tT1_T2_PT3_SI_jT4_jjP12ihipStream_tbEUlT_E0_NS1_11comp_targetILNS1_3genE6ELNS1_11target_archE950ELNS1_3gpuE13ELNS1_3repE0EEENS1_52radix_sort_onesweep_histogram_config_static_selectorELNS0_4arch9wavefront6targetE1EEEvSG_,"axG",@progbits,_ZN7rocprim17ROCPRIM_400000_NS6detail17trampoline_kernelINS0_14default_configENS1_35radix_sort_onesweep_config_selectorIxxEEZNS1_34radix_sort_onesweep_global_offsetsIS3_Lb0EN6thrust23THRUST_200600_302600_NS6detail15normal_iteratorINS8_10device_ptrIxEEEESD_jNS0_19identity_decomposerEEE10hipError_tT1_T2_PT3_SI_jT4_jjP12ihipStream_tbEUlT_E0_NS1_11comp_targetILNS1_3genE6ELNS1_11target_archE950ELNS1_3gpuE13ELNS1_3repE0EEENS1_52radix_sort_onesweep_histogram_config_static_selectorELNS0_4arch9wavefront6targetE1EEEvSG_,comdat
.Lfunc_end1180:
	.size	_ZN7rocprim17ROCPRIM_400000_NS6detail17trampoline_kernelINS0_14default_configENS1_35radix_sort_onesweep_config_selectorIxxEEZNS1_34radix_sort_onesweep_global_offsetsIS3_Lb0EN6thrust23THRUST_200600_302600_NS6detail15normal_iteratorINS8_10device_ptrIxEEEESD_jNS0_19identity_decomposerEEE10hipError_tT1_T2_PT3_SI_jT4_jjP12ihipStream_tbEUlT_E0_NS1_11comp_targetILNS1_3genE6ELNS1_11target_archE950ELNS1_3gpuE13ELNS1_3repE0EEENS1_52radix_sort_onesweep_histogram_config_static_selectorELNS0_4arch9wavefront6targetE1EEEvSG_, .Lfunc_end1180-_ZN7rocprim17ROCPRIM_400000_NS6detail17trampoline_kernelINS0_14default_configENS1_35radix_sort_onesweep_config_selectorIxxEEZNS1_34radix_sort_onesweep_global_offsetsIS3_Lb0EN6thrust23THRUST_200600_302600_NS6detail15normal_iteratorINS8_10device_ptrIxEEEESD_jNS0_19identity_decomposerEEE10hipError_tT1_T2_PT3_SI_jT4_jjP12ihipStream_tbEUlT_E0_NS1_11comp_targetILNS1_3genE6ELNS1_11target_archE950ELNS1_3gpuE13ELNS1_3repE0EEENS1_52radix_sort_onesweep_histogram_config_static_selectorELNS0_4arch9wavefront6targetE1EEEvSG_
                                        ; -- End function
	.set _ZN7rocprim17ROCPRIM_400000_NS6detail17trampoline_kernelINS0_14default_configENS1_35radix_sort_onesweep_config_selectorIxxEEZNS1_34radix_sort_onesweep_global_offsetsIS3_Lb0EN6thrust23THRUST_200600_302600_NS6detail15normal_iteratorINS8_10device_ptrIxEEEESD_jNS0_19identity_decomposerEEE10hipError_tT1_T2_PT3_SI_jT4_jjP12ihipStream_tbEUlT_E0_NS1_11comp_targetILNS1_3genE6ELNS1_11target_archE950ELNS1_3gpuE13ELNS1_3repE0EEENS1_52radix_sort_onesweep_histogram_config_static_selectorELNS0_4arch9wavefront6targetE1EEEvSG_.num_vgpr, 7
	.set _ZN7rocprim17ROCPRIM_400000_NS6detail17trampoline_kernelINS0_14default_configENS1_35radix_sort_onesweep_config_selectorIxxEEZNS1_34radix_sort_onesweep_global_offsetsIS3_Lb0EN6thrust23THRUST_200600_302600_NS6detail15normal_iteratorINS8_10device_ptrIxEEEESD_jNS0_19identity_decomposerEEE10hipError_tT1_T2_PT3_SI_jT4_jjP12ihipStream_tbEUlT_E0_NS1_11comp_targetILNS1_3genE6ELNS1_11target_archE950ELNS1_3gpuE13ELNS1_3repE0EEENS1_52radix_sort_onesweep_histogram_config_static_selectorELNS0_4arch9wavefront6targetE1EEEvSG_.num_agpr, 0
	.set _ZN7rocprim17ROCPRIM_400000_NS6detail17trampoline_kernelINS0_14default_configENS1_35radix_sort_onesweep_config_selectorIxxEEZNS1_34radix_sort_onesweep_global_offsetsIS3_Lb0EN6thrust23THRUST_200600_302600_NS6detail15normal_iteratorINS8_10device_ptrIxEEEESD_jNS0_19identity_decomposerEEE10hipError_tT1_T2_PT3_SI_jT4_jjP12ihipStream_tbEUlT_E0_NS1_11comp_targetILNS1_3genE6ELNS1_11target_archE950ELNS1_3gpuE13ELNS1_3repE0EEENS1_52radix_sort_onesweep_histogram_config_static_selectorELNS0_4arch9wavefront6targetE1EEEvSG_.numbered_sgpr, 14
	.set _ZN7rocprim17ROCPRIM_400000_NS6detail17trampoline_kernelINS0_14default_configENS1_35radix_sort_onesweep_config_selectorIxxEEZNS1_34radix_sort_onesweep_global_offsetsIS3_Lb0EN6thrust23THRUST_200600_302600_NS6detail15normal_iteratorINS8_10device_ptrIxEEEESD_jNS0_19identity_decomposerEEE10hipError_tT1_T2_PT3_SI_jT4_jjP12ihipStream_tbEUlT_E0_NS1_11comp_targetILNS1_3genE6ELNS1_11target_archE950ELNS1_3gpuE13ELNS1_3repE0EEENS1_52radix_sort_onesweep_histogram_config_static_selectorELNS0_4arch9wavefront6targetE1EEEvSG_.num_named_barrier, 0
	.set _ZN7rocprim17ROCPRIM_400000_NS6detail17trampoline_kernelINS0_14default_configENS1_35radix_sort_onesweep_config_selectorIxxEEZNS1_34radix_sort_onesweep_global_offsetsIS3_Lb0EN6thrust23THRUST_200600_302600_NS6detail15normal_iteratorINS8_10device_ptrIxEEEESD_jNS0_19identity_decomposerEEE10hipError_tT1_T2_PT3_SI_jT4_jjP12ihipStream_tbEUlT_E0_NS1_11comp_targetILNS1_3genE6ELNS1_11target_archE950ELNS1_3gpuE13ELNS1_3repE0EEENS1_52radix_sort_onesweep_histogram_config_static_selectorELNS0_4arch9wavefront6targetE1EEEvSG_.private_seg_size, 0
	.set _ZN7rocprim17ROCPRIM_400000_NS6detail17trampoline_kernelINS0_14default_configENS1_35radix_sort_onesweep_config_selectorIxxEEZNS1_34radix_sort_onesweep_global_offsetsIS3_Lb0EN6thrust23THRUST_200600_302600_NS6detail15normal_iteratorINS8_10device_ptrIxEEEESD_jNS0_19identity_decomposerEEE10hipError_tT1_T2_PT3_SI_jT4_jjP12ihipStream_tbEUlT_E0_NS1_11comp_targetILNS1_3genE6ELNS1_11target_archE950ELNS1_3gpuE13ELNS1_3repE0EEENS1_52radix_sort_onesweep_histogram_config_static_selectorELNS0_4arch9wavefront6targetE1EEEvSG_.uses_vcc, 1
	.set _ZN7rocprim17ROCPRIM_400000_NS6detail17trampoline_kernelINS0_14default_configENS1_35radix_sort_onesweep_config_selectorIxxEEZNS1_34radix_sort_onesweep_global_offsetsIS3_Lb0EN6thrust23THRUST_200600_302600_NS6detail15normal_iteratorINS8_10device_ptrIxEEEESD_jNS0_19identity_decomposerEEE10hipError_tT1_T2_PT3_SI_jT4_jjP12ihipStream_tbEUlT_E0_NS1_11comp_targetILNS1_3genE6ELNS1_11target_archE950ELNS1_3gpuE13ELNS1_3repE0EEENS1_52radix_sort_onesweep_histogram_config_static_selectorELNS0_4arch9wavefront6targetE1EEEvSG_.uses_flat_scratch, 0
	.set _ZN7rocprim17ROCPRIM_400000_NS6detail17trampoline_kernelINS0_14default_configENS1_35radix_sort_onesweep_config_selectorIxxEEZNS1_34radix_sort_onesweep_global_offsetsIS3_Lb0EN6thrust23THRUST_200600_302600_NS6detail15normal_iteratorINS8_10device_ptrIxEEEESD_jNS0_19identity_decomposerEEE10hipError_tT1_T2_PT3_SI_jT4_jjP12ihipStream_tbEUlT_E0_NS1_11comp_targetILNS1_3genE6ELNS1_11target_archE950ELNS1_3gpuE13ELNS1_3repE0EEENS1_52radix_sort_onesweep_histogram_config_static_selectorELNS0_4arch9wavefront6targetE1EEEvSG_.has_dyn_sized_stack, 0
	.set _ZN7rocprim17ROCPRIM_400000_NS6detail17trampoline_kernelINS0_14default_configENS1_35radix_sort_onesweep_config_selectorIxxEEZNS1_34radix_sort_onesweep_global_offsetsIS3_Lb0EN6thrust23THRUST_200600_302600_NS6detail15normal_iteratorINS8_10device_ptrIxEEEESD_jNS0_19identity_decomposerEEE10hipError_tT1_T2_PT3_SI_jT4_jjP12ihipStream_tbEUlT_E0_NS1_11comp_targetILNS1_3genE6ELNS1_11target_archE950ELNS1_3gpuE13ELNS1_3repE0EEENS1_52radix_sort_onesweep_histogram_config_static_selectorELNS0_4arch9wavefront6targetE1EEEvSG_.has_recursion, 0
	.set _ZN7rocprim17ROCPRIM_400000_NS6detail17trampoline_kernelINS0_14default_configENS1_35radix_sort_onesweep_config_selectorIxxEEZNS1_34radix_sort_onesweep_global_offsetsIS3_Lb0EN6thrust23THRUST_200600_302600_NS6detail15normal_iteratorINS8_10device_ptrIxEEEESD_jNS0_19identity_decomposerEEE10hipError_tT1_T2_PT3_SI_jT4_jjP12ihipStream_tbEUlT_E0_NS1_11comp_targetILNS1_3genE6ELNS1_11target_archE950ELNS1_3gpuE13ELNS1_3repE0EEENS1_52radix_sort_onesweep_histogram_config_static_selectorELNS0_4arch9wavefront6targetE1EEEvSG_.has_indirect_call, 0
	.section	.AMDGPU.csdata,"",@progbits
; Kernel info:
; codeLenInByte = 572
; TotalNumSgprs: 20
; NumVgprs: 7
; NumAgprs: 0
; TotalNumVgprs: 7
; ScratchSize: 0
; MemoryBound: 0
; FloatMode: 240
; IeeeMode: 1
; LDSByteSize: 64 bytes/workgroup (compile time only)
; SGPRBlocks: 2
; VGPRBlocks: 0
; NumSGPRsForWavesPerEU: 20
; NumVGPRsForWavesPerEU: 7
; AccumOffset: 8
; Occupancy: 8
; WaveLimiterHint : 0
; COMPUTE_PGM_RSRC2:SCRATCH_EN: 0
; COMPUTE_PGM_RSRC2:USER_SGPR: 2
; COMPUTE_PGM_RSRC2:TRAP_HANDLER: 0
; COMPUTE_PGM_RSRC2:TGID_X_EN: 1
; COMPUTE_PGM_RSRC2:TGID_Y_EN: 0
; COMPUTE_PGM_RSRC2:TGID_Z_EN: 0
; COMPUTE_PGM_RSRC2:TIDIG_COMP_CNT: 0
; COMPUTE_PGM_RSRC3_GFX90A:ACCUM_OFFSET: 1
; COMPUTE_PGM_RSRC3_GFX90A:TG_SPLIT: 0
	.section	.text._ZN7rocprim17ROCPRIM_400000_NS6detail17trampoline_kernelINS0_14default_configENS1_35radix_sort_onesweep_config_selectorIxxEEZNS1_34radix_sort_onesweep_global_offsetsIS3_Lb0EN6thrust23THRUST_200600_302600_NS6detail15normal_iteratorINS8_10device_ptrIxEEEESD_jNS0_19identity_decomposerEEE10hipError_tT1_T2_PT3_SI_jT4_jjP12ihipStream_tbEUlT_E0_NS1_11comp_targetILNS1_3genE5ELNS1_11target_archE942ELNS1_3gpuE9ELNS1_3repE0EEENS1_52radix_sort_onesweep_histogram_config_static_selectorELNS0_4arch9wavefront6targetE1EEEvSG_,"axG",@progbits,_ZN7rocprim17ROCPRIM_400000_NS6detail17trampoline_kernelINS0_14default_configENS1_35radix_sort_onesweep_config_selectorIxxEEZNS1_34radix_sort_onesweep_global_offsetsIS3_Lb0EN6thrust23THRUST_200600_302600_NS6detail15normal_iteratorINS8_10device_ptrIxEEEESD_jNS0_19identity_decomposerEEE10hipError_tT1_T2_PT3_SI_jT4_jjP12ihipStream_tbEUlT_E0_NS1_11comp_targetILNS1_3genE5ELNS1_11target_archE942ELNS1_3gpuE9ELNS1_3repE0EEENS1_52radix_sort_onesweep_histogram_config_static_selectorELNS0_4arch9wavefront6targetE1EEEvSG_,comdat
	.protected	_ZN7rocprim17ROCPRIM_400000_NS6detail17trampoline_kernelINS0_14default_configENS1_35radix_sort_onesweep_config_selectorIxxEEZNS1_34radix_sort_onesweep_global_offsetsIS3_Lb0EN6thrust23THRUST_200600_302600_NS6detail15normal_iteratorINS8_10device_ptrIxEEEESD_jNS0_19identity_decomposerEEE10hipError_tT1_T2_PT3_SI_jT4_jjP12ihipStream_tbEUlT_E0_NS1_11comp_targetILNS1_3genE5ELNS1_11target_archE942ELNS1_3gpuE9ELNS1_3repE0EEENS1_52radix_sort_onesweep_histogram_config_static_selectorELNS0_4arch9wavefront6targetE1EEEvSG_ ; -- Begin function _ZN7rocprim17ROCPRIM_400000_NS6detail17trampoline_kernelINS0_14default_configENS1_35radix_sort_onesweep_config_selectorIxxEEZNS1_34radix_sort_onesweep_global_offsetsIS3_Lb0EN6thrust23THRUST_200600_302600_NS6detail15normal_iteratorINS8_10device_ptrIxEEEESD_jNS0_19identity_decomposerEEE10hipError_tT1_T2_PT3_SI_jT4_jjP12ihipStream_tbEUlT_E0_NS1_11comp_targetILNS1_3genE5ELNS1_11target_archE942ELNS1_3gpuE9ELNS1_3repE0EEENS1_52radix_sort_onesweep_histogram_config_static_selectorELNS0_4arch9wavefront6targetE1EEEvSG_
	.globl	_ZN7rocprim17ROCPRIM_400000_NS6detail17trampoline_kernelINS0_14default_configENS1_35radix_sort_onesweep_config_selectorIxxEEZNS1_34radix_sort_onesweep_global_offsetsIS3_Lb0EN6thrust23THRUST_200600_302600_NS6detail15normal_iteratorINS8_10device_ptrIxEEEESD_jNS0_19identity_decomposerEEE10hipError_tT1_T2_PT3_SI_jT4_jjP12ihipStream_tbEUlT_E0_NS1_11comp_targetILNS1_3genE5ELNS1_11target_archE942ELNS1_3gpuE9ELNS1_3repE0EEENS1_52radix_sort_onesweep_histogram_config_static_selectorELNS0_4arch9wavefront6targetE1EEEvSG_
	.p2align	8
	.type	_ZN7rocprim17ROCPRIM_400000_NS6detail17trampoline_kernelINS0_14default_configENS1_35radix_sort_onesweep_config_selectorIxxEEZNS1_34radix_sort_onesweep_global_offsetsIS3_Lb0EN6thrust23THRUST_200600_302600_NS6detail15normal_iteratorINS8_10device_ptrIxEEEESD_jNS0_19identity_decomposerEEE10hipError_tT1_T2_PT3_SI_jT4_jjP12ihipStream_tbEUlT_E0_NS1_11comp_targetILNS1_3genE5ELNS1_11target_archE942ELNS1_3gpuE9ELNS1_3repE0EEENS1_52radix_sort_onesweep_histogram_config_static_selectorELNS0_4arch9wavefront6targetE1EEEvSG_,@function
_ZN7rocprim17ROCPRIM_400000_NS6detail17trampoline_kernelINS0_14default_configENS1_35radix_sort_onesweep_config_selectorIxxEEZNS1_34radix_sort_onesweep_global_offsetsIS3_Lb0EN6thrust23THRUST_200600_302600_NS6detail15normal_iteratorINS8_10device_ptrIxEEEESD_jNS0_19identity_decomposerEEE10hipError_tT1_T2_PT3_SI_jT4_jjP12ihipStream_tbEUlT_E0_NS1_11comp_targetILNS1_3genE5ELNS1_11target_archE942ELNS1_3gpuE9ELNS1_3repE0EEENS1_52radix_sort_onesweep_histogram_config_static_selectorELNS0_4arch9wavefront6targetE1EEEvSG_: ; @_ZN7rocprim17ROCPRIM_400000_NS6detail17trampoline_kernelINS0_14default_configENS1_35radix_sort_onesweep_config_selectorIxxEEZNS1_34radix_sort_onesweep_global_offsetsIS3_Lb0EN6thrust23THRUST_200600_302600_NS6detail15normal_iteratorINS8_10device_ptrIxEEEESD_jNS0_19identity_decomposerEEE10hipError_tT1_T2_PT3_SI_jT4_jjP12ihipStream_tbEUlT_E0_NS1_11comp_targetILNS1_3genE5ELNS1_11target_archE942ELNS1_3gpuE9ELNS1_3repE0EEENS1_52radix_sort_onesweep_histogram_config_static_selectorELNS0_4arch9wavefront6targetE1EEEvSG_
; %bb.0:
	.section	.rodata,"a",@progbits
	.p2align	6, 0x0
	.amdhsa_kernel _ZN7rocprim17ROCPRIM_400000_NS6detail17trampoline_kernelINS0_14default_configENS1_35radix_sort_onesweep_config_selectorIxxEEZNS1_34radix_sort_onesweep_global_offsetsIS3_Lb0EN6thrust23THRUST_200600_302600_NS6detail15normal_iteratorINS8_10device_ptrIxEEEESD_jNS0_19identity_decomposerEEE10hipError_tT1_T2_PT3_SI_jT4_jjP12ihipStream_tbEUlT_E0_NS1_11comp_targetILNS1_3genE5ELNS1_11target_archE942ELNS1_3gpuE9ELNS1_3repE0EEENS1_52radix_sort_onesweep_histogram_config_static_selectorELNS0_4arch9wavefront6targetE1EEEvSG_
		.amdhsa_group_segment_fixed_size 0
		.amdhsa_private_segment_fixed_size 0
		.amdhsa_kernarg_size 8
		.amdhsa_user_sgpr_count 2
		.amdhsa_user_sgpr_dispatch_ptr 0
		.amdhsa_user_sgpr_queue_ptr 0
		.amdhsa_user_sgpr_kernarg_segment_ptr 1
		.amdhsa_user_sgpr_dispatch_id 0
		.amdhsa_user_sgpr_kernarg_preload_length 0
		.amdhsa_user_sgpr_kernarg_preload_offset 0
		.amdhsa_user_sgpr_private_segment_size 0
		.amdhsa_uses_dynamic_stack 0
		.amdhsa_enable_private_segment 0
		.amdhsa_system_sgpr_workgroup_id_x 1
		.amdhsa_system_sgpr_workgroup_id_y 0
		.amdhsa_system_sgpr_workgroup_id_z 0
		.amdhsa_system_sgpr_workgroup_info 0
		.amdhsa_system_vgpr_workitem_id 0
		.amdhsa_next_free_vgpr 1
		.amdhsa_next_free_sgpr 0
		.amdhsa_accum_offset 4
		.amdhsa_reserve_vcc 0
		.amdhsa_float_round_mode_32 0
		.amdhsa_float_round_mode_16_64 0
		.amdhsa_float_denorm_mode_32 3
		.amdhsa_float_denorm_mode_16_64 3
		.amdhsa_dx10_clamp 1
		.amdhsa_ieee_mode 1
		.amdhsa_fp16_overflow 0
		.amdhsa_tg_split 0
		.amdhsa_exception_fp_ieee_invalid_op 0
		.amdhsa_exception_fp_denorm_src 0
		.amdhsa_exception_fp_ieee_div_zero 0
		.amdhsa_exception_fp_ieee_overflow 0
		.amdhsa_exception_fp_ieee_underflow 0
		.amdhsa_exception_fp_ieee_inexact 0
		.amdhsa_exception_int_div_zero 0
	.end_amdhsa_kernel
	.section	.text._ZN7rocprim17ROCPRIM_400000_NS6detail17trampoline_kernelINS0_14default_configENS1_35radix_sort_onesweep_config_selectorIxxEEZNS1_34radix_sort_onesweep_global_offsetsIS3_Lb0EN6thrust23THRUST_200600_302600_NS6detail15normal_iteratorINS8_10device_ptrIxEEEESD_jNS0_19identity_decomposerEEE10hipError_tT1_T2_PT3_SI_jT4_jjP12ihipStream_tbEUlT_E0_NS1_11comp_targetILNS1_3genE5ELNS1_11target_archE942ELNS1_3gpuE9ELNS1_3repE0EEENS1_52radix_sort_onesweep_histogram_config_static_selectorELNS0_4arch9wavefront6targetE1EEEvSG_,"axG",@progbits,_ZN7rocprim17ROCPRIM_400000_NS6detail17trampoline_kernelINS0_14default_configENS1_35radix_sort_onesweep_config_selectorIxxEEZNS1_34radix_sort_onesweep_global_offsetsIS3_Lb0EN6thrust23THRUST_200600_302600_NS6detail15normal_iteratorINS8_10device_ptrIxEEEESD_jNS0_19identity_decomposerEEE10hipError_tT1_T2_PT3_SI_jT4_jjP12ihipStream_tbEUlT_E0_NS1_11comp_targetILNS1_3genE5ELNS1_11target_archE942ELNS1_3gpuE9ELNS1_3repE0EEENS1_52radix_sort_onesweep_histogram_config_static_selectorELNS0_4arch9wavefront6targetE1EEEvSG_,comdat
.Lfunc_end1181:
	.size	_ZN7rocprim17ROCPRIM_400000_NS6detail17trampoline_kernelINS0_14default_configENS1_35radix_sort_onesweep_config_selectorIxxEEZNS1_34radix_sort_onesweep_global_offsetsIS3_Lb0EN6thrust23THRUST_200600_302600_NS6detail15normal_iteratorINS8_10device_ptrIxEEEESD_jNS0_19identity_decomposerEEE10hipError_tT1_T2_PT3_SI_jT4_jjP12ihipStream_tbEUlT_E0_NS1_11comp_targetILNS1_3genE5ELNS1_11target_archE942ELNS1_3gpuE9ELNS1_3repE0EEENS1_52radix_sort_onesweep_histogram_config_static_selectorELNS0_4arch9wavefront6targetE1EEEvSG_, .Lfunc_end1181-_ZN7rocprim17ROCPRIM_400000_NS6detail17trampoline_kernelINS0_14default_configENS1_35radix_sort_onesweep_config_selectorIxxEEZNS1_34radix_sort_onesweep_global_offsetsIS3_Lb0EN6thrust23THRUST_200600_302600_NS6detail15normal_iteratorINS8_10device_ptrIxEEEESD_jNS0_19identity_decomposerEEE10hipError_tT1_T2_PT3_SI_jT4_jjP12ihipStream_tbEUlT_E0_NS1_11comp_targetILNS1_3genE5ELNS1_11target_archE942ELNS1_3gpuE9ELNS1_3repE0EEENS1_52radix_sort_onesweep_histogram_config_static_selectorELNS0_4arch9wavefront6targetE1EEEvSG_
                                        ; -- End function
	.set _ZN7rocprim17ROCPRIM_400000_NS6detail17trampoline_kernelINS0_14default_configENS1_35radix_sort_onesweep_config_selectorIxxEEZNS1_34radix_sort_onesweep_global_offsetsIS3_Lb0EN6thrust23THRUST_200600_302600_NS6detail15normal_iteratorINS8_10device_ptrIxEEEESD_jNS0_19identity_decomposerEEE10hipError_tT1_T2_PT3_SI_jT4_jjP12ihipStream_tbEUlT_E0_NS1_11comp_targetILNS1_3genE5ELNS1_11target_archE942ELNS1_3gpuE9ELNS1_3repE0EEENS1_52radix_sort_onesweep_histogram_config_static_selectorELNS0_4arch9wavefront6targetE1EEEvSG_.num_vgpr, 0
	.set _ZN7rocprim17ROCPRIM_400000_NS6detail17trampoline_kernelINS0_14default_configENS1_35radix_sort_onesweep_config_selectorIxxEEZNS1_34radix_sort_onesweep_global_offsetsIS3_Lb0EN6thrust23THRUST_200600_302600_NS6detail15normal_iteratorINS8_10device_ptrIxEEEESD_jNS0_19identity_decomposerEEE10hipError_tT1_T2_PT3_SI_jT4_jjP12ihipStream_tbEUlT_E0_NS1_11comp_targetILNS1_3genE5ELNS1_11target_archE942ELNS1_3gpuE9ELNS1_3repE0EEENS1_52radix_sort_onesweep_histogram_config_static_selectorELNS0_4arch9wavefront6targetE1EEEvSG_.num_agpr, 0
	.set _ZN7rocprim17ROCPRIM_400000_NS6detail17trampoline_kernelINS0_14default_configENS1_35radix_sort_onesweep_config_selectorIxxEEZNS1_34radix_sort_onesweep_global_offsetsIS3_Lb0EN6thrust23THRUST_200600_302600_NS6detail15normal_iteratorINS8_10device_ptrIxEEEESD_jNS0_19identity_decomposerEEE10hipError_tT1_T2_PT3_SI_jT4_jjP12ihipStream_tbEUlT_E0_NS1_11comp_targetILNS1_3genE5ELNS1_11target_archE942ELNS1_3gpuE9ELNS1_3repE0EEENS1_52radix_sort_onesweep_histogram_config_static_selectorELNS0_4arch9wavefront6targetE1EEEvSG_.numbered_sgpr, 0
	.set _ZN7rocprim17ROCPRIM_400000_NS6detail17trampoline_kernelINS0_14default_configENS1_35radix_sort_onesweep_config_selectorIxxEEZNS1_34radix_sort_onesweep_global_offsetsIS3_Lb0EN6thrust23THRUST_200600_302600_NS6detail15normal_iteratorINS8_10device_ptrIxEEEESD_jNS0_19identity_decomposerEEE10hipError_tT1_T2_PT3_SI_jT4_jjP12ihipStream_tbEUlT_E0_NS1_11comp_targetILNS1_3genE5ELNS1_11target_archE942ELNS1_3gpuE9ELNS1_3repE0EEENS1_52radix_sort_onesweep_histogram_config_static_selectorELNS0_4arch9wavefront6targetE1EEEvSG_.num_named_barrier, 0
	.set _ZN7rocprim17ROCPRIM_400000_NS6detail17trampoline_kernelINS0_14default_configENS1_35radix_sort_onesweep_config_selectorIxxEEZNS1_34radix_sort_onesweep_global_offsetsIS3_Lb0EN6thrust23THRUST_200600_302600_NS6detail15normal_iteratorINS8_10device_ptrIxEEEESD_jNS0_19identity_decomposerEEE10hipError_tT1_T2_PT3_SI_jT4_jjP12ihipStream_tbEUlT_E0_NS1_11comp_targetILNS1_3genE5ELNS1_11target_archE942ELNS1_3gpuE9ELNS1_3repE0EEENS1_52radix_sort_onesweep_histogram_config_static_selectorELNS0_4arch9wavefront6targetE1EEEvSG_.private_seg_size, 0
	.set _ZN7rocprim17ROCPRIM_400000_NS6detail17trampoline_kernelINS0_14default_configENS1_35radix_sort_onesweep_config_selectorIxxEEZNS1_34radix_sort_onesweep_global_offsetsIS3_Lb0EN6thrust23THRUST_200600_302600_NS6detail15normal_iteratorINS8_10device_ptrIxEEEESD_jNS0_19identity_decomposerEEE10hipError_tT1_T2_PT3_SI_jT4_jjP12ihipStream_tbEUlT_E0_NS1_11comp_targetILNS1_3genE5ELNS1_11target_archE942ELNS1_3gpuE9ELNS1_3repE0EEENS1_52radix_sort_onesweep_histogram_config_static_selectorELNS0_4arch9wavefront6targetE1EEEvSG_.uses_vcc, 0
	.set _ZN7rocprim17ROCPRIM_400000_NS6detail17trampoline_kernelINS0_14default_configENS1_35radix_sort_onesweep_config_selectorIxxEEZNS1_34radix_sort_onesweep_global_offsetsIS3_Lb0EN6thrust23THRUST_200600_302600_NS6detail15normal_iteratorINS8_10device_ptrIxEEEESD_jNS0_19identity_decomposerEEE10hipError_tT1_T2_PT3_SI_jT4_jjP12ihipStream_tbEUlT_E0_NS1_11comp_targetILNS1_3genE5ELNS1_11target_archE942ELNS1_3gpuE9ELNS1_3repE0EEENS1_52radix_sort_onesweep_histogram_config_static_selectorELNS0_4arch9wavefront6targetE1EEEvSG_.uses_flat_scratch, 0
	.set _ZN7rocprim17ROCPRIM_400000_NS6detail17trampoline_kernelINS0_14default_configENS1_35radix_sort_onesweep_config_selectorIxxEEZNS1_34radix_sort_onesweep_global_offsetsIS3_Lb0EN6thrust23THRUST_200600_302600_NS6detail15normal_iteratorINS8_10device_ptrIxEEEESD_jNS0_19identity_decomposerEEE10hipError_tT1_T2_PT3_SI_jT4_jjP12ihipStream_tbEUlT_E0_NS1_11comp_targetILNS1_3genE5ELNS1_11target_archE942ELNS1_3gpuE9ELNS1_3repE0EEENS1_52radix_sort_onesweep_histogram_config_static_selectorELNS0_4arch9wavefront6targetE1EEEvSG_.has_dyn_sized_stack, 0
	.set _ZN7rocprim17ROCPRIM_400000_NS6detail17trampoline_kernelINS0_14default_configENS1_35radix_sort_onesweep_config_selectorIxxEEZNS1_34radix_sort_onesweep_global_offsetsIS3_Lb0EN6thrust23THRUST_200600_302600_NS6detail15normal_iteratorINS8_10device_ptrIxEEEESD_jNS0_19identity_decomposerEEE10hipError_tT1_T2_PT3_SI_jT4_jjP12ihipStream_tbEUlT_E0_NS1_11comp_targetILNS1_3genE5ELNS1_11target_archE942ELNS1_3gpuE9ELNS1_3repE0EEENS1_52radix_sort_onesweep_histogram_config_static_selectorELNS0_4arch9wavefront6targetE1EEEvSG_.has_recursion, 0
	.set _ZN7rocprim17ROCPRIM_400000_NS6detail17trampoline_kernelINS0_14default_configENS1_35radix_sort_onesweep_config_selectorIxxEEZNS1_34radix_sort_onesweep_global_offsetsIS3_Lb0EN6thrust23THRUST_200600_302600_NS6detail15normal_iteratorINS8_10device_ptrIxEEEESD_jNS0_19identity_decomposerEEE10hipError_tT1_T2_PT3_SI_jT4_jjP12ihipStream_tbEUlT_E0_NS1_11comp_targetILNS1_3genE5ELNS1_11target_archE942ELNS1_3gpuE9ELNS1_3repE0EEENS1_52radix_sort_onesweep_histogram_config_static_selectorELNS0_4arch9wavefront6targetE1EEEvSG_.has_indirect_call, 0
	.section	.AMDGPU.csdata,"",@progbits
; Kernel info:
; codeLenInByte = 0
; TotalNumSgprs: 6
; NumVgprs: 0
; NumAgprs: 0
; TotalNumVgprs: 0
; ScratchSize: 0
; MemoryBound: 0
; FloatMode: 240
; IeeeMode: 1
; LDSByteSize: 0 bytes/workgroup (compile time only)
; SGPRBlocks: 0
; VGPRBlocks: 0
; NumSGPRsForWavesPerEU: 6
; NumVGPRsForWavesPerEU: 1
; AccumOffset: 4
; Occupancy: 8
; WaveLimiterHint : 0
; COMPUTE_PGM_RSRC2:SCRATCH_EN: 0
; COMPUTE_PGM_RSRC2:USER_SGPR: 2
; COMPUTE_PGM_RSRC2:TRAP_HANDLER: 0
; COMPUTE_PGM_RSRC2:TGID_X_EN: 1
; COMPUTE_PGM_RSRC2:TGID_Y_EN: 0
; COMPUTE_PGM_RSRC2:TGID_Z_EN: 0
; COMPUTE_PGM_RSRC2:TIDIG_COMP_CNT: 0
; COMPUTE_PGM_RSRC3_GFX90A:ACCUM_OFFSET: 0
; COMPUTE_PGM_RSRC3_GFX90A:TG_SPLIT: 0
	.section	.text._ZN7rocprim17ROCPRIM_400000_NS6detail17trampoline_kernelINS0_14default_configENS1_35radix_sort_onesweep_config_selectorIxxEEZNS1_34radix_sort_onesweep_global_offsetsIS3_Lb0EN6thrust23THRUST_200600_302600_NS6detail15normal_iteratorINS8_10device_ptrIxEEEESD_jNS0_19identity_decomposerEEE10hipError_tT1_T2_PT3_SI_jT4_jjP12ihipStream_tbEUlT_E0_NS1_11comp_targetILNS1_3genE2ELNS1_11target_archE906ELNS1_3gpuE6ELNS1_3repE0EEENS1_52radix_sort_onesweep_histogram_config_static_selectorELNS0_4arch9wavefront6targetE1EEEvSG_,"axG",@progbits,_ZN7rocprim17ROCPRIM_400000_NS6detail17trampoline_kernelINS0_14default_configENS1_35radix_sort_onesweep_config_selectorIxxEEZNS1_34radix_sort_onesweep_global_offsetsIS3_Lb0EN6thrust23THRUST_200600_302600_NS6detail15normal_iteratorINS8_10device_ptrIxEEEESD_jNS0_19identity_decomposerEEE10hipError_tT1_T2_PT3_SI_jT4_jjP12ihipStream_tbEUlT_E0_NS1_11comp_targetILNS1_3genE2ELNS1_11target_archE906ELNS1_3gpuE6ELNS1_3repE0EEENS1_52radix_sort_onesweep_histogram_config_static_selectorELNS0_4arch9wavefront6targetE1EEEvSG_,comdat
	.protected	_ZN7rocprim17ROCPRIM_400000_NS6detail17trampoline_kernelINS0_14default_configENS1_35radix_sort_onesweep_config_selectorIxxEEZNS1_34radix_sort_onesweep_global_offsetsIS3_Lb0EN6thrust23THRUST_200600_302600_NS6detail15normal_iteratorINS8_10device_ptrIxEEEESD_jNS0_19identity_decomposerEEE10hipError_tT1_T2_PT3_SI_jT4_jjP12ihipStream_tbEUlT_E0_NS1_11comp_targetILNS1_3genE2ELNS1_11target_archE906ELNS1_3gpuE6ELNS1_3repE0EEENS1_52radix_sort_onesweep_histogram_config_static_selectorELNS0_4arch9wavefront6targetE1EEEvSG_ ; -- Begin function _ZN7rocprim17ROCPRIM_400000_NS6detail17trampoline_kernelINS0_14default_configENS1_35radix_sort_onesweep_config_selectorIxxEEZNS1_34radix_sort_onesweep_global_offsetsIS3_Lb0EN6thrust23THRUST_200600_302600_NS6detail15normal_iteratorINS8_10device_ptrIxEEEESD_jNS0_19identity_decomposerEEE10hipError_tT1_T2_PT3_SI_jT4_jjP12ihipStream_tbEUlT_E0_NS1_11comp_targetILNS1_3genE2ELNS1_11target_archE906ELNS1_3gpuE6ELNS1_3repE0EEENS1_52radix_sort_onesweep_histogram_config_static_selectorELNS0_4arch9wavefront6targetE1EEEvSG_
	.globl	_ZN7rocprim17ROCPRIM_400000_NS6detail17trampoline_kernelINS0_14default_configENS1_35radix_sort_onesweep_config_selectorIxxEEZNS1_34radix_sort_onesweep_global_offsetsIS3_Lb0EN6thrust23THRUST_200600_302600_NS6detail15normal_iteratorINS8_10device_ptrIxEEEESD_jNS0_19identity_decomposerEEE10hipError_tT1_T2_PT3_SI_jT4_jjP12ihipStream_tbEUlT_E0_NS1_11comp_targetILNS1_3genE2ELNS1_11target_archE906ELNS1_3gpuE6ELNS1_3repE0EEENS1_52radix_sort_onesweep_histogram_config_static_selectorELNS0_4arch9wavefront6targetE1EEEvSG_
	.p2align	8
	.type	_ZN7rocprim17ROCPRIM_400000_NS6detail17trampoline_kernelINS0_14default_configENS1_35radix_sort_onesweep_config_selectorIxxEEZNS1_34radix_sort_onesweep_global_offsetsIS3_Lb0EN6thrust23THRUST_200600_302600_NS6detail15normal_iteratorINS8_10device_ptrIxEEEESD_jNS0_19identity_decomposerEEE10hipError_tT1_T2_PT3_SI_jT4_jjP12ihipStream_tbEUlT_E0_NS1_11comp_targetILNS1_3genE2ELNS1_11target_archE906ELNS1_3gpuE6ELNS1_3repE0EEENS1_52radix_sort_onesweep_histogram_config_static_selectorELNS0_4arch9wavefront6targetE1EEEvSG_,@function
_ZN7rocprim17ROCPRIM_400000_NS6detail17trampoline_kernelINS0_14default_configENS1_35radix_sort_onesweep_config_selectorIxxEEZNS1_34radix_sort_onesweep_global_offsetsIS3_Lb0EN6thrust23THRUST_200600_302600_NS6detail15normal_iteratorINS8_10device_ptrIxEEEESD_jNS0_19identity_decomposerEEE10hipError_tT1_T2_PT3_SI_jT4_jjP12ihipStream_tbEUlT_E0_NS1_11comp_targetILNS1_3genE2ELNS1_11target_archE906ELNS1_3gpuE6ELNS1_3repE0EEENS1_52radix_sort_onesweep_histogram_config_static_selectorELNS0_4arch9wavefront6targetE1EEEvSG_: ; @_ZN7rocprim17ROCPRIM_400000_NS6detail17trampoline_kernelINS0_14default_configENS1_35radix_sort_onesweep_config_selectorIxxEEZNS1_34radix_sort_onesweep_global_offsetsIS3_Lb0EN6thrust23THRUST_200600_302600_NS6detail15normal_iteratorINS8_10device_ptrIxEEEESD_jNS0_19identity_decomposerEEE10hipError_tT1_T2_PT3_SI_jT4_jjP12ihipStream_tbEUlT_E0_NS1_11comp_targetILNS1_3genE2ELNS1_11target_archE906ELNS1_3gpuE6ELNS1_3repE0EEENS1_52radix_sort_onesweep_histogram_config_static_selectorELNS0_4arch9wavefront6targetE1EEEvSG_
; %bb.0:
	.section	.rodata,"a",@progbits
	.p2align	6, 0x0
	.amdhsa_kernel _ZN7rocprim17ROCPRIM_400000_NS6detail17trampoline_kernelINS0_14default_configENS1_35radix_sort_onesweep_config_selectorIxxEEZNS1_34radix_sort_onesweep_global_offsetsIS3_Lb0EN6thrust23THRUST_200600_302600_NS6detail15normal_iteratorINS8_10device_ptrIxEEEESD_jNS0_19identity_decomposerEEE10hipError_tT1_T2_PT3_SI_jT4_jjP12ihipStream_tbEUlT_E0_NS1_11comp_targetILNS1_3genE2ELNS1_11target_archE906ELNS1_3gpuE6ELNS1_3repE0EEENS1_52radix_sort_onesweep_histogram_config_static_selectorELNS0_4arch9wavefront6targetE1EEEvSG_
		.amdhsa_group_segment_fixed_size 0
		.amdhsa_private_segment_fixed_size 0
		.amdhsa_kernarg_size 8
		.amdhsa_user_sgpr_count 2
		.amdhsa_user_sgpr_dispatch_ptr 0
		.amdhsa_user_sgpr_queue_ptr 0
		.amdhsa_user_sgpr_kernarg_segment_ptr 1
		.amdhsa_user_sgpr_dispatch_id 0
		.amdhsa_user_sgpr_kernarg_preload_length 0
		.amdhsa_user_sgpr_kernarg_preload_offset 0
		.amdhsa_user_sgpr_private_segment_size 0
		.amdhsa_uses_dynamic_stack 0
		.amdhsa_enable_private_segment 0
		.amdhsa_system_sgpr_workgroup_id_x 1
		.amdhsa_system_sgpr_workgroup_id_y 0
		.amdhsa_system_sgpr_workgroup_id_z 0
		.amdhsa_system_sgpr_workgroup_info 0
		.amdhsa_system_vgpr_workitem_id 0
		.amdhsa_next_free_vgpr 1
		.amdhsa_next_free_sgpr 0
		.amdhsa_accum_offset 4
		.amdhsa_reserve_vcc 0
		.amdhsa_float_round_mode_32 0
		.amdhsa_float_round_mode_16_64 0
		.amdhsa_float_denorm_mode_32 3
		.amdhsa_float_denorm_mode_16_64 3
		.amdhsa_dx10_clamp 1
		.amdhsa_ieee_mode 1
		.amdhsa_fp16_overflow 0
		.amdhsa_tg_split 0
		.amdhsa_exception_fp_ieee_invalid_op 0
		.amdhsa_exception_fp_denorm_src 0
		.amdhsa_exception_fp_ieee_div_zero 0
		.amdhsa_exception_fp_ieee_overflow 0
		.amdhsa_exception_fp_ieee_underflow 0
		.amdhsa_exception_fp_ieee_inexact 0
		.amdhsa_exception_int_div_zero 0
	.end_amdhsa_kernel
	.section	.text._ZN7rocprim17ROCPRIM_400000_NS6detail17trampoline_kernelINS0_14default_configENS1_35radix_sort_onesweep_config_selectorIxxEEZNS1_34radix_sort_onesweep_global_offsetsIS3_Lb0EN6thrust23THRUST_200600_302600_NS6detail15normal_iteratorINS8_10device_ptrIxEEEESD_jNS0_19identity_decomposerEEE10hipError_tT1_T2_PT3_SI_jT4_jjP12ihipStream_tbEUlT_E0_NS1_11comp_targetILNS1_3genE2ELNS1_11target_archE906ELNS1_3gpuE6ELNS1_3repE0EEENS1_52radix_sort_onesweep_histogram_config_static_selectorELNS0_4arch9wavefront6targetE1EEEvSG_,"axG",@progbits,_ZN7rocprim17ROCPRIM_400000_NS6detail17trampoline_kernelINS0_14default_configENS1_35radix_sort_onesweep_config_selectorIxxEEZNS1_34radix_sort_onesweep_global_offsetsIS3_Lb0EN6thrust23THRUST_200600_302600_NS6detail15normal_iteratorINS8_10device_ptrIxEEEESD_jNS0_19identity_decomposerEEE10hipError_tT1_T2_PT3_SI_jT4_jjP12ihipStream_tbEUlT_E0_NS1_11comp_targetILNS1_3genE2ELNS1_11target_archE906ELNS1_3gpuE6ELNS1_3repE0EEENS1_52radix_sort_onesweep_histogram_config_static_selectorELNS0_4arch9wavefront6targetE1EEEvSG_,comdat
.Lfunc_end1182:
	.size	_ZN7rocprim17ROCPRIM_400000_NS6detail17trampoline_kernelINS0_14default_configENS1_35radix_sort_onesweep_config_selectorIxxEEZNS1_34radix_sort_onesweep_global_offsetsIS3_Lb0EN6thrust23THRUST_200600_302600_NS6detail15normal_iteratorINS8_10device_ptrIxEEEESD_jNS0_19identity_decomposerEEE10hipError_tT1_T2_PT3_SI_jT4_jjP12ihipStream_tbEUlT_E0_NS1_11comp_targetILNS1_3genE2ELNS1_11target_archE906ELNS1_3gpuE6ELNS1_3repE0EEENS1_52radix_sort_onesweep_histogram_config_static_selectorELNS0_4arch9wavefront6targetE1EEEvSG_, .Lfunc_end1182-_ZN7rocprim17ROCPRIM_400000_NS6detail17trampoline_kernelINS0_14default_configENS1_35radix_sort_onesweep_config_selectorIxxEEZNS1_34radix_sort_onesweep_global_offsetsIS3_Lb0EN6thrust23THRUST_200600_302600_NS6detail15normal_iteratorINS8_10device_ptrIxEEEESD_jNS0_19identity_decomposerEEE10hipError_tT1_T2_PT3_SI_jT4_jjP12ihipStream_tbEUlT_E0_NS1_11comp_targetILNS1_3genE2ELNS1_11target_archE906ELNS1_3gpuE6ELNS1_3repE0EEENS1_52radix_sort_onesweep_histogram_config_static_selectorELNS0_4arch9wavefront6targetE1EEEvSG_
                                        ; -- End function
	.set _ZN7rocprim17ROCPRIM_400000_NS6detail17trampoline_kernelINS0_14default_configENS1_35radix_sort_onesweep_config_selectorIxxEEZNS1_34radix_sort_onesweep_global_offsetsIS3_Lb0EN6thrust23THRUST_200600_302600_NS6detail15normal_iteratorINS8_10device_ptrIxEEEESD_jNS0_19identity_decomposerEEE10hipError_tT1_T2_PT3_SI_jT4_jjP12ihipStream_tbEUlT_E0_NS1_11comp_targetILNS1_3genE2ELNS1_11target_archE906ELNS1_3gpuE6ELNS1_3repE0EEENS1_52radix_sort_onesweep_histogram_config_static_selectorELNS0_4arch9wavefront6targetE1EEEvSG_.num_vgpr, 0
	.set _ZN7rocprim17ROCPRIM_400000_NS6detail17trampoline_kernelINS0_14default_configENS1_35radix_sort_onesweep_config_selectorIxxEEZNS1_34radix_sort_onesweep_global_offsetsIS3_Lb0EN6thrust23THRUST_200600_302600_NS6detail15normal_iteratorINS8_10device_ptrIxEEEESD_jNS0_19identity_decomposerEEE10hipError_tT1_T2_PT3_SI_jT4_jjP12ihipStream_tbEUlT_E0_NS1_11comp_targetILNS1_3genE2ELNS1_11target_archE906ELNS1_3gpuE6ELNS1_3repE0EEENS1_52radix_sort_onesweep_histogram_config_static_selectorELNS0_4arch9wavefront6targetE1EEEvSG_.num_agpr, 0
	.set _ZN7rocprim17ROCPRIM_400000_NS6detail17trampoline_kernelINS0_14default_configENS1_35radix_sort_onesweep_config_selectorIxxEEZNS1_34radix_sort_onesweep_global_offsetsIS3_Lb0EN6thrust23THRUST_200600_302600_NS6detail15normal_iteratorINS8_10device_ptrIxEEEESD_jNS0_19identity_decomposerEEE10hipError_tT1_T2_PT3_SI_jT4_jjP12ihipStream_tbEUlT_E0_NS1_11comp_targetILNS1_3genE2ELNS1_11target_archE906ELNS1_3gpuE6ELNS1_3repE0EEENS1_52radix_sort_onesweep_histogram_config_static_selectorELNS0_4arch9wavefront6targetE1EEEvSG_.numbered_sgpr, 0
	.set _ZN7rocprim17ROCPRIM_400000_NS6detail17trampoline_kernelINS0_14default_configENS1_35radix_sort_onesweep_config_selectorIxxEEZNS1_34radix_sort_onesweep_global_offsetsIS3_Lb0EN6thrust23THRUST_200600_302600_NS6detail15normal_iteratorINS8_10device_ptrIxEEEESD_jNS0_19identity_decomposerEEE10hipError_tT1_T2_PT3_SI_jT4_jjP12ihipStream_tbEUlT_E0_NS1_11comp_targetILNS1_3genE2ELNS1_11target_archE906ELNS1_3gpuE6ELNS1_3repE0EEENS1_52radix_sort_onesweep_histogram_config_static_selectorELNS0_4arch9wavefront6targetE1EEEvSG_.num_named_barrier, 0
	.set _ZN7rocprim17ROCPRIM_400000_NS6detail17trampoline_kernelINS0_14default_configENS1_35radix_sort_onesweep_config_selectorIxxEEZNS1_34radix_sort_onesweep_global_offsetsIS3_Lb0EN6thrust23THRUST_200600_302600_NS6detail15normal_iteratorINS8_10device_ptrIxEEEESD_jNS0_19identity_decomposerEEE10hipError_tT1_T2_PT3_SI_jT4_jjP12ihipStream_tbEUlT_E0_NS1_11comp_targetILNS1_3genE2ELNS1_11target_archE906ELNS1_3gpuE6ELNS1_3repE0EEENS1_52radix_sort_onesweep_histogram_config_static_selectorELNS0_4arch9wavefront6targetE1EEEvSG_.private_seg_size, 0
	.set _ZN7rocprim17ROCPRIM_400000_NS6detail17trampoline_kernelINS0_14default_configENS1_35radix_sort_onesweep_config_selectorIxxEEZNS1_34radix_sort_onesweep_global_offsetsIS3_Lb0EN6thrust23THRUST_200600_302600_NS6detail15normal_iteratorINS8_10device_ptrIxEEEESD_jNS0_19identity_decomposerEEE10hipError_tT1_T2_PT3_SI_jT4_jjP12ihipStream_tbEUlT_E0_NS1_11comp_targetILNS1_3genE2ELNS1_11target_archE906ELNS1_3gpuE6ELNS1_3repE0EEENS1_52radix_sort_onesweep_histogram_config_static_selectorELNS0_4arch9wavefront6targetE1EEEvSG_.uses_vcc, 0
	.set _ZN7rocprim17ROCPRIM_400000_NS6detail17trampoline_kernelINS0_14default_configENS1_35radix_sort_onesweep_config_selectorIxxEEZNS1_34radix_sort_onesweep_global_offsetsIS3_Lb0EN6thrust23THRUST_200600_302600_NS6detail15normal_iteratorINS8_10device_ptrIxEEEESD_jNS0_19identity_decomposerEEE10hipError_tT1_T2_PT3_SI_jT4_jjP12ihipStream_tbEUlT_E0_NS1_11comp_targetILNS1_3genE2ELNS1_11target_archE906ELNS1_3gpuE6ELNS1_3repE0EEENS1_52radix_sort_onesweep_histogram_config_static_selectorELNS0_4arch9wavefront6targetE1EEEvSG_.uses_flat_scratch, 0
	.set _ZN7rocprim17ROCPRIM_400000_NS6detail17trampoline_kernelINS0_14default_configENS1_35radix_sort_onesweep_config_selectorIxxEEZNS1_34radix_sort_onesweep_global_offsetsIS3_Lb0EN6thrust23THRUST_200600_302600_NS6detail15normal_iteratorINS8_10device_ptrIxEEEESD_jNS0_19identity_decomposerEEE10hipError_tT1_T2_PT3_SI_jT4_jjP12ihipStream_tbEUlT_E0_NS1_11comp_targetILNS1_3genE2ELNS1_11target_archE906ELNS1_3gpuE6ELNS1_3repE0EEENS1_52radix_sort_onesweep_histogram_config_static_selectorELNS0_4arch9wavefront6targetE1EEEvSG_.has_dyn_sized_stack, 0
	.set _ZN7rocprim17ROCPRIM_400000_NS6detail17trampoline_kernelINS0_14default_configENS1_35radix_sort_onesweep_config_selectorIxxEEZNS1_34radix_sort_onesweep_global_offsetsIS3_Lb0EN6thrust23THRUST_200600_302600_NS6detail15normal_iteratorINS8_10device_ptrIxEEEESD_jNS0_19identity_decomposerEEE10hipError_tT1_T2_PT3_SI_jT4_jjP12ihipStream_tbEUlT_E0_NS1_11comp_targetILNS1_3genE2ELNS1_11target_archE906ELNS1_3gpuE6ELNS1_3repE0EEENS1_52radix_sort_onesweep_histogram_config_static_selectorELNS0_4arch9wavefront6targetE1EEEvSG_.has_recursion, 0
	.set _ZN7rocprim17ROCPRIM_400000_NS6detail17trampoline_kernelINS0_14default_configENS1_35radix_sort_onesweep_config_selectorIxxEEZNS1_34radix_sort_onesweep_global_offsetsIS3_Lb0EN6thrust23THRUST_200600_302600_NS6detail15normal_iteratorINS8_10device_ptrIxEEEESD_jNS0_19identity_decomposerEEE10hipError_tT1_T2_PT3_SI_jT4_jjP12ihipStream_tbEUlT_E0_NS1_11comp_targetILNS1_3genE2ELNS1_11target_archE906ELNS1_3gpuE6ELNS1_3repE0EEENS1_52radix_sort_onesweep_histogram_config_static_selectorELNS0_4arch9wavefront6targetE1EEEvSG_.has_indirect_call, 0
	.section	.AMDGPU.csdata,"",@progbits
; Kernel info:
; codeLenInByte = 0
; TotalNumSgprs: 6
; NumVgprs: 0
; NumAgprs: 0
; TotalNumVgprs: 0
; ScratchSize: 0
; MemoryBound: 0
; FloatMode: 240
; IeeeMode: 1
; LDSByteSize: 0 bytes/workgroup (compile time only)
; SGPRBlocks: 0
; VGPRBlocks: 0
; NumSGPRsForWavesPerEU: 6
; NumVGPRsForWavesPerEU: 1
; AccumOffset: 4
; Occupancy: 8
; WaveLimiterHint : 0
; COMPUTE_PGM_RSRC2:SCRATCH_EN: 0
; COMPUTE_PGM_RSRC2:USER_SGPR: 2
; COMPUTE_PGM_RSRC2:TRAP_HANDLER: 0
; COMPUTE_PGM_RSRC2:TGID_X_EN: 1
; COMPUTE_PGM_RSRC2:TGID_Y_EN: 0
; COMPUTE_PGM_RSRC2:TGID_Z_EN: 0
; COMPUTE_PGM_RSRC2:TIDIG_COMP_CNT: 0
; COMPUTE_PGM_RSRC3_GFX90A:ACCUM_OFFSET: 0
; COMPUTE_PGM_RSRC3_GFX90A:TG_SPLIT: 0
	.section	.text._ZN7rocprim17ROCPRIM_400000_NS6detail17trampoline_kernelINS0_14default_configENS1_35radix_sort_onesweep_config_selectorIxxEEZNS1_34radix_sort_onesweep_global_offsetsIS3_Lb0EN6thrust23THRUST_200600_302600_NS6detail15normal_iteratorINS8_10device_ptrIxEEEESD_jNS0_19identity_decomposerEEE10hipError_tT1_T2_PT3_SI_jT4_jjP12ihipStream_tbEUlT_E0_NS1_11comp_targetILNS1_3genE4ELNS1_11target_archE910ELNS1_3gpuE8ELNS1_3repE0EEENS1_52radix_sort_onesweep_histogram_config_static_selectorELNS0_4arch9wavefront6targetE1EEEvSG_,"axG",@progbits,_ZN7rocprim17ROCPRIM_400000_NS6detail17trampoline_kernelINS0_14default_configENS1_35radix_sort_onesweep_config_selectorIxxEEZNS1_34radix_sort_onesweep_global_offsetsIS3_Lb0EN6thrust23THRUST_200600_302600_NS6detail15normal_iteratorINS8_10device_ptrIxEEEESD_jNS0_19identity_decomposerEEE10hipError_tT1_T2_PT3_SI_jT4_jjP12ihipStream_tbEUlT_E0_NS1_11comp_targetILNS1_3genE4ELNS1_11target_archE910ELNS1_3gpuE8ELNS1_3repE0EEENS1_52radix_sort_onesweep_histogram_config_static_selectorELNS0_4arch9wavefront6targetE1EEEvSG_,comdat
	.protected	_ZN7rocprim17ROCPRIM_400000_NS6detail17trampoline_kernelINS0_14default_configENS1_35radix_sort_onesweep_config_selectorIxxEEZNS1_34radix_sort_onesweep_global_offsetsIS3_Lb0EN6thrust23THRUST_200600_302600_NS6detail15normal_iteratorINS8_10device_ptrIxEEEESD_jNS0_19identity_decomposerEEE10hipError_tT1_T2_PT3_SI_jT4_jjP12ihipStream_tbEUlT_E0_NS1_11comp_targetILNS1_3genE4ELNS1_11target_archE910ELNS1_3gpuE8ELNS1_3repE0EEENS1_52radix_sort_onesweep_histogram_config_static_selectorELNS0_4arch9wavefront6targetE1EEEvSG_ ; -- Begin function _ZN7rocprim17ROCPRIM_400000_NS6detail17trampoline_kernelINS0_14default_configENS1_35radix_sort_onesweep_config_selectorIxxEEZNS1_34radix_sort_onesweep_global_offsetsIS3_Lb0EN6thrust23THRUST_200600_302600_NS6detail15normal_iteratorINS8_10device_ptrIxEEEESD_jNS0_19identity_decomposerEEE10hipError_tT1_T2_PT3_SI_jT4_jjP12ihipStream_tbEUlT_E0_NS1_11comp_targetILNS1_3genE4ELNS1_11target_archE910ELNS1_3gpuE8ELNS1_3repE0EEENS1_52radix_sort_onesweep_histogram_config_static_selectorELNS0_4arch9wavefront6targetE1EEEvSG_
	.globl	_ZN7rocprim17ROCPRIM_400000_NS6detail17trampoline_kernelINS0_14default_configENS1_35radix_sort_onesweep_config_selectorIxxEEZNS1_34radix_sort_onesweep_global_offsetsIS3_Lb0EN6thrust23THRUST_200600_302600_NS6detail15normal_iteratorINS8_10device_ptrIxEEEESD_jNS0_19identity_decomposerEEE10hipError_tT1_T2_PT3_SI_jT4_jjP12ihipStream_tbEUlT_E0_NS1_11comp_targetILNS1_3genE4ELNS1_11target_archE910ELNS1_3gpuE8ELNS1_3repE0EEENS1_52radix_sort_onesweep_histogram_config_static_selectorELNS0_4arch9wavefront6targetE1EEEvSG_
	.p2align	8
	.type	_ZN7rocprim17ROCPRIM_400000_NS6detail17trampoline_kernelINS0_14default_configENS1_35radix_sort_onesweep_config_selectorIxxEEZNS1_34radix_sort_onesweep_global_offsetsIS3_Lb0EN6thrust23THRUST_200600_302600_NS6detail15normal_iteratorINS8_10device_ptrIxEEEESD_jNS0_19identity_decomposerEEE10hipError_tT1_T2_PT3_SI_jT4_jjP12ihipStream_tbEUlT_E0_NS1_11comp_targetILNS1_3genE4ELNS1_11target_archE910ELNS1_3gpuE8ELNS1_3repE0EEENS1_52radix_sort_onesweep_histogram_config_static_selectorELNS0_4arch9wavefront6targetE1EEEvSG_,@function
_ZN7rocprim17ROCPRIM_400000_NS6detail17trampoline_kernelINS0_14default_configENS1_35radix_sort_onesweep_config_selectorIxxEEZNS1_34radix_sort_onesweep_global_offsetsIS3_Lb0EN6thrust23THRUST_200600_302600_NS6detail15normal_iteratorINS8_10device_ptrIxEEEESD_jNS0_19identity_decomposerEEE10hipError_tT1_T2_PT3_SI_jT4_jjP12ihipStream_tbEUlT_E0_NS1_11comp_targetILNS1_3genE4ELNS1_11target_archE910ELNS1_3gpuE8ELNS1_3repE0EEENS1_52radix_sort_onesweep_histogram_config_static_selectorELNS0_4arch9wavefront6targetE1EEEvSG_: ; @_ZN7rocprim17ROCPRIM_400000_NS6detail17trampoline_kernelINS0_14default_configENS1_35radix_sort_onesweep_config_selectorIxxEEZNS1_34radix_sort_onesweep_global_offsetsIS3_Lb0EN6thrust23THRUST_200600_302600_NS6detail15normal_iteratorINS8_10device_ptrIxEEEESD_jNS0_19identity_decomposerEEE10hipError_tT1_T2_PT3_SI_jT4_jjP12ihipStream_tbEUlT_E0_NS1_11comp_targetILNS1_3genE4ELNS1_11target_archE910ELNS1_3gpuE8ELNS1_3repE0EEENS1_52radix_sort_onesweep_histogram_config_static_selectorELNS0_4arch9wavefront6targetE1EEEvSG_
; %bb.0:
	.section	.rodata,"a",@progbits
	.p2align	6, 0x0
	.amdhsa_kernel _ZN7rocprim17ROCPRIM_400000_NS6detail17trampoline_kernelINS0_14default_configENS1_35radix_sort_onesweep_config_selectorIxxEEZNS1_34radix_sort_onesweep_global_offsetsIS3_Lb0EN6thrust23THRUST_200600_302600_NS6detail15normal_iteratorINS8_10device_ptrIxEEEESD_jNS0_19identity_decomposerEEE10hipError_tT1_T2_PT3_SI_jT4_jjP12ihipStream_tbEUlT_E0_NS1_11comp_targetILNS1_3genE4ELNS1_11target_archE910ELNS1_3gpuE8ELNS1_3repE0EEENS1_52radix_sort_onesweep_histogram_config_static_selectorELNS0_4arch9wavefront6targetE1EEEvSG_
		.amdhsa_group_segment_fixed_size 0
		.amdhsa_private_segment_fixed_size 0
		.amdhsa_kernarg_size 8
		.amdhsa_user_sgpr_count 2
		.amdhsa_user_sgpr_dispatch_ptr 0
		.amdhsa_user_sgpr_queue_ptr 0
		.amdhsa_user_sgpr_kernarg_segment_ptr 1
		.amdhsa_user_sgpr_dispatch_id 0
		.amdhsa_user_sgpr_kernarg_preload_length 0
		.amdhsa_user_sgpr_kernarg_preload_offset 0
		.amdhsa_user_sgpr_private_segment_size 0
		.amdhsa_uses_dynamic_stack 0
		.amdhsa_enable_private_segment 0
		.amdhsa_system_sgpr_workgroup_id_x 1
		.amdhsa_system_sgpr_workgroup_id_y 0
		.amdhsa_system_sgpr_workgroup_id_z 0
		.amdhsa_system_sgpr_workgroup_info 0
		.amdhsa_system_vgpr_workitem_id 0
		.amdhsa_next_free_vgpr 1
		.amdhsa_next_free_sgpr 0
		.amdhsa_accum_offset 4
		.amdhsa_reserve_vcc 0
		.amdhsa_float_round_mode_32 0
		.amdhsa_float_round_mode_16_64 0
		.amdhsa_float_denorm_mode_32 3
		.amdhsa_float_denorm_mode_16_64 3
		.amdhsa_dx10_clamp 1
		.amdhsa_ieee_mode 1
		.amdhsa_fp16_overflow 0
		.amdhsa_tg_split 0
		.amdhsa_exception_fp_ieee_invalid_op 0
		.amdhsa_exception_fp_denorm_src 0
		.amdhsa_exception_fp_ieee_div_zero 0
		.amdhsa_exception_fp_ieee_overflow 0
		.amdhsa_exception_fp_ieee_underflow 0
		.amdhsa_exception_fp_ieee_inexact 0
		.amdhsa_exception_int_div_zero 0
	.end_amdhsa_kernel
	.section	.text._ZN7rocprim17ROCPRIM_400000_NS6detail17trampoline_kernelINS0_14default_configENS1_35radix_sort_onesweep_config_selectorIxxEEZNS1_34radix_sort_onesweep_global_offsetsIS3_Lb0EN6thrust23THRUST_200600_302600_NS6detail15normal_iteratorINS8_10device_ptrIxEEEESD_jNS0_19identity_decomposerEEE10hipError_tT1_T2_PT3_SI_jT4_jjP12ihipStream_tbEUlT_E0_NS1_11comp_targetILNS1_3genE4ELNS1_11target_archE910ELNS1_3gpuE8ELNS1_3repE0EEENS1_52radix_sort_onesweep_histogram_config_static_selectorELNS0_4arch9wavefront6targetE1EEEvSG_,"axG",@progbits,_ZN7rocprim17ROCPRIM_400000_NS6detail17trampoline_kernelINS0_14default_configENS1_35radix_sort_onesweep_config_selectorIxxEEZNS1_34radix_sort_onesweep_global_offsetsIS3_Lb0EN6thrust23THRUST_200600_302600_NS6detail15normal_iteratorINS8_10device_ptrIxEEEESD_jNS0_19identity_decomposerEEE10hipError_tT1_T2_PT3_SI_jT4_jjP12ihipStream_tbEUlT_E0_NS1_11comp_targetILNS1_3genE4ELNS1_11target_archE910ELNS1_3gpuE8ELNS1_3repE0EEENS1_52radix_sort_onesweep_histogram_config_static_selectorELNS0_4arch9wavefront6targetE1EEEvSG_,comdat
.Lfunc_end1183:
	.size	_ZN7rocprim17ROCPRIM_400000_NS6detail17trampoline_kernelINS0_14default_configENS1_35radix_sort_onesweep_config_selectorIxxEEZNS1_34radix_sort_onesweep_global_offsetsIS3_Lb0EN6thrust23THRUST_200600_302600_NS6detail15normal_iteratorINS8_10device_ptrIxEEEESD_jNS0_19identity_decomposerEEE10hipError_tT1_T2_PT3_SI_jT4_jjP12ihipStream_tbEUlT_E0_NS1_11comp_targetILNS1_3genE4ELNS1_11target_archE910ELNS1_3gpuE8ELNS1_3repE0EEENS1_52radix_sort_onesweep_histogram_config_static_selectorELNS0_4arch9wavefront6targetE1EEEvSG_, .Lfunc_end1183-_ZN7rocprim17ROCPRIM_400000_NS6detail17trampoline_kernelINS0_14default_configENS1_35radix_sort_onesweep_config_selectorIxxEEZNS1_34radix_sort_onesweep_global_offsetsIS3_Lb0EN6thrust23THRUST_200600_302600_NS6detail15normal_iteratorINS8_10device_ptrIxEEEESD_jNS0_19identity_decomposerEEE10hipError_tT1_T2_PT3_SI_jT4_jjP12ihipStream_tbEUlT_E0_NS1_11comp_targetILNS1_3genE4ELNS1_11target_archE910ELNS1_3gpuE8ELNS1_3repE0EEENS1_52radix_sort_onesweep_histogram_config_static_selectorELNS0_4arch9wavefront6targetE1EEEvSG_
                                        ; -- End function
	.set _ZN7rocprim17ROCPRIM_400000_NS6detail17trampoline_kernelINS0_14default_configENS1_35radix_sort_onesweep_config_selectorIxxEEZNS1_34radix_sort_onesweep_global_offsetsIS3_Lb0EN6thrust23THRUST_200600_302600_NS6detail15normal_iteratorINS8_10device_ptrIxEEEESD_jNS0_19identity_decomposerEEE10hipError_tT1_T2_PT3_SI_jT4_jjP12ihipStream_tbEUlT_E0_NS1_11comp_targetILNS1_3genE4ELNS1_11target_archE910ELNS1_3gpuE8ELNS1_3repE0EEENS1_52radix_sort_onesweep_histogram_config_static_selectorELNS0_4arch9wavefront6targetE1EEEvSG_.num_vgpr, 0
	.set _ZN7rocprim17ROCPRIM_400000_NS6detail17trampoline_kernelINS0_14default_configENS1_35radix_sort_onesweep_config_selectorIxxEEZNS1_34radix_sort_onesweep_global_offsetsIS3_Lb0EN6thrust23THRUST_200600_302600_NS6detail15normal_iteratorINS8_10device_ptrIxEEEESD_jNS0_19identity_decomposerEEE10hipError_tT1_T2_PT3_SI_jT4_jjP12ihipStream_tbEUlT_E0_NS1_11comp_targetILNS1_3genE4ELNS1_11target_archE910ELNS1_3gpuE8ELNS1_3repE0EEENS1_52radix_sort_onesweep_histogram_config_static_selectorELNS0_4arch9wavefront6targetE1EEEvSG_.num_agpr, 0
	.set _ZN7rocprim17ROCPRIM_400000_NS6detail17trampoline_kernelINS0_14default_configENS1_35radix_sort_onesweep_config_selectorIxxEEZNS1_34radix_sort_onesweep_global_offsetsIS3_Lb0EN6thrust23THRUST_200600_302600_NS6detail15normal_iteratorINS8_10device_ptrIxEEEESD_jNS0_19identity_decomposerEEE10hipError_tT1_T2_PT3_SI_jT4_jjP12ihipStream_tbEUlT_E0_NS1_11comp_targetILNS1_3genE4ELNS1_11target_archE910ELNS1_3gpuE8ELNS1_3repE0EEENS1_52radix_sort_onesweep_histogram_config_static_selectorELNS0_4arch9wavefront6targetE1EEEvSG_.numbered_sgpr, 0
	.set _ZN7rocprim17ROCPRIM_400000_NS6detail17trampoline_kernelINS0_14default_configENS1_35radix_sort_onesweep_config_selectorIxxEEZNS1_34radix_sort_onesweep_global_offsetsIS3_Lb0EN6thrust23THRUST_200600_302600_NS6detail15normal_iteratorINS8_10device_ptrIxEEEESD_jNS0_19identity_decomposerEEE10hipError_tT1_T2_PT3_SI_jT4_jjP12ihipStream_tbEUlT_E0_NS1_11comp_targetILNS1_3genE4ELNS1_11target_archE910ELNS1_3gpuE8ELNS1_3repE0EEENS1_52radix_sort_onesweep_histogram_config_static_selectorELNS0_4arch9wavefront6targetE1EEEvSG_.num_named_barrier, 0
	.set _ZN7rocprim17ROCPRIM_400000_NS6detail17trampoline_kernelINS0_14default_configENS1_35radix_sort_onesweep_config_selectorIxxEEZNS1_34radix_sort_onesweep_global_offsetsIS3_Lb0EN6thrust23THRUST_200600_302600_NS6detail15normal_iteratorINS8_10device_ptrIxEEEESD_jNS0_19identity_decomposerEEE10hipError_tT1_T2_PT3_SI_jT4_jjP12ihipStream_tbEUlT_E0_NS1_11comp_targetILNS1_3genE4ELNS1_11target_archE910ELNS1_3gpuE8ELNS1_3repE0EEENS1_52radix_sort_onesweep_histogram_config_static_selectorELNS0_4arch9wavefront6targetE1EEEvSG_.private_seg_size, 0
	.set _ZN7rocprim17ROCPRIM_400000_NS6detail17trampoline_kernelINS0_14default_configENS1_35radix_sort_onesweep_config_selectorIxxEEZNS1_34radix_sort_onesweep_global_offsetsIS3_Lb0EN6thrust23THRUST_200600_302600_NS6detail15normal_iteratorINS8_10device_ptrIxEEEESD_jNS0_19identity_decomposerEEE10hipError_tT1_T2_PT3_SI_jT4_jjP12ihipStream_tbEUlT_E0_NS1_11comp_targetILNS1_3genE4ELNS1_11target_archE910ELNS1_3gpuE8ELNS1_3repE0EEENS1_52radix_sort_onesweep_histogram_config_static_selectorELNS0_4arch9wavefront6targetE1EEEvSG_.uses_vcc, 0
	.set _ZN7rocprim17ROCPRIM_400000_NS6detail17trampoline_kernelINS0_14default_configENS1_35radix_sort_onesweep_config_selectorIxxEEZNS1_34radix_sort_onesweep_global_offsetsIS3_Lb0EN6thrust23THRUST_200600_302600_NS6detail15normal_iteratorINS8_10device_ptrIxEEEESD_jNS0_19identity_decomposerEEE10hipError_tT1_T2_PT3_SI_jT4_jjP12ihipStream_tbEUlT_E0_NS1_11comp_targetILNS1_3genE4ELNS1_11target_archE910ELNS1_3gpuE8ELNS1_3repE0EEENS1_52radix_sort_onesweep_histogram_config_static_selectorELNS0_4arch9wavefront6targetE1EEEvSG_.uses_flat_scratch, 0
	.set _ZN7rocprim17ROCPRIM_400000_NS6detail17trampoline_kernelINS0_14default_configENS1_35radix_sort_onesweep_config_selectorIxxEEZNS1_34radix_sort_onesweep_global_offsetsIS3_Lb0EN6thrust23THRUST_200600_302600_NS6detail15normal_iteratorINS8_10device_ptrIxEEEESD_jNS0_19identity_decomposerEEE10hipError_tT1_T2_PT3_SI_jT4_jjP12ihipStream_tbEUlT_E0_NS1_11comp_targetILNS1_3genE4ELNS1_11target_archE910ELNS1_3gpuE8ELNS1_3repE0EEENS1_52radix_sort_onesweep_histogram_config_static_selectorELNS0_4arch9wavefront6targetE1EEEvSG_.has_dyn_sized_stack, 0
	.set _ZN7rocprim17ROCPRIM_400000_NS6detail17trampoline_kernelINS0_14default_configENS1_35radix_sort_onesweep_config_selectorIxxEEZNS1_34radix_sort_onesweep_global_offsetsIS3_Lb0EN6thrust23THRUST_200600_302600_NS6detail15normal_iteratorINS8_10device_ptrIxEEEESD_jNS0_19identity_decomposerEEE10hipError_tT1_T2_PT3_SI_jT4_jjP12ihipStream_tbEUlT_E0_NS1_11comp_targetILNS1_3genE4ELNS1_11target_archE910ELNS1_3gpuE8ELNS1_3repE0EEENS1_52radix_sort_onesweep_histogram_config_static_selectorELNS0_4arch9wavefront6targetE1EEEvSG_.has_recursion, 0
	.set _ZN7rocprim17ROCPRIM_400000_NS6detail17trampoline_kernelINS0_14default_configENS1_35radix_sort_onesweep_config_selectorIxxEEZNS1_34radix_sort_onesweep_global_offsetsIS3_Lb0EN6thrust23THRUST_200600_302600_NS6detail15normal_iteratorINS8_10device_ptrIxEEEESD_jNS0_19identity_decomposerEEE10hipError_tT1_T2_PT3_SI_jT4_jjP12ihipStream_tbEUlT_E0_NS1_11comp_targetILNS1_3genE4ELNS1_11target_archE910ELNS1_3gpuE8ELNS1_3repE0EEENS1_52radix_sort_onesweep_histogram_config_static_selectorELNS0_4arch9wavefront6targetE1EEEvSG_.has_indirect_call, 0
	.section	.AMDGPU.csdata,"",@progbits
; Kernel info:
; codeLenInByte = 0
; TotalNumSgprs: 6
; NumVgprs: 0
; NumAgprs: 0
; TotalNumVgprs: 0
; ScratchSize: 0
; MemoryBound: 0
; FloatMode: 240
; IeeeMode: 1
; LDSByteSize: 0 bytes/workgroup (compile time only)
; SGPRBlocks: 0
; VGPRBlocks: 0
; NumSGPRsForWavesPerEU: 6
; NumVGPRsForWavesPerEU: 1
; AccumOffset: 4
; Occupancy: 8
; WaveLimiterHint : 0
; COMPUTE_PGM_RSRC2:SCRATCH_EN: 0
; COMPUTE_PGM_RSRC2:USER_SGPR: 2
; COMPUTE_PGM_RSRC2:TRAP_HANDLER: 0
; COMPUTE_PGM_RSRC2:TGID_X_EN: 1
; COMPUTE_PGM_RSRC2:TGID_Y_EN: 0
; COMPUTE_PGM_RSRC2:TGID_Z_EN: 0
; COMPUTE_PGM_RSRC2:TIDIG_COMP_CNT: 0
; COMPUTE_PGM_RSRC3_GFX90A:ACCUM_OFFSET: 0
; COMPUTE_PGM_RSRC3_GFX90A:TG_SPLIT: 0
	.section	.text._ZN7rocprim17ROCPRIM_400000_NS6detail17trampoline_kernelINS0_14default_configENS1_35radix_sort_onesweep_config_selectorIxxEEZNS1_34radix_sort_onesweep_global_offsetsIS3_Lb0EN6thrust23THRUST_200600_302600_NS6detail15normal_iteratorINS8_10device_ptrIxEEEESD_jNS0_19identity_decomposerEEE10hipError_tT1_T2_PT3_SI_jT4_jjP12ihipStream_tbEUlT_E0_NS1_11comp_targetILNS1_3genE3ELNS1_11target_archE908ELNS1_3gpuE7ELNS1_3repE0EEENS1_52radix_sort_onesweep_histogram_config_static_selectorELNS0_4arch9wavefront6targetE1EEEvSG_,"axG",@progbits,_ZN7rocprim17ROCPRIM_400000_NS6detail17trampoline_kernelINS0_14default_configENS1_35radix_sort_onesweep_config_selectorIxxEEZNS1_34radix_sort_onesweep_global_offsetsIS3_Lb0EN6thrust23THRUST_200600_302600_NS6detail15normal_iteratorINS8_10device_ptrIxEEEESD_jNS0_19identity_decomposerEEE10hipError_tT1_T2_PT3_SI_jT4_jjP12ihipStream_tbEUlT_E0_NS1_11comp_targetILNS1_3genE3ELNS1_11target_archE908ELNS1_3gpuE7ELNS1_3repE0EEENS1_52radix_sort_onesweep_histogram_config_static_selectorELNS0_4arch9wavefront6targetE1EEEvSG_,comdat
	.protected	_ZN7rocprim17ROCPRIM_400000_NS6detail17trampoline_kernelINS0_14default_configENS1_35radix_sort_onesweep_config_selectorIxxEEZNS1_34radix_sort_onesweep_global_offsetsIS3_Lb0EN6thrust23THRUST_200600_302600_NS6detail15normal_iteratorINS8_10device_ptrIxEEEESD_jNS0_19identity_decomposerEEE10hipError_tT1_T2_PT3_SI_jT4_jjP12ihipStream_tbEUlT_E0_NS1_11comp_targetILNS1_3genE3ELNS1_11target_archE908ELNS1_3gpuE7ELNS1_3repE0EEENS1_52radix_sort_onesweep_histogram_config_static_selectorELNS0_4arch9wavefront6targetE1EEEvSG_ ; -- Begin function _ZN7rocprim17ROCPRIM_400000_NS6detail17trampoline_kernelINS0_14default_configENS1_35radix_sort_onesweep_config_selectorIxxEEZNS1_34radix_sort_onesweep_global_offsetsIS3_Lb0EN6thrust23THRUST_200600_302600_NS6detail15normal_iteratorINS8_10device_ptrIxEEEESD_jNS0_19identity_decomposerEEE10hipError_tT1_T2_PT3_SI_jT4_jjP12ihipStream_tbEUlT_E0_NS1_11comp_targetILNS1_3genE3ELNS1_11target_archE908ELNS1_3gpuE7ELNS1_3repE0EEENS1_52radix_sort_onesweep_histogram_config_static_selectorELNS0_4arch9wavefront6targetE1EEEvSG_
	.globl	_ZN7rocprim17ROCPRIM_400000_NS6detail17trampoline_kernelINS0_14default_configENS1_35radix_sort_onesweep_config_selectorIxxEEZNS1_34radix_sort_onesweep_global_offsetsIS3_Lb0EN6thrust23THRUST_200600_302600_NS6detail15normal_iteratorINS8_10device_ptrIxEEEESD_jNS0_19identity_decomposerEEE10hipError_tT1_T2_PT3_SI_jT4_jjP12ihipStream_tbEUlT_E0_NS1_11comp_targetILNS1_3genE3ELNS1_11target_archE908ELNS1_3gpuE7ELNS1_3repE0EEENS1_52radix_sort_onesweep_histogram_config_static_selectorELNS0_4arch9wavefront6targetE1EEEvSG_
	.p2align	8
	.type	_ZN7rocprim17ROCPRIM_400000_NS6detail17trampoline_kernelINS0_14default_configENS1_35radix_sort_onesweep_config_selectorIxxEEZNS1_34radix_sort_onesweep_global_offsetsIS3_Lb0EN6thrust23THRUST_200600_302600_NS6detail15normal_iteratorINS8_10device_ptrIxEEEESD_jNS0_19identity_decomposerEEE10hipError_tT1_T2_PT3_SI_jT4_jjP12ihipStream_tbEUlT_E0_NS1_11comp_targetILNS1_3genE3ELNS1_11target_archE908ELNS1_3gpuE7ELNS1_3repE0EEENS1_52radix_sort_onesweep_histogram_config_static_selectorELNS0_4arch9wavefront6targetE1EEEvSG_,@function
_ZN7rocprim17ROCPRIM_400000_NS6detail17trampoline_kernelINS0_14default_configENS1_35radix_sort_onesweep_config_selectorIxxEEZNS1_34radix_sort_onesweep_global_offsetsIS3_Lb0EN6thrust23THRUST_200600_302600_NS6detail15normal_iteratorINS8_10device_ptrIxEEEESD_jNS0_19identity_decomposerEEE10hipError_tT1_T2_PT3_SI_jT4_jjP12ihipStream_tbEUlT_E0_NS1_11comp_targetILNS1_3genE3ELNS1_11target_archE908ELNS1_3gpuE7ELNS1_3repE0EEENS1_52radix_sort_onesweep_histogram_config_static_selectorELNS0_4arch9wavefront6targetE1EEEvSG_: ; @_ZN7rocprim17ROCPRIM_400000_NS6detail17trampoline_kernelINS0_14default_configENS1_35radix_sort_onesweep_config_selectorIxxEEZNS1_34radix_sort_onesweep_global_offsetsIS3_Lb0EN6thrust23THRUST_200600_302600_NS6detail15normal_iteratorINS8_10device_ptrIxEEEESD_jNS0_19identity_decomposerEEE10hipError_tT1_T2_PT3_SI_jT4_jjP12ihipStream_tbEUlT_E0_NS1_11comp_targetILNS1_3genE3ELNS1_11target_archE908ELNS1_3gpuE7ELNS1_3repE0EEENS1_52radix_sort_onesweep_histogram_config_static_selectorELNS0_4arch9wavefront6targetE1EEEvSG_
; %bb.0:
	.section	.rodata,"a",@progbits
	.p2align	6, 0x0
	.amdhsa_kernel _ZN7rocprim17ROCPRIM_400000_NS6detail17trampoline_kernelINS0_14default_configENS1_35radix_sort_onesweep_config_selectorIxxEEZNS1_34radix_sort_onesweep_global_offsetsIS3_Lb0EN6thrust23THRUST_200600_302600_NS6detail15normal_iteratorINS8_10device_ptrIxEEEESD_jNS0_19identity_decomposerEEE10hipError_tT1_T2_PT3_SI_jT4_jjP12ihipStream_tbEUlT_E0_NS1_11comp_targetILNS1_3genE3ELNS1_11target_archE908ELNS1_3gpuE7ELNS1_3repE0EEENS1_52radix_sort_onesweep_histogram_config_static_selectorELNS0_4arch9wavefront6targetE1EEEvSG_
		.amdhsa_group_segment_fixed_size 0
		.amdhsa_private_segment_fixed_size 0
		.amdhsa_kernarg_size 8
		.amdhsa_user_sgpr_count 2
		.amdhsa_user_sgpr_dispatch_ptr 0
		.amdhsa_user_sgpr_queue_ptr 0
		.amdhsa_user_sgpr_kernarg_segment_ptr 1
		.amdhsa_user_sgpr_dispatch_id 0
		.amdhsa_user_sgpr_kernarg_preload_length 0
		.amdhsa_user_sgpr_kernarg_preload_offset 0
		.amdhsa_user_sgpr_private_segment_size 0
		.amdhsa_uses_dynamic_stack 0
		.amdhsa_enable_private_segment 0
		.amdhsa_system_sgpr_workgroup_id_x 1
		.amdhsa_system_sgpr_workgroup_id_y 0
		.amdhsa_system_sgpr_workgroup_id_z 0
		.amdhsa_system_sgpr_workgroup_info 0
		.amdhsa_system_vgpr_workitem_id 0
		.amdhsa_next_free_vgpr 1
		.amdhsa_next_free_sgpr 0
		.amdhsa_accum_offset 4
		.amdhsa_reserve_vcc 0
		.amdhsa_float_round_mode_32 0
		.amdhsa_float_round_mode_16_64 0
		.amdhsa_float_denorm_mode_32 3
		.amdhsa_float_denorm_mode_16_64 3
		.amdhsa_dx10_clamp 1
		.amdhsa_ieee_mode 1
		.amdhsa_fp16_overflow 0
		.amdhsa_tg_split 0
		.amdhsa_exception_fp_ieee_invalid_op 0
		.amdhsa_exception_fp_denorm_src 0
		.amdhsa_exception_fp_ieee_div_zero 0
		.amdhsa_exception_fp_ieee_overflow 0
		.amdhsa_exception_fp_ieee_underflow 0
		.amdhsa_exception_fp_ieee_inexact 0
		.amdhsa_exception_int_div_zero 0
	.end_amdhsa_kernel
	.section	.text._ZN7rocprim17ROCPRIM_400000_NS6detail17trampoline_kernelINS0_14default_configENS1_35radix_sort_onesweep_config_selectorIxxEEZNS1_34radix_sort_onesweep_global_offsetsIS3_Lb0EN6thrust23THRUST_200600_302600_NS6detail15normal_iteratorINS8_10device_ptrIxEEEESD_jNS0_19identity_decomposerEEE10hipError_tT1_T2_PT3_SI_jT4_jjP12ihipStream_tbEUlT_E0_NS1_11comp_targetILNS1_3genE3ELNS1_11target_archE908ELNS1_3gpuE7ELNS1_3repE0EEENS1_52radix_sort_onesweep_histogram_config_static_selectorELNS0_4arch9wavefront6targetE1EEEvSG_,"axG",@progbits,_ZN7rocprim17ROCPRIM_400000_NS6detail17trampoline_kernelINS0_14default_configENS1_35radix_sort_onesweep_config_selectorIxxEEZNS1_34radix_sort_onesweep_global_offsetsIS3_Lb0EN6thrust23THRUST_200600_302600_NS6detail15normal_iteratorINS8_10device_ptrIxEEEESD_jNS0_19identity_decomposerEEE10hipError_tT1_T2_PT3_SI_jT4_jjP12ihipStream_tbEUlT_E0_NS1_11comp_targetILNS1_3genE3ELNS1_11target_archE908ELNS1_3gpuE7ELNS1_3repE0EEENS1_52radix_sort_onesweep_histogram_config_static_selectorELNS0_4arch9wavefront6targetE1EEEvSG_,comdat
.Lfunc_end1184:
	.size	_ZN7rocprim17ROCPRIM_400000_NS6detail17trampoline_kernelINS0_14default_configENS1_35radix_sort_onesweep_config_selectorIxxEEZNS1_34radix_sort_onesweep_global_offsetsIS3_Lb0EN6thrust23THRUST_200600_302600_NS6detail15normal_iteratorINS8_10device_ptrIxEEEESD_jNS0_19identity_decomposerEEE10hipError_tT1_T2_PT3_SI_jT4_jjP12ihipStream_tbEUlT_E0_NS1_11comp_targetILNS1_3genE3ELNS1_11target_archE908ELNS1_3gpuE7ELNS1_3repE0EEENS1_52radix_sort_onesweep_histogram_config_static_selectorELNS0_4arch9wavefront6targetE1EEEvSG_, .Lfunc_end1184-_ZN7rocprim17ROCPRIM_400000_NS6detail17trampoline_kernelINS0_14default_configENS1_35radix_sort_onesweep_config_selectorIxxEEZNS1_34radix_sort_onesweep_global_offsetsIS3_Lb0EN6thrust23THRUST_200600_302600_NS6detail15normal_iteratorINS8_10device_ptrIxEEEESD_jNS0_19identity_decomposerEEE10hipError_tT1_T2_PT3_SI_jT4_jjP12ihipStream_tbEUlT_E0_NS1_11comp_targetILNS1_3genE3ELNS1_11target_archE908ELNS1_3gpuE7ELNS1_3repE0EEENS1_52radix_sort_onesweep_histogram_config_static_selectorELNS0_4arch9wavefront6targetE1EEEvSG_
                                        ; -- End function
	.set _ZN7rocprim17ROCPRIM_400000_NS6detail17trampoline_kernelINS0_14default_configENS1_35radix_sort_onesweep_config_selectorIxxEEZNS1_34radix_sort_onesweep_global_offsetsIS3_Lb0EN6thrust23THRUST_200600_302600_NS6detail15normal_iteratorINS8_10device_ptrIxEEEESD_jNS0_19identity_decomposerEEE10hipError_tT1_T2_PT3_SI_jT4_jjP12ihipStream_tbEUlT_E0_NS1_11comp_targetILNS1_3genE3ELNS1_11target_archE908ELNS1_3gpuE7ELNS1_3repE0EEENS1_52radix_sort_onesweep_histogram_config_static_selectorELNS0_4arch9wavefront6targetE1EEEvSG_.num_vgpr, 0
	.set _ZN7rocprim17ROCPRIM_400000_NS6detail17trampoline_kernelINS0_14default_configENS1_35radix_sort_onesweep_config_selectorIxxEEZNS1_34radix_sort_onesweep_global_offsetsIS3_Lb0EN6thrust23THRUST_200600_302600_NS6detail15normal_iteratorINS8_10device_ptrIxEEEESD_jNS0_19identity_decomposerEEE10hipError_tT1_T2_PT3_SI_jT4_jjP12ihipStream_tbEUlT_E0_NS1_11comp_targetILNS1_3genE3ELNS1_11target_archE908ELNS1_3gpuE7ELNS1_3repE0EEENS1_52radix_sort_onesweep_histogram_config_static_selectorELNS0_4arch9wavefront6targetE1EEEvSG_.num_agpr, 0
	.set _ZN7rocprim17ROCPRIM_400000_NS6detail17trampoline_kernelINS0_14default_configENS1_35radix_sort_onesweep_config_selectorIxxEEZNS1_34radix_sort_onesweep_global_offsetsIS3_Lb0EN6thrust23THRUST_200600_302600_NS6detail15normal_iteratorINS8_10device_ptrIxEEEESD_jNS0_19identity_decomposerEEE10hipError_tT1_T2_PT3_SI_jT4_jjP12ihipStream_tbEUlT_E0_NS1_11comp_targetILNS1_3genE3ELNS1_11target_archE908ELNS1_3gpuE7ELNS1_3repE0EEENS1_52radix_sort_onesweep_histogram_config_static_selectorELNS0_4arch9wavefront6targetE1EEEvSG_.numbered_sgpr, 0
	.set _ZN7rocprim17ROCPRIM_400000_NS6detail17trampoline_kernelINS0_14default_configENS1_35radix_sort_onesweep_config_selectorIxxEEZNS1_34radix_sort_onesweep_global_offsetsIS3_Lb0EN6thrust23THRUST_200600_302600_NS6detail15normal_iteratorINS8_10device_ptrIxEEEESD_jNS0_19identity_decomposerEEE10hipError_tT1_T2_PT3_SI_jT4_jjP12ihipStream_tbEUlT_E0_NS1_11comp_targetILNS1_3genE3ELNS1_11target_archE908ELNS1_3gpuE7ELNS1_3repE0EEENS1_52radix_sort_onesweep_histogram_config_static_selectorELNS0_4arch9wavefront6targetE1EEEvSG_.num_named_barrier, 0
	.set _ZN7rocprim17ROCPRIM_400000_NS6detail17trampoline_kernelINS0_14default_configENS1_35radix_sort_onesweep_config_selectorIxxEEZNS1_34radix_sort_onesweep_global_offsetsIS3_Lb0EN6thrust23THRUST_200600_302600_NS6detail15normal_iteratorINS8_10device_ptrIxEEEESD_jNS0_19identity_decomposerEEE10hipError_tT1_T2_PT3_SI_jT4_jjP12ihipStream_tbEUlT_E0_NS1_11comp_targetILNS1_3genE3ELNS1_11target_archE908ELNS1_3gpuE7ELNS1_3repE0EEENS1_52radix_sort_onesweep_histogram_config_static_selectorELNS0_4arch9wavefront6targetE1EEEvSG_.private_seg_size, 0
	.set _ZN7rocprim17ROCPRIM_400000_NS6detail17trampoline_kernelINS0_14default_configENS1_35radix_sort_onesweep_config_selectorIxxEEZNS1_34radix_sort_onesweep_global_offsetsIS3_Lb0EN6thrust23THRUST_200600_302600_NS6detail15normal_iteratorINS8_10device_ptrIxEEEESD_jNS0_19identity_decomposerEEE10hipError_tT1_T2_PT3_SI_jT4_jjP12ihipStream_tbEUlT_E0_NS1_11comp_targetILNS1_3genE3ELNS1_11target_archE908ELNS1_3gpuE7ELNS1_3repE0EEENS1_52radix_sort_onesweep_histogram_config_static_selectorELNS0_4arch9wavefront6targetE1EEEvSG_.uses_vcc, 0
	.set _ZN7rocprim17ROCPRIM_400000_NS6detail17trampoline_kernelINS0_14default_configENS1_35radix_sort_onesweep_config_selectorIxxEEZNS1_34radix_sort_onesweep_global_offsetsIS3_Lb0EN6thrust23THRUST_200600_302600_NS6detail15normal_iteratorINS8_10device_ptrIxEEEESD_jNS0_19identity_decomposerEEE10hipError_tT1_T2_PT3_SI_jT4_jjP12ihipStream_tbEUlT_E0_NS1_11comp_targetILNS1_3genE3ELNS1_11target_archE908ELNS1_3gpuE7ELNS1_3repE0EEENS1_52radix_sort_onesweep_histogram_config_static_selectorELNS0_4arch9wavefront6targetE1EEEvSG_.uses_flat_scratch, 0
	.set _ZN7rocprim17ROCPRIM_400000_NS6detail17trampoline_kernelINS0_14default_configENS1_35radix_sort_onesweep_config_selectorIxxEEZNS1_34radix_sort_onesweep_global_offsetsIS3_Lb0EN6thrust23THRUST_200600_302600_NS6detail15normal_iteratorINS8_10device_ptrIxEEEESD_jNS0_19identity_decomposerEEE10hipError_tT1_T2_PT3_SI_jT4_jjP12ihipStream_tbEUlT_E0_NS1_11comp_targetILNS1_3genE3ELNS1_11target_archE908ELNS1_3gpuE7ELNS1_3repE0EEENS1_52radix_sort_onesweep_histogram_config_static_selectorELNS0_4arch9wavefront6targetE1EEEvSG_.has_dyn_sized_stack, 0
	.set _ZN7rocprim17ROCPRIM_400000_NS6detail17trampoline_kernelINS0_14default_configENS1_35radix_sort_onesweep_config_selectorIxxEEZNS1_34radix_sort_onesweep_global_offsetsIS3_Lb0EN6thrust23THRUST_200600_302600_NS6detail15normal_iteratorINS8_10device_ptrIxEEEESD_jNS0_19identity_decomposerEEE10hipError_tT1_T2_PT3_SI_jT4_jjP12ihipStream_tbEUlT_E0_NS1_11comp_targetILNS1_3genE3ELNS1_11target_archE908ELNS1_3gpuE7ELNS1_3repE0EEENS1_52radix_sort_onesweep_histogram_config_static_selectorELNS0_4arch9wavefront6targetE1EEEvSG_.has_recursion, 0
	.set _ZN7rocprim17ROCPRIM_400000_NS6detail17trampoline_kernelINS0_14default_configENS1_35radix_sort_onesweep_config_selectorIxxEEZNS1_34radix_sort_onesweep_global_offsetsIS3_Lb0EN6thrust23THRUST_200600_302600_NS6detail15normal_iteratorINS8_10device_ptrIxEEEESD_jNS0_19identity_decomposerEEE10hipError_tT1_T2_PT3_SI_jT4_jjP12ihipStream_tbEUlT_E0_NS1_11comp_targetILNS1_3genE3ELNS1_11target_archE908ELNS1_3gpuE7ELNS1_3repE0EEENS1_52radix_sort_onesweep_histogram_config_static_selectorELNS0_4arch9wavefront6targetE1EEEvSG_.has_indirect_call, 0
	.section	.AMDGPU.csdata,"",@progbits
; Kernel info:
; codeLenInByte = 0
; TotalNumSgprs: 6
; NumVgprs: 0
; NumAgprs: 0
; TotalNumVgprs: 0
; ScratchSize: 0
; MemoryBound: 0
; FloatMode: 240
; IeeeMode: 1
; LDSByteSize: 0 bytes/workgroup (compile time only)
; SGPRBlocks: 0
; VGPRBlocks: 0
; NumSGPRsForWavesPerEU: 6
; NumVGPRsForWavesPerEU: 1
; AccumOffset: 4
; Occupancy: 8
; WaveLimiterHint : 0
; COMPUTE_PGM_RSRC2:SCRATCH_EN: 0
; COMPUTE_PGM_RSRC2:USER_SGPR: 2
; COMPUTE_PGM_RSRC2:TRAP_HANDLER: 0
; COMPUTE_PGM_RSRC2:TGID_X_EN: 1
; COMPUTE_PGM_RSRC2:TGID_Y_EN: 0
; COMPUTE_PGM_RSRC2:TGID_Z_EN: 0
; COMPUTE_PGM_RSRC2:TIDIG_COMP_CNT: 0
; COMPUTE_PGM_RSRC3_GFX90A:ACCUM_OFFSET: 0
; COMPUTE_PGM_RSRC3_GFX90A:TG_SPLIT: 0
	.section	.text._ZN7rocprim17ROCPRIM_400000_NS6detail17trampoline_kernelINS0_14default_configENS1_35radix_sort_onesweep_config_selectorIxxEEZNS1_34radix_sort_onesweep_global_offsetsIS3_Lb0EN6thrust23THRUST_200600_302600_NS6detail15normal_iteratorINS8_10device_ptrIxEEEESD_jNS0_19identity_decomposerEEE10hipError_tT1_T2_PT3_SI_jT4_jjP12ihipStream_tbEUlT_E0_NS1_11comp_targetILNS1_3genE10ELNS1_11target_archE1201ELNS1_3gpuE5ELNS1_3repE0EEENS1_52radix_sort_onesweep_histogram_config_static_selectorELNS0_4arch9wavefront6targetE1EEEvSG_,"axG",@progbits,_ZN7rocprim17ROCPRIM_400000_NS6detail17trampoline_kernelINS0_14default_configENS1_35radix_sort_onesweep_config_selectorIxxEEZNS1_34radix_sort_onesweep_global_offsetsIS3_Lb0EN6thrust23THRUST_200600_302600_NS6detail15normal_iteratorINS8_10device_ptrIxEEEESD_jNS0_19identity_decomposerEEE10hipError_tT1_T2_PT3_SI_jT4_jjP12ihipStream_tbEUlT_E0_NS1_11comp_targetILNS1_3genE10ELNS1_11target_archE1201ELNS1_3gpuE5ELNS1_3repE0EEENS1_52radix_sort_onesweep_histogram_config_static_selectorELNS0_4arch9wavefront6targetE1EEEvSG_,comdat
	.protected	_ZN7rocprim17ROCPRIM_400000_NS6detail17trampoline_kernelINS0_14default_configENS1_35radix_sort_onesweep_config_selectorIxxEEZNS1_34radix_sort_onesweep_global_offsetsIS3_Lb0EN6thrust23THRUST_200600_302600_NS6detail15normal_iteratorINS8_10device_ptrIxEEEESD_jNS0_19identity_decomposerEEE10hipError_tT1_T2_PT3_SI_jT4_jjP12ihipStream_tbEUlT_E0_NS1_11comp_targetILNS1_3genE10ELNS1_11target_archE1201ELNS1_3gpuE5ELNS1_3repE0EEENS1_52radix_sort_onesweep_histogram_config_static_selectorELNS0_4arch9wavefront6targetE1EEEvSG_ ; -- Begin function _ZN7rocprim17ROCPRIM_400000_NS6detail17trampoline_kernelINS0_14default_configENS1_35radix_sort_onesweep_config_selectorIxxEEZNS1_34radix_sort_onesweep_global_offsetsIS3_Lb0EN6thrust23THRUST_200600_302600_NS6detail15normal_iteratorINS8_10device_ptrIxEEEESD_jNS0_19identity_decomposerEEE10hipError_tT1_T2_PT3_SI_jT4_jjP12ihipStream_tbEUlT_E0_NS1_11comp_targetILNS1_3genE10ELNS1_11target_archE1201ELNS1_3gpuE5ELNS1_3repE0EEENS1_52radix_sort_onesweep_histogram_config_static_selectorELNS0_4arch9wavefront6targetE1EEEvSG_
	.globl	_ZN7rocprim17ROCPRIM_400000_NS6detail17trampoline_kernelINS0_14default_configENS1_35radix_sort_onesweep_config_selectorIxxEEZNS1_34radix_sort_onesweep_global_offsetsIS3_Lb0EN6thrust23THRUST_200600_302600_NS6detail15normal_iteratorINS8_10device_ptrIxEEEESD_jNS0_19identity_decomposerEEE10hipError_tT1_T2_PT3_SI_jT4_jjP12ihipStream_tbEUlT_E0_NS1_11comp_targetILNS1_3genE10ELNS1_11target_archE1201ELNS1_3gpuE5ELNS1_3repE0EEENS1_52radix_sort_onesweep_histogram_config_static_selectorELNS0_4arch9wavefront6targetE1EEEvSG_
	.p2align	8
	.type	_ZN7rocprim17ROCPRIM_400000_NS6detail17trampoline_kernelINS0_14default_configENS1_35radix_sort_onesweep_config_selectorIxxEEZNS1_34radix_sort_onesweep_global_offsetsIS3_Lb0EN6thrust23THRUST_200600_302600_NS6detail15normal_iteratorINS8_10device_ptrIxEEEESD_jNS0_19identity_decomposerEEE10hipError_tT1_T2_PT3_SI_jT4_jjP12ihipStream_tbEUlT_E0_NS1_11comp_targetILNS1_3genE10ELNS1_11target_archE1201ELNS1_3gpuE5ELNS1_3repE0EEENS1_52radix_sort_onesweep_histogram_config_static_selectorELNS0_4arch9wavefront6targetE1EEEvSG_,@function
_ZN7rocprim17ROCPRIM_400000_NS6detail17trampoline_kernelINS0_14default_configENS1_35radix_sort_onesweep_config_selectorIxxEEZNS1_34radix_sort_onesweep_global_offsetsIS3_Lb0EN6thrust23THRUST_200600_302600_NS6detail15normal_iteratorINS8_10device_ptrIxEEEESD_jNS0_19identity_decomposerEEE10hipError_tT1_T2_PT3_SI_jT4_jjP12ihipStream_tbEUlT_E0_NS1_11comp_targetILNS1_3genE10ELNS1_11target_archE1201ELNS1_3gpuE5ELNS1_3repE0EEENS1_52radix_sort_onesweep_histogram_config_static_selectorELNS0_4arch9wavefront6targetE1EEEvSG_: ; @_ZN7rocprim17ROCPRIM_400000_NS6detail17trampoline_kernelINS0_14default_configENS1_35radix_sort_onesweep_config_selectorIxxEEZNS1_34radix_sort_onesweep_global_offsetsIS3_Lb0EN6thrust23THRUST_200600_302600_NS6detail15normal_iteratorINS8_10device_ptrIxEEEESD_jNS0_19identity_decomposerEEE10hipError_tT1_T2_PT3_SI_jT4_jjP12ihipStream_tbEUlT_E0_NS1_11comp_targetILNS1_3genE10ELNS1_11target_archE1201ELNS1_3gpuE5ELNS1_3repE0EEENS1_52radix_sort_onesweep_histogram_config_static_selectorELNS0_4arch9wavefront6targetE1EEEvSG_
; %bb.0:
	.section	.rodata,"a",@progbits
	.p2align	6, 0x0
	.amdhsa_kernel _ZN7rocprim17ROCPRIM_400000_NS6detail17trampoline_kernelINS0_14default_configENS1_35radix_sort_onesweep_config_selectorIxxEEZNS1_34radix_sort_onesweep_global_offsetsIS3_Lb0EN6thrust23THRUST_200600_302600_NS6detail15normal_iteratorINS8_10device_ptrIxEEEESD_jNS0_19identity_decomposerEEE10hipError_tT1_T2_PT3_SI_jT4_jjP12ihipStream_tbEUlT_E0_NS1_11comp_targetILNS1_3genE10ELNS1_11target_archE1201ELNS1_3gpuE5ELNS1_3repE0EEENS1_52radix_sort_onesweep_histogram_config_static_selectorELNS0_4arch9wavefront6targetE1EEEvSG_
		.amdhsa_group_segment_fixed_size 0
		.amdhsa_private_segment_fixed_size 0
		.amdhsa_kernarg_size 8
		.amdhsa_user_sgpr_count 2
		.amdhsa_user_sgpr_dispatch_ptr 0
		.amdhsa_user_sgpr_queue_ptr 0
		.amdhsa_user_sgpr_kernarg_segment_ptr 1
		.amdhsa_user_sgpr_dispatch_id 0
		.amdhsa_user_sgpr_kernarg_preload_length 0
		.amdhsa_user_sgpr_kernarg_preload_offset 0
		.amdhsa_user_sgpr_private_segment_size 0
		.amdhsa_uses_dynamic_stack 0
		.amdhsa_enable_private_segment 0
		.amdhsa_system_sgpr_workgroup_id_x 1
		.amdhsa_system_sgpr_workgroup_id_y 0
		.amdhsa_system_sgpr_workgroup_id_z 0
		.amdhsa_system_sgpr_workgroup_info 0
		.amdhsa_system_vgpr_workitem_id 0
		.amdhsa_next_free_vgpr 1
		.amdhsa_next_free_sgpr 0
		.amdhsa_accum_offset 4
		.amdhsa_reserve_vcc 0
		.amdhsa_float_round_mode_32 0
		.amdhsa_float_round_mode_16_64 0
		.amdhsa_float_denorm_mode_32 3
		.amdhsa_float_denorm_mode_16_64 3
		.amdhsa_dx10_clamp 1
		.amdhsa_ieee_mode 1
		.amdhsa_fp16_overflow 0
		.amdhsa_tg_split 0
		.amdhsa_exception_fp_ieee_invalid_op 0
		.amdhsa_exception_fp_denorm_src 0
		.amdhsa_exception_fp_ieee_div_zero 0
		.amdhsa_exception_fp_ieee_overflow 0
		.amdhsa_exception_fp_ieee_underflow 0
		.amdhsa_exception_fp_ieee_inexact 0
		.amdhsa_exception_int_div_zero 0
	.end_amdhsa_kernel
	.section	.text._ZN7rocprim17ROCPRIM_400000_NS6detail17trampoline_kernelINS0_14default_configENS1_35radix_sort_onesweep_config_selectorIxxEEZNS1_34radix_sort_onesweep_global_offsetsIS3_Lb0EN6thrust23THRUST_200600_302600_NS6detail15normal_iteratorINS8_10device_ptrIxEEEESD_jNS0_19identity_decomposerEEE10hipError_tT1_T2_PT3_SI_jT4_jjP12ihipStream_tbEUlT_E0_NS1_11comp_targetILNS1_3genE10ELNS1_11target_archE1201ELNS1_3gpuE5ELNS1_3repE0EEENS1_52radix_sort_onesweep_histogram_config_static_selectorELNS0_4arch9wavefront6targetE1EEEvSG_,"axG",@progbits,_ZN7rocprim17ROCPRIM_400000_NS6detail17trampoline_kernelINS0_14default_configENS1_35radix_sort_onesweep_config_selectorIxxEEZNS1_34radix_sort_onesweep_global_offsetsIS3_Lb0EN6thrust23THRUST_200600_302600_NS6detail15normal_iteratorINS8_10device_ptrIxEEEESD_jNS0_19identity_decomposerEEE10hipError_tT1_T2_PT3_SI_jT4_jjP12ihipStream_tbEUlT_E0_NS1_11comp_targetILNS1_3genE10ELNS1_11target_archE1201ELNS1_3gpuE5ELNS1_3repE0EEENS1_52radix_sort_onesweep_histogram_config_static_selectorELNS0_4arch9wavefront6targetE1EEEvSG_,comdat
.Lfunc_end1185:
	.size	_ZN7rocprim17ROCPRIM_400000_NS6detail17trampoline_kernelINS0_14default_configENS1_35radix_sort_onesweep_config_selectorIxxEEZNS1_34radix_sort_onesweep_global_offsetsIS3_Lb0EN6thrust23THRUST_200600_302600_NS6detail15normal_iteratorINS8_10device_ptrIxEEEESD_jNS0_19identity_decomposerEEE10hipError_tT1_T2_PT3_SI_jT4_jjP12ihipStream_tbEUlT_E0_NS1_11comp_targetILNS1_3genE10ELNS1_11target_archE1201ELNS1_3gpuE5ELNS1_3repE0EEENS1_52radix_sort_onesweep_histogram_config_static_selectorELNS0_4arch9wavefront6targetE1EEEvSG_, .Lfunc_end1185-_ZN7rocprim17ROCPRIM_400000_NS6detail17trampoline_kernelINS0_14default_configENS1_35radix_sort_onesweep_config_selectorIxxEEZNS1_34radix_sort_onesweep_global_offsetsIS3_Lb0EN6thrust23THRUST_200600_302600_NS6detail15normal_iteratorINS8_10device_ptrIxEEEESD_jNS0_19identity_decomposerEEE10hipError_tT1_T2_PT3_SI_jT4_jjP12ihipStream_tbEUlT_E0_NS1_11comp_targetILNS1_3genE10ELNS1_11target_archE1201ELNS1_3gpuE5ELNS1_3repE0EEENS1_52radix_sort_onesweep_histogram_config_static_selectorELNS0_4arch9wavefront6targetE1EEEvSG_
                                        ; -- End function
	.set _ZN7rocprim17ROCPRIM_400000_NS6detail17trampoline_kernelINS0_14default_configENS1_35radix_sort_onesweep_config_selectorIxxEEZNS1_34radix_sort_onesweep_global_offsetsIS3_Lb0EN6thrust23THRUST_200600_302600_NS6detail15normal_iteratorINS8_10device_ptrIxEEEESD_jNS0_19identity_decomposerEEE10hipError_tT1_T2_PT3_SI_jT4_jjP12ihipStream_tbEUlT_E0_NS1_11comp_targetILNS1_3genE10ELNS1_11target_archE1201ELNS1_3gpuE5ELNS1_3repE0EEENS1_52radix_sort_onesweep_histogram_config_static_selectorELNS0_4arch9wavefront6targetE1EEEvSG_.num_vgpr, 0
	.set _ZN7rocprim17ROCPRIM_400000_NS6detail17trampoline_kernelINS0_14default_configENS1_35radix_sort_onesweep_config_selectorIxxEEZNS1_34radix_sort_onesweep_global_offsetsIS3_Lb0EN6thrust23THRUST_200600_302600_NS6detail15normal_iteratorINS8_10device_ptrIxEEEESD_jNS0_19identity_decomposerEEE10hipError_tT1_T2_PT3_SI_jT4_jjP12ihipStream_tbEUlT_E0_NS1_11comp_targetILNS1_3genE10ELNS1_11target_archE1201ELNS1_3gpuE5ELNS1_3repE0EEENS1_52radix_sort_onesweep_histogram_config_static_selectorELNS0_4arch9wavefront6targetE1EEEvSG_.num_agpr, 0
	.set _ZN7rocprim17ROCPRIM_400000_NS6detail17trampoline_kernelINS0_14default_configENS1_35radix_sort_onesweep_config_selectorIxxEEZNS1_34radix_sort_onesweep_global_offsetsIS3_Lb0EN6thrust23THRUST_200600_302600_NS6detail15normal_iteratorINS8_10device_ptrIxEEEESD_jNS0_19identity_decomposerEEE10hipError_tT1_T2_PT3_SI_jT4_jjP12ihipStream_tbEUlT_E0_NS1_11comp_targetILNS1_3genE10ELNS1_11target_archE1201ELNS1_3gpuE5ELNS1_3repE0EEENS1_52radix_sort_onesweep_histogram_config_static_selectorELNS0_4arch9wavefront6targetE1EEEvSG_.numbered_sgpr, 0
	.set _ZN7rocprim17ROCPRIM_400000_NS6detail17trampoline_kernelINS0_14default_configENS1_35radix_sort_onesweep_config_selectorIxxEEZNS1_34radix_sort_onesweep_global_offsetsIS3_Lb0EN6thrust23THRUST_200600_302600_NS6detail15normal_iteratorINS8_10device_ptrIxEEEESD_jNS0_19identity_decomposerEEE10hipError_tT1_T2_PT3_SI_jT4_jjP12ihipStream_tbEUlT_E0_NS1_11comp_targetILNS1_3genE10ELNS1_11target_archE1201ELNS1_3gpuE5ELNS1_3repE0EEENS1_52radix_sort_onesweep_histogram_config_static_selectorELNS0_4arch9wavefront6targetE1EEEvSG_.num_named_barrier, 0
	.set _ZN7rocprim17ROCPRIM_400000_NS6detail17trampoline_kernelINS0_14default_configENS1_35radix_sort_onesweep_config_selectorIxxEEZNS1_34radix_sort_onesweep_global_offsetsIS3_Lb0EN6thrust23THRUST_200600_302600_NS6detail15normal_iteratorINS8_10device_ptrIxEEEESD_jNS0_19identity_decomposerEEE10hipError_tT1_T2_PT3_SI_jT4_jjP12ihipStream_tbEUlT_E0_NS1_11comp_targetILNS1_3genE10ELNS1_11target_archE1201ELNS1_3gpuE5ELNS1_3repE0EEENS1_52radix_sort_onesweep_histogram_config_static_selectorELNS0_4arch9wavefront6targetE1EEEvSG_.private_seg_size, 0
	.set _ZN7rocprim17ROCPRIM_400000_NS6detail17trampoline_kernelINS0_14default_configENS1_35radix_sort_onesweep_config_selectorIxxEEZNS1_34radix_sort_onesweep_global_offsetsIS3_Lb0EN6thrust23THRUST_200600_302600_NS6detail15normal_iteratorINS8_10device_ptrIxEEEESD_jNS0_19identity_decomposerEEE10hipError_tT1_T2_PT3_SI_jT4_jjP12ihipStream_tbEUlT_E0_NS1_11comp_targetILNS1_3genE10ELNS1_11target_archE1201ELNS1_3gpuE5ELNS1_3repE0EEENS1_52radix_sort_onesweep_histogram_config_static_selectorELNS0_4arch9wavefront6targetE1EEEvSG_.uses_vcc, 0
	.set _ZN7rocprim17ROCPRIM_400000_NS6detail17trampoline_kernelINS0_14default_configENS1_35radix_sort_onesweep_config_selectorIxxEEZNS1_34radix_sort_onesweep_global_offsetsIS3_Lb0EN6thrust23THRUST_200600_302600_NS6detail15normal_iteratorINS8_10device_ptrIxEEEESD_jNS0_19identity_decomposerEEE10hipError_tT1_T2_PT3_SI_jT4_jjP12ihipStream_tbEUlT_E0_NS1_11comp_targetILNS1_3genE10ELNS1_11target_archE1201ELNS1_3gpuE5ELNS1_3repE0EEENS1_52radix_sort_onesweep_histogram_config_static_selectorELNS0_4arch9wavefront6targetE1EEEvSG_.uses_flat_scratch, 0
	.set _ZN7rocprim17ROCPRIM_400000_NS6detail17trampoline_kernelINS0_14default_configENS1_35radix_sort_onesweep_config_selectorIxxEEZNS1_34radix_sort_onesweep_global_offsetsIS3_Lb0EN6thrust23THRUST_200600_302600_NS6detail15normal_iteratorINS8_10device_ptrIxEEEESD_jNS0_19identity_decomposerEEE10hipError_tT1_T2_PT3_SI_jT4_jjP12ihipStream_tbEUlT_E0_NS1_11comp_targetILNS1_3genE10ELNS1_11target_archE1201ELNS1_3gpuE5ELNS1_3repE0EEENS1_52radix_sort_onesweep_histogram_config_static_selectorELNS0_4arch9wavefront6targetE1EEEvSG_.has_dyn_sized_stack, 0
	.set _ZN7rocprim17ROCPRIM_400000_NS6detail17trampoline_kernelINS0_14default_configENS1_35radix_sort_onesweep_config_selectorIxxEEZNS1_34radix_sort_onesweep_global_offsetsIS3_Lb0EN6thrust23THRUST_200600_302600_NS6detail15normal_iteratorINS8_10device_ptrIxEEEESD_jNS0_19identity_decomposerEEE10hipError_tT1_T2_PT3_SI_jT4_jjP12ihipStream_tbEUlT_E0_NS1_11comp_targetILNS1_3genE10ELNS1_11target_archE1201ELNS1_3gpuE5ELNS1_3repE0EEENS1_52radix_sort_onesweep_histogram_config_static_selectorELNS0_4arch9wavefront6targetE1EEEvSG_.has_recursion, 0
	.set _ZN7rocprim17ROCPRIM_400000_NS6detail17trampoline_kernelINS0_14default_configENS1_35radix_sort_onesweep_config_selectorIxxEEZNS1_34radix_sort_onesweep_global_offsetsIS3_Lb0EN6thrust23THRUST_200600_302600_NS6detail15normal_iteratorINS8_10device_ptrIxEEEESD_jNS0_19identity_decomposerEEE10hipError_tT1_T2_PT3_SI_jT4_jjP12ihipStream_tbEUlT_E0_NS1_11comp_targetILNS1_3genE10ELNS1_11target_archE1201ELNS1_3gpuE5ELNS1_3repE0EEENS1_52radix_sort_onesweep_histogram_config_static_selectorELNS0_4arch9wavefront6targetE1EEEvSG_.has_indirect_call, 0
	.section	.AMDGPU.csdata,"",@progbits
; Kernel info:
; codeLenInByte = 0
; TotalNumSgprs: 6
; NumVgprs: 0
; NumAgprs: 0
; TotalNumVgprs: 0
; ScratchSize: 0
; MemoryBound: 0
; FloatMode: 240
; IeeeMode: 1
; LDSByteSize: 0 bytes/workgroup (compile time only)
; SGPRBlocks: 0
; VGPRBlocks: 0
; NumSGPRsForWavesPerEU: 6
; NumVGPRsForWavesPerEU: 1
; AccumOffset: 4
; Occupancy: 8
; WaveLimiterHint : 0
; COMPUTE_PGM_RSRC2:SCRATCH_EN: 0
; COMPUTE_PGM_RSRC2:USER_SGPR: 2
; COMPUTE_PGM_RSRC2:TRAP_HANDLER: 0
; COMPUTE_PGM_RSRC2:TGID_X_EN: 1
; COMPUTE_PGM_RSRC2:TGID_Y_EN: 0
; COMPUTE_PGM_RSRC2:TGID_Z_EN: 0
; COMPUTE_PGM_RSRC2:TIDIG_COMP_CNT: 0
; COMPUTE_PGM_RSRC3_GFX90A:ACCUM_OFFSET: 0
; COMPUTE_PGM_RSRC3_GFX90A:TG_SPLIT: 0
	.section	.text._ZN7rocprim17ROCPRIM_400000_NS6detail17trampoline_kernelINS0_14default_configENS1_35radix_sort_onesweep_config_selectorIxxEEZNS1_34radix_sort_onesweep_global_offsetsIS3_Lb0EN6thrust23THRUST_200600_302600_NS6detail15normal_iteratorINS8_10device_ptrIxEEEESD_jNS0_19identity_decomposerEEE10hipError_tT1_T2_PT3_SI_jT4_jjP12ihipStream_tbEUlT_E0_NS1_11comp_targetILNS1_3genE9ELNS1_11target_archE1100ELNS1_3gpuE3ELNS1_3repE0EEENS1_52radix_sort_onesweep_histogram_config_static_selectorELNS0_4arch9wavefront6targetE1EEEvSG_,"axG",@progbits,_ZN7rocprim17ROCPRIM_400000_NS6detail17trampoline_kernelINS0_14default_configENS1_35radix_sort_onesweep_config_selectorIxxEEZNS1_34radix_sort_onesweep_global_offsetsIS3_Lb0EN6thrust23THRUST_200600_302600_NS6detail15normal_iteratorINS8_10device_ptrIxEEEESD_jNS0_19identity_decomposerEEE10hipError_tT1_T2_PT3_SI_jT4_jjP12ihipStream_tbEUlT_E0_NS1_11comp_targetILNS1_3genE9ELNS1_11target_archE1100ELNS1_3gpuE3ELNS1_3repE0EEENS1_52radix_sort_onesweep_histogram_config_static_selectorELNS0_4arch9wavefront6targetE1EEEvSG_,comdat
	.protected	_ZN7rocprim17ROCPRIM_400000_NS6detail17trampoline_kernelINS0_14default_configENS1_35radix_sort_onesweep_config_selectorIxxEEZNS1_34radix_sort_onesweep_global_offsetsIS3_Lb0EN6thrust23THRUST_200600_302600_NS6detail15normal_iteratorINS8_10device_ptrIxEEEESD_jNS0_19identity_decomposerEEE10hipError_tT1_T2_PT3_SI_jT4_jjP12ihipStream_tbEUlT_E0_NS1_11comp_targetILNS1_3genE9ELNS1_11target_archE1100ELNS1_3gpuE3ELNS1_3repE0EEENS1_52radix_sort_onesweep_histogram_config_static_selectorELNS0_4arch9wavefront6targetE1EEEvSG_ ; -- Begin function _ZN7rocprim17ROCPRIM_400000_NS6detail17trampoline_kernelINS0_14default_configENS1_35radix_sort_onesweep_config_selectorIxxEEZNS1_34radix_sort_onesweep_global_offsetsIS3_Lb0EN6thrust23THRUST_200600_302600_NS6detail15normal_iteratorINS8_10device_ptrIxEEEESD_jNS0_19identity_decomposerEEE10hipError_tT1_T2_PT3_SI_jT4_jjP12ihipStream_tbEUlT_E0_NS1_11comp_targetILNS1_3genE9ELNS1_11target_archE1100ELNS1_3gpuE3ELNS1_3repE0EEENS1_52radix_sort_onesweep_histogram_config_static_selectorELNS0_4arch9wavefront6targetE1EEEvSG_
	.globl	_ZN7rocprim17ROCPRIM_400000_NS6detail17trampoline_kernelINS0_14default_configENS1_35radix_sort_onesweep_config_selectorIxxEEZNS1_34radix_sort_onesweep_global_offsetsIS3_Lb0EN6thrust23THRUST_200600_302600_NS6detail15normal_iteratorINS8_10device_ptrIxEEEESD_jNS0_19identity_decomposerEEE10hipError_tT1_T2_PT3_SI_jT4_jjP12ihipStream_tbEUlT_E0_NS1_11comp_targetILNS1_3genE9ELNS1_11target_archE1100ELNS1_3gpuE3ELNS1_3repE0EEENS1_52radix_sort_onesweep_histogram_config_static_selectorELNS0_4arch9wavefront6targetE1EEEvSG_
	.p2align	8
	.type	_ZN7rocprim17ROCPRIM_400000_NS6detail17trampoline_kernelINS0_14default_configENS1_35radix_sort_onesweep_config_selectorIxxEEZNS1_34radix_sort_onesweep_global_offsetsIS3_Lb0EN6thrust23THRUST_200600_302600_NS6detail15normal_iteratorINS8_10device_ptrIxEEEESD_jNS0_19identity_decomposerEEE10hipError_tT1_T2_PT3_SI_jT4_jjP12ihipStream_tbEUlT_E0_NS1_11comp_targetILNS1_3genE9ELNS1_11target_archE1100ELNS1_3gpuE3ELNS1_3repE0EEENS1_52radix_sort_onesweep_histogram_config_static_selectorELNS0_4arch9wavefront6targetE1EEEvSG_,@function
_ZN7rocprim17ROCPRIM_400000_NS6detail17trampoline_kernelINS0_14default_configENS1_35radix_sort_onesweep_config_selectorIxxEEZNS1_34radix_sort_onesweep_global_offsetsIS3_Lb0EN6thrust23THRUST_200600_302600_NS6detail15normal_iteratorINS8_10device_ptrIxEEEESD_jNS0_19identity_decomposerEEE10hipError_tT1_T2_PT3_SI_jT4_jjP12ihipStream_tbEUlT_E0_NS1_11comp_targetILNS1_3genE9ELNS1_11target_archE1100ELNS1_3gpuE3ELNS1_3repE0EEENS1_52radix_sort_onesweep_histogram_config_static_selectorELNS0_4arch9wavefront6targetE1EEEvSG_: ; @_ZN7rocprim17ROCPRIM_400000_NS6detail17trampoline_kernelINS0_14default_configENS1_35radix_sort_onesweep_config_selectorIxxEEZNS1_34radix_sort_onesweep_global_offsetsIS3_Lb0EN6thrust23THRUST_200600_302600_NS6detail15normal_iteratorINS8_10device_ptrIxEEEESD_jNS0_19identity_decomposerEEE10hipError_tT1_T2_PT3_SI_jT4_jjP12ihipStream_tbEUlT_E0_NS1_11comp_targetILNS1_3genE9ELNS1_11target_archE1100ELNS1_3gpuE3ELNS1_3repE0EEENS1_52radix_sort_onesweep_histogram_config_static_selectorELNS0_4arch9wavefront6targetE1EEEvSG_
; %bb.0:
	.section	.rodata,"a",@progbits
	.p2align	6, 0x0
	.amdhsa_kernel _ZN7rocprim17ROCPRIM_400000_NS6detail17trampoline_kernelINS0_14default_configENS1_35radix_sort_onesweep_config_selectorIxxEEZNS1_34radix_sort_onesweep_global_offsetsIS3_Lb0EN6thrust23THRUST_200600_302600_NS6detail15normal_iteratorINS8_10device_ptrIxEEEESD_jNS0_19identity_decomposerEEE10hipError_tT1_T2_PT3_SI_jT4_jjP12ihipStream_tbEUlT_E0_NS1_11comp_targetILNS1_3genE9ELNS1_11target_archE1100ELNS1_3gpuE3ELNS1_3repE0EEENS1_52radix_sort_onesweep_histogram_config_static_selectorELNS0_4arch9wavefront6targetE1EEEvSG_
		.amdhsa_group_segment_fixed_size 0
		.amdhsa_private_segment_fixed_size 0
		.amdhsa_kernarg_size 8
		.amdhsa_user_sgpr_count 2
		.amdhsa_user_sgpr_dispatch_ptr 0
		.amdhsa_user_sgpr_queue_ptr 0
		.amdhsa_user_sgpr_kernarg_segment_ptr 1
		.amdhsa_user_sgpr_dispatch_id 0
		.amdhsa_user_sgpr_kernarg_preload_length 0
		.amdhsa_user_sgpr_kernarg_preload_offset 0
		.amdhsa_user_sgpr_private_segment_size 0
		.amdhsa_uses_dynamic_stack 0
		.amdhsa_enable_private_segment 0
		.amdhsa_system_sgpr_workgroup_id_x 1
		.amdhsa_system_sgpr_workgroup_id_y 0
		.amdhsa_system_sgpr_workgroup_id_z 0
		.amdhsa_system_sgpr_workgroup_info 0
		.amdhsa_system_vgpr_workitem_id 0
		.amdhsa_next_free_vgpr 1
		.amdhsa_next_free_sgpr 0
		.amdhsa_accum_offset 4
		.amdhsa_reserve_vcc 0
		.amdhsa_float_round_mode_32 0
		.amdhsa_float_round_mode_16_64 0
		.amdhsa_float_denorm_mode_32 3
		.amdhsa_float_denorm_mode_16_64 3
		.amdhsa_dx10_clamp 1
		.amdhsa_ieee_mode 1
		.amdhsa_fp16_overflow 0
		.amdhsa_tg_split 0
		.amdhsa_exception_fp_ieee_invalid_op 0
		.amdhsa_exception_fp_denorm_src 0
		.amdhsa_exception_fp_ieee_div_zero 0
		.amdhsa_exception_fp_ieee_overflow 0
		.amdhsa_exception_fp_ieee_underflow 0
		.amdhsa_exception_fp_ieee_inexact 0
		.amdhsa_exception_int_div_zero 0
	.end_amdhsa_kernel
	.section	.text._ZN7rocprim17ROCPRIM_400000_NS6detail17trampoline_kernelINS0_14default_configENS1_35radix_sort_onesweep_config_selectorIxxEEZNS1_34radix_sort_onesweep_global_offsetsIS3_Lb0EN6thrust23THRUST_200600_302600_NS6detail15normal_iteratorINS8_10device_ptrIxEEEESD_jNS0_19identity_decomposerEEE10hipError_tT1_T2_PT3_SI_jT4_jjP12ihipStream_tbEUlT_E0_NS1_11comp_targetILNS1_3genE9ELNS1_11target_archE1100ELNS1_3gpuE3ELNS1_3repE0EEENS1_52radix_sort_onesweep_histogram_config_static_selectorELNS0_4arch9wavefront6targetE1EEEvSG_,"axG",@progbits,_ZN7rocprim17ROCPRIM_400000_NS6detail17trampoline_kernelINS0_14default_configENS1_35radix_sort_onesweep_config_selectorIxxEEZNS1_34radix_sort_onesweep_global_offsetsIS3_Lb0EN6thrust23THRUST_200600_302600_NS6detail15normal_iteratorINS8_10device_ptrIxEEEESD_jNS0_19identity_decomposerEEE10hipError_tT1_T2_PT3_SI_jT4_jjP12ihipStream_tbEUlT_E0_NS1_11comp_targetILNS1_3genE9ELNS1_11target_archE1100ELNS1_3gpuE3ELNS1_3repE0EEENS1_52radix_sort_onesweep_histogram_config_static_selectorELNS0_4arch9wavefront6targetE1EEEvSG_,comdat
.Lfunc_end1186:
	.size	_ZN7rocprim17ROCPRIM_400000_NS6detail17trampoline_kernelINS0_14default_configENS1_35radix_sort_onesweep_config_selectorIxxEEZNS1_34radix_sort_onesweep_global_offsetsIS3_Lb0EN6thrust23THRUST_200600_302600_NS6detail15normal_iteratorINS8_10device_ptrIxEEEESD_jNS0_19identity_decomposerEEE10hipError_tT1_T2_PT3_SI_jT4_jjP12ihipStream_tbEUlT_E0_NS1_11comp_targetILNS1_3genE9ELNS1_11target_archE1100ELNS1_3gpuE3ELNS1_3repE0EEENS1_52radix_sort_onesweep_histogram_config_static_selectorELNS0_4arch9wavefront6targetE1EEEvSG_, .Lfunc_end1186-_ZN7rocprim17ROCPRIM_400000_NS6detail17trampoline_kernelINS0_14default_configENS1_35radix_sort_onesweep_config_selectorIxxEEZNS1_34radix_sort_onesweep_global_offsetsIS3_Lb0EN6thrust23THRUST_200600_302600_NS6detail15normal_iteratorINS8_10device_ptrIxEEEESD_jNS0_19identity_decomposerEEE10hipError_tT1_T2_PT3_SI_jT4_jjP12ihipStream_tbEUlT_E0_NS1_11comp_targetILNS1_3genE9ELNS1_11target_archE1100ELNS1_3gpuE3ELNS1_3repE0EEENS1_52radix_sort_onesweep_histogram_config_static_selectorELNS0_4arch9wavefront6targetE1EEEvSG_
                                        ; -- End function
	.set _ZN7rocprim17ROCPRIM_400000_NS6detail17trampoline_kernelINS0_14default_configENS1_35radix_sort_onesweep_config_selectorIxxEEZNS1_34radix_sort_onesweep_global_offsetsIS3_Lb0EN6thrust23THRUST_200600_302600_NS6detail15normal_iteratorINS8_10device_ptrIxEEEESD_jNS0_19identity_decomposerEEE10hipError_tT1_T2_PT3_SI_jT4_jjP12ihipStream_tbEUlT_E0_NS1_11comp_targetILNS1_3genE9ELNS1_11target_archE1100ELNS1_3gpuE3ELNS1_3repE0EEENS1_52radix_sort_onesweep_histogram_config_static_selectorELNS0_4arch9wavefront6targetE1EEEvSG_.num_vgpr, 0
	.set _ZN7rocprim17ROCPRIM_400000_NS6detail17trampoline_kernelINS0_14default_configENS1_35radix_sort_onesweep_config_selectorIxxEEZNS1_34radix_sort_onesweep_global_offsetsIS3_Lb0EN6thrust23THRUST_200600_302600_NS6detail15normal_iteratorINS8_10device_ptrIxEEEESD_jNS0_19identity_decomposerEEE10hipError_tT1_T2_PT3_SI_jT4_jjP12ihipStream_tbEUlT_E0_NS1_11comp_targetILNS1_3genE9ELNS1_11target_archE1100ELNS1_3gpuE3ELNS1_3repE0EEENS1_52radix_sort_onesweep_histogram_config_static_selectorELNS0_4arch9wavefront6targetE1EEEvSG_.num_agpr, 0
	.set _ZN7rocprim17ROCPRIM_400000_NS6detail17trampoline_kernelINS0_14default_configENS1_35radix_sort_onesweep_config_selectorIxxEEZNS1_34radix_sort_onesweep_global_offsetsIS3_Lb0EN6thrust23THRUST_200600_302600_NS6detail15normal_iteratorINS8_10device_ptrIxEEEESD_jNS0_19identity_decomposerEEE10hipError_tT1_T2_PT3_SI_jT4_jjP12ihipStream_tbEUlT_E0_NS1_11comp_targetILNS1_3genE9ELNS1_11target_archE1100ELNS1_3gpuE3ELNS1_3repE0EEENS1_52radix_sort_onesweep_histogram_config_static_selectorELNS0_4arch9wavefront6targetE1EEEvSG_.numbered_sgpr, 0
	.set _ZN7rocprim17ROCPRIM_400000_NS6detail17trampoline_kernelINS0_14default_configENS1_35radix_sort_onesweep_config_selectorIxxEEZNS1_34radix_sort_onesweep_global_offsetsIS3_Lb0EN6thrust23THRUST_200600_302600_NS6detail15normal_iteratorINS8_10device_ptrIxEEEESD_jNS0_19identity_decomposerEEE10hipError_tT1_T2_PT3_SI_jT4_jjP12ihipStream_tbEUlT_E0_NS1_11comp_targetILNS1_3genE9ELNS1_11target_archE1100ELNS1_3gpuE3ELNS1_3repE0EEENS1_52radix_sort_onesweep_histogram_config_static_selectorELNS0_4arch9wavefront6targetE1EEEvSG_.num_named_barrier, 0
	.set _ZN7rocprim17ROCPRIM_400000_NS6detail17trampoline_kernelINS0_14default_configENS1_35radix_sort_onesweep_config_selectorIxxEEZNS1_34radix_sort_onesweep_global_offsetsIS3_Lb0EN6thrust23THRUST_200600_302600_NS6detail15normal_iteratorINS8_10device_ptrIxEEEESD_jNS0_19identity_decomposerEEE10hipError_tT1_T2_PT3_SI_jT4_jjP12ihipStream_tbEUlT_E0_NS1_11comp_targetILNS1_3genE9ELNS1_11target_archE1100ELNS1_3gpuE3ELNS1_3repE0EEENS1_52radix_sort_onesweep_histogram_config_static_selectorELNS0_4arch9wavefront6targetE1EEEvSG_.private_seg_size, 0
	.set _ZN7rocprim17ROCPRIM_400000_NS6detail17trampoline_kernelINS0_14default_configENS1_35radix_sort_onesweep_config_selectorIxxEEZNS1_34radix_sort_onesweep_global_offsetsIS3_Lb0EN6thrust23THRUST_200600_302600_NS6detail15normal_iteratorINS8_10device_ptrIxEEEESD_jNS0_19identity_decomposerEEE10hipError_tT1_T2_PT3_SI_jT4_jjP12ihipStream_tbEUlT_E0_NS1_11comp_targetILNS1_3genE9ELNS1_11target_archE1100ELNS1_3gpuE3ELNS1_3repE0EEENS1_52radix_sort_onesweep_histogram_config_static_selectorELNS0_4arch9wavefront6targetE1EEEvSG_.uses_vcc, 0
	.set _ZN7rocprim17ROCPRIM_400000_NS6detail17trampoline_kernelINS0_14default_configENS1_35radix_sort_onesweep_config_selectorIxxEEZNS1_34radix_sort_onesweep_global_offsetsIS3_Lb0EN6thrust23THRUST_200600_302600_NS6detail15normal_iteratorINS8_10device_ptrIxEEEESD_jNS0_19identity_decomposerEEE10hipError_tT1_T2_PT3_SI_jT4_jjP12ihipStream_tbEUlT_E0_NS1_11comp_targetILNS1_3genE9ELNS1_11target_archE1100ELNS1_3gpuE3ELNS1_3repE0EEENS1_52radix_sort_onesweep_histogram_config_static_selectorELNS0_4arch9wavefront6targetE1EEEvSG_.uses_flat_scratch, 0
	.set _ZN7rocprim17ROCPRIM_400000_NS6detail17trampoline_kernelINS0_14default_configENS1_35radix_sort_onesweep_config_selectorIxxEEZNS1_34radix_sort_onesweep_global_offsetsIS3_Lb0EN6thrust23THRUST_200600_302600_NS6detail15normal_iteratorINS8_10device_ptrIxEEEESD_jNS0_19identity_decomposerEEE10hipError_tT1_T2_PT3_SI_jT4_jjP12ihipStream_tbEUlT_E0_NS1_11comp_targetILNS1_3genE9ELNS1_11target_archE1100ELNS1_3gpuE3ELNS1_3repE0EEENS1_52radix_sort_onesweep_histogram_config_static_selectorELNS0_4arch9wavefront6targetE1EEEvSG_.has_dyn_sized_stack, 0
	.set _ZN7rocprim17ROCPRIM_400000_NS6detail17trampoline_kernelINS0_14default_configENS1_35radix_sort_onesweep_config_selectorIxxEEZNS1_34radix_sort_onesweep_global_offsetsIS3_Lb0EN6thrust23THRUST_200600_302600_NS6detail15normal_iteratorINS8_10device_ptrIxEEEESD_jNS0_19identity_decomposerEEE10hipError_tT1_T2_PT3_SI_jT4_jjP12ihipStream_tbEUlT_E0_NS1_11comp_targetILNS1_3genE9ELNS1_11target_archE1100ELNS1_3gpuE3ELNS1_3repE0EEENS1_52radix_sort_onesweep_histogram_config_static_selectorELNS0_4arch9wavefront6targetE1EEEvSG_.has_recursion, 0
	.set _ZN7rocprim17ROCPRIM_400000_NS6detail17trampoline_kernelINS0_14default_configENS1_35radix_sort_onesweep_config_selectorIxxEEZNS1_34radix_sort_onesweep_global_offsetsIS3_Lb0EN6thrust23THRUST_200600_302600_NS6detail15normal_iteratorINS8_10device_ptrIxEEEESD_jNS0_19identity_decomposerEEE10hipError_tT1_T2_PT3_SI_jT4_jjP12ihipStream_tbEUlT_E0_NS1_11comp_targetILNS1_3genE9ELNS1_11target_archE1100ELNS1_3gpuE3ELNS1_3repE0EEENS1_52radix_sort_onesweep_histogram_config_static_selectorELNS0_4arch9wavefront6targetE1EEEvSG_.has_indirect_call, 0
	.section	.AMDGPU.csdata,"",@progbits
; Kernel info:
; codeLenInByte = 0
; TotalNumSgprs: 6
; NumVgprs: 0
; NumAgprs: 0
; TotalNumVgprs: 0
; ScratchSize: 0
; MemoryBound: 0
; FloatMode: 240
; IeeeMode: 1
; LDSByteSize: 0 bytes/workgroup (compile time only)
; SGPRBlocks: 0
; VGPRBlocks: 0
; NumSGPRsForWavesPerEU: 6
; NumVGPRsForWavesPerEU: 1
; AccumOffset: 4
; Occupancy: 8
; WaveLimiterHint : 0
; COMPUTE_PGM_RSRC2:SCRATCH_EN: 0
; COMPUTE_PGM_RSRC2:USER_SGPR: 2
; COMPUTE_PGM_RSRC2:TRAP_HANDLER: 0
; COMPUTE_PGM_RSRC2:TGID_X_EN: 1
; COMPUTE_PGM_RSRC2:TGID_Y_EN: 0
; COMPUTE_PGM_RSRC2:TGID_Z_EN: 0
; COMPUTE_PGM_RSRC2:TIDIG_COMP_CNT: 0
; COMPUTE_PGM_RSRC3_GFX90A:ACCUM_OFFSET: 0
; COMPUTE_PGM_RSRC3_GFX90A:TG_SPLIT: 0
	.section	.text._ZN7rocprim17ROCPRIM_400000_NS6detail17trampoline_kernelINS0_14default_configENS1_35radix_sort_onesweep_config_selectorIxxEEZNS1_34radix_sort_onesweep_global_offsetsIS3_Lb0EN6thrust23THRUST_200600_302600_NS6detail15normal_iteratorINS8_10device_ptrIxEEEESD_jNS0_19identity_decomposerEEE10hipError_tT1_T2_PT3_SI_jT4_jjP12ihipStream_tbEUlT_E0_NS1_11comp_targetILNS1_3genE8ELNS1_11target_archE1030ELNS1_3gpuE2ELNS1_3repE0EEENS1_52radix_sort_onesweep_histogram_config_static_selectorELNS0_4arch9wavefront6targetE1EEEvSG_,"axG",@progbits,_ZN7rocprim17ROCPRIM_400000_NS6detail17trampoline_kernelINS0_14default_configENS1_35radix_sort_onesweep_config_selectorIxxEEZNS1_34radix_sort_onesweep_global_offsetsIS3_Lb0EN6thrust23THRUST_200600_302600_NS6detail15normal_iteratorINS8_10device_ptrIxEEEESD_jNS0_19identity_decomposerEEE10hipError_tT1_T2_PT3_SI_jT4_jjP12ihipStream_tbEUlT_E0_NS1_11comp_targetILNS1_3genE8ELNS1_11target_archE1030ELNS1_3gpuE2ELNS1_3repE0EEENS1_52radix_sort_onesweep_histogram_config_static_selectorELNS0_4arch9wavefront6targetE1EEEvSG_,comdat
	.protected	_ZN7rocprim17ROCPRIM_400000_NS6detail17trampoline_kernelINS0_14default_configENS1_35radix_sort_onesweep_config_selectorIxxEEZNS1_34radix_sort_onesweep_global_offsetsIS3_Lb0EN6thrust23THRUST_200600_302600_NS6detail15normal_iteratorINS8_10device_ptrIxEEEESD_jNS0_19identity_decomposerEEE10hipError_tT1_T2_PT3_SI_jT4_jjP12ihipStream_tbEUlT_E0_NS1_11comp_targetILNS1_3genE8ELNS1_11target_archE1030ELNS1_3gpuE2ELNS1_3repE0EEENS1_52radix_sort_onesweep_histogram_config_static_selectorELNS0_4arch9wavefront6targetE1EEEvSG_ ; -- Begin function _ZN7rocprim17ROCPRIM_400000_NS6detail17trampoline_kernelINS0_14default_configENS1_35radix_sort_onesweep_config_selectorIxxEEZNS1_34radix_sort_onesweep_global_offsetsIS3_Lb0EN6thrust23THRUST_200600_302600_NS6detail15normal_iteratorINS8_10device_ptrIxEEEESD_jNS0_19identity_decomposerEEE10hipError_tT1_T2_PT3_SI_jT4_jjP12ihipStream_tbEUlT_E0_NS1_11comp_targetILNS1_3genE8ELNS1_11target_archE1030ELNS1_3gpuE2ELNS1_3repE0EEENS1_52radix_sort_onesweep_histogram_config_static_selectorELNS0_4arch9wavefront6targetE1EEEvSG_
	.globl	_ZN7rocprim17ROCPRIM_400000_NS6detail17trampoline_kernelINS0_14default_configENS1_35radix_sort_onesweep_config_selectorIxxEEZNS1_34radix_sort_onesweep_global_offsetsIS3_Lb0EN6thrust23THRUST_200600_302600_NS6detail15normal_iteratorINS8_10device_ptrIxEEEESD_jNS0_19identity_decomposerEEE10hipError_tT1_T2_PT3_SI_jT4_jjP12ihipStream_tbEUlT_E0_NS1_11comp_targetILNS1_3genE8ELNS1_11target_archE1030ELNS1_3gpuE2ELNS1_3repE0EEENS1_52radix_sort_onesweep_histogram_config_static_selectorELNS0_4arch9wavefront6targetE1EEEvSG_
	.p2align	8
	.type	_ZN7rocprim17ROCPRIM_400000_NS6detail17trampoline_kernelINS0_14default_configENS1_35radix_sort_onesweep_config_selectorIxxEEZNS1_34radix_sort_onesweep_global_offsetsIS3_Lb0EN6thrust23THRUST_200600_302600_NS6detail15normal_iteratorINS8_10device_ptrIxEEEESD_jNS0_19identity_decomposerEEE10hipError_tT1_T2_PT3_SI_jT4_jjP12ihipStream_tbEUlT_E0_NS1_11comp_targetILNS1_3genE8ELNS1_11target_archE1030ELNS1_3gpuE2ELNS1_3repE0EEENS1_52radix_sort_onesweep_histogram_config_static_selectorELNS0_4arch9wavefront6targetE1EEEvSG_,@function
_ZN7rocprim17ROCPRIM_400000_NS6detail17trampoline_kernelINS0_14default_configENS1_35radix_sort_onesweep_config_selectorIxxEEZNS1_34radix_sort_onesweep_global_offsetsIS3_Lb0EN6thrust23THRUST_200600_302600_NS6detail15normal_iteratorINS8_10device_ptrIxEEEESD_jNS0_19identity_decomposerEEE10hipError_tT1_T2_PT3_SI_jT4_jjP12ihipStream_tbEUlT_E0_NS1_11comp_targetILNS1_3genE8ELNS1_11target_archE1030ELNS1_3gpuE2ELNS1_3repE0EEENS1_52radix_sort_onesweep_histogram_config_static_selectorELNS0_4arch9wavefront6targetE1EEEvSG_: ; @_ZN7rocprim17ROCPRIM_400000_NS6detail17trampoline_kernelINS0_14default_configENS1_35radix_sort_onesweep_config_selectorIxxEEZNS1_34radix_sort_onesweep_global_offsetsIS3_Lb0EN6thrust23THRUST_200600_302600_NS6detail15normal_iteratorINS8_10device_ptrIxEEEESD_jNS0_19identity_decomposerEEE10hipError_tT1_T2_PT3_SI_jT4_jjP12ihipStream_tbEUlT_E0_NS1_11comp_targetILNS1_3genE8ELNS1_11target_archE1030ELNS1_3gpuE2ELNS1_3repE0EEENS1_52radix_sort_onesweep_histogram_config_static_selectorELNS0_4arch9wavefront6targetE1EEEvSG_
; %bb.0:
	.section	.rodata,"a",@progbits
	.p2align	6, 0x0
	.amdhsa_kernel _ZN7rocprim17ROCPRIM_400000_NS6detail17trampoline_kernelINS0_14default_configENS1_35radix_sort_onesweep_config_selectorIxxEEZNS1_34radix_sort_onesweep_global_offsetsIS3_Lb0EN6thrust23THRUST_200600_302600_NS6detail15normal_iteratorINS8_10device_ptrIxEEEESD_jNS0_19identity_decomposerEEE10hipError_tT1_T2_PT3_SI_jT4_jjP12ihipStream_tbEUlT_E0_NS1_11comp_targetILNS1_3genE8ELNS1_11target_archE1030ELNS1_3gpuE2ELNS1_3repE0EEENS1_52radix_sort_onesweep_histogram_config_static_selectorELNS0_4arch9wavefront6targetE1EEEvSG_
		.amdhsa_group_segment_fixed_size 0
		.amdhsa_private_segment_fixed_size 0
		.amdhsa_kernarg_size 8
		.amdhsa_user_sgpr_count 2
		.amdhsa_user_sgpr_dispatch_ptr 0
		.amdhsa_user_sgpr_queue_ptr 0
		.amdhsa_user_sgpr_kernarg_segment_ptr 1
		.amdhsa_user_sgpr_dispatch_id 0
		.amdhsa_user_sgpr_kernarg_preload_length 0
		.amdhsa_user_sgpr_kernarg_preload_offset 0
		.amdhsa_user_sgpr_private_segment_size 0
		.amdhsa_uses_dynamic_stack 0
		.amdhsa_enable_private_segment 0
		.amdhsa_system_sgpr_workgroup_id_x 1
		.amdhsa_system_sgpr_workgroup_id_y 0
		.amdhsa_system_sgpr_workgroup_id_z 0
		.amdhsa_system_sgpr_workgroup_info 0
		.amdhsa_system_vgpr_workitem_id 0
		.amdhsa_next_free_vgpr 1
		.amdhsa_next_free_sgpr 0
		.amdhsa_accum_offset 4
		.amdhsa_reserve_vcc 0
		.amdhsa_float_round_mode_32 0
		.amdhsa_float_round_mode_16_64 0
		.amdhsa_float_denorm_mode_32 3
		.amdhsa_float_denorm_mode_16_64 3
		.amdhsa_dx10_clamp 1
		.amdhsa_ieee_mode 1
		.amdhsa_fp16_overflow 0
		.amdhsa_tg_split 0
		.amdhsa_exception_fp_ieee_invalid_op 0
		.amdhsa_exception_fp_denorm_src 0
		.amdhsa_exception_fp_ieee_div_zero 0
		.amdhsa_exception_fp_ieee_overflow 0
		.amdhsa_exception_fp_ieee_underflow 0
		.amdhsa_exception_fp_ieee_inexact 0
		.amdhsa_exception_int_div_zero 0
	.end_amdhsa_kernel
	.section	.text._ZN7rocprim17ROCPRIM_400000_NS6detail17trampoline_kernelINS0_14default_configENS1_35radix_sort_onesweep_config_selectorIxxEEZNS1_34radix_sort_onesweep_global_offsetsIS3_Lb0EN6thrust23THRUST_200600_302600_NS6detail15normal_iteratorINS8_10device_ptrIxEEEESD_jNS0_19identity_decomposerEEE10hipError_tT1_T2_PT3_SI_jT4_jjP12ihipStream_tbEUlT_E0_NS1_11comp_targetILNS1_3genE8ELNS1_11target_archE1030ELNS1_3gpuE2ELNS1_3repE0EEENS1_52radix_sort_onesweep_histogram_config_static_selectorELNS0_4arch9wavefront6targetE1EEEvSG_,"axG",@progbits,_ZN7rocprim17ROCPRIM_400000_NS6detail17trampoline_kernelINS0_14default_configENS1_35radix_sort_onesweep_config_selectorIxxEEZNS1_34radix_sort_onesweep_global_offsetsIS3_Lb0EN6thrust23THRUST_200600_302600_NS6detail15normal_iteratorINS8_10device_ptrIxEEEESD_jNS0_19identity_decomposerEEE10hipError_tT1_T2_PT3_SI_jT4_jjP12ihipStream_tbEUlT_E0_NS1_11comp_targetILNS1_3genE8ELNS1_11target_archE1030ELNS1_3gpuE2ELNS1_3repE0EEENS1_52radix_sort_onesweep_histogram_config_static_selectorELNS0_4arch9wavefront6targetE1EEEvSG_,comdat
.Lfunc_end1187:
	.size	_ZN7rocprim17ROCPRIM_400000_NS6detail17trampoline_kernelINS0_14default_configENS1_35radix_sort_onesweep_config_selectorIxxEEZNS1_34radix_sort_onesweep_global_offsetsIS3_Lb0EN6thrust23THRUST_200600_302600_NS6detail15normal_iteratorINS8_10device_ptrIxEEEESD_jNS0_19identity_decomposerEEE10hipError_tT1_T2_PT3_SI_jT4_jjP12ihipStream_tbEUlT_E0_NS1_11comp_targetILNS1_3genE8ELNS1_11target_archE1030ELNS1_3gpuE2ELNS1_3repE0EEENS1_52radix_sort_onesweep_histogram_config_static_selectorELNS0_4arch9wavefront6targetE1EEEvSG_, .Lfunc_end1187-_ZN7rocprim17ROCPRIM_400000_NS6detail17trampoline_kernelINS0_14default_configENS1_35radix_sort_onesweep_config_selectorIxxEEZNS1_34radix_sort_onesweep_global_offsetsIS3_Lb0EN6thrust23THRUST_200600_302600_NS6detail15normal_iteratorINS8_10device_ptrIxEEEESD_jNS0_19identity_decomposerEEE10hipError_tT1_T2_PT3_SI_jT4_jjP12ihipStream_tbEUlT_E0_NS1_11comp_targetILNS1_3genE8ELNS1_11target_archE1030ELNS1_3gpuE2ELNS1_3repE0EEENS1_52radix_sort_onesweep_histogram_config_static_selectorELNS0_4arch9wavefront6targetE1EEEvSG_
                                        ; -- End function
	.set _ZN7rocprim17ROCPRIM_400000_NS6detail17trampoline_kernelINS0_14default_configENS1_35radix_sort_onesweep_config_selectorIxxEEZNS1_34radix_sort_onesweep_global_offsetsIS3_Lb0EN6thrust23THRUST_200600_302600_NS6detail15normal_iteratorINS8_10device_ptrIxEEEESD_jNS0_19identity_decomposerEEE10hipError_tT1_T2_PT3_SI_jT4_jjP12ihipStream_tbEUlT_E0_NS1_11comp_targetILNS1_3genE8ELNS1_11target_archE1030ELNS1_3gpuE2ELNS1_3repE0EEENS1_52radix_sort_onesweep_histogram_config_static_selectorELNS0_4arch9wavefront6targetE1EEEvSG_.num_vgpr, 0
	.set _ZN7rocprim17ROCPRIM_400000_NS6detail17trampoline_kernelINS0_14default_configENS1_35radix_sort_onesweep_config_selectorIxxEEZNS1_34radix_sort_onesweep_global_offsetsIS3_Lb0EN6thrust23THRUST_200600_302600_NS6detail15normal_iteratorINS8_10device_ptrIxEEEESD_jNS0_19identity_decomposerEEE10hipError_tT1_T2_PT3_SI_jT4_jjP12ihipStream_tbEUlT_E0_NS1_11comp_targetILNS1_3genE8ELNS1_11target_archE1030ELNS1_3gpuE2ELNS1_3repE0EEENS1_52radix_sort_onesweep_histogram_config_static_selectorELNS0_4arch9wavefront6targetE1EEEvSG_.num_agpr, 0
	.set _ZN7rocprim17ROCPRIM_400000_NS6detail17trampoline_kernelINS0_14default_configENS1_35radix_sort_onesweep_config_selectorIxxEEZNS1_34radix_sort_onesweep_global_offsetsIS3_Lb0EN6thrust23THRUST_200600_302600_NS6detail15normal_iteratorINS8_10device_ptrIxEEEESD_jNS0_19identity_decomposerEEE10hipError_tT1_T2_PT3_SI_jT4_jjP12ihipStream_tbEUlT_E0_NS1_11comp_targetILNS1_3genE8ELNS1_11target_archE1030ELNS1_3gpuE2ELNS1_3repE0EEENS1_52radix_sort_onesweep_histogram_config_static_selectorELNS0_4arch9wavefront6targetE1EEEvSG_.numbered_sgpr, 0
	.set _ZN7rocprim17ROCPRIM_400000_NS6detail17trampoline_kernelINS0_14default_configENS1_35radix_sort_onesweep_config_selectorIxxEEZNS1_34radix_sort_onesweep_global_offsetsIS3_Lb0EN6thrust23THRUST_200600_302600_NS6detail15normal_iteratorINS8_10device_ptrIxEEEESD_jNS0_19identity_decomposerEEE10hipError_tT1_T2_PT3_SI_jT4_jjP12ihipStream_tbEUlT_E0_NS1_11comp_targetILNS1_3genE8ELNS1_11target_archE1030ELNS1_3gpuE2ELNS1_3repE0EEENS1_52radix_sort_onesweep_histogram_config_static_selectorELNS0_4arch9wavefront6targetE1EEEvSG_.num_named_barrier, 0
	.set _ZN7rocprim17ROCPRIM_400000_NS6detail17trampoline_kernelINS0_14default_configENS1_35radix_sort_onesweep_config_selectorIxxEEZNS1_34radix_sort_onesweep_global_offsetsIS3_Lb0EN6thrust23THRUST_200600_302600_NS6detail15normal_iteratorINS8_10device_ptrIxEEEESD_jNS0_19identity_decomposerEEE10hipError_tT1_T2_PT3_SI_jT4_jjP12ihipStream_tbEUlT_E0_NS1_11comp_targetILNS1_3genE8ELNS1_11target_archE1030ELNS1_3gpuE2ELNS1_3repE0EEENS1_52radix_sort_onesweep_histogram_config_static_selectorELNS0_4arch9wavefront6targetE1EEEvSG_.private_seg_size, 0
	.set _ZN7rocprim17ROCPRIM_400000_NS6detail17trampoline_kernelINS0_14default_configENS1_35radix_sort_onesweep_config_selectorIxxEEZNS1_34radix_sort_onesweep_global_offsetsIS3_Lb0EN6thrust23THRUST_200600_302600_NS6detail15normal_iteratorINS8_10device_ptrIxEEEESD_jNS0_19identity_decomposerEEE10hipError_tT1_T2_PT3_SI_jT4_jjP12ihipStream_tbEUlT_E0_NS1_11comp_targetILNS1_3genE8ELNS1_11target_archE1030ELNS1_3gpuE2ELNS1_3repE0EEENS1_52radix_sort_onesweep_histogram_config_static_selectorELNS0_4arch9wavefront6targetE1EEEvSG_.uses_vcc, 0
	.set _ZN7rocprim17ROCPRIM_400000_NS6detail17trampoline_kernelINS0_14default_configENS1_35radix_sort_onesweep_config_selectorIxxEEZNS1_34radix_sort_onesweep_global_offsetsIS3_Lb0EN6thrust23THRUST_200600_302600_NS6detail15normal_iteratorINS8_10device_ptrIxEEEESD_jNS0_19identity_decomposerEEE10hipError_tT1_T2_PT3_SI_jT4_jjP12ihipStream_tbEUlT_E0_NS1_11comp_targetILNS1_3genE8ELNS1_11target_archE1030ELNS1_3gpuE2ELNS1_3repE0EEENS1_52radix_sort_onesweep_histogram_config_static_selectorELNS0_4arch9wavefront6targetE1EEEvSG_.uses_flat_scratch, 0
	.set _ZN7rocprim17ROCPRIM_400000_NS6detail17trampoline_kernelINS0_14default_configENS1_35radix_sort_onesweep_config_selectorIxxEEZNS1_34radix_sort_onesweep_global_offsetsIS3_Lb0EN6thrust23THRUST_200600_302600_NS6detail15normal_iteratorINS8_10device_ptrIxEEEESD_jNS0_19identity_decomposerEEE10hipError_tT1_T2_PT3_SI_jT4_jjP12ihipStream_tbEUlT_E0_NS1_11comp_targetILNS1_3genE8ELNS1_11target_archE1030ELNS1_3gpuE2ELNS1_3repE0EEENS1_52radix_sort_onesweep_histogram_config_static_selectorELNS0_4arch9wavefront6targetE1EEEvSG_.has_dyn_sized_stack, 0
	.set _ZN7rocprim17ROCPRIM_400000_NS6detail17trampoline_kernelINS0_14default_configENS1_35radix_sort_onesweep_config_selectorIxxEEZNS1_34radix_sort_onesweep_global_offsetsIS3_Lb0EN6thrust23THRUST_200600_302600_NS6detail15normal_iteratorINS8_10device_ptrIxEEEESD_jNS0_19identity_decomposerEEE10hipError_tT1_T2_PT3_SI_jT4_jjP12ihipStream_tbEUlT_E0_NS1_11comp_targetILNS1_3genE8ELNS1_11target_archE1030ELNS1_3gpuE2ELNS1_3repE0EEENS1_52radix_sort_onesweep_histogram_config_static_selectorELNS0_4arch9wavefront6targetE1EEEvSG_.has_recursion, 0
	.set _ZN7rocprim17ROCPRIM_400000_NS6detail17trampoline_kernelINS0_14default_configENS1_35radix_sort_onesweep_config_selectorIxxEEZNS1_34radix_sort_onesweep_global_offsetsIS3_Lb0EN6thrust23THRUST_200600_302600_NS6detail15normal_iteratorINS8_10device_ptrIxEEEESD_jNS0_19identity_decomposerEEE10hipError_tT1_T2_PT3_SI_jT4_jjP12ihipStream_tbEUlT_E0_NS1_11comp_targetILNS1_3genE8ELNS1_11target_archE1030ELNS1_3gpuE2ELNS1_3repE0EEENS1_52radix_sort_onesweep_histogram_config_static_selectorELNS0_4arch9wavefront6targetE1EEEvSG_.has_indirect_call, 0
	.section	.AMDGPU.csdata,"",@progbits
; Kernel info:
; codeLenInByte = 0
; TotalNumSgprs: 6
; NumVgprs: 0
; NumAgprs: 0
; TotalNumVgprs: 0
; ScratchSize: 0
; MemoryBound: 0
; FloatMode: 240
; IeeeMode: 1
; LDSByteSize: 0 bytes/workgroup (compile time only)
; SGPRBlocks: 0
; VGPRBlocks: 0
; NumSGPRsForWavesPerEU: 6
; NumVGPRsForWavesPerEU: 1
; AccumOffset: 4
; Occupancy: 8
; WaveLimiterHint : 0
; COMPUTE_PGM_RSRC2:SCRATCH_EN: 0
; COMPUTE_PGM_RSRC2:USER_SGPR: 2
; COMPUTE_PGM_RSRC2:TRAP_HANDLER: 0
; COMPUTE_PGM_RSRC2:TGID_X_EN: 1
; COMPUTE_PGM_RSRC2:TGID_Y_EN: 0
; COMPUTE_PGM_RSRC2:TGID_Z_EN: 0
; COMPUTE_PGM_RSRC2:TIDIG_COMP_CNT: 0
; COMPUTE_PGM_RSRC3_GFX90A:ACCUM_OFFSET: 0
; COMPUTE_PGM_RSRC3_GFX90A:TG_SPLIT: 0
	.section	.text._ZN7rocprim17ROCPRIM_400000_NS6detail17trampoline_kernelINS0_14default_configENS1_25transform_config_selectorIxLb0EEEZNS1_14transform_implILb0ES3_S5_N6thrust23THRUST_200600_302600_NS6detail15normal_iteratorINS8_10device_ptrIxEEEEPxNS0_8identityIxEEEE10hipError_tT2_T3_mT4_P12ihipStream_tbEUlT_E_NS1_11comp_targetILNS1_3genE0ELNS1_11target_archE4294967295ELNS1_3gpuE0ELNS1_3repE0EEENS1_30default_config_static_selectorELNS0_4arch9wavefront6targetE1EEEvT1_,"axG",@progbits,_ZN7rocprim17ROCPRIM_400000_NS6detail17trampoline_kernelINS0_14default_configENS1_25transform_config_selectorIxLb0EEEZNS1_14transform_implILb0ES3_S5_N6thrust23THRUST_200600_302600_NS6detail15normal_iteratorINS8_10device_ptrIxEEEEPxNS0_8identityIxEEEE10hipError_tT2_T3_mT4_P12ihipStream_tbEUlT_E_NS1_11comp_targetILNS1_3genE0ELNS1_11target_archE4294967295ELNS1_3gpuE0ELNS1_3repE0EEENS1_30default_config_static_selectorELNS0_4arch9wavefront6targetE1EEEvT1_,comdat
	.protected	_ZN7rocprim17ROCPRIM_400000_NS6detail17trampoline_kernelINS0_14default_configENS1_25transform_config_selectorIxLb0EEEZNS1_14transform_implILb0ES3_S5_N6thrust23THRUST_200600_302600_NS6detail15normal_iteratorINS8_10device_ptrIxEEEEPxNS0_8identityIxEEEE10hipError_tT2_T3_mT4_P12ihipStream_tbEUlT_E_NS1_11comp_targetILNS1_3genE0ELNS1_11target_archE4294967295ELNS1_3gpuE0ELNS1_3repE0EEENS1_30default_config_static_selectorELNS0_4arch9wavefront6targetE1EEEvT1_ ; -- Begin function _ZN7rocprim17ROCPRIM_400000_NS6detail17trampoline_kernelINS0_14default_configENS1_25transform_config_selectorIxLb0EEEZNS1_14transform_implILb0ES3_S5_N6thrust23THRUST_200600_302600_NS6detail15normal_iteratorINS8_10device_ptrIxEEEEPxNS0_8identityIxEEEE10hipError_tT2_T3_mT4_P12ihipStream_tbEUlT_E_NS1_11comp_targetILNS1_3genE0ELNS1_11target_archE4294967295ELNS1_3gpuE0ELNS1_3repE0EEENS1_30default_config_static_selectorELNS0_4arch9wavefront6targetE1EEEvT1_
	.globl	_ZN7rocprim17ROCPRIM_400000_NS6detail17trampoline_kernelINS0_14default_configENS1_25transform_config_selectorIxLb0EEEZNS1_14transform_implILb0ES3_S5_N6thrust23THRUST_200600_302600_NS6detail15normal_iteratorINS8_10device_ptrIxEEEEPxNS0_8identityIxEEEE10hipError_tT2_T3_mT4_P12ihipStream_tbEUlT_E_NS1_11comp_targetILNS1_3genE0ELNS1_11target_archE4294967295ELNS1_3gpuE0ELNS1_3repE0EEENS1_30default_config_static_selectorELNS0_4arch9wavefront6targetE1EEEvT1_
	.p2align	8
	.type	_ZN7rocprim17ROCPRIM_400000_NS6detail17trampoline_kernelINS0_14default_configENS1_25transform_config_selectorIxLb0EEEZNS1_14transform_implILb0ES3_S5_N6thrust23THRUST_200600_302600_NS6detail15normal_iteratorINS8_10device_ptrIxEEEEPxNS0_8identityIxEEEE10hipError_tT2_T3_mT4_P12ihipStream_tbEUlT_E_NS1_11comp_targetILNS1_3genE0ELNS1_11target_archE4294967295ELNS1_3gpuE0ELNS1_3repE0EEENS1_30default_config_static_selectorELNS0_4arch9wavefront6targetE1EEEvT1_,@function
_ZN7rocprim17ROCPRIM_400000_NS6detail17trampoline_kernelINS0_14default_configENS1_25transform_config_selectorIxLb0EEEZNS1_14transform_implILb0ES3_S5_N6thrust23THRUST_200600_302600_NS6detail15normal_iteratorINS8_10device_ptrIxEEEEPxNS0_8identityIxEEEE10hipError_tT2_T3_mT4_P12ihipStream_tbEUlT_E_NS1_11comp_targetILNS1_3genE0ELNS1_11target_archE4294967295ELNS1_3gpuE0ELNS1_3repE0EEENS1_30default_config_static_selectorELNS0_4arch9wavefront6targetE1EEEvT1_: ; @_ZN7rocprim17ROCPRIM_400000_NS6detail17trampoline_kernelINS0_14default_configENS1_25transform_config_selectorIxLb0EEEZNS1_14transform_implILb0ES3_S5_N6thrust23THRUST_200600_302600_NS6detail15normal_iteratorINS8_10device_ptrIxEEEEPxNS0_8identityIxEEEE10hipError_tT2_T3_mT4_P12ihipStream_tbEUlT_E_NS1_11comp_targetILNS1_3genE0ELNS1_11target_archE4294967295ELNS1_3gpuE0ELNS1_3repE0EEENS1_30default_config_static_selectorELNS0_4arch9wavefront6targetE1EEEvT1_
; %bb.0:
	s_load_dword s3, s[0:1], 0x28
	s_load_dword s5, s[0:1], 0x10
	s_lshl_b32 s4, s2, 7
	s_waitcnt lgkmcnt(0)
	s_add_i32 s3, s3, -1
	s_cmp_lg_u32 s2, s3
	s_cselect_b64 s[2:3], -1, 0
	s_sub_i32 s5, s5, s4
	v_cmp_gt_u32_e32 vcc, s5, v0
	s_or_b64 s[2:3], vcc, s[2:3]
	s_and_saveexec_b64 s[6:7], s[2:3]
	s_cbranch_execz .LBB1188_2
; %bb.1:
	s_load_dwordx4 s[8:11], s[0:1], 0x0
	s_load_dwordx2 s[2:3], s[0:1], 0x18
	s_mov_b32 s5, 0
	v_lshlrev_b32_e32 v0, 3, v0
	v_mov_b32_e32 v1, 0
	s_waitcnt lgkmcnt(0)
	s_lshl_b64 s[0:1], s[10:11], 3
	s_add_u32 s6, s8, s0
	s_addc_u32 s7, s9, s1
	s_lshl_b64 s[4:5], s[4:5], 3
	s_add_u32 s6, s6, s4
	s_addc_u32 s7, s7, s5
	v_lshl_add_u64 v[2:3], s[6:7], 0, v[0:1]
	flat_load_dwordx2 v[2:3], v[2:3]
	s_add_u32 s0, s2, s0
	s_addc_u32 s1, s3, s1
	s_add_u32 s0, s0, s4
	s_addc_u32 s1, s1, s5
	s_waitcnt vmcnt(0) lgkmcnt(0)
	global_store_dwordx2 v0, v[2:3], s[0:1]
.LBB1188_2:
	s_endpgm
	.section	.rodata,"a",@progbits
	.p2align	6, 0x0
	.amdhsa_kernel _ZN7rocprim17ROCPRIM_400000_NS6detail17trampoline_kernelINS0_14default_configENS1_25transform_config_selectorIxLb0EEEZNS1_14transform_implILb0ES3_S5_N6thrust23THRUST_200600_302600_NS6detail15normal_iteratorINS8_10device_ptrIxEEEEPxNS0_8identityIxEEEE10hipError_tT2_T3_mT4_P12ihipStream_tbEUlT_E_NS1_11comp_targetILNS1_3genE0ELNS1_11target_archE4294967295ELNS1_3gpuE0ELNS1_3repE0EEENS1_30default_config_static_selectorELNS0_4arch9wavefront6targetE1EEEvT1_
		.amdhsa_group_segment_fixed_size 0
		.amdhsa_private_segment_fixed_size 0
		.amdhsa_kernarg_size 296
		.amdhsa_user_sgpr_count 2
		.amdhsa_user_sgpr_dispatch_ptr 0
		.amdhsa_user_sgpr_queue_ptr 0
		.amdhsa_user_sgpr_kernarg_segment_ptr 1
		.amdhsa_user_sgpr_dispatch_id 0
		.amdhsa_user_sgpr_kernarg_preload_length 0
		.amdhsa_user_sgpr_kernarg_preload_offset 0
		.amdhsa_user_sgpr_private_segment_size 0
		.amdhsa_uses_dynamic_stack 0
		.amdhsa_enable_private_segment 0
		.amdhsa_system_sgpr_workgroup_id_x 1
		.amdhsa_system_sgpr_workgroup_id_y 0
		.amdhsa_system_sgpr_workgroup_id_z 0
		.amdhsa_system_sgpr_workgroup_info 0
		.amdhsa_system_vgpr_workitem_id 0
		.amdhsa_next_free_vgpr 4
		.amdhsa_next_free_sgpr 12
		.amdhsa_accum_offset 4
		.amdhsa_reserve_vcc 1
		.amdhsa_float_round_mode_32 0
		.amdhsa_float_round_mode_16_64 0
		.amdhsa_float_denorm_mode_32 3
		.amdhsa_float_denorm_mode_16_64 3
		.amdhsa_dx10_clamp 1
		.amdhsa_ieee_mode 1
		.amdhsa_fp16_overflow 0
		.amdhsa_tg_split 0
		.amdhsa_exception_fp_ieee_invalid_op 0
		.amdhsa_exception_fp_denorm_src 0
		.amdhsa_exception_fp_ieee_div_zero 0
		.amdhsa_exception_fp_ieee_overflow 0
		.amdhsa_exception_fp_ieee_underflow 0
		.amdhsa_exception_fp_ieee_inexact 0
		.amdhsa_exception_int_div_zero 0
	.end_amdhsa_kernel
	.section	.text._ZN7rocprim17ROCPRIM_400000_NS6detail17trampoline_kernelINS0_14default_configENS1_25transform_config_selectorIxLb0EEEZNS1_14transform_implILb0ES3_S5_N6thrust23THRUST_200600_302600_NS6detail15normal_iteratorINS8_10device_ptrIxEEEEPxNS0_8identityIxEEEE10hipError_tT2_T3_mT4_P12ihipStream_tbEUlT_E_NS1_11comp_targetILNS1_3genE0ELNS1_11target_archE4294967295ELNS1_3gpuE0ELNS1_3repE0EEENS1_30default_config_static_selectorELNS0_4arch9wavefront6targetE1EEEvT1_,"axG",@progbits,_ZN7rocprim17ROCPRIM_400000_NS6detail17trampoline_kernelINS0_14default_configENS1_25transform_config_selectorIxLb0EEEZNS1_14transform_implILb0ES3_S5_N6thrust23THRUST_200600_302600_NS6detail15normal_iteratorINS8_10device_ptrIxEEEEPxNS0_8identityIxEEEE10hipError_tT2_T3_mT4_P12ihipStream_tbEUlT_E_NS1_11comp_targetILNS1_3genE0ELNS1_11target_archE4294967295ELNS1_3gpuE0ELNS1_3repE0EEENS1_30default_config_static_selectorELNS0_4arch9wavefront6targetE1EEEvT1_,comdat
.Lfunc_end1188:
	.size	_ZN7rocprim17ROCPRIM_400000_NS6detail17trampoline_kernelINS0_14default_configENS1_25transform_config_selectorIxLb0EEEZNS1_14transform_implILb0ES3_S5_N6thrust23THRUST_200600_302600_NS6detail15normal_iteratorINS8_10device_ptrIxEEEEPxNS0_8identityIxEEEE10hipError_tT2_T3_mT4_P12ihipStream_tbEUlT_E_NS1_11comp_targetILNS1_3genE0ELNS1_11target_archE4294967295ELNS1_3gpuE0ELNS1_3repE0EEENS1_30default_config_static_selectorELNS0_4arch9wavefront6targetE1EEEvT1_, .Lfunc_end1188-_ZN7rocprim17ROCPRIM_400000_NS6detail17trampoline_kernelINS0_14default_configENS1_25transform_config_selectorIxLb0EEEZNS1_14transform_implILb0ES3_S5_N6thrust23THRUST_200600_302600_NS6detail15normal_iteratorINS8_10device_ptrIxEEEEPxNS0_8identityIxEEEE10hipError_tT2_T3_mT4_P12ihipStream_tbEUlT_E_NS1_11comp_targetILNS1_3genE0ELNS1_11target_archE4294967295ELNS1_3gpuE0ELNS1_3repE0EEENS1_30default_config_static_selectorELNS0_4arch9wavefront6targetE1EEEvT1_
                                        ; -- End function
	.set _ZN7rocprim17ROCPRIM_400000_NS6detail17trampoline_kernelINS0_14default_configENS1_25transform_config_selectorIxLb0EEEZNS1_14transform_implILb0ES3_S5_N6thrust23THRUST_200600_302600_NS6detail15normal_iteratorINS8_10device_ptrIxEEEEPxNS0_8identityIxEEEE10hipError_tT2_T3_mT4_P12ihipStream_tbEUlT_E_NS1_11comp_targetILNS1_3genE0ELNS1_11target_archE4294967295ELNS1_3gpuE0ELNS1_3repE0EEENS1_30default_config_static_selectorELNS0_4arch9wavefront6targetE1EEEvT1_.num_vgpr, 4
	.set _ZN7rocprim17ROCPRIM_400000_NS6detail17trampoline_kernelINS0_14default_configENS1_25transform_config_selectorIxLb0EEEZNS1_14transform_implILb0ES3_S5_N6thrust23THRUST_200600_302600_NS6detail15normal_iteratorINS8_10device_ptrIxEEEEPxNS0_8identityIxEEEE10hipError_tT2_T3_mT4_P12ihipStream_tbEUlT_E_NS1_11comp_targetILNS1_3genE0ELNS1_11target_archE4294967295ELNS1_3gpuE0ELNS1_3repE0EEENS1_30default_config_static_selectorELNS0_4arch9wavefront6targetE1EEEvT1_.num_agpr, 0
	.set _ZN7rocprim17ROCPRIM_400000_NS6detail17trampoline_kernelINS0_14default_configENS1_25transform_config_selectorIxLb0EEEZNS1_14transform_implILb0ES3_S5_N6thrust23THRUST_200600_302600_NS6detail15normal_iteratorINS8_10device_ptrIxEEEEPxNS0_8identityIxEEEE10hipError_tT2_T3_mT4_P12ihipStream_tbEUlT_E_NS1_11comp_targetILNS1_3genE0ELNS1_11target_archE4294967295ELNS1_3gpuE0ELNS1_3repE0EEENS1_30default_config_static_selectorELNS0_4arch9wavefront6targetE1EEEvT1_.numbered_sgpr, 12
	.set _ZN7rocprim17ROCPRIM_400000_NS6detail17trampoline_kernelINS0_14default_configENS1_25transform_config_selectorIxLb0EEEZNS1_14transform_implILb0ES3_S5_N6thrust23THRUST_200600_302600_NS6detail15normal_iteratorINS8_10device_ptrIxEEEEPxNS0_8identityIxEEEE10hipError_tT2_T3_mT4_P12ihipStream_tbEUlT_E_NS1_11comp_targetILNS1_3genE0ELNS1_11target_archE4294967295ELNS1_3gpuE0ELNS1_3repE0EEENS1_30default_config_static_selectorELNS0_4arch9wavefront6targetE1EEEvT1_.num_named_barrier, 0
	.set _ZN7rocprim17ROCPRIM_400000_NS6detail17trampoline_kernelINS0_14default_configENS1_25transform_config_selectorIxLb0EEEZNS1_14transform_implILb0ES3_S5_N6thrust23THRUST_200600_302600_NS6detail15normal_iteratorINS8_10device_ptrIxEEEEPxNS0_8identityIxEEEE10hipError_tT2_T3_mT4_P12ihipStream_tbEUlT_E_NS1_11comp_targetILNS1_3genE0ELNS1_11target_archE4294967295ELNS1_3gpuE0ELNS1_3repE0EEENS1_30default_config_static_selectorELNS0_4arch9wavefront6targetE1EEEvT1_.private_seg_size, 0
	.set _ZN7rocprim17ROCPRIM_400000_NS6detail17trampoline_kernelINS0_14default_configENS1_25transform_config_selectorIxLb0EEEZNS1_14transform_implILb0ES3_S5_N6thrust23THRUST_200600_302600_NS6detail15normal_iteratorINS8_10device_ptrIxEEEEPxNS0_8identityIxEEEE10hipError_tT2_T3_mT4_P12ihipStream_tbEUlT_E_NS1_11comp_targetILNS1_3genE0ELNS1_11target_archE4294967295ELNS1_3gpuE0ELNS1_3repE0EEENS1_30default_config_static_selectorELNS0_4arch9wavefront6targetE1EEEvT1_.uses_vcc, 1
	.set _ZN7rocprim17ROCPRIM_400000_NS6detail17trampoline_kernelINS0_14default_configENS1_25transform_config_selectorIxLb0EEEZNS1_14transform_implILb0ES3_S5_N6thrust23THRUST_200600_302600_NS6detail15normal_iteratorINS8_10device_ptrIxEEEEPxNS0_8identityIxEEEE10hipError_tT2_T3_mT4_P12ihipStream_tbEUlT_E_NS1_11comp_targetILNS1_3genE0ELNS1_11target_archE4294967295ELNS1_3gpuE0ELNS1_3repE0EEENS1_30default_config_static_selectorELNS0_4arch9wavefront6targetE1EEEvT1_.uses_flat_scratch, 0
	.set _ZN7rocprim17ROCPRIM_400000_NS6detail17trampoline_kernelINS0_14default_configENS1_25transform_config_selectorIxLb0EEEZNS1_14transform_implILb0ES3_S5_N6thrust23THRUST_200600_302600_NS6detail15normal_iteratorINS8_10device_ptrIxEEEEPxNS0_8identityIxEEEE10hipError_tT2_T3_mT4_P12ihipStream_tbEUlT_E_NS1_11comp_targetILNS1_3genE0ELNS1_11target_archE4294967295ELNS1_3gpuE0ELNS1_3repE0EEENS1_30default_config_static_selectorELNS0_4arch9wavefront6targetE1EEEvT1_.has_dyn_sized_stack, 0
	.set _ZN7rocprim17ROCPRIM_400000_NS6detail17trampoline_kernelINS0_14default_configENS1_25transform_config_selectorIxLb0EEEZNS1_14transform_implILb0ES3_S5_N6thrust23THRUST_200600_302600_NS6detail15normal_iteratorINS8_10device_ptrIxEEEEPxNS0_8identityIxEEEE10hipError_tT2_T3_mT4_P12ihipStream_tbEUlT_E_NS1_11comp_targetILNS1_3genE0ELNS1_11target_archE4294967295ELNS1_3gpuE0ELNS1_3repE0EEENS1_30default_config_static_selectorELNS0_4arch9wavefront6targetE1EEEvT1_.has_recursion, 0
	.set _ZN7rocprim17ROCPRIM_400000_NS6detail17trampoline_kernelINS0_14default_configENS1_25transform_config_selectorIxLb0EEEZNS1_14transform_implILb0ES3_S5_N6thrust23THRUST_200600_302600_NS6detail15normal_iteratorINS8_10device_ptrIxEEEEPxNS0_8identityIxEEEE10hipError_tT2_T3_mT4_P12ihipStream_tbEUlT_E_NS1_11comp_targetILNS1_3genE0ELNS1_11target_archE4294967295ELNS1_3gpuE0ELNS1_3repE0EEENS1_30default_config_static_selectorELNS0_4arch9wavefront6targetE1EEEvT1_.has_indirect_call, 0
	.section	.AMDGPU.csdata,"",@progbits
; Kernel info:
; codeLenInByte = 160
; TotalNumSgprs: 18
; NumVgprs: 4
; NumAgprs: 0
; TotalNumVgprs: 4
; ScratchSize: 0
; MemoryBound: 0
; FloatMode: 240
; IeeeMode: 1
; LDSByteSize: 0 bytes/workgroup (compile time only)
; SGPRBlocks: 2
; VGPRBlocks: 0
; NumSGPRsForWavesPerEU: 18
; NumVGPRsForWavesPerEU: 4
; AccumOffset: 4
; Occupancy: 8
; WaveLimiterHint : 0
; COMPUTE_PGM_RSRC2:SCRATCH_EN: 0
; COMPUTE_PGM_RSRC2:USER_SGPR: 2
; COMPUTE_PGM_RSRC2:TRAP_HANDLER: 0
; COMPUTE_PGM_RSRC2:TGID_X_EN: 1
; COMPUTE_PGM_RSRC2:TGID_Y_EN: 0
; COMPUTE_PGM_RSRC2:TGID_Z_EN: 0
; COMPUTE_PGM_RSRC2:TIDIG_COMP_CNT: 0
; COMPUTE_PGM_RSRC3_GFX90A:ACCUM_OFFSET: 0
; COMPUTE_PGM_RSRC3_GFX90A:TG_SPLIT: 0
	.section	.text._ZN7rocprim17ROCPRIM_400000_NS6detail17trampoline_kernelINS0_14default_configENS1_25transform_config_selectorIxLb0EEEZNS1_14transform_implILb0ES3_S5_N6thrust23THRUST_200600_302600_NS6detail15normal_iteratorINS8_10device_ptrIxEEEEPxNS0_8identityIxEEEE10hipError_tT2_T3_mT4_P12ihipStream_tbEUlT_E_NS1_11comp_targetILNS1_3genE5ELNS1_11target_archE942ELNS1_3gpuE9ELNS1_3repE0EEENS1_30default_config_static_selectorELNS0_4arch9wavefront6targetE1EEEvT1_,"axG",@progbits,_ZN7rocprim17ROCPRIM_400000_NS6detail17trampoline_kernelINS0_14default_configENS1_25transform_config_selectorIxLb0EEEZNS1_14transform_implILb0ES3_S5_N6thrust23THRUST_200600_302600_NS6detail15normal_iteratorINS8_10device_ptrIxEEEEPxNS0_8identityIxEEEE10hipError_tT2_T3_mT4_P12ihipStream_tbEUlT_E_NS1_11comp_targetILNS1_3genE5ELNS1_11target_archE942ELNS1_3gpuE9ELNS1_3repE0EEENS1_30default_config_static_selectorELNS0_4arch9wavefront6targetE1EEEvT1_,comdat
	.protected	_ZN7rocprim17ROCPRIM_400000_NS6detail17trampoline_kernelINS0_14default_configENS1_25transform_config_selectorIxLb0EEEZNS1_14transform_implILb0ES3_S5_N6thrust23THRUST_200600_302600_NS6detail15normal_iteratorINS8_10device_ptrIxEEEEPxNS0_8identityIxEEEE10hipError_tT2_T3_mT4_P12ihipStream_tbEUlT_E_NS1_11comp_targetILNS1_3genE5ELNS1_11target_archE942ELNS1_3gpuE9ELNS1_3repE0EEENS1_30default_config_static_selectorELNS0_4arch9wavefront6targetE1EEEvT1_ ; -- Begin function _ZN7rocprim17ROCPRIM_400000_NS6detail17trampoline_kernelINS0_14default_configENS1_25transform_config_selectorIxLb0EEEZNS1_14transform_implILb0ES3_S5_N6thrust23THRUST_200600_302600_NS6detail15normal_iteratorINS8_10device_ptrIxEEEEPxNS0_8identityIxEEEE10hipError_tT2_T3_mT4_P12ihipStream_tbEUlT_E_NS1_11comp_targetILNS1_3genE5ELNS1_11target_archE942ELNS1_3gpuE9ELNS1_3repE0EEENS1_30default_config_static_selectorELNS0_4arch9wavefront6targetE1EEEvT1_
	.globl	_ZN7rocprim17ROCPRIM_400000_NS6detail17trampoline_kernelINS0_14default_configENS1_25transform_config_selectorIxLb0EEEZNS1_14transform_implILb0ES3_S5_N6thrust23THRUST_200600_302600_NS6detail15normal_iteratorINS8_10device_ptrIxEEEEPxNS0_8identityIxEEEE10hipError_tT2_T3_mT4_P12ihipStream_tbEUlT_E_NS1_11comp_targetILNS1_3genE5ELNS1_11target_archE942ELNS1_3gpuE9ELNS1_3repE0EEENS1_30default_config_static_selectorELNS0_4arch9wavefront6targetE1EEEvT1_
	.p2align	8
	.type	_ZN7rocprim17ROCPRIM_400000_NS6detail17trampoline_kernelINS0_14default_configENS1_25transform_config_selectorIxLb0EEEZNS1_14transform_implILb0ES3_S5_N6thrust23THRUST_200600_302600_NS6detail15normal_iteratorINS8_10device_ptrIxEEEEPxNS0_8identityIxEEEE10hipError_tT2_T3_mT4_P12ihipStream_tbEUlT_E_NS1_11comp_targetILNS1_3genE5ELNS1_11target_archE942ELNS1_3gpuE9ELNS1_3repE0EEENS1_30default_config_static_selectorELNS0_4arch9wavefront6targetE1EEEvT1_,@function
_ZN7rocprim17ROCPRIM_400000_NS6detail17trampoline_kernelINS0_14default_configENS1_25transform_config_selectorIxLb0EEEZNS1_14transform_implILb0ES3_S5_N6thrust23THRUST_200600_302600_NS6detail15normal_iteratorINS8_10device_ptrIxEEEEPxNS0_8identityIxEEEE10hipError_tT2_T3_mT4_P12ihipStream_tbEUlT_E_NS1_11comp_targetILNS1_3genE5ELNS1_11target_archE942ELNS1_3gpuE9ELNS1_3repE0EEENS1_30default_config_static_selectorELNS0_4arch9wavefront6targetE1EEEvT1_: ; @_ZN7rocprim17ROCPRIM_400000_NS6detail17trampoline_kernelINS0_14default_configENS1_25transform_config_selectorIxLb0EEEZNS1_14transform_implILb0ES3_S5_N6thrust23THRUST_200600_302600_NS6detail15normal_iteratorINS8_10device_ptrIxEEEEPxNS0_8identityIxEEEE10hipError_tT2_T3_mT4_P12ihipStream_tbEUlT_E_NS1_11comp_targetILNS1_3genE5ELNS1_11target_archE942ELNS1_3gpuE9ELNS1_3repE0EEENS1_30default_config_static_selectorELNS0_4arch9wavefront6targetE1EEEvT1_
; %bb.0:
	.section	.rodata,"a",@progbits
	.p2align	6, 0x0
	.amdhsa_kernel _ZN7rocprim17ROCPRIM_400000_NS6detail17trampoline_kernelINS0_14default_configENS1_25transform_config_selectorIxLb0EEEZNS1_14transform_implILb0ES3_S5_N6thrust23THRUST_200600_302600_NS6detail15normal_iteratorINS8_10device_ptrIxEEEEPxNS0_8identityIxEEEE10hipError_tT2_T3_mT4_P12ihipStream_tbEUlT_E_NS1_11comp_targetILNS1_3genE5ELNS1_11target_archE942ELNS1_3gpuE9ELNS1_3repE0EEENS1_30default_config_static_selectorELNS0_4arch9wavefront6targetE1EEEvT1_
		.amdhsa_group_segment_fixed_size 0
		.amdhsa_private_segment_fixed_size 0
		.amdhsa_kernarg_size 40
		.amdhsa_user_sgpr_count 2
		.amdhsa_user_sgpr_dispatch_ptr 0
		.amdhsa_user_sgpr_queue_ptr 0
		.amdhsa_user_sgpr_kernarg_segment_ptr 1
		.amdhsa_user_sgpr_dispatch_id 0
		.amdhsa_user_sgpr_kernarg_preload_length 0
		.amdhsa_user_sgpr_kernarg_preload_offset 0
		.amdhsa_user_sgpr_private_segment_size 0
		.amdhsa_uses_dynamic_stack 0
		.amdhsa_enable_private_segment 0
		.amdhsa_system_sgpr_workgroup_id_x 1
		.amdhsa_system_sgpr_workgroup_id_y 0
		.amdhsa_system_sgpr_workgroup_id_z 0
		.amdhsa_system_sgpr_workgroup_info 0
		.amdhsa_system_vgpr_workitem_id 0
		.amdhsa_next_free_vgpr 1
		.amdhsa_next_free_sgpr 0
		.amdhsa_accum_offset 4
		.amdhsa_reserve_vcc 0
		.amdhsa_float_round_mode_32 0
		.amdhsa_float_round_mode_16_64 0
		.amdhsa_float_denorm_mode_32 3
		.amdhsa_float_denorm_mode_16_64 3
		.amdhsa_dx10_clamp 1
		.amdhsa_ieee_mode 1
		.amdhsa_fp16_overflow 0
		.amdhsa_tg_split 0
		.amdhsa_exception_fp_ieee_invalid_op 0
		.amdhsa_exception_fp_denorm_src 0
		.amdhsa_exception_fp_ieee_div_zero 0
		.amdhsa_exception_fp_ieee_overflow 0
		.amdhsa_exception_fp_ieee_underflow 0
		.amdhsa_exception_fp_ieee_inexact 0
		.amdhsa_exception_int_div_zero 0
	.end_amdhsa_kernel
	.section	.text._ZN7rocprim17ROCPRIM_400000_NS6detail17trampoline_kernelINS0_14default_configENS1_25transform_config_selectorIxLb0EEEZNS1_14transform_implILb0ES3_S5_N6thrust23THRUST_200600_302600_NS6detail15normal_iteratorINS8_10device_ptrIxEEEEPxNS0_8identityIxEEEE10hipError_tT2_T3_mT4_P12ihipStream_tbEUlT_E_NS1_11comp_targetILNS1_3genE5ELNS1_11target_archE942ELNS1_3gpuE9ELNS1_3repE0EEENS1_30default_config_static_selectorELNS0_4arch9wavefront6targetE1EEEvT1_,"axG",@progbits,_ZN7rocprim17ROCPRIM_400000_NS6detail17trampoline_kernelINS0_14default_configENS1_25transform_config_selectorIxLb0EEEZNS1_14transform_implILb0ES3_S5_N6thrust23THRUST_200600_302600_NS6detail15normal_iteratorINS8_10device_ptrIxEEEEPxNS0_8identityIxEEEE10hipError_tT2_T3_mT4_P12ihipStream_tbEUlT_E_NS1_11comp_targetILNS1_3genE5ELNS1_11target_archE942ELNS1_3gpuE9ELNS1_3repE0EEENS1_30default_config_static_selectorELNS0_4arch9wavefront6targetE1EEEvT1_,comdat
.Lfunc_end1189:
	.size	_ZN7rocprim17ROCPRIM_400000_NS6detail17trampoline_kernelINS0_14default_configENS1_25transform_config_selectorIxLb0EEEZNS1_14transform_implILb0ES3_S5_N6thrust23THRUST_200600_302600_NS6detail15normal_iteratorINS8_10device_ptrIxEEEEPxNS0_8identityIxEEEE10hipError_tT2_T3_mT4_P12ihipStream_tbEUlT_E_NS1_11comp_targetILNS1_3genE5ELNS1_11target_archE942ELNS1_3gpuE9ELNS1_3repE0EEENS1_30default_config_static_selectorELNS0_4arch9wavefront6targetE1EEEvT1_, .Lfunc_end1189-_ZN7rocprim17ROCPRIM_400000_NS6detail17trampoline_kernelINS0_14default_configENS1_25transform_config_selectorIxLb0EEEZNS1_14transform_implILb0ES3_S5_N6thrust23THRUST_200600_302600_NS6detail15normal_iteratorINS8_10device_ptrIxEEEEPxNS0_8identityIxEEEE10hipError_tT2_T3_mT4_P12ihipStream_tbEUlT_E_NS1_11comp_targetILNS1_3genE5ELNS1_11target_archE942ELNS1_3gpuE9ELNS1_3repE0EEENS1_30default_config_static_selectorELNS0_4arch9wavefront6targetE1EEEvT1_
                                        ; -- End function
	.set _ZN7rocprim17ROCPRIM_400000_NS6detail17trampoline_kernelINS0_14default_configENS1_25transform_config_selectorIxLb0EEEZNS1_14transform_implILb0ES3_S5_N6thrust23THRUST_200600_302600_NS6detail15normal_iteratorINS8_10device_ptrIxEEEEPxNS0_8identityIxEEEE10hipError_tT2_T3_mT4_P12ihipStream_tbEUlT_E_NS1_11comp_targetILNS1_3genE5ELNS1_11target_archE942ELNS1_3gpuE9ELNS1_3repE0EEENS1_30default_config_static_selectorELNS0_4arch9wavefront6targetE1EEEvT1_.num_vgpr, 0
	.set _ZN7rocprim17ROCPRIM_400000_NS6detail17trampoline_kernelINS0_14default_configENS1_25transform_config_selectorIxLb0EEEZNS1_14transform_implILb0ES3_S5_N6thrust23THRUST_200600_302600_NS6detail15normal_iteratorINS8_10device_ptrIxEEEEPxNS0_8identityIxEEEE10hipError_tT2_T3_mT4_P12ihipStream_tbEUlT_E_NS1_11comp_targetILNS1_3genE5ELNS1_11target_archE942ELNS1_3gpuE9ELNS1_3repE0EEENS1_30default_config_static_selectorELNS0_4arch9wavefront6targetE1EEEvT1_.num_agpr, 0
	.set _ZN7rocprim17ROCPRIM_400000_NS6detail17trampoline_kernelINS0_14default_configENS1_25transform_config_selectorIxLb0EEEZNS1_14transform_implILb0ES3_S5_N6thrust23THRUST_200600_302600_NS6detail15normal_iteratorINS8_10device_ptrIxEEEEPxNS0_8identityIxEEEE10hipError_tT2_T3_mT4_P12ihipStream_tbEUlT_E_NS1_11comp_targetILNS1_3genE5ELNS1_11target_archE942ELNS1_3gpuE9ELNS1_3repE0EEENS1_30default_config_static_selectorELNS0_4arch9wavefront6targetE1EEEvT1_.numbered_sgpr, 0
	.set _ZN7rocprim17ROCPRIM_400000_NS6detail17trampoline_kernelINS0_14default_configENS1_25transform_config_selectorIxLb0EEEZNS1_14transform_implILb0ES3_S5_N6thrust23THRUST_200600_302600_NS6detail15normal_iteratorINS8_10device_ptrIxEEEEPxNS0_8identityIxEEEE10hipError_tT2_T3_mT4_P12ihipStream_tbEUlT_E_NS1_11comp_targetILNS1_3genE5ELNS1_11target_archE942ELNS1_3gpuE9ELNS1_3repE0EEENS1_30default_config_static_selectorELNS0_4arch9wavefront6targetE1EEEvT1_.num_named_barrier, 0
	.set _ZN7rocprim17ROCPRIM_400000_NS6detail17trampoline_kernelINS0_14default_configENS1_25transform_config_selectorIxLb0EEEZNS1_14transform_implILb0ES3_S5_N6thrust23THRUST_200600_302600_NS6detail15normal_iteratorINS8_10device_ptrIxEEEEPxNS0_8identityIxEEEE10hipError_tT2_T3_mT4_P12ihipStream_tbEUlT_E_NS1_11comp_targetILNS1_3genE5ELNS1_11target_archE942ELNS1_3gpuE9ELNS1_3repE0EEENS1_30default_config_static_selectorELNS0_4arch9wavefront6targetE1EEEvT1_.private_seg_size, 0
	.set _ZN7rocprim17ROCPRIM_400000_NS6detail17trampoline_kernelINS0_14default_configENS1_25transform_config_selectorIxLb0EEEZNS1_14transform_implILb0ES3_S5_N6thrust23THRUST_200600_302600_NS6detail15normal_iteratorINS8_10device_ptrIxEEEEPxNS0_8identityIxEEEE10hipError_tT2_T3_mT4_P12ihipStream_tbEUlT_E_NS1_11comp_targetILNS1_3genE5ELNS1_11target_archE942ELNS1_3gpuE9ELNS1_3repE0EEENS1_30default_config_static_selectorELNS0_4arch9wavefront6targetE1EEEvT1_.uses_vcc, 0
	.set _ZN7rocprim17ROCPRIM_400000_NS6detail17trampoline_kernelINS0_14default_configENS1_25transform_config_selectorIxLb0EEEZNS1_14transform_implILb0ES3_S5_N6thrust23THRUST_200600_302600_NS6detail15normal_iteratorINS8_10device_ptrIxEEEEPxNS0_8identityIxEEEE10hipError_tT2_T3_mT4_P12ihipStream_tbEUlT_E_NS1_11comp_targetILNS1_3genE5ELNS1_11target_archE942ELNS1_3gpuE9ELNS1_3repE0EEENS1_30default_config_static_selectorELNS0_4arch9wavefront6targetE1EEEvT1_.uses_flat_scratch, 0
	.set _ZN7rocprim17ROCPRIM_400000_NS6detail17trampoline_kernelINS0_14default_configENS1_25transform_config_selectorIxLb0EEEZNS1_14transform_implILb0ES3_S5_N6thrust23THRUST_200600_302600_NS6detail15normal_iteratorINS8_10device_ptrIxEEEEPxNS0_8identityIxEEEE10hipError_tT2_T3_mT4_P12ihipStream_tbEUlT_E_NS1_11comp_targetILNS1_3genE5ELNS1_11target_archE942ELNS1_3gpuE9ELNS1_3repE0EEENS1_30default_config_static_selectorELNS0_4arch9wavefront6targetE1EEEvT1_.has_dyn_sized_stack, 0
	.set _ZN7rocprim17ROCPRIM_400000_NS6detail17trampoline_kernelINS0_14default_configENS1_25transform_config_selectorIxLb0EEEZNS1_14transform_implILb0ES3_S5_N6thrust23THRUST_200600_302600_NS6detail15normal_iteratorINS8_10device_ptrIxEEEEPxNS0_8identityIxEEEE10hipError_tT2_T3_mT4_P12ihipStream_tbEUlT_E_NS1_11comp_targetILNS1_3genE5ELNS1_11target_archE942ELNS1_3gpuE9ELNS1_3repE0EEENS1_30default_config_static_selectorELNS0_4arch9wavefront6targetE1EEEvT1_.has_recursion, 0
	.set _ZN7rocprim17ROCPRIM_400000_NS6detail17trampoline_kernelINS0_14default_configENS1_25transform_config_selectorIxLb0EEEZNS1_14transform_implILb0ES3_S5_N6thrust23THRUST_200600_302600_NS6detail15normal_iteratorINS8_10device_ptrIxEEEEPxNS0_8identityIxEEEE10hipError_tT2_T3_mT4_P12ihipStream_tbEUlT_E_NS1_11comp_targetILNS1_3genE5ELNS1_11target_archE942ELNS1_3gpuE9ELNS1_3repE0EEENS1_30default_config_static_selectorELNS0_4arch9wavefront6targetE1EEEvT1_.has_indirect_call, 0
	.section	.AMDGPU.csdata,"",@progbits
; Kernel info:
; codeLenInByte = 0
; TotalNumSgprs: 6
; NumVgprs: 0
; NumAgprs: 0
; TotalNumVgprs: 0
; ScratchSize: 0
; MemoryBound: 0
; FloatMode: 240
; IeeeMode: 1
; LDSByteSize: 0 bytes/workgroup (compile time only)
; SGPRBlocks: 0
; VGPRBlocks: 0
; NumSGPRsForWavesPerEU: 6
; NumVGPRsForWavesPerEU: 1
; AccumOffset: 4
; Occupancy: 8
; WaveLimiterHint : 0
; COMPUTE_PGM_RSRC2:SCRATCH_EN: 0
; COMPUTE_PGM_RSRC2:USER_SGPR: 2
; COMPUTE_PGM_RSRC2:TRAP_HANDLER: 0
; COMPUTE_PGM_RSRC2:TGID_X_EN: 1
; COMPUTE_PGM_RSRC2:TGID_Y_EN: 0
; COMPUTE_PGM_RSRC2:TGID_Z_EN: 0
; COMPUTE_PGM_RSRC2:TIDIG_COMP_CNT: 0
; COMPUTE_PGM_RSRC3_GFX90A:ACCUM_OFFSET: 0
; COMPUTE_PGM_RSRC3_GFX90A:TG_SPLIT: 0
	.section	.text._ZN7rocprim17ROCPRIM_400000_NS6detail17trampoline_kernelINS0_14default_configENS1_25transform_config_selectorIxLb0EEEZNS1_14transform_implILb0ES3_S5_N6thrust23THRUST_200600_302600_NS6detail15normal_iteratorINS8_10device_ptrIxEEEEPxNS0_8identityIxEEEE10hipError_tT2_T3_mT4_P12ihipStream_tbEUlT_E_NS1_11comp_targetILNS1_3genE4ELNS1_11target_archE910ELNS1_3gpuE8ELNS1_3repE0EEENS1_30default_config_static_selectorELNS0_4arch9wavefront6targetE1EEEvT1_,"axG",@progbits,_ZN7rocprim17ROCPRIM_400000_NS6detail17trampoline_kernelINS0_14default_configENS1_25transform_config_selectorIxLb0EEEZNS1_14transform_implILb0ES3_S5_N6thrust23THRUST_200600_302600_NS6detail15normal_iteratorINS8_10device_ptrIxEEEEPxNS0_8identityIxEEEE10hipError_tT2_T3_mT4_P12ihipStream_tbEUlT_E_NS1_11comp_targetILNS1_3genE4ELNS1_11target_archE910ELNS1_3gpuE8ELNS1_3repE0EEENS1_30default_config_static_selectorELNS0_4arch9wavefront6targetE1EEEvT1_,comdat
	.protected	_ZN7rocprim17ROCPRIM_400000_NS6detail17trampoline_kernelINS0_14default_configENS1_25transform_config_selectorIxLb0EEEZNS1_14transform_implILb0ES3_S5_N6thrust23THRUST_200600_302600_NS6detail15normal_iteratorINS8_10device_ptrIxEEEEPxNS0_8identityIxEEEE10hipError_tT2_T3_mT4_P12ihipStream_tbEUlT_E_NS1_11comp_targetILNS1_3genE4ELNS1_11target_archE910ELNS1_3gpuE8ELNS1_3repE0EEENS1_30default_config_static_selectorELNS0_4arch9wavefront6targetE1EEEvT1_ ; -- Begin function _ZN7rocprim17ROCPRIM_400000_NS6detail17trampoline_kernelINS0_14default_configENS1_25transform_config_selectorIxLb0EEEZNS1_14transform_implILb0ES3_S5_N6thrust23THRUST_200600_302600_NS6detail15normal_iteratorINS8_10device_ptrIxEEEEPxNS0_8identityIxEEEE10hipError_tT2_T3_mT4_P12ihipStream_tbEUlT_E_NS1_11comp_targetILNS1_3genE4ELNS1_11target_archE910ELNS1_3gpuE8ELNS1_3repE0EEENS1_30default_config_static_selectorELNS0_4arch9wavefront6targetE1EEEvT1_
	.globl	_ZN7rocprim17ROCPRIM_400000_NS6detail17trampoline_kernelINS0_14default_configENS1_25transform_config_selectorIxLb0EEEZNS1_14transform_implILb0ES3_S5_N6thrust23THRUST_200600_302600_NS6detail15normal_iteratorINS8_10device_ptrIxEEEEPxNS0_8identityIxEEEE10hipError_tT2_T3_mT4_P12ihipStream_tbEUlT_E_NS1_11comp_targetILNS1_3genE4ELNS1_11target_archE910ELNS1_3gpuE8ELNS1_3repE0EEENS1_30default_config_static_selectorELNS0_4arch9wavefront6targetE1EEEvT1_
	.p2align	8
	.type	_ZN7rocprim17ROCPRIM_400000_NS6detail17trampoline_kernelINS0_14default_configENS1_25transform_config_selectorIxLb0EEEZNS1_14transform_implILb0ES3_S5_N6thrust23THRUST_200600_302600_NS6detail15normal_iteratorINS8_10device_ptrIxEEEEPxNS0_8identityIxEEEE10hipError_tT2_T3_mT4_P12ihipStream_tbEUlT_E_NS1_11comp_targetILNS1_3genE4ELNS1_11target_archE910ELNS1_3gpuE8ELNS1_3repE0EEENS1_30default_config_static_selectorELNS0_4arch9wavefront6targetE1EEEvT1_,@function
_ZN7rocprim17ROCPRIM_400000_NS6detail17trampoline_kernelINS0_14default_configENS1_25transform_config_selectorIxLb0EEEZNS1_14transform_implILb0ES3_S5_N6thrust23THRUST_200600_302600_NS6detail15normal_iteratorINS8_10device_ptrIxEEEEPxNS0_8identityIxEEEE10hipError_tT2_T3_mT4_P12ihipStream_tbEUlT_E_NS1_11comp_targetILNS1_3genE4ELNS1_11target_archE910ELNS1_3gpuE8ELNS1_3repE0EEENS1_30default_config_static_selectorELNS0_4arch9wavefront6targetE1EEEvT1_: ; @_ZN7rocprim17ROCPRIM_400000_NS6detail17trampoline_kernelINS0_14default_configENS1_25transform_config_selectorIxLb0EEEZNS1_14transform_implILb0ES3_S5_N6thrust23THRUST_200600_302600_NS6detail15normal_iteratorINS8_10device_ptrIxEEEEPxNS0_8identityIxEEEE10hipError_tT2_T3_mT4_P12ihipStream_tbEUlT_E_NS1_11comp_targetILNS1_3genE4ELNS1_11target_archE910ELNS1_3gpuE8ELNS1_3repE0EEENS1_30default_config_static_selectorELNS0_4arch9wavefront6targetE1EEEvT1_
; %bb.0:
	.section	.rodata,"a",@progbits
	.p2align	6, 0x0
	.amdhsa_kernel _ZN7rocprim17ROCPRIM_400000_NS6detail17trampoline_kernelINS0_14default_configENS1_25transform_config_selectorIxLb0EEEZNS1_14transform_implILb0ES3_S5_N6thrust23THRUST_200600_302600_NS6detail15normal_iteratorINS8_10device_ptrIxEEEEPxNS0_8identityIxEEEE10hipError_tT2_T3_mT4_P12ihipStream_tbEUlT_E_NS1_11comp_targetILNS1_3genE4ELNS1_11target_archE910ELNS1_3gpuE8ELNS1_3repE0EEENS1_30default_config_static_selectorELNS0_4arch9wavefront6targetE1EEEvT1_
		.amdhsa_group_segment_fixed_size 0
		.amdhsa_private_segment_fixed_size 0
		.amdhsa_kernarg_size 40
		.amdhsa_user_sgpr_count 2
		.amdhsa_user_sgpr_dispatch_ptr 0
		.amdhsa_user_sgpr_queue_ptr 0
		.amdhsa_user_sgpr_kernarg_segment_ptr 1
		.amdhsa_user_sgpr_dispatch_id 0
		.amdhsa_user_sgpr_kernarg_preload_length 0
		.amdhsa_user_sgpr_kernarg_preload_offset 0
		.amdhsa_user_sgpr_private_segment_size 0
		.amdhsa_uses_dynamic_stack 0
		.amdhsa_enable_private_segment 0
		.amdhsa_system_sgpr_workgroup_id_x 1
		.amdhsa_system_sgpr_workgroup_id_y 0
		.amdhsa_system_sgpr_workgroup_id_z 0
		.amdhsa_system_sgpr_workgroup_info 0
		.amdhsa_system_vgpr_workitem_id 0
		.amdhsa_next_free_vgpr 1
		.amdhsa_next_free_sgpr 0
		.amdhsa_accum_offset 4
		.amdhsa_reserve_vcc 0
		.amdhsa_float_round_mode_32 0
		.amdhsa_float_round_mode_16_64 0
		.amdhsa_float_denorm_mode_32 3
		.amdhsa_float_denorm_mode_16_64 3
		.amdhsa_dx10_clamp 1
		.amdhsa_ieee_mode 1
		.amdhsa_fp16_overflow 0
		.amdhsa_tg_split 0
		.amdhsa_exception_fp_ieee_invalid_op 0
		.amdhsa_exception_fp_denorm_src 0
		.amdhsa_exception_fp_ieee_div_zero 0
		.amdhsa_exception_fp_ieee_overflow 0
		.amdhsa_exception_fp_ieee_underflow 0
		.amdhsa_exception_fp_ieee_inexact 0
		.amdhsa_exception_int_div_zero 0
	.end_amdhsa_kernel
	.section	.text._ZN7rocprim17ROCPRIM_400000_NS6detail17trampoline_kernelINS0_14default_configENS1_25transform_config_selectorIxLb0EEEZNS1_14transform_implILb0ES3_S5_N6thrust23THRUST_200600_302600_NS6detail15normal_iteratorINS8_10device_ptrIxEEEEPxNS0_8identityIxEEEE10hipError_tT2_T3_mT4_P12ihipStream_tbEUlT_E_NS1_11comp_targetILNS1_3genE4ELNS1_11target_archE910ELNS1_3gpuE8ELNS1_3repE0EEENS1_30default_config_static_selectorELNS0_4arch9wavefront6targetE1EEEvT1_,"axG",@progbits,_ZN7rocprim17ROCPRIM_400000_NS6detail17trampoline_kernelINS0_14default_configENS1_25transform_config_selectorIxLb0EEEZNS1_14transform_implILb0ES3_S5_N6thrust23THRUST_200600_302600_NS6detail15normal_iteratorINS8_10device_ptrIxEEEEPxNS0_8identityIxEEEE10hipError_tT2_T3_mT4_P12ihipStream_tbEUlT_E_NS1_11comp_targetILNS1_3genE4ELNS1_11target_archE910ELNS1_3gpuE8ELNS1_3repE0EEENS1_30default_config_static_selectorELNS0_4arch9wavefront6targetE1EEEvT1_,comdat
.Lfunc_end1190:
	.size	_ZN7rocprim17ROCPRIM_400000_NS6detail17trampoline_kernelINS0_14default_configENS1_25transform_config_selectorIxLb0EEEZNS1_14transform_implILb0ES3_S5_N6thrust23THRUST_200600_302600_NS6detail15normal_iteratorINS8_10device_ptrIxEEEEPxNS0_8identityIxEEEE10hipError_tT2_T3_mT4_P12ihipStream_tbEUlT_E_NS1_11comp_targetILNS1_3genE4ELNS1_11target_archE910ELNS1_3gpuE8ELNS1_3repE0EEENS1_30default_config_static_selectorELNS0_4arch9wavefront6targetE1EEEvT1_, .Lfunc_end1190-_ZN7rocprim17ROCPRIM_400000_NS6detail17trampoline_kernelINS0_14default_configENS1_25transform_config_selectorIxLb0EEEZNS1_14transform_implILb0ES3_S5_N6thrust23THRUST_200600_302600_NS6detail15normal_iteratorINS8_10device_ptrIxEEEEPxNS0_8identityIxEEEE10hipError_tT2_T3_mT4_P12ihipStream_tbEUlT_E_NS1_11comp_targetILNS1_3genE4ELNS1_11target_archE910ELNS1_3gpuE8ELNS1_3repE0EEENS1_30default_config_static_selectorELNS0_4arch9wavefront6targetE1EEEvT1_
                                        ; -- End function
	.set _ZN7rocprim17ROCPRIM_400000_NS6detail17trampoline_kernelINS0_14default_configENS1_25transform_config_selectorIxLb0EEEZNS1_14transform_implILb0ES3_S5_N6thrust23THRUST_200600_302600_NS6detail15normal_iteratorINS8_10device_ptrIxEEEEPxNS0_8identityIxEEEE10hipError_tT2_T3_mT4_P12ihipStream_tbEUlT_E_NS1_11comp_targetILNS1_3genE4ELNS1_11target_archE910ELNS1_3gpuE8ELNS1_3repE0EEENS1_30default_config_static_selectorELNS0_4arch9wavefront6targetE1EEEvT1_.num_vgpr, 0
	.set _ZN7rocprim17ROCPRIM_400000_NS6detail17trampoline_kernelINS0_14default_configENS1_25transform_config_selectorIxLb0EEEZNS1_14transform_implILb0ES3_S5_N6thrust23THRUST_200600_302600_NS6detail15normal_iteratorINS8_10device_ptrIxEEEEPxNS0_8identityIxEEEE10hipError_tT2_T3_mT4_P12ihipStream_tbEUlT_E_NS1_11comp_targetILNS1_3genE4ELNS1_11target_archE910ELNS1_3gpuE8ELNS1_3repE0EEENS1_30default_config_static_selectorELNS0_4arch9wavefront6targetE1EEEvT1_.num_agpr, 0
	.set _ZN7rocprim17ROCPRIM_400000_NS6detail17trampoline_kernelINS0_14default_configENS1_25transform_config_selectorIxLb0EEEZNS1_14transform_implILb0ES3_S5_N6thrust23THRUST_200600_302600_NS6detail15normal_iteratorINS8_10device_ptrIxEEEEPxNS0_8identityIxEEEE10hipError_tT2_T3_mT4_P12ihipStream_tbEUlT_E_NS1_11comp_targetILNS1_3genE4ELNS1_11target_archE910ELNS1_3gpuE8ELNS1_3repE0EEENS1_30default_config_static_selectorELNS0_4arch9wavefront6targetE1EEEvT1_.numbered_sgpr, 0
	.set _ZN7rocprim17ROCPRIM_400000_NS6detail17trampoline_kernelINS0_14default_configENS1_25transform_config_selectorIxLb0EEEZNS1_14transform_implILb0ES3_S5_N6thrust23THRUST_200600_302600_NS6detail15normal_iteratorINS8_10device_ptrIxEEEEPxNS0_8identityIxEEEE10hipError_tT2_T3_mT4_P12ihipStream_tbEUlT_E_NS1_11comp_targetILNS1_3genE4ELNS1_11target_archE910ELNS1_3gpuE8ELNS1_3repE0EEENS1_30default_config_static_selectorELNS0_4arch9wavefront6targetE1EEEvT1_.num_named_barrier, 0
	.set _ZN7rocprim17ROCPRIM_400000_NS6detail17trampoline_kernelINS0_14default_configENS1_25transform_config_selectorIxLb0EEEZNS1_14transform_implILb0ES3_S5_N6thrust23THRUST_200600_302600_NS6detail15normal_iteratorINS8_10device_ptrIxEEEEPxNS0_8identityIxEEEE10hipError_tT2_T3_mT4_P12ihipStream_tbEUlT_E_NS1_11comp_targetILNS1_3genE4ELNS1_11target_archE910ELNS1_3gpuE8ELNS1_3repE0EEENS1_30default_config_static_selectorELNS0_4arch9wavefront6targetE1EEEvT1_.private_seg_size, 0
	.set _ZN7rocprim17ROCPRIM_400000_NS6detail17trampoline_kernelINS0_14default_configENS1_25transform_config_selectorIxLb0EEEZNS1_14transform_implILb0ES3_S5_N6thrust23THRUST_200600_302600_NS6detail15normal_iteratorINS8_10device_ptrIxEEEEPxNS0_8identityIxEEEE10hipError_tT2_T3_mT4_P12ihipStream_tbEUlT_E_NS1_11comp_targetILNS1_3genE4ELNS1_11target_archE910ELNS1_3gpuE8ELNS1_3repE0EEENS1_30default_config_static_selectorELNS0_4arch9wavefront6targetE1EEEvT1_.uses_vcc, 0
	.set _ZN7rocprim17ROCPRIM_400000_NS6detail17trampoline_kernelINS0_14default_configENS1_25transform_config_selectorIxLb0EEEZNS1_14transform_implILb0ES3_S5_N6thrust23THRUST_200600_302600_NS6detail15normal_iteratorINS8_10device_ptrIxEEEEPxNS0_8identityIxEEEE10hipError_tT2_T3_mT4_P12ihipStream_tbEUlT_E_NS1_11comp_targetILNS1_3genE4ELNS1_11target_archE910ELNS1_3gpuE8ELNS1_3repE0EEENS1_30default_config_static_selectorELNS0_4arch9wavefront6targetE1EEEvT1_.uses_flat_scratch, 0
	.set _ZN7rocprim17ROCPRIM_400000_NS6detail17trampoline_kernelINS0_14default_configENS1_25transform_config_selectorIxLb0EEEZNS1_14transform_implILb0ES3_S5_N6thrust23THRUST_200600_302600_NS6detail15normal_iteratorINS8_10device_ptrIxEEEEPxNS0_8identityIxEEEE10hipError_tT2_T3_mT4_P12ihipStream_tbEUlT_E_NS1_11comp_targetILNS1_3genE4ELNS1_11target_archE910ELNS1_3gpuE8ELNS1_3repE0EEENS1_30default_config_static_selectorELNS0_4arch9wavefront6targetE1EEEvT1_.has_dyn_sized_stack, 0
	.set _ZN7rocprim17ROCPRIM_400000_NS6detail17trampoline_kernelINS0_14default_configENS1_25transform_config_selectorIxLb0EEEZNS1_14transform_implILb0ES3_S5_N6thrust23THRUST_200600_302600_NS6detail15normal_iteratorINS8_10device_ptrIxEEEEPxNS0_8identityIxEEEE10hipError_tT2_T3_mT4_P12ihipStream_tbEUlT_E_NS1_11comp_targetILNS1_3genE4ELNS1_11target_archE910ELNS1_3gpuE8ELNS1_3repE0EEENS1_30default_config_static_selectorELNS0_4arch9wavefront6targetE1EEEvT1_.has_recursion, 0
	.set _ZN7rocprim17ROCPRIM_400000_NS6detail17trampoline_kernelINS0_14default_configENS1_25transform_config_selectorIxLb0EEEZNS1_14transform_implILb0ES3_S5_N6thrust23THRUST_200600_302600_NS6detail15normal_iteratorINS8_10device_ptrIxEEEEPxNS0_8identityIxEEEE10hipError_tT2_T3_mT4_P12ihipStream_tbEUlT_E_NS1_11comp_targetILNS1_3genE4ELNS1_11target_archE910ELNS1_3gpuE8ELNS1_3repE0EEENS1_30default_config_static_selectorELNS0_4arch9wavefront6targetE1EEEvT1_.has_indirect_call, 0
	.section	.AMDGPU.csdata,"",@progbits
; Kernel info:
; codeLenInByte = 0
; TotalNumSgprs: 6
; NumVgprs: 0
; NumAgprs: 0
; TotalNumVgprs: 0
; ScratchSize: 0
; MemoryBound: 0
; FloatMode: 240
; IeeeMode: 1
; LDSByteSize: 0 bytes/workgroup (compile time only)
; SGPRBlocks: 0
; VGPRBlocks: 0
; NumSGPRsForWavesPerEU: 6
; NumVGPRsForWavesPerEU: 1
; AccumOffset: 4
; Occupancy: 8
; WaveLimiterHint : 0
; COMPUTE_PGM_RSRC2:SCRATCH_EN: 0
; COMPUTE_PGM_RSRC2:USER_SGPR: 2
; COMPUTE_PGM_RSRC2:TRAP_HANDLER: 0
; COMPUTE_PGM_RSRC2:TGID_X_EN: 1
; COMPUTE_PGM_RSRC2:TGID_Y_EN: 0
; COMPUTE_PGM_RSRC2:TGID_Z_EN: 0
; COMPUTE_PGM_RSRC2:TIDIG_COMP_CNT: 0
; COMPUTE_PGM_RSRC3_GFX90A:ACCUM_OFFSET: 0
; COMPUTE_PGM_RSRC3_GFX90A:TG_SPLIT: 0
	.section	.text._ZN7rocprim17ROCPRIM_400000_NS6detail17trampoline_kernelINS0_14default_configENS1_25transform_config_selectorIxLb0EEEZNS1_14transform_implILb0ES3_S5_N6thrust23THRUST_200600_302600_NS6detail15normal_iteratorINS8_10device_ptrIxEEEEPxNS0_8identityIxEEEE10hipError_tT2_T3_mT4_P12ihipStream_tbEUlT_E_NS1_11comp_targetILNS1_3genE3ELNS1_11target_archE908ELNS1_3gpuE7ELNS1_3repE0EEENS1_30default_config_static_selectorELNS0_4arch9wavefront6targetE1EEEvT1_,"axG",@progbits,_ZN7rocprim17ROCPRIM_400000_NS6detail17trampoline_kernelINS0_14default_configENS1_25transform_config_selectorIxLb0EEEZNS1_14transform_implILb0ES3_S5_N6thrust23THRUST_200600_302600_NS6detail15normal_iteratorINS8_10device_ptrIxEEEEPxNS0_8identityIxEEEE10hipError_tT2_T3_mT4_P12ihipStream_tbEUlT_E_NS1_11comp_targetILNS1_3genE3ELNS1_11target_archE908ELNS1_3gpuE7ELNS1_3repE0EEENS1_30default_config_static_selectorELNS0_4arch9wavefront6targetE1EEEvT1_,comdat
	.protected	_ZN7rocprim17ROCPRIM_400000_NS6detail17trampoline_kernelINS0_14default_configENS1_25transform_config_selectorIxLb0EEEZNS1_14transform_implILb0ES3_S5_N6thrust23THRUST_200600_302600_NS6detail15normal_iteratorINS8_10device_ptrIxEEEEPxNS0_8identityIxEEEE10hipError_tT2_T3_mT4_P12ihipStream_tbEUlT_E_NS1_11comp_targetILNS1_3genE3ELNS1_11target_archE908ELNS1_3gpuE7ELNS1_3repE0EEENS1_30default_config_static_selectorELNS0_4arch9wavefront6targetE1EEEvT1_ ; -- Begin function _ZN7rocprim17ROCPRIM_400000_NS6detail17trampoline_kernelINS0_14default_configENS1_25transform_config_selectorIxLb0EEEZNS1_14transform_implILb0ES3_S5_N6thrust23THRUST_200600_302600_NS6detail15normal_iteratorINS8_10device_ptrIxEEEEPxNS0_8identityIxEEEE10hipError_tT2_T3_mT4_P12ihipStream_tbEUlT_E_NS1_11comp_targetILNS1_3genE3ELNS1_11target_archE908ELNS1_3gpuE7ELNS1_3repE0EEENS1_30default_config_static_selectorELNS0_4arch9wavefront6targetE1EEEvT1_
	.globl	_ZN7rocprim17ROCPRIM_400000_NS6detail17trampoline_kernelINS0_14default_configENS1_25transform_config_selectorIxLb0EEEZNS1_14transform_implILb0ES3_S5_N6thrust23THRUST_200600_302600_NS6detail15normal_iteratorINS8_10device_ptrIxEEEEPxNS0_8identityIxEEEE10hipError_tT2_T3_mT4_P12ihipStream_tbEUlT_E_NS1_11comp_targetILNS1_3genE3ELNS1_11target_archE908ELNS1_3gpuE7ELNS1_3repE0EEENS1_30default_config_static_selectorELNS0_4arch9wavefront6targetE1EEEvT1_
	.p2align	8
	.type	_ZN7rocprim17ROCPRIM_400000_NS6detail17trampoline_kernelINS0_14default_configENS1_25transform_config_selectorIxLb0EEEZNS1_14transform_implILb0ES3_S5_N6thrust23THRUST_200600_302600_NS6detail15normal_iteratorINS8_10device_ptrIxEEEEPxNS0_8identityIxEEEE10hipError_tT2_T3_mT4_P12ihipStream_tbEUlT_E_NS1_11comp_targetILNS1_3genE3ELNS1_11target_archE908ELNS1_3gpuE7ELNS1_3repE0EEENS1_30default_config_static_selectorELNS0_4arch9wavefront6targetE1EEEvT1_,@function
_ZN7rocprim17ROCPRIM_400000_NS6detail17trampoline_kernelINS0_14default_configENS1_25transform_config_selectorIxLb0EEEZNS1_14transform_implILb0ES3_S5_N6thrust23THRUST_200600_302600_NS6detail15normal_iteratorINS8_10device_ptrIxEEEEPxNS0_8identityIxEEEE10hipError_tT2_T3_mT4_P12ihipStream_tbEUlT_E_NS1_11comp_targetILNS1_3genE3ELNS1_11target_archE908ELNS1_3gpuE7ELNS1_3repE0EEENS1_30default_config_static_selectorELNS0_4arch9wavefront6targetE1EEEvT1_: ; @_ZN7rocprim17ROCPRIM_400000_NS6detail17trampoline_kernelINS0_14default_configENS1_25transform_config_selectorIxLb0EEEZNS1_14transform_implILb0ES3_S5_N6thrust23THRUST_200600_302600_NS6detail15normal_iteratorINS8_10device_ptrIxEEEEPxNS0_8identityIxEEEE10hipError_tT2_T3_mT4_P12ihipStream_tbEUlT_E_NS1_11comp_targetILNS1_3genE3ELNS1_11target_archE908ELNS1_3gpuE7ELNS1_3repE0EEENS1_30default_config_static_selectorELNS0_4arch9wavefront6targetE1EEEvT1_
; %bb.0:
	.section	.rodata,"a",@progbits
	.p2align	6, 0x0
	.amdhsa_kernel _ZN7rocprim17ROCPRIM_400000_NS6detail17trampoline_kernelINS0_14default_configENS1_25transform_config_selectorIxLb0EEEZNS1_14transform_implILb0ES3_S5_N6thrust23THRUST_200600_302600_NS6detail15normal_iteratorINS8_10device_ptrIxEEEEPxNS0_8identityIxEEEE10hipError_tT2_T3_mT4_P12ihipStream_tbEUlT_E_NS1_11comp_targetILNS1_3genE3ELNS1_11target_archE908ELNS1_3gpuE7ELNS1_3repE0EEENS1_30default_config_static_selectorELNS0_4arch9wavefront6targetE1EEEvT1_
		.amdhsa_group_segment_fixed_size 0
		.amdhsa_private_segment_fixed_size 0
		.amdhsa_kernarg_size 40
		.amdhsa_user_sgpr_count 2
		.amdhsa_user_sgpr_dispatch_ptr 0
		.amdhsa_user_sgpr_queue_ptr 0
		.amdhsa_user_sgpr_kernarg_segment_ptr 1
		.amdhsa_user_sgpr_dispatch_id 0
		.amdhsa_user_sgpr_kernarg_preload_length 0
		.amdhsa_user_sgpr_kernarg_preload_offset 0
		.amdhsa_user_sgpr_private_segment_size 0
		.amdhsa_uses_dynamic_stack 0
		.amdhsa_enable_private_segment 0
		.amdhsa_system_sgpr_workgroup_id_x 1
		.amdhsa_system_sgpr_workgroup_id_y 0
		.amdhsa_system_sgpr_workgroup_id_z 0
		.amdhsa_system_sgpr_workgroup_info 0
		.amdhsa_system_vgpr_workitem_id 0
		.amdhsa_next_free_vgpr 1
		.amdhsa_next_free_sgpr 0
		.amdhsa_accum_offset 4
		.amdhsa_reserve_vcc 0
		.amdhsa_float_round_mode_32 0
		.amdhsa_float_round_mode_16_64 0
		.amdhsa_float_denorm_mode_32 3
		.amdhsa_float_denorm_mode_16_64 3
		.amdhsa_dx10_clamp 1
		.amdhsa_ieee_mode 1
		.amdhsa_fp16_overflow 0
		.amdhsa_tg_split 0
		.amdhsa_exception_fp_ieee_invalid_op 0
		.amdhsa_exception_fp_denorm_src 0
		.amdhsa_exception_fp_ieee_div_zero 0
		.amdhsa_exception_fp_ieee_overflow 0
		.amdhsa_exception_fp_ieee_underflow 0
		.amdhsa_exception_fp_ieee_inexact 0
		.amdhsa_exception_int_div_zero 0
	.end_amdhsa_kernel
	.section	.text._ZN7rocprim17ROCPRIM_400000_NS6detail17trampoline_kernelINS0_14default_configENS1_25transform_config_selectorIxLb0EEEZNS1_14transform_implILb0ES3_S5_N6thrust23THRUST_200600_302600_NS6detail15normal_iteratorINS8_10device_ptrIxEEEEPxNS0_8identityIxEEEE10hipError_tT2_T3_mT4_P12ihipStream_tbEUlT_E_NS1_11comp_targetILNS1_3genE3ELNS1_11target_archE908ELNS1_3gpuE7ELNS1_3repE0EEENS1_30default_config_static_selectorELNS0_4arch9wavefront6targetE1EEEvT1_,"axG",@progbits,_ZN7rocprim17ROCPRIM_400000_NS6detail17trampoline_kernelINS0_14default_configENS1_25transform_config_selectorIxLb0EEEZNS1_14transform_implILb0ES3_S5_N6thrust23THRUST_200600_302600_NS6detail15normal_iteratorINS8_10device_ptrIxEEEEPxNS0_8identityIxEEEE10hipError_tT2_T3_mT4_P12ihipStream_tbEUlT_E_NS1_11comp_targetILNS1_3genE3ELNS1_11target_archE908ELNS1_3gpuE7ELNS1_3repE0EEENS1_30default_config_static_selectorELNS0_4arch9wavefront6targetE1EEEvT1_,comdat
.Lfunc_end1191:
	.size	_ZN7rocprim17ROCPRIM_400000_NS6detail17trampoline_kernelINS0_14default_configENS1_25transform_config_selectorIxLb0EEEZNS1_14transform_implILb0ES3_S5_N6thrust23THRUST_200600_302600_NS6detail15normal_iteratorINS8_10device_ptrIxEEEEPxNS0_8identityIxEEEE10hipError_tT2_T3_mT4_P12ihipStream_tbEUlT_E_NS1_11comp_targetILNS1_3genE3ELNS1_11target_archE908ELNS1_3gpuE7ELNS1_3repE0EEENS1_30default_config_static_selectorELNS0_4arch9wavefront6targetE1EEEvT1_, .Lfunc_end1191-_ZN7rocprim17ROCPRIM_400000_NS6detail17trampoline_kernelINS0_14default_configENS1_25transform_config_selectorIxLb0EEEZNS1_14transform_implILb0ES3_S5_N6thrust23THRUST_200600_302600_NS6detail15normal_iteratorINS8_10device_ptrIxEEEEPxNS0_8identityIxEEEE10hipError_tT2_T3_mT4_P12ihipStream_tbEUlT_E_NS1_11comp_targetILNS1_3genE3ELNS1_11target_archE908ELNS1_3gpuE7ELNS1_3repE0EEENS1_30default_config_static_selectorELNS0_4arch9wavefront6targetE1EEEvT1_
                                        ; -- End function
	.set _ZN7rocprim17ROCPRIM_400000_NS6detail17trampoline_kernelINS0_14default_configENS1_25transform_config_selectorIxLb0EEEZNS1_14transform_implILb0ES3_S5_N6thrust23THRUST_200600_302600_NS6detail15normal_iteratorINS8_10device_ptrIxEEEEPxNS0_8identityIxEEEE10hipError_tT2_T3_mT4_P12ihipStream_tbEUlT_E_NS1_11comp_targetILNS1_3genE3ELNS1_11target_archE908ELNS1_3gpuE7ELNS1_3repE0EEENS1_30default_config_static_selectorELNS0_4arch9wavefront6targetE1EEEvT1_.num_vgpr, 0
	.set _ZN7rocprim17ROCPRIM_400000_NS6detail17trampoline_kernelINS0_14default_configENS1_25transform_config_selectorIxLb0EEEZNS1_14transform_implILb0ES3_S5_N6thrust23THRUST_200600_302600_NS6detail15normal_iteratorINS8_10device_ptrIxEEEEPxNS0_8identityIxEEEE10hipError_tT2_T3_mT4_P12ihipStream_tbEUlT_E_NS1_11comp_targetILNS1_3genE3ELNS1_11target_archE908ELNS1_3gpuE7ELNS1_3repE0EEENS1_30default_config_static_selectorELNS0_4arch9wavefront6targetE1EEEvT1_.num_agpr, 0
	.set _ZN7rocprim17ROCPRIM_400000_NS6detail17trampoline_kernelINS0_14default_configENS1_25transform_config_selectorIxLb0EEEZNS1_14transform_implILb0ES3_S5_N6thrust23THRUST_200600_302600_NS6detail15normal_iteratorINS8_10device_ptrIxEEEEPxNS0_8identityIxEEEE10hipError_tT2_T3_mT4_P12ihipStream_tbEUlT_E_NS1_11comp_targetILNS1_3genE3ELNS1_11target_archE908ELNS1_3gpuE7ELNS1_3repE0EEENS1_30default_config_static_selectorELNS0_4arch9wavefront6targetE1EEEvT1_.numbered_sgpr, 0
	.set _ZN7rocprim17ROCPRIM_400000_NS6detail17trampoline_kernelINS0_14default_configENS1_25transform_config_selectorIxLb0EEEZNS1_14transform_implILb0ES3_S5_N6thrust23THRUST_200600_302600_NS6detail15normal_iteratorINS8_10device_ptrIxEEEEPxNS0_8identityIxEEEE10hipError_tT2_T3_mT4_P12ihipStream_tbEUlT_E_NS1_11comp_targetILNS1_3genE3ELNS1_11target_archE908ELNS1_3gpuE7ELNS1_3repE0EEENS1_30default_config_static_selectorELNS0_4arch9wavefront6targetE1EEEvT1_.num_named_barrier, 0
	.set _ZN7rocprim17ROCPRIM_400000_NS6detail17trampoline_kernelINS0_14default_configENS1_25transform_config_selectorIxLb0EEEZNS1_14transform_implILb0ES3_S5_N6thrust23THRUST_200600_302600_NS6detail15normal_iteratorINS8_10device_ptrIxEEEEPxNS0_8identityIxEEEE10hipError_tT2_T3_mT4_P12ihipStream_tbEUlT_E_NS1_11comp_targetILNS1_3genE3ELNS1_11target_archE908ELNS1_3gpuE7ELNS1_3repE0EEENS1_30default_config_static_selectorELNS0_4arch9wavefront6targetE1EEEvT1_.private_seg_size, 0
	.set _ZN7rocprim17ROCPRIM_400000_NS6detail17trampoline_kernelINS0_14default_configENS1_25transform_config_selectorIxLb0EEEZNS1_14transform_implILb0ES3_S5_N6thrust23THRUST_200600_302600_NS6detail15normal_iteratorINS8_10device_ptrIxEEEEPxNS0_8identityIxEEEE10hipError_tT2_T3_mT4_P12ihipStream_tbEUlT_E_NS1_11comp_targetILNS1_3genE3ELNS1_11target_archE908ELNS1_3gpuE7ELNS1_3repE0EEENS1_30default_config_static_selectorELNS0_4arch9wavefront6targetE1EEEvT1_.uses_vcc, 0
	.set _ZN7rocprim17ROCPRIM_400000_NS6detail17trampoline_kernelINS0_14default_configENS1_25transform_config_selectorIxLb0EEEZNS1_14transform_implILb0ES3_S5_N6thrust23THRUST_200600_302600_NS6detail15normal_iteratorINS8_10device_ptrIxEEEEPxNS0_8identityIxEEEE10hipError_tT2_T3_mT4_P12ihipStream_tbEUlT_E_NS1_11comp_targetILNS1_3genE3ELNS1_11target_archE908ELNS1_3gpuE7ELNS1_3repE0EEENS1_30default_config_static_selectorELNS0_4arch9wavefront6targetE1EEEvT1_.uses_flat_scratch, 0
	.set _ZN7rocprim17ROCPRIM_400000_NS6detail17trampoline_kernelINS0_14default_configENS1_25transform_config_selectorIxLb0EEEZNS1_14transform_implILb0ES3_S5_N6thrust23THRUST_200600_302600_NS6detail15normal_iteratorINS8_10device_ptrIxEEEEPxNS0_8identityIxEEEE10hipError_tT2_T3_mT4_P12ihipStream_tbEUlT_E_NS1_11comp_targetILNS1_3genE3ELNS1_11target_archE908ELNS1_3gpuE7ELNS1_3repE0EEENS1_30default_config_static_selectorELNS0_4arch9wavefront6targetE1EEEvT1_.has_dyn_sized_stack, 0
	.set _ZN7rocprim17ROCPRIM_400000_NS6detail17trampoline_kernelINS0_14default_configENS1_25transform_config_selectorIxLb0EEEZNS1_14transform_implILb0ES3_S5_N6thrust23THRUST_200600_302600_NS6detail15normal_iteratorINS8_10device_ptrIxEEEEPxNS0_8identityIxEEEE10hipError_tT2_T3_mT4_P12ihipStream_tbEUlT_E_NS1_11comp_targetILNS1_3genE3ELNS1_11target_archE908ELNS1_3gpuE7ELNS1_3repE0EEENS1_30default_config_static_selectorELNS0_4arch9wavefront6targetE1EEEvT1_.has_recursion, 0
	.set _ZN7rocprim17ROCPRIM_400000_NS6detail17trampoline_kernelINS0_14default_configENS1_25transform_config_selectorIxLb0EEEZNS1_14transform_implILb0ES3_S5_N6thrust23THRUST_200600_302600_NS6detail15normal_iteratorINS8_10device_ptrIxEEEEPxNS0_8identityIxEEEE10hipError_tT2_T3_mT4_P12ihipStream_tbEUlT_E_NS1_11comp_targetILNS1_3genE3ELNS1_11target_archE908ELNS1_3gpuE7ELNS1_3repE0EEENS1_30default_config_static_selectorELNS0_4arch9wavefront6targetE1EEEvT1_.has_indirect_call, 0
	.section	.AMDGPU.csdata,"",@progbits
; Kernel info:
; codeLenInByte = 0
; TotalNumSgprs: 6
; NumVgprs: 0
; NumAgprs: 0
; TotalNumVgprs: 0
; ScratchSize: 0
; MemoryBound: 0
; FloatMode: 240
; IeeeMode: 1
; LDSByteSize: 0 bytes/workgroup (compile time only)
; SGPRBlocks: 0
; VGPRBlocks: 0
; NumSGPRsForWavesPerEU: 6
; NumVGPRsForWavesPerEU: 1
; AccumOffset: 4
; Occupancy: 8
; WaveLimiterHint : 0
; COMPUTE_PGM_RSRC2:SCRATCH_EN: 0
; COMPUTE_PGM_RSRC2:USER_SGPR: 2
; COMPUTE_PGM_RSRC2:TRAP_HANDLER: 0
; COMPUTE_PGM_RSRC2:TGID_X_EN: 1
; COMPUTE_PGM_RSRC2:TGID_Y_EN: 0
; COMPUTE_PGM_RSRC2:TGID_Z_EN: 0
; COMPUTE_PGM_RSRC2:TIDIG_COMP_CNT: 0
; COMPUTE_PGM_RSRC3_GFX90A:ACCUM_OFFSET: 0
; COMPUTE_PGM_RSRC3_GFX90A:TG_SPLIT: 0
	.section	.text._ZN7rocprim17ROCPRIM_400000_NS6detail17trampoline_kernelINS0_14default_configENS1_25transform_config_selectorIxLb0EEEZNS1_14transform_implILb0ES3_S5_N6thrust23THRUST_200600_302600_NS6detail15normal_iteratorINS8_10device_ptrIxEEEEPxNS0_8identityIxEEEE10hipError_tT2_T3_mT4_P12ihipStream_tbEUlT_E_NS1_11comp_targetILNS1_3genE2ELNS1_11target_archE906ELNS1_3gpuE6ELNS1_3repE0EEENS1_30default_config_static_selectorELNS0_4arch9wavefront6targetE1EEEvT1_,"axG",@progbits,_ZN7rocprim17ROCPRIM_400000_NS6detail17trampoline_kernelINS0_14default_configENS1_25transform_config_selectorIxLb0EEEZNS1_14transform_implILb0ES3_S5_N6thrust23THRUST_200600_302600_NS6detail15normal_iteratorINS8_10device_ptrIxEEEEPxNS0_8identityIxEEEE10hipError_tT2_T3_mT4_P12ihipStream_tbEUlT_E_NS1_11comp_targetILNS1_3genE2ELNS1_11target_archE906ELNS1_3gpuE6ELNS1_3repE0EEENS1_30default_config_static_selectorELNS0_4arch9wavefront6targetE1EEEvT1_,comdat
	.protected	_ZN7rocprim17ROCPRIM_400000_NS6detail17trampoline_kernelINS0_14default_configENS1_25transform_config_selectorIxLb0EEEZNS1_14transform_implILb0ES3_S5_N6thrust23THRUST_200600_302600_NS6detail15normal_iteratorINS8_10device_ptrIxEEEEPxNS0_8identityIxEEEE10hipError_tT2_T3_mT4_P12ihipStream_tbEUlT_E_NS1_11comp_targetILNS1_3genE2ELNS1_11target_archE906ELNS1_3gpuE6ELNS1_3repE0EEENS1_30default_config_static_selectorELNS0_4arch9wavefront6targetE1EEEvT1_ ; -- Begin function _ZN7rocprim17ROCPRIM_400000_NS6detail17trampoline_kernelINS0_14default_configENS1_25transform_config_selectorIxLb0EEEZNS1_14transform_implILb0ES3_S5_N6thrust23THRUST_200600_302600_NS6detail15normal_iteratorINS8_10device_ptrIxEEEEPxNS0_8identityIxEEEE10hipError_tT2_T3_mT4_P12ihipStream_tbEUlT_E_NS1_11comp_targetILNS1_3genE2ELNS1_11target_archE906ELNS1_3gpuE6ELNS1_3repE0EEENS1_30default_config_static_selectorELNS0_4arch9wavefront6targetE1EEEvT1_
	.globl	_ZN7rocprim17ROCPRIM_400000_NS6detail17trampoline_kernelINS0_14default_configENS1_25transform_config_selectorIxLb0EEEZNS1_14transform_implILb0ES3_S5_N6thrust23THRUST_200600_302600_NS6detail15normal_iteratorINS8_10device_ptrIxEEEEPxNS0_8identityIxEEEE10hipError_tT2_T3_mT4_P12ihipStream_tbEUlT_E_NS1_11comp_targetILNS1_3genE2ELNS1_11target_archE906ELNS1_3gpuE6ELNS1_3repE0EEENS1_30default_config_static_selectorELNS0_4arch9wavefront6targetE1EEEvT1_
	.p2align	8
	.type	_ZN7rocprim17ROCPRIM_400000_NS6detail17trampoline_kernelINS0_14default_configENS1_25transform_config_selectorIxLb0EEEZNS1_14transform_implILb0ES3_S5_N6thrust23THRUST_200600_302600_NS6detail15normal_iteratorINS8_10device_ptrIxEEEEPxNS0_8identityIxEEEE10hipError_tT2_T3_mT4_P12ihipStream_tbEUlT_E_NS1_11comp_targetILNS1_3genE2ELNS1_11target_archE906ELNS1_3gpuE6ELNS1_3repE0EEENS1_30default_config_static_selectorELNS0_4arch9wavefront6targetE1EEEvT1_,@function
_ZN7rocprim17ROCPRIM_400000_NS6detail17trampoline_kernelINS0_14default_configENS1_25transform_config_selectorIxLb0EEEZNS1_14transform_implILb0ES3_S5_N6thrust23THRUST_200600_302600_NS6detail15normal_iteratorINS8_10device_ptrIxEEEEPxNS0_8identityIxEEEE10hipError_tT2_T3_mT4_P12ihipStream_tbEUlT_E_NS1_11comp_targetILNS1_3genE2ELNS1_11target_archE906ELNS1_3gpuE6ELNS1_3repE0EEENS1_30default_config_static_selectorELNS0_4arch9wavefront6targetE1EEEvT1_: ; @_ZN7rocprim17ROCPRIM_400000_NS6detail17trampoline_kernelINS0_14default_configENS1_25transform_config_selectorIxLb0EEEZNS1_14transform_implILb0ES3_S5_N6thrust23THRUST_200600_302600_NS6detail15normal_iteratorINS8_10device_ptrIxEEEEPxNS0_8identityIxEEEE10hipError_tT2_T3_mT4_P12ihipStream_tbEUlT_E_NS1_11comp_targetILNS1_3genE2ELNS1_11target_archE906ELNS1_3gpuE6ELNS1_3repE0EEENS1_30default_config_static_selectorELNS0_4arch9wavefront6targetE1EEEvT1_
; %bb.0:
	.section	.rodata,"a",@progbits
	.p2align	6, 0x0
	.amdhsa_kernel _ZN7rocprim17ROCPRIM_400000_NS6detail17trampoline_kernelINS0_14default_configENS1_25transform_config_selectorIxLb0EEEZNS1_14transform_implILb0ES3_S5_N6thrust23THRUST_200600_302600_NS6detail15normal_iteratorINS8_10device_ptrIxEEEEPxNS0_8identityIxEEEE10hipError_tT2_T3_mT4_P12ihipStream_tbEUlT_E_NS1_11comp_targetILNS1_3genE2ELNS1_11target_archE906ELNS1_3gpuE6ELNS1_3repE0EEENS1_30default_config_static_selectorELNS0_4arch9wavefront6targetE1EEEvT1_
		.amdhsa_group_segment_fixed_size 0
		.amdhsa_private_segment_fixed_size 0
		.amdhsa_kernarg_size 40
		.amdhsa_user_sgpr_count 2
		.amdhsa_user_sgpr_dispatch_ptr 0
		.amdhsa_user_sgpr_queue_ptr 0
		.amdhsa_user_sgpr_kernarg_segment_ptr 1
		.amdhsa_user_sgpr_dispatch_id 0
		.amdhsa_user_sgpr_kernarg_preload_length 0
		.amdhsa_user_sgpr_kernarg_preload_offset 0
		.amdhsa_user_sgpr_private_segment_size 0
		.amdhsa_uses_dynamic_stack 0
		.amdhsa_enable_private_segment 0
		.amdhsa_system_sgpr_workgroup_id_x 1
		.amdhsa_system_sgpr_workgroup_id_y 0
		.amdhsa_system_sgpr_workgroup_id_z 0
		.amdhsa_system_sgpr_workgroup_info 0
		.amdhsa_system_vgpr_workitem_id 0
		.amdhsa_next_free_vgpr 1
		.amdhsa_next_free_sgpr 0
		.amdhsa_accum_offset 4
		.amdhsa_reserve_vcc 0
		.amdhsa_float_round_mode_32 0
		.amdhsa_float_round_mode_16_64 0
		.amdhsa_float_denorm_mode_32 3
		.amdhsa_float_denorm_mode_16_64 3
		.amdhsa_dx10_clamp 1
		.amdhsa_ieee_mode 1
		.amdhsa_fp16_overflow 0
		.amdhsa_tg_split 0
		.amdhsa_exception_fp_ieee_invalid_op 0
		.amdhsa_exception_fp_denorm_src 0
		.amdhsa_exception_fp_ieee_div_zero 0
		.amdhsa_exception_fp_ieee_overflow 0
		.amdhsa_exception_fp_ieee_underflow 0
		.amdhsa_exception_fp_ieee_inexact 0
		.amdhsa_exception_int_div_zero 0
	.end_amdhsa_kernel
	.section	.text._ZN7rocprim17ROCPRIM_400000_NS6detail17trampoline_kernelINS0_14default_configENS1_25transform_config_selectorIxLb0EEEZNS1_14transform_implILb0ES3_S5_N6thrust23THRUST_200600_302600_NS6detail15normal_iteratorINS8_10device_ptrIxEEEEPxNS0_8identityIxEEEE10hipError_tT2_T3_mT4_P12ihipStream_tbEUlT_E_NS1_11comp_targetILNS1_3genE2ELNS1_11target_archE906ELNS1_3gpuE6ELNS1_3repE0EEENS1_30default_config_static_selectorELNS0_4arch9wavefront6targetE1EEEvT1_,"axG",@progbits,_ZN7rocprim17ROCPRIM_400000_NS6detail17trampoline_kernelINS0_14default_configENS1_25transform_config_selectorIxLb0EEEZNS1_14transform_implILb0ES3_S5_N6thrust23THRUST_200600_302600_NS6detail15normal_iteratorINS8_10device_ptrIxEEEEPxNS0_8identityIxEEEE10hipError_tT2_T3_mT4_P12ihipStream_tbEUlT_E_NS1_11comp_targetILNS1_3genE2ELNS1_11target_archE906ELNS1_3gpuE6ELNS1_3repE0EEENS1_30default_config_static_selectorELNS0_4arch9wavefront6targetE1EEEvT1_,comdat
.Lfunc_end1192:
	.size	_ZN7rocprim17ROCPRIM_400000_NS6detail17trampoline_kernelINS0_14default_configENS1_25transform_config_selectorIxLb0EEEZNS1_14transform_implILb0ES3_S5_N6thrust23THRUST_200600_302600_NS6detail15normal_iteratorINS8_10device_ptrIxEEEEPxNS0_8identityIxEEEE10hipError_tT2_T3_mT4_P12ihipStream_tbEUlT_E_NS1_11comp_targetILNS1_3genE2ELNS1_11target_archE906ELNS1_3gpuE6ELNS1_3repE0EEENS1_30default_config_static_selectorELNS0_4arch9wavefront6targetE1EEEvT1_, .Lfunc_end1192-_ZN7rocprim17ROCPRIM_400000_NS6detail17trampoline_kernelINS0_14default_configENS1_25transform_config_selectorIxLb0EEEZNS1_14transform_implILb0ES3_S5_N6thrust23THRUST_200600_302600_NS6detail15normal_iteratorINS8_10device_ptrIxEEEEPxNS0_8identityIxEEEE10hipError_tT2_T3_mT4_P12ihipStream_tbEUlT_E_NS1_11comp_targetILNS1_3genE2ELNS1_11target_archE906ELNS1_3gpuE6ELNS1_3repE0EEENS1_30default_config_static_selectorELNS0_4arch9wavefront6targetE1EEEvT1_
                                        ; -- End function
	.set _ZN7rocprim17ROCPRIM_400000_NS6detail17trampoline_kernelINS0_14default_configENS1_25transform_config_selectorIxLb0EEEZNS1_14transform_implILb0ES3_S5_N6thrust23THRUST_200600_302600_NS6detail15normal_iteratorINS8_10device_ptrIxEEEEPxNS0_8identityIxEEEE10hipError_tT2_T3_mT4_P12ihipStream_tbEUlT_E_NS1_11comp_targetILNS1_3genE2ELNS1_11target_archE906ELNS1_3gpuE6ELNS1_3repE0EEENS1_30default_config_static_selectorELNS0_4arch9wavefront6targetE1EEEvT1_.num_vgpr, 0
	.set _ZN7rocprim17ROCPRIM_400000_NS6detail17trampoline_kernelINS0_14default_configENS1_25transform_config_selectorIxLb0EEEZNS1_14transform_implILb0ES3_S5_N6thrust23THRUST_200600_302600_NS6detail15normal_iteratorINS8_10device_ptrIxEEEEPxNS0_8identityIxEEEE10hipError_tT2_T3_mT4_P12ihipStream_tbEUlT_E_NS1_11comp_targetILNS1_3genE2ELNS1_11target_archE906ELNS1_3gpuE6ELNS1_3repE0EEENS1_30default_config_static_selectorELNS0_4arch9wavefront6targetE1EEEvT1_.num_agpr, 0
	.set _ZN7rocprim17ROCPRIM_400000_NS6detail17trampoline_kernelINS0_14default_configENS1_25transform_config_selectorIxLb0EEEZNS1_14transform_implILb0ES3_S5_N6thrust23THRUST_200600_302600_NS6detail15normal_iteratorINS8_10device_ptrIxEEEEPxNS0_8identityIxEEEE10hipError_tT2_T3_mT4_P12ihipStream_tbEUlT_E_NS1_11comp_targetILNS1_3genE2ELNS1_11target_archE906ELNS1_3gpuE6ELNS1_3repE0EEENS1_30default_config_static_selectorELNS0_4arch9wavefront6targetE1EEEvT1_.numbered_sgpr, 0
	.set _ZN7rocprim17ROCPRIM_400000_NS6detail17trampoline_kernelINS0_14default_configENS1_25transform_config_selectorIxLb0EEEZNS1_14transform_implILb0ES3_S5_N6thrust23THRUST_200600_302600_NS6detail15normal_iteratorINS8_10device_ptrIxEEEEPxNS0_8identityIxEEEE10hipError_tT2_T3_mT4_P12ihipStream_tbEUlT_E_NS1_11comp_targetILNS1_3genE2ELNS1_11target_archE906ELNS1_3gpuE6ELNS1_3repE0EEENS1_30default_config_static_selectorELNS0_4arch9wavefront6targetE1EEEvT1_.num_named_barrier, 0
	.set _ZN7rocprim17ROCPRIM_400000_NS6detail17trampoline_kernelINS0_14default_configENS1_25transform_config_selectorIxLb0EEEZNS1_14transform_implILb0ES3_S5_N6thrust23THRUST_200600_302600_NS6detail15normal_iteratorINS8_10device_ptrIxEEEEPxNS0_8identityIxEEEE10hipError_tT2_T3_mT4_P12ihipStream_tbEUlT_E_NS1_11comp_targetILNS1_3genE2ELNS1_11target_archE906ELNS1_3gpuE6ELNS1_3repE0EEENS1_30default_config_static_selectorELNS0_4arch9wavefront6targetE1EEEvT1_.private_seg_size, 0
	.set _ZN7rocprim17ROCPRIM_400000_NS6detail17trampoline_kernelINS0_14default_configENS1_25transform_config_selectorIxLb0EEEZNS1_14transform_implILb0ES3_S5_N6thrust23THRUST_200600_302600_NS6detail15normal_iteratorINS8_10device_ptrIxEEEEPxNS0_8identityIxEEEE10hipError_tT2_T3_mT4_P12ihipStream_tbEUlT_E_NS1_11comp_targetILNS1_3genE2ELNS1_11target_archE906ELNS1_3gpuE6ELNS1_3repE0EEENS1_30default_config_static_selectorELNS0_4arch9wavefront6targetE1EEEvT1_.uses_vcc, 0
	.set _ZN7rocprim17ROCPRIM_400000_NS6detail17trampoline_kernelINS0_14default_configENS1_25transform_config_selectorIxLb0EEEZNS1_14transform_implILb0ES3_S5_N6thrust23THRUST_200600_302600_NS6detail15normal_iteratorINS8_10device_ptrIxEEEEPxNS0_8identityIxEEEE10hipError_tT2_T3_mT4_P12ihipStream_tbEUlT_E_NS1_11comp_targetILNS1_3genE2ELNS1_11target_archE906ELNS1_3gpuE6ELNS1_3repE0EEENS1_30default_config_static_selectorELNS0_4arch9wavefront6targetE1EEEvT1_.uses_flat_scratch, 0
	.set _ZN7rocprim17ROCPRIM_400000_NS6detail17trampoline_kernelINS0_14default_configENS1_25transform_config_selectorIxLb0EEEZNS1_14transform_implILb0ES3_S5_N6thrust23THRUST_200600_302600_NS6detail15normal_iteratorINS8_10device_ptrIxEEEEPxNS0_8identityIxEEEE10hipError_tT2_T3_mT4_P12ihipStream_tbEUlT_E_NS1_11comp_targetILNS1_3genE2ELNS1_11target_archE906ELNS1_3gpuE6ELNS1_3repE0EEENS1_30default_config_static_selectorELNS0_4arch9wavefront6targetE1EEEvT1_.has_dyn_sized_stack, 0
	.set _ZN7rocprim17ROCPRIM_400000_NS6detail17trampoline_kernelINS0_14default_configENS1_25transform_config_selectorIxLb0EEEZNS1_14transform_implILb0ES3_S5_N6thrust23THRUST_200600_302600_NS6detail15normal_iteratorINS8_10device_ptrIxEEEEPxNS0_8identityIxEEEE10hipError_tT2_T3_mT4_P12ihipStream_tbEUlT_E_NS1_11comp_targetILNS1_3genE2ELNS1_11target_archE906ELNS1_3gpuE6ELNS1_3repE0EEENS1_30default_config_static_selectorELNS0_4arch9wavefront6targetE1EEEvT1_.has_recursion, 0
	.set _ZN7rocprim17ROCPRIM_400000_NS6detail17trampoline_kernelINS0_14default_configENS1_25transform_config_selectorIxLb0EEEZNS1_14transform_implILb0ES3_S5_N6thrust23THRUST_200600_302600_NS6detail15normal_iteratorINS8_10device_ptrIxEEEEPxNS0_8identityIxEEEE10hipError_tT2_T3_mT4_P12ihipStream_tbEUlT_E_NS1_11comp_targetILNS1_3genE2ELNS1_11target_archE906ELNS1_3gpuE6ELNS1_3repE0EEENS1_30default_config_static_selectorELNS0_4arch9wavefront6targetE1EEEvT1_.has_indirect_call, 0
	.section	.AMDGPU.csdata,"",@progbits
; Kernel info:
; codeLenInByte = 0
; TotalNumSgprs: 6
; NumVgprs: 0
; NumAgprs: 0
; TotalNumVgprs: 0
; ScratchSize: 0
; MemoryBound: 0
; FloatMode: 240
; IeeeMode: 1
; LDSByteSize: 0 bytes/workgroup (compile time only)
; SGPRBlocks: 0
; VGPRBlocks: 0
; NumSGPRsForWavesPerEU: 6
; NumVGPRsForWavesPerEU: 1
; AccumOffset: 4
; Occupancy: 8
; WaveLimiterHint : 0
; COMPUTE_PGM_RSRC2:SCRATCH_EN: 0
; COMPUTE_PGM_RSRC2:USER_SGPR: 2
; COMPUTE_PGM_RSRC2:TRAP_HANDLER: 0
; COMPUTE_PGM_RSRC2:TGID_X_EN: 1
; COMPUTE_PGM_RSRC2:TGID_Y_EN: 0
; COMPUTE_PGM_RSRC2:TGID_Z_EN: 0
; COMPUTE_PGM_RSRC2:TIDIG_COMP_CNT: 0
; COMPUTE_PGM_RSRC3_GFX90A:ACCUM_OFFSET: 0
; COMPUTE_PGM_RSRC3_GFX90A:TG_SPLIT: 0
	.section	.text._ZN7rocprim17ROCPRIM_400000_NS6detail17trampoline_kernelINS0_14default_configENS1_25transform_config_selectorIxLb0EEEZNS1_14transform_implILb0ES3_S5_N6thrust23THRUST_200600_302600_NS6detail15normal_iteratorINS8_10device_ptrIxEEEEPxNS0_8identityIxEEEE10hipError_tT2_T3_mT4_P12ihipStream_tbEUlT_E_NS1_11comp_targetILNS1_3genE10ELNS1_11target_archE1201ELNS1_3gpuE5ELNS1_3repE0EEENS1_30default_config_static_selectorELNS0_4arch9wavefront6targetE1EEEvT1_,"axG",@progbits,_ZN7rocprim17ROCPRIM_400000_NS6detail17trampoline_kernelINS0_14default_configENS1_25transform_config_selectorIxLb0EEEZNS1_14transform_implILb0ES3_S5_N6thrust23THRUST_200600_302600_NS6detail15normal_iteratorINS8_10device_ptrIxEEEEPxNS0_8identityIxEEEE10hipError_tT2_T3_mT4_P12ihipStream_tbEUlT_E_NS1_11comp_targetILNS1_3genE10ELNS1_11target_archE1201ELNS1_3gpuE5ELNS1_3repE0EEENS1_30default_config_static_selectorELNS0_4arch9wavefront6targetE1EEEvT1_,comdat
	.protected	_ZN7rocprim17ROCPRIM_400000_NS6detail17trampoline_kernelINS0_14default_configENS1_25transform_config_selectorIxLb0EEEZNS1_14transform_implILb0ES3_S5_N6thrust23THRUST_200600_302600_NS6detail15normal_iteratorINS8_10device_ptrIxEEEEPxNS0_8identityIxEEEE10hipError_tT2_T3_mT4_P12ihipStream_tbEUlT_E_NS1_11comp_targetILNS1_3genE10ELNS1_11target_archE1201ELNS1_3gpuE5ELNS1_3repE0EEENS1_30default_config_static_selectorELNS0_4arch9wavefront6targetE1EEEvT1_ ; -- Begin function _ZN7rocprim17ROCPRIM_400000_NS6detail17trampoline_kernelINS0_14default_configENS1_25transform_config_selectorIxLb0EEEZNS1_14transform_implILb0ES3_S5_N6thrust23THRUST_200600_302600_NS6detail15normal_iteratorINS8_10device_ptrIxEEEEPxNS0_8identityIxEEEE10hipError_tT2_T3_mT4_P12ihipStream_tbEUlT_E_NS1_11comp_targetILNS1_3genE10ELNS1_11target_archE1201ELNS1_3gpuE5ELNS1_3repE0EEENS1_30default_config_static_selectorELNS0_4arch9wavefront6targetE1EEEvT1_
	.globl	_ZN7rocprim17ROCPRIM_400000_NS6detail17trampoline_kernelINS0_14default_configENS1_25transform_config_selectorIxLb0EEEZNS1_14transform_implILb0ES3_S5_N6thrust23THRUST_200600_302600_NS6detail15normal_iteratorINS8_10device_ptrIxEEEEPxNS0_8identityIxEEEE10hipError_tT2_T3_mT4_P12ihipStream_tbEUlT_E_NS1_11comp_targetILNS1_3genE10ELNS1_11target_archE1201ELNS1_3gpuE5ELNS1_3repE0EEENS1_30default_config_static_selectorELNS0_4arch9wavefront6targetE1EEEvT1_
	.p2align	8
	.type	_ZN7rocprim17ROCPRIM_400000_NS6detail17trampoline_kernelINS0_14default_configENS1_25transform_config_selectorIxLb0EEEZNS1_14transform_implILb0ES3_S5_N6thrust23THRUST_200600_302600_NS6detail15normal_iteratorINS8_10device_ptrIxEEEEPxNS0_8identityIxEEEE10hipError_tT2_T3_mT4_P12ihipStream_tbEUlT_E_NS1_11comp_targetILNS1_3genE10ELNS1_11target_archE1201ELNS1_3gpuE5ELNS1_3repE0EEENS1_30default_config_static_selectorELNS0_4arch9wavefront6targetE1EEEvT1_,@function
_ZN7rocprim17ROCPRIM_400000_NS6detail17trampoline_kernelINS0_14default_configENS1_25transform_config_selectorIxLb0EEEZNS1_14transform_implILb0ES3_S5_N6thrust23THRUST_200600_302600_NS6detail15normal_iteratorINS8_10device_ptrIxEEEEPxNS0_8identityIxEEEE10hipError_tT2_T3_mT4_P12ihipStream_tbEUlT_E_NS1_11comp_targetILNS1_3genE10ELNS1_11target_archE1201ELNS1_3gpuE5ELNS1_3repE0EEENS1_30default_config_static_selectorELNS0_4arch9wavefront6targetE1EEEvT1_: ; @_ZN7rocprim17ROCPRIM_400000_NS6detail17trampoline_kernelINS0_14default_configENS1_25transform_config_selectorIxLb0EEEZNS1_14transform_implILb0ES3_S5_N6thrust23THRUST_200600_302600_NS6detail15normal_iteratorINS8_10device_ptrIxEEEEPxNS0_8identityIxEEEE10hipError_tT2_T3_mT4_P12ihipStream_tbEUlT_E_NS1_11comp_targetILNS1_3genE10ELNS1_11target_archE1201ELNS1_3gpuE5ELNS1_3repE0EEENS1_30default_config_static_selectorELNS0_4arch9wavefront6targetE1EEEvT1_
; %bb.0:
	.section	.rodata,"a",@progbits
	.p2align	6, 0x0
	.amdhsa_kernel _ZN7rocprim17ROCPRIM_400000_NS6detail17trampoline_kernelINS0_14default_configENS1_25transform_config_selectorIxLb0EEEZNS1_14transform_implILb0ES3_S5_N6thrust23THRUST_200600_302600_NS6detail15normal_iteratorINS8_10device_ptrIxEEEEPxNS0_8identityIxEEEE10hipError_tT2_T3_mT4_P12ihipStream_tbEUlT_E_NS1_11comp_targetILNS1_3genE10ELNS1_11target_archE1201ELNS1_3gpuE5ELNS1_3repE0EEENS1_30default_config_static_selectorELNS0_4arch9wavefront6targetE1EEEvT1_
		.amdhsa_group_segment_fixed_size 0
		.amdhsa_private_segment_fixed_size 0
		.amdhsa_kernarg_size 40
		.amdhsa_user_sgpr_count 2
		.amdhsa_user_sgpr_dispatch_ptr 0
		.amdhsa_user_sgpr_queue_ptr 0
		.amdhsa_user_sgpr_kernarg_segment_ptr 1
		.amdhsa_user_sgpr_dispatch_id 0
		.amdhsa_user_sgpr_kernarg_preload_length 0
		.amdhsa_user_sgpr_kernarg_preload_offset 0
		.amdhsa_user_sgpr_private_segment_size 0
		.amdhsa_uses_dynamic_stack 0
		.amdhsa_enable_private_segment 0
		.amdhsa_system_sgpr_workgroup_id_x 1
		.amdhsa_system_sgpr_workgroup_id_y 0
		.amdhsa_system_sgpr_workgroup_id_z 0
		.amdhsa_system_sgpr_workgroup_info 0
		.amdhsa_system_vgpr_workitem_id 0
		.amdhsa_next_free_vgpr 1
		.amdhsa_next_free_sgpr 0
		.amdhsa_accum_offset 4
		.amdhsa_reserve_vcc 0
		.amdhsa_float_round_mode_32 0
		.amdhsa_float_round_mode_16_64 0
		.amdhsa_float_denorm_mode_32 3
		.amdhsa_float_denorm_mode_16_64 3
		.amdhsa_dx10_clamp 1
		.amdhsa_ieee_mode 1
		.amdhsa_fp16_overflow 0
		.amdhsa_tg_split 0
		.amdhsa_exception_fp_ieee_invalid_op 0
		.amdhsa_exception_fp_denorm_src 0
		.amdhsa_exception_fp_ieee_div_zero 0
		.amdhsa_exception_fp_ieee_overflow 0
		.amdhsa_exception_fp_ieee_underflow 0
		.amdhsa_exception_fp_ieee_inexact 0
		.amdhsa_exception_int_div_zero 0
	.end_amdhsa_kernel
	.section	.text._ZN7rocprim17ROCPRIM_400000_NS6detail17trampoline_kernelINS0_14default_configENS1_25transform_config_selectorIxLb0EEEZNS1_14transform_implILb0ES3_S5_N6thrust23THRUST_200600_302600_NS6detail15normal_iteratorINS8_10device_ptrIxEEEEPxNS0_8identityIxEEEE10hipError_tT2_T3_mT4_P12ihipStream_tbEUlT_E_NS1_11comp_targetILNS1_3genE10ELNS1_11target_archE1201ELNS1_3gpuE5ELNS1_3repE0EEENS1_30default_config_static_selectorELNS0_4arch9wavefront6targetE1EEEvT1_,"axG",@progbits,_ZN7rocprim17ROCPRIM_400000_NS6detail17trampoline_kernelINS0_14default_configENS1_25transform_config_selectorIxLb0EEEZNS1_14transform_implILb0ES3_S5_N6thrust23THRUST_200600_302600_NS6detail15normal_iteratorINS8_10device_ptrIxEEEEPxNS0_8identityIxEEEE10hipError_tT2_T3_mT4_P12ihipStream_tbEUlT_E_NS1_11comp_targetILNS1_3genE10ELNS1_11target_archE1201ELNS1_3gpuE5ELNS1_3repE0EEENS1_30default_config_static_selectorELNS0_4arch9wavefront6targetE1EEEvT1_,comdat
.Lfunc_end1193:
	.size	_ZN7rocprim17ROCPRIM_400000_NS6detail17trampoline_kernelINS0_14default_configENS1_25transform_config_selectorIxLb0EEEZNS1_14transform_implILb0ES3_S5_N6thrust23THRUST_200600_302600_NS6detail15normal_iteratorINS8_10device_ptrIxEEEEPxNS0_8identityIxEEEE10hipError_tT2_T3_mT4_P12ihipStream_tbEUlT_E_NS1_11comp_targetILNS1_3genE10ELNS1_11target_archE1201ELNS1_3gpuE5ELNS1_3repE0EEENS1_30default_config_static_selectorELNS0_4arch9wavefront6targetE1EEEvT1_, .Lfunc_end1193-_ZN7rocprim17ROCPRIM_400000_NS6detail17trampoline_kernelINS0_14default_configENS1_25transform_config_selectorIxLb0EEEZNS1_14transform_implILb0ES3_S5_N6thrust23THRUST_200600_302600_NS6detail15normal_iteratorINS8_10device_ptrIxEEEEPxNS0_8identityIxEEEE10hipError_tT2_T3_mT4_P12ihipStream_tbEUlT_E_NS1_11comp_targetILNS1_3genE10ELNS1_11target_archE1201ELNS1_3gpuE5ELNS1_3repE0EEENS1_30default_config_static_selectorELNS0_4arch9wavefront6targetE1EEEvT1_
                                        ; -- End function
	.set _ZN7rocprim17ROCPRIM_400000_NS6detail17trampoline_kernelINS0_14default_configENS1_25transform_config_selectorIxLb0EEEZNS1_14transform_implILb0ES3_S5_N6thrust23THRUST_200600_302600_NS6detail15normal_iteratorINS8_10device_ptrIxEEEEPxNS0_8identityIxEEEE10hipError_tT2_T3_mT4_P12ihipStream_tbEUlT_E_NS1_11comp_targetILNS1_3genE10ELNS1_11target_archE1201ELNS1_3gpuE5ELNS1_3repE0EEENS1_30default_config_static_selectorELNS0_4arch9wavefront6targetE1EEEvT1_.num_vgpr, 0
	.set _ZN7rocprim17ROCPRIM_400000_NS6detail17trampoline_kernelINS0_14default_configENS1_25transform_config_selectorIxLb0EEEZNS1_14transform_implILb0ES3_S5_N6thrust23THRUST_200600_302600_NS6detail15normal_iteratorINS8_10device_ptrIxEEEEPxNS0_8identityIxEEEE10hipError_tT2_T3_mT4_P12ihipStream_tbEUlT_E_NS1_11comp_targetILNS1_3genE10ELNS1_11target_archE1201ELNS1_3gpuE5ELNS1_3repE0EEENS1_30default_config_static_selectorELNS0_4arch9wavefront6targetE1EEEvT1_.num_agpr, 0
	.set _ZN7rocprim17ROCPRIM_400000_NS6detail17trampoline_kernelINS0_14default_configENS1_25transform_config_selectorIxLb0EEEZNS1_14transform_implILb0ES3_S5_N6thrust23THRUST_200600_302600_NS6detail15normal_iteratorINS8_10device_ptrIxEEEEPxNS0_8identityIxEEEE10hipError_tT2_T3_mT4_P12ihipStream_tbEUlT_E_NS1_11comp_targetILNS1_3genE10ELNS1_11target_archE1201ELNS1_3gpuE5ELNS1_3repE0EEENS1_30default_config_static_selectorELNS0_4arch9wavefront6targetE1EEEvT1_.numbered_sgpr, 0
	.set _ZN7rocprim17ROCPRIM_400000_NS6detail17trampoline_kernelINS0_14default_configENS1_25transform_config_selectorIxLb0EEEZNS1_14transform_implILb0ES3_S5_N6thrust23THRUST_200600_302600_NS6detail15normal_iteratorINS8_10device_ptrIxEEEEPxNS0_8identityIxEEEE10hipError_tT2_T3_mT4_P12ihipStream_tbEUlT_E_NS1_11comp_targetILNS1_3genE10ELNS1_11target_archE1201ELNS1_3gpuE5ELNS1_3repE0EEENS1_30default_config_static_selectorELNS0_4arch9wavefront6targetE1EEEvT1_.num_named_barrier, 0
	.set _ZN7rocprim17ROCPRIM_400000_NS6detail17trampoline_kernelINS0_14default_configENS1_25transform_config_selectorIxLb0EEEZNS1_14transform_implILb0ES3_S5_N6thrust23THRUST_200600_302600_NS6detail15normal_iteratorINS8_10device_ptrIxEEEEPxNS0_8identityIxEEEE10hipError_tT2_T3_mT4_P12ihipStream_tbEUlT_E_NS1_11comp_targetILNS1_3genE10ELNS1_11target_archE1201ELNS1_3gpuE5ELNS1_3repE0EEENS1_30default_config_static_selectorELNS0_4arch9wavefront6targetE1EEEvT1_.private_seg_size, 0
	.set _ZN7rocprim17ROCPRIM_400000_NS6detail17trampoline_kernelINS0_14default_configENS1_25transform_config_selectorIxLb0EEEZNS1_14transform_implILb0ES3_S5_N6thrust23THRUST_200600_302600_NS6detail15normal_iteratorINS8_10device_ptrIxEEEEPxNS0_8identityIxEEEE10hipError_tT2_T3_mT4_P12ihipStream_tbEUlT_E_NS1_11comp_targetILNS1_3genE10ELNS1_11target_archE1201ELNS1_3gpuE5ELNS1_3repE0EEENS1_30default_config_static_selectorELNS0_4arch9wavefront6targetE1EEEvT1_.uses_vcc, 0
	.set _ZN7rocprim17ROCPRIM_400000_NS6detail17trampoline_kernelINS0_14default_configENS1_25transform_config_selectorIxLb0EEEZNS1_14transform_implILb0ES3_S5_N6thrust23THRUST_200600_302600_NS6detail15normal_iteratorINS8_10device_ptrIxEEEEPxNS0_8identityIxEEEE10hipError_tT2_T3_mT4_P12ihipStream_tbEUlT_E_NS1_11comp_targetILNS1_3genE10ELNS1_11target_archE1201ELNS1_3gpuE5ELNS1_3repE0EEENS1_30default_config_static_selectorELNS0_4arch9wavefront6targetE1EEEvT1_.uses_flat_scratch, 0
	.set _ZN7rocprim17ROCPRIM_400000_NS6detail17trampoline_kernelINS0_14default_configENS1_25transform_config_selectorIxLb0EEEZNS1_14transform_implILb0ES3_S5_N6thrust23THRUST_200600_302600_NS6detail15normal_iteratorINS8_10device_ptrIxEEEEPxNS0_8identityIxEEEE10hipError_tT2_T3_mT4_P12ihipStream_tbEUlT_E_NS1_11comp_targetILNS1_3genE10ELNS1_11target_archE1201ELNS1_3gpuE5ELNS1_3repE0EEENS1_30default_config_static_selectorELNS0_4arch9wavefront6targetE1EEEvT1_.has_dyn_sized_stack, 0
	.set _ZN7rocprim17ROCPRIM_400000_NS6detail17trampoline_kernelINS0_14default_configENS1_25transform_config_selectorIxLb0EEEZNS1_14transform_implILb0ES3_S5_N6thrust23THRUST_200600_302600_NS6detail15normal_iteratorINS8_10device_ptrIxEEEEPxNS0_8identityIxEEEE10hipError_tT2_T3_mT4_P12ihipStream_tbEUlT_E_NS1_11comp_targetILNS1_3genE10ELNS1_11target_archE1201ELNS1_3gpuE5ELNS1_3repE0EEENS1_30default_config_static_selectorELNS0_4arch9wavefront6targetE1EEEvT1_.has_recursion, 0
	.set _ZN7rocprim17ROCPRIM_400000_NS6detail17trampoline_kernelINS0_14default_configENS1_25transform_config_selectorIxLb0EEEZNS1_14transform_implILb0ES3_S5_N6thrust23THRUST_200600_302600_NS6detail15normal_iteratorINS8_10device_ptrIxEEEEPxNS0_8identityIxEEEE10hipError_tT2_T3_mT4_P12ihipStream_tbEUlT_E_NS1_11comp_targetILNS1_3genE10ELNS1_11target_archE1201ELNS1_3gpuE5ELNS1_3repE0EEENS1_30default_config_static_selectorELNS0_4arch9wavefront6targetE1EEEvT1_.has_indirect_call, 0
	.section	.AMDGPU.csdata,"",@progbits
; Kernel info:
; codeLenInByte = 0
; TotalNumSgprs: 6
; NumVgprs: 0
; NumAgprs: 0
; TotalNumVgprs: 0
; ScratchSize: 0
; MemoryBound: 0
; FloatMode: 240
; IeeeMode: 1
; LDSByteSize: 0 bytes/workgroup (compile time only)
; SGPRBlocks: 0
; VGPRBlocks: 0
; NumSGPRsForWavesPerEU: 6
; NumVGPRsForWavesPerEU: 1
; AccumOffset: 4
; Occupancy: 8
; WaveLimiterHint : 0
; COMPUTE_PGM_RSRC2:SCRATCH_EN: 0
; COMPUTE_PGM_RSRC2:USER_SGPR: 2
; COMPUTE_PGM_RSRC2:TRAP_HANDLER: 0
; COMPUTE_PGM_RSRC2:TGID_X_EN: 1
; COMPUTE_PGM_RSRC2:TGID_Y_EN: 0
; COMPUTE_PGM_RSRC2:TGID_Z_EN: 0
; COMPUTE_PGM_RSRC2:TIDIG_COMP_CNT: 0
; COMPUTE_PGM_RSRC3_GFX90A:ACCUM_OFFSET: 0
; COMPUTE_PGM_RSRC3_GFX90A:TG_SPLIT: 0
	.section	.text._ZN7rocprim17ROCPRIM_400000_NS6detail17trampoline_kernelINS0_14default_configENS1_25transform_config_selectorIxLb0EEEZNS1_14transform_implILb0ES3_S5_N6thrust23THRUST_200600_302600_NS6detail15normal_iteratorINS8_10device_ptrIxEEEEPxNS0_8identityIxEEEE10hipError_tT2_T3_mT4_P12ihipStream_tbEUlT_E_NS1_11comp_targetILNS1_3genE10ELNS1_11target_archE1200ELNS1_3gpuE4ELNS1_3repE0EEENS1_30default_config_static_selectorELNS0_4arch9wavefront6targetE1EEEvT1_,"axG",@progbits,_ZN7rocprim17ROCPRIM_400000_NS6detail17trampoline_kernelINS0_14default_configENS1_25transform_config_selectorIxLb0EEEZNS1_14transform_implILb0ES3_S5_N6thrust23THRUST_200600_302600_NS6detail15normal_iteratorINS8_10device_ptrIxEEEEPxNS0_8identityIxEEEE10hipError_tT2_T3_mT4_P12ihipStream_tbEUlT_E_NS1_11comp_targetILNS1_3genE10ELNS1_11target_archE1200ELNS1_3gpuE4ELNS1_3repE0EEENS1_30default_config_static_selectorELNS0_4arch9wavefront6targetE1EEEvT1_,comdat
	.protected	_ZN7rocprim17ROCPRIM_400000_NS6detail17trampoline_kernelINS0_14default_configENS1_25transform_config_selectorIxLb0EEEZNS1_14transform_implILb0ES3_S5_N6thrust23THRUST_200600_302600_NS6detail15normal_iteratorINS8_10device_ptrIxEEEEPxNS0_8identityIxEEEE10hipError_tT2_T3_mT4_P12ihipStream_tbEUlT_E_NS1_11comp_targetILNS1_3genE10ELNS1_11target_archE1200ELNS1_3gpuE4ELNS1_3repE0EEENS1_30default_config_static_selectorELNS0_4arch9wavefront6targetE1EEEvT1_ ; -- Begin function _ZN7rocprim17ROCPRIM_400000_NS6detail17trampoline_kernelINS0_14default_configENS1_25transform_config_selectorIxLb0EEEZNS1_14transform_implILb0ES3_S5_N6thrust23THRUST_200600_302600_NS6detail15normal_iteratorINS8_10device_ptrIxEEEEPxNS0_8identityIxEEEE10hipError_tT2_T3_mT4_P12ihipStream_tbEUlT_E_NS1_11comp_targetILNS1_3genE10ELNS1_11target_archE1200ELNS1_3gpuE4ELNS1_3repE0EEENS1_30default_config_static_selectorELNS0_4arch9wavefront6targetE1EEEvT1_
	.globl	_ZN7rocprim17ROCPRIM_400000_NS6detail17trampoline_kernelINS0_14default_configENS1_25transform_config_selectorIxLb0EEEZNS1_14transform_implILb0ES3_S5_N6thrust23THRUST_200600_302600_NS6detail15normal_iteratorINS8_10device_ptrIxEEEEPxNS0_8identityIxEEEE10hipError_tT2_T3_mT4_P12ihipStream_tbEUlT_E_NS1_11comp_targetILNS1_3genE10ELNS1_11target_archE1200ELNS1_3gpuE4ELNS1_3repE0EEENS1_30default_config_static_selectorELNS0_4arch9wavefront6targetE1EEEvT1_
	.p2align	8
	.type	_ZN7rocprim17ROCPRIM_400000_NS6detail17trampoline_kernelINS0_14default_configENS1_25transform_config_selectorIxLb0EEEZNS1_14transform_implILb0ES3_S5_N6thrust23THRUST_200600_302600_NS6detail15normal_iteratorINS8_10device_ptrIxEEEEPxNS0_8identityIxEEEE10hipError_tT2_T3_mT4_P12ihipStream_tbEUlT_E_NS1_11comp_targetILNS1_3genE10ELNS1_11target_archE1200ELNS1_3gpuE4ELNS1_3repE0EEENS1_30default_config_static_selectorELNS0_4arch9wavefront6targetE1EEEvT1_,@function
_ZN7rocprim17ROCPRIM_400000_NS6detail17trampoline_kernelINS0_14default_configENS1_25transform_config_selectorIxLb0EEEZNS1_14transform_implILb0ES3_S5_N6thrust23THRUST_200600_302600_NS6detail15normal_iteratorINS8_10device_ptrIxEEEEPxNS0_8identityIxEEEE10hipError_tT2_T3_mT4_P12ihipStream_tbEUlT_E_NS1_11comp_targetILNS1_3genE10ELNS1_11target_archE1200ELNS1_3gpuE4ELNS1_3repE0EEENS1_30default_config_static_selectorELNS0_4arch9wavefront6targetE1EEEvT1_: ; @_ZN7rocprim17ROCPRIM_400000_NS6detail17trampoline_kernelINS0_14default_configENS1_25transform_config_selectorIxLb0EEEZNS1_14transform_implILb0ES3_S5_N6thrust23THRUST_200600_302600_NS6detail15normal_iteratorINS8_10device_ptrIxEEEEPxNS0_8identityIxEEEE10hipError_tT2_T3_mT4_P12ihipStream_tbEUlT_E_NS1_11comp_targetILNS1_3genE10ELNS1_11target_archE1200ELNS1_3gpuE4ELNS1_3repE0EEENS1_30default_config_static_selectorELNS0_4arch9wavefront6targetE1EEEvT1_
; %bb.0:
	.section	.rodata,"a",@progbits
	.p2align	6, 0x0
	.amdhsa_kernel _ZN7rocprim17ROCPRIM_400000_NS6detail17trampoline_kernelINS0_14default_configENS1_25transform_config_selectorIxLb0EEEZNS1_14transform_implILb0ES3_S5_N6thrust23THRUST_200600_302600_NS6detail15normal_iteratorINS8_10device_ptrIxEEEEPxNS0_8identityIxEEEE10hipError_tT2_T3_mT4_P12ihipStream_tbEUlT_E_NS1_11comp_targetILNS1_3genE10ELNS1_11target_archE1200ELNS1_3gpuE4ELNS1_3repE0EEENS1_30default_config_static_selectorELNS0_4arch9wavefront6targetE1EEEvT1_
		.amdhsa_group_segment_fixed_size 0
		.amdhsa_private_segment_fixed_size 0
		.amdhsa_kernarg_size 40
		.amdhsa_user_sgpr_count 2
		.amdhsa_user_sgpr_dispatch_ptr 0
		.amdhsa_user_sgpr_queue_ptr 0
		.amdhsa_user_sgpr_kernarg_segment_ptr 1
		.amdhsa_user_sgpr_dispatch_id 0
		.amdhsa_user_sgpr_kernarg_preload_length 0
		.amdhsa_user_sgpr_kernarg_preload_offset 0
		.amdhsa_user_sgpr_private_segment_size 0
		.amdhsa_uses_dynamic_stack 0
		.amdhsa_enable_private_segment 0
		.amdhsa_system_sgpr_workgroup_id_x 1
		.amdhsa_system_sgpr_workgroup_id_y 0
		.amdhsa_system_sgpr_workgroup_id_z 0
		.amdhsa_system_sgpr_workgroup_info 0
		.amdhsa_system_vgpr_workitem_id 0
		.amdhsa_next_free_vgpr 1
		.amdhsa_next_free_sgpr 0
		.amdhsa_accum_offset 4
		.amdhsa_reserve_vcc 0
		.amdhsa_float_round_mode_32 0
		.amdhsa_float_round_mode_16_64 0
		.amdhsa_float_denorm_mode_32 3
		.amdhsa_float_denorm_mode_16_64 3
		.amdhsa_dx10_clamp 1
		.amdhsa_ieee_mode 1
		.amdhsa_fp16_overflow 0
		.amdhsa_tg_split 0
		.amdhsa_exception_fp_ieee_invalid_op 0
		.amdhsa_exception_fp_denorm_src 0
		.amdhsa_exception_fp_ieee_div_zero 0
		.amdhsa_exception_fp_ieee_overflow 0
		.amdhsa_exception_fp_ieee_underflow 0
		.amdhsa_exception_fp_ieee_inexact 0
		.amdhsa_exception_int_div_zero 0
	.end_amdhsa_kernel
	.section	.text._ZN7rocprim17ROCPRIM_400000_NS6detail17trampoline_kernelINS0_14default_configENS1_25transform_config_selectorIxLb0EEEZNS1_14transform_implILb0ES3_S5_N6thrust23THRUST_200600_302600_NS6detail15normal_iteratorINS8_10device_ptrIxEEEEPxNS0_8identityIxEEEE10hipError_tT2_T3_mT4_P12ihipStream_tbEUlT_E_NS1_11comp_targetILNS1_3genE10ELNS1_11target_archE1200ELNS1_3gpuE4ELNS1_3repE0EEENS1_30default_config_static_selectorELNS0_4arch9wavefront6targetE1EEEvT1_,"axG",@progbits,_ZN7rocprim17ROCPRIM_400000_NS6detail17trampoline_kernelINS0_14default_configENS1_25transform_config_selectorIxLb0EEEZNS1_14transform_implILb0ES3_S5_N6thrust23THRUST_200600_302600_NS6detail15normal_iteratorINS8_10device_ptrIxEEEEPxNS0_8identityIxEEEE10hipError_tT2_T3_mT4_P12ihipStream_tbEUlT_E_NS1_11comp_targetILNS1_3genE10ELNS1_11target_archE1200ELNS1_3gpuE4ELNS1_3repE0EEENS1_30default_config_static_selectorELNS0_4arch9wavefront6targetE1EEEvT1_,comdat
.Lfunc_end1194:
	.size	_ZN7rocprim17ROCPRIM_400000_NS6detail17trampoline_kernelINS0_14default_configENS1_25transform_config_selectorIxLb0EEEZNS1_14transform_implILb0ES3_S5_N6thrust23THRUST_200600_302600_NS6detail15normal_iteratorINS8_10device_ptrIxEEEEPxNS0_8identityIxEEEE10hipError_tT2_T3_mT4_P12ihipStream_tbEUlT_E_NS1_11comp_targetILNS1_3genE10ELNS1_11target_archE1200ELNS1_3gpuE4ELNS1_3repE0EEENS1_30default_config_static_selectorELNS0_4arch9wavefront6targetE1EEEvT1_, .Lfunc_end1194-_ZN7rocprim17ROCPRIM_400000_NS6detail17trampoline_kernelINS0_14default_configENS1_25transform_config_selectorIxLb0EEEZNS1_14transform_implILb0ES3_S5_N6thrust23THRUST_200600_302600_NS6detail15normal_iteratorINS8_10device_ptrIxEEEEPxNS0_8identityIxEEEE10hipError_tT2_T3_mT4_P12ihipStream_tbEUlT_E_NS1_11comp_targetILNS1_3genE10ELNS1_11target_archE1200ELNS1_3gpuE4ELNS1_3repE0EEENS1_30default_config_static_selectorELNS0_4arch9wavefront6targetE1EEEvT1_
                                        ; -- End function
	.set _ZN7rocprim17ROCPRIM_400000_NS6detail17trampoline_kernelINS0_14default_configENS1_25transform_config_selectorIxLb0EEEZNS1_14transform_implILb0ES3_S5_N6thrust23THRUST_200600_302600_NS6detail15normal_iteratorINS8_10device_ptrIxEEEEPxNS0_8identityIxEEEE10hipError_tT2_T3_mT4_P12ihipStream_tbEUlT_E_NS1_11comp_targetILNS1_3genE10ELNS1_11target_archE1200ELNS1_3gpuE4ELNS1_3repE0EEENS1_30default_config_static_selectorELNS0_4arch9wavefront6targetE1EEEvT1_.num_vgpr, 0
	.set _ZN7rocprim17ROCPRIM_400000_NS6detail17trampoline_kernelINS0_14default_configENS1_25transform_config_selectorIxLb0EEEZNS1_14transform_implILb0ES3_S5_N6thrust23THRUST_200600_302600_NS6detail15normal_iteratorINS8_10device_ptrIxEEEEPxNS0_8identityIxEEEE10hipError_tT2_T3_mT4_P12ihipStream_tbEUlT_E_NS1_11comp_targetILNS1_3genE10ELNS1_11target_archE1200ELNS1_3gpuE4ELNS1_3repE0EEENS1_30default_config_static_selectorELNS0_4arch9wavefront6targetE1EEEvT1_.num_agpr, 0
	.set _ZN7rocprim17ROCPRIM_400000_NS6detail17trampoline_kernelINS0_14default_configENS1_25transform_config_selectorIxLb0EEEZNS1_14transform_implILb0ES3_S5_N6thrust23THRUST_200600_302600_NS6detail15normal_iteratorINS8_10device_ptrIxEEEEPxNS0_8identityIxEEEE10hipError_tT2_T3_mT4_P12ihipStream_tbEUlT_E_NS1_11comp_targetILNS1_3genE10ELNS1_11target_archE1200ELNS1_3gpuE4ELNS1_3repE0EEENS1_30default_config_static_selectorELNS0_4arch9wavefront6targetE1EEEvT1_.numbered_sgpr, 0
	.set _ZN7rocprim17ROCPRIM_400000_NS6detail17trampoline_kernelINS0_14default_configENS1_25transform_config_selectorIxLb0EEEZNS1_14transform_implILb0ES3_S5_N6thrust23THRUST_200600_302600_NS6detail15normal_iteratorINS8_10device_ptrIxEEEEPxNS0_8identityIxEEEE10hipError_tT2_T3_mT4_P12ihipStream_tbEUlT_E_NS1_11comp_targetILNS1_3genE10ELNS1_11target_archE1200ELNS1_3gpuE4ELNS1_3repE0EEENS1_30default_config_static_selectorELNS0_4arch9wavefront6targetE1EEEvT1_.num_named_barrier, 0
	.set _ZN7rocprim17ROCPRIM_400000_NS6detail17trampoline_kernelINS0_14default_configENS1_25transform_config_selectorIxLb0EEEZNS1_14transform_implILb0ES3_S5_N6thrust23THRUST_200600_302600_NS6detail15normal_iteratorINS8_10device_ptrIxEEEEPxNS0_8identityIxEEEE10hipError_tT2_T3_mT4_P12ihipStream_tbEUlT_E_NS1_11comp_targetILNS1_3genE10ELNS1_11target_archE1200ELNS1_3gpuE4ELNS1_3repE0EEENS1_30default_config_static_selectorELNS0_4arch9wavefront6targetE1EEEvT1_.private_seg_size, 0
	.set _ZN7rocprim17ROCPRIM_400000_NS6detail17trampoline_kernelINS0_14default_configENS1_25transform_config_selectorIxLb0EEEZNS1_14transform_implILb0ES3_S5_N6thrust23THRUST_200600_302600_NS6detail15normal_iteratorINS8_10device_ptrIxEEEEPxNS0_8identityIxEEEE10hipError_tT2_T3_mT4_P12ihipStream_tbEUlT_E_NS1_11comp_targetILNS1_3genE10ELNS1_11target_archE1200ELNS1_3gpuE4ELNS1_3repE0EEENS1_30default_config_static_selectorELNS0_4arch9wavefront6targetE1EEEvT1_.uses_vcc, 0
	.set _ZN7rocprim17ROCPRIM_400000_NS6detail17trampoline_kernelINS0_14default_configENS1_25transform_config_selectorIxLb0EEEZNS1_14transform_implILb0ES3_S5_N6thrust23THRUST_200600_302600_NS6detail15normal_iteratorINS8_10device_ptrIxEEEEPxNS0_8identityIxEEEE10hipError_tT2_T3_mT4_P12ihipStream_tbEUlT_E_NS1_11comp_targetILNS1_3genE10ELNS1_11target_archE1200ELNS1_3gpuE4ELNS1_3repE0EEENS1_30default_config_static_selectorELNS0_4arch9wavefront6targetE1EEEvT1_.uses_flat_scratch, 0
	.set _ZN7rocprim17ROCPRIM_400000_NS6detail17trampoline_kernelINS0_14default_configENS1_25transform_config_selectorIxLb0EEEZNS1_14transform_implILb0ES3_S5_N6thrust23THRUST_200600_302600_NS6detail15normal_iteratorINS8_10device_ptrIxEEEEPxNS0_8identityIxEEEE10hipError_tT2_T3_mT4_P12ihipStream_tbEUlT_E_NS1_11comp_targetILNS1_3genE10ELNS1_11target_archE1200ELNS1_3gpuE4ELNS1_3repE0EEENS1_30default_config_static_selectorELNS0_4arch9wavefront6targetE1EEEvT1_.has_dyn_sized_stack, 0
	.set _ZN7rocprim17ROCPRIM_400000_NS6detail17trampoline_kernelINS0_14default_configENS1_25transform_config_selectorIxLb0EEEZNS1_14transform_implILb0ES3_S5_N6thrust23THRUST_200600_302600_NS6detail15normal_iteratorINS8_10device_ptrIxEEEEPxNS0_8identityIxEEEE10hipError_tT2_T3_mT4_P12ihipStream_tbEUlT_E_NS1_11comp_targetILNS1_3genE10ELNS1_11target_archE1200ELNS1_3gpuE4ELNS1_3repE0EEENS1_30default_config_static_selectorELNS0_4arch9wavefront6targetE1EEEvT1_.has_recursion, 0
	.set _ZN7rocprim17ROCPRIM_400000_NS6detail17trampoline_kernelINS0_14default_configENS1_25transform_config_selectorIxLb0EEEZNS1_14transform_implILb0ES3_S5_N6thrust23THRUST_200600_302600_NS6detail15normal_iteratorINS8_10device_ptrIxEEEEPxNS0_8identityIxEEEE10hipError_tT2_T3_mT4_P12ihipStream_tbEUlT_E_NS1_11comp_targetILNS1_3genE10ELNS1_11target_archE1200ELNS1_3gpuE4ELNS1_3repE0EEENS1_30default_config_static_selectorELNS0_4arch9wavefront6targetE1EEEvT1_.has_indirect_call, 0
	.section	.AMDGPU.csdata,"",@progbits
; Kernel info:
; codeLenInByte = 0
; TotalNumSgprs: 6
; NumVgprs: 0
; NumAgprs: 0
; TotalNumVgprs: 0
; ScratchSize: 0
; MemoryBound: 0
; FloatMode: 240
; IeeeMode: 1
; LDSByteSize: 0 bytes/workgroup (compile time only)
; SGPRBlocks: 0
; VGPRBlocks: 0
; NumSGPRsForWavesPerEU: 6
; NumVGPRsForWavesPerEU: 1
; AccumOffset: 4
; Occupancy: 8
; WaveLimiterHint : 0
; COMPUTE_PGM_RSRC2:SCRATCH_EN: 0
; COMPUTE_PGM_RSRC2:USER_SGPR: 2
; COMPUTE_PGM_RSRC2:TRAP_HANDLER: 0
; COMPUTE_PGM_RSRC2:TGID_X_EN: 1
; COMPUTE_PGM_RSRC2:TGID_Y_EN: 0
; COMPUTE_PGM_RSRC2:TGID_Z_EN: 0
; COMPUTE_PGM_RSRC2:TIDIG_COMP_CNT: 0
; COMPUTE_PGM_RSRC3_GFX90A:ACCUM_OFFSET: 0
; COMPUTE_PGM_RSRC3_GFX90A:TG_SPLIT: 0
	.section	.text._ZN7rocprim17ROCPRIM_400000_NS6detail17trampoline_kernelINS0_14default_configENS1_25transform_config_selectorIxLb0EEEZNS1_14transform_implILb0ES3_S5_N6thrust23THRUST_200600_302600_NS6detail15normal_iteratorINS8_10device_ptrIxEEEEPxNS0_8identityIxEEEE10hipError_tT2_T3_mT4_P12ihipStream_tbEUlT_E_NS1_11comp_targetILNS1_3genE9ELNS1_11target_archE1100ELNS1_3gpuE3ELNS1_3repE0EEENS1_30default_config_static_selectorELNS0_4arch9wavefront6targetE1EEEvT1_,"axG",@progbits,_ZN7rocprim17ROCPRIM_400000_NS6detail17trampoline_kernelINS0_14default_configENS1_25transform_config_selectorIxLb0EEEZNS1_14transform_implILb0ES3_S5_N6thrust23THRUST_200600_302600_NS6detail15normal_iteratorINS8_10device_ptrIxEEEEPxNS0_8identityIxEEEE10hipError_tT2_T3_mT4_P12ihipStream_tbEUlT_E_NS1_11comp_targetILNS1_3genE9ELNS1_11target_archE1100ELNS1_3gpuE3ELNS1_3repE0EEENS1_30default_config_static_selectorELNS0_4arch9wavefront6targetE1EEEvT1_,comdat
	.protected	_ZN7rocprim17ROCPRIM_400000_NS6detail17trampoline_kernelINS0_14default_configENS1_25transform_config_selectorIxLb0EEEZNS1_14transform_implILb0ES3_S5_N6thrust23THRUST_200600_302600_NS6detail15normal_iteratorINS8_10device_ptrIxEEEEPxNS0_8identityIxEEEE10hipError_tT2_T3_mT4_P12ihipStream_tbEUlT_E_NS1_11comp_targetILNS1_3genE9ELNS1_11target_archE1100ELNS1_3gpuE3ELNS1_3repE0EEENS1_30default_config_static_selectorELNS0_4arch9wavefront6targetE1EEEvT1_ ; -- Begin function _ZN7rocprim17ROCPRIM_400000_NS6detail17trampoline_kernelINS0_14default_configENS1_25transform_config_selectorIxLb0EEEZNS1_14transform_implILb0ES3_S5_N6thrust23THRUST_200600_302600_NS6detail15normal_iteratorINS8_10device_ptrIxEEEEPxNS0_8identityIxEEEE10hipError_tT2_T3_mT4_P12ihipStream_tbEUlT_E_NS1_11comp_targetILNS1_3genE9ELNS1_11target_archE1100ELNS1_3gpuE3ELNS1_3repE0EEENS1_30default_config_static_selectorELNS0_4arch9wavefront6targetE1EEEvT1_
	.globl	_ZN7rocprim17ROCPRIM_400000_NS6detail17trampoline_kernelINS0_14default_configENS1_25transform_config_selectorIxLb0EEEZNS1_14transform_implILb0ES3_S5_N6thrust23THRUST_200600_302600_NS6detail15normal_iteratorINS8_10device_ptrIxEEEEPxNS0_8identityIxEEEE10hipError_tT2_T3_mT4_P12ihipStream_tbEUlT_E_NS1_11comp_targetILNS1_3genE9ELNS1_11target_archE1100ELNS1_3gpuE3ELNS1_3repE0EEENS1_30default_config_static_selectorELNS0_4arch9wavefront6targetE1EEEvT1_
	.p2align	8
	.type	_ZN7rocprim17ROCPRIM_400000_NS6detail17trampoline_kernelINS0_14default_configENS1_25transform_config_selectorIxLb0EEEZNS1_14transform_implILb0ES3_S5_N6thrust23THRUST_200600_302600_NS6detail15normal_iteratorINS8_10device_ptrIxEEEEPxNS0_8identityIxEEEE10hipError_tT2_T3_mT4_P12ihipStream_tbEUlT_E_NS1_11comp_targetILNS1_3genE9ELNS1_11target_archE1100ELNS1_3gpuE3ELNS1_3repE0EEENS1_30default_config_static_selectorELNS0_4arch9wavefront6targetE1EEEvT1_,@function
_ZN7rocprim17ROCPRIM_400000_NS6detail17trampoline_kernelINS0_14default_configENS1_25transform_config_selectorIxLb0EEEZNS1_14transform_implILb0ES3_S5_N6thrust23THRUST_200600_302600_NS6detail15normal_iteratorINS8_10device_ptrIxEEEEPxNS0_8identityIxEEEE10hipError_tT2_T3_mT4_P12ihipStream_tbEUlT_E_NS1_11comp_targetILNS1_3genE9ELNS1_11target_archE1100ELNS1_3gpuE3ELNS1_3repE0EEENS1_30default_config_static_selectorELNS0_4arch9wavefront6targetE1EEEvT1_: ; @_ZN7rocprim17ROCPRIM_400000_NS6detail17trampoline_kernelINS0_14default_configENS1_25transform_config_selectorIxLb0EEEZNS1_14transform_implILb0ES3_S5_N6thrust23THRUST_200600_302600_NS6detail15normal_iteratorINS8_10device_ptrIxEEEEPxNS0_8identityIxEEEE10hipError_tT2_T3_mT4_P12ihipStream_tbEUlT_E_NS1_11comp_targetILNS1_3genE9ELNS1_11target_archE1100ELNS1_3gpuE3ELNS1_3repE0EEENS1_30default_config_static_selectorELNS0_4arch9wavefront6targetE1EEEvT1_
; %bb.0:
	.section	.rodata,"a",@progbits
	.p2align	6, 0x0
	.amdhsa_kernel _ZN7rocprim17ROCPRIM_400000_NS6detail17trampoline_kernelINS0_14default_configENS1_25transform_config_selectorIxLb0EEEZNS1_14transform_implILb0ES3_S5_N6thrust23THRUST_200600_302600_NS6detail15normal_iteratorINS8_10device_ptrIxEEEEPxNS0_8identityIxEEEE10hipError_tT2_T3_mT4_P12ihipStream_tbEUlT_E_NS1_11comp_targetILNS1_3genE9ELNS1_11target_archE1100ELNS1_3gpuE3ELNS1_3repE0EEENS1_30default_config_static_selectorELNS0_4arch9wavefront6targetE1EEEvT1_
		.amdhsa_group_segment_fixed_size 0
		.amdhsa_private_segment_fixed_size 0
		.amdhsa_kernarg_size 40
		.amdhsa_user_sgpr_count 2
		.amdhsa_user_sgpr_dispatch_ptr 0
		.amdhsa_user_sgpr_queue_ptr 0
		.amdhsa_user_sgpr_kernarg_segment_ptr 1
		.amdhsa_user_sgpr_dispatch_id 0
		.amdhsa_user_sgpr_kernarg_preload_length 0
		.amdhsa_user_sgpr_kernarg_preload_offset 0
		.amdhsa_user_sgpr_private_segment_size 0
		.amdhsa_uses_dynamic_stack 0
		.amdhsa_enable_private_segment 0
		.amdhsa_system_sgpr_workgroup_id_x 1
		.amdhsa_system_sgpr_workgroup_id_y 0
		.amdhsa_system_sgpr_workgroup_id_z 0
		.amdhsa_system_sgpr_workgroup_info 0
		.amdhsa_system_vgpr_workitem_id 0
		.amdhsa_next_free_vgpr 1
		.amdhsa_next_free_sgpr 0
		.amdhsa_accum_offset 4
		.amdhsa_reserve_vcc 0
		.amdhsa_float_round_mode_32 0
		.amdhsa_float_round_mode_16_64 0
		.amdhsa_float_denorm_mode_32 3
		.amdhsa_float_denorm_mode_16_64 3
		.amdhsa_dx10_clamp 1
		.amdhsa_ieee_mode 1
		.amdhsa_fp16_overflow 0
		.amdhsa_tg_split 0
		.amdhsa_exception_fp_ieee_invalid_op 0
		.amdhsa_exception_fp_denorm_src 0
		.amdhsa_exception_fp_ieee_div_zero 0
		.amdhsa_exception_fp_ieee_overflow 0
		.amdhsa_exception_fp_ieee_underflow 0
		.amdhsa_exception_fp_ieee_inexact 0
		.amdhsa_exception_int_div_zero 0
	.end_amdhsa_kernel
	.section	.text._ZN7rocprim17ROCPRIM_400000_NS6detail17trampoline_kernelINS0_14default_configENS1_25transform_config_selectorIxLb0EEEZNS1_14transform_implILb0ES3_S5_N6thrust23THRUST_200600_302600_NS6detail15normal_iteratorINS8_10device_ptrIxEEEEPxNS0_8identityIxEEEE10hipError_tT2_T3_mT4_P12ihipStream_tbEUlT_E_NS1_11comp_targetILNS1_3genE9ELNS1_11target_archE1100ELNS1_3gpuE3ELNS1_3repE0EEENS1_30default_config_static_selectorELNS0_4arch9wavefront6targetE1EEEvT1_,"axG",@progbits,_ZN7rocprim17ROCPRIM_400000_NS6detail17trampoline_kernelINS0_14default_configENS1_25transform_config_selectorIxLb0EEEZNS1_14transform_implILb0ES3_S5_N6thrust23THRUST_200600_302600_NS6detail15normal_iteratorINS8_10device_ptrIxEEEEPxNS0_8identityIxEEEE10hipError_tT2_T3_mT4_P12ihipStream_tbEUlT_E_NS1_11comp_targetILNS1_3genE9ELNS1_11target_archE1100ELNS1_3gpuE3ELNS1_3repE0EEENS1_30default_config_static_selectorELNS0_4arch9wavefront6targetE1EEEvT1_,comdat
.Lfunc_end1195:
	.size	_ZN7rocprim17ROCPRIM_400000_NS6detail17trampoline_kernelINS0_14default_configENS1_25transform_config_selectorIxLb0EEEZNS1_14transform_implILb0ES3_S5_N6thrust23THRUST_200600_302600_NS6detail15normal_iteratorINS8_10device_ptrIxEEEEPxNS0_8identityIxEEEE10hipError_tT2_T3_mT4_P12ihipStream_tbEUlT_E_NS1_11comp_targetILNS1_3genE9ELNS1_11target_archE1100ELNS1_3gpuE3ELNS1_3repE0EEENS1_30default_config_static_selectorELNS0_4arch9wavefront6targetE1EEEvT1_, .Lfunc_end1195-_ZN7rocprim17ROCPRIM_400000_NS6detail17trampoline_kernelINS0_14default_configENS1_25transform_config_selectorIxLb0EEEZNS1_14transform_implILb0ES3_S5_N6thrust23THRUST_200600_302600_NS6detail15normal_iteratorINS8_10device_ptrIxEEEEPxNS0_8identityIxEEEE10hipError_tT2_T3_mT4_P12ihipStream_tbEUlT_E_NS1_11comp_targetILNS1_3genE9ELNS1_11target_archE1100ELNS1_3gpuE3ELNS1_3repE0EEENS1_30default_config_static_selectorELNS0_4arch9wavefront6targetE1EEEvT1_
                                        ; -- End function
	.set _ZN7rocprim17ROCPRIM_400000_NS6detail17trampoline_kernelINS0_14default_configENS1_25transform_config_selectorIxLb0EEEZNS1_14transform_implILb0ES3_S5_N6thrust23THRUST_200600_302600_NS6detail15normal_iteratorINS8_10device_ptrIxEEEEPxNS0_8identityIxEEEE10hipError_tT2_T3_mT4_P12ihipStream_tbEUlT_E_NS1_11comp_targetILNS1_3genE9ELNS1_11target_archE1100ELNS1_3gpuE3ELNS1_3repE0EEENS1_30default_config_static_selectorELNS0_4arch9wavefront6targetE1EEEvT1_.num_vgpr, 0
	.set _ZN7rocprim17ROCPRIM_400000_NS6detail17trampoline_kernelINS0_14default_configENS1_25transform_config_selectorIxLb0EEEZNS1_14transform_implILb0ES3_S5_N6thrust23THRUST_200600_302600_NS6detail15normal_iteratorINS8_10device_ptrIxEEEEPxNS0_8identityIxEEEE10hipError_tT2_T3_mT4_P12ihipStream_tbEUlT_E_NS1_11comp_targetILNS1_3genE9ELNS1_11target_archE1100ELNS1_3gpuE3ELNS1_3repE0EEENS1_30default_config_static_selectorELNS0_4arch9wavefront6targetE1EEEvT1_.num_agpr, 0
	.set _ZN7rocprim17ROCPRIM_400000_NS6detail17trampoline_kernelINS0_14default_configENS1_25transform_config_selectorIxLb0EEEZNS1_14transform_implILb0ES3_S5_N6thrust23THRUST_200600_302600_NS6detail15normal_iteratorINS8_10device_ptrIxEEEEPxNS0_8identityIxEEEE10hipError_tT2_T3_mT4_P12ihipStream_tbEUlT_E_NS1_11comp_targetILNS1_3genE9ELNS1_11target_archE1100ELNS1_3gpuE3ELNS1_3repE0EEENS1_30default_config_static_selectorELNS0_4arch9wavefront6targetE1EEEvT1_.numbered_sgpr, 0
	.set _ZN7rocprim17ROCPRIM_400000_NS6detail17trampoline_kernelINS0_14default_configENS1_25transform_config_selectorIxLb0EEEZNS1_14transform_implILb0ES3_S5_N6thrust23THRUST_200600_302600_NS6detail15normal_iteratorINS8_10device_ptrIxEEEEPxNS0_8identityIxEEEE10hipError_tT2_T3_mT4_P12ihipStream_tbEUlT_E_NS1_11comp_targetILNS1_3genE9ELNS1_11target_archE1100ELNS1_3gpuE3ELNS1_3repE0EEENS1_30default_config_static_selectorELNS0_4arch9wavefront6targetE1EEEvT1_.num_named_barrier, 0
	.set _ZN7rocprim17ROCPRIM_400000_NS6detail17trampoline_kernelINS0_14default_configENS1_25transform_config_selectorIxLb0EEEZNS1_14transform_implILb0ES3_S5_N6thrust23THRUST_200600_302600_NS6detail15normal_iteratorINS8_10device_ptrIxEEEEPxNS0_8identityIxEEEE10hipError_tT2_T3_mT4_P12ihipStream_tbEUlT_E_NS1_11comp_targetILNS1_3genE9ELNS1_11target_archE1100ELNS1_3gpuE3ELNS1_3repE0EEENS1_30default_config_static_selectorELNS0_4arch9wavefront6targetE1EEEvT1_.private_seg_size, 0
	.set _ZN7rocprim17ROCPRIM_400000_NS6detail17trampoline_kernelINS0_14default_configENS1_25transform_config_selectorIxLb0EEEZNS1_14transform_implILb0ES3_S5_N6thrust23THRUST_200600_302600_NS6detail15normal_iteratorINS8_10device_ptrIxEEEEPxNS0_8identityIxEEEE10hipError_tT2_T3_mT4_P12ihipStream_tbEUlT_E_NS1_11comp_targetILNS1_3genE9ELNS1_11target_archE1100ELNS1_3gpuE3ELNS1_3repE0EEENS1_30default_config_static_selectorELNS0_4arch9wavefront6targetE1EEEvT1_.uses_vcc, 0
	.set _ZN7rocprim17ROCPRIM_400000_NS6detail17trampoline_kernelINS0_14default_configENS1_25transform_config_selectorIxLb0EEEZNS1_14transform_implILb0ES3_S5_N6thrust23THRUST_200600_302600_NS6detail15normal_iteratorINS8_10device_ptrIxEEEEPxNS0_8identityIxEEEE10hipError_tT2_T3_mT4_P12ihipStream_tbEUlT_E_NS1_11comp_targetILNS1_3genE9ELNS1_11target_archE1100ELNS1_3gpuE3ELNS1_3repE0EEENS1_30default_config_static_selectorELNS0_4arch9wavefront6targetE1EEEvT1_.uses_flat_scratch, 0
	.set _ZN7rocprim17ROCPRIM_400000_NS6detail17trampoline_kernelINS0_14default_configENS1_25transform_config_selectorIxLb0EEEZNS1_14transform_implILb0ES3_S5_N6thrust23THRUST_200600_302600_NS6detail15normal_iteratorINS8_10device_ptrIxEEEEPxNS0_8identityIxEEEE10hipError_tT2_T3_mT4_P12ihipStream_tbEUlT_E_NS1_11comp_targetILNS1_3genE9ELNS1_11target_archE1100ELNS1_3gpuE3ELNS1_3repE0EEENS1_30default_config_static_selectorELNS0_4arch9wavefront6targetE1EEEvT1_.has_dyn_sized_stack, 0
	.set _ZN7rocprim17ROCPRIM_400000_NS6detail17trampoline_kernelINS0_14default_configENS1_25transform_config_selectorIxLb0EEEZNS1_14transform_implILb0ES3_S5_N6thrust23THRUST_200600_302600_NS6detail15normal_iteratorINS8_10device_ptrIxEEEEPxNS0_8identityIxEEEE10hipError_tT2_T3_mT4_P12ihipStream_tbEUlT_E_NS1_11comp_targetILNS1_3genE9ELNS1_11target_archE1100ELNS1_3gpuE3ELNS1_3repE0EEENS1_30default_config_static_selectorELNS0_4arch9wavefront6targetE1EEEvT1_.has_recursion, 0
	.set _ZN7rocprim17ROCPRIM_400000_NS6detail17trampoline_kernelINS0_14default_configENS1_25transform_config_selectorIxLb0EEEZNS1_14transform_implILb0ES3_S5_N6thrust23THRUST_200600_302600_NS6detail15normal_iteratorINS8_10device_ptrIxEEEEPxNS0_8identityIxEEEE10hipError_tT2_T3_mT4_P12ihipStream_tbEUlT_E_NS1_11comp_targetILNS1_3genE9ELNS1_11target_archE1100ELNS1_3gpuE3ELNS1_3repE0EEENS1_30default_config_static_selectorELNS0_4arch9wavefront6targetE1EEEvT1_.has_indirect_call, 0
	.section	.AMDGPU.csdata,"",@progbits
; Kernel info:
; codeLenInByte = 0
; TotalNumSgprs: 6
; NumVgprs: 0
; NumAgprs: 0
; TotalNumVgprs: 0
; ScratchSize: 0
; MemoryBound: 0
; FloatMode: 240
; IeeeMode: 1
; LDSByteSize: 0 bytes/workgroup (compile time only)
; SGPRBlocks: 0
; VGPRBlocks: 0
; NumSGPRsForWavesPerEU: 6
; NumVGPRsForWavesPerEU: 1
; AccumOffset: 4
; Occupancy: 8
; WaveLimiterHint : 0
; COMPUTE_PGM_RSRC2:SCRATCH_EN: 0
; COMPUTE_PGM_RSRC2:USER_SGPR: 2
; COMPUTE_PGM_RSRC2:TRAP_HANDLER: 0
; COMPUTE_PGM_RSRC2:TGID_X_EN: 1
; COMPUTE_PGM_RSRC2:TGID_Y_EN: 0
; COMPUTE_PGM_RSRC2:TGID_Z_EN: 0
; COMPUTE_PGM_RSRC2:TIDIG_COMP_CNT: 0
; COMPUTE_PGM_RSRC3_GFX90A:ACCUM_OFFSET: 0
; COMPUTE_PGM_RSRC3_GFX90A:TG_SPLIT: 0
	.section	.text._ZN7rocprim17ROCPRIM_400000_NS6detail17trampoline_kernelINS0_14default_configENS1_25transform_config_selectorIxLb0EEEZNS1_14transform_implILb0ES3_S5_N6thrust23THRUST_200600_302600_NS6detail15normal_iteratorINS8_10device_ptrIxEEEEPxNS0_8identityIxEEEE10hipError_tT2_T3_mT4_P12ihipStream_tbEUlT_E_NS1_11comp_targetILNS1_3genE8ELNS1_11target_archE1030ELNS1_3gpuE2ELNS1_3repE0EEENS1_30default_config_static_selectorELNS0_4arch9wavefront6targetE1EEEvT1_,"axG",@progbits,_ZN7rocprim17ROCPRIM_400000_NS6detail17trampoline_kernelINS0_14default_configENS1_25transform_config_selectorIxLb0EEEZNS1_14transform_implILb0ES3_S5_N6thrust23THRUST_200600_302600_NS6detail15normal_iteratorINS8_10device_ptrIxEEEEPxNS0_8identityIxEEEE10hipError_tT2_T3_mT4_P12ihipStream_tbEUlT_E_NS1_11comp_targetILNS1_3genE8ELNS1_11target_archE1030ELNS1_3gpuE2ELNS1_3repE0EEENS1_30default_config_static_selectorELNS0_4arch9wavefront6targetE1EEEvT1_,comdat
	.protected	_ZN7rocprim17ROCPRIM_400000_NS6detail17trampoline_kernelINS0_14default_configENS1_25transform_config_selectorIxLb0EEEZNS1_14transform_implILb0ES3_S5_N6thrust23THRUST_200600_302600_NS6detail15normal_iteratorINS8_10device_ptrIxEEEEPxNS0_8identityIxEEEE10hipError_tT2_T3_mT4_P12ihipStream_tbEUlT_E_NS1_11comp_targetILNS1_3genE8ELNS1_11target_archE1030ELNS1_3gpuE2ELNS1_3repE0EEENS1_30default_config_static_selectorELNS0_4arch9wavefront6targetE1EEEvT1_ ; -- Begin function _ZN7rocprim17ROCPRIM_400000_NS6detail17trampoline_kernelINS0_14default_configENS1_25transform_config_selectorIxLb0EEEZNS1_14transform_implILb0ES3_S5_N6thrust23THRUST_200600_302600_NS6detail15normal_iteratorINS8_10device_ptrIxEEEEPxNS0_8identityIxEEEE10hipError_tT2_T3_mT4_P12ihipStream_tbEUlT_E_NS1_11comp_targetILNS1_3genE8ELNS1_11target_archE1030ELNS1_3gpuE2ELNS1_3repE0EEENS1_30default_config_static_selectorELNS0_4arch9wavefront6targetE1EEEvT1_
	.globl	_ZN7rocprim17ROCPRIM_400000_NS6detail17trampoline_kernelINS0_14default_configENS1_25transform_config_selectorIxLb0EEEZNS1_14transform_implILb0ES3_S5_N6thrust23THRUST_200600_302600_NS6detail15normal_iteratorINS8_10device_ptrIxEEEEPxNS0_8identityIxEEEE10hipError_tT2_T3_mT4_P12ihipStream_tbEUlT_E_NS1_11comp_targetILNS1_3genE8ELNS1_11target_archE1030ELNS1_3gpuE2ELNS1_3repE0EEENS1_30default_config_static_selectorELNS0_4arch9wavefront6targetE1EEEvT1_
	.p2align	8
	.type	_ZN7rocprim17ROCPRIM_400000_NS6detail17trampoline_kernelINS0_14default_configENS1_25transform_config_selectorIxLb0EEEZNS1_14transform_implILb0ES3_S5_N6thrust23THRUST_200600_302600_NS6detail15normal_iteratorINS8_10device_ptrIxEEEEPxNS0_8identityIxEEEE10hipError_tT2_T3_mT4_P12ihipStream_tbEUlT_E_NS1_11comp_targetILNS1_3genE8ELNS1_11target_archE1030ELNS1_3gpuE2ELNS1_3repE0EEENS1_30default_config_static_selectorELNS0_4arch9wavefront6targetE1EEEvT1_,@function
_ZN7rocprim17ROCPRIM_400000_NS6detail17trampoline_kernelINS0_14default_configENS1_25transform_config_selectorIxLb0EEEZNS1_14transform_implILb0ES3_S5_N6thrust23THRUST_200600_302600_NS6detail15normal_iteratorINS8_10device_ptrIxEEEEPxNS0_8identityIxEEEE10hipError_tT2_T3_mT4_P12ihipStream_tbEUlT_E_NS1_11comp_targetILNS1_3genE8ELNS1_11target_archE1030ELNS1_3gpuE2ELNS1_3repE0EEENS1_30default_config_static_selectorELNS0_4arch9wavefront6targetE1EEEvT1_: ; @_ZN7rocprim17ROCPRIM_400000_NS6detail17trampoline_kernelINS0_14default_configENS1_25transform_config_selectorIxLb0EEEZNS1_14transform_implILb0ES3_S5_N6thrust23THRUST_200600_302600_NS6detail15normal_iteratorINS8_10device_ptrIxEEEEPxNS0_8identityIxEEEE10hipError_tT2_T3_mT4_P12ihipStream_tbEUlT_E_NS1_11comp_targetILNS1_3genE8ELNS1_11target_archE1030ELNS1_3gpuE2ELNS1_3repE0EEENS1_30default_config_static_selectorELNS0_4arch9wavefront6targetE1EEEvT1_
; %bb.0:
	.section	.rodata,"a",@progbits
	.p2align	6, 0x0
	.amdhsa_kernel _ZN7rocprim17ROCPRIM_400000_NS6detail17trampoline_kernelINS0_14default_configENS1_25transform_config_selectorIxLb0EEEZNS1_14transform_implILb0ES3_S5_N6thrust23THRUST_200600_302600_NS6detail15normal_iteratorINS8_10device_ptrIxEEEEPxNS0_8identityIxEEEE10hipError_tT2_T3_mT4_P12ihipStream_tbEUlT_E_NS1_11comp_targetILNS1_3genE8ELNS1_11target_archE1030ELNS1_3gpuE2ELNS1_3repE0EEENS1_30default_config_static_selectorELNS0_4arch9wavefront6targetE1EEEvT1_
		.amdhsa_group_segment_fixed_size 0
		.amdhsa_private_segment_fixed_size 0
		.amdhsa_kernarg_size 40
		.amdhsa_user_sgpr_count 2
		.amdhsa_user_sgpr_dispatch_ptr 0
		.amdhsa_user_sgpr_queue_ptr 0
		.amdhsa_user_sgpr_kernarg_segment_ptr 1
		.amdhsa_user_sgpr_dispatch_id 0
		.amdhsa_user_sgpr_kernarg_preload_length 0
		.amdhsa_user_sgpr_kernarg_preload_offset 0
		.amdhsa_user_sgpr_private_segment_size 0
		.amdhsa_uses_dynamic_stack 0
		.amdhsa_enable_private_segment 0
		.amdhsa_system_sgpr_workgroup_id_x 1
		.amdhsa_system_sgpr_workgroup_id_y 0
		.amdhsa_system_sgpr_workgroup_id_z 0
		.amdhsa_system_sgpr_workgroup_info 0
		.amdhsa_system_vgpr_workitem_id 0
		.amdhsa_next_free_vgpr 1
		.amdhsa_next_free_sgpr 0
		.amdhsa_accum_offset 4
		.amdhsa_reserve_vcc 0
		.amdhsa_float_round_mode_32 0
		.amdhsa_float_round_mode_16_64 0
		.amdhsa_float_denorm_mode_32 3
		.amdhsa_float_denorm_mode_16_64 3
		.amdhsa_dx10_clamp 1
		.amdhsa_ieee_mode 1
		.amdhsa_fp16_overflow 0
		.amdhsa_tg_split 0
		.amdhsa_exception_fp_ieee_invalid_op 0
		.amdhsa_exception_fp_denorm_src 0
		.amdhsa_exception_fp_ieee_div_zero 0
		.amdhsa_exception_fp_ieee_overflow 0
		.amdhsa_exception_fp_ieee_underflow 0
		.amdhsa_exception_fp_ieee_inexact 0
		.amdhsa_exception_int_div_zero 0
	.end_amdhsa_kernel
	.section	.text._ZN7rocprim17ROCPRIM_400000_NS6detail17trampoline_kernelINS0_14default_configENS1_25transform_config_selectorIxLb0EEEZNS1_14transform_implILb0ES3_S5_N6thrust23THRUST_200600_302600_NS6detail15normal_iteratorINS8_10device_ptrIxEEEEPxNS0_8identityIxEEEE10hipError_tT2_T3_mT4_P12ihipStream_tbEUlT_E_NS1_11comp_targetILNS1_3genE8ELNS1_11target_archE1030ELNS1_3gpuE2ELNS1_3repE0EEENS1_30default_config_static_selectorELNS0_4arch9wavefront6targetE1EEEvT1_,"axG",@progbits,_ZN7rocprim17ROCPRIM_400000_NS6detail17trampoline_kernelINS0_14default_configENS1_25transform_config_selectorIxLb0EEEZNS1_14transform_implILb0ES3_S5_N6thrust23THRUST_200600_302600_NS6detail15normal_iteratorINS8_10device_ptrIxEEEEPxNS0_8identityIxEEEE10hipError_tT2_T3_mT4_P12ihipStream_tbEUlT_E_NS1_11comp_targetILNS1_3genE8ELNS1_11target_archE1030ELNS1_3gpuE2ELNS1_3repE0EEENS1_30default_config_static_selectorELNS0_4arch9wavefront6targetE1EEEvT1_,comdat
.Lfunc_end1196:
	.size	_ZN7rocprim17ROCPRIM_400000_NS6detail17trampoline_kernelINS0_14default_configENS1_25transform_config_selectorIxLb0EEEZNS1_14transform_implILb0ES3_S5_N6thrust23THRUST_200600_302600_NS6detail15normal_iteratorINS8_10device_ptrIxEEEEPxNS0_8identityIxEEEE10hipError_tT2_T3_mT4_P12ihipStream_tbEUlT_E_NS1_11comp_targetILNS1_3genE8ELNS1_11target_archE1030ELNS1_3gpuE2ELNS1_3repE0EEENS1_30default_config_static_selectorELNS0_4arch9wavefront6targetE1EEEvT1_, .Lfunc_end1196-_ZN7rocprim17ROCPRIM_400000_NS6detail17trampoline_kernelINS0_14default_configENS1_25transform_config_selectorIxLb0EEEZNS1_14transform_implILb0ES3_S5_N6thrust23THRUST_200600_302600_NS6detail15normal_iteratorINS8_10device_ptrIxEEEEPxNS0_8identityIxEEEE10hipError_tT2_T3_mT4_P12ihipStream_tbEUlT_E_NS1_11comp_targetILNS1_3genE8ELNS1_11target_archE1030ELNS1_3gpuE2ELNS1_3repE0EEENS1_30default_config_static_selectorELNS0_4arch9wavefront6targetE1EEEvT1_
                                        ; -- End function
	.set _ZN7rocprim17ROCPRIM_400000_NS6detail17trampoline_kernelINS0_14default_configENS1_25transform_config_selectorIxLb0EEEZNS1_14transform_implILb0ES3_S5_N6thrust23THRUST_200600_302600_NS6detail15normal_iteratorINS8_10device_ptrIxEEEEPxNS0_8identityIxEEEE10hipError_tT2_T3_mT4_P12ihipStream_tbEUlT_E_NS1_11comp_targetILNS1_3genE8ELNS1_11target_archE1030ELNS1_3gpuE2ELNS1_3repE0EEENS1_30default_config_static_selectorELNS0_4arch9wavefront6targetE1EEEvT1_.num_vgpr, 0
	.set _ZN7rocprim17ROCPRIM_400000_NS6detail17trampoline_kernelINS0_14default_configENS1_25transform_config_selectorIxLb0EEEZNS1_14transform_implILb0ES3_S5_N6thrust23THRUST_200600_302600_NS6detail15normal_iteratorINS8_10device_ptrIxEEEEPxNS0_8identityIxEEEE10hipError_tT2_T3_mT4_P12ihipStream_tbEUlT_E_NS1_11comp_targetILNS1_3genE8ELNS1_11target_archE1030ELNS1_3gpuE2ELNS1_3repE0EEENS1_30default_config_static_selectorELNS0_4arch9wavefront6targetE1EEEvT1_.num_agpr, 0
	.set _ZN7rocprim17ROCPRIM_400000_NS6detail17trampoline_kernelINS0_14default_configENS1_25transform_config_selectorIxLb0EEEZNS1_14transform_implILb0ES3_S5_N6thrust23THRUST_200600_302600_NS6detail15normal_iteratorINS8_10device_ptrIxEEEEPxNS0_8identityIxEEEE10hipError_tT2_T3_mT4_P12ihipStream_tbEUlT_E_NS1_11comp_targetILNS1_3genE8ELNS1_11target_archE1030ELNS1_3gpuE2ELNS1_3repE0EEENS1_30default_config_static_selectorELNS0_4arch9wavefront6targetE1EEEvT1_.numbered_sgpr, 0
	.set _ZN7rocprim17ROCPRIM_400000_NS6detail17trampoline_kernelINS0_14default_configENS1_25transform_config_selectorIxLb0EEEZNS1_14transform_implILb0ES3_S5_N6thrust23THRUST_200600_302600_NS6detail15normal_iteratorINS8_10device_ptrIxEEEEPxNS0_8identityIxEEEE10hipError_tT2_T3_mT4_P12ihipStream_tbEUlT_E_NS1_11comp_targetILNS1_3genE8ELNS1_11target_archE1030ELNS1_3gpuE2ELNS1_3repE0EEENS1_30default_config_static_selectorELNS0_4arch9wavefront6targetE1EEEvT1_.num_named_barrier, 0
	.set _ZN7rocprim17ROCPRIM_400000_NS6detail17trampoline_kernelINS0_14default_configENS1_25transform_config_selectorIxLb0EEEZNS1_14transform_implILb0ES3_S5_N6thrust23THRUST_200600_302600_NS6detail15normal_iteratorINS8_10device_ptrIxEEEEPxNS0_8identityIxEEEE10hipError_tT2_T3_mT4_P12ihipStream_tbEUlT_E_NS1_11comp_targetILNS1_3genE8ELNS1_11target_archE1030ELNS1_3gpuE2ELNS1_3repE0EEENS1_30default_config_static_selectorELNS0_4arch9wavefront6targetE1EEEvT1_.private_seg_size, 0
	.set _ZN7rocprim17ROCPRIM_400000_NS6detail17trampoline_kernelINS0_14default_configENS1_25transform_config_selectorIxLb0EEEZNS1_14transform_implILb0ES3_S5_N6thrust23THRUST_200600_302600_NS6detail15normal_iteratorINS8_10device_ptrIxEEEEPxNS0_8identityIxEEEE10hipError_tT2_T3_mT4_P12ihipStream_tbEUlT_E_NS1_11comp_targetILNS1_3genE8ELNS1_11target_archE1030ELNS1_3gpuE2ELNS1_3repE0EEENS1_30default_config_static_selectorELNS0_4arch9wavefront6targetE1EEEvT1_.uses_vcc, 0
	.set _ZN7rocprim17ROCPRIM_400000_NS6detail17trampoline_kernelINS0_14default_configENS1_25transform_config_selectorIxLb0EEEZNS1_14transform_implILb0ES3_S5_N6thrust23THRUST_200600_302600_NS6detail15normal_iteratorINS8_10device_ptrIxEEEEPxNS0_8identityIxEEEE10hipError_tT2_T3_mT4_P12ihipStream_tbEUlT_E_NS1_11comp_targetILNS1_3genE8ELNS1_11target_archE1030ELNS1_3gpuE2ELNS1_3repE0EEENS1_30default_config_static_selectorELNS0_4arch9wavefront6targetE1EEEvT1_.uses_flat_scratch, 0
	.set _ZN7rocprim17ROCPRIM_400000_NS6detail17trampoline_kernelINS0_14default_configENS1_25transform_config_selectorIxLb0EEEZNS1_14transform_implILb0ES3_S5_N6thrust23THRUST_200600_302600_NS6detail15normal_iteratorINS8_10device_ptrIxEEEEPxNS0_8identityIxEEEE10hipError_tT2_T3_mT4_P12ihipStream_tbEUlT_E_NS1_11comp_targetILNS1_3genE8ELNS1_11target_archE1030ELNS1_3gpuE2ELNS1_3repE0EEENS1_30default_config_static_selectorELNS0_4arch9wavefront6targetE1EEEvT1_.has_dyn_sized_stack, 0
	.set _ZN7rocprim17ROCPRIM_400000_NS6detail17trampoline_kernelINS0_14default_configENS1_25transform_config_selectorIxLb0EEEZNS1_14transform_implILb0ES3_S5_N6thrust23THRUST_200600_302600_NS6detail15normal_iteratorINS8_10device_ptrIxEEEEPxNS0_8identityIxEEEE10hipError_tT2_T3_mT4_P12ihipStream_tbEUlT_E_NS1_11comp_targetILNS1_3genE8ELNS1_11target_archE1030ELNS1_3gpuE2ELNS1_3repE0EEENS1_30default_config_static_selectorELNS0_4arch9wavefront6targetE1EEEvT1_.has_recursion, 0
	.set _ZN7rocprim17ROCPRIM_400000_NS6detail17trampoline_kernelINS0_14default_configENS1_25transform_config_selectorIxLb0EEEZNS1_14transform_implILb0ES3_S5_N6thrust23THRUST_200600_302600_NS6detail15normal_iteratorINS8_10device_ptrIxEEEEPxNS0_8identityIxEEEE10hipError_tT2_T3_mT4_P12ihipStream_tbEUlT_E_NS1_11comp_targetILNS1_3genE8ELNS1_11target_archE1030ELNS1_3gpuE2ELNS1_3repE0EEENS1_30default_config_static_selectorELNS0_4arch9wavefront6targetE1EEEvT1_.has_indirect_call, 0
	.section	.AMDGPU.csdata,"",@progbits
; Kernel info:
; codeLenInByte = 0
; TotalNumSgprs: 6
; NumVgprs: 0
; NumAgprs: 0
; TotalNumVgprs: 0
; ScratchSize: 0
; MemoryBound: 0
; FloatMode: 240
; IeeeMode: 1
; LDSByteSize: 0 bytes/workgroup (compile time only)
; SGPRBlocks: 0
; VGPRBlocks: 0
; NumSGPRsForWavesPerEU: 6
; NumVGPRsForWavesPerEU: 1
; AccumOffset: 4
; Occupancy: 8
; WaveLimiterHint : 0
; COMPUTE_PGM_RSRC2:SCRATCH_EN: 0
; COMPUTE_PGM_RSRC2:USER_SGPR: 2
; COMPUTE_PGM_RSRC2:TRAP_HANDLER: 0
; COMPUTE_PGM_RSRC2:TGID_X_EN: 1
; COMPUTE_PGM_RSRC2:TGID_Y_EN: 0
; COMPUTE_PGM_RSRC2:TGID_Z_EN: 0
; COMPUTE_PGM_RSRC2:TIDIG_COMP_CNT: 0
; COMPUTE_PGM_RSRC3_GFX90A:ACCUM_OFFSET: 0
; COMPUTE_PGM_RSRC3_GFX90A:TG_SPLIT: 0
	.section	.text._ZN7rocprim17ROCPRIM_400000_NS6detail17trampoline_kernelINS0_14default_configENS1_35radix_sort_onesweep_config_selectorIxxEEZZNS1_29radix_sort_onesweep_iterationIS3_Lb0EN6thrust23THRUST_200600_302600_NS6detail15normal_iteratorINS8_10device_ptrIxEEEESD_SD_SD_jNS0_19identity_decomposerENS1_16block_id_wrapperIjLb1EEEEE10hipError_tT1_PNSt15iterator_traitsISI_E10value_typeET2_T3_PNSJ_ISO_E10value_typeET4_T5_PST_SU_PNS1_23onesweep_lookback_stateEbbT6_jjT7_P12ihipStream_tbENKUlT_T0_SI_SN_E_clISD_SD_SD_SD_EEDaS11_S12_SI_SN_EUlS11_E_NS1_11comp_targetILNS1_3genE0ELNS1_11target_archE4294967295ELNS1_3gpuE0ELNS1_3repE0EEENS1_47radix_sort_onesweep_sort_config_static_selectorELNS0_4arch9wavefront6targetE1EEEvSI_,"axG",@progbits,_ZN7rocprim17ROCPRIM_400000_NS6detail17trampoline_kernelINS0_14default_configENS1_35radix_sort_onesweep_config_selectorIxxEEZZNS1_29radix_sort_onesweep_iterationIS3_Lb0EN6thrust23THRUST_200600_302600_NS6detail15normal_iteratorINS8_10device_ptrIxEEEESD_SD_SD_jNS0_19identity_decomposerENS1_16block_id_wrapperIjLb1EEEEE10hipError_tT1_PNSt15iterator_traitsISI_E10value_typeET2_T3_PNSJ_ISO_E10value_typeET4_T5_PST_SU_PNS1_23onesweep_lookback_stateEbbT6_jjT7_P12ihipStream_tbENKUlT_T0_SI_SN_E_clISD_SD_SD_SD_EEDaS11_S12_SI_SN_EUlS11_E_NS1_11comp_targetILNS1_3genE0ELNS1_11target_archE4294967295ELNS1_3gpuE0ELNS1_3repE0EEENS1_47radix_sort_onesweep_sort_config_static_selectorELNS0_4arch9wavefront6targetE1EEEvSI_,comdat
	.protected	_ZN7rocprim17ROCPRIM_400000_NS6detail17trampoline_kernelINS0_14default_configENS1_35radix_sort_onesweep_config_selectorIxxEEZZNS1_29radix_sort_onesweep_iterationIS3_Lb0EN6thrust23THRUST_200600_302600_NS6detail15normal_iteratorINS8_10device_ptrIxEEEESD_SD_SD_jNS0_19identity_decomposerENS1_16block_id_wrapperIjLb1EEEEE10hipError_tT1_PNSt15iterator_traitsISI_E10value_typeET2_T3_PNSJ_ISO_E10value_typeET4_T5_PST_SU_PNS1_23onesweep_lookback_stateEbbT6_jjT7_P12ihipStream_tbENKUlT_T0_SI_SN_E_clISD_SD_SD_SD_EEDaS11_S12_SI_SN_EUlS11_E_NS1_11comp_targetILNS1_3genE0ELNS1_11target_archE4294967295ELNS1_3gpuE0ELNS1_3repE0EEENS1_47radix_sort_onesweep_sort_config_static_selectorELNS0_4arch9wavefront6targetE1EEEvSI_ ; -- Begin function _ZN7rocprim17ROCPRIM_400000_NS6detail17trampoline_kernelINS0_14default_configENS1_35radix_sort_onesweep_config_selectorIxxEEZZNS1_29radix_sort_onesweep_iterationIS3_Lb0EN6thrust23THRUST_200600_302600_NS6detail15normal_iteratorINS8_10device_ptrIxEEEESD_SD_SD_jNS0_19identity_decomposerENS1_16block_id_wrapperIjLb1EEEEE10hipError_tT1_PNSt15iterator_traitsISI_E10value_typeET2_T3_PNSJ_ISO_E10value_typeET4_T5_PST_SU_PNS1_23onesweep_lookback_stateEbbT6_jjT7_P12ihipStream_tbENKUlT_T0_SI_SN_E_clISD_SD_SD_SD_EEDaS11_S12_SI_SN_EUlS11_E_NS1_11comp_targetILNS1_3genE0ELNS1_11target_archE4294967295ELNS1_3gpuE0ELNS1_3repE0EEENS1_47radix_sort_onesweep_sort_config_static_selectorELNS0_4arch9wavefront6targetE1EEEvSI_
	.globl	_ZN7rocprim17ROCPRIM_400000_NS6detail17trampoline_kernelINS0_14default_configENS1_35radix_sort_onesweep_config_selectorIxxEEZZNS1_29radix_sort_onesweep_iterationIS3_Lb0EN6thrust23THRUST_200600_302600_NS6detail15normal_iteratorINS8_10device_ptrIxEEEESD_SD_SD_jNS0_19identity_decomposerENS1_16block_id_wrapperIjLb1EEEEE10hipError_tT1_PNSt15iterator_traitsISI_E10value_typeET2_T3_PNSJ_ISO_E10value_typeET4_T5_PST_SU_PNS1_23onesweep_lookback_stateEbbT6_jjT7_P12ihipStream_tbENKUlT_T0_SI_SN_E_clISD_SD_SD_SD_EEDaS11_S12_SI_SN_EUlS11_E_NS1_11comp_targetILNS1_3genE0ELNS1_11target_archE4294967295ELNS1_3gpuE0ELNS1_3repE0EEENS1_47radix_sort_onesweep_sort_config_static_selectorELNS0_4arch9wavefront6targetE1EEEvSI_
	.p2align	8
	.type	_ZN7rocprim17ROCPRIM_400000_NS6detail17trampoline_kernelINS0_14default_configENS1_35radix_sort_onesweep_config_selectorIxxEEZZNS1_29radix_sort_onesweep_iterationIS3_Lb0EN6thrust23THRUST_200600_302600_NS6detail15normal_iteratorINS8_10device_ptrIxEEEESD_SD_SD_jNS0_19identity_decomposerENS1_16block_id_wrapperIjLb1EEEEE10hipError_tT1_PNSt15iterator_traitsISI_E10value_typeET2_T3_PNSJ_ISO_E10value_typeET4_T5_PST_SU_PNS1_23onesweep_lookback_stateEbbT6_jjT7_P12ihipStream_tbENKUlT_T0_SI_SN_E_clISD_SD_SD_SD_EEDaS11_S12_SI_SN_EUlS11_E_NS1_11comp_targetILNS1_3genE0ELNS1_11target_archE4294967295ELNS1_3gpuE0ELNS1_3repE0EEENS1_47radix_sort_onesweep_sort_config_static_selectorELNS0_4arch9wavefront6targetE1EEEvSI_,@function
_ZN7rocprim17ROCPRIM_400000_NS6detail17trampoline_kernelINS0_14default_configENS1_35radix_sort_onesweep_config_selectorIxxEEZZNS1_29radix_sort_onesweep_iterationIS3_Lb0EN6thrust23THRUST_200600_302600_NS6detail15normal_iteratorINS8_10device_ptrIxEEEESD_SD_SD_jNS0_19identity_decomposerENS1_16block_id_wrapperIjLb1EEEEE10hipError_tT1_PNSt15iterator_traitsISI_E10value_typeET2_T3_PNSJ_ISO_E10value_typeET4_T5_PST_SU_PNS1_23onesweep_lookback_stateEbbT6_jjT7_P12ihipStream_tbENKUlT_T0_SI_SN_E_clISD_SD_SD_SD_EEDaS11_S12_SI_SN_EUlS11_E_NS1_11comp_targetILNS1_3genE0ELNS1_11target_archE4294967295ELNS1_3gpuE0ELNS1_3repE0EEENS1_47radix_sort_onesweep_sort_config_static_selectorELNS0_4arch9wavefront6targetE1EEEvSI_: ; @_ZN7rocprim17ROCPRIM_400000_NS6detail17trampoline_kernelINS0_14default_configENS1_35radix_sort_onesweep_config_selectorIxxEEZZNS1_29radix_sort_onesweep_iterationIS3_Lb0EN6thrust23THRUST_200600_302600_NS6detail15normal_iteratorINS8_10device_ptrIxEEEESD_SD_SD_jNS0_19identity_decomposerENS1_16block_id_wrapperIjLb1EEEEE10hipError_tT1_PNSt15iterator_traitsISI_E10value_typeET2_T3_PNSJ_ISO_E10value_typeET4_T5_PST_SU_PNS1_23onesweep_lookback_stateEbbT6_jjT7_P12ihipStream_tbENKUlT_T0_SI_SN_E_clISD_SD_SD_SD_EEDaS11_S12_SI_SN_EUlS11_E_NS1_11comp_targetILNS1_3genE0ELNS1_11target_archE4294967295ELNS1_3gpuE0ELNS1_3repE0EEENS1_47radix_sort_onesweep_sort_config_static_selectorELNS0_4arch9wavefront6targetE1EEEvSI_
; %bb.0:
	.section	.rodata,"a",@progbits
	.p2align	6, 0x0
	.amdhsa_kernel _ZN7rocprim17ROCPRIM_400000_NS6detail17trampoline_kernelINS0_14default_configENS1_35radix_sort_onesweep_config_selectorIxxEEZZNS1_29radix_sort_onesweep_iterationIS3_Lb0EN6thrust23THRUST_200600_302600_NS6detail15normal_iteratorINS8_10device_ptrIxEEEESD_SD_SD_jNS0_19identity_decomposerENS1_16block_id_wrapperIjLb1EEEEE10hipError_tT1_PNSt15iterator_traitsISI_E10value_typeET2_T3_PNSJ_ISO_E10value_typeET4_T5_PST_SU_PNS1_23onesweep_lookback_stateEbbT6_jjT7_P12ihipStream_tbENKUlT_T0_SI_SN_E_clISD_SD_SD_SD_EEDaS11_S12_SI_SN_EUlS11_E_NS1_11comp_targetILNS1_3genE0ELNS1_11target_archE4294967295ELNS1_3gpuE0ELNS1_3repE0EEENS1_47radix_sort_onesweep_sort_config_static_selectorELNS0_4arch9wavefront6targetE1EEEvSI_
		.amdhsa_group_segment_fixed_size 0
		.amdhsa_private_segment_fixed_size 0
		.amdhsa_kernarg_size 88
		.amdhsa_user_sgpr_count 2
		.amdhsa_user_sgpr_dispatch_ptr 0
		.amdhsa_user_sgpr_queue_ptr 0
		.amdhsa_user_sgpr_kernarg_segment_ptr 1
		.amdhsa_user_sgpr_dispatch_id 0
		.amdhsa_user_sgpr_kernarg_preload_length 0
		.amdhsa_user_sgpr_kernarg_preload_offset 0
		.amdhsa_user_sgpr_private_segment_size 0
		.amdhsa_uses_dynamic_stack 0
		.amdhsa_enable_private_segment 0
		.amdhsa_system_sgpr_workgroup_id_x 1
		.amdhsa_system_sgpr_workgroup_id_y 0
		.amdhsa_system_sgpr_workgroup_id_z 0
		.amdhsa_system_sgpr_workgroup_info 0
		.amdhsa_system_vgpr_workitem_id 0
		.amdhsa_next_free_vgpr 1
		.amdhsa_next_free_sgpr 0
		.amdhsa_accum_offset 4
		.amdhsa_reserve_vcc 0
		.amdhsa_float_round_mode_32 0
		.amdhsa_float_round_mode_16_64 0
		.amdhsa_float_denorm_mode_32 3
		.amdhsa_float_denorm_mode_16_64 3
		.amdhsa_dx10_clamp 1
		.amdhsa_ieee_mode 1
		.amdhsa_fp16_overflow 0
		.amdhsa_tg_split 0
		.amdhsa_exception_fp_ieee_invalid_op 0
		.amdhsa_exception_fp_denorm_src 0
		.amdhsa_exception_fp_ieee_div_zero 0
		.amdhsa_exception_fp_ieee_overflow 0
		.amdhsa_exception_fp_ieee_underflow 0
		.amdhsa_exception_fp_ieee_inexact 0
		.amdhsa_exception_int_div_zero 0
	.end_amdhsa_kernel
	.section	.text._ZN7rocprim17ROCPRIM_400000_NS6detail17trampoline_kernelINS0_14default_configENS1_35radix_sort_onesweep_config_selectorIxxEEZZNS1_29radix_sort_onesweep_iterationIS3_Lb0EN6thrust23THRUST_200600_302600_NS6detail15normal_iteratorINS8_10device_ptrIxEEEESD_SD_SD_jNS0_19identity_decomposerENS1_16block_id_wrapperIjLb1EEEEE10hipError_tT1_PNSt15iterator_traitsISI_E10value_typeET2_T3_PNSJ_ISO_E10value_typeET4_T5_PST_SU_PNS1_23onesweep_lookback_stateEbbT6_jjT7_P12ihipStream_tbENKUlT_T0_SI_SN_E_clISD_SD_SD_SD_EEDaS11_S12_SI_SN_EUlS11_E_NS1_11comp_targetILNS1_3genE0ELNS1_11target_archE4294967295ELNS1_3gpuE0ELNS1_3repE0EEENS1_47radix_sort_onesweep_sort_config_static_selectorELNS0_4arch9wavefront6targetE1EEEvSI_,"axG",@progbits,_ZN7rocprim17ROCPRIM_400000_NS6detail17trampoline_kernelINS0_14default_configENS1_35radix_sort_onesweep_config_selectorIxxEEZZNS1_29radix_sort_onesweep_iterationIS3_Lb0EN6thrust23THRUST_200600_302600_NS6detail15normal_iteratorINS8_10device_ptrIxEEEESD_SD_SD_jNS0_19identity_decomposerENS1_16block_id_wrapperIjLb1EEEEE10hipError_tT1_PNSt15iterator_traitsISI_E10value_typeET2_T3_PNSJ_ISO_E10value_typeET4_T5_PST_SU_PNS1_23onesweep_lookback_stateEbbT6_jjT7_P12ihipStream_tbENKUlT_T0_SI_SN_E_clISD_SD_SD_SD_EEDaS11_S12_SI_SN_EUlS11_E_NS1_11comp_targetILNS1_3genE0ELNS1_11target_archE4294967295ELNS1_3gpuE0ELNS1_3repE0EEENS1_47radix_sort_onesweep_sort_config_static_selectorELNS0_4arch9wavefront6targetE1EEEvSI_,comdat
.Lfunc_end1197:
	.size	_ZN7rocprim17ROCPRIM_400000_NS6detail17trampoline_kernelINS0_14default_configENS1_35radix_sort_onesweep_config_selectorIxxEEZZNS1_29radix_sort_onesweep_iterationIS3_Lb0EN6thrust23THRUST_200600_302600_NS6detail15normal_iteratorINS8_10device_ptrIxEEEESD_SD_SD_jNS0_19identity_decomposerENS1_16block_id_wrapperIjLb1EEEEE10hipError_tT1_PNSt15iterator_traitsISI_E10value_typeET2_T3_PNSJ_ISO_E10value_typeET4_T5_PST_SU_PNS1_23onesweep_lookback_stateEbbT6_jjT7_P12ihipStream_tbENKUlT_T0_SI_SN_E_clISD_SD_SD_SD_EEDaS11_S12_SI_SN_EUlS11_E_NS1_11comp_targetILNS1_3genE0ELNS1_11target_archE4294967295ELNS1_3gpuE0ELNS1_3repE0EEENS1_47radix_sort_onesweep_sort_config_static_selectorELNS0_4arch9wavefront6targetE1EEEvSI_, .Lfunc_end1197-_ZN7rocprim17ROCPRIM_400000_NS6detail17trampoline_kernelINS0_14default_configENS1_35radix_sort_onesweep_config_selectorIxxEEZZNS1_29radix_sort_onesweep_iterationIS3_Lb0EN6thrust23THRUST_200600_302600_NS6detail15normal_iteratorINS8_10device_ptrIxEEEESD_SD_SD_jNS0_19identity_decomposerENS1_16block_id_wrapperIjLb1EEEEE10hipError_tT1_PNSt15iterator_traitsISI_E10value_typeET2_T3_PNSJ_ISO_E10value_typeET4_T5_PST_SU_PNS1_23onesweep_lookback_stateEbbT6_jjT7_P12ihipStream_tbENKUlT_T0_SI_SN_E_clISD_SD_SD_SD_EEDaS11_S12_SI_SN_EUlS11_E_NS1_11comp_targetILNS1_3genE0ELNS1_11target_archE4294967295ELNS1_3gpuE0ELNS1_3repE0EEENS1_47radix_sort_onesweep_sort_config_static_selectorELNS0_4arch9wavefront6targetE1EEEvSI_
                                        ; -- End function
	.set _ZN7rocprim17ROCPRIM_400000_NS6detail17trampoline_kernelINS0_14default_configENS1_35radix_sort_onesweep_config_selectorIxxEEZZNS1_29radix_sort_onesweep_iterationIS3_Lb0EN6thrust23THRUST_200600_302600_NS6detail15normal_iteratorINS8_10device_ptrIxEEEESD_SD_SD_jNS0_19identity_decomposerENS1_16block_id_wrapperIjLb1EEEEE10hipError_tT1_PNSt15iterator_traitsISI_E10value_typeET2_T3_PNSJ_ISO_E10value_typeET4_T5_PST_SU_PNS1_23onesweep_lookback_stateEbbT6_jjT7_P12ihipStream_tbENKUlT_T0_SI_SN_E_clISD_SD_SD_SD_EEDaS11_S12_SI_SN_EUlS11_E_NS1_11comp_targetILNS1_3genE0ELNS1_11target_archE4294967295ELNS1_3gpuE0ELNS1_3repE0EEENS1_47radix_sort_onesweep_sort_config_static_selectorELNS0_4arch9wavefront6targetE1EEEvSI_.num_vgpr, 0
	.set _ZN7rocprim17ROCPRIM_400000_NS6detail17trampoline_kernelINS0_14default_configENS1_35radix_sort_onesweep_config_selectorIxxEEZZNS1_29radix_sort_onesweep_iterationIS3_Lb0EN6thrust23THRUST_200600_302600_NS6detail15normal_iteratorINS8_10device_ptrIxEEEESD_SD_SD_jNS0_19identity_decomposerENS1_16block_id_wrapperIjLb1EEEEE10hipError_tT1_PNSt15iterator_traitsISI_E10value_typeET2_T3_PNSJ_ISO_E10value_typeET4_T5_PST_SU_PNS1_23onesweep_lookback_stateEbbT6_jjT7_P12ihipStream_tbENKUlT_T0_SI_SN_E_clISD_SD_SD_SD_EEDaS11_S12_SI_SN_EUlS11_E_NS1_11comp_targetILNS1_3genE0ELNS1_11target_archE4294967295ELNS1_3gpuE0ELNS1_3repE0EEENS1_47radix_sort_onesweep_sort_config_static_selectorELNS0_4arch9wavefront6targetE1EEEvSI_.num_agpr, 0
	.set _ZN7rocprim17ROCPRIM_400000_NS6detail17trampoline_kernelINS0_14default_configENS1_35radix_sort_onesweep_config_selectorIxxEEZZNS1_29radix_sort_onesweep_iterationIS3_Lb0EN6thrust23THRUST_200600_302600_NS6detail15normal_iteratorINS8_10device_ptrIxEEEESD_SD_SD_jNS0_19identity_decomposerENS1_16block_id_wrapperIjLb1EEEEE10hipError_tT1_PNSt15iterator_traitsISI_E10value_typeET2_T3_PNSJ_ISO_E10value_typeET4_T5_PST_SU_PNS1_23onesweep_lookback_stateEbbT6_jjT7_P12ihipStream_tbENKUlT_T0_SI_SN_E_clISD_SD_SD_SD_EEDaS11_S12_SI_SN_EUlS11_E_NS1_11comp_targetILNS1_3genE0ELNS1_11target_archE4294967295ELNS1_3gpuE0ELNS1_3repE0EEENS1_47radix_sort_onesweep_sort_config_static_selectorELNS0_4arch9wavefront6targetE1EEEvSI_.numbered_sgpr, 0
	.set _ZN7rocprim17ROCPRIM_400000_NS6detail17trampoline_kernelINS0_14default_configENS1_35radix_sort_onesweep_config_selectorIxxEEZZNS1_29radix_sort_onesweep_iterationIS3_Lb0EN6thrust23THRUST_200600_302600_NS6detail15normal_iteratorINS8_10device_ptrIxEEEESD_SD_SD_jNS0_19identity_decomposerENS1_16block_id_wrapperIjLb1EEEEE10hipError_tT1_PNSt15iterator_traitsISI_E10value_typeET2_T3_PNSJ_ISO_E10value_typeET4_T5_PST_SU_PNS1_23onesweep_lookback_stateEbbT6_jjT7_P12ihipStream_tbENKUlT_T0_SI_SN_E_clISD_SD_SD_SD_EEDaS11_S12_SI_SN_EUlS11_E_NS1_11comp_targetILNS1_3genE0ELNS1_11target_archE4294967295ELNS1_3gpuE0ELNS1_3repE0EEENS1_47radix_sort_onesweep_sort_config_static_selectorELNS0_4arch9wavefront6targetE1EEEvSI_.num_named_barrier, 0
	.set _ZN7rocprim17ROCPRIM_400000_NS6detail17trampoline_kernelINS0_14default_configENS1_35radix_sort_onesweep_config_selectorIxxEEZZNS1_29radix_sort_onesweep_iterationIS3_Lb0EN6thrust23THRUST_200600_302600_NS6detail15normal_iteratorINS8_10device_ptrIxEEEESD_SD_SD_jNS0_19identity_decomposerENS1_16block_id_wrapperIjLb1EEEEE10hipError_tT1_PNSt15iterator_traitsISI_E10value_typeET2_T3_PNSJ_ISO_E10value_typeET4_T5_PST_SU_PNS1_23onesweep_lookback_stateEbbT6_jjT7_P12ihipStream_tbENKUlT_T0_SI_SN_E_clISD_SD_SD_SD_EEDaS11_S12_SI_SN_EUlS11_E_NS1_11comp_targetILNS1_3genE0ELNS1_11target_archE4294967295ELNS1_3gpuE0ELNS1_3repE0EEENS1_47radix_sort_onesweep_sort_config_static_selectorELNS0_4arch9wavefront6targetE1EEEvSI_.private_seg_size, 0
	.set _ZN7rocprim17ROCPRIM_400000_NS6detail17trampoline_kernelINS0_14default_configENS1_35radix_sort_onesweep_config_selectorIxxEEZZNS1_29radix_sort_onesweep_iterationIS3_Lb0EN6thrust23THRUST_200600_302600_NS6detail15normal_iteratorINS8_10device_ptrIxEEEESD_SD_SD_jNS0_19identity_decomposerENS1_16block_id_wrapperIjLb1EEEEE10hipError_tT1_PNSt15iterator_traitsISI_E10value_typeET2_T3_PNSJ_ISO_E10value_typeET4_T5_PST_SU_PNS1_23onesweep_lookback_stateEbbT6_jjT7_P12ihipStream_tbENKUlT_T0_SI_SN_E_clISD_SD_SD_SD_EEDaS11_S12_SI_SN_EUlS11_E_NS1_11comp_targetILNS1_3genE0ELNS1_11target_archE4294967295ELNS1_3gpuE0ELNS1_3repE0EEENS1_47radix_sort_onesweep_sort_config_static_selectorELNS0_4arch9wavefront6targetE1EEEvSI_.uses_vcc, 0
	.set _ZN7rocprim17ROCPRIM_400000_NS6detail17trampoline_kernelINS0_14default_configENS1_35radix_sort_onesweep_config_selectorIxxEEZZNS1_29radix_sort_onesweep_iterationIS3_Lb0EN6thrust23THRUST_200600_302600_NS6detail15normal_iteratorINS8_10device_ptrIxEEEESD_SD_SD_jNS0_19identity_decomposerENS1_16block_id_wrapperIjLb1EEEEE10hipError_tT1_PNSt15iterator_traitsISI_E10value_typeET2_T3_PNSJ_ISO_E10value_typeET4_T5_PST_SU_PNS1_23onesweep_lookback_stateEbbT6_jjT7_P12ihipStream_tbENKUlT_T0_SI_SN_E_clISD_SD_SD_SD_EEDaS11_S12_SI_SN_EUlS11_E_NS1_11comp_targetILNS1_3genE0ELNS1_11target_archE4294967295ELNS1_3gpuE0ELNS1_3repE0EEENS1_47radix_sort_onesweep_sort_config_static_selectorELNS0_4arch9wavefront6targetE1EEEvSI_.uses_flat_scratch, 0
	.set _ZN7rocprim17ROCPRIM_400000_NS6detail17trampoline_kernelINS0_14default_configENS1_35radix_sort_onesweep_config_selectorIxxEEZZNS1_29radix_sort_onesweep_iterationIS3_Lb0EN6thrust23THRUST_200600_302600_NS6detail15normal_iteratorINS8_10device_ptrIxEEEESD_SD_SD_jNS0_19identity_decomposerENS1_16block_id_wrapperIjLb1EEEEE10hipError_tT1_PNSt15iterator_traitsISI_E10value_typeET2_T3_PNSJ_ISO_E10value_typeET4_T5_PST_SU_PNS1_23onesweep_lookback_stateEbbT6_jjT7_P12ihipStream_tbENKUlT_T0_SI_SN_E_clISD_SD_SD_SD_EEDaS11_S12_SI_SN_EUlS11_E_NS1_11comp_targetILNS1_3genE0ELNS1_11target_archE4294967295ELNS1_3gpuE0ELNS1_3repE0EEENS1_47radix_sort_onesweep_sort_config_static_selectorELNS0_4arch9wavefront6targetE1EEEvSI_.has_dyn_sized_stack, 0
	.set _ZN7rocprim17ROCPRIM_400000_NS6detail17trampoline_kernelINS0_14default_configENS1_35radix_sort_onesweep_config_selectorIxxEEZZNS1_29radix_sort_onesweep_iterationIS3_Lb0EN6thrust23THRUST_200600_302600_NS6detail15normal_iteratorINS8_10device_ptrIxEEEESD_SD_SD_jNS0_19identity_decomposerENS1_16block_id_wrapperIjLb1EEEEE10hipError_tT1_PNSt15iterator_traitsISI_E10value_typeET2_T3_PNSJ_ISO_E10value_typeET4_T5_PST_SU_PNS1_23onesweep_lookback_stateEbbT6_jjT7_P12ihipStream_tbENKUlT_T0_SI_SN_E_clISD_SD_SD_SD_EEDaS11_S12_SI_SN_EUlS11_E_NS1_11comp_targetILNS1_3genE0ELNS1_11target_archE4294967295ELNS1_3gpuE0ELNS1_3repE0EEENS1_47radix_sort_onesweep_sort_config_static_selectorELNS0_4arch9wavefront6targetE1EEEvSI_.has_recursion, 0
	.set _ZN7rocprim17ROCPRIM_400000_NS6detail17trampoline_kernelINS0_14default_configENS1_35radix_sort_onesweep_config_selectorIxxEEZZNS1_29radix_sort_onesweep_iterationIS3_Lb0EN6thrust23THRUST_200600_302600_NS6detail15normal_iteratorINS8_10device_ptrIxEEEESD_SD_SD_jNS0_19identity_decomposerENS1_16block_id_wrapperIjLb1EEEEE10hipError_tT1_PNSt15iterator_traitsISI_E10value_typeET2_T3_PNSJ_ISO_E10value_typeET4_T5_PST_SU_PNS1_23onesweep_lookback_stateEbbT6_jjT7_P12ihipStream_tbENKUlT_T0_SI_SN_E_clISD_SD_SD_SD_EEDaS11_S12_SI_SN_EUlS11_E_NS1_11comp_targetILNS1_3genE0ELNS1_11target_archE4294967295ELNS1_3gpuE0ELNS1_3repE0EEENS1_47radix_sort_onesweep_sort_config_static_selectorELNS0_4arch9wavefront6targetE1EEEvSI_.has_indirect_call, 0
	.section	.AMDGPU.csdata,"",@progbits
; Kernel info:
; codeLenInByte = 0
; TotalNumSgprs: 6
; NumVgprs: 0
; NumAgprs: 0
; TotalNumVgprs: 0
; ScratchSize: 0
; MemoryBound: 0
; FloatMode: 240
; IeeeMode: 1
; LDSByteSize: 0 bytes/workgroup (compile time only)
; SGPRBlocks: 0
; VGPRBlocks: 0
; NumSGPRsForWavesPerEU: 6
; NumVGPRsForWavesPerEU: 1
; AccumOffset: 4
; Occupancy: 8
; WaveLimiterHint : 0
; COMPUTE_PGM_RSRC2:SCRATCH_EN: 0
; COMPUTE_PGM_RSRC2:USER_SGPR: 2
; COMPUTE_PGM_RSRC2:TRAP_HANDLER: 0
; COMPUTE_PGM_RSRC2:TGID_X_EN: 1
; COMPUTE_PGM_RSRC2:TGID_Y_EN: 0
; COMPUTE_PGM_RSRC2:TGID_Z_EN: 0
; COMPUTE_PGM_RSRC2:TIDIG_COMP_CNT: 0
; COMPUTE_PGM_RSRC3_GFX90A:ACCUM_OFFSET: 0
; COMPUTE_PGM_RSRC3_GFX90A:TG_SPLIT: 0
	.section	.text._ZN7rocprim17ROCPRIM_400000_NS6detail17trampoline_kernelINS0_14default_configENS1_35radix_sort_onesweep_config_selectorIxxEEZZNS1_29radix_sort_onesweep_iterationIS3_Lb0EN6thrust23THRUST_200600_302600_NS6detail15normal_iteratorINS8_10device_ptrIxEEEESD_SD_SD_jNS0_19identity_decomposerENS1_16block_id_wrapperIjLb1EEEEE10hipError_tT1_PNSt15iterator_traitsISI_E10value_typeET2_T3_PNSJ_ISO_E10value_typeET4_T5_PST_SU_PNS1_23onesweep_lookback_stateEbbT6_jjT7_P12ihipStream_tbENKUlT_T0_SI_SN_E_clISD_SD_SD_SD_EEDaS11_S12_SI_SN_EUlS11_E_NS1_11comp_targetILNS1_3genE6ELNS1_11target_archE950ELNS1_3gpuE13ELNS1_3repE0EEENS1_47radix_sort_onesweep_sort_config_static_selectorELNS0_4arch9wavefront6targetE1EEEvSI_,"axG",@progbits,_ZN7rocprim17ROCPRIM_400000_NS6detail17trampoline_kernelINS0_14default_configENS1_35radix_sort_onesweep_config_selectorIxxEEZZNS1_29radix_sort_onesweep_iterationIS3_Lb0EN6thrust23THRUST_200600_302600_NS6detail15normal_iteratorINS8_10device_ptrIxEEEESD_SD_SD_jNS0_19identity_decomposerENS1_16block_id_wrapperIjLb1EEEEE10hipError_tT1_PNSt15iterator_traitsISI_E10value_typeET2_T3_PNSJ_ISO_E10value_typeET4_T5_PST_SU_PNS1_23onesweep_lookback_stateEbbT6_jjT7_P12ihipStream_tbENKUlT_T0_SI_SN_E_clISD_SD_SD_SD_EEDaS11_S12_SI_SN_EUlS11_E_NS1_11comp_targetILNS1_3genE6ELNS1_11target_archE950ELNS1_3gpuE13ELNS1_3repE0EEENS1_47radix_sort_onesweep_sort_config_static_selectorELNS0_4arch9wavefront6targetE1EEEvSI_,comdat
	.protected	_ZN7rocprim17ROCPRIM_400000_NS6detail17trampoline_kernelINS0_14default_configENS1_35radix_sort_onesweep_config_selectorIxxEEZZNS1_29radix_sort_onesweep_iterationIS3_Lb0EN6thrust23THRUST_200600_302600_NS6detail15normal_iteratorINS8_10device_ptrIxEEEESD_SD_SD_jNS0_19identity_decomposerENS1_16block_id_wrapperIjLb1EEEEE10hipError_tT1_PNSt15iterator_traitsISI_E10value_typeET2_T3_PNSJ_ISO_E10value_typeET4_T5_PST_SU_PNS1_23onesweep_lookback_stateEbbT6_jjT7_P12ihipStream_tbENKUlT_T0_SI_SN_E_clISD_SD_SD_SD_EEDaS11_S12_SI_SN_EUlS11_E_NS1_11comp_targetILNS1_3genE6ELNS1_11target_archE950ELNS1_3gpuE13ELNS1_3repE0EEENS1_47radix_sort_onesweep_sort_config_static_selectorELNS0_4arch9wavefront6targetE1EEEvSI_ ; -- Begin function _ZN7rocprim17ROCPRIM_400000_NS6detail17trampoline_kernelINS0_14default_configENS1_35radix_sort_onesweep_config_selectorIxxEEZZNS1_29radix_sort_onesweep_iterationIS3_Lb0EN6thrust23THRUST_200600_302600_NS6detail15normal_iteratorINS8_10device_ptrIxEEEESD_SD_SD_jNS0_19identity_decomposerENS1_16block_id_wrapperIjLb1EEEEE10hipError_tT1_PNSt15iterator_traitsISI_E10value_typeET2_T3_PNSJ_ISO_E10value_typeET4_T5_PST_SU_PNS1_23onesweep_lookback_stateEbbT6_jjT7_P12ihipStream_tbENKUlT_T0_SI_SN_E_clISD_SD_SD_SD_EEDaS11_S12_SI_SN_EUlS11_E_NS1_11comp_targetILNS1_3genE6ELNS1_11target_archE950ELNS1_3gpuE13ELNS1_3repE0EEENS1_47radix_sort_onesweep_sort_config_static_selectorELNS0_4arch9wavefront6targetE1EEEvSI_
	.globl	_ZN7rocprim17ROCPRIM_400000_NS6detail17trampoline_kernelINS0_14default_configENS1_35radix_sort_onesweep_config_selectorIxxEEZZNS1_29radix_sort_onesweep_iterationIS3_Lb0EN6thrust23THRUST_200600_302600_NS6detail15normal_iteratorINS8_10device_ptrIxEEEESD_SD_SD_jNS0_19identity_decomposerENS1_16block_id_wrapperIjLb1EEEEE10hipError_tT1_PNSt15iterator_traitsISI_E10value_typeET2_T3_PNSJ_ISO_E10value_typeET4_T5_PST_SU_PNS1_23onesweep_lookback_stateEbbT6_jjT7_P12ihipStream_tbENKUlT_T0_SI_SN_E_clISD_SD_SD_SD_EEDaS11_S12_SI_SN_EUlS11_E_NS1_11comp_targetILNS1_3genE6ELNS1_11target_archE950ELNS1_3gpuE13ELNS1_3repE0EEENS1_47radix_sort_onesweep_sort_config_static_selectorELNS0_4arch9wavefront6targetE1EEEvSI_
	.p2align	8
	.type	_ZN7rocprim17ROCPRIM_400000_NS6detail17trampoline_kernelINS0_14default_configENS1_35radix_sort_onesweep_config_selectorIxxEEZZNS1_29radix_sort_onesweep_iterationIS3_Lb0EN6thrust23THRUST_200600_302600_NS6detail15normal_iteratorINS8_10device_ptrIxEEEESD_SD_SD_jNS0_19identity_decomposerENS1_16block_id_wrapperIjLb1EEEEE10hipError_tT1_PNSt15iterator_traitsISI_E10value_typeET2_T3_PNSJ_ISO_E10value_typeET4_T5_PST_SU_PNS1_23onesweep_lookback_stateEbbT6_jjT7_P12ihipStream_tbENKUlT_T0_SI_SN_E_clISD_SD_SD_SD_EEDaS11_S12_SI_SN_EUlS11_E_NS1_11comp_targetILNS1_3genE6ELNS1_11target_archE950ELNS1_3gpuE13ELNS1_3repE0EEENS1_47radix_sort_onesweep_sort_config_static_selectorELNS0_4arch9wavefront6targetE1EEEvSI_,@function
_ZN7rocprim17ROCPRIM_400000_NS6detail17trampoline_kernelINS0_14default_configENS1_35radix_sort_onesweep_config_selectorIxxEEZZNS1_29radix_sort_onesweep_iterationIS3_Lb0EN6thrust23THRUST_200600_302600_NS6detail15normal_iteratorINS8_10device_ptrIxEEEESD_SD_SD_jNS0_19identity_decomposerENS1_16block_id_wrapperIjLb1EEEEE10hipError_tT1_PNSt15iterator_traitsISI_E10value_typeET2_T3_PNSJ_ISO_E10value_typeET4_T5_PST_SU_PNS1_23onesweep_lookback_stateEbbT6_jjT7_P12ihipStream_tbENKUlT_T0_SI_SN_E_clISD_SD_SD_SD_EEDaS11_S12_SI_SN_EUlS11_E_NS1_11comp_targetILNS1_3genE6ELNS1_11target_archE950ELNS1_3gpuE13ELNS1_3repE0EEENS1_47radix_sort_onesweep_sort_config_static_selectorELNS0_4arch9wavefront6targetE1EEEvSI_: ; @_ZN7rocprim17ROCPRIM_400000_NS6detail17trampoline_kernelINS0_14default_configENS1_35radix_sort_onesweep_config_selectorIxxEEZZNS1_29radix_sort_onesweep_iterationIS3_Lb0EN6thrust23THRUST_200600_302600_NS6detail15normal_iteratorINS8_10device_ptrIxEEEESD_SD_SD_jNS0_19identity_decomposerENS1_16block_id_wrapperIjLb1EEEEE10hipError_tT1_PNSt15iterator_traitsISI_E10value_typeET2_T3_PNSJ_ISO_E10value_typeET4_T5_PST_SU_PNS1_23onesweep_lookback_stateEbbT6_jjT7_P12ihipStream_tbENKUlT_T0_SI_SN_E_clISD_SD_SD_SD_EEDaS11_S12_SI_SN_EUlS11_E_NS1_11comp_targetILNS1_3genE6ELNS1_11target_archE950ELNS1_3gpuE13ELNS1_3repE0EEENS1_47radix_sort_onesweep_sort_config_static_selectorELNS0_4arch9wavefront6targetE1EEEvSI_
; %bb.0:
	s_load_dwordx4 s[48:51], s[2:3], 0x28
	s_load_dwordx2 s[56:57], s[2:3], 0x38
	s_load_dwordx4 s[52:55], s[2:3], 0x44
	v_and_b32_e32 v2, 0x3ff, v0
	v_cmp_eq_u32_e64 s[18:19], 0, v2
	s_and_saveexec_b64 s[6:7], s[18:19]
	s_cbranch_execz .LBB1198_4
; %bb.1:
	s_mov_b64 s[10:11], exec
	v_mbcnt_lo_u32_b32 v1, s10, 0
	v_mbcnt_hi_u32_b32 v1, s11, v1
	v_cmp_eq_u32_e32 vcc, 0, v1
                                        ; implicit-def: $vgpr3
	s_and_saveexec_b64 s[8:9], vcc
	s_cbranch_execz .LBB1198_3
; %bb.2:
	s_load_dwordx2 s[12:13], s[2:3], 0x50
	s_bcnt1_i32_b64 s5, s[10:11]
	v_mov_b32_e32 v3, 0
	v_mov_b32_e32 v4, s5
	s_waitcnt lgkmcnt(0)
	global_atomic_add v3, v3, v4, s[12:13] sc0
.LBB1198_3:
	s_or_b64 exec, exec, s[8:9]
	s_waitcnt vmcnt(0)
	v_readfirstlane_b32 s5, v3
	v_mov_b32_e32 v3, 0
	s_nop 0
	v_add_u32_e32 v1, s5, v1
	ds_write_b32 v3, v1 offset:20544
.LBB1198_4:
	s_or_b64 exec, exec, s[6:7]
	v_mov_b32_e32 v1, 0
	s_load_dwordx8 s[40:47], s[2:3], 0x0
	s_load_dword s5, s[2:3], 0x20
	s_waitcnt lgkmcnt(0)
	s_barrier
	ds_read_b32 v4, v1 offset:20544
	v_bfe_u32 v3, v0, 10, 10
	v_bfe_u32 v28, v0, 20, 10
	s_mov_b64 s[6:7], -1
	v_mbcnt_lo_u32_b32 v30, -1, 0
	s_waitcnt lgkmcnt(0)
	v_cmp_le_u32_e32 vcc, s54, v4
	v_readfirstlane_b32 s33, v4
	v_lshlrev_b32_e32 v29, 3, v2
	s_barrier
	s_cbranch_vccz .LBB1198_120
; %bb.5:
	s_lshl_b32 s6, s54, 13
	s_sub_i32 s5, s5, s6
	s_lshl_b32 s6, s33, 13
	s_mov_b32 s7, 0
	s_lshl_b64 s[54:55], s[6:7], 3
	v_mbcnt_hi_u32_b32 v26, -1, v30
	s_add_u32 s6, s40, s54
	v_and_b32_e32 v8, 63, v26
	s_addc_u32 s7, s41, s55
	v_and_b32_e32 v9, 0x1e00, v29
	v_lshlrev_b32_e32 v0, 3, v8
	v_lshl_add_u64 v[6:7], s[6:7], 0, v[0:1]
	v_lshlrev_b32_e32 v4, 3, v9
	v_mov_b32_e32 v5, v1
	v_or_b32_e32 v1, v8, v9
	v_lshl_add_u64 v[22:23], v[6:7], 0, v[4:5]
	v_cmp_gt_u32_e32 vcc, s5, v1
	v_mov_b64_e32 v[6:7], -1
	v_mov_b64_e32 v[8:9], -1
	s_and_saveexec_b64 s[6:7], vcc
	s_cbranch_execz .LBB1198_7
; %bb.6:
	global_load_dwordx2 v[8:9], v[22:23], off
	s_waitcnt vmcnt(0)
	v_xor_b32_e32 v9, 0x80000000, v9
.LBB1198_7:
	s_or_b64 exec, exec, s[6:7]
	v_or_b32_e32 v5, 64, v1
	v_cmp_gt_u32_e64 s[28:29], s5, v5
	s_and_saveexec_b64 s[6:7], s[28:29]
	s_cbranch_execz .LBB1198_9
; %bb.8:
	global_load_dwordx2 v[6:7], v[22:23], off offset:512
	s_waitcnt vmcnt(0)
	v_xor_b32_e32 v7, 0x80000000, v7
.LBB1198_9:
	s_or_b64 exec, exec, s[6:7]
	v_or_b32_e32 v5, 0x80, v1
	v_cmp_gt_u32_e64 s[6:7], s5, v5
	v_mov_b64_e32 v[10:11], -1
	v_mov_b64_e32 v[12:13], -1
	s_and_saveexec_b64 s[8:9], s[6:7]
	s_cbranch_execz .LBB1198_11
; %bb.10:
	global_load_dwordx2 v[12:13], v[22:23], off offset:1024
	s_waitcnt vmcnt(0)
	v_xor_b32_e32 v13, 0x80000000, v13
.LBB1198_11:
	s_or_b64 exec, exec, s[8:9]
	v_or_b32_e32 v5, 0xc0, v1
	v_cmp_gt_u32_e64 s[8:9], s5, v5
	s_and_saveexec_b64 s[10:11], s[8:9]
	s_cbranch_execz .LBB1198_13
; %bb.12:
	global_load_dwordx2 v[10:11], v[22:23], off offset:1536
	s_waitcnt vmcnt(0)
	v_xor_b32_e32 v11, 0x80000000, v11
.LBB1198_13:
	s_or_b64 exec, exec, s[10:11]
	v_or_b32_e32 v5, 0x100, v1
	v_cmp_gt_u32_e64 s[10:11], s5, v5
	v_mov_b64_e32 v[14:15], -1
	v_mov_b64_e32 v[16:17], -1
	s_and_saveexec_b64 s[12:13], s[10:11]
	s_cbranch_execz .LBB1198_15
; %bb.14:
	global_load_dwordx2 v[16:17], v[22:23], off offset:2048
	s_waitcnt vmcnt(0)
	v_xor_b32_e32 v17, 0x80000000, v17
.LBB1198_15:
	s_or_b64 exec, exec, s[12:13]
	v_or_b32_e32 v5, 0x140, v1
	v_cmp_gt_u32_e64 s[12:13], s5, v5
	s_and_saveexec_b64 s[14:15], s[12:13]
	s_cbranch_execz .LBB1198_17
; %bb.16:
	global_load_dwordx2 v[14:15], v[22:23], off offset:2560
	s_waitcnt vmcnt(0)
	v_xor_b32_e32 v15, 0x80000000, v15
.LBB1198_17:
	s_or_b64 exec, exec, s[14:15]
	v_or_b32_e32 v5, 0x180, v1
	v_cmp_gt_u32_e64 s[14:15], s5, v5
	v_mov_b64_e32 v[18:19], -1
	v_mov_b64_e32 v[20:21], -1
	s_and_saveexec_b64 s[16:17], s[14:15]
	s_cbranch_execz .LBB1198_19
; %bb.18:
	global_load_dwordx2 v[20:21], v[22:23], off offset:3072
	s_waitcnt vmcnt(0)
	v_xor_b32_e32 v21, 0x80000000, v21
.LBB1198_19:
	s_or_b64 exec, exec, s[16:17]
	v_or_b32_e32 v1, 0x1c0, v1
	v_cmp_gt_u32_e64 s[16:17], s5, v1
	s_and_saveexec_b64 s[20:21], s[16:17]
	s_cbranch_execz .LBB1198_21
; %bb.20:
	global_load_dwordx2 v[18:19], v[22:23], off offset:3584
	s_waitcnt vmcnt(0)
	v_xor_b32_e32 v19, 0x80000000, v19
.LBB1198_21:
	s_or_b64 exec, exec, s[20:21]
	s_load_dword s20, s[2:3], 0x64
	s_load_dword s58, s[2:3], 0x58
	s_add_u32 s21, s2, 0x58
	s_addc_u32 s22, s3, 0
	v_mov_b32_e32 v23, 0
	s_waitcnt lgkmcnt(0)
	s_lshr_b32 s23, s20, 16
	s_cmp_lt_u32 s4, s58
	s_cselect_b32 s20, 12, 18
	s_add_u32 s20, s21, s20
	s_addc_u32 s21, s22, 0
	global_load_ushort v1, v23, s[20:21]
	v_lshrrev_b64 v[24:25], s52, v[8:9]
	s_lshl_b32 s20, -1, s53
	v_bitop3_b32 v24, v24, s20, v24 bitop3:0x30
	s_movk_i32 s60, 0x44
	v_and_b32_e32 v22, 1, v24
	v_lshlrev_b32_e32 v33, 30, v24
	v_mov_b32_e32 v32, v23
	s_not_b32 s59, s20
	v_mul_lo_u32 v31, v24, s60
	v_lshlrev_b32_e32 v35, 29, v24
	v_lshlrev_b32_e32 v37, 28, v24
	;; [unrolled: 1-line block ×6, first 2 shown]
	v_lshl_add_u64 v[24:25], v[22:23], 0, -1
	v_cmp_ne_u32_e64 s[20:21], 0, v22
	v_not_b32_e32 v22, v33
	v_mov_b32_e32 v34, v23
	v_mov_b32_e32 v36, v23
	v_mad_u32_u24 v27, v28, s23, v3
	v_cmp_gt_i64_e64 s[22:23], 0, v[32:33]
	v_not_b32_e32 v32, v35
	v_xor_b32_e32 v25, s21, v25
	v_ashrrev_i32_e32 v22, 31, v22
	v_mov_b32_e32 v38, v23
	v_cmp_gt_i64_e64 s[24:25], 0, v[34:35]
	v_cmp_gt_i64_e64 s[26:27], 0, v[36:37]
	v_not_b32_e32 v33, v37
	v_xor_b32_e32 v24, s20, v24
	v_ashrrev_i32_e32 v32, 31, v32
	v_and_b32_e32 v25, exec_hi, v25
	v_xor_b32_e32 v37, s23, v22
	v_cmp_gt_i64_e64 s[30:31], 0, v[38:39]
	v_not_b32_e32 v34, v39
	v_ashrrev_i32_e32 v33, 31, v33
	v_and_b32_e32 v24, exec_lo, v24
	v_xor_b32_e32 v22, s22, v22
	v_xor_b32_e32 v38, s25, v32
	v_and_b32_e32 v25, v25, v37
	v_mov_b32_e32 v40, v23
	v_not_b32_e32 v35, v41
	v_ashrrev_i32_e32 v34, 31, v34
	v_xor_b32_e32 v39, s27, v33
	v_and_b32_e32 v22, v24, v22
	v_and_b32_e32 v24, v25, v38
	v_mov_b32_e32 v42, v23
	v_cmp_gt_i64_e64 s[34:35], 0, v[40:41]
	v_not_b32_e32 v36, v43
	v_ashrrev_i32_e32 v35, 31, v35
	v_xor_b32_e32 v32, s24, v32
	v_xor_b32_e32 v40, s31, v34
	v_and_b32_e32 v24, v24, v39
	v_cmp_gt_i64_e64 s[36:37], 0, v[42:43]
	v_ashrrev_i32_e32 v36, 31, v36
	v_xor_b32_e32 v33, s26, v33
	v_xor_b32_e32 v41, s35, v35
	v_and_b32_e32 v22, v22, v32
	v_and_b32_e32 v24, v24, v40
	v_xor_b32_e32 v34, s30, v34
	v_xor_b32_e32 v42, s37, v36
	v_and_b32_e32 v22, v22, v33
	v_and_b32_e32 v24, v24, v41
	v_mov_b32_e32 v44, v23
	v_xor_b32_e32 v35, s34, v35
	v_and_b32_e32 v22, v22, v34
	v_and_b32_e32 v32, v24, v42
	v_cmp_gt_i64_e64 s[38:39], 0, v[44:45]
	v_xor_b32_e32 v36, s36, v36
	v_and_b32_e32 v22, v22, v35
	v_and_b32_e32 v22, v22, v36
	v_mul_u32_u24_e32 v5, 20, v2
	ds_write2_b32 v5, v23, v23 offset0:16 offset1:17
	ds_write2_b32 v5, v23, v23 offset0:18 offset1:19
	ds_write_b32 v5, v23 offset:80
	s_waitcnt lgkmcnt(0)
	s_barrier
	s_waitcnt vmcnt(0)
	; wave barrier
	v_mad_u64_u32 v[24:25], s[20:21], v27, v1, v[2:3]
	v_not_b32_e32 v1, v45
	v_ashrrev_i32_e32 v1, 31, v1
	v_lshrrev_b32_e32 v40, 6, v24
	v_xor_b32_e32 v24, s39, v1
	v_xor_b32_e32 v1, s38, v1
	v_and_b32_e32 v25, v32, v24
	v_and_b32_e32 v24, v22, v1
	v_mbcnt_lo_u32_b32 v1, v24, 0
	v_lshl_add_u32 v27, v40, 2, v31
	v_mbcnt_hi_u32_b32 v31, v25, v1
	v_cmp_eq_u32_e64 s[20:21], 0, v31
	v_cmp_ne_u64_e64 s[22:23], 0, v[24:25]
	s_and_b64 s[22:23], s[22:23], s[20:21]
	s_and_saveexec_b64 s[20:21], s[22:23]
; %bb.22:
	v_bcnt_u32_b32 v1, v24, 0
	v_bcnt_u32_b32 v1, v25, v1
	ds_write_b32 v27, v1 offset:64
; %bb.23:
	s_or_b64 exec, exec, s[20:21]
	v_lshrrev_b64 v[24:25], s52, v[6:7]
	v_and_b32_e32 v32, s59, v24
	v_and_b32_e32 v22, 1, v32
	v_lshl_add_u64 v[24:25], v[22:23], 0, -1
	v_cmp_ne_u32_e64 s[20:21], 0, v22
	v_mul_lo_u32 v1, v32, s60
	v_lshl_add_u32 v34, v40, 2, v1
	v_xor_b32_e32 v24, s20, v24
	v_xor_b32_e32 v22, s21, v25
	v_and_b32_e32 v33, exec_lo, v24
	v_lshlrev_b32_e32 v25, 30, v32
	v_mov_b32_e32 v24, v23
	v_cmp_gt_i64_e64 s[20:21], 0, v[24:25]
	v_not_b32_e32 v24, v25
	v_ashrrev_i32_e32 v24, 31, v24
	v_and_b32_e32 v22, exec_hi, v22
	v_xor_b32_e32 v25, s21, v24
	v_xor_b32_e32 v24, s20, v24
	v_and_b32_e32 v22, v22, v25
	v_and_b32_e32 v33, v33, v24
	v_lshlrev_b32_e32 v25, 29, v32
	v_mov_b32_e32 v24, v23
	v_cmp_gt_i64_e64 s[20:21], 0, v[24:25]
	v_not_b32_e32 v24, v25
	v_ashrrev_i32_e32 v24, 31, v24
	v_xor_b32_e32 v25, s21, v24
	v_xor_b32_e32 v24, s20, v24
	v_and_b32_e32 v22, v22, v25
	v_and_b32_e32 v33, v33, v24
	v_lshlrev_b32_e32 v25, 28, v32
	v_mov_b32_e32 v24, v23
	v_cmp_gt_i64_e64 s[20:21], 0, v[24:25]
	v_not_b32_e32 v24, v25
	v_ashrrev_i32_e32 v24, 31, v24
	v_xor_b32_e32 v25, s21, v24
	v_xor_b32_e32 v24, s20, v24
	v_and_b32_e32 v22, v22, v25
	v_and_b32_e32 v33, v33, v24
	v_lshlrev_b32_e32 v25, 27, v32
	v_mov_b32_e32 v24, v23
	v_cmp_gt_i64_e64 s[20:21], 0, v[24:25]
	v_not_b32_e32 v24, v25
	v_ashrrev_i32_e32 v24, 31, v24
	v_xor_b32_e32 v25, s21, v24
	v_xor_b32_e32 v24, s20, v24
	v_and_b32_e32 v22, v22, v25
	v_and_b32_e32 v33, v33, v24
	v_lshlrev_b32_e32 v25, 26, v32
	v_mov_b32_e32 v24, v23
	v_cmp_gt_i64_e64 s[20:21], 0, v[24:25]
	v_not_b32_e32 v24, v25
	v_ashrrev_i32_e32 v24, 31, v24
	v_xor_b32_e32 v25, s21, v24
	v_xor_b32_e32 v24, s20, v24
	v_and_b32_e32 v22, v22, v25
	v_and_b32_e32 v33, v33, v24
	v_lshlrev_b32_e32 v25, 25, v32
	v_mov_b32_e32 v24, v23
	v_cmp_gt_i64_e64 s[20:21], 0, v[24:25]
	v_not_b32_e32 v24, v25
	v_ashrrev_i32_e32 v24, 31, v24
	v_xor_b32_e32 v25, s21, v24
	v_xor_b32_e32 v24, s20, v24
	v_and_b32_e32 v22, v22, v25
	v_lshlrev_b32_e32 v25, 24, v32
	v_and_b32_e32 v33, v33, v24
	v_mov_b32_e32 v24, v23
	v_not_b32_e32 v23, v25
	v_cmp_gt_i64_e64 s[20:21], 0, v[24:25]
	v_ashrrev_i32_e32 v23, 31, v23
	s_nop 0
	v_xor_b32_e32 v24, s21, v23
	v_xor_b32_e32 v25, s20, v23
	; wave barrier
	ds_read_b32 v1, v34 offset:64
	v_and_b32_e32 v23, v22, v24
	v_and_b32_e32 v22, v33, v25
	v_mbcnt_lo_u32_b32 v24, v22, 0
	v_mbcnt_hi_u32_b32 v32, v23, v24
	v_cmp_eq_u32_e64 s[20:21], 0, v32
	v_cmp_ne_u64_e64 s[22:23], 0, v[22:23]
	s_and_b64 s[22:23], s[22:23], s[20:21]
	; wave barrier
	s_and_saveexec_b64 s[20:21], s[22:23]
	s_cbranch_execz .LBB1198_25
; %bb.24:
	v_bcnt_u32_b32 v22, v22, 0
	v_bcnt_u32_b32 v22, v23, v22
	s_waitcnt lgkmcnt(0)
	v_add_u32_e32 v22, v1, v22
	ds_write_b32 v34, v22 offset:64
.LBB1198_25:
	s_or_b64 exec, exec, s[20:21]
	v_lshrrev_b64 v[22:23], s52, v[12:13]
	v_and_b32_e32 v35, s59, v22
	s_movk_i32 s24, 0x44
	v_mul_lo_u32 v22, v35, s24
	v_lshl_add_u32 v37, v40, 2, v22
	v_and_b32_e32 v22, 1, v35
	v_mov_b32_e32 v23, 0
	v_lshl_add_u64 v[24:25], v[22:23], 0, -1
	v_cmp_ne_u32_e64 s[20:21], 0, v22
	; wave barrier
	s_nop 1
	v_xor_b32_e32 v24, s20, v24
	v_xor_b32_e32 v22, s21, v25
	v_and_b32_e32 v36, exec_lo, v24
	v_lshlrev_b32_e32 v25, 30, v35
	v_mov_b32_e32 v24, v23
	v_cmp_gt_i64_e64 s[20:21], 0, v[24:25]
	v_not_b32_e32 v24, v25
	v_ashrrev_i32_e32 v24, 31, v24
	v_and_b32_e32 v22, exec_hi, v22
	v_xor_b32_e32 v25, s21, v24
	v_xor_b32_e32 v24, s20, v24
	v_and_b32_e32 v22, v22, v25
	v_and_b32_e32 v36, v36, v24
	v_lshlrev_b32_e32 v25, 29, v35
	v_mov_b32_e32 v24, v23
	v_cmp_gt_i64_e64 s[20:21], 0, v[24:25]
	v_not_b32_e32 v24, v25
	v_ashrrev_i32_e32 v24, 31, v24
	v_xor_b32_e32 v25, s21, v24
	v_xor_b32_e32 v24, s20, v24
	v_and_b32_e32 v22, v22, v25
	v_and_b32_e32 v36, v36, v24
	v_lshlrev_b32_e32 v25, 28, v35
	v_mov_b32_e32 v24, v23
	v_cmp_gt_i64_e64 s[20:21], 0, v[24:25]
	v_not_b32_e32 v24, v25
	v_ashrrev_i32_e32 v24, 31, v24
	;; [unrolled: 9-line block ×6, first 2 shown]
	v_xor_b32_e32 v25, s21, v24
	v_xor_b32_e32 v24, s20, v24
	ds_read_b32 v33, v37 offset:64
	v_and_b32_e32 v24, v36, v24
	v_and_b32_e32 v25, v22, v25
	v_mbcnt_lo_u32_b32 v22, v24, 0
	v_mbcnt_hi_u32_b32 v35, v25, v22
	v_cmp_eq_u32_e64 s[20:21], 0, v35
	v_cmp_ne_u64_e64 s[22:23], 0, v[24:25]
	s_and_b64 s[22:23], s[22:23], s[20:21]
	; wave barrier
	s_and_saveexec_b64 s[20:21], s[22:23]
	s_cbranch_execz .LBB1198_27
; %bb.26:
	v_bcnt_u32_b32 v22, v24, 0
	v_bcnt_u32_b32 v22, v25, v22
	s_waitcnt lgkmcnt(0)
	v_add_u32_e32 v22, v33, v22
	ds_write_b32 v37, v22 offset:64
.LBB1198_27:
	s_or_b64 exec, exec, s[20:21]
	v_lshrrev_b64 v[24:25], s52, v[10:11]
	v_and_b32_e32 v38, s59, v24
	v_mul_lo_u32 v22, v38, s24
	v_lshl_add_u32 v41, v40, 2, v22
	v_and_b32_e32 v22, 1, v38
	v_lshl_add_u64 v[24:25], v[22:23], 0, -1
	v_cmp_ne_u32_e64 s[20:21], 0, v22
	; wave barrier
	s_nop 1
	v_xor_b32_e32 v24, s20, v24
	v_xor_b32_e32 v22, s21, v25
	v_and_b32_e32 v39, exec_lo, v24
	v_lshlrev_b32_e32 v25, 30, v38
	v_mov_b32_e32 v24, v23
	v_cmp_gt_i64_e64 s[20:21], 0, v[24:25]
	v_not_b32_e32 v24, v25
	v_ashrrev_i32_e32 v24, 31, v24
	v_and_b32_e32 v22, exec_hi, v22
	v_xor_b32_e32 v25, s21, v24
	v_xor_b32_e32 v24, s20, v24
	v_and_b32_e32 v22, v22, v25
	v_and_b32_e32 v39, v39, v24
	v_lshlrev_b32_e32 v25, 29, v38
	v_mov_b32_e32 v24, v23
	v_cmp_gt_i64_e64 s[20:21], 0, v[24:25]
	v_not_b32_e32 v24, v25
	v_ashrrev_i32_e32 v24, 31, v24
	v_xor_b32_e32 v25, s21, v24
	v_xor_b32_e32 v24, s20, v24
	v_and_b32_e32 v22, v22, v25
	v_and_b32_e32 v39, v39, v24
	v_lshlrev_b32_e32 v25, 28, v38
	v_mov_b32_e32 v24, v23
	v_cmp_gt_i64_e64 s[20:21], 0, v[24:25]
	v_not_b32_e32 v24, v25
	v_ashrrev_i32_e32 v24, 31, v24
	;; [unrolled: 9-line block ×5, first 2 shown]
	v_xor_b32_e32 v25, s21, v24
	v_xor_b32_e32 v24, s20, v24
	v_and_b32_e32 v22, v22, v25
	v_lshlrev_b32_e32 v25, 24, v38
	v_and_b32_e32 v39, v39, v24
	v_mov_b32_e32 v24, v23
	v_not_b32_e32 v23, v25
	v_cmp_gt_i64_e64 s[20:21], 0, v[24:25]
	v_ashrrev_i32_e32 v23, 31, v23
	ds_read_b32 v36, v41 offset:64
	v_xor_b32_e32 v24, s21, v23
	v_xor_b32_e32 v25, s20, v23
	v_and_b32_e32 v23, v22, v24
	v_and_b32_e32 v22, v39, v25
	v_mbcnt_lo_u32_b32 v24, v22, 0
	v_mbcnt_hi_u32_b32 v38, v23, v24
	v_cmp_eq_u32_e64 s[20:21], 0, v38
	v_cmp_ne_u64_e64 s[22:23], 0, v[22:23]
	s_and_b64 s[22:23], s[22:23], s[20:21]
	; wave barrier
	s_and_saveexec_b64 s[20:21], s[22:23]
	s_cbranch_execz .LBB1198_29
; %bb.28:
	v_bcnt_u32_b32 v22, v22, 0
	v_bcnt_u32_b32 v22, v23, v22
	s_waitcnt lgkmcnt(0)
	v_add_u32_e32 v22, v36, v22
	ds_write_b32 v41, v22 offset:64
.LBB1198_29:
	s_or_b64 exec, exec, s[20:21]
	v_lshrrev_b64 v[22:23], s52, v[16:17]
	v_and_b32_e32 v42, s59, v22
	v_mul_lo_u32 v22, v42, s24
	v_lshl_add_u32 v44, v40, 2, v22
	v_and_b32_e32 v22, 1, v42
	v_mov_b32_e32 v23, 0
	v_lshl_add_u64 v[24:25], v[22:23], 0, -1
	v_cmp_ne_u32_e64 s[20:21], 0, v22
	; wave barrier
	s_nop 1
	v_xor_b32_e32 v24, s20, v24
	v_xor_b32_e32 v22, s21, v25
	v_and_b32_e32 v43, exec_lo, v24
	v_lshlrev_b32_e32 v25, 30, v42
	v_mov_b32_e32 v24, v23
	v_cmp_gt_i64_e64 s[20:21], 0, v[24:25]
	v_not_b32_e32 v24, v25
	v_ashrrev_i32_e32 v24, 31, v24
	v_and_b32_e32 v22, exec_hi, v22
	v_xor_b32_e32 v25, s21, v24
	v_xor_b32_e32 v24, s20, v24
	v_and_b32_e32 v22, v22, v25
	v_and_b32_e32 v43, v43, v24
	v_lshlrev_b32_e32 v25, 29, v42
	v_mov_b32_e32 v24, v23
	v_cmp_gt_i64_e64 s[20:21], 0, v[24:25]
	v_not_b32_e32 v24, v25
	v_ashrrev_i32_e32 v24, 31, v24
	v_xor_b32_e32 v25, s21, v24
	v_xor_b32_e32 v24, s20, v24
	v_and_b32_e32 v22, v22, v25
	v_and_b32_e32 v43, v43, v24
	v_lshlrev_b32_e32 v25, 28, v42
	v_mov_b32_e32 v24, v23
	v_cmp_gt_i64_e64 s[20:21], 0, v[24:25]
	v_not_b32_e32 v24, v25
	v_ashrrev_i32_e32 v24, 31, v24
	;; [unrolled: 9-line block ×6, first 2 shown]
	v_xor_b32_e32 v25, s21, v24
	v_xor_b32_e32 v24, s20, v24
	ds_read_b32 v39, v44 offset:64
	v_and_b32_e32 v24, v43, v24
	v_and_b32_e32 v25, v22, v25
	v_mbcnt_lo_u32_b32 v22, v24, 0
	v_mbcnt_hi_u32_b32 v42, v25, v22
	v_cmp_eq_u32_e64 s[20:21], 0, v42
	v_cmp_ne_u64_e64 s[22:23], 0, v[24:25]
	s_and_b64 s[22:23], s[22:23], s[20:21]
	; wave barrier
	s_and_saveexec_b64 s[20:21], s[22:23]
	s_cbranch_execz .LBB1198_31
; %bb.30:
	v_bcnt_u32_b32 v22, v24, 0
	v_bcnt_u32_b32 v22, v25, v22
	s_waitcnt lgkmcnt(0)
	v_add_u32_e32 v22, v39, v22
	ds_write_b32 v44, v22 offset:64
.LBB1198_31:
	s_or_b64 exec, exec, s[20:21]
	v_lshrrev_b64 v[24:25], s52, v[14:15]
	v_and_b32_e32 v45, s59, v24
	v_mul_lo_u32 v22, v45, s24
	v_lshl_add_u32 v47, v40, 2, v22
	v_and_b32_e32 v22, 1, v45
	v_lshl_add_u64 v[24:25], v[22:23], 0, -1
	v_cmp_ne_u32_e64 s[20:21], 0, v22
	; wave barrier
	s_nop 1
	v_xor_b32_e32 v24, s20, v24
	v_xor_b32_e32 v22, s21, v25
	v_and_b32_e32 v46, exec_lo, v24
	v_lshlrev_b32_e32 v25, 30, v45
	v_mov_b32_e32 v24, v23
	v_cmp_gt_i64_e64 s[20:21], 0, v[24:25]
	v_not_b32_e32 v24, v25
	v_ashrrev_i32_e32 v24, 31, v24
	v_and_b32_e32 v22, exec_hi, v22
	v_xor_b32_e32 v25, s21, v24
	v_xor_b32_e32 v24, s20, v24
	v_and_b32_e32 v22, v22, v25
	v_and_b32_e32 v46, v46, v24
	v_lshlrev_b32_e32 v25, 29, v45
	v_mov_b32_e32 v24, v23
	v_cmp_gt_i64_e64 s[20:21], 0, v[24:25]
	v_not_b32_e32 v24, v25
	v_ashrrev_i32_e32 v24, 31, v24
	v_xor_b32_e32 v25, s21, v24
	v_xor_b32_e32 v24, s20, v24
	v_and_b32_e32 v22, v22, v25
	v_and_b32_e32 v46, v46, v24
	v_lshlrev_b32_e32 v25, 28, v45
	v_mov_b32_e32 v24, v23
	v_cmp_gt_i64_e64 s[20:21], 0, v[24:25]
	v_not_b32_e32 v24, v25
	v_ashrrev_i32_e32 v24, 31, v24
	;; [unrolled: 9-line block ×5, first 2 shown]
	v_xor_b32_e32 v25, s21, v24
	v_xor_b32_e32 v24, s20, v24
	v_and_b32_e32 v22, v22, v25
	v_lshlrev_b32_e32 v25, 24, v45
	v_and_b32_e32 v46, v46, v24
	v_mov_b32_e32 v24, v23
	v_not_b32_e32 v23, v25
	v_cmp_gt_i64_e64 s[20:21], 0, v[24:25]
	v_ashrrev_i32_e32 v23, 31, v23
	ds_read_b32 v43, v47 offset:64
	v_xor_b32_e32 v24, s21, v23
	v_xor_b32_e32 v25, s20, v23
	v_and_b32_e32 v23, v22, v24
	v_and_b32_e32 v22, v46, v25
	v_mbcnt_lo_u32_b32 v24, v22, 0
	v_mbcnt_hi_u32_b32 v45, v23, v24
	v_cmp_eq_u32_e64 s[20:21], 0, v45
	v_cmp_ne_u64_e64 s[22:23], 0, v[22:23]
	s_and_b64 s[22:23], s[22:23], s[20:21]
	; wave barrier
	s_and_saveexec_b64 s[20:21], s[22:23]
	s_cbranch_execz .LBB1198_33
; %bb.32:
	v_bcnt_u32_b32 v22, v22, 0
	v_bcnt_u32_b32 v22, v23, v22
	s_waitcnt lgkmcnt(0)
	v_add_u32_e32 v22, v43, v22
	ds_write_b32 v47, v22 offset:64
.LBB1198_33:
	s_or_b64 exec, exec, s[20:21]
	v_lshrrev_b64 v[22:23], s52, v[20:21]
	v_and_b32_e32 v48, s59, v22
	v_mul_lo_u32 v22, v48, s24
	v_lshl_add_u32 v50, v40, 2, v22
	v_and_b32_e32 v22, 1, v48
	v_mov_b32_e32 v23, 0
	v_lshl_add_u64 v[24:25], v[22:23], 0, -1
	v_cmp_ne_u32_e64 s[20:21], 0, v22
	; wave barrier
	s_nop 1
	v_xor_b32_e32 v24, s20, v24
	v_xor_b32_e32 v22, s21, v25
	v_and_b32_e32 v49, exec_lo, v24
	v_lshlrev_b32_e32 v25, 30, v48
	v_mov_b32_e32 v24, v23
	v_cmp_gt_i64_e64 s[20:21], 0, v[24:25]
	v_not_b32_e32 v24, v25
	v_ashrrev_i32_e32 v24, 31, v24
	v_and_b32_e32 v22, exec_hi, v22
	v_xor_b32_e32 v25, s21, v24
	v_xor_b32_e32 v24, s20, v24
	v_and_b32_e32 v22, v22, v25
	v_and_b32_e32 v49, v49, v24
	v_lshlrev_b32_e32 v25, 29, v48
	v_mov_b32_e32 v24, v23
	v_cmp_gt_i64_e64 s[20:21], 0, v[24:25]
	v_not_b32_e32 v24, v25
	v_ashrrev_i32_e32 v24, 31, v24
	v_xor_b32_e32 v25, s21, v24
	v_xor_b32_e32 v24, s20, v24
	v_and_b32_e32 v22, v22, v25
	v_and_b32_e32 v49, v49, v24
	v_lshlrev_b32_e32 v25, 28, v48
	v_mov_b32_e32 v24, v23
	v_cmp_gt_i64_e64 s[20:21], 0, v[24:25]
	v_not_b32_e32 v24, v25
	v_ashrrev_i32_e32 v24, 31, v24
	;; [unrolled: 9-line block ×6, first 2 shown]
	v_xor_b32_e32 v25, s21, v24
	v_xor_b32_e32 v24, s20, v24
	ds_read_b32 v46, v50 offset:64
	v_and_b32_e32 v24, v49, v24
	v_and_b32_e32 v25, v22, v25
	v_mbcnt_lo_u32_b32 v22, v24, 0
	v_mbcnt_hi_u32_b32 v48, v25, v22
	v_cmp_eq_u32_e64 s[20:21], 0, v48
	v_cmp_ne_u64_e64 s[22:23], 0, v[24:25]
	s_and_b64 s[22:23], s[22:23], s[20:21]
	; wave barrier
	s_and_saveexec_b64 s[20:21], s[22:23]
	s_cbranch_execz .LBB1198_35
; %bb.34:
	v_bcnt_u32_b32 v22, v24, 0
	v_bcnt_u32_b32 v22, v25, v22
	s_waitcnt lgkmcnt(0)
	v_add_u32_e32 v22, v46, v22
	ds_write_b32 v50, v22 offset:64
.LBB1198_35:
	s_or_b64 exec, exec, s[20:21]
	v_lshrrev_b64 v[24:25], s52, v[18:19]
	v_and_b32_e32 v51, s59, v24
	v_mul_lo_u32 v22, v51, s24
	v_lshl_add_u32 v40, v40, 2, v22
	v_and_b32_e32 v22, 1, v51
	v_lshl_add_u64 v[24:25], v[22:23], 0, -1
	v_cmp_ne_u32_e64 s[20:21], 0, v22
	; wave barrier
	s_nop 1
	v_xor_b32_e32 v24, s20, v24
	v_xor_b32_e32 v22, s21, v25
	v_and_b32_e32 v52, exec_lo, v24
	v_lshlrev_b32_e32 v25, 30, v51
	v_mov_b32_e32 v24, v23
	v_cmp_gt_i64_e64 s[20:21], 0, v[24:25]
	v_not_b32_e32 v24, v25
	v_ashrrev_i32_e32 v24, 31, v24
	v_and_b32_e32 v22, exec_hi, v22
	v_xor_b32_e32 v25, s21, v24
	v_xor_b32_e32 v24, s20, v24
	v_and_b32_e32 v22, v22, v25
	v_and_b32_e32 v52, v52, v24
	v_lshlrev_b32_e32 v25, 29, v51
	v_mov_b32_e32 v24, v23
	v_cmp_gt_i64_e64 s[20:21], 0, v[24:25]
	v_not_b32_e32 v24, v25
	v_ashrrev_i32_e32 v24, 31, v24
	v_xor_b32_e32 v25, s21, v24
	v_xor_b32_e32 v24, s20, v24
	v_and_b32_e32 v22, v22, v25
	v_and_b32_e32 v52, v52, v24
	v_lshlrev_b32_e32 v25, 28, v51
	v_mov_b32_e32 v24, v23
	v_cmp_gt_i64_e64 s[20:21], 0, v[24:25]
	v_not_b32_e32 v24, v25
	v_ashrrev_i32_e32 v24, 31, v24
	;; [unrolled: 9-line block ×5, first 2 shown]
	v_xor_b32_e32 v25, s21, v24
	v_xor_b32_e32 v24, s20, v24
	v_and_b32_e32 v22, v22, v25
	v_lshlrev_b32_e32 v25, 24, v51
	v_and_b32_e32 v52, v52, v24
	v_mov_b32_e32 v24, v23
	v_not_b32_e32 v23, v25
	v_cmp_gt_i64_e64 s[20:21], 0, v[24:25]
	v_ashrrev_i32_e32 v23, 31, v23
	ds_read_b32 v49, v40 offset:64
	v_xor_b32_e32 v24, s21, v23
	v_xor_b32_e32 v25, s20, v23
	v_and_b32_e32 v23, v22, v24
	v_and_b32_e32 v22, v52, v25
	v_mbcnt_lo_u32_b32 v24, v22, 0
	v_mbcnt_hi_u32_b32 v51, v23, v24
	v_cmp_eq_u32_e64 s[20:21], 0, v51
	v_cmp_ne_u64_e64 s[22:23], 0, v[22:23]
	s_and_b64 s[22:23], s[22:23], s[20:21]
	; wave barrier
	s_and_saveexec_b64 s[20:21], s[22:23]
	s_cbranch_execz .LBB1198_37
; %bb.36:
	v_bcnt_u32_b32 v22, v22, 0
	v_bcnt_u32_b32 v22, v23, v22
	s_waitcnt lgkmcnt(0)
	v_add_u32_e32 v22, v49, v22
	ds_write_b32 v40, v22 offset:64
.LBB1198_37:
	s_or_b64 exec, exec, s[20:21]
	; wave barrier
	s_waitcnt lgkmcnt(0)
	s_barrier
	ds_read2_b32 v[24:25], v5 offset0:16 offset1:17
	ds_read2_b32 v[22:23], v5 offset0:18 offset1:19
	ds_read_b32 v52, v5 offset:80
	v_cmp_lt_u32_e64 s[30:31], 31, v26
	s_waitcnt lgkmcnt(1)
	v_add3_u32 v53, v25, v24, v22
	s_waitcnt lgkmcnt(0)
	v_add3_u32 v52, v53, v23, v52
	v_and_b32_e32 v53, 15, v26
	v_cmp_eq_u32_e64 s[20:21], 0, v53
	v_mov_b32_dpp v54, v52 row_shr:1 row_mask:0xf bank_mask:0xf
	v_cmp_lt_u32_e64 s[22:23], 1, v53
	v_cndmask_b32_e64 v54, v54, 0, s[20:21]
	v_add_u32_e32 v52, v54, v52
	v_cmp_lt_u32_e64 s[24:25], 3, v53
	v_cmp_lt_u32_e64 s[26:27], 7, v53
	v_mov_b32_dpp v54, v52 row_shr:2 row_mask:0xf bank_mask:0xf
	v_cndmask_b32_e64 v54, 0, v54, s[22:23]
	v_add_u32_e32 v52, v52, v54
	s_nop 1
	v_mov_b32_dpp v54, v52 row_shr:4 row_mask:0xf bank_mask:0xf
	v_cndmask_b32_e64 v54, 0, v54, s[24:25]
	v_add_u32_e32 v52, v52, v54
	s_nop 1
	v_mov_b32_dpp v54, v52 row_shr:8 row_mask:0xf bank_mask:0xf
	v_cndmask_b32_e64 v53, 0, v54, s[26:27]
	v_add_u32_e32 v52, v52, v53
	v_bfe_i32 v54, v26, 4, 1
	s_nop 0
	v_mov_b32_dpp v53, v52 row_bcast:15 row_mask:0xf bank_mask:0xf
	v_and_b32_e32 v53, v54, v53
	v_add_u32_e32 v52, v52, v53
	v_and_b32_e32 v54, 63, v2
	s_nop 0
	v_mov_b32_dpp v53, v52 row_bcast:31 row_mask:0xf bank_mask:0xf
	v_cndmask_b32_e64 v53, 0, v53, s[30:31]
	v_add_u32_e32 v52, v52, v53
	v_lshrrev_b32_e32 v53, 6, v2
	v_cmp_eq_u32_e64 s[30:31], 63, v54
	s_and_saveexec_b64 s[34:35], s[30:31]
; %bb.38:
	v_lshlrev_b32_e32 v54, 2, v53
	ds_write_b32 v54, v52
; %bb.39:
	s_or_b64 exec, exec, s[34:35]
	v_cmp_gt_u32_e64 s[30:31], 16, v2
	s_waitcnt lgkmcnt(0)
	s_barrier
	s_and_saveexec_b64 s[34:35], s[30:31]
	s_cbranch_execz .LBB1198_41
; %bb.40:
	v_lshlrev_b32_e32 v54, 2, v2
	ds_read_b32 v55, v54
	s_waitcnt lgkmcnt(0)
	s_nop 0
	v_mov_b32_dpp v56, v55 row_shr:1 row_mask:0xf bank_mask:0xf
	v_cndmask_b32_e64 v56, v56, 0, s[20:21]
	v_add_u32_e32 v55, v56, v55
	s_nop 1
	v_mov_b32_dpp v56, v55 row_shr:2 row_mask:0xf bank_mask:0xf
	v_cndmask_b32_e64 v56, 0, v56, s[22:23]
	v_add_u32_e32 v55, v55, v56
	;; [unrolled: 4-line block ×4, first 2 shown]
	ds_write_b32 v54, v55
.LBB1198_41:
	s_or_b64 exec, exec, s[34:35]
	v_cmp_lt_u32_e64 s[20:21], 63, v2
	v_mov_b32_e32 v54, 0
	s_waitcnt lgkmcnt(0)
	s_barrier
	s_and_saveexec_b64 s[22:23], s[20:21]
; %bb.42:
	v_lshl_add_u32 v53, v53, 2, -4
	ds_read_b32 v54, v53
; %bb.43:
	s_or_b64 exec, exec, s[22:23]
	v_subrev_co_u32_e64 v53, s[20:21], 1, v26
	v_and_b32_e32 v55, 64, v26
	v_cmp_lt_i32_e64 s[22:23], v53, v55
	s_waitcnt lgkmcnt(0)
	v_add_u32_e32 v52, v54, v52
	s_movk_i32 s24, 0x100
	v_cndmask_b32_e64 v26, v53, v26, s[22:23]
	v_lshlrev_b32_e32 v26, 2, v26
	ds_bpermute_b32 v26, v26, v52
	v_cmp_gt_u32_e64 s[22:23], s24, v2
	s_waitcnt lgkmcnt(0)
	v_cndmask_b32_e64 v26, v26, v54, s[20:21]
	v_cndmask_b32_e64 v26, v26, 0, s[18:19]
	v_add_u32_e32 v24, v26, v24
	v_add_u32_e32 v25, v24, v25
	;; [unrolled: 1-line block ×4, first 2 shown]
	ds_write2_b32 v5, v26, v24 offset0:16 offset1:17
	ds_write2_b32 v5, v25, v22 offset0:18 offset1:19
	ds_write_b32 v5, v23 offset:80
	s_waitcnt lgkmcnt(0)
	s_barrier
	ds_read_b32 v55, v27 offset:64
	ds_read_b32 v5, v34 offset:64
	;; [unrolled: 1-line block ×8, first 2 shown]
	s_movk_i32 s20, 0xff
	v_cmp_lt_u32_e64 s[20:21], s20, v2
                                        ; implicit-def: $vgpr34
                                        ; implicit-def: $vgpr37
	s_and_saveexec_b64 s[26:27], s[22:23]
	s_cbranch_execz .LBB1198_47
; %bb.44:
	v_mul_u32_u24_e32 v22, 0x44, v2
	ds_read_b32 v34, v22 offset:64
	v_add_u32_e32 v23, 1, v2
	v_cmp_ne_u32_e64 s[24:25], s24, v23
	v_mov_b32_e32 v22, 0x2000
	s_and_saveexec_b64 s[30:31], s[24:25]
; %bb.45:
	v_mul_u32_u24_e32 v22, 0x44, v23
	ds_read_b32 v22, v22 offset:64
; %bb.46:
	s_or_b64 exec, exec, s[30:31]
	s_waitcnt lgkmcnt(0)
	v_sub_u32_e32 v37, v22, v34
.LBB1198_47:
	s_or_b64 exec, exec, s[26:27]
	v_mov_b32_e32 v23, 0
	v_lshlrev_b32_e32 v40, 2, v2
	s_waitcnt lgkmcnt(0)
	s_barrier
	s_and_saveexec_b64 s[24:25], s[22:23]
	s_cbranch_execz .LBB1198_57
; %bb.48:
	v_lshl_add_u32 v22, s33, 8, v2
	v_lshl_add_u64 v[24:25], v[22:23], 2, s[56:57]
	v_or_b32_e32 v22, 2.0, v37
	s_mov_b64 s[26:27], 0
	s_brev_b32 s36, -4
	s_mov_b32 s37, s33
	v_mov_b32_e32 v50, 0
	global_store_dword v[24:25], v22, off sc1
                                        ; implicit-def: $sgpr22_sgpr23
	s_branch .LBB1198_51
.LBB1198_49:                            ;   in Loop: Header=BB1198_51 Depth=1
	s_or_b64 exec, exec, s[34:35]
.LBB1198_50:                            ;   in Loop: Header=BB1198_51 Depth=1
	s_or_b64 exec, exec, s[30:31]
	v_and_b32_e32 v26, 0x3fffffff, v22
	v_add_u32_e32 v50, v26, v50
	v_cmp_gt_i32_e64 s[22:23], -2.0, v22
	s_and_b64 s[30:31], exec, s[22:23]
	s_or_b64 s[26:27], s[30:31], s[26:27]
	s_andn2_b64 exec, exec, s[26:27]
	s_cbranch_execz .LBB1198_56
.LBB1198_51:                            ; =>This Loop Header: Depth=1
                                        ;     Child Loop BB1198_54 Depth 2
	s_or_b64 s[22:23], s[22:23], exec
	s_cmp_eq_u32 s37, 0
	s_cbranch_scc1 .LBB1198_55
; %bb.52:                               ;   in Loop: Header=BB1198_51 Depth=1
	s_add_i32 s37, s37, -1
	v_lshl_or_b32 v22, s37, 8, v2
	v_lshl_add_u64 v[26:27], v[22:23], 2, s[56:57]
	global_load_dword v22, v[26:27], off sc1
	s_waitcnt vmcnt(0)
	v_cmp_gt_u32_e64 s[22:23], 2.0, v22
	s_and_saveexec_b64 s[30:31], s[22:23]
	s_cbranch_execz .LBB1198_50
; %bb.53:                               ;   in Loop: Header=BB1198_51 Depth=1
	s_mov_b64 s[34:35], 0
.LBB1198_54:                            ;   Parent Loop BB1198_51 Depth=1
                                        ; =>  This Inner Loop Header: Depth=2
	global_load_dword v22, v[26:27], off sc1
	s_waitcnt vmcnt(0)
	v_cmp_lt_u32_e64 s[22:23], s36, v22
	s_or_b64 s[34:35], s[22:23], s[34:35]
	s_andn2_b64 exec, exec, s[34:35]
	s_cbranch_execnz .LBB1198_54
	s_branch .LBB1198_49
.LBB1198_55:                            ;   in Loop: Header=BB1198_51 Depth=1
                                        ; implicit-def: $sgpr37
	s_and_b64 s[30:31], exec, s[22:23]
	s_or_b64 s[26:27], s[30:31], s[26:27]
	s_andn2_b64 exec, exec, s[26:27]
	s_cbranch_execnz .LBB1198_51
.LBB1198_56:
	s_or_b64 exec, exec, s[26:27]
	v_add_u32_e32 v22, v50, v37
	v_or_b32_e32 v22, 0x80000000, v22
	global_store_dword v[24:25], v22, off sc1
	global_load_dword v22, v40, s[48:49]
	v_sub_u32_e32 v23, v50, v34
	s_waitcnt vmcnt(0)
	v_add_u32_e32 v22, v23, v22
	ds_write_b32 v40, v22
.LBB1198_57:
	s_or_b64 exec, exec, s[24:25]
	s_load_dwordx2 s[22:23], s[0:1], 0x4
	v_add_u32_e32 v24, v55, v31
	v_add3_u32 v22, v32, v1, v5
	v_add3_u32 v23, v35, v33, v52
	;; [unrolled: 1-line block ×3, first 2 shown]
	s_waitcnt lgkmcnt(0)
	s_lshr_b32 s0, s22, 16
	s_mul_i32 s0, s0, s23
	v_mul_lo_u32 v25, s0, v2
	v_mul_u32_u24_e32 v27, s23, v3
	v_add3_u32 v25, v25, v27, v28
	v_mov_b32_e32 v27, 0x5050
	v_add3_u32 v55, v42, v39, v54
	v_add3_u32 v56, v45, v43, v47
	;; [unrolled: 1-line block ×4, first 2 shown]
	v_lshl_add_u32 v25, v25, 5, v27
	v_mov_b32_e32 v57, 0x400
	s_movk_i32 s24, 0x400
	v_lshl_add_u32 v26, v26, 3, v57
	v_add3_u32 v27, v51, v44, v49
	v_lshl_add_u32 v31, v31, 3, v57
	v_add3_u32 v41, v48, v41, v46
	;; [unrolled: 2-line block ×7, first 2 shown]
	v_lshl_add_u32 v46, v24, 3, v57
	s_mov_b32 s25, 0
	s_movk_i32 s26, 0x800
	v_add_u32_e32 v47, v40, v40
	v_mov_b32_e32 v23, 0
	v_mov_b32_e32 v1, v2
	;; [unrolled: 1-line block ×3, first 2 shown]
	s_mov_b32 s27, 0
	s_branch .LBB1198_59
.LBB1198_58:                            ;   in Loop: Header=BB1198_59 Depth=1
	s_or_b64 exec, exec, s[22:23]
	s_addk_i32 s27, 0xc000
	s_addk_i32 s25, 0xf800
	v_add_u32_e32 v5, 8, v5
	s_cmp_eq_u32 s27, 0xffff0000
	v_add_u32_e32 v1, 0x800, v1
	s_waitcnt lgkmcnt(0)
	s_barrier
	s_cbranch_scc1 .LBB1198_79
.LBB1198_59:                            ; =>This Inner Loop Header: Depth=1
	v_add_u32_e32 v22, s25, v24
	v_cmp_gt_u32_e64 s[0:1], s26, v22
	s_and_saveexec_b64 s[22:23], s[0:1]
; %bb.60:                               ;   in Loop: Header=BB1198_59 Depth=1
	v_add_u32_e32 v22, s27, v46
	ds_write_b64 v22, v[8:9]
; %bb.61:                               ;   in Loop: Header=BB1198_59 Depth=1
	s_or_b64 exec, exec, s[22:23]
	v_add_u32_e32 v22, s25, v32
	v_cmp_gt_u32_e64 s[0:1], s26, v22
	s_and_saveexec_b64 s[22:23], s[0:1]
; %bb.62:                               ;   in Loop: Header=BB1198_59 Depth=1
	v_add_u32_e32 v22, s27, v35
	ds_write_b64 v22, v[6:7]
; %bb.63:                               ;   in Loop: Header=BB1198_59 Depth=1
	s_or_b64 exec, exec, s[22:23]
	;; [unrolled: 8-line block ×8, first 2 shown]
	v_cmp_gt_u32_e64 s[0:1], s5, v1
	s_waitcnt lgkmcnt(0)
	s_barrier
	s_and_saveexec_b64 s[22:23], s[0:1]
	s_cbranch_execz .LBB1198_77
; %bb.76:                               ;   in Loop: Header=BB1198_59 Depth=1
	ds_read_b64 v[48:49], v47 offset:1024
	s_waitcnt lgkmcnt(0)
	v_lshrrev_b64 v[50:51], s52, v[48:49]
	v_and_b32_e32 v52, s59, v50
	v_lshlrev_b32_e32 v22, 2, v52
	ds_read_b32 v22, v22
	v_xor_b32_e32 v49, 0x80000000, v49
	ds_write_b32 v5, v52
	s_waitcnt lgkmcnt(1)
	v_add_u32_e32 v22, v1, v22
	v_lshl_add_u64 v[50:51], v[22:23], 3, s[42:43]
	global_store_dwordx2 v[50:51], v[48:49], off
.LBB1198_77:                            ;   in Loop: Header=BB1198_59 Depth=1
	s_or_b64 exec, exec, s[22:23]
	v_add_u32_e32 v22, 0x400, v1
	v_cmp_gt_u32_e64 s[0:1], s5, v22
	s_and_saveexec_b64 s[22:23], s[0:1]
	s_cbranch_execz .LBB1198_58
; %bb.78:                               ;   in Loop: Header=BB1198_59 Depth=1
	ds_read_b64 v[48:49], v47 offset:9216
	s_waitcnt lgkmcnt(0)
	v_lshrrev_b64 v[50:51], s52, v[48:49]
	v_and_b32_e32 v52, s59, v50
	v_lshlrev_b32_e32 v22, 2, v52
	ds_read_b32 v22, v22
	v_xor_b32_e32 v49, 0x80000000, v49
	ds_write_b32 v5, v52 offset:4
	s_waitcnt lgkmcnt(1)
	v_add3_u32 v22, v1, v22, s24
	v_lshl_add_u64 v[50:51], v[22:23], 3, s[42:43]
	global_store_dwordx2 v[50:51], v[48:49], off
	s_branch .LBB1198_58
.LBB1198_79:
	s_add_u32 s0, s44, s54
	s_addc_u32 s1, s45, s55
	v_mov_b32_e32 v1, 0
	v_lshl_add_u64 v[6:7], s[0:1], 0, v[0:1]
	v_mov_b32_e32 v5, v1
	v_lshl_add_u64 v[18:19], v[6:7], 0, v[4:5]
                                        ; implicit-def: $vgpr0_vgpr1
	s_and_saveexec_b64 s[0:1], vcc
	s_cbranch_execz .LBB1198_87
; %bb.80:
	global_load_dwordx2 v[0:1], v[18:19], off
	s_or_b64 exec, exec, s[0:1]
                                        ; implicit-def: $vgpr4_vgpr5
	s_and_saveexec_b64 s[0:1], s[28:29]
	s_cbranch_execnz .LBB1198_88
.LBB1198_81:
	s_or_b64 exec, exec, s[0:1]
                                        ; implicit-def: $vgpr6_vgpr7
	s_and_saveexec_b64 s[0:1], s[6:7]
	s_cbranch_execz .LBB1198_89
.LBB1198_82:
	global_load_dwordx2 v[6:7], v[18:19], off offset:1024
	s_or_b64 exec, exec, s[0:1]
                                        ; implicit-def: $vgpr8_vgpr9
	s_and_saveexec_b64 s[0:1], s[8:9]
	s_cbranch_execnz .LBB1198_90
.LBB1198_83:
	s_or_b64 exec, exec, s[0:1]
                                        ; implicit-def: $vgpr10_vgpr11
	s_and_saveexec_b64 s[0:1], s[10:11]
	s_cbranch_execz .LBB1198_91
.LBB1198_84:
	global_load_dwordx2 v[10:11], v[18:19], off offset:2048
	s_or_b64 exec, exec, s[0:1]
                                        ; implicit-def: $vgpr12_vgpr13
	s_and_saveexec_b64 s[0:1], s[12:13]
	s_cbranch_execnz .LBB1198_92
.LBB1198_85:
	s_or_b64 exec, exec, s[0:1]
                                        ; implicit-def: $vgpr14_vgpr15
	s_and_saveexec_b64 s[0:1], s[14:15]
	s_cbranch_execz .LBB1198_93
.LBB1198_86:
	global_load_dwordx2 v[14:15], v[18:19], off offset:3072
	s_or_b64 exec, exec, s[0:1]
                                        ; implicit-def: $vgpr16_vgpr17
	s_and_saveexec_b64 s[0:1], s[16:17]
	s_cbranch_execnz .LBB1198_94
	s_branch .LBB1198_95
.LBB1198_87:
	s_or_b64 exec, exec, s[0:1]
                                        ; implicit-def: $vgpr4_vgpr5
	s_and_saveexec_b64 s[0:1], s[28:29]
	s_cbranch_execz .LBB1198_81
.LBB1198_88:
	global_load_dwordx2 v[4:5], v[18:19], off offset:512
	s_or_b64 exec, exec, s[0:1]
                                        ; implicit-def: $vgpr6_vgpr7
	s_and_saveexec_b64 s[0:1], s[6:7]
	s_cbranch_execnz .LBB1198_82
.LBB1198_89:
	s_or_b64 exec, exec, s[0:1]
                                        ; implicit-def: $vgpr8_vgpr9
	s_and_saveexec_b64 s[0:1], s[8:9]
	s_cbranch_execz .LBB1198_83
.LBB1198_90:
	global_load_dwordx2 v[8:9], v[18:19], off offset:1536
	s_or_b64 exec, exec, s[0:1]
                                        ; implicit-def: $vgpr10_vgpr11
	s_and_saveexec_b64 s[0:1], s[10:11]
	s_cbranch_execnz .LBB1198_84
.LBB1198_91:
	s_or_b64 exec, exec, s[0:1]
                                        ; implicit-def: $vgpr12_vgpr13
	s_and_saveexec_b64 s[0:1], s[12:13]
	s_cbranch_execz .LBB1198_85
.LBB1198_92:
	global_load_dwordx2 v[12:13], v[18:19], off offset:2560
	s_or_b64 exec, exec, s[0:1]
                                        ; implicit-def: $vgpr14_vgpr15
	s_and_saveexec_b64 s[0:1], s[14:15]
	s_cbranch_execnz .LBB1198_86
.LBB1198_93:
	s_or_b64 exec, exec, s[0:1]
                                        ; implicit-def: $vgpr16_vgpr17
	s_and_saveexec_b64 s[0:1], s[16:17]
	s_cbranch_execz .LBB1198_95
.LBB1198_94:
	global_load_dwordx2 v[16:17], v[18:19], off offset:3584
.LBB1198_95:
	s_or_b64 exec, exec, s[0:1]
	s_mov_b32 s6, 0
	s_movk_i32 s7, 0x800
	v_mov_b32_e32 v19, 0
	s_movk_i32 s8, 0x400
	s_mov_b32 s9, 0
	v_mov_b32_e32 v20, v2
	s_waitcnt vmcnt(0)
	s_branch .LBB1198_97
.LBB1198_96:                            ;   in Loop: Header=BB1198_97 Depth=1
	s_or_b64 exec, exec, s[0:1]
	s_addk_i32 s9, 0xc000
	s_addk_i32 s6, 0xf800
	v_add_u32_e32 v20, 0x800, v20
	s_cmp_eq_u32 s9, 0xffff0000
	v_add_u32_e32 v25, 8, v25
	s_barrier
	s_cbranch_scc1 .LBB1198_117
.LBB1198_97:                            ; =>This Inner Loop Header: Depth=1
	v_add_u32_e32 v18, s6, v24
	v_cmp_gt_u32_e32 vcc, s7, v18
	s_and_saveexec_b64 s[0:1], vcc
; %bb.98:                               ;   in Loop: Header=BB1198_97 Depth=1
	v_add_u32_e32 v18, s9, v46
	ds_write_b64 v18, v[0:1]
; %bb.99:                               ;   in Loop: Header=BB1198_97 Depth=1
	s_or_b64 exec, exec, s[0:1]
	v_add_u32_e32 v18, s6, v32
	v_cmp_gt_u32_e32 vcc, s7, v18
	s_and_saveexec_b64 s[0:1], vcc
; %bb.100:                              ;   in Loop: Header=BB1198_97 Depth=1
	v_add_u32_e32 v18, s9, v35
	ds_write_b64 v18, v[4:5]
; %bb.101:                              ;   in Loop: Header=BB1198_97 Depth=1
	s_or_b64 exec, exec, s[0:1]
	v_add_u32_e32 v18, s6, v33
	v_cmp_gt_u32_e32 vcc, s7, v18
	s_and_saveexec_b64 s[0:1], vcc
; %bb.102:                              ;   in Loop: Header=BB1198_97 Depth=1
	v_add_u32_e32 v18, s9, v38
	ds_write_b64 v18, v[6:7]
; %bb.103:                              ;   in Loop: Header=BB1198_97 Depth=1
	;; [unrolled: 8-line block ×7, first 2 shown]
	s_or_b64 exec, exec, s[0:1]
	v_cmp_gt_u32_e32 vcc, s5, v20
	s_waitcnt lgkmcnt(0)
	s_barrier
	s_and_saveexec_b64 s[0:1], vcc
	s_cbranch_execz .LBB1198_115
; %bb.114:                              ;   in Loop: Header=BB1198_97 Depth=1
	ds_read_b32 v18, v25
	s_waitcnt lgkmcnt(0)
	v_lshlrev_b32_e32 v18, 2, v18
	ds_read_b32 v18, v18
	ds_read_b64 v[22:23], v47 offset:1024
	s_waitcnt lgkmcnt(1)
	v_add_u32_e32 v18, v20, v18
	v_lshl_add_u64 v[48:49], v[18:19], 3, s[46:47]
	s_waitcnt lgkmcnt(0)
	global_store_dwordx2 v[48:49], v[22:23], off
.LBB1198_115:                           ;   in Loop: Header=BB1198_97 Depth=1
	s_or_b64 exec, exec, s[0:1]
	v_add_u32_e32 v18, 0x400, v20
	v_cmp_gt_u32_e32 vcc, s5, v18
	s_and_saveexec_b64 s[0:1], vcc
	s_cbranch_execz .LBB1198_96
; %bb.116:                              ;   in Loop: Header=BB1198_97 Depth=1
	ds_read_b32 v18, v25 offset:4
	s_waitcnt lgkmcnt(0)
	v_lshlrev_b32_e32 v18, 2, v18
	ds_read_b32 v18, v18
	ds_read_b64 v[22:23], v47 offset:9216
	s_waitcnt lgkmcnt(1)
	v_add3_u32 v18, v20, v18, s8
	v_lshl_add_u64 v[48:49], v[18:19], 3, s[46:47]
	s_waitcnt lgkmcnt(0)
	global_store_dwordx2 v[48:49], v[22:23], off
	s_branch .LBB1198_96
.LBB1198_117:
	s_add_i32 s58, s58, -1
	s_cmp_eq_u32 s33, s58
	s_cselect_b64 s[0:1], -1, 0
	s_xor_b64 s[6:7], s[20:21], -1
	s_and_b64 s[6:7], s[6:7], s[0:1]
	s_and_saveexec_b64 s[0:1], s[6:7]
	s_cbranch_execz .LBB1198_119
; %bb.118:
	ds_read_b32 v0, v40
	s_waitcnt lgkmcnt(0)
	v_add3_u32 v0, v34, v37, v0
	global_store_dword v40, v0, s[50:51]
.LBB1198_119:
	s_or_b64 exec, exec, s[0:1]
	s_mov_b64 s[6:7], 0
.LBB1198_120:
	s_and_b64 vcc, exec, s[6:7]
	s_cbranch_vccz .LBB1198_195
; %bb.121:
	s_lshl_b32 s0, s33, 13
	s_mov_b32 s1, 0
	s_lshl_b64 s[8:9], s[0:1], 3
	v_mbcnt_hi_u32_b32 v26, -1, v30
	s_add_u32 s0, s40, s8
	v_and_b32_e32 v0, 63, v26
	v_mov_b32_e32 v23, 0
	s_addc_u32 s1, s41, s9
	v_and_b32_e32 v4, 0x1e00, v29
	v_lshlrev_b32_e32 v0, 3, v0
	v_mov_b32_e32 v1, v23
	v_lshl_add_u64 v[6:7], s[0:1], 0, v[0:1]
	v_lshlrev_b32_e32 v4, 3, v4
	v_mov_b32_e32 v5, v23
	v_lshl_add_u64 v[24:25], v[6:7], 0, v[4:5]
	global_load_dwordx2 v[6:7], v[24:25], off
	s_load_dword s0, s[2:3], 0x64
	s_load_dword s12, s[2:3], 0x58
	s_add_u32 s1, s2, 0x58
	s_addc_u32 s2, s3, 0
	v_mul_u32_u24_e32 v1, 20, v2
	s_waitcnt lgkmcnt(0)
	s_lshr_b32 s3, s0, 16
	s_cmp_lt_u32 s4, s12
	s_cselect_b32 s0, 12, 18
	s_add_u32 s0, s1, s0
	s_addc_u32 s1, s2, 0
	global_load_ushort v5, v23, s[0:1]
	ds_write2_b32 v1, v23, v23 offset0:16 offset1:17
	ds_write2_b32 v1, v23, v23 offset0:18 offset1:19
	ds_write_b32 v1, v23 offset:80
	global_load_dwordx2 v[8:9], v[24:25], off offset:512
	global_load_dwordx2 v[10:11], v[24:25], off offset:1024
	;; [unrolled: 1-line block ×7, first 2 shown]
	s_lshl_b32 s0, -1, s53
	v_mad_u32_u24 v3, v28, s3, v3
	v_mov_b32_e32 v30, v23
	s_not_b32 s13, s0
	v_mov_b32_e32 v32, v23
	v_mov_b32_e32 v34, v23
	;; [unrolled: 1-line block ×4, first 2 shown]
	s_movk_i32 s10, 0x44
	s_waitcnt lgkmcnt(0)
	s_barrier
	s_waitcnt vmcnt(8)
	; wave barrier
	v_xor_b32_e32 v7, 0x80000000, v7
	v_lshrrev_b64 v[24:25], s52, v[6:7]
	v_bitop3_b32 v40, v24, s0, v24 bitop3:0x30
	v_and_b32_e32 v22, 1, v40
	v_lshlrev_b32_e32 v31, 30, v40
	v_lshlrev_b32_e32 v33, 29, v40
	v_lshl_add_u64 v[28:29], v[22:23], 0, -1
	v_cmp_ne_u32_e32 vcc, 0, v22
	v_lshlrev_b32_e32 v35, 28, v40
	v_cmp_gt_i64_e64 s[2:3], 0, v[32:33]
	s_waitcnt vmcnt(7)
	v_mad_u64_u32 v[24:25], s[0:1], v3, v5, v[2:3]
	v_not_b32_e32 v3, v31
	v_cmp_gt_i64_e64 s[0:1], 0, v[30:31]
	v_not_b32_e32 v5, v33
	v_xor_b32_e32 v28, vcc_lo, v28
	v_ashrrev_i32_e32 v3, 31, v3
	v_cmp_gt_i64_e64 s[4:5], 0, v[34:35]
	v_not_b32_e32 v22, v35
	v_lshrrev_b32_e32 v34, 6, v24
	v_xor_b32_e32 v24, vcc_hi, v29
	v_ashrrev_i32_e32 v5, 31, v5
	v_and_b32_e32 v28, exec_lo, v28
	v_xor_b32_e32 v29, s1, v3
	v_xor_b32_e32 v3, s0, v3
	v_lshlrev_b32_e32 v37, 27, v40
	v_ashrrev_i32_e32 v22, 31, v22
	v_and_b32_e32 v24, exec_hi, v24
	v_xor_b32_e32 v30, s3, v5
	v_xor_b32_e32 v5, s2, v5
	v_and_b32_e32 v3, v28, v3
	v_lshlrev_b32_e32 v39, 26, v40
	v_not_b32_e32 v25, v37
	v_xor_b32_e32 v31, s5, v22
	v_xor_b32_e32 v22, s4, v22
	v_and_b32_e32 v24, v24, v29
	v_and_b32_e32 v3, v3, v5
	v_cmp_gt_i64_e64 s[6:7], 0, v[36:37]
	v_ashrrev_i32_e32 v25, 31, v25
	v_and_b32_e32 v24, v24, v30
	v_and_b32_e32 v3, v3, v22
	v_not_b32_e32 v22, v39
	v_xor_b32_e32 v32, s7, v25
	v_xor_b32_e32 v25, s6, v25
	v_and_b32_e32 v5, v24, v31
	v_cmp_gt_i64_e32 vcc, 0, v[38:39]
	v_ashrrev_i32_e32 v22, 31, v22
	v_and_b32_e32 v5, v5, v32
	v_and_b32_e32 v3, v3, v25
	v_xor_b32_e32 v24, vcc_hi, v22
	v_xor_b32_e32 v22, vcc_lo, v22
	v_lshlrev_b32_e32 v25, 25, v40
	v_and_b32_e32 v5, v5, v24
	v_and_b32_e32 v3, v3, v22
	v_mov_b32_e32 v24, v23
	v_not_b32_e32 v22, v25
	v_cmp_gt_i64_e32 vcc, 0, v[24:25]
	v_ashrrev_i32_e32 v22, 31, v22
	v_lshlrev_b32_e32 v25, 24, v40
	v_xor_b32_e32 v24, vcc_hi, v22
	v_xor_b32_e32 v22, vcc_lo, v22
	v_and_b32_e32 v5, v5, v24
	v_and_b32_e32 v3, v3, v22
	v_mov_b32_e32 v24, v23
	v_not_b32_e32 v22, v25
	v_cmp_gt_i64_e32 vcc, 0, v[24:25]
	v_ashrrev_i32_e32 v22, 31, v22
	v_mul_lo_u32 v27, v40, s10
	v_xor_b32_e32 v24, vcc_hi, v22
	v_xor_b32_e32 v22, vcc_lo, v22
	v_and_b32_e32 v25, v5, v24
	v_and_b32_e32 v24, v3, v22
	v_mbcnt_lo_u32_b32 v3, v24, 0
	v_mbcnt_hi_u32_b32 v5, v25, v3
	v_cmp_eq_u32_e32 vcc, 0, v5
	v_cmp_ne_u64_e64 s[0:1], 0, v[24:25]
	v_lshl_add_u32 v27, v34, 2, v27
	s_and_b64 s[2:3], s[0:1], vcc
	s_and_saveexec_b64 s[0:1], s[2:3]
; %bb.122:
	v_bcnt_u32_b32 v3, v24, 0
	v_bcnt_u32_b32 v3, v25, v3
	ds_write_b32 v27, v3 offset:64
; %bb.123:
	s_or_b64 exec, exec, s[0:1]
	s_waitcnt vmcnt(6)
	v_xor_b32_e32 v9, 0x80000000, v9
	v_lshrrev_b64 v[24:25], s52, v[8:9]
	v_and_b32_e32 v28, s13, v24
	v_and_b32_e32 v22, 1, v28
	v_lshl_add_u64 v[24:25], v[22:23], 0, -1
	v_cmp_ne_u32_e32 vcc, 0, v22
	v_mul_lo_u32 v3, v28, s10
	v_lshl_add_u32 v30, v34, 2, v3
	v_xor_b32_e32 v24, vcc_lo, v24
	v_xor_b32_e32 v22, vcc_hi, v25
	v_and_b32_e32 v29, exec_lo, v24
	v_lshlrev_b32_e32 v25, 30, v28
	v_mov_b32_e32 v24, v23
	v_cmp_gt_i64_e32 vcc, 0, v[24:25]
	v_not_b32_e32 v24, v25
	v_ashrrev_i32_e32 v24, 31, v24
	v_and_b32_e32 v22, exec_hi, v22
	v_xor_b32_e32 v25, vcc_hi, v24
	v_xor_b32_e32 v24, vcc_lo, v24
	v_and_b32_e32 v22, v22, v25
	v_and_b32_e32 v29, v29, v24
	v_lshlrev_b32_e32 v25, 29, v28
	v_mov_b32_e32 v24, v23
	v_cmp_gt_i64_e32 vcc, 0, v[24:25]
	v_not_b32_e32 v24, v25
	v_ashrrev_i32_e32 v24, 31, v24
	v_xor_b32_e32 v25, vcc_hi, v24
	v_xor_b32_e32 v24, vcc_lo, v24
	v_and_b32_e32 v22, v22, v25
	v_and_b32_e32 v29, v29, v24
	v_lshlrev_b32_e32 v25, 28, v28
	v_mov_b32_e32 v24, v23
	v_cmp_gt_i64_e32 vcc, 0, v[24:25]
	v_not_b32_e32 v24, v25
	v_ashrrev_i32_e32 v24, 31, v24
	;; [unrolled: 9-line block ×5, first 2 shown]
	v_xor_b32_e32 v25, vcc_hi, v24
	v_xor_b32_e32 v24, vcc_lo, v24
	v_and_b32_e32 v22, v22, v25
	v_lshlrev_b32_e32 v25, 24, v28
	v_and_b32_e32 v29, v29, v24
	v_mov_b32_e32 v24, v23
	v_not_b32_e32 v23, v25
	v_cmp_gt_i64_e32 vcc, 0, v[24:25]
	v_ashrrev_i32_e32 v23, 31, v23
	s_nop 0
	v_xor_b32_e32 v24, vcc_hi, v23
	v_xor_b32_e32 v25, vcc_lo, v23
	; wave barrier
	ds_read_b32 v3, v30 offset:64
	v_and_b32_e32 v23, v22, v24
	v_and_b32_e32 v22, v29, v25
	v_mbcnt_lo_u32_b32 v24, v22, 0
	v_mbcnt_hi_u32_b32 v28, v23, v24
	v_cmp_eq_u32_e32 vcc, 0, v28
	v_cmp_ne_u64_e64 s[0:1], 0, v[22:23]
	s_and_b64 s[2:3], s[0:1], vcc
	; wave barrier
	s_and_saveexec_b64 s[0:1], s[2:3]
	s_cbranch_execz .LBB1198_125
; %bb.124:
	v_bcnt_u32_b32 v22, v22, 0
	v_bcnt_u32_b32 v22, v23, v22
	s_waitcnt lgkmcnt(0)
	v_add_u32_e32 v22, v3, v22
	ds_write_b32 v30, v22 offset:64
.LBB1198_125:
	s_or_b64 exec, exec, s[0:1]
	s_waitcnt vmcnt(5)
	v_xor_b32_e32 v11, 0x80000000, v11
	v_lshrrev_b64 v[22:23], s52, v[10:11]
	v_and_b32_e32 v31, s13, v22
	s_movk_i32 s2, 0x44
	v_mul_lo_u32 v22, v31, s2
	v_lshl_add_u32 v33, v34, 2, v22
	v_and_b32_e32 v22, 1, v31
	v_mov_b32_e32 v23, 0
	v_lshl_add_u64 v[24:25], v[22:23], 0, -1
	v_cmp_ne_u32_e32 vcc, 0, v22
	; wave barrier
	s_nop 1
	v_xor_b32_e32 v24, vcc_lo, v24
	v_xor_b32_e32 v22, vcc_hi, v25
	v_and_b32_e32 v32, exec_lo, v24
	v_lshlrev_b32_e32 v25, 30, v31
	v_mov_b32_e32 v24, v23
	v_cmp_gt_i64_e32 vcc, 0, v[24:25]
	v_not_b32_e32 v24, v25
	v_ashrrev_i32_e32 v24, 31, v24
	v_and_b32_e32 v22, exec_hi, v22
	v_xor_b32_e32 v25, vcc_hi, v24
	v_xor_b32_e32 v24, vcc_lo, v24
	v_and_b32_e32 v22, v22, v25
	v_and_b32_e32 v32, v32, v24
	v_lshlrev_b32_e32 v25, 29, v31
	v_mov_b32_e32 v24, v23
	v_cmp_gt_i64_e32 vcc, 0, v[24:25]
	v_not_b32_e32 v24, v25
	v_ashrrev_i32_e32 v24, 31, v24
	v_xor_b32_e32 v25, vcc_hi, v24
	v_xor_b32_e32 v24, vcc_lo, v24
	v_and_b32_e32 v22, v22, v25
	v_and_b32_e32 v32, v32, v24
	v_lshlrev_b32_e32 v25, 28, v31
	v_mov_b32_e32 v24, v23
	v_cmp_gt_i64_e32 vcc, 0, v[24:25]
	v_not_b32_e32 v24, v25
	v_ashrrev_i32_e32 v24, 31, v24
	;; [unrolled: 9-line block ×6, first 2 shown]
	v_xor_b32_e32 v25, vcc_hi, v24
	v_xor_b32_e32 v24, vcc_lo, v24
	ds_read_b32 v29, v33 offset:64
	v_and_b32_e32 v24, v32, v24
	v_and_b32_e32 v25, v22, v25
	v_mbcnt_lo_u32_b32 v22, v24, 0
	v_mbcnt_hi_u32_b32 v31, v25, v22
	v_cmp_eq_u32_e32 vcc, 0, v31
	v_cmp_ne_u64_e64 s[0:1], 0, v[24:25]
	s_and_b64 s[4:5], s[0:1], vcc
	; wave barrier
	s_and_saveexec_b64 s[0:1], s[4:5]
	s_cbranch_execz .LBB1198_127
; %bb.126:
	v_bcnt_u32_b32 v22, v24, 0
	v_bcnt_u32_b32 v22, v25, v22
	s_waitcnt lgkmcnt(0)
	v_add_u32_e32 v22, v29, v22
	ds_write_b32 v33, v22 offset:64
.LBB1198_127:
	s_or_b64 exec, exec, s[0:1]
	s_waitcnt vmcnt(4)
	v_xor_b32_e32 v13, 0x80000000, v13
	v_lshrrev_b64 v[24:25], s52, v[12:13]
	v_and_b32_e32 v35, s13, v24
	v_mul_lo_u32 v22, v35, s2
	v_lshl_add_u32 v37, v34, 2, v22
	v_and_b32_e32 v22, 1, v35
	v_lshl_add_u64 v[24:25], v[22:23], 0, -1
	v_cmp_ne_u32_e32 vcc, 0, v22
	; wave barrier
	s_nop 1
	v_xor_b32_e32 v24, vcc_lo, v24
	v_xor_b32_e32 v22, vcc_hi, v25
	v_and_b32_e32 v36, exec_lo, v24
	v_lshlrev_b32_e32 v25, 30, v35
	v_mov_b32_e32 v24, v23
	v_cmp_gt_i64_e32 vcc, 0, v[24:25]
	v_not_b32_e32 v24, v25
	v_ashrrev_i32_e32 v24, 31, v24
	v_and_b32_e32 v22, exec_hi, v22
	v_xor_b32_e32 v25, vcc_hi, v24
	v_xor_b32_e32 v24, vcc_lo, v24
	v_and_b32_e32 v22, v22, v25
	v_and_b32_e32 v36, v36, v24
	v_lshlrev_b32_e32 v25, 29, v35
	v_mov_b32_e32 v24, v23
	v_cmp_gt_i64_e32 vcc, 0, v[24:25]
	v_not_b32_e32 v24, v25
	v_ashrrev_i32_e32 v24, 31, v24
	v_xor_b32_e32 v25, vcc_hi, v24
	v_xor_b32_e32 v24, vcc_lo, v24
	v_and_b32_e32 v22, v22, v25
	v_and_b32_e32 v36, v36, v24
	v_lshlrev_b32_e32 v25, 28, v35
	v_mov_b32_e32 v24, v23
	v_cmp_gt_i64_e32 vcc, 0, v[24:25]
	v_not_b32_e32 v24, v25
	v_ashrrev_i32_e32 v24, 31, v24
	;; [unrolled: 9-line block ×5, first 2 shown]
	v_xor_b32_e32 v25, vcc_hi, v24
	v_xor_b32_e32 v24, vcc_lo, v24
	v_and_b32_e32 v22, v22, v25
	v_lshlrev_b32_e32 v25, 24, v35
	v_and_b32_e32 v36, v36, v24
	v_mov_b32_e32 v24, v23
	v_not_b32_e32 v23, v25
	v_cmp_gt_i64_e32 vcc, 0, v[24:25]
	v_ashrrev_i32_e32 v23, 31, v23
	ds_read_b32 v32, v37 offset:64
	v_xor_b32_e32 v24, vcc_hi, v23
	v_xor_b32_e32 v25, vcc_lo, v23
	v_and_b32_e32 v23, v22, v24
	v_and_b32_e32 v22, v36, v25
	v_mbcnt_lo_u32_b32 v24, v22, 0
	v_mbcnt_hi_u32_b32 v35, v23, v24
	v_cmp_eq_u32_e32 vcc, 0, v35
	v_cmp_ne_u64_e64 s[0:1], 0, v[22:23]
	s_and_b64 s[2:3], s[0:1], vcc
	; wave barrier
	s_and_saveexec_b64 s[0:1], s[2:3]
	s_cbranch_execz .LBB1198_129
; %bb.128:
	v_bcnt_u32_b32 v22, v22, 0
	v_bcnt_u32_b32 v22, v23, v22
	s_waitcnt lgkmcnt(0)
	v_add_u32_e32 v22, v32, v22
	ds_write_b32 v37, v22 offset:64
.LBB1198_129:
	s_or_b64 exec, exec, s[0:1]
	s_waitcnt vmcnt(3)
	v_xor_b32_e32 v15, 0x80000000, v15
	v_lshrrev_b64 v[22:23], s52, v[14:15]
	v_and_b32_e32 v38, s13, v22
	s_movk_i32 s2, 0x44
	v_mul_lo_u32 v22, v38, s2
	v_lshl_add_u32 v40, v34, 2, v22
	v_and_b32_e32 v22, 1, v38
	v_mov_b32_e32 v23, 0
	v_lshl_add_u64 v[24:25], v[22:23], 0, -1
	v_cmp_ne_u32_e32 vcc, 0, v22
	; wave barrier
	s_nop 1
	v_xor_b32_e32 v24, vcc_lo, v24
	v_xor_b32_e32 v22, vcc_hi, v25
	v_and_b32_e32 v39, exec_lo, v24
	v_lshlrev_b32_e32 v25, 30, v38
	v_mov_b32_e32 v24, v23
	v_cmp_gt_i64_e32 vcc, 0, v[24:25]
	v_not_b32_e32 v24, v25
	v_ashrrev_i32_e32 v24, 31, v24
	v_and_b32_e32 v22, exec_hi, v22
	v_xor_b32_e32 v25, vcc_hi, v24
	v_xor_b32_e32 v24, vcc_lo, v24
	v_and_b32_e32 v22, v22, v25
	v_and_b32_e32 v39, v39, v24
	v_lshlrev_b32_e32 v25, 29, v38
	v_mov_b32_e32 v24, v23
	v_cmp_gt_i64_e32 vcc, 0, v[24:25]
	v_not_b32_e32 v24, v25
	v_ashrrev_i32_e32 v24, 31, v24
	v_xor_b32_e32 v25, vcc_hi, v24
	v_xor_b32_e32 v24, vcc_lo, v24
	v_and_b32_e32 v22, v22, v25
	v_and_b32_e32 v39, v39, v24
	v_lshlrev_b32_e32 v25, 28, v38
	v_mov_b32_e32 v24, v23
	v_cmp_gt_i64_e32 vcc, 0, v[24:25]
	v_not_b32_e32 v24, v25
	v_ashrrev_i32_e32 v24, 31, v24
	;; [unrolled: 9-line block ×6, first 2 shown]
	v_xor_b32_e32 v25, vcc_hi, v24
	v_xor_b32_e32 v24, vcc_lo, v24
	ds_read_b32 v36, v40 offset:64
	v_and_b32_e32 v24, v39, v24
	v_and_b32_e32 v25, v22, v25
	v_mbcnt_lo_u32_b32 v22, v24, 0
	v_mbcnt_hi_u32_b32 v38, v25, v22
	v_cmp_eq_u32_e32 vcc, 0, v38
	v_cmp_ne_u64_e64 s[0:1], 0, v[24:25]
	s_and_b64 s[4:5], s[0:1], vcc
	; wave barrier
	s_and_saveexec_b64 s[0:1], s[4:5]
	s_cbranch_execz .LBB1198_131
; %bb.130:
	v_bcnt_u32_b32 v22, v24, 0
	v_bcnt_u32_b32 v22, v25, v22
	s_waitcnt lgkmcnt(0)
	v_add_u32_e32 v22, v36, v22
	ds_write_b32 v40, v22 offset:64
.LBB1198_131:
	s_or_b64 exec, exec, s[0:1]
	s_waitcnt vmcnt(2)
	v_xor_b32_e32 v17, 0x80000000, v17
	v_lshrrev_b64 v[24:25], s52, v[16:17]
	v_and_b32_e32 v41, s13, v24
	v_mul_lo_u32 v22, v41, s2
	v_lshl_add_u32 v43, v34, 2, v22
	v_and_b32_e32 v22, 1, v41
	v_lshl_add_u64 v[24:25], v[22:23], 0, -1
	v_cmp_ne_u32_e32 vcc, 0, v22
	; wave barrier
	s_nop 1
	v_xor_b32_e32 v24, vcc_lo, v24
	v_xor_b32_e32 v22, vcc_hi, v25
	v_and_b32_e32 v42, exec_lo, v24
	v_lshlrev_b32_e32 v25, 30, v41
	v_mov_b32_e32 v24, v23
	v_cmp_gt_i64_e32 vcc, 0, v[24:25]
	v_not_b32_e32 v24, v25
	v_ashrrev_i32_e32 v24, 31, v24
	v_and_b32_e32 v22, exec_hi, v22
	v_xor_b32_e32 v25, vcc_hi, v24
	v_xor_b32_e32 v24, vcc_lo, v24
	v_and_b32_e32 v22, v22, v25
	v_and_b32_e32 v42, v42, v24
	v_lshlrev_b32_e32 v25, 29, v41
	v_mov_b32_e32 v24, v23
	v_cmp_gt_i64_e32 vcc, 0, v[24:25]
	v_not_b32_e32 v24, v25
	v_ashrrev_i32_e32 v24, 31, v24
	v_xor_b32_e32 v25, vcc_hi, v24
	v_xor_b32_e32 v24, vcc_lo, v24
	v_and_b32_e32 v22, v22, v25
	v_and_b32_e32 v42, v42, v24
	v_lshlrev_b32_e32 v25, 28, v41
	v_mov_b32_e32 v24, v23
	v_cmp_gt_i64_e32 vcc, 0, v[24:25]
	v_not_b32_e32 v24, v25
	v_ashrrev_i32_e32 v24, 31, v24
	;; [unrolled: 9-line block ×5, first 2 shown]
	v_xor_b32_e32 v25, vcc_hi, v24
	v_xor_b32_e32 v24, vcc_lo, v24
	v_and_b32_e32 v22, v22, v25
	v_lshlrev_b32_e32 v25, 24, v41
	v_and_b32_e32 v42, v42, v24
	v_mov_b32_e32 v24, v23
	v_not_b32_e32 v23, v25
	v_cmp_gt_i64_e32 vcc, 0, v[24:25]
	v_ashrrev_i32_e32 v23, 31, v23
	ds_read_b32 v39, v43 offset:64
	v_xor_b32_e32 v24, vcc_hi, v23
	v_xor_b32_e32 v25, vcc_lo, v23
	v_and_b32_e32 v23, v22, v24
	v_and_b32_e32 v22, v42, v25
	v_mbcnt_lo_u32_b32 v24, v22, 0
	v_mbcnt_hi_u32_b32 v41, v23, v24
	v_cmp_eq_u32_e32 vcc, 0, v41
	v_cmp_ne_u64_e64 s[0:1], 0, v[22:23]
	s_and_b64 s[2:3], s[0:1], vcc
	; wave barrier
	s_and_saveexec_b64 s[0:1], s[2:3]
	s_cbranch_execz .LBB1198_133
; %bb.132:
	v_bcnt_u32_b32 v22, v22, 0
	v_bcnt_u32_b32 v22, v23, v22
	s_waitcnt lgkmcnt(0)
	v_add_u32_e32 v22, v39, v22
	ds_write_b32 v43, v22 offset:64
.LBB1198_133:
	s_or_b64 exec, exec, s[0:1]
	s_waitcnt vmcnt(1)
	v_xor_b32_e32 v19, 0x80000000, v19
	v_lshrrev_b64 v[22:23], s52, v[18:19]
	v_and_b32_e32 v44, s13, v22
	s_movk_i32 s2, 0x44
	v_mul_lo_u32 v22, v44, s2
	v_lshl_add_u32 v46, v34, 2, v22
	v_and_b32_e32 v22, 1, v44
	v_mov_b32_e32 v23, 0
	v_lshl_add_u64 v[24:25], v[22:23], 0, -1
	v_cmp_ne_u32_e32 vcc, 0, v22
	; wave barrier
	s_nop 1
	v_xor_b32_e32 v24, vcc_lo, v24
	v_xor_b32_e32 v22, vcc_hi, v25
	v_and_b32_e32 v45, exec_lo, v24
	v_lshlrev_b32_e32 v25, 30, v44
	v_mov_b32_e32 v24, v23
	v_cmp_gt_i64_e32 vcc, 0, v[24:25]
	v_not_b32_e32 v24, v25
	v_ashrrev_i32_e32 v24, 31, v24
	v_and_b32_e32 v22, exec_hi, v22
	v_xor_b32_e32 v25, vcc_hi, v24
	v_xor_b32_e32 v24, vcc_lo, v24
	v_and_b32_e32 v22, v22, v25
	v_and_b32_e32 v45, v45, v24
	v_lshlrev_b32_e32 v25, 29, v44
	v_mov_b32_e32 v24, v23
	v_cmp_gt_i64_e32 vcc, 0, v[24:25]
	v_not_b32_e32 v24, v25
	v_ashrrev_i32_e32 v24, 31, v24
	v_xor_b32_e32 v25, vcc_hi, v24
	v_xor_b32_e32 v24, vcc_lo, v24
	v_and_b32_e32 v22, v22, v25
	v_and_b32_e32 v45, v45, v24
	v_lshlrev_b32_e32 v25, 28, v44
	v_mov_b32_e32 v24, v23
	v_cmp_gt_i64_e32 vcc, 0, v[24:25]
	v_not_b32_e32 v24, v25
	v_ashrrev_i32_e32 v24, 31, v24
	;; [unrolled: 9-line block ×6, first 2 shown]
	v_xor_b32_e32 v25, vcc_hi, v24
	v_xor_b32_e32 v24, vcc_lo, v24
	ds_read_b32 v42, v46 offset:64
	v_and_b32_e32 v24, v45, v24
	v_and_b32_e32 v25, v22, v25
	v_mbcnt_lo_u32_b32 v22, v24, 0
	v_mbcnt_hi_u32_b32 v44, v25, v22
	v_cmp_eq_u32_e32 vcc, 0, v44
	v_cmp_ne_u64_e64 s[0:1], 0, v[24:25]
	s_and_b64 s[4:5], s[0:1], vcc
	; wave barrier
	s_and_saveexec_b64 s[0:1], s[4:5]
	s_cbranch_execz .LBB1198_135
; %bb.134:
	v_bcnt_u32_b32 v22, v24, 0
	v_bcnt_u32_b32 v22, v25, v22
	s_waitcnt lgkmcnt(0)
	v_add_u32_e32 v22, v42, v22
	ds_write_b32 v46, v22 offset:64
.LBB1198_135:
	s_or_b64 exec, exec, s[0:1]
	s_waitcnt vmcnt(0)
	v_xor_b32_e32 v21, 0x80000000, v21
	v_lshrrev_b64 v[24:25], s52, v[20:21]
	v_and_b32_e32 v47, s13, v24
	v_mul_lo_u32 v22, v47, s2
	v_lshl_add_u32 v48, v34, 2, v22
	v_and_b32_e32 v22, 1, v47
	v_lshl_add_u64 v[24:25], v[22:23], 0, -1
	v_cmp_ne_u32_e32 vcc, 0, v22
	; wave barrier
	s_nop 1
	v_xor_b32_e32 v24, vcc_lo, v24
	v_xor_b32_e32 v22, vcc_hi, v25
	v_and_b32_e32 v34, exec_lo, v24
	v_lshlrev_b32_e32 v25, 30, v47
	v_mov_b32_e32 v24, v23
	v_cmp_gt_i64_e32 vcc, 0, v[24:25]
	v_not_b32_e32 v24, v25
	v_ashrrev_i32_e32 v24, 31, v24
	v_and_b32_e32 v22, exec_hi, v22
	v_xor_b32_e32 v25, vcc_hi, v24
	v_xor_b32_e32 v24, vcc_lo, v24
	v_and_b32_e32 v22, v22, v25
	v_and_b32_e32 v34, v34, v24
	v_lshlrev_b32_e32 v25, 29, v47
	v_mov_b32_e32 v24, v23
	v_cmp_gt_i64_e32 vcc, 0, v[24:25]
	v_not_b32_e32 v24, v25
	v_ashrrev_i32_e32 v24, 31, v24
	v_xor_b32_e32 v25, vcc_hi, v24
	v_xor_b32_e32 v24, vcc_lo, v24
	v_and_b32_e32 v22, v22, v25
	v_and_b32_e32 v34, v34, v24
	v_lshlrev_b32_e32 v25, 28, v47
	v_mov_b32_e32 v24, v23
	v_cmp_gt_i64_e32 vcc, 0, v[24:25]
	v_not_b32_e32 v24, v25
	v_ashrrev_i32_e32 v24, 31, v24
	;; [unrolled: 9-line block ×5, first 2 shown]
	v_xor_b32_e32 v25, vcc_hi, v24
	v_xor_b32_e32 v24, vcc_lo, v24
	v_and_b32_e32 v22, v22, v25
	v_lshlrev_b32_e32 v25, 24, v47
	v_and_b32_e32 v34, v34, v24
	v_mov_b32_e32 v24, v23
	v_not_b32_e32 v23, v25
	v_cmp_gt_i64_e32 vcc, 0, v[24:25]
	v_ashrrev_i32_e32 v23, 31, v23
	ds_read_b32 v45, v48 offset:64
	v_xor_b32_e32 v24, vcc_hi, v23
	v_xor_b32_e32 v25, vcc_lo, v23
	v_and_b32_e32 v23, v22, v24
	v_and_b32_e32 v22, v34, v25
	v_mbcnt_lo_u32_b32 v24, v22, 0
	v_mbcnt_hi_u32_b32 v47, v23, v24
	v_cmp_eq_u32_e32 vcc, 0, v47
	v_cmp_ne_u64_e64 s[0:1], 0, v[22:23]
	s_and_b64 s[2:3], s[0:1], vcc
	; wave barrier
	s_and_saveexec_b64 s[0:1], s[2:3]
	s_cbranch_execz .LBB1198_137
; %bb.136:
	v_bcnt_u32_b32 v22, v22, 0
	v_bcnt_u32_b32 v22, v23, v22
	s_waitcnt lgkmcnt(0)
	v_add_u32_e32 v22, v45, v22
	ds_write_b32 v48, v22 offset:64
.LBB1198_137:
	s_or_b64 exec, exec, s[0:1]
	; wave barrier
	s_waitcnt lgkmcnt(0)
	s_barrier
	ds_read2_b32 v[24:25], v1 offset0:16 offset1:17
	ds_read2_b32 v[22:23], v1 offset0:18 offset1:19
	ds_read_b32 v34, v1 offset:80
	v_cmp_lt_u32_e64 s[6:7], 31, v26
	s_waitcnt lgkmcnt(1)
	v_add3_u32 v49, v25, v24, v22
	s_waitcnt lgkmcnt(0)
	v_add3_u32 v34, v49, v23, v34
	v_and_b32_e32 v49, 15, v26
	v_cmp_eq_u32_e32 vcc, 0, v49
	v_mov_b32_dpp v50, v34 row_shr:1 row_mask:0xf bank_mask:0xf
	v_cmp_lt_u32_e64 s[0:1], 1, v49
	v_cndmask_b32_e64 v50, v50, 0, vcc
	v_add_u32_e32 v34, v50, v34
	v_cmp_lt_u32_e64 s[2:3], 3, v49
	v_cmp_lt_u32_e64 s[4:5], 7, v49
	v_mov_b32_dpp v50, v34 row_shr:2 row_mask:0xf bank_mask:0xf
	v_cndmask_b32_e64 v50, 0, v50, s[0:1]
	v_add_u32_e32 v34, v34, v50
	s_nop 1
	v_mov_b32_dpp v50, v34 row_shr:4 row_mask:0xf bank_mask:0xf
	v_cndmask_b32_e64 v50, 0, v50, s[2:3]
	v_add_u32_e32 v34, v34, v50
	s_nop 1
	v_mov_b32_dpp v50, v34 row_shr:8 row_mask:0xf bank_mask:0xf
	v_cndmask_b32_e64 v49, 0, v50, s[4:5]
	v_add_u32_e32 v34, v34, v49
	v_bfe_i32 v50, v26, 4, 1
	s_nop 0
	v_mov_b32_dpp v49, v34 row_bcast:15 row_mask:0xf bank_mask:0xf
	v_and_b32_e32 v49, v50, v49
	v_add_u32_e32 v34, v34, v49
	v_lshrrev_b32_e32 v50, 6, v2
	s_nop 0
	v_mov_b32_dpp v49, v34 row_bcast:31 row_mask:0xf bank_mask:0xf
	v_cndmask_b32_e64 v49, 0, v49, s[6:7]
	v_add_u32_e32 v49, v34, v49
	v_and_b32_e32 v34, 63, v2
	v_cmp_eq_u32_e64 s[6:7], 63, v34
	s_and_saveexec_b64 s[10:11], s[6:7]
; %bb.138:
	v_lshlrev_b32_e32 v34, 2, v50
	ds_write_b32 v34, v49
; %bb.139:
	s_or_b64 exec, exec, s[10:11]
	v_cmp_gt_u32_e64 s[6:7], 16, v2
	v_lshlrev_b32_e32 v34, 2, v2
	s_waitcnt lgkmcnt(0)
	s_barrier
	s_and_saveexec_b64 s[10:11], s[6:7]
	s_cbranch_execz .LBB1198_141
; %bb.140:
	ds_read_b32 v51, v34
	s_waitcnt lgkmcnt(0)
	s_nop 0
	v_mov_b32_dpp v52, v51 row_shr:1 row_mask:0xf bank_mask:0xf
	v_cndmask_b32_e64 v52, v52, 0, vcc
	v_add_u32_e32 v51, v52, v51
	s_nop 1
	v_mov_b32_dpp v52, v51 row_shr:2 row_mask:0xf bank_mask:0xf
	v_cndmask_b32_e64 v52, 0, v52, s[0:1]
	v_add_u32_e32 v51, v51, v52
	s_nop 1
	v_mov_b32_dpp v52, v51 row_shr:4 row_mask:0xf bank_mask:0xf
	v_cndmask_b32_e64 v52, 0, v52, s[2:3]
	;; [unrolled: 4-line block ×3, first 2 shown]
	v_add_u32_e32 v51, v51, v52
	ds_write_b32 v34, v51
.LBB1198_141:
	s_or_b64 exec, exec, s[10:11]
	v_cmp_lt_u32_e32 vcc, 63, v2
	v_mov_b32_e32 v51, 0
	s_waitcnt lgkmcnt(0)
	s_barrier
	s_and_saveexec_b64 s[0:1], vcc
; %bb.142:
	v_lshl_add_u32 v50, v50, 2, -4
	ds_read_b32 v51, v50
; %bb.143:
	s_or_b64 exec, exec, s[0:1]
	v_subrev_co_u32_e32 v50, vcc, 1, v26
	v_and_b32_e32 v52, 64, v26
	v_cmp_lt_i32_e64 s[0:1], v50, v52
	s_waitcnt lgkmcnt(0)
	v_add_u32_e32 v49, v51, v49
	s_movk_i32 s2, 0x100
	v_cndmask_b32_e64 v26, v50, v26, s[0:1]
	v_lshlrev_b32_e32 v26, 2, v26
	ds_bpermute_b32 v26, v26, v49
	s_movk_i32 s0, 0xff
	s_waitcnt lgkmcnt(0)
	v_cndmask_b32_e32 v26, v26, v51, vcc
	v_cndmask_b32_e64 v26, v26, 0, s[18:19]
	v_add_u32_e32 v24, v26, v24
	v_add_u32_e32 v25, v24, v25
	;; [unrolled: 1-line block ×4, first 2 shown]
	ds_write2_b32 v1, v26, v24 offset0:16 offset1:17
	ds_write2_b32 v1, v25, v22 offset0:18 offset1:19
	ds_write_b32 v1, v23 offset:80
	s_waitcnt lgkmcnt(0)
	s_barrier
	ds_read_b32 v52, v27 offset:64
	ds_read_b32 v1, v30 offset:64
	;; [unrolled: 1-line block ×8, first 2 shown]
	v_cmp_lt_u32_e32 vcc, s0, v2
	v_cmp_gt_u32_e64 s[0:1], s2, v2
                                        ; implicit-def: $vgpr30
                                        ; implicit-def: $vgpr33
	s_and_saveexec_b64 s[4:5], s[0:1]
	s_cbranch_execz .LBB1198_147
; %bb.144:
	v_mul_u32_u24_e32 v22, 0x44, v2
	ds_read_b32 v30, v22 offset:64
	v_add_u32_e32 v23, 1, v2
	v_cmp_ne_u32_e64 s[2:3], s2, v23
	v_mov_b32_e32 v22, 0x2000
	s_and_saveexec_b64 s[6:7], s[2:3]
; %bb.145:
	v_mul_u32_u24_e32 v22, 0x44, v23
	ds_read_b32 v22, v22 offset:64
; %bb.146:
	s_or_b64 exec, exec, s[6:7]
	s_waitcnt lgkmcnt(0)
	v_sub_u32_e32 v33, v22, v30
.LBB1198_147:
	s_or_b64 exec, exec, s[4:5]
	v_mov_b32_e32 v23, 0
	s_waitcnt lgkmcnt(0)
	s_barrier
	s_and_saveexec_b64 s[2:3], s[0:1]
	s_cbranch_execz .LBB1198_157
; %bb.148:
	v_lshl_add_u32 v22, s33, 8, v2
	v_lshl_add_u64 v[24:25], v[22:23], 2, s[56:57]
	v_or_b32_e32 v22, 2.0, v33
	s_mov_b64 s[4:5], 0
	s_brev_b32 s14, -4
	s_mov_b32 s15, s33
	v_mov_b32_e32 v46, 0
	global_store_dword v[24:25], v22, off sc1
                                        ; implicit-def: $sgpr0_sgpr1
	s_branch .LBB1198_151
.LBB1198_149:                           ;   in Loop: Header=BB1198_151 Depth=1
	s_or_b64 exec, exec, s[10:11]
.LBB1198_150:                           ;   in Loop: Header=BB1198_151 Depth=1
	s_or_b64 exec, exec, s[6:7]
	v_and_b32_e32 v26, 0x3fffffff, v22
	v_add_u32_e32 v46, v26, v46
	v_cmp_gt_i32_e64 s[0:1], -2.0, v22
	s_and_b64 s[6:7], exec, s[0:1]
	s_or_b64 s[4:5], s[6:7], s[4:5]
	s_andn2_b64 exec, exec, s[4:5]
	s_cbranch_execz .LBB1198_156
.LBB1198_151:                           ; =>This Loop Header: Depth=1
                                        ;     Child Loop BB1198_154 Depth 2
	s_or_b64 s[0:1], s[0:1], exec
	s_cmp_eq_u32 s15, 0
	s_cbranch_scc1 .LBB1198_155
; %bb.152:                              ;   in Loop: Header=BB1198_151 Depth=1
	s_add_i32 s15, s15, -1
	v_lshl_or_b32 v22, s15, 8, v2
	v_lshl_add_u64 v[26:27], v[22:23], 2, s[56:57]
	global_load_dword v22, v[26:27], off sc1
	s_waitcnt vmcnt(0)
	v_cmp_gt_u32_e64 s[0:1], 2.0, v22
	s_and_saveexec_b64 s[6:7], s[0:1]
	s_cbranch_execz .LBB1198_150
; %bb.153:                              ;   in Loop: Header=BB1198_151 Depth=1
	s_mov_b64 s[10:11], 0
.LBB1198_154:                           ;   Parent Loop BB1198_151 Depth=1
                                        ; =>  This Inner Loop Header: Depth=2
	global_load_dword v22, v[26:27], off sc1
	s_waitcnt vmcnt(0)
	v_cmp_lt_u32_e64 s[0:1], s14, v22
	s_or_b64 s[10:11], s[0:1], s[10:11]
	s_andn2_b64 exec, exec, s[10:11]
	s_cbranch_execnz .LBB1198_154
	s_branch .LBB1198_149
.LBB1198_155:                           ;   in Loop: Header=BB1198_151 Depth=1
                                        ; implicit-def: $sgpr15
	s_and_b64 s[6:7], exec, s[0:1]
	s_or_b64 s[4:5], s[6:7], s[4:5]
	s_andn2_b64 exec, exec, s[4:5]
	s_cbranch_execnz .LBB1198_151
.LBB1198_156:
	s_or_b64 exec, exec, s[4:5]
	v_add_u32_e32 v22, v46, v33
	v_or_b32_e32 v22, 0x80000000, v22
	global_store_dword v[24:25], v22, off sc1
	global_load_dword v22, v34, s[48:49]
	v_sub_u32_e32 v23, v46, v30
	s_waitcnt vmcnt(0)
	v_add_u32_e32 v22, v23, v22
	ds_write_b32 v34, v22
.LBB1198_157:
	s_or_b64 exec, exec, s[2:3]
	v_add_u32_e32 v24, v52, v5
	v_add3_u32 v5, v28, v3, v1
	v_add3_u32 v22, v31, v29, v49
	;; [unrolled: 1-line block ×7, first 2 shown]
	v_mov_b32_e32 v52, 0x400
	s_mov_b32 s4, s52
	s_mov_b32 s5, s13
	s_movk_i32 s6, 0x400
	v_lshl_add_u32 v25, v25, 3, v52
	v_add3_u32 v26, v47, v40, v45
	v_lshl_add_u32 v27, v27, 3, v52
	v_add3_u32 v37, v44, v37, v42
	;; [unrolled: 2-line block ×7, first 2 shown]
	v_lshl_add_u32 v28, v24, 3, v52
	s_mov_b32 s7, 0
	s_mov_b32 s10, 0
	s_movk_i32 s11, 0x800
	v_add_u32_e32 v42, v34, v34
	v_mov_b32_e32 v23, 0
	v_mov_b32_e32 v1, v2
	s_mov_b32 s14, 0
	s_branch .LBB1198_159
.LBB1198_158:                           ;   in Loop: Header=BB1198_159 Depth=1
	s_or_b64 exec, exec, s[2:3]
	s_waitcnt lgkmcnt(0)
	s_barrier
	ds_read2st64_b64 v[44:47], v42 offset0:2 offset1:18
	s_addk_i32 s14, 0xc000
	s_addk_i32 s10, 0xf800
	s_waitcnt lgkmcnt(0)
	v_xor_b32_e32 v49, 0x80000000, v45
	v_mov_b32_e32 v48, v44
	v_lshrrev_b64 v[44:45], s52, v[44:45]
	v_lshrrev_b64 v[52:53], s4, v[46:47]
	v_and_b32_e32 v44, s13, v44
	v_lshlrev_b32_e32 v5, 2, v44
	v_and_b32_e32 v45, s5, v52
	ds_read_b32 v5, v5
	v_lshlrev_b32_e32 v22, 2, v45
	ds_read_b32 v43, v22
	v_xor_b32_e32 v51, 0x80000000, v47
	v_mov_b32_e32 v50, v46
	s_waitcnt lgkmcnt(1)
	v_add_u32_e32 v22, v1, v5
	v_lshl_add_u64 v[46:47], v[22:23], 3, s[42:43]
	s_waitcnt lgkmcnt(0)
	v_add3_u32 v22, v1, v43, s6
	global_store_dwordx2 v[46:47], v[48:49], off
	v_lshl_add_u64 v[46:47], v[22:23], 3, s[42:43]
	global_store_dwordx2 v[46:47], v[50:51], off
	scratch_store_dwordx2 off, v[44:45], s7
	s_add_i32 s7, s7, 8
	s_cmp_eq_u32 s14, 0xffff0000
	v_add_u32_e32 v1, 0x800, v1
	s_barrier
	s_cbranch_scc1 .LBB1198_175
.LBB1198_159:                           ; =>This Inner Loop Header: Depth=1
	v_add_u32_e32 v5, s10, v24
	v_cmp_gt_u32_e64 s[0:1], s11, v5
	s_and_saveexec_b64 s[2:3], s[0:1]
; %bb.160:                              ;   in Loop: Header=BB1198_159 Depth=1
	v_add_u32_e32 v5, s14, v28
	ds_write_b64 v5, v[6:7]
; %bb.161:                              ;   in Loop: Header=BB1198_159 Depth=1
	s_or_b64 exec, exec, s[2:3]
	v_add_u32_e32 v5, s10, v3
	v_cmp_gt_u32_e64 s[0:1], s11, v5
	s_and_saveexec_b64 s[2:3], s[0:1]
; %bb.162:                              ;   in Loop: Header=BB1198_159 Depth=1
	v_add_u32_e32 v5, s14, v31
	ds_write_b64 v5, v[8:9]
; %bb.163:                              ;   in Loop: Header=BB1198_159 Depth=1
	s_or_b64 exec, exec, s[2:3]
	;; [unrolled: 8-line block ×7, first 2 shown]
	v_add_u32_e32 v5, s10, v26
	v_cmp_gt_u32_e64 s[0:1], s11, v5
	s_and_saveexec_b64 s[2:3], s[0:1]
	s_cbranch_execz .LBB1198_158
; %bb.174:                              ;   in Loop: Header=BB1198_159 Depth=1
	v_add_u32_e32 v5, s14, v25
	ds_write_b64 v5, v[20:21]
	s_branch .LBB1198_158
.LBB1198_175:
	s_add_u32 s0, s44, s8
	s_addc_u32 s1, s45, s9
	v_mov_b32_e32 v1, 0
	v_lshl_add_u64 v[6:7], s[0:1], 0, v[0:1]
	v_mov_b32_e32 v5, v1
	v_lshl_add_u64 v[20:21], v[6:7], 0, v[4:5]
	global_load_dwordx2 v[4:5], v[20:21], off
	global_load_dwordx2 v[6:7], v[20:21], off offset:512
	global_load_dwordx2 v[8:9], v[20:21], off offset:1024
	;; [unrolled: 1-line block ×7, first 2 shown]
	s_mov_b32 s4, 0
	s_mov_b32 s5, 0
	s_movk_i32 s6, 0x800
	s_movk_i32 s7, 0x400
	s_mov_b32 s8, 0
	s_branch .LBB1198_177
.LBB1198_176:                           ;   in Loop: Header=BB1198_177 Depth=1
	s_or_b64 exec, exec, s[2:3]
	s_waitcnt lgkmcnt(0)
	s_barrier
	scratch_load_dwordx2 v[44:45], off, s4
	ds_read2st64_b64 v[20:23], v42 offset0:2 offset1:18
	s_addk_i32 s8, 0xc000
	s_addk_i32 s5, 0xf800
	s_add_i32 s4, s4, 8
	s_cmp_eq_u32 s8, 0xffff0000
	s_waitcnt vmcnt(0)
	v_lshlrev_b32_e32 v0, 2, v44
	ds_read_b32 v0, v0
	v_lshlrev_b32_e32 v43, 2, v45
	ds_read_b32 v43, v43
	s_waitcnt lgkmcnt(1)
	v_add_u32_e32 v0, v2, v0
	v_lshl_add_u64 v[44:45], v[0:1], 3, s[46:47]
	s_waitcnt lgkmcnt(0)
	v_add3_u32 v0, v2, v43, s7
	global_store_dwordx2 v[44:45], v[20:21], off
	v_lshl_add_u64 v[20:21], v[0:1], 3, s[46:47]
	v_add_u32_e32 v2, 0x800, v2
	global_store_dwordx2 v[20:21], v[22:23], off
	s_barrier
	s_cbranch_scc1 .LBB1198_193
.LBB1198_177:                           ; =>This Inner Loop Header: Depth=1
	v_add_u32_e32 v0, s5, v24
	v_cmp_gt_u32_e64 s[0:1], s6, v0
	s_and_saveexec_b64 s[2:3], s[0:1]
	s_cbranch_execz .LBB1198_179
; %bb.178:                              ;   in Loop: Header=BB1198_177 Depth=1
	v_add_u32_e32 v0, s8, v28
	s_waitcnt vmcnt(7)
	ds_write_b64 v0, v[4:5]
.LBB1198_179:                           ;   in Loop: Header=BB1198_177 Depth=1
	s_or_b64 exec, exec, s[2:3]
	v_add_u32_e32 v0, s5, v3
	v_cmp_gt_u32_e64 s[0:1], s6, v0
	s_and_saveexec_b64 s[2:3], s[0:1]
	s_cbranch_execz .LBB1198_181
; %bb.180:                              ;   in Loop: Header=BB1198_177 Depth=1
	v_add_u32_e32 v0, s8, v31
	s_waitcnt vmcnt(6)
	ds_write_b64 v0, v[6:7]
.LBB1198_181:                           ;   in Loop: Header=BB1198_177 Depth=1
	s_or_b64 exec, exec, s[2:3]
	;; [unrolled: 10-line block ×7, first 2 shown]
	v_add_u32_e32 v0, s5, v26
	v_cmp_gt_u32_e64 s[0:1], s6, v0
	s_and_saveexec_b64 s[2:3], s[0:1]
	s_cbranch_execz .LBB1198_176
; %bb.192:                              ;   in Loop: Header=BB1198_177 Depth=1
	v_add_u32_e32 v0, s8, v25
	s_waitcnt vmcnt(0)
	ds_write_b64 v0, v[18:19]
	s_branch .LBB1198_176
.LBB1198_193:
	s_add_i32 s12, s12, -1
	s_cmp_eq_u32 s33, s12
	s_cselect_b64 s[0:1], -1, 0
	s_xor_b64 s[2:3], vcc, -1
	s_and_b64 s[0:1], s[2:3], s[0:1]
	s_and_saveexec_b64 s[2:3], s[0:1]
	s_cbranch_execz .LBB1198_195
; %bb.194:
	ds_read_b32 v0, v34
	s_waitcnt lgkmcnt(0)
	v_add3_u32 v0, v30, v33, v0
	global_store_dword v34, v0, s[50:51]
.LBB1198_195:
	s_endpgm
	.section	.rodata,"a",@progbits
	.p2align	6, 0x0
	.amdhsa_kernel _ZN7rocprim17ROCPRIM_400000_NS6detail17trampoline_kernelINS0_14default_configENS1_35radix_sort_onesweep_config_selectorIxxEEZZNS1_29radix_sort_onesweep_iterationIS3_Lb0EN6thrust23THRUST_200600_302600_NS6detail15normal_iteratorINS8_10device_ptrIxEEEESD_SD_SD_jNS0_19identity_decomposerENS1_16block_id_wrapperIjLb1EEEEE10hipError_tT1_PNSt15iterator_traitsISI_E10value_typeET2_T3_PNSJ_ISO_E10value_typeET4_T5_PST_SU_PNS1_23onesweep_lookback_stateEbbT6_jjT7_P12ihipStream_tbENKUlT_T0_SI_SN_E_clISD_SD_SD_SD_EEDaS11_S12_SI_SN_EUlS11_E_NS1_11comp_targetILNS1_3genE6ELNS1_11target_archE950ELNS1_3gpuE13ELNS1_3repE0EEENS1_47radix_sort_onesweep_sort_config_static_selectorELNS0_4arch9wavefront6targetE1EEEvSI_
		.amdhsa_group_segment_fixed_size 53328
		.amdhsa_private_segment_fixed_size 48
		.amdhsa_kernarg_size 344
		.amdhsa_user_sgpr_count 4
		.amdhsa_user_sgpr_dispatch_ptr 1
		.amdhsa_user_sgpr_queue_ptr 0
		.amdhsa_user_sgpr_kernarg_segment_ptr 1
		.amdhsa_user_sgpr_dispatch_id 0
		.amdhsa_user_sgpr_kernarg_preload_length 0
		.amdhsa_user_sgpr_kernarg_preload_offset 0
		.amdhsa_user_sgpr_private_segment_size 0
		.amdhsa_uses_dynamic_stack 0
		.amdhsa_enable_private_segment 1
		.amdhsa_system_sgpr_workgroup_id_x 1
		.amdhsa_system_sgpr_workgroup_id_y 0
		.amdhsa_system_sgpr_workgroup_id_z 0
		.amdhsa_system_sgpr_workgroup_info 0
		.amdhsa_system_vgpr_workitem_id 2
		.amdhsa_next_free_vgpr 58
		.amdhsa_next_free_sgpr 61
		.amdhsa_accum_offset 60
		.amdhsa_reserve_vcc 1
		.amdhsa_float_round_mode_32 0
		.amdhsa_float_round_mode_16_64 0
		.amdhsa_float_denorm_mode_32 3
		.amdhsa_float_denorm_mode_16_64 3
		.amdhsa_dx10_clamp 1
		.amdhsa_ieee_mode 1
		.amdhsa_fp16_overflow 0
		.amdhsa_tg_split 0
		.amdhsa_exception_fp_ieee_invalid_op 0
		.amdhsa_exception_fp_denorm_src 0
		.amdhsa_exception_fp_ieee_div_zero 0
		.amdhsa_exception_fp_ieee_overflow 0
		.amdhsa_exception_fp_ieee_underflow 0
		.amdhsa_exception_fp_ieee_inexact 0
		.amdhsa_exception_int_div_zero 0
	.end_amdhsa_kernel
	.section	.text._ZN7rocprim17ROCPRIM_400000_NS6detail17trampoline_kernelINS0_14default_configENS1_35radix_sort_onesweep_config_selectorIxxEEZZNS1_29radix_sort_onesweep_iterationIS3_Lb0EN6thrust23THRUST_200600_302600_NS6detail15normal_iteratorINS8_10device_ptrIxEEEESD_SD_SD_jNS0_19identity_decomposerENS1_16block_id_wrapperIjLb1EEEEE10hipError_tT1_PNSt15iterator_traitsISI_E10value_typeET2_T3_PNSJ_ISO_E10value_typeET4_T5_PST_SU_PNS1_23onesweep_lookback_stateEbbT6_jjT7_P12ihipStream_tbENKUlT_T0_SI_SN_E_clISD_SD_SD_SD_EEDaS11_S12_SI_SN_EUlS11_E_NS1_11comp_targetILNS1_3genE6ELNS1_11target_archE950ELNS1_3gpuE13ELNS1_3repE0EEENS1_47radix_sort_onesweep_sort_config_static_selectorELNS0_4arch9wavefront6targetE1EEEvSI_,"axG",@progbits,_ZN7rocprim17ROCPRIM_400000_NS6detail17trampoline_kernelINS0_14default_configENS1_35radix_sort_onesweep_config_selectorIxxEEZZNS1_29radix_sort_onesweep_iterationIS3_Lb0EN6thrust23THRUST_200600_302600_NS6detail15normal_iteratorINS8_10device_ptrIxEEEESD_SD_SD_jNS0_19identity_decomposerENS1_16block_id_wrapperIjLb1EEEEE10hipError_tT1_PNSt15iterator_traitsISI_E10value_typeET2_T3_PNSJ_ISO_E10value_typeET4_T5_PST_SU_PNS1_23onesweep_lookback_stateEbbT6_jjT7_P12ihipStream_tbENKUlT_T0_SI_SN_E_clISD_SD_SD_SD_EEDaS11_S12_SI_SN_EUlS11_E_NS1_11comp_targetILNS1_3genE6ELNS1_11target_archE950ELNS1_3gpuE13ELNS1_3repE0EEENS1_47radix_sort_onesweep_sort_config_static_selectorELNS0_4arch9wavefront6targetE1EEEvSI_,comdat
.Lfunc_end1198:
	.size	_ZN7rocprim17ROCPRIM_400000_NS6detail17trampoline_kernelINS0_14default_configENS1_35radix_sort_onesweep_config_selectorIxxEEZZNS1_29radix_sort_onesweep_iterationIS3_Lb0EN6thrust23THRUST_200600_302600_NS6detail15normal_iteratorINS8_10device_ptrIxEEEESD_SD_SD_jNS0_19identity_decomposerENS1_16block_id_wrapperIjLb1EEEEE10hipError_tT1_PNSt15iterator_traitsISI_E10value_typeET2_T3_PNSJ_ISO_E10value_typeET4_T5_PST_SU_PNS1_23onesweep_lookback_stateEbbT6_jjT7_P12ihipStream_tbENKUlT_T0_SI_SN_E_clISD_SD_SD_SD_EEDaS11_S12_SI_SN_EUlS11_E_NS1_11comp_targetILNS1_3genE6ELNS1_11target_archE950ELNS1_3gpuE13ELNS1_3repE0EEENS1_47radix_sort_onesweep_sort_config_static_selectorELNS0_4arch9wavefront6targetE1EEEvSI_, .Lfunc_end1198-_ZN7rocprim17ROCPRIM_400000_NS6detail17trampoline_kernelINS0_14default_configENS1_35radix_sort_onesweep_config_selectorIxxEEZZNS1_29radix_sort_onesweep_iterationIS3_Lb0EN6thrust23THRUST_200600_302600_NS6detail15normal_iteratorINS8_10device_ptrIxEEEESD_SD_SD_jNS0_19identity_decomposerENS1_16block_id_wrapperIjLb1EEEEE10hipError_tT1_PNSt15iterator_traitsISI_E10value_typeET2_T3_PNSJ_ISO_E10value_typeET4_T5_PST_SU_PNS1_23onesweep_lookback_stateEbbT6_jjT7_P12ihipStream_tbENKUlT_T0_SI_SN_E_clISD_SD_SD_SD_EEDaS11_S12_SI_SN_EUlS11_E_NS1_11comp_targetILNS1_3genE6ELNS1_11target_archE950ELNS1_3gpuE13ELNS1_3repE0EEENS1_47radix_sort_onesweep_sort_config_static_selectorELNS0_4arch9wavefront6targetE1EEEvSI_
                                        ; -- End function
	.set _ZN7rocprim17ROCPRIM_400000_NS6detail17trampoline_kernelINS0_14default_configENS1_35radix_sort_onesweep_config_selectorIxxEEZZNS1_29radix_sort_onesweep_iterationIS3_Lb0EN6thrust23THRUST_200600_302600_NS6detail15normal_iteratorINS8_10device_ptrIxEEEESD_SD_SD_jNS0_19identity_decomposerENS1_16block_id_wrapperIjLb1EEEEE10hipError_tT1_PNSt15iterator_traitsISI_E10value_typeET2_T3_PNSJ_ISO_E10value_typeET4_T5_PST_SU_PNS1_23onesweep_lookback_stateEbbT6_jjT7_P12ihipStream_tbENKUlT_T0_SI_SN_E_clISD_SD_SD_SD_EEDaS11_S12_SI_SN_EUlS11_E_NS1_11comp_targetILNS1_3genE6ELNS1_11target_archE950ELNS1_3gpuE13ELNS1_3repE0EEENS1_47radix_sort_onesweep_sort_config_static_selectorELNS0_4arch9wavefront6targetE1EEEvSI_.num_vgpr, 58
	.set _ZN7rocprim17ROCPRIM_400000_NS6detail17trampoline_kernelINS0_14default_configENS1_35radix_sort_onesweep_config_selectorIxxEEZZNS1_29radix_sort_onesweep_iterationIS3_Lb0EN6thrust23THRUST_200600_302600_NS6detail15normal_iteratorINS8_10device_ptrIxEEEESD_SD_SD_jNS0_19identity_decomposerENS1_16block_id_wrapperIjLb1EEEEE10hipError_tT1_PNSt15iterator_traitsISI_E10value_typeET2_T3_PNSJ_ISO_E10value_typeET4_T5_PST_SU_PNS1_23onesweep_lookback_stateEbbT6_jjT7_P12ihipStream_tbENKUlT_T0_SI_SN_E_clISD_SD_SD_SD_EEDaS11_S12_SI_SN_EUlS11_E_NS1_11comp_targetILNS1_3genE6ELNS1_11target_archE950ELNS1_3gpuE13ELNS1_3repE0EEENS1_47radix_sort_onesweep_sort_config_static_selectorELNS0_4arch9wavefront6targetE1EEEvSI_.num_agpr, 0
	.set _ZN7rocprim17ROCPRIM_400000_NS6detail17trampoline_kernelINS0_14default_configENS1_35radix_sort_onesweep_config_selectorIxxEEZZNS1_29radix_sort_onesweep_iterationIS3_Lb0EN6thrust23THRUST_200600_302600_NS6detail15normal_iteratorINS8_10device_ptrIxEEEESD_SD_SD_jNS0_19identity_decomposerENS1_16block_id_wrapperIjLb1EEEEE10hipError_tT1_PNSt15iterator_traitsISI_E10value_typeET2_T3_PNSJ_ISO_E10value_typeET4_T5_PST_SU_PNS1_23onesweep_lookback_stateEbbT6_jjT7_P12ihipStream_tbENKUlT_T0_SI_SN_E_clISD_SD_SD_SD_EEDaS11_S12_SI_SN_EUlS11_E_NS1_11comp_targetILNS1_3genE6ELNS1_11target_archE950ELNS1_3gpuE13ELNS1_3repE0EEENS1_47radix_sort_onesweep_sort_config_static_selectorELNS0_4arch9wavefront6targetE1EEEvSI_.numbered_sgpr, 61
	.set _ZN7rocprim17ROCPRIM_400000_NS6detail17trampoline_kernelINS0_14default_configENS1_35radix_sort_onesweep_config_selectorIxxEEZZNS1_29radix_sort_onesweep_iterationIS3_Lb0EN6thrust23THRUST_200600_302600_NS6detail15normal_iteratorINS8_10device_ptrIxEEEESD_SD_SD_jNS0_19identity_decomposerENS1_16block_id_wrapperIjLb1EEEEE10hipError_tT1_PNSt15iterator_traitsISI_E10value_typeET2_T3_PNSJ_ISO_E10value_typeET4_T5_PST_SU_PNS1_23onesweep_lookback_stateEbbT6_jjT7_P12ihipStream_tbENKUlT_T0_SI_SN_E_clISD_SD_SD_SD_EEDaS11_S12_SI_SN_EUlS11_E_NS1_11comp_targetILNS1_3genE6ELNS1_11target_archE950ELNS1_3gpuE13ELNS1_3repE0EEENS1_47radix_sort_onesweep_sort_config_static_selectorELNS0_4arch9wavefront6targetE1EEEvSI_.num_named_barrier, 0
	.set _ZN7rocprim17ROCPRIM_400000_NS6detail17trampoline_kernelINS0_14default_configENS1_35radix_sort_onesweep_config_selectorIxxEEZZNS1_29radix_sort_onesweep_iterationIS3_Lb0EN6thrust23THRUST_200600_302600_NS6detail15normal_iteratorINS8_10device_ptrIxEEEESD_SD_SD_jNS0_19identity_decomposerENS1_16block_id_wrapperIjLb1EEEEE10hipError_tT1_PNSt15iterator_traitsISI_E10value_typeET2_T3_PNSJ_ISO_E10value_typeET4_T5_PST_SU_PNS1_23onesweep_lookback_stateEbbT6_jjT7_P12ihipStream_tbENKUlT_T0_SI_SN_E_clISD_SD_SD_SD_EEDaS11_S12_SI_SN_EUlS11_E_NS1_11comp_targetILNS1_3genE6ELNS1_11target_archE950ELNS1_3gpuE13ELNS1_3repE0EEENS1_47radix_sort_onesweep_sort_config_static_selectorELNS0_4arch9wavefront6targetE1EEEvSI_.private_seg_size, 48
	.set _ZN7rocprim17ROCPRIM_400000_NS6detail17trampoline_kernelINS0_14default_configENS1_35radix_sort_onesweep_config_selectorIxxEEZZNS1_29radix_sort_onesweep_iterationIS3_Lb0EN6thrust23THRUST_200600_302600_NS6detail15normal_iteratorINS8_10device_ptrIxEEEESD_SD_SD_jNS0_19identity_decomposerENS1_16block_id_wrapperIjLb1EEEEE10hipError_tT1_PNSt15iterator_traitsISI_E10value_typeET2_T3_PNSJ_ISO_E10value_typeET4_T5_PST_SU_PNS1_23onesweep_lookback_stateEbbT6_jjT7_P12ihipStream_tbENKUlT_T0_SI_SN_E_clISD_SD_SD_SD_EEDaS11_S12_SI_SN_EUlS11_E_NS1_11comp_targetILNS1_3genE6ELNS1_11target_archE950ELNS1_3gpuE13ELNS1_3repE0EEENS1_47radix_sort_onesweep_sort_config_static_selectorELNS0_4arch9wavefront6targetE1EEEvSI_.uses_vcc, 1
	.set _ZN7rocprim17ROCPRIM_400000_NS6detail17trampoline_kernelINS0_14default_configENS1_35radix_sort_onesweep_config_selectorIxxEEZZNS1_29radix_sort_onesweep_iterationIS3_Lb0EN6thrust23THRUST_200600_302600_NS6detail15normal_iteratorINS8_10device_ptrIxEEEESD_SD_SD_jNS0_19identity_decomposerENS1_16block_id_wrapperIjLb1EEEEE10hipError_tT1_PNSt15iterator_traitsISI_E10value_typeET2_T3_PNSJ_ISO_E10value_typeET4_T5_PST_SU_PNS1_23onesweep_lookback_stateEbbT6_jjT7_P12ihipStream_tbENKUlT_T0_SI_SN_E_clISD_SD_SD_SD_EEDaS11_S12_SI_SN_EUlS11_E_NS1_11comp_targetILNS1_3genE6ELNS1_11target_archE950ELNS1_3gpuE13ELNS1_3repE0EEENS1_47radix_sort_onesweep_sort_config_static_selectorELNS0_4arch9wavefront6targetE1EEEvSI_.uses_flat_scratch, 0
	.set _ZN7rocprim17ROCPRIM_400000_NS6detail17trampoline_kernelINS0_14default_configENS1_35radix_sort_onesweep_config_selectorIxxEEZZNS1_29radix_sort_onesweep_iterationIS3_Lb0EN6thrust23THRUST_200600_302600_NS6detail15normal_iteratorINS8_10device_ptrIxEEEESD_SD_SD_jNS0_19identity_decomposerENS1_16block_id_wrapperIjLb1EEEEE10hipError_tT1_PNSt15iterator_traitsISI_E10value_typeET2_T3_PNSJ_ISO_E10value_typeET4_T5_PST_SU_PNS1_23onesweep_lookback_stateEbbT6_jjT7_P12ihipStream_tbENKUlT_T0_SI_SN_E_clISD_SD_SD_SD_EEDaS11_S12_SI_SN_EUlS11_E_NS1_11comp_targetILNS1_3genE6ELNS1_11target_archE950ELNS1_3gpuE13ELNS1_3repE0EEENS1_47radix_sort_onesweep_sort_config_static_selectorELNS0_4arch9wavefront6targetE1EEEvSI_.has_dyn_sized_stack, 0
	.set _ZN7rocprim17ROCPRIM_400000_NS6detail17trampoline_kernelINS0_14default_configENS1_35radix_sort_onesweep_config_selectorIxxEEZZNS1_29radix_sort_onesweep_iterationIS3_Lb0EN6thrust23THRUST_200600_302600_NS6detail15normal_iteratorINS8_10device_ptrIxEEEESD_SD_SD_jNS0_19identity_decomposerENS1_16block_id_wrapperIjLb1EEEEE10hipError_tT1_PNSt15iterator_traitsISI_E10value_typeET2_T3_PNSJ_ISO_E10value_typeET4_T5_PST_SU_PNS1_23onesweep_lookback_stateEbbT6_jjT7_P12ihipStream_tbENKUlT_T0_SI_SN_E_clISD_SD_SD_SD_EEDaS11_S12_SI_SN_EUlS11_E_NS1_11comp_targetILNS1_3genE6ELNS1_11target_archE950ELNS1_3gpuE13ELNS1_3repE0EEENS1_47radix_sort_onesweep_sort_config_static_selectorELNS0_4arch9wavefront6targetE1EEEvSI_.has_recursion, 0
	.set _ZN7rocprim17ROCPRIM_400000_NS6detail17trampoline_kernelINS0_14default_configENS1_35radix_sort_onesweep_config_selectorIxxEEZZNS1_29radix_sort_onesweep_iterationIS3_Lb0EN6thrust23THRUST_200600_302600_NS6detail15normal_iteratorINS8_10device_ptrIxEEEESD_SD_SD_jNS0_19identity_decomposerENS1_16block_id_wrapperIjLb1EEEEE10hipError_tT1_PNSt15iterator_traitsISI_E10value_typeET2_T3_PNSJ_ISO_E10value_typeET4_T5_PST_SU_PNS1_23onesweep_lookback_stateEbbT6_jjT7_P12ihipStream_tbENKUlT_T0_SI_SN_E_clISD_SD_SD_SD_EEDaS11_S12_SI_SN_EUlS11_E_NS1_11comp_targetILNS1_3genE6ELNS1_11target_archE950ELNS1_3gpuE13ELNS1_3repE0EEENS1_47radix_sort_onesweep_sort_config_static_selectorELNS0_4arch9wavefront6targetE1EEEvSI_.has_indirect_call, 0
	.section	.AMDGPU.csdata,"",@progbits
; Kernel info:
; codeLenInByte = 12920
; TotalNumSgprs: 67
; NumVgprs: 58
; NumAgprs: 0
; TotalNumVgprs: 58
; ScratchSize: 48
; MemoryBound: 1
; FloatMode: 240
; IeeeMode: 1
; LDSByteSize: 53328 bytes/workgroup (compile time only)
; SGPRBlocks: 8
; VGPRBlocks: 7
; NumSGPRsForWavesPerEU: 67
; NumVGPRsForWavesPerEU: 58
; AccumOffset: 60
; Occupancy: 8
; WaveLimiterHint : 1
; COMPUTE_PGM_RSRC2:SCRATCH_EN: 1
; COMPUTE_PGM_RSRC2:USER_SGPR: 4
; COMPUTE_PGM_RSRC2:TRAP_HANDLER: 0
; COMPUTE_PGM_RSRC2:TGID_X_EN: 1
; COMPUTE_PGM_RSRC2:TGID_Y_EN: 0
; COMPUTE_PGM_RSRC2:TGID_Z_EN: 0
; COMPUTE_PGM_RSRC2:TIDIG_COMP_CNT: 2
; COMPUTE_PGM_RSRC3_GFX90A:ACCUM_OFFSET: 14
; COMPUTE_PGM_RSRC3_GFX90A:TG_SPLIT: 0
	.section	.text._ZN7rocprim17ROCPRIM_400000_NS6detail17trampoline_kernelINS0_14default_configENS1_35radix_sort_onesweep_config_selectorIxxEEZZNS1_29radix_sort_onesweep_iterationIS3_Lb0EN6thrust23THRUST_200600_302600_NS6detail15normal_iteratorINS8_10device_ptrIxEEEESD_SD_SD_jNS0_19identity_decomposerENS1_16block_id_wrapperIjLb1EEEEE10hipError_tT1_PNSt15iterator_traitsISI_E10value_typeET2_T3_PNSJ_ISO_E10value_typeET4_T5_PST_SU_PNS1_23onesweep_lookback_stateEbbT6_jjT7_P12ihipStream_tbENKUlT_T0_SI_SN_E_clISD_SD_SD_SD_EEDaS11_S12_SI_SN_EUlS11_E_NS1_11comp_targetILNS1_3genE5ELNS1_11target_archE942ELNS1_3gpuE9ELNS1_3repE0EEENS1_47radix_sort_onesweep_sort_config_static_selectorELNS0_4arch9wavefront6targetE1EEEvSI_,"axG",@progbits,_ZN7rocprim17ROCPRIM_400000_NS6detail17trampoline_kernelINS0_14default_configENS1_35radix_sort_onesweep_config_selectorIxxEEZZNS1_29radix_sort_onesweep_iterationIS3_Lb0EN6thrust23THRUST_200600_302600_NS6detail15normal_iteratorINS8_10device_ptrIxEEEESD_SD_SD_jNS0_19identity_decomposerENS1_16block_id_wrapperIjLb1EEEEE10hipError_tT1_PNSt15iterator_traitsISI_E10value_typeET2_T3_PNSJ_ISO_E10value_typeET4_T5_PST_SU_PNS1_23onesweep_lookback_stateEbbT6_jjT7_P12ihipStream_tbENKUlT_T0_SI_SN_E_clISD_SD_SD_SD_EEDaS11_S12_SI_SN_EUlS11_E_NS1_11comp_targetILNS1_3genE5ELNS1_11target_archE942ELNS1_3gpuE9ELNS1_3repE0EEENS1_47radix_sort_onesweep_sort_config_static_selectorELNS0_4arch9wavefront6targetE1EEEvSI_,comdat
	.protected	_ZN7rocprim17ROCPRIM_400000_NS6detail17trampoline_kernelINS0_14default_configENS1_35radix_sort_onesweep_config_selectorIxxEEZZNS1_29radix_sort_onesweep_iterationIS3_Lb0EN6thrust23THRUST_200600_302600_NS6detail15normal_iteratorINS8_10device_ptrIxEEEESD_SD_SD_jNS0_19identity_decomposerENS1_16block_id_wrapperIjLb1EEEEE10hipError_tT1_PNSt15iterator_traitsISI_E10value_typeET2_T3_PNSJ_ISO_E10value_typeET4_T5_PST_SU_PNS1_23onesweep_lookback_stateEbbT6_jjT7_P12ihipStream_tbENKUlT_T0_SI_SN_E_clISD_SD_SD_SD_EEDaS11_S12_SI_SN_EUlS11_E_NS1_11comp_targetILNS1_3genE5ELNS1_11target_archE942ELNS1_3gpuE9ELNS1_3repE0EEENS1_47radix_sort_onesweep_sort_config_static_selectorELNS0_4arch9wavefront6targetE1EEEvSI_ ; -- Begin function _ZN7rocprim17ROCPRIM_400000_NS6detail17trampoline_kernelINS0_14default_configENS1_35radix_sort_onesweep_config_selectorIxxEEZZNS1_29radix_sort_onesweep_iterationIS3_Lb0EN6thrust23THRUST_200600_302600_NS6detail15normal_iteratorINS8_10device_ptrIxEEEESD_SD_SD_jNS0_19identity_decomposerENS1_16block_id_wrapperIjLb1EEEEE10hipError_tT1_PNSt15iterator_traitsISI_E10value_typeET2_T3_PNSJ_ISO_E10value_typeET4_T5_PST_SU_PNS1_23onesweep_lookback_stateEbbT6_jjT7_P12ihipStream_tbENKUlT_T0_SI_SN_E_clISD_SD_SD_SD_EEDaS11_S12_SI_SN_EUlS11_E_NS1_11comp_targetILNS1_3genE5ELNS1_11target_archE942ELNS1_3gpuE9ELNS1_3repE0EEENS1_47radix_sort_onesweep_sort_config_static_selectorELNS0_4arch9wavefront6targetE1EEEvSI_
	.globl	_ZN7rocprim17ROCPRIM_400000_NS6detail17trampoline_kernelINS0_14default_configENS1_35radix_sort_onesweep_config_selectorIxxEEZZNS1_29radix_sort_onesweep_iterationIS3_Lb0EN6thrust23THRUST_200600_302600_NS6detail15normal_iteratorINS8_10device_ptrIxEEEESD_SD_SD_jNS0_19identity_decomposerENS1_16block_id_wrapperIjLb1EEEEE10hipError_tT1_PNSt15iterator_traitsISI_E10value_typeET2_T3_PNSJ_ISO_E10value_typeET4_T5_PST_SU_PNS1_23onesweep_lookback_stateEbbT6_jjT7_P12ihipStream_tbENKUlT_T0_SI_SN_E_clISD_SD_SD_SD_EEDaS11_S12_SI_SN_EUlS11_E_NS1_11comp_targetILNS1_3genE5ELNS1_11target_archE942ELNS1_3gpuE9ELNS1_3repE0EEENS1_47radix_sort_onesweep_sort_config_static_selectorELNS0_4arch9wavefront6targetE1EEEvSI_
	.p2align	8
	.type	_ZN7rocprim17ROCPRIM_400000_NS6detail17trampoline_kernelINS0_14default_configENS1_35radix_sort_onesweep_config_selectorIxxEEZZNS1_29radix_sort_onesweep_iterationIS3_Lb0EN6thrust23THRUST_200600_302600_NS6detail15normal_iteratorINS8_10device_ptrIxEEEESD_SD_SD_jNS0_19identity_decomposerENS1_16block_id_wrapperIjLb1EEEEE10hipError_tT1_PNSt15iterator_traitsISI_E10value_typeET2_T3_PNSJ_ISO_E10value_typeET4_T5_PST_SU_PNS1_23onesweep_lookback_stateEbbT6_jjT7_P12ihipStream_tbENKUlT_T0_SI_SN_E_clISD_SD_SD_SD_EEDaS11_S12_SI_SN_EUlS11_E_NS1_11comp_targetILNS1_3genE5ELNS1_11target_archE942ELNS1_3gpuE9ELNS1_3repE0EEENS1_47radix_sort_onesweep_sort_config_static_selectorELNS0_4arch9wavefront6targetE1EEEvSI_,@function
_ZN7rocprim17ROCPRIM_400000_NS6detail17trampoline_kernelINS0_14default_configENS1_35radix_sort_onesweep_config_selectorIxxEEZZNS1_29radix_sort_onesweep_iterationIS3_Lb0EN6thrust23THRUST_200600_302600_NS6detail15normal_iteratorINS8_10device_ptrIxEEEESD_SD_SD_jNS0_19identity_decomposerENS1_16block_id_wrapperIjLb1EEEEE10hipError_tT1_PNSt15iterator_traitsISI_E10value_typeET2_T3_PNSJ_ISO_E10value_typeET4_T5_PST_SU_PNS1_23onesweep_lookback_stateEbbT6_jjT7_P12ihipStream_tbENKUlT_T0_SI_SN_E_clISD_SD_SD_SD_EEDaS11_S12_SI_SN_EUlS11_E_NS1_11comp_targetILNS1_3genE5ELNS1_11target_archE942ELNS1_3gpuE9ELNS1_3repE0EEENS1_47radix_sort_onesweep_sort_config_static_selectorELNS0_4arch9wavefront6targetE1EEEvSI_: ; @_ZN7rocprim17ROCPRIM_400000_NS6detail17trampoline_kernelINS0_14default_configENS1_35radix_sort_onesweep_config_selectorIxxEEZZNS1_29radix_sort_onesweep_iterationIS3_Lb0EN6thrust23THRUST_200600_302600_NS6detail15normal_iteratorINS8_10device_ptrIxEEEESD_SD_SD_jNS0_19identity_decomposerENS1_16block_id_wrapperIjLb1EEEEE10hipError_tT1_PNSt15iterator_traitsISI_E10value_typeET2_T3_PNSJ_ISO_E10value_typeET4_T5_PST_SU_PNS1_23onesweep_lookback_stateEbbT6_jjT7_P12ihipStream_tbENKUlT_T0_SI_SN_E_clISD_SD_SD_SD_EEDaS11_S12_SI_SN_EUlS11_E_NS1_11comp_targetILNS1_3genE5ELNS1_11target_archE942ELNS1_3gpuE9ELNS1_3repE0EEENS1_47radix_sort_onesweep_sort_config_static_selectorELNS0_4arch9wavefront6targetE1EEEvSI_
; %bb.0:
	.section	.rodata,"a",@progbits
	.p2align	6, 0x0
	.amdhsa_kernel _ZN7rocprim17ROCPRIM_400000_NS6detail17trampoline_kernelINS0_14default_configENS1_35radix_sort_onesweep_config_selectorIxxEEZZNS1_29radix_sort_onesweep_iterationIS3_Lb0EN6thrust23THRUST_200600_302600_NS6detail15normal_iteratorINS8_10device_ptrIxEEEESD_SD_SD_jNS0_19identity_decomposerENS1_16block_id_wrapperIjLb1EEEEE10hipError_tT1_PNSt15iterator_traitsISI_E10value_typeET2_T3_PNSJ_ISO_E10value_typeET4_T5_PST_SU_PNS1_23onesweep_lookback_stateEbbT6_jjT7_P12ihipStream_tbENKUlT_T0_SI_SN_E_clISD_SD_SD_SD_EEDaS11_S12_SI_SN_EUlS11_E_NS1_11comp_targetILNS1_3genE5ELNS1_11target_archE942ELNS1_3gpuE9ELNS1_3repE0EEENS1_47radix_sort_onesweep_sort_config_static_selectorELNS0_4arch9wavefront6targetE1EEEvSI_
		.amdhsa_group_segment_fixed_size 0
		.amdhsa_private_segment_fixed_size 0
		.amdhsa_kernarg_size 88
		.amdhsa_user_sgpr_count 2
		.amdhsa_user_sgpr_dispatch_ptr 0
		.amdhsa_user_sgpr_queue_ptr 0
		.amdhsa_user_sgpr_kernarg_segment_ptr 1
		.amdhsa_user_sgpr_dispatch_id 0
		.amdhsa_user_sgpr_kernarg_preload_length 0
		.amdhsa_user_sgpr_kernarg_preload_offset 0
		.amdhsa_user_sgpr_private_segment_size 0
		.amdhsa_uses_dynamic_stack 0
		.amdhsa_enable_private_segment 0
		.amdhsa_system_sgpr_workgroup_id_x 1
		.amdhsa_system_sgpr_workgroup_id_y 0
		.amdhsa_system_sgpr_workgroup_id_z 0
		.amdhsa_system_sgpr_workgroup_info 0
		.amdhsa_system_vgpr_workitem_id 0
		.amdhsa_next_free_vgpr 1
		.amdhsa_next_free_sgpr 0
		.amdhsa_accum_offset 4
		.amdhsa_reserve_vcc 0
		.amdhsa_float_round_mode_32 0
		.amdhsa_float_round_mode_16_64 0
		.amdhsa_float_denorm_mode_32 3
		.amdhsa_float_denorm_mode_16_64 3
		.amdhsa_dx10_clamp 1
		.amdhsa_ieee_mode 1
		.amdhsa_fp16_overflow 0
		.amdhsa_tg_split 0
		.amdhsa_exception_fp_ieee_invalid_op 0
		.amdhsa_exception_fp_denorm_src 0
		.amdhsa_exception_fp_ieee_div_zero 0
		.amdhsa_exception_fp_ieee_overflow 0
		.amdhsa_exception_fp_ieee_underflow 0
		.amdhsa_exception_fp_ieee_inexact 0
		.amdhsa_exception_int_div_zero 0
	.end_amdhsa_kernel
	.section	.text._ZN7rocprim17ROCPRIM_400000_NS6detail17trampoline_kernelINS0_14default_configENS1_35radix_sort_onesweep_config_selectorIxxEEZZNS1_29radix_sort_onesweep_iterationIS3_Lb0EN6thrust23THRUST_200600_302600_NS6detail15normal_iteratorINS8_10device_ptrIxEEEESD_SD_SD_jNS0_19identity_decomposerENS1_16block_id_wrapperIjLb1EEEEE10hipError_tT1_PNSt15iterator_traitsISI_E10value_typeET2_T3_PNSJ_ISO_E10value_typeET4_T5_PST_SU_PNS1_23onesweep_lookback_stateEbbT6_jjT7_P12ihipStream_tbENKUlT_T0_SI_SN_E_clISD_SD_SD_SD_EEDaS11_S12_SI_SN_EUlS11_E_NS1_11comp_targetILNS1_3genE5ELNS1_11target_archE942ELNS1_3gpuE9ELNS1_3repE0EEENS1_47radix_sort_onesweep_sort_config_static_selectorELNS0_4arch9wavefront6targetE1EEEvSI_,"axG",@progbits,_ZN7rocprim17ROCPRIM_400000_NS6detail17trampoline_kernelINS0_14default_configENS1_35radix_sort_onesweep_config_selectorIxxEEZZNS1_29radix_sort_onesweep_iterationIS3_Lb0EN6thrust23THRUST_200600_302600_NS6detail15normal_iteratorINS8_10device_ptrIxEEEESD_SD_SD_jNS0_19identity_decomposerENS1_16block_id_wrapperIjLb1EEEEE10hipError_tT1_PNSt15iterator_traitsISI_E10value_typeET2_T3_PNSJ_ISO_E10value_typeET4_T5_PST_SU_PNS1_23onesweep_lookback_stateEbbT6_jjT7_P12ihipStream_tbENKUlT_T0_SI_SN_E_clISD_SD_SD_SD_EEDaS11_S12_SI_SN_EUlS11_E_NS1_11comp_targetILNS1_3genE5ELNS1_11target_archE942ELNS1_3gpuE9ELNS1_3repE0EEENS1_47radix_sort_onesweep_sort_config_static_selectorELNS0_4arch9wavefront6targetE1EEEvSI_,comdat
.Lfunc_end1199:
	.size	_ZN7rocprim17ROCPRIM_400000_NS6detail17trampoline_kernelINS0_14default_configENS1_35radix_sort_onesweep_config_selectorIxxEEZZNS1_29radix_sort_onesweep_iterationIS3_Lb0EN6thrust23THRUST_200600_302600_NS6detail15normal_iteratorINS8_10device_ptrIxEEEESD_SD_SD_jNS0_19identity_decomposerENS1_16block_id_wrapperIjLb1EEEEE10hipError_tT1_PNSt15iterator_traitsISI_E10value_typeET2_T3_PNSJ_ISO_E10value_typeET4_T5_PST_SU_PNS1_23onesweep_lookback_stateEbbT6_jjT7_P12ihipStream_tbENKUlT_T0_SI_SN_E_clISD_SD_SD_SD_EEDaS11_S12_SI_SN_EUlS11_E_NS1_11comp_targetILNS1_3genE5ELNS1_11target_archE942ELNS1_3gpuE9ELNS1_3repE0EEENS1_47radix_sort_onesweep_sort_config_static_selectorELNS0_4arch9wavefront6targetE1EEEvSI_, .Lfunc_end1199-_ZN7rocprim17ROCPRIM_400000_NS6detail17trampoline_kernelINS0_14default_configENS1_35radix_sort_onesweep_config_selectorIxxEEZZNS1_29radix_sort_onesweep_iterationIS3_Lb0EN6thrust23THRUST_200600_302600_NS6detail15normal_iteratorINS8_10device_ptrIxEEEESD_SD_SD_jNS0_19identity_decomposerENS1_16block_id_wrapperIjLb1EEEEE10hipError_tT1_PNSt15iterator_traitsISI_E10value_typeET2_T3_PNSJ_ISO_E10value_typeET4_T5_PST_SU_PNS1_23onesweep_lookback_stateEbbT6_jjT7_P12ihipStream_tbENKUlT_T0_SI_SN_E_clISD_SD_SD_SD_EEDaS11_S12_SI_SN_EUlS11_E_NS1_11comp_targetILNS1_3genE5ELNS1_11target_archE942ELNS1_3gpuE9ELNS1_3repE0EEENS1_47radix_sort_onesweep_sort_config_static_selectorELNS0_4arch9wavefront6targetE1EEEvSI_
                                        ; -- End function
	.set _ZN7rocprim17ROCPRIM_400000_NS6detail17trampoline_kernelINS0_14default_configENS1_35radix_sort_onesweep_config_selectorIxxEEZZNS1_29radix_sort_onesweep_iterationIS3_Lb0EN6thrust23THRUST_200600_302600_NS6detail15normal_iteratorINS8_10device_ptrIxEEEESD_SD_SD_jNS0_19identity_decomposerENS1_16block_id_wrapperIjLb1EEEEE10hipError_tT1_PNSt15iterator_traitsISI_E10value_typeET2_T3_PNSJ_ISO_E10value_typeET4_T5_PST_SU_PNS1_23onesweep_lookback_stateEbbT6_jjT7_P12ihipStream_tbENKUlT_T0_SI_SN_E_clISD_SD_SD_SD_EEDaS11_S12_SI_SN_EUlS11_E_NS1_11comp_targetILNS1_3genE5ELNS1_11target_archE942ELNS1_3gpuE9ELNS1_3repE0EEENS1_47radix_sort_onesweep_sort_config_static_selectorELNS0_4arch9wavefront6targetE1EEEvSI_.num_vgpr, 0
	.set _ZN7rocprim17ROCPRIM_400000_NS6detail17trampoline_kernelINS0_14default_configENS1_35radix_sort_onesweep_config_selectorIxxEEZZNS1_29radix_sort_onesweep_iterationIS3_Lb0EN6thrust23THRUST_200600_302600_NS6detail15normal_iteratorINS8_10device_ptrIxEEEESD_SD_SD_jNS0_19identity_decomposerENS1_16block_id_wrapperIjLb1EEEEE10hipError_tT1_PNSt15iterator_traitsISI_E10value_typeET2_T3_PNSJ_ISO_E10value_typeET4_T5_PST_SU_PNS1_23onesweep_lookback_stateEbbT6_jjT7_P12ihipStream_tbENKUlT_T0_SI_SN_E_clISD_SD_SD_SD_EEDaS11_S12_SI_SN_EUlS11_E_NS1_11comp_targetILNS1_3genE5ELNS1_11target_archE942ELNS1_3gpuE9ELNS1_3repE0EEENS1_47radix_sort_onesweep_sort_config_static_selectorELNS0_4arch9wavefront6targetE1EEEvSI_.num_agpr, 0
	.set _ZN7rocprim17ROCPRIM_400000_NS6detail17trampoline_kernelINS0_14default_configENS1_35radix_sort_onesweep_config_selectorIxxEEZZNS1_29radix_sort_onesweep_iterationIS3_Lb0EN6thrust23THRUST_200600_302600_NS6detail15normal_iteratorINS8_10device_ptrIxEEEESD_SD_SD_jNS0_19identity_decomposerENS1_16block_id_wrapperIjLb1EEEEE10hipError_tT1_PNSt15iterator_traitsISI_E10value_typeET2_T3_PNSJ_ISO_E10value_typeET4_T5_PST_SU_PNS1_23onesweep_lookback_stateEbbT6_jjT7_P12ihipStream_tbENKUlT_T0_SI_SN_E_clISD_SD_SD_SD_EEDaS11_S12_SI_SN_EUlS11_E_NS1_11comp_targetILNS1_3genE5ELNS1_11target_archE942ELNS1_3gpuE9ELNS1_3repE0EEENS1_47radix_sort_onesweep_sort_config_static_selectorELNS0_4arch9wavefront6targetE1EEEvSI_.numbered_sgpr, 0
	.set _ZN7rocprim17ROCPRIM_400000_NS6detail17trampoline_kernelINS0_14default_configENS1_35radix_sort_onesweep_config_selectorIxxEEZZNS1_29radix_sort_onesweep_iterationIS3_Lb0EN6thrust23THRUST_200600_302600_NS6detail15normal_iteratorINS8_10device_ptrIxEEEESD_SD_SD_jNS0_19identity_decomposerENS1_16block_id_wrapperIjLb1EEEEE10hipError_tT1_PNSt15iterator_traitsISI_E10value_typeET2_T3_PNSJ_ISO_E10value_typeET4_T5_PST_SU_PNS1_23onesweep_lookback_stateEbbT6_jjT7_P12ihipStream_tbENKUlT_T0_SI_SN_E_clISD_SD_SD_SD_EEDaS11_S12_SI_SN_EUlS11_E_NS1_11comp_targetILNS1_3genE5ELNS1_11target_archE942ELNS1_3gpuE9ELNS1_3repE0EEENS1_47radix_sort_onesweep_sort_config_static_selectorELNS0_4arch9wavefront6targetE1EEEvSI_.num_named_barrier, 0
	.set _ZN7rocprim17ROCPRIM_400000_NS6detail17trampoline_kernelINS0_14default_configENS1_35radix_sort_onesweep_config_selectorIxxEEZZNS1_29radix_sort_onesweep_iterationIS3_Lb0EN6thrust23THRUST_200600_302600_NS6detail15normal_iteratorINS8_10device_ptrIxEEEESD_SD_SD_jNS0_19identity_decomposerENS1_16block_id_wrapperIjLb1EEEEE10hipError_tT1_PNSt15iterator_traitsISI_E10value_typeET2_T3_PNSJ_ISO_E10value_typeET4_T5_PST_SU_PNS1_23onesweep_lookback_stateEbbT6_jjT7_P12ihipStream_tbENKUlT_T0_SI_SN_E_clISD_SD_SD_SD_EEDaS11_S12_SI_SN_EUlS11_E_NS1_11comp_targetILNS1_3genE5ELNS1_11target_archE942ELNS1_3gpuE9ELNS1_3repE0EEENS1_47radix_sort_onesweep_sort_config_static_selectorELNS0_4arch9wavefront6targetE1EEEvSI_.private_seg_size, 0
	.set _ZN7rocprim17ROCPRIM_400000_NS6detail17trampoline_kernelINS0_14default_configENS1_35radix_sort_onesweep_config_selectorIxxEEZZNS1_29radix_sort_onesweep_iterationIS3_Lb0EN6thrust23THRUST_200600_302600_NS6detail15normal_iteratorINS8_10device_ptrIxEEEESD_SD_SD_jNS0_19identity_decomposerENS1_16block_id_wrapperIjLb1EEEEE10hipError_tT1_PNSt15iterator_traitsISI_E10value_typeET2_T3_PNSJ_ISO_E10value_typeET4_T5_PST_SU_PNS1_23onesweep_lookback_stateEbbT6_jjT7_P12ihipStream_tbENKUlT_T0_SI_SN_E_clISD_SD_SD_SD_EEDaS11_S12_SI_SN_EUlS11_E_NS1_11comp_targetILNS1_3genE5ELNS1_11target_archE942ELNS1_3gpuE9ELNS1_3repE0EEENS1_47radix_sort_onesweep_sort_config_static_selectorELNS0_4arch9wavefront6targetE1EEEvSI_.uses_vcc, 0
	.set _ZN7rocprim17ROCPRIM_400000_NS6detail17trampoline_kernelINS0_14default_configENS1_35radix_sort_onesweep_config_selectorIxxEEZZNS1_29radix_sort_onesweep_iterationIS3_Lb0EN6thrust23THRUST_200600_302600_NS6detail15normal_iteratorINS8_10device_ptrIxEEEESD_SD_SD_jNS0_19identity_decomposerENS1_16block_id_wrapperIjLb1EEEEE10hipError_tT1_PNSt15iterator_traitsISI_E10value_typeET2_T3_PNSJ_ISO_E10value_typeET4_T5_PST_SU_PNS1_23onesweep_lookback_stateEbbT6_jjT7_P12ihipStream_tbENKUlT_T0_SI_SN_E_clISD_SD_SD_SD_EEDaS11_S12_SI_SN_EUlS11_E_NS1_11comp_targetILNS1_3genE5ELNS1_11target_archE942ELNS1_3gpuE9ELNS1_3repE0EEENS1_47radix_sort_onesweep_sort_config_static_selectorELNS0_4arch9wavefront6targetE1EEEvSI_.uses_flat_scratch, 0
	.set _ZN7rocprim17ROCPRIM_400000_NS6detail17trampoline_kernelINS0_14default_configENS1_35radix_sort_onesweep_config_selectorIxxEEZZNS1_29radix_sort_onesweep_iterationIS3_Lb0EN6thrust23THRUST_200600_302600_NS6detail15normal_iteratorINS8_10device_ptrIxEEEESD_SD_SD_jNS0_19identity_decomposerENS1_16block_id_wrapperIjLb1EEEEE10hipError_tT1_PNSt15iterator_traitsISI_E10value_typeET2_T3_PNSJ_ISO_E10value_typeET4_T5_PST_SU_PNS1_23onesweep_lookback_stateEbbT6_jjT7_P12ihipStream_tbENKUlT_T0_SI_SN_E_clISD_SD_SD_SD_EEDaS11_S12_SI_SN_EUlS11_E_NS1_11comp_targetILNS1_3genE5ELNS1_11target_archE942ELNS1_3gpuE9ELNS1_3repE0EEENS1_47radix_sort_onesweep_sort_config_static_selectorELNS0_4arch9wavefront6targetE1EEEvSI_.has_dyn_sized_stack, 0
	.set _ZN7rocprim17ROCPRIM_400000_NS6detail17trampoline_kernelINS0_14default_configENS1_35radix_sort_onesweep_config_selectorIxxEEZZNS1_29radix_sort_onesweep_iterationIS3_Lb0EN6thrust23THRUST_200600_302600_NS6detail15normal_iteratorINS8_10device_ptrIxEEEESD_SD_SD_jNS0_19identity_decomposerENS1_16block_id_wrapperIjLb1EEEEE10hipError_tT1_PNSt15iterator_traitsISI_E10value_typeET2_T3_PNSJ_ISO_E10value_typeET4_T5_PST_SU_PNS1_23onesweep_lookback_stateEbbT6_jjT7_P12ihipStream_tbENKUlT_T0_SI_SN_E_clISD_SD_SD_SD_EEDaS11_S12_SI_SN_EUlS11_E_NS1_11comp_targetILNS1_3genE5ELNS1_11target_archE942ELNS1_3gpuE9ELNS1_3repE0EEENS1_47radix_sort_onesweep_sort_config_static_selectorELNS0_4arch9wavefront6targetE1EEEvSI_.has_recursion, 0
	.set _ZN7rocprim17ROCPRIM_400000_NS6detail17trampoline_kernelINS0_14default_configENS1_35radix_sort_onesweep_config_selectorIxxEEZZNS1_29radix_sort_onesweep_iterationIS3_Lb0EN6thrust23THRUST_200600_302600_NS6detail15normal_iteratorINS8_10device_ptrIxEEEESD_SD_SD_jNS0_19identity_decomposerENS1_16block_id_wrapperIjLb1EEEEE10hipError_tT1_PNSt15iterator_traitsISI_E10value_typeET2_T3_PNSJ_ISO_E10value_typeET4_T5_PST_SU_PNS1_23onesweep_lookback_stateEbbT6_jjT7_P12ihipStream_tbENKUlT_T0_SI_SN_E_clISD_SD_SD_SD_EEDaS11_S12_SI_SN_EUlS11_E_NS1_11comp_targetILNS1_3genE5ELNS1_11target_archE942ELNS1_3gpuE9ELNS1_3repE0EEENS1_47radix_sort_onesweep_sort_config_static_selectorELNS0_4arch9wavefront6targetE1EEEvSI_.has_indirect_call, 0
	.section	.AMDGPU.csdata,"",@progbits
; Kernel info:
; codeLenInByte = 0
; TotalNumSgprs: 6
; NumVgprs: 0
; NumAgprs: 0
; TotalNumVgprs: 0
; ScratchSize: 0
; MemoryBound: 0
; FloatMode: 240
; IeeeMode: 1
; LDSByteSize: 0 bytes/workgroup (compile time only)
; SGPRBlocks: 0
; VGPRBlocks: 0
; NumSGPRsForWavesPerEU: 6
; NumVGPRsForWavesPerEU: 1
; AccumOffset: 4
; Occupancy: 8
; WaveLimiterHint : 0
; COMPUTE_PGM_RSRC2:SCRATCH_EN: 0
; COMPUTE_PGM_RSRC2:USER_SGPR: 2
; COMPUTE_PGM_RSRC2:TRAP_HANDLER: 0
; COMPUTE_PGM_RSRC2:TGID_X_EN: 1
; COMPUTE_PGM_RSRC2:TGID_Y_EN: 0
; COMPUTE_PGM_RSRC2:TGID_Z_EN: 0
; COMPUTE_PGM_RSRC2:TIDIG_COMP_CNT: 0
; COMPUTE_PGM_RSRC3_GFX90A:ACCUM_OFFSET: 0
; COMPUTE_PGM_RSRC3_GFX90A:TG_SPLIT: 0
	.section	.text._ZN7rocprim17ROCPRIM_400000_NS6detail17trampoline_kernelINS0_14default_configENS1_35radix_sort_onesweep_config_selectorIxxEEZZNS1_29radix_sort_onesweep_iterationIS3_Lb0EN6thrust23THRUST_200600_302600_NS6detail15normal_iteratorINS8_10device_ptrIxEEEESD_SD_SD_jNS0_19identity_decomposerENS1_16block_id_wrapperIjLb1EEEEE10hipError_tT1_PNSt15iterator_traitsISI_E10value_typeET2_T3_PNSJ_ISO_E10value_typeET4_T5_PST_SU_PNS1_23onesweep_lookback_stateEbbT6_jjT7_P12ihipStream_tbENKUlT_T0_SI_SN_E_clISD_SD_SD_SD_EEDaS11_S12_SI_SN_EUlS11_E_NS1_11comp_targetILNS1_3genE2ELNS1_11target_archE906ELNS1_3gpuE6ELNS1_3repE0EEENS1_47radix_sort_onesweep_sort_config_static_selectorELNS0_4arch9wavefront6targetE1EEEvSI_,"axG",@progbits,_ZN7rocprim17ROCPRIM_400000_NS6detail17trampoline_kernelINS0_14default_configENS1_35radix_sort_onesweep_config_selectorIxxEEZZNS1_29radix_sort_onesweep_iterationIS3_Lb0EN6thrust23THRUST_200600_302600_NS6detail15normal_iteratorINS8_10device_ptrIxEEEESD_SD_SD_jNS0_19identity_decomposerENS1_16block_id_wrapperIjLb1EEEEE10hipError_tT1_PNSt15iterator_traitsISI_E10value_typeET2_T3_PNSJ_ISO_E10value_typeET4_T5_PST_SU_PNS1_23onesweep_lookback_stateEbbT6_jjT7_P12ihipStream_tbENKUlT_T0_SI_SN_E_clISD_SD_SD_SD_EEDaS11_S12_SI_SN_EUlS11_E_NS1_11comp_targetILNS1_3genE2ELNS1_11target_archE906ELNS1_3gpuE6ELNS1_3repE0EEENS1_47radix_sort_onesweep_sort_config_static_selectorELNS0_4arch9wavefront6targetE1EEEvSI_,comdat
	.protected	_ZN7rocprim17ROCPRIM_400000_NS6detail17trampoline_kernelINS0_14default_configENS1_35radix_sort_onesweep_config_selectorIxxEEZZNS1_29radix_sort_onesweep_iterationIS3_Lb0EN6thrust23THRUST_200600_302600_NS6detail15normal_iteratorINS8_10device_ptrIxEEEESD_SD_SD_jNS0_19identity_decomposerENS1_16block_id_wrapperIjLb1EEEEE10hipError_tT1_PNSt15iterator_traitsISI_E10value_typeET2_T3_PNSJ_ISO_E10value_typeET4_T5_PST_SU_PNS1_23onesweep_lookback_stateEbbT6_jjT7_P12ihipStream_tbENKUlT_T0_SI_SN_E_clISD_SD_SD_SD_EEDaS11_S12_SI_SN_EUlS11_E_NS1_11comp_targetILNS1_3genE2ELNS1_11target_archE906ELNS1_3gpuE6ELNS1_3repE0EEENS1_47radix_sort_onesweep_sort_config_static_selectorELNS0_4arch9wavefront6targetE1EEEvSI_ ; -- Begin function _ZN7rocprim17ROCPRIM_400000_NS6detail17trampoline_kernelINS0_14default_configENS1_35radix_sort_onesweep_config_selectorIxxEEZZNS1_29radix_sort_onesweep_iterationIS3_Lb0EN6thrust23THRUST_200600_302600_NS6detail15normal_iteratorINS8_10device_ptrIxEEEESD_SD_SD_jNS0_19identity_decomposerENS1_16block_id_wrapperIjLb1EEEEE10hipError_tT1_PNSt15iterator_traitsISI_E10value_typeET2_T3_PNSJ_ISO_E10value_typeET4_T5_PST_SU_PNS1_23onesweep_lookback_stateEbbT6_jjT7_P12ihipStream_tbENKUlT_T0_SI_SN_E_clISD_SD_SD_SD_EEDaS11_S12_SI_SN_EUlS11_E_NS1_11comp_targetILNS1_3genE2ELNS1_11target_archE906ELNS1_3gpuE6ELNS1_3repE0EEENS1_47radix_sort_onesweep_sort_config_static_selectorELNS0_4arch9wavefront6targetE1EEEvSI_
	.globl	_ZN7rocprim17ROCPRIM_400000_NS6detail17trampoline_kernelINS0_14default_configENS1_35radix_sort_onesweep_config_selectorIxxEEZZNS1_29radix_sort_onesweep_iterationIS3_Lb0EN6thrust23THRUST_200600_302600_NS6detail15normal_iteratorINS8_10device_ptrIxEEEESD_SD_SD_jNS0_19identity_decomposerENS1_16block_id_wrapperIjLb1EEEEE10hipError_tT1_PNSt15iterator_traitsISI_E10value_typeET2_T3_PNSJ_ISO_E10value_typeET4_T5_PST_SU_PNS1_23onesweep_lookback_stateEbbT6_jjT7_P12ihipStream_tbENKUlT_T0_SI_SN_E_clISD_SD_SD_SD_EEDaS11_S12_SI_SN_EUlS11_E_NS1_11comp_targetILNS1_3genE2ELNS1_11target_archE906ELNS1_3gpuE6ELNS1_3repE0EEENS1_47radix_sort_onesweep_sort_config_static_selectorELNS0_4arch9wavefront6targetE1EEEvSI_
	.p2align	8
	.type	_ZN7rocprim17ROCPRIM_400000_NS6detail17trampoline_kernelINS0_14default_configENS1_35radix_sort_onesweep_config_selectorIxxEEZZNS1_29radix_sort_onesweep_iterationIS3_Lb0EN6thrust23THRUST_200600_302600_NS6detail15normal_iteratorINS8_10device_ptrIxEEEESD_SD_SD_jNS0_19identity_decomposerENS1_16block_id_wrapperIjLb1EEEEE10hipError_tT1_PNSt15iterator_traitsISI_E10value_typeET2_T3_PNSJ_ISO_E10value_typeET4_T5_PST_SU_PNS1_23onesweep_lookback_stateEbbT6_jjT7_P12ihipStream_tbENKUlT_T0_SI_SN_E_clISD_SD_SD_SD_EEDaS11_S12_SI_SN_EUlS11_E_NS1_11comp_targetILNS1_3genE2ELNS1_11target_archE906ELNS1_3gpuE6ELNS1_3repE0EEENS1_47radix_sort_onesweep_sort_config_static_selectorELNS0_4arch9wavefront6targetE1EEEvSI_,@function
_ZN7rocprim17ROCPRIM_400000_NS6detail17trampoline_kernelINS0_14default_configENS1_35radix_sort_onesweep_config_selectorIxxEEZZNS1_29radix_sort_onesweep_iterationIS3_Lb0EN6thrust23THRUST_200600_302600_NS6detail15normal_iteratorINS8_10device_ptrIxEEEESD_SD_SD_jNS0_19identity_decomposerENS1_16block_id_wrapperIjLb1EEEEE10hipError_tT1_PNSt15iterator_traitsISI_E10value_typeET2_T3_PNSJ_ISO_E10value_typeET4_T5_PST_SU_PNS1_23onesweep_lookback_stateEbbT6_jjT7_P12ihipStream_tbENKUlT_T0_SI_SN_E_clISD_SD_SD_SD_EEDaS11_S12_SI_SN_EUlS11_E_NS1_11comp_targetILNS1_3genE2ELNS1_11target_archE906ELNS1_3gpuE6ELNS1_3repE0EEENS1_47radix_sort_onesweep_sort_config_static_selectorELNS0_4arch9wavefront6targetE1EEEvSI_: ; @_ZN7rocprim17ROCPRIM_400000_NS6detail17trampoline_kernelINS0_14default_configENS1_35radix_sort_onesweep_config_selectorIxxEEZZNS1_29radix_sort_onesweep_iterationIS3_Lb0EN6thrust23THRUST_200600_302600_NS6detail15normal_iteratorINS8_10device_ptrIxEEEESD_SD_SD_jNS0_19identity_decomposerENS1_16block_id_wrapperIjLb1EEEEE10hipError_tT1_PNSt15iterator_traitsISI_E10value_typeET2_T3_PNSJ_ISO_E10value_typeET4_T5_PST_SU_PNS1_23onesweep_lookback_stateEbbT6_jjT7_P12ihipStream_tbENKUlT_T0_SI_SN_E_clISD_SD_SD_SD_EEDaS11_S12_SI_SN_EUlS11_E_NS1_11comp_targetILNS1_3genE2ELNS1_11target_archE906ELNS1_3gpuE6ELNS1_3repE0EEENS1_47radix_sort_onesweep_sort_config_static_selectorELNS0_4arch9wavefront6targetE1EEEvSI_
; %bb.0:
	.section	.rodata,"a",@progbits
	.p2align	6, 0x0
	.amdhsa_kernel _ZN7rocprim17ROCPRIM_400000_NS6detail17trampoline_kernelINS0_14default_configENS1_35radix_sort_onesweep_config_selectorIxxEEZZNS1_29radix_sort_onesweep_iterationIS3_Lb0EN6thrust23THRUST_200600_302600_NS6detail15normal_iteratorINS8_10device_ptrIxEEEESD_SD_SD_jNS0_19identity_decomposerENS1_16block_id_wrapperIjLb1EEEEE10hipError_tT1_PNSt15iterator_traitsISI_E10value_typeET2_T3_PNSJ_ISO_E10value_typeET4_T5_PST_SU_PNS1_23onesweep_lookback_stateEbbT6_jjT7_P12ihipStream_tbENKUlT_T0_SI_SN_E_clISD_SD_SD_SD_EEDaS11_S12_SI_SN_EUlS11_E_NS1_11comp_targetILNS1_3genE2ELNS1_11target_archE906ELNS1_3gpuE6ELNS1_3repE0EEENS1_47radix_sort_onesweep_sort_config_static_selectorELNS0_4arch9wavefront6targetE1EEEvSI_
		.amdhsa_group_segment_fixed_size 0
		.amdhsa_private_segment_fixed_size 0
		.amdhsa_kernarg_size 88
		.amdhsa_user_sgpr_count 2
		.amdhsa_user_sgpr_dispatch_ptr 0
		.amdhsa_user_sgpr_queue_ptr 0
		.amdhsa_user_sgpr_kernarg_segment_ptr 1
		.amdhsa_user_sgpr_dispatch_id 0
		.amdhsa_user_sgpr_kernarg_preload_length 0
		.amdhsa_user_sgpr_kernarg_preload_offset 0
		.amdhsa_user_sgpr_private_segment_size 0
		.amdhsa_uses_dynamic_stack 0
		.amdhsa_enable_private_segment 0
		.amdhsa_system_sgpr_workgroup_id_x 1
		.amdhsa_system_sgpr_workgroup_id_y 0
		.amdhsa_system_sgpr_workgroup_id_z 0
		.amdhsa_system_sgpr_workgroup_info 0
		.amdhsa_system_vgpr_workitem_id 0
		.amdhsa_next_free_vgpr 1
		.amdhsa_next_free_sgpr 0
		.amdhsa_accum_offset 4
		.amdhsa_reserve_vcc 0
		.amdhsa_float_round_mode_32 0
		.amdhsa_float_round_mode_16_64 0
		.amdhsa_float_denorm_mode_32 3
		.amdhsa_float_denorm_mode_16_64 3
		.amdhsa_dx10_clamp 1
		.amdhsa_ieee_mode 1
		.amdhsa_fp16_overflow 0
		.amdhsa_tg_split 0
		.amdhsa_exception_fp_ieee_invalid_op 0
		.amdhsa_exception_fp_denorm_src 0
		.amdhsa_exception_fp_ieee_div_zero 0
		.amdhsa_exception_fp_ieee_overflow 0
		.amdhsa_exception_fp_ieee_underflow 0
		.amdhsa_exception_fp_ieee_inexact 0
		.amdhsa_exception_int_div_zero 0
	.end_amdhsa_kernel
	.section	.text._ZN7rocprim17ROCPRIM_400000_NS6detail17trampoline_kernelINS0_14default_configENS1_35radix_sort_onesweep_config_selectorIxxEEZZNS1_29radix_sort_onesweep_iterationIS3_Lb0EN6thrust23THRUST_200600_302600_NS6detail15normal_iteratorINS8_10device_ptrIxEEEESD_SD_SD_jNS0_19identity_decomposerENS1_16block_id_wrapperIjLb1EEEEE10hipError_tT1_PNSt15iterator_traitsISI_E10value_typeET2_T3_PNSJ_ISO_E10value_typeET4_T5_PST_SU_PNS1_23onesweep_lookback_stateEbbT6_jjT7_P12ihipStream_tbENKUlT_T0_SI_SN_E_clISD_SD_SD_SD_EEDaS11_S12_SI_SN_EUlS11_E_NS1_11comp_targetILNS1_3genE2ELNS1_11target_archE906ELNS1_3gpuE6ELNS1_3repE0EEENS1_47radix_sort_onesweep_sort_config_static_selectorELNS0_4arch9wavefront6targetE1EEEvSI_,"axG",@progbits,_ZN7rocprim17ROCPRIM_400000_NS6detail17trampoline_kernelINS0_14default_configENS1_35radix_sort_onesweep_config_selectorIxxEEZZNS1_29radix_sort_onesweep_iterationIS3_Lb0EN6thrust23THRUST_200600_302600_NS6detail15normal_iteratorINS8_10device_ptrIxEEEESD_SD_SD_jNS0_19identity_decomposerENS1_16block_id_wrapperIjLb1EEEEE10hipError_tT1_PNSt15iterator_traitsISI_E10value_typeET2_T3_PNSJ_ISO_E10value_typeET4_T5_PST_SU_PNS1_23onesweep_lookback_stateEbbT6_jjT7_P12ihipStream_tbENKUlT_T0_SI_SN_E_clISD_SD_SD_SD_EEDaS11_S12_SI_SN_EUlS11_E_NS1_11comp_targetILNS1_3genE2ELNS1_11target_archE906ELNS1_3gpuE6ELNS1_3repE0EEENS1_47radix_sort_onesweep_sort_config_static_selectorELNS0_4arch9wavefront6targetE1EEEvSI_,comdat
.Lfunc_end1200:
	.size	_ZN7rocprim17ROCPRIM_400000_NS6detail17trampoline_kernelINS0_14default_configENS1_35radix_sort_onesweep_config_selectorIxxEEZZNS1_29radix_sort_onesweep_iterationIS3_Lb0EN6thrust23THRUST_200600_302600_NS6detail15normal_iteratorINS8_10device_ptrIxEEEESD_SD_SD_jNS0_19identity_decomposerENS1_16block_id_wrapperIjLb1EEEEE10hipError_tT1_PNSt15iterator_traitsISI_E10value_typeET2_T3_PNSJ_ISO_E10value_typeET4_T5_PST_SU_PNS1_23onesweep_lookback_stateEbbT6_jjT7_P12ihipStream_tbENKUlT_T0_SI_SN_E_clISD_SD_SD_SD_EEDaS11_S12_SI_SN_EUlS11_E_NS1_11comp_targetILNS1_3genE2ELNS1_11target_archE906ELNS1_3gpuE6ELNS1_3repE0EEENS1_47radix_sort_onesweep_sort_config_static_selectorELNS0_4arch9wavefront6targetE1EEEvSI_, .Lfunc_end1200-_ZN7rocprim17ROCPRIM_400000_NS6detail17trampoline_kernelINS0_14default_configENS1_35radix_sort_onesweep_config_selectorIxxEEZZNS1_29radix_sort_onesweep_iterationIS3_Lb0EN6thrust23THRUST_200600_302600_NS6detail15normal_iteratorINS8_10device_ptrIxEEEESD_SD_SD_jNS0_19identity_decomposerENS1_16block_id_wrapperIjLb1EEEEE10hipError_tT1_PNSt15iterator_traitsISI_E10value_typeET2_T3_PNSJ_ISO_E10value_typeET4_T5_PST_SU_PNS1_23onesweep_lookback_stateEbbT6_jjT7_P12ihipStream_tbENKUlT_T0_SI_SN_E_clISD_SD_SD_SD_EEDaS11_S12_SI_SN_EUlS11_E_NS1_11comp_targetILNS1_3genE2ELNS1_11target_archE906ELNS1_3gpuE6ELNS1_3repE0EEENS1_47radix_sort_onesweep_sort_config_static_selectorELNS0_4arch9wavefront6targetE1EEEvSI_
                                        ; -- End function
	.set _ZN7rocprim17ROCPRIM_400000_NS6detail17trampoline_kernelINS0_14default_configENS1_35radix_sort_onesweep_config_selectorIxxEEZZNS1_29radix_sort_onesweep_iterationIS3_Lb0EN6thrust23THRUST_200600_302600_NS6detail15normal_iteratorINS8_10device_ptrIxEEEESD_SD_SD_jNS0_19identity_decomposerENS1_16block_id_wrapperIjLb1EEEEE10hipError_tT1_PNSt15iterator_traitsISI_E10value_typeET2_T3_PNSJ_ISO_E10value_typeET4_T5_PST_SU_PNS1_23onesweep_lookback_stateEbbT6_jjT7_P12ihipStream_tbENKUlT_T0_SI_SN_E_clISD_SD_SD_SD_EEDaS11_S12_SI_SN_EUlS11_E_NS1_11comp_targetILNS1_3genE2ELNS1_11target_archE906ELNS1_3gpuE6ELNS1_3repE0EEENS1_47radix_sort_onesweep_sort_config_static_selectorELNS0_4arch9wavefront6targetE1EEEvSI_.num_vgpr, 0
	.set _ZN7rocprim17ROCPRIM_400000_NS6detail17trampoline_kernelINS0_14default_configENS1_35radix_sort_onesweep_config_selectorIxxEEZZNS1_29radix_sort_onesweep_iterationIS3_Lb0EN6thrust23THRUST_200600_302600_NS6detail15normal_iteratorINS8_10device_ptrIxEEEESD_SD_SD_jNS0_19identity_decomposerENS1_16block_id_wrapperIjLb1EEEEE10hipError_tT1_PNSt15iterator_traitsISI_E10value_typeET2_T3_PNSJ_ISO_E10value_typeET4_T5_PST_SU_PNS1_23onesweep_lookback_stateEbbT6_jjT7_P12ihipStream_tbENKUlT_T0_SI_SN_E_clISD_SD_SD_SD_EEDaS11_S12_SI_SN_EUlS11_E_NS1_11comp_targetILNS1_3genE2ELNS1_11target_archE906ELNS1_3gpuE6ELNS1_3repE0EEENS1_47radix_sort_onesweep_sort_config_static_selectorELNS0_4arch9wavefront6targetE1EEEvSI_.num_agpr, 0
	.set _ZN7rocprim17ROCPRIM_400000_NS6detail17trampoline_kernelINS0_14default_configENS1_35radix_sort_onesweep_config_selectorIxxEEZZNS1_29radix_sort_onesweep_iterationIS3_Lb0EN6thrust23THRUST_200600_302600_NS6detail15normal_iteratorINS8_10device_ptrIxEEEESD_SD_SD_jNS0_19identity_decomposerENS1_16block_id_wrapperIjLb1EEEEE10hipError_tT1_PNSt15iterator_traitsISI_E10value_typeET2_T3_PNSJ_ISO_E10value_typeET4_T5_PST_SU_PNS1_23onesweep_lookback_stateEbbT6_jjT7_P12ihipStream_tbENKUlT_T0_SI_SN_E_clISD_SD_SD_SD_EEDaS11_S12_SI_SN_EUlS11_E_NS1_11comp_targetILNS1_3genE2ELNS1_11target_archE906ELNS1_3gpuE6ELNS1_3repE0EEENS1_47radix_sort_onesweep_sort_config_static_selectorELNS0_4arch9wavefront6targetE1EEEvSI_.numbered_sgpr, 0
	.set _ZN7rocprim17ROCPRIM_400000_NS6detail17trampoline_kernelINS0_14default_configENS1_35radix_sort_onesweep_config_selectorIxxEEZZNS1_29radix_sort_onesweep_iterationIS3_Lb0EN6thrust23THRUST_200600_302600_NS6detail15normal_iteratorINS8_10device_ptrIxEEEESD_SD_SD_jNS0_19identity_decomposerENS1_16block_id_wrapperIjLb1EEEEE10hipError_tT1_PNSt15iterator_traitsISI_E10value_typeET2_T3_PNSJ_ISO_E10value_typeET4_T5_PST_SU_PNS1_23onesweep_lookback_stateEbbT6_jjT7_P12ihipStream_tbENKUlT_T0_SI_SN_E_clISD_SD_SD_SD_EEDaS11_S12_SI_SN_EUlS11_E_NS1_11comp_targetILNS1_3genE2ELNS1_11target_archE906ELNS1_3gpuE6ELNS1_3repE0EEENS1_47radix_sort_onesweep_sort_config_static_selectorELNS0_4arch9wavefront6targetE1EEEvSI_.num_named_barrier, 0
	.set _ZN7rocprim17ROCPRIM_400000_NS6detail17trampoline_kernelINS0_14default_configENS1_35radix_sort_onesweep_config_selectorIxxEEZZNS1_29radix_sort_onesweep_iterationIS3_Lb0EN6thrust23THRUST_200600_302600_NS6detail15normal_iteratorINS8_10device_ptrIxEEEESD_SD_SD_jNS0_19identity_decomposerENS1_16block_id_wrapperIjLb1EEEEE10hipError_tT1_PNSt15iterator_traitsISI_E10value_typeET2_T3_PNSJ_ISO_E10value_typeET4_T5_PST_SU_PNS1_23onesweep_lookback_stateEbbT6_jjT7_P12ihipStream_tbENKUlT_T0_SI_SN_E_clISD_SD_SD_SD_EEDaS11_S12_SI_SN_EUlS11_E_NS1_11comp_targetILNS1_3genE2ELNS1_11target_archE906ELNS1_3gpuE6ELNS1_3repE0EEENS1_47radix_sort_onesweep_sort_config_static_selectorELNS0_4arch9wavefront6targetE1EEEvSI_.private_seg_size, 0
	.set _ZN7rocprim17ROCPRIM_400000_NS6detail17trampoline_kernelINS0_14default_configENS1_35radix_sort_onesweep_config_selectorIxxEEZZNS1_29radix_sort_onesweep_iterationIS3_Lb0EN6thrust23THRUST_200600_302600_NS6detail15normal_iteratorINS8_10device_ptrIxEEEESD_SD_SD_jNS0_19identity_decomposerENS1_16block_id_wrapperIjLb1EEEEE10hipError_tT1_PNSt15iterator_traitsISI_E10value_typeET2_T3_PNSJ_ISO_E10value_typeET4_T5_PST_SU_PNS1_23onesweep_lookback_stateEbbT6_jjT7_P12ihipStream_tbENKUlT_T0_SI_SN_E_clISD_SD_SD_SD_EEDaS11_S12_SI_SN_EUlS11_E_NS1_11comp_targetILNS1_3genE2ELNS1_11target_archE906ELNS1_3gpuE6ELNS1_3repE0EEENS1_47radix_sort_onesweep_sort_config_static_selectorELNS0_4arch9wavefront6targetE1EEEvSI_.uses_vcc, 0
	.set _ZN7rocprim17ROCPRIM_400000_NS6detail17trampoline_kernelINS0_14default_configENS1_35radix_sort_onesweep_config_selectorIxxEEZZNS1_29radix_sort_onesweep_iterationIS3_Lb0EN6thrust23THRUST_200600_302600_NS6detail15normal_iteratorINS8_10device_ptrIxEEEESD_SD_SD_jNS0_19identity_decomposerENS1_16block_id_wrapperIjLb1EEEEE10hipError_tT1_PNSt15iterator_traitsISI_E10value_typeET2_T3_PNSJ_ISO_E10value_typeET4_T5_PST_SU_PNS1_23onesweep_lookback_stateEbbT6_jjT7_P12ihipStream_tbENKUlT_T0_SI_SN_E_clISD_SD_SD_SD_EEDaS11_S12_SI_SN_EUlS11_E_NS1_11comp_targetILNS1_3genE2ELNS1_11target_archE906ELNS1_3gpuE6ELNS1_3repE0EEENS1_47radix_sort_onesweep_sort_config_static_selectorELNS0_4arch9wavefront6targetE1EEEvSI_.uses_flat_scratch, 0
	.set _ZN7rocprim17ROCPRIM_400000_NS6detail17trampoline_kernelINS0_14default_configENS1_35radix_sort_onesweep_config_selectorIxxEEZZNS1_29radix_sort_onesweep_iterationIS3_Lb0EN6thrust23THRUST_200600_302600_NS6detail15normal_iteratorINS8_10device_ptrIxEEEESD_SD_SD_jNS0_19identity_decomposerENS1_16block_id_wrapperIjLb1EEEEE10hipError_tT1_PNSt15iterator_traitsISI_E10value_typeET2_T3_PNSJ_ISO_E10value_typeET4_T5_PST_SU_PNS1_23onesweep_lookback_stateEbbT6_jjT7_P12ihipStream_tbENKUlT_T0_SI_SN_E_clISD_SD_SD_SD_EEDaS11_S12_SI_SN_EUlS11_E_NS1_11comp_targetILNS1_3genE2ELNS1_11target_archE906ELNS1_3gpuE6ELNS1_3repE0EEENS1_47radix_sort_onesweep_sort_config_static_selectorELNS0_4arch9wavefront6targetE1EEEvSI_.has_dyn_sized_stack, 0
	.set _ZN7rocprim17ROCPRIM_400000_NS6detail17trampoline_kernelINS0_14default_configENS1_35radix_sort_onesweep_config_selectorIxxEEZZNS1_29radix_sort_onesweep_iterationIS3_Lb0EN6thrust23THRUST_200600_302600_NS6detail15normal_iteratorINS8_10device_ptrIxEEEESD_SD_SD_jNS0_19identity_decomposerENS1_16block_id_wrapperIjLb1EEEEE10hipError_tT1_PNSt15iterator_traitsISI_E10value_typeET2_T3_PNSJ_ISO_E10value_typeET4_T5_PST_SU_PNS1_23onesweep_lookback_stateEbbT6_jjT7_P12ihipStream_tbENKUlT_T0_SI_SN_E_clISD_SD_SD_SD_EEDaS11_S12_SI_SN_EUlS11_E_NS1_11comp_targetILNS1_3genE2ELNS1_11target_archE906ELNS1_3gpuE6ELNS1_3repE0EEENS1_47radix_sort_onesweep_sort_config_static_selectorELNS0_4arch9wavefront6targetE1EEEvSI_.has_recursion, 0
	.set _ZN7rocprim17ROCPRIM_400000_NS6detail17trampoline_kernelINS0_14default_configENS1_35radix_sort_onesweep_config_selectorIxxEEZZNS1_29radix_sort_onesweep_iterationIS3_Lb0EN6thrust23THRUST_200600_302600_NS6detail15normal_iteratorINS8_10device_ptrIxEEEESD_SD_SD_jNS0_19identity_decomposerENS1_16block_id_wrapperIjLb1EEEEE10hipError_tT1_PNSt15iterator_traitsISI_E10value_typeET2_T3_PNSJ_ISO_E10value_typeET4_T5_PST_SU_PNS1_23onesweep_lookback_stateEbbT6_jjT7_P12ihipStream_tbENKUlT_T0_SI_SN_E_clISD_SD_SD_SD_EEDaS11_S12_SI_SN_EUlS11_E_NS1_11comp_targetILNS1_3genE2ELNS1_11target_archE906ELNS1_3gpuE6ELNS1_3repE0EEENS1_47radix_sort_onesweep_sort_config_static_selectorELNS0_4arch9wavefront6targetE1EEEvSI_.has_indirect_call, 0
	.section	.AMDGPU.csdata,"",@progbits
; Kernel info:
; codeLenInByte = 0
; TotalNumSgprs: 6
; NumVgprs: 0
; NumAgprs: 0
; TotalNumVgprs: 0
; ScratchSize: 0
; MemoryBound: 0
; FloatMode: 240
; IeeeMode: 1
; LDSByteSize: 0 bytes/workgroup (compile time only)
; SGPRBlocks: 0
; VGPRBlocks: 0
; NumSGPRsForWavesPerEU: 6
; NumVGPRsForWavesPerEU: 1
; AccumOffset: 4
; Occupancy: 8
; WaveLimiterHint : 0
; COMPUTE_PGM_RSRC2:SCRATCH_EN: 0
; COMPUTE_PGM_RSRC2:USER_SGPR: 2
; COMPUTE_PGM_RSRC2:TRAP_HANDLER: 0
; COMPUTE_PGM_RSRC2:TGID_X_EN: 1
; COMPUTE_PGM_RSRC2:TGID_Y_EN: 0
; COMPUTE_PGM_RSRC2:TGID_Z_EN: 0
; COMPUTE_PGM_RSRC2:TIDIG_COMP_CNT: 0
; COMPUTE_PGM_RSRC3_GFX90A:ACCUM_OFFSET: 0
; COMPUTE_PGM_RSRC3_GFX90A:TG_SPLIT: 0
	.section	.text._ZN7rocprim17ROCPRIM_400000_NS6detail17trampoline_kernelINS0_14default_configENS1_35radix_sort_onesweep_config_selectorIxxEEZZNS1_29radix_sort_onesweep_iterationIS3_Lb0EN6thrust23THRUST_200600_302600_NS6detail15normal_iteratorINS8_10device_ptrIxEEEESD_SD_SD_jNS0_19identity_decomposerENS1_16block_id_wrapperIjLb1EEEEE10hipError_tT1_PNSt15iterator_traitsISI_E10value_typeET2_T3_PNSJ_ISO_E10value_typeET4_T5_PST_SU_PNS1_23onesweep_lookback_stateEbbT6_jjT7_P12ihipStream_tbENKUlT_T0_SI_SN_E_clISD_SD_SD_SD_EEDaS11_S12_SI_SN_EUlS11_E_NS1_11comp_targetILNS1_3genE4ELNS1_11target_archE910ELNS1_3gpuE8ELNS1_3repE0EEENS1_47radix_sort_onesweep_sort_config_static_selectorELNS0_4arch9wavefront6targetE1EEEvSI_,"axG",@progbits,_ZN7rocprim17ROCPRIM_400000_NS6detail17trampoline_kernelINS0_14default_configENS1_35radix_sort_onesweep_config_selectorIxxEEZZNS1_29radix_sort_onesweep_iterationIS3_Lb0EN6thrust23THRUST_200600_302600_NS6detail15normal_iteratorINS8_10device_ptrIxEEEESD_SD_SD_jNS0_19identity_decomposerENS1_16block_id_wrapperIjLb1EEEEE10hipError_tT1_PNSt15iterator_traitsISI_E10value_typeET2_T3_PNSJ_ISO_E10value_typeET4_T5_PST_SU_PNS1_23onesweep_lookback_stateEbbT6_jjT7_P12ihipStream_tbENKUlT_T0_SI_SN_E_clISD_SD_SD_SD_EEDaS11_S12_SI_SN_EUlS11_E_NS1_11comp_targetILNS1_3genE4ELNS1_11target_archE910ELNS1_3gpuE8ELNS1_3repE0EEENS1_47radix_sort_onesweep_sort_config_static_selectorELNS0_4arch9wavefront6targetE1EEEvSI_,comdat
	.protected	_ZN7rocprim17ROCPRIM_400000_NS6detail17trampoline_kernelINS0_14default_configENS1_35radix_sort_onesweep_config_selectorIxxEEZZNS1_29radix_sort_onesweep_iterationIS3_Lb0EN6thrust23THRUST_200600_302600_NS6detail15normal_iteratorINS8_10device_ptrIxEEEESD_SD_SD_jNS0_19identity_decomposerENS1_16block_id_wrapperIjLb1EEEEE10hipError_tT1_PNSt15iterator_traitsISI_E10value_typeET2_T3_PNSJ_ISO_E10value_typeET4_T5_PST_SU_PNS1_23onesweep_lookback_stateEbbT6_jjT7_P12ihipStream_tbENKUlT_T0_SI_SN_E_clISD_SD_SD_SD_EEDaS11_S12_SI_SN_EUlS11_E_NS1_11comp_targetILNS1_3genE4ELNS1_11target_archE910ELNS1_3gpuE8ELNS1_3repE0EEENS1_47radix_sort_onesweep_sort_config_static_selectorELNS0_4arch9wavefront6targetE1EEEvSI_ ; -- Begin function _ZN7rocprim17ROCPRIM_400000_NS6detail17trampoline_kernelINS0_14default_configENS1_35radix_sort_onesweep_config_selectorIxxEEZZNS1_29radix_sort_onesweep_iterationIS3_Lb0EN6thrust23THRUST_200600_302600_NS6detail15normal_iteratorINS8_10device_ptrIxEEEESD_SD_SD_jNS0_19identity_decomposerENS1_16block_id_wrapperIjLb1EEEEE10hipError_tT1_PNSt15iterator_traitsISI_E10value_typeET2_T3_PNSJ_ISO_E10value_typeET4_T5_PST_SU_PNS1_23onesweep_lookback_stateEbbT6_jjT7_P12ihipStream_tbENKUlT_T0_SI_SN_E_clISD_SD_SD_SD_EEDaS11_S12_SI_SN_EUlS11_E_NS1_11comp_targetILNS1_3genE4ELNS1_11target_archE910ELNS1_3gpuE8ELNS1_3repE0EEENS1_47radix_sort_onesweep_sort_config_static_selectorELNS0_4arch9wavefront6targetE1EEEvSI_
	.globl	_ZN7rocprim17ROCPRIM_400000_NS6detail17trampoline_kernelINS0_14default_configENS1_35radix_sort_onesweep_config_selectorIxxEEZZNS1_29radix_sort_onesweep_iterationIS3_Lb0EN6thrust23THRUST_200600_302600_NS6detail15normal_iteratorINS8_10device_ptrIxEEEESD_SD_SD_jNS0_19identity_decomposerENS1_16block_id_wrapperIjLb1EEEEE10hipError_tT1_PNSt15iterator_traitsISI_E10value_typeET2_T3_PNSJ_ISO_E10value_typeET4_T5_PST_SU_PNS1_23onesweep_lookback_stateEbbT6_jjT7_P12ihipStream_tbENKUlT_T0_SI_SN_E_clISD_SD_SD_SD_EEDaS11_S12_SI_SN_EUlS11_E_NS1_11comp_targetILNS1_3genE4ELNS1_11target_archE910ELNS1_3gpuE8ELNS1_3repE0EEENS1_47radix_sort_onesweep_sort_config_static_selectorELNS0_4arch9wavefront6targetE1EEEvSI_
	.p2align	8
	.type	_ZN7rocprim17ROCPRIM_400000_NS6detail17trampoline_kernelINS0_14default_configENS1_35radix_sort_onesweep_config_selectorIxxEEZZNS1_29radix_sort_onesweep_iterationIS3_Lb0EN6thrust23THRUST_200600_302600_NS6detail15normal_iteratorINS8_10device_ptrIxEEEESD_SD_SD_jNS0_19identity_decomposerENS1_16block_id_wrapperIjLb1EEEEE10hipError_tT1_PNSt15iterator_traitsISI_E10value_typeET2_T3_PNSJ_ISO_E10value_typeET4_T5_PST_SU_PNS1_23onesweep_lookback_stateEbbT6_jjT7_P12ihipStream_tbENKUlT_T0_SI_SN_E_clISD_SD_SD_SD_EEDaS11_S12_SI_SN_EUlS11_E_NS1_11comp_targetILNS1_3genE4ELNS1_11target_archE910ELNS1_3gpuE8ELNS1_3repE0EEENS1_47radix_sort_onesweep_sort_config_static_selectorELNS0_4arch9wavefront6targetE1EEEvSI_,@function
_ZN7rocprim17ROCPRIM_400000_NS6detail17trampoline_kernelINS0_14default_configENS1_35radix_sort_onesweep_config_selectorIxxEEZZNS1_29radix_sort_onesweep_iterationIS3_Lb0EN6thrust23THRUST_200600_302600_NS6detail15normal_iteratorINS8_10device_ptrIxEEEESD_SD_SD_jNS0_19identity_decomposerENS1_16block_id_wrapperIjLb1EEEEE10hipError_tT1_PNSt15iterator_traitsISI_E10value_typeET2_T3_PNSJ_ISO_E10value_typeET4_T5_PST_SU_PNS1_23onesweep_lookback_stateEbbT6_jjT7_P12ihipStream_tbENKUlT_T0_SI_SN_E_clISD_SD_SD_SD_EEDaS11_S12_SI_SN_EUlS11_E_NS1_11comp_targetILNS1_3genE4ELNS1_11target_archE910ELNS1_3gpuE8ELNS1_3repE0EEENS1_47radix_sort_onesweep_sort_config_static_selectorELNS0_4arch9wavefront6targetE1EEEvSI_: ; @_ZN7rocprim17ROCPRIM_400000_NS6detail17trampoline_kernelINS0_14default_configENS1_35radix_sort_onesweep_config_selectorIxxEEZZNS1_29radix_sort_onesweep_iterationIS3_Lb0EN6thrust23THRUST_200600_302600_NS6detail15normal_iteratorINS8_10device_ptrIxEEEESD_SD_SD_jNS0_19identity_decomposerENS1_16block_id_wrapperIjLb1EEEEE10hipError_tT1_PNSt15iterator_traitsISI_E10value_typeET2_T3_PNSJ_ISO_E10value_typeET4_T5_PST_SU_PNS1_23onesweep_lookback_stateEbbT6_jjT7_P12ihipStream_tbENKUlT_T0_SI_SN_E_clISD_SD_SD_SD_EEDaS11_S12_SI_SN_EUlS11_E_NS1_11comp_targetILNS1_3genE4ELNS1_11target_archE910ELNS1_3gpuE8ELNS1_3repE0EEENS1_47radix_sort_onesweep_sort_config_static_selectorELNS0_4arch9wavefront6targetE1EEEvSI_
; %bb.0:
	.section	.rodata,"a",@progbits
	.p2align	6, 0x0
	.amdhsa_kernel _ZN7rocprim17ROCPRIM_400000_NS6detail17trampoline_kernelINS0_14default_configENS1_35radix_sort_onesweep_config_selectorIxxEEZZNS1_29radix_sort_onesweep_iterationIS3_Lb0EN6thrust23THRUST_200600_302600_NS6detail15normal_iteratorINS8_10device_ptrIxEEEESD_SD_SD_jNS0_19identity_decomposerENS1_16block_id_wrapperIjLb1EEEEE10hipError_tT1_PNSt15iterator_traitsISI_E10value_typeET2_T3_PNSJ_ISO_E10value_typeET4_T5_PST_SU_PNS1_23onesweep_lookback_stateEbbT6_jjT7_P12ihipStream_tbENKUlT_T0_SI_SN_E_clISD_SD_SD_SD_EEDaS11_S12_SI_SN_EUlS11_E_NS1_11comp_targetILNS1_3genE4ELNS1_11target_archE910ELNS1_3gpuE8ELNS1_3repE0EEENS1_47radix_sort_onesweep_sort_config_static_selectorELNS0_4arch9wavefront6targetE1EEEvSI_
		.amdhsa_group_segment_fixed_size 0
		.amdhsa_private_segment_fixed_size 0
		.amdhsa_kernarg_size 88
		.amdhsa_user_sgpr_count 2
		.amdhsa_user_sgpr_dispatch_ptr 0
		.amdhsa_user_sgpr_queue_ptr 0
		.amdhsa_user_sgpr_kernarg_segment_ptr 1
		.amdhsa_user_sgpr_dispatch_id 0
		.amdhsa_user_sgpr_kernarg_preload_length 0
		.amdhsa_user_sgpr_kernarg_preload_offset 0
		.amdhsa_user_sgpr_private_segment_size 0
		.amdhsa_uses_dynamic_stack 0
		.amdhsa_enable_private_segment 0
		.amdhsa_system_sgpr_workgroup_id_x 1
		.amdhsa_system_sgpr_workgroup_id_y 0
		.amdhsa_system_sgpr_workgroup_id_z 0
		.amdhsa_system_sgpr_workgroup_info 0
		.amdhsa_system_vgpr_workitem_id 0
		.amdhsa_next_free_vgpr 1
		.amdhsa_next_free_sgpr 0
		.amdhsa_accum_offset 4
		.amdhsa_reserve_vcc 0
		.amdhsa_float_round_mode_32 0
		.amdhsa_float_round_mode_16_64 0
		.amdhsa_float_denorm_mode_32 3
		.amdhsa_float_denorm_mode_16_64 3
		.amdhsa_dx10_clamp 1
		.amdhsa_ieee_mode 1
		.amdhsa_fp16_overflow 0
		.amdhsa_tg_split 0
		.amdhsa_exception_fp_ieee_invalid_op 0
		.amdhsa_exception_fp_denorm_src 0
		.amdhsa_exception_fp_ieee_div_zero 0
		.amdhsa_exception_fp_ieee_overflow 0
		.amdhsa_exception_fp_ieee_underflow 0
		.amdhsa_exception_fp_ieee_inexact 0
		.amdhsa_exception_int_div_zero 0
	.end_amdhsa_kernel
	.section	.text._ZN7rocprim17ROCPRIM_400000_NS6detail17trampoline_kernelINS0_14default_configENS1_35radix_sort_onesweep_config_selectorIxxEEZZNS1_29radix_sort_onesweep_iterationIS3_Lb0EN6thrust23THRUST_200600_302600_NS6detail15normal_iteratorINS8_10device_ptrIxEEEESD_SD_SD_jNS0_19identity_decomposerENS1_16block_id_wrapperIjLb1EEEEE10hipError_tT1_PNSt15iterator_traitsISI_E10value_typeET2_T3_PNSJ_ISO_E10value_typeET4_T5_PST_SU_PNS1_23onesweep_lookback_stateEbbT6_jjT7_P12ihipStream_tbENKUlT_T0_SI_SN_E_clISD_SD_SD_SD_EEDaS11_S12_SI_SN_EUlS11_E_NS1_11comp_targetILNS1_3genE4ELNS1_11target_archE910ELNS1_3gpuE8ELNS1_3repE0EEENS1_47radix_sort_onesweep_sort_config_static_selectorELNS0_4arch9wavefront6targetE1EEEvSI_,"axG",@progbits,_ZN7rocprim17ROCPRIM_400000_NS6detail17trampoline_kernelINS0_14default_configENS1_35radix_sort_onesweep_config_selectorIxxEEZZNS1_29radix_sort_onesweep_iterationIS3_Lb0EN6thrust23THRUST_200600_302600_NS6detail15normal_iteratorINS8_10device_ptrIxEEEESD_SD_SD_jNS0_19identity_decomposerENS1_16block_id_wrapperIjLb1EEEEE10hipError_tT1_PNSt15iterator_traitsISI_E10value_typeET2_T3_PNSJ_ISO_E10value_typeET4_T5_PST_SU_PNS1_23onesweep_lookback_stateEbbT6_jjT7_P12ihipStream_tbENKUlT_T0_SI_SN_E_clISD_SD_SD_SD_EEDaS11_S12_SI_SN_EUlS11_E_NS1_11comp_targetILNS1_3genE4ELNS1_11target_archE910ELNS1_3gpuE8ELNS1_3repE0EEENS1_47radix_sort_onesweep_sort_config_static_selectorELNS0_4arch9wavefront6targetE1EEEvSI_,comdat
.Lfunc_end1201:
	.size	_ZN7rocprim17ROCPRIM_400000_NS6detail17trampoline_kernelINS0_14default_configENS1_35radix_sort_onesweep_config_selectorIxxEEZZNS1_29radix_sort_onesweep_iterationIS3_Lb0EN6thrust23THRUST_200600_302600_NS6detail15normal_iteratorINS8_10device_ptrIxEEEESD_SD_SD_jNS0_19identity_decomposerENS1_16block_id_wrapperIjLb1EEEEE10hipError_tT1_PNSt15iterator_traitsISI_E10value_typeET2_T3_PNSJ_ISO_E10value_typeET4_T5_PST_SU_PNS1_23onesweep_lookback_stateEbbT6_jjT7_P12ihipStream_tbENKUlT_T0_SI_SN_E_clISD_SD_SD_SD_EEDaS11_S12_SI_SN_EUlS11_E_NS1_11comp_targetILNS1_3genE4ELNS1_11target_archE910ELNS1_3gpuE8ELNS1_3repE0EEENS1_47radix_sort_onesweep_sort_config_static_selectorELNS0_4arch9wavefront6targetE1EEEvSI_, .Lfunc_end1201-_ZN7rocprim17ROCPRIM_400000_NS6detail17trampoline_kernelINS0_14default_configENS1_35radix_sort_onesweep_config_selectorIxxEEZZNS1_29radix_sort_onesweep_iterationIS3_Lb0EN6thrust23THRUST_200600_302600_NS6detail15normal_iteratorINS8_10device_ptrIxEEEESD_SD_SD_jNS0_19identity_decomposerENS1_16block_id_wrapperIjLb1EEEEE10hipError_tT1_PNSt15iterator_traitsISI_E10value_typeET2_T3_PNSJ_ISO_E10value_typeET4_T5_PST_SU_PNS1_23onesweep_lookback_stateEbbT6_jjT7_P12ihipStream_tbENKUlT_T0_SI_SN_E_clISD_SD_SD_SD_EEDaS11_S12_SI_SN_EUlS11_E_NS1_11comp_targetILNS1_3genE4ELNS1_11target_archE910ELNS1_3gpuE8ELNS1_3repE0EEENS1_47radix_sort_onesweep_sort_config_static_selectorELNS0_4arch9wavefront6targetE1EEEvSI_
                                        ; -- End function
	.set _ZN7rocprim17ROCPRIM_400000_NS6detail17trampoline_kernelINS0_14default_configENS1_35radix_sort_onesweep_config_selectorIxxEEZZNS1_29radix_sort_onesweep_iterationIS3_Lb0EN6thrust23THRUST_200600_302600_NS6detail15normal_iteratorINS8_10device_ptrIxEEEESD_SD_SD_jNS0_19identity_decomposerENS1_16block_id_wrapperIjLb1EEEEE10hipError_tT1_PNSt15iterator_traitsISI_E10value_typeET2_T3_PNSJ_ISO_E10value_typeET4_T5_PST_SU_PNS1_23onesweep_lookback_stateEbbT6_jjT7_P12ihipStream_tbENKUlT_T0_SI_SN_E_clISD_SD_SD_SD_EEDaS11_S12_SI_SN_EUlS11_E_NS1_11comp_targetILNS1_3genE4ELNS1_11target_archE910ELNS1_3gpuE8ELNS1_3repE0EEENS1_47radix_sort_onesweep_sort_config_static_selectorELNS0_4arch9wavefront6targetE1EEEvSI_.num_vgpr, 0
	.set _ZN7rocprim17ROCPRIM_400000_NS6detail17trampoline_kernelINS0_14default_configENS1_35radix_sort_onesweep_config_selectorIxxEEZZNS1_29radix_sort_onesweep_iterationIS3_Lb0EN6thrust23THRUST_200600_302600_NS6detail15normal_iteratorINS8_10device_ptrIxEEEESD_SD_SD_jNS0_19identity_decomposerENS1_16block_id_wrapperIjLb1EEEEE10hipError_tT1_PNSt15iterator_traitsISI_E10value_typeET2_T3_PNSJ_ISO_E10value_typeET4_T5_PST_SU_PNS1_23onesweep_lookback_stateEbbT6_jjT7_P12ihipStream_tbENKUlT_T0_SI_SN_E_clISD_SD_SD_SD_EEDaS11_S12_SI_SN_EUlS11_E_NS1_11comp_targetILNS1_3genE4ELNS1_11target_archE910ELNS1_3gpuE8ELNS1_3repE0EEENS1_47radix_sort_onesweep_sort_config_static_selectorELNS0_4arch9wavefront6targetE1EEEvSI_.num_agpr, 0
	.set _ZN7rocprim17ROCPRIM_400000_NS6detail17trampoline_kernelINS0_14default_configENS1_35radix_sort_onesweep_config_selectorIxxEEZZNS1_29radix_sort_onesweep_iterationIS3_Lb0EN6thrust23THRUST_200600_302600_NS6detail15normal_iteratorINS8_10device_ptrIxEEEESD_SD_SD_jNS0_19identity_decomposerENS1_16block_id_wrapperIjLb1EEEEE10hipError_tT1_PNSt15iterator_traitsISI_E10value_typeET2_T3_PNSJ_ISO_E10value_typeET4_T5_PST_SU_PNS1_23onesweep_lookback_stateEbbT6_jjT7_P12ihipStream_tbENKUlT_T0_SI_SN_E_clISD_SD_SD_SD_EEDaS11_S12_SI_SN_EUlS11_E_NS1_11comp_targetILNS1_3genE4ELNS1_11target_archE910ELNS1_3gpuE8ELNS1_3repE0EEENS1_47radix_sort_onesweep_sort_config_static_selectorELNS0_4arch9wavefront6targetE1EEEvSI_.numbered_sgpr, 0
	.set _ZN7rocprim17ROCPRIM_400000_NS6detail17trampoline_kernelINS0_14default_configENS1_35radix_sort_onesweep_config_selectorIxxEEZZNS1_29radix_sort_onesweep_iterationIS3_Lb0EN6thrust23THRUST_200600_302600_NS6detail15normal_iteratorINS8_10device_ptrIxEEEESD_SD_SD_jNS0_19identity_decomposerENS1_16block_id_wrapperIjLb1EEEEE10hipError_tT1_PNSt15iterator_traitsISI_E10value_typeET2_T3_PNSJ_ISO_E10value_typeET4_T5_PST_SU_PNS1_23onesweep_lookback_stateEbbT6_jjT7_P12ihipStream_tbENKUlT_T0_SI_SN_E_clISD_SD_SD_SD_EEDaS11_S12_SI_SN_EUlS11_E_NS1_11comp_targetILNS1_3genE4ELNS1_11target_archE910ELNS1_3gpuE8ELNS1_3repE0EEENS1_47radix_sort_onesweep_sort_config_static_selectorELNS0_4arch9wavefront6targetE1EEEvSI_.num_named_barrier, 0
	.set _ZN7rocprim17ROCPRIM_400000_NS6detail17trampoline_kernelINS0_14default_configENS1_35radix_sort_onesweep_config_selectorIxxEEZZNS1_29radix_sort_onesweep_iterationIS3_Lb0EN6thrust23THRUST_200600_302600_NS6detail15normal_iteratorINS8_10device_ptrIxEEEESD_SD_SD_jNS0_19identity_decomposerENS1_16block_id_wrapperIjLb1EEEEE10hipError_tT1_PNSt15iterator_traitsISI_E10value_typeET2_T3_PNSJ_ISO_E10value_typeET4_T5_PST_SU_PNS1_23onesweep_lookback_stateEbbT6_jjT7_P12ihipStream_tbENKUlT_T0_SI_SN_E_clISD_SD_SD_SD_EEDaS11_S12_SI_SN_EUlS11_E_NS1_11comp_targetILNS1_3genE4ELNS1_11target_archE910ELNS1_3gpuE8ELNS1_3repE0EEENS1_47radix_sort_onesweep_sort_config_static_selectorELNS0_4arch9wavefront6targetE1EEEvSI_.private_seg_size, 0
	.set _ZN7rocprim17ROCPRIM_400000_NS6detail17trampoline_kernelINS0_14default_configENS1_35radix_sort_onesweep_config_selectorIxxEEZZNS1_29radix_sort_onesweep_iterationIS3_Lb0EN6thrust23THRUST_200600_302600_NS6detail15normal_iteratorINS8_10device_ptrIxEEEESD_SD_SD_jNS0_19identity_decomposerENS1_16block_id_wrapperIjLb1EEEEE10hipError_tT1_PNSt15iterator_traitsISI_E10value_typeET2_T3_PNSJ_ISO_E10value_typeET4_T5_PST_SU_PNS1_23onesweep_lookback_stateEbbT6_jjT7_P12ihipStream_tbENKUlT_T0_SI_SN_E_clISD_SD_SD_SD_EEDaS11_S12_SI_SN_EUlS11_E_NS1_11comp_targetILNS1_3genE4ELNS1_11target_archE910ELNS1_3gpuE8ELNS1_3repE0EEENS1_47radix_sort_onesweep_sort_config_static_selectorELNS0_4arch9wavefront6targetE1EEEvSI_.uses_vcc, 0
	.set _ZN7rocprim17ROCPRIM_400000_NS6detail17trampoline_kernelINS0_14default_configENS1_35radix_sort_onesweep_config_selectorIxxEEZZNS1_29radix_sort_onesweep_iterationIS3_Lb0EN6thrust23THRUST_200600_302600_NS6detail15normal_iteratorINS8_10device_ptrIxEEEESD_SD_SD_jNS0_19identity_decomposerENS1_16block_id_wrapperIjLb1EEEEE10hipError_tT1_PNSt15iterator_traitsISI_E10value_typeET2_T3_PNSJ_ISO_E10value_typeET4_T5_PST_SU_PNS1_23onesweep_lookback_stateEbbT6_jjT7_P12ihipStream_tbENKUlT_T0_SI_SN_E_clISD_SD_SD_SD_EEDaS11_S12_SI_SN_EUlS11_E_NS1_11comp_targetILNS1_3genE4ELNS1_11target_archE910ELNS1_3gpuE8ELNS1_3repE0EEENS1_47radix_sort_onesweep_sort_config_static_selectorELNS0_4arch9wavefront6targetE1EEEvSI_.uses_flat_scratch, 0
	.set _ZN7rocprim17ROCPRIM_400000_NS6detail17trampoline_kernelINS0_14default_configENS1_35radix_sort_onesweep_config_selectorIxxEEZZNS1_29radix_sort_onesweep_iterationIS3_Lb0EN6thrust23THRUST_200600_302600_NS6detail15normal_iteratorINS8_10device_ptrIxEEEESD_SD_SD_jNS0_19identity_decomposerENS1_16block_id_wrapperIjLb1EEEEE10hipError_tT1_PNSt15iterator_traitsISI_E10value_typeET2_T3_PNSJ_ISO_E10value_typeET4_T5_PST_SU_PNS1_23onesweep_lookback_stateEbbT6_jjT7_P12ihipStream_tbENKUlT_T0_SI_SN_E_clISD_SD_SD_SD_EEDaS11_S12_SI_SN_EUlS11_E_NS1_11comp_targetILNS1_3genE4ELNS1_11target_archE910ELNS1_3gpuE8ELNS1_3repE0EEENS1_47radix_sort_onesweep_sort_config_static_selectorELNS0_4arch9wavefront6targetE1EEEvSI_.has_dyn_sized_stack, 0
	.set _ZN7rocprim17ROCPRIM_400000_NS6detail17trampoline_kernelINS0_14default_configENS1_35radix_sort_onesweep_config_selectorIxxEEZZNS1_29radix_sort_onesweep_iterationIS3_Lb0EN6thrust23THRUST_200600_302600_NS6detail15normal_iteratorINS8_10device_ptrIxEEEESD_SD_SD_jNS0_19identity_decomposerENS1_16block_id_wrapperIjLb1EEEEE10hipError_tT1_PNSt15iterator_traitsISI_E10value_typeET2_T3_PNSJ_ISO_E10value_typeET4_T5_PST_SU_PNS1_23onesweep_lookback_stateEbbT6_jjT7_P12ihipStream_tbENKUlT_T0_SI_SN_E_clISD_SD_SD_SD_EEDaS11_S12_SI_SN_EUlS11_E_NS1_11comp_targetILNS1_3genE4ELNS1_11target_archE910ELNS1_3gpuE8ELNS1_3repE0EEENS1_47radix_sort_onesweep_sort_config_static_selectorELNS0_4arch9wavefront6targetE1EEEvSI_.has_recursion, 0
	.set _ZN7rocprim17ROCPRIM_400000_NS6detail17trampoline_kernelINS0_14default_configENS1_35radix_sort_onesweep_config_selectorIxxEEZZNS1_29radix_sort_onesweep_iterationIS3_Lb0EN6thrust23THRUST_200600_302600_NS6detail15normal_iteratorINS8_10device_ptrIxEEEESD_SD_SD_jNS0_19identity_decomposerENS1_16block_id_wrapperIjLb1EEEEE10hipError_tT1_PNSt15iterator_traitsISI_E10value_typeET2_T3_PNSJ_ISO_E10value_typeET4_T5_PST_SU_PNS1_23onesweep_lookback_stateEbbT6_jjT7_P12ihipStream_tbENKUlT_T0_SI_SN_E_clISD_SD_SD_SD_EEDaS11_S12_SI_SN_EUlS11_E_NS1_11comp_targetILNS1_3genE4ELNS1_11target_archE910ELNS1_3gpuE8ELNS1_3repE0EEENS1_47radix_sort_onesweep_sort_config_static_selectorELNS0_4arch9wavefront6targetE1EEEvSI_.has_indirect_call, 0
	.section	.AMDGPU.csdata,"",@progbits
; Kernel info:
; codeLenInByte = 0
; TotalNumSgprs: 6
; NumVgprs: 0
; NumAgprs: 0
; TotalNumVgprs: 0
; ScratchSize: 0
; MemoryBound: 0
; FloatMode: 240
; IeeeMode: 1
; LDSByteSize: 0 bytes/workgroup (compile time only)
; SGPRBlocks: 0
; VGPRBlocks: 0
; NumSGPRsForWavesPerEU: 6
; NumVGPRsForWavesPerEU: 1
; AccumOffset: 4
; Occupancy: 8
; WaveLimiterHint : 0
; COMPUTE_PGM_RSRC2:SCRATCH_EN: 0
; COMPUTE_PGM_RSRC2:USER_SGPR: 2
; COMPUTE_PGM_RSRC2:TRAP_HANDLER: 0
; COMPUTE_PGM_RSRC2:TGID_X_EN: 1
; COMPUTE_PGM_RSRC2:TGID_Y_EN: 0
; COMPUTE_PGM_RSRC2:TGID_Z_EN: 0
; COMPUTE_PGM_RSRC2:TIDIG_COMP_CNT: 0
; COMPUTE_PGM_RSRC3_GFX90A:ACCUM_OFFSET: 0
; COMPUTE_PGM_RSRC3_GFX90A:TG_SPLIT: 0
	.section	.text._ZN7rocprim17ROCPRIM_400000_NS6detail17trampoline_kernelINS0_14default_configENS1_35radix_sort_onesweep_config_selectorIxxEEZZNS1_29radix_sort_onesweep_iterationIS3_Lb0EN6thrust23THRUST_200600_302600_NS6detail15normal_iteratorINS8_10device_ptrIxEEEESD_SD_SD_jNS0_19identity_decomposerENS1_16block_id_wrapperIjLb1EEEEE10hipError_tT1_PNSt15iterator_traitsISI_E10value_typeET2_T3_PNSJ_ISO_E10value_typeET4_T5_PST_SU_PNS1_23onesweep_lookback_stateEbbT6_jjT7_P12ihipStream_tbENKUlT_T0_SI_SN_E_clISD_SD_SD_SD_EEDaS11_S12_SI_SN_EUlS11_E_NS1_11comp_targetILNS1_3genE3ELNS1_11target_archE908ELNS1_3gpuE7ELNS1_3repE0EEENS1_47radix_sort_onesweep_sort_config_static_selectorELNS0_4arch9wavefront6targetE1EEEvSI_,"axG",@progbits,_ZN7rocprim17ROCPRIM_400000_NS6detail17trampoline_kernelINS0_14default_configENS1_35radix_sort_onesweep_config_selectorIxxEEZZNS1_29radix_sort_onesweep_iterationIS3_Lb0EN6thrust23THRUST_200600_302600_NS6detail15normal_iteratorINS8_10device_ptrIxEEEESD_SD_SD_jNS0_19identity_decomposerENS1_16block_id_wrapperIjLb1EEEEE10hipError_tT1_PNSt15iterator_traitsISI_E10value_typeET2_T3_PNSJ_ISO_E10value_typeET4_T5_PST_SU_PNS1_23onesweep_lookback_stateEbbT6_jjT7_P12ihipStream_tbENKUlT_T0_SI_SN_E_clISD_SD_SD_SD_EEDaS11_S12_SI_SN_EUlS11_E_NS1_11comp_targetILNS1_3genE3ELNS1_11target_archE908ELNS1_3gpuE7ELNS1_3repE0EEENS1_47radix_sort_onesweep_sort_config_static_selectorELNS0_4arch9wavefront6targetE1EEEvSI_,comdat
	.protected	_ZN7rocprim17ROCPRIM_400000_NS6detail17trampoline_kernelINS0_14default_configENS1_35radix_sort_onesweep_config_selectorIxxEEZZNS1_29radix_sort_onesweep_iterationIS3_Lb0EN6thrust23THRUST_200600_302600_NS6detail15normal_iteratorINS8_10device_ptrIxEEEESD_SD_SD_jNS0_19identity_decomposerENS1_16block_id_wrapperIjLb1EEEEE10hipError_tT1_PNSt15iterator_traitsISI_E10value_typeET2_T3_PNSJ_ISO_E10value_typeET4_T5_PST_SU_PNS1_23onesweep_lookback_stateEbbT6_jjT7_P12ihipStream_tbENKUlT_T0_SI_SN_E_clISD_SD_SD_SD_EEDaS11_S12_SI_SN_EUlS11_E_NS1_11comp_targetILNS1_3genE3ELNS1_11target_archE908ELNS1_3gpuE7ELNS1_3repE0EEENS1_47radix_sort_onesweep_sort_config_static_selectorELNS0_4arch9wavefront6targetE1EEEvSI_ ; -- Begin function _ZN7rocprim17ROCPRIM_400000_NS6detail17trampoline_kernelINS0_14default_configENS1_35radix_sort_onesweep_config_selectorIxxEEZZNS1_29radix_sort_onesweep_iterationIS3_Lb0EN6thrust23THRUST_200600_302600_NS6detail15normal_iteratorINS8_10device_ptrIxEEEESD_SD_SD_jNS0_19identity_decomposerENS1_16block_id_wrapperIjLb1EEEEE10hipError_tT1_PNSt15iterator_traitsISI_E10value_typeET2_T3_PNSJ_ISO_E10value_typeET4_T5_PST_SU_PNS1_23onesweep_lookback_stateEbbT6_jjT7_P12ihipStream_tbENKUlT_T0_SI_SN_E_clISD_SD_SD_SD_EEDaS11_S12_SI_SN_EUlS11_E_NS1_11comp_targetILNS1_3genE3ELNS1_11target_archE908ELNS1_3gpuE7ELNS1_3repE0EEENS1_47radix_sort_onesweep_sort_config_static_selectorELNS0_4arch9wavefront6targetE1EEEvSI_
	.globl	_ZN7rocprim17ROCPRIM_400000_NS6detail17trampoline_kernelINS0_14default_configENS1_35radix_sort_onesweep_config_selectorIxxEEZZNS1_29radix_sort_onesweep_iterationIS3_Lb0EN6thrust23THRUST_200600_302600_NS6detail15normal_iteratorINS8_10device_ptrIxEEEESD_SD_SD_jNS0_19identity_decomposerENS1_16block_id_wrapperIjLb1EEEEE10hipError_tT1_PNSt15iterator_traitsISI_E10value_typeET2_T3_PNSJ_ISO_E10value_typeET4_T5_PST_SU_PNS1_23onesweep_lookback_stateEbbT6_jjT7_P12ihipStream_tbENKUlT_T0_SI_SN_E_clISD_SD_SD_SD_EEDaS11_S12_SI_SN_EUlS11_E_NS1_11comp_targetILNS1_3genE3ELNS1_11target_archE908ELNS1_3gpuE7ELNS1_3repE0EEENS1_47radix_sort_onesweep_sort_config_static_selectorELNS0_4arch9wavefront6targetE1EEEvSI_
	.p2align	8
	.type	_ZN7rocprim17ROCPRIM_400000_NS6detail17trampoline_kernelINS0_14default_configENS1_35radix_sort_onesweep_config_selectorIxxEEZZNS1_29radix_sort_onesweep_iterationIS3_Lb0EN6thrust23THRUST_200600_302600_NS6detail15normal_iteratorINS8_10device_ptrIxEEEESD_SD_SD_jNS0_19identity_decomposerENS1_16block_id_wrapperIjLb1EEEEE10hipError_tT1_PNSt15iterator_traitsISI_E10value_typeET2_T3_PNSJ_ISO_E10value_typeET4_T5_PST_SU_PNS1_23onesweep_lookback_stateEbbT6_jjT7_P12ihipStream_tbENKUlT_T0_SI_SN_E_clISD_SD_SD_SD_EEDaS11_S12_SI_SN_EUlS11_E_NS1_11comp_targetILNS1_3genE3ELNS1_11target_archE908ELNS1_3gpuE7ELNS1_3repE0EEENS1_47radix_sort_onesweep_sort_config_static_selectorELNS0_4arch9wavefront6targetE1EEEvSI_,@function
_ZN7rocprim17ROCPRIM_400000_NS6detail17trampoline_kernelINS0_14default_configENS1_35radix_sort_onesweep_config_selectorIxxEEZZNS1_29radix_sort_onesweep_iterationIS3_Lb0EN6thrust23THRUST_200600_302600_NS6detail15normal_iteratorINS8_10device_ptrIxEEEESD_SD_SD_jNS0_19identity_decomposerENS1_16block_id_wrapperIjLb1EEEEE10hipError_tT1_PNSt15iterator_traitsISI_E10value_typeET2_T3_PNSJ_ISO_E10value_typeET4_T5_PST_SU_PNS1_23onesweep_lookback_stateEbbT6_jjT7_P12ihipStream_tbENKUlT_T0_SI_SN_E_clISD_SD_SD_SD_EEDaS11_S12_SI_SN_EUlS11_E_NS1_11comp_targetILNS1_3genE3ELNS1_11target_archE908ELNS1_3gpuE7ELNS1_3repE0EEENS1_47radix_sort_onesweep_sort_config_static_selectorELNS0_4arch9wavefront6targetE1EEEvSI_: ; @_ZN7rocprim17ROCPRIM_400000_NS6detail17trampoline_kernelINS0_14default_configENS1_35radix_sort_onesweep_config_selectorIxxEEZZNS1_29radix_sort_onesweep_iterationIS3_Lb0EN6thrust23THRUST_200600_302600_NS6detail15normal_iteratorINS8_10device_ptrIxEEEESD_SD_SD_jNS0_19identity_decomposerENS1_16block_id_wrapperIjLb1EEEEE10hipError_tT1_PNSt15iterator_traitsISI_E10value_typeET2_T3_PNSJ_ISO_E10value_typeET4_T5_PST_SU_PNS1_23onesweep_lookback_stateEbbT6_jjT7_P12ihipStream_tbENKUlT_T0_SI_SN_E_clISD_SD_SD_SD_EEDaS11_S12_SI_SN_EUlS11_E_NS1_11comp_targetILNS1_3genE3ELNS1_11target_archE908ELNS1_3gpuE7ELNS1_3repE0EEENS1_47radix_sort_onesweep_sort_config_static_selectorELNS0_4arch9wavefront6targetE1EEEvSI_
; %bb.0:
	.section	.rodata,"a",@progbits
	.p2align	6, 0x0
	.amdhsa_kernel _ZN7rocprim17ROCPRIM_400000_NS6detail17trampoline_kernelINS0_14default_configENS1_35radix_sort_onesweep_config_selectorIxxEEZZNS1_29radix_sort_onesweep_iterationIS3_Lb0EN6thrust23THRUST_200600_302600_NS6detail15normal_iteratorINS8_10device_ptrIxEEEESD_SD_SD_jNS0_19identity_decomposerENS1_16block_id_wrapperIjLb1EEEEE10hipError_tT1_PNSt15iterator_traitsISI_E10value_typeET2_T3_PNSJ_ISO_E10value_typeET4_T5_PST_SU_PNS1_23onesweep_lookback_stateEbbT6_jjT7_P12ihipStream_tbENKUlT_T0_SI_SN_E_clISD_SD_SD_SD_EEDaS11_S12_SI_SN_EUlS11_E_NS1_11comp_targetILNS1_3genE3ELNS1_11target_archE908ELNS1_3gpuE7ELNS1_3repE0EEENS1_47radix_sort_onesweep_sort_config_static_selectorELNS0_4arch9wavefront6targetE1EEEvSI_
		.amdhsa_group_segment_fixed_size 0
		.amdhsa_private_segment_fixed_size 0
		.amdhsa_kernarg_size 88
		.amdhsa_user_sgpr_count 2
		.amdhsa_user_sgpr_dispatch_ptr 0
		.amdhsa_user_sgpr_queue_ptr 0
		.amdhsa_user_sgpr_kernarg_segment_ptr 1
		.amdhsa_user_sgpr_dispatch_id 0
		.amdhsa_user_sgpr_kernarg_preload_length 0
		.amdhsa_user_sgpr_kernarg_preload_offset 0
		.amdhsa_user_sgpr_private_segment_size 0
		.amdhsa_uses_dynamic_stack 0
		.amdhsa_enable_private_segment 0
		.amdhsa_system_sgpr_workgroup_id_x 1
		.amdhsa_system_sgpr_workgroup_id_y 0
		.amdhsa_system_sgpr_workgroup_id_z 0
		.amdhsa_system_sgpr_workgroup_info 0
		.amdhsa_system_vgpr_workitem_id 0
		.amdhsa_next_free_vgpr 1
		.amdhsa_next_free_sgpr 0
		.amdhsa_accum_offset 4
		.amdhsa_reserve_vcc 0
		.amdhsa_float_round_mode_32 0
		.amdhsa_float_round_mode_16_64 0
		.amdhsa_float_denorm_mode_32 3
		.amdhsa_float_denorm_mode_16_64 3
		.amdhsa_dx10_clamp 1
		.amdhsa_ieee_mode 1
		.amdhsa_fp16_overflow 0
		.amdhsa_tg_split 0
		.amdhsa_exception_fp_ieee_invalid_op 0
		.amdhsa_exception_fp_denorm_src 0
		.amdhsa_exception_fp_ieee_div_zero 0
		.amdhsa_exception_fp_ieee_overflow 0
		.amdhsa_exception_fp_ieee_underflow 0
		.amdhsa_exception_fp_ieee_inexact 0
		.amdhsa_exception_int_div_zero 0
	.end_amdhsa_kernel
	.section	.text._ZN7rocprim17ROCPRIM_400000_NS6detail17trampoline_kernelINS0_14default_configENS1_35radix_sort_onesweep_config_selectorIxxEEZZNS1_29radix_sort_onesweep_iterationIS3_Lb0EN6thrust23THRUST_200600_302600_NS6detail15normal_iteratorINS8_10device_ptrIxEEEESD_SD_SD_jNS0_19identity_decomposerENS1_16block_id_wrapperIjLb1EEEEE10hipError_tT1_PNSt15iterator_traitsISI_E10value_typeET2_T3_PNSJ_ISO_E10value_typeET4_T5_PST_SU_PNS1_23onesweep_lookback_stateEbbT6_jjT7_P12ihipStream_tbENKUlT_T0_SI_SN_E_clISD_SD_SD_SD_EEDaS11_S12_SI_SN_EUlS11_E_NS1_11comp_targetILNS1_3genE3ELNS1_11target_archE908ELNS1_3gpuE7ELNS1_3repE0EEENS1_47radix_sort_onesweep_sort_config_static_selectorELNS0_4arch9wavefront6targetE1EEEvSI_,"axG",@progbits,_ZN7rocprim17ROCPRIM_400000_NS6detail17trampoline_kernelINS0_14default_configENS1_35radix_sort_onesweep_config_selectorIxxEEZZNS1_29radix_sort_onesweep_iterationIS3_Lb0EN6thrust23THRUST_200600_302600_NS6detail15normal_iteratorINS8_10device_ptrIxEEEESD_SD_SD_jNS0_19identity_decomposerENS1_16block_id_wrapperIjLb1EEEEE10hipError_tT1_PNSt15iterator_traitsISI_E10value_typeET2_T3_PNSJ_ISO_E10value_typeET4_T5_PST_SU_PNS1_23onesweep_lookback_stateEbbT6_jjT7_P12ihipStream_tbENKUlT_T0_SI_SN_E_clISD_SD_SD_SD_EEDaS11_S12_SI_SN_EUlS11_E_NS1_11comp_targetILNS1_3genE3ELNS1_11target_archE908ELNS1_3gpuE7ELNS1_3repE0EEENS1_47radix_sort_onesweep_sort_config_static_selectorELNS0_4arch9wavefront6targetE1EEEvSI_,comdat
.Lfunc_end1202:
	.size	_ZN7rocprim17ROCPRIM_400000_NS6detail17trampoline_kernelINS0_14default_configENS1_35radix_sort_onesweep_config_selectorIxxEEZZNS1_29radix_sort_onesweep_iterationIS3_Lb0EN6thrust23THRUST_200600_302600_NS6detail15normal_iteratorINS8_10device_ptrIxEEEESD_SD_SD_jNS0_19identity_decomposerENS1_16block_id_wrapperIjLb1EEEEE10hipError_tT1_PNSt15iterator_traitsISI_E10value_typeET2_T3_PNSJ_ISO_E10value_typeET4_T5_PST_SU_PNS1_23onesweep_lookback_stateEbbT6_jjT7_P12ihipStream_tbENKUlT_T0_SI_SN_E_clISD_SD_SD_SD_EEDaS11_S12_SI_SN_EUlS11_E_NS1_11comp_targetILNS1_3genE3ELNS1_11target_archE908ELNS1_3gpuE7ELNS1_3repE0EEENS1_47radix_sort_onesweep_sort_config_static_selectorELNS0_4arch9wavefront6targetE1EEEvSI_, .Lfunc_end1202-_ZN7rocprim17ROCPRIM_400000_NS6detail17trampoline_kernelINS0_14default_configENS1_35radix_sort_onesweep_config_selectorIxxEEZZNS1_29radix_sort_onesweep_iterationIS3_Lb0EN6thrust23THRUST_200600_302600_NS6detail15normal_iteratorINS8_10device_ptrIxEEEESD_SD_SD_jNS0_19identity_decomposerENS1_16block_id_wrapperIjLb1EEEEE10hipError_tT1_PNSt15iterator_traitsISI_E10value_typeET2_T3_PNSJ_ISO_E10value_typeET4_T5_PST_SU_PNS1_23onesweep_lookback_stateEbbT6_jjT7_P12ihipStream_tbENKUlT_T0_SI_SN_E_clISD_SD_SD_SD_EEDaS11_S12_SI_SN_EUlS11_E_NS1_11comp_targetILNS1_3genE3ELNS1_11target_archE908ELNS1_3gpuE7ELNS1_3repE0EEENS1_47radix_sort_onesweep_sort_config_static_selectorELNS0_4arch9wavefront6targetE1EEEvSI_
                                        ; -- End function
	.set _ZN7rocprim17ROCPRIM_400000_NS6detail17trampoline_kernelINS0_14default_configENS1_35radix_sort_onesweep_config_selectorIxxEEZZNS1_29radix_sort_onesweep_iterationIS3_Lb0EN6thrust23THRUST_200600_302600_NS6detail15normal_iteratorINS8_10device_ptrIxEEEESD_SD_SD_jNS0_19identity_decomposerENS1_16block_id_wrapperIjLb1EEEEE10hipError_tT1_PNSt15iterator_traitsISI_E10value_typeET2_T3_PNSJ_ISO_E10value_typeET4_T5_PST_SU_PNS1_23onesweep_lookback_stateEbbT6_jjT7_P12ihipStream_tbENKUlT_T0_SI_SN_E_clISD_SD_SD_SD_EEDaS11_S12_SI_SN_EUlS11_E_NS1_11comp_targetILNS1_3genE3ELNS1_11target_archE908ELNS1_3gpuE7ELNS1_3repE0EEENS1_47radix_sort_onesweep_sort_config_static_selectorELNS0_4arch9wavefront6targetE1EEEvSI_.num_vgpr, 0
	.set _ZN7rocprim17ROCPRIM_400000_NS6detail17trampoline_kernelINS0_14default_configENS1_35radix_sort_onesweep_config_selectorIxxEEZZNS1_29radix_sort_onesweep_iterationIS3_Lb0EN6thrust23THRUST_200600_302600_NS6detail15normal_iteratorINS8_10device_ptrIxEEEESD_SD_SD_jNS0_19identity_decomposerENS1_16block_id_wrapperIjLb1EEEEE10hipError_tT1_PNSt15iterator_traitsISI_E10value_typeET2_T3_PNSJ_ISO_E10value_typeET4_T5_PST_SU_PNS1_23onesweep_lookback_stateEbbT6_jjT7_P12ihipStream_tbENKUlT_T0_SI_SN_E_clISD_SD_SD_SD_EEDaS11_S12_SI_SN_EUlS11_E_NS1_11comp_targetILNS1_3genE3ELNS1_11target_archE908ELNS1_3gpuE7ELNS1_3repE0EEENS1_47radix_sort_onesweep_sort_config_static_selectorELNS0_4arch9wavefront6targetE1EEEvSI_.num_agpr, 0
	.set _ZN7rocprim17ROCPRIM_400000_NS6detail17trampoline_kernelINS0_14default_configENS1_35radix_sort_onesweep_config_selectorIxxEEZZNS1_29radix_sort_onesweep_iterationIS3_Lb0EN6thrust23THRUST_200600_302600_NS6detail15normal_iteratorINS8_10device_ptrIxEEEESD_SD_SD_jNS0_19identity_decomposerENS1_16block_id_wrapperIjLb1EEEEE10hipError_tT1_PNSt15iterator_traitsISI_E10value_typeET2_T3_PNSJ_ISO_E10value_typeET4_T5_PST_SU_PNS1_23onesweep_lookback_stateEbbT6_jjT7_P12ihipStream_tbENKUlT_T0_SI_SN_E_clISD_SD_SD_SD_EEDaS11_S12_SI_SN_EUlS11_E_NS1_11comp_targetILNS1_3genE3ELNS1_11target_archE908ELNS1_3gpuE7ELNS1_3repE0EEENS1_47radix_sort_onesweep_sort_config_static_selectorELNS0_4arch9wavefront6targetE1EEEvSI_.numbered_sgpr, 0
	.set _ZN7rocprim17ROCPRIM_400000_NS6detail17trampoline_kernelINS0_14default_configENS1_35radix_sort_onesweep_config_selectorIxxEEZZNS1_29radix_sort_onesweep_iterationIS3_Lb0EN6thrust23THRUST_200600_302600_NS6detail15normal_iteratorINS8_10device_ptrIxEEEESD_SD_SD_jNS0_19identity_decomposerENS1_16block_id_wrapperIjLb1EEEEE10hipError_tT1_PNSt15iterator_traitsISI_E10value_typeET2_T3_PNSJ_ISO_E10value_typeET4_T5_PST_SU_PNS1_23onesweep_lookback_stateEbbT6_jjT7_P12ihipStream_tbENKUlT_T0_SI_SN_E_clISD_SD_SD_SD_EEDaS11_S12_SI_SN_EUlS11_E_NS1_11comp_targetILNS1_3genE3ELNS1_11target_archE908ELNS1_3gpuE7ELNS1_3repE0EEENS1_47radix_sort_onesweep_sort_config_static_selectorELNS0_4arch9wavefront6targetE1EEEvSI_.num_named_barrier, 0
	.set _ZN7rocprim17ROCPRIM_400000_NS6detail17trampoline_kernelINS0_14default_configENS1_35radix_sort_onesweep_config_selectorIxxEEZZNS1_29radix_sort_onesweep_iterationIS3_Lb0EN6thrust23THRUST_200600_302600_NS6detail15normal_iteratorINS8_10device_ptrIxEEEESD_SD_SD_jNS0_19identity_decomposerENS1_16block_id_wrapperIjLb1EEEEE10hipError_tT1_PNSt15iterator_traitsISI_E10value_typeET2_T3_PNSJ_ISO_E10value_typeET4_T5_PST_SU_PNS1_23onesweep_lookback_stateEbbT6_jjT7_P12ihipStream_tbENKUlT_T0_SI_SN_E_clISD_SD_SD_SD_EEDaS11_S12_SI_SN_EUlS11_E_NS1_11comp_targetILNS1_3genE3ELNS1_11target_archE908ELNS1_3gpuE7ELNS1_3repE0EEENS1_47radix_sort_onesweep_sort_config_static_selectorELNS0_4arch9wavefront6targetE1EEEvSI_.private_seg_size, 0
	.set _ZN7rocprim17ROCPRIM_400000_NS6detail17trampoline_kernelINS0_14default_configENS1_35radix_sort_onesweep_config_selectorIxxEEZZNS1_29radix_sort_onesweep_iterationIS3_Lb0EN6thrust23THRUST_200600_302600_NS6detail15normal_iteratorINS8_10device_ptrIxEEEESD_SD_SD_jNS0_19identity_decomposerENS1_16block_id_wrapperIjLb1EEEEE10hipError_tT1_PNSt15iterator_traitsISI_E10value_typeET2_T3_PNSJ_ISO_E10value_typeET4_T5_PST_SU_PNS1_23onesweep_lookback_stateEbbT6_jjT7_P12ihipStream_tbENKUlT_T0_SI_SN_E_clISD_SD_SD_SD_EEDaS11_S12_SI_SN_EUlS11_E_NS1_11comp_targetILNS1_3genE3ELNS1_11target_archE908ELNS1_3gpuE7ELNS1_3repE0EEENS1_47radix_sort_onesweep_sort_config_static_selectorELNS0_4arch9wavefront6targetE1EEEvSI_.uses_vcc, 0
	.set _ZN7rocprim17ROCPRIM_400000_NS6detail17trampoline_kernelINS0_14default_configENS1_35radix_sort_onesweep_config_selectorIxxEEZZNS1_29radix_sort_onesweep_iterationIS3_Lb0EN6thrust23THRUST_200600_302600_NS6detail15normal_iteratorINS8_10device_ptrIxEEEESD_SD_SD_jNS0_19identity_decomposerENS1_16block_id_wrapperIjLb1EEEEE10hipError_tT1_PNSt15iterator_traitsISI_E10value_typeET2_T3_PNSJ_ISO_E10value_typeET4_T5_PST_SU_PNS1_23onesweep_lookback_stateEbbT6_jjT7_P12ihipStream_tbENKUlT_T0_SI_SN_E_clISD_SD_SD_SD_EEDaS11_S12_SI_SN_EUlS11_E_NS1_11comp_targetILNS1_3genE3ELNS1_11target_archE908ELNS1_3gpuE7ELNS1_3repE0EEENS1_47radix_sort_onesweep_sort_config_static_selectorELNS0_4arch9wavefront6targetE1EEEvSI_.uses_flat_scratch, 0
	.set _ZN7rocprim17ROCPRIM_400000_NS6detail17trampoline_kernelINS0_14default_configENS1_35radix_sort_onesweep_config_selectorIxxEEZZNS1_29radix_sort_onesweep_iterationIS3_Lb0EN6thrust23THRUST_200600_302600_NS6detail15normal_iteratorINS8_10device_ptrIxEEEESD_SD_SD_jNS0_19identity_decomposerENS1_16block_id_wrapperIjLb1EEEEE10hipError_tT1_PNSt15iterator_traitsISI_E10value_typeET2_T3_PNSJ_ISO_E10value_typeET4_T5_PST_SU_PNS1_23onesweep_lookback_stateEbbT6_jjT7_P12ihipStream_tbENKUlT_T0_SI_SN_E_clISD_SD_SD_SD_EEDaS11_S12_SI_SN_EUlS11_E_NS1_11comp_targetILNS1_3genE3ELNS1_11target_archE908ELNS1_3gpuE7ELNS1_3repE0EEENS1_47radix_sort_onesweep_sort_config_static_selectorELNS0_4arch9wavefront6targetE1EEEvSI_.has_dyn_sized_stack, 0
	.set _ZN7rocprim17ROCPRIM_400000_NS6detail17trampoline_kernelINS0_14default_configENS1_35radix_sort_onesweep_config_selectorIxxEEZZNS1_29radix_sort_onesweep_iterationIS3_Lb0EN6thrust23THRUST_200600_302600_NS6detail15normal_iteratorINS8_10device_ptrIxEEEESD_SD_SD_jNS0_19identity_decomposerENS1_16block_id_wrapperIjLb1EEEEE10hipError_tT1_PNSt15iterator_traitsISI_E10value_typeET2_T3_PNSJ_ISO_E10value_typeET4_T5_PST_SU_PNS1_23onesweep_lookback_stateEbbT6_jjT7_P12ihipStream_tbENKUlT_T0_SI_SN_E_clISD_SD_SD_SD_EEDaS11_S12_SI_SN_EUlS11_E_NS1_11comp_targetILNS1_3genE3ELNS1_11target_archE908ELNS1_3gpuE7ELNS1_3repE0EEENS1_47radix_sort_onesweep_sort_config_static_selectorELNS0_4arch9wavefront6targetE1EEEvSI_.has_recursion, 0
	.set _ZN7rocprim17ROCPRIM_400000_NS6detail17trampoline_kernelINS0_14default_configENS1_35radix_sort_onesweep_config_selectorIxxEEZZNS1_29radix_sort_onesweep_iterationIS3_Lb0EN6thrust23THRUST_200600_302600_NS6detail15normal_iteratorINS8_10device_ptrIxEEEESD_SD_SD_jNS0_19identity_decomposerENS1_16block_id_wrapperIjLb1EEEEE10hipError_tT1_PNSt15iterator_traitsISI_E10value_typeET2_T3_PNSJ_ISO_E10value_typeET4_T5_PST_SU_PNS1_23onesweep_lookback_stateEbbT6_jjT7_P12ihipStream_tbENKUlT_T0_SI_SN_E_clISD_SD_SD_SD_EEDaS11_S12_SI_SN_EUlS11_E_NS1_11comp_targetILNS1_3genE3ELNS1_11target_archE908ELNS1_3gpuE7ELNS1_3repE0EEENS1_47radix_sort_onesweep_sort_config_static_selectorELNS0_4arch9wavefront6targetE1EEEvSI_.has_indirect_call, 0
	.section	.AMDGPU.csdata,"",@progbits
; Kernel info:
; codeLenInByte = 0
; TotalNumSgprs: 6
; NumVgprs: 0
; NumAgprs: 0
; TotalNumVgprs: 0
; ScratchSize: 0
; MemoryBound: 0
; FloatMode: 240
; IeeeMode: 1
; LDSByteSize: 0 bytes/workgroup (compile time only)
; SGPRBlocks: 0
; VGPRBlocks: 0
; NumSGPRsForWavesPerEU: 6
; NumVGPRsForWavesPerEU: 1
; AccumOffset: 4
; Occupancy: 8
; WaveLimiterHint : 0
; COMPUTE_PGM_RSRC2:SCRATCH_EN: 0
; COMPUTE_PGM_RSRC2:USER_SGPR: 2
; COMPUTE_PGM_RSRC2:TRAP_HANDLER: 0
; COMPUTE_PGM_RSRC2:TGID_X_EN: 1
; COMPUTE_PGM_RSRC2:TGID_Y_EN: 0
; COMPUTE_PGM_RSRC2:TGID_Z_EN: 0
; COMPUTE_PGM_RSRC2:TIDIG_COMP_CNT: 0
; COMPUTE_PGM_RSRC3_GFX90A:ACCUM_OFFSET: 0
; COMPUTE_PGM_RSRC3_GFX90A:TG_SPLIT: 0
	.section	.text._ZN7rocprim17ROCPRIM_400000_NS6detail17trampoline_kernelINS0_14default_configENS1_35radix_sort_onesweep_config_selectorIxxEEZZNS1_29radix_sort_onesweep_iterationIS3_Lb0EN6thrust23THRUST_200600_302600_NS6detail15normal_iteratorINS8_10device_ptrIxEEEESD_SD_SD_jNS0_19identity_decomposerENS1_16block_id_wrapperIjLb1EEEEE10hipError_tT1_PNSt15iterator_traitsISI_E10value_typeET2_T3_PNSJ_ISO_E10value_typeET4_T5_PST_SU_PNS1_23onesweep_lookback_stateEbbT6_jjT7_P12ihipStream_tbENKUlT_T0_SI_SN_E_clISD_SD_SD_SD_EEDaS11_S12_SI_SN_EUlS11_E_NS1_11comp_targetILNS1_3genE10ELNS1_11target_archE1201ELNS1_3gpuE5ELNS1_3repE0EEENS1_47radix_sort_onesweep_sort_config_static_selectorELNS0_4arch9wavefront6targetE1EEEvSI_,"axG",@progbits,_ZN7rocprim17ROCPRIM_400000_NS6detail17trampoline_kernelINS0_14default_configENS1_35radix_sort_onesweep_config_selectorIxxEEZZNS1_29radix_sort_onesweep_iterationIS3_Lb0EN6thrust23THRUST_200600_302600_NS6detail15normal_iteratorINS8_10device_ptrIxEEEESD_SD_SD_jNS0_19identity_decomposerENS1_16block_id_wrapperIjLb1EEEEE10hipError_tT1_PNSt15iterator_traitsISI_E10value_typeET2_T3_PNSJ_ISO_E10value_typeET4_T5_PST_SU_PNS1_23onesweep_lookback_stateEbbT6_jjT7_P12ihipStream_tbENKUlT_T0_SI_SN_E_clISD_SD_SD_SD_EEDaS11_S12_SI_SN_EUlS11_E_NS1_11comp_targetILNS1_3genE10ELNS1_11target_archE1201ELNS1_3gpuE5ELNS1_3repE0EEENS1_47radix_sort_onesweep_sort_config_static_selectorELNS0_4arch9wavefront6targetE1EEEvSI_,comdat
	.protected	_ZN7rocprim17ROCPRIM_400000_NS6detail17trampoline_kernelINS0_14default_configENS1_35radix_sort_onesweep_config_selectorIxxEEZZNS1_29radix_sort_onesweep_iterationIS3_Lb0EN6thrust23THRUST_200600_302600_NS6detail15normal_iteratorINS8_10device_ptrIxEEEESD_SD_SD_jNS0_19identity_decomposerENS1_16block_id_wrapperIjLb1EEEEE10hipError_tT1_PNSt15iterator_traitsISI_E10value_typeET2_T3_PNSJ_ISO_E10value_typeET4_T5_PST_SU_PNS1_23onesweep_lookback_stateEbbT6_jjT7_P12ihipStream_tbENKUlT_T0_SI_SN_E_clISD_SD_SD_SD_EEDaS11_S12_SI_SN_EUlS11_E_NS1_11comp_targetILNS1_3genE10ELNS1_11target_archE1201ELNS1_3gpuE5ELNS1_3repE0EEENS1_47radix_sort_onesweep_sort_config_static_selectorELNS0_4arch9wavefront6targetE1EEEvSI_ ; -- Begin function _ZN7rocprim17ROCPRIM_400000_NS6detail17trampoline_kernelINS0_14default_configENS1_35radix_sort_onesweep_config_selectorIxxEEZZNS1_29radix_sort_onesweep_iterationIS3_Lb0EN6thrust23THRUST_200600_302600_NS6detail15normal_iteratorINS8_10device_ptrIxEEEESD_SD_SD_jNS0_19identity_decomposerENS1_16block_id_wrapperIjLb1EEEEE10hipError_tT1_PNSt15iterator_traitsISI_E10value_typeET2_T3_PNSJ_ISO_E10value_typeET4_T5_PST_SU_PNS1_23onesweep_lookback_stateEbbT6_jjT7_P12ihipStream_tbENKUlT_T0_SI_SN_E_clISD_SD_SD_SD_EEDaS11_S12_SI_SN_EUlS11_E_NS1_11comp_targetILNS1_3genE10ELNS1_11target_archE1201ELNS1_3gpuE5ELNS1_3repE0EEENS1_47radix_sort_onesweep_sort_config_static_selectorELNS0_4arch9wavefront6targetE1EEEvSI_
	.globl	_ZN7rocprim17ROCPRIM_400000_NS6detail17trampoline_kernelINS0_14default_configENS1_35radix_sort_onesweep_config_selectorIxxEEZZNS1_29radix_sort_onesweep_iterationIS3_Lb0EN6thrust23THRUST_200600_302600_NS6detail15normal_iteratorINS8_10device_ptrIxEEEESD_SD_SD_jNS0_19identity_decomposerENS1_16block_id_wrapperIjLb1EEEEE10hipError_tT1_PNSt15iterator_traitsISI_E10value_typeET2_T3_PNSJ_ISO_E10value_typeET4_T5_PST_SU_PNS1_23onesweep_lookback_stateEbbT6_jjT7_P12ihipStream_tbENKUlT_T0_SI_SN_E_clISD_SD_SD_SD_EEDaS11_S12_SI_SN_EUlS11_E_NS1_11comp_targetILNS1_3genE10ELNS1_11target_archE1201ELNS1_3gpuE5ELNS1_3repE0EEENS1_47radix_sort_onesweep_sort_config_static_selectorELNS0_4arch9wavefront6targetE1EEEvSI_
	.p2align	8
	.type	_ZN7rocprim17ROCPRIM_400000_NS6detail17trampoline_kernelINS0_14default_configENS1_35radix_sort_onesweep_config_selectorIxxEEZZNS1_29radix_sort_onesweep_iterationIS3_Lb0EN6thrust23THRUST_200600_302600_NS6detail15normal_iteratorINS8_10device_ptrIxEEEESD_SD_SD_jNS0_19identity_decomposerENS1_16block_id_wrapperIjLb1EEEEE10hipError_tT1_PNSt15iterator_traitsISI_E10value_typeET2_T3_PNSJ_ISO_E10value_typeET4_T5_PST_SU_PNS1_23onesweep_lookback_stateEbbT6_jjT7_P12ihipStream_tbENKUlT_T0_SI_SN_E_clISD_SD_SD_SD_EEDaS11_S12_SI_SN_EUlS11_E_NS1_11comp_targetILNS1_3genE10ELNS1_11target_archE1201ELNS1_3gpuE5ELNS1_3repE0EEENS1_47radix_sort_onesweep_sort_config_static_selectorELNS0_4arch9wavefront6targetE1EEEvSI_,@function
_ZN7rocprim17ROCPRIM_400000_NS6detail17trampoline_kernelINS0_14default_configENS1_35radix_sort_onesweep_config_selectorIxxEEZZNS1_29radix_sort_onesweep_iterationIS3_Lb0EN6thrust23THRUST_200600_302600_NS6detail15normal_iteratorINS8_10device_ptrIxEEEESD_SD_SD_jNS0_19identity_decomposerENS1_16block_id_wrapperIjLb1EEEEE10hipError_tT1_PNSt15iterator_traitsISI_E10value_typeET2_T3_PNSJ_ISO_E10value_typeET4_T5_PST_SU_PNS1_23onesweep_lookback_stateEbbT6_jjT7_P12ihipStream_tbENKUlT_T0_SI_SN_E_clISD_SD_SD_SD_EEDaS11_S12_SI_SN_EUlS11_E_NS1_11comp_targetILNS1_3genE10ELNS1_11target_archE1201ELNS1_3gpuE5ELNS1_3repE0EEENS1_47radix_sort_onesweep_sort_config_static_selectorELNS0_4arch9wavefront6targetE1EEEvSI_: ; @_ZN7rocprim17ROCPRIM_400000_NS6detail17trampoline_kernelINS0_14default_configENS1_35radix_sort_onesweep_config_selectorIxxEEZZNS1_29radix_sort_onesweep_iterationIS3_Lb0EN6thrust23THRUST_200600_302600_NS6detail15normal_iteratorINS8_10device_ptrIxEEEESD_SD_SD_jNS0_19identity_decomposerENS1_16block_id_wrapperIjLb1EEEEE10hipError_tT1_PNSt15iterator_traitsISI_E10value_typeET2_T3_PNSJ_ISO_E10value_typeET4_T5_PST_SU_PNS1_23onesweep_lookback_stateEbbT6_jjT7_P12ihipStream_tbENKUlT_T0_SI_SN_E_clISD_SD_SD_SD_EEDaS11_S12_SI_SN_EUlS11_E_NS1_11comp_targetILNS1_3genE10ELNS1_11target_archE1201ELNS1_3gpuE5ELNS1_3repE0EEENS1_47radix_sort_onesweep_sort_config_static_selectorELNS0_4arch9wavefront6targetE1EEEvSI_
; %bb.0:
	.section	.rodata,"a",@progbits
	.p2align	6, 0x0
	.amdhsa_kernel _ZN7rocprim17ROCPRIM_400000_NS6detail17trampoline_kernelINS0_14default_configENS1_35radix_sort_onesweep_config_selectorIxxEEZZNS1_29radix_sort_onesweep_iterationIS3_Lb0EN6thrust23THRUST_200600_302600_NS6detail15normal_iteratorINS8_10device_ptrIxEEEESD_SD_SD_jNS0_19identity_decomposerENS1_16block_id_wrapperIjLb1EEEEE10hipError_tT1_PNSt15iterator_traitsISI_E10value_typeET2_T3_PNSJ_ISO_E10value_typeET4_T5_PST_SU_PNS1_23onesweep_lookback_stateEbbT6_jjT7_P12ihipStream_tbENKUlT_T0_SI_SN_E_clISD_SD_SD_SD_EEDaS11_S12_SI_SN_EUlS11_E_NS1_11comp_targetILNS1_3genE10ELNS1_11target_archE1201ELNS1_3gpuE5ELNS1_3repE0EEENS1_47radix_sort_onesweep_sort_config_static_selectorELNS0_4arch9wavefront6targetE1EEEvSI_
		.amdhsa_group_segment_fixed_size 0
		.amdhsa_private_segment_fixed_size 0
		.amdhsa_kernarg_size 88
		.amdhsa_user_sgpr_count 2
		.amdhsa_user_sgpr_dispatch_ptr 0
		.amdhsa_user_sgpr_queue_ptr 0
		.amdhsa_user_sgpr_kernarg_segment_ptr 1
		.amdhsa_user_sgpr_dispatch_id 0
		.amdhsa_user_sgpr_kernarg_preload_length 0
		.amdhsa_user_sgpr_kernarg_preload_offset 0
		.amdhsa_user_sgpr_private_segment_size 0
		.amdhsa_uses_dynamic_stack 0
		.amdhsa_enable_private_segment 0
		.amdhsa_system_sgpr_workgroup_id_x 1
		.amdhsa_system_sgpr_workgroup_id_y 0
		.amdhsa_system_sgpr_workgroup_id_z 0
		.amdhsa_system_sgpr_workgroup_info 0
		.amdhsa_system_vgpr_workitem_id 0
		.amdhsa_next_free_vgpr 1
		.amdhsa_next_free_sgpr 0
		.amdhsa_accum_offset 4
		.amdhsa_reserve_vcc 0
		.amdhsa_float_round_mode_32 0
		.amdhsa_float_round_mode_16_64 0
		.amdhsa_float_denorm_mode_32 3
		.amdhsa_float_denorm_mode_16_64 3
		.amdhsa_dx10_clamp 1
		.amdhsa_ieee_mode 1
		.amdhsa_fp16_overflow 0
		.amdhsa_tg_split 0
		.amdhsa_exception_fp_ieee_invalid_op 0
		.amdhsa_exception_fp_denorm_src 0
		.amdhsa_exception_fp_ieee_div_zero 0
		.amdhsa_exception_fp_ieee_overflow 0
		.amdhsa_exception_fp_ieee_underflow 0
		.amdhsa_exception_fp_ieee_inexact 0
		.amdhsa_exception_int_div_zero 0
	.end_amdhsa_kernel
	.section	.text._ZN7rocprim17ROCPRIM_400000_NS6detail17trampoline_kernelINS0_14default_configENS1_35radix_sort_onesweep_config_selectorIxxEEZZNS1_29radix_sort_onesweep_iterationIS3_Lb0EN6thrust23THRUST_200600_302600_NS6detail15normal_iteratorINS8_10device_ptrIxEEEESD_SD_SD_jNS0_19identity_decomposerENS1_16block_id_wrapperIjLb1EEEEE10hipError_tT1_PNSt15iterator_traitsISI_E10value_typeET2_T3_PNSJ_ISO_E10value_typeET4_T5_PST_SU_PNS1_23onesweep_lookback_stateEbbT6_jjT7_P12ihipStream_tbENKUlT_T0_SI_SN_E_clISD_SD_SD_SD_EEDaS11_S12_SI_SN_EUlS11_E_NS1_11comp_targetILNS1_3genE10ELNS1_11target_archE1201ELNS1_3gpuE5ELNS1_3repE0EEENS1_47radix_sort_onesweep_sort_config_static_selectorELNS0_4arch9wavefront6targetE1EEEvSI_,"axG",@progbits,_ZN7rocprim17ROCPRIM_400000_NS6detail17trampoline_kernelINS0_14default_configENS1_35radix_sort_onesweep_config_selectorIxxEEZZNS1_29radix_sort_onesweep_iterationIS3_Lb0EN6thrust23THRUST_200600_302600_NS6detail15normal_iteratorINS8_10device_ptrIxEEEESD_SD_SD_jNS0_19identity_decomposerENS1_16block_id_wrapperIjLb1EEEEE10hipError_tT1_PNSt15iterator_traitsISI_E10value_typeET2_T3_PNSJ_ISO_E10value_typeET4_T5_PST_SU_PNS1_23onesweep_lookback_stateEbbT6_jjT7_P12ihipStream_tbENKUlT_T0_SI_SN_E_clISD_SD_SD_SD_EEDaS11_S12_SI_SN_EUlS11_E_NS1_11comp_targetILNS1_3genE10ELNS1_11target_archE1201ELNS1_3gpuE5ELNS1_3repE0EEENS1_47radix_sort_onesweep_sort_config_static_selectorELNS0_4arch9wavefront6targetE1EEEvSI_,comdat
.Lfunc_end1203:
	.size	_ZN7rocprim17ROCPRIM_400000_NS6detail17trampoline_kernelINS0_14default_configENS1_35radix_sort_onesweep_config_selectorIxxEEZZNS1_29radix_sort_onesweep_iterationIS3_Lb0EN6thrust23THRUST_200600_302600_NS6detail15normal_iteratorINS8_10device_ptrIxEEEESD_SD_SD_jNS0_19identity_decomposerENS1_16block_id_wrapperIjLb1EEEEE10hipError_tT1_PNSt15iterator_traitsISI_E10value_typeET2_T3_PNSJ_ISO_E10value_typeET4_T5_PST_SU_PNS1_23onesweep_lookback_stateEbbT6_jjT7_P12ihipStream_tbENKUlT_T0_SI_SN_E_clISD_SD_SD_SD_EEDaS11_S12_SI_SN_EUlS11_E_NS1_11comp_targetILNS1_3genE10ELNS1_11target_archE1201ELNS1_3gpuE5ELNS1_3repE0EEENS1_47radix_sort_onesweep_sort_config_static_selectorELNS0_4arch9wavefront6targetE1EEEvSI_, .Lfunc_end1203-_ZN7rocprim17ROCPRIM_400000_NS6detail17trampoline_kernelINS0_14default_configENS1_35radix_sort_onesweep_config_selectorIxxEEZZNS1_29radix_sort_onesweep_iterationIS3_Lb0EN6thrust23THRUST_200600_302600_NS6detail15normal_iteratorINS8_10device_ptrIxEEEESD_SD_SD_jNS0_19identity_decomposerENS1_16block_id_wrapperIjLb1EEEEE10hipError_tT1_PNSt15iterator_traitsISI_E10value_typeET2_T3_PNSJ_ISO_E10value_typeET4_T5_PST_SU_PNS1_23onesweep_lookback_stateEbbT6_jjT7_P12ihipStream_tbENKUlT_T0_SI_SN_E_clISD_SD_SD_SD_EEDaS11_S12_SI_SN_EUlS11_E_NS1_11comp_targetILNS1_3genE10ELNS1_11target_archE1201ELNS1_3gpuE5ELNS1_3repE0EEENS1_47radix_sort_onesweep_sort_config_static_selectorELNS0_4arch9wavefront6targetE1EEEvSI_
                                        ; -- End function
	.set _ZN7rocprim17ROCPRIM_400000_NS6detail17trampoline_kernelINS0_14default_configENS1_35radix_sort_onesweep_config_selectorIxxEEZZNS1_29radix_sort_onesweep_iterationIS3_Lb0EN6thrust23THRUST_200600_302600_NS6detail15normal_iteratorINS8_10device_ptrIxEEEESD_SD_SD_jNS0_19identity_decomposerENS1_16block_id_wrapperIjLb1EEEEE10hipError_tT1_PNSt15iterator_traitsISI_E10value_typeET2_T3_PNSJ_ISO_E10value_typeET4_T5_PST_SU_PNS1_23onesweep_lookback_stateEbbT6_jjT7_P12ihipStream_tbENKUlT_T0_SI_SN_E_clISD_SD_SD_SD_EEDaS11_S12_SI_SN_EUlS11_E_NS1_11comp_targetILNS1_3genE10ELNS1_11target_archE1201ELNS1_3gpuE5ELNS1_3repE0EEENS1_47radix_sort_onesweep_sort_config_static_selectorELNS0_4arch9wavefront6targetE1EEEvSI_.num_vgpr, 0
	.set _ZN7rocprim17ROCPRIM_400000_NS6detail17trampoline_kernelINS0_14default_configENS1_35radix_sort_onesweep_config_selectorIxxEEZZNS1_29radix_sort_onesweep_iterationIS3_Lb0EN6thrust23THRUST_200600_302600_NS6detail15normal_iteratorINS8_10device_ptrIxEEEESD_SD_SD_jNS0_19identity_decomposerENS1_16block_id_wrapperIjLb1EEEEE10hipError_tT1_PNSt15iterator_traitsISI_E10value_typeET2_T3_PNSJ_ISO_E10value_typeET4_T5_PST_SU_PNS1_23onesweep_lookback_stateEbbT6_jjT7_P12ihipStream_tbENKUlT_T0_SI_SN_E_clISD_SD_SD_SD_EEDaS11_S12_SI_SN_EUlS11_E_NS1_11comp_targetILNS1_3genE10ELNS1_11target_archE1201ELNS1_3gpuE5ELNS1_3repE0EEENS1_47radix_sort_onesweep_sort_config_static_selectorELNS0_4arch9wavefront6targetE1EEEvSI_.num_agpr, 0
	.set _ZN7rocprim17ROCPRIM_400000_NS6detail17trampoline_kernelINS0_14default_configENS1_35radix_sort_onesweep_config_selectorIxxEEZZNS1_29radix_sort_onesweep_iterationIS3_Lb0EN6thrust23THRUST_200600_302600_NS6detail15normal_iteratorINS8_10device_ptrIxEEEESD_SD_SD_jNS0_19identity_decomposerENS1_16block_id_wrapperIjLb1EEEEE10hipError_tT1_PNSt15iterator_traitsISI_E10value_typeET2_T3_PNSJ_ISO_E10value_typeET4_T5_PST_SU_PNS1_23onesweep_lookback_stateEbbT6_jjT7_P12ihipStream_tbENKUlT_T0_SI_SN_E_clISD_SD_SD_SD_EEDaS11_S12_SI_SN_EUlS11_E_NS1_11comp_targetILNS1_3genE10ELNS1_11target_archE1201ELNS1_3gpuE5ELNS1_3repE0EEENS1_47radix_sort_onesweep_sort_config_static_selectorELNS0_4arch9wavefront6targetE1EEEvSI_.numbered_sgpr, 0
	.set _ZN7rocprim17ROCPRIM_400000_NS6detail17trampoline_kernelINS0_14default_configENS1_35radix_sort_onesweep_config_selectorIxxEEZZNS1_29radix_sort_onesweep_iterationIS3_Lb0EN6thrust23THRUST_200600_302600_NS6detail15normal_iteratorINS8_10device_ptrIxEEEESD_SD_SD_jNS0_19identity_decomposerENS1_16block_id_wrapperIjLb1EEEEE10hipError_tT1_PNSt15iterator_traitsISI_E10value_typeET2_T3_PNSJ_ISO_E10value_typeET4_T5_PST_SU_PNS1_23onesweep_lookback_stateEbbT6_jjT7_P12ihipStream_tbENKUlT_T0_SI_SN_E_clISD_SD_SD_SD_EEDaS11_S12_SI_SN_EUlS11_E_NS1_11comp_targetILNS1_3genE10ELNS1_11target_archE1201ELNS1_3gpuE5ELNS1_3repE0EEENS1_47radix_sort_onesweep_sort_config_static_selectorELNS0_4arch9wavefront6targetE1EEEvSI_.num_named_barrier, 0
	.set _ZN7rocprim17ROCPRIM_400000_NS6detail17trampoline_kernelINS0_14default_configENS1_35radix_sort_onesweep_config_selectorIxxEEZZNS1_29radix_sort_onesweep_iterationIS3_Lb0EN6thrust23THRUST_200600_302600_NS6detail15normal_iteratorINS8_10device_ptrIxEEEESD_SD_SD_jNS0_19identity_decomposerENS1_16block_id_wrapperIjLb1EEEEE10hipError_tT1_PNSt15iterator_traitsISI_E10value_typeET2_T3_PNSJ_ISO_E10value_typeET4_T5_PST_SU_PNS1_23onesweep_lookback_stateEbbT6_jjT7_P12ihipStream_tbENKUlT_T0_SI_SN_E_clISD_SD_SD_SD_EEDaS11_S12_SI_SN_EUlS11_E_NS1_11comp_targetILNS1_3genE10ELNS1_11target_archE1201ELNS1_3gpuE5ELNS1_3repE0EEENS1_47radix_sort_onesweep_sort_config_static_selectorELNS0_4arch9wavefront6targetE1EEEvSI_.private_seg_size, 0
	.set _ZN7rocprim17ROCPRIM_400000_NS6detail17trampoline_kernelINS0_14default_configENS1_35radix_sort_onesweep_config_selectorIxxEEZZNS1_29radix_sort_onesweep_iterationIS3_Lb0EN6thrust23THRUST_200600_302600_NS6detail15normal_iteratorINS8_10device_ptrIxEEEESD_SD_SD_jNS0_19identity_decomposerENS1_16block_id_wrapperIjLb1EEEEE10hipError_tT1_PNSt15iterator_traitsISI_E10value_typeET2_T3_PNSJ_ISO_E10value_typeET4_T5_PST_SU_PNS1_23onesweep_lookback_stateEbbT6_jjT7_P12ihipStream_tbENKUlT_T0_SI_SN_E_clISD_SD_SD_SD_EEDaS11_S12_SI_SN_EUlS11_E_NS1_11comp_targetILNS1_3genE10ELNS1_11target_archE1201ELNS1_3gpuE5ELNS1_3repE0EEENS1_47radix_sort_onesweep_sort_config_static_selectorELNS0_4arch9wavefront6targetE1EEEvSI_.uses_vcc, 0
	.set _ZN7rocprim17ROCPRIM_400000_NS6detail17trampoline_kernelINS0_14default_configENS1_35radix_sort_onesweep_config_selectorIxxEEZZNS1_29radix_sort_onesweep_iterationIS3_Lb0EN6thrust23THRUST_200600_302600_NS6detail15normal_iteratorINS8_10device_ptrIxEEEESD_SD_SD_jNS0_19identity_decomposerENS1_16block_id_wrapperIjLb1EEEEE10hipError_tT1_PNSt15iterator_traitsISI_E10value_typeET2_T3_PNSJ_ISO_E10value_typeET4_T5_PST_SU_PNS1_23onesweep_lookback_stateEbbT6_jjT7_P12ihipStream_tbENKUlT_T0_SI_SN_E_clISD_SD_SD_SD_EEDaS11_S12_SI_SN_EUlS11_E_NS1_11comp_targetILNS1_3genE10ELNS1_11target_archE1201ELNS1_3gpuE5ELNS1_3repE0EEENS1_47radix_sort_onesweep_sort_config_static_selectorELNS0_4arch9wavefront6targetE1EEEvSI_.uses_flat_scratch, 0
	.set _ZN7rocprim17ROCPRIM_400000_NS6detail17trampoline_kernelINS0_14default_configENS1_35radix_sort_onesweep_config_selectorIxxEEZZNS1_29radix_sort_onesweep_iterationIS3_Lb0EN6thrust23THRUST_200600_302600_NS6detail15normal_iteratorINS8_10device_ptrIxEEEESD_SD_SD_jNS0_19identity_decomposerENS1_16block_id_wrapperIjLb1EEEEE10hipError_tT1_PNSt15iterator_traitsISI_E10value_typeET2_T3_PNSJ_ISO_E10value_typeET4_T5_PST_SU_PNS1_23onesweep_lookback_stateEbbT6_jjT7_P12ihipStream_tbENKUlT_T0_SI_SN_E_clISD_SD_SD_SD_EEDaS11_S12_SI_SN_EUlS11_E_NS1_11comp_targetILNS1_3genE10ELNS1_11target_archE1201ELNS1_3gpuE5ELNS1_3repE0EEENS1_47radix_sort_onesweep_sort_config_static_selectorELNS0_4arch9wavefront6targetE1EEEvSI_.has_dyn_sized_stack, 0
	.set _ZN7rocprim17ROCPRIM_400000_NS6detail17trampoline_kernelINS0_14default_configENS1_35radix_sort_onesweep_config_selectorIxxEEZZNS1_29radix_sort_onesweep_iterationIS3_Lb0EN6thrust23THRUST_200600_302600_NS6detail15normal_iteratorINS8_10device_ptrIxEEEESD_SD_SD_jNS0_19identity_decomposerENS1_16block_id_wrapperIjLb1EEEEE10hipError_tT1_PNSt15iterator_traitsISI_E10value_typeET2_T3_PNSJ_ISO_E10value_typeET4_T5_PST_SU_PNS1_23onesweep_lookback_stateEbbT6_jjT7_P12ihipStream_tbENKUlT_T0_SI_SN_E_clISD_SD_SD_SD_EEDaS11_S12_SI_SN_EUlS11_E_NS1_11comp_targetILNS1_3genE10ELNS1_11target_archE1201ELNS1_3gpuE5ELNS1_3repE0EEENS1_47radix_sort_onesweep_sort_config_static_selectorELNS0_4arch9wavefront6targetE1EEEvSI_.has_recursion, 0
	.set _ZN7rocprim17ROCPRIM_400000_NS6detail17trampoline_kernelINS0_14default_configENS1_35radix_sort_onesweep_config_selectorIxxEEZZNS1_29radix_sort_onesweep_iterationIS3_Lb0EN6thrust23THRUST_200600_302600_NS6detail15normal_iteratorINS8_10device_ptrIxEEEESD_SD_SD_jNS0_19identity_decomposerENS1_16block_id_wrapperIjLb1EEEEE10hipError_tT1_PNSt15iterator_traitsISI_E10value_typeET2_T3_PNSJ_ISO_E10value_typeET4_T5_PST_SU_PNS1_23onesweep_lookback_stateEbbT6_jjT7_P12ihipStream_tbENKUlT_T0_SI_SN_E_clISD_SD_SD_SD_EEDaS11_S12_SI_SN_EUlS11_E_NS1_11comp_targetILNS1_3genE10ELNS1_11target_archE1201ELNS1_3gpuE5ELNS1_3repE0EEENS1_47radix_sort_onesweep_sort_config_static_selectorELNS0_4arch9wavefront6targetE1EEEvSI_.has_indirect_call, 0
	.section	.AMDGPU.csdata,"",@progbits
; Kernel info:
; codeLenInByte = 0
; TotalNumSgprs: 6
; NumVgprs: 0
; NumAgprs: 0
; TotalNumVgprs: 0
; ScratchSize: 0
; MemoryBound: 0
; FloatMode: 240
; IeeeMode: 1
; LDSByteSize: 0 bytes/workgroup (compile time only)
; SGPRBlocks: 0
; VGPRBlocks: 0
; NumSGPRsForWavesPerEU: 6
; NumVGPRsForWavesPerEU: 1
; AccumOffset: 4
; Occupancy: 8
; WaveLimiterHint : 0
; COMPUTE_PGM_RSRC2:SCRATCH_EN: 0
; COMPUTE_PGM_RSRC2:USER_SGPR: 2
; COMPUTE_PGM_RSRC2:TRAP_HANDLER: 0
; COMPUTE_PGM_RSRC2:TGID_X_EN: 1
; COMPUTE_PGM_RSRC2:TGID_Y_EN: 0
; COMPUTE_PGM_RSRC2:TGID_Z_EN: 0
; COMPUTE_PGM_RSRC2:TIDIG_COMP_CNT: 0
; COMPUTE_PGM_RSRC3_GFX90A:ACCUM_OFFSET: 0
; COMPUTE_PGM_RSRC3_GFX90A:TG_SPLIT: 0
	.section	.text._ZN7rocprim17ROCPRIM_400000_NS6detail17trampoline_kernelINS0_14default_configENS1_35radix_sort_onesweep_config_selectorIxxEEZZNS1_29radix_sort_onesweep_iterationIS3_Lb0EN6thrust23THRUST_200600_302600_NS6detail15normal_iteratorINS8_10device_ptrIxEEEESD_SD_SD_jNS0_19identity_decomposerENS1_16block_id_wrapperIjLb1EEEEE10hipError_tT1_PNSt15iterator_traitsISI_E10value_typeET2_T3_PNSJ_ISO_E10value_typeET4_T5_PST_SU_PNS1_23onesweep_lookback_stateEbbT6_jjT7_P12ihipStream_tbENKUlT_T0_SI_SN_E_clISD_SD_SD_SD_EEDaS11_S12_SI_SN_EUlS11_E_NS1_11comp_targetILNS1_3genE9ELNS1_11target_archE1100ELNS1_3gpuE3ELNS1_3repE0EEENS1_47radix_sort_onesweep_sort_config_static_selectorELNS0_4arch9wavefront6targetE1EEEvSI_,"axG",@progbits,_ZN7rocprim17ROCPRIM_400000_NS6detail17trampoline_kernelINS0_14default_configENS1_35radix_sort_onesweep_config_selectorIxxEEZZNS1_29radix_sort_onesweep_iterationIS3_Lb0EN6thrust23THRUST_200600_302600_NS6detail15normal_iteratorINS8_10device_ptrIxEEEESD_SD_SD_jNS0_19identity_decomposerENS1_16block_id_wrapperIjLb1EEEEE10hipError_tT1_PNSt15iterator_traitsISI_E10value_typeET2_T3_PNSJ_ISO_E10value_typeET4_T5_PST_SU_PNS1_23onesweep_lookback_stateEbbT6_jjT7_P12ihipStream_tbENKUlT_T0_SI_SN_E_clISD_SD_SD_SD_EEDaS11_S12_SI_SN_EUlS11_E_NS1_11comp_targetILNS1_3genE9ELNS1_11target_archE1100ELNS1_3gpuE3ELNS1_3repE0EEENS1_47radix_sort_onesweep_sort_config_static_selectorELNS0_4arch9wavefront6targetE1EEEvSI_,comdat
	.protected	_ZN7rocprim17ROCPRIM_400000_NS6detail17trampoline_kernelINS0_14default_configENS1_35radix_sort_onesweep_config_selectorIxxEEZZNS1_29radix_sort_onesweep_iterationIS3_Lb0EN6thrust23THRUST_200600_302600_NS6detail15normal_iteratorINS8_10device_ptrIxEEEESD_SD_SD_jNS0_19identity_decomposerENS1_16block_id_wrapperIjLb1EEEEE10hipError_tT1_PNSt15iterator_traitsISI_E10value_typeET2_T3_PNSJ_ISO_E10value_typeET4_T5_PST_SU_PNS1_23onesweep_lookback_stateEbbT6_jjT7_P12ihipStream_tbENKUlT_T0_SI_SN_E_clISD_SD_SD_SD_EEDaS11_S12_SI_SN_EUlS11_E_NS1_11comp_targetILNS1_3genE9ELNS1_11target_archE1100ELNS1_3gpuE3ELNS1_3repE0EEENS1_47radix_sort_onesweep_sort_config_static_selectorELNS0_4arch9wavefront6targetE1EEEvSI_ ; -- Begin function _ZN7rocprim17ROCPRIM_400000_NS6detail17trampoline_kernelINS0_14default_configENS1_35radix_sort_onesweep_config_selectorIxxEEZZNS1_29radix_sort_onesweep_iterationIS3_Lb0EN6thrust23THRUST_200600_302600_NS6detail15normal_iteratorINS8_10device_ptrIxEEEESD_SD_SD_jNS0_19identity_decomposerENS1_16block_id_wrapperIjLb1EEEEE10hipError_tT1_PNSt15iterator_traitsISI_E10value_typeET2_T3_PNSJ_ISO_E10value_typeET4_T5_PST_SU_PNS1_23onesweep_lookback_stateEbbT6_jjT7_P12ihipStream_tbENKUlT_T0_SI_SN_E_clISD_SD_SD_SD_EEDaS11_S12_SI_SN_EUlS11_E_NS1_11comp_targetILNS1_3genE9ELNS1_11target_archE1100ELNS1_3gpuE3ELNS1_3repE0EEENS1_47radix_sort_onesweep_sort_config_static_selectorELNS0_4arch9wavefront6targetE1EEEvSI_
	.globl	_ZN7rocprim17ROCPRIM_400000_NS6detail17trampoline_kernelINS0_14default_configENS1_35radix_sort_onesweep_config_selectorIxxEEZZNS1_29radix_sort_onesweep_iterationIS3_Lb0EN6thrust23THRUST_200600_302600_NS6detail15normal_iteratorINS8_10device_ptrIxEEEESD_SD_SD_jNS0_19identity_decomposerENS1_16block_id_wrapperIjLb1EEEEE10hipError_tT1_PNSt15iterator_traitsISI_E10value_typeET2_T3_PNSJ_ISO_E10value_typeET4_T5_PST_SU_PNS1_23onesweep_lookback_stateEbbT6_jjT7_P12ihipStream_tbENKUlT_T0_SI_SN_E_clISD_SD_SD_SD_EEDaS11_S12_SI_SN_EUlS11_E_NS1_11comp_targetILNS1_3genE9ELNS1_11target_archE1100ELNS1_3gpuE3ELNS1_3repE0EEENS1_47radix_sort_onesweep_sort_config_static_selectorELNS0_4arch9wavefront6targetE1EEEvSI_
	.p2align	8
	.type	_ZN7rocprim17ROCPRIM_400000_NS6detail17trampoline_kernelINS0_14default_configENS1_35radix_sort_onesweep_config_selectorIxxEEZZNS1_29radix_sort_onesweep_iterationIS3_Lb0EN6thrust23THRUST_200600_302600_NS6detail15normal_iteratorINS8_10device_ptrIxEEEESD_SD_SD_jNS0_19identity_decomposerENS1_16block_id_wrapperIjLb1EEEEE10hipError_tT1_PNSt15iterator_traitsISI_E10value_typeET2_T3_PNSJ_ISO_E10value_typeET4_T5_PST_SU_PNS1_23onesweep_lookback_stateEbbT6_jjT7_P12ihipStream_tbENKUlT_T0_SI_SN_E_clISD_SD_SD_SD_EEDaS11_S12_SI_SN_EUlS11_E_NS1_11comp_targetILNS1_3genE9ELNS1_11target_archE1100ELNS1_3gpuE3ELNS1_3repE0EEENS1_47radix_sort_onesweep_sort_config_static_selectorELNS0_4arch9wavefront6targetE1EEEvSI_,@function
_ZN7rocprim17ROCPRIM_400000_NS6detail17trampoline_kernelINS0_14default_configENS1_35radix_sort_onesweep_config_selectorIxxEEZZNS1_29radix_sort_onesweep_iterationIS3_Lb0EN6thrust23THRUST_200600_302600_NS6detail15normal_iteratorINS8_10device_ptrIxEEEESD_SD_SD_jNS0_19identity_decomposerENS1_16block_id_wrapperIjLb1EEEEE10hipError_tT1_PNSt15iterator_traitsISI_E10value_typeET2_T3_PNSJ_ISO_E10value_typeET4_T5_PST_SU_PNS1_23onesweep_lookback_stateEbbT6_jjT7_P12ihipStream_tbENKUlT_T0_SI_SN_E_clISD_SD_SD_SD_EEDaS11_S12_SI_SN_EUlS11_E_NS1_11comp_targetILNS1_3genE9ELNS1_11target_archE1100ELNS1_3gpuE3ELNS1_3repE0EEENS1_47radix_sort_onesweep_sort_config_static_selectorELNS0_4arch9wavefront6targetE1EEEvSI_: ; @_ZN7rocprim17ROCPRIM_400000_NS6detail17trampoline_kernelINS0_14default_configENS1_35radix_sort_onesweep_config_selectorIxxEEZZNS1_29radix_sort_onesweep_iterationIS3_Lb0EN6thrust23THRUST_200600_302600_NS6detail15normal_iteratorINS8_10device_ptrIxEEEESD_SD_SD_jNS0_19identity_decomposerENS1_16block_id_wrapperIjLb1EEEEE10hipError_tT1_PNSt15iterator_traitsISI_E10value_typeET2_T3_PNSJ_ISO_E10value_typeET4_T5_PST_SU_PNS1_23onesweep_lookback_stateEbbT6_jjT7_P12ihipStream_tbENKUlT_T0_SI_SN_E_clISD_SD_SD_SD_EEDaS11_S12_SI_SN_EUlS11_E_NS1_11comp_targetILNS1_3genE9ELNS1_11target_archE1100ELNS1_3gpuE3ELNS1_3repE0EEENS1_47radix_sort_onesweep_sort_config_static_selectorELNS0_4arch9wavefront6targetE1EEEvSI_
; %bb.0:
	.section	.rodata,"a",@progbits
	.p2align	6, 0x0
	.amdhsa_kernel _ZN7rocprim17ROCPRIM_400000_NS6detail17trampoline_kernelINS0_14default_configENS1_35radix_sort_onesweep_config_selectorIxxEEZZNS1_29radix_sort_onesweep_iterationIS3_Lb0EN6thrust23THRUST_200600_302600_NS6detail15normal_iteratorINS8_10device_ptrIxEEEESD_SD_SD_jNS0_19identity_decomposerENS1_16block_id_wrapperIjLb1EEEEE10hipError_tT1_PNSt15iterator_traitsISI_E10value_typeET2_T3_PNSJ_ISO_E10value_typeET4_T5_PST_SU_PNS1_23onesweep_lookback_stateEbbT6_jjT7_P12ihipStream_tbENKUlT_T0_SI_SN_E_clISD_SD_SD_SD_EEDaS11_S12_SI_SN_EUlS11_E_NS1_11comp_targetILNS1_3genE9ELNS1_11target_archE1100ELNS1_3gpuE3ELNS1_3repE0EEENS1_47radix_sort_onesweep_sort_config_static_selectorELNS0_4arch9wavefront6targetE1EEEvSI_
		.amdhsa_group_segment_fixed_size 0
		.amdhsa_private_segment_fixed_size 0
		.amdhsa_kernarg_size 88
		.amdhsa_user_sgpr_count 2
		.amdhsa_user_sgpr_dispatch_ptr 0
		.amdhsa_user_sgpr_queue_ptr 0
		.amdhsa_user_sgpr_kernarg_segment_ptr 1
		.amdhsa_user_sgpr_dispatch_id 0
		.amdhsa_user_sgpr_kernarg_preload_length 0
		.amdhsa_user_sgpr_kernarg_preload_offset 0
		.amdhsa_user_sgpr_private_segment_size 0
		.amdhsa_uses_dynamic_stack 0
		.amdhsa_enable_private_segment 0
		.amdhsa_system_sgpr_workgroup_id_x 1
		.amdhsa_system_sgpr_workgroup_id_y 0
		.amdhsa_system_sgpr_workgroup_id_z 0
		.amdhsa_system_sgpr_workgroup_info 0
		.amdhsa_system_vgpr_workitem_id 0
		.amdhsa_next_free_vgpr 1
		.amdhsa_next_free_sgpr 0
		.amdhsa_accum_offset 4
		.amdhsa_reserve_vcc 0
		.amdhsa_float_round_mode_32 0
		.amdhsa_float_round_mode_16_64 0
		.amdhsa_float_denorm_mode_32 3
		.amdhsa_float_denorm_mode_16_64 3
		.amdhsa_dx10_clamp 1
		.amdhsa_ieee_mode 1
		.amdhsa_fp16_overflow 0
		.amdhsa_tg_split 0
		.amdhsa_exception_fp_ieee_invalid_op 0
		.amdhsa_exception_fp_denorm_src 0
		.amdhsa_exception_fp_ieee_div_zero 0
		.amdhsa_exception_fp_ieee_overflow 0
		.amdhsa_exception_fp_ieee_underflow 0
		.amdhsa_exception_fp_ieee_inexact 0
		.amdhsa_exception_int_div_zero 0
	.end_amdhsa_kernel
	.section	.text._ZN7rocprim17ROCPRIM_400000_NS6detail17trampoline_kernelINS0_14default_configENS1_35radix_sort_onesweep_config_selectorIxxEEZZNS1_29radix_sort_onesweep_iterationIS3_Lb0EN6thrust23THRUST_200600_302600_NS6detail15normal_iteratorINS8_10device_ptrIxEEEESD_SD_SD_jNS0_19identity_decomposerENS1_16block_id_wrapperIjLb1EEEEE10hipError_tT1_PNSt15iterator_traitsISI_E10value_typeET2_T3_PNSJ_ISO_E10value_typeET4_T5_PST_SU_PNS1_23onesweep_lookback_stateEbbT6_jjT7_P12ihipStream_tbENKUlT_T0_SI_SN_E_clISD_SD_SD_SD_EEDaS11_S12_SI_SN_EUlS11_E_NS1_11comp_targetILNS1_3genE9ELNS1_11target_archE1100ELNS1_3gpuE3ELNS1_3repE0EEENS1_47radix_sort_onesweep_sort_config_static_selectorELNS0_4arch9wavefront6targetE1EEEvSI_,"axG",@progbits,_ZN7rocprim17ROCPRIM_400000_NS6detail17trampoline_kernelINS0_14default_configENS1_35radix_sort_onesweep_config_selectorIxxEEZZNS1_29radix_sort_onesweep_iterationIS3_Lb0EN6thrust23THRUST_200600_302600_NS6detail15normal_iteratorINS8_10device_ptrIxEEEESD_SD_SD_jNS0_19identity_decomposerENS1_16block_id_wrapperIjLb1EEEEE10hipError_tT1_PNSt15iterator_traitsISI_E10value_typeET2_T3_PNSJ_ISO_E10value_typeET4_T5_PST_SU_PNS1_23onesweep_lookback_stateEbbT6_jjT7_P12ihipStream_tbENKUlT_T0_SI_SN_E_clISD_SD_SD_SD_EEDaS11_S12_SI_SN_EUlS11_E_NS1_11comp_targetILNS1_3genE9ELNS1_11target_archE1100ELNS1_3gpuE3ELNS1_3repE0EEENS1_47radix_sort_onesweep_sort_config_static_selectorELNS0_4arch9wavefront6targetE1EEEvSI_,comdat
.Lfunc_end1204:
	.size	_ZN7rocprim17ROCPRIM_400000_NS6detail17trampoline_kernelINS0_14default_configENS1_35radix_sort_onesweep_config_selectorIxxEEZZNS1_29radix_sort_onesweep_iterationIS3_Lb0EN6thrust23THRUST_200600_302600_NS6detail15normal_iteratorINS8_10device_ptrIxEEEESD_SD_SD_jNS0_19identity_decomposerENS1_16block_id_wrapperIjLb1EEEEE10hipError_tT1_PNSt15iterator_traitsISI_E10value_typeET2_T3_PNSJ_ISO_E10value_typeET4_T5_PST_SU_PNS1_23onesweep_lookback_stateEbbT6_jjT7_P12ihipStream_tbENKUlT_T0_SI_SN_E_clISD_SD_SD_SD_EEDaS11_S12_SI_SN_EUlS11_E_NS1_11comp_targetILNS1_3genE9ELNS1_11target_archE1100ELNS1_3gpuE3ELNS1_3repE0EEENS1_47radix_sort_onesweep_sort_config_static_selectorELNS0_4arch9wavefront6targetE1EEEvSI_, .Lfunc_end1204-_ZN7rocprim17ROCPRIM_400000_NS6detail17trampoline_kernelINS0_14default_configENS1_35radix_sort_onesweep_config_selectorIxxEEZZNS1_29radix_sort_onesweep_iterationIS3_Lb0EN6thrust23THRUST_200600_302600_NS6detail15normal_iteratorINS8_10device_ptrIxEEEESD_SD_SD_jNS0_19identity_decomposerENS1_16block_id_wrapperIjLb1EEEEE10hipError_tT1_PNSt15iterator_traitsISI_E10value_typeET2_T3_PNSJ_ISO_E10value_typeET4_T5_PST_SU_PNS1_23onesweep_lookback_stateEbbT6_jjT7_P12ihipStream_tbENKUlT_T0_SI_SN_E_clISD_SD_SD_SD_EEDaS11_S12_SI_SN_EUlS11_E_NS1_11comp_targetILNS1_3genE9ELNS1_11target_archE1100ELNS1_3gpuE3ELNS1_3repE0EEENS1_47radix_sort_onesweep_sort_config_static_selectorELNS0_4arch9wavefront6targetE1EEEvSI_
                                        ; -- End function
	.set _ZN7rocprim17ROCPRIM_400000_NS6detail17trampoline_kernelINS0_14default_configENS1_35radix_sort_onesweep_config_selectorIxxEEZZNS1_29radix_sort_onesweep_iterationIS3_Lb0EN6thrust23THRUST_200600_302600_NS6detail15normal_iteratorINS8_10device_ptrIxEEEESD_SD_SD_jNS0_19identity_decomposerENS1_16block_id_wrapperIjLb1EEEEE10hipError_tT1_PNSt15iterator_traitsISI_E10value_typeET2_T3_PNSJ_ISO_E10value_typeET4_T5_PST_SU_PNS1_23onesweep_lookback_stateEbbT6_jjT7_P12ihipStream_tbENKUlT_T0_SI_SN_E_clISD_SD_SD_SD_EEDaS11_S12_SI_SN_EUlS11_E_NS1_11comp_targetILNS1_3genE9ELNS1_11target_archE1100ELNS1_3gpuE3ELNS1_3repE0EEENS1_47radix_sort_onesweep_sort_config_static_selectorELNS0_4arch9wavefront6targetE1EEEvSI_.num_vgpr, 0
	.set _ZN7rocprim17ROCPRIM_400000_NS6detail17trampoline_kernelINS0_14default_configENS1_35radix_sort_onesweep_config_selectorIxxEEZZNS1_29radix_sort_onesweep_iterationIS3_Lb0EN6thrust23THRUST_200600_302600_NS6detail15normal_iteratorINS8_10device_ptrIxEEEESD_SD_SD_jNS0_19identity_decomposerENS1_16block_id_wrapperIjLb1EEEEE10hipError_tT1_PNSt15iterator_traitsISI_E10value_typeET2_T3_PNSJ_ISO_E10value_typeET4_T5_PST_SU_PNS1_23onesweep_lookback_stateEbbT6_jjT7_P12ihipStream_tbENKUlT_T0_SI_SN_E_clISD_SD_SD_SD_EEDaS11_S12_SI_SN_EUlS11_E_NS1_11comp_targetILNS1_3genE9ELNS1_11target_archE1100ELNS1_3gpuE3ELNS1_3repE0EEENS1_47radix_sort_onesweep_sort_config_static_selectorELNS0_4arch9wavefront6targetE1EEEvSI_.num_agpr, 0
	.set _ZN7rocprim17ROCPRIM_400000_NS6detail17trampoline_kernelINS0_14default_configENS1_35radix_sort_onesweep_config_selectorIxxEEZZNS1_29radix_sort_onesweep_iterationIS3_Lb0EN6thrust23THRUST_200600_302600_NS6detail15normal_iteratorINS8_10device_ptrIxEEEESD_SD_SD_jNS0_19identity_decomposerENS1_16block_id_wrapperIjLb1EEEEE10hipError_tT1_PNSt15iterator_traitsISI_E10value_typeET2_T3_PNSJ_ISO_E10value_typeET4_T5_PST_SU_PNS1_23onesweep_lookback_stateEbbT6_jjT7_P12ihipStream_tbENKUlT_T0_SI_SN_E_clISD_SD_SD_SD_EEDaS11_S12_SI_SN_EUlS11_E_NS1_11comp_targetILNS1_3genE9ELNS1_11target_archE1100ELNS1_3gpuE3ELNS1_3repE0EEENS1_47radix_sort_onesweep_sort_config_static_selectorELNS0_4arch9wavefront6targetE1EEEvSI_.numbered_sgpr, 0
	.set _ZN7rocprim17ROCPRIM_400000_NS6detail17trampoline_kernelINS0_14default_configENS1_35radix_sort_onesweep_config_selectorIxxEEZZNS1_29radix_sort_onesweep_iterationIS3_Lb0EN6thrust23THRUST_200600_302600_NS6detail15normal_iteratorINS8_10device_ptrIxEEEESD_SD_SD_jNS0_19identity_decomposerENS1_16block_id_wrapperIjLb1EEEEE10hipError_tT1_PNSt15iterator_traitsISI_E10value_typeET2_T3_PNSJ_ISO_E10value_typeET4_T5_PST_SU_PNS1_23onesweep_lookback_stateEbbT6_jjT7_P12ihipStream_tbENKUlT_T0_SI_SN_E_clISD_SD_SD_SD_EEDaS11_S12_SI_SN_EUlS11_E_NS1_11comp_targetILNS1_3genE9ELNS1_11target_archE1100ELNS1_3gpuE3ELNS1_3repE0EEENS1_47radix_sort_onesweep_sort_config_static_selectorELNS0_4arch9wavefront6targetE1EEEvSI_.num_named_barrier, 0
	.set _ZN7rocprim17ROCPRIM_400000_NS6detail17trampoline_kernelINS0_14default_configENS1_35radix_sort_onesweep_config_selectorIxxEEZZNS1_29radix_sort_onesweep_iterationIS3_Lb0EN6thrust23THRUST_200600_302600_NS6detail15normal_iteratorINS8_10device_ptrIxEEEESD_SD_SD_jNS0_19identity_decomposerENS1_16block_id_wrapperIjLb1EEEEE10hipError_tT1_PNSt15iterator_traitsISI_E10value_typeET2_T3_PNSJ_ISO_E10value_typeET4_T5_PST_SU_PNS1_23onesweep_lookback_stateEbbT6_jjT7_P12ihipStream_tbENKUlT_T0_SI_SN_E_clISD_SD_SD_SD_EEDaS11_S12_SI_SN_EUlS11_E_NS1_11comp_targetILNS1_3genE9ELNS1_11target_archE1100ELNS1_3gpuE3ELNS1_3repE0EEENS1_47radix_sort_onesweep_sort_config_static_selectorELNS0_4arch9wavefront6targetE1EEEvSI_.private_seg_size, 0
	.set _ZN7rocprim17ROCPRIM_400000_NS6detail17trampoline_kernelINS0_14default_configENS1_35radix_sort_onesweep_config_selectorIxxEEZZNS1_29radix_sort_onesweep_iterationIS3_Lb0EN6thrust23THRUST_200600_302600_NS6detail15normal_iteratorINS8_10device_ptrIxEEEESD_SD_SD_jNS0_19identity_decomposerENS1_16block_id_wrapperIjLb1EEEEE10hipError_tT1_PNSt15iterator_traitsISI_E10value_typeET2_T3_PNSJ_ISO_E10value_typeET4_T5_PST_SU_PNS1_23onesweep_lookback_stateEbbT6_jjT7_P12ihipStream_tbENKUlT_T0_SI_SN_E_clISD_SD_SD_SD_EEDaS11_S12_SI_SN_EUlS11_E_NS1_11comp_targetILNS1_3genE9ELNS1_11target_archE1100ELNS1_3gpuE3ELNS1_3repE0EEENS1_47radix_sort_onesweep_sort_config_static_selectorELNS0_4arch9wavefront6targetE1EEEvSI_.uses_vcc, 0
	.set _ZN7rocprim17ROCPRIM_400000_NS6detail17trampoline_kernelINS0_14default_configENS1_35radix_sort_onesweep_config_selectorIxxEEZZNS1_29radix_sort_onesweep_iterationIS3_Lb0EN6thrust23THRUST_200600_302600_NS6detail15normal_iteratorINS8_10device_ptrIxEEEESD_SD_SD_jNS0_19identity_decomposerENS1_16block_id_wrapperIjLb1EEEEE10hipError_tT1_PNSt15iterator_traitsISI_E10value_typeET2_T3_PNSJ_ISO_E10value_typeET4_T5_PST_SU_PNS1_23onesweep_lookback_stateEbbT6_jjT7_P12ihipStream_tbENKUlT_T0_SI_SN_E_clISD_SD_SD_SD_EEDaS11_S12_SI_SN_EUlS11_E_NS1_11comp_targetILNS1_3genE9ELNS1_11target_archE1100ELNS1_3gpuE3ELNS1_3repE0EEENS1_47radix_sort_onesweep_sort_config_static_selectorELNS0_4arch9wavefront6targetE1EEEvSI_.uses_flat_scratch, 0
	.set _ZN7rocprim17ROCPRIM_400000_NS6detail17trampoline_kernelINS0_14default_configENS1_35radix_sort_onesweep_config_selectorIxxEEZZNS1_29radix_sort_onesweep_iterationIS3_Lb0EN6thrust23THRUST_200600_302600_NS6detail15normal_iteratorINS8_10device_ptrIxEEEESD_SD_SD_jNS0_19identity_decomposerENS1_16block_id_wrapperIjLb1EEEEE10hipError_tT1_PNSt15iterator_traitsISI_E10value_typeET2_T3_PNSJ_ISO_E10value_typeET4_T5_PST_SU_PNS1_23onesweep_lookback_stateEbbT6_jjT7_P12ihipStream_tbENKUlT_T0_SI_SN_E_clISD_SD_SD_SD_EEDaS11_S12_SI_SN_EUlS11_E_NS1_11comp_targetILNS1_3genE9ELNS1_11target_archE1100ELNS1_3gpuE3ELNS1_3repE0EEENS1_47radix_sort_onesweep_sort_config_static_selectorELNS0_4arch9wavefront6targetE1EEEvSI_.has_dyn_sized_stack, 0
	.set _ZN7rocprim17ROCPRIM_400000_NS6detail17trampoline_kernelINS0_14default_configENS1_35radix_sort_onesweep_config_selectorIxxEEZZNS1_29radix_sort_onesweep_iterationIS3_Lb0EN6thrust23THRUST_200600_302600_NS6detail15normal_iteratorINS8_10device_ptrIxEEEESD_SD_SD_jNS0_19identity_decomposerENS1_16block_id_wrapperIjLb1EEEEE10hipError_tT1_PNSt15iterator_traitsISI_E10value_typeET2_T3_PNSJ_ISO_E10value_typeET4_T5_PST_SU_PNS1_23onesweep_lookback_stateEbbT6_jjT7_P12ihipStream_tbENKUlT_T0_SI_SN_E_clISD_SD_SD_SD_EEDaS11_S12_SI_SN_EUlS11_E_NS1_11comp_targetILNS1_3genE9ELNS1_11target_archE1100ELNS1_3gpuE3ELNS1_3repE0EEENS1_47radix_sort_onesweep_sort_config_static_selectorELNS0_4arch9wavefront6targetE1EEEvSI_.has_recursion, 0
	.set _ZN7rocprim17ROCPRIM_400000_NS6detail17trampoline_kernelINS0_14default_configENS1_35radix_sort_onesweep_config_selectorIxxEEZZNS1_29radix_sort_onesweep_iterationIS3_Lb0EN6thrust23THRUST_200600_302600_NS6detail15normal_iteratorINS8_10device_ptrIxEEEESD_SD_SD_jNS0_19identity_decomposerENS1_16block_id_wrapperIjLb1EEEEE10hipError_tT1_PNSt15iterator_traitsISI_E10value_typeET2_T3_PNSJ_ISO_E10value_typeET4_T5_PST_SU_PNS1_23onesweep_lookback_stateEbbT6_jjT7_P12ihipStream_tbENKUlT_T0_SI_SN_E_clISD_SD_SD_SD_EEDaS11_S12_SI_SN_EUlS11_E_NS1_11comp_targetILNS1_3genE9ELNS1_11target_archE1100ELNS1_3gpuE3ELNS1_3repE0EEENS1_47radix_sort_onesweep_sort_config_static_selectorELNS0_4arch9wavefront6targetE1EEEvSI_.has_indirect_call, 0
	.section	.AMDGPU.csdata,"",@progbits
; Kernel info:
; codeLenInByte = 0
; TotalNumSgprs: 6
; NumVgprs: 0
; NumAgprs: 0
; TotalNumVgprs: 0
; ScratchSize: 0
; MemoryBound: 0
; FloatMode: 240
; IeeeMode: 1
; LDSByteSize: 0 bytes/workgroup (compile time only)
; SGPRBlocks: 0
; VGPRBlocks: 0
; NumSGPRsForWavesPerEU: 6
; NumVGPRsForWavesPerEU: 1
; AccumOffset: 4
; Occupancy: 8
; WaveLimiterHint : 0
; COMPUTE_PGM_RSRC2:SCRATCH_EN: 0
; COMPUTE_PGM_RSRC2:USER_SGPR: 2
; COMPUTE_PGM_RSRC2:TRAP_HANDLER: 0
; COMPUTE_PGM_RSRC2:TGID_X_EN: 1
; COMPUTE_PGM_RSRC2:TGID_Y_EN: 0
; COMPUTE_PGM_RSRC2:TGID_Z_EN: 0
; COMPUTE_PGM_RSRC2:TIDIG_COMP_CNT: 0
; COMPUTE_PGM_RSRC3_GFX90A:ACCUM_OFFSET: 0
; COMPUTE_PGM_RSRC3_GFX90A:TG_SPLIT: 0
	.section	.text._ZN7rocprim17ROCPRIM_400000_NS6detail17trampoline_kernelINS0_14default_configENS1_35radix_sort_onesweep_config_selectorIxxEEZZNS1_29radix_sort_onesweep_iterationIS3_Lb0EN6thrust23THRUST_200600_302600_NS6detail15normal_iteratorINS8_10device_ptrIxEEEESD_SD_SD_jNS0_19identity_decomposerENS1_16block_id_wrapperIjLb1EEEEE10hipError_tT1_PNSt15iterator_traitsISI_E10value_typeET2_T3_PNSJ_ISO_E10value_typeET4_T5_PST_SU_PNS1_23onesweep_lookback_stateEbbT6_jjT7_P12ihipStream_tbENKUlT_T0_SI_SN_E_clISD_SD_SD_SD_EEDaS11_S12_SI_SN_EUlS11_E_NS1_11comp_targetILNS1_3genE8ELNS1_11target_archE1030ELNS1_3gpuE2ELNS1_3repE0EEENS1_47radix_sort_onesweep_sort_config_static_selectorELNS0_4arch9wavefront6targetE1EEEvSI_,"axG",@progbits,_ZN7rocprim17ROCPRIM_400000_NS6detail17trampoline_kernelINS0_14default_configENS1_35radix_sort_onesweep_config_selectorIxxEEZZNS1_29radix_sort_onesweep_iterationIS3_Lb0EN6thrust23THRUST_200600_302600_NS6detail15normal_iteratorINS8_10device_ptrIxEEEESD_SD_SD_jNS0_19identity_decomposerENS1_16block_id_wrapperIjLb1EEEEE10hipError_tT1_PNSt15iterator_traitsISI_E10value_typeET2_T3_PNSJ_ISO_E10value_typeET4_T5_PST_SU_PNS1_23onesweep_lookback_stateEbbT6_jjT7_P12ihipStream_tbENKUlT_T0_SI_SN_E_clISD_SD_SD_SD_EEDaS11_S12_SI_SN_EUlS11_E_NS1_11comp_targetILNS1_3genE8ELNS1_11target_archE1030ELNS1_3gpuE2ELNS1_3repE0EEENS1_47radix_sort_onesweep_sort_config_static_selectorELNS0_4arch9wavefront6targetE1EEEvSI_,comdat
	.protected	_ZN7rocprim17ROCPRIM_400000_NS6detail17trampoline_kernelINS0_14default_configENS1_35radix_sort_onesweep_config_selectorIxxEEZZNS1_29radix_sort_onesweep_iterationIS3_Lb0EN6thrust23THRUST_200600_302600_NS6detail15normal_iteratorINS8_10device_ptrIxEEEESD_SD_SD_jNS0_19identity_decomposerENS1_16block_id_wrapperIjLb1EEEEE10hipError_tT1_PNSt15iterator_traitsISI_E10value_typeET2_T3_PNSJ_ISO_E10value_typeET4_T5_PST_SU_PNS1_23onesweep_lookback_stateEbbT6_jjT7_P12ihipStream_tbENKUlT_T0_SI_SN_E_clISD_SD_SD_SD_EEDaS11_S12_SI_SN_EUlS11_E_NS1_11comp_targetILNS1_3genE8ELNS1_11target_archE1030ELNS1_3gpuE2ELNS1_3repE0EEENS1_47radix_sort_onesweep_sort_config_static_selectorELNS0_4arch9wavefront6targetE1EEEvSI_ ; -- Begin function _ZN7rocprim17ROCPRIM_400000_NS6detail17trampoline_kernelINS0_14default_configENS1_35radix_sort_onesweep_config_selectorIxxEEZZNS1_29radix_sort_onesweep_iterationIS3_Lb0EN6thrust23THRUST_200600_302600_NS6detail15normal_iteratorINS8_10device_ptrIxEEEESD_SD_SD_jNS0_19identity_decomposerENS1_16block_id_wrapperIjLb1EEEEE10hipError_tT1_PNSt15iterator_traitsISI_E10value_typeET2_T3_PNSJ_ISO_E10value_typeET4_T5_PST_SU_PNS1_23onesweep_lookback_stateEbbT6_jjT7_P12ihipStream_tbENKUlT_T0_SI_SN_E_clISD_SD_SD_SD_EEDaS11_S12_SI_SN_EUlS11_E_NS1_11comp_targetILNS1_3genE8ELNS1_11target_archE1030ELNS1_3gpuE2ELNS1_3repE0EEENS1_47radix_sort_onesweep_sort_config_static_selectorELNS0_4arch9wavefront6targetE1EEEvSI_
	.globl	_ZN7rocprim17ROCPRIM_400000_NS6detail17trampoline_kernelINS0_14default_configENS1_35radix_sort_onesweep_config_selectorIxxEEZZNS1_29radix_sort_onesweep_iterationIS3_Lb0EN6thrust23THRUST_200600_302600_NS6detail15normal_iteratorINS8_10device_ptrIxEEEESD_SD_SD_jNS0_19identity_decomposerENS1_16block_id_wrapperIjLb1EEEEE10hipError_tT1_PNSt15iterator_traitsISI_E10value_typeET2_T3_PNSJ_ISO_E10value_typeET4_T5_PST_SU_PNS1_23onesweep_lookback_stateEbbT6_jjT7_P12ihipStream_tbENKUlT_T0_SI_SN_E_clISD_SD_SD_SD_EEDaS11_S12_SI_SN_EUlS11_E_NS1_11comp_targetILNS1_3genE8ELNS1_11target_archE1030ELNS1_3gpuE2ELNS1_3repE0EEENS1_47radix_sort_onesweep_sort_config_static_selectorELNS0_4arch9wavefront6targetE1EEEvSI_
	.p2align	8
	.type	_ZN7rocprim17ROCPRIM_400000_NS6detail17trampoline_kernelINS0_14default_configENS1_35radix_sort_onesweep_config_selectorIxxEEZZNS1_29radix_sort_onesweep_iterationIS3_Lb0EN6thrust23THRUST_200600_302600_NS6detail15normal_iteratorINS8_10device_ptrIxEEEESD_SD_SD_jNS0_19identity_decomposerENS1_16block_id_wrapperIjLb1EEEEE10hipError_tT1_PNSt15iterator_traitsISI_E10value_typeET2_T3_PNSJ_ISO_E10value_typeET4_T5_PST_SU_PNS1_23onesweep_lookback_stateEbbT6_jjT7_P12ihipStream_tbENKUlT_T0_SI_SN_E_clISD_SD_SD_SD_EEDaS11_S12_SI_SN_EUlS11_E_NS1_11comp_targetILNS1_3genE8ELNS1_11target_archE1030ELNS1_3gpuE2ELNS1_3repE0EEENS1_47radix_sort_onesweep_sort_config_static_selectorELNS0_4arch9wavefront6targetE1EEEvSI_,@function
_ZN7rocprim17ROCPRIM_400000_NS6detail17trampoline_kernelINS0_14default_configENS1_35radix_sort_onesweep_config_selectorIxxEEZZNS1_29radix_sort_onesweep_iterationIS3_Lb0EN6thrust23THRUST_200600_302600_NS6detail15normal_iteratorINS8_10device_ptrIxEEEESD_SD_SD_jNS0_19identity_decomposerENS1_16block_id_wrapperIjLb1EEEEE10hipError_tT1_PNSt15iterator_traitsISI_E10value_typeET2_T3_PNSJ_ISO_E10value_typeET4_T5_PST_SU_PNS1_23onesweep_lookback_stateEbbT6_jjT7_P12ihipStream_tbENKUlT_T0_SI_SN_E_clISD_SD_SD_SD_EEDaS11_S12_SI_SN_EUlS11_E_NS1_11comp_targetILNS1_3genE8ELNS1_11target_archE1030ELNS1_3gpuE2ELNS1_3repE0EEENS1_47radix_sort_onesweep_sort_config_static_selectorELNS0_4arch9wavefront6targetE1EEEvSI_: ; @_ZN7rocprim17ROCPRIM_400000_NS6detail17trampoline_kernelINS0_14default_configENS1_35radix_sort_onesweep_config_selectorIxxEEZZNS1_29radix_sort_onesweep_iterationIS3_Lb0EN6thrust23THRUST_200600_302600_NS6detail15normal_iteratorINS8_10device_ptrIxEEEESD_SD_SD_jNS0_19identity_decomposerENS1_16block_id_wrapperIjLb1EEEEE10hipError_tT1_PNSt15iterator_traitsISI_E10value_typeET2_T3_PNSJ_ISO_E10value_typeET4_T5_PST_SU_PNS1_23onesweep_lookback_stateEbbT6_jjT7_P12ihipStream_tbENKUlT_T0_SI_SN_E_clISD_SD_SD_SD_EEDaS11_S12_SI_SN_EUlS11_E_NS1_11comp_targetILNS1_3genE8ELNS1_11target_archE1030ELNS1_3gpuE2ELNS1_3repE0EEENS1_47radix_sort_onesweep_sort_config_static_selectorELNS0_4arch9wavefront6targetE1EEEvSI_
; %bb.0:
	.section	.rodata,"a",@progbits
	.p2align	6, 0x0
	.amdhsa_kernel _ZN7rocprim17ROCPRIM_400000_NS6detail17trampoline_kernelINS0_14default_configENS1_35radix_sort_onesweep_config_selectorIxxEEZZNS1_29radix_sort_onesweep_iterationIS3_Lb0EN6thrust23THRUST_200600_302600_NS6detail15normal_iteratorINS8_10device_ptrIxEEEESD_SD_SD_jNS0_19identity_decomposerENS1_16block_id_wrapperIjLb1EEEEE10hipError_tT1_PNSt15iterator_traitsISI_E10value_typeET2_T3_PNSJ_ISO_E10value_typeET4_T5_PST_SU_PNS1_23onesweep_lookback_stateEbbT6_jjT7_P12ihipStream_tbENKUlT_T0_SI_SN_E_clISD_SD_SD_SD_EEDaS11_S12_SI_SN_EUlS11_E_NS1_11comp_targetILNS1_3genE8ELNS1_11target_archE1030ELNS1_3gpuE2ELNS1_3repE0EEENS1_47radix_sort_onesweep_sort_config_static_selectorELNS0_4arch9wavefront6targetE1EEEvSI_
		.amdhsa_group_segment_fixed_size 0
		.amdhsa_private_segment_fixed_size 0
		.amdhsa_kernarg_size 88
		.amdhsa_user_sgpr_count 2
		.amdhsa_user_sgpr_dispatch_ptr 0
		.amdhsa_user_sgpr_queue_ptr 0
		.amdhsa_user_sgpr_kernarg_segment_ptr 1
		.amdhsa_user_sgpr_dispatch_id 0
		.amdhsa_user_sgpr_kernarg_preload_length 0
		.amdhsa_user_sgpr_kernarg_preload_offset 0
		.amdhsa_user_sgpr_private_segment_size 0
		.amdhsa_uses_dynamic_stack 0
		.amdhsa_enable_private_segment 0
		.amdhsa_system_sgpr_workgroup_id_x 1
		.amdhsa_system_sgpr_workgroup_id_y 0
		.amdhsa_system_sgpr_workgroup_id_z 0
		.amdhsa_system_sgpr_workgroup_info 0
		.amdhsa_system_vgpr_workitem_id 0
		.amdhsa_next_free_vgpr 1
		.amdhsa_next_free_sgpr 0
		.amdhsa_accum_offset 4
		.amdhsa_reserve_vcc 0
		.amdhsa_float_round_mode_32 0
		.amdhsa_float_round_mode_16_64 0
		.amdhsa_float_denorm_mode_32 3
		.amdhsa_float_denorm_mode_16_64 3
		.amdhsa_dx10_clamp 1
		.amdhsa_ieee_mode 1
		.amdhsa_fp16_overflow 0
		.amdhsa_tg_split 0
		.amdhsa_exception_fp_ieee_invalid_op 0
		.amdhsa_exception_fp_denorm_src 0
		.amdhsa_exception_fp_ieee_div_zero 0
		.amdhsa_exception_fp_ieee_overflow 0
		.amdhsa_exception_fp_ieee_underflow 0
		.amdhsa_exception_fp_ieee_inexact 0
		.amdhsa_exception_int_div_zero 0
	.end_amdhsa_kernel
	.section	.text._ZN7rocprim17ROCPRIM_400000_NS6detail17trampoline_kernelINS0_14default_configENS1_35radix_sort_onesweep_config_selectorIxxEEZZNS1_29radix_sort_onesweep_iterationIS3_Lb0EN6thrust23THRUST_200600_302600_NS6detail15normal_iteratorINS8_10device_ptrIxEEEESD_SD_SD_jNS0_19identity_decomposerENS1_16block_id_wrapperIjLb1EEEEE10hipError_tT1_PNSt15iterator_traitsISI_E10value_typeET2_T3_PNSJ_ISO_E10value_typeET4_T5_PST_SU_PNS1_23onesweep_lookback_stateEbbT6_jjT7_P12ihipStream_tbENKUlT_T0_SI_SN_E_clISD_SD_SD_SD_EEDaS11_S12_SI_SN_EUlS11_E_NS1_11comp_targetILNS1_3genE8ELNS1_11target_archE1030ELNS1_3gpuE2ELNS1_3repE0EEENS1_47radix_sort_onesweep_sort_config_static_selectorELNS0_4arch9wavefront6targetE1EEEvSI_,"axG",@progbits,_ZN7rocprim17ROCPRIM_400000_NS6detail17trampoline_kernelINS0_14default_configENS1_35radix_sort_onesweep_config_selectorIxxEEZZNS1_29radix_sort_onesweep_iterationIS3_Lb0EN6thrust23THRUST_200600_302600_NS6detail15normal_iteratorINS8_10device_ptrIxEEEESD_SD_SD_jNS0_19identity_decomposerENS1_16block_id_wrapperIjLb1EEEEE10hipError_tT1_PNSt15iterator_traitsISI_E10value_typeET2_T3_PNSJ_ISO_E10value_typeET4_T5_PST_SU_PNS1_23onesweep_lookback_stateEbbT6_jjT7_P12ihipStream_tbENKUlT_T0_SI_SN_E_clISD_SD_SD_SD_EEDaS11_S12_SI_SN_EUlS11_E_NS1_11comp_targetILNS1_3genE8ELNS1_11target_archE1030ELNS1_3gpuE2ELNS1_3repE0EEENS1_47radix_sort_onesweep_sort_config_static_selectorELNS0_4arch9wavefront6targetE1EEEvSI_,comdat
.Lfunc_end1205:
	.size	_ZN7rocprim17ROCPRIM_400000_NS6detail17trampoline_kernelINS0_14default_configENS1_35radix_sort_onesweep_config_selectorIxxEEZZNS1_29radix_sort_onesweep_iterationIS3_Lb0EN6thrust23THRUST_200600_302600_NS6detail15normal_iteratorINS8_10device_ptrIxEEEESD_SD_SD_jNS0_19identity_decomposerENS1_16block_id_wrapperIjLb1EEEEE10hipError_tT1_PNSt15iterator_traitsISI_E10value_typeET2_T3_PNSJ_ISO_E10value_typeET4_T5_PST_SU_PNS1_23onesweep_lookback_stateEbbT6_jjT7_P12ihipStream_tbENKUlT_T0_SI_SN_E_clISD_SD_SD_SD_EEDaS11_S12_SI_SN_EUlS11_E_NS1_11comp_targetILNS1_3genE8ELNS1_11target_archE1030ELNS1_3gpuE2ELNS1_3repE0EEENS1_47radix_sort_onesweep_sort_config_static_selectorELNS0_4arch9wavefront6targetE1EEEvSI_, .Lfunc_end1205-_ZN7rocprim17ROCPRIM_400000_NS6detail17trampoline_kernelINS0_14default_configENS1_35radix_sort_onesweep_config_selectorIxxEEZZNS1_29radix_sort_onesweep_iterationIS3_Lb0EN6thrust23THRUST_200600_302600_NS6detail15normal_iteratorINS8_10device_ptrIxEEEESD_SD_SD_jNS0_19identity_decomposerENS1_16block_id_wrapperIjLb1EEEEE10hipError_tT1_PNSt15iterator_traitsISI_E10value_typeET2_T3_PNSJ_ISO_E10value_typeET4_T5_PST_SU_PNS1_23onesweep_lookback_stateEbbT6_jjT7_P12ihipStream_tbENKUlT_T0_SI_SN_E_clISD_SD_SD_SD_EEDaS11_S12_SI_SN_EUlS11_E_NS1_11comp_targetILNS1_3genE8ELNS1_11target_archE1030ELNS1_3gpuE2ELNS1_3repE0EEENS1_47radix_sort_onesweep_sort_config_static_selectorELNS0_4arch9wavefront6targetE1EEEvSI_
                                        ; -- End function
	.set _ZN7rocprim17ROCPRIM_400000_NS6detail17trampoline_kernelINS0_14default_configENS1_35radix_sort_onesweep_config_selectorIxxEEZZNS1_29radix_sort_onesweep_iterationIS3_Lb0EN6thrust23THRUST_200600_302600_NS6detail15normal_iteratorINS8_10device_ptrIxEEEESD_SD_SD_jNS0_19identity_decomposerENS1_16block_id_wrapperIjLb1EEEEE10hipError_tT1_PNSt15iterator_traitsISI_E10value_typeET2_T3_PNSJ_ISO_E10value_typeET4_T5_PST_SU_PNS1_23onesweep_lookback_stateEbbT6_jjT7_P12ihipStream_tbENKUlT_T0_SI_SN_E_clISD_SD_SD_SD_EEDaS11_S12_SI_SN_EUlS11_E_NS1_11comp_targetILNS1_3genE8ELNS1_11target_archE1030ELNS1_3gpuE2ELNS1_3repE0EEENS1_47radix_sort_onesweep_sort_config_static_selectorELNS0_4arch9wavefront6targetE1EEEvSI_.num_vgpr, 0
	.set _ZN7rocprim17ROCPRIM_400000_NS6detail17trampoline_kernelINS0_14default_configENS1_35radix_sort_onesweep_config_selectorIxxEEZZNS1_29radix_sort_onesweep_iterationIS3_Lb0EN6thrust23THRUST_200600_302600_NS6detail15normal_iteratorINS8_10device_ptrIxEEEESD_SD_SD_jNS0_19identity_decomposerENS1_16block_id_wrapperIjLb1EEEEE10hipError_tT1_PNSt15iterator_traitsISI_E10value_typeET2_T3_PNSJ_ISO_E10value_typeET4_T5_PST_SU_PNS1_23onesweep_lookback_stateEbbT6_jjT7_P12ihipStream_tbENKUlT_T0_SI_SN_E_clISD_SD_SD_SD_EEDaS11_S12_SI_SN_EUlS11_E_NS1_11comp_targetILNS1_3genE8ELNS1_11target_archE1030ELNS1_3gpuE2ELNS1_3repE0EEENS1_47radix_sort_onesweep_sort_config_static_selectorELNS0_4arch9wavefront6targetE1EEEvSI_.num_agpr, 0
	.set _ZN7rocprim17ROCPRIM_400000_NS6detail17trampoline_kernelINS0_14default_configENS1_35radix_sort_onesweep_config_selectorIxxEEZZNS1_29radix_sort_onesweep_iterationIS3_Lb0EN6thrust23THRUST_200600_302600_NS6detail15normal_iteratorINS8_10device_ptrIxEEEESD_SD_SD_jNS0_19identity_decomposerENS1_16block_id_wrapperIjLb1EEEEE10hipError_tT1_PNSt15iterator_traitsISI_E10value_typeET2_T3_PNSJ_ISO_E10value_typeET4_T5_PST_SU_PNS1_23onesweep_lookback_stateEbbT6_jjT7_P12ihipStream_tbENKUlT_T0_SI_SN_E_clISD_SD_SD_SD_EEDaS11_S12_SI_SN_EUlS11_E_NS1_11comp_targetILNS1_3genE8ELNS1_11target_archE1030ELNS1_3gpuE2ELNS1_3repE0EEENS1_47radix_sort_onesweep_sort_config_static_selectorELNS0_4arch9wavefront6targetE1EEEvSI_.numbered_sgpr, 0
	.set _ZN7rocprim17ROCPRIM_400000_NS6detail17trampoline_kernelINS0_14default_configENS1_35radix_sort_onesweep_config_selectorIxxEEZZNS1_29radix_sort_onesweep_iterationIS3_Lb0EN6thrust23THRUST_200600_302600_NS6detail15normal_iteratorINS8_10device_ptrIxEEEESD_SD_SD_jNS0_19identity_decomposerENS1_16block_id_wrapperIjLb1EEEEE10hipError_tT1_PNSt15iterator_traitsISI_E10value_typeET2_T3_PNSJ_ISO_E10value_typeET4_T5_PST_SU_PNS1_23onesweep_lookback_stateEbbT6_jjT7_P12ihipStream_tbENKUlT_T0_SI_SN_E_clISD_SD_SD_SD_EEDaS11_S12_SI_SN_EUlS11_E_NS1_11comp_targetILNS1_3genE8ELNS1_11target_archE1030ELNS1_3gpuE2ELNS1_3repE0EEENS1_47radix_sort_onesweep_sort_config_static_selectorELNS0_4arch9wavefront6targetE1EEEvSI_.num_named_barrier, 0
	.set _ZN7rocprim17ROCPRIM_400000_NS6detail17trampoline_kernelINS0_14default_configENS1_35radix_sort_onesweep_config_selectorIxxEEZZNS1_29radix_sort_onesweep_iterationIS3_Lb0EN6thrust23THRUST_200600_302600_NS6detail15normal_iteratorINS8_10device_ptrIxEEEESD_SD_SD_jNS0_19identity_decomposerENS1_16block_id_wrapperIjLb1EEEEE10hipError_tT1_PNSt15iterator_traitsISI_E10value_typeET2_T3_PNSJ_ISO_E10value_typeET4_T5_PST_SU_PNS1_23onesweep_lookback_stateEbbT6_jjT7_P12ihipStream_tbENKUlT_T0_SI_SN_E_clISD_SD_SD_SD_EEDaS11_S12_SI_SN_EUlS11_E_NS1_11comp_targetILNS1_3genE8ELNS1_11target_archE1030ELNS1_3gpuE2ELNS1_3repE0EEENS1_47radix_sort_onesweep_sort_config_static_selectorELNS0_4arch9wavefront6targetE1EEEvSI_.private_seg_size, 0
	.set _ZN7rocprim17ROCPRIM_400000_NS6detail17trampoline_kernelINS0_14default_configENS1_35radix_sort_onesweep_config_selectorIxxEEZZNS1_29radix_sort_onesweep_iterationIS3_Lb0EN6thrust23THRUST_200600_302600_NS6detail15normal_iteratorINS8_10device_ptrIxEEEESD_SD_SD_jNS0_19identity_decomposerENS1_16block_id_wrapperIjLb1EEEEE10hipError_tT1_PNSt15iterator_traitsISI_E10value_typeET2_T3_PNSJ_ISO_E10value_typeET4_T5_PST_SU_PNS1_23onesweep_lookback_stateEbbT6_jjT7_P12ihipStream_tbENKUlT_T0_SI_SN_E_clISD_SD_SD_SD_EEDaS11_S12_SI_SN_EUlS11_E_NS1_11comp_targetILNS1_3genE8ELNS1_11target_archE1030ELNS1_3gpuE2ELNS1_3repE0EEENS1_47radix_sort_onesweep_sort_config_static_selectorELNS0_4arch9wavefront6targetE1EEEvSI_.uses_vcc, 0
	.set _ZN7rocprim17ROCPRIM_400000_NS6detail17trampoline_kernelINS0_14default_configENS1_35radix_sort_onesweep_config_selectorIxxEEZZNS1_29radix_sort_onesweep_iterationIS3_Lb0EN6thrust23THRUST_200600_302600_NS6detail15normal_iteratorINS8_10device_ptrIxEEEESD_SD_SD_jNS0_19identity_decomposerENS1_16block_id_wrapperIjLb1EEEEE10hipError_tT1_PNSt15iterator_traitsISI_E10value_typeET2_T3_PNSJ_ISO_E10value_typeET4_T5_PST_SU_PNS1_23onesweep_lookback_stateEbbT6_jjT7_P12ihipStream_tbENKUlT_T0_SI_SN_E_clISD_SD_SD_SD_EEDaS11_S12_SI_SN_EUlS11_E_NS1_11comp_targetILNS1_3genE8ELNS1_11target_archE1030ELNS1_3gpuE2ELNS1_3repE0EEENS1_47radix_sort_onesweep_sort_config_static_selectorELNS0_4arch9wavefront6targetE1EEEvSI_.uses_flat_scratch, 0
	.set _ZN7rocprim17ROCPRIM_400000_NS6detail17trampoline_kernelINS0_14default_configENS1_35radix_sort_onesweep_config_selectorIxxEEZZNS1_29radix_sort_onesweep_iterationIS3_Lb0EN6thrust23THRUST_200600_302600_NS6detail15normal_iteratorINS8_10device_ptrIxEEEESD_SD_SD_jNS0_19identity_decomposerENS1_16block_id_wrapperIjLb1EEEEE10hipError_tT1_PNSt15iterator_traitsISI_E10value_typeET2_T3_PNSJ_ISO_E10value_typeET4_T5_PST_SU_PNS1_23onesweep_lookback_stateEbbT6_jjT7_P12ihipStream_tbENKUlT_T0_SI_SN_E_clISD_SD_SD_SD_EEDaS11_S12_SI_SN_EUlS11_E_NS1_11comp_targetILNS1_3genE8ELNS1_11target_archE1030ELNS1_3gpuE2ELNS1_3repE0EEENS1_47radix_sort_onesweep_sort_config_static_selectorELNS0_4arch9wavefront6targetE1EEEvSI_.has_dyn_sized_stack, 0
	.set _ZN7rocprim17ROCPRIM_400000_NS6detail17trampoline_kernelINS0_14default_configENS1_35radix_sort_onesweep_config_selectorIxxEEZZNS1_29radix_sort_onesweep_iterationIS3_Lb0EN6thrust23THRUST_200600_302600_NS6detail15normal_iteratorINS8_10device_ptrIxEEEESD_SD_SD_jNS0_19identity_decomposerENS1_16block_id_wrapperIjLb1EEEEE10hipError_tT1_PNSt15iterator_traitsISI_E10value_typeET2_T3_PNSJ_ISO_E10value_typeET4_T5_PST_SU_PNS1_23onesweep_lookback_stateEbbT6_jjT7_P12ihipStream_tbENKUlT_T0_SI_SN_E_clISD_SD_SD_SD_EEDaS11_S12_SI_SN_EUlS11_E_NS1_11comp_targetILNS1_3genE8ELNS1_11target_archE1030ELNS1_3gpuE2ELNS1_3repE0EEENS1_47radix_sort_onesweep_sort_config_static_selectorELNS0_4arch9wavefront6targetE1EEEvSI_.has_recursion, 0
	.set _ZN7rocprim17ROCPRIM_400000_NS6detail17trampoline_kernelINS0_14default_configENS1_35radix_sort_onesweep_config_selectorIxxEEZZNS1_29radix_sort_onesweep_iterationIS3_Lb0EN6thrust23THRUST_200600_302600_NS6detail15normal_iteratorINS8_10device_ptrIxEEEESD_SD_SD_jNS0_19identity_decomposerENS1_16block_id_wrapperIjLb1EEEEE10hipError_tT1_PNSt15iterator_traitsISI_E10value_typeET2_T3_PNSJ_ISO_E10value_typeET4_T5_PST_SU_PNS1_23onesweep_lookback_stateEbbT6_jjT7_P12ihipStream_tbENKUlT_T0_SI_SN_E_clISD_SD_SD_SD_EEDaS11_S12_SI_SN_EUlS11_E_NS1_11comp_targetILNS1_3genE8ELNS1_11target_archE1030ELNS1_3gpuE2ELNS1_3repE0EEENS1_47radix_sort_onesweep_sort_config_static_selectorELNS0_4arch9wavefront6targetE1EEEvSI_.has_indirect_call, 0
	.section	.AMDGPU.csdata,"",@progbits
; Kernel info:
; codeLenInByte = 0
; TotalNumSgprs: 6
; NumVgprs: 0
; NumAgprs: 0
; TotalNumVgprs: 0
; ScratchSize: 0
; MemoryBound: 0
; FloatMode: 240
; IeeeMode: 1
; LDSByteSize: 0 bytes/workgroup (compile time only)
; SGPRBlocks: 0
; VGPRBlocks: 0
; NumSGPRsForWavesPerEU: 6
; NumVGPRsForWavesPerEU: 1
; AccumOffset: 4
; Occupancy: 8
; WaveLimiterHint : 0
; COMPUTE_PGM_RSRC2:SCRATCH_EN: 0
; COMPUTE_PGM_RSRC2:USER_SGPR: 2
; COMPUTE_PGM_RSRC2:TRAP_HANDLER: 0
; COMPUTE_PGM_RSRC2:TGID_X_EN: 1
; COMPUTE_PGM_RSRC2:TGID_Y_EN: 0
; COMPUTE_PGM_RSRC2:TGID_Z_EN: 0
; COMPUTE_PGM_RSRC2:TIDIG_COMP_CNT: 0
; COMPUTE_PGM_RSRC3_GFX90A:ACCUM_OFFSET: 0
; COMPUTE_PGM_RSRC3_GFX90A:TG_SPLIT: 0
	.section	.text._ZN7rocprim17ROCPRIM_400000_NS6detail17trampoline_kernelINS0_14default_configENS1_35radix_sort_onesweep_config_selectorIxxEEZZNS1_29radix_sort_onesweep_iterationIS3_Lb0EN6thrust23THRUST_200600_302600_NS6detail15normal_iteratorINS8_10device_ptrIxEEEESD_SD_SD_jNS0_19identity_decomposerENS1_16block_id_wrapperIjLb1EEEEE10hipError_tT1_PNSt15iterator_traitsISI_E10value_typeET2_T3_PNSJ_ISO_E10value_typeET4_T5_PST_SU_PNS1_23onesweep_lookback_stateEbbT6_jjT7_P12ihipStream_tbENKUlT_T0_SI_SN_E_clISD_PxSD_S15_EEDaS11_S12_SI_SN_EUlS11_E_NS1_11comp_targetILNS1_3genE0ELNS1_11target_archE4294967295ELNS1_3gpuE0ELNS1_3repE0EEENS1_47radix_sort_onesweep_sort_config_static_selectorELNS0_4arch9wavefront6targetE1EEEvSI_,"axG",@progbits,_ZN7rocprim17ROCPRIM_400000_NS6detail17trampoline_kernelINS0_14default_configENS1_35radix_sort_onesweep_config_selectorIxxEEZZNS1_29radix_sort_onesweep_iterationIS3_Lb0EN6thrust23THRUST_200600_302600_NS6detail15normal_iteratorINS8_10device_ptrIxEEEESD_SD_SD_jNS0_19identity_decomposerENS1_16block_id_wrapperIjLb1EEEEE10hipError_tT1_PNSt15iterator_traitsISI_E10value_typeET2_T3_PNSJ_ISO_E10value_typeET4_T5_PST_SU_PNS1_23onesweep_lookback_stateEbbT6_jjT7_P12ihipStream_tbENKUlT_T0_SI_SN_E_clISD_PxSD_S15_EEDaS11_S12_SI_SN_EUlS11_E_NS1_11comp_targetILNS1_3genE0ELNS1_11target_archE4294967295ELNS1_3gpuE0ELNS1_3repE0EEENS1_47radix_sort_onesweep_sort_config_static_selectorELNS0_4arch9wavefront6targetE1EEEvSI_,comdat
	.protected	_ZN7rocprim17ROCPRIM_400000_NS6detail17trampoline_kernelINS0_14default_configENS1_35radix_sort_onesweep_config_selectorIxxEEZZNS1_29radix_sort_onesweep_iterationIS3_Lb0EN6thrust23THRUST_200600_302600_NS6detail15normal_iteratorINS8_10device_ptrIxEEEESD_SD_SD_jNS0_19identity_decomposerENS1_16block_id_wrapperIjLb1EEEEE10hipError_tT1_PNSt15iterator_traitsISI_E10value_typeET2_T3_PNSJ_ISO_E10value_typeET4_T5_PST_SU_PNS1_23onesweep_lookback_stateEbbT6_jjT7_P12ihipStream_tbENKUlT_T0_SI_SN_E_clISD_PxSD_S15_EEDaS11_S12_SI_SN_EUlS11_E_NS1_11comp_targetILNS1_3genE0ELNS1_11target_archE4294967295ELNS1_3gpuE0ELNS1_3repE0EEENS1_47radix_sort_onesweep_sort_config_static_selectorELNS0_4arch9wavefront6targetE1EEEvSI_ ; -- Begin function _ZN7rocprim17ROCPRIM_400000_NS6detail17trampoline_kernelINS0_14default_configENS1_35radix_sort_onesweep_config_selectorIxxEEZZNS1_29radix_sort_onesweep_iterationIS3_Lb0EN6thrust23THRUST_200600_302600_NS6detail15normal_iteratorINS8_10device_ptrIxEEEESD_SD_SD_jNS0_19identity_decomposerENS1_16block_id_wrapperIjLb1EEEEE10hipError_tT1_PNSt15iterator_traitsISI_E10value_typeET2_T3_PNSJ_ISO_E10value_typeET4_T5_PST_SU_PNS1_23onesweep_lookback_stateEbbT6_jjT7_P12ihipStream_tbENKUlT_T0_SI_SN_E_clISD_PxSD_S15_EEDaS11_S12_SI_SN_EUlS11_E_NS1_11comp_targetILNS1_3genE0ELNS1_11target_archE4294967295ELNS1_3gpuE0ELNS1_3repE0EEENS1_47radix_sort_onesweep_sort_config_static_selectorELNS0_4arch9wavefront6targetE1EEEvSI_
	.globl	_ZN7rocprim17ROCPRIM_400000_NS6detail17trampoline_kernelINS0_14default_configENS1_35radix_sort_onesweep_config_selectorIxxEEZZNS1_29radix_sort_onesweep_iterationIS3_Lb0EN6thrust23THRUST_200600_302600_NS6detail15normal_iteratorINS8_10device_ptrIxEEEESD_SD_SD_jNS0_19identity_decomposerENS1_16block_id_wrapperIjLb1EEEEE10hipError_tT1_PNSt15iterator_traitsISI_E10value_typeET2_T3_PNSJ_ISO_E10value_typeET4_T5_PST_SU_PNS1_23onesweep_lookback_stateEbbT6_jjT7_P12ihipStream_tbENKUlT_T0_SI_SN_E_clISD_PxSD_S15_EEDaS11_S12_SI_SN_EUlS11_E_NS1_11comp_targetILNS1_3genE0ELNS1_11target_archE4294967295ELNS1_3gpuE0ELNS1_3repE0EEENS1_47radix_sort_onesweep_sort_config_static_selectorELNS0_4arch9wavefront6targetE1EEEvSI_
	.p2align	8
	.type	_ZN7rocprim17ROCPRIM_400000_NS6detail17trampoline_kernelINS0_14default_configENS1_35radix_sort_onesweep_config_selectorIxxEEZZNS1_29radix_sort_onesweep_iterationIS3_Lb0EN6thrust23THRUST_200600_302600_NS6detail15normal_iteratorINS8_10device_ptrIxEEEESD_SD_SD_jNS0_19identity_decomposerENS1_16block_id_wrapperIjLb1EEEEE10hipError_tT1_PNSt15iterator_traitsISI_E10value_typeET2_T3_PNSJ_ISO_E10value_typeET4_T5_PST_SU_PNS1_23onesweep_lookback_stateEbbT6_jjT7_P12ihipStream_tbENKUlT_T0_SI_SN_E_clISD_PxSD_S15_EEDaS11_S12_SI_SN_EUlS11_E_NS1_11comp_targetILNS1_3genE0ELNS1_11target_archE4294967295ELNS1_3gpuE0ELNS1_3repE0EEENS1_47radix_sort_onesweep_sort_config_static_selectorELNS0_4arch9wavefront6targetE1EEEvSI_,@function
_ZN7rocprim17ROCPRIM_400000_NS6detail17trampoline_kernelINS0_14default_configENS1_35radix_sort_onesweep_config_selectorIxxEEZZNS1_29radix_sort_onesweep_iterationIS3_Lb0EN6thrust23THRUST_200600_302600_NS6detail15normal_iteratorINS8_10device_ptrIxEEEESD_SD_SD_jNS0_19identity_decomposerENS1_16block_id_wrapperIjLb1EEEEE10hipError_tT1_PNSt15iterator_traitsISI_E10value_typeET2_T3_PNSJ_ISO_E10value_typeET4_T5_PST_SU_PNS1_23onesweep_lookback_stateEbbT6_jjT7_P12ihipStream_tbENKUlT_T0_SI_SN_E_clISD_PxSD_S15_EEDaS11_S12_SI_SN_EUlS11_E_NS1_11comp_targetILNS1_3genE0ELNS1_11target_archE4294967295ELNS1_3gpuE0ELNS1_3repE0EEENS1_47radix_sort_onesweep_sort_config_static_selectorELNS0_4arch9wavefront6targetE1EEEvSI_: ; @_ZN7rocprim17ROCPRIM_400000_NS6detail17trampoline_kernelINS0_14default_configENS1_35radix_sort_onesweep_config_selectorIxxEEZZNS1_29radix_sort_onesweep_iterationIS3_Lb0EN6thrust23THRUST_200600_302600_NS6detail15normal_iteratorINS8_10device_ptrIxEEEESD_SD_SD_jNS0_19identity_decomposerENS1_16block_id_wrapperIjLb1EEEEE10hipError_tT1_PNSt15iterator_traitsISI_E10value_typeET2_T3_PNSJ_ISO_E10value_typeET4_T5_PST_SU_PNS1_23onesweep_lookback_stateEbbT6_jjT7_P12ihipStream_tbENKUlT_T0_SI_SN_E_clISD_PxSD_S15_EEDaS11_S12_SI_SN_EUlS11_E_NS1_11comp_targetILNS1_3genE0ELNS1_11target_archE4294967295ELNS1_3gpuE0ELNS1_3repE0EEENS1_47radix_sort_onesweep_sort_config_static_selectorELNS0_4arch9wavefront6targetE1EEEvSI_
; %bb.0:
	.section	.rodata,"a",@progbits
	.p2align	6, 0x0
	.amdhsa_kernel _ZN7rocprim17ROCPRIM_400000_NS6detail17trampoline_kernelINS0_14default_configENS1_35radix_sort_onesweep_config_selectorIxxEEZZNS1_29radix_sort_onesweep_iterationIS3_Lb0EN6thrust23THRUST_200600_302600_NS6detail15normal_iteratorINS8_10device_ptrIxEEEESD_SD_SD_jNS0_19identity_decomposerENS1_16block_id_wrapperIjLb1EEEEE10hipError_tT1_PNSt15iterator_traitsISI_E10value_typeET2_T3_PNSJ_ISO_E10value_typeET4_T5_PST_SU_PNS1_23onesweep_lookback_stateEbbT6_jjT7_P12ihipStream_tbENKUlT_T0_SI_SN_E_clISD_PxSD_S15_EEDaS11_S12_SI_SN_EUlS11_E_NS1_11comp_targetILNS1_3genE0ELNS1_11target_archE4294967295ELNS1_3gpuE0ELNS1_3repE0EEENS1_47radix_sort_onesweep_sort_config_static_selectorELNS0_4arch9wavefront6targetE1EEEvSI_
		.amdhsa_group_segment_fixed_size 0
		.amdhsa_private_segment_fixed_size 0
		.amdhsa_kernarg_size 88
		.amdhsa_user_sgpr_count 2
		.amdhsa_user_sgpr_dispatch_ptr 0
		.amdhsa_user_sgpr_queue_ptr 0
		.amdhsa_user_sgpr_kernarg_segment_ptr 1
		.amdhsa_user_sgpr_dispatch_id 0
		.amdhsa_user_sgpr_kernarg_preload_length 0
		.amdhsa_user_sgpr_kernarg_preload_offset 0
		.amdhsa_user_sgpr_private_segment_size 0
		.amdhsa_uses_dynamic_stack 0
		.amdhsa_enable_private_segment 0
		.amdhsa_system_sgpr_workgroup_id_x 1
		.amdhsa_system_sgpr_workgroup_id_y 0
		.amdhsa_system_sgpr_workgroup_id_z 0
		.amdhsa_system_sgpr_workgroup_info 0
		.amdhsa_system_vgpr_workitem_id 0
		.amdhsa_next_free_vgpr 1
		.amdhsa_next_free_sgpr 0
		.amdhsa_accum_offset 4
		.amdhsa_reserve_vcc 0
		.amdhsa_float_round_mode_32 0
		.amdhsa_float_round_mode_16_64 0
		.amdhsa_float_denorm_mode_32 3
		.amdhsa_float_denorm_mode_16_64 3
		.amdhsa_dx10_clamp 1
		.amdhsa_ieee_mode 1
		.amdhsa_fp16_overflow 0
		.amdhsa_tg_split 0
		.amdhsa_exception_fp_ieee_invalid_op 0
		.amdhsa_exception_fp_denorm_src 0
		.amdhsa_exception_fp_ieee_div_zero 0
		.amdhsa_exception_fp_ieee_overflow 0
		.amdhsa_exception_fp_ieee_underflow 0
		.amdhsa_exception_fp_ieee_inexact 0
		.amdhsa_exception_int_div_zero 0
	.end_amdhsa_kernel
	.section	.text._ZN7rocprim17ROCPRIM_400000_NS6detail17trampoline_kernelINS0_14default_configENS1_35radix_sort_onesweep_config_selectorIxxEEZZNS1_29radix_sort_onesweep_iterationIS3_Lb0EN6thrust23THRUST_200600_302600_NS6detail15normal_iteratorINS8_10device_ptrIxEEEESD_SD_SD_jNS0_19identity_decomposerENS1_16block_id_wrapperIjLb1EEEEE10hipError_tT1_PNSt15iterator_traitsISI_E10value_typeET2_T3_PNSJ_ISO_E10value_typeET4_T5_PST_SU_PNS1_23onesweep_lookback_stateEbbT6_jjT7_P12ihipStream_tbENKUlT_T0_SI_SN_E_clISD_PxSD_S15_EEDaS11_S12_SI_SN_EUlS11_E_NS1_11comp_targetILNS1_3genE0ELNS1_11target_archE4294967295ELNS1_3gpuE0ELNS1_3repE0EEENS1_47radix_sort_onesweep_sort_config_static_selectorELNS0_4arch9wavefront6targetE1EEEvSI_,"axG",@progbits,_ZN7rocprim17ROCPRIM_400000_NS6detail17trampoline_kernelINS0_14default_configENS1_35radix_sort_onesweep_config_selectorIxxEEZZNS1_29radix_sort_onesweep_iterationIS3_Lb0EN6thrust23THRUST_200600_302600_NS6detail15normal_iteratorINS8_10device_ptrIxEEEESD_SD_SD_jNS0_19identity_decomposerENS1_16block_id_wrapperIjLb1EEEEE10hipError_tT1_PNSt15iterator_traitsISI_E10value_typeET2_T3_PNSJ_ISO_E10value_typeET4_T5_PST_SU_PNS1_23onesweep_lookback_stateEbbT6_jjT7_P12ihipStream_tbENKUlT_T0_SI_SN_E_clISD_PxSD_S15_EEDaS11_S12_SI_SN_EUlS11_E_NS1_11comp_targetILNS1_3genE0ELNS1_11target_archE4294967295ELNS1_3gpuE0ELNS1_3repE0EEENS1_47radix_sort_onesweep_sort_config_static_selectorELNS0_4arch9wavefront6targetE1EEEvSI_,comdat
.Lfunc_end1206:
	.size	_ZN7rocprim17ROCPRIM_400000_NS6detail17trampoline_kernelINS0_14default_configENS1_35radix_sort_onesweep_config_selectorIxxEEZZNS1_29radix_sort_onesweep_iterationIS3_Lb0EN6thrust23THRUST_200600_302600_NS6detail15normal_iteratorINS8_10device_ptrIxEEEESD_SD_SD_jNS0_19identity_decomposerENS1_16block_id_wrapperIjLb1EEEEE10hipError_tT1_PNSt15iterator_traitsISI_E10value_typeET2_T3_PNSJ_ISO_E10value_typeET4_T5_PST_SU_PNS1_23onesweep_lookback_stateEbbT6_jjT7_P12ihipStream_tbENKUlT_T0_SI_SN_E_clISD_PxSD_S15_EEDaS11_S12_SI_SN_EUlS11_E_NS1_11comp_targetILNS1_3genE0ELNS1_11target_archE4294967295ELNS1_3gpuE0ELNS1_3repE0EEENS1_47radix_sort_onesweep_sort_config_static_selectorELNS0_4arch9wavefront6targetE1EEEvSI_, .Lfunc_end1206-_ZN7rocprim17ROCPRIM_400000_NS6detail17trampoline_kernelINS0_14default_configENS1_35radix_sort_onesweep_config_selectorIxxEEZZNS1_29radix_sort_onesweep_iterationIS3_Lb0EN6thrust23THRUST_200600_302600_NS6detail15normal_iteratorINS8_10device_ptrIxEEEESD_SD_SD_jNS0_19identity_decomposerENS1_16block_id_wrapperIjLb1EEEEE10hipError_tT1_PNSt15iterator_traitsISI_E10value_typeET2_T3_PNSJ_ISO_E10value_typeET4_T5_PST_SU_PNS1_23onesweep_lookback_stateEbbT6_jjT7_P12ihipStream_tbENKUlT_T0_SI_SN_E_clISD_PxSD_S15_EEDaS11_S12_SI_SN_EUlS11_E_NS1_11comp_targetILNS1_3genE0ELNS1_11target_archE4294967295ELNS1_3gpuE0ELNS1_3repE0EEENS1_47radix_sort_onesweep_sort_config_static_selectorELNS0_4arch9wavefront6targetE1EEEvSI_
                                        ; -- End function
	.set _ZN7rocprim17ROCPRIM_400000_NS6detail17trampoline_kernelINS0_14default_configENS1_35radix_sort_onesweep_config_selectorIxxEEZZNS1_29radix_sort_onesweep_iterationIS3_Lb0EN6thrust23THRUST_200600_302600_NS6detail15normal_iteratorINS8_10device_ptrIxEEEESD_SD_SD_jNS0_19identity_decomposerENS1_16block_id_wrapperIjLb1EEEEE10hipError_tT1_PNSt15iterator_traitsISI_E10value_typeET2_T3_PNSJ_ISO_E10value_typeET4_T5_PST_SU_PNS1_23onesweep_lookback_stateEbbT6_jjT7_P12ihipStream_tbENKUlT_T0_SI_SN_E_clISD_PxSD_S15_EEDaS11_S12_SI_SN_EUlS11_E_NS1_11comp_targetILNS1_3genE0ELNS1_11target_archE4294967295ELNS1_3gpuE0ELNS1_3repE0EEENS1_47radix_sort_onesweep_sort_config_static_selectorELNS0_4arch9wavefront6targetE1EEEvSI_.num_vgpr, 0
	.set _ZN7rocprim17ROCPRIM_400000_NS6detail17trampoline_kernelINS0_14default_configENS1_35radix_sort_onesweep_config_selectorIxxEEZZNS1_29radix_sort_onesweep_iterationIS3_Lb0EN6thrust23THRUST_200600_302600_NS6detail15normal_iteratorINS8_10device_ptrIxEEEESD_SD_SD_jNS0_19identity_decomposerENS1_16block_id_wrapperIjLb1EEEEE10hipError_tT1_PNSt15iterator_traitsISI_E10value_typeET2_T3_PNSJ_ISO_E10value_typeET4_T5_PST_SU_PNS1_23onesweep_lookback_stateEbbT6_jjT7_P12ihipStream_tbENKUlT_T0_SI_SN_E_clISD_PxSD_S15_EEDaS11_S12_SI_SN_EUlS11_E_NS1_11comp_targetILNS1_3genE0ELNS1_11target_archE4294967295ELNS1_3gpuE0ELNS1_3repE0EEENS1_47radix_sort_onesweep_sort_config_static_selectorELNS0_4arch9wavefront6targetE1EEEvSI_.num_agpr, 0
	.set _ZN7rocprim17ROCPRIM_400000_NS6detail17trampoline_kernelINS0_14default_configENS1_35radix_sort_onesweep_config_selectorIxxEEZZNS1_29radix_sort_onesweep_iterationIS3_Lb0EN6thrust23THRUST_200600_302600_NS6detail15normal_iteratorINS8_10device_ptrIxEEEESD_SD_SD_jNS0_19identity_decomposerENS1_16block_id_wrapperIjLb1EEEEE10hipError_tT1_PNSt15iterator_traitsISI_E10value_typeET2_T3_PNSJ_ISO_E10value_typeET4_T5_PST_SU_PNS1_23onesweep_lookback_stateEbbT6_jjT7_P12ihipStream_tbENKUlT_T0_SI_SN_E_clISD_PxSD_S15_EEDaS11_S12_SI_SN_EUlS11_E_NS1_11comp_targetILNS1_3genE0ELNS1_11target_archE4294967295ELNS1_3gpuE0ELNS1_3repE0EEENS1_47radix_sort_onesweep_sort_config_static_selectorELNS0_4arch9wavefront6targetE1EEEvSI_.numbered_sgpr, 0
	.set _ZN7rocprim17ROCPRIM_400000_NS6detail17trampoline_kernelINS0_14default_configENS1_35radix_sort_onesweep_config_selectorIxxEEZZNS1_29radix_sort_onesweep_iterationIS3_Lb0EN6thrust23THRUST_200600_302600_NS6detail15normal_iteratorINS8_10device_ptrIxEEEESD_SD_SD_jNS0_19identity_decomposerENS1_16block_id_wrapperIjLb1EEEEE10hipError_tT1_PNSt15iterator_traitsISI_E10value_typeET2_T3_PNSJ_ISO_E10value_typeET4_T5_PST_SU_PNS1_23onesweep_lookback_stateEbbT6_jjT7_P12ihipStream_tbENKUlT_T0_SI_SN_E_clISD_PxSD_S15_EEDaS11_S12_SI_SN_EUlS11_E_NS1_11comp_targetILNS1_3genE0ELNS1_11target_archE4294967295ELNS1_3gpuE0ELNS1_3repE0EEENS1_47radix_sort_onesweep_sort_config_static_selectorELNS0_4arch9wavefront6targetE1EEEvSI_.num_named_barrier, 0
	.set _ZN7rocprim17ROCPRIM_400000_NS6detail17trampoline_kernelINS0_14default_configENS1_35radix_sort_onesweep_config_selectorIxxEEZZNS1_29radix_sort_onesweep_iterationIS3_Lb0EN6thrust23THRUST_200600_302600_NS6detail15normal_iteratorINS8_10device_ptrIxEEEESD_SD_SD_jNS0_19identity_decomposerENS1_16block_id_wrapperIjLb1EEEEE10hipError_tT1_PNSt15iterator_traitsISI_E10value_typeET2_T3_PNSJ_ISO_E10value_typeET4_T5_PST_SU_PNS1_23onesweep_lookback_stateEbbT6_jjT7_P12ihipStream_tbENKUlT_T0_SI_SN_E_clISD_PxSD_S15_EEDaS11_S12_SI_SN_EUlS11_E_NS1_11comp_targetILNS1_3genE0ELNS1_11target_archE4294967295ELNS1_3gpuE0ELNS1_3repE0EEENS1_47radix_sort_onesweep_sort_config_static_selectorELNS0_4arch9wavefront6targetE1EEEvSI_.private_seg_size, 0
	.set _ZN7rocprim17ROCPRIM_400000_NS6detail17trampoline_kernelINS0_14default_configENS1_35radix_sort_onesweep_config_selectorIxxEEZZNS1_29radix_sort_onesweep_iterationIS3_Lb0EN6thrust23THRUST_200600_302600_NS6detail15normal_iteratorINS8_10device_ptrIxEEEESD_SD_SD_jNS0_19identity_decomposerENS1_16block_id_wrapperIjLb1EEEEE10hipError_tT1_PNSt15iterator_traitsISI_E10value_typeET2_T3_PNSJ_ISO_E10value_typeET4_T5_PST_SU_PNS1_23onesweep_lookback_stateEbbT6_jjT7_P12ihipStream_tbENKUlT_T0_SI_SN_E_clISD_PxSD_S15_EEDaS11_S12_SI_SN_EUlS11_E_NS1_11comp_targetILNS1_3genE0ELNS1_11target_archE4294967295ELNS1_3gpuE0ELNS1_3repE0EEENS1_47radix_sort_onesweep_sort_config_static_selectorELNS0_4arch9wavefront6targetE1EEEvSI_.uses_vcc, 0
	.set _ZN7rocprim17ROCPRIM_400000_NS6detail17trampoline_kernelINS0_14default_configENS1_35radix_sort_onesweep_config_selectorIxxEEZZNS1_29radix_sort_onesweep_iterationIS3_Lb0EN6thrust23THRUST_200600_302600_NS6detail15normal_iteratorINS8_10device_ptrIxEEEESD_SD_SD_jNS0_19identity_decomposerENS1_16block_id_wrapperIjLb1EEEEE10hipError_tT1_PNSt15iterator_traitsISI_E10value_typeET2_T3_PNSJ_ISO_E10value_typeET4_T5_PST_SU_PNS1_23onesweep_lookback_stateEbbT6_jjT7_P12ihipStream_tbENKUlT_T0_SI_SN_E_clISD_PxSD_S15_EEDaS11_S12_SI_SN_EUlS11_E_NS1_11comp_targetILNS1_3genE0ELNS1_11target_archE4294967295ELNS1_3gpuE0ELNS1_3repE0EEENS1_47radix_sort_onesweep_sort_config_static_selectorELNS0_4arch9wavefront6targetE1EEEvSI_.uses_flat_scratch, 0
	.set _ZN7rocprim17ROCPRIM_400000_NS6detail17trampoline_kernelINS0_14default_configENS1_35radix_sort_onesweep_config_selectorIxxEEZZNS1_29radix_sort_onesweep_iterationIS3_Lb0EN6thrust23THRUST_200600_302600_NS6detail15normal_iteratorINS8_10device_ptrIxEEEESD_SD_SD_jNS0_19identity_decomposerENS1_16block_id_wrapperIjLb1EEEEE10hipError_tT1_PNSt15iterator_traitsISI_E10value_typeET2_T3_PNSJ_ISO_E10value_typeET4_T5_PST_SU_PNS1_23onesweep_lookback_stateEbbT6_jjT7_P12ihipStream_tbENKUlT_T0_SI_SN_E_clISD_PxSD_S15_EEDaS11_S12_SI_SN_EUlS11_E_NS1_11comp_targetILNS1_3genE0ELNS1_11target_archE4294967295ELNS1_3gpuE0ELNS1_3repE0EEENS1_47radix_sort_onesweep_sort_config_static_selectorELNS0_4arch9wavefront6targetE1EEEvSI_.has_dyn_sized_stack, 0
	.set _ZN7rocprim17ROCPRIM_400000_NS6detail17trampoline_kernelINS0_14default_configENS1_35radix_sort_onesweep_config_selectorIxxEEZZNS1_29radix_sort_onesweep_iterationIS3_Lb0EN6thrust23THRUST_200600_302600_NS6detail15normal_iteratorINS8_10device_ptrIxEEEESD_SD_SD_jNS0_19identity_decomposerENS1_16block_id_wrapperIjLb1EEEEE10hipError_tT1_PNSt15iterator_traitsISI_E10value_typeET2_T3_PNSJ_ISO_E10value_typeET4_T5_PST_SU_PNS1_23onesweep_lookback_stateEbbT6_jjT7_P12ihipStream_tbENKUlT_T0_SI_SN_E_clISD_PxSD_S15_EEDaS11_S12_SI_SN_EUlS11_E_NS1_11comp_targetILNS1_3genE0ELNS1_11target_archE4294967295ELNS1_3gpuE0ELNS1_3repE0EEENS1_47radix_sort_onesweep_sort_config_static_selectorELNS0_4arch9wavefront6targetE1EEEvSI_.has_recursion, 0
	.set _ZN7rocprim17ROCPRIM_400000_NS6detail17trampoline_kernelINS0_14default_configENS1_35radix_sort_onesweep_config_selectorIxxEEZZNS1_29radix_sort_onesweep_iterationIS3_Lb0EN6thrust23THRUST_200600_302600_NS6detail15normal_iteratorINS8_10device_ptrIxEEEESD_SD_SD_jNS0_19identity_decomposerENS1_16block_id_wrapperIjLb1EEEEE10hipError_tT1_PNSt15iterator_traitsISI_E10value_typeET2_T3_PNSJ_ISO_E10value_typeET4_T5_PST_SU_PNS1_23onesweep_lookback_stateEbbT6_jjT7_P12ihipStream_tbENKUlT_T0_SI_SN_E_clISD_PxSD_S15_EEDaS11_S12_SI_SN_EUlS11_E_NS1_11comp_targetILNS1_3genE0ELNS1_11target_archE4294967295ELNS1_3gpuE0ELNS1_3repE0EEENS1_47radix_sort_onesweep_sort_config_static_selectorELNS0_4arch9wavefront6targetE1EEEvSI_.has_indirect_call, 0
	.section	.AMDGPU.csdata,"",@progbits
; Kernel info:
; codeLenInByte = 0
; TotalNumSgprs: 6
; NumVgprs: 0
; NumAgprs: 0
; TotalNumVgprs: 0
; ScratchSize: 0
; MemoryBound: 0
; FloatMode: 240
; IeeeMode: 1
; LDSByteSize: 0 bytes/workgroup (compile time only)
; SGPRBlocks: 0
; VGPRBlocks: 0
; NumSGPRsForWavesPerEU: 6
; NumVGPRsForWavesPerEU: 1
; AccumOffset: 4
; Occupancy: 8
; WaveLimiterHint : 0
; COMPUTE_PGM_RSRC2:SCRATCH_EN: 0
; COMPUTE_PGM_RSRC2:USER_SGPR: 2
; COMPUTE_PGM_RSRC2:TRAP_HANDLER: 0
; COMPUTE_PGM_RSRC2:TGID_X_EN: 1
; COMPUTE_PGM_RSRC2:TGID_Y_EN: 0
; COMPUTE_PGM_RSRC2:TGID_Z_EN: 0
; COMPUTE_PGM_RSRC2:TIDIG_COMP_CNT: 0
; COMPUTE_PGM_RSRC3_GFX90A:ACCUM_OFFSET: 0
; COMPUTE_PGM_RSRC3_GFX90A:TG_SPLIT: 0
	.section	.text._ZN7rocprim17ROCPRIM_400000_NS6detail17trampoline_kernelINS0_14default_configENS1_35radix_sort_onesweep_config_selectorIxxEEZZNS1_29radix_sort_onesweep_iterationIS3_Lb0EN6thrust23THRUST_200600_302600_NS6detail15normal_iteratorINS8_10device_ptrIxEEEESD_SD_SD_jNS0_19identity_decomposerENS1_16block_id_wrapperIjLb1EEEEE10hipError_tT1_PNSt15iterator_traitsISI_E10value_typeET2_T3_PNSJ_ISO_E10value_typeET4_T5_PST_SU_PNS1_23onesweep_lookback_stateEbbT6_jjT7_P12ihipStream_tbENKUlT_T0_SI_SN_E_clISD_PxSD_S15_EEDaS11_S12_SI_SN_EUlS11_E_NS1_11comp_targetILNS1_3genE6ELNS1_11target_archE950ELNS1_3gpuE13ELNS1_3repE0EEENS1_47radix_sort_onesweep_sort_config_static_selectorELNS0_4arch9wavefront6targetE1EEEvSI_,"axG",@progbits,_ZN7rocprim17ROCPRIM_400000_NS6detail17trampoline_kernelINS0_14default_configENS1_35radix_sort_onesweep_config_selectorIxxEEZZNS1_29radix_sort_onesweep_iterationIS3_Lb0EN6thrust23THRUST_200600_302600_NS6detail15normal_iteratorINS8_10device_ptrIxEEEESD_SD_SD_jNS0_19identity_decomposerENS1_16block_id_wrapperIjLb1EEEEE10hipError_tT1_PNSt15iterator_traitsISI_E10value_typeET2_T3_PNSJ_ISO_E10value_typeET4_T5_PST_SU_PNS1_23onesweep_lookback_stateEbbT6_jjT7_P12ihipStream_tbENKUlT_T0_SI_SN_E_clISD_PxSD_S15_EEDaS11_S12_SI_SN_EUlS11_E_NS1_11comp_targetILNS1_3genE6ELNS1_11target_archE950ELNS1_3gpuE13ELNS1_3repE0EEENS1_47radix_sort_onesweep_sort_config_static_selectorELNS0_4arch9wavefront6targetE1EEEvSI_,comdat
	.protected	_ZN7rocprim17ROCPRIM_400000_NS6detail17trampoline_kernelINS0_14default_configENS1_35radix_sort_onesweep_config_selectorIxxEEZZNS1_29radix_sort_onesweep_iterationIS3_Lb0EN6thrust23THRUST_200600_302600_NS6detail15normal_iteratorINS8_10device_ptrIxEEEESD_SD_SD_jNS0_19identity_decomposerENS1_16block_id_wrapperIjLb1EEEEE10hipError_tT1_PNSt15iterator_traitsISI_E10value_typeET2_T3_PNSJ_ISO_E10value_typeET4_T5_PST_SU_PNS1_23onesweep_lookback_stateEbbT6_jjT7_P12ihipStream_tbENKUlT_T0_SI_SN_E_clISD_PxSD_S15_EEDaS11_S12_SI_SN_EUlS11_E_NS1_11comp_targetILNS1_3genE6ELNS1_11target_archE950ELNS1_3gpuE13ELNS1_3repE0EEENS1_47radix_sort_onesweep_sort_config_static_selectorELNS0_4arch9wavefront6targetE1EEEvSI_ ; -- Begin function _ZN7rocprim17ROCPRIM_400000_NS6detail17trampoline_kernelINS0_14default_configENS1_35radix_sort_onesweep_config_selectorIxxEEZZNS1_29radix_sort_onesweep_iterationIS3_Lb0EN6thrust23THRUST_200600_302600_NS6detail15normal_iteratorINS8_10device_ptrIxEEEESD_SD_SD_jNS0_19identity_decomposerENS1_16block_id_wrapperIjLb1EEEEE10hipError_tT1_PNSt15iterator_traitsISI_E10value_typeET2_T3_PNSJ_ISO_E10value_typeET4_T5_PST_SU_PNS1_23onesweep_lookback_stateEbbT6_jjT7_P12ihipStream_tbENKUlT_T0_SI_SN_E_clISD_PxSD_S15_EEDaS11_S12_SI_SN_EUlS11_E_NS1_11comp_targetILNS1_3genE6ELNS1_11target_archE950ELNS1_3gpuE13ELNS1_3repE0EEENS1_47radix_sort_onesweep_sort_config_static_selectorELNS0_4arch9wavefront6targetE1EEEvSI_
	.globl	_ZN7rocprim17ROCPRIM_400000_NS6detail17trampoline_kernelINS0_14default_configENS1_35radix_sort_onesweep_config_selectorIxxEEZZNS1_29radix_sort_onesweep_iterationIS3_Lb0EN6thrust23THRUST_200600_302600_NS6detail15normal_iteratorINS8_10device_ptrIxEEEESD_SD_SD_jNS0_19identity_decomposerENS1_16block_id_wrapperIjLb1EEEEE10hipError_tT1_PNSt15iterator_traitsISI_E10value_typeET2_T3_PNSJ_ISO_E10value_typeET4_T5_PST_SU_PNS1_23onesweep_lookback_stateEbbT6_jjT7_P12ihipStream_tbENKUlT_T0_SI_SN_E_clISD_PxSD_S15_EEDaS11_S12_SI_SN_EUlS11_E_NS1_11comp_targetILNS1_3genE6ELNS1_11target_archE950ELNS1_3gpuE13ELNS1_3repE0EEENS1_47radix_sort_onesweep_sort_config_static_selectorELNS0_4arch9wavefront6targetE1EEEvSI_
	.p2align	8
	.type	_ZN7rocprim17ROCPRIM_400000_NS6detail17trampoline_kernelINS0_14default_configENS1_35radix_sort_onesweep_config_selectorIxxEEZZNS1_29radix_sort_onesweep_iterationIS3_Lb0EN6thrust23THRUST_200600_302600_NS6detail15normal_iteratorINS8_10device_ptrIxEEEESD_SD_SD_jNS0_19identity_decomposerENS1_16block_id_wrapperIjLb1EEEEE10hipError_tT1_PNSt15iterator_traitsISI_E10value_typeET2_T3_PNSJ_ISO_E10value_typeET4_T5_PST_SU_PNS1_23onesweep_lookback_stateEbbT6_jjT7_P12ihipStream_tbENKUlT_T0_SI_SN_E_clISD_PxSD_S15_EEDaS11_S12_SI_SN_EUlS11_E_NS1_11comp_targetILNS1_3genE6ELNS1_11target_archE950ELNS1_3gpuE13ELNS1_3repE0EEENS1_47radix_sort_onesweep_sort_config_static_selectorELNS0_4arch9wavefront6targetE1EEEvSI_,@function
_ZN7rocprim17ROCPRIM_400000_NS6detail17trampoline_kernelINS0_14default_configENS1_35radix_sort_onesweep_config_selectorIxxEEZZNS1_29radix_sort_onesweep_iterationIS3_Lb0EN6thrust23THRUST_200600_302600_NS6detail15normal_iteratorINS8_10device_ptrIxEEEESD_SD_SD_jNS0_19identity_decomposerENS1_16block_id_wrapperIjLb1EEEEE10hipError_tT1_PNSt15iterator_traitsISI_E10value_typeET2_T3_PNSJ_ISO_E10value_typeET4_T5_PST_SU_PNS1_23onesweep_lookback_stateEbbT6_jjT7_P12ihipStream_tbENKUlT_T0_SI_SN_E_clISD_PxSD_S15_EEDaS11_S12_SI_SN_EUlS11_E_NS1_11comp_targetILNS1_3genE6ELNS1_11target_archE950ELNS1_3gpuE13ELNS1_3repE0EEENS1_47radix_sort_onesweep_sort_config_static_selectorELNS0_4arch9wavefront6targetE1EEEvSI_: ; @_ZN7rocprim17ROCPRIM_400000_NS6detail17trampoline_kernelINS0_14default_configENS1_35radix_sort_onesweep_config_selectorIxxEEZZNS1_29radix_sort_onesweep_iterationIS3_Lb0EN6thrust23THRUST_200600_302600_NS6detail15normal_iteratorINS8_10device_ptrIxEEEESD_SD_SD_jNS0_19identity_decomposerENS1_16block_id_wrapperIjLb1EEEEE10hipError_tT1_PNSt15iterator_traitsISI_E10value_typeET2_T3_PNSJ_ISO_E10value_typeET4_T5_PST_SU_PNS1_23onesweep_lookback_stateEbbT6_jjT7_P12ihipStream_tbENKUlT_T0_SI_SN_E_clISD_PxSD_S15_EEDaS11_S12_SI_SN_EUlS11_E_NS1_11comp_targetILNS1_3genE6ELNS1_11target_archE950ELNS1_3gpuE13ELNS1_3repE0EEENS1_47radix_sort_onesweep_sort_config_static_selectorELNS0_4arch9wavefront6targetE1EEEvSI_
; %bb.0:
	s_load_dwordx4 s[48:51], s[2:3], 0x28
	s_load_dwordx2 s[56:57], s[2:3], 0x38
	s_load_dwordx4 s[52:55], s[2:3], 0x44
	v_and_b32_e32 v2, 0x3ff, v0
	v_cmp_eq_u32_e64 s[18:19], 0, v2
	s_and_saveexec_b64 s[6:7], s[18:19]
	s_cbranch_execz .LBB1207_4
; %bb.1:
	s_mov_b64 s[10:11], exec
	v_mbcnt_lo_u32_b32 v1, s10, 0
	v_mbcnt_hi_u32_b32 v1, s11, v1
	v_cmp_eq_u32_e32 vcc, 0, v1
                                        ; implicit-def: $vgpr3
	s_and_saveexec_b64 s[8:9], vcc
	s_cbranch_execz .LBB1207_3
; %bb.2:
	s_load_dwordx2 s[12:13], s[2:3], 0x50
	s_bcnt1_i32_b64 s5, s[10:11]
	v_mov_b32_e32 v3, 0
	v_mov_b32_e32 v4, s5
	s_waitcnt lgkmcnt(0)
	global_atomic_add v3, v3, v4, s[12:13] sc0
.LBB1207_3:
	s_or_b64 exec, exec, s[8:9]
	s_waitcnt vmcnt(0)
	v_readfirstlane_b32 s5, v3
	v_mov_b32_e32 v3, 0
	s_nop 0
	v_add_u32_e32 v1, s5, v1
	ds_write_b32 v3, v1 offset:20544
.LBB1207_4:
	s_or_b64 exec, exec, s[6:7]
	v_mov_b32_e32 v1, 0
	s_load_dwordx8 s[40:47], s[2:3], 0x0
	s_load_dword s5, s[2:3], 0x20
	s_waitcnt lgkmcnt(0)
	s_barrier
	ds_read_b32 v4, v1 offset:20544
	v_bfe_u32 v3, v0, 10, 10
	v_bfe_u32 v28, v0, 20, 10
	s_mov_b64 s[6:7], -1
	v_mbcnt_lo_u32_b32 v30, -1, 0
	s_waitcnt lgkmcnt(0)
	v_cmp_le_u32_e32 vcc, s54, v4
	v_readfirstlane_b32 s33, v4
	v_lshlrev_b32_e32 v29, 3, v2
	s_barrier
	s_cbranch_vccz .LBB1207_120
; %bb.5:
	s_lshl_b32 s6, s54, 13
	s_sub_i32 s5, s5, s6
	s_lshl_b32 s6, s33, 13
	s_mov_b32 s7, 0
	s_lshl_b64 s[54:55], s[6:7], 3
	v_mbcnt_hi_u32_b32 v26, -1, v30
	s_add_u32 s6, s40, s54
	v_and_b32_e32 v8, 63, v26
	s_addc_u32 s7, s41, s55
	v_and_b32_e32 v9, 0x1e00, v29
	v_lshlrev_b32_e32 v0, 3, v8
	v_lshl_add_u64 v[6:7], s[6:7], 0, v[0:1]
	v_lshlrev_b32_e32 v4, 3, v9
	v_mov_b32_e32 v5, v1
	v_or_b32_e32 v1, v8, v9
	v_lshl_add_u64 v[22:23], v[6:7], 0, v[4:5]
	v_cmp_gt_u32_e32 vcc, s5, v1
	v_mov_b64_e32 v[6:7], -1
	v_mov_b64_e32 v[8:9], -1
	s_and_saveexec_b64 s[6:7], vcc
	s_cbranch_execz .LBB1207_7
; %bb.6:
	global_load_dwordx2 v[8:9], v[22:23], off
	s_waitcnt vmcnt(0)
	v_xor_b32_e32 v9, 0x80000000, v9
.LBB1207_7:
	s_or_b64 exec, exec, s[6:7]
	v_or_b32_e32 v5, 64, v1
	v_cmp_gt_u32_e64 s[28:29], s5, v5
	s_and_saveexec_b64 s[6:7], s[28:29]
	s_cbranch_execz .LBB1207_9
; %bb.8:
	global_load_dwordx2 v[6:7], v[22:23], off offset:512
	s_waitcnt vmcnt(0)
	v_xor_b32_e32 v7, 0x80000000, v7
.LBB1207_9:
	s_or_b64 exec, exec, s[6:7]
	v_or_b32_e32 v5, 0x80, v1
	v_cmp_gt_u32_e64 s[6:7], s5, v5
	v_mov_b64_e32 v[10:11], -1
	v_mov_b64_e32 v[12:13], -1
	s_and_saveexec_b64 s[8:9], s[6:7]
	s_cbranch_execz .LBB1207_11
; %bb.10:
	global_load_dwordx2 v[12:13], v[22:23], off offset:1024
	s_waitcnt vmcnt(0)
	v_xor_b32_e32 v13, 0x80000000, v13
.LBB1207_11:
	s_or_b64 exec, exec, s[8:9]
	v_or_b32_e32 v5, 0xc0, v1
	v_cmp_gt_u32_e64 s[8:9], s5, v5
	s_and_saveexec_b64 s[10:11], s[8:9]
	s_cbranch_execz .LBB1207_13
; %bb.12:
	global_load_dwordx2 v[10:11], v[22:23], off offset:1536
	s_waitcnt vmcnt(0)
	v_xor_b32_e32 v11, 0x80000000, v11
.LBB1207_13:
	s_or_b64 exec, exec, s[10:11]
	v_or_b32_e32 v5, 0x100, v1
	v_cmp_gt_u32_e64 s[10:11], s5, v5
	v_mov_b64_e32 v[14:15], -1
	v_mov_b64_e32 v[16:17], -1
	s_and_saveexec_b64 s[12:13], s[10:11]
	s_cbranch_execz .LBB1207_15
; %bb.14:
	global_load_dwordx2 v[16:17], v[22:23], off offset:2048
	s_waitcnt vmcnt(0)
	v_xor_b32_e32 v17, 0x80000000, v17
.LBB1207_15:
	;; [unrolled: 22-line block ×3, first 2 shown]
	s_or_b64 exec, exec, s[16:17]
	v_or_b32_e32 v1, 0x1c0, v1
	v_cmp_gt_u32_e64 s[16:17], s5, v1
	s_and_saveexec_b64 s[20:21], s[16:17]
	s_cbranch_execz .LBB1207_21
; %bb.20:
	global_load_dwordx2 v[18:19], v[22:23], off offset:3584
	s_waitcnt vmcnt(0)
	v_xor_b32_e32 v19, 0x80000000, v19
.LBB1207_21:
	s_or_b64 exec, exec, s[20:21]
	s_load_dword s20, s[2:3], 0x64
	s_load_dword s58, s[2:3], 0x58
	s_add_u32 s21, s2, 0x58
	s_addc_u32 s22, s3, 0
	v_mov_b32_e32 v23, 0
	s_waitcnt lgkmcnt(0)
	s_lshr_b32 s23, s20, 16
	s_cmp_lt_u32 s4, s58
	s_cselect_b32 s20, 12, 18
	s_add_u32 s20, s21, s20
	s_addc_u32 s21, s22, 0
	global_load_ushort v1, v23, s[20:21]
	v_lshrrev_b64 v[24:25], s52, v[8:9]
	s_lshl_b32 s20, -1, s53
	v_bitop3_b32 v24, v24, s20, v24 bitop3:0x30
	s_movk_i32 s60, 0x44
	v_and_b32_e32 v22, 1, v24
	v_lshlrev_b32_e32 v33, 30, v24
	v_mov_b32_e32 v32, v23
	s_not_b32 s59, s20
	v_mul_lo_u32 v31, v24, s60
	v_lshlrev_b32_e32 v35, 29, v24
	v_lshlrev_b32_e32 v37, 28, v24
	;; [unrolled: 1-line block ×6, first 2 shown]
	v_lshl_add_u64 v[24:25], v[22:23], 0, -1
	v_cmp_ne_u32_e64 s[20:21], 0, v22
	v_not_b32_e32 v22, v33
	v_mov_b32_e32 v34, v23
	v_mov_b32_e32 v36, v23
	v_mad_u32_u24 v27, v28, s23, v3
	v_cmp_gt_i64_e64 s[22:23], 0, v[32:33]
	v_not_b32_e32 v32, v35
	v_xor_b32_e32 v25, s21, v25
	v_ashrrev_i32_e32 v22, 31, v22
	v_mov_b32_e32 v38, v23
	v_cmp_gt_i64_e64 s[24:25], 0, v[34:35]
	v_cmp_gt_i64_e64 s[26:27], 0, v[36:37]
	v_not_b32_e32 v33, v37
	v_xor_b32_e32 v24, s20, v24
	v_ashrrev_i32_e32 v32, 31, v32
	v_and_b32_e32 v25, exec_hi, v25
	v_xor_b32_e32 v37, s23, v22
	v_cmp_gt_i64_e64 s[30:31], 0, v[38:39]
	v_not_b32_e32 v34, v39
	v_ashrrev_i32_e32 v33, 31, v33
	v_and_b32_e32 v24, exec_lo, v24
	v_xor_b32_e32 v22, s22, v22
	v_xor_b32_e32 v38, s25, v32
	v_and_b32_e32 v25, v25, v37
	v_mov_b32_e32 v40, v23
	v_not_b32_e32 v35, v41
	v_ashrrev_i32_e32 v34, 31, v34
	v_xor_b32_e32 v39, s27, v33
	v_and_b32_e32 v22, v24, v22
	v_and_b32_e32 v24, v25, v38
	v_mov_b32_e32 v42, v23
	v_cmp_gt_i64_e64 s[34:35], 0, v[40:41]
	v_not_b32_e32 v36, v43
	v_ashrrev_i32_e32 v35, 31, v35
	v_xor_b32_e32 v32, s24, v32
	v_xor_b32_e32 v40, s31, v34
	v_and_b32_e32 v24, v24, v39
	v_cmp_gt_i64_e64 s[36:37], 0, v[42:43]
	v_ashrrev_i32_e32 v36, 31, v36
	v_xor_b32_e32 v33, s26, v33
	v_xor_b32_e32 v41, s35, v35
	v_and_b32_e32 v22, v22, v32
	v_and_b32_e32 v24, v24, v40
	v_xor_b32_e32 v34, s30, v34
	v_xor_b32_e32 v42, s37, v36
	v_and_b32_e32 v22, v22, v33
	v_and_b32_e32 v24, v24, v41
	v_mov_b32_e32 v44, v23
	v_xor_b32_e32 v35, s34, v35
	v_and_b32_e32 v22, v22, v34
	v_and_b32_e32 v32, v24, v42
	v_cmp_gt_i64_e64 s[38:39], 0, v[44:45]
	v_xor_b32_e32 v36, s36, v36
	v_and_b32_e32 v22, v22, v35
	v_and_b32_e32 v22, v22, v36
	v_mul_u32_u24_e32 v5, 20, v2
	ds_write2_b32 v5, v23, v23 offset0:16 offset1:17
	ds_write2_b32 v5, v23, v23 offset0:18 offset1:19
	ds_write_b32 v5, v23 offset:80
	s_waitcnt lgkmcnt(0)
	s_barrier
	s_waitcnt vmcnt(0)
	; wave barrier
	v_mad_u64_u32 v[24:25], s[20:21], v27, v1, v[2:3]
	v_not_b32_e32 v1, v45
	v_ashrrev_i32_e32 v1, 31, v1
	v_lshrrev_b32_e32 v40, 6, v24
	v_xor_b32_e32 v24, s39, v1
	v_xor_b32_e32 v1, s38, v1
	v_and_b32_e32 v25, v32, v24
	v_and_b32_e32 v24, v22, v1
	v_mbcnt_lo_u32_b32 v1, v24, 0
	v_lshl_add_u32 v27, v40, 2, v31
	v_mbcnt_hi_u32_b32 v31, v25, v1
	v_cmp_eq_u32_e64 s[20:21], 0, v31
	v_cmp_ne_u64_e64 s[22:23], 0, v[24:25]
	s_and_b64 s[22:23], s[22:23], s[20:21]
	s_and_saveexec_b64 s[20:21], s[22:23]
; %bb.22:
	v_bcnt_u32_b32 v1, v24, 0
	v_bcnt_u32_b32 v1, v25, v1
	ds_write_b32 v27, v1 offset:64
; %bb.23:
	s_or_b64 exec, exec, s[20:21]
	v_lshrrev_b64 v[24:25], s52, v[6:7]
	v_and_b32_e32 v32, s59, v24
	v_and_b32_e32 v22, 1, v32
	v_lshl_add_u64 v[24:25], v[22:23], 0, -1
	v_cmp_ne_u32_e64 s[20:21], 0, v22
	v_mul_lo_u32 v1, v32, s60
	v_lshl_add_u32 v34, v40, 2, v1
	v_xor_b32_e32 v24, s20, v24
	v_xor_b32_e32 v22, s21, v25
	v_and_b32_e32 v33, exec_lo, v24
	v_lshlrev_b32_e32 v25, 30, v32
	v_mov_b32_e32 v24, v23
	v_cmp_gt_i64_e64 s[20:21], 0, v[24:25]
	v_not_b32_e32 v24, v25
	v_ashrrev_i32_e32 v24, 31, v24
	v_and_b32_e32 v22, exec_hi, v22
	v_xor_b32_e32 v25, s21, v24
	v_xor_b32_e32 v24, s20, v24
	v_and_b32_e32 v22, v22, v25
	v_and_b32_e32 v33, v33, v24
	v_lshlrev_b32_e32 v25, 29, v32
	v_mov_b32_e32 v24, v23
	v_cmp_gt_i64_e64 s[20:21], 0, v[24:25]
	v_not_b32_e32 v24, v25
	v_ashrrev_i32_e32 v24, 31, v24
	v_xor_b32_e32 v25, s21, v24
	v_xor_b32_e32 v24, s20, v24
	v_and_b32_e32 v22, v22, v25
	v_and_b32_e32 v33, v33, v24
	v_lshlrev_b32_e32 v25, 28, v32
	v_mov_b32_e32 v24, v23
	v_cmp_gt_i64_e64 s[20:21], 0, v[24:25]
	v_not_b32_e32 v24, v25
	v_ashrrev_i32_e32 v24, 31, v24
	;; [unrolled: 9-line block ×5, first 2 shown]
	v_xor_b32_e32 v25, s21, v24
	v_xor_b32_e32 v24, s20, v24
	v_and_b32_e32 v22, v22, v25
	v_lshlrev_b32_e32 v25, 24, v32
	v_and_b32_e32 v33, v33, v24
	v_mov_b32_e32 v24, v23
	v_not_b32_e32 v23, v25
	v_cmp_gt_i64_e64 s[20:21], 0, v[24:25]
	v_ashrrev_i32_e32 v23, 31, v23
	s_nop 0
	v_xor_b32_e32 v24, s21, v23
	v_xor_b32_e32 v25, s20, v23
	; wave barrier
	ds_read_b32 v1, v34 offset:64
	v_and_b32_e32 v23, v22, v24
	v_and_b32_e32 v22, v33, v25
	v_mbcnt_lo_u32_b32 v24, v22, 0
	v_mbcnt_hi_u32_b32 v32, v23, v24
	v_cmp_eq_u32_e64 s[20:21], 0, v32
	v_cmp_ne_u64_e64 s[22:23], 0, v[22:23]
	s_and_b64 s[22:23], s[22:23], s[20:21]
	; wave barrier
	s_and_saveexec_b64 s[20:21], s[22:23]
	s_cbranch_execz .LBB1207_25
; %bb.24:
	v_bcnt_u32_b32 v22, v22, 0
	v_bcnt_u32_b32 v22, v23, v22
	s_waitcnt lgkmcnt(0)
	v_add_u32_e32 v22, v1, v22
	ds_write_b32 v34, v22 offset:64
.LBB1207_25:
	s_or_b64 exec, exec, s[20:21]
	v_lshrrev_b64 v[22:23], s52, v[12:13]
	v_and_b32_e32 v35, s59, v22
	s_movk_i32 s24, 0x44
	v_mul_lo_u32 v22, v35, s24
	v_lshl_add_u32 v37, v40, 2, v22
	v_and_b32_e32 v22, 1, v35
	v_mov_b32_e32 v23, 0
	v_lshl_add_u64 v[24:25], v[22:23], 0, -1
	v_cmp_ne_u32_e64 s[20:21], 0, v22
	; wave barrier
	s_nop 1
	v_xor_b32_e32 v24, s20, v24
	v_xor_b32_e32 v22, s21, v25
	v_and_b32_e32 v36, exec_lo, v24
	v_lshlrev_b32_e32 v25, 30, v35
	v_mov_b32_e32 v24, v23
	v_cmp_gt_i64_e64 s[20:21], 0, v[24:25]
	v_not_b32_e32 v24, v25
	v_ashrrev_i32_e32 v24, 31, v24
	v_and_b32_e32 v22, exec_hi, v22
	v_xor_b32_e32 v25, s21, v24
	v_xor_b32_e32 v24, s20, v24
	v_and_b32_e32 v22, v22, v25
	v_and_b32_e32 v36, v36, v24
	v_lshlrev_b32_e32 v25, 29, v35
	v_mov_b32_e32 v24, v23
	v_cmp_gt_i64_e64 s[20:21], 0, v[24:25]
	v_not_b32_e32 v24, v25
	v_ashrrev_i32_e32 v24, 31, v24
	v_xor_b32_e32 v25, s21, v24
	v_xor_b32_e32 v24, s20, v24
	v_and_b32_e32 v22, v22, v25
	v_and_b32_e32 v36, v36, v24
	v_lshlrev_b32_e32 v25, 28, v35
	v_mov_b32_e32 v24, v23
	v_cmp_gt_i64_e64 s[20:21], 0, v[24:25]
	v_not_b32_e32 v24, v25
	v_ashrrev_i32_e32 v24, 31, v24
	;; [unrolled: 9-line block ×6, first 2 shown]
	v_xor_b32_e32 v25, s21, v24
	v_xor_b32_e32 v24, s20, v24
	ds_read_b32 v33, v37 offset:64
	v_and_b32_e32 v24, v36, v24
	v_and_b32_e32 v25, v22, v25
	v_mbcnt_lo_u32_b32 v22, v24, 0
	v_mbcnt_hi_u32_b32 v35, v25, v22
	v_cmp_eq_u32_e64 s[20:21], 0, v35
	v_cmp_ne_u64_e64 s[22:23], 0, v[24:25]
	s_and_b64 s[22:23], s[22:23], s[20:21]
	; wave barrier
	s_and_saveexec_b64 s[20:21], s[22:23]
	s_cbranch_execz .LBB1207_27
; %bb.26:
	v_bcnt_u32_b32 v22, v24, 0
	v_bcnt_u32_b32 v22, v25, v22
	s_waitcnt lgkmcnt(0)
	v_add_u32_e32 v22, v33, v22
	ds_write_b32 v37, v22 offset:64
.LBB1207_27:
	s_or_b64 exec, exec, s[20:21]
	v_lshrrev_b64 v[24:25], s52, v[10:11]
	v_and_b32_e32 v38, s59, v24
	v_mul_lo_u32 v22, v38, s24
	v_lshl_add_u32 v41, v40, 2, v22
	v_and_b32_e32 v22, 1, v38
	v_lshl_add_u64 v[24:25], v[22:23], 0, -1
	v_cmp_ne_u32_e64 s[20:21], 0, v22
	; wave barrier
	s_nop 1
	v_xor_b32_e32 v24, s20, v24
	v_xor_b32_e32 v22, s21, v25
	v_and_b32_e32 v39, exec_lo, v24
	v_lshlrev_b32_e32 v25, 30, v38
	v_mov_b32_e32 v24, v23
	v_cmp_gt_i64_e64 s[20:21], 0, v[24:25]
	v_not_b32_e32 v24, v25
	v_ashrrev_i32_e32 v24, 31, v24
	v_and_b32_e32 v22, exec_hi, v22
	v_xor_b32_e32 v25, s21, v24
	v_xor_b32_e32 v24, s20, v24
	v_and_b32_e32 v22, v22, v25
	v_and_b32_e32 v39, v39, v24
	v_lshlrev_b32_e32 v25, 29, v38
	v_mov_b32_e32 v24, v23
	v_cmp_gt_i64_e64 s[20:21], 0, v[24:25]
	v_not_b32_e32 v24, v25
	v_ashrrev_i32_e32 v24, 31, v24
	v_xor_b32_e32 v25, s21, v24
	v_xor_b32_e32 v24, s20, v24
	v_and_b32_e32 v22, v22, v25
	v_and_b32_e32 v39, v39, v24
	v_lshlrev_b32_e32 v25, 28, v38
	v_mov_b32_e32 v24, v23
	v_cmp_gt_i64_e64 s[20:21], 0, v[24:25]
	v_not_b32_e32 v24, v25
	v_ashrrev_i32_e32 v24, 31, v24
	;; [unrolled: 9-line block ×5, first 2 shown]
	v_xor_b32_e32 v25, s21, v24
	v_xor_b32_e32 v24, s20, v24
	v_and_b32_e32 v22, v22, v25
	v_lshlrev_b32_e32 v25, 24, v38
	v_and_b32_e32 v39, v39, v24
	v_mov_b32_e32 v24, v23
	v_not_b32_e32 v23, v25
	v_cmp_gt_i64_e64 s[20:21], 0, v[24:25]
	v_ashrrev_i32_e32 v23, 31, v23
	ds_read_b32 v36, v41 offset:64
	v_xor_b32_e32 v24, s21, v23
	v_xor_b32_e32 v25, s20, v23
	v_and_b32_e32 v23, v22, v24
	v_and_b32_e32 v22, v39, v25
	v_mbcnt_lo_u32_b32 v24, v22, 0
	v_mbcnt_hi_u32_b32 v38, v23, v24
	v_cmp_eq_u32_e64 s[20:21], 0, v38
	v_cmp_ne_u64_e64 s[22:23], 0, v[22:23]
	s_and_b64 s[22:23], s[22:23], s[20:21]
	; wave barrier
	s_and_saveexec_b64 s[20:21], s[22:23]
	s_cbranch_execz .LBB1207_29
; %bb.28:
	v_bcnt_u32_b32 v22, v22, 0
	v_bcnt_u32_b32 v22, v23, v22
	s_waitcnt lgkmcnt(0)
	v_add_u32_e32 v22, v36, v22
	ds_write_b32 v41, v22 offset:64
.LBB1207_29:
	s_or_b64 exec, exec, s[20:21]
	v_lshrrev_b64 v[22:23], s52, v[16:17]
	v_and_b32_e32 v42, s59, v22
	v_mul_lo_u32 v22, v42, s24
	v_lshl_add_u32 v44, v40, 2, v22
	v_and_b32_e32 v22, 1, v42
	v_mov_b32_e32 v23, 0
	v_lshl_add_u64 v[24:25], v[22:23], 0, -1
	v_cmp_ne_u32_e64 s[20:21], 0, v22
	; wave barrier
	s_nop 1
	v_xor_b32_e32 v24, s20, v24
	v_xor_b32_e32 v22, s21, v25
	v_and_b32_e32 v43, exec_lo, v24
	v_lshlrev_b32_e32 v25, 30, v42
	v_mov_b32_e32 v24, v23
	v_cmp_gt_i64_e64 s[20:21], 0, v[24:25]
	v_not_b32_e32 v24, v25
	v_ashrrev_i32_e32 v24, 31, v24
	v_and_b32_e32 v22, exec_hi, v22
	v_xor_b32_e32 v25, s21, v24
	v_xor_b32_e32 v24, s20, v24
	v_and_b32_e32 v22, v22, v25
	v_and_b32_e32 v43, v43, v24
	v_lshlrev_b32_e32 v25, 29, v42
	v_mov_b32_e32 v24, v23
	v_cmp_gt_i64_e64 s[20:21], 0, v[24:25]
	v_not_b32_e32 v24, v25
	v_ashrrev_i32_e32 v24, 31, v24
	v_xor_b32_e32 v25, s21, v24
	v_xor_b32_e32 v24, s20, v24
	v_and_b32_e32 v22, v22, v25
	v_and_b32_e32 v43, v43, v24
	v_lshlrev_b32_e32 v25, 28, v42
	v_mov_b32_e32 v24, v23
	v_cmp_gt_i64_e64 s[20:21], 0, v[24:25]
	v_not_b32_e32 v24, v25
	v_ashrrev_i32_e32 v24, 31, v24
	;; [unrolled: 9-line block ×6, first 2 shown]
	v_xor_b32_e32 v25, s21, v24
	v_xor_b32_e32 v24, s20, v24
	ds_read_b32 v39, v44 offset:64
	v_and_b32_e32 v24, v43, v24
	v_and_b32_e32 v25, v22, v25
	v_mbcnt_lo_u32_b32 v22, v24, 0
	v_mbcnt_hi_u32_b32 v42, v25, v22
	v_cmp_eq_u32_e64 s[20:21], 0, v42
	v_cmp_ne_u64_e64 s[22:23], 0, v[24:25]
	s_and_b64 s[22:23], s[22:23], s[20:21]
	; wave barrier
	s_and_saveexec_b64 s[20:21], s[22:23]
	s_cbranch_execz .LBB1207_31
; %bb.30:
	v_bcnt_u32_b32 v22, v24, 0
	v_bcnt_u32_b32 v22, v25, v22
	s_waitcnt lgkmcnt(0)
	v_add_u32_e32 v22, v39, v22
	ds_write_b32 v44, v22 offset:64
.LBB1207_31:
	s_or_b64 exec, exec, s[20:21]
	v_lshrrev_b64 v[24:25], s52, v[14:15]
	v_and_b32_e32 v45, s59, v24
	v_mul_lo_u32 v22, v45, s24
	v_lshl_add_u32 v47, v40, 2, v22
	v_and_b32_e32 v22, 1, v45
	v_lshl_add_u64 v[24:25], v[22:23], 0, -1
	v_cmp_ne_u32_e64 s[20:21], 0, v22
	; wave barrier
	s_nop 1
	v_xor_b32_e32 v24, s20, v24
	v_xor_b32_e32 v22, s21, v25
	v_and_b32_e32 v46, exec_lo, v24
	v_lshlrev_b32_e32 v25, 30, v45
	v_mov_b32_e32 v24, v23
	v_cmp_gt_i64_e64 s[20:21], 0, v[24:25]
	v_not_b32_e32 v24, v25
	v_ashrrev_i32_e32 v24, 31, v24
	v_and_b32_e32 v22, exec_hi, v22
	v_xor_b32_e32 v25, s21, v24
	v_xor_b32_e32 v24, s20, v24
	v_and_b32_e32 v22, v22, v25
	v_and_b32_e32 v46, v46, v24
	v_lshlrev_b32_e32 v25, 29, v45
	v_mov_b32_e32 v24, v23
	v_cmp_gt_i64_e64 s[20:21], 0, v[24:25]
	v_not_b32_e32 v24, v25
	v_ashrrev_i32_e32 v24, 31, v24
	v_xor_b32_e32 v25, s21, v24
	v_xor_b32_e32 v24, s20, v24
	v_and_b32_e32 v22, v22, v25
	v_and_b32_e32 v46, v46, v24
	v_lshlrev_b32_e32 v25, 28, v45
	v_mov_b32_e32 v24, v23
	v_cmp_gt_i64_e64 s[20:21], 0, v[24:25]
	v_not_b32_e32 v24, v25
	v_ashrrev_i32_e32 v24, 31, v24
	;; [unrolled: 9-line block ×5, first 2 shown]
	v_xor_b32_e32 v25, s21, v24
	v_xor_b32_e32 v24, s20, v24
	v_and_b32_e32 v22, v22, v25
	v_lshlrev_b32_e32 v25, 24, v45
	v_and_b32_e32 v46, v46, v24
	v_mov_b32_e32 v24, v23
	v_not_b32_e32 v23, v25
	v_cmp_gt_i64_e64 s[20:21], 0, v[24:25]
	v_ashrrev_i32_e32 v23, 31, v23
	ds_read_b32 v43, v47 offset:64
	v_xor_b32_e32 v24, s21, v23
	v_xor_b32_e32 v25, s20, v23
	v_and_b32_e32 v23, v22, v24
	v_and_b32_e32 v22, v46, v25
	v_mbcnt_lo_u32_b32 v24, v22, 0
	v_mbcnt_hi_u32_b32 v45, v23, v24
	v_cmp_eq_u32_e64 s[20:21], 0, v45
	v_cmp_ne_u64_e64 s[22:23], 0, v[22:23]
	s_and_b64 s[22:23], s[22:23], s[20:21]
	; wave barrier
	s_and_saveexec_b64 s[20:21], s[22:23]
	s_cbranch_execz .LBB1207_33
; %bb.32:
	v_bcnt_u32_b32 v22, v22, 0
	v_bcnt_u32_b32 v22, v23, v22
	s_waitcnt lgkmcnt(0)
	v_add_u32_e32 v22, v43, v22
	ds_write_b32 v47, v22 offset:64
.LBB1207_33:
	s_or_b64 exec, exec, s[20:21]
	v_lshrrev_b64 v[22:23], s52, v[20:21]
	v_and_b32_e32 v48, s59, v22
	v_mul_lo_u32 v22, v48, s24
	v_lshl_add_u32 v50, v40, 2, v22
	v_and_b32_e32 v22, 1, v48
	v_mov_b32_e32 v23, 0
	v_lshl_add_u64 v[24:25], v[22:23], 0, -1
	v_cmp_ne_u32_e64 s[20:21], 0, v22
	; wave barrier
	s_nop 1
	v_xor_b32_e32 v24, s20, v24
	v_xor_b32_e32 v22, s21, v25
	v_and_b32_e32 v49, exec_lo, v24
	v_lshlrev_b32_e32 v25, 30, v48
	v_mov_b32_e32 v24, v23
	v_cmp_gt_i64_e64 s[20:21], 0, v[24:25]
	v_not_b32_e32 v24, v25
	v_ashrrev_i32_e32 v24, 31, v24
	v_and_b32_e32 v22, exec_hi, v22
	v_xor_b32_e32 v25, s21, v24
	v_xor_b32_e32 v24, s20, v24
	v_and_b32_e32 v22, v22, v25
	v_and_b32_e32 v49, v49, v24
	v_lshlrev_b32_e32 v25, 29, v48
	v_mov_b32_e32 v24, v23
	v_cmp_gt_i64_e64 s[20:21], 0, v[24:25]
	v_not_b32_e32 v24, v25
	v_ashrrev_i32_e32 v24, 31, v24
	v_xor_b32_e32 v25, s21, v24
	v_xor_b32_e32 v24, s20, v24
	v_and_b32_e32 v22, v22, v25
	v_and_b32_e32 v49, v49, v24
	v_lshlrev_b32_e32 v25, 28, v48
	v_mov_b32_e32 v24, v23
	v_cmp_gt_i64_e64 s[20:21], 0, v[24:25]
	v_not_b32_e32 v24, v25
	v_ashrrev_i32_e32 v24, 31, v24
	;; [unrolled: 9-line block ×6, first 2 shown]
	v_xor_b32_e32 v25, s21, v24
	v_xor_b32_e32 v24, s20, v24
	ds_read_b32 v46, v50 offset:64
	v_and_b32_e32 v24, v49, v24
	v_and_b32_e32 v25, v22, v25
	v_mbcnt_lo_u32_b32 v22, v24, 0
	v_mbcnt_hi_u32_b32 v48, v25, v22
	v_cmp_eq_u32_e64 s[20:21], 0, v48
	v_cmp_ne_u64_e64 s[22:23], 0, v[24:25]
	s_and_b64 s[22:23], s[22:23], s[20:21]
	; wave barrier
	s_and_saveexec_b64 s[20:21], s[22:23]
	s_cbranch_execz .LBB1207_35
; %bb.34:
	v_bcnt_u32_b32 v22, v24, 0
	v_bcnt_u32_b32 v22, v25, v22
	s_waitcnt lgkmcnt(0)
	v_add_u32_e32 v22, v46, v22
	ds_write_b32 v50, v22 offset:64
.LBB1207_35:
	s_or_b64 exec, exec, s[20:21]
	v_lshrrev_b64 v[24:25], s52, v[18:19]
	v_and_b32_e32 v51, s59, v24
	v_mul_lo_u32 v22, v51, s24
	v_lshl_add_u32 v40, v40, 2, v22
	v_and_b32_e32 v22, 1, v51
	v_lshl_add_u64 v[24:25], v[22:23], 0, -1
	v_cmp_ne_u32_e64 s[20:21], 0, v22
	; wave barrier
	s_nop 1
	v_xor_b32_e32 v24, s20, v24
	v_xor_b32_e32 v22, s21, v25
	v_and_b32_e32 v52, exec_lo, v24
	v_lshlrev_b32_e32 v25, 30, v51
	v_mov_b32_e32 v24, v23
	v_cmp_gt_i64_e64 s[20:21], 0, v[24:25]
	v_not_b32_e32 v24, v25
	v_ashrrev_i32_e32 v24, 31, v24
	v_and_b32_e32 v22, exec_hi, v22
	v_xor_b32_e32 v25, s21, v24
	v_xor_b32_e32 v24, s20, v24
	v_and_b32_e32 v22, v22, v25
	v_and_b32_e32 v52, v52, v24
	v_lshlrev_b32_e32 v25, 29, v51
	v_mov_b32_e32 v24, v23
	v_cmp_gt_i64_e64 s[20:21], 0, v[24:25]
	v_not_b32_e32 v24, v25
	v_ashrrev_i32_e32 v24, 31, v24
	v_xor_b32_e32 v25, s21, v24
	v_xor_b32_e32 v24, s20, v24
	v_and_b32_e32 v22, v22, v25
	v_and_b32_e32 v52, v52, v24
	v_lshlrev_b32_e32 v25, 28, v51
	v_mov_b32_e32 v24, v23
	v_cmp_gt_i64_e64 s[20:21], 0, v[24:25]
	v_not_b32_e32 v24, v25
	v_ashrrev_i32_e32 v24, 31, v24
	;; [unrolled: 9-line block ×5, first 2 shown]
	v_xor_b32_e32 v25, s21, v24
	v_xor_b32_e32 v24, s20, v24
	v_and_b32_e32 v22, v22, v25
	v_lshlrev_b32_e32 v25, 24, v51
	v_and_b32_e32 v52, v52, v24
	v_mov_b32_e32 v24, v23
	v_not_b32_e32 v23, v25
	v_cmp_gt_i64_e64 s[20:21], 0, v[24:25]
	v_ashrrev_i32_e32 v23, 31, v23
	ds_read_b32 v49, v40 offset:64
	v_xor_b32_e32 v24, s21, v23
	v_xor_b32_e32 v25, s20, v23
	v_and_b32_e32 v23, v22, v24
	v_and_b32_e32 v22, v52, v25
	v_mbcnt_lo_u32_b32 v24, v22, 0
	v_mbcnt_hi_u32_b32 v51, v23, v24
	v_cmp_eq_u32_e64 s[20:21], 0, v51
	v_cmp_ne_u64_e64 s[22:23], 0, v[22:23]
	s_and_b64 s[22:23], s[22:23], s[20:21]
	; wave barrier
	s_and_saveexec_b64 s[20:21], s[22:23]
	s_cbranch_execz .LBB1207_37
; %bb.36:
	v_bcnt_u32_b32 v22, v22, 0
	v_bcnt_u32_b32 v22, v23, v22
	s_waitcnt lgkmcnt(0)
	v_add_u32_e32 v22, v49, v22
	ds_write_b32 v40, v22 offset:64
.LBB1207_37:
	s_or_b64 exec, exec, s[20:21]
	; wave barrier
	s_waitcnt lgkmcnt(0)
	s_barrier
	ds_read2_b32 v[24:25], v5 offset0:16 offset1:17
	ds_read2_b32 v[22:23], v5 offset0:18 offset1:19
	ds_read_b32 v52, v5 offset:80
	v_cmp_lt_u32_e64 s[30:31], 31, v26
	s_waitcnt lgkmcnt(1)
	v_add3_u32 v53, v25, v24, v22
	s_waitcnt lgkmcnt(0)
	v_add3_u32 v52, v53, v23, v52
	v_and_b32_e32 v53, 15, v26
	v_cmp_eq_u32_e64 s[20:21], 0, v53
	v_mov_b32_dpp v54, v52 row_shr:1 row_mask:0xf bank_mask:0xf
	v_cmp_lt_u32_e64 s[22:23], 1, v53
	v_cndmask_b32_e64 v54, v54, 0, s[20:21]
	v_add_u32_e32 v52, v54, v52
	v_cmp_lt_u32_e64 s[24:25], 3, v53
	v_cmp_lt_u32_e64 s[26:27], 7, v53
	v_mov_b32_dpp v54, v52 row_shr:2 row_mask:0xf bank_mask:0xf
	v_cndmask_b32_e64 v54, 0, v54, s[22:23]
	v_add_u32_e32 v52, v52, v54
	s_nop 1
	v_mov_b32_dpp v54, v52 row_shr:4 row_mask:0xf bank_mask:0xf
	v_cndmask_b32_e64 v54, 0, v54, s[24:25]
	v_add_u32_e32 v52, v52, v54
	s_nop 1
	v_mov_b32_dpp v54, v52 row_shr:8 row_mask:0xf bank_mask:0xf
	v_cndmask_b32_e64 v53, 0, v54, s[26:27]
	v_add_u32_e32 v52, v52, v53
	v_bfe_i32 v54, v26, 4, 1
	s_nop 0
	v_mov_b32_dpp v53, v52 row_bcast:15 row_mask:0xf bank_mask:0xf
	v_and_b32_e32 v53, v54, v53
	v_add_u32_e32 v52, v52, v53
	v_and_b32_e32 v54, 63, v2
	s_nop 0
	v_mov_b32_dpp v53, v52 row_bcast:31 row_mask:0xf bank_mask:0xf
	v_cndmask_b32_e64 v53, 0, v53, s[30:31]
	v_add_u32_e32 v52, v52, v53
	v_lshrrev_b32_e32 v53, 6, v2
	v_cmp_eq_u32_e64 s[30:31], 63, v54
	s_and_saveexec_b64 s[34:35], s[30:31]
; %bb.38:
	v_lshlrev_b32_e32 v54, 2, v53
	ds_write_b32 v54, v52
; %bb.39:
	s_or_b64 exec, exec, s[34:35]
	v_cmp_gt_u32_e64 s[30:31], 16, v2
	s_waitcnt lgkmcnt(0)
	s_barrier
	s_and_saveexec_b64 s[34:35], s[30:31]
	s_cbranch_execz .LBB1207_41
; %bb.40:
	v_lshlrev_b32_e32 v54, 2, v2
	ds_read_b32 v55, v54
	s_waitcnt lgkmcnt(0)
	s_nop 0
	v_mov_b32_dpp v56, v55 row_shr:1 row_mask:0xf bank_mask:0xf
	v_cndmask_b32_e64 v56, v56, 0, s[20:21]
	v_add_u32_e32 v55, v56, v55
	s_nop 1
	v_mov_b32_dpp v56, v55 row_shr:2 row_mask:0xf bank_mask:0xf
	v_cndmask_b32_e64 v56, 0, v56, s[22:23]
	v_add_u32_e32 v55, v55, v56
	;; [unrolled: 4-line block ×4, first 2 shown]
	ds_write_b32 v54, v55
.LBB1207_41:
	s_or_b64 exec, exec, s[34:35]
	v_cmp_lt_u32_e64 s[20:21], 63, v2
	v_mov_b32_e32 v54, 0
	s_waitcnt lgkmcnt(0)
	s_barrier
	s_and_saveexec_b64 s[22:23], s[20:21]
; %bb.42:
	v_lshl_add_u32 v53, v53, 2, -4
	ds_read_b32 v54, v53
; %bb.43:
	s_or_b64 exec, exec, s[22:23]
	v_subrev_co_u32_e64 v53, s[20:21], 1, v26
	v_and_b32_e32 v55, 64, v26
	v_cmp_lt_i32_e64 s[22:23], v53, v55
	s_waitcnt lgkmcnt(0)
	v_add_u32_e32 v52, v54, v52
	s_movk_i32 s24, 0x100
	v_cndmask_b32_e64 v26, v53, v26, s[22:23]
	v_lshlrev_b32_e32 v26, 2, v26
	ds_bpermute_b32 v26, v26, v52
	v_cmp_gt_u32_e64 s[22:23], s24, v2
	s_waitcnt lgkmcnt(0)
	v_cndmask_b32_e64 v26, v26, v54, s[20:21]
	v_cndmask_b32_e64 v26, v26, 0, s[18:19]
	v_add_u32_e32 v24, v26, v24
	v_add_u32_e32 v25, v24, v25
	;; [unrolled: 1-line block ×4, first 2 shown]
	ds_write2_b32 v5, v26, v24 offset0:16 offset1:17
	ds_write2_b32 v5, v25, v22 offset0:18 offset1:19
	ds_write_b32 v5, v23 offset:80
	s_waitcnt lgkmcnt(0)
	s_barrier
	ds_read_b32 v55, v27 offset:64
	ds_read_b32 v5, v34 offset:64
	ds_read_b32 v52, v37 offset:64
	ds_read_b32 v53, v41 offset:64
	ds_read_b32 v54, v44 offset:64
	ds_read_b32 v47, v47 offset:64
	ds_read_b32 v41, v50 offset:64
	ds_read_b32 v44, v40 offset:64
	s_movk_i32 s20, 0xff
	v_cmp_lt_u32_e64 s[20:21], s20, v2
                                        ; implicit-def: $vgpr34
                                        ; implicit-def: $vgpr37
	s_and_saveexec_b64 s[26:27], s[22:23]
	s_cbranch_execz .LBB1207_47
; %bb.44:
	v_mul_u32_u24_e32 v22, 0x44, v2
	ds_read_b32 v34, v22 offset:64
	v_add_u32_e32 v23, 1, v2
	v_cmp_ne_u32_e64 s[24:25], s24, v23
	v_mov_b32_e32 v22, 0x2000
	s_and_saveexec_b64 s[30:31], s[24:25]
; %bb.45:
	v_mul_u32_u24_e32 v22, 0x44, v23
	ds_read_b32 v22, v22 offset:64
; %bb.46:
	s_or_b64 exec, exec, s[30:31]
	s_waitcnt lgkmcnt(0)
	v_sub_u32_e32 v37, v22, v34
.LBB1207_47:
	s_or_b64 exec, exec, s[26:27]
	v_mov_b32_e32 v23, 0
	v_lshlrev_b32_e32 v40, 2, v2
	s_waitcnt lgkmcnt(0)
	s_barrier
	s_and_saveexec_b64 s[24:25], s[22:23]
	s_cbranch_execz .LBB1207_57
; %bb.48:
	v_lshl_add_u32 v22, s33, 8, v2
	v_lshl_add_u64 v[24:25], v[22:23], 2, s[56:57]
	v_or_b32_e32 v22, 2.0, v37
	s_mov_b64 s[26:27], 0
	s_brev_b32 s36, -4
	s_mov_b32 s37, s33
	v_mov_b32_e32 v50, 0
	global_store_dword v[24:25], v22, off sc1
                                        ; implicit-def: $sgpr22_sgpr23
	s_branch .LBB1207_51
.LBB1207_49:                            ;   in Loop: Header=BB1207_51 Depth=1
	s_or_b64 exec, exec, s[34:35]
.LBB1207_50:                            ;   in Loop: Header=BB1207_51 Depth=1
	s_or_b64 exec, exec, s[30:31]
	v_and_b32_e32 v26, 0x3fffffff, v22
	v_add_u32_e32 v50, v26, v50
	v_cmp_gt_i32_e64 s[22:23], -2.0, v22
	s_and_b64 s[30:31], exec, s[22:23]
	s_or_b64 s[26:27], s[30:31], s[26:27]
	s_andn2_b64 exec, exec, s[26:27]
	s_cbranch_execz .LBB1207_56
.LBB1207_51:                            ; =>This Loop Header: Depth=1
                                        ;     Child Loop BB1207_54 Depth 2
	s_or_b64 s[22:23], s[22:23], exec
	s_cmp_eq_u32 s37, 0
	s_cbranch_scc1 .LBB1207_55
; %bb.52:                               ;   in Loop: Header=BB1207_51 Depth=1
	s_add_i32 s37, s37, -1
	v_lshl_or_b32 v22, s37, 8, v2
	v_lshl_add_u64 v[26:27], v[22:23], 2, s[56:57]
	global_load_dword v22, v[26:27], off sc1
	s_waitcnt vmcnt(0)
	v_cmp_gt_u32_e64 s[22:23], 2.0, v22
	s_and_saveexec_b64 s[30:31], s[22:23]
	s_cbranch_execz .LBB1207_50
; %bb.53:                               ;   in Loop: Header=BB1207_51 Depth=1
	s_mov_b64 s[34:35], 0
.LBB1207_54:                            ;   Parent Loop BB1207_51 Depth=1
                                        ; =>  This Inner Loop Header: Depth=2
	global_load_dword v22, v[26:27], off sc1
	s_waitcnt vmcnt(0)
	v_cmp_lt_u32_e64 s[22:23], s36, v22
	s_or_b64 s[34:35], s[22:23], s[34:35]
	s_andn2_b64 exec, exec, s[34:35]
	s_cbranch_execnz .LBB1207_54
	s_branch .LBB1207_49
.LBB1207_55:                            ;   in Loop: Header=BB1207_51 Depth=1
                                        ; implicit-def: $sgpr37
	s_and_b64 s[30:31], exec, s[22:23]
	s_or_b64 s[26:27], s[30:31], s[26:27]
	s_andn2_b64 exec, exec, s[26:27]
	s_cbranch_execnz .LBB1207_51
.LBB1207_56:
	s_or_b64 exec, exec, s[26:27]
	v_add_u32_e32 v22, v50, v37
	v_or_b32_e32 v22, 0x80000000, v22
	global_store_dword v[24:25], v22, off sc1
	global_load_dword v22, v40, s[48:49]
	v_sub_u32_e32 v23, v50, v34
	s_waitcnt vmcnt(0)
	v_add_u32_e32 v22, v23, v22
	ds_write_b32 v40, v22
.LBB1207_57:
	s_or_b64 exec, exec, s[24:25]
	s_load_dwordx2 s[22:23], s[0:1], 0x4
	v_add_u32_e32 v24, v55, v31
	v_add3_u32 v22, v32, v1, v5
	v_add3_u32 v23, v35, v33, v52
	;; [unrolled: 1-line block ×3, first 2 shown]
	s_waitcnt lgkmcnt(0)
	s_lshr_b32 s0, s22, 16
	s_mul_i32 s0, s0, s23
	v_mul_lo_u32 v25, s0, v2
	v_mul_u32_u24_e32 v27, s23, v3
	v_add3_u32 v25, v25, v27, v28
	v_mov_b32_e32 v27, 0x5050
	v_add3_u32 v55, v42, v39, v54
	v_add3_u32 v56, v45, v43, v47
	;; [unrolled: 1-line block ×4, first 2 shown]
	v_lshl_add_u32 v25, v25, 5, v27
	v_mov_b32_e32 v57, 0x400
	s_movk_i32 s24, 0x400
	v_lshl_add_u32 v26, v26, 3, v57
	v_add3_u32 v27, v51, v44, v49
	v_lshl_add_u32 v31, v31, 3, v57
	v_add3_u32 v41, v48, v41, v46
	;; [unrolled: 2-line block ×7, first 2 shown]
	v_lshl_add_u32 v46, v24, 3, v57
	s_mov_b32 s25, 0
	s_movk_i32 s26, 0x800
	v_add_u32_e32 v47, v40, v40
	v_mov_b32_e32 v23, 0
	v_mov_b32_e32 v1, v2
	;; [unrolled: 1-line block ×3, first 2 shown]
	s_mov_b32 s27, 0
	s_branch .LBB1207_59
.LBB1207_58:                            ;   in Loop: Header=BB1207_59 Depth=1
	s_or_b64 exec, exec, s[22:23]
	s_addk_i32 s27, 0xc000
	s_addk_i32 s25, 0xf800
	v_add_u32_e32 v5, 8, v5
	s_cmp_eq_u32 s27, 0xffff0000
	v_add_u32_e32 v1, 0x800, v1
	s_waitcnt lgkmcnt(0)
	s_barrier
	s_cbranch_scc1 .LBB1207_79
.LBB1207_59:                            ; =>This Inner Loop Header: Depth=1
	v_add_u32_e32 v22, s25, v24
	v_cmp_gt_u32_e64 s[0:1], s26, v22
	s_and_saveexec_b64 s[22:23], s[0:1]
; %bb.60:                               ;   in Loop: Header=BB1207_59 Depth=1
	v_add_u32_e32 v22, s27, v46
	ds_write_b64 v22, v[8:9]
; %bb.61:                               ;   in Loop: Header=BB1207_59 Depth=1
	s_or_b64 exec, exec, s[22:23]
	v_add_u32_e32 v22, s25, v32
	v_cmp_gt_u32_e64 s[0:1], s26, v22
	s_and_saveexec_b64 s[22:23], s[0:1]
; %bb.62:                               ;   in Loop: Header=BB1207_59 Depth=1
	v_add_u32_e32 v22, s27, v35
	ds_write_b64 v22, v[6:7]
; %bb.63:                               ;   in Loop: Header=BB1207_59 Depth=1
	s_or_b64 exec, exec, s[22:23]
	;; [unrolled: 8-line block ×8, first 2 shown]
	v_cmp_gt_u32_e64 s[0:1], s5, v1
	s_waitcnt lgkmcnt(0)
	s_barrier
	s_and_saveexec_b64 s[22:23], s[0:1]
	s_cbranch_execz .LBB1207_77
; %bb.76:                               ;   in Loop: Header=BB1207_59 Depth=1
	ds_read_b64 v[48:49], v47 offset:1024
	s_waitcnt lgkmcnt(0)
	v_lshrrev_b64 v[50:51], s52, v[48:49]
	v_and_b32_e32 v52, s59, v50
	v_lshlrev_b32_e32 v22, 2, v52
	ds_read_b32 v22, v22
	v_xor_b32_e32 v49, 0x80000000, v49
	ds_write_b32 v5, v52
	s_waitcnt lgkmcnt(1)
	v_add_u32_e32 v22, v1, v22
	v_lshl_add_u64 v[50:51], v[22:23], 3, s[42:43]
	global_store_dwordx2 v[50:51], v[48:49], off
.LBB1207_77:                            ;   in Loop: Header=BB1207_59 Depth=1
	s_or_b64 exec, exec, s[22:23]
	v_add_u32_e32 v22, 0x400, v1
	v_cmp_gt_u32_e64 s[0:1], s5, v22
	s_and_saveexec_b64 s[22:23], s[0:1]
	s_cbranch_execz .LBB1207_58
; %bb.78:                               ;   in Loop: Header=BB1207_59 Depth=1
	ds_read_b64 v[48:49], v47 offset:9216
	s_waitcnt lgkmcnt(0)
	v_lshrrev_b64 v[50:51], s52, v[48:49]
	v_and_b32_e32 v52, s59, v50
	v_lshlrev_b32_e32 v22, 2, v52
	ds_read_b32 v22, v22
	v_xor_b32_e32 v49, 0x80000000, v49
	ds_write_b32 v5, v52 offset:4
	s_waitcnt lgkmcnt(1)
	v_add3_u32 v22, v1, v22, s24
	v_lshl_add_u64 v[50:51], v[22:23], 3, s[42:43]
	global_store_dwordx2 v[50:51], v[48:49], off
	s_branch .LBB1207_58
.LBB1207_79:
	s_add_u32 s0, s44, s54
	s_addc_u32 s1, s45, s55
	v_mov_b32_e32 v1, 0
	v_lshl_add_u64 v[6:7], s[0:1], 0, v[0:1]
	v_mov_b32_e32 v5, v1
	v_lshl_add_u64 v[18:19], v[6:7], 0, v[4:5]
                                        ; implicit-def: $vgpr0_vgpr1
	s_and_saveexec_b64 s[0:1], vcc
	s_cbranch_execz .LBB1207_87
; %bb.80:
	global_load_dwordx2 v[0:1], v[18:19], off
	s_or_b64 exec, exec, s[0:1]
                                        ; implicit-def: $vgpr4_vgpr5
	s_and_saveexec_b64 s[0:1], s[28:29]
	s_cbranch_execnz .LBB1207_88
.LBB1207_81:
	s_or_b64 exec, exec, s[0:1]
                                        ; implicit-def: $vgpr6_vgpr7
	s_and_saveexec_b64 s[0:1], s[6:7]
	s_cbranch_execz .LBB1207_89
.LBB1207_82:
	global_load_dwordx2 v[6:7], v[18:19], off offset:1024
	s_or_b64 exec, exec, s[0:1]
                                        ; implicit-def: $vgpr8_vgpr9
	s_and_saveexec_b64 s[0:1], s[8:9]
	s_cbranch_execnz .LBB1207_90
.LBB1207_83:
	s_or_b64 exec, exec, s[0:1]
                                        ; implicit-def: $vgpr10_vgpr11
	s_and_saveexec_b64 s[0:1], s[10:11]
	s_cbranch_execz .LBB1207_91
.LBB1207_84:
	global_load_dwordx2 v[10:11], v[18:19], off offset:2048
	s_or_b64 exec, exec, s[0:1]
                                        ; implicit-def: $vgpr12_vgpr13
	s_and_saveexec_b64 s[0:1], s[12:13]
	s_cbranch_execnz .LBB1207_92
.LBB1207_85:
	s_or_b64 exec, exec, s[0:1]
                                        ; implicit-def: $vgpr14_vgpr15
	s_and_saveexec_b64 s[0:1], s[14:15]
	s_cbranch_execz .LBB1207_93
.LBB1207_86:
	global_load_dwordx2 v[14:15], v[18:19], off offset:3072
	s_or_b64 exec, exec, s[0:1]
                                        ; implicit-def: $vgpr16_vgpr17
	s_and_saveexec_b64 s[0:1], s[16:17]
	s_cbranch_execnz .LBB1207_94
	s_branch .LBB1207_95
.LBB1207_87:
	s_or_b64 exec, exec, s[0:1]
                                        ; implicit-def: $vgpr4_vgpr5
	s_and_saveexec_b64 s[0:1], s[28:29]
	s_cbranch_execz .LBB1207_81
.LBB1207_88:
	global_load_dwordx2 v[4:5], v[18:19], off offset:512
	s_or_b64 exec, exec, s[0:1]
                                        ; implicit-def: $vgpr6_vgpr7
	s_and_saveexec_b64 s[0:1], s[6:7]
	s_cbranch_execnz .LBB1207_82
.LBB1207_89:
	s_or_b64 exec, exec, s[0:1]
                                        ; implicit-def: $vgpr8_vgpr9
	s_and_saveexec_b64 s[0:1], s[8:9]
	s_cbranch_execz .LBB1207_83
.LBB1207_90:
	global_load_dwordx2 v[8:9], v[18:19], off offset:1536
	s_or_b64 exec, exec, s[0:1]
                                        ; implicit-def: $vgpr10_vgpr11
	s_and_saveexec_b64 s[0:1], s[10:11]
	s_cbranch_execnz .LBB1207_84
.LBB1207_91:
	s_or_b64 exec, exec, s[0:1]
                                        ; implicit-def: $vgpr12_vgpr13
	s_and_saveexec_b64 s[0:1], s[12:13]
	s_cbranch_execz .LBB1207_85
.LBB1207_92:
	global_load_dwordx2 v[12:13], v[18:19], off offset:2560
	s_or_b64 exec, exec, s[0:1]
                                        ; implicit-def: $vgpr14_vgpr15
	s_and_saveexec_b64 s[0:1], s[14:15]
	s_cbranch_execnz .LBB1207_86
.LBB1207_93:
	s_or_b64 exec, exec, s[0:1]
                                        ; implicit-def: $vgpr16_vgpr17
	s_and_saveexec_b64 s[0:1], s[16:17]
	s_cbranch_execz .LBB1207_95
.LBB1207_94:
	global_load_dwordx2 v[16:17], v[18:19], off offset:3584
.LBB1207_95:
	s_or_b64 exec, exec, s[0:1]
	s_mov_b32 s6, 0
	s_movk_i32 s7, 0x800
	v_mov_b32_e32 v19, 0
	s_movk_i32 s8, 0x400
	s_mov_b32 s9, 0
	v_mov_b32_e32 v20, v2
	s_waitcnt vmcnt(0)
	s_branch .LBB1207_97
.LBB1207_96:                            ;   in Loop: Header=BB1207_97 Depth=1
	s_or_b64 exec, exec, s[0:1]
	s_addk_i32 s9, 0xc000
	s_addk_i32 s6, 0xf800
	v_add_u32_e32 v20, 0x800, v20
	s_cmp_eq_u32 s9, 0xffff0000
	v_add_u32_e32 v25, 8, v25
	s_barrier
	s_cbranch_scc1 .LBB1207_117
.LBB1207_97:                            ; =>This Inner Loop Header: Depth=1
	v_add_u32_e32 v18, s6, v24
	v_cmp_gt_u32_e32 vcc, s7, v18
	s_and_saveexec_b64 s[0:1], vcc
; %bb.98:                               ;   in Loop: Header=BB1207_97 Depth=1
	v_add_u32_e32 v18, s9, v46
	ds_write_b64 v18, v[0:1]
; %bb.99:                               ;   in Loop: Header=BB1207_97 Depth=1
	s_or_b64 exec, exec, s[0:1]
	v_add_u32_e32 v18, s6, v32
	v_cmp_gt_u32_e32 vcc, s7, v18
	s_and_saveexec_b64 s[0:1], vcc
; %bb.100:                              ;   in Loop: Header=BB1207_97 Depth=1
	v_add_u32_e32 v18, s9, v35
	ds_write_b64 v18, v[4:5]
; %bb.101:                              ;   in Loop: Header=BB1207_97 Depth=1
	s_or_b64 exec, exec, s[0:1]
	v_add_u32_e32 v18, s6, v33
	v_cmp_gt_u32_e32 vcc, s7, v18
	s_and_saveexec_b64 s[0:1], vcc
; %bb.102:                              ;   in Loop: Header=BB1207_97 Depth=1
	v_add_u32_e32 v18, s9, v38
	ds_write_b64 v18, v[6:7]
; %bb.103:                              ;   in Loop: Header=BB1207_97 Depth=1
	;; [unrolled: 8-line block ×7, first 2 shown]
	s_or_b64 exec, exec, s[0:1]
	v_cmp_gt_u32_e32 vcc, s5, v20
	s_waitcnt lgkmcnt(0)
	s_barrier
	s_and_saveexec_b64 s[0:1], vcc
	s_cbranch_execz .LBB1207_115
; %bb.114:                              ;   in Loop: Header=BB1207_97 Depth=1
	ds_read_b32 v18, v25
	s_waitcnt lgkmcnt(0)
	v_lshlrev_b32_e32 v18, 2, v18
	ds_read_b32 v18, v18
	ds_read_b64 v[22:23], v47 offset:1024
	s_waitcnt lgkmcnt(1)
	v_add_u32_e32 v18, v20, v18
	v_lshl_add_u64 v[48:49], v[18:19], 3, s[46:47]
	s_waitcnt lgkmcnt(0)
	global_store_dwordx2 v[48:49], v[22:23], off
.LBB1207_115:                           ;   in Loop: Header=BB1207_97 Depth=1
	s_or_b64 exec, exec, s[0:1]
	v_add_u32_e32 v18, 0x400, v20
	v_cmp_gt_u32_e32 vcc, s5, v18
	s_and_saveexec_b64 s[0:1], vcc
	s_cbranch_execz .LBB1207_96
; %bb.116:                              ;   in Loop: Header=BB1207_97 Depth=1
	ds_read_b32 v18, v25 offset:4
	s_waitcnt lgkmcnt(0)
	v_lshlrev_b32_e32 v18, 2, v18
	ds_read_b32 v18, v18
	ds_read_b64 v[22:23], v47 offset:9216
	s_waitcnt lgkmcnt(1)
	v_add3_u32 v18, v20, v18, s8
	v_lshl_add_u64 v[48:49], v[18:19], 3, s[46:47]
	s_waitcnt lgkmcnt(0)
	global_store_dwordx2 v[48:49], v[22:23], off
	s_branch .LBB1207_96
.LBB1207_117:
	s_add_i32 s58, s58, -1
	s_cmp_eq_u32 s33, s58
	s_cselect_b64 s[0:1], -1, 0
	s_xor_b64 s[6:7], s[20:21], -1
	s_and_b64 s[6:7], s[6:7], s[0:1]
	s_and_saveexec_b64 s[0:1], s[6:7]
	s_cbranch_execz .LBB1207_119
; %bb.118:
	ds_read_b32 v0, v40
	s_waitcnt lgkmcnt(0)
	v_add3_u32 v0, v34, v37, v0
	global_store_dword v40, v0, s[50:51]
.LBB1207_119:
	s_or_b64 exec, exec, s[0:1]
	s_mov_b64 s[6:7], 0
.LBB1207_120:
	s_and_b64 vcc, exec, s[6:7]
	s_cbranch_vccz .LBB1207_195
; %bb.121:
	s_lshl_b32 s0, s33, 13
	s_mov_b32 s1, 0
	s_lshl_b64 s[8:9], s[0:1], 3
	v_mbcnt_hi_u32_b32 v26, -1, v30
	s_add_u32 s0, s40, s8
	v_and_b32_e32 v0, 63, v26
	v_mov_b32_e32 v23, 0
	s_addc_u32 s1, s41, s9
	v_and_b32_e32 v4, 0x1e00, v29
	v_lshlrev_b32_e32 v0, 3, v0
	v_mov_b32_e32 v1, v23
	v_lshl_add_u64 v[6:7], s[0:1], 0, v[0:1]
	v_lshlrev_b32_e32 v4, 3, v4
	v_mov_b32_e32 v5, v23
	v_lshl_add_u64 v[24:25], v[6:7], 0, v[4:5]
	global_load_dwordx2 v[6:7], v[24:25], off
	s_load_dword s0, s[2:3], 0x64
	s_load_dword s12, s[2:3], 0x58
	s_add_u32 s1, s2, 0x58
	s_addc_u32 s2, s3, 0
	v_mul_u32_u24_e32 v1, 20, v2
	s_waitcnt lgkmcnt(0)
	s_lshr_b32 s3, s0, 16
	s_cmp_lt_u32 s4, s12
	s_cselect_b32 s0, 12, 18
	s_add_u32 s0, s1, s0
	s_addc_u32 s1, s2, 0
	global_load_ushort v5, v23, s[0:1]
	ds_write2_b32 v1, v23, v23 offset0:16 offset1:17
	ds_write2_b32 v1, v23, v23 offset0:18 offset1:19
	ds_write_b32 v1, v23 offset:80
	global_load_dwordx2 v[8:9], v[24:25], off offset:512
	global_load_dwordx2 v[10:11], v[24:25], off offset:1024
	global_load_dwordx2 v[12:13], v[24:25], off offset:1536
	global_load_dwordx2 v[14:15], v[24:25], off offset:2048
	global_load_dwordx2 v[16:17], v[24:25], off offset:2560
	global_load_dwordx2 v[18:19], v[24:25], off offset:3072
	global_load_dwordx2 v[20:21], v[24:25], off offset:3584
	s_lshl_b32 s0, -1, s53
	v_mad_u32_u24 v3, v28, s3, v3
	v_mov_b32_e32 v30, v23
	s_not_b32 s13, s0
	v_mov_b32_e32 v32, v23
	v_mov_b32_e32 v34, v23
	;; [unrolled: 1-line block ×4, first 2 shown]
	s_movk_i32 s10, 0x44
	s_waitcnt lgkmcnt(0)
	s_barrier
	s_waitcnt vmcnt(8)
	; wave barrier
	v_xor_b32_e32 v7, 0x80000000, v7
	v_lshrrev_b64 v[24:25], s52, v[6:7]
	v_bitop3_b32 v40, v24, s0, v24 bitop3:0x30
	v_and_b32_e32 v22, 1, v40
	v_lshlrev_b32_e32 v31, 30, v40
	v_lshlrev_b32_e32 v33, 29, v40
	v_lshl_add_u64 v[28:29], v[22:23], 0, -1
	v_cmp_ne_u32_e32 vcc, 0, v22
	v_lshlrev_b32_e32 v35, 28, v40
	v_cmp_gt_i64_e64 s[2:3], 0, v[32:33]
	s_waitcnt vmcnt(7)
	v_mad_u64_u32 v[24:25], s[0:1], v3, v5, v[2:3]
	v_not_b32_e32 v3, v31
	v_cmp_gt_i64_e64 s[0:1], 0, v[30:31]
	v_not_b32_e32 v5, v33
	v_xor_b32_e32 v28, vcc_lo, v28
	v_ashrrev_i32_e32 v3, 31, v3
	v_cmp_gt_i64_e64 s[4:5], 0, v[34:35]
	v_not_b32_e32 v22, v35
	v_lshrrev_b32_e32 v34, 6, v24
	v_xor_b32_e32 v24, vcc_hi, v29
	v_ashrrev_i32_e32 v5, 31, v5
	v_and_b32_e32 v28, exec_lo, v28
	v_xor_b32_e32 v29, s1, v3
	v_xor_b32_e32 v3, s0, v3
	v_lshlrev_b32_e32 v37, 27, v40
	v_ashrrev_i32_e32 v22, 31, v22
	v_and_b32_e32 v24, exec_hi, v24
	v_xor_b32_e32 v30, s3, v5
	v_xor_b32_e32 v5, s2, v5
	v_and_b32_e32 v3, v28, v3
	v_lshlrev_b32_e32 v39, 26, v40
	v_not_b32_e32 v25, v37
	v_xor_b32_e32 v31, s5, v22
	v_xor_b32_e32 v22, s4, v22
	v_and_b32_e32 v24, v24, v29
	v_and_b32_e32 v3, v3, v5
	v_cmp_gt_i64_e64 s[6:7], 0, v[36:37]
	v_ashrrev_i32_e32 v25, 31, v25
	v_and_b32_e32 v24, v24, v30
	v_and_b32_e32 v3, v3, v22
	v_not_b32_e32 v22, v39
	v_xor_b32_e32 v32, s7, v25
	v_xor_b32_e32 v25, s6, v25
	v_and_b32_e32 v5, v24, v31
	v_cmp_gt_i64_e32 vcc, 0, v[38:39]
	v_ashrrev_i32_e32 v22, 31, v22
	v_and_b32_e32 v5, v5, v32
	v_and_b32_e32 v3, v3, v25
	v_xor_b32_e32 v24, vcc_hi, v22
	v_xor_b32_e32 v22, vcc_lo, v22
	v_lshlrev_b32_e32 v25, 25, v40
	v_and_b32_e32 v5, v5, v24
	v_and_b32_e32 v3, v3, v22
	v_mov_b32_e32 v24, v23
	v_not_b32_e32 v22, v25
	v_cmp_gt_i64_e32 vcc, 0, v[24:25]
	v_ashrrev_i32_e32 v22, 31, v22
	v_lshlrev_b32_e32 v25, 24, v40
	v_xor_b32_e32 v24, vcc_hi, v22
	v_xor_b32_e32 v22, vcc_lo, v22
	v_and_b32_e32 v5, v5, v24
	v_and_b32_e32 v3, v3, v22
	v_mov_b32_e32 v24, v23
	v_not_b32_e32 v22, v25
	v_cmp_gt_i64_e32 vcc, 0, v[24:25]
	v_ashrrev_i32_e32 v22, 31, v22
	v_mul_lo_u32 v27, v40, s10
	v_xor_b32_e32 v24, vcc_hi, v22
	v_xor_b32_e32 v22, vcc_lo, v22
	v_and_b32_e32 v25, v5, v24
	v_and_b32_e32 v24, v3, v22
	v_mbcnt_lo_u32_b32 v3, v24, 0
	v_mbcnt_hi_u32_b32 v5, v25, v3
	v_cmp_eq_u32_e32 vcc, 0, v5
	v_cmp_ne_u64_e64 s[0:1], 0, v[24:25]
	v_lshl_add_u32 v27, v34, 2, v27
	s_and_b64 s[2:3], s[0:1], vcc
	s_and_saveexec_b64 s[0:1], s[2:3]
; %bb.122:
	v_bcnt_u32_b32 v3, v24, 0
	v_bcnt_u32_b32 v3, v25, v3
	ds_write_b32 v27, v3 offset:64
; %bb.123:
	s_or_b64 exec, exec, s[0:1]
	s_waitcnt vmcnt(6)
	v_xor_b32_e32 v9, 0x80000000, v9
	v_lshrrev_b64 v[24:25], s52, v[8:9]
	v_and_b32_e32 v28, s13, v24
	v_and_b32_e32 v22, 1, v28
	v_lshl_add_u64 v[24:25], v[22:23], 0, -1
	v_cmp_ne_u32_e32 vcc, 0, v22
	v_mul_lo_u32 v3, v28, s10
	v_lshl_add_u32 v30, v34, 2, v3
	v_xor_b32_e32 v24, vcc_lo, v24
	v_xor_b32_e32 v22, vcc_hi, v25
	v_and_b32_e32 v29, exec_lo, v24
	v_lshlrev_b32_e32 v25, 30, v28
	v_mov_b32_e32 v24, v23
	v_cmp_gt_i64_e32 vcc, 0, v[24:25]
	v_not_b32_e32 v24, v25
	v_ashrrev_i32_e32 v24, 31, v24
	v_and_b32_e32 v22, exec_hi, v22
	v_xor_b32_e32 v25, vcc_hi, v24
	v_xor_b32_e32 v24, vcc_lo, v24
	v_and_b32_e32 v22, v22, v25
	v_and_b32_e32 v29, v29, v24
	v_lshlrev_b32_e32 v25, 29, v28
	v_mov_b32_e32 v24, v23
	v_cmp_gt_i64_e32 vcc, 0, v[24:25]
	v_not_b32_e32 v24, v25
	v_ashrrev_i32_e32 v24, 31, v24
	v_xor_b32_e32 v25, vcc_hi, v24
	v_xor_b32_e32 v24, vcc_lo, v24
	v_and_b32_e32 v22, v22, v25
	v_and_b32_e32 v29, v29, v24
	v_lshlrev_b32_e32 v25, 28, v28
	v_mov_b32_e32 v24, v23
	v_cmp_gt_i64_e32 vcc, 0, v[24:25]
	v_not_b32_e32 v24, v25
	v_ashrrev_i32_e32 v24, 31, v24
	;; [unrolled: 9-line block ×5, first 2 shown]
	v_xor_b32_e32 v25, vcc_hi, v24
	v_xor_b32_e32 v24, vcc_lo, v24
	v_and_b32_e32 v22, v22, v25
	v_lshlrev_b32_e32 v25, 24, v28
	v_and_b32_e32 v29, v29, v24
	v_mov_b32_e32 v24, v23
	v_not_b32_e32 v23, v25
	v_cmp_gt_i64_e32 vcc, 0, v[24:25]
	v_ashrrev_i32_e32 v23, 31, v23
	s_nop 0
	v_xor_b32_e32 v24, vcc_hi, v23
	v_xor_b32_e32 v25, vcc_lo, v23
	; wave barrier
	ds_read_b32 v3, v30 offset:64
	v_and_b32_e32 v23, v22, v24
	v_and_b32_e32 v22, v29, v25
	v_mbcnt_lo_u32_b32 v24, v22, 0
	v_mbcnt_hi_u32_b32 v28, v23, v24
	v_cmp_eq_u32_e32 vcc, 0, v28
	v_cmp_ne_u64_e64 s[0:1], 0, v[22:23]
	s_and_b64 s[2:3], s[0:1], vcc
	; wave barrier
	s_and_saveexec_b64 s[0:1], s[2:3]
	s_cbranch_execz .LBB1207_125
; %bb.124:
	v_bcnt_u32_b32 v22, v22, 0
	v_bcnt_u32_b32 v22, v23, v22
	s_waitcnt lgkmcnt(0)
	v_add_u32_e32 v22, v3, v22
	ds_write_b32 v30, v22 offset:64
.LBB1207_125:
	s_or_b64 exec, exec, s[0:1]
	s_waitcnt vmcnt(5)
	v_xor_b32_e32 v11, 0x80000000, v11
	v_lshrrev_b64 v[22:23], s52, v[10:11]
	v_and_b32_e32 v31, s13, v22
	s_movk_i32 s2, 0x44
	v_mul_lo_u32 v22, v31, s2
	v_lshl_add_u32 v33, v34, 2, v22
	v_and_b32_e32 v22, 1, v31
	v_mov_b32_e32 v23, 0
	v_lshl_add_u64 v[24:25], v[22:23], 0, -1
	v_cmp_ne_u32_e32 vcc, 0, v22
	; wave barrier
	s_nop 1
	v_xor_b32_e32 v24, vcc_lo, v24
	v_xor_b32_e32 v22, vcc_hi, v25
	v_and_b32_e32 v32, exec_lo, v24
	v_lshlrev_b32_e32 v25, 30, v31
	v_mov_b32_e32 v24, v23
	v_cmp_gt_i64_e32 vcc, 0, v[24:25]
	v_not_b32_e32 v24, v25
	v_ashrrev_i32_e32 v24, 31, v24
	v_and_b32_e32 v22, exec_hi, v22
	v_xor_b32_e32 v25, vcc_hi, v24
	v_xor_b32_e32 v24, vcc_lo, v24
	v_and_b32_e32 v22, v22, v25
	v_and_b32_e32 v32, v32, v24
	v_lshlrev_b32_e32 v25, 29, v31
	v_mov_b32_e32 v24, v23
	v_cmp_gt_i64_e32 vcc, 0, v[24:25]
	v_not_b32_e32 v24, v25
	v_ashrrev_i32_e32 v24, 31, v24
	v_xor_b32_e32 v25, vcc_hi, v24
	v_xor_b32_e32 v24, vcc_lo, v24
	v_and_b32_e32 v22, v22, v25
	v_and_b32_e32 v32, v32, v24
	v_lshlrev_b32_e32 v25, 28, v31
	v_mov_b32_e32 v24, v23
	v_cmp_gt_i64_e32 vcc, 0, v[24:25]
	v_not_b32_e32 v24, v25
	v_ashrrev_i32_e32 v24, 31, v24
	;; [unrolled: 9-line block ×6, first 2 shown]
	v_xor_b32_e32 v25, vcc_hi, v24
	v_xor_b32_e32 v24, vcc_lo, v24
	ds_read_b32 v29, v33 offset:64
	v_and_b32_e32 v24, v32, v24
	v_and_b32_e32 v25, v22, v25
	v_mbcnt_lo_u32_b32 v22, v24, 0
	v_mbcnt_hi_u32_b32 v31, v25, v22
	v_cmp_eq_u32_e32 vcc, 0, v31
	v_cmp_ne_u64_e64 s[0:1], 0, v[24:25]
	s_and_b64 s[4:5], s[0:1], vcc
	; wave barrier
	s_and_saveexec_b64 s[0:1], s[4:5]
	s_cbranch_execz .LBB1207_127
; %bb.126:
	v_bcnt_u32_b32 v22, v24, 0
	v_bcnt_u32_b32 v22, v25, v22
	s_waitcnt lgkmcnt(0)
	v_add_u32_e32 v22, v29, v22
	ds_write_b32 v33, v22 offset:64
.LBB1207_127:
	s_or_b64 exec, exec, s[0:1]
	s_waitcnt vmcnt(4)
	v_xor_b32_e32 v13, 0x80000000, v13
	v_lshrrev_b64 v[24:25], s52, v[12:13]
	v_and_b32_e32 v35, s13, v24
	v_mul_lo_u32 v22, v35, s2
	v_lshl_add_u32 v37, v34, 2, v22
	v_and_b32_e32 v22, 1, v35
	v_lshl_add_u64 v[24:25], v[22:23], 0, -1
	v_cmp_ne_u32_e32 vcc, 0, v22
	; wave barrier
	s_nop 1
	v_xor_b32_e32 v24, vcc_lo, v24
	v_xor_b32_e32 v22, vcc_hi, v25
	v_and_b32_e32 v36, exec_lo, v24
	v_lshlrev_b32_e32 v25, 30, v35
	v_mov_b32_e32 v24, v23
	v_cmp_gt_i64_e32 vcc, 0, v[24:25]
	v_not_b32_e32 v24, v25
	v_ashrrev_i32_e32 v24, 31, v24
	v_and_b32_e32 v22, exec_hi, v22
	v_xor_b32_e32 v25, vcc_hi, v24
	v_xor_b32_e32 v24, vcc_lo, v24
	v_and_b32_e32 v22, v22, v25
	v_and_b32_e32 v36, v36, v24
	v_lshlrev_b32_e32 v25, 29, v35
	v_mov_b32_e32 v24, v23
	v_cmp_gt_i64_e32 vcc, 0, v[24:25]
	v_not_b32_e32 v24, v25
	v_ashrrev_i32_e32 v24, 31, v24
	v_xor_b32_e32 v25, vcc_hi, v24
	v_xor_b32_e32 v24, vcc_lo, v24
	v_and_b32_e32 v22, v22, v25
	v_and_b32_e32 v36, v36, v24
	v_lshlrev_b32_e32 v25, 28, v35
	v_mov_b32_e32 v24, v23
	v_cmp_gt_i64_e32 vcc, 0, v[24:25]
	v_not_b32_e32 v24, v25
	v_ashrrev_i32_e32 v24, 31, v24
	;; [unrolled: 9-line block ×5, first 2 shown]
	v_xor_b32_e32 v25, vcc_hi, v24
	v_xor_b32_e32 v24, vcc_lo, v24
	v_and_b32_e32 v22, v22, v25
	v_lshlrev_b32_e32 v25, 24, v35
	v_and_b32_e32 v36, v36, v24
	v_mov_b32_e32 v24, v23
	v_not_b32_e32 v23, v25
	v_cmp_gt_i64_e32 vcc, 0, v[24:25]
	v_ashrrev_i32_e32 v23, 31, v23
	ds_read_b32 v32, v37 offset:64
	v_xor_b32_e32 v24, vcc_hi, v23
	v_xor_b32_e32 v25, vcc_lo, v23
	v_and_b32_e32 v23, v22, v24
	v_and_b32_e32 v22, v36, v25
	v_mbcnt_lo_u32_b32 v24, v22, 0
	v_mbcnt_hi_u32_b32 v35, v23, v24
	v_cmp_eq_u32_e32 vcc, 0, v35
	v_cmp_ne_u64_e64 s[0:1], 0, v[22:23]
	s_and_b64 s[2:3], s[0:1], vcc
	; wave barrier
	s_and_saveexec_b64 s[0:1], s[2:3]
	s_cbranch_execz .LBB1207_129
; %bb.128:
	v_bcnt_u32_b32 v22, v22, 0
	v_bcnt_u32_b32 v22, v23, v22
	s_waitcnt lgkmcnt(0)
	v_add_u32_e32 v22, v32, v22
	ds_write_b32 v37, v22 offset:64
.LBB1207_129:
	s_or_b64 exec, exec, s[0:1]
	s_waitcnt vmcnt(3)
	v_xor_b32_e32 v15, 0x80000000, v15
	v_lshrrev_b64 v[22:23], s52, v[14:15]
	v_and_b32_e32 v38, s13, v22
	s_movk_i32 s2, 0x44
	v_mul_lo_u32 v22, v38, s2
	v_lshl_add_u32 v40, v34, 2, v22
	v_and_b32_e32 v22, 1, v38
	v_mov_b32_e32 v23, 0
	v_lshl_add_u64 v[24:25], v[22:23], 0, -1
	v_cmp_ne_u32_e32 vcc, 0, v22
	; wave barrier
	s_nop 1
	v_xor_b32_e32 v24, vcc_lo, v24
	v_xor_b32_e32 v22, vcc_hi, v25
	v_and_b32_e32 v39, exec_lo, v24
	v_lshlrev_b32_e32 v25, 30, v38
	v_mov_b32_e32 v24, v23
	v_cmp_gt_i64_e32 vcc, 0, v[24:25]
	v_not_b32_e32 v24, v25
	v_ashrrev_i32_e32 v24, 31, v24
	v_and_b32_e32 v22, exec_hi, v22
	v_xor_b32_e32 v25, vcc_hi, v24
	v_xor_b32_e32 v24, vcc_lo, v24
	v_and_b32_e32 v22, v22, v25
	v_and_b32_e32 v39, v39, v24
	v_lshlrev_b32_e32 v25, 29, v38
	v_mov_b32_e32 v24, v23
	v_cmp_gt_i64_e32 vcc, 0, v[24:25]
	v_not_b32_e32 v24, v25
	v_ashrrev_i32_e32 v24, 31, v24
	v_xor_b32_e32 v25, vcc_hi, v24
	v_xor_b32_e32 v24, vcc_lo, v24
	v_and_b32_e32 v22, v22, v25
	v_and_b32_e32 v39, v39, v24
	v_lshlrev_b32_e32 v25, 28, v38
	v_mov_b32_e32 v24, v23
	v_cmp_gt_i64_e32 vcc, 0, v[24:25]
	v_not_b32_e32 v24, v25
	v_ashrrev_i32_e32 v24, 31, v24
	;; [unrolled: 9-line block ×6, first 2 shown]
	v_xor_b32_e32 v25, vcc_hi, v24
	v_xor_b32_e32 v24, vcc_lo, v24
	ds_read_b32 v36, v40 offset:64
	v_and_b32_e32 v24, v39, v24
	v_and_b32_e32 v25, v22, v25
	v_mbcnt_lo_u32_b32 v22, v24, 0
	v_mbcnt_hi_u32_b32 v38, v25, v22
	v_cmp_eq_u32_e32 vcc, 0, v38
	v_cmp_ne_u64_e64 s[0:1], 0, v[24:25]
	s_and_b64 s[4:5], s[0:1], vcc
	; wave barrier
	s_and_saveexec_b64 s[0:1], s[4:5]
	s_cbranch_execz .LBB1207_131
; %bb.130:
	v_bcnt_u32_b32 v22, v24, 0
	v_bcnt_u32_b32 v22, v25, v22
	s_waitcnt lgkmcnt(0)
	v_add_u32_e32 v22, v36, v22
	ds_write_b32 v40, v22 offset:64
.LBB1207_131:
	s_or_b64 exec, exec, s[0:1]
	s_waitcnt vmcnt(2)
	v_xor_b32_e32 v17, 0x80000000, v17
	v_lshrrev_b64 v[24:25], s52, v[16:17]
	v_and_b32_e32 v41, s13, v24
	v_mul_lo_u32 v22, v41, s2
	v_lshl_add_u32 v43, v34, 2, v22
	v_and_b32_e32 v22, 1, v41
	v_lshl_add_u64 v[24:25], v[22:23], 0, -1
	v_cmp_ne_u32_e32 vcc, 0, v22
	; wave barrier
	s_nop 1
	v_xor_b32_e32 v24, vcc_lo, v24
	v_xor_b32_e32 v22, vcc_hi, v25
	v_and_b32_e32 v42, exec_lo, v24
	v_lshlrev_b32_e32 v25, 30, v41
	v_mov_b32_e32 v24, v23
	v_cmp_gt_i64_e32 vcc, 0, v[24:25]
	v_not_b32_e32 v24, v25
	v_ashrrev_i32_e32 v24, 31, v24
	v_and_b32_e32 v22, exec_hi, v22
	v_xor_b32_e32 v25, vcc_hi, v24
	v_xor_b32_e32 v24, vcc_lo, v24
	v_and_b32_e32 v22, v22, v25
	v_and_b32_e32 v42, v42, v24
	v_lshlrev_b32_e32 v25, 29, v41
	v_mov_b32_e32 v24, v23
	v_cmp_gt_i64_e32 vcc, 0, v[24:25]
	v_not_b32_e32 v24, v25
	v_ashrrev_i32_e32 v24, 31, v24
	v_xor_b32_e32 v25, vcc_hi, v24
	v_xor_b32_e32 v24, vcc_lo, v24
	v_and_b32_e32 v22, v22, v25
	v_and_b32_e32 v42, v42, v24
	v_lshlrev_b32_e32 v25, 28, v41
	v_mov_b32_e32 v24, v23
	v_cmp_gt_i64_e32 vcc, 0, v[24:25]
	v_not_b32_e32 v24, v25
	v_ashrrev_i32_e32 v24, 31, v24
	;; [unrolled: 9-line block ×5, first 2 shown]
	v_xor_b32_e32 v25, vcc_hi, v24
	v_xor_b32_e32 v24, vcc_lo, v24
	v_and_b32_e32 v22, v22, v25
	v_lshlrev_b32_e32 v25, 24, v41
	v_and_b32_e32 v42, v42, v24
	v_mov_b32_e32 v24, v23
	v_not_b32_e32 v23, v25
	v_cmp_gt_i64_e32 vcc, 0, v[24:25]
	v_ashrrev_i32_e32 v23, 31, v23
	ds_read_b32 v39, v43 offset:64
	v_xor_b32_e32 v24, vcc_hi, v23
	v_xor_b32_e32 v25, vcc_lo, v23
	v_and_b32_e32 v23, v22, v24
	v_and_b32_e32 v22, v42, v25
	v_mbcnt_lo_u32_b32 v24, v22, 0
	v_mbcnt_hi_u32_b32 v41, v23, v24
	v_cmp_eq_u32_e32 vcc, 0, v41
	v_cmp_ne_u64_e64 s[0:1], 0, v[22:23]
	s_and_b64 s[2:3], s[0:1], vcc
	; wave barrier
	s_and_saveexec_b64 s[0:1], s[2:3]
	s_cbranch_execz .LBB1207_133
; %bb.132:
	v_bcnt_u32_b32 v22, v22, 0
	v_bcnt_u32_b32 v22, v23, v22
	s_waitcnt lgkmcnt(0)
	v_add_u32_e32 v22, v39, v22
	ds_write_b32 v43, v22 offset:64
.LBB1207_133:
	s_or_b64 exec, exec, s[0:1]
	s_waitcnt vmcnt(1)
	v_xor_b32_e32 v19, 0x80000000, v19
	v_lshrrev_b64 v[22:23], s52, v[18:19]
	v_and_b32_e32 v44, s13, v22
	s_movk_i32 s2, 0x44
	v_mul_lo_u32 v22, v44, s2
	v_lshl_add_u32 v46, v34, 2, v22
	v_and_b32_e32 v22, 1, v44
	v_mov_b32_e32 v23, 0
	v_lshl_add_u64 v[24:25], v[22:23], 0, -1
	v_cmp_ne_u32_e32 vcc, 0, v22
	; wave barrier
	s_nop 1
	v_xor_b32_e32 v24, vcc_lo, v24
	v_xor_b32_e32 v22, vcc_hi, v25
	v_and_b32_e32 v45, exec_lo, v24
	v_lshlrev_b32_e32 v25, 30, v44
	v_mov_b32_e32 v24, v23
	v_cmp_gt_i64_e32 vcc, 0, v[24:25]
	v_not_b32_e32 v24, v25
	v_ashrrev_i32_e32 v24, 31, v24
	v_and_b32_e32 v22, exec_hi, v22
	v_xor_b32_e32 v25, vcc_hi, v24
	v_xor_b32_e32 v24, vcc_lo, v24
	v_and_b32_e32 v22, v22, v25
	v_and_b32_e32 v45, v45, v24
	v_lshlrev_b32_e32 v25, 29, v44
	v_mov_b32_e32 v24, v23
	v_cmp_gt_i64_e32 vcc, 0, v[24:25]
	v_not_b32_e32 v24, v25
	v_ashrrev_i32_e32 v24, 31, v24
	v_xor_b32_e32 v25, vcc_hi, v24
	v_xor_b32_e32 v24, vcc_lo, v24
	v_and_b32_e32 v22, v22, v25
	v_and_b32_e32 v45, v45, v24
	v_lshlrev_b32_e32 v25, 28, v44
	v_mov_b32_e32 v24, v23
	v_cmp_gt_i64_e32 vcc, 0, v[24:25]
	v_not_b32_e32 v24, v25
	v_ashrrev_i32_e32 v24, 31, v24
	;; [unrolled: 9-line block ×6, first 2 shown]
	v_xor_b32_e32 v25, vcc_hi, v24
	v_xor_b32_e32 v24, vcc_lo, v24
	ds_read_b32 v42, v46 offset:64
	v_and_b32_e32 v24, v45, v24
	v_and_b32_e32 v25, v22, v25
	v_mbcnt_lo_u32_b32 v22, v24, 0
	v_mbcnt_hi_u32_b32 v44, v25, v22
	v_cmp_eq_u32_e32 vcc, 0, v44
	v_cmp_ne_u64_e64 s[0:1], 0, v[24:25]
	s_and_b64 s[4:5], s[0:1], vcc
	; wave barrier
	s_and_saveexec_b64 s[0:1], s[4:5]
	s_cbranch_execz .LBB1207_135
; %bb.134:
	v_bcnt_u32_b32 v22, v24, 0
	v_bcnt_u32_b32 v22, v25, v22
	s_waitcnt lgkmcnt(0)
	v_add_u32_e32 v22, v42, v22
	ds_write_b32 v46, v22 offset:64
.LBB1207_135:
	s_or_b64 exec, exec, s[0:1]
	s_waitcnt vmcnt(0)
	v_xor_b32_e32 v21, 0x80000000, v21
	v_lshrrev_b64 v[24:25], s52, v[20:21]
	v_and_b32_e32 v47, s13, v24
	v_mul_lo_u32 v22, v47, s2
	v_lshl_add_u32 v48, v34, 2, v22
	v_and_b32_e32 v22, 1, v47
	v_lshl_add_u64 v[24:25], v[22:23], 0, -1
	v_cmp_ne_u32_e32 vcc, 0, v22
	; wave barrier
	s_nop 1
	v_xor_b32_e32 v24, vcc_lo, v24
	v_xor_b32_e32 v22, vcc_hi, v25
	v_and_b32_e32 v34, exec_lo, v24
	v_lshlrev_b32_e32 v25, 30, v47
	v_mov_b32_e32 v24, v23
	v_cmp_gt_i64_e32 vcc, 0, v[24:25]
	v_not_b32_e32 v24, v25
	v_ashrrev_i32_e32 v24, 31, v24
	v_and_b32_e32 v22, exec_hi, v22
	v_xor_b32_e32 v25, vcc_hi, v24
	v_xor_b32_e32 v24, vcc_lo, v24
	v_and_b32_e32 v22, v22, v25
	v_and_b32_e32 v34, v34, v24
	v_lshlrev_b32_e32 v25, 29, v47
	v_mov_b32_e32 v24, v23
	v_cmp_gt_i64_e32 vcc, 0, v[24:25]
	v_not_b32_e32 v24, v25
	v_ashrrev_i32_e32 v24, 31, v24
	v_xor_b32_e32 v25, vcc_hi, v24
	v_xor_b32_e32 v24, vcc_lo, v24
	v_and_b32_e32 v22, v22, v25
	v_and_b32_e32 v34, v34, v24
	v_lshlrev_b32_e32 v25, 28, v47
	v_mov_b32_e32 v24, v23
	v_cmp_gt_i64_e32 vcc, 0, v[24:25]
	v_not_b32_e32 v24, v25
	v_ashrrev_i32_e32 v24, 31, v24
	;; [unrolled: 9-line block ×5, first 2 shown]
	v_xor_b32_e32 v25, vcc_hi, v24
	v_xor_b32_e32 v24, vcc_lo, v24
	v_and_b32_e32 v22, v22, v25
	v_lshlrev_b32_e32 v25, 24, v47
	v_and_b32_e32 v34, v34, v24
	v_mov_b32_e32 v24, v23
	v_not_b32_e32 v23, v25
	v_cmp_gt_i64_e32 vcc, 0, v[24:25]
	v_ashrrev_i32_e32 v23, 31, v23
	ds_read_b32 v45, v48 offset:64
	v_xor_b32_e32 v24, vcc_hi, v23
	v_xor_b32_e32 v25, vcc_lo, v23
	v_and_b32_e32 v23, v22, v24
	v_and_b32_e32 v22, v34, v25
	v_mbcnt_lo_u32_b32 v24, v22, 0
	v_mbcnt_hi_u32_b32 v47, v23, v24
	v_cmp_eq_u32_e32 vcc, 0, v47
	v_cmp_ne_u64_e64 s[0:1], 0, v[22:23]
	s_and_b64 s[2:3], s[0:1], vcc
	; wave barrier
	s_and_saveexec_b64 s[0:1], s[2:3]
	s_cbranch_execz .LBB1207_137
; %bb.136:
	v_bcnt_u32_b32 v22, v22, 0
	v_bcnt_u32_b32 v22, v23, v22
	s_waitcnt lgkmcnt(0)
	v_add_u32_e32 v22, v45, v22
	ds_write_b32 v48, v22 offset:64
.LBB1207_137:
	s_or_b64 exec, exec, s[0:1]
	; wave barrier
	s_waitcnt lgkmcnt(0)
	s_barrier
	ds_read2_b32 v[24:25], v1 offset0:16 offset1:17
	ds_read2_b32 v[22:23], v1 offset0:18 offset1:19
	ds_read_b32 v34, v1 offset:80
	v_cmp_lt_u32_e64 s[6:7], 31, v26
	s_waitcnt lgkmcnt(1)
	v_add3_u32 v49, v25, v24, v22
	s_waitcnt lgkmcnt(0)
	v_add3_u32 v34, v49, v23, v34
	v_and_b32_e32 v49, 15, v26
	v_cmp_eq_u32_e32 vcc, 0, v49
	v_mov_b32_dpp v50, v34 row_shr:1 row_mask:0xf bank_mask:0xf
	v_cmp_lt_u32_e64 s[0:1], 1, v49
	v_cndmask_b32_e64 v50, v50, 0, vcc
	v_add_u32_e32 v34, v50, v34
	v_cmp_lt_u32_e64 s[2:3], 3, v49
	v_cmp_lt_u32_e64 s[4:5], 7, v49
	v_mov_b32_dpp v50, v34 row_shr:2 row_mask:0xf bank_mask:0xf
	v_cndmask_b32_e64 v50, 0, v50, s[0:1]
	v_add_u32_e32 v34, v34, v50
	s_nop 1
	v_mov_b32_dpp v50, v34 row_shr:4 row_mask:0xf bank_mask:0xf
	v_cndmask_b32_e64 v50, 0, v50, s[2:3]
	v_add_u32_e32 v34, v34, v50
	s_nop 1
	v_mov_b32_dpp v50, v34 row_shr:8 row_mask:0xf bank_mask:0xf
	v_cndmask_b32_e64 v49, 0, v50, s[4:5]
	v_add_u32_e32 v34, v34, v49
	v_bfe_i32 v50, v26, 4, 1
	s_nop 0
	v_mov_b32_dpp v49, v34 row_bcast:15 row_mask:0xf bank_mask:0xf
	v_and_b32_e32 v49, v50, v49
	v_add_u32_e32 v34, v34, v49
	v_lshrrev_b32_e32 v50, 6, v2
	s_nop 0
	v_mov_b32_dpp v49, v34 row_bcast:31 row_mask:0xf bank_mask:0xf
	v_cndmask_b32_e64 v49, 0, v49, s[6:7]
	v_add_u32_e32 v49, v34, v49
	v_and_b32_e32 v34, 63, v2
	v_cmp_eq_u32_e64 s[6:7], 63, v34
	s_and_saveexec_b64 s[10:11], s[6:7]
; %bb.138:
	v_lshlrev_b32_e32 v34, 2, v50
	ds_write_b32 v34, v49
; %bb.139:
	s_or_b64 exec, exec, s[10:11]
	v_cmp_gt_u32_e64 s[6:7], 16, v2
	v_lshlrev_b32_e32 v34, 2, v2
	s_waitcnt lgkmcnt(0)
	s_barrier
	s_and_saveexec_b64 s[10:11], s[6:7]
	s_cbranch_execz .LBB1207_141
; %bb.140:
	ds_read_b32 v51, v34
	s_waitcnt lgkmcnt(0)
	s_nop 0
	v_mov_b32_dpp v52, v51 row_shr:1 row_mask:0xf bank_mask:0xf
	v_cndmask_b32_e64 v52, v52, 0, vcc
	v_add_u32_e32 v51, v52, v51
	s_nop 1
	v_mov_b32_dpp v52, v51 row_shr:2 row_mask:0xf bank_mask:0xf
	v_cndmask_b32_e64 v52, 0, v52, s[0:1]
	v_add_u32_e32 v51, v51, v52
	s_nop 1
	v_mov_b32_dpp v52, v51 row_shr:4 row_mask:0xf bank_mask:0xf
	v_cndmask_b32_e64 v52, 0, v52, s[2:3]
	;; [unrolled: 4-line block ×3, first 2 shown]
	v_add_u32_e32 v51, v51, v52
	ds_write_b32 v34, v51
.LBB1207_141:
	s_or_b64 exec, exec, s[10:11]
	v_cmp_lt_u32_e32 vcc, 63, v2
	v_mov_b32_e32 v51, 0
	s_waitcnt lgkmcnt(0)
	s_barrier
	s_and_saveexec_b64 s[0:1], vcc
; %bb.142:
	v_lshl_add_u32 v50, v50, 2, -4
	ds_read_b32 v51, v50
; %bb.143:
	s_or_b64 exec, exec, s[0:1]
	v_subrev_co_u32_e32 v50, vcc, 1, v26
	v_and_b32_e32 v52, 64, v26
	v_cmp_lt_i32_e64 s[0:1], v50, v52
	s_waitcnt lgkmcnt(0)
	v_add_u32_e32 v49, v51, v49
	s_movk_i32 s2, 0x100
	v_cndmask_b32_e64 v26, v50, v26, s[0:1]
	v_lshlrev_b32_e32 v26, 2, v26
	ds_bpermute_b32 v26, v26, v49
	s_movk_i32 s0, 0xff
	s_waitcnt lgkmcnt(0)
	v_cndmask_b32_e32 v26, v26, v51, vcc
	v_cndmask_b32_e64 v26, v26, 0, s[18:19]
	v_add_u32_e32 v24, v26, v24
	v_add_u32_e32 v25, v24, v25
	;; [unrolled: 1-line block ×4, first 2 shown]
	ds_write2_b32 v1, v26, v24 offset0:16 offset1:17
	ds_write2_b32 v1, v25, v22 offset0:18 offset1:19
	ds_write_b32 v1, v23 offset:80
	s_waitcnt lgkmcnt(0)
	s_barrier
	ds_read_b32 v52, v27 offset:64
	ds_read_b32 v1, v30 offset:64
	;; [unrolled: 1-line block ×8, first 2 shown]
	v_cmp_lt_u32_e32 vcc, s0, v2
	v_cmp_gt_u32_e64 s[0:1], s2, v2
                                        ; implicit-def: $vgpr30
                                        ; implicit-def: $vgpr33
	s_and_saveexec_b64 s[4:5], s[0:1]
	s_cbranch_execz .LBB1207_147
; %bb.144:
	v_mul_u32_u24_e32 v22, 0x44, v2
	ds_read_b32 v30, v22 offset:64
	v_add_u32_e32 v23, 1, v2
	v_cmp_ne_u32_e64 s[2:3], s2, v23
	v_mov_b32_e32 v22, 0x2000
	s_and_saveexec_b64 s[6:7], s[2:3]
; %bb.145:
	v_mul_u32_u24_e32 v22, 0x44, v23
	ds_read_b32 v22, v22 offset:64
; %bb.146:
	s_or_b64 exec, exec, s[6:7]
	s_waitcnt lgkmcnt(0)
	v_sub_u32_e32 v33, v22, v30
.LBB1207_147:
	s_or_b64 exec, exec, s[4:5]
	v_mov_b32_e32 v23, 0
	s_waitcnt lgkmcnt(0)
	s_barrier
	s_and_saveexec_b64 s[2:3], s[0:1]
	s_cbranch_execz .LBB1207_157
; %bb.148:
	v_lshl_add_u32 v22, s33, 8, v2
	v_lshl_add_u64 v[24:25], v[22:23], 2, s[56:57]
	v_or_b32_e32 v22, 2.0, v33
	s_mov_b64 s[4:5], 0
	s_brev_b32 s14, -4
	s_mov_b32 s15, s33
	v_mov_b32_e32 v46, 0
	global_store_dword v[24:25], v22, off sc1
                                        ; implicit-def: $sgpr0_sgpr1
	s_branch .LBB1207_151
.LBB1207_149:                           ;   in Loop: Header=BB1207_151 Depth=1
	s_or_b64 exec, exec, s[10:11]
.LBB1207_150:                           ;   in Loop: Header=BB1207_151 Depth=1
	s_or_b64 exec, exec, s[6:7]
	v_and_b32_e32 v26, 0x3fffffff, v22
	v_add_u32_e32 v46, v26, v46
	v_cmp_gt_i32_e64 s[0:1], -2.0, v22
	s_and_b64 s[6:7], exec, s[0:1]
	s_or_b64 s[4:5], s[6:7], s[4:5]
	s_andn2_b64 exec, exec, s[4:5]
	s_cbranch_execz .LBB1207_156
.LBB1207_151:                           ; =>This Loop Header: Depth=1
                                        ;     Child Loop BB1207_154 Depth 2
	s_or_b64 s[0:1], s[0:1], exec
	s_cmp_eq_u32 s15, 0
	s_cbranch_scc1 .LBB1207_155
; %bb.152:                              ;   in Loop: Header=BB1207_151 Depth=1
	s_add_i32 s15, s15, -1
	v_lshl_or_b32 v22, s15, 8, v2
	v_lshl_add_u64 v[26:27], v[22:23], 2, s[56:57]
	global_load_dword v22, v[26:27], off sc1
	s_waitcnt vmcnt(0)
	v_cmp_gt_u32_e64 s[0:1], 2.0, v22
	s_and_saveexec_b64 s[6:7], s[0:1]
	s_cbranch_execz .LBB1207_150
; %bb.153:                              ;   in Loop: Header=BB1207_151 Depth=1
	s_mov_b64 s[10:11], 0
.LBB1207_154:                           ;   Parent Loop BB1207_151 Depth=1
                                        ; =>  This Inner Loop Header: Depth=2
	global_load_dword v22, v[26:27], off sc1
	s_waitcnt vmcnt(0)
	v_cmp_lt_u32_e64 s[0:1], s14, v22
	s_or_b64 s[10:11], s[0:1], s[10:11]
	s_andn2_b64 exec, exec, s[10:11]
	s_cbranch_execnz .LBB1207_154
	s_branch .LBB1207_149
.LBB1207_155:                           ;   in Loop: Header=BB1207_151 Depth=1
                                        ; implicit-def: $sgpr15
	s_and_b64 s[6:7], exec, s[0:1]
	s_or_b64 s[4:5], s[6:7], s[4:5]
	s_andn2_b64 exec, exec, s[4:5]
	s_cbranch_execnz .LBB1207_151
.LBB1207_156:
	s_or_b64 exec, exec, s[4:5]
	v_add_u32_e32 v22, v46, v33
	v_or_b32_e32 v22, 0x80000000, v22
	global_store_dword v[24:25], v22, off sc1
	global_load_dword v22, v34, s[48:49]
	v_sub_u32_e32 v23, v46, v30
	s_waitcnt vmcnt(0)
	v_add_u32_e32 v22, v23, v22
	ds_write_b32 v34, v22
.LBB1207_157:
	s_or_b64 exec, exec, s[2:3]
	v_add_u32_e32 v24, v52, v5
	v_add3_u32 v5, v28, v3, v1
	v_add3_u32 v22, v31, v29, v49
	;; [unrolled: 1-line block ×7, first 2 shown]
	v_mov_b32_e32 v52, 0x400
	s_mov_b32 s4, s52
	s_mov_b32 s5, s13
	s_movk_i32 s6, 0x400
	v_lshl_add_u32 v25, v25, 3, v52
	v_add3_u32 v26, v47, v40, v45
	v_lshl_add_u32 v27, v27, 3, v52
	v_add3_u32 v37, v44, v37, v42
	;; [unrolled: 2-line block ×7, first 2 shown]
	v_lshl_add_u32 v28, v24, 3, v52
	s_mov_b32 s7, 0
	s_mov_b32 s10, 0
	s_movk_i32 s11, 0x800
	v_add_u32_e32 v42, v34, v34
	v_mov_b32_e32 v23, 0
	v_mov_b32_e32 v1, v2
	s_mov_b32 s14, 0
	s_branch .LBB1207_159
.LBB1207_158:                           ;   in Loop: Header=BB1207_159 Depth=1
	s_or_b64 exec, exec, s[2:3]
	s_waitcnt lgkmcnt(0)
	s_barrier
	ds_read2st64_b64 v[44:47], v42 offset0:2 offset1:18
	s_addk_i32 s14, 0xc000
	s_addk_i32 s10, 0xf800
	s_waitcnt lgkmcnt(0)
	v_xor_b32_e32 v49, 0x80000000, v45
	v_mov_b32_e32 v48, v44
	v_lshrrev_b64 v[44:45], s52, v[44:45]
	v_lshrrev_b64 v[52:53], s4, v[46:47]
	v_and_b32_e32 v44, s13, v44
	v_lshlrev_b32_e32 v5, 2, v44
	v_and_b32_e32 v45, s5, v52
	ds_read_b32 v5, v5
	v_lshlrev_b32_e32 v22, 2, v45
	ds_read_b32 v43, v22
	v_xor_b32_e32 v51, 0x80000000, v47
	v_mov_b32_e32 v50, v46
	s_waitcnt lgkmcnt(1)
	v_add_u32_e32 v22, v1, v5
	v_lshl_add_u64 v[46:47], v[22:23], 3, s[42:43]
	s_waitcnt lgkmcnt(0)
	v_add3_u32 v22, v1, v43, s6
	global_store_dwordx2 v[46:47], v[48:49], off
	v_lshl_add_u64 v[46:47], v[22:23], 3, s[42:43]
	global_store_dwordx2 v[46:47], v[50:51], off
	scratch_store_dwordx2 off, v[44:45], s7
	s_add_i32 s7, s7, 8
	s_cmp_eq_u32 s14, 0xffff0000
	v_add_u32_e32 v1, 0x800, v1
	s_barrier
	s_cbranch_scc1 .LBB1207_175
.LBB1207_159:                           ; =>This Inner Loop Header: Depth=1
	v_add_u32_e32 v5, s10, v24
	v_cmp_gt_u32_e64 s[0:1], s11, v5
	s_and_saveexec_b64 s[2:3], s[0:1]
; %bb.160:                              ;   in Loop: Header=BB1207_159 Depth=1
	v_add_u32_e32 v5, s14, v28
	ds_write_b64 v5, v[6:7]
; %bb.161:                              ;   in Loop: Header=BB1207_159 Depth=1
	s_or_b64 exec, exec, s[2:3]
	v_add_u32_e32 v5, s10, v3
	v_cmp_gt_u32_e64 s[0:1], s11, v5
	s_and_saveexec_b64 s[2:3], s[0:1]
; %bb.162:                              ;   in Loop: Header=BB1207_159 Depth=1
	v_add_u32_e32 v5, s14, v31
	ds_write_b64 v5, v[8:9]
; %bb.163:                              ;   in Loop: Header=BB1207_159 Depth=1
	s_or_b64 exec, exec, s[2:3]
	;; [unrolled: 8-line block ×7, first 2 shown]
	v_add_u32_e32 v5, s10, v26
	v_cmp_gt_u32_e64 s[0:1], s11, v5
	s_and_saveexec_b64 s[2:3], s[0:1]
	s_cbranch_execz .LBB1207_158
; %bb.174:                              ;   in Loop: Header=BB1207_159 Depth=1
	v_add_u32_e32 v5, s14, v25
	ds_write_b64 v5, v[20:21]
	s_branch .LBB1207_158
.LBB1207_175:
	s_add_u32 s0, s44, s8
	s_addc_u32 s1, s45, s9
	v_mov_b32_e32 v1, 0
	v_lshl_add_u64 v[6:7], s[0:1], 0, v[0:1]
	v_mov_b32_e32 v5, v1
	v_lshl_add_u64 v[20:21], v[6:7], 0, v[4:5]
	global_load_dwordx2 v[4:5], v[20:21], off
	global_load_dwordx2 v[6:7], v[20:21], off offset:512
	global_load_dwordx2 v[8:9], v[20:21], off offset:1024
	;; [unrolled: 1-line block ×7, first 2 shown]
	s_mov_b32 s4, 0
	s_mov_b32 s5, 0
	s_movk_i32 s6, 0x800
	s_movk_i32 s7, 0x400
	s_mov_b32 s8, 0
	s_branch .LBB1207_177
.LBB1207_176:                           ;   in Loop: Header=BB1207_177 Depth=1
	s_or_b64 exec, exec, s[2:3]
	s_waitcnt lgkmcnt(0)
	s_barrier
	scratch_load_dwordx2 v[44:45], off, s4
	ds_read2st64_b64 v[20:23], v42 offset0:2 offset1:18
	s_addk_i32 s8, 0xc000
	s_addk_i32 s5, 0xf800
	s_add_i32 s4, s4, 8
	s_cmp_eq_u32 s8, 0xffff0000
	s_waitcnt vmcnt(0)
	v_lshlrev_b32_e32 v0, 2, v44
	ds_read_b32 v0, v0
	v_lshlrev_b32_e32 v43, 2, v45
	ds_read_b32 v43, v43
	s_waitcnt lgkmcnt(1)
	v_add_u32_e32 v0, v2, v0
	v_lshl_add_u64 v[44:45], v[0:1], 3, s[46:47]
	s_waitcnt lgkmcnt(0)
	v_add3_u32 v0, v2, v43, s7
	global_store_dwordx2 v[44:45], v[20:21], off
	v_lshl_add_u64 v[20:21], v[0:1], 3, s[46:47]
	v_add_u32_e32 v2, 0x800, v2
	global_store_dwordx2 v[20:21], v[22:23], off
	s_barrier
	s_cbranch_scc1 .LBB1207_193
.LBB1207_177:                           ; =>This Inner Loop Header: Depth=1
	v_add_u32_e32 v0, s5, v24
	v_cmp_gt_u32_e64 s[0:1], s6, v0
	s_and_saveexec_b64 s[2:3], s[0:1]
	s_cbranch_execz .LBB1207_179
; %bb.178:                              ;   in Loop: Header=BB1207_177 Depth=1
	v_add_u32_e32 v0, s8, v28
	s_waitcnt vmcnt(7)
	ds_write_b64 v0, v[4:5]
.LBB1207_179:                           ;   in Loop: Header=BB1207_177 Depth=1
	s_or_b64 exec, exec, s[2:3]
	v_add_u32_e32 v0, s5, v3
	v_cmp_gt_u32_e64 s[0:1], s6, v0
	s_and_saveexec_b64 s[2:3], s[0:1]
	s_cbranch_execz .LBB1207_181
; %bb.180:                              ;   in Loop: Header=BB1207_177 Depth=1
	v_add_u32_e32 v0, s8, v31
	s_waitcnt vmcnt(6)
	ds_write_b64 v0, v[6:7]
.LBB1207_181:                           ;   in Loop: Header=BB1207_177 Depth=1
	s_or_b64 exec, exec, s[2:3]
	;; [unrolled: 10-line block ×7, first 2 shown]
	v_add_u32_e32 v0, s5, v26
	v_cmp_gt_u32_e64 s[0:1], s6, v0
	s_and_saveexec_b64 s[2:3], s[0:1]
	s_cbranch_execz .LBB1207_176
; %bb.192:                              ;   in Loop: Header=BB1207_177 Depth=1
	v_add_u32_e32 v0, s8, v25
	s_waitcnt vmcnt(0)
	ds_write_b64 v0, v[18:19]
	s_branch .LBB1207_176
.LBB1207_193:
	s_add_i32 s12, s12, -1
	s_cmp_eq_u32 s33, s12
	s_cselect_b64 s[0:1], -1, 0
	s_xor_b64 s[2:3], vcc, -1
	s_and_b64 s[0:1], s[2:3], s[0:1]
	s_and_saveexec_b64 s[2:3], s[0:1]
	s_cbranch_execz .LBB1207_195
; %bb.194:
	ds_read_b32 v0, v34
	s_waitcnt lgkmcnt(0)
	v_add3_u32 v0, v30, v33, v0
	global_store_dword v34, v0, s[50:51]
.LBB1207_195:
	s_endpgm
	.section	.rodata,"a",@progbits
	.p2align	6, 0x0
	.amdhsa_kernel _ZN7rocprim17ROCPRIM_400000_NS6detail17trampoline_kernelINS0_14default_configENS1_35radix_sort_onesweep_config_selectorIxxEEZZNS1_29radix_sort_onesweep_iterationIS3_Lb0EN6thrust23THRUST_200600_302600_NS6detail15normal_iteratorINS8_10device_ptrIxEEEESD_SD_SD_jNS0_19identity_decomposerENS1_16block_id_wrapperIjLb1EEEEE10hipError_tT1_PNSt15iterator_traitsISI_E10value_typeET2_T3_PNSJ_ISO_E10value_typeET4_T5_PST_SU_PNS1_23onesweep_lookback_stateEbbT6_jjT7_P12ihipStream_tbENKUlT_T0_SI_SN_E_clISD_PxSD_S15_EEDaS11_S12_SI_SN_EUlS11_E_NS1_11comp_targetILNS1_3genE6ELNS1_11target_archE950ELNS1_3gpuE13ELNS1_3repE0EEENS1_47radix_sort_onesweep_sort_config_static_selectorELNS0_4arch9wavefront6targetE1EEEvSI_
		.amdhsa_group_segment_fixed_size 53328
		.amdhsa_private_segment_fixed_size 48
		.amdhsa_kernarg_size 344
		.amdhsa_user_sgpr_count 4
		.amdhsa_user_sgpr_dispatch_ptr 1
		.amdhsa_user_sgpr_queue_ptr 0
		.amdhsa_user_sgpr_kernarg_segment_ptr 1
		.amdhsa_user_sgpr_dispatch_id 0
		.amdhsa_user_sgpr_kernarg_preload_length 0
		.amdhsa_user_sgpr_kernarg_preload_offset 0
		.amdhsa_user_sgpr_private_segment_size 0
		.amdhsa_uses_dynamic_stack 0
		.amdhsa_enable_private_segment 1
		.amdhsa_system_sgpr_workgroup_id_x 1
		.amdhsa_system_sgpr_workgroup_id_y 0
		.amdhsa_system_sgpr_workgroup_id_z 0
		.amdhsa_system_sgpr_workgroup_info 0
		.amdhsa_system_vgpr_workitem_id 2
		.amdhsa_next_free_vgpr 58
		.amdhsa_next_free_sgpr 61
		.amdhsa_accum_offset 60
		.amdhsa_reserve_vcc 1
		.amdhsa_float_round_mode_32 0
		.amdhsa_float_round_mode_16_64 0
		.amdhsa_float_denorm_mode_32 3
		.amdhsa_float_denorm_mode_16_64 3
		.amdhsa_dx10_clamp 1
		.amdhsa_ieee_mode 1
		.amdhsa_fp16_overflow 0
		.amdhsa_tg_split 0
		.amdhsa_exception_fp_ieee_invalid_op 0
		.amdhsa_exception_fp_denorm_src 0
		.amdhsa_exception_fp_ieee_div_zero 0
		.amdhsa_exception_fp_ieee_overflow 0
		.amdhsa_exception_fp_ieee_underflow 0
		.amdhsa_exception_fp_ieee_inexact 0
		.amdhsa_exception_int_div_zero 0
	.end_amdhsa_kernel
	.section	.text._ZN7rocprim17ROCPRIM_400000_NS6detail17trampoline_kernelINS0_14default_configENS1_35radix_sort_onesweep_config_selectorIxxEEZZNS1_29radix_sort_onesweep_iterationIS3_Lb0EN6thrust23THRUST_200600_302600_NS6detail15normal_iteratorINS8_10device_ptrIxEEEESD_SD_SD_jNS0_19identity_decomposerENS1_16block_id_wrapperIjLb1EEEEE10hipError_tT1_PNSt15iterator_traitsISI_E10value_typeET2_T3_PNSJ_ISO_E10value_typeET4_T5_PST_SU_PNS1_23onesweep_lookback_stateEbbT6_jjT7_P12ihipStream_tbENKUlT_T0_SI_SN_E_clISD_PxSD_S15_EEDaS11_S12_SI_SN_EUlS11_E_NS1_11comp_targetILNS1_3genE6ELNS1_11target_archE950ELNS1_3gpuE13ELNS1_3repE0EEENS1_47radix_sort_onesweep_sort_config_static_selectorELNS0_4arch9wavefront6targetE1EEEvSI_,"axG",@progbits,_ZN7rocprim17ROCPRIM_400000_NS6detail17trampoline_kernelINS0_14default_configENS1_35radix_sort_onesweep_config_selectorIxxEEZZNS1_29radix_sort_onesweep_iterationIS3_Lb0EN6thrust23THRUST_200600_302600_NS6detail15normal_iteratorINS8_10device_ptrIxEEEESD_SD_SD_jNS0_19identity_decomposerENS1_16block_id_wrapperIjLb1EEEEE10hipError_tT1_PNSt15iterator_traitsISI_E10value_typeET2_T3_PNSJ_ISO_E10value_typeET4_T5_PST_SU_PNS1_23onesweep_lookback_stateEbbT6_jjT7_P12ihipStream_tbENKUlT_T0_SI_SN_E_clISD_PxSD_S15_EEDaS11_S12_SI_SN_EUlS11_E_NS1_11comp_targetILNS1_3genE6ELNS1_11target_archE950ELNS1_3gpuE13ELNS1_3repE0EEENS1_47radix_sort_onesweep_sort_config_static_selectorELNS0_4arch9wavefront6targetE1EEEvSI_,comdat
.Lfunc_end1207:
	.size	_ZN7rocprim17ROCPRIM_400000_NS6detail17trampoline_kernelINS0_14default_configENS1_35radix_sort_onesweep_config_selectorIxxEEZZNS1_29radix_sort_onesweep_iterationIS3_Lb0EN6thrust23THRUST_200600_302600_NS6detail15normal_iteratorINS8_10device_ptrIxEEEESD_SD_SD_jNS0_19identity_decomposerENS1_16block_id_wrapperIjLb1EEEEE10hipError_tT1_PNSt15iterator_traitsISI_E10value_typeET2_T3_PNSJ_ISO_E10value_typeET4_T5_PST_SU_PNS1_23onesweep_lookback_stateEbbT6_jjT7_P12ihipStream_tbENKUlT_T0_SI_SN_E_clISD_PxSD_S15_EEDaS11_S12_SI_SN_EUlS11_E_NS1_11comp_targetILNS1_3genE6ELNS1_11target_archE950ELNS1_3gpuE13ELNS1_3repE0EEENS1_47radix_sort_onesweep_sort_config_static_selectorELNS0_4arch9wavefront6targetE1EEEvSI_, .Lfunc_end1207-_ZN7rocprim17ROCPRIM_400000_NS6detail17trampoline_kernelINS0_14default_configENS1_35radix_sort_onesweep_config_selectorIxxEEZZNS1_29radix_sort_onesweep_iterationIS3_Lb0EN6thrust23THRUST_200600_302600_NS6detail15normal_iteratorINS8_10device_ptrIxEEEESD_SD_SD_jNS0_19identity_decomposerENS1_16block_id_wrapperIjLb1EEEEE10hipError_tT1_PNSt15iterator_traitsISI_E10value_typeET2_T3_PNSJ_ISO_E10value_typeET4_T5_PST_SU_PNS1_23onesweep_lookback_stateEbbT6_jjT7_P12ihipStream_tbENKUlT_T0_SI_SN_E_clISD_PxSD_S15_EEDaS11_S12_SI_SN_EUlS11_E_NS1_11comp_targetILNS1_3genE6ELNS1_11target_archE950ELNS1_3gpuE13ELNS1_3repE0EEENS1_47radix_sort_onesweep_sort_config_static_selectorELNS0_4arch9wavefront6targetE1EEEvSI_
                                        ; -- End function
	.set _ZN7rocprim17ROCPRIM_400000_NS6detail17trampoline_kernelINS0_14default_configENS1_35radix_sort_onesweep_config_selectorIxxEEZZNS1_29radix_sort_onesweep_iterationIS3_Lb0EN6thrust23THRUST_200600_302600_NS6detail15normal_iteratorINS8_10device_ptrIxEEEESD_SD_SD_jNS0_19identity_decomposerENS1_16block_id_wrapperIjLb1EEEEE10hipError_tT1_PNSt15iterator_traitsISI_E10value_typeET2_T3_PNSJ_ISO_E10value_typeET4_T5_PST_SU_PNS1_23onesweep_lookback_stateEbbT6_jjT7_P12ihipStream_tbENKUlT_T0_SI_SN_E_clISD_PxSD_S15_EEDaS11_S12_SI_SN_EUlS11_E_NS1_11comp_targetILNS1_3genE6ELNS1_11target_archE950ELNS1_3gpuE13ELNS1_3repE0EEENS1_47radix_sort_onesweep_sort_config_static_selectorELNS0_4arch9wavefront6targetE1EEEvSI_.num_vgpr, 58
	.set _ZN7rocprim17ROCPRIM_400000_NS6detail17trampoline_kernelINS0_14default_configENS1_35radix_sort_onesweep_config_selectorIxxEEZZNS1_29radix_sort_onesweep_iterationIS3_Lb0EN6thrust23THRUST_200600_302600_NS6detail15normal_iteratorINS8_10device_ptrIxEEEESD_SD_SD_jNS0_19identity_decomposerENS1_16block_id_wrapperIjLb1EEEEE10hipError_tT1_PNSt15iterator_traitsISI_E10value_typeET2_T3_PNSJ_ISO_E10value_typeET4_T5_PST_SU_PNS1_23onesweep_lookback_stateEbbT6_jjT7_P12ihipStream_tbENKUlT_T0_SI_SN_E_clISD_PxSD_S15_EEDaS11_S12_SI_SN_EUlS11_E_NS1_11comp_targetILNS1_3genE6ELNS1_11target_archE950ELNS1_3gpuE13ELNS1_3repE0EEENS1_47radix_sort_onesweep_sort_config_static_selectorELNS0_4arch9wavefront6targetE1EEEvSI_.num_agpr, 0
	.set _ZN7rocprim17ROCPRIM_400000_NS6detail17trampoline_kernelINS0_14default_configENS1_35radix_sort_onesweep_config_selectorIxxEEZZNS1_29radix_sort_onesweep_iterationIS3_Lb0EN6thrust23THRUST_200600_302600_NS6detail15normal_iteratorINS8_10device_ptrIxEEEESD_SD_SD_jNS0_19identity_decomposerENS1_16block_id_wrapperIjLb1EEEEE10hipError_tT1_PNSt15iterator_traitsISI_E10value_typeET2_T3_PNSJ_ISO_E10value_typeET4_T5_PST_SU_PNS1_23onesweep_lookback_stateEbbT6_jjT7_P12ihipStream_tbENKUlT_T0_SI_SN_E_clISD_PxSD_S15_EEDaS11_S12_SI_SN_EUlS11_E_NS1_11comp_targetILNS1_3genE6ELNS1_11target_archE950ELNS1_3gpuE13ELNS1_3repE0EEENS1_47radix_sort_onesweep_sort_config_static_selectorELNS0_4arch9wavefront6targetE1EEEvSI_.numbered_sgpr, 61
	.set _ZN7rocprim17ROCPRIM_400000_NS6detail17trampoline_kernelINS0_14default_configENS1_35radix_sort_onesweep_config_selectorIxxEEZZNS1_29radix_sort_onesweep_iterationIS3_Lb0EN6thrust23THRUST_200600_302600_NS6detail15normal_iteratorINS8_10device_ptrIxEEEESD_SD_SD_jNS0_19identity_decomposerENS1_16block_id_wrapperIjLb1EEEEE10hipError_tT1_PNSt15iterator_traitsISI_E10value_typeET2_T3_PNSJ_ISO_E10value_typeET4_T5_PST_SU_PNS1_23onesweep_lookback_stateEbbT6_jjT7_P12ihipStream_tbENKUlT_T0_SI_SN_E_clISD_PxSD_S15_EEDaS11_S12_SI_SN_EUlS11_E_NS1_11comp_targetILNS1_3genE6ELNS1_11target_archE950ELNS1_3gpuE13ELNS1_3repE0EEENS1_47radix_sort_onesweep_sort_config_static_selectorELNS0_4arch9wavefront6targetE1EEEvSI_.num_named_barrier, 0
	.set _ZN7rocprim17ROCPRIM_400000_NS6detail17trampoline_kernelINS0_14default_configENS1_35radix_sort_onesweep_config_selectorIxxEEZZNS1_29radix_sort_onesweep_iterationIS3_Lb0EN6thrust23THRUST_200600_302600_NS6detail15normal_iteratorINS8_10device_ptrIxEEEESD_SD_SD_jNS0_19identity_decomposerENS1_16block_id_wrapperIjLb1EEEEE10hipError_tT1_PNSt15iterator_traitsISI_E10value_typeET2_T3_PNSJ_ISO_E10value_typeET4_T5_PST_SU_PNS1_23onesweep_lookback_stateEbbT6_jjT7_P12ihipStream_tbENKUlT_T0_SI_SN_E_clISD_PxSD_S15_EEDaS11_S12_SI_SN_EUlS11_E_NS1_11comp_targetILNS1_3genE6ELNS1_11target_archE950ELNS1_3gpuE13ELNS1_3repE0EEENS1_47radix_sort_onesweep_sort_config_static_selectorELNS0_4arch9wavefront6targetE1EEEvSI_.private_seg_size, 48
	.set _ZN7rocprim17ROCPRIM_400000_NS6detail17trampoline_kernelINS0_14default_configENS1_35radix_sort_onesweep_config_selectorIxxEEZZNS1_29radix_sort_onesweep_iterationIS3_Lb0EN6thrust23THRUST_200600_302600_NS6detail15normal_iteratorINS8_10device_ptrIxEEEESD_SD_SD_jNS0_19identity_decomposerENS1_16block_id_wrapperIjLb1EEEEE10hipError_tT1_PNSt15iterator_traitsISI_E10value_typeET2_T3_PNSJ_ISO_E10value_typeET4_T5_PST_SU_PNS1_23onesweep_lookback_stateEbbT6_jjT7_P12ihipStream_tbENKUlT_T0_SI_SN_E_clISD_PxSD_S15_EEDaS11_S12_SI_SN_EUlS11_E_NS1_11comp_targetILNS1_3genE6ELNS1_11target_archE950ELNS1_3gpuE13ELNS1_3repE0EEENS1_47radix_sort_onesweep_sort_config_static_selectorELNS0_4arch9wavefront6targetE1EEEvSI_.uses_vcc, 1
	.set _ZN7rocprim17ROCPRIM_400000_NS6detail17trampoline_kernelINS0_14default_configENS1_35radix_sort_onesweep_config_selectorIxxEEZZNS1_29radix_sort_onesweep_iterationIS3_Lb0EN6thrust23THRUST_200600_302600_NS6detail15normal_iteratorINS8_10device_ptrIxEEEESD_SD_SD_jNS0_19identity_decomposerENS1_16block_id_wrapperIjLb1EEEEE10hipError_tT1_PNSt15iterator_traitsISI_E10value_typeET2_T3_PNSJ_ISO_E10value_typeET4_T5_PST_SU_PNS1_23onesweep_lookback_stateEbbT6_jjT7_P12ihipStream_tbENKUlT_T0_SI_SN_E_clISD_PxSD_S15_EEDaS11_S12_SI_SN_EUlS11_E_NS1_11comp_targetILNS1_3genE6ELNS1_11target_archE950ELNS1_3gpuE13ELNS1_3repE0EEENS1_47radix_sort_onesweep_sort_config_static_selectorELNS0_4arch9wavefront6targetE1EEEvSI_.uses_flat_scratch, 0
	.set _ZN7rocprim17ROCPRIM_400000_NS6detail17trampoline_kernelINS0_14default_configENS1_35radix_sort_onesweep_config_selectorIxxEEZZNS1_29radix_sort_onesweep_iterationIS3_Lb0EN6thrust23THRUST_200600_302600_NS6detail15normal_iteratorINS8_10device_ptrIxEEEESD_SD_SD_jNS0_19identity_decomposerENS1_16block_id_wrapperIjLb1EEEEE10hipError_tT1_PNSt15iterator_traitsISI_E10value_typeET2_T3_PNSJ_ISO_E10value_typeET4_T5_PST_SU_PNS1_23onesweep_lookback_stateEbbT6_jjT7_P12ihipStream_tbENKUlT_T0_SI_SN_E_clISD_PxSD_S15_EEDaS11_S12_SI_SN_EUlS11_E_NS1_11comp_targetILNS1_3genE6ELNS1_11target_archE950ELNS1_3gpuE13ELNS1_3repE0EEENS1_47radix_sort_onesweep_sort_config_static_selectorELNS0_4arch9wavefront6targetE1EEEvSI_.has_dyn_sized_stack, 0
	.set _ZN7rocprim17ROCPRIM_400000_NS6detail17trampoline_kernelINS0_14default_configENS1_35radix_sort_onesweep_config_selectorIxxEEZZNS1_29radix_sort_onesweep_iterationIS3_Lb0EN6thrust23THRUST_200600_302600_NS6detail15normal_iteratorINS8_10device_ptrIxEEEESD_SD_SD_jNS0_19identity_decomposerENS1_16block_id_wrapperIjLb1EEEEE10hipError_tT1_PNSt15iterator_traitsISI_E10value_typeET2_T3_PNSJ_ISO_E10value_typeET4_T5_PST_SU_PNS1_23onesweep_lookback_stateEbbT6_jjT7_P12ihipStream_tbENKUlT_T0_SI_SN_E_clISD_PxSD_S15_EEDaS11_S12_SI_SN_EUlS11_E_NS1_11comp_targetILNS1_3genE6ELNS1_11target_archE950ELNS1_3gpuE13ELNS1_3repE0EEENS1_47radix_sort_onesweep_sort_config_static_selectorELNS0_4arch9wavefront6targetE1EEEvSI_.has_recursion, 0
	.set _ZN7rocprim17ROCPRIM_400000_NS6detail17trampoline_kernelINS0_14default_configENS1_35radix_sort_onesweep_config_selectorIxxEEZZNS1_29radix_sort_onesweep_iterationIS3_Lb0EN6thrust23THRUST_200600_302600_NS6detail15normal_iteratorINS8_10device_ptrIxEEEESD_SD_SD_jNS0_19identity_decomposerENS1_16block_id_wrapperIjLb1EEEEE10hipError_tT1_PNSt15iterator_traitsISI_E10value_typeET2_T3_PNSJ_ISO_E10value_typeET4_T5_PST_SU_PNS1_23onesweep_lookback_stateEbbT6_jjT7_P12ihipStream_tbENKUlT_T0_SI_SN_E_clISD_PxSD_S15_EEDaS11_S12_SI_SN_EUlS11_E_NS1_11comp_targetILNS1_3genE6ELNS1_11target_archE950ELNS1_3gpuE13ELNS1_3repE0EEENS1_47radix_sort_onesweep_sort_config_static_selectorELNS0_4arch9wavefront6targetE1EEEvSI_.has_indirect_call, 0
	.section	.AMDGPU.csdata,"",@progbits
; Kernel info:
; codeLenInByte = 12920
; TotalNumSgprs: 67
; NumVgprs: 58
; NumAgprs: 0
; TotalNumVgprs: 58
; ScratchSize: 48
; MemoryBound: 1
; FloatMode: 240
; IeeeMode: 1
; LDSByteSize: 53328 bytes/workgroup (compile time only)
; SGPRBlocks: 8
; VGPRBlocks: 7
; NumSGPRsForWavesPerEU: 67
; NumVGPRsForWavesPerEU: 58
; AccumOffset: 60
; Occupancy: 8
; WaveLimiterHint : 1
; COMPUTE_PGM_RSRC2:SCRATCH_EN: 1
; COMPUTE_PGM_RSRC2:USER_SGPR: 4
; COMPUTE_PGM_RSRC2:TRAP_HANDLER: 0
; COMPUTE_PGM_RSRC2:TGID_X_EN: 1
; COMPUTE_PGM_RSRC2:TGID_Y_EN: 0
; COMPUTE_PGM_RSRC2:TGID_Z_EN: 0
; COMPUTE_PGM_RSRC2:TIDIG_COMP_CNT: 2
; COMPUTE_PGM_RSRC3_GFX90A:ACCUM_OFFSET: 14
; COMPUTE_PGM_RSRC3_GFX90A:TG_SPLIT: 0
	.section	.text._ZN7rocprim17ROCPRIM_400000_NS6detail17trampoline_kernelINS0_14default_configENS1_35radix_sort_onesweep_config_selectorIxxEEZZNS1_29radix_sort_onesweep_iterationIS3_Lb0EN6thrust23THRUST_200600_302600_NS6detail15normal_iteratorINS8_10device_ptrIxEEEESD_SD_SD_jNS0_19identity_decomposerENS1_16block_id_wrapperIjLb1EEEEE10hipError_tT1_PNSt15iterator_traitsISI_E10value_typeET2_T3_PNSJ_ISO_E10value_typeET4_T5_PST_SU_PNS1_23onesweep_lookback_stateEbbT6_jjT7_P12ihipStream_tbENKUlT_T0_SI_SN_E_clISD_PxSD_S15_EEDaS11_S12_SI_SN_EUlS11_E_NS1_11comp_targetILNS1_3genE5ELNS1_11target_archE942ELNS1_3gpuE9ELNS1_3repE0EEENS1_47radix_sort_onesweep_sort_config_static_selectorELNS0_4arch9wavefront6targetE1EEEvSI_,"axG",@progbits,_ZN7rocprim17ROCPRIM_400000_NS6detail17trampoline_kernelINS0_14default_configENS1_35radix_sort_onesweep_config_selectorIxxEEZZNS1_29radix_sort_onesweep_iterationIS3_Lb0EN6thrust23THRUST_200600_302600_NS6detail15normal_iteratorINS8_10device_ptrIxEEEESD_SD_SD_jNS0_19identity_decomposerENS1_16block_id_wrapperIjLb1EEEEE10hipError_tT1_PNSt15iterator_traitsISI_E10value_typeET2_T3_PNSJ_ISO_E10value_typeET4_T5_PST_SU_PNS1_23onesweep_lookback_stateEbbT6_jjT7_P12ihipStream_tbENKUlT_T0_SI_SN_E_clISD_PxSD_S15_EEDaS11_S12_SI_SN_EUlS11_E_NS1_11comp_targetILNS1_3genE5ELNS1_11target_archE942ELNS1_3gpuE9ELNS1_3repE0EEENS1_47radix_sort_onesweep_sort_config_static_selectorELNS0_4arch9wavefront6targetE1EEEvSI_,comdat
	.protected	_ZN7rocprim17ROCPRIM_400000_NS6detail17trampoline_kernelINS0_14default_configENS1_35radix_sort_onesweep_config_selectorIxxEEZZNS1_29radix_sort_onesweep_iterationIS3_Lb0EN6thrust23THRUST_200600_302600_NS6detail15normal_iteratorINS8_10device_ptrIxEEEESD_SD_SD_jNS0_19identity_decomposerENS1_16block_id_wrapperIjLb1EEEEE10hipError_tT1_PNSt15iterator_traitsISI_E10value_typeET2_T3_PNSJ_ISO_E10value_typeET4_T5_PST_SU_PNS1_23onesweep_lookback_stateEbbT6_jjT7_P12ihipStream_tbENKUlT_T0_SI_SN_E_clISD_PxSD_S15_EEDaS11_S12_SI_SN_EUlS11_E_NS1_11comp_targetILNS1_3genE5ELNS1_11target_archE942ELNS1_3gpuE9ELNS1_3repE0EEENS1_47radix_sort_onesweep_sort_config_static_selectorELNS0_4arch9wavefront6targetE1EEEvSI_ ; -- Begin function _ZN7rocprim17ROCPRIM_400000_NS6detail17trampoline_kernelINS0_14default_configENS1_35radix_sort_onesweep_config_selectorIxxEEZZNS1_29radix_sort_onesweep_iterationIS3_Lb0EN6thrust23THRUST_200600_302600_NS6detail15normal_iteratorINS8_10device_ptrIxEEEESD_SD_SD_jNS0_19identity_decomposerENS1_16block_id_wrapperIjLb1EEEEE10hipError_tT1_PNSt15iterator_traitsISI_E10value_typeET2_T3_PNSJ_ISO_E10value_typeET4_T5_PST_SU_PNS1_23onesweep_lookback_stateEbbT6_jjT7_P12ihipStream_tbENKUlT_T0_SI_SN_E_clISD_PxSD_S15_EEDaS11_S12_SI_SN_EUlS11_E_NS1_11comp_targetILNS1_3genE5ELNS1_11target_archE942ELNS1_3gpuE9ELNS1_3repE0EEENS1_47radix_sort_onesweep_sort_config_static_selectorELNS0_4arch9wavefront6targetE1EEEvSI_
	.globl	_ZN7rocprim17ROCPRIM_400000_NS6detail17trampoline_kernelINS0_14default_configENS1_35radix_sort_onesweep_config_selectorIxxEEZZNS1_29radix_sort_onesweep_iterationIS3_Lb0EN6thrust23THRUST_200600_302600_NS6detail15normal_iteratorINS8_10device_ptrIxEEEESD_SD_SD_jNS0_19identity_decomposerENS1_16block_id_wrapperIjLb1EEEEE10hipError_tT1_PNSt15iterator_traitsISI_E10value_typeET2_T3_PNSJ_ISO_E10value_typeET4_T5_PST_SU_PNS1_23onesweep_lookback_stateEbbT6_jjT7_P12ihipStream_tbENKUlT_T0_SI_SN_E_clISD_PxSD_S15_EEDaS11_S12_SI_SN_EUlS11_E_NS1_11comp_targetILNS1_3genE5ELNS1_11target_archE942ELNS1_3gpuE9ELNS1_3repE0EEENS1_47radix_sort_onesweep_sort_config_static_selectorELNS0_4arch9wavefront6targetE1EEEvSI_
	.p2align	8
	.type	_ZN7rocprim17ROCPRIM_400000_NS6detail17trampoline_kernelINS0_14default_configENS1_35radix_sort_onesweep_config_selectorIxxEEZZNS1_29radix_sort_onesweep_iterationIS3_Lb0EN6thrust23THRUST_200600_302600_NS6detail15normal_iteratorINS8_10device_ptrIxEEEESD_SD_SD_jNS0_19identity_decomposerENS1_16block_id_wrapperIjLb1EEEEE10hipError_tT1_PNSt15iterator_traitsISI_E10value_typeET2_T3_PNSJ_ISO_E10value_typeET4_T5_PST_SU_PNS1_23onesweep_lookback_stateEbbT6_jjT7_P12ihipStream_tbENKUlT_T0_SI_SN_E_clISD_PxSD_S15_EEDaS11_S12_SI_SN_EUlS11_E_NS1_11comp_targetILNS1_3genE5ELNS1_11target_archE942ELNS1_3gpuE9ELNS1_3repE0EEENS1_47radix_sort_onesweep_sort_config_static_selectorELNS0_4arch9wavefront6targetE1EEEvSI_,@function
_ZN7rocprim17ROCPRIM_400000_NS6detail17trampoline_kernelINS0_14default_configENS1_35radix_sort_onesweep_config_selectorIxxEEZZNS1_29radix_sort_onesweep_iterationIS3_Lb0EN6thrust23THRUST_200600_302600_NS6detail15normal_iteratorINS8_10device_ptrIxEEEESD_SD_SD_jNS0_19identity_decomposerENS1_16block_id_wrapperIjLb1EEEEE10hipError_tT1_PNSt15iterator_traitsISI_E10value_typeET2_T3_PNSJ_ISO_E10value_typeET4_T5_PST_SU_PNS1_23onesweep_lookback_stateEbbT6_jjT7_P12ihipStream_tbENKUlT_T0_SI_SN_E_clISD_PxSD_S15_EEDaS11_S12_SI_SN_EUlS11_E_NS1_11comp_targetILNS1_3genE5ELNS1_11target_archE942ELNS1_3gpuE9ELNS1_3repE0EEENS1_47radix_sort_onesweep_sort_config_static_selectorELNS0_4arch9wavefront6targetE1EEEvSI_: ; @_ZN7rocprim17ROCPRIM_400000_NS6detail17trampoline_kernelINS0_14default_configENS1_35radix_sort_onesweep_config_selectorIxxEEZZNS1_29radix_sort_onesweep_iterationIS3_Lb0EN6thrust23THRUST_200600_302600_NS6detail15normal_iteratorINS8_10device_ptrIxEEEESD_SD_SD_jNS0_19identity_decomposerENS1_16block_id_wrapperIjLb1EEEEE10hipError_tT1_PNSt15iterator_traitsISI_E10value_typeET2_T3_PNSJ_ISO_E10value_typeET4_T5_PST_SU_PNS1_23onesweep_lookback_stateEbbT6_jjT7_P12ihipStream_tbENKUlT_T0_SI_SN_E_clISD_PxSD_S15_EEDaS11_S12_SI_SN_EUlS11_E_NS1_11comp_targetILNS1_3genE5ELNS1_11target_archE942ELNS1_3gpuE9ELNS1_3repE0EEENS1_47radix_sort_onesweep_sort_config_static_selectorELNS0_4arch9wavefront6targetE1EEEvSI_
; %bb.0:
	.section	.rodata,"a",@progbits
	.p2align	6, 0x0
	.amdhsa_kernel _ZN7rocprim17ROCPRIM_400000_NS6detail17trampoline_kernelINS0_14default_configENS1_35radix_sort_onesweep_config_selectorIxxEEZZNS1_29radix_sort_onesweep_iterationIS3_Lb0EN6thrust23THRUST_200600_302600_NS6detail15normal_iteratorINS8_10device_ptrIxEEEESD_SD_SD_jNS0_19identity_decomposerENS1_16block_id_wrapperIjLb1EEEEE10hipError_tT1_PNSt15iterator_traitsISI_E10value_typeET2_T3_PNSJ_ISO_E10value_typeET4_T5_PST_SU_PNS1_23onesweep_lookback_stateEbbT6_jjT7_P12ihipStream_tbENKUlT_T0_SI_SN_E_clISD_PxSD_S15_EEDaS11_S12_SI_SN_EUlS11_E_NS1_11comp_targetILNS1_3genE5ELNS1_11target_archE942ELNS1_3gpuE9ELNS1_3repE0EEENS1_47radix_sort_onesweep_sort_config_static_selectorELNS0_4arch9wavefront6targetE1EEEvSI_
		.amdhsa_group_segment_fixed_size 0
		.amdhsa_private_segment_fixed_size 0
		.amdhsa_kernarg_size 88
		.amdhsa_user_sgpr_count 2
		.amdhsa_user_sgpr_dispatch_ptr 0
		.amdhsa_user_sgpr_queue_ptr 0
		.amdhsa_user_sgpr_kernarg_segment_ptr 1
		.amdhsa_user_sgpr_dispatch_id 0
		.amdhsa_user_sgpr_kernarg_preload_length 0
		.amdhsa_user_sgpr_kernarg_preload_offset 0
		.amdhsa_user_sgpr_private_segment_size 0
		.amdhsa_uses_dynamic_stack 0
		.amdhsa_enable_private_segment 0
		.amdhsa_system_sgpr_workgroup_id_x 1
		.amdhsa_system_sgpr_workgroup_id_y 0
		.amdhsa_system_sgpr_workgroup_id_z 0
		.amdhsa_system_sgpr_workgroup_info 0
		.amdhsa_system_vgpr_workitem_id 0
		.amdhsa_next_free_vgpr 1
		.amdhsa_next_free_sgpr 0
		.amdhsa_accum_offset 4
		.amdhsa_reserve_vcc 0
		.amdhsa_float_round_mode_32 0
		.amdhsa_float_round_mode_16_64 0
		.amdhsa_float_denorm_mode_32 3
		.amdhsa_float_denorm_mode_16_64 3
		.amdhsa_dx10_clamp 1
		.amdhsa_ieee_mode 1
		.amdhsa_fp16_overflow 0
		.amdhsa_tg_split 0
		.amdhsa_exception_fp_ieee_invalid_op 0
		.amdhsa_exception_fp_denorm_src 0
		.amdhsa_exception_fp_ieee_div_zero 0
		.amdhsa_exception_fp_ieee_overflow 0
		.amdhsa_exception_fp_ieee_underflow 0
		.amdhsa_exception_fp_ieee_inexact 0
		.amdhsa_exception_int_div_zero 0
	.end_amdhsa_kernel
	.section	.text._ZN7rocprim17ROCPRIM_400000_NS6detail17trampoline_kernelINS0_14default_configENS1_35radix_sort_onesweep_config_selectorIxxEEZZNS1_29radix_sort_onesweep_iterationIS3_Lb0EN6thrust23THRUST_200600_302600_NS6detail15normal_iteratorINS8_10device_ptrIxEEEESD_SD_SD_jNS0_19identity_decomposerENS1_16block_id_wrapperIjLb1EEEEE10hipError_tT1_PNSt15iterator_traitsISI_E10value_typeET2_T3_PNSJ_ISO_E10value_typeET4_T5_PST_SU_PNS1_23onesweep_lookback_stateEbbT6_jjT7_P12ihipStream_tbENKUlT_T0_SI_SN_E_clISD_PxSD_S15_EEDaS11_S12_SI_SN_EUlS11_E_NS1_11comp_targetILNS1_3genE5ELNS1_11target_archE942ELNS1_3gpuE9ELNS1_3repE0EEENS1_47radix_sort_onesweep_sort_config_static_selectorELNS0_4arch9wavefront6targetE1EEEvSI_,"axG",@progbits,_ZN7rocprim17ROCPRIM_400000_NS6detail17trampoline_kernelINS0_14default_configENS1_35radix_sort_onesweep_config_selectorIxxEEZZNS1_29radix_sort_onesweep_iterationIS3_Lb0EN6thrust23THRUST_200600_302600_NS6detail15normal_iteratorINS8_10device_ptrIxEEEESD_SD_SD_jNS0_19identity_decomposerENS1_16block_id_wrapperIjLb1EEEEE10hipError_tT1_PNSt15iterator_traitsISI_E10value_typeET2_T3_PNSJ_ISO_E10value_typeET4_T5_PST_SU_PNS1_23onesweep_lookback_stateEbbT6_jjT7_P12ihipStream_tbENKUlT_T0_SI_SN_E_clISD_PxSD_S15_EEDaS11_S12_SI_SN_EUlS11_E_NS1_11comp_targetILNS1_3genE5ELNS1_11target_archE942ELNS1_3gpuE9ELNS1_3repE0EEENS1_47radix_sort_onesweep_sort_config_static_selectorELNS0_4arch9wavefront6targetE1EEEvSI_,comdat
.Lfunc_end1208:
	.size	_ZN7rocprim17ROCPRIM_400000_NS6detail17trampoline_kernelINS0_14default_configENS1_35radix_sort_onesweep_config_selectorIxxEEZZNS1_29radix_sort_onesweep_iterationIS3_Lb0EN6thrust23THRUST_200600_302600_NS6detail15normal_iteratorINS8_10device_ptrIxEEEESD_SD_SD_jNS0_19identity_decomposerENS1_16block_id_wrapperIjLb1EEEEE10hipError_tT1_PNSt15iterator_traitsISI_E10value_typeET2_T3_PNSJ_ISO_E10value_typeET4_T5_PST_SU_PNS1_23onesweep_lookback_stateEbbT6_jjT7_P12ihipStream_tbENKUlT_T0_SI_SN_E_clISD_PxSD_S15_EEDaS11_S12_SI_SN_EUlS11_E_NS1_11comp_targetILNS1_3genE5ELNS1_11target_archE942ELNS1_3gpuE9ELNS1_3repE0EEENS1_47radix_sort_onesweep_sort_config_static_selectorELNS0_4arch9wavefront6targetE1EEEvSI_, .Lfunc_end1208-_ZN7rocprim17ROCPRIM_400000_NS6detail17trampoline_kernelINS0_14default_configENS1_35radix_sort_onesweep_config_selectorIxxEEZZNS1_29radix_sort_onesweep_iterationIS3_Lb0EN6thrust23THRUST_200600_302600_NS6detail15normal_iteratorINS8_10device_ptrIxEEEESD_SD_SD_jNS0_19identity_decomposerENS1_16block_id_wrapperIjLb1EEEEE10hipError_tT1_PNSt15iterator_traitsISI_E10value_typeET2_T3_PNSJ_ISO_E10value_typeET4_T5_PST_SU_PNS1_23onesweep_lookback_stateEbbT6_jjT7_P12ihipStream_tbENKUlT_T0_SI_SN_E_clISD_PxSD_S15_EEDaS11_S12_SI_SN_EUlS11_E_NS1_11comp_targetILNS1_3genE5ELNS1_11target_archE942ELNS1_3gpuE9ELNS1_3repE0EEENS1_47radix_sort_onesweep_sort_config_static_selectorELNS0_4arch9wavefront6targetE1EEEvSI_
                                        ; -- End function
	.set _ZN7rocprim17ROCPRIM_400000_NS6detail17trampoline_kernelINS0_14default_configENS1_35radix_sort_onesweep_config_selectorIxxEEZZNS1_29radix_sort_onesweep_iterationIS3_Lb0EN6thrust23THRUST_200600_302600_NS6detail15normal_iteratorINS8_10device_ptrIxEEEESD_SD_SD_jNS0_19identity_decomposerENS1_16block_id_wrapperIjLb1EEEEE10hipError_tT1_PNSt15iterator_traitsISI_E10value_typeET2_T3_PNSJ_ISO_E10value_typeET4_T5_PST_SU_PNS1_23onesweep_lookback_stateEbbT6_jjT7_P12ihipStream_tbENKUlT_T0_SI_SN_E_clISD_PxSD_S15_EEDaS11_S12_SI_SN_EUlS11_E_NS1_11comp_targetILNS1_3genE5ELNS1_11target_archE942ELNS1_3gpuE9ELNS1_3repE0EEENS1_47radix_sort_onesweep_sort_config_static_selectorELNS0_4arch9wavefront6targetE1EEEvSI_.num_vgpr, 0
	.set _ZN7rocprim17ROCPRIM_400000_NS6detail17trampoline_kernelINS0_14default_configENS1_35radix_sort_onesweep_config_selectorIxxEEZZNS1_29radix_sort_onesweep_iterationIS3_Lb0EN6thrust23THRUST_200600_302600_NS6detail15normal_iteratorINS8_10device_ptrIxEEEESD_SD_SD_jNS0_19identity_decomposerENS1_16block_id_wrapperIjLb1EEEEE10hipError_tT1_PNSt15iterator_traitsISI_E10value_typeET2_T3_PNSJ_ISO_E10value_typeET4_T5_PST_SU_PNS1_23onesweep_lookback_stateEbbT6_jjT7_P12ihipStream_tbENKUlT_T0_SI_SN_E_clISD_PxSD_S15_EEDaS11_S12_SI_SN_EUlS11_E_NS1_11comp_targetILNS1_3genE5ELNS1_11target_archE942ELNS1_3gpuE9ELNS1_3repE0EEENS1_47radix_sort_onesweep_sort_config_static_selectorELNS0_4arch9wavefront6targetE1EEEvSI_.num_agpr, 0
	.set _ZN7rocprim17ROCPRIM_400000_NS6detail17trampoline_kernelINS0_14default_configENS1_35radix_sort_onesweep_config_selectorIxxEEZZNS1_29radix_sort_onesweep_iterationIS3_Lb0EN6thrust23THRUST_200600_302600_NS6detail15normal_iteratorINS8_10device_ptrIxEEEESD_SD_SD_jNS0_19identity_decomposerENS1_16block_id_wrapperIjLb1EEEEE10hipError_tT1_PNSt15iterator_traitsISI_E10value_typeET2_T3_PNSJ_ISO_E10value_typeET4_T5_PST_SU_PNS1_23onesweep_lookback_stateEbbT6_jjT7_P12ihipStream_tbENKUlT_T0_SI_SN_E_clISD_PxSD_S15_EEDaS11_S12_SI_SN_EUlS11_E_NS1_11comp_targetILNS1_3genE5ELNS1_11target_archE942ELNS1_3gpuE9ELNS1_3repE0EEENS1_47radix_sort_onesweep_sort_config_static_selectorELNS0_4arch9wavefront6targetE1EEEvSI_.numbered_sgpr, 0
	.set _ZN7rocprim17ROCPRIM_400000_NS6detail17trampoline_kernelINS0_14default_configENS1_35radix_sort_onesweep_config_selectorIxxEEZZNS1_29radix_sort_onesweep_iterationIS3_Lb0EN6thrust23THRUST_200600_302600_NS6detail15normal_iteratorINS8_10device_ptrIxEEEESD_SD_SD_jNS0_19identity_decomposerENS1_16block_id_wrapperIjLb1EEEEE10hipError_tT1_PNSt15iterator_traitsISI_E10value_typeET2_T3_PNSJ_ISO_E10value_typeET4_T5_PST_SU_PNS1_23onesweep_lookback_stateEbbT6_jjT7_P12ihipStream_tbENKUlT_T0_SI_SN_E_clISD_PxSD_S15_EEDaS11_S12_SI_SN_EUlS11_E_NS1_11comp_targetILNS1_3genE5ELNS1_11target_archE942ELNS1_3gpuE9ELNS1_3repE0EEENS1_47radix_sort_onesweep_sort_config_static_selectorELNS0_4arch9wavefront6targetE1EEEvSI_.num_named_barrier, 0
	.set _ZN7rocprim17ROCPRIM_400000_NS6detail17trampoline_kernelINS0_14default_configENS1_35radix_sort_onesweep_config_selectorIxxEEZZNS1_29radix_sort_onesweep_iterationIS3_Lb0EN6thrust23THRUST_200600_302600_NS6detail15normal_iteratorINS8_10device_ptrIxEEEESD_SD_SD_jNS0_19identity_decomposerENS1_16block_id_wrapperIjLb1EEEEE10hipError_tT1_PNSt15iterator_traitsISI_E10value_typeET2_T3_PNSJ_ISO_E10value_typeET4_T5_PST_SU_PNS1_23onesweep_lookback_stateEbbT6_jjT7_P12ihipStream_tbENKUlT_T0_SI_SN_E_clISD_PxSD_S15_EEDaS11_S12_SI_SN_EUlS11_E_NS1_11comp_targetILNS1_3genE5ELNS1_11target_archE942ELNS1_3gpuE9ELNS1_3repE0EEENS1_47radix_sort_onesweep_sort_config_static_selectorELNS0_4arch9wavefront6targetE1EEEvSI_.private_seg_size, 0
	.set _ZN7rocprim17ROCPRIM_400000_NS6detail17trampoline_kernelINS0_14default_configENS1_35radix_sort_onesweep_config_selectorIxxEEZZNS1_29radix_sort_onesweep_iterationIS3_Lb0EN6thrust23THRUST_200600_302600_NS6detail15normal_iteratorINS8_10device_ptrIxEEEESD_SD_SD_jNS0_19identity_decomposerENS1_16block_id_wrapperIjLb1EEEEE10hipError_tT1_PNSt15iterator_traitsISI_E10value_typeET2_T3_PNSJ_ISO_E10value_typeET4_T5_PST_SU_PNS1_23onesweep_lookback_stateEbbT6_jjT7_P12ihipStream_tbENKUlT_T0_SI_SN_E_clISD_PxSD_S15_EEDaS11_S12_SI_SN_EUlS11_E_NS1_11comp_targetILNS1_3genE5ELNS1_11target_archE942ELNS1_3gpuE9ELNS1_3repE0EEENS1_47radix_sort_onesweep_sort_config_static_selectorELNS0_4arch9wavefront6targetE1EEEvSI_.uses_vcc, 0
	.set _ZN7rocprim17ROCPRIM_400000_NS6detail17trampoline_kernelINS0_14default_configENS1_35radix_sort_onesweep_config_selectorIxxEEZZNS1_29radix_sort_onesweep_iterationIS3_Lb0EN6thrust23THRUST_200600_302600_NS6detail15normal_iteratorINS8_10device_ptrIxEEEESD_SD_SD_jNS0_19identity_decomposerENS1_16block_id_wrapperIjLb1EEEEE10hipError_tT1_PNSt15iterator_traitsISI_E10value_typeET2_T3_PNSJ_ISO_E10value_typeET4_T5_PST_SU_PNS1_23onesweep_lookback_stateEbbT6_jjT7_P12ihipStream_tbENKUlT_T0_SI_SN_E_clISD_PxSD_S15_EEDaS11_S12_SI_SN_EUlS11_E_NS1_11comp_targetILNS1_3genE5ELNS1_11target_archE942ELNS1_3gpuE9ELNS1_3repE0EEENS1_47radix_sort_onesweep_sort_config_static_selectorELNS0_4arch9wavefront6targetE1EEEvSI_.uses_flat_scratch, 0
	.set _ZN7rocprim17ROCPRIM_400000_NS6detail17trampoline_kernelINS0_14default_configENS1_35radix_sort_onesweep_config_selectorIxxEEZZNS1_29radix_sort_onesweep_iterationIS3_Lb0EN6thrust23THRUST_200600_302600_NS6detail15normal_iteratorINS8_10device_ptrIxEEEESD_SD_SD_jNS0_19identity_decomposerENS1_16block_id_wrapperIjLb1EEEEE10hipError_tT1_PNSt15iterator_traitsISI_E10value_typeET2_T3_PNSJ_ISO_E10value_typeET4_T5_PST_SU_PNS1_23onesweep_lookback_stateEbbT6_jjT7_P12ihipStream_tbENKUlT_T0_SI_SN_E_clISD_PxSD_S15_EEDaS11_S12_SI_SN_EUlS11_E_NS1_11comp_targetILNS1_3genE5ELNS1_11target_archE942ELNS1_3gpuE9ELNS1_3repE0EEENS1_47radix_sort_onesweep_sort_config_static_selectorELNS0_4arch9wavefront6targetE1EEEvSI_.has_dyn_sized_stack, 0
	.set _ZN7rocprim17ROCPRIM_400000_NS6detail17trampoline_kernelINS0_14default_configENS1_35radix_sort_onesweep_config_selectorIxxEEZZNS1_29radix_sort_onesweep_iterationIS3_Lb0EN6thrust23THRUST_200600_302600_NS6detail15normal_iteratorINS8_10device_ptrIxEEEESD_SD_SD_jNS0_19identity_decomposerENS1_16block_id_wrapperIjLb1EEEEE10hipError_tT1_PNSt15iterator_traitsISI_E10value_typeET2_T3_PNSJ_ISO_E10value_typeET4_T5_PST_SU_PNS1_23onesweep_lookback_stateEbbT6_jjT7_P12ihipStream_tbENKUlT_T0_SI_SN_E_clISD_PxSD_S15_EEDaS11_S12_SI_SN_EUlS11_E_NS1_11comp_targetILNS1_3genE5ELNS1_11target_archE942ELNS1_3gpuE9ELNS1_3repE0EEENS1_47radix_sort_onesweep_sort_config_static_selectorELNS0_4arch9wavefront6targetE1EEEvSI_.has_recursion, 0
	.set _ZN7rocprim17ROCPRIM_400000_NS6detail17trampoline_kernelINS0_14default_configENS1_35radix_sort_onesweep_config_selectorIxxEEZZNS1_29radix_sort_onesweep_iterationIS3_Lb0EN6thrust23THRUST_200600_302600_NS6detail15normal_iteratorINS8_10device_ptrIxEEEESD_SD_SD_jNS0_19identity_decomposerENS1_16block_id_wrapperIjLb1EEEEE10hipError_tT1_PNSt15iterator_traitsISI_E10value_typeET2_T3_PNSJ_ISO_E10value_typeET4_T5_PST_SU_PNS1_23onesweep_lookback_stateEbbT6_jjT7_P12ihipStream_tbENKUlT_T0_SI_SN_E_clISD_PxSD_S15_EEDaS11_S12_SI_SN_EUlS11_E_NS1_11comp_targetILNS1_3genE5ELNS1_11target_archE942ELNS1_3gpuE9ELNS1_3repE0EEENS1_47radix_sort_onesweep_sort_config_static_selectorELNS0_4arch9wavefront6targetE1EEEvSI_.has_indirect_call, 0
	.section	.AMDGPU.csdata,"",@progbits
; Kernel info:
; codeLenInByte = 0
; TotalNumSgprs: 6
; NumVgprs: 0
; NumAgprs: 0
; TotalNumVgprs: 0
; ScratchSize: 0
; MemoryBound: 0
; FloatMode: 240
; IeeeMode: 1
; LDSByteSize: 0 bytes/workgroup (compile time only)
; SGPRBlocks: 0
; VGPRBlocks: 0
; NumSGPRsForWavesPerEU: 6
; NumVGPRsForWavesPerEU: 1
; AccumOffset: 4
; Occupancy: 8
; WaveLimiterHint : 0
; COMPUTE_PGM_RSRC2:SCRATCH_EN: 0
; COMPUTE_PGM_RSRC2:USER_SGPR: 2
; COMPUTE_PGM_RSRC2:TRAP_HANDLER: 0
; COMPUTE_PGM_RSRC2:TGID_X_EN: 1
; COMPUTE_PGM_RSRC2:TGID_Y_EN: 0
; COMPUTE_PGM_RSRC2:TGID_Z_EN: 0
; COMPUTE_PGM_RSRC2:TIDIG_COMP_CNT: 0
; COMPUTE_PGM_RSRC3_GFX90A:ACCUM_OFFSET: 0
; COMPUTE_PGM_RSRC3_GFX90A:TG_SPLIT: 0
	.section	.text._ZN7rocprim17ROCPRIM_400000_NS6detail17trampoline_kernelINS0_14default_configENS1_35radix_sort_onesweep_config_selectorIxxEEZZNS1_29radix_sort_onesweep_iterationIS3_Lb0EN6thrust23THRUST_200600_302600_NS6detail15normal_iteratorINS8_10device_ptrIxEEEESD_SD_SD_jNS0_19identity_decomposerENS1_16block_id_wrapperIjLb1EEEEE10hipError_tT1_PNSt15iterator_traitsISI_E10value_typeET2_T3_PNSJ_ISO_E10value_typeET4_T5_PST_SU_PNS1_23onesweep_lookback_stateEbbT6_jjT7_P12ihipStream_tbENKUlT_T0_SI_SN_E_clISD_PxSD_S15_EEDaS11_S12_SI_SN_EUlS11_E_NS1_11comp_targetILNS1_3genE2ELNS1_11target_archE906ELNS1_3gpuE6ELNS1_3repE0EEENS1_47radix_sort_onesweep_sort_config_static_selectorELNS0_4arch9wavefront6targetE1EEEvSI_,"axG",@progbits,_ZN7rocprim17ROCPRIM_400000_NS6detail17trampoline_kernelINS0_14default_configENS1_35radix_sort_onesweep_config_selectorIxxEEZZNS1_29radix_sort_onesweep_iterationIS3_Lb0EN6thrust23THRUST_200600_302600_NS6detail15normal_iteratorINS8_10device_ptrIxEEEESD_SD_SD_jNS0_19identity_decomposerENS1_16block_id_wrapperIjLb1EEEEE10hipError_tT1_PNSt15iterator_traitsISI_E10value_typeET2_T3_PNSJ_ISO_E10value_typeET4_T5_PST_SU_PNS1_23onesweep_lookback_stateEbbT6_jjT7_P12ihipStream_tbENKUlT_T0_SI_SN_E_clISD_PxSD_S15_EEDaS11_S12_SI_SN_EUlS11_E_NS1_11comp_targetILNS1_3genE2ELNS1_11target_archE906ELNS1_3gpuE6ELNS1_3repE0EEENS1_47radix_sort_onesweep_sort_config_static_selectorELNS0_4arch9wavefront6targetE1EEEvSI_,comdat
	.protected	_ZN7rocprim17ROCPRIM_400000_NS6detail17trampoline_kernelINS0_14default_configENS1_35radix_sort_onesweep_config_selectorIxxEEZZNS1_29radix_sort_onesweep_iterationIS3_Lb0EN6thrust23THRUST_200600_302600_NS6detail15normal_iteratorINS8_10device_ptrIxEEEESD_SD_SD_jNS0_19identity_decomposerENS1_16block_id_wrapperIjLb1EEEEE10hipError_tT1_PNSt15iterator_traitsISI_E10value_typeET2_T3_PNSJ_ISO_E10value_typeET4_T5_PST_SU_PNS1_23onesweep_lookback_stateEbbT6_jjT7_P12ihipStream_tbENKUlT_T0_SI_SN_E_clISD_PxSD_S15_EEDaS11_S12_SI_SN_EUlS11_E_NS1_11comp_targetILNS1_3genE2ELNS1_11target_archE906ELNS1_3gpuE6ELNS1_3repE0EEENS1_47radix_sort_onesweep_sort_config_static_selectorELNS0_4arch9wavefront6targetE1EEEvSI_ ; -- Begin function _ZN7rocprim17ROCPRIM_400000_NS6detail17trampoline_kernelINS0_14default_configENS1_35radix_sort_onesweep_config_selectorIxxEEZZNS1_29radix_sort_onesweep_iterationIS3_Lb0EN6thrust23THRUST_200600_302600_NS6detail15normal_iteratorINS8_10device_ptrIxEEEESD_SD_SD_jNS0_19identity_decomposerENS1_16block_id_wrapperIjLb1EEEEE10hipError_tT1_PNSt15iterator_traitsISI_E10value_typeET2_T3_PNSJ_ISO_E10value_typeET4_T5_PST_SU_PNS1_23onesweep_lookback_stateEbbT6_jjT7_P12ihipStream_tbENKUlT_T0_SI_SN_E_clISD_PxSD_S15_EEDaS11_S12_SI_SN_EUlS11_E_NS1_11comp_targetILNS1_3genE2ELNS1_11target_archE906ELNS1_3gpuE6ELNS1_3repE0EEENS1_47radix_sort_onesweep_sort_config_static_selectorELNS0_4arch9wavefront6targetE1EEEvSI_
	.globl	_ZN7rocprim17ROCPRIM_400000_NS6detail17trampoline_kernelINS0_14default_configENS1_35radix_sort_onesweep_config_selectorIxxEEZZNS1_29radix_sort_onesweep_iterationIS3_Lb0EN6thrust23THRUST_200600_302600_NS6detail15normal_iteratorINS8_10device_ptrIxEEEESD_SD_SD_jNS0_19identity_decomposerENS1_16block_id_wrapperIjLb1EEEEE10hipError_tT1_PNSt15iterator_traitsISI_E10value_typeET2_T3_PNSJ_ISO_E10value_typeET4_T5_PST_SU_PNS1_23onesweep_lookback_stateEbbT6_jjT7_P12ihipStream_tbENKUlT_T0_SI_SN_E_clISD_PxSD_S15_EEDaS11_S12_SI_SN_EUlS11_E_NS1_11comp_targetILNS1_3genE2ELNS1_11target_archE906ELNS1_3gpuE6ELNS1_3repE0EEENS1_47radix_sort_onesweep_sort_config_static_selectorELNS0_4arch9wavefront6targetE1EEEvSI_
	.p2align	8
	.type	_ZN7rocprim17ROCPRIM_400000_NS6detail17trampoline_kernelINS0_14default_configENS1_35radix_sort_onesweep_config_selectorIxxEEZZNS1_29radix_sort_onesweep_iterationIS3_Lb0EN6thrust23THRUST_200600_302600_NS6detail15normal_iteratorINS8_10device_ptrIxEEEESD_SD_SD_jNS0_19identity_decomposerENS1_16block_id_wrapperIjLb1EEEEE10hipError_tT1_PNSt15iterator_traitsISI_E10value_typeET2_T3_PNSJ_ISO_E10value_typeET4_T5_PST_SU_PNS1_23onesweep_lookback_stateEbbT6_jjT7_P12ihipStream_tbENKUlT_T0_SI_SN_E_clISD_PxSD_S15_EEDaS11_S12_SI_SN_EUlS11_E_NS1_11comp_targetILNS1_3genE2ELNS1_11target_archE906ELNS1_3gpuE6ELNS1_3repE0EEENS1_47radix_sort_onesweep_sort_config_static_selectorELNS0_4arch9wavefront6targetE1EEEvSI_,@function
_ZN7rocprim17ROCPRIM_400000_NS6detail17trampoline_kernelINS0_14default_configENS1_35radix_sort_onesweep_config_selectorIxxEEZZNS1_29radix_sort_onesweep_iterationIS3_Lb0EN6thrust23THRUST_200600_302600_NS6detail15normal_iteratorINS8_10device_ptrIxEEEESD_SD_SD_jNS0_19identity_decomposerENS1_16block_id_wrapperIjLb1EEEEE10hipError_tT1_PNSt15iterator_traitsISI_E10value_typeET2_T3_PNSJ_ISO_E10value_typeET4_T5_PST_SU_PNS1_23onesweep_lookback_stateEbbT6_jjT7_P12ihipStream_tbENKUlT_T0_SI_SN_E_clISD_PxSD_S15_EEDaS11_S12_SI_SN_EUlS11_E_NS1_11comp_targetILNS1_3genE2ELNS1_11target_archE906ELNS1_3gpuE6ELNS1_3repE0EEENS1_47radix_sort_onesweep_sort_config_static_selectorELNS0_4arch9wavefront6targetE1EEEvSI_: ; @_ZN7rocprim17ROCPRIM_400000_NS6detail17trampoline_kernelINS0_14default_configENS1_35radix_sort_onesweep_config_selectorIxxEEZZNS1_29radix_sort_onesweep_iterationIS3_Lb0EN6thrust23THRUST_200600_302600_NS6detail15normal_iteratorINS8_10device_ptrIxEEEESD_SD_SD_jNS0_19identity_decomposerENS1_16block_id_wrapperIjLb1EEEEE10hipError_tT1_PNSt15iterator_traitsISI_E10value_typeET2_T3_PNSJ_ISO_E10value_typeET4_T5_PST_SU_PNS1_23onesweep_lookback_stateEbbT6_jjT7_P12ihipStream_tbENKUlT_T0_SI_SN_E_clISD_PxSD_S15_EEDaS11_S12_SI_SN_EUlS11_E_NS1_11comp_targetILNS1_3genE2ELNS1_11target_archE906ELNS1_3gpuE6ELNS1_3repE0EEENS1_47radix_sort_onesweep_sort_config_static_selectorELNS0_4arch9wavefront6targetE1EEEvSI_
; %bb.0:
	.section	.rodata,"a",@progbits
	.p2align	6, 0x0
	.amdhsa_kernel _ZN7rocprim17ROCPRIM_400000_NS6detail17trampoline_kernelINS0_14default_configENS1_35radix_sort_onesweep_config_selectorIxxEEZZNS1_29radix_sort_onesweep_iterationIS3_Lb0EN6thrust23THRUST_200600_302600_NS6detail15normal_iteratorINS8_10device_ptrIxEEEESD_SD_SD_jNS0_19identity_decomposerENS1_16block_id_wrapperIjLb1EEEEE10hipError_tT1_PNSt15iterator_traitsISI_E10value_typeET2_T3_PNSJ_ISO_E10value_typeET4_T5_PST_SU_PNS1_23onesweep_lookback_stateEbbT6_jjT7_P12ihipStream_tbENKUlT_T0_SI_SN_E_clISD_PxSD_S15_EEDaS11_S12_SI_SN_EUlS11_E_NS1_11comp_targetILNS1_3genE2ELNS1_11target_archE906ELNS1_3gpuE6ELNS1_3repE0EEENS1_47radix_sort_onesweep_sort_config_static_selectorELNS0_4arch9wavefront6targetE1EEEvSI_
		.amdhsa_group_segment_fixed_size 0
		.amdhsa_private_segment_fixed_size 0
		.amdhsa_kernarg_size 88
		.amdhsa_user_sgpr_count 2
		.amdhsa_user_sgpr_dispatch_ptr 0
		.amdhsa_user_sgpr_queue_ptr 0
		.amdhsa_user_sgpr_kernarg_segment_ptr 1
		.amdhsa_user_sgpr_dispatch_id 0
		.amdhsa_user_sgpr_kernarg_preload_length 0
		.amdhsa_user_sgpr_kernarg_preload_offset 0
		.amdhsa_user_sgpr_private_segment_size 0
		.amdhsa_uses_dynamic_stack 0
		.amdhsa_enable_private_segment 0
		.amdhsa_system_sgpr_workgroup_id_x 1
		.amdhsa_system_sgpr_workgroup_id_y 0
		.amdhsa_system_sgpr_workgroup_id_z 0
		.amdhsa_system_sgpr_workgroup_info 0
		.amdhsa_system_vgpr_workitem_id 0
		.amdhsa_next_free_vgpr 1
		.amdhsa_next_free_sgpr 0
		.amdhsa_accum_offset 4
		.amdhsa_reserve_vcc 0
		.amdhsa_float_round_mode_32 0
		.amdhsa_float_round_mode_16_64 0
		.amdhsa_float_denorm_mode_32 3
		.amdhsa_float_denorm_mode_16_64 3
		.amdhsa_dx10_clamp 1
		.amdhsa_ieee_mode 1
		.amdhsa_fp16_overflow 0
		.amdhsa_tg_split 0
		.amdhsa_exception_fp_ieee_invalid_op 0
		.amdhsa_exception_fp_denorm_src 0
		.amdhsa_exception_fp_ieee_div_zero 0
		.amdhsa_exception_fp_ieee_overflow 0
		.amdhsa_exception_fp_ieee_underflow 0
		.amdhsa_exception_fp_ieee_inexact 0
		.amdhsa_exception_int_div_zero 0
	.end_amdhsa_kernel
	.section	.text._ZN7rocprim17ROCPRIM_400000_NS6detail17trampoline_kernelINS0_14default_configENS1_35radix_sort_onesweep_config_selectorIxxEEZZNS1_29radix_sort_onesweep_iterationIS3_Lb0EN6thrust23THRUST_200600_302600_NS6detail15normal_iteratorINS8_10device_ptrIxEEEESD_SD_SD_jNS0_19identity_decomposerENS1_16block_id_wrapperIjLb1EEEEE10hipError_tT1_PNSt15iterator_traitsISI_E10value_typeET2_T3_PNSJ_ISO_E10value_typeET4_T5_PST_SU_PNS1_23onesweep_lookback_stateEbbT6_jjT7_P12ihipStream_tbENKUlT_T0_SI_SN_E_clISD_PxSD_S15_EEDaS11_S12_SI_SN_EUlS11_E_NS1_11comp_targetILNS1_3genE2ELNS1_11target_archE906ELNS1_3gpuE6ELNS1_3repE0EEENS1_47radix_sort_onesweep_sort_config_static_selectorELNS0_4arch9wavefront6targetE1EEEvSI_,"axG",@progbits,_ZN7rocprim17ROCPRIM_400000_NS6detail17trampoline_kernelINS0_14default_configENS1_35radix_sort_onesweep_config_selectorIxxEEZZNS1_29radix_sort_onesweep_iterationIS3_Lb0EN6thrust23THRUST_200600_302600_NS6detail15normal_iteratorINS8_10device_ptrIxEEEESD_SD_SD_jNS0_19identity_decomposerENS1_16block_id_wrapperIjLb1EEEEE10hipError_tT1_PNSt15iterator_traitsISI_E10value_typeET2_T3_PNSJ_ISO_E10value_typeET4_T5_PST_SU_PNS1_23onesweep_lookback_stateEbbT6_jjT7_P12ihipStream_tbENKUlT_T0_SI_SN_E_clISD_PxSD_S15_EEDaS11_S12_SI_SN_EUlS11_E_NS1_11comp_targetILNS1_3genE2ELNS1_11target_archE906ELNS1_3gpuE6ELNS1_3repE0EEENS1_47radix_sort_onesweep_sort_config_static_selectorELNS0_4arch9wavefront6targetE1EEEvSI_,comdat
.Lfunc_end1209:
	.size	_ZN7rocprim17ROCPRIM_400000_NS6detail17trampoline_kernelINS0_14default_configENS1_35radix_sort_onesweep_config_selectorIxxEEZZNS1_29radix_sort_onesweep_iterationIS3_Lb0EN6thrust23THRUST_200600_302600_NS6detail15normal_iteratorINS8_10device_ptrIxEEEESD_SD_SD_jNS0_19identity_decomposerENS1_16block_id_wrapperIjLb1EEEEE10hipError_tT1_PNSt15iterator_traitsISI_E10value_typeET2_T3_PNSJ_ISO_E10value_typeET4_T5_PST_SU_PNS1_23onesweep_lookback_stateEbbT6_jjT7_P12ihipStream_tbENKUlT_T0_SI_SN_E_clISD_PxSD_S15_EEDaS11_S12_SI_SN_EUlS11_E_NS1_11comp_targetILNS1_3genE2ELNS1_11target_archE906ELNS1_3gpuE6ELNS1_3repE0EEENS1_47radix_sort_onesweep_sort_config_static_selectorELNS0_4arch9wavefront6targetE1EEEvSI_, .Lfunc_end1209-_ZN7rocprim17ROCPRIM_400000_NS6detail17trampoline_kernelINS0_14default_configENS1_35radix_sort_onesweep_config_selectorIxxEEZZNS1_29radix_sort_onesweep_iterationIS3_Lb0EN6thrust23THRUST_200600_302600_NS6detail15normal_iteratorINS8_10device_ptrIxEEEESD_SD_SD_jNS0_19identity_decomposerENS1_16block_id_wrapperIjLb1EEEEE10hipError_tT1_PNSt15iterator_traitsISI_E10value_typeET2_T3_PNSJ_ISO_E10value_typeET4_T5_PST_SU_PNS1_23onesweep_lookback_stateEbbT6_jjT7_P12ihipStream_tbENKUlT_T0_SI_SN_E_clISD_PxSD_S15_EEDaS11_S12_SI_SN_EUlS11_E_NS1_11comp_targetILNS1_3genE2ELNS1_11target_archE906ELNS1_3gpuE6ELNS1_3repE0EEENS1_47radix_sort_onesweep_sort_config_static_selectorELNS0_4arch9wavefront6targetE1EEEvSI_
                                        ; -- End function
	.set _ZN7rocprim17ROCPRIM_400000_NS6detail17trampoline_kernelINS0_14default_configENS1_35radix_sort_onesweep_config_selectorIxxEEZZNS1_29radix_sort_onesweep_iterationIS3_Lb0EN6thrust23THRUST_200600_302600_NS6detail15normal_iteratorINS8_10device_ptrIxEEEESD_SD_SD_jNS0_19identity_decomposerENS1_16block_id_wrapperIjLb1EEEEE10hipError_tT1_PNSt15iterator_traitsISI_E10value_typeET2_T3_PNSJ_ISO_E10value_typeET4_T5_PST_SU_PNS1_23onesweep_lookback_stateEbbT6_jjT7_P12ihipStream_tbENKUlT_T0_SI_SN_E_clISD_PxSD_S15_EEDaS11_S12_SI_SN_EUlS11_E_NS1_11comp_targetILNS1_3genE2ELNS1_11target_archE906ELNS1_3gpuE6ELNS1_3repE0EEENS1_47radix_sort_onesweep_sort_config_static_selectorELNS0_4arch9wavefront6targetE1EEEvSI_.num_vgpr, 0
	.set _ZN7rocprim17ROCPRIM_400000_NS6detail17trampoline_kernelINS0_14default_configENS1_35radix_sort_onesweep_config_selectorIxxEEZZNS1_29radix_sort_onesweep_iterationIS3_Lb0EN6thrust23THRUST_200600_302600_NS6detail15normal_iteratorINS8_10device_ptrIxEEEESD_SD_SD_jNS0_19identity_decomposerENS1_16block_id_wrapperIjLb1EEEEE10hipError_tT1_PNSt15iterator_traitsISI_E10value_typeET2_T3_PNSJ_ISO_E10value_typeET4_T5_PST_SU_PNS1_23onesweep_lookback_stateEbbT6_jjT7_P12ihipStream_tbENKUlT_T0_SI_SN_E_clISD_PxSD_S15_EEDaS11_S12_SI_SN_EUlS11_E_NS1_11comp_targetILNS1_3genE2ELNS1_11target_archE906ELNS1_3gpuE6ELNS1_3repE0EEENS1_47radix_sort_onesweep_sort_config_static_selectorELNS0_4arch9wavefront6targetE1EEEvSI_.num_agpr, 0
	.set _ZN7rocprim17ROCPRIM_400000_NS6detail17trampoline_kernelINS0_14default_configENS1_35radix_sort_onesweep_config_selectorIxxEEZZNS1_29radix_sort_onesweep_iterationIS3_Lb0EN6thrust23THRUST_200600_302600_NS6detail15normal_iteratorINS8_10device_ptrIxEEEESD_SD_SD_jNS0_19identity_decomposerENS1_16block_id_wrapperIjLb1EEEEE10hipError_tT1_PNSt15iterator_traitsISI_E10value_typeET2_T3_PNSJ_ISO_E10value_typeET4_T5_PST_SU_PNS1_23onesweep_lookback_stateEbbT6_jjT7_P12ihipStream_tbENKUlT_T0_SI_SN_E_clISD_PxSD_S15_EEDaS11_S12_SI_SN_EUlS11_E_NS1_11comp_targetILNS1_3genE2ELNS1_11target_archE906ELNS1_3gpuE6ELNS1_3repE0EEENS1_47radix_sort_onesweep_sort_config_static_selectorELNS0_4arch9wavefront6targetE1EEEvSI_.numbered_sgpr, 0
	.set _ZN7rocprim17ROCPRIM_400000_NS6detail17trampoline_kernelINS0_14default_configENS1_35radix_sort_onesweep_config_selectorIxxEEZZNS1_29radix_sort_onesweep_iterationIS3_Lb0EN6thrust23THRUST_200600_302600_NS6detail15normal_iteratorINS8_10device_ptrIxEEEESD_SD_SD_jNS0_19identity_decomposerENS1_16block_id_wrapperIjLb1EEEEE10hipError_tT1_PNSt15iterator_traitsISI_E10value_typeET2_T3_PNSJ_ISO_E10value_typeET4_T5_PST_SU_PNS1_23onesweep_lookback_stateEbbT6_jjT7_P12ihipStream_tbENKUlT_T0_SI_SN_E_clISD_PxSD_S15_EEDaS11_S12_SI_SN_EUlS11_E_NS1_11comp_targetILNS1_3genE2ELNS1_11target_archE906ELNS1_3gpuE6ELNS1_3repE0EEENS1_47radix_sort_onesweep_sort_config_static_selectorELNS0_4arch9wavefront6targetE1EEEvSI_.num_named_barrier, 0
	.set _ZN7rocprim17ROCPRIM_400000_NS6detail17trampoline_kernelINS0_14default_configENS1_35radix_sort_onesweep_config_selectorIxxEEZZNS1_29radix_sort_onesweep_iterationIS3_Lb0EN6thrust23THRUST_200600_302600_NS6detail15normal_iteratorINS8_10device_ptrIxEEEESD_SD_SD_jNS0_19identity_decomposerENS1_16block_id_wrapperIjLb1EEEEE10hipError_tT1_PNSt15iterator_traitsISI_E10value_typeET2_T3_PNSJ_ISO_E10value_typeET4_T5_PST_SU_PNS1_23onesweep_lookback_stateEbbT6_jjT7_P12ihipStream_tbENKUlT_T0_SI_SN_E_clISD_PxSD_S15_EEDaS11_S12_SI_SN_EUlS11_E_NS1_11comp_targetILNS1_3genE2ELNS1_11target_archE906ELNS1_3gpuE6ELNS1_3repE0EEENS1_47radix_sort_onesweep_sort_config_static_selectorELNS0_4arch9wavefront6targetE1EEEvSI_.private_seg_size, 0
	.set _ZN7rocprim17ROCPRIM_400000_NS6detail17trampoline_kernelINS0_14default_configENS1_35radix_sort_onesweep_config_selectorIxxEEZZNS1_29radix_sort_onesweep_iterationIS3_Lb0EN6thrust23THRUST_200600_302600_NS6detail15normal_iteratorINS8_10device_ptrIxEEEESD_SD_SD_jNS0_19identity_decomposerENS1_16block_id_wrapperIjLb1EEEEE10hipError_tT1_PNSt15iterator_traitsISI_E10value_typeET2_T3_PNSJ_ISO_E10value_typeET4_T5_PST_SU_PNS1_23onesweep_lookback_stateEbbT6_jjT7_P12ihipStream_tbENKUlT_T0_SI_SN_E_clISD_PxSD_S15_EEDaS11_S12_SI_SN_EUlS11_E_NS1_11comp_targetILNS1_3genE2ELNS1_11target_archE906ELNS1_3gpuE6ELNS1_3repE0EEENS1_47radix_sort_onesweep_sort_config_static_selectorELNS0_4arch9wavefront6targetE1EEEvSI_.uses_vcc, 0
	.set _ZN7rocprim17ROCPRIM_400000_NS6detail17trampoline_kernelINS0_14default_configENS1_35radix_sort_onesweep_config_selectorIxxEEZZNS1_29radix_sort_onesweep_iterationIS3_Lb0EN6thrust23THRUST_200600_302600_NS6detail15normal_iteratorINS8_10device_ptrIxEEEESD_SD_SD_jNS0_19identity_decomposerENS1_16block_id_wrapperIjLb1EEEEE10hipError_tT1_PNSt15iterator_traitsISI_E10value_typeET2_T3_PNSJ_ISO_E10value_typeET4_T5_PST_SU_PNS1_23onesweep_lookback_stateEbbT6_jjT7_P12ihipStream_tbENKUlT_T0_SI_SN_E_clISD_PxSD_S15_EEDaS11_S12_SI_SN_EUlS11_E_NS1_11comp_targetILNS1_3genE2ELNS1_11target_archE906ELNS1_3gpuE6ELNS1_3repE0EEENS1_47radix_sort_onesweep_sort_config_static_selectorELNS0_4arch9wavefront6targetE1EEEvSI_.uses_flat_scratch, 0
	.set _ZN7rocprim17ROCPRIM_400000_NS6detail17trampoline_kernelINS0_14default_configENS1_35radix_sort_onesweep_config_selectorIxxEEZZNS1_29radix_sort_onesweep_iterationIS3_Lb0EN6thrust23THRUST_200600_302600_NS6detail15normal_iteratorINS8_10device_ptrIxEEEESD_SD_SD_jNS0_19identity_decomposerENS1_16block_id_wrapperIjLb1EEEEE10hipError_tT1_PNSt15iterator_traitsISI_E10value_typeET2_T3_PNSJ_ISO_E10value_typeET4_T5_PST_SU_PNS1_23onesweep_lookback_stateEbbT6_jjT7_P12ihipStream_tbENKUlT_T0_SI_SN_E_clISD_PxSD_S15_EEDaS11_S12_SI_SN_EUlS11_E_NS1_11comp_targetILNS1_3genE2ELNS1_11target_archE906ELNS1_3gpuE6ELNS1_3repE0EEENS1_47radix_sort_onesweep_sort_config_static_selectorELNS0_4arch9wavefront6targetE1EEEvSI_.has_dyn_sized_stack, 0
	.set _ZN7rocprim17ROCPRIM_400000_NS6detail17trampoline_kernelINS0_14default_configENS1_35radix_sort_onesweep_config_selectorIxxEEZZNS1_29radix_sort_onesweep_iterationIS3_Lb0EN6thrust23THRUST_200600_302600_NS6detail15normal_iteratorINS8_10device_ptrIxEEEESD_SD_SD_jNS0_19identity_decomposerENS1_16block_id_wrapperIjLb1EEEEE10hipError_tT1_PNSt15iterator_traitsISI_E10value_typeET2_T3_PNSJ_ISO_E10value_typeET4_T5_PST_SU_PNS1_23onesweep_lookback_stateEbbT6_jjT7_P12ihipStream_tbENKUlT_T0_SI_SN_E_clISD_PxSD_S15_EEDaS11_S12_SI_SN_EUlS11_E_NS1_11comp_targetILNS1_3genE2ELNS1_11target_archE906ELNS1_3gpuE6ELNS1_3repE0EEENS1_47radix_sort_onesweep_sort_config_static_selectorELNS0_4arch9wavefront6targetE1EEEvSI_.has_recursion, 0
	.set _ZN7rocprim17ROCPRIM_400000_NS6detail17trampoline_kernelINS0_14default_configENS1_35radix_sort_onesweep_config_selectorIxxEEZZNS1_29radix_sort_onesweep_iterationIS3_Lb0EN6thrust23THRUST_200600_302600_NS6detail15normal_iteratorINS8_10device_ptrIxEEEESD_SD_SD_jNS0_19identity_decomposerENS1_16block_id_wrapperIjLb1EEEEE10hipError_tT1_PNSt15iterator_traitsISI_E10value_typeET2_T3_PNSJ_ISO_E10value_typeET4_T5_PST_SU_PNS1_23onesweep_lookback_stateEbbT6_jjT7_P12ihipStream_tbENKUlT_T0_SI_SN_E_clISD_PxSD_S15_EEDaS11_S12_SI_SN_EUlS11_E_NS1_11comp_targetILNS1_3genE2ELNS1_11target_archE906ELNS1_3gpuE6ELNS1_3repE0EEENS1_47radix_sort_onesweep_sort_config_static_selectorELNS0_4arch9wavefront6targetE1EEEvSI_.has_indirect_call, 0
	.section	.AMDGPU.csdata,"",@progbits
; Kernel info:
; codeLenInByte = 0
; TotalNumSgprs: 6
; NumVgprs: 0
; NumAgprs: 0
; TotalNumVgprs: 0
; ScratchSize: 0
; MemoryBound: 0
; FloatMode: 240
; IeeeMode: 1
; LDSByteSize: 0 bytes/workgroup (compile time only)
; SGPRBlocks: 0
; VGPRBlocks: 0
; NumSGPRsForWavesPerEU: 6
; NumVGPRsForWavesPerEU: 1
; AccumOffset: 4
; Occupancy: 8
; WaveLimiterHint : 0
; COMPUTE_PGM_RSRC2:SCRATCH_EN: 0
; COMPUTE_PGM_RSRC2:USER_SGPR: 2
; COMPUTE_PGM_RSRC2:TRAP_HANDLER: 0
; COMPUTE_PGM_RSRC2:TGID_X_EN: 1
; COMPUTE_PGM_RSRC2:TGID_Y_EN: 0
; COMPUTE_PGM_RSRC2:TGID_Z_EN: 0
; COMPUTE_PGM_RSRC2:TIDIG_COMP_CNT: 0
; COMPUTE_PGM_RSRC3_GFX90A:ACCUM_OFFSET: 0
; COMPUTE_PGM_RSRC3_GFX90A:TG_SPLIT: 0
	.section	.text._ZN7rocprim17ROCPRIM_400000_NS6detail17trampoline_kernelINS0_14default_configENS1_35radix_sort_onesweep_config_selectorIxxEEZZNS1_29radix_sort_onesweep_iterationIS3_Lb0EN6thrust23THRUST_200600_302600_NS6detail15normal_iteratorINS8_10device_ptrIxEEEESD_SD_SD_jNS0_19identity_decomposerENS1_16block_id_wrapperIjLb1EEEEE10hipError_tT1_PNSt15iterator_traitsISI_E10value_typeET2_T3_PNSJ_ISO_E10value_typeET4_T5_PST_SU_PNS1_23onesweep_lookback_stateEbbT6_jjT7_P12ihipStream_tbENKUlT_T0_SI_SN_E_clISD_PxSD_S15_EEDaS11_S12_SI_SN_EUlS11_E_NS1_11comp_targetILNS1_3genE4ELNS1_11target_archE910ELNS1_3gpuE8ELNS1_3repE0EEENS1_47radix_sort_onesweep_sort_config_static_selectorELNS0_4arch9wavefront6targetE1EEEvSI_,"axG",@progbits,_ZN7rocprim17ROCPRIM_400000_NS6detail17trampoline_kernelINS0_14default_configENS1_35radix_sort_onesweep_config_selectorIxxEEZZNS1_29radix_sort_onesweep_iterationIS3_Lb0EN6thrust23THRUST_200600_302600_NS6detail15normal_iteratorINS8_10device_ptrIxEEEESD_SD_SD_jNS0_19identity_decomposerENS1_16block_id_wrapperIjLb1EEEEE10hipError_tT1_PNSt15iterator_traitsISI_E10value_typeET2_T3_PNSJ_ISO_E10value_typeET4_T5_PST_SU_PNS1_23onesweep_lookback_stateEbbT6_jjT7_P12ihipStream_tbENKUlT_T0_SI_SN_E_clISD_PxSD_S15_EEDaS11_S12_SI_SN_EUlS11_E_NS1_11comp_targetILNS1_3genE4ELNS1_11target_archE910ELNS1_3gpuE8ELNS1_3repE0EEENS1_47radix_sort_onesweep_sort_config_static_selectorELNS0_4arch9wavefront6targetE1EEEvSI_,comdat
	.protected	_ZN7rocprim17ROCPRIM_400000_NS6detail17trampoline_kernelINS0_14default_configENS1_35radix_sort_onesweep_config_selectorIxxEEZZNS1_29radix_sort_onesweep_iterationIS3_Lb0EN6thrust23THRUST_200600_302600_NS6detail15normal_iteratorINS8_10device_ptrIxEEEESD_SD_SD_jNS0_19identity_decomposerENS1_16block_id_wrapperIjLb1EEEEE10hipError_tT1_PNSt15iterator_traitsISI_E10value_typeET2_T3_PNSJ_ISO_E10value_typeET4_T5_PST_SU_PNS1_23onesweep_lookback_stateEbbT6_jjT7_P12ihipStream_tbENKUlT_T0_SI_SN_E_clISD_PxSD_S15_EEDaS11_S12_SI_SN_EUlS11_E_NS1_11comp_targetILNS1_3genE4ELNS1_11target_archE910ELNS1_3gpuE8ELNS1_3repE0EEENS1_47radix_sort_onesweep_sort_config_static_selectorELNS0_4arch9wavefront6targetE1EEEvSI_ ; -- Begin function _ZN7rocprim17ROCPRIM_400000_NS6detail17trampoline_kernelINS0_14default_configENS1_35radix_sort_onesweep_config_selectorIxxEEZZNS1_29radix_sort_onesweep_iterationIS3_Lb0EN6thrust23THRUST_200600_302600_NS6detail15normal_iteratorINS8_10device_ptrIxEEEESD_SD_SD_jNS0_19identity_decomposerENS1_16block_id_wrapperIjLb1EEEEE10hipError_tT1_PNSt15iterator_traitsISI_E10value_typeET2_T3_PNSJ_ISO_E10value_typeET4_T5_PST_SU_PNS1_23onesweep_lookback_stateEbbT6_jjT7_P12ihipStream_tbENKUlT_T0_SI_SN_E_clISD_PxSD_S15_EEDaS11_S12_SI_SN_EUlS11_E_NS1_11comp_targetILNS1_3genE4ELNS1_11target_archE910ELNS1_3gpuE8ELNS1_3repE0EEENS1_47radix_sort_onesweep_sort_config_static_selectorELNS0_4arch9wavefront6targetE1EEEvSI_
	.globl	_ZN7rocprim17ROCPRIM_400000_NS6detail17trampoline_kernelINS0_14default_configENS1_35radix_sort_onesweep_config_selectorIxxEEZZNS1_29radix_sort_onesweep_iterationIS3_Lb0EN6thrust23THRUST_200600_302600_NS6detail15normal_iteratorINS8_10device_ptrIxEEEESD_SD_SD_jNS0_19identity_decomposerENS1_16block_id_wrapperIjLb1EEEEE10hipError_tT1_PNSt15iterator_traitsISI_E10value_typeET2_T3_PNSJ_ISO_E10value_typeET4_T5_PST_SU_PNS1_23onesweep_lookback_stateEbbT6_jjT7_P12ihipStream_tbENKUlT_T0_SI_SN_E_clISD_PxSD_S15_EEDaS11_S12_SI_SN_EUlS11_E_NS1_11comp_targetILNS1_3genE4ELNS1_11target_archE910ELNS1_3gpuE8ELNS1_3repE0EEENS1_47radix_sort_onesweep_sort_config_static_selectorELNS0_4arch9wavefront6targetE1EEEvSI_
	.p2align	8
	.type	_ZN7rocprim17ROCPRIM_400000_NS6detail17trampoline_kernelINS0_14default_configENS1_35radix_sort_onesweep_config_selectorIxxEEZZNS1_29radix_sort_onesweep_iterationIS3_Lb0EN6thrust23THRUST_200600_302600_NS6detail15normal_iteratorINS8_10device_ptrIxEEEESD_SD_SD_jNS0_19identity_decomposerENS1_16block_id_wrapperIjLb1EEEEE10hipError_tT1_PNSt15iterator_traitsISI_E10value_typeET2_T3_PNSJ_ISO_E10value_typeET4_T5_PST_SU_PNS1_23onesweep_lookback_stateEbbT6_jjT7_P12ihipStream_tbENKUlT_T0_SI_SN_E_clISD_PxSD_S15_EEDaS11_S12_SI_SN_EUlS11_E_NS1_11comp_targetILNS1_3genE4ELNS1_11target_archE910ELNS1_3gpuE8ELNS1_3repE0EEENS1_47radix_sort_onesweep_sort_config_static_selectorELNS0_4arch9wavefront6targetE1EEEvSI_,@function
_ZN7rocprim17ROCPRIM_400000_NS6detail17trampoline_kernelINS0_14default_configENS1_35radix_sort_onesweep_config_selectorIxxEEZZNS1_29radix_sort_onesweep_iterationIS3_Lb0EN6thrust23THRUST_200600_302600_NS6detail15normal_iteratorINS8_10device_ptrIxEEEESD_SD_SD_jNS0_19identity_decomposerENS1_16block_id_wrapperIjLb1EEEEE10hipError_tT1_PNSt15iterator_traitsISI_E10value_typeET2_T3_PNSJ_ISO_E10value_typeET4_T5_PST_SU_PNS1_23onesweep_lookback_stateEbbT6_jjT7_P12ihipStream_tbENKUlT_T0_SI_SN_E_clISD_PxSD_S15_EEDaS11_S12_SI_SN_EUlS11_E_NS1_11comp_targetILNS1_3genE4ELNS1_11target_archE910ELNS1_3gpuE8ELNS1_3repE0EEENS1_47radix_sort_onesweep_sort_config_static_selectorELNS0_4arch9wavefront6targetE1EEEvSI_: ; @_ZN7rocprim17ROCPRIM_400000_NS6detail17trampoline_kernelINS0_14default_configENS1_35radix_sort_onesweep_config_selectorIxxEEZZNS1_29radix_sort_onesweep_iterationIS3_Lb0EN6thrust23THRUST_200600_302600_NS6detail15normal_iteratorINS8_10device_ptrIxEEEESD_SD_SD_jNS0_19identity_decomposerENS1_16block_id_wrapperIjLb1EEEEE10hipError_tT1_PNSt15iterator_traitsISI_E10value_typeET2_T3_PNSJ_ISO_E10value_typeET4_T5_PST_SU_PNS1_23onesweep_lookback_stateEbbT6_jjT7_P12ihipStream_tbENKUlT_T0_SI_SN_E_clISD_PxSD_S15_EEDaS11_S12_SI_SN_EUlS11_E_NS1_11comp_targetILNS1_3genE4ELNS1_11target_archE910ELNS1_3gpuE8ELNS1_3repE0EEENS1_47radix_sort_onesweep_sort_config_static_selectorELNS0_4arch9wavefront6targetE1EEEvSI_
; %bb.0:
	.section	.rodata,"a",@progbits
	.p2align	6, 0x0
	.amdhsa_kernel _ZN7rocprim17ROCPRIM_400000_NS6detail17trampoline_kernelINS0_14default_configENS1_35radix_sort_onesweep_config_selectorIxxEEZZNS1_29radix_sort_onesweep_iterationIS3_Lb0EN6thrust23THRUST_200600_302600_NS6detail15normal_iteratorINS8_10device_ptrIxEEEESD_SD_SD_jNS0_19identity_decomposerENS1_16block_id_wrapperIjLb1EEEEE10hipError_tT1_PNSt15iterator_traitsISI_E10value_typeET2_T3_PNSJ_ISO_E10value_typeET4_T5_PST_SU_PNS1_23onesweep_lookback_stateEbbT6_jjT7_P12ihipStream_tbENKUlT_T0_SI_SN_E_clISD_PxSD_S15_EEDaS11_S12_SI_SN_EUlS11_E_NS1_11comp_targetILNS1_3genE4ELNS1_11target_archE910ELNS1_3gpuE8ELNS1_3repE0EEENS1_47radix_sort_onesweep_sort_config_static_selectorELNS0_4arch9wavefront6targetE1EEEvSI_
		.amdhsa_group_segment_fixed_size 0
		.amdhsa_private_segment_fixed_size 0
		.amdhsa_kernarg_size 88
		.amdhsa_user_sgpr_count 2
		.amdhsa_user_sgpr_dispatch_ptr 0
		.amdhsa_user_sgpr_queue_ptr 0
		.amdhsa_user_sgpr_kernarg_segment_ptr 1
		.amdhsa_user_sgpr_dispatch_id 0
		.amdhsa_user_sgpr_kernarg_preload_length 0
		.amdhsa_user_sgpr_kernarg_preload_offset 0
		.amdhsa_user_sgpr_private_segment_size 0
		.amdhsa_uses_dynamic_stack 0
		.amdhsa_enable_private_segment 0
		.amdhsa_system_sgpr_workgroup_id_x 1
		.amdhsa_system_sgpr_workgroup_id_y 0
		.amdhsa_system_sgpr_workgroup_id_z 0
		.amdhsa_system_sgpr_workgroup_info 0
		.amdhsa_system_vgpr_workitem_id 0
		.amdhsa_next_free_vgpr 1
		.amdhsa_next_free_sgpr 0
		.amdhsa_accum_offset 4
		.amdhsa_reserve_vcc 0
		.amdhsa_float_round_mode_32 0
		.amdhsa_float_round_mode_16_64 0
		.amdhsa_float_denorm_mode_32 3
		.amdhsa_float_denorm_mode_16_64 3
		.amdhsa_dx10_clamp 1
		.amdhsa_ieee_mode 1
		.amdhsa_fp16_overflow 0
		.amdhsa_tg_split 0
		.amdhsa_exception_fp_ieee_invalid_op 0
		.amdhsa_exception_fp_denorm_src 0
		.amdhsa_exception_fp_ieee_div_zero 0
		.amdhsa_exception_fp_ieee_overflow 0
		.amdhsa_exception_fp_ieee_underflow 0
		.amdhsa_exception_fp_ieee_inexact 0
		.amdhsa_exception_int_div_zero 0
	.end_amdhsa_kernel
	.section	.text._ZN7rocprim17ROCPRIM_400000_NS6detail17trampoline_kernelINS0_14default_configENS1_35radix_sort_onesweep_config_selectorIxxEEZZNS1_29radix_sort_onesweep_iterationIS3_Lb0EN6thrust23THRUST_200600_302600_NS6detail15normal_iteratorINS8_10device_ptrIxEEEESD_SD_SD_jNS0_19identity_decomposerENS1_16block_id_wrapperIjLb1EEEEE10hipError_tT1_PNSt15iterator_traitsISI_E10value_typeET2_T3_PNSJ_ISO_E10value_typeET4_T5_PST_SU_PNS1_23onesweep_lookback_stateEbbT6_jjT7_P12ihipStream_tbENKUlT_T0_SI_SN_E_clISD_PxSD_S15_EEDaS11_S12_SI_SN_EUlS11_E_NS1_11comp_targetILNS1_3genE4ELNS1_11target_archE910ELNS1_3gpuE8ELNS1_3repE0EEENS1_47radix_sort_onesweep_sort_config_static_selectorELNS0_4arch9wavefront6targetE1EEEvSI_,"axG",@progbits,_ZN7rocprim17ROCPRIM_400000_NS6detail17trampoline_kernelINS0_14default_configENS1_35radix_sort_onesweep_config_selectorIxxEEZZNS1_29radix_sort_onesweep_iterationIS3_Lb0EN6thrust23THRUST_200600_302600_NS6detail15normal_iteratorINS8_10device_ptrIxEEEESD_SD_SD_jNS0_19identity_decomposerENS1_16block_id_wrapperIjLb1EEEEE10hipError_tT1_PNSt15iterator_traitsISI_E10value_typeET2_T3_PNSJ_ISO_E10value_typeET4_T5_PST_SU_PNS1_23onesweep_lookback_stateEbbT6_jjT7_P12ihipStream_tbENKUlT_T0_SI_SN_E_clISD_PxSD_S15_EEDaS11_S12_SI_SN_EUlS11_E_NS1_11comp_targetILNS1_3genE4ELNS1_11target_archE910ELNS1_3gpuE8ELNS1_3repE0EEENS1_47radix_sort_onesweep_sort_config_static_selectorELNS0_4arch9wavefront6targetE1EEEvSI_,comdat
.Lfunc_end1210:
	.size	_ZN7rocprim17ROCPRIM_400000_NS6detail17trampoline_kernelINS0_14default_configENS1_35radix_sort_onesweep_config_selectorIxxEEZZNS1_29radix_sort_onesweep_iterationIS3_Lb0EN6thrust23THRUST_200600_302600_NS6detail15normal_iteratorINS8_10device_ptrIxEEEESD_SD_SD_jNS0_19identity_decomposerENS1_16block_id_wrapperIjLb1EEEEE10hipError_tT1_PNSt15iterator_traitsISI_E10value_typeET2_T3_PNSJ_ISO_E10value_typeET4_T5_PST_SU_PNS1_23onesweep_lookback_stateEbbT6_jjT7_P12ihipStream_tbENKUlT_T0_SI_SN_E_clISD_PxSD_S15_EEDaS11_S12_SI_SN_EUlS11_E_NS1_11comp_targetILNS1_3genE4ELNS1_11target_archE910ELNS1_3gpuE8ELNS1_3repE0EEENS1_47radix_sort_onesweep_sort_config_static_selectorELNS0_4arch9wavefront6targetE1EEEvSI_, .Lfunc_end1210-_ZN7rocprim17ROCPRIM_400000_NS6detail17trampoline_kernelINS0_14default_configENS1_35radix_sort_onesweep_config_selectorIxxEEZZNS1_29radix_sort_onesweep_iterationIS3_Lb0EN6thrust23THRUST_200600_302600_NS6detail15normal_iteratorINS8_10device_ptrIxEEEESD_SD_SD_jNS0_19identity_decomposerENS1_16block_id_wrapperIjLb1EEEEE10hipError_tT1_PNSt15iterator_traitsISI_E10value_typeET2_T3_PNSJ_ISO_E10value_typeET4_T5_PST_SU_PNS1_23onesweep_lookback_stateEbbT6_jjT7_P12ihipStream_tbENKUlT_T0_SI_SN_E_clISD_PxSD_S15_EEDaS11_S12_SI_SN_EUlS11_E_NS1_11comp_targetILNS1_3genE4ELNS1_11target_archE910ELNS1_3gpuE8ELNS1_3repE0EEENS1_47radix_sort_onesweep_sort_config_static_selectorELNS0_4arch9wavefront6targetE1EEEvSI_
                                        ; -- End function
	.set _ZN7rocprim17ROCPRIM_400000_NS6detail17trampoline_kernelINS0_14default_configENS1_35radix_sort_onesweep_config_selectorIxxEEZZNS1_29radix_sort_onesweep_iterationIS3_Lb0EN6thrust23THRUST_200600_302600_NS6detail15normal_iteratorINS8_10device_ptrIxEEEESD_SD_SD_jNS0_19identity_decomposerENS1_16block_id_wrapperIjLb1EEEEE10hipError_tT1_PNSt15iterator_traitsISI_E10value_typeET2_T3_PNSJ_ISO_E10value_typeET4_T5_PST_SU_PNS1_23onesweep_lookback_stateEbbT6_jjT7_P12ihipStream_tbENKUlT_T0_SI_SN_E_clISD_PxSD_S15_EEDaS11_S12_SI_SN_EUlS11_E_NS1_11comp_targetILNS1_3genE4ELNS1_11target_archE910ELNS1_3gpuE8ELNS1_3repE0EEENS1_47radix_sort_onesweep_sort_config_static_selectorELNS0_4arch9wavefront6targetE1EEEvSI_.num_vgpr, 0
	.set _ZN7rocprim17ROCPRIM_400000_NS6detail17trampoline_kernelINS0_14default_configENS1_35radix_sort_onesweep_config_selectorIxxEEZZNS1_29radix_sort_onesweep_iterationIS3_Lb0EN6thrust23THRUST_200600_302600_NS6detail15normal_iteratorINS8_10device_ptrIxEEEESD_SD_SD_jNS0_19identity_decomposerENS1_16block_id_wrapperIjLb1EEEEE10hipError_tT1_PNSt15iterator_traitsISI_E10value_typeET2_T3_PNSJ_ISO_E10value_typeET4_T5_PST_SU_PNS1_23onesweep_lookback_stateEbbT6_jjT7_P12ihipStream_tbENKUlT_T0_SI_SN_E_clISD_PxSD_S15_EEDaS11_S12_SI_SN_EUlS11_E_NS1_11comp_targetILNS1_3genE4ELNS1_11target_archE910ELNS1_3gpuE8ELNS1_3repE0EEENS1_47radix_sort_onesweep_sort_config_static_selectorELNS0_4arch9wavefront6targetE1EEEvSI_.num_agpr, 0
	.set _ZN7rocprim17ROCPRIM_400000_NS6detail17trampoline_kernelINS0_14default_configENS1_35radix_sort_onesweep_config_selectorIxxEEZZNS1_29radix_sort_onesweep_iterationIS3_Lb0EN6thrust23THRUST_200600_302600_NS6detail15normal_iteratorINS8_10device_ptrIxEEEESD_SD_SD_jNS0_19identity_decomposerENS1_16block_id_wrapperIjLb1EEEEE10hipError_tT1_PNSt15iterator_traitsISI_E10value_typeET2_T3_PNSJ_ISO_E10value_typeET4_T5_PST_SU_PNS1_23onesweep_lookback_stateEbbT6_jjT7_P12ihipStream_tbENKUlT_T0_SI_SN_E_clISD_PxSD_S15_EEDaS11_S12_SI_SN_EUlS11_E_NS1_11comp_targetILNS1_3genE4ELNS1_11target_archE910ELNS1_3gpuE8ELNS1_3repE0EEENS1_47radix_sort_onesweep_sort_config_static_selectorELNS0_4arch9wavefront6targetE1EEEvSI_.numbered_sgpr, 0
	.set _ZN7rocprim17ROCPRIM_400000_NS6detail17trampoline_kernelINS0_14default_configENS1_35radix_sort_onesweep_config_selectorIxxEEZZNS1_29radix_sort_onesweep_iterationIS3_Lb0EN6thrust23THRUST_200600_302600_NS6detail15normal_iteratorINS8_10device_ptrIxEEEESD_SD_SD_jNS0_19identity_decomposerENS1_16block_id_wrapperIjLb1EEEEE10hipError_tT1_PNSt15iterator_traitsISI_E10value_typeET2_T3_PNSJ_ISO_E10value_typeET4_T5_PST_SU_PNS1_23onesweep_lookback_stateEbbT6_jjT7_P12ihipStream_tbENKUlT_T0_SI_SN_E_clISD_PxSD_S15_EEDaS11_S12_SI_SN_EUlS11_E_NS1_11comp_targetILNS1_3genE4ELNS1_11target_archE910ELNS1_3gpuE8ELNS1_3repE0EEENS1_47radix_sort_onesweep_sort_config_static_selectorELNS0_4arch9wavefront6targetE1EEEvSI_.num_named_barrier, 0
	.set _ZN7rocprim17ROCPRIM_400000_NS6detail17trampoline_kernelINS0_14default_configENS1_35radix_sort_onesweep_config_selectorIxxEEZZNS1_29radix_sort_onesweep_iterationIS3_Lb0EN6thrust23THRUST_200600_302600_NS6detail15normal_iteratorINS8_10device_ptrIxEEEESD_SD_SD_jNS0_19identity_decomposerENS1_16block_id_wrapperIjLb1EEEEE10hipError_tT1_PNSt15iterator_traitsISI_E10value_typeET2_T3_PNSJ_ISO_E10value_typeET4_T5_PST_SU_PNS1_23onesweep_lookback_stateEbbT6_jjT7_P12ihipStream_tbENKUlT_T0_SI_SN_E_clISD_PxSD_S15_EEDaS11_S12_SI_SN_EUlS11_E_NS1_11comp_targetILNS1_3genE4ELNS1_11target_archE910ELNS1_3gpuE8ELNS1_3repE0EEENS1_47radix_sort_onesweep_sort_config_static_selectorELNS0_4arch9wavefront6targetE1EEEvSI_.private_seg_size, 0
	.set _ZN7rocprim17ROCPRIM_400000_NS6detail17trampoline_kernelINS0_14default_configENS1_35radix_sort_onesweep_config_selectorIxxEEZZNS1_29radix_sort_onesweep_iterationIS3_Lb0EN6thrust23THRUST_200600_302600_NS6detail15normal_iteratorINS8_10device_ptrIxEEEESD_SD_SD_jNS0_19identity_decomposerENS1_16block_id_wrapperIjLb1EEEEE10hipError_tT1_PNSt15iterator_traitsISI_E10value_typeET2_T3_PNSJ_ISO_E10value_typeET4_T5_PST_SU_PNS1_23onesweep_lookback_stateEbbT6_jjT7_P12ihipStream_tbENKUlT_T0_SI_SN_E_clISD_PxSD_S15_EEDaS11_S12_SI_SN_EUlS11_E_NS1_11comp_targetILNS1_3genE4ELNS1_11target_archE910ELNS1_3gpuE8ELNS1_3repE0EEENS1_47radix_sort_onesweep_sort_config_static_selectorELNS0_4arch9wavefront6targetE1EEEvSI_.uses_vcc, 0
	.set _ZN7rocprim17ROCPRIM_400000_NS6detail17trampoline_kernelINS0_14default_configENS1_35radix_sort_onesweep_config_selectorIxxEEZZNS1_29radix_sort_onesweep_iterationIS3_Lb0EN6thrust23THRUST_200600_302600_NS6detail15normal_iteratorINS8_10device_ptrIxEEEESD_SD_SD_jNS0_19identity_decomposerENS1_16block_id_wrapperIjLb1EEEEE10hipError_tT1_PNSt15iterator_traitsISI_E10value_typeET2_T3_PNSJ_ISO_E10value_typeET4_T5_PST_SU_PNS1_23onesweep_lookback_stateEbbT6_jjT7_P12ihipStream_tbENKUlT_T0_SI_SN_E_clISD_PxSD_S15_EEDaS11_S12_SI_SN_EUlS11_E_NS1_11comp_targetILNS1_3genE4ELNS1_11target_archE910ELNS1_3gpuE8ELNS1_3repE0EEENS1_47radix_sort_onesweep_sort_config_static_selectorELNS0_4arch9wavefront6targetE1EEEvSI_.uses_flat_scratch, 0
	.set _ZN7rocprim17ROCPRIM_400000_NS6detail17trampoline_kernelINS0_14default_configENS1_35radix_sort_onesweep_config_selectorIxxEEZZNS1_29radix_sort_onesweep_iterationIS3_Lb0EN6thrust23THRUST_200600_302600_NS6detail15normal_iteratorINS8_10device_ptrIxEEEESD_SD_SD_jNS0_19identity_decomposerENS1_16block_id_wrapperIjLb1EEEEE10hipError_tT1_PNSt15iterator_traitsISI_E10value_typeET2_T3_PNSJ_ISO_E10value_typeET4_T5_PST_SU_PNS1_23onesweep_lookback_stateEbbT6_jjT7_P12ihipStream_tbENKUlT_T0_SI_SN_E_clISD_PxSD_S15_EEDaS11_S12_SI_SN_EUlS11_E_NS1_11comp_targetILNS1_3genE4ELNS1_11target_archE910ELNS1_3gpuE8ELNS1_3repE0EEENS1_47radix_sort_onesweep_sort_config_static_selectorELNS0_4arch9wavefront6targetE1EEEvSI_.has_dyn_sized_stack, 0
	.set _ZN7rocprim17ROCPRIM_400000_NS6detail17trampoline_kernelINS0_14default_configENS1_35radix_sort_onesweep_config_selectorIxxEEZZNS1_29radix_sort_onesweep_iterationIS3_Lb0EN6thrust23THRUST_200600_302600_NS6detail15normal_iteratorINS8_10device_ptrIxEEEESD_SD_SD_jNS0_19identity_decomposerENS1_16block_id_wrapperIjLb1EEEEE10hipError_tT1_PNSt15iterator_traitsISI_E10value_typeET2_T3_PNSJ_ISO_E10value_typeET4_T5_PST_SU_PNS1_23onesweep_lookback_stateEbbT6_jjT7_P12ihipStream_tbENKUlT_T0_SI_SN_E_clISD_PxSD_S15_EEDaS11_S12_SI_SN_EUlS11_E_NS1_11comp_targetILNS1_3genE4ELNS1_11target_archE910ELNS1_3gpuE8ELNS1_3repE0EEENS1_47radix_sort_onesweep_sort_config_static_selectorELNS0_4arch9wavefront6targetE1EEEvSI_.has_recursion, 0
	.set _ZN7rocprim17ROCPRIM_400000_NS6detail17trampoline_kernelINS0_14default_configENS1_35radix_sort_onesweep_config_selectorIxxEEZZNS1_29radix_sort_onesweep_iterationIS3_Lb0EN6thrust23THRUST_200600_302600_NS6detail15normal_iteratorINS8_10device_ptrIxEEEESD_SD_SD_jNS0_19identity_decomposerENS1_16block_id_wrapperIjLb1EEEEE10hipError_tT1_PNSt15iterator_traitsISI_E10value_typeET2_T3_PNSJ_ISO_E10value_typeET4_T5_PST_SU_PNS1_23onesweep_lookback_stateEbbT6_jjT7_P12ihipStream_tbENKUlT_T0_SI_SN_E_clISD_PxSD_S15_EEDaS11_S12_SI_SN_EUlS11_E_NS1_11comp_targetILNS1_3genE4ELNS1_11target_archE910ELNS1_3gpuE8ELNS1_3repE0EEENS1_47radix_sort_onesweep_sort_config_static_selectorELNS0_4arch9wavefront6targetE1EEEvSI_.has_indirect_call, 0
	.section	.AMDGPU.csdata,"",@progbits
; Kernel info:
; codeLenInByte = 0
; TotalNumSgprs: 6
; NumVgprs: 0
; NumAgprs: 0
; TotalNumVgprs: 0
; ScratchSize: 0
; MemoryBound: 0
; FloatMode: 240
; IeeeMode: 1
; LDSByteSize: 0 bytes/workgroup (compile time only)
; SGPRBlocks: 0
; VGPRBlocks: 0
; NumSGPRsForWavesPerEU: 6
; NumVGPRsForWavesPerEU: 1
; AccumOffset: 4
; Occupancy: 8
; WaveLimiterHint : 0
; COMPUTE_PGM_RSRC2:SCRATCH_EN: 0
; COMPUTE_PGM_RSRC2:USER_SGPR: 2
; COMPUTE_PGM_RSRC2:TRAP_HANDLER: 0
; COMPUTE_PGM_RSRC2:TGID_X_EN: 1
; COMPUTE_PGM_RSRC2:TGID_Y_EN: 0
; COMPUTE_PGM_RSRC2:TGID_Z_EN: 0
; COMPUTE_PGM_RSRC2:TIDIG_COMP_CNT: 0
; COMPUTE_PGM_RSRC3_GFX90A:ACCUM_OFFSET: 0
; COMPUTE_PGM_RSRC3_GFX90A:TG_SPLIT: 0
	.section	.text._ZN7rocprim17ROCPRIM_400000_NS6detail17trampoline_kernelINS0_14default_configENS1_35radix_sort_onesweep_config_selectorIxxEEZZNS1_29radix_sort_onesweep_iterationIS3_Lb0EN6thrust23THRUST_200600_302600_NS6detail15normal_iteratorINS8_10device_ptrIxEEEESD_SD_SD_jNS0_19identity_decomposerENS1_16block_id_wrapperIjLb1EEEEE10hipError_tT1_PNSt15iterator_traitsISI_E10value_typeET2_T3_PNSJ_ISO_E10value_typeET4_T5_PST_SU_PNS1_23onesweep_lookback_stateEbbT6_jjT7_P12ihipStream_tbENKUlT_T0_SI_SN_E_clISD_PxSD_S15_EEDaS11_S12_SI_SN_EUlS11_E_NS1_11comp_targetILNS1_3genE3ELNS1_11target_archE908ELNS1_3gpuE7ELNS1_3repE0EEENS1_47radix_sort_onesweep_sort_config_static_selectorELNS0_4arch9wavefront6targetE1EEEvSI_,"axG",@progbits,_ZN7rocprim17ROCPRIM_400000_NS6detail17trampoline_kernelINS0_14default_configENS1_35radix_sort_onesweep_config_selectorIxxEEZZNS1_29radix_sort_onesweep_iterationIS3_Lb0EN6thrust23THRUST_200600_302600_NS6detail15normal_iteratorINS8_10device_ptrIxEEEESD_SD_SD_jNS0_19identity_decomposerENS1_16block_id_wrapperIjLb1EEEEE10hipError_tT1_PNSt15iterator_traitsISI_E10value_typeET2_T3_PNSJ_ISO_E10value_typeET4_T5_PST_SU_PNS1_23onesweep_lookback_stateEbbT6_jjT7_P12ihipStream_tbENKUlT_T0_SI_SN_E_clISD_PxSD_S15_EEDaS11_S12_SI_SN_EUlS11_E_NS1_11comp_targetILNS1_3genE3ELNS1_11target_archE908ELNS1_3gpuE7ELNS1_3repE0EEENS1_47radix_sort_onesweep_sort_config_static_selectorELNS0_4arch9wavefront6targetE1EEEvSI_,comdat
	.protected	_ZN7rocprim17ROCPRIM_400000_NS6detail17trampoline_kernelINS0_14default_configENS1_35radix_sort_onesweep_config_selectorIxxEEZZNS1_29radix_sort_onesweep_iterationIS3_Lb0EN6thrust23THRUST_200600_302600_NS6detail15normal_iteratorINS8_10device_ptrIxEEEESD_SD_SD_jNS0_19identity_decomposerENS1_16block_id_wrapperIjLb1EEEEE10hipError_tT1_PNSt15iterator_traitsISI_E10value_typeET2_T3_PNSJ_ISO_E10value_typeET4_T5_PST_SU_PNS1_23onesweep_lookback_stateEbbT6_jjT7_P12ihipStream_tbENKUlT_T0_SI_SN_E_clISD_PxSD_S15_EEDaS11_S12_SI_SN_EUlS11_E_NS1_11comp_targetILNS1_3genE3ELNS1_11target_archE908ELNS1_3gpuE7ELNS1_3repE0EEENS1_47radix_sort_onesweep_sort_config_static_selectorELNS0_4arch9wavefront6targetE1EEEvSI_ ; -- Begin function _ZN7rocprim17ROCPRIM_400000_NS6detail17trampoline_kernelINS0_14default_configENS1_35radix_sort_onesweep_config_selectorIxxEEZZNS1_29radix_sort_onesweep_iterationIS3_Lb0EN6thrust23THRUST_200600_302600_NS6detail15normal_iteratorINS8_10device_ptrIxEEEESD_SD_SD_jNS0_19identity_decomposerENS1_16block_id_wrapperIjLb1EEEEE10hipError_tT1_PNSt15iterator_traitsISI_E10value_typeET2_T3_PNSJ_ISO_E10value_typeET4_T5_PST_SU_PNS1_23onesweep_lookback_stateEbbT6_jjT7_P12ihipStream_tbENKUlT_T0_SI_SN_E_clISD_PxSD_S15_EEDaS11_S12_SI_SN_EUlS11_E_NS1_11comp_targetILNS1_3genE3ELNS1_11target_archE908ELNS1_3gpuE7ELNS1_3repE0EEENS1_47radix_sort_onesweep_sort_config_static_selectorELNS0_4arch9wavefront6targetE1EEEvSI_
	.globl	_ZN7rocprim17ROCPRIM_400000_NS6detail17trampoline_kernelINS0_14default_configENS1_35radix_sort_onesweep_config_selectorIxxEEZZNS1_29radix_sort_onesweep_iterationIS3_Lb0EN6thrust23THRUST_200600_302600_NS6detail15normal_iteratorINS8_10device_ptrIxEEEESD_SD_SD_jNS0_19identity_decomposerENS1_16block_id_wrapperIjLb1EEEEE10hipError_tT1_PNSt15iterator_traitsISI_E10value_typeET2_T3_PNSJ_ISO_E10value_typeET4_T5_PST_SU_PNS1_23onesweep_lookback_stateEbbT6_jjT7_P12ihipStream_tbENKUlT_T0_SI_SN_E_clISD_PxSD_S15_EEDaS11_S12_SI_SN_EUlS11_E_NS1_11comp_targetILNS1_3genE3ELNS1_11target_archE908ELNS1_3gpuE7ELNS1_3repE0EEENS1_47radix_sort_onesweep_sort_config_static_selectorELNS0_4arch9wavefront6targetE1EEEvSI_
	.p2align	8
	.type	_ZN7rocprim17ROCPRIM_400000_NS6detail17trampoline_kernelINS0_14default_configENS1_35radix_sort_onesweep_config_selectorIxxEEZZNS1_29radix_sort_onesweep_iterationIS3_Lb0EN6thrust23THRUST_200600_302600_NS6detail15normal_iteratorINS8_10device_ptrIxEEEESD_SD_SD_jNS0_19identity_decomposerENS1_16block_id_wrapperIjLb1EEEEE10hipError_tT1_PNSt15iterator_traitsISI_E10value_typeET2_T3_PNSJ_ISO_E10value_typeET4_T5_PST_SU_PNS1_23onesweep_lookback_stateEbbT6_jjT7_P12ihipStream_tbENKUlT_T0_SI_SN_E_clISD_PxSD_S15_EEDaS11_S12_SI_SN_EUlS11_E_NS1_11comp_targetILNS1_3genE3ELNS1_11target_archE908ELNS1_3gpuE7ELNS1_3repE0EEENS1_47radix_sort_onesweep_sort_config_static_selectorELNS0_4arch9wavefront6targetE1EEEvSI_,@function
_ZN7rocprim17ROCPRIM_400000_NS6detail17trampoline_kernelINS0_14default_configENS1_35radix_sort_onesweep_config_selectorIxxEEZZNS1_29radix_sort_onesweep_iterationIS3_Lb0EN6thrust23THRUST_200600_302600_NS6detail15normal_iteratorINS8_10device_ptrIxEEEESD_SD_SD_jNS0_19identity_decomposerENS1_16block_id_wrapperIjLb1EEEEE10hipError_tT1_PNSt15iterator_traitsISI_E10value_typeET2_T3_PNSJ_ISO_E10value_typeET4_T5_PST_SU_PNS1_23onesweep_lookback_stateEbbT6_jjT7_P12ihipStream_tbENKUlT_T0_SI_SN_E_clISD_PxSD_S15_EEDaS11_S12_SI_SN_EUlS11_E_NS1_11comp_targetILNS1_3genE3ELNS1_11target_archE908ELNS1_3gpuE7ELNS1_3repE0EEENS1_47radix_sort_onesweep_sort_config_static_selectorELNS0_4arch9wavefront6targetE1EEEvSI_: ; @_ZN7rocprim17ROCPRIM_400000_NS6detail17trampoline_kernelINS0_14default_configENS1_35radix_sort_onesweep_config_selectorIxxEEZZNS1_29radix_sort_onesweep_iterationIS3_Lb0EN6thrust23THRUST_200600_302600_NS6detail15normal_iteratorINS8_10device_ptrIxEEEESD_SD_SD_jNS0_19identity_decomposerENS1_16block_id_wrapperIjLb1EEEEE10hipError_tT1_PNSt15iterator_traitsISI_E10value_typeET2_T3_PNSJ_ISO_E10value_typeET4_T5_PST_SU_PNS1_23onesweep_lookback_stateEbbT6_jjT7_P12ihipStream_tbENKUlT_T0_SI_SN_E_clISD_PxSD_S15_EEDaS11_S12_SI_SN_EUlS11_E_NS1_11comp_targetILNS1_3genE3ELNS1_11target_archE908ELNS1_3gpuE7ELNS1_3repE0EEENS1_47radix_sort_onesweep_sort_config_static_selectorELNS0_4arch9wavefront6targetE1EEEvSI_
; %bb.0:
	.section	.rodata,"a",@progbits
	.p2align	6, 0x0
	.amdhsa_kernel _ZN7rocprim17ROCPRIM_400000_NS6detail17trampoline_kernelINS0_14default_configENS1_35radix_sort_onesweep_config_selectorIxxEEZZNS1_29radix_sort_onesweep_iterationIS3_Lb0EN6thrust23THRUST_200600_302600_NS6detail15normal_iteratorINS8_10device_ptrIxEEEESD_SD_SD_jNS0_19identity_decomposerENS1_16block_id_wrapperIjLb1EEEEE10hipError_tT1_PNSt15iterator_traitsISI_E10value_typeET2_T3_PNSJ_ISO_E10value_typeET4_T5_PST_SU_PNS1_23onesweep_lookback_stateEbbT6_jjT7_P12ihipStream_tbENKUlT_T0_SI_SN_E_clISD_PxSD_S15_EEDaS11_S12_SI_SN_EUlS11_E_NS1_11comp_targetILNS1_3genE3ELNS1_11target_archE908ELNS1_3gpuE7ELNS1_3repE0EEENS1_47radix_sort_onesweep_sort_config_static_selectorELNS0_4arch9wavefront6targetE1EEEvSI_
		.amdhsa_group_segment_fixed_size 0
		.amdhsa_private_segment_fixed_size 0
		.amdhsa_kernarg_size 88
		.amdhsa_user_sgpr_count 2
		.amdhsa_user_sgpr_dispatch_ptr 0
		.amdhsa_user_sgpr_queue_ptr 0
		.amdhsa_user_sgpr_kernarg_segment_ptr 1
		.amdhsa_user_sgpr_dispatch_id 0
		.amdhsa_user_sgpr_kernarg_preload_length 0
		.amdhsa_user_sgpr_kernarg_preload_offset 0
		.amdhsa_user_sgpr_private_segment_size 0
		.amdhsa_uses_dynamic_stack 0
		.amdhsa_enable_private_segment 0
		.amdhsa_system_sgpr_workgroup_id_x 1
		.amdhsa_system_sgpr_workgroup_id_y 0
		.amdhsa_system_sgpr_workgroup_id_z 0
		.amdhsa_system_sgpr_workgroup_info 0
		.amdhsa_system_vgpr_workitem_id 0
		.amdhsa_next_free_vgpr 1
		.amdhsa_next_free_sgpr 0
		.amdhsa_accum_offset 4
		.amdhsa_reserve_vcc 0
		.amdhsa_float_round_mode_32 0
		.amdhsa_float_round_mode_16_64 0
		.amdhsa_float_denorm_mode_32 3
		.amdhsa_float_denorm_mode_16_64 3
		.amdhsa_dx10_clamp 1
		.amdhsa_ieee_mode 1
		.amdhsa_fp16_overflow 0
		.amdhsa_tg_split 0
		.amdhsa_exception_fp_ieee_invalid_op 0
		.amdhsa_exception_fp_denorm_src 0
		.amdhsa_exception_fp_ieee_div_zero 0
		.amdhsa_exception_fp_ieee_overflow 0
		.amdhsa_exception_fp_ieee_underflow 0
		.amdhsa_exception_fp_ieee_inexact 0
		.amdhsa_exception_int_div_zero 0
	.end_amdhsa_kernel
	.section	.text._ZN7rocprim17ROCPRIM_400000_NS6detail17trampoline_kernelINS0_14default_configENS1_35radix_sort_onesweep_config_selectorIxxEEZZNS1_29radix_sort_onesweep_iterationIS3_Lb0EN6thrust23THRUST_200600_302600_NS6detail15normal_iteratorINS8_10device_ptrIxEEEESD_SD_SD_jNS0_19identity_decomposerENS1_16block_id_wrapperIjLb1EEEEE10hipError_tT1_PNSt15iterator_traitsISI_E10value_typeET2_T3_PNSJ_ISO_E10value_typeET4_T5_PST_SU_PNS1_23onesweep_lookback_stateEbbT6_jjT7_P12ihipStream_tbENKUlT_T0_SI_SN_E_clISD_PxSD_S15_EEDaS11_S12_SI_SN_EUlS11_E_NS1_11comp_targetILNS1_3genE3ELNS1_11target_archE908ELNS1_3gpuE7ELNS1_3repE0EEENS1_47radix_sort_onesweep_sort_config_static_selectorELNS0_4arch9wavefront6targetE1EEEvSI_,"axG",@progbits,_ZN7rocprim17ROCPRIM_400000_NS6detail17trampoline_kernelINS0_14default_configENS1_35radix_sort_onesweep_config_selectorIxxEEZZNS1_29radix_sort_onesweep_iterationIS3_Lb0EN6thrust23THRUST_200600_302600_NS6detail15normal_iteratorINS8_10device_ptrIxEEEESD_SD_SD_jNS0_19identity_decomposerENS1_16block_id_wrapperIjLb1EEEEE10hipError_tT1_PNSt15iterator_traitsISI_E10value_typeET2_T3_PNSJ_ISO_E10value_typeET4_T5_PST_SU_PNS1_23onesweep_lookback_stateEbbT6_jjT7_P12ihipStream_tbENKUlT_T0_SI_SN_E_clISD_PxSD_S15_EEDaS11_S12_SI_SN_EUlS11_E_NS1_11comp_targetILNS1_3genE3ELNS1_11target_archE908ELNS1_3gpuE7ELNS1_3repE0EEENS1_47radix_sort_onesweep_sort_config_static_selectorELNS0_4arch9wavefront6targetE1EEEvSI_,comdat
.Lfunc_end1211:
	.size	_ZN7rocprim17ROCPRIM_400000_NS6detail17trampoline_kernelINS0_14default_configENS1_35radix_sort_onesweep_config_selectorIxxEEZZNS1_29radix_sort_onesweep_iterationIS3_Lb0EN6thrust23THRUST_200600_302600_NS6detail15normal_iteratorINS8_10device_ptrIxEEEESD_SD_SD_jNS0_19identity_decomposerENS1_16block_id_wrapperIjLb1EEEEE10hipError_tT1_PNSt15iterator_traitsISI_E10value_typeET2_T3_PNSJ_ISO_E10value_typeET4_T5_PST_SU_PNS1_23onesweep_lookback_stateEbbT6_jjT7_P12ihipStream_tbENKUlT_T0_SI_SN_E_clISD_PxSD_S15_EEDaS11_S12_SI_SN_EUlS11_E_NS1_11comp_targetILNS1_3genE3ELNS1_11target_archE908ELNS1_3gpuE7ELNS1_3repE0EEENS1_47radix_sort_onesweep_sort_config_static_selectorELNS0_4arch9wavefront6targetE1EEEvSI_, .Lfunc_end1211-_ZN7rocprim17ROCPRIM_400000_NS6detail17trampoline_kernelINS0_14default_configENS1_35radix_sort_onesweep_config_selectorIxxEEZZNS1_29radix_sort_onesweep_iterationIS3_Lb0EN6thrust23THRUST_200600_302600_NS6detail15normal_iteratorINS8_10device_ptrIxEEEESD_SD_SD_jNS0_19identity_decomposerENS1_16block_id_wrapperIjLb1EEEEE10hipError_tT1_PNSt15iterator_traitsISI_E10value_typeET2_T3_PNSJ_ISO_E10value_typeET4_T5_PST_SU_PNS1_23onesweep_lookback_stateEbbT6_jjT7_P12ihipStream_tbENKUlT_T0_SI_SN_E_clISD_PxSD_S15_EEDaS11_S12_SI_SN_EUlS11_E_NS1_11comp_targetILNS1_3genE3ELNS1_11target_archE908ELNS1_3gpuE7ELNS1_3repE0EEENS1_47radix_sort_onesweep_sort_config_static_selectorELNS0_4arch9wavefront6targetE1EEEvSI_
                                        ; -- End function
	.set _ZN7rocprim17ROCPRIM_400000_NS6detail17trampoline_kernelINS0_14default_configENS1_35radix_sort_onesweep_config_selectorIxxEEZZNS1_29radix_sort_onesweep_iterationIS3_Lb0EN6thrust23THRUST_200600_302600_NS6detail15normal_iteratorINS8_10device_ptrIxEEEESD_SD_SD_jNS0_19identity_decomposerENS1_16block_id_wrapperIjLb1EEEEE10hipError_tT1_PNSt15iterator_traitsISI_E10value_typeET2_T3_PNSJ_ISO_E10value_typeET4_T5_PST_SU_PNS1_23onesweep_lookback_stateEbbT6_jjT7_P12ihipStream_tbENKUlT_T0_SI_SN_E_clISD_PxSD_S15_EEDaS11_S12_SI_SN_EUlS11_E_NS1_11comp_targetILNS1_3genE3ELNS1_11target_archE908ELNS1_3gpuE7ELNS1_3repE0EEENS1_47radix_sort_onesweep_sort_config_static_selectorELNS0_4arch9wavefront6targetE1EEEvSI_.num_vgpr, 0
	.set _ZN7rocprim17ROCPRIM_400000_NS6detail17trampoline_kernelINS0_14default_configENS1_35radix_sort_onesweep_config_selectorIxxEEZZNS1_29radix_sort_onesweep_iterationIS3_Lb0EN6thrust23THRUST_200600_302600_NS6detail15normal_iteratorINS8_10device_ptrIxEEEESD_SD_SD_jNS0_19identity_decomposerENS1_16block_id_wrapperIjLb1EEEEE10hipError_tT1_PNSt15iterator_traitsISI_E10value_typeET2_T3_PNSJ_ISO_E10value_typeET4_T5_PST_SU_PNS1_23onesweep_lookback_stateEbbT6_jjT7_P12ihipStream_tbENKUlT_T0_SI_SN_E_clISD_PxSD_S15_EEDaS11_S12_SI_SN_EUlS11_E_NS1_11comp_targetILNS1_3genE3ELNS1_11target_archE908ELNS1_3gpuE7ELNS1_3repE0EEENS1_47radix_sort_onesweep_sort_config_static_selectorELNS0_4arch9wavefront6targetE1EEEvSI_.num_agpr, 0
	.set _ZN7rocprim17ROCPRIM_400000_NS6detail17trampoline_kernelINS0_14default_configENS1_35radix_sort_onesweep_config_selectorIxxEEZZNS1_29radix_sort_onesweep_iterationIS3_Lb0EN6thrust23THRUST_200600_302600_NS6detail15normal_iteratorINS8_10device_ptrIxEEEESD_SD_SD_jNS0_19identity_decomposerENS1_16block_id_wrapperIjLb1EEEEE10hipError_tT1_PNSt15iterator_traitsISI_E10value_typeET2_T3_PNSJ_ISO_E10value_typeET4_T5_PST_SU_PNS1_23onesweep_lookback_stateEbbT6_jjT7_P12ihipStream_tbENKUlT_T0_SI_SN_E_clISD_PxSD_S15_EEDaS11_S12_SI_SN_EUlS11_E_NS1_11comp_targetILNS1_3genE3ELNS1_11target_archE908ELNS1_3gpuE7ELNS1_3repE0EEENS1_47radix_sort_onesweep_sort_config_static_selectorELNS0_4arch9wavefront6targetE1EEEvSI_.numbered_sgpr, 0
	.set _ZN7rocprim17ROCPRIM_400000_NS6detail17trampoline_kernelINS0_14default_configENS1_35radix_sort_onesweep_config_selectorIxxEEZZNS1_29radix_sort_onesweep_iterationIS3_Lb0EN6thrust23THRUST_200600_302600_NS6detail15normal_iteratorINS8_10device_ptrIxEEEESD_SD_SD_jNS0_19identity_decomposerENS1_16block_id_wrapperIjLb1EEEEE10hipError_tT1_PNSt15iterator_traitsISI_E10value_typeET2_T3_PNSJ_ISO_E10value_typeET4_T5_PST_SU_PNS1_23onesweep_lookback_stateEbbT6_jjT7_P12ihipStream_tbENKUlT_T0_SI_SN_E_clISD_PxSD_S15_EEDaS11_S12_SI_SN_EUlS11_E_NS1_11comp_targetILNS1_3genE3ELNS1_11target_archE908ELNS1_3gpuE7ELNS1_3repE0EEENS1_47radix_sort_onesweep_sort_config_static_selectorELNS0_4arch9wavefront6targetE1EEEvSI_.num_named_barrier, 0
	.set _ZN7rocprim17ROCPRIM_400000_NS6detail17trampoline_kernelINS0_14default_configENS1_35radix_sort_onesweep_config_selectorIxxEEZZNS1_29radix_sort_onesweep_iterationIS3_Lb0EN6thrust23THRUST_200600_302600_NS6detail15normal_iteratorINS8_10device_ptrIxEEEESD_SD_SD_jNS0_19identity_decomposerENS1_16block_id_wrapperIjLb1EEEEE10hipError_tT1_PNSt15iterator_traitsISI_E10value_typeET2_T3_PNSJ_ISO_E10value_typeET4_T5_PST_SU_PNS1_23onesweep_lookback_stateEbbT6_jjT7_P12ihipStream_tbENKUlT_T0_SI_SN_E_clISD_PxSD_S15_EEDaS11_S12_SI_SN_EUlS11_E_NS1_11comp_targetILNS1_3genE3ELNS1_11target_archE908ELNS1_3gpuE7ELNS1_3repE0EEENS1_47radix_sort_onesweep_sort_config_static_selectorELNS0_4arch9wavefront6targetE1EEEvSI_.private_seg_size, 0
	.set _ZN7rocprim17ROCPRIM_400000_NS6detail17trampoline_kernelINS0_14default_configENS1_35radix_sort_onesweep_config_selectorIxxEEZZNS1_29radix_sort_onesweep_iterationIS3_Lb0EN6thrust23THRUST_200600_302600_NS6detail15normal_iteratorINS8_10device_ptrIxEEEESD_SD_SD_jNS0_19identity_decomposerENS1_16block_id_wrapperIjLb1EEEEE10hipError_tT1_PNSt15iterator_traitsISI_E10value_typeET2_T3_PNSJ_ISO_E10value_typeET4_T5_PST_SU_PNS1_23onesweep_lookback_stateEbbT6_jjT7_P12ihipStream_tbENKUlT_T0_SI_SN_E_clISD_PxSD_S15_EEDaS11_S12_SI_SN_EUlS11_E_NS1_11comp_targetILNS1_3genE3ELNS1_11target_archE908ELNS1_3gpuE7ELNS1_3repE0EEENS1_47radix_sort_onesweep_sort_config_static_selectorELNS0_4arch9wavefront6targetE1EEEvSI_.uses_vcc, 0
	.set _ZN7rocprim17ROCPRIM_400000_NS6detail17trampoline_kernelINS0_14default_configENS1_35radix_sort_onesweep_config_selectorIxxEEZZNS1_29radix_sort_onesweep_iterationIS3_Lb0EN6thrust23THRUST_200600_302600_NS6detail15normal_iteratorINS8_10device_ptrIxEEEESD_SD_SD_jNS0_19identity_decomposerENS1_16block_id_wrapperIjLb1EEEEE10hipError_tT1_PNSt15iterator_traitsISI_E10value_typeET2_T3_PNSJ_ISO_E10value_typeET4_T5_PST_SU_PNS1_23onesweep_lookback_stateEbbT6_jjT7_P12ihipStream_tbENKUlT_T0_SI_SN_E_clISD_PxSD_S15_EEDaS11_S12_SI_SN_EUlS11_E_NS1_11comp_targetILNS1_3genE3ELNS1_11target_archE908ELNS1_3gpuE7ELNS1_3repE0EEENS1_47radix_sort_onesweep_sort_config_static_selectorELNS0_4arch9wavefront6targetE1EEEvSI_.uses_flat_scratch, 0
	.set _ZN7rocprim17ROCPRIM_400000_NS6detail17trampoline_kernelINS0_14default_configENS1_35radix_sort_onesweep_config_selectorIxxEEZZNS1_29radix_sort_onesweep_iterationIS3_Lb0EN6thrust23THRUST_200600_302600_NS6detail15normal_iteratorINS8_10device_ptrIxEEEESD_SD_SD_jNS0_19identity_decomposerENS1_16block_id_wrapperIjLb1EEEEE10hipError_tT1_PNSt15iterator_traitsISI_E10value_typeET2_T3_PNSJ_ISO_E10value_typeET4_T5_PST_SU_PNS1_23onesweep_lookback_stateEbbT6_jjT7_P12ihipStream_tbENKUlT_T0_SI_SN_E_clISD_PxSD_S15_EEDaS11_S12_SI_SN_EUlS11_E_NS1_11comp_targetILNS1_3genE3ELNS1_11target_archE908ELNS1_3gpuE7ELNS1_3repE0EEENS1_47radix_sort_onesweep_sort_config_static_selectorELNS0_4arch9wavefront6targetE1EEEvSI_.has_dyn_sized_stack, 0
	.set _ZN7rocprim17ROCPRIM_400000_NS6detail17trampoline_kernelINS0_14default_configENS1_35radix_sort_onesweep_config_selectorIxxEEZZNS1_29radix_sort_onesweep_iterationIS3_Lb0EN6thrust23THRUST_200600_302600_NS6detail15normal_iteratorINS8_10device_ptrIxEEEESD_SD_SD_jNS0_19identity_decomposerENS1_16block_id_wrapperIjLb1EEEEE10hipError_tT1_PNSt15iterator_traitsISI_E10value_typeET2_T3_PNSJ_ISO_E10value_typeET4_T5_PST_SU_PNS1_23onesweep_lookback_stateEbbT6_jjT7_P12ihipStream_tbENKUlT_T0_SI_SN_E_clISD_PxSD_S15_EEDaS11_S12_SI_SN_EUlS11_E_NS1_11comp_targetILNS1_3genE3ELNS1_11target_archE908ELNS1_3gpuE7ELNS1_3repE0EEENS1_47radix_sort_onesweep_sort_config_static_selectorELNS0_4arch9wavefront6targetE1EEEvSI_.has_recursion, 0
	.set _ZN7rocprim17ROCPRIM_400000_NS6detail17trampoline_kernelINS0_14default_configENS1_35radix_sort_onesweep_config_selectorIxxEEZZNS1_29radix_sort_onesweep_iterationIS3_Lb0EN6thrust23THRUST_200600_302600_NS6detail15normal_iteratorINS8_10device_ptrIxEEEESD_SD_SD_jNS0_19identity_decomposerENS1_16block_id_wrapperIjLb1EEEEE10hipError_tT1_PNSt15iterator_traitsISI_E10value_typeET2_T3_PNSJ_ISO_E10value_typeET4_T5_PST_SU_PNS1_23onesweep_lookback_stateEbbT6_jjT7_P12ihipStream_tbENKUlT_T0_SI_SN_E_clISD_PxSD_S15_EEDaS11_S12_SI_SN_EUlS11_E_NS1_11comp_targetILNS1_3genE3ELNS1_11target_archE908ELNS1_3gpuE7ELNS1_3repE0EEENS1_47radix_sort_onesweep_sort_config_static_selectorELNS0_4arch9wavefront6targetE1EEEvSI_.has_indirect_call, 0
	.section	.AMDGPU.csdata,"",@progbits
; Kernel info:
; codeLenInByte = 0
; TotalNumSgprs: 6
; NumVgprs: 0
; NumAgprs: 0
; TotalNumVgprs: 0
; ScratchSize: 0
; MemoryBound: 0
; FloatMode: 240
; IeeeMode: 1
; LDSByteSize: 0 bytes/workgroup (compile time only)
; SGPRBlocks: 0
; VGPRBlocks: 0
; NumSGPRsForWavesPerEU: 6
; NumVGPRsForWavesPerEU: 1
; AccumOffset: 4
; Occupancy: 8
; WaveLimiterHint : 0
; COMPUTE_PGM_RSRC2:SCRATCH_EN: 0
; COMPUTE_PGM_RSRC2:USER_SGPR: 2
; COMPUTE_PGM_RSRC2:TRAP_HANDLER: 0
; COMPUTE_PGM_RSRC2:TGID_X_EN: 1
; COMPUTE_PGM_RSRC2:TGID_Y_EN: 0
; COMPUTE_PGM_RSRC2:TGID_Z_EN: 0
; COMPUTE_PGM_RSRC2:TIDIG_COMP_CNT: 0
; COMPUTE_PGM_RSRC3_GFX90A:ACCUM_OFFSET: 0
; COMPUTE_PGM_RSRC3_GFX90A:TG_SPLIT: 0
	.section	.text._ZN7rocprim17ROCPRIM_400000_NS6detail17trampoline_kernelINS0_14default_configENS1_35radix_sort_onesweep_config_selectorIxxEEZZNS1_29radix_sort_onesweep_iterationIS3_Lb0EN6thrust23THRUST_200600_302600_NS6detail15normal_iteratorINS8_10device_ptrIxEEEESD_SD_SD_jNS0_19identity_decomposerENS1_16block_id_wrapperIjLb1EEEEE10hipError_tT1_PNSt15iterator_traitsISI_E10value_typeET2_T3_PNSJ_ISO_E10value_typeET4_T5_PST_SU_PNS1_23onesweep_lookback_stateEbbT6_jjT7_P12ihipStream_tbENKUlT_T0_SI_SN_E_clISD_PxSD_S15_EEDaS11_S12_SI_SN_EUlS11_E_NS1_11comp_targetILNS1_3genE10ELNS1_11target_archE1201ELNS1_3gpuE5ELNS1_3repE0EEENS1_47radix_sort_onesweep_sort_config_static_selectorELNS0_4arch9wavefront6targetE1EEEvSI_,"axG",@progbits,_ZN7rocprim17ROCPRIM_400000_NS6detail17trampoline_kernelINS0_14default_configENS1_35radix_sort_onesweep_config_selectorIxxEEZZNS1_29radix_sort_onesweep_iterationIS3_Lb0EN6thrust23THRUST_200600_302600_NS6detail15normal_iteratorINS8_10device_ptrIxEEEESD_SD_SD_jNS0_19identity_decomposerENS1_16block_id_wrapperIjLb1EEEEE10hipError_tT1_PNSt15iterator_traitsISI_E10value_typeET2_T3_PNSJ_ISO_E10value_typeET4_T5_PST_SU_PNS1_23onesweep_lookback_stateEbbT6_jjT7_P12ihipStream_tbENKUlT_T0_SI_SN_E_clISD_PxSD_S15_EEDaS11_S12_SI_SN_EUlS11_E_NS1_11comp_targetILNS1_3genE10ELNS1_11target_archE1201ELNS1_3gpuE5ELNS1_3repE0EEENS1_47radix_sort_onesweep_sort_config_static_selectorELNS0_4arch9wavefront6targetE1EEEvSI_,comdat
	.protected	_ZN7rocprim17ROCPRIM_400000_NS6detail17trampoline_kernelINS0_14default_configENS1_35radix_sort_onesweep_config_selectorIxxEEZZNS1_29radix_sort_onesweep_iterationIS3_Lb0EN6thrust23THRUST_200600_302600_NS6detail15normal_iteratorINS8_10device_ptrIxEEEESD_SD_SD_jNS0_19identity_decomposerENS1_16block_id_wrapperIjLb1EEEEE10hipError_tT1_PNSt15iterator_traitsISI_E10value_typeET2_T3_PNSJ_ISO_E10value_typeET4_T5_PST_SU_PNS1_23onesweep_lookback_stateEbbT6_jjT7_P12ihipStream_tbENKUlT_T0_SI_SN_E_clISD_PxSD_S15_EEDaS11_S12_SI_SN_EUlS11_E_NS1_11comp_targetILNS1_3genE10ELNS1_11target_archE1201ELNS1_3gpuE5ELNS1_3repE0EEENS1_47radix_sort_onesweep_sort_config_static_selectorELNS0_4arch9wavefront6targetE1EEEvSI_ ; -- Begin function _ZN7rocprim17ROCPRIM_400000_NS6detail17trampoline_kernelINS0_14default_configENS1_35radix_sort_onesweep_config_selectorIxxEEZZNS1_29radix_sort_onesweep_iterationIS3_Lb0EN6thrust23THRUST_200600_302600_NS6detail15normal_iteratorINS8_10device_ptrIxEEEESD_SD_SD_jNS0_19identity_decomposerENS1_16block_id_wrapperIjLb1EEEEE10hipError_tT1_PNSt15iterator_traitsISI_E10value_typeET2_T3_PNSJ_ISO_E10value_typeET4_T5_PST_SU_PNS1_23onesweep_lookback_stateEbbT6_jjT7_P12ihipStream_tbENKUlT_T0_SI_SN_E_clISD_PxSD_S15_EEDaS11_S12_SI_SN_EUlS11_E_NS1_11comp_targetILNS1_3genE10ELNS1_11target_archE1201ELNS1_3gpuE5ELNS1_3repE0EEENS1_47radix_sort_onesweep_sort_config_static_selectorELNS0_4arch9wavefront6targetE1EEEvSI_
	.globl	_ZN7rocprim17ROCPRIM_400000_NS6detail17trampoline_kernelINS0_14default_configENS1_35radix_sort_onesweep_config_selectorIxxEEZZNS1_29radix_sort_onesweep_iterationIS3_Lb0EN6thrust23THRUST_200600_302600_NS6detail15normal_iteratorINS8_10device_ptrIxEEEESD_SD_SD_jNS0_19identity_decomposerENS1_16block_id_wrapperIjLb1EEEEE10hipError_tT1_PNSt15iterator_traitsISI_E10value_typeET2_T3_PNSJ_ISO_E10value_typeET4_T5_PST_SU_PNS1_23onesweep_lookback_stateEbbT6_jjT7_P12ihipStream_tbENKUlT_T0_SI_SN_E_clISD_PxSD_S15_EEDaS11_S12_SI_SN_EUlS11_E_NS1_11comp_targetILNS1_3genE10ELNS1_11target_archE1201ELNS1_3gpuE5ELNS1_3repE0EEENS1_47radix_sort_onesweep_sort_config_static_selectorELNS0_4arch9wavefront6targetE1EEEvSI_
	.p2align	8
	.type	_ZN7rocprim17ROCPRIM_400000_NS6detail17trampoline_kernelINS0_14default_configENS1_35radix_sort_onesweep_config_selectorIxxEEZZNS1_29radix_sort_onesweep_iterationIS3_Lb0EN6thrust23THRUST_200600_302600_NS6detail15normal_iteratorINS8_10device_ptrIxEEEESD_SD_SD_jNS0_19identity_decomposerENS1_16block_id_wrapperIjLb1EEEEE10hipError_tT1_PNSt15iterator_traitsISI_E10value_typeET2_T3_PNSJ_ISO_E10value_typeET4_T5_PST_SU_PNS1_23onesweep_lookback_stateEbbT6_jjT7_P12ihipStream_tbENKUlT_T0_SI_SN_E_clISD_PxSD_S15_EEDaS11_S12_SI_SN_EUlS11_E_NS1_11comp_targetILNS1_3genE10ELNS1_11target_archE1201ELNS1_3gpuE5ELNS1_3repE0EEENS1_47radix_sort_onesweep_sort_config_static_selectorELNS0_4arch9wavefront6targetE1EEEvSI_,@function
_ZN7rocprim17ROCPRIM_400000_NS6detail17trampoline_kernelINS0_14default_configENS1_35radix_sort_onesweep_config_selectorIxxEEZZNS1_29radix_sort_onesweep_iterationIS3_Lb0EN6thrust23THRUST_200600_302600_NS6detail15normal_iteratorINS8_10device_ptrIxEEEESD_SD_SD_jNS0_19identity_decomposerENS1_16block_id_wrapperIjLb1EEEEE10hipError_tT1_PNSt15iterator_traitsISI_E10value_typeET2_T3_PNSJ_ISO_E10value_typeET4_T5_PST_SU_PNS1_23onesweep_lookback_stateEbbT6_jjT7_P12ihipStream_tbENKUlT_T0_SI_SN_E_clISD_PxSD_S15_EEDaS11_S12_SI_SN_EUlS11_E_NS1_11comp_targetILNS1_3genE10ELNS1_11target_archE1201ELNS1_3gpuE5ELNS1_3repE0EEENS1_47radix_sort_onesweep_sort_config_static_selectorELNS0_4arch9wavefront6targetE1EEEvSI_: ; @_ZN7rocprim17ROCPRIM_400000_NS6detail17trampoline_kernelINS0_14default_configENS1_35radix_sort_onesweep_config_selectorIxxEEZZNS1_29radix_sort_onesweep_iterationIS3_Lb0EN6thrust23THRUST_200600_302600_NS6detail15normal_iteratorINS8_10device_ptrIxEEEESD_SD_SD_jNS0_19identity_decomposerENS1_16block_id_wrapperIjLb1EEEEE10hipError_tT1_PNSt15iterator_traitsISI_E10value_typeET2_T3_PNSJ_ISO_E10value_typeET4_T5_PST_SU_PNS1_23onesweep_lookback_stateEbbT6_jjT7_P12ihipStream_tbENKUlT_T0_SI_SN_E_clISD_PxSD_S15_EEDaS11_S12_SI_SN_EUlS11_E_NS1_11comp_targetILNS1_3genE10ELNS1_11target_archE1201ELNS1_3gpuE5ELNS1_3repE0EEENS1_47radix_sort_onesweep_sort_config_static_selectorELNS0_4arch9wavefront6targetE1EEEvSI_
; %bb.0:
	.section	.rodata,"a",@progbits
	.p2align	6, 0x0
	.amdhsa_kernel _ZN7rocprim17ROCPRIM_400000_NS6detail17trampoline_kernelINS0_14default_configENS1_35radix_sort_onesweep_config_selectorIxxEEZZNS1_29radix_sort_onesweep_iterationIS3_Lb0EN6thrust23THRUST_200600_302600_NS6detail15normal_iteratorINS8_10device_ptrIxEEEESD_SD_SD_jNS0_19identity_decomposerENS1_16block_id_wrapperIjLb1EEEEE10hipError_tT1_PNSt15iterator_traitsISI_E10value_typeET2_T3_PNSJ_ISO_E10value_typeET4_T5_PST_SU_PNS1_23onesweep_lookback_stateEbbT6_jjT7_P12ihipStream_tbENKUlT_T0_SI_SN_E_clISD_PxSD_S15_EEDaS11_S12_SI_SN_EUlS11_E_NS1_11comp_targetILNS1_3genE10ELNS1_11target_archE1201ELNS1_3gpuE5ELNS1_3repE0EEENS1_47radix_sort_onesweep_sort_config_static_selectorELNS0_4arch9wavefront6targetE1EEEvSI_
		.amdhsa_group_segment_fixed_size 0
		.amdhsa_private_segment_fixed_size 0
		.amdhsa_kernarg_size 88
		.amdhsa_user_sgpr_count 2
		.amdhsa_user_sgpr_dispatch_ptr 0
		.amdhsa_user_sgpr_queue_ptr 0
		.amdhsa_user_sgpr_kernarg_segment_ptr 1
		.amdhsa_user_sgpr_dispatch_id 0
		.amdhsa_user_sgpr_kernarg_preload_length 0
		.amdhsa_user_sgpr_kernarg_preload_offset 0
		.amdhsa_user_sgpr_private_segment_size 0
		.amdhsa_uses_dynamic_stack 0
		.amdhsa_enable_private_segment 0
		.amdhsa_system_sgpr_workgroup_id_x 1
		.amdhsa_system_sgpr_workgroup_id_y 0
		.amdhsa_system_sgpr_workgroup_id_z 0
		.amdhsa_system_sgpr_workgroup_info 0
		.amdhsa_system_vgpr_workitem_id 0
		.amdhsa_next_free_vgpr 1
		.amdhsa_next_free_sgpr 0
		.amdhsa_accum_offset 4
		.amdhsa_reserve_vcc 0
		.amdhsa_float_round_mode_32 0
		.amdhsa_float_round_mode_16_64 0
		.amdhsa_float_denorm_mode_32 3
		.amdhsa_float_denorm_mode_16_64 3
		.amdhsa_dx10_clamp 1
		.amdhsa_ieee_mode 1
		.amdhsa_fp16_overflow 0
		.amdhsa_tg_split 0
		.amdhsa_exception_fp_ieee_invalid_op 0
		.amdhsa_exception_fp_denorm_src 0
		.amdhsa_exception_fp_ieee_div_zero 0
		.amdhsa_exception_fp_ieee_overflow 0
		.amdhsa_exception_fp_ieee_underflow 0
		.amdhsa_exception_fp_ieee_inexact 0
		.amdhsa_exception_int_div_zero 0
	.end_amdhsa_kernel
	.section	.text._ZN7rocprim17ROCPRIM_400000_NS6detail17trampoline_kernelINS0_14default_configENS1_35radix_sort_onesweep_config_selectorIxxEEZZNS1_29radix_sort_onesweep_iterationIS3_Lb0EN6thrust23THRUST_200600_302600_NS6detail15normal_iteratorINS8_10device_ptrIxEEEESD_SD_SD_jNS0_19identity_decomposerENS1_16block_id_wrapperIjLb1EEEEE10hipError_tT1_PNSt15iterator_traitsISI_E10value_typeET2_T3_PNSJ_ISO_E10value_typeET4_T5_PST_SU_PNS1_23onesweep_lookback_stateEbbT6_jjT7_P12ihipStream_tbENKUlT_T0_SI_SN_E_clISD_PxSD_S15_EEDaS11_S12_SI_SN_EUlS11_E_NS1_11comp_targetILNS1_3genE10ELNS1_11target_archE1201ELNS1_3gpuE5ELNS1_3repE0EEENS1_47radix_sort_onesweep_sort_config_static_selectorELNS0_4arch9wavefront6targetE1EEEvSI_,"axG",@progbits,_ZN7rocprim17ROCPRIM_400000_NS6detail17trampoline_kernelINS0_14default_configENS1_35radix_sort_onesweep_config_selectorIxxEEZZNS1_29radix_sort_onesweep_iterationIS3_Lb0EN6thrust23THRUST_200600_302600_NS6detail15normal_iteratorINS8_10device_ptrIxEEEESD_SD_SD_jNS0_19identity_decomposerENS1_16block_id_wrapperIjLb1EEEEE10hipError_tT1_PNSt15iterator_traitsISI_E10value_typeET2_T3_PNSJ_ISO_E10value_typeET4_T5_PST_SU_PNS1_23onesweep_lookback_stateEbbT6_jjT7_P12ihipStream_tbENKUlT_T0_SI_SN_E_clISD_PxSD_S15_EEDaS11_S12_SI_SN_EUlS11_E_NS1_11comp_targetILNS1_3genE10ELNS1_11target_archE1201ELNS1_3gpuE5ELNS1_3repE0EEENS1_47radix_sort_onesweep_sort_config_static_selectorELNS0_4arch9wavefront6targetE1EEEvSI_,comdat
.Lfunc_end1212:
	.size	_ZN7rocprim17ROCPRIM_400000_NS6detail17trampoline_kernelINS0_14default_configENS1_35radix_sort_onesweep_config_selectorIxxEEZZNS1_29radix_sort_onesweep_iterationIS3_Lb0EN6thrust23THRUST_200600_302600_NS6detail15normal_iteratorINS8_10device_ptrIxEEEESD_SD_SD_jNS0_19identity_decomposerENS1_16block_id_wrapperIjLb1EEEEE10hipError_tT1_PNSt15iterator_traitsISI_E10value_typeET2_T3_PNSJ_ISO_E10value_typeET4_T5_PST_SU_PNS1_23onesweep_lookback_stateEbbT6_jjT7_P12ihipStream_tbENKUlT_T0_SI_SN_E_clISD_PxSD_S15_EEDaS11_S12_SI_SN_EUlS11_E_NS1_11comp_targetILNS1_3genE10ELNS1_11target_archE1201ELNS1_3gpuE5ELNS1_3repE0EEENS1_47radix_sort_onesweep_sort_config_static_selectorELNS0_4arch9wavefront6targetE1EEEvSI_, .Lfunc_end1212-_ZN7rocprim17ROCPRIM_400000_NS6detail17trampoline_kernelINS0_14default_configENS1_35radix_sort_onesweep_config_selectorIxxEEZZNS1_29radix_sort_onesweep_iterationIS3_Lb0EN6thrust23THRUST_200600_302600_NS6detail15normal_iteratorINS8_10device_ptrIxEEEESD_SD_SD_jNS0_19identity_decomposerENS1_16block_id_wrapperIjLb1EEEEE10hipError_tT1_PNSt15iterator_traitsISI_E10value_typeET2_T3_PNSJ_ISO_E10value_typeET4_T5_PST_SU_PNS1_23onesweep_lookback_stateEbbT6_jjT7_P12ihipStream_tbENKUlT_T0_SI_SN_E_clISD_PxSD_S15_EEDaS11_S12_SI_SN_EUlS11_E_NS1_11comp_targetILNS1_3genE10ELNS1_11target_archE1201ELNS1_3gpuE5ELNS1_3repE0EEENS1_47radix_sort_onesweep_sort_config_static_selectorELNS0_4arch9wavefront6targetE1EEEvSI_
                                        ; -- End function
	.set _ZN7rocprim17ROCPRIM_400000_NS6detail17trampoline_kernelINS0_14default_configENS1_35radix_sort_onesweep_config_selectorIxxEEZZNS1_29radix_sort_onesweep_iterationIS3_Lb0EN6thrust23THRUST_200600_302600_NS6detail15normal_iteratorINS8_10device_ptrIxEEEESD_SD_SD_jNS0_19identity_decomposerENS1_16block_id_wrapperIjLb1EEEEE10hipError_tT1_PNSt15iterator_traitsISI_E10value_typeET2_T3_PNSJ_ISO_E10value_typeET4_T5_PST_SU_PNS1_23onesweep_lookback_stateEbbT6_jjT7_P12ihipStream_tbENKUlT_T0_SI_SN_E_clISD_PxSD_S15_EEDaS11_S12_SI_SN_EUlS11_E_NS1_11comp_targetILNS1_3genE10ELNS1_11target_archE1201ELNS1_3gpuE5ELNS1_3repE0EEENS1_47radix_sort_onesweep_sort_config_static_selectorELNS0_4arch9wavefront6targetE1EEEvSI_.num_vgpr, 0
	.set _ZN7rocprim17ROCPRIM_400000_NS6detail17trampoline_kernelINS0_14default_configENS1_35radix_sort_onesweep_config_selectorIxxEEZZNS1_29radix_sort_onesweep_iterationIS3_Lb0EN6thrust23THRUST_200600_302600_NS6detail15normal_iteratorINS8_10device_ptrIxEEEESD_SD_SD_jNS0_19identity_decomposerENS1_16block_id_wrapperIjLb1EEEEE10hipError_tT1_PNSt15iterator_traitsISI_E10value_typeET2_T3_PNSJ_ISO_E10value_typeET4_T5_PST_SU_PNS1_23onesweep_lookback_stateEbbT6_jjT7_P12ihipStream_tbENKUlT_T0_SI_SN_E_clISD_PxSD_S15_EEDaS11_S12_SI_SN_EUlS11_E_NS1_11comp_targetILNS1_3genE10ELNS1_11target_archE1201ELNS1_3gpuE5ELNS1_3repE0EEENS1_47radix_sort_onesweep_sort_config_static_selectorELNS0_4arch9wavefront6targetE1EEEvSI_.num_agpr, 0
	.set _ZN7rocprim17ROCPRIM_400000_NS6detail17trampoline_kernelINS0_14default_configENS1_35radix_sort_onesweep_config_selectorIxxEEZZNS1_29radix_sort_onesweep_iterationIS3_Lb0EN6thrust23THRUST_200600_302600_NS6detail15normal_iteratorINS8_10device_ptrIxEEEESD_SD_SD_jNS0_19identity_decomposerENS1_16block_id_wrapperIjLb1EEEEE10hipError_tT1_PNSt15iterator_traitsISI_E10value_typeET2_T3_PNSJ_ISO_E10value_typeET4_T5_PST_SU_PNS1_23onesweep_lookback_stateEbbT6_jjT7_P12ihipStream_tbENKUlT_T0_SI_SN_E_clISD_PxSD_S15_EEDaS11_S12_SI_SN_EUlS11_E_NS1_11comp_targetILNS1_3genE10ELNS1_11target_archE1201ELNS1_3gpuE5ELNS1_3repE0EEENS1_47radix_sort_onesweep_sort_config_static_selectorELNS0_4arch9wavefront6targetE1EEEvSI_.numbered_sgpr, 0
	.set _ZN7rocprim17ROCPRIM_400000_NS6detail17trampoline_kernelINS0_14default_configENS1_35radix_sort_onesweep_config_selectorIxxEEZZNS1_29radix_sort_onesweep_iterationIS3_Lb0EN6thrust23THRUST_200600_302600_NS6detail15normal_iteratorINS8_10device_ptrIxEEEESD_SD_SD_jNS0_19identity_decomposerENS1_16block_id_wrapperIjLb1EEEEE10hipError_tT1_PNSt15iterator_traitsISI_E10value_typeET2_T3_PNSJ_ISO_E10value_typeET4_T5_PST_SU_PNS1_23onesweep_lookback_stateEbbT6_jjT7_P12ihipStream_tbENKUlT_T0_SI_SN_E_clISD_PxSD_S15_EEDaS11_S12_SI_SN_EUlS11_E_NS1_11comp_targetILNS1_3genE10ELNS1_11target_archE1201ELNS1_3gpuE5ELNS1_3repE0EEENS1_47radix_sort_onesweep_sort_config_static_selectorELNS0_4arch9wavefront6targetE1EEEvSI_.num_named_barrier, 0
	.set _ZN7rocprim17ROCPRIM_400000_NS6detail17trampoline_kernelINS0_14default_configENS1_35radix_sort_onesweep_config_selectorIxxEEZZNS1_29radix_sort_onesweep_iterationIS3_Lb0EN6thrust23THRUST_200600_302600_NS6detail15normal_iteratorINS8_10device_ptrIxEEEESD_SD_SD_jNS0_19identity_decomposerENS1_16block_id_wrapperIjLb1EEEEE10hipError_tT1_PNSt15iterator_traitsISI_E10value_typeET2_T3_PNSJ_ISO_E10value_typeET4_T5_PST_SU_PNS1_23onesweep_lookback_stateEbbT6_jjT7_P12ihipStream_tbENKUlT_T0_SI_SN_E_clISD_PxSD_S15_EEDaS11_S12_SI_SN_EUlS11_E_NS1_11comp_targetILNS1_3genE10ELNS1_11target_archE1201ELNS1_3gpuE5ELNS1_3repE0EEENS1_47radix_sort_onesweep_sort_config_static_selectorELNS0_4arch9wavefront6targetE1EEEvSI_.private_seg_size, 0
	.set _ZN7rocprim17ROCPRIM_400000_NS6detail17trampoline_kernelINS0_14default_configENS1_35radix_sort_onesweep_config_selectorIxxEEZZNS1_29radix_sort_onesweep_iterationIS3_Lb0EN6thrust23THRUST_200600_302600_NS6detail15normal_iteratorINS8_10device_ptrIxEEEESD_SD_SD_jNS0_19identity_decomposerENS1_16block_id_wrapperIjLb1EEEEE10hipError_tT1_PNSt15iterator_traitsISI_E10value_typeET2_T3_PNSJ_ISO_E10value_typeET4_T5_PST_SU_PNS1_23onesweep_lookback_stateEbbT6_jjT7_P12ihipStream_tbENKUlT_T0_SI_SN_E_clISD_PxSD_S15_EEDaS11_S12_SI_SN_EUlS11_E_NS1_11comp_targetILNS1_3genE10ELNS1_11target_archE1201ELNS1_3gpuE5ELNS1_3repE0EEENS1_47radix_sort_onesweep_sort_config_static_selectorELNS0_4arch9wavefront6targetE1EEEvSI_.uses_vcc, 0
	.set _ZN7rocprim17ROCPRIM_400000_NS6detail17trampoline_kernelINS0_14default_configENS1_35radix_sort_onesweep_config_selectorIxxEEZZNS1_29radix_sort_onesweep_iterationIS3_Lb0EN6thrust23THRUST_200600_302600_NS6detail15normal_iteratorINS8_10device_ptrIxEEEESD_SD_SD_jNS0_19identity_decomposerENS1_16block_id_wrapperIjLb1EEEEE10hipError_tT1_PNSt15iterator_traitsISI_E10value_typeET2_T3_PNSJ_ISO_E10value_typeET4_T5_PST_SU_PNS1_23onesweep_lookback_stateEbbT6_jjT7_P12ihipStream_tbENKUlT_T0_SI_SN_E_clISD_PxSD_S15_EEDaS11_S12_SI_SN_EUlS11_E_NS1_11comp_targetILNS1_3genE10ELNS1_11target_archE1201ELNS1_3gpuE5ELNS1_3repE0EEENS1_47radix_sort_onesweep_sort_config_static_selectorELNS0_4arch9wavefront6targetE1EEEvSI_.uses_flat_scratch, 0
	.set _ZN7rocprim17ROCPRIM_400000_NS6detail17trampoline_kernelINS0_14default_configENS1_35radix_sort_onesweep_config_selectorIxxEEZZNS1_29radix_sort_onesweep_iterationIS3_Lb0EN6thrust23THRUST_200600_302600_NS6detail15normal_iteratorINS8_10device_ptrIxEEEESD_SD_SD_jNS0_19identity_decomposerENS1_16block_id_wrapperIjLb1EEEEE10hipError_tT1_PNSt15iterator_traitsISI_E10value_typeET2_T3_PNSJ_ISO_E10value_typeET4_T5_PST_SU_PNS1_23onesweep_lookback_stateEbbT6_jjT7_P12ihipStream_tbENKUlT_T0_SI_SN_E_clISD_PxSD_S15_EEDaS11_S12_SI_SN_EUlS11_E_NS1_11comp_targetILNS1_3genE10ELNS1_11target_archE1201ELNS1_3gpuE5ELNS1_3repE0EEENS1_47radix_sort_onesweep_sort_config_static_selectorELNS0_4arch9wavefront6targetE1EEEvSI_.has_dyn_sized_stack, 0
	.set _ZN7rocprim17ROCPRIM_400000_NS6detail17trampoline_kernelINS0_14default_configENS1_35radix_sort_onesweep_config_selectorIxxEEZZNS1_29radix_sort_onesweep_iterationIS3_Lb0EN6thrust23THRUST_200600_302600_NS6detail15normal_iteratorINS8_10device_ptrIxEEEESD_SD_SD_jNS0_19identity_decomposerENS1_16block_id_wrapperIjLb1EEEEE10hipError_tT1_PNSt15iterator_traitsISI_E10value_typeET2_T3_PNSJ_ISO_E10value_typeET4_T5_PST_SU_PNS1_23onesweep_lookback_stateEbbT6_jjT7_P12ihipStream_tbENKUlT_T0_SI_SN_E_clISD_PxSD_S15_EEDaS11_S12_SI_SN_EUlS11_E_NS1_11comp_targetILNS1_3genE10ELNS1_11target_archE1201ELNS1_3gpuE5ELNS1_3repE0EEENS1_47radix_sort_onesweep_sort_config_static_selectorELNS0_4arch9wavefront6targetE1EEEvSI_.has_recursion, 0
	.set _ZN7rocprim17ROCPRIM_400000_NS6detail17trampoline_kernelINS0_14default_configENS1_35radix_sort_onesweep_config_selectorIxxEEZZNS1_29radix_sort_onesweep_iterationIS3_Lb0EN6thrust23THRUST_200600_302600_NS6detail15normal_iteratorINS8_10device_ptrIxEEEESD_SD_SD_jNS0_19identity_decomposerENS1_16block_id_wrapperIjLb1EEEEE10hipError_tT1_PNSt15iterator_traitsISI_E10value_typeET2_T3_PNSJ_ISO_E10value_typeET4_T5_PST_SU_PNS1_23onesweep_lookback_stateEbbT6_jjT7_P12ihipStream_tbENKUlT_T0_SI_SN_E_clISD_PxSD_S15_EEDaS11_S12_SI_SN_EUlS11_E_NS1_11comp_targetILNS1_3genE10ELNS1_11target_archE1201ELNS1_3gpuE5ELNS1_3repE0EEENS1_47radix_sort_onesweep_sort_config_static_selectorELNS0_4arch9wavefront6targetE1EEEvSI_.has_indirect_call, 0
	.section	.AMDGPU.csdata,"",@progbits
; Kernel info:
; codeLenInByte = 0
; TotalNumSgprs: 6
; NumVgprs: 0
; NumAgprs: 0
; TotalNumVgprs: 0
; ScratchSize: 0
; MemoryBound: 0
; FloatMode: 240
; IeeeMode: 1
; LDSByteSize: 0 bytes/workgroup (compile time only)
; SGPRBlocks: 0
; VGPRBlocks: 0
; NumSGPRsForWavesPerEU: 6
; NumVGPRsForWavesPerEU: 1
; AccumOffset: 4
; Occupancy: 8
; WaveLimiterHint : 0
; COMPUTE_PGM_RSRC2:SCRATCH_EN: 0
; COMPUTE_PGM_RSRC2:USER_SGPR: 2
; COMPUTE_PGM_RSRC2:TRAP_HANDLER: 0
; COMPUTE_PGM_RSRC2:TGID_X_EN: 1
; COMPUTE_PGM_RSRC2:TGID_Y_EN: 0
; COMPUTE_PGM_RSRC2:TGID_Z_EN: 0
; COMPUTE_PGM_RSRC2:TIDIG_COMP_CNT: 0
; COMPUTE_PGM_RSRC3_GFX90A:ACCUM_OFFSET: 0
; COMPUTE_PGM_RSRC3_GFX90A:TG_SPLIT: 0
	.section	.text._ZN7rocprim17ROCPRIM_400000_NS6detail17trampoline_kernelINS0_14default_configENS1_35radix_sort_onesweep_config_selectorIxxEEZZNS1_29radix_sort_onesweep_iterationIS3_Lb0EN6thrust23THRUST_200600_302600_NS6detail15normal_iteratorINS8_10device_ptrIxEEEESD_SD_SD_jNS0_19identity_decomposerENS1_16block_id_wrapperIjLb1EEEEE10hipError_tT1_PNSt15iterator_traitsISI_E10value_typeET2_T3_PNSJ_ISO_E10value_typeET4_T5_PST_SU_PNS1_23onesweep_lookback_stateEbbT6_jjT7_P12ihipStream_tbENKUlT_T0_SI_SN_E_clISD_PxSD_S15_EEDaS11_S12_SI_SN_EUlS11_E_NS1_11comp_targetILNS1_3genE9ELNS1_11target_archE1100ELNS1_3gpuE3ELNS1_3repE0EEENS1_47radix_sort_onesweep_sort_config_static_selectorELNS0_4arch9wavefront6targetE1EEEvSI_,"axG",@progbits,_ZN7rocprim17ROCPRIM_400000_NS6detail17trampoline_kernelINS0_14default_configENS1_35radix_sort_onesweep_config_selectorIxxEEZZNS1_29radix_sort_onesweep_iterationIS3_Lb0EN6thrust23THRUST_200600_302600_NS6detail15normal_iteratorINS8_10device_ptrIxEEEESD_SD_SD_jNS0_19identity_decomposerENS1_16block_id_wrapperIjLb1EEEEE10hipError_tT1_PNSt15iterator_traitsISI_E10value_typeET2_T3_PNSJ_ISO_E10value_typeET4_T5_PST_SU_PNS1_23onesweep_lookback_stateEbbT6_jjT7_P12ihipStream_tbENKUlT_T0_SI_SN_E_clISD_PxSD_S15_EEDaS11_S12_SI_SN_EUlS11_E_NS1_11comp_targetILNS1_3genE9ELNS1_11target_archE1100ELNS1_3gpuE3ELNS1_3repE0EEENS1_47radix_sort_onesweep_sort_config_static_selectorELNS0_4arch9wavefront6targetE1EEEvSI_,comdat
	.protected	_ZN7rocprim17ROCPRIM_400000_NS6detail17trampoline_kernelINS0_14default_configENS1_35radix_sort_onesweep_config_selectorIxxEEZZNS1_29radix_sort_onesweep_iterationIS3_Lb0EN6thrust23THRUST_200600_302600_NS6detail15normal_iteratorINS8_10device_ptrIxEEEESD_SD_SD_jNS0_19identity_decomposerENS1_16block_id_wrapperIjLb1EEEEE10hipError_tT1_PNSt15iterator_traitsISI_E10value_typeET2_T3_PNSJ_ISO_E10value_typeET4_T5_PST_SU_PNS1_23onesweep_lookback_stateEbbT6_jjT7_P12ihipStream_tbENKUlT_T0_SI_SN_E_clISD_PxSD_S15_EEDaS11_S12_SI_SN_EUlS11_E_NS1_11comp_targetILNS1_3genE9ELNS1_11target_archE1100ELNS1_3gpuE3ELNS1_3repE0EEENS1_47radix_sort_onesweep_sort_config_static_selectorELNS0_4arch9wavefront6targetE1EEEvSI_ ; -- Begin function _ZN7rocprim17ROCPRIM_400000_NS6detail17trampoline_kernelINS0_14default_configENS1_35radix_sort_onesweep_config_selectorIxxEEZZNS1_29radix_sort_onesweep_iterationIS3_Lb0EN6thrust23THRUST_200600_302600_NS6detail15normal_iteratorINS8_10device_ptrIxEEEESD_SD_SD_jNS0_19identity_decomposerENS1_16block_id_wrapperIjLb1EEEEE10hipError_tT1_PNSt15iterator_traitsISI_E10value_typeET2_T3_PNSJ_ISO_E10value_typeET4_T5_PST_SU_PNS1_23onesweep_lookback_stateEbbT6_jjT7_P12ihipStream_tbENKUlT_T0_SI_SN_E_clISD_PxSD_S15_EEDaS11_S12_SI_SN_EUlS11_E_NS1_11comp_targetILNS1_3genE9ELNS1_11target_archE1100ELNS1_3gpuE3ELNS1_3repE0EEENS1_47radix_sort_onesweep_sort_config_static_selectorELNS0_4arch9wavefront6targetE1EEEvSI_
	.globl	_ZN7rocprim17ROCPRIM_400000_NS6detail17trampoline_kernelINS0_14default_configENS1_35radix_sort_onesweep_config_selectorIxxEEZZNS1_29radix_sort_onesweep_iterationIS3_Lb0EN6thrust23THRUST_200600_302600_NS6detail15normal_iteratorINS8_10device_ptrIxEEEESD_SD_SD_jNS0_19identity_decomposerENS1_16block_id_wrapperIjLb1EEEEE10hipError_tT1_PNSt15iterator_traitsISI_E10value_typeET2_T3_PNSJ_ISO_E10value_typeET4_T5_PST_SU_PNS1_23onesweep_lookback_stateEbbT6_jjT7_P12ihipStream_tbENKUlT_T0_SI_SN_E_clISD_PxSD_S15_EEDaS11_S12_SI_SN_EUlS11_E_NS1_11comp_targetILNS1_3genE9ELNS1_11target_archE1100ELNS1_3gpuE3ELNS1_3repE0EEENS1_47radix_sort_onesweep_sort_config_static_selectorELNS0_4arch9wavefront6targetE1EEEvSI_
	.p2align	8
	.type	_ZN7rocprim17ROCPRIM_400000_NS6detail17trampoline_kernelINS0_14default_configENS1_35radix_sort_onesweep_config_selectorIxxEEZZNS1_29radix_sort_onesweep_iterationIS3_Lb0EN6thrust23THRUST_200600_302600_NS6detail15normal_iteratorINS8_10device_ptrIxEEEESD_SD_SD_jNS0_19identity_decomposerENS1_16block_id_wrapperIjLb1EEEEE10hipError_tT1_PNSt15iterator_traitsISI_E10value_typeET2_T3_PNSJ_ISO_E10value_typeET4_T5_PST_SU_PNS1_23onesweep_lookback_stateEbbT6_jjT7_P12ihipStream_tbENKUlT_T0_SI_SN_E_clISD_PxSD_S15_EEDaS11_S12_SI_SN_EUlS11_E_NS1_11comp_targetILNS1_3genE9ELNS1_11target_archE1100ELNS1_3gpuE3ELNS1_3repE0EEENS1_47radix_sort_onesweep_sort_config_static_selectorELNS0_4arch9wavefront6targetE1EEEvSI_,@function
_ZN7rocprim17ROCPRIM_400000_NS6detail17trampoline_kernelINS0_14default_configENS1_35radix_sort_onesweep_config_selectorIxxEEZZNS1_29radix_sort_onesweep_iterationIS3_Lb0EN6thrust23THRUST_200600_302600_NS6detail15normal_iteratorINS8_10device_ptrIxEEEESD_SD_SD_jNS0_19identity_decomposerENS1_16block_id_wrapperIjLb1EEEEE10hipError_tT1_PNSt15iterator_traitsISI_E10value_typeET2_T3_PNSJ_ISO_E10value_typeET4_T5_PST_SU_PNS1_23onesweep_lookback_stateEbbT6_jjT7_P12ihipStream_tbENKUlT_T0_SI_SN_E_clISD_PxSD_S15_EEDaS11_S12_SI_SN_EUlS11_E_NS1_11comp_targetILNS1_3genE9ELNS1_11target_archE1100ELNS1_3gpuE3ELNS1_3repE0EEENS1_47radix_sort_onesweep_sort_config_static_selectorELNS0_4arch9wavefront6targetE1EEEvSI_: ; @_ZN7rocprim17ROCPRIM_400000_NS6detail17trampoline_kernelINS0_14default_configENS1_35radix_sort_onesweep_config_selectorIxxEEZZNS1_29radix_sort_onesweep_iterationIS3_Lb0EN6thrust23THRUST_200600_302600_NS6detail15normal_iteratorINS8_10device_ptrIxEEEESD_SD_SD_jNS0_19identity_decomposerENS1_16block_id_wrapperIjLb1EEEEE10hipError_tT1_PNSt15iterator_traitsISI_E10value_typeET2_T3_PNSJ_ISO_E10value_typeET4_T5_PST_SU_PNS1_23onesweep_lookback_stateEbbT6_jjT7_P12ihipStream_tbENKUlT_T0_SI_SN_E_clISD_PxSD_S15_EEDaS11_S12_SI_SN_EUlS11_E_NS1_11comp_targetILNS1_3genE9ELNS1_11target_archE1100ELNS1_3gpuE3ELNS1_3repE0EEENS1_47radix_sort_onesweep_sort_config_static_selectorELNS0_4arch9wavefront6targetE1EEEvSI_
; %bb.0:
	.section	.rodata,"a",@progbits
	.p2align	6, 0x0
	.amdhsa_kernel _ZN7rocprim17ROCPRIM_400000_NS6detail17trampoline_kernelINS0_14default_configENS1_35radix_sort_onesweep_config_selectorIxxEEZZNS1_29radix_sort_onesweep_iterationIS3_Lb0EN6thrust23THRUST_200600_302600_NS6detail15normal_iteratorINS8_10device_ptrIxEEEESD_SD_SD_jNS0_19identity_decomposerENS1_16block_id_wrapperIjLb1EEEEE10hipError_tT1_PNSt15iterator_traitsISI_E10value_typeET2_T3_PNSJ_ISO_E10value_typeET4_T5_PST_SU_PNS1_23onesweep_lookback_stateEbbT6_jjT7_P12ihipStream_tbENKUlT_T0_SI_SN_E_clISD_PxSD_S15_EEDaS11_S12_SI_SN_EUlS11_E_NS1_11comp_targetILNS1_3genE9ELNS1_11target_archE1100ELNS1_3gpuE3ELNS1_3repE0EEENS1_47radix_sort_onesweep_sort_config_static_selectorELNS0_4arch9wavefront6targetE1EEEvSI_
		.amdhsa_group_segment_fixed_size 0
		.amdhsa_private_segment_fixed_size 0
		.amdhsa_kernarg_size 88
		.amdhsa_user_sgpr_count 2
		.amdhsa_user_sgpr_dispatch_ptr 0
		.amdhsa_user_sgpr_queue_ptr 0
		.amdhsa_user_sgpr_kernarg_segment_ptr 1
		.amdhsa_user_sgpr_dispatch_id 0
		.amdhsa_user_sgpr_kernarg_preload_length 0
		.amdhsa_user_sgpr_kernarg_preload_offset 0
		.amdhsa_user_sgpr_private_segment_size 0
		.amdhsa_uses_dynamic_stack 0
		.amdhsa_enable_private_segment 0
		.amdhsa_system_sgpr_workgroup_id_x 1
		.amdhsa_system_sgpr_workgroup_id_y 0
		.amdhsa_system_sgpr_workgroup_id_z 0
		.amdhsa_system_sgpr_workgroup_info 0
		.amdhsa_system_vgpr_workitem_id 0
		.amdhsa_next_free_vgpr 1
		.amdhsa_next_free_sgpr 0
		.amdhsa_accum_offset 4
		.amdhsa_reserve_vcc 0
		.amdhsa_float_round_mode_32 0
		.amdhsa_float_round_mode_16_64 0
		.amdhsa_float_denorm_mode_32 3
		.amdhsa_float_denorm_mode_16_64 3
		.amdhsa_dx10_clamp 1
		.amdhsa_ieee_mode 1
		.amdhsa_fp16_overflow 0
		.amdhsa_tg_split 0
		.amdhsa_exception_fp_ieee_invalid_op 0
		.amdhsa_exception_fp_denorm_src 0
		.amdhsa_exception_fp_ieee_div_zero 0
		.amdhsa_exception_fp_ieee_overflow 0
		.amdhsa_exception_fp_ieee_underflow 0
		.amdhsa_exception_fp_ieee_inexact 0
		.amdhsa_exception_int_div_zero 0
	.end_amdhsa_kernel
	.section	.text._ZN7rocprim17ROCPRIM_400000_NS6detail17trampoline_kernelINS0_14default_configENS1_35radix_sort_onesweep_config_selectorIxxEEZZNS1_29radix_sort_onesweep_iterationIS3_Lb0EN6thrust23THRUST_200600_302600_NS6detail15normal_iteratorINS8_10device_ptrIxEEEESD_SD_SD_jNS0_19identity_decomposerENS1_16block_id_wrapperIjLb1EEEEE10hipError_tT1_PNSt15iterator_traitsISI_E10value_typeET2_T3_PNSJ_ISO_E10value_typeET4_T5_PST_SU_PNS1_23onesweep_lookback_stateEbbT6_jjT7_P12ihipStream_tbENKUlT_T0_SI_SN_E_clISD_PxSD_S15_EEDaS11_S12_SI_SN_EUlS11_E_NS1_11comp_targetILNS1_3genE9ELNS1_11target_archE1100ELNS1_3gpuE3ELNS1_3repE0EEENS1_47radix_sort_onesweep_sort_config_static_selectorELNS0_4arch9wavefront6targetE1EEEvSI_,"axG",@progbits,_ZN7rocprim17ROCPRIM_400000_NS6detail17trampoline_kernelINS0_14default_configENS1_35radix_sort_onesweep_config_selectorIxxEEZZNS1_29radix_sort_onesweep_iterationIS3_Lb0EN6thrust23THRUST_200600_302600_NS6detail15normal_iteratorINS8_10device_ptrIxEEEESD_SD_SD_jNS0_19identity_decomposerENS1_16block_id_wrapperIjLb1EEEEE10hipError_tT1_PNSt15iterator_traitsISI_E10value_typeET2_T3_PNSJ_ISO_E10value_typeET4_T5_PST_SU_PNS1_23onesweep_lookback_stateEbbT6_jjT7_P12ihipStream_tbENKUlT_T0_SI_SN_E_clISD_PxSD_S15_EEDaS11_S12_SI_SN_EUlS11_E_NS1_11comp_targetILNS1_3genE9ELNS1_11target_archE1100ELNS1_3gpuE3ELNS1_3repE0EEENS1_47radix_sort_onesweep_sort_config_static_selectorELNS0_4arch9wavefront6targetE1EEEvSI_,comdat
.Lfunc_end1213:
	.size	_ZN7rocprim17ROCPRIM_400000_NS6detail17trampoline_kernelINS0_14default_configENS1_35radix_sort_onesweep_config_selectorIxxEEZZNS1_29radix_sort_onesweep_iterationIS3_Lb0EN6thrust23THRUST_200600_302600_NS6detail15normal_iteratorINS8_10device_ptrIxEEEESD_SD_SD_jNS0_19identity_decomposerENS1_16block_id_wrapperIjLb1EEEEE10hipError_tT1_PNSt15iterator_traitsISI_E10value_typeET2_T3_PNSJ_ISO_E10value_typeET4_T5_PST_SU_PNS1_23onesweep_lookback_stateEbbT6_jjT7_P12ihipStream_tbENKUlT_T0_SI_SN_E_clISD_PxSD_S15_EEDaS11_S12_SI_SN_EUlS11_E_NS1_11comp_targetILNS1_3genE9ELNS1_11target_archE1100ELNS1_3gpuE3ELNS1_3repE0EEENS1_47radix_sort_onesweep_sort_config_static_selectorELNS0_4arch9wavefront6targetE1EEEvSI_, .Lfunc_end1213-_ZN7rocprim17ROCPRIM_400000_NS6detail17trampoline_kernelINS0_14default_configENS1_35radix_sort_onesweep_config_selectorIxxEEZZNS1_29radix_sort_onesweep_iterationIS3_Lb0EN6thrust23THRUST_200600_302600_NS6detail15normal_iteratorINS8_10device_ptrIxEEEESD_SD_SD_jNS0_19identity_decomposerENS1_16block_id_wrapperIjLb1EEEEE10hipError_tT1_PNSt15iterator_traitsISI_E10value_typeET2_T3_PNSJ_ISO_E10value_typeET4_T5_PST_SU_PNS1_23onesweep_lookback_stateEbbT6_jjT7_P12ihipStream_tbENKUlT_T0_SI_SN_E_clISD_PxSD_S15_EEDaS11_S12_SI_SN_EUlS11_E_NS1_11comp_targetILNS1_3genE9ELNS1_11target_archE1100ELNS1_3gpuE3ELNS1_3repE0EEENS1_47radix_sort_onesweep_sort_config_static_selectorELNS0_4arch9wavefront6targetE1EEEvSI_
                                        ; -- End function
	.set _ZN7rocprim17ROCPRIM_400000_NS6detail17trampoline_kernelINS0_14default_configENS1_35radix_sort_onesweep_config_selectorIxxEEZZNS1_29radix_sort_onesweep_iterationIS3_Lb0EN6thrust23THRUST_200600_302600_NS6detail15normal_iteratorINS8_10device_ptrIxEEEESD_SD_SD_jNS0_19identity_decomposerENS1_16block_id_wrapperIjLb1EEEEE10hipError_tT1_PNSt15iterator_traitsISI_E10value_typeET2_T3_PNSJ_ISO_E10value_typeET4_T5_PST_SU_PNS1_23onesweep_lookback_stateEbbT6_jjT7_P12ihipStream_tbENKUlT_T0_SI_SN_E_clISD_PxSD_S15_EEDaS11_S12_SI_SN_EUlS11_E_NS1_11comp_targetILNS1_3genE9ELNS1_11target_archE1100ELNS1_3gpuE3ELNS1_3repE0EEENS1_47radix_sort_onesweep_sort_config_static_selectorELNS0_4arch9wavefront6targetE1EEEvSI_.num_vgpr, 0
	.set _ZN7rocprim17ROCPRIM_400000_NS6detail17trampoline_kernelINS0_14default_configENS1_35radix_sort_onesweep_config_selectorIxxEEZZNS1_29radix_sort_onesweep_iterationIS3_Lb0EN6thrust23THRUST_200600_302600_NS6detail15normal_iteratorINS8_10device_ptrIxEEEESD_SD_SD_jNS0_19identity_decomposerENS1_16block_id_wrapperIjLb1EEEEE10hipError_tT1_PNSt15iterator_traitsISI_E10value_typeET2_T3_PNSJ_ISO_E10value_typeET4_T5_PST_SU_PNS1_23onesweep_lookback_stateEbbT6_jjT7_P12ihipStream_tbENKUlT_T0_SI_SN_E_clISD_PxSD_S15_EEDaS11_S12_SI_SN_EUlS11_E_NS1_11comp_targetILNS1_3genE9ELNS1_11target_archE1100ELNS1_3gpuE3ELNS1_3repE0EEENS1_47radix_sort_onesweep_sort_config_static_selectorELNS0_4arch9wavefront6targetE1EEEvSI_.num_agpr, 0
	.set _ZN7rocprim17ROCPRIM_400000_NS6detail17trampoline_kernelINS0_14default_configENS1_35radix_sort_onesweep_config_selectorIxxEEZZNS1_29radix_sort_onesweep_iterationIS3_Lb0EN6thrust23THRUST_200600_302600_NS6detail15normal_iteratorINS8_10device_ptrIxEEEESD_SD_SD_jNS0_19identity_decomposerENS1_16block_id_wrapperIjLb1EEEEE10hipError_tT1_PNSt15iterator_traitsISI_E10value_typeET2_T3_PNSJ_ISO_E10value_typeET4_T5_PST_SU_PNS1_23onesweep_lookback_stateEbbT6_jjT7_P12ihipStream_tbENKUlT_T0_SI_SN_E_clISD_PxSD_S15_EEDaS11_S12_SI_SN_EUlS11_E_NS1_11comp_targetILNS1_3genE9ELNS1_11target_archE1100ELNS1_3gpuE3ELNS1_3repE0EEENS1_47radix_sort_onesweep_sort_config_static_selectorELNS0_4arch9wavefront6targetE1EEEvSI_.numbered_sgpr, 0
	.set _ZN7rocprim17ROCPRIM_400000_NS6detail17trampoline_kernelINS0_14default_configENS1_35radix_sort_onesweep_config_selectorIxxEEZZNS1_29radix_sort_onesweep_iterationIS3_Lb0EN6thrust23THRUST_200600_302600_NS6detail15normal_iteratorINS8_10device_ptrIxEEEESD_SD_SD_jNS0_19identity_decomposerENS1_16block_id_wrapperIjLb1EEEEE10hipError_tT1_PNSt15iterator_traitsISI_E10value_typeET2_T3_PNSJ_ISO_E10value_typeET4_T5_PST_SU_PNS1_23onesweep_lookback_stateEbbT6_jjT7_P12ihipStream_tbENKUlT_T0_SI_SN_E_clISD_PxSD_S15_EEDaS11_S12_SI_SN_EUlS11_E_NS1_11comp_targetILNS1_3genE9ELNS1_11target_archE1100ELNS1_3gpuE3ELNS1_3repE0EEENS1_47radix_sort_onesweep_sort_config_static_selectorELNS0_4arch9wavefront6targetE1EEEvSI_.num_named_barrier, 0
	.set _ZN7rocprim17ROCPRIM_400000_NS6detail17trampoline_kernelINS0_14default_configENS1_35radix_sort_onesweep_config_selectorIxxEEZZNS1_29radix_sort_onesweep_iterationIS3_Lb0EN6thrust23THRUST_200600_302600_NS6detail15normal_iteratorINS8_10device_ptrIxEEEESD_SD_SD_jNS0_19identity_decomposerENS1_16block_id_wrapperIjLb1EEEEE10hipError_tT1_PNSt15iterator_traitsISI_E10value_typeET2_T3_PNSJ_ISO_E10value_typeET4_T5_PST_SU_PNS1_23onesweep_lookback_stateEbbT6_jjT7_P12ihipStream_tbENKUlT_T0_SI_SN_E_clISD_PxSD_S15_EEDaS11_S12_SI_SN_EUlS11_E_NS1_11comp_targetILNS1_3genE9ELNS1_11target_archE1100ELNS1_3gpuE3ELNS1_3repE0EEENS1_47radix_sort_onesweep_sort_config_static_selectorELNS0_4arch9wavefront6targetE1EEEvSI_.private_seg_size, 0
	.set _ZN7rocprim17ROCPRIM_400000_NS6detail17trampoline_kernelINS0_14default_configENS1_35radix_sort_onesweep_config_selectorIxxEEZZNS1_29radix_sort_onesweep_iterationIS3_Lb0EN6thrust23THRUST_200600_302600_NS6detail15normal_iteratorINS8_10device_ptrIxEEEESD_SD_SD_jNS0_19identity_decomposerENS1_16block_id_wrapperIjLb1EEEEE10hipError_tT1_PNSt15iterator_traitsISI_E10value_typeET2_T3_PNSJ_ISO_E10value_typeET4_T5_PST_SU_PNS1_23onesweep_lookback_stateEbbT6_jjT7_P12ihipStream_tbENKUlT_T0_SI_SN_E_clISD_PxSD_S15_EEDaS11_S12_SI_SN_EUlS11_E_NS1_11comp_targetILNS1_3genE9ELNS1_11target_archE1100ELNS1_3gpuE3ELNS1_3repE0EEENS1_47radix_sort_onesweep_sort_config_static_selectorELNS0_4arch9wavefront6targetE1EEEvSI_.uses_vcc, 0
	.set _ZN7rocprim17ROCPRIM_400000_NS6detail17trampoline_kernelINS0_14default_configENS1_35radix_sort_onesweep_config_selectorIxxEEZZNS1_29radix_sort_onesweep_iterationIS3_Lb0EN6thrust23THRUST_200600_302600_NS6detail15normal_iteratorINS8_10device_ptrIxEEEESD_SD_SD_jNS0_19identity_decomposerENS1_16block_id_wrapperIjLb1EEEEE10hipError_tT1_PNSt15iterator_traitsISI_E10value_typeET2_T3_PNSJ_ISO_E10value_typeET4_T5_PST_SU_PNS1_23onesweep_lookback_stateEbbT6_jjT7_P12ihipStream_tbENKUlT_T0_SI_SN_E_clISD_PxSD_S15_EEDaS11_S12_SI_SN_EUlS11_E_NS1_11comp_targetILNS1_3genE9ELNS1_11target_archE1100ELNS1_3gpuE3ELNS1_3repE0EEENS1_47radix_sort_onesweep_sort_config_static_selectorELNS0_4arch9wavefront6targetE1EEEvSI_.uses_flat_scratch, 0
	.set _ZN7rocprim17ROCPRIM_400000_NS6detail17trampoline_kernelINS0_14default_configENS1_35radix_sort_onesweep_config_selectorIxxEEZZNS1_29radix_sort_onesweep_iterationIS3_Lb0EN6thrust23THRUST_200600_302600_NS6detail15normal_iteratorINS8_10device_ptrIxEEEESD_SD_SD_jNS0_19identity_decomposerENS1_16block_id_wrapperIjLb1EEEEE10hipError_tT1_PNSt15iterator_traitsISI_E10value_typeET2_T3_PNSJ_ISO_E10value_typeET4_T5_PST_SU_PNS1_23onesweep_lookback_stateEbbT6_jjT7_P12ihipStream_tbENKUlT_T0_SI_SN_E_clISD_PxSD_S15_EEDaS11_S12_SI_SN_EUlS11_E_NS1_11comp_targetILNS1_3genE9ELNS1_11target_archE1100ELNS1_3gpuE3ELNS1_3repE0EEENS1_47radix_sort_onesweep_sort_config_static_selectorELNS0_4arch9wavefront6targetE1EEEvSI_.has_dyn_sized_stack, 0
	.set _ZN7rocprim17ROCPRIM_400000_NS6detail17trampoline_kernelINS0_14default_configENS1_35radix_sort_onesweep_config_selectorIxxEEZZNS1_29radix_sort_onesweep_iterationIS3_Lb0EN6thrust23THRUST_200600_302600_NS6detail15normal_iteratorINS8_10device_ptrIxEEEESD_SD_SD_jNS0_19identity_decomposerENS1_16block_id_wrapperIjLb1EEEEE10hipError_tT1_PNSt15iterator_traitsISI_E10value_typeET2_T3_PNSJ_ISO_E10value_typeET4_T5_PST_SU_PNS1_23onesweep_lookback_stateEbbT6_jjT7_P12ihipStream_tbENKUlT_T0_SI_SN_E_clISD_PxSD_S15_EEDaS11_S12_SI_SN_EUlS11_E_NS1_11comp_targetILNS1_3genE9ELNS1_11target_archE1100ELNS1_3gpuE3ELNS1_3repE0EEENS1_47radix_sort_onesweep_sort_config_static_selectorELNS0_4arch9wavefront6targetE1EEEvSI_.has_recursion, 0
	.set _ZN7rocprim17ROCPRIM_400000_NS6detail17trampoline_kernelINS0_14default_configENS1_35radix_sort_onesweep_config_selectorIxxEEZZNS1_29radix_sort_onesweep_iterationIS3_Lb0EN6thrust23THRUST_200600_302600_NS6detail15normal_iteratorINS8_10device_ptrIxEEEESD_SD_SD_jNS0_19identity_decomposerENS1_16block_id_wrapperIjLb1EEEEE10hipError_tT1_PNSt15iterator_traitsISI_E10value_typeET2_T3_PNSJ_ISO_E10value_typeET4_T5_PST_SU_PNS1_23onesweep_lookback_stateEbbT6_jjT7_P12ihipStream_tbENKUlT_T0_SI_SN_E_clISD_PxSD_S15_EEDaS11_S12_SI_SN_EUlS11_E_NS1_11comp_targetILNS1_3genE9ELNS1_11target_archE1100ELNS1_3gpuE3ELNS1_3repE0EEENS1_47radix_sort_onesweep_sort_config_static_selectorELNS0_4arch9wavefront6targetE1EEEvSI_.has_indirect_call, 0
	.section	.AMDGPU.csdata,"",@progbits
; Kernel info:
; codeLenInByte = 0
; TotalNumSgprs: 6
; NumVgprs: 0
; NumAgprs: 0
; TotalNumVgprs: 0
; ScratchSize: 0
; MemoryBound: 0
; FloatMode: 240
; IeeeMode: 1
; LDSByteSize: 0 bytes/workgroup (compile time only)
; SGPRBlocks: 0
; VGPRBlocks: 0
; NumSGPRsForWavesPerEU: 6
; NumVGPRsForWavesPerEU: 1
; AccumOffset: 4
; Occupancy: 8
; WaveLimiterHint : 0
; COMPUTE_PGM_RSRC2:SCRATCH_EN: 0
; COMPUTE_PGM_RSRC2:USER_SGPR: 2
; COMPUTE_PGM_RSRC2:TRAP_HANDLER: 0
; COMPUTE_PGM_RSRC2:TGID_X_EN: 1
; COMPUTE_PGM_RSRC2:TGID_Y_EN: 0
; COMPUTE_PGM_RSRC2:TGID_Z_EN: 0
; COMPUTE_PGM_RSRC2:TIDIG_COMP_CNT: 0
; COMPUTE_PGM_RSRC3_GFX90A:ACCUM_OFFSET: 0
; COMPUTE_PGM_RSRC3_GFX90A:TG_SPLIT: 0
	.section	.text._ZN7rocprim17ROCPRIM_400000_NS6detail17trampoline_kernelINS0_14default_configENS1_35radix_sort_onesweep_config_selectorIxxEEZZNS1_29radix_sort_onesweep_iterationIS3_Lb0EN6thrust23THRUST_200600_302600_NS6detail15normal_iteratorINS8_10device_ptrIxEEEESD_SD_SD_jNS0_19identity_decomposerENS1_16block_id_wrapperIjLb1EEEEE10hipError_tT1_PNSt15iterator_traitsISI_E10value_typeET2_T3_PNSJ_ISO_E10value_typeET4_T5_PST_SU_PNS1_23onesweep_lookback_stateEbbT6_jjT7_P12ihipStream_tbENKUlT_T0_SI_SN_E_clISD_PxSD_S15_EEDaS11_S12_SI_SN_EUlS11_E_NS1_11comp_targetILNS1_3genE8ELNS1_11target_archE1030ELNS1_3gpuE2ELNS1_3repE0EEENS1_47radix_sort_onesweep_sort_config_static_selectorELNS0_4arch9wavefront6targetE1EEEvSI_,"axG",@progbits,_ZN7rocprim17ROCPRIM_400000_NS6detail17trampoline_kernelINS0_14default_configENS1_35radix_sort_onesweep_config_selectorIxxEEZZNS1_29radix_sort_onesweep_iterationIS3_Lb0EN6thrust23THRUST_200600_302600_NS6detail15normal_iteratorINS8_10device_ptrIxEEEESD_SD_SD_jNS0_19identity_decomposerENS1_16block_id_wrapperIjLb1EEEEE10hipError_tT1_PNSt15iterator_traitsISI_E10value_typeET2_T3_PNSJ_ISO_E10value_typeET4_T5_PST_SU_PNS1_23onesweep_lookback_stateEbbT6_jjT7_P12ihipStream_tbENKUlT_T0_SI_SN_E_clISD_PxSD_S15_EEDaS11_S12_SI_SN_EUlS11_E_NS1_11comp_targetILNS1_3genE8ELNS1_11target_archE1030ELNS1_3gpuE2ELNS1_3repE0EEENS1_47radix_sort_onesweep_sort_config_static_selectorELNS0_4arch9wavefront6targetE1EEEvSI_,comdat
	.protected	_ZN7rocprim17ROCPRIM_400000_NS6detail17trampoline_kernelINS0_14default_configENS1_35radix_sort_onesweep_config_selectorIxxEEZZNS1_29radix_sort_onesweep_iterationIS3_Lb0EN6thrust23THRUST_200600_302600_NS6detail15normal_iteratorINS8_10device_ptrIxEEEESD_SD_SD_jNS0_19identity_decomposerENS1_16block_id_wrapperIjLb1EEEEE10hipError_tT1_PNSt15iterator_traitsISI_E10value_typeET2_T3_PNSJ_ISO_E10value_typeET4_T5_PST_SU_PNS1_23onesweep_lookback_stateEbbT6_jjT7_P12ihipStream_tbENKUlT_T0_SI_SN_E_clISD_PxSD_S15_EEDaS11_S12_SI_SN_EUlS11_E_NS1_11comp_targetILNS1_3genE8ELNS1_11target_archE1030ELNS1_3gpuE2ELNS1_3repE0EEENS1_47radix_sort_onesweep_sort_config_static_selectorELNS0_4arch9wavefront6targetE1EEEvSI_ ; -- Begin function _ZN7rocprim17ROCPRIM_400000_NS6detail17trampoline_kernelINS0_14default_configENS1_35radix_sort_onesweep_config_selectorIxxEEZZNS1_29radix_sort_onesweep_iterationIS3_Lb0EN6thrust23THRUST_200600_302600_NS6detail15normal_iteratorINS8_10device_ptrIxEEEESD_SD_SD_jNS0_19identity_decomposerENS1_16block_id_wrapperIjLb1EEEEE10hipError_tT1_PNSt15iterator_traitsISI_E10value_typeET2_T3_PNSJ_ISO_E10value_typeET4_T5_PST_SU_PNS1_23onesweep_lookback_stateEbbT6_jjT7_P12ihipStream_tbENKUlT_T0_SI_SN_E_clISD_PxSD_S15_EEDaS11_S12_SI_SN_EUlS11_E_NS1_11comp_targetILNS1_3genE8ELNS1_11target_archE1030ELNS1_3gpuE2ELNS1_3repE0EEENS1_47radix_sort_onesweep_sort_config_static_selectorELNS0_4arch9wavefront6targetE1EEEvSI_
	.globl	_ZN7rocprim17ROCPRIM_400000_NS6detail17trampoline_kernelINS0_14default_configENS1_35radix_sort_onesweep_config_selectorIxxEEZZNS1_29radix_sort_onesweep_iterationIS3_Lb0EN6thrust23THRUST_200600_302600_NS6detail15normal_iteratorINS8_10device_ptrIxEEEESD_SD_SD_jNS0_19identity_decomposerENS1_16block_id_wrapperIjLb1EEEEE10hipError_tT1_PNSt15iterator_traitsISI_E10value_typeET2_T3_PNSJ_ISO_E10value_typeET4_T5_PST_SU_PNS1_23onesweep_lookback_stateEbbT6_jjT7_P12ihipStream_tbENKUlT_T0_SI_SN_E_clISD_PxSD_S15_EEDaS11_S12_SI_SN_EUlS11_E_NS1_11comp_targetILNS1_3genE8ELNS1_11target_archE1030ELNS1_3gpuE2ELNS1_3repE0EEENS1_47radix_sort_onesweep_sort_config_static_selectorELNS0_4arch9wavefront6targetE1EEEvSI_
	.p2align	8
	.type	_ZN7rocprim17ROCPRIM_400000_NS6detail17trampoline_kernelINS0_14default_configENS1_35radix_sort_onesweep_config_selectorIxxEEZZNS1_29radix_sort_onesweep_iterationIS3_Lb0EN6thrust23THRUST_200600_302600_NS6detail15normal_iteratorINS8_10device_ptrIxEEEESD_SD_SD_jNS0_19identity_decomposerENS1_16block_id_wrapperIjLb1EEEEE10hipError_tT1_PNSt15iterator_traitsISI_E10value_typeET2_T3_PNSJ_ISO_E10value_typeET4_T5_PST_SU_PNS1_23onesweep_lookback_stateEbbT6_jjT7_P12ihipStream_tbENKUlT_T0_SI_SN_E_clISD_PxSD_S15_EEDaS11_S12_SI_SN_EUlS11_E_NS1_11comp_targetILNS1_3genE8ELNS1_11target_archE1030ELNS1_3gpuE2ELNS1_3repE0EEENS1_47radix_sort_onesweep_sort_config_static_selectorELNS0_4arch9wavefront6targetE1EEEvSI_,@function
_ZN7rocprim17ROCPRIM_400000_NS6detail17trampoline_kernelINS0_14default_configENS1_35radix_sort_onesweep_config_selectorIxxEEZZNS1_29radix_sort_onesweep_iterationIS3_Lb0EN6thrust23THRUST_200600_302600_NS6detail15normal_iteratorINS8_10device_ptrIxEEEESD_SD_SD_jNS0_19identity_decomposerENS1_16block_id_wrapperIjLb1EEEEE10hipError_tT1_PNSt15iterator_traitsISI_E10value_typeET2_T3_PNSJ_ISO_E10value_typeET4_T5_PST_SU_PNS1_23onesweep_lookback_stateEbbT6_jjT7_P12ihipStream_tbENKUlT_T0_SI_SN_E_clISD_PxSD_S15_EEDaS11_S12_SI_SN_EUlS11_E_NS1_11comp_targetILNS1_3genE8ELNS1_11target_archE1030ELNS1_3gpuE2ELNS1_3repE0EEENS1_47radix_sort_onesweep_sort_config_static_selectorELNS0_4arch9wavefront6targetE1EEEvSI_: ; @_ZN7rocprim17ROCPRIM_400000_NS6detail17trampoline_kernelINS0_14default_configENS1_35radix_sort_onesweep_config_selectorIxxEEZZNS1_29radix_sort_onesweep_iterationIS3_Lb0EN6thrust23THRUST_200600_302600_NS6detail15normal_iteratorINS8_10device_ptrIxEEEESD_SD_SD_jNS0_19identity_decomposerENS1_16block_id_wrapperIjLb1EEEEE10hipError_tT1_PNSt15iterator_traitsISI_E10value_typeET2_T3_PNSJ_ISO_E10value_typeET4_T5_PST_SU_PNS1_23onesweep_lookback_stateEbbT6_jjT7_P12ihipStream_tbENKUlT_T0_SI_SN_E_clISD_PxSD_S15_EEDaS11_S12_SI_SN_EUlS11_E_NS1_11comp_targetILNS1_3genE8ELNS1_11target_archE1030ELNS1_3gpuE2ELNS1_3repE0EEENS1_47radix_sort_onesweep_sort_config_static_selectorELNS0_4arch9wavefront6targetE1EEEvSI_
; %bb.0:
	.section	.rodata,"a",@progbits
	.p2align	6, 0x0
	.amdhsa_kernel _ZN7rocprim17ROCPRIM_400000_NS6detail17trampoline_kernelINS0_14default_configENS1_35radix_sort_onesweep_config_selectorIxxEEZZNS1_29radix_sort_onesweep_iterationIS3_Lb0EN6thrust23THRUST_200600_302600_NS6detail15normal_iteratorINS8_10device_ptrIxEEEESD_SD_SD_jNS0_19identity_decomposerENS1_16block_id_wrapperIjLb1EEEEE10hipError_tT1_PNSt15iterator_traitsISI_E10value_typeET2_T3_PNSJ_ISO_E10value_typeET4_T5_PST_SU_PNS1_23onesweep_lookback_stateEbbT6_jjT7_P12ihipStream_tbENKUlT_T0_SI_SN_E_clISD_PxSD_S15_EEDaS11_S12_SI_SN_EUlS11_E_NS1_11comp_targetILNS1_3genE8ELNS1_11target_archE1030ELNS1_3gpuE2ELNS1_3repE0EEENS1_47radix_sort_onesweep_sort_config_static_selectorELNS0_4arch9wavefront6targetE1EEEvSI_
		.amdhsa_group_segment_fixed_size 0
		.amdhsa_private_segment_fixed_size 0
		.amdhsa_kernarg_size 88
		.amdhsa_user_sgpr_count 2
		.amdhsa_user_sgpr_dispatch_ptr 0
		.amdhsa_user_sgpr_queue_ptr 0
		.amdhsa_user_sgpr_kernarg_segment_ptr 1
		.amdhsa_user_sgpr_dispatch_id 0
		.amdhsa_user_sgpr_kernarg_preload_length 0
		.amdhsa_user_sgpr_kernarg_preload_offset 0
		.amdhsa_user_sgpr_private_segment_size 0
		.amdhsa_uses_dynamic_stack 0
		.amdhsa_enable_private_segment 0
		.amdhsa_system_sgpr_workgroup_id_x 1
		.amdhsa_system_sgpr_workgroup_id_y 0
		.amdhsa_system_sgpr_workgroup_id_z 0
		.amdhsa_system_sgpr_workgroup_info 0
		.amdhsa_system_vgpr_workitem_id 0
		.amdhsa_next_free_vgpr 1
		.amdhsa_next_free_sgpr 0
		.amdhsa_accum_offset 4
		.amdhsa_reserve_vcc 0
		.amdhsa_float_round_mode_32 0
		.amdhsa_float_round_mode_16_64 0
		.amdhsa_float_denorm_mode_32 3
		.amdhsa_float_denorm_mode_16_64 3
		.amdhsa_dx10_clamp 1
		.amdhsa_ieee_mode 1
		.amdhsa_fp16_overflow 0
		.amdhsa_tg_split 0
		.amdhsa_exception_fp_ieee_invalid_op 0
		.amdhsa_exception_fp_denorm_src 0
		.amdhsa_exception_fp_ieee_div_zero 0
		.amdhsa_exception_fp_ieee_overflow 0
		.amdhsa_exception_fp_ieee_underflow 0
		.amdhsa_exception_fp_ieee_inexact 0
		.amdhsa_exception_int_div_zero 0
	.end_amdhsa_kernel
	.section	.text._ZN7rocprim17ROCPRIM_400000_NS6detail17trampoline_kernelINS0_14default_configENS1_35radix_sort_onesweep_config_selectorIxxEEZZNS1_29radix_sort_onesweep_iterationIS3_Lb0EN6thrust23THRUST_200600_302600_NS6detail15normal_iteratorINS8_10device_ptrIxEEEESD_SD_SD_jNS0_19identity_decomposerENS1_16block_id_wrapperIjLb1EEEEE10hipError_tT1_PNSt15iterator_traitsISI_E10value_typeET2_T3_PNSJ_ISO_E10value_typeET4_T5_PST_SU_PNS1_23onesweep_lookback_stateEbbT6_jjT7_P12ihipStream_tbENKUlT_T0_SI_SN_E_clISD_PxSD_S15_EEDaS11_S12_SI_SN_EUlS11_E_NS1_11comp_targetILNS1_3genE8ELNS1_11target_archE1030ELNS1_3gpuE2ELNS1_3repE0EEENS1_47radix_sort_onesweep_sort_config_static_selectorELNS0_4arch9wavefront6targetE1EEEvSI_,"axG",@progbits,_ZN7rocprim17ROCPRIM_400000_NS6detail17trampoline_kernelINS0_14default_configENS1_35radix_sort_onesweep_config_selectorIxxEEZZNS1_29radix_sort_onesweep_iterationIS3_Lb0EN6thrust23THRUST_200600_302600_NS6detail15normal_iteratorINS8_10device_ptrIxEEEESD_SD_SD_jNS0_19identity_decomposerENS1_16block_id_wrapperIjLb1EEEEE10hipError_tT1_PNSt15iterator_traitsISI_E10value_typeET2_T3_PNSJ_ISO_E10value_typeET4_T5_PST_SU_PNS1_23onesweep_lookback_stateEbbT6_jjT7_P12ihipStream_tbENKUlT_T0_SI_SN_E_clISD_PxSD_S15_EEDaS11_S12_SI_SN_EUlS11_E_NS1_11comp_targetILNS1_3genE8ELNS1_11target_archE1030ELNS1_3gpuE2ELNS1_3repE0EEENS1_47radix_sort_onesweep_sort_config_static_selectorELNS0_4arch9wavefront6targetE1EEEvSI_,comdat
.Lfunc_end1214:
	.size	_ZN7rocprim17ROCPRIM_400000_NS6detail17trampoline_kernelINS0_14default_configENS1_35radix_sort_onesweep_config_selectorIxxEEZZNS1_29radix_sort_onesweep_iterationIS3_Lb0EN6thrust23THRUST_200600_302600_NS6detail15normal_iteratorINS8_10device_ptrIxEEEESD_SD_SD_jNS0_19identity_decomposerENS1_16block_id_wrapperIjLb1EEEEE10hipError_tT1_PNSt15iterator_traitsISI_E10value_typeET2_T3_PNSJ_ISO_E10value_typeET4_T5_PST_SU_PNS1_23onesweep_lookback_stateEbbT6_jjT7_P12ihipStream_tbENKUlT_T0_SI_SN_E_clISD_PxSD_S15_EEDaS11_S12_SI_SN_EUlS11_E_NS1_11comp_targetILNS1_3genE8ELNS1_11target_archE1030ELNS1_3gpuE2ELNS1_3repE0EEENS1_47radix_sort_onesweep_sort_config_static_selectorELNS0_4arch9wavefront6targetE1EEEvSI_, .Lfunc_end1214-_ZN7rocprim17ROCPRIM_400000_NS6detail17trampoline_kernelINS0_14default_configENS1_35radix_sort_onesweep_config_selectorIxxEEZZNS1_29radix_sort_onesweep_iterationIS3_Lb0EN6thrust23THRUST_200600_302600_NS6detail15normal_iteratorINS8_10device_ptrIxEEEESD_SD_SD_jNS0_19identity_decomposerENS1_16block_id_wrapperIjLb1EEEEE10hipError_tT1_PNSt15iterator_traitsISI_E10value_typeET2_T3_PNSJ_ISO_E10value_typeET4_T5_PST_SU_PNS1_23onesweep_lookback_stateEbbT6_jjT7_P12ihipStream_tbENKUlT_T0_SI_SN_E_clISD_PxSD_S15_EEDaS11_S12_SI_SN_EUlS11_E_NS1_11comp_targetILNS1_3genE8ELNS1_11target_archE1030ELNS1_3gpuE2ELNS1_3repE0EEENS1_47radix_sort_onesweep_sort_config_static_selectorELNS0_4arch9wavefront6targetE1EEEvSI_
                                        ; -- End function
	.set _ZN7rocprim17ROCPRIM_400000_NS6detail17trampoline_kernelINS0_14default_configENS1_35radix_sort_onesweep_config_selectorIxxEEZZNS1_29radix_sort_onesweep_iterationIS3_Lb0EN6thrust23THRUST_200600_302600_NS6detail15normal_iteratorINS8_10device_ptrIxEEEESD_SD_SD_jNS0_19identity_decomposerENS1_16block_id_wrapperIjLb1EEEEE10hipError_tT1_PNSt15iterator_traitsISI_E10value_typeET2_T3_PNSJ_ISO_E10value_typeET4_T5_PST_SU_PNS1_23onesweep_lookback_stateEbbT6_jjT7_P12ihipStream_tbENKUlT_T0_SI_SN_E_clISD_PxSD_S15_EEDaS11_S12_SI_SN_EUlS11_E_NS1_11comp_targetILNS1_3genE8ELNS1_11target_archE1030ELNS1_3gpuE2ELNS1_3repE0EEENS1_47radix_sort_onesweep_sort_config_static_selectorELNS0_4arch9wavefront6targetE1EEEvSI_.num_vgpr, 0
	.set _ZN7rocprim17ROCPRIM_400000_NS6detail17trampoline_kernelINS0_14default_configENS1_35radix_sort_onesweep_config_selectorIxxEEZZNS1_29radix_sort_onesweep_iterationIS3_Lb0EN6thrust23THRUST_200600_302600_NS6detail15normal_iteratorINS8_10device_ptrIxEEEESD_SD_SD_jNS0_19identity_decomposerENS1_16block_id_wrapperIjLb1EEEEE10hipError_tT1_PNSt15iterator_traitsISI_E10value_typeET2_T3_PNSJ_ISO_E10value_typeET4_T5_PST_SU_PNS1_23onesweep_lookback_stateEbbT6_jjT7_P12ihipStream_tbENKUlT_T0_SI_SN_E_clISD_PxSD_S15_EEDaS11_S12_SI_SN_EUlS11_E_NS1_11comp_targetILNS1_3genE8ELNS1_11target_archE1030ELNS1_3gpuE2ELNS1_3repE0EEENS1_47radix_sort_onesweep_sort_config_static_selectorELNS0_4arch9wavefront6targetE1EEEvSI_.num_agpr, 0
	.set _ZN7rocprim17ROCPRIM_400000_NS6detail17trampoline_kernelINS0_14default_configENS1_35radix_sort_onesweep_config_selectorIxxEEZZNS1_29radix_sort_onesweep_iterationIS3_Lb0EN6thrust23THRUST_200600_302600_NS6detail15normal_iteratorINS8_10device_ptrIxEEEESD_SD_SD_jNS0_19identity_decomposerENS1_16block_id_wrapperIjLb1EEEEE10hipError_tT1_PNSt15iterator_traitsISI_E10value_typeET2_T3_PNSJ_ISO_E10value_typeET4_T5_PST_SU_PNS1_23onesweep_lookback_stateEbbT6_jjT7_P12ihipStream_tbENKUlT_T0_SI_SN_E_clISD_PxSD_S15_EEDaS11_S12_SI_SN_EUlS11_E_NS1_11comp_targetILNS1_3genE8ELNS1_11target_archE1030ELNS1_3gpuE2ELNS1_3repE0EEENS1_47radix_sort_onesweep_sort_config_static_selectorELNS0_4arch9wavefront6targetE1EEEvSI_.numbered_sgpr, 0
	.set _ZN7rocprim17ROCPRIM_400000_NS6detail17trampoline_kernelINS0_14default_configENS1_35radix_sort_onesweep_config_selectorIxxEEZZNS1_29radix_sort_onesweep_iterationIS3_Lb0EN6thrust23THRUST_200600_302600_NS6detail15normal_iteratorINS8_10device_ptrIxEEEESD_SD_SD_jNS0_19identity_decomposerENS1_16block_id_wrapperIjLb1EEEEE10hipError_tT1_PNSt15iterator_traitsISI_E10value_typeET2_T3_PNSJ_ISO_E10value_typeET4_T5_PST_SU_PNS1_23onesweep_lookback_stateEbbT6_jjT7_P12ihipStream_tbENKUlT_T0_SI_SN_E_clISD_PxSD_S15_EEDaS11_S12_SI_SN_EUlS11_E_NS1_11comp_targetILNS1_3genE8ELNS1_11target_archE1030ELNS1_3gpuE2ELNS1_3repE0EEENS1_47radix_sort_onesweep_sort_config_static_selectorELNS0_4arch9wavefront6targetE1EEEvSI_.num_named_barrier, 0
	.set _ZN7rocprim17ROCPRIM_400000_NS6detail17trampoline_kernelINS0_14default_configENS1_35radix_sort_onesweep_config_selectorIxxEEZZNS1_29radix_sort_onesweep_iterationIS3_Lb0EN6thrust23THRUST_200600_302600_NS6detail15normal_iteratorINS8_10device_ptrIxEEEESD_SD_SD_jNS0_19identity_decomposerENS1_16block_id_wrapperIjLb1EEEEE10hipError_tT1_PNSt15iterator_traitsISI_E10value_typeET2_T3_PNSJ_ISO_E10value_typeET4_T5_PST_SU_PNS1_23onesweep_lookback_stateEbbT6_jjT7_P12ihipStream_tbENKUlT_T0_SI_SN_E_clISD_PxSD_S15_EEDaS11_S12_SI_SN_EUlS11_E_NS1_11comp_targetILNS1_3genE8ELNS1_11target_archE1030ELNS1_3gpuE2ELNS1_3repE0EEENS1_47radix_sort_onesweep_sort_config_static_selectorELNS0_4arch9wavefront6targetE1EEEvSI_.private_seg_size, 0
	.set _ZN7rocprim17ROCPRIM_400000_NS6detail17trampoline_kernelINS0_14default_configENS1_35radix_sort_onesweep_config_selectorIxxEEZZNS1_29radix_sort_onesweep_iterationIS3_Lb0EN6thrust23THRUST_200600_302600_NS6detail15normal_iteratorINS8_10device_ptrIxEEEESD_SD_SD_jNS0_19identity_decomposerENS1_16block_id_wrapperIjLb1EEEEE10hipError_tT1_PNSt15iterator_traitsISI_E10value_typeET2_T3_PNSJ_ISO_E10value_typeET4_T5_PST_SU_PNS1_23onesweep_lookback_stateEbbT6_jjT7_P12ihipStream_tbENKUlT_T0_SI_SN_E_clISD_PxSD_S15_EEDaS11_S12_SI_SN_EUlS11_E_NS1_11comp_targetILNS1_3genE8ELNS1_11target_archE1030ELNS1_3gpuE2ELNS1_3repE0EEENS1_47radix_sort_onesweep_sort_config_static_selectorELNS0_4arch9wavefront6targetE1EEEvSI_.uses_vcc, 0
	.set _ZN7rocprim17ROCPRIM_400000_NS6detail17trampoline_kernelINS0_14default_configENS1_35radix_sort_onesweep_config_selectorIxxEEZZNS1_29radix_sort_onesweep_iterationIS3_Lb0EN6thrust23THRUST_200600_302600_NS6detail15normal_iteratorINS8_10device_ptrIxEEEESD_SD_SD_jNS0_19identity_decomposerENS1_16block_id_wrapperIjLb1EEEEE10hipError_tT1_PNSt15iterator_traitsISI_E10value_typeET2_T3_PNSJ_ISO_E10value_typeET4_T5_PST_SU_PNS1_23onesweep_lookback_stateEbbT6_jjT7_P12ihipStream_tbENKUlT_T0_SI_SN_E_clISD_PxSD_S15_EEDaS11_S12_SI_SN_EUlS11_E_NS1_11comp_targetILNS1_3genE8ELNS1_11target_archE1030ELNS1_3gpuE2ELNS1_3repE0EEENS1_47radix_sort_onesweep_sort_config_static_selectorELNS0_4arch9wavefront6targetE1EEEvSI_.uses_flat_scratch, 0
	.set _ZN7rocprim17ROCPRIM_400000_NS6detail17trampoline_kernelINS0_14default_configENS1_35radix_sort_onesweep_config_selectorIxxEEZZNS1_29radix_sort_onesweep_iterationIS3_Lb0EN6thrust23THRUST_200600_302600_NS6detail15normal_iteratorINS8_10device_ptrIxEEEESD_SD_SD_jNS0_19identity_decomposerENS1_16block_id_wrapperIjLb1EEEEE10hipError_tT1_PNSt15iterator_traitsISI_E10value_typeET2_T3_PNSJ_ISO_E10value_typeET4_T5_PST_SU_PNS1_23onesweep_lookback_stateEbbT6_jjT7_P12ihipStream_tbENKUlT_T0_SI_SN_E_clISD_PxSD_S15_EEDaS11_S12_SI_SN_EUlS11_E_NS1_11comp_targetILNS1_3genE8ELNS1_11target_archE1030ELNS1_3gpuE2ELNS1_3repE0EEENS1_47radix_sort_onesweep_sort_config_static_selectorELNS0_4arch9wavefront6targetE1EEEvSI_.has_dyn_sized_stack, 0
	.set _ZN7rocprim17ROCPRIM_400000_NS6detail17trampoline_kernelINS0_14default_configENS1_35radix_sort_onesweep_config_selectorIxxEEZZNS1_29radix_sort_onesweep_iterationIS3_Lb0EN6thrust23THRUST_200600_302600_NS6detail15normal_iteratorINS8_10device_ptrIxEEEESD_SD_SD_jNS0_19identity_decomposerENS1_16block_id_wrapperIjLb1EEEEE10hipError_tT1_PNSt15iterator_traitsISI_E10value_typeET2_T3_PNSJ_ISO_E10value_typeET4_T5_PST_SU_PNS1_23onesweep_lookback_stateEbbT6_jjT7_P12ihipStream_tbENKUlT_T0_SI_SN_E_clISD_PxSD_S15_EEDaS11_S12_SI_SN_EUlS11_E_NS1_11comp_targetILNS1_3genE8ELNS1_11target_archE1030ELNS1_3gpuE2ELNS1_3repE0EEENS1_47radix_sort_onesweep_sort_config_static_selectorELNS0_4arch9wavefront6targetE1EEEvSI_.has_recursion, 0
	.set _ZN7rocprim17ROCPRIM_400000_NS6detail17trampoline_kernelINS0_14default_configENS1_35radix_sort_onesweep_config_selectorIxxEEZZNS1_29radix_sort_onesweep_iterationIS3_Lb0EN6thrust23THRUST_200600_302600_NS6detail15normal_iteratorINS8_10device_ptrIxEEEESD_SD_SD_jNS0_19identity_decomposerENS1_16block_id_wrapperIjLb1EEEEE10hipError_tT1_PNSt15iterator_traitsISI_E10value_typeET2_T3_PNSJ_ISO_E10value_typeET4_T5_PST_SU_PNS1_23onesweep_lookback_stateEbbT6_jjT7_P12ihipStream_tbENKUlT_T0_SI_SN_E_clISD_PxSD_S15_EEDaS11_S12_SI_SN_EUlS11_E_NS1_11comp_targetILNS1_3genE8ELNS1_11target_archE1030ELNS1_3gpuE2ELNS1_3repE0EEENS1_47radix_sort_onesweep_sort_config_static_selectorELNS0_4arch9wavefront6targetE1EEEvSI_.has_indirect_call, 0
	.section	.AMDGPU.csdata,"",@progbits
; Kernel info:
; codeLenInByte = 0
; TotalNumSgprs: 6
; NumVgprs: 0
; NumAgprs: 0
; TotalNumVgprs: 0
; ScratchSize: 0
; MemoryBound: 0
; FloatMode: 240
; IeeeMode: 1
; LDSByteSize: 0 bytes/workgroup (compile time only)
; SGPRBlocks: 0
; VGPRBlocks: 0
; NumSGPRsForWavesPerEU: 6
; NumVGPRsForWavesPerEU: 1
; AccumOffset: 4
; Occupancy: 8
; WaveLimiterHint : 0
; COMPUTE_PGM_RSRC2:SCRATCH_EN: 0
; COMPUTE_PGM_RSRC2:USER_SGPR: 2
; COMPUTE_PGM_RSRC2:TRAP_HANDLER: 0
; COMPUTE_PGM_RSRC2:TGID_X_EN: 1
; COMPUTE_PGM_RSRC2:TGID_Y_EN: 0
; COMPUTE_PGM_RSRC2:TGID_Z_EN: 0
; COMPUTE_PGM_RSRC2:TIDIG_COMP_CNT: 0
; COMPUTE_PGM_RSRC3_GFX90A:ACCUM_OFFSET: 0
; COMPUTE_PGM_RSRC3_GFX90A:TG_SPLIT: 0
	.section	.text._ZN7rocprim17ROCPRIM_400000_NS6detail17trampoline_kernelINS0_14default_configENS1_35radix_sort_onesweep_config_selectorIxxEEZZNS1_29radix_sort_onesweep_iterationIS3_Lb0EN6thrust23THRUST_200600_302600_NS6detail15normal_iteratorINS8_10device_ptrIxEEEESD_SD_SD_jNS0_19identity_decomposerENS1_16block_id_wrapperIjLb1EEEEE10hipError_tT1_PNSt15iterator_traitsISI_E10value_typeET2_T3_PNSJ_ISO_E10value_typeET4_T5_PST_SU_PNS1_23onesweep_lookback_stateEbbT6_jjT7_P12ihipStream_tbENKUlT_T0_SI_SN_E_clIPxSD_S15_SD_EEDaS11_S12_SI_SN_EUlS11_E_NS1_11comp_targetILNS1_3genE0ELNS1_11target_archE4294967295ELNS1_3gpuE0ELNS1_3repE0EEENS1_47radix_sort_onesweep_sort_config_static_selectorELNS0_4arch9wavefront6targetE1EEEvSI_,"axG",@progbits,_ZN7rocprim17ROCPRIM_400000_NS6detail17trampoline_kernelINS0_14default_configENS1_35radix_sort_onesweep_config_selectorIxxEEZZNS1_29radix_sort_onesweep_iterationIS3_Lb0EN6thrust23THRUST_200600_302600_NS6detail15normal_iteratorINS8_10device_ptrIxEEEESD_SD_SD_jNS0_19identity_decomposerENS1_16block_id_wrapperIjLb1EEEEE10hipError_tT1_PNSt15iterator_traitsISI_E10value_typeET2_T3_PNSJ_ISO_E10value_typeET4_T5_PST_SU_PNS1_23onesweep_lookback_stateEbbT6_jjT7_P12ihipStream_tbENKUlT_T0_SI_SN_E_clIPxSD_S15_SD_EEDaS11_S12_SI_SN_EUlS11_E_NS1_11comp_targetILNS1_3genE0ELNS1_11target_archE4294967295ELNS1_3gpuE0ELNS1_3repE0EEENS1_47radix_sort_onesweep_sort_config_static_selectorELNS0_4arch9wavefront6targetE1EEEvSI_,comdat
	.protected	_ZN7rocprim17ROCPRIM_400000_NS6detail17trampoline_kernelINS0_14default_configENS1_35radix_sort_onesweep_config_selectorIxxEEZZNS1_29radix_sort_onesweep_iterationIS3_Lb0EN6thrust23THRUST_200600_302600_NS6detail15normal_iteratorINS8_10device_ptrIxEEEESD_SD_SD_jNS0_19identity_decomposerENS1_16block_id_wrapperIjLb1EEEEE10hipError_tT1_PNSt15iterator_traitsISI_E10value_typeET2_T3_PNSJ_ISO_E10value_typeET4_T5_PST_SU_PNS1_23onesweep_lookback_stateEbbT6_jjT7_P12ihipStream_tbENKUlT_T0_SI_SN_E_clIPxSD_S15_SD_EEDaS11_S12_SI_SN_EUlS11_E_NS1_11comp_targetILNS1_3genE0ELNS1_11target_archE4294967295ELNS1_3gpuE0ELNS1_3repE0EEENS1_47radix_sort_onesweep_sort_config_static_selectorELNS0_4arch9wavefront6targetE1EEEvSI_ ; -- Begin function _ZN7rocprim17ROCPRIM_400000_NS6detail17trampoline_kernelINS0_14default_configENS1_35radix_sort_onesweep_config_selectorIxxEEZZNS1_29radix_sort_onesweep_iterationIS3_Lb0EN6thrust23THRUST_200600_302600_NS6detail15normal_iteratorINS8_10device_ptrIxEEEESD_SD_SD_jNS0_19identity_decomposerENS1_16block_id_wrapperIjLb1EEEEE10hipError_tT1_PNSt15iterator_traitsISI_E10value_typeET2_T3_PNSJ_ISO_E10value_typeET4_T5_PST_SU_PNS1_23onesweep_lookback_stateEbbT6_jjT7_P12ihipStream_tbENKUlT_T0_SI_SN_E_clIPxSD_S15_SD_EEDaS11_S12_SI_SN_EUlS11_E_NS1_11comp_targetILNS1_3genE0ELNS1_11target_archE4294967295ELNS1_3gpuE0ELNS1_3repE0EEENS1_47radix_sort_onesweep_sort_config_static_selectorELNS0_4arch9wavefront6targetE1EEEvSI_
	.globl	_ZN7rocprim17ROCPRIM_400000_NS6detail17trampoline_kernelINS0_14default_configENS1_35radix_sort_onesweep_config_selectorIxxEEZZNS1_29radix_sort_onesweep_iterationIS3_Lb0EN6thrust23THRUST_200600_302600_NS6detail15normal_iteratorINS8_10device_ptrIxEEEESD_SD_SD_jNS0_19identity_decomposerENS1_16block_id_wrapperIjLb1EEEEE10hipError_tT1_PNSt15iterator_traitsISI_E10value_typeET2_T3_PNSJ_ISO_E10value_typeET4_T5_PST_SU_PNS1_23onesweep_lookback_stateEbbT6_jjT7_P12ihipStream_tbENKUlT_T0_SI_SN_E_clIPxSD_S15_SD_EEDaS11_S12_SI_SN_EUlS11_E_NS1_11comp_targetILNS1_3genE0ELNS1_11target_archE4294967295ELNS1_3gpuE0ELNS1_3repE0EEENS1_47radix_sort_onesweep_sort_config_static_selectorELNS0_4arch9wavefront6targetE1EEEvSI_
	.p2align	8
	.type	_ZN7rocprim17ROCPRIM_400000_NS6detail17trampoline_kernelINS0_14default_configENS1_35radix_sort_onesweep_config_selectorIxxEEZZNS1_29radix_sort_onesweep_iterationIS3_Lb0EN6thrust23THRUST_200600_302600_NS6detail15normal_iteratorINS8_10device_ptrIxEEEESD_SD_SD_jNS0_19identity_decomposerENS1_16block_id_wrapperIjLb1EEEEE10hipError_tT1_PNSt15iterator_traitsISI_E10value_typeET2_T3_PNSJ_ISO_E10value_typeET4_T5_PST_SU_PNS1_23onesweep_lookback_stateEbbT6_jjT7_P12ihipStream_tbENKUlT_T0_SI_SN_E_clIPxSD_S15_SD_EEDaS11_S12_SI_SN_EUlS11_E_NS1_11comp_targetILNS1_3genE0ELNS1_11target_archE4294967295ELNS1_3gpuE0ELNS1_3repE0EEENS1_47radix_sort_onesweep_sort_config_static_selectorELNS0_4arch9wavefront6targetE1EEEvSI_,@function
_ZN7rocprim17ROCPRIM_400000_NS6detail17trampoline_kernelINS0_14default_configENS1_35radix_sort_onesweep_config_selectorIxxEEZZNS1_29radix_sort_onesweep_iterationIS3_Lb0EN6thrust23THRUST_200600_302600_NS6detail15normal_iteratorINS8_10device_ptrIxEEEESD_SD_SD_jNS0_19identity_decomposerENS1_16block_id_wrapperIjLb1EEEEE10hipError_tT1_PNSt15iterator_traitsISI_E10value_typeET2_T3_PNSJ_ISO_E10value_typeET4_T5_PST_SU_PNS1_23onesweep_lookback_stateEbbT6_jjT7_P12ihipStream_tbENKUlT_T0_SI_SN_E_clIPxSD_S15_SD_EEDaS11_S12_SI_SN_EUlS11_E_NS1_11comp_targetILNS1_3genE0ELNS1_11target_archE4294967295ELNS1_3gpuE0ELNS1_3repE0EEENS1_47radix_sort_onesweep_sort_config_static_selectorELNS0_4arch9wavefront6targetE1EEEvSI_: ; @_ZN7rocprim17ROCPRIM_400000_NS6detail17trampoline_kernelINS0_14default_configENS1_35radix_sort_onesweep_config_selectorIxxEEZZNS1_29radix_sort_onesweep_iterationIS3_Lb0EN6thrust23THRUST_200600_302600_NS6detail15normal_iteratorINS8_10device_ptrIxEEEESD_SD_SD_jNS0_19identity_decomposerENS1_16block_id_wrapperIjLb1EEEEE10hipError_tT1_PNSt15iterator_traitsISI_E10value_typeET2_T3_PNSJ_ISO_E10value_typeET4_T5_PST_SU_PNS1_23onesweep_lookback_stateEbbT6_jjT7_P12ihipStream_tbENKUlT_T0_SI_SN_E_clIPxSD_S15_SD_EEDaS11_S12_SI_SN_EUlS11_E_NS1_11comp_targetILNS1_3genE0ELNS1_11target_archE4294967295ELNS1_3gpuE0ELNS1_3repE0EEENS1_47radix_sort_onesweep_sort_config_static_selectorELNS0_4arch9wavefront6targetE1EEEvSI_
; %bb.0:
	.section	.rodata,"a",@progbits
	.p2align	6, 0x0
	.amdhsa_kernel _ZN7rocprim17ROCPRIM_400000_NS6detail17trampoline_kernelINS0_14default_configENS1_35radix_sort_onesweep_config_selectorIxxEEZZNS1_29radix_sort_onesweep_iterationIS3_Lb0EN6thrust23THRUST_200600_302600_NS6detail15normal_iteratorINS8_10device_ptrIxEEEESD_SD_SD_jNS0_19identity_decomposerENS1_16block_id_wrapperIjLb1EEEEE10hipError_tT1_PNSt15iterator_traitsISI_E10value_typeET2_T3_PNSJ_ISO_E10value_typeET4_T5_PST_SU_PNS1_23onesweep_lookback_stateEbbT6_jjT7_P12ihipStream_tbENKUlT_T0_SI_SN_E_clIPxSD_S15_SD_EEDaS11_S12_SI_SN_EUlS11_E_NS1_11comp_targetILNS1_3genE0ELNS1_11target_archE4294967295ELNS1_3gpuE0ELNS1_3repE0EEENS1_47radix_sort_onesweep_sort_config_static_selectorELNS0_4arch9wavefront6targetE1EEEvSI_
		.amdhsa_group_segment_fixed_size 0
		.amdhsa_private_segment_fixed_size 0
		.amdhsa_kernarg_size 88
		.amdhsa_user_sgpr_count 2
		.amdhsa_user_sgpr_dispatch_ptr 0
		.amdhsa_user_sgpr_queue_ptr 0
		.amdhsa_user_sgpr_kernarg_segment_ptr 1
		.amdhsa_user_sgpr_dispatch_id 0
		.amdhsa_user_sgpr_kernarg_preload_length 0
		.amdhsa_user_sgpr_kernarg_preload_offset 0
		.amdhsa_user_sgpr_private_segment_size 0
		.amdhsa_uses_dynamic_stack 0
		.amdhsa_enable_private_segment 0
		.amdhsa_system_sgpr_workgroup_id_x 1
		.amdhsa_system_sgpr_workgroup_id_y 0
		.amdhsa_system_sgpr_workgroup_id_z 0
		.amdhsa_system_sgpr_workgroup_info 0
		.amdhsa_system_vgpr_workitem_id 0
		.amdhsa_next_free_vgpr 1
		.amdhsa_next_free_sgpr 0
		.amdhsa_accum_offset 4
		.amdhsa_reserve_vcc 0
		.amdhsa_float_round_mode_32 0
		.amdhsa_float_round_mode_16_64 0
		.amdhsa_float_denorm_mode_32 3
		.amdhsa_float_denorm_mode_16_64 3
		.amdhsa_dx10_clamp 1
		.amdhsa_ieee_mode 1
		.amdhsa_fp16_overflow 0
		.amdhsa_tg_split 0
		.amdhsa_exception_fp_ieee_invalid_op 0
		.amdhsa_exception_fp_denorm_src 0
		.amdhsa_exception_fp_ieee_div_zero 0
		.amdhsa_exception_fp_ieee_overflow 0
		.amdhsa_exception_fp_ieee_underflow 0
		.amdhsa_exception_fp_ieee_inexact 0
		.amdhsa_exception_int_div_zero 0
	.end_amdhsa_kernel
	.section	.text._ZN7rocprim17ROCPRIM_400000_NS6detail17trampoline_kernelINS0_14default_configENS1_35radix_sort_onesweep_config_selectorIxxEEZZNS1_29radix_sort_onesweep_iterationIS3_Lb0EN6thrust23THRUST_200600_302600_NS6detail15normal_iteratorINS8_10device_ptrIxEEEESD_SD_SD_jNS0_19identity_decomposerENS1_16block_id_wrapperIjLb1EEEEE10hipError_tT1_PNSt15iterator_traitsISI_E10value_typeET2_T3_PNSJ_ISO_E10value_typeET4_T5_PST_SU_PNS1_23onesweep_lookback_stateEbbT6_jjT7_P12ihipStream_tbENKUlT_T0_SI_SN_E_clIPxSD_S15_SD_EEDaS11_S12_SI_SN_EUlS11_E_NS1_11comp_targetILNS1_3genE0ELNS1_11target_archE4294967295ELNS1_3gpuE0ELNS1_3repE0EEENS1_47radix_sort_onesweep_sort_config_static_selectorELNS0_4arch9wavefront6targetE1EEEvSI_,"axG",@progbits,_ZN7rocprim17ROCPRIM_400000_NS6detail17trampoline_kernelINS0_14default_configENS1_35radix_sort_onesweep_config_selectorIxxEEZZNS1_29radix_sort_onesweep_iterationIS3_Lb0EN6thrust23THRUST_200600_302600_NS6detail15normal_iteratorINS8_10device_ptrIxEEEESD_SD_SD_jNS0_19identity_decomposerENS1_16block_id_wrapperIjLb1EEEEE10hipError_tT1_PNSt15iterator_traitsISI_E10value_typeET2_T3_PNSJ_ISO_E10value_typeET4_T5_PST_SU_PNS1_23onesweep_lookback_stateEbbT6_jjT7_P12ihipStream_tbENKUlT_T0_SI_SN_E_clIPxSD_S15_SD_EEDaS11_S12_SI_SN_EUlS11_E_NS1_11comp_targetILNS1_3genE0ELNS1_11target_archE4294967295ELNS1_3gpuE0ELNS1_3repE0EEENS1_47radix_sort_onesweep_sort_config_static_selectorELNS0_4arch9wavefront6targetE1EEEvSI_,comdat
.Lfunc_end1215:
	.size	_ZN7rocprim17ROCPRIM_400000_NS6detail17trampoline_kernelINS0_14default_configENS1_35radix_sort_onesweep_config_selectorIxxEEZZNS1_29radix_sort_onesweep_iterationIS3_Lb0EN6thrust23THRUST_200600_302600_NS6detail15normal_iteratorINS8_10device_ptrIxEEEESD_SD_SD_jNS0_19identity_decomposerENS1_16block_id_wrapperIjLb1EEEEE10hipError_tT1_PNSt15iterator_traitsISI_E10value_typeET2_T3_PNSJ_ISO_E10value_typeET4_T5_PST_SU_PNS1_23onesweep_lookback_stateEbbT6_jjT7_P12ihipStream_tbENKUlT_T0_SI_SN_E_clIPxSD_S15_SD_EEDaS11_S12_SI_SN_EUlS11_E_NS1_11comp_targetILNS1_3genE0ELNS1_11target_archE4294967295ELNS1_3gpuE0ELNS1_3repE0EEENS1_47radix_sort_onesweep_sort_config_static_selectorELNS0_4arch9wavefront6targetE1EEEvSI_, .Lfunc_end1215-_ZN7rocprim17ROCPRIM_400000_NS6detail17trampoline_kernelINS0_14default_configENS1_35radix_sort_onesweep_config_selectorIxxEEZZNS1_29radix_sort_onesweep_iterationIS3_Lb0EN6thrust23THRUST_200600_302600_NS6detail15normal_iteratorINS8_10device_ptrIxEEEESD_SD_SD_jNS0_19identity_decomposerENS1_16block_id_wrapperIjLb1EEEEE10hipError_tT1_PNSt15iterator_traitsISI_E10value_typeET2_T3_PNSJ_ISO_E10value_typeET4_T5_PST_SU_PNS1_23onesweep_lookback_stateEbbT6_jjT7_P12ihipStream_tbENKUlT_T0_SI_SN_E_clIPxSD_S15_SD_EEDaS11_S12_SI_SN_EUlS11_E_NS1_11comp_targetILNS1_3genE0ELNS1_11target_archE4294967295ELNS1_3gpuE0ELNS1_3repE0EEENS1_47radix_sort_onesweep_sort_config_static_selectorELNS0_4arch9wavefront6targetE1EEEvSI_
                                        ; -- End function
	.set _ZN7rocprim17ROCPRIM_400000_NS6detail17trampoline_kernelINS0_14default_configENS1_35radix_sort_onesweep_config_selectorIxxEEZZNS1_29radix_sort_onesweep_iterationIS3_Lb0EN6thrust23THRUST_200600_302600_NS6detail15normal_iteratorINS8_10device_ptrIxEEEESD_SD_SD_jNS0_19identity_decomposerENS1_16block_id_wrapperIjLb1EEEEE10hipError_tT1_PNSt15iterator_traitsISI_E10value_typeET2_T3_PNSJ_ISO_E10value_typeET4_T5_PST_SU_PNS1_23onesweep_lookback_stateEbbT6_jjT7_P12ihipStream_tbENKUlT_T0_SI_SN_E_clIPxSD_S15_SD_EEDaS11_S12_SI_SN_EUlS11_E_NS1_11comp_targetILNS1_3genE0ELNS1_11target_archE4294967295ELNS1_3gpuE0ELNS1_3repE0EEENS1_47radix_sort_onesweep_sort_config_static_selectorELNS0_4arch9wavefront6targetE1EEEvSI_.num_vgpr, 0
	.set _ZN7rocprim17ROCPRIM_400000_NS6detail17trampoline_kernelINS0_14default_configENS1_35radix_sort_onesweep_config_selectorIxxEEZZNS1_29radix_sort_onesweep_iterationIS3_Lb0EN6thrust23THRUST_200600_302600_NS6detail15normal_iteratorINS8_10device_ptrIxEEEESD_SD_SD_jNS0_19identity_decomposerENS1_16block_id_wrapperIjLb1EEEEE10hipError_tT1_PNSt15iterator_traitsISI_E10value_typeET2_T3_PNSJ_ISO_E10value_typeET4_T5_PST_SU_PNS1_23onesweep_lookback_stateEbbT6_jjT7_P12ihipStream_tbENKUlT_T0_SI_SN_E_clIPxSD_S15_SD_EEDaS11_S12_SI_SN_EUlS11_E_NS1_11comp_targetILNS1_3genE0ELNS1_11target_archE4294967295ELNS1_3gpuE0ELNS1_3repE0EEENS1_47radix_sort_onesweep_sort_config_static_selectorELNS0_4arch9wavefront6targetE1EEEvSI_.num_agpr, 0
	.set _ZN7rocprim17ROCPRIM_400000_NS6detail17trampoline_kernelINS0_14default_configENS1_35radix_sort_onesweep_config_selectorIxxEEZZNS1_29radix_sort_onesweep_iterationIS3_Lb0EN6thrust23THRUST_200600_302600_NS6detail15normal_iteratorINS8_10device_ptrIxEEEESD_SD_SD_jNS0_19identity_decomposerENS1_16block_id_wrapperIjLb1EEEEE10hipError_tT1_PNSt15iterator_traitsISI_E10value_typeET2_T3_PNSJ_ISO_E10value_typeET4_T5_PST_SU_PNS1_23onesweep_lookback_stateEbbT6_jjT7_P12ihipStream_tbENKUlT_T0_SI_SN_E_clIPxSD_S15_SD_EEDaS11_S12_SI_SN_EUlS11_E_NS1_11comp_targetILNS1_3genE0ELNS1_11target_archE4294967295ELNS1_3gpuE0ELNS1_3repE0EEENS1_47radix_sort_onesweep_sort_config_static_selectorELNS0_4arch9wavefront6targetE1EEEvSI_.numbered_sgpr, 0
	.set _ZN7rocprim17ROCPRIM_400000_NS6detail17trampoline_kernelINS0_14default_configENS1_35radix_sort_onesweep_config_selectorIxxEEZZNS1_29radix_sort_onesweep_iterationIS3_Lb0EN6thrust23THRUST_200600_302600_NS6detail15normal_iteratorINS8_10device_ptrIxEEEESD_SD_SD_jNS0_19identity_decomposerENS1_16block_id_wrapperIjLb1EEEEE10hipError_tT1_PNSt15iterator_traitsISI_E10value_typeET2_T3_PNSJ_ISO_E10value_typeET4_T5_PST_SU_PNS1_23onesweep_lookback_stateEbbT6_jjT7_P12ihipStream_tbENKUlT_T0_SI_SN_E_clIPxSD_S15_SD_EEDaS11_S12_SI_SN_EUlS11_E_NS1_11comp_targetILNS1_3genE0ELNS1_11target_archE4294967295ELNS1_3gpuE0ELNS1_3repE0EEENS1_47radix_sort_onesweep_sort_config_static_selectorELNS0_4arch9wavefront6targetE1EEEvSI_.num_named_barrier, 0
	.set _ZN7rocprim17ROCPRIM_400000_NS6detail17trampoline_kernelINS0_14default_configENS1_35radix_sort_onesweep_config_selectorIxxEEZZNS1_29radix_sort_onesweep_iterationIS3_Lb0EN6thrust23THRUST_200600_302600_NS6detail15normal_iteratorINS8_10device_ptrIxEEEESD_SD_SD_jNS0_19identity_decomposerENS1_16block_id_wrapperIjLb1EEEEE10hipError_tT1_PNSt15iterator_traitsISI_E10value_typeET2_T3_PNSJ_ISO_E10value_typeET4_T5_PST_SU_PNS1_23onesweep_lookback_stateEbbT6_jjT7_P12ihipStream_tbENKUlT_T0_SI_SN_E_clIPxSD_S15_SD_EEDaS11_S12_SI_SN_EUlS11_E_NS1_11comp_targetILNS1_3genE0ELNS1_11target_archE4294967295ELNS1_3gpuE0ELNS1_3repE0EEENS1_47radix_sort_onesweep_sort_config_static_selectorELNS0_4arch9wavefront6targetE1EEEvSI_.private_seg_size, 0
	.set _ZN7rocprim17ROCPRIM_400000_NS6detail17trampoline_kernelINS0_14default_configENS1_35radix_sort_onesweep_config_selectorIxxEEZZNS1_29radix_sort_onesweep_iterationIS3_Lb0EN6thrust23THRUST_200600_302600_NS6detail15normal_iteratorINS8_10device_ptrIxEEEESD_SD_SD_jNS0_19identity_decomposerENS1_16block_id_wrapperIjLb1EEEEE10hipError_tT1_PNSt15iterator_traitsISI_E10value_typeET2_T3_PNSJ_ISO_E10value_typeET4_T5_PST_SU_PNS1_23onesweep_lookback_stateEbbT6_jjT7_P12ihipStream_tbENKUlT_T0_SI_SN_E_clIPxSD_S15_SD_EEDaS11_S12_SI_SN_EUlS11_E_NS1_11comp_targetILNS1_3genE0ELNS1_11target_archE4294967295ELNS1_3gpuE0ELNS1_3repE0EEENS1_47radix_sort_onesweep_sort_config_static_selectorELNS0_4arch9wavefront6targetE1EEEvSI_.uses_vcc, 0
	.set _ZN7rocprim17ROCPRIM_400000_NS6detail17trampoline_kernelINS0_14default_configENS1_35radix_sort_onesweep_config_selectorIxxEEZZNS1_29radix_sort_onesweep_iterationIS3_Lb0EN6thrust23THRUST_200600_302600_NS6detail15normal_iteratorINS8_10device_ptrIxEEEESD_SD_SD_jNS0_19identity_decomposerENS1_16block_id_wrapperIjLb1EEEEE10hipError_tT1_PNSt15iterator_traitsISI_E10value_typeET2_T3_PNSJ_ISO_E10value_typeET4_T5_PST_SU_PNS1_23onesweep_lookback_stateEbbT6_jjT7_P12ihipStream_tbENKUlT_T0_SI_SN_E_clIPxSD_S15_SD_EEDaS11_S12_SI_SN_EUlS11_E_NS1_11comp_targetILNS1_3genE0ELNS1_11target_archE4294967295ELNS1_3gpuE0ELNS1_3repE0EEENS1_47radix_sort_onesweep_sort_config_static_selectorELNS0_4arch9wavefront6targetE1EEEvSI_.uses_flat_scratch, 0
	.set _ZN7rocprim17ROCPRIM_400000_NS6detail17trampoline_kernelINS0_14default_configENS1_35radix_sort_onesweep_config_selectorIxxEEZZNS1_29radix_sort_onesweep_iterationIS3_Lb0EN6thrust23THRUST_200600_302600_NS6detail15normal_iteratorINS8_10device_ptrIxEEEESD_SD_SD_jNS0_19identity_decomposerENS1_16block_id_wrapperIjLb1EEEEE10hipError_tT1_PNSt15iterator_traitsISI_E10value_typeET2_T3_PNSJ_ISO_E10value_typeET4_T5_PST_SU_PNS1_23onesweep_lookback_stateEbbT6_jjT7_P12ihipStream_tbENKUlT_T0_SI_SN_E_clIPxSD_S15_SD_EEDaS11_S12_SI_SN_EUlS11_E_NS1_11comp_targetILNS1_3genE0ELNS1_11target_archE4294967295ELNS1_3gpuE0ELNS1_3repE0EEENS1_47radix_sort_onesweep_sort_config_static_selectorELNS0_4arch9wavefront6targetE1EEEvSI_.has_dyn_sized_stack, 0
	.set _ZN7rocprim17ROCPRIM_400000_NS6detail17trampoline_kernelINS0_14default_configENS1_35radix_sort_onesweep_config_selectorIxxEEZZNS1_29radix_sort_onesweep_iterationIS3_Lb0EN6thrust23THRUST_200600_302600_NS6detail15normal_iteratorINS8_10device_ptrIxEEEESD_SD_SD_jNS0_19identity_decomposerENS1_16block_id_wrapperIjLb1EEEEE10hipError_tT1_PNSt15iterator_traitsISI_E10value_typeET2_T3_PNSJ_ISO_E10value_typeET4_T5_PST_SU_PNS1_23onesweep_lookback_stateEbbT6_jjT7_P12ihipStream_tbENKUlT_T0_SI_SN_E_clIPxSD_S15_SD_EEDaS11_S12_SI_SN_EUlS11_E_NS1_11comp_targetILNS1_3genE0ELNS1_11target_archE4294967295ELNS1_3gpuE0ELNS1_3repE0EEENS1_47radix_sort_onesweep_sort_config_static_selectorELNS0_4arch9wavefront6targetE1EEEvSI_.has_recursion, 0
	.set _ZN7rocprim17ROCPRIM_400000_NS6detail17trampoline_kernelINS0_14default_configENS1_35radix_sort_onesweep_config_selectorIxxEEZZNS1_29radix_sort_onesweep_iterationIS3_Lb0EN6thrust23THRUST_200600_302600_NS6detail15normal_iteratorINS8_10device_ptrIxEEEESD_SD_SD_jNS0_19identity_decomposerENS1_16block_id_wrapperIjLb1EEEEE10hipError_tT1_PNSt15iterator_traitsISI_E10value_typeET2_T3_PNSJ_ISO_E10value_typeET4_T5_PST_SU_PNS1_23onesweep_lookback_stateEbbT6_jjT7_P12ihipStream_tbENKUlT_T0_SI_SN_E_clIPxSD_S15_SD_EEDaS11_S12_SI_SN_EUlS11_E_NS1_11comp_targetILNS1_3genE0ELNS1_11target_archE4294967295ELNS1_3gpuE0ELNS1_3repE0EEENS1_47radix_sort_onesweep_sort_config_static_selectorELNS0_4arch9wavefront6targetE1EEEvSI_.has_indirect_call, 0
	.section	.AMDGPU.csdata,"",@progbits
; Kernel info:
; codeLenInByte = 0
; TotalNumSgprs: 6
; NumVgprs: 0
; NumAgprs: 0
; TotalNumVgprs: 0
; ScratchSize: 0
; MemoryBound: 0
; FloatMode: 240
; IeeeMode: 1
; LDSByteSize: 0 bytes/workgroup (compile time only)
; SGPRBlocks: 0
; VGPRBlocks: 0
; NumSGPRsForWavesPerEU: 6
; NumVGPRsForWavesPerEU: 1
; AccumOffset: 4
; Occupancy: 8
; WaveLimiterHint : 0
; COMPUTE_PGM_RSRC2:SCRATCH_EN: 0
; COMPUTE_PGM_RSRC2:USER_SGPR: 2
; COMPUTE_PGM_RSRC2:TRAP_HANDLER: 0
; COMPUTE_PGM_RSRC2:TGID_X_EN: 1
; COMPUTE_PGM_RSRC2:TGID_Y_EN: 0
; COMPUTE_PGM_RSRC2:TGID_Z_EN: 0
; COMPUTE_PGM_RSRC2:TIDIG_COMP_CNT: 0
; COMPUTE_PGM_RSRC3_GFX90A:ACCUM_OFFSET: 0
; COMPUTE_PGM_RSRC3_GFX90A:TG_SPLIT: 0
	.section	.text._ZN7rocprim17ROCPRIM_400000_NS6detail17trampoline_kernelINS0_14default_configENS1_35radix_sort_onesweep_config_selectorIxxEEZZNS1_29radix_sort_onesweep_iterationIS3_Lb0EN6thrust23THRUST_200600_302600_NS6detail15normal_iteratorINS8_10device_ptrIxEEEESD_SD_SD_jNS0_19identity_decomposerENS1_16block_id_wrapperIjLb1EEEEE10hipError_tT1_PNSt15iterator_traitsISI_E10value_typeET2_T3_PNSJ_ISO_E10value_typeET4_T5_PST_SU_PNS1_23onesweep_lookback_stateEbbT6_jjT7_P12ihipStream_tbENKUlT_T0_SI_SN_E_clIPxSD_S15_SD_EEDaS11_S12_SI_SN_EUlS11_E_NS1_11comp_targetILNS1_3genE6ELNS1_11target_archE950ELNS1_3gpuE13ELNS1_3repE0EEENS1_47radix_sort_onesweep_sort_config_static_selectorELNS0_4arch9wavefront6targetE1EEEvSI_,"axG",@progbits,_ZN7rocprim17ROCPRIM_400000_NS6detail17trampoline_kernelINS0_14default_configENS1_35radix_sort_onesweep_config_selectorIxxEEZZNS1_29radix_sort_onesweep_iterationIS3_Lb0EN6thrust23THRUST_200600_302600_NS6detail15normal_iteratorINS8_10device_ptrIxEEEESD_SD_SD_jNS0_19identity_decomposerENS1_16block_id_wrapperIjLb1EEEEE10hipError_tT1_PNSt15iterator_traitsISI_E10value_typeET2_T3_PNSJ_ISO_E10value_typeET4_T5_PST_SU_PNS1_23onesweep_lookback_stateEbbT6_jjT7_P12ihipStream_tbENKUlT_T0_SI_SN_E_clIPxSD_S15_SD_EEDaS11_S12_SI_SN_EUlS11_E_NS1_11comp_targetILNS1_3genE6ELNS1_11target_archE950ELNS1_3gpuE13ELNS1_3repE0EEENS1_47radix_sort_onesweep_sort_config_static_selectorELNS0_4arch9wavefront6targetE1EEEvSI_,comdat
	.protected	_ZN7rocprim17ROCPRIM_400000_NS6detail17trampoline_kernelINS0_14default_configENS1_35radix_sort_onesweep_config_selectorIxxEEZZNS1_29radix_sort_onesweep_iterationIS3_Lb0EN6thrust23THRUST_200600_302600_NS6detail15normal_iteratorINS8_10device_ptrIxEEEESD_SD_SD_jNS0_19identity_decomposerENS1_16block_id_wrapperIjLb1EEEEE10hipError_tT1_PNSt15iterator_traitsISI_E10value_typeET2_T3_PNSJ_ISO_E10value_typeET4_T5_PST_SU_PNS1_23onesweep_lookback_stateEbbT6_jjT7_P12ihipStream_tbENKUlT_T0_SI_SN_E_clIPxSD_S15_SD_EEDaS11_S12_SI_SN_EUlS11_E_NS1_11comp_targetILNS1_3genE6ELNS1_11target_archE950ELNS1_3gpuE13ELNS1_3repE0EEENS1_47radix_sort_onesweep_sort_config_static_selectorELNS0_4arch9wavefront6targetE1EEEvSI_ ; -- Begin function _ZN7rocprim17ROCPRIM_400000_NS6detail17trampoline_kernelINS0_14default_configENS1_35radix_sort_onesweep_config_selectorIxxEEZZNS1_29radix_sort_onesweep_iterationIS3_Lb0EN6thrust23THRUST_200600_302600_NS6detail15normal_iteratorINS8_10device_ptrIxEEEESD_SD_SD_jNS0_19identity_decomposerENS1_16block_id_wrapperIjLb1EEEEE10hipError_tT1_PNSt15iterator_traitsISI_E10value_typeET2_T3_PNSJ_ISO_E10value_typeET4_T5_PST_SU_PNS1_23onesweep_lookback_stateEbbT6_jjT7_P12ihipStream_tbENKUlT_T0_SI_SN_E_clIPxSD_S15_SD_EEDaS11_S12_SI_SN_EUlS11_E_NS1_11comp_targetILNS1_3genE6ELNS1_11target_archE950ELNS1_3gpuE13ELNS1_3repE0EEENS1_47radix_sort_onesweep_sort_config_static_selectorELNS0_4arch9wavefront6targetE1EEEvSI_
	.globl	_ZN7rocprim17ROCPRIM_400000_NS6detail17trampoline_kernelINS0_14default_configENS1_35radix_sort_onesweep_config_selectorIxxEEZZNS1_29radix_sort_onesweep_iterationIS3_Lb0EN6thrust23THRUST_200600_302600_NS6detail15normal_iteratorINS8_10device_ptrIxEEEESD_SD_SD_jNS0_19identity_decomposerENS1_16block_id_wrapperIjLb1EEEEE10hipError_tT1_PNSt15iterator_traitsISI_E10value_typeET2_T3_PNSJ_ISO_E10value_typeET4_T5_PST_SU_PNS1_23onesweep_lookback_stateEbbT6_jjT7_P12ihipStream_tbENKUlT_T0_SI_SN_E_clIPxSD_S15_SD_EEDaS11_S12_SI_SN_EUlS11_E_NS1_11comp_targetILNS1_3genE6ELNS1_11target_archE950ELNS1_3gpuE13ELNS1_3repE0EEENS1_47radix_sort_onesweep_sort_config_static_selectorELNS0_4arch9wavefront6targetE1EEEvSI_
	.p2align	8
	.type	_ZN7rocprim17ROCPRIM_400000_NS6detail17trampoline_kernelINS0_14default_configENS1_35radix_sort_onesweep_config_selectorIxxEEZZNS1_29radix_sort_onesweep_iterationIS3_Lb0EN6thrust23THRUST_200600_302600_NS6detail15normal_iteratorINS8_10device_ptrIxEEEESD_SD_SD_jNS0_19identity_decomposerENS1_16block_id_wrapperIjLb1EEEEE10hipError_tT1_PNSt15iterator_traitsISI_E10value_typeET2_T3_PNSJ_ISO_E10value_typeET4_T5_PST_SU_PNS1_23onesweep_lookback_stateEbbT6_jjT7_P12ihipStream_tbENKUlT_T0_SI_SN_E_clIPxSD_S15_SD_EEDaS11_S12_SI_SN_EUlS11_E_NS1_11comp_targetILNS1_3genE6ELNS1_11target_archE950ELNS1_3gpuE13ELNS1_3repE0EEENS1_47radix_sort_onesweep_sort_config_static_selectorELNS0_4arch9wavefront6targetE1EEEvSI_,@function
_ZN7rocprim17ROCPRIM_400000_NS6detail17trampoline_kernelINS0_14default_configENS1_35radix_sort_onesweep_config_selectorIxxEEZZNS1_29radix_sort_onesweep_iterationIS3_Lb0EN6thrust23THRUST_200600_302600_NS6detail15normal_iteratorINS8_10device_ptrIxEEEESD_SD_SD_jNS0_19identity_decomposerENS1_16block_id_wrapperIjLb1EEEEE10hipError_tT1_PNSt15iterator_traitsISI_E10value_typeET2_T3_PNSJ_ISO_E10value_typeET4_T5_PST_SU_PNS1_23onesweep_lookback_stateEbbT6_jjT7_P12ihipStream_tbENKUlT_T0_SI_SN_E_clIPxSD_S15_SD_EEDaS11_S12_SI_SN_EUlS11_E_NS1_11comp_targetILNS1_3genE6ELNS1_11target_archE950ELNS1_3gpuE13ELNS1_3repE0EEENS1_47radix_sort_onesweep_sort_config_static_selectorELNS0_4arch9wavefront6targetE1EEEvSI_: ; @_ZN7rocprim17ROCPRIM_400000_NS6detail17trampoline_kernelINS0_14default_configENS1_35radix_sort_onesweep_config_selectorIxxEEZZNS1_29radix_sort_onesweep_iterationIS3_Lb0EN6thrust23THRUST_200600_302600_NS6detail15normal_iteratorINS8_10device_ptrIxEEEESD_SD_SD_jNS0_19identity_decomposerENS1_16block_id_wrapperIjLb1EEEEE10hipError_tT1_PNSt15iterator_traitsISI_E10value_typeET2_T3_PNSJ_ISO_E10value_typeET4_T5_PST_SU_PNS1_23onesweep_lookback_stateEbbT6_jjT7_P12ihipStream_tbENKUlT_T0_SI_SN_E_clIPxSD_S15_SD_EEDaS11_S12_SI_SN_EUlS11_E_NS1_11comp_targetILNS1_3genE6ELNS1_11target_archE950ELNS1_3gpuE13ELNS1_3repE0EEENS1_47radix_sort_onesweep_sort_config_static_selectorELNS0_4arch9wavefront6targetE1EEEvSI_
; %bb.0:
	s_load_dwordx4 s[48:51], s[2:3], 0x28
	s_load_dwordx2 s[56:57], s[2:3], 0x38
	s_load_dwordx4 s[52:55], s[2:3], 0x44
	v_and_b32_e32 v2, 0x3ff, v0
	v_cmp_eq_u32_e64 s[18:19], 0, v2
	s_and_saveexec_b64 s[6:7], s[18:19]
	s_cbranch_execz .LBB1216_4
; %bb.1:
	s_mov_b64 s[10:11], exec
	v_mbcnt_lo_u32_b32 v1, s10, 0
	v_mbcnt_hi_u32_b32 v1, s11, v1
	v_cmp_eq_u32_e32 vcc, 0, v1
                                        ; implicit-def: $vgpr3
	s_and_saveexec_b64 s[8:9], vcc
	s_cbranch_execz .LBB1216_3
; %bb.2:
	s_load_dwordx2 s[12:13], s[2:3], 0x50
	s_bcnt1_i32_b64 s5, s[10:11]
	v_mov_b32_e32 v3, 0
	v_mov_b32_e32 v4, s5
	s_waitcnt lgkmcnt(0)
	global_atomic_add v3, v3, v4, s[12:13] sc0
.LBB1216_3:
	s_or_b64 exec, exec, s[8:9]
	s_waitcnt vmcnt(0)
	v_readfirstlane_b32 s5, v3
	v_mov_b32_e32 v3, 0
	s_nop 0
	v_add_u32_e32 v1, s5, v1
	ds_write_b32 v3, v1 offset:20544
.LBB1216_4:
	s_or_b64 exec, exec, s[6:7]
	v_mov_b32_e32 v1, 0
	s_load_dwordx8 s[40:47], s[2:3], 0x0
	s_load_dword s5, s[2:3], 0x20
	s_waitcnt lgkmcnt(0)
	s_barrier
	ds_read_b32 v4, v1 offset:20544
	v_bfe_u32 v3, v0, 10, 10
	v_bfe_u32 v28, v0, 20, 10
	s_mov_b64 s[6:7], -1
	v_mbcnt_lo_u32_b32 v30, -1, 0
	s_waitcnt lgkmcnt(0)
	v_cmp_le_u32_e32 vcc, s54, v4
	v_readfirstlane_b32 s33, v4
	v_lshlrev_b32_e32 v29, 3, v2
	s_barrier
	s_cbranch_vccz .LBB1216_120
; %bb.5:
	s_lshl_b32 s6, s54, 13
	s_sub_i32 s5, s5, s6
	s_lshl_b32 s6, s33, 13
	s_mov_b32 s7, 0
	s_lshl_b64 s[54:55], s[6:7], 3
	v_mbcnt_hi_u32_b32 v26, -1, v30
	s_add_u32 s6, s40, s54
	v_and_b32_e32 v8, 63, v26
	s_addc_u32 s7, s41, s55
	v_and_b32_e32 v9, 0x1e00, v29
	v_lshlrev_b32_e32 v0, 3, v8
	v_lshl_add_u64 v[6:7], s[6:7], 0, v[0:1]
	v_lshlrev_b32_e32 v4, 3, v9
	v_mov_b32_e32 v5, v1
	v_or_b32_e32 v1, v8, v9
	v_lshl_add_u64 v[22:23], v[6:7], 0, v[4:5]
	v_cmp_gt_u32_e32 vcc, s5, v1
	v_mov_b64_e32 v[6:7], -1
	v_mov_b64_e32 v[8:9], -1
	s_and_saveexec_b64 s[6:7], vcc
	s_cbranch_execz .LBB1216_7
; %bb.6:
	global_load_dwordx2 v[8:9], v[22:23], off
	s_waitcnt vmcnt(0)
	v_xor_b32_e32 v9, 0x80000000, v9
.LBB1216_7:
	s_or_b64 exec, exec, s[6:7]
	v_or_b32_e32 v5, 64, v1
	v_cmp_gt_u32_e64 s[28:29], s5, v5
	s_and_saveexec_b64 s[6:7], s[28:29]
	s_cbranch_execz .LBB1216_9
; %bb.8:
	global_load_dwordx2 v[6:7], v[22:23], off offset:512
	s_waitcnt vmcnt(0)
	v_xor_b32_e32 v7, 0x80000000, v7
.LBB1216_9:
	s_or_b64 exec, exec, s[6:7]
	v_or_b32_e32 v5, 0x80, v1
	v_cmp_gt_u32_e64 s[6:7], s5, v5
	v_mov_b64_e32 v[10:11], -1
	v_mov_b64_e32 v[12:13], -1
	s_and_saveexec_b64 s[8:9], s[6:7]
	s_cbranch_execz .LBB1216_11
; %bb.10:
	global_load_dwordx2 v[12:13], v[22:23], off offset:1024
	s_waitcnt vmcnt(0)
	v_xor_b32_e32 v13, 0x80000000, v13
.LBB1216_11:
	s_or_b64 exec, exec, s[8:9]
	v_or_b32_e32 v5, 0xc0, v1
	v_cmp_gt_u32_e64 s[8:9], s5, v5
	s_and_saveexec_b64 s[10:11], s[8:9]
	s_cbranch_execz .LBB1216_13
; %bb.12:
	global_load_dwordx2 v[10:11], v[22:23], off offset:1536
	s_waitcnt vmcnt(0)
	v_xor_b32_e32 v11, 0x80000000, v11
.LBB1216_13:
	s_or_b64 exec, exec, s[10:11]
	v_or_b32_e32 v5, 0x100, v1
	v_cmp_gt_u32_e64 s[10:11], s5, v5
	v_mov_b64_e32 v[14:15], -1
	v_mov_b64_e32 v[16:17], -1
	s_and_saveexec_b64 s[12:13], s[10:11]
	s_cbranch_execz .LBB1216_15
; %bb.14:
	global_load_dwordx2 v[16:17], v[22:23], off offset:2048
	s_waitcnt vmcnt(0)
	v_xor_b32_e32 v17, 0x80000000, v17
.LBB1216_15:
	;; [unrolled: 22-line block ×3, first 2 shown]
	s_or_b64 exec, exec, s[16:17]
	v_or_b32_e32 v1, 0x1c0, v1
	v_cmp_gt_u32_e64 s[16:17], s5, v1
	s_and_saveexec_b64 s[20:21], s[16:17]
	s_cbranch_execz .LBB1216_21
; %bb.20:
	global_load_dwordx2 v[18:19], v[22:23], off offset:3584
	s_waitcnt vmcnt(0)
	v_xor_b32_e32 v19, 0x80000000, v19
.LBB1216_21:
	s_or_b64 exec, exec, s[20:21]
	s_load_dword s20, s[2:3], 0x64
	s_load_dword s58, s[2:3], 0x58
	s_add_u32 s21, s2, 0x58
	s_addc_u32 s22, s3, 0
	v_mov_b32_e32 v23, 0
	s_waitcnt lgkmcnt(0)
	s_lshr_b32 s23, s20, 16
	s_cmp_lt_u32 s4, s58
	s_cselect_b32 s20, 12, 18
	s_add_u32 s20, s21, s20
	s_addc_u32 s21, s22, 0
	global_load_ushort v1, v23, s[20:21]
	v_lshrrev_b64 v[24:25], s52, v[8:9]
	s_lshl_b32 s20, -1, s53
	v_bitop3_b32 v24, v24, s20, v24 bitop3:0x30
	s_movk_i32 s60, 0x44
	v_and_b32_e32 v22, 1, v24
	v_lshlrev_b32_e32 v33, 30, v24
	v_mov_b32_e32 v32, v23
	s_not_b32 s59, s20
	v_mul_lo_u32 v31, v24, s60
	v_lshlrev_b32_e32 v35, 29, v24
	v_lshlrev_b32_e32 v37, 28, v24
	;; [unrolled: 1-line block ×6, first 2 shown]
	v_lshl_add_u64 v[24:25], v[22:23], 0, -1
	v_cmp_ne_u32_e64 s[20:21], 0, v22
	v_not_b32_e32 v22, v33
	v_mov_b32_e32 v34, v23
	v_mov_b32_e32 v36, v23
	v_mad_u32_u24 v27, v28, s23, v3
	v_cmp_gt_i64_e64 s[22:23], 0, v[32:33]
	v_not_b32_e32 v32, v35
	v_xor_b32_e32 v25, s21, v25
	v_ashrrev_i32_e32 v22, 31, v22
	v_mov_b32_e32 v38, v23
	v_cmp_gt_i64_e64 s[24:25], 0, v[34:35]
	v_cmp_gt_i64_e64 s[26:27], 0, v[36:37]
	v_not_b32_e32 v33, v37
	v_xor_b32_e32 v24, s20, v24
	v_ashrrev_i32_e32 v32, 31, v32
	v_and_b32_e32 v25, exec_hi, v25
	v_xor_b32_e32 v37, s23, v22
	v_cmp_gt_i64_e64 s[30:31], 0, v[38:39]
	v_not_b32_e32 v34, v39
	v_ashrrev_i32_e32 v33, 31, v33
	v_and_b32_e32 v24, exec_lo, v24
	v_xor_b32_e32 v22, s22, v22
	v_xor_b32_e32 v38, s25, v32
	v_and_b32_e32 v25, v25, v37
	v_mov_b32_e32 v40, v23
	v_not_b32_e32 v35, v41
	v_ashrrev_i32_e32 v34, 31, v34
	v_xor_b32_e32 v39, s27, v33
	v_and_b32_e32 v22, v24, v22
	v_and_b32_e32 v24, v25, v38
	v_mov_b32_e32 v42, v23
	v_cmp_gt_i64_e64 s[34:35], 0, v[40:41]
	v_not_b32_e32 v36, v43
	v_ashrrev_i32_e32 v35, 31, v35
	v_xor_b32_e32 v32, s24, v32
	v_xor_b32_e32 v40, s31, v34
	v_and_b32_e32 v24, v24, v39
	v_cmp_gt_i64_e64 s[36:37], 0, v[42:43]
	v_ashrrev_i32_e32 v36, 31, v36
	v_xor_b32_e32 v33, s26, v33
	v_xor_b32_e32 v41, s35, v35
	v_and_b32_e32 v22, v22, v32
	v_and_b32_e32 v24, v24, v40
	v_xor_b32_e32 v34, s30, v34
	v_xor_b32_e32 v42, s37, v36
	v_and_b32_e32 v22, v22, v33
	v_and_b32_e32 v24, v24, v41
	v_mov_b32_e32 v44, v23
	v_xor_b32_e32 v35, s34, v35
	v_and_b32_e32 v22, v22, v34
	v_and_b32_e32 v32, v24, v42
	v_cmp_gt_i64_e64 s[38:39], 0, v[44:45]
	v_xor_b32_e32 v36, s36, v36
	v_and_b32_e32 v22, v22, v35
	v_and_b32_e32 v22, v22, v36
	v_mul_u32_u24_e32 v5, 20, v2
	ds_write2_b32 v5, v23, v23 offset0:16 offset1:17
	ds_write2_b32 v5, v23, v23 offset0:18 offset1:19
	ds_write_b32 v5, v23 offset:80
	s_waitcnt lgkmcnt(0)
	s_barrier
	s_waitcnt vmcnt(0)
	; wave barrier
	v_mad_u64_u32 v[24:25], s[20:21], v27, v1, v[2:3]
	v_not_b32_e32 v1, v45
	v_ashrrev_i32_e32 v1, 31, v1
	v_lshrrev_b32_e32 v40, 6, v24
	v_xor_b32_e32 v24, s39, v1
	v_xor_b32_e32 v1, s38, v1
	v_and_b32_e32 v25, v32, v24
	v_and_b32_e32 v24, v22, v1
	v_mbcnt_lo_u32_b32 v1, v24, 0
	v_lshl_add_u32 v27, v40, 2, v31
	v_mbcnt_hi_u32_b32 v31, v25, v1
	v_cmp_eq_u32_e64 s[20:21], 0, v31
	v_cmp_ne_u64_e64 s[22:23], 0, v[24:25]
	s_and_b64 s[22:23], s[22:23], s[20:21]
	s_and_saveexec_b64 s[20:21], s[22:23]
; %bb.22:
	v_bcnt_u32_b32 v1, v24, 0
	v_bcnt_u32_b32 v1, v25, v1
	ds_write_b32 v27, v1 offset:64
; %bb.23:
	s_or_b64 exec, exec, s[20:21]
	v_lshrrev_b64 v[24:25], s52, v[6:7]
	v_and_b32_e32 v32, s59, v24
	v_and_b32_e32 v22, 1, v32
	v_lshl_add_u64 v[24:25], v[22:23], 0, -1
	v_cmp_ne_u32_e64 s[20:21], 0, v22
	v_mul_lo_u32 v1, v32, s60
	v_lshl_add_u32 v34, v40, 2, v1
	v_xor_b32_e32 v24, s20, v24
	v_xor_b32_e32 v22, s21, v25
	v_and_b32_e32 v33, exec_lo, v24
	v_lshlrev_b32_e32 v25, 30, v32
	v_mov_b32_e32 v24, v23
	v_cmp_gt_i64_e64 s[20:21], 0, v[24:25]
	v_not_b32_e32 v24, v25
	v_ashrrev_i32_e32 v24, 31, v24
	v_and_b32_e32 v22, exec_hi, v22
	v_xor_b32_e32 v25, s21, v24
	v_xor_b32_e32 v24, s20, v24
	v_and_b32_e32 v22, v22, v25
	v_and_b32_e32 v33, v33, v24
	v_lshlrev_b32_e32 v25, 29, v32
	v_mov_b32_e32 v24, v23
	v_cmp_gt_i64_e64 s[20:21], 0, v[24:25]
	v_not_b32_e32 v24, v25
	v_ashrrev_i32_e32 v24, 31, v24
	v_xor_b32_e32 v25, s21, v24
	v_xor_b32_e32 v24, s20, v24
	v_and_b32_e32 v22, v22, v25
	v_and_b32_e32 v33, v33, v24
	v_lshlrev_b32_e32 v25, 28, v32
	v_mov_b32_e32 v24, v23
	v_cmp_gt_i64_e64 s[20:21], 0, v[24:25]
	v_not_b32_e32 v24, v25
	v_ashrrev_i32_e32 v24, 31, v24
	;; [unrolled: 9-line block ×5, first 2 shown]
	v_xor_b32_e32 v25, s21, v24
	v_xor_b32_e32 v24, s20, v24
	v_and_b32_e32 v22, v22, v25
	v_lshlrev_b32_e32 v25, 24, v32
	v_and_b32_e32 v33, v33, v24
	v_mov_b32_e32 v24, v23
	v_not_b32_e32 v23, v25
	v_cmp_gt_i64_e64 s[20:21], 0, v[24:25]
	v_ashrrev_i32_e32 v23, 31, v23
	s_nop 0
	v_xor_b32_e32 v24, s21, v23
	v_xor_b32_e32 v25, s20, v23
	; wave barrier
	ds_read_b32 v1, v34 offset:64
	v_and_b32_e32 v23, v22, v24
	v_and_b32_e32 v22, v33, v25
	v_mbcnt_lo_u32_b32 v24, v22, 0
	v_mbcnt_hi_u32_b32 v32, v23, v24
	v_cmp_eq_u32_e64 s[20:21], 0, v32
	v_cmp_ne_u64_e64 s[22:23], 0, v[22:23]
	s_and_b64 s[22:23], s[22:23], s[20:21]
	; wave barrier
	s_and_saveexec_b64 s[20:21], s[22:23]
	s_cbranch_execz .LBB1216_25
; %bb.24:
	v_bcnt_u32_b32 v22, v22, 0
	v_bcnt_u32_b32 v22, v23, v22
	s_waitcnt lgkmcnt(0)
	v_add_u32_e32 v22, v1, v22
	ds_write_b32 v34, v22 offset:64
.LBB1216_25:
	s_or_b64 exec, exec, s[20:21]
	v_lshrrev_b64 v[22:23], s52, v[12:13]
	v_and_b32_e32 v35, s59, v22
	s_movk_i32 s24, 0x44
	v_mul_lo_u32 v22, v35, s24
	v_lshl_add_u32 v37, v40, 2, v22
	v_and_b32_e32 v22, 1, v35
	v_mov_b32_e32 v23, 0
	v_lshl_add_u64 v[24:25], v[22:23], 0, -1
	v_cmp_ne_u32_e64 s[20:21], 0, v22
	; wave barrier
	s_nop 1
	v_xor_b32_e32 v24, s20, v24
	v_xor_b32_e32 v22, s21, v25
	v_and_b32_e32 v36, exec_lo, v24
	v_lshlrev_b32_e32 v25, 30, v35
	v_mov_b32_e32 v24, v23
	v_cmp_gt_i64_e64 s[20:21], 0, v[24:25]
	v_not_b32_e32 v24, v25
	v_ashrrev_i32_e32 v24, 31, v24
	v_and_b32_e32 v22, exec_hi, v22
	v_xor_b32_e32 v25, s21, v24
	v_xor_b32_e32 v24, s20, v24
	v_and_b32_e32 v22, v22, v25
	v_and_b32_e32 v36, v36, v24
	v_lshlrev_b32_e32 v25, 29, v35
	v_mov_b32_e32 v24, v23
	v_cmp_gt_i64_e64 s[20:21], 0, v[24:25]
	v_not_b32_e32 v24, v25
	v_ashrrev_i32_e32 v24, 31, v24
	v_xor_b32_e32 v25, s21, v24
	v_xor_b32_e32 v24, s20, v24
	v_and_b32_e32 v22, v22, v25
	v_and_b32_e32 v36, v36, v24
	v_lshlrev_b32_e32 v25, 28, v35
	v_mov_b32_e32 v24, v23
	v_cmp_gt_i64_e64 s[20:21], 0, v[24:25]
	v_not_b32_e32 v24, v25
	v_ashrrev_i32_e32 v24, 31, v24
	;; [unrolled: 9-line block ×6, first 2 shown]
	v_xor_b32_e32 v25, s21, v24
	v_xor_b32_e32 v24, s20, v24
	ds_read_b32 v33, v37 offset:64
	v_and_b32_e32 v24, v36, v24
	v_and_b32_e32 v25, v22, v25
	v_mbcnt_lo_u32_b32 v22, v24, 0
	v_mbcnt_hi_u32_b32 v35, v25, v22
	v_cmp_eq_u32_e64 s[20:21], 0, v35
	v_cmp_ne_u64_e64 s[22:23], 0, v[24:25]
	s_and_b64 s[22:23], s[22:23], s[20:21]
	; wave barrier
	s_and_saveexec_b64 s[20:21], s[22:23]
	s_cbranch_execz .LBB1216_27
; %bb.26:
	v_bcnt_u32_b32 v22, v24, 0
	v_bcnt_u32_b32 v22, v25, v22
	s_waitcnt lgkmcnt(0)
	v_add_u32_e32 v22, v33, v22
	ds_write_b32 v37, v22 offset:64
.LBB1216_27:
	s_or_b64 exec, exec, s[20:21]
	v_lshrrev_b64 v[24:25], s52, v[10:11]
	v_and_b32_e32 v38, s59, v24
	v_mul_lo_u32 v22, v38, s24
	v_lshl_add_u32 v41, v40, 2, v22
	v_and_b32_e32 v22, 1, v38
	v_lshl_add_u64 v[24:25], v[22:23], 0, -1
	v_cmp_ne_u32_e64 s[20:21], 0, v22
	; wave barrier
	s_nop 1
	v_xor_b32_e32 v24, s20, v24
	v_xor_b32_e32 v22, s21, v25
	v_and_b32_e32 v39, exec_lo, v24
	v_lshlrev_b32_e32 v25, 30, v38
	v_mov_b32_e32 v24, v23
	v_cmp_gt_i64_e64 s[20:21], 0, v[24:25]
	v_not_b32_e32 v24, v25
	v_ashrrev_i32_e32 v24, 31, v24
	v_and_b32_e32 v22, exec_hi, v22
	v_xor_b32_e32 v25, s21, v24
	v_xor_b32_e32 v24, s20, v24
	v_and_b32_e32 v22, v22, v25
	v_and_b32_e32 v39, v39, v24
	v_lshlrev_b32_e32 v25, 29, v38
	v_mov_b32_e32 v24, v23
	v_cmp_gt_i64_e64 s[20:21], 0, v[24:25]
	v_not_b32_e32 v24, v25
	v_ashrrev_i32_e32 v24, 31, v24
	v_xor_b32_e32 v25, s21, v24
	v_xor_b32_e32 v24, s20, v24
	v_and_b32_e32 v22, v22, v25
	v_and_b32_e32 v39, v39, v24
	v_lshlrev_b32_e32 v25, 28, v38
	v_mov_b32_e32 v24, v23
	v_cmp_gt_i64_e64 s[20:21], 0, v[24:25]
	v_not_b32_e32 v24, v25
	v_ashrrev_i32_e32 v24, 31, v24
	;; [unrolled: 9-line block ×5, first 2 shown]
	v_xor_b32_e32 v25, s21, v24
	v_xor_b32_e32 v24, s20, v24
	v_and_b32_e32 v22, v22, v25
	v_lshlrev_b32_e32 v25, 24, v38
	v_and_b32_e32 v39, v39, v24
	v_mov_b32_e32 v24, v23
	v_not_b32_e32 v23, v25
	v_cmp_gt_i64_e64 s[20:21], 0, v[24:25]
	v_ashrrev_i32_e32 v23, 31, v23
	ds_read_b32 v36, v41 offset:64
	v_xor_b32_e32 v24, s21, v23
	v_xor_b32_e32 v25, s20, v23
	v_and_b32_e32 v23, v22, v24
	v_and_b32_e32 v22, v39, v25
	v_mbcnt_lo_u32_b32 v24, v22, 0
	v_mbcnt_hi_u32_b32 v38, v23, v24
	v_cmp_eq_u32_e64 s[20:21], 0, v38
	v_cmp_ne_u64_e64 s[22:23], 0, v[22:23]
	s_and_b64 s[22:23], s[22:23], s[20:21]
	; wave barrier
	s_and_saveexec_b64 s[20:21], s[22:23]
	s_cbranch_execz .LBB1216_29
; %bb.28:
	v_bcnt_u32_b32 v22, v22, 0
	v_bcnt_u32_b32 v22, v23, v22
	s_waitcnt lgkmcnt(0)
	v_add_u32_e32 v22, v36, v22
	ds_write_b32 v41, v22 offset:64
.LBB1216_29:
	s_or_b64 exec, exec, s[20:21]
	v_lshrrev_b64 v[22:23], s52, v[16:17]
	v_and_b32_e32 v42, s59, v22
	v_mul_lo_u32 v22, v42, s24
	v_lshl_add_u32 v44, v40, 2, v22
	v_and_b32_e32 v22, 1, v42
	v_mov_b32_e32 v23, 0
	v_lshl_add_u64 v[24:25], v[22:23], 0, -1
	v_cmp_ne_u32_e64 s[20:21], 0, v22
	; wave barrier
	s_nop 1
	v_xor_b32_e32 v24, s20, v24
	v_xor_b32_e32 v22, s21, v25
	v_and_b32_e32 v43, exec_lo, v24
	v_lshlrev_b32_e32 v25, 30, v42
	v_mov_b32_e32 v24, v23
	v_cmp_gt_i64_e64 s[20:21], 0, v[24:25]
	v_not_b32_e32 v24, v25
	v_ashrrev_i32_e32 v24, 31, v24
	v_and_b32_e32 v22, exec_hi, v22
	v_xor_b32_e32 v25, s21, v24
	v_xor_b32_e32 v24, s20, v24
	v_and_b32_e32 v22, v22, v25
	v_and_b32_e32 v43, v43, v24
	v_lshlrev_b32_e32 v25, 29, v42
	v_mov_b32_e32 v24, v23
	v_cmp_gt_i64_e64 s[20:21], 0, v[24:25]
	v_not_b32_e32 v24, v25
	v_ashrrev_i32_e32 v24, 31, v24
	v_xor_b32_e32 v25, s21, v24
	v_xor_b32_e32 v24, s20, v24
	v_and_b32_e32 v22, v22, v25
	v_and_b32_e32 v43, v43, v24
	v_lshlrev_b32_e32 v25, 28, v42
	v_mov_b32_e32 v24, v23
	v_cmp_gt_i64_e64 s[20:21], 0, v[24:25]
	v_not_b32_e32 v24, v25
	v_ashrrev_i32_e32 v24, 31, v24
	;; [unrolled: 9-line block ×6, first 2 shown]
	v_xor_b32_e32 v25, s21, v24
	v_xor_b32_e32 v24, s20, v24
	ds_read_b32 v39, v44 offset:64
	v_and_b32_e32 v24, v43, v24
	v_and_b32_e32 v25, v22, v25
	v_mbcnt_lo_u32_b32 v22, v24, 0
	v_mbcnt_hi_u32_b32 v42, v25, v22
	v_cmp_eq_u32_e64 s[20:21], 0, v42
	v_cmp_ne_u64_e64 s[22:23], 0, v[24:25]
	s_and_b64 s[22:23], s[22:23], s[20:21]
	; wave barrier
	s_and_saveexec_b64 s[20:21], s[22:23]
	s_cbranch_execz .LBB1216_31
; %bb.30:
	v_bcnt_u32_b32 v22, v24, 0
	v_bcnt_u32_b32 v22, v25, v22
	s_waitcnt lgkmcnt(0)
	v_add_u32_e32 v22, v39, v22
	ds_write_b32 v44, v22 offset:64
.LBB1216_31:
	s_or_b64 exec, exec, s[20:21]
	v_lshrrev_b64 v[24:25], s52, v[14:15]
	v_and_b32_e32 v45, s59, v24
	v_mul_lo_u32 v22, v45, s24
	v_lshl_add_u32 v47, v40, 2, v22
	v_and_b32_e32 v22, 1, v45
	v_lshl_add_u64 v[24:25], v[22:23], 0, -1
	v_cmp_ne_u32_e64 s[20:21], 0, v22
	; wave barrier
	s_nop 1
	v_xor_b32_e32 v24, s20, v24
	v_xor_b32_e32 v22, s21, v25
	v_and_b32_e32 v46, exec_lo, v24
	v_lshlrev_b32_e32 v25, 30, v45
	v_mov_b32_e32 v24, v23
	v_cmp_gt_i64_e64 s[20:21], 0, v[24:25]
	v_not_b32_e32 v24, v25
	v_ashrrev_i32_e32 v24, 31, v24
	v_and_b32_e32 v22, exec_hi, v22
	v_xor_b32_e32 v25, s21, v24
	v_xor_b32_e32 v24, s20, v24
	v_and_b32_e32 v22, v22, v25
	v_and_b32_e32 v46, v46, v24
	v_lshlrev_b32_e32 v25, 29, v45
	v_mov_b32_e32 v24, v23
	v_cmp_gt_i64_e64 s[20:21], 0, v[24:25]
	v_not_b32_e32 v24, v25
	v_ashrrev_i32_e32 v24, 31, v24
	v_xor_b32_e32 v25, s21, v24
	v_xor_b32_e32 v24, s20, v24
	v_and_b32_e32 v22, v22, v25
	v_and_b32_e32 v46, v46, v24
	v_lshlrev_b32_e32 v25, 28, v45
	v_mov_b32_e32 v24, v23
	v_cmp_gt_i64_e64 s[20:21], 0, v[24:25]
	v_not_b32_e32 v24, v25
	v_ashrrev_i32_e32 v24, 31, v24
	v_xor_b32_e32 v25, s21, v24
	v_xor_b32_e32 v24, s20, v24
	v_and_b32_e32 v22, v22, v25
	v_and_b32_e32 v46, v46, v24
	v_lshlrev_b32_e32 v25, 27, v45
	v_mov_b32_e32 v24, v23
	v_cmp_gt_i64_e64 s[20:21], 0, v[24:25]
	v_not_b32_e32 v24, v25
	v_ashrrev_i32_e32 v24, 31, v24
	v_xor_b32_e32 v25, s21, v24
	v_xor_b32_e32 v24, s20, v24
	v_and_b32_e32 v22, v22, v25
	v_and_b32_e32 v46, v46, v24
	v_lshlrev_b32_e32 v25, 26, v45
	v_mov_b32_e32 v24, v23
	v_cmp_gt_i64_e64 s[20:21], 0, v[24:25]
	v_not_b32_e32 v24, v25
	v_ashrrev_i32_e32 v24, 31, v24
	v_xor_b32_e32 v25, s21, v24
	v_xor_b32_e32 v24, s20, v24
	v_and_b32_e32 v22, v22, v25
	v_and_b32_e32 v46, v46, v24
	v_lshlrev_b32_e32 v25, 25, v45
	v_mov_b32_e32 v24, v23
	v_cmp_gt_i64_e64 s[20:21], 0, v[24:25]
	v_not_b32_e32 v24, v25
	v_ashrrev_i32_e32 v24, 31, v24
	v_xor_b32_e32 v25, s21, v24
	v_xor_b32_e32 v24, s20, v24
	v_and_b32_e32 v22, v22, v25
	v_lshlrev_b32_e32 v25, 24, v45
	v_and_b32_e32 v46, v46, v24
	v_mov_b32_e32 v24, v23
	v_not_b32_e32 v23, v25
	v_cmp_gt_i64_e64 s[20:21], 0, v[24:25]
	v_ashrrev_i32_e32 v23, 31, v23
	ds_read_b32 v43, v47 offset:64
	v_xor_b32_e32 v24, s21, v23
	v_xor_b32_e32 v25, s20, v23
	v_and_b32_e32 v23, v22, v24
	v_and_b32_e32 v22, v46, v25
	v_mbcnt_lo_u32_b32 v24, v22, 0
	v_mbcnt_hi_u32_b32 v45, v23, v24
	v_cmp_eq_u32_e64 s[20:21], 0, v45
	v_cmp_ne_u64_e64 s[22:23], 0, v[22:23]
	s_and_b64 s[22:23], s[22:23], s[20:21]
	; wave barrier
	s_and_saveexec_b64 s[20:21], s[22:23]
	s_cbranch_execz .LBB1216_33
; %bb.32:
	v_bcnt_u32_b32 v22, v22, 0
	v_bcnt_u32_b32 v22, v23, v22
	s_waitcnt lgkmcnt(0)
	v_add_u32_e32 v22, v43, v22
	ds_write_b32 v47, v22 offset:64
.LBB1216_33:
	s_or_b64 exec, exec, s[20:21]
	v_lshrrev_b64 v[22:23], s52, v[20:21]
	v_and_b32_e32 v48, s59, v22
	v_mul_lo_u32 v22, v48, s24
	v_lshl_add_u32 v50, v40, 2, v22
	v_and_b32_e32 v22, 1, v48
	v_mov_b32_e32 v23, 0
	v_lshl_add_u64 v[24:25], v[22:23], 0, -1
	v_cmp_ne_u32_e64 s[20:21], 0, v22
	; wave barrier
	s_nop 1
	v_xor_b32_e32 v24, s20, v24
	v_xor_b32_e32 v22, s21, v25
	v_and_b32_e32 v49, exec_lo, v24
	v_lshlrev_b32_e32 v25, 30, v48
	v_mov_b32_e32 v24, v23
	v_cmp_gt_i64_e64 s[20:21], 0, v[24:25]
	v_not_b32_e32 v24, v25
	v_ashrrev_i32_e32 v24, 31, v24
	v_and_b32_e32 v22, exec_hi, v22
	v_xor_b32_e32 v25, s21, v24
	v_xor_b32_e32 v24, s20, v24
	v_and_b32_e32 v22, v22, v25
	v_and_b32_e32 v49, v49, v24
	v_lshlrev_b32_e32 v25, 29, v48
	v_mov_b32_e32 v24, v23
	v_cmp_gt_i64_e64 s[20:21], 0, v[24:25]
	v_not_b32_e32 v24, v25
	v_ashrrev_i32_e32 v24, 31, v24
	v_xor_b32_e32 v25, s21, v24
	v_xor_b32_e32 v24, s20, v24
	v_and_b32_e32 v22, v22, v25
	v_and_b32_e32 v49, v49, v24
	v_lshlrev_b32_e32 v25, 28, v48
	v_mov_b32_e32 v24, v23
	v_cmp_gt_i64_e64 s[20:21], 0, v[24:25]
	v_not_b32_e32 v24, v25
	v_ashrrev_i32_e32 v24, 31, v24
	;; [unrolled: 9-line block ×6, first 2 shown]
	v_xor_b32_e32 v25, s21, v24
	v_xor_b32_e32 v24, s20, v24
	ds_read_b32 v46, v50 offset:64
	v_and_b32_e32 v24, v49, v24
	v_and_b32_e32 v25, v22, v25
	v_mbcnt_lo_u32_b32 v22, v24, 0
	v_mbcnt_hi_u32_b32 v48, v25, v22
	v_cmp_eq_u32_e64 s[20:21], 0, v48
	v_cmp_ne_u64_e64 s[22:23], 0, v[24:25]
	s_and_b64 s[22:23], s[22:23], s[20:21]
	; wave barrier
	s_and_saveexec_b64 s[20:21], s[22:23]
	s_cbranch_execz .LBB1216_35
; %bb.34:
	v_bcnt_u32_b32 v22, v24, 0
	v_bcnt_u32_b32 v22, v25, v22
	s_waitcnt lgkmcnt(0)
	v_add_u32_e32 v22, v46, v22
	ds_write_b32 v50, v22 offset:64
.LBB1216_35:
	s_or_b64 exec, exec, s[20:21]
	v_lshrrev_b64 v[24:25], s52, v[18:19]
	v_and_b32_e32 v51, s59, v24
	v_mul_lo_u32 v22, v51, s24
	v_lshl_add_u32 v40, v40, 2, v22
	v_and_b32_e32 v22, 1, v51
	v_lshl_add_u64 v[24:25], v[22:23], 0, -1
	v_cmp_ne_u32_e64 s[20:21], 0, v22
	; wave barrier
	s_nop 1
	v_xor_b32_e32 v24, s20, v24
	v_xor_b32_e32 v22, s21, v25
	v_and_b32_e32 v52, exec_lo, v24
	v_lshlrev_b32_e32 v25, 30, v51
	v_mov_b32_e32 v24, v23
	v_cmp_gt_i64_e64 s[20:21], 0, v[24:25]
	v_not_b32_e32 v24, v25
	v_ashrrev_i32_e32 v24, 31, v24
	v_and_b32_e32 v22, exec_hi, v22
	v_xor_b32_e32 v25, s21, v24
	v_xor_b32_e32 v24, s20, v24
	v_and_b32_e32 v22, v22, v25
	v_and_b32_e32 v52, v52, v24
	v_lshlrev_b32_e32 v25, 29, v51
	v_mov_b32_e32 v24, v23
	v_cmp_gt_i64_e64 s[20:21], 0, v[24:25]
	v_not_b32_e32 v24, v25
	v_ashrrev_i32_e32 v24, 31, v24
	v_xor_b32_e32 v25, s21, v24
	v_xor_b32_e32 v24, s20, v24
	v_and_b32_e32 v22, v22, v25
	v_and_b32_e32 v52, v52, v24
	v_lshlrev_b32_e32 v25, 28, v51
	v_mov_b32_e32 v24, v23
	v_cmp_gt_i64_e64 s[20:21], 0, v[24:25]
	v_not_b32_e32 v24, v25
	v_ashrrev_i32_e32 v24, 31, v24
	;; [unrolled: 9-line block ×5, first 2 shown]
	v_xor_b32_e32 v25, s21, v24
	v_xor_b32_e32 v24, s20, v24
	v_and_b32_e32 v22, v22, v25
	v_lshlrev_b32_e32 v25, 24, v51
	v_and_b32_e32 v52, v52, v24
	v_mov_b32_e32 v24, v23
	v_not_b32_e32 v23, v25
	v_cmp_gt_i64_e64 s[20:21], 0, v[24:25]
	v_ashrrev_i32_e32 v23, 31, v23
	ds_read_b32 v49, v40 offset:64
	v_xor_b32_e32 v24, s21, v23
	v_xor_b32_e32 v25, s20, v23
	v_and_b32_e32 v23, v22, v24
	v_and_b32_e32 v22, v52, v25
	v_mbcnt_lo_u32_b32 v24, v22, 0
	v_mbcnt_hi_u32_b32 v51, v23, v24
	v_cmp_eq_u32_e64 s[20:21], 0, v51
	v_cmp_ne_u64_e64 s[22:23], 0, v[22:23]
	s_and_b64 s[22:23], s[22:23], s[20:21]
	; wave barrier
	s_and_saveexec_b64 s[20:21], s[22:23]
	s_cbranch_execz .LBB1216_37
; %bb.36:
	v_bcnt_u32_b32 v22, v22, 0
	v_bcnt_u32_b32 v22, v23, v22
	s_waitcnt lgkmcnt(0)
	v_add_u32_e32 v22, v49, v22
	ds_write_b32 v40, v22 offset:64
.LBB1216_37:
	s_or_b64 exec, exec, s[20:21]
	; wave barrier
	s_waitcnt lgkmcnt(0)
	s_barrier
	ds_read2_b32 v[24:25], v5 offset0:16 offset1:17
	ds_read2_b32 v[22:23], v5 offset0:18 offset1:19
	ds_read_b32 v52, v5 offset:80
	v_cmp_lt_u32_e64 s[30:31], 31, v26
	s_waitcnt lgkmcnt(1)
	v_add3_u32 v53, v25, v24, v22
	s_waitcnt lgkmcnt(0)
	v_add3_u32 v52, v53, v23, v52
	v_and_b32_e32 v53, 15, v26
	v_cmp_eq_u32_e64 s[20:21], 0, v53
	v_mov_b32_dpp v54, v52 row_shr:1 row_mask:0xf bank_mask:0xf
	v_cmp_lt_u32_e64 s[22:23], 1, v53
	v_cndmask_b32_e64 v54, v54, 0, s[20:21]
	v_add_u32_e32 v52, v54, v52
	v_cmp_lt_u32_e64 s[24:25], 3, v53
	v_cmp_lt_u32_e64 s[26:27], 7, v53
	v_mov_b32_dpp v54, v52 row_shr:2 row_mask:0xf bank_mask:0xf
	v_cndmask_b32_e64 v54, 0, v54, s[22:23]
	v_add_u32_e32 v52, v52, v54
	s_nop 1
	v_mov_b32_dpp v54, v52 row_shr:4 row_mask:0xf bank_mask:0xf
	v_cndmask_b32_e64 v54, 0, v54, s[24:25]
	v_add_u32_e32 v52, v52, v54
	s_nop 1
	v_mov_b32_dpp v54, v52 row_shr:8 row_mask:0xf bank_mask:0xf
	v_cndmask_b32_e64 v53, 0, v54, s[26:27]
	v_add_u32_e32 v52, v52, v53
	v_bfe_i32 v54, v26, 4, 1
	s_nop 0
	v_mov_b32_dpp v53, v52 row_bcast:15 row_mask:0xf bank_mask:0xf
	v_and_b32_e32 v53, v54, v53
	v_add_u32_e32 v52, v52, v53
	v_and_b32_e32 v54, 63, v2
	s_nop 0
	v_mov_b32_dpp v53, v52 row_bcast:31 row_mask:0xf bank_mask:0xf
	v_cndmask_b32_e64 v53, 0, v53, s[30:31]
	v_add_u32_e32 v52, v52, v53
	v_lshrrev_b32_e32 v53, 6, v2
	v_cmp_eq_u32_e64 s[30:31], 63, v54
	s_and_saveexec_b64 s[34:35], s[30:31]
; %bb.38:
	v_lshlrev_b32_e32 v54, 2, v53
	ds_write_b32 v54, v52
; %bb.39:
	s_or_b64 exec, exec, s[34:35]
	v_cmp_gt_u32_e64 s[30:31], 16, v2
	s_waitcnt lgkmcnt(0)
	s_barrier
	s_and_saveexec_b64 s[34:35], s[30:31]
	s_cbranch_execz .LBB1216_41
; %bb.40:
	v_lshlrev_b32_e32 v54, 2, v2
	ds_read_b32 v55, v54
	s_waitcnt lgkmcnt(0)
	s_nop 0
	v_mov_b32_dpp v56, v55 row_shr:1 row_mask:0xf bank_mask:0xf
	v_cndmask_b32_e64 v56, v56, 0, s[20:21]
	v_add_u32_e32 v55, v56, v55
	s_nop 1
	v_mov_b32_dpp v56, v55 row_shr:2 row_mask:0xf bank_mask:0xf
	v_cndmask_b32_e64 v56, 0, v56, s[22:23]
	v_add_u32_e32 v55, v55, v56
	s_nop 1
	v_mov_b32_dpp v56, v55 row_shr:4 row_mask:0xf bank_mask:0xf
	v_cndmask_b32_e64 v56, 0, v56, s[24:25]
	v_add_u32_e32 v55, v55, v56
	s_nop 1
	v_mov_b32_dpp v56, v55 row_shr:8 row_mask:0xf bank_mask:0xf
	v_cndmask_b32_e64 v56, 0, v56, s[26:27]
	v_add_u32_e32 v55, v55, v56
	ds_write_b32 v54, v55
.LBB1216_41:
	s_or_b64 exec, exec, s[34:35]
	v_cmp_lt_u32_e64 s[20:21], 63, v2
	v_mov_b32_e32 v54, 0
	s_waitcnt lgkmcnt(0)
	s_barrier
	s_and_saveexec_b64 s[22:23], s[20:21]
; %bb.42:
	v_lshl_add_u32 v53, v53, 2, -4
	ds_read_b32 v54, v53
; %bb.43:
	s_or_b64 exec, exec, s[22:23]
	v_subrev_co_u32_e64 v53, s[20:21], 1, v26
	v_and_b32_e32 v55, 64, v26
	v_cmp_lt_i32_e64 s[22:23], v53, v55
	s_waitcnt lgkmcnt(0)
	v_add_u32_e32 v52, v54, v52
	s_movk_i32 s24, 0x100
	v_cndmask_b32_e64 v26, v53, v26, s[22:23]
	v_lshlrev_b32_e32 v26, 2, v26
	ds_bpermute_b32 v26, v26, v52
	v_cmp_gt_u32_e64 s[22:23], s24, v2
	s_waitcnt lgkmcnt(0)
	v_cndmask_b32_e64 v26, v26, v54, s[20:21]
	v_cndmask_b32_e64 v26, v26, 0, s[18:19]
	v_add_u32_e32 v24, v26, v24
	v_add_u32_e32 v25, v24, v25
	;; [unrolled: 1-line block ×4, first 2 shown]
	ds_write2_b32 v5, v26, v24 offset0:16 offset1:17
	ds_write2_b32 v5, v25, v22 offset0:18 offset1:19
	ds_write_b32 v5, v23 offset:80
	s_waitcnt lgkmcnt(0)
	s_barrier
	ds_read_b32 v55, v27 offset:64
	ds_read_b32 v5, v34 offset:64
	;; [unrolled: 1-line block ×8, first 2 shown]
	s_movk_i32 s20, 0xff
	v_cmp_lt_u32_e64 s[20:21], s20, v2
                                        ; implicit-def: $vgpr34
                                        ; implicit-def: $vgpr37
	s_and_saveexec_b64 s[26:27], s[22:23]
	s_cbranch_execz .LBB1216_47
; %bb.44:
	v_mul_u32_u24_e32 v22, 0x44, v2
	ds_read_b32 v34, v22 offset:64
	v_add_u32_e32 v23, 1, v2
	v_cmp_ne_u32_e64 s[24:25], s24, v23
	v_mov_b32_e32 v22, 0x2000
	s_and_saveexec_b64 s[30:31], s[24:25]
; %bb.45:
	v_mul_u32_u24_e32 v22, 0x44, v23
	ds_read_b32 v22, v22 offset:64
; %bb.46:
	s_or_b64 exec, exec, s[30:31]
	s_waitcnt lgkmcnt(0)
	v_sub_u32_e32 v37, v22, v34
.LBB1216_47:
	s_or_b64 exec, exec, s[26:27]
	v_mov_b32_e32 v23, 0
	v_lshlrev_b32_e32 v40, 2, v2
	s_waitcnt lgkmcnt(0)
	s_barrier
	s_and_saveexec_b64 s[24:25], s[22:23]
	s_cbranch_execz .LBB1216_57
; %bb.48:
	v_lshl_add_u32 v22, s33, 8, v2
	v_lshl_add_u64 v[24:25], v[22:23], 2, s[56:57]
	v_or_b32_e32 v22, 2.0, v37
	s_mov_b64 s[26:27], 0
	s_brev_b32 s36, -4
	s_mov_b32 s37, s33
	v_mov_b32_e32 v50, 0
	global_store_dword v[24:25], v22, off sc1
                                        ; implicit-def: $sgpr22_sgpr23
	s_branch .LBB1216_51
.LBB1216_49:                            ;   in Loop: Header=BB1216_51 Depth=1
	s_or_b64 exec, exec, s[34:35]
.LBB1216_50:                            ;   in Loop: Header=BB1216_51 Depth=1
	s_or_b64 exec, exec, s[30:31]
	v_and_b32_e32 v26, 0x3fffffff, v22
	v_add_u32_e32 v50, v26, v50
	v_cmp_gt_i32_e64 s[22:23], -2.0, v22
	s_and_b64 s[30:31], exec, s[22:23]
	s_or_b64 s[26:27], s[30:31], s[26:27]
	s_andn2_b64 exec, exec, s[26:27]
	s_cbranch_execz .LBB1216_56
.LBB1216_51:                            ; =>This Loop Header: Depth=1
                                        ;     Child Loop BB1216_54 Depth 2
	s_or_b64 s[22:23], s[22:23], exec
	s_cmp_eq_u32 s37, 0
	s_cbranch_scc1 .LBB1216_55
; %bb.52:                               ;   in Loop: Header=BB1216_51 Depth=1
	s_add_i32 s37, s37, -1
	v_lshl_or_b32 v22, s37, 8, v2
	v_lshl_add_u64 v[26:27], v[22:23], 2, s[56:57]
	global_load_dword v22, v[26:27], off sc1
	s_waitcnt vmcnt(0)
	v_cmp_gt_u32_e64 s[22:23], 2.0, v22
	s_and_saveexec_b64 s[30:31], s[22:23]
	s_cbranch_execz .LBB1216_50
; %bb.53:                               ;   in Loop: Header=BB1216_51 Depth=1
	s_mov_b64 s[34:35], 0
.LBB1216_54:                            ;   Parent Loop BB1216_51 Depth=1
                                        ; =>  This Inner Loop Header: Depth=2
	global_load_dword v22, v[26:27], off sc1
	s_waitcnt vmcnt(0)
	v_cmp_lt_u32_e64 s[22:23], s36, v22
	s_or_b64 s[34:35], s[22:23], s[34:35]
	s_andn2_b64 exec, exec, s[34:35]
	s_cbranch_execnz .LBB1216_54
	s_branch .LBB1216_49
.LBB1216_55:                            ;   in Loop: Header=BB1216_51 Depth=1
                                        ; implicit-def: $sgpr37
	s_and_b64 s[30:31], exec, s[22:23]
	s_or_b64 s[26:27], s[30:31], s[26:27]
	s_andn2_b64 exec, exec, s[26:27]
	s_cbranch_execnz .LBB1216_51
.LBB1216_56:
	s_or_b64 exec, exec, s[26:27]
	v_add_u32_e32 v22, v50, v37
	v_or_b32_e32 v22, 0x80000000, v22
	global_store_dword v[24:25], v22, off sc1
	global_load_dword v22, v40, s[48:49]
	v_sub_u32_e32 v23, v50, v34
	s_waitcnt vmcnt(0)
	v_add_u32_e32 v22, v23, v22
	ds_write_b32 v40, v22
.LBB1216_57:
	s_or_b64 exec, exec, s[24:25]
	s_load_dwordx2 s[22:23], s[0:1], 0x4
	v_add_u32_e32 v24, v55, v31
	v_add3_u32 v22, v32, v1, v5
	v_add3_u32 v23, v35, v33, v52
	v_add3_u32 v50, v38, v36, v53
	s_waitcnt lgkmcnt(0)
	s_lshr_b32 s0, s22, 16
	s_mul_i32 s0, s0, s23
	v_mul_lo_u32 v25, s0, v2
	v_mul_u32_u24_e32 v27, s23, v3
	v_add3_u32 v25, v25, v27, v28
	v_mov_b32_e32 v27, 0x5050
	v_add3_u32 v55, v42, v39, v54
	v_add3_u32 v56, v45, v43, v47
	;; [unrolled: 1-line block ×4, first 2 shown]
	v_lshl_add_u32 v25, v25, 5, v27
	v_mov_b32_e32 v57, 0x400
	s_movk_i32 s24, 0x400
	v_lshl_add_u32 v26, v26, 3, v57
	v_add3_u32 v27, v51, v44, v49
	v_lshl_add_u32 v31, v31, 3, v57
	v_add3_u32 v41, v48, v41, v46
	;; [unrolled: 2-line block ×7, first 2 shown]
	v_lshl_add_u32 v46, v24, 3, v57
	s_mov_b32 s25, 0
	s_movk_i32 s26, 0x800
	v_add_u32_e32 v47, v40, v40
	v_mov_b32_e32 v23, 0
	v_mov_b32_e32 v1, v2
	;; [unrolled: 1-line block ×3, first 2 shown]
	s_mov_b32 s27, 0
	s_branch .LBB1216_59
.LBB1216_58:                            ;   in Loop: Header=BB1216_59 Depth=1
	s_or_b64 exec, exec, s[22:23]
	s_addk_i32 s27, 0xc000
	s_addk_i32 s25, 0xf800
	v_add_u32_e32 v5, 8, v5
	s_cmp_eq_u32 s27, 0xffff0000
	v_add_u32_e32 v1, 0x800, v1
	s_waitcnt lgkmcnt(0)
	s_barrier
	s_cbranch_scc1 .LBB1216_79
.LBB1216_59:                            ; =>This Inner Loop Header: Depth=1
	v_add_u32_e32 v22, s25, v24
	v_cmp_gt_u32_e64 s[0:1], s26, v22
	s_and_saveexec_b64 s[22:23], s[0:1]
; %bb.60:                               ;   in Loop: Header=BB1216_59 Depth=1
	v_add_u32_e32 v22, s27, v46
	ds_write_b64 v22, v[8:9]
; %bb.61:                               ;   in Loop: Header=BB1216_59 Depth=1
	s_or_b64 exec, exec, s[22:23]
	v_add_u32_e32 v22, s25, v32
	v_cmp_gt_u32_e64 s[0:1], s26, v22
	s_and_saveexec_b64 s[22:23], s[0:1]
; %bb.62:                               ;   in Loop: Header=BB1216_59 Depth=1
	v_add_u32_e32 v22, s27, v35
	ds_write_b64 v22, v[6:7]
; %bb.63:                               ;   in Loop: Header=BB1216_59 Depth=1
	s_or_b64 exec, exec, s[22:23]
	;; [unrolled: 8-line block ×8, first 2 shown]
	v_cmp_gt_u32_e64 s[0:1], s5, v1
	s_waitcnt lgkmcnt(0)
	s_barrier
	s_and_saveexec_b64 s[22:23], s[0:1]
	s_cbranch_execz .LBB1216_77
; %bb.76:                               ;   in Loop: Header=BB1216_59 Depth=1
	ds_read_b64 v[48:49], v47 offset:1024
	s_waitcnt lgkmcnt(0)
	v_lshrrev_b64 v[50:51], s52, v[48:49]
	v_and_b32_e32 v52, s59, v50
	v_lshlrev_b32_e32 v22, 2, v52
	ds_read_b32 v22, v22
	v_xor_b32_e32 v49, 0x80000000, v49
	ds_write_b32 v5, v52
	s_waitcnt lgkmcnt(1)
	v_add_u32_e32 v22, v1, v22
	v_lshl_add_u64 v[50:51], v[22:23], 3, s[42:43]
	global_store_dwordx2 v[50:51], v[48:49], off
.LBB1216_77:                            ;   in Loop: Header=BB1216_59 Depth=1
	s_or_b64 exec, exec, s[22:23]
	v_add_u32_e32 v22, 0x400, v1
	v_cmp_gt_u32_e64 s[0:1], s5, v22
	s_and_saveexec_b64 s[22:23], s[0:1]
	s_cbranch_execz .LBB1216_58
; %bb.78:                               ;   in Loop: Header=BB1216_59 Depth=1
	ds_read_b64 v[48:49], v47 offset:9216
	s_waitcnt lgkmcnt(0)
	v_lshrrev_b64 v[50:51], s52, v[48:49]
	v_and_b32_e32 v52, s59, v50
	v_lshlrev_b32_e32 v22, 2, v52
	ds_read_b32 v22, v22
	v_xor_b32_e32 v49, 0x80000000, v49
	ds_write_b32 v5, v52 offset:4
	s_waitcnt lgkmcnt(1)
	v_add3_u32 v22, v1, v22, s24
	v_lshl_add_u64 v[50:51], v[22:23], 3, s[42:43]
	global_store_dwordx2 v[50:51], v[48:49], off
	s_branch .LBB1216_58
.LBB1216_79:
	s_add_u32 s0, s44, s54
	s_addc_u32 s1, s45, s55
	v_mov_b32_e32 v1, 0
	v_lshl_add_u64 v[6:7], s[0:1], 0, v[0:1]
	v_mov_b32_e32 v5, v1
	v_lshl_add_u64 v[18:19], v[6:7], 0, v[4:5]
                                        ; implicit-def: $vgpr0_vgpr1
	s_and_saveexec_b64 s[0:1], vcc
	s_cbranch_execz .LBB1216_87
; %bb.80:
	global_load_dwordx2 v[0:1], v[18:19], off
	s_or_b64 exec, exec, s[0:1]
                                        ; implicit-def: $vgpr4_vgpr5
	s_and_saveexec_b64 s[0:1], s[28:29]
	s_cbranch_execnz .LBB1216_88
.LBB1216_81:
	s_or_b64 exec, exec, s[0:1]
                                        ; implicit-def: $vgpr6_vgpr7
	s_and_saveexec_b64 s[0:1], s[6:7]
	s_cbranch_execz .LBB1216_89
.LBB1216_82:
	global_load_dwordx2 v[6:7], v[18:19], off offset:1024
	s_or_b64 exec, exec, s[0:1]
                                        ; implicit-def: $vgpr8_vgpr9
	s_and_saveexec_b64 s[0:1], s[8:9]
	s_cbranch_execnz .LBB1216_90
.LBB1216_83:
	s_or_b64 exec, exec, s[0:1]
                                        ; implicit-def: $vgpr10_vgpr11
	s_and_saveexec_b64 s[0:1], s[10:11]
	s_cbranch_execz .LBB1216_91
.LBB1216_84:
	global_load_dwordx2 v[10:11], v[18:19], off offset:2048
	s_or_b64 exec, exec, s[0:1]
                                        ; implicit-def: $vgpr12_vgpr13
	s_and_saveexec_b64 s[0:1], s[12:13]
	s_cbranch_execnz .LBB1216_92
.LBB1216_85:
	s_or_b64 exec, exec, s[0:1]
                                        ; implicit-def: $vgpr14_vgpr15
	s_and_saveexec_b64 s[0:1], s[14:15]
	s_cbranch_execz .LBB1216_93
.LBB1216_86:
	global_load_dwordx2 v[14:15], v[18:19], off offset:3072
	s_or_b64 exec, exec, s[0:1]
                                        ; implicit-def: $vgpr16_vgpr17
	s_and_saveexec_b64 s[0:1], s[16:17]
	s_cbranch_execnz .LBB1216_94
	s_branch .LBB1216_95
.LBB1216_87:
	s_or_b64 exec, exec, s[0:1]
                                        ; implicit-def: $vgpr4_vgpr5
	s_and_saveexec_b64 s[0:1], s[28:29]
	s_cbranch_execz .LBB1216_81
.LBB1216_88:
	global_load_dwordx2 v[4:5], v[18:19], off offset:512
	s_or_b64 exec, exec, s[0:1]
                                        ; implicit-def: $vgpr6_vgpr7
	s_and_saveexec_b64 s[0:1], s[6:7]
	s_cbranch_execnz .LBB1216_82
.LBB1216_89:
	s_or_b64 exec, exec, s[0:1]
                                        ; implicit-def: $vgpr8_vgpr9
	s_and_saveexec_b64 s[0:1], s[8:9]
	s_cbranch_execz .LBB1216_83
.LBB1216_90:
	global_load_dwordx2 v[8:9], v[18:19], off offset:1536
	s_or_b64 exec, exec, s[0:1]
                                        ; implicit-def: $vgpr10_vgpr11
	s_and_saveexec_b64 s[0:1], s[10:11]
	s_cbranch_execnz .LBB1216_84
.LBB1216_91:
	s_or_b64 exec, exec, s[0:1]
                                        ; implicit-def: $vgpr12_vgpr13
	s_and_saveexec_b64 s[0:1], s[12:13]
	s_cbranch_execz .LBB1216_85
.LBB1216_92:
	global_load_dwordx2 v[12:13], v[18:19], off offset:2560
	s_or_b64 exec, exec, s[0:1]
                                        ; implicit-def: $vgpr14_vgpr15
	s_and_saveexec_b64 s[0:1], s[14:15]
	s_cbranch_execnz .LBB1216_86
.LBB1216_93:
	s_or_b64 exec, exec, s[0:1]
                                        ; implicit-def: $vgpr16_vgpr17
	s_and_saveexec_b64 s[0:1], s[16:17]
	s_cbranch_execz .LBB1216_95
.LBB1216_94:
	global_load_dwordx2 v[16:17], v[18:19], off offset:3584
.LBB1216_95:
	s_or_b64 exec, exec, s[0:1]
	s_mov_b32 s6, 0
	s_movk_i32 s7, 0x800
	v_mov_b32_e32 v19, 0
	s_movk_i32 s8, 0x400
	s_mov_b32 s9, 0
	v_mov_b32_e32 v20, v2
	s_waitcnt vmcnt(0)
	s_branch .LBB1216_97
.LBB1216_96:                            ;   in Loop: Header=BB1216_97 Depth=1
	s_or_b64 exec, exec, s[0:1]
	s_addk_i32 s9, 0xc000
	s_addk_i32 s6, 0xf800
	v_add_u32_e32 v20, 0x800, v20
	s_cmp_eq_u32 s9, 0xffff0000
	v_add_u32_e32 v25, 8, v25
	s_barrier
	s_cbranch_scc1 .LBB1216_117
.LBB1216_97:                            ; =>This Inner Loop Header: Depth=1
	v_add_u32_e32 v18, s6, v24
	v_cmp_gt_u32_e32 vcc, s7, v18
	s_and_saveexec_b64 s[0:1], vcc
; %bb.98:                               ;   in Loop: Header=BB1216_97 Depth=1
	v_add_u32_e32 v18, s9, v46
	ds_write_b64 v18, v[0:1]
; %bb.99:                               ;   in Loop: Header=BB1216_97 Depth=1
	s_or_b64 exec, exec, s[0:1]
	v_add_u32_e32 v18, s6, v32
	v_cmp_gt_u32_e32 vcc, s7, v18
	s_and_saveexec_b64 s[0:1], vcc
; %bb.100:                              ;   in Loop: Header=BB1216_97 Depth=1
	v_add_u32_e32 v18, s9, v35
	ds_write_b64 v18, v[4:5]
; %bb.101:                              ;   in Loop: Header=BB1216_97 Depth=1
	s_or_b64 exec, exec, s[0:1]
	v_add_u32_e32 v18, s6, v33
	v_cmp_gt_u32_e32 vcc, s7, v18
	s_and_saveexec_b64 s[0:1], vcc
; %bb.102:                              ;   in Loop: Header=BB1216_97 Depth=1
	v_add_u32_e32 v18, s9, v38
	ds_write_b64 v18, v[6:7]
; %bb.103:                              ;   in Loop: Header=BB1216_97 Depth=1
	;; [unrolled: 8-line block ×7, first 2 shown]
	s_or_b64 exec, exec, s[0:1]
	v_cmp_gt_u32_e32 vcc, s5, v20
	s_waitcnt lgkmcnt(0)
	s_barrier
	s_and_saveexec_b64 s[0:1], vcc
	s_cbranch_execz .LBB1216_115
; %bb.114:                              ;   in Loop: Header=BB1216_97 Depth=1
	ds_read_b32 v18, v25
	s_waitcnt lgkmcnt(0)
	v_lshlrev_b32_e32 v18, 2, v18
	ds_read_b32 v18, v18
	ds_read_b64 v[22:23], v47 offset:1024
	s_waitcnt lgkmcnt(1)
	v_add_u32_e32 v18, v20, v18
	v_lshl_add_u64 v[48:49], v[18:19], 3, s[46:47]
	s_waitcnt lgkmcnt(0)
	global_store_dwordx2 v[48:49], v[22:23], off
.LBB1216_115:                           ;   in Loop: Header=BB1216_97 Depth=1
	s_or_b64 exec, exec, s[0:1]
	v_add_u32_e32 v18, 0x400, v20
	v_cmp_gt_u32_e32 vcc, s5, v18
	s_and_saveexec_b64 s[0:1], vcc
	s_cbranch_execz .LBB1216_96
; %bb.116:                              ;   in Loop: Header=BB1216_97 Depth=1
	ds_read_b32 v18, v25 offset:4
	s_waitcnt lgkmcnt(0)
	v_lshlrev_b32_e32 v18, 2, v18
	ds_read_b32 v18, v18
	ds_read_b64 v[22:23], v47 offset:9216
	s_waitcnt lgkmcnt(1)
	v_add3_u32 v18, v20, v18, s8
	v_lshl_add_u64 v[48:49], v[18:19], 3, s[46:47]
	s_waitcnt lgkmcnt(0)
	global_store_dwordx2 v[48:49], v[22:23], off
	s_branch .LBB1216_96
.LBB1216_117:
	s_add_i32 s58, s58, -1
	s_cmp_eq_u32 s33, s58
	s_cselect_b64 s[0:1], -1, 0
	s_xor_b64 s[6:7], s[20:21], -1
	s_and_b64 s[6:7], s[6:7], s[0:1]
	s_and_saveexec_b64 s[0:1], s[6:7]
	s_cbranch_execz .LBB1216_119
; %bb.118:
	ds_read_b32 v0, v40
	s_waitcnt lgkmcnt(0)
	v_add3_u32 v0, v34, v37, v0
	global_store_dword v40, v0, s[50:51]
.LBB1216_119:
	s_or_b64 exec, exec, s[0:1]
	s_mov_b64 s[6:7], 0
.LBB1216_120:
	s_and_b64 vcc, exec, s[6:7]
	s_cbranch_vccz .LBB1216_195
; %bb.121:
	s_lshl_b32 s0, s33, 13
	s_mov_b32 s1, 0
	s_lshl_b64 s[8:9], s[0:1], 3
	v_mbcnt_hi_u32_b32 v26, -1, v30
	s_add_u32 s0, s40, s8
	v_and_b32_e32 v0, 63, v26
	v_mov_b32_e32 v23, 0
	s_addc_u32 s1, s41, s9
	v_and_b32_e32 v4, 0x1e00, v29
	v_lshlrev_b32_e32 v0, 3, v0
	v_mov_b32_e32 v1, v23
	v_lshl_add_u64 v[6:7], s[0:1], 0, v[0:1]
	v_lshlrev_b32_e32 v4, 3, v4
	v_mov_b32_e32 v5, v23
	v_lshl_add_u64 v[24:25], v[6:7], 0, v[4:5]
	global_load_dwordx2 v[6:7], v[24:25], off
	s_load_dword s0, s[2:3], 0x64
	s_load_dword s12, s[2:3], 0x58
	s_add_u32 s1, s2, 0x58
	s_addc_u32 s2, s3, 0
	v_mul_u32_u24_e32 v1, 20, v2
	s_waitcnt lgkmcnt(0)
	s_lshr_b32 s3, s0, 16
	s_cmp_lt_u32 s4, s12
	s_cselect_b32 s0, 12, 18
	s_add_u32 s0, s1, s0
	s_addc_u32 s1, s2, 0
	global_load_ushort v5, v23, s[0:1]
	ds_write2_b32 v1, v23, v23 offset0:16 offset1:17
	ds_write2_b32 v1, v23, v23 offset0:18 offset1:19
	ds_write_b32 v1, v23 offset:80
	global_load_dwordx2 v[8:9], v[24:25], off offset:512
	global_load_dwordx2 v[10:11], v[24:25], off offset:1024
	;; [unrolled: 1-line block ×7, first 2 shown]
	s_lshl_b32 s0, -1, s53
	v_mad_u32_u24 v3, v28, s3, v3
	v_mov_b32_e32 v30, v23
	s_not_b32 s13, s0
	v_mov_b32_e32 v32, v23
	v_mov_b32_e32 v34, v23
	;; [unrolled: 1-line block ×4, first 2 shown]
	s_movk_i32 s10, 0x44
	s_waitcnt lgkmcnt(0)
	s_barrier
	s_waitcnt vmcnt(8)
	; wave barrier
	v_xor_b32_e32 v7, 0x80000000, v7
	v_lshrrev_b64 v[24:25], s52, v[6:7]
	v_bitop3_b32 v40, v24, s0, v24 bitop3:0x30
	v_and_b32_e32 v22, 1, v40
	v_lshlrev_b32_e32 v31, 30, v40
	v_lshlrev_b32_e32 v33, 29, v40
	v_lshl_add_u64 v[28:29], v[22:23], 0, -1
	v_cmp_ne_u32_e32 vcc, 0, v22
	v_lshlrev_b32_e32 v35, 28, v40
	v_cmp_gt_i64_e64 s[2:3], 0, v[32:33]
	s_waitcnt vmcnt(7)
	v_mad_u64_u32 v[24:25], s[0:1], v3, v5, v[2:3]
	v_not_b32_e32 v3, v31
	v_cmp_gt_i64_e64 s[0:1], 0, v[30:31]
	v_not_b32_e32 v5, v33
	v_xor_b32_e32 v28, vcc_lo, v28
	v_ashrrev_i32_e32 v3, 31, v3
	v_cmp_gt_i64_e64 s[4:5], 0, v[34:35]
	v_not_b32_e32 v22, v35
	v_lshrrev_b32_e32 v34, 6, v24
	v_xor_b32_e32 v24, vcc_hi, v29
	v_ashrrev_i32_e32 v5, 31, v5
	v_and_b32_e32 v28, exec_lo, v28
	v_xor_b32_e32 v29, s1, v3
	v_xor_b32_e32 v3, s0, v3
	v_lshlrev_b32_e32 v37, 27, v40
	v_ashrrev_i32_e32 v22, 31, v22
	v_and_b32_e32 v24, exec_hi, v24
	v_xor_b32_e32 v30, s3, v5
	v_xor_b32_e32 v5, s2, v5
	v_and_b32_e32 v3, v28, v3
	v_lshlrev_b32_e32 v39, 26, v40
	v_not_b32_e32 v25, v37
	v_xor_b32_e32 v31, s5, v22
	v_xor_b32_e32 v22, s4, v22
	v_and_b32_e32 v24, v24, v29
	v_and_b32_e32 v3, v3, v5
	v_cmp_gt_i64_e64 s[6:7], 0, v[36:37]
	v_ashrrev_i32_e32 v25, 31, v25
	v_and_b32_e32 v24, v24, v30
	v_and_b32_e32 v3, v3, v22
	v_not_b32_e32 v22, v39
	v_xor_b32_e32 v32, s7, v25
	v_xor_b32_e32 v25, s6, v25
	v_and_b32_e32 v5, v24, v31
	v_cmp_gt_i64_e32 vcc, 0, v[38:39]
	v_ashrrev_i32_e32 v22, 31, v22
	v_and_b32_e32 v5, v5, v32
	v_and_b32_e32 v3, v3, v25
	v_xor_b32_e32 v24, vcc_hi, v22
	v_xor_b32_e32 v22, vcc_lo, v22
	v_lshlrev_b32_e32 v25, 25, v40
	v_and_b32_e32 v5, v5, v24
	v_and_b32_e32 v3, v3, v22
	v_mov_b32_e32 v24, v23
	v_not_b32_e32 v22, v25
	v_cmp_gt_i64_e32 vcc, 0, v[24:25]
	v_ashrrev_i32_e32 v22, 31, v22
	v_lshlrev_b32_e32 v25, 24, v40
	v_xor_b32_e32 v24, vcc_hi, v22
	v_xor_b32_e32 v22, vcc_lo, v22
	v_and_b32_e32 v5, v5, v24
	v_and_b32_e32 v3, v3, v22
	v_mov_b32_e32 v24, v23
	v_not_b32_e32 v22, v25
	v_cmp_gt_i64_e32 vcc, 0, v[24:25]
	v_ashrrev_i32_e32 v22, 31, v22
	v_mul_lo_u32 v27, v40, s10
	v_xor_b32_e32 v24, vcc_hi, v22
	v_xor_b32_e32 v22, vcc_lo, v22
	v_and_b32_e32 v25, v5, v24
	v_and_b32_e32 v24, v3, v22
	v_mbcnt_lo_u32_b32 v3, v24, 0
	v_mbcnt_hi_u32_b32 v5, v25, v3
	v_cmp_eq_u32_e32 vcc, 0, v5
	v_cmp_ne_u64_e64 s[0:1], 0, v[24:25]
	v_lshl_add_u32 v27, v34, 2, v27
	s_and_b64 s[2:3], s[0:1], vcc
	s_and_saveexec_b64 s[0:1], s[2:3]
; %bb.122:
	v_bcnt_u32_b32 v3, v24, 0
	v_bcnt_u32_b32 v3, v25, v3
	ds_write_b32 v27, v3 offset:64
; %bb.123:
	s_or_b64 exec, exec, s[0:1]
	s_waitcnt vmcnt(6)
	v_xor_b32_e32 v9, 0x80000000, v9
	v_lshrrev_b64 v[24:25], s52, v[8:9]
	v_and_b32_e32 v28, s13, v24
	v_and_b32_e32 v22, 1, v28
	v_lshl_add_u64 v[24:25], v[22:23], 0, -1
	v_cmp_ne_u32_e32 vcc, 0, v22
	v_mul_lo_u32 v3, v28, s10
	v_lshl_add_u32 v30, v34, 2, v3
	v_xor_b32_e32 v24, vcc_lo, v24
	v_xor_b32_e32 v22, vcc_hi, v25
	v_and_b32_e32 v29, exec_lo, v24
	v_lshlrev_b32_e32 v25, 30, v28
	v_mov_b32_e32 v24, v23
	v_cmp_gt_i64_e32 vcc, 0, v[24:25]
	v_not_b32_e32 v24, v25
	v_ashrrev_i32_e32 v24, 31, v24
	v_and_b32_e32 v22, exec_hi, v22
	v_xor_b32_e32 v25, vcc_hi, v24
	v_xor_b32_e32 v24, vcc_lo, v24
	v_and_b32_e32 v22, v22, v25
	v_and_b32_e32 v29, v29, v24
	v_lshlrev_b32_e32 v25, 29, v28
	v_mov_b32_e32 v24, v23
	v_cmp_gt_i64_e32 vcc, 0, v[24:25]
	v_not_b32_e32 v24, v25
	v_ashrrev_i32_e32 v24, 31, v24
	v_xor_b32_e32 v25, vcc_hi, v24
	v_xor_b32_e32 v24, vcc_lo, v24
	v_and_b32_e32 v22, v22, v25
	v_and_b32_e32 v29, v29, v24
	v_lshlrev_b32_e32 v25, 28, v28
	v_mov_b32_e32 v24, v23
	v_cmp_gt_i64_e32 vcc, 0, v[24:25]
	v_not_b32_e32 v24, v25
	v_ashrrev_i32_e32 v24, 31, v24
	;; [unrolled: 9-line block ×5, first 2 shown]
	v_xor_b32_e32 v25, vcc_hi, v24
	v_xor_b32_e32 v24, vcc_lo, v24
	v_and_b32_e32 v22, v22, v25
	v_lshlrev_b32_e32 v25, 24, v28
	v_and_b32_e32 v29, v29, v24
	v_mov_b32_e32 v24, v23
	v_not_b32_e32 v23, v25
	v_cmp_gt_i64_e32 vcc, 0, v[24:25]
	v_ashrrev_i32_e32 v23, 31, v23
	s_nop 0
	v_xor_b32_e32 v24, vcc_hi, v23
	v_xor_b32_e32 v25, vcc_lo, v23
	; wave barrier
	ds_read_b32 v3, v30 offset:64
	v_and_b32_e32 v23, v22, v24
	v_and_b32_e32 v22, v29, v25
	v_mbcnt_lo_u32_b32 v24, v22, 0
	v_mbcnt_hi_u32_b32 v28, v23, v24
	v_cmp_eq_u32_e32 vcc, 0, v28
	v_cmp_ne_u64_e64 s[0:1], 0, v[22:23]
	s_and_b64 s[2:3], s[0:1], vcc
	; wave barrier
	s_and_saveexec_b64 s[0:1], s[2:3]
	s_cbranch_execz .LBB1216_125
; %bb.124:
	v_bcnt_u32_b32 v22, v22, 0
	v_bcnt_u32_b32 v22, v23, v22
	s_waitcnt lgkmcnt(0)
	v_add_u32_e32 v22, v3, v22
	ds_write_b32 v30, v22 offset:64
.LBB1216_125:
	s_or_b64 exec, exec, s[0:1]
	s_waitcnt vmcnt(5)
	v_xor_b32_e32 v11, 0x80000000, v11
	v_lshrrev_b64 v[22:23], s52, v[10:11]
	v_and_b32_e32 v31, s13, v22
	s_movk_i32 s2, 0x44
	v_mul_lo_u32 v22, v31, s2
	v_lshl_add_u32 v33, v34, 2, v22
	v_and_b32_e32 v22, 1, v31
	v_mov_b32_e32 v23, 0
	v_lshl_add_u64 v[24:25], v[22:23], 0, -1
	v_cmp_ne_u32_e32 vcc, 0, v22
	; wave barrier
	s_nop 1
	v_xor_b32_e32 v24, vcc_lo, v24
	v_xor_b32_e32 v22, vcc_hi, v25
	v_and_b32_e32 v32, exec_lo, v24
	v_lshlrev_b32_e32 v25, 30, v31
	v_mov_b32_e32 v24, v23
	v_cmp_gt_i64_e32 vcc, 0, v[24:25]
	v_not_b32_e32 v24, v25
	v_ashrrev_i32_e32 v24, 31, v24
	v_and_b32_e32 v22, exec_hi, v22
	v_xor_b32_e32 v25, vcc_hi, v24
	v_xor_b32_e32 v24, vcc_lo, v24
	v_and_b32_e32 v22, v22, v25
	v_and_b32_e32 v32, v32, v24
	v_lshlrev_b32_e32 v25, 29, v31
	v_mov_b32_e32 v24, v23
	v_cmp_gt_i64_e32 vcc, 0, v[24:25]
	v_not_b32_e32 v24, v25
	v_ashrrev_i32_e32 v24, 31, v24
	v_xor_b32_e32 v25, vcc_hi, v24
	v_xor_b32_e32 v24, vcc_lo, v24
	v_and_b32_e32 v22, v22, v25
	v_and_b32_e32 v32, v32, v24
	v_lshlrev_b32_e32 v25, 28, v31
	v_mov_b32_e32 v24, v23
	v_cmp_gt_i64_e32 vcc, 0, v[24:25]
	v_not_b32_e32 v24, v25
	v_ashrrev_i32_e32 v24, 31, v24
	;; [unrolled: 9-line block ×6, first 2 shown]
	v_xor_b32_e32 v25, vcc_hi, v24
	v_xor_b32_e32 v24, vcc_lo, v24
	ds_read_b32 v29, v33 offset:64
	v_and_b32_e32 v24, v32, v24
	v_and_b32_e32 v25, v22, v25
	v_mbcnt_lo_u32_b32 v22, v24, 0
	v_mbcnt_hi_u32_b32 v31, v25, v22
	v_cmp_eq_u32_e32 vcc, 0, v31
	v_cmp_ne_u64_e64 s[0:1], 0, v[24:25]
	s_and_b64 s[4:5], s[0:1], vcc
	; wave barrier
	s_and_saveexec_b64 s[0:1], s[4:5]
	s_cbranch_execz .LBB1216_127
; %bb.126:
	v_bcnt_u32_b32 v22, v24, 0
	v_bcnt_u32_b32 v22, v25, v22
	s_waitcnt lgkmcnt(0)
	v_add_u32_e32 v22, v29, v22
	ds_write_b32 v33, v22 offset:64
.LBB1216_127:
	s_or_b64 exec, exec, s[0:1]
	s_waitcnt vmcnt(4)
	v_xor_b32_e32 v13, 0x80000000, v13
	v_lshrrev_b64 v[24:25], s52, v[12:13]
	v_and_b32_e32 v35, s13, v24
	v_mul_lo_u32 v22, v35, s2
	v_lshl_add_u32 v37, v34, 2, v22
	v_and_b32_e32 v22, 1, v35
	v_lshl_add_u64 v[24:25], v[22:23], 0, -1
	v_cmp_ne_u32_e32 vcc, 0, v22
	; wave barrier
	s_nop 1
	v_xor_b32_e32 v24, vcc_lo, v24
	v_xor_b32_e32 v22, vcc_hi, v25
	v_and_b32_e32 v36, exec_lo, v24
	v_lshlrev_b32_e32 v25, 30, v35
	v_mov_b32_e32 v24, v23
	v_cmp_gt_i64_e32 vcc, 0, v[24:25]
	v_not_b32_e32 v24, v25
	v_ashrrev_i32_e32 v24, 31, v24
	v_and_b32_e32 v22, exec_hi, v22
	v_xor_b32_e32 v25, vcc_hi, v24
	v_xor_b32_e32 v24, vcc_lo, v24
	v_and_b32_e32 v22, v22, v25
	v_and_b32_e32 v36, v36, v24
	v_lshlrev_b32_e32 v25, 29, v35
	v_mov_b32_e32 v24, v23
	v_cmp_gt_i64_e32 vcc, 0, v[24:25]
	v_not_b32_e32 v24, v25
	v_ashrrev_i32_e32 v24, 31, v24
	v_xor_b32_e32 v25, vcc_hi, v24
	v_xor_b32_e32 v24, vcc_lo, v24
	v_and_b32_e32 v22, v22, v25
	v_and_b32_e32 v36, v36, v24
	v_lshlrev_b32_e32 v25, 28, v35
	v_mov_b32_e32 v24, v23
	v_cmp_gt_i64_e32 vcc, 0, v[24:25]
	v_not_b32_e32 v24, v25
	v_ashrrev_i32_e32 v24, 31, v24
	;; [unrolled: 9-line block ×5, first 2 shown]
	v_xor_b32_e32 v25, vcc_hi, v24
	v_xor_b32_e32 v24, vcc_lo, v24
	v_and_b32_e32 v22, v22, v25
	v_lshlrev_b32_e32 v25, 24, v35
	v_and_b32_e32 v36, v36, v24
	v_mov_b32_e32 v24, v23
	v_not_b32_e32 v23, v25
	v_cmp_gt_i64_e32 vcc, 0, v[24:25]
	v_ashrrev_i32_e32 v23, 31, v23
	ds_read_b32 v32, v37 offset:64
	v_xor_b32_e32 v24, vcc_hi, v23
	v_xor_b32_e32 v25, vcc_lo, v23
	v_and_b32_e32 v23, v22, v24
	v_and_b32_e32 v22, v36, v25
	v_mbcnt_lo_u32_b32 v24, v22, 0
	v_mbcnt_hi_u32_b32 v35, v23, v24
	v_cmp_eq_u32_e32 vcc, 0, v35
	v_cmp_ne_u64_e64 s[0:1], 0, v[22:23]
	s_and_b64 s[2:3], s[0:1], vcc
	; wave barrier
	s_and_saveexec_b64 s[0:1], s[2:3]
	s_cbranch_execz .LBB1216_129
; %bb.128:
	v_bcnt_u32_b32 v22, v22, 0
	v_bcnt_u32_b32 v22, v23, v22
	s_waitcnt lgkmcnt(0)
	v_add_u32_e32 v22, v32, v22
	ds_write_b32 v37, v22 offset:64
.LBB1216_129:
	s_or_b64 exec, exec, s[0:1]
	s_waitcnt vmcnt(3)
	v_xor_b32_e32 v15, 0x80000000, v15
	v_lshrrev_b64 v[22:23], s52, v[14:15]
	v_and_b32_e32 v38, s13, v22
	s_movk_i32 s2, 0x44
	v_mul_lo_u32 v22, v38, s2
	v_lshl_add_u32 v40, v34, 2, v22
	v_and_b32_e32 v22, 1, v38
	v_mov_b32_e32 v23, 0
	v_lshl_add_u64 v[24:25], v[22:23], 0, -1
	v_cmp_ne_u32_e32 vcc, 0, v22
	; wave barrier
	s_nop 1
	v_xor_b32_e32 v24, vcc_lo, v24
	v_xor_b32_e32 v22, vcc_hi, v25
	v_and_b32_e32 v39, exec_lo, v24
	v_lshlrev_b32_e32 v25, 30, v38
	v_mov_b32_e32 v24, v23
	v_cmp_gt_i64_e32 vcc, 0, v[24:25]
	v_not_b32_e32 v24, v25
	v_ashrrev_i32_e32 v24, 31, v24
	v_and_b32_e32 v22, exec_hi, v22
	v_xor_b32_e32 v25, vcc_hi, v24
	v_xor_b32_e32 v24, vcc_lo, v24
	v_and_b32_e32 v22, v22, v25
	v_and_b32_e32 v39, v39, v24
	v_lshlrev_b32_e32 v25, 29, v38
	v_mov_b32_e32 v24, v23
	v_cmp_gt_i64_e32 vcc, 0, v[24:25]
	v_not_b32_e32 v24, v25
	v_ashrrev_i32_e32 v24, 31, v24
	v_xor_b32_e32 v25, vcc_hi, v24
	v_xor_b32_e32 v24, vcc_lo, v24
	v_and_b32_e32 v22, v22, v25
	v_and_b32_e32 v39, v39, v24
	v_lshlrev_b32_e32 v25, 28, v38
	v_mov_b32_e32 v24, v23
	v_cmp_gt_i64_e32 vcc, 0, v[24:25]
	v_not_b32_e32 v24, v25
	v_ashrrev_i32_e32 v24, 31, v24
	;; [unrolled: 9-line block ×6, first 2 shown]
	v_xor_b32_e32 v25, vcc_hi, v24
	v_xor_b32_e32 v24, vcc_lo, v24
	ds_read_b32 v36, v40 offset:64
	v_and_b32_e32 v24, v39, v24
	v_and_b32_e32 v25, v22, v25
	v_mbcnt_lo_u32_b32 v22, v24, 0
	v_mbcnt_hi_u32_b32 v38, v25, v22
	v_cmp_eq_u32_e32 vcc, 0, v38
	v_cmp_ne_u64_e64 s[0:1], 0, v[24:25]
	s_and_b64 s[4:5], s[0:1], vcc
	; wave barrier
	s_and_saveexec_b64 s[0:1], s[4:5]
	s_cbranch_execz .LBB1216_131
; %bb.130:
	v_bcnt_u32_b32 v22, v24, 0
	v_bcnt_u32_b32 v22, v25, v22
	s_waitcnt lgkmcnt(0)
	v_add_u32_e32 v22, v36, v22
	ds_write_b32 v40, v22 offset:64
.LBB1216_131:
	s_or_b64 exec, exec, s[0:1]
	s_waitcnt vmcnt(2)
	v_xor_b32_e32 v17, 0x80000000, v17
	v_lshrrev_b64 v[24:25], s52, v[16:17]
	v_and_b32_e32 v41, s13, v24
	v_mul_lo_u32 v22, v41, s2
	v_lshl_add_u32 v43, v34, 2, v22
	v_and_b32_e32 v22, 1, v41
	v_lshl_add_u64 v[24:25], v[22:23], 0, -1
	v_cmp_ne_u32_e32 vcc, 0, v22
	; wave barrier
	s_nop 1
	v_xor_b32_e32 v24, vcc_lo, v24
	v_xor_b32_e32 v22, vcc_hi, v25
	v_and_b32_e32 v42, exec_lo, v24
	v_lshlrev_b32_e32 v25, 30, v41
	v_mov_b32_e32 v24, v23
	v_cmp_gt_i64_e32 vcc, 0, v[24:25]
	v_not_b32_e32 v24, v25
	v_ashrrev_i32_e32 v24, 31, v24
	v_and_b32_e32 v22, exec_hi, v22
	v_xor_b32_e32 v25, vcc_hi, v24
	v_xor_b32_e32 v24, vcc_lo, v24
	v_and_b32_e32 v22, v22, v25
	v_and_b32_e32 v42, v42, v24
	v_lshlrev_b32_e32 v25, 29, v41
	v_mov_b32_e32 v24, v23
	v_cmp_gt_i64_e32 vcc, 0, v[24:25]
	v_not_b32_e32 v24, v25
	v_ashrrev_i32_e32 v24, 31, v24
	v_xor_b32_e32 v25, vcc_hi, v24
	v_xor_b32_e32 v24, vcc_lo, v24
	v_and_b32_e32 v22, v22, v25
	v_and_b32_e32 v42, v42, v24
	v_lshlrev_b32_e32 v25, 28, v41
	v_mov_b32_e32 v24, v23
	v_cmp_gt_i64_e32 vcc, 0, v[24:25]
	v_not_b32_e32 v24, v25
	v_ashrrev_i32_e32 v24, 31, v24
	;; [unrolled: 9-line block ×5, first 2 shown]
	v_xor_b32_e32 v25, vcc_hi, v24
	v_xor_b32_e32 v24, vcc_lo, v24
	v_and_b32_e32 v22, v22, v25
	v_lshlrev_b32_e32 v25, 24, v41
	v_and_b32_e32 v42, v42, v24
	v_mov_b32_e32 v24, v23
	v_not_b32_e32 v23, v25
	v_cmp_gt_i64_e32 vcc, 0, v[24:25]
	v_ashrrev_i32_e32 v23, 31, v23
	ds_read_b32 v39, v43 offset:64
	v_xor_b32_e32 v24, vcc_hi, v23
	v_xor_b32_e32 v25, vcc_lo, v23
	v_and_b32_e32 v23, v22, v24
	v_and_b32_e32 v22, v42, v25
	v_mbcnt_lo_u32_b32 v24, v22, 0
	v_mbcnt_hi_u32_b32 v41, v23, v24
	v_cmp_eq_u32_e32 vcc, 0, v41
	v_cmp_ne_u64_e64 s[0:1], 0, v[22:23]
	s_and_b64 s[2:3], s[0:1], vcc
	; wave barrier
	s_and_saveexec_b64 s[0:1], s[2:3]
	s_cbranch_execz .LBB1216_133
; %bb.132:
	v_bcnt_u32_b32 v22, v22, 0
	v_bcnt_u32_b32 v22, v23, v22
	s_waitcnt lgkmcnt(0)
	v_add_u32_e32 v22, v39, v22
	ds_write_b32 v43, v22 offset:64
.LBB1216_133:
	s_or_b64 exec, exec, s[0:1]
	s_waitcnt vmcnt(1)
	v_xor_b32_e32 v19, 0x80000000, v19
	v_lshrrev_b64 v[22:23], s52, v[18:19]
	v_and_b32_e32 v44, s13, v22
	s_movk_i32 s2, 0x44
	v_mul_lo_u32 v22, v44, s2
	v_lshl_add_u32 v46, v34, 2, v22
	v_and_b32_e32 v22, 1, v44
	v_mov_b32_e32 v23, 0
	v_lshl_add_u64 v[24:25], v[22:23], 0, -1
	v_cmp_ne_u32_e32 vcc, 0, v22
	; wave barrier
	s_nop 1
	v_xor_b32_e32 v24, vcc_lo, v24
	v_xor_b32_e32 v22, vcc_hi, v25
	v_and_b32_e32 v45, exec_lo, v24
	v_lshlrev_b32_e32 v25, 30, v44
	v_mov_b32_e32 v24, v23
	v_cmp_gt_i64_e32 vcc, 0, v[24:25]
	v_not_b32_e32 v24, v25
	v_ashrrev_i32_e32 v24, 31, v24
	v_and_b32_e32 v22, exec_hi, v22
	v_xor_b32_e32 v25, vcc_hi, v24
	v_xor_b32_e32 v24, vcc_lo, v24
	v_and_b32_e32 v22, v22, v25
	v_and_b32_e32 v45, v45, v24
	v_lshlrev_b32_e32 v25, 29, v44
	v_mov_b32_e32 v24, v23
	v_cmp_gt_i64_e32 vcc, 0, v[24:25]
	v_not_b32_e32 v24, v25
	v_ashrrev_i32_e32 v24, 31, v24
	v_xor_b32_e32 v25, vcc_hi, v24
	v_xor_b32_e32 v24, vcc_lo, v24
	v_and_b32_e32 v22, v22, v25
	v_and_b32_e32 v45, v45, v24
	v_lshlrev_b32_e32 v25, 28, v44
	v_mov_b32_e32 v24, v23
	v_cmp_gt_i64_e32 vcc, 0, v[24:25]
	v_not_b32_e32 v24, v25
	v_ashrrev_i32_e32 v24, 31, v24
	;; [unrolled: 9-line block ×6, first 2 shown]
	v_xor_b32_e32 v25, vcc_hi, v24
	v_xor_b32_e32 v24, vcc_lo, v24
	ds_read_b32 v42, v46 offset:64
	v_and_b32_e32 v24, v45, v24
	v_and_b32_e32 v25, v22, v25
	v_mbcnt_lo_u32_b32 v22, v24, 0
	v_mbcnt_hi_u32_b32 v44, v25, v22
	v_cmp_eq_u32_e32 vcc, 0, v44
	v_cmp_ne_u64_e64 s[0:1], 0, v[24:25]
	s_and_b64 s[4:5], s[0:1], vcc
	; wave barrier
	s_and_saveexec_b64 s[0:1], s[4:5]
	s_cbranch_execz .LBB1216_135
; %bb.134:
	v_bcnt_u32_b32 v22, v24, 0
	v_bcnt_u32_b32 v22, v25, v22
	s_waitcnt lgkmcnt(0)
	v_add_u32_e32 v22, v42, v22
	ds_write_b32 v46, v22 offset:64
.LBB1216_135:
	s_or_b64 exec, exec, s[0:1]
	s_waitcnt vmcnt(0)
	v_xor_b32_e32 v21, 0x80000000, v21
	v_lshrrev_b64 v[24:25], s52, v[20:21]
	v_and_b32_e32 v47, s13, v24
	v_mul_lo_u32 v22, v47, s2
	v_lshl_add_u32 v48, v34, 2, v22
	v_and_b32_e32 v22, 1, v47
	v_lshl_add_u64 v[24:25], v[22:23], 0, -1
	v_cmp_ne_u32_e32 vcc, 0, v22
	; wave barrier
	s_nop 1
	v_xor_b32_e32 v24, vcc_lo, v24
	v_xor_b32_e32 v22, vcc_hi, v25
	v_and_b32_e32 v34, exec_lo, v24
	v_lshlrev_b32_e32 v25, 30, v47
	v_mov_b32_e32 v24, v23
	v_cmp_gt_i64_e32 vcc, 0, v[24:25]
	v_not_b32_e32 v24, v25
	v_ashrrev_i32_e32 v24, 31, v24
	v_and_b32_e32 v22, exec_hi, v22
	v_xor_b32_e32 v25, vcc_hi, v24
	v_xor_b32_e32 v24, vcc_lo, v24
	v_and_b32_e32 v22, v22, v25
	v_and_b32_e32 v34, v34, v24
	v_lshlrev_b32_e32 v25, 29, v47
	v_mov_b32_e32 v24, v23
	v_cmp_gt_i64_e32 vcc, 0, v[24:25]
	v_not_b32_e32 v24, v25
	v_ashrrev_i32_e32 v24, 31, v24
	v_xor_b32_e32 v25, vcc_hi, v24
	v_xor_b32_e32 v24, vcc_lo, v24
	v_and_b32_e32 v22, v22, v25
	v_and_b32_e32 v34, v34, v24
	v_lshlrev_b32_e32 v25, 28, v47
	v_mov_b32_e32 v24, v23
	v_cmp_gt_i64_e32 vcc, 0, v[24:25]
	v_not_b32_e32 v24, v25
	v_ashrrev_i32_e32 v24, 31, v24
	;; [unrolled: 9-line block ×5, first 2 shown]
	v_xor_b32_e32 v25, vcc_hi, v24
	v_xor_b32_e32 v24, vcc_lo, v24
	v_and_b32_e32 v22, v22, v25
	v_lshlrev_b32_e32 v25, 24, v47
	v_and_b32_e32 v34, v34, v24
	v_mov_b32_e32 v24, v23
	v_not_b32_e32 v23, v25
	v_cmp_gt_i64_e32 vcc, 0, v[24:25]
	v_ashrrev_i32_e32 v23, 31, v23
	ds_read_b32 v45, v48 offset:64
	v_xor_b32_e32 v24, vcc_hi, v23
	v_xor_b32_e32 v25, vcc_lo, v23
	v_and_b32_e32 v23, v22, v24
	v_and_b32_e32 v22, v34, v25
	v_mbcnt_lo_u32_b32 v24, v22, 0
	v_mbcnt_hi_u32_b32 v47, v23, v24
	v_cmp_eq_u32_e32 vcc, 0, v47
	v_cmp_ne_u64_e64 s[0:1], 0, v[22:23]
	s_and_b64 s[2:3], s[0:1], vcc
	; wave barrier
	s_and_saveexec_b64 s[0:1], s[2:3]
	s_cbranch_execz .LBB1216_137
; %bb.136:
	v_bcnt_u32_b32 v22, v22, 0
	v_bcnt_u32_b32 v22, v23, v22
	s_waitcnt lgkmcnt(0)
	v_add_u32_e32 v22, v45, v22
	ds_write_b32 v48, v22 offset:64
.LBB1216_137:
	s_or_b64 exec, exec, s[0:1]
	; wave barrier
	s_waitcnt lgkmcnt(0)
	s_barrier
	ds_read2_b32 v[24:25], v1 offset0:16 offset1:17
	ds_read2_b32 v[22:23], v1 offset0:18 offset1:19
	ds_read_b32 v34, v1 offset:80
	v_cmp_lt_u32_e64 s[6:7], 31, v26
	s_waitcnt lgkmcnt(1)
	v_add3_u32 v49, v25, v24, v22
	s_waitcnt lgkmcnt(0)
	v_add3_u32 v34, v49, v23, v34
	v_and_b32_e32 v49, 15, v26
	v_cmp_eq_u32_e32 vcc, 0, v49
	v_mov_b32_dpp v50, v34 row_shr:1 row_mask:0xf bank_mask:0xf
	v_cmp_lt_u32_e64 s[0:1], 1, v49
	v_cndmask_b32_e64 v50, v50, 0, vcc
	v_add_u32_e32 v34, v50, v34
	v_cmp_lt_u32_e64 s[2:3], 3, v49
	v_cmp_lt_u32_e64 s[4:5], 7, v49
	v_mov_b32_dpp v50, v34 row_shr:2 row_mask:0xf bank_mask:0xf
	v_cndmask_b32_e64 v50, 0, v50, s[0:1]
	v_add_u32_e32 v34, v34, v50
	s_nop 1
	v_mov_b32_dpp v50, v34 row_shr:4 row_mask:0xf bank_mask:0xf
	v_cndmask_b32_e64 v50, 0, v50, s[2:3]
	v_add_u32_e32 v34, v34, v50
	s_nop 1
	v_mov_b32_dpp v50, v34 row_shr:8 row_mask:0xf bank_mask:0xf
	v_cndmask_b32_e64 v49, 0, v50, s[4:5]
	v_add_u32_e32 v34, v34, v49
	v_bfe_i32 v50, v26, 4, 1
	s_nop 0
	v_mov_b32_dpp v49, v34 row_bcast:15 row_mask:0xf bank_mask:0xf
	v_and_b32_e32 v49, v50, v49
	v_add_u32_e32 v34, v34, v49
	v_lshrrev_b32_e32 v50, 6, v2
	s_nop 0
	v_mov_b32_dpp v49, v34 row_bcast:31 row_mask:0xf bank_mask:0xf
	v_cndmask_b32_e64 v49, 0, v49, s[6:7]
	v_add_u32_e32 v49, v34, v49
	v_and_b32_e32 v34, 63, v2
	v_cmp_eq_u32_e64 s[6:7], 63, v34
	s_and_saveexec_b64 s[10:11], s[6:7]
; %bb.138:
	v_lshlrev_b32_e32 v34, 2, v50
	ds_write_b32 v34, v49
; %bb.139:
	s_or_b64 exec, exec, s[10:11]
	v_cmp_gt_u32_e64 s[6:7], 16, v2
	v_lshlrev_b32_e32 v34, 2, v2
	s_waitcnt lgkmcnt(0)
	s_barrier
	s_and_saveexec_b64 s[10:11], s[6:7]
	s_cbranch_execz .LBB1216_141
; %bb.140:
	ds_read_b32 v51, v34
	s_waitcnt lgkmcnt(0)
	s_nop 0
	v_mov_b32_dpp v52, v51 row_shr:1 row_mask:0xf bank_mask:0xf
	v_cndmask_b32_e64 v52, v52, 0, vcc
	v_add_u32_e32 v51, v52, v51
	s_nop 1
	v_mov_b32_dpp v52, v51 row_shr:2 row_mask:0xf bank_mask:0xf
	v_cndmask_b32_e64 v52, 0, v52, s[0:1]
	v_add_u32_e32 v51, v51, v52
	s_nop 1
	v_mov_b32_dpp v52, v51 row_shr:4 row_mask:0xf bank_mask:0xf
	v_cndmask_b32_e64 v52, 0, v52, s[2:3]
	;; [unrolled: 4-line block ×3, first 2 shown]
	v_add_u32_e32 v51, v51, v52
	ds_write_b32 v34, v51
.LBB1216_141:
	s_or_b64 exec, exec, s[10:11]
	v_cmp_lt_u32_e32 vcc, 63, v2
	v_mov_b32_e32 v51, 0
	s_waitcnt lgkmcnt(0)
	s_barrier
	s_and_saveexec_b64 s[0:1], vcc
; %bb.142:
	v_lshl_add_u32 v50, v50, 2, -4
	ds_read_b32 v51, v50
; %bb.143:
	s_or_b64 exec, exec, s[0:1]
	v_subrev_co_u32_e32 v50, vcc, 1, v26
	v_and_b32_e32 v52, 64, v26
	v_cmp_lt_i32_e64 s[0:1], v50, v52
	s_waitcnt lgkmcnt(0)
	v_add_u32_e32 v49, v51, v49
	s_movk_i32 s2, 0x100
	v_cndmask_b32_e64 v26, v50, v26, s[0:1]
	v_lshlrev_b32_e32 v26, 2, v26
	ds_bpermute_b32 v26, v26, v49
	s_movk_i32 s0, 0xff
	s_waitcnt lgkmcnt(0)
	v_cndmask_b32_e32 v26, v26, v51, vcc
	v_cndmask_b32_e64 v26, v26, 0, s[18:19]
	v_add_u32_e32 v24, v26, v24
	v_add_u32_e32 v25, v24, v25
	;; [unrolled: 1-line block ×4, first 2 shown]
	ds_write2_b32 v1, v26, v24 offset0:16 offset1:17
	ds_write2_b32 v1, v25, v22 offset0:18 offset1:19
	ds_write_b32 v1, v23 offset:80
	s_waitcnt lgkmcnt(0)
	s_barrier
	ds_read_b32 v52, v27 offset:64
	ds_read_b32 v1, v30 offset:64
	;; [unrolled: 1-line block ×8, first 2 shown]
	v_cmp_lt_u32_e32 vcc, s0, v2
	v_cmp_gt_u32_e64 s[0:1], s2, v2
                                        ; implicit-def: $vgpr30
                                        ; implicit-def: $vgpr33
	s_and_saveexec_b64 s[4:5], s[0:1]
	s_cbranch_execz .LBB1216_147
; %bb.144:
	v_mul_u32_u24_e32 v22, 0x44, v2
	ds_read_b32 v30, v22 offset:64
	v_add_u32_e32 v23, 1, v2
	v_cmp_ne_u32_e64 s[2:3], s2, v23
	v_mov_b32_e32 v22, 0x2000
	s_and_saveexec_b64 s[6:7], s[2:3]
; %bb.145:
	v_mul_u32_u24_e32 v22, 0x44, v23
	ds_read_b32 v22, v22 offset:64
; %bb.146:
	s_or_b64 exec, exec, s[6:7]
	s_waitcnt lgkmcnt(0)
	v_sub_u32_e32 v33, v22, v30
.LBB1216_147:
	s_or_b64 exec, exec, s[4:5]
	v_mov_b32_e32 v23, 0
	s_waitcnt lgkmcnt(0)
	s_barrier
	s_and_saveexec_b64 s[2:3], s[0:1]
	s_cbranch_execz .LBB1216_157
; %bb.148:
	v_lshl_add_u32 v22, s33, 8, v2
	v_lshl_add_u64 v[24:25], v[22:23], 2, s[56:57]
	v_or_b32_e32 v22, 2.0, v33
	s_mov_b64 s[4:5], 0
	s_brev_b32 s14, -4
	s_mov_b32 s15, s33
	v_mov_b32_e32 v46, 0
	global_store_dword v[24:25], v22, off sc1
                                        ; implicit-def: $sgpr0_sgpr1
	s_branch .LBB1216_151
.LBB1216_149:                           ;   in Loop: Header=BB1216_151 Depth=1
	s_or_b64 exec, exec, s[10:11]
.LBB1216_150:                           ;   in Loop: Header=BB1216_151 Depth=1
	s_or_b64 exec, exec, s[6:7]
	v_and_b32_e32 v26, 0x3fffffff, v22
	v_add_u32_e32 v46, v26, v46
	v_cmp_gt_i32_e64 s[0:1], -2.0, v22
	s_and_b64 s[6:7], exec, s[0:1]
	s_or_b64 s[4:5], s[6:7], s[4:5]
	s_andn2_b64 exec, exec, s[4:5]
	s_cbranch_execz .LBB1216_156
.LBB1216_151:                           ; =>This Loop Header: Depth=1
                                        ;     Child Loop BB1216_154 Depth 2
	s_or_b64 s[0:1], s[0:1], exec
	s_cmp_eq_u32 s15, 0
	s_cbranch_scc1 .LBB1216_155
; %bb.152:                              ;   in Loop: Header=BB1216_151 Depth=1
	s_add_i32 s15, s15, -1
	v_lshl_or_b32 v22, s15, 8, v2
	v_lshl_add_u64 v[26:27], v[22:23], 2, s[56:57]
	global_load_dword v22, v[26:27], off sc1
	s_waitcnt vmcnt(0)
	v_cmp_gt_u32_e64 s[0:1], 2.0, v22
	s_and_saveexec_b64 s[6:7], s[0:1]
	s_cbranch_execz .LBB1216_150
; %bb.153:                              ;   in Loop: Header=BB1216_151 Depth=1
	s_mov_b64 s[10:11], 0
.LBB1216_154:                           ;   Parent Loop BB1216_151 Depth=1
                                        ; =>  This Inner Loop Header: Depth=2
	global_load_dword v22, v[26:27], off sc1
	s_waitcnt vmcnt(0)
	v_cmp_lt_u32_e64 s[0:1], s14, v22
	s_or_b64 s[10:11], s[0:1], s[10:11]
	s_andn2_b64 exec, exec, s[10:11]
	s_cbranch_execnz .LBB1216_154
	s_branch .LBB1216_149
.LBB1216_155:                           ;   in Loop: Header=BB1216_151 Depth=1
                                        ; implicit-def: $sgpr15
	s_and_b64 s[6:7], exec, s[0:1]
	s_or_b64 s[4:5], s[6:7], s[4:5]
	s_andn2_b64 exec, exec, s[4:5]
	s_cbranch_execnz .LBB1216_151
.LBB1216_156:
	s_or_b64 exec, exec, s[4:5]
	v_add_u32_e32 v22, v46, v33
	v_or_b32_e32 v22, 0x80000000, v22
	global_store_dword v[24:25], v22, off sc1
	global_load_dword v22, v34, s[48:49]
	v_sub_u32_e32 v23, v46, v30
	s_waitcnt vmcnt(0)
	v_add_u32_e32 v22, v23, v22
	ds_write_b32 v34, v22
.LBB1216_157:
	s_or_b64 exec, exec, s[2:3]
	v_add_u32_e32 v24, v52, v5
	v_add3_u32 v5, v28, v3, v1
	v_add3_u32 v22, v31, v29, v49
	;; [unrolled: 1-line block ×7, first 2 shown]
	v_mov_b32_e32 v52, 0x400
	s_mov_b32 s4, s52
	s_mov_b32 s5, s13
	s_movk_i32 s6, 0x400
	v_lshl_add_u32 v25, v25, 3, v52
	v_add3_u32 v26, v47, v40, v45
	v_lshl_add_u32 v27, v27, 3, v52
	v_add3_u32 v37, v44, v37, v42
	;; [unrolled: 2-line block ×7, first 2 shown]
	v_lshl_add_u32 v28, v24, 3, v52
	s_mov_b32 s7, 0
	s_mov_b32 s10, 0
	s_movk_i32 s11, 0x800
	v_add_u32_e32 v42, v34, v34
	v_mov_b32_e32 v23, 0
	v_mov_b32_e32 v1, v2
	s_mov_b32 s14, 0
	s_branch .LBB1216_159
.LBB1216_158:                           ;   in Loop: Header=BB1216_159 Depth=1
	s_or_b64 exec, exec, s[2:3]
	s_waitcnt lgkmcnt(0)
	s_barrier
	ds_read2st64_b64 v[44:47], v42 offset0:2 offset1:18
	s_addk_i32 s14, 0xc000
	s_addk_i32 s10, 0xf800
	s_waitcnt lgkmcnt(0)
	v_xor_b32_e32 v49, 0x80000000, v45
	v_mov_b32_e32 v48, v44
	v_lshrrev_b64 v[44:45], s52, v[44:45]
	v_lshrrev_b64 v[52:53], s4, v[46:47]
	v_and_b32_e32 v44, s13, v44
	v_lshlrev_b32_e32 v5, 2, v44
	v_and_b32_e32 v45, s5, v52
	ds_read_b32 v5, v5
	v_lshlrev_b32_e32 v22, 2, v45
	ds_read_b32 v43, v22
	v_xor_b32_e32 v51, 0x80000000, v47
	v_mov_b32_e32 v50, v46
	s_waitcnt lgkmcnt(1)
	v_add_u32_e32 v22, v1, v5
	v_lshl_add_u64 v[46:47], v[22:23], 3, s[42:43]
	s_waitcnt lgkmcnt(0)
	v_add3_u32 v22, v1, v43, s6
	global_store_dwordx2 v[46:47], v[48:49], off
	v_lshl_add_u64 v[46:47], v[22:23], 3, s[42:43]
	global_store_dwordx2 v[46:47], v[50:51], off
	scratch_store_dwordx2 off, v[44:45], s7
	s_add_i32 s7, s7, 8
	s_cmp_eq_u32 s14, 0xffff0000
	v_add_u32_e32 v1, 0x800, v1
	s_barrier
	s_cbranch_scc1 .LBB1216_175
.LBB1216_159:                           ; =>This Inner Loop Header: Depth=1
	v_add_u32_e32 v5, s10, v24
	v_cmp_gt_u32_e64 s[0:1], s11, v5
	s_and_saveexec_b64 s[2:3], s[0:1]
; %bb.160:                              ;   in Loop: Header=BB1216_159 Depth=1
	v_add_u32_e32 v5, s14, v28
	ds_write_b64 v5, v[6:7]
; %bb.161:                              ;   in Loop: Header=BB1216_159 Depth=1
	s_or_b64 exec, exec, s[2:3]
	v_add_u32_e32 v5, s10, v3
	v_cmp_gt_u32_e64 s[0:1], s11, v5
	s_and_saveexec_b64 s[2:3], s[0:1]
; %bb.162:                              ;   in Loop: Header=BB1216_159 Depth=1
	v_add_u32_e32 v5, s14, v31
	ds_write_b64 v5, v[8:9]
; %bb.163:                              ;   in Loop: Header=BB1216_159 Depth=1
	s_or_b64 exec, exec, s[2:3]
	;; [unrolled: 8-line block ×7, first 2 shown]
	v_add_u32_e32 v5, s10, v26
	v_cmp_gt_u32_e64 s[0:1], s11, v5
	s_and_saveexec_b64 s[2:3], s[0:1]
	s_cbranch_execz .LBB1216_158
; %bb.174:                              ;   in Loop: Header=BB1216_159 Depth=1
	v_add_u32_e32 v5, s14, v25
	ds_write_b64 v5, v[20:21]
	s_branch .LBB1216_158
.LBB1216_175:
	s_add_u32 s0, s44, s8
	s_addc_u32 s1, s45, s9
	v_mov_b32_e32 v1, 0
	v_lshl_add_u64 v[6:7], s[0:1], 0, v[0:1]
	v_mov_b32_e32 v5, v1
	v_lshl_add_u64 v[20:21], v[6:7], 0, v[4:5]
	global_load_dwordx2 v[4:5], v[20:21], off
	global_load_dwordx2 v[6:7], v[20:21], off offset:512
	global_load_dwordx2 v[8:9], v[20:21], off offset:1024
	;; [unrolled: 1-line block ×7, first 2 shown]
	s_mov_b32 s4, 0
	s_mov_b32 s5, 0
	s_movk_i32 s6, 0x800
	s_movk_i32 s7, 0x400
	s_mov_b32 s8, 0
	s_branch .LBB1216_177
.LBB1216_176:                           ;   in Loop: Header=BB1216_177 Depth=1
	s_or_b64 exec, exec, s[2:3]
	s_waitcnt lgkmcnt(0)
	s_barrier
	scratch_load_dwordx2 v[44:45], off, s4
	ds_read2st64_b64 v[20:23], v42 offset0:2 offset1:18
	s_addk_i32 s8, 0xc000
	s_addk_i32 s5, 0xf800
	s_add_i32 s4, s4, 8
	s_cmp_eq_u32 s8, 0xffff0000
	s_waitcnt vmcnt(0)
	v_lshlrev_b32_e32 v0, 2, v44
	ds_read_b32 v0, v0
	v_lshlrev_b32_e32 v43, 2, v45
	ds_read_b32 v43, v43
	s_waitcnt lgkmcnt(1)
	v_add_u32_e32 v0, v2, v0
	v_lshl_add_u64 v[44:45], v[0:1], 3, s[46:47]
	s_waitcnt lgkmcnt(0)
	v_add3_u32 v0, v2, v43, s7
	global_store_dwordx2 v[44:45], v[20:21], off
	v_lshl_add_u64 v[20:21], v[0:1], 3, s[46:47]
	v_add_u32_e32 v2, 0x800, v2
	global_store_dwordx2 v[20:21], v[22:23], off
	s_barrier
	s_cbranch_scc1 .LBB1216_193
.LBB1216_177:                           ; =>This Inner Loop Header: Depth=1
	v_add_u32_e32 v0, s5, v24
	v_cmp_gt_u32_e64 s[0:1], s6, v0
	s_and_saveexec_b64 s[2:3], s[0:1]
	s_cbranch_execz .LBB1216_179
; %bb.178:                              ;   in Loop: Header=BB1216_177 Depth=1
	v_add_u32_e32 v0, s8, v28
	s_waitcnt vmcnt(7)
	ds_write_b64 v0, v[4:5]
.LBB1216_179:                           ;   in Loop: Header=BB1216_177 Depth=1
	s_or_b64 exec, exec, s[2:3]
	v_add_u32_e32 v0, s5, v3
	v_cmp_gt_u32_e64 s[0:1], s6, v0
	s_and_saveexec_b64 s[2:3], s[0:1]
	s_cbranch_execz .LBB1216_181
; %bb.180:                              ;   in Loop: Header=BB1216_177 Depth=1
	v_add_u32_e32 v0, s8, v31
	s_waitcnt vmcnt(6)
	ds_write_b64 v0, v[6:7]
.LBB1216_181:                           ;   in Loop: Header=BB1216_177 Depth=1
	s_or_b64 exec, exec, s[2:3]
	;; [unrolled: 10-line block ×7, first 2 shown]
	v_add_u32_e32 v0, s5, v26
	v_cmp_gt_u32_e64 s[0:1], s6, v0
	s_and_saveexec_b64 s[2:3], s[0:1]
	s_cbranch_execz .LBB1216_176
; %bb.192:                              ;   in Loop: Header=BB1216_177 Depth=1
	v_add_u32_e32 v0, s8, v25
	s_waitcnt vmcnt(0)
	ds_write_b64 v0, v[18:19]
	s_branch .LBB1216_176
.LBB1216_193:
	s_add_i32 s12, s12, -1
	s_cmp_eq_u32 s33, s12
	s_cselect_b64 s[0:1], -1, 0
	s_xor_b64 s[2:3], vcc, -1
	s_and_b64 s[0:1], s[2:3], s[0:1]
	s_and_saveexec_b64 s[2:3], s[0:1]
	s_cbranch_execz .LBB1216_195
; %bb.194:
	ds_read_b32 v0, v34
	s_waitcnt lgkmcnt(0)
	v_add3_u32 v0, v30, v33, v0
	global_store_dword v34, v0, s[50:51]
.LBB1216_195:
	s_endpgm
	.section	.rodata,"a",@progbits
	.p2align	6, 0x0
	.amdhsa_kernel _ZN7rocprim17ROCPRIM_400000_NS6detail17trampoline_kernelINS0_14default_configENS1_35radix_sort_onesweep_config_selectorIxxEEZZNS1_29radix_sort_onesweep_iterationIS3_Lb0EN6thrust23THRUST_200600_302600_NS6detail15normal_iteratorINS8_10device_ptrIxEEEESD_SD_SD_jNS0_19identity_decomposerENS1_16block_id_wrapperIjLb1EEEEE10hipError_tT1_PNSt15iterator_traitsISI_E10value_typeET2_T3_PNSJ_ISO_E10value_typeET4_T5_PST_SU_PNS1_23onesweep_lookback_stateEbbT6_jjT7_P12ihipStream_tbENKUlT_T0_SI_SN_E_clIPxSD_S15_SD_EEDaS11_S12_SI_SN_EUlS11_E_NS1_11comp_targetILNS1_3genE6ELNS1_11target_archE950ELNS1_3gpuE13ELNS1_3repE0EEENS1_47radix_sort_onesweep_sort_config_static_selectorELNS0_4arch9wavefront6targetE1EEEvSI_
		.amdhsa_group_segment_fixed_size 53328
		.amdhsa_private_segment_fixed_size 48
		.amdhsa_kernarg_size 344
		.amdhsa_user_sgpr_count 4
		.amdhsa_user_sgpr_dispatch_ptr 1
		.amdhsa_user_sgpr_queue_ptr 0
		.amdhsa_user_sgpr_kernarg_segment_ptr 1
		.amdhsa_user_sgpr_dispatch_id 0
		.amdhsa_user_sgpr_kernarg_preload_length 0
		.amdhsa_user_sgpr_kernarg_preload_offset 0
		.amdhsa_user_sgpr_private_segment_size 0
		.amdhsa_uses_dynamic_stack 0
		.amdhsa_enable_private_segment 1
		.amdhsa_system_sgpr_workgroup_id_x 1
		.amdhsa_system_sgpr_workgroup_id_y 0
		.amdhsa_system_sgpr_workgroup_id_z 0
		.amdhsa_system_sgpr_workgroup_info 0
		.amdhsa_system_vgpr_workitem_id 2
		.amdhsa_next_free_vgpr 58
		.amdhsa_next_free_sgpr 61
		.amdhsa_accum_offset 60
		.amdhsa_reserve_vcc 1
		.amdhsa_float_round_mode_32 0
		.amdhsa_float_round_mode_16_64 0
		.amdhsa_float_denorm_mode_32 3
		.amdhsa_float_denorm_mode_16_64 3
		.amdhsa_dx10_clamp 1
		.amdhsa_ieee_mode 1
		.amdhsa_fp16_overflow 0
		.amdhsa_tg_split 0
		.amdhsa_exception_fp_ieee_invalid_op 0
		.amdhsa_exception_fp_denorm_src 0
		.amdhsa_exception_fp_ieee_div_zero 0
		.amdhsa_exception_fp_ieee_overflow 0
		.amdhsa_exception_fp_ieee_underflow 0
		.amdhsa_exception_fp_ieee_inexact 0
		.amdhsa_exception_int_div_zero 0
	.end_amdhsa_kernel
	.section	.text._ZN7rocprim17ROCPRIM_400000_NS6detail17trampoline_kernelINS0_14default_configENS1_35radix_sort_onesweep_config_selectorIxxEEZZNS1_29radix_sort_onesweep_iterationIS3_Lb0EN6thrust23THRUST_200600_302600_NS6detail15normal_iteratorINS8_10device_ptrIxEEEESD_SD_SD_jNS0_19identity_decomposerENS1_16block_id_wrapperIjLb1EEEEE10hipError_tT1_PNSt15iterator_traitsISI_E10value_typeET2_T3_PNSJ_ISO_E10value_typeET4_T5_PST_SU_PNS1_23onesweep_lookback_stateEbbT6_jjT7_P12ihipStream_tbENKUlT_T0_SI_SN_E_clIPxSD_S15_SD_EEDaS11_S12_SI_SN_EUlS11_E_NS1_11comp_targetILNS1_3genE6ELNS1_11target_archE950ELNS1_3gpuE13ELNS1_3repE0EEENS1_47radix_sort_onesweep_sort_config_static_selectorELNS0_4arch9wavefront6targetE1EEEvSI_,"axG",@progbits,_ZN7rocprim17ROCPRIM_400000_NS6detail17trampoline_kernelINS0_14default_configENS1_35radix_sort_onesweep_config_selectorIxxEEZZNS1_29radix_sort_onesweep_iterationIS3_Lb0EN6thrust23THRUST_200600_302600_NS6detail15normal_iteratorINS8_10device_ptrIxEEEESD_SD_SD_jNS0_19identity_decomposerENS1_16block_id_wrapperIjLb1EEEEE10hipError_tT1_PNSt15iterator_traitsISI_E10value_typeET2_T3_PNSJ_ISO_E10value_typeET4_T5_PST_SU_PNS1_23onesweep_lookback_stateEbbT6_jjT7_P12ihipStream_tbENKUlT_T0_SI_SN_E_clIPxSD_S15_SD_EEDaS11_S12_SI_SN_EUlS11_E_NS1_11comp_targetILNS1_3genE6ELNS1_11target_archE950ELNS1_3gpuE13ELNS1_3repE0EEENS1_47radix_sort_onesweep_sort_config_static_selectorELNS0_4arch9wavefront6targetE1EEEvSI_,comdat
.Lfunc_end1216:
	.size	_ZN7rocprim17ROCPRIM_400000_NS6detail17trampoline_kernelINS0_14default_configENS1_35radix_sort_onesweep_config_selectorIxxEEZZNS1_29radix_sort_onesweep_iterationIS3_Lb0EN6thrust23THRUST_200600_302600_NS6detail15normal_iteratorINS8_10device_ptrIxEEEESD_SD_SD_jNS0_19identity_decomposerENS1_16block_id_wrapperIjLb1EEEEE10hipError_tT1_PNSt15iterator_traitsISI_E10value_typeET2_T3_PNSJ_ISO_E10value_typeET4_T5_PST_SU_PNS1_23onesweep_lookback_stateEbbT6_jjT7_P12ihipStream_tbENKUlT_T0_SI_SN_E_clIPxSD_S15_SD_EEDaS11_S12_SI_SN_EUlS11_E_NS1_11comp_targetILNS1_3genE6ELNS1_11target_archE950ELNS1_3gpuE13ELNS1_3repE0EEENS1_47radix_sort_onesweep_sort_config_static_selectorELNS0_4arch9wavefront6targetE1EEEvSI_, .Lfunc_end1216-_ZN7rocprim17ROCPRIM_400000_NS6detail17trampoline_kernelINS0_14default_configENS1_35radix_sort_onesweep_config_selectorIxxEEZZNS1_29radix_sort_onesweep_iterationIS3_Lb0EN6thrust23THRUST_200600_302600_NS6detail15normal_iteratorINS8_10device_ptrIxEEEESD_SD_SD_jNS0_19identity_decomposerENS1_16block_id_wrapperIjLb1EEEEE10hipError_tT1_PNSt15iterator_traitsISI_E10value_typeET2_T3_PNSJ_ISO_E10value_typeET4_T5_PST_SU_PNS1_23onesweep_lookback_stateEbbT6_jjT7_P12ihipStream_tbENKUlT_T0_SI_SN_E_clIPxSD_S15_SD_EEDaS11_S12_SI_SN_EUlS11_E_NS1_11comp_targetILNS1_3genE6ELNS1_11target_archE950ELNS1_3gpuE13ELNS1_3repE0EEENS1_47radix_sort_onesweep_sort_config_static_selectorELNS0_4arch9wavefront6targetE1EEEvSI_
                                        ; -- End function
	.set _ZN7rocprim17ROCPRIM_400000_NS6detail17trampoline_kernelINS0_14default_configENS1_35radix_sort_onesweep_config_selectorIxxEEZZNS1_29radix_sort_onesweep_iterationIS3_Lb0EN6thrust23THRUST_200600_302600_NS6detail15normal_iteratorINS8_10device_ptrIxEEEESD_SD_SD_jNS0_19identity_decomposerENS1_16block_id_wrapperIjLb1EEEEE10hipError_tT1_PNSt15iterator_traitsISI_E10value_typeET2_T3_PNSJ_ISO_E10value_typeET4_T5_PST_SU_PNS1_23onesweep_lookback_stateEbbT6_jjT7_P12ihipStream_tbENKUlT_T0_SI_SN_E_clIPxSD_S15_SD_EEDaS11_S12_SI_SN_EUlS11_E_NS1_11comp_targetILNS1_3genE6ELNS1_11target_archE950ELNS1_3gpuE13ELNS1_3repE0EEENS1_47radix_sort_onesweep_sort_config_static_selectorELNS0_4arch9wavefront6targetE1EEEvSI_.num_vgpr, 58
	.set _ZN7rocprim17ROCPRIM_400000_NS6detail17trampoline_kernelINS0_14default_configENS1_35radix_sort_onesweep_config_selectorIxxEEZZNS1_29radix_sort_onesweep_iterationIS3_Lb0EN6thrust23THRUST_200600_302600_NS6detail15normal_iteratorINS8_10device_ptrIxEEEESD_SD_SD_jNS0_19identity_decomposerENS1_16block_id_wrapperIjLb1EEEEE10hipError_tT1_PNSt15iterator_traitsISI_E10value_typeET2_T3_PNSJ_ISO_E10value_typeET4_T5_PST_SU_PNS1_23onesweep_lookback_stateEbbT6_jjT7_P12ihipStream_tbENKUlT_T0_SI_SN_E_clIPxSD_S15_SD_EEDaS11_S12_SI_SN_EUlS11_E_NS1_11comp_targetILNS1_3genE6ELNS1_11target_archE950ELNS1_3gpuE13ELNS1_3repE0EEENS1_47radix_sort_onesweep_sort_config_static_selectorELNS0_4arch9wavefront6targetE1EEEvSI_.num_agpr, 0
	.set _ZN7rocprim17ROCPRIM_400000_NS6detail17trampoline_kernelINS0_14default_configENS1_35radix_sort_onesweep_config_selectorIxxEEZZNS1_29radix_sort_onesweep_iterationIS3_Lb0EN6thrust23THRUST_200600_302600_NS6detail15normal_iteratorINS8_10device_ptrIxEEEESD_SD_SD_jNS0_19identity_decomposerENS1_16block_id_wrapperIjLb1EEEEE10hipError_tT1_PNSt15iterator_traitsISI_E10value_typeET2_T3_PNSJ_ISO_E10value_typeET4_T5_PST_SU_PNS1_23onesweep_lookback_stateEbbT6_jjT7_P12ihipStream_tbENKUlT_T0_SI_SN_E_clIPxSD_S15_SD_EEDaS11_S12_SI_SN_EUlS11_E_NS1_11comp_targetILNS1_3genE6ELNS1_11target_archE950ELNS1_3gpuE13ELNS1_3repE0EEENS1_47radix_sort_onesweep_sort_config_static_selectorELNS0_4arch9wavefront6targetE1EEEvSI_.numbered_sgpr, 61
	.set _ZN7rocprim17ROCPRIM_400000_NS6detail17trampoline_kernelINS0_14default_configENS1_35radix_sort_onesweep_config_selectorIxxEEZZNS1_29radix_sort_onesweep_iterationIS3_Lb0EN6thrust23THRUST_200600_302600_NS6detail15normal_iteratorINS8_10device_ptrIxEEEESD_SD_SD_jNS0_19identity_decomposerENS1_16block_id_wrapperIjLb1EEEEE10hipError_tT1_PNSt15iterator_traitsISI_E10value_typeET2_T3_PNSJ_ISO_E10value_typeET4_T5_PST_SU_PNS1_23onesweep_lookback_stateEbbT6_jjT7_P12ihipStream_tbENKUlT_T0_SI_SN_E_clIPxSD_S15_SD_EEDaS11_S12_SI_SN_EUlS11_E_NS1_11comp_targetILNS1_3genE6ELNS1_11target_archE950ELNS1_3gpuE13ELNS1_3repE0EEENS1_47radix_sort_onesweep_sort_config_static_selectorELNS0_4arch9wavefront6targetE1EEEvSI_.num_named_barrier, 0
	.set _ZN7rocprim17ROCPRIM_400000_NS6detail17trampoline_kernelINS0_14default_configENS1_35radix_sort_onesweep_config_selectorIxxEEZZNS1_29radix_sort_onesweep_iterationIS3_Lb0EN6thrust23THRUST_200600_302600_NS6detail15normal_iteratorINS8_10device_ptrIxEEEESD_SD_SD_jNS0_19identity_decomposerENS1_16block_id_wrapperIjLb1EEEEE10hipError_tT1_PNSt15iterator_traitsISI_E10value_typeET2_T3_PNSJ_ISO_E10value_typeET4_T5_PST_SU_PNS1_23onesweep_lookback_stateEbbT6_jjT7_P12ihipStream_tbENKUlT_T0_SI_SN_E_clIPxSD_S15_SD_EEDaS11_S12_SI_SN_EUlS11_E_NS1_11comp_targetILNS1_3genE6ELNS1_11target_archE950ELNS1_3gpuE13ELNS1_3repE0EEENS1_47radix_sort_onesweep_sort_config_static_selectorELNS0_4arch9wavefront6targetE1EEEvSI_.private_seg_size, 48
	.set _ZN7rocprim17ROCPRIM_400000_NS6detail17trampoline_kernelINS0_14default_configENS1_35radix_sort_onesweep_config_selectorIxxEEZZNS1_29radix_sort_onesweep_iterationIS3_Lb0EN6thrust23THRUST_200600_302600_NS6detail15normal_iteratorINS8_10device_ptrIxEEEESD_SD_SD_jNS0_19identity_decomposerENS1_16block_id_wrapperIjLb1EEEEE10hipError_tT1_PNSt15iterator_traitsISI_E10value_typeET2_T3_PNSJ_ISO_E10value_typeET4_T5_PST_SU_PNS1_23onesweep_lookback_stateEbbT6_jjT7_P12ihipStream_tbENKUlT_T0_SI_SN_E_clIPxSD_S15_SD_EEDaS11_S12_SI_SN_EUlS11_E_NS1_11comp_targetILNS1_3genE6ELNS1_11target_archE950ELNS1_3gpuE13ELNS1_3repE0EEENS1_47radix_sort_onesweep_sort_config_static_selectorELNS0_4arch9wavefront6targetE1EEEvSI_.uses_vcc, 1
	.set _ZN7rocprim17ROCPRIM_400000_NS6detail17trampoline_kernelINS0_14default_configENS1_35radix_sort_onesweep_config_selectorIxxEEZZNS1_29radix_sort_onesweep_iterationIS3_Lb0EN6thrust23THRUST_200600_302600_NS6detail15normal_iteratorINS8_10device_ptrIxEEEESD_SD_SD_jNS0_19identity_decomposerENS1_16block_id_wrapperIjLb1EEEEE10hipError_tT1_PNSt15iterator_traitsISI_E10value_typeET2_T3_PNSJ_ISO_E10value_typeET4_T5_PST_SU_PNS1_23onesweep_lookback_stateEbbT6_jjT7_P12ihipStream_tbENKUlT_T0_SI_SN_E_clIPxSD_S15_SD_EEDaS11_S12_SI_SN_EUlS11_E_NS1_11comp_targetILNS1_3genE6ELNS1_11target_archE950ELNS1_3gpuE13ELNS1_3repE0EEENS1_47radix_sort_onesweep_sort_config_static_selectorELNS0_4arch9wavefront6targetE1EEEvSI_.uses_flat_scratch, 0
	.set _ZN7rocprim17ROCPRIM_400000_NS6detail17trampoline_kernelINS0_14default_configENS1_35radix_sort_onesweep_config_selectorIxxEEZZNS1_29radix_sort_onesweep_iterationIS3_Lb0EN6thrust23THRUST_200600_302600_NS6detail15normal_iteratorINS8_10device_ptrIxEEEESD_SD_SD_jNS0_19identity_decomposerENS1_16block_id_wrapperIjLb1EEEEE10hipError_tT1_PNSt15iterator_traitsISI_E10value_typeET2_T3_PNSJ_ISO_E10value_typeET4_T5_PST_SU_PNS1_23onesweep_lookback_stateEbbT6_jjT7_P12ihipStream_tbENKUlT_T0_SI_SN_E_clIPxSD_S15_SD_EEDaS11_S12_SI_SN_EUlS11_E_NS1_11comp_targetILNS1_3genE6ELNS1_11target_archE950ELNS1_3gpuE13ELNS1_3repE0EEENS1_47radix_sort_onesweep_sort_config_static_selectorELNS0_4arch9wavefront6targetE1EEEvSI_.has_dyn_sized_stack, 0
	.set _ZN7rocprim17ROCPRIM_400000_NS6detail17trampoline_kernelINS0_14default_configENS1_35radix_sort_onesweep_config_selectorIxxEEZZNS1_29radix_sort_onesweep_iterationIS3_Lb0EN6thrust23THRUST_200600_302600_NS6detail15normal_iteratorINS8_10device_ptrIxEEEESD_SD_SD_jNS0_19identity_decomposerENS1_16block_id_wrapperIjLb1EEEEE10hipError_tT1_PNSt15iterator_traitsISI_E10value_typeET2_T3_PNSJ_ISO_E10value_typeET4_T5_PST_SU_PNS1_23onesweep_lookback_stateEbbT6_jjT7_P12ihipStream_tbENKUlT_T0_SI_SN_E_clIPxSD_S15_SD_EEDaS11_S12_SI_SN_EUlS11_E_NS1_11comp_targetILNS1_3genE6ELNS1_11target_archE950ELNS1_3gpuE13ELNS1_3repE0EEENS1_47radix_sort_onesweep_sort_config_static_selectorELNS0_4arch9wavefront6targetE1EEEvSI_.has_recursion, 0
	.set _ZN7rocprim17ROCPRIM_400000_NS6detail17trampoline_kernelINS0_14default_configENS1_35radix_sort_onesweep_config_selectorIxxEEZZNS1_29radix_sort_onesweep_iterationIS3_Lb0EN6thrust23THRUST_200600_302600_NS6detail15normal_iteratorINS8_10device_ptrIxEEEESD_SD_SD_jNS0_19identity_decomposerENS1_16block_id_wrapperIjLb1EEEEE10hipError_tT1_PNSt15iterator_traitsISI_E10value_typeET2_T3_PNSJ_ISO_E10value_typeET4_T5_PST_SU_PNS1_23onesweep_lookback_stateEbbT6_jjT7_P12ihipStream_tbENKUlT_T0_SI_SN_E_clIPxSD_S15_SD_EEDaS11_S12_SI_SN_EUlS11_E_NS1_11comp_targetILNS1_3genE6ELNS1_11target_archE950ELNS1_3gpuE13ELNS1_3repE0EEENS1_47radix_sort_onesweep_sort_config_static_selectorELNS0_4arch9wavefront6targetE1EEEvSI_.has_indirect_call, 0
	.section	.AMDGPU.csdata,"",@progbits
; Kernel info:
; codeLenInByte = 12920
; TotalNumSgprs: 67
; NumVgprs: 58
; NumAgprs: 0
; TotalNumVgprs: 58
; ScratchSize: 48
; MemoryBound: 1
; FloatMode: 240
; IeeeMode: 1
; LDSByteSize: 53328 bytes/workgroup (compile time only)
; SGPRBlocks: 8
; VGPRBlocks: 7
; NumSGPRsForWavesPerEU: 67
; NumVGPRsForWavesPerEU: 58
; AccumOffset: 60
; Occupancy: 8
; WaveLimiterHint : 1
; COMPUTE_PGM_RSRC2:SCRATCH_EN: 1
; COMPUTE_PGM_RSRC2:USER_SGPR: 4
; COMPUTE_PGM_RSRC2:TRAP_HANDLER: 0
; COMPUTE_PGM_RSRC2:TGID_X_EN: 1
; COMPUTE_PGM_RSRC2:TGID_Y_EN: 0
; COMPUTE_PGM_RSRC2:TGID_Z_EN: 0
; COMPUTE_PGM_RSRC2:TIDIG_COMP_CNT: 2
; COMPUTE_PGM_RSRC3_GFX90A:ACCUM_OFFSET: 14
; COMPUTE_PGM_RSRC3_GFX90A:TG_SPLIT: 0
	.section	.text._ZN7rocprim17ROCPRIM_400000_NS6detail17trampoline_kernelINS0_14default_configENS1_35radix_sort_onesweep_config_selectorIxxEEZZNS1_29radix_sort_onesweep_iterationIS3_Lb0EN6thrust23THRUST_200600_302600_NS6detail15normal_iteratorINS8_10device_ptrIxEEEESD_SD_SD_jNS0_19identity_decomposerENS1_16block_id_wrapperIjLb1EEEEE10hipError_tT1_PNSt15iterator_traitsISI_E10value_typeET2_T3_PNSJ_ISO_E10value_typeET4_T5_PST_SU_PNS1_23onesweep_lookback_stateEbbT6_jjT7_P12ihipStream_tbENKUlT_T0_SI_SN_E_clIPxSD_S15_SD_EEDaS11_S12_SI_SN_EUlS11_E_NS1_11comp_targetILNS1_3genE5ELNS1_11target_archE942ELNS1_3gpuE9ELNS1_3repE0EEENS1_47radix_sort_onesweep_sort_config_static_selectorELNS0_4arch9wavefront6targetE1EEEvSI_,"axG",@progbits,_ZN7rocprim17ROCPRIM_400000_NS6detail17trampoline_kernelINS0_14default_configENS1_35radix_sort_onesweep_config_selectorIxxEEZZNS1_29radix_sort_onesweep_iterationIS3_Lb0EN6thrust23THRUST_200600_302600_NS6detail15normal_iteratorINS8_10device_ptrIxEEEESD_SD_SD_jNS0_19identity_decomposerENS1_16block_id_wrapperIjLb1EEEEE10hipError_tT1_PNSt15iterator_traitsISI_E10value_typeET2_T3_PNSJ_ISO_E10value_typeET4_T5_PST_SU_PNS1_23onesweep_lookback_stateEbbT6_jjT7_P12ihipStream_tbENKUlT_T0_SI_SN_E_clIPxSD_S15_SD_EEDaS11_S12_SI_SN_EUlS11_E_NS1_11comp_targetILNS1_3genE5ELNS1_11target_archE942ELNS1_3gpuE9ELNS1_3repE0EEENS1_47radix_sort_onesweep_sort_config_static_selectorELNS0_4arch9wavefront6targetE1EEEvSI_,comdat
	.protected	_ZN7rocprim17ROCPRIM_400000_NS6detail17trampoline_kernelINS0_14default_configENS1_35radix_sort_onesweep_config_selectorIxxEEZZNS1_29radix_sort_onesweep_iterationIS3_Lb0EN6thrust23THRUST_200600_302600_NS6detail15normal_iteratorINS8_10device_ptrIxEEEESD_SD_SD_jNS0_19identity_decomposerENS1_16block_id_wrapperIjLb1EEEEE10hipError_tT1_PNSt15iterator_traitsISI_E10value_typeET2_T3_PNSJ_ISO_E10value_typeET4_T5_PST_SU_PNS1_23onesweep_lookback_stateEbbT6_jjT7_P12ihipStream_tbENKUlT_T0_SI_SN_E_clIPxSD_S15_SD_EEDaS11_S12_SI_SN_EUlS11_E_NS1_11comp_targetILNS1_3genE5ELNS1_11target_archE942ELNS1_3gpuE9ELNS1_3repE0EEENS1_47radix_sort_onesweep_sort_config_static_selectorELNS0_4arch9wavefront6targetE1EEEvSI_ ; -- Begin function _ZN7rocprim17ROCPRIM_400000_NS6detail17trampoline_kernelINS0_14default_configENS1_35radix_sort_onesweep_config_selectorIxxEEZZNS1_29radix_sort_onesweep_iterationIS3_Lb0EN6thrust23THRUST_200600_302600_NS6detail15normal_iteratorINS8_10device_ptrIxEEEESD_SD_SD_jNS0_19identity_decomposerENS1_16block_id_wrapperIjLb1EEEEE10hipError_tT1_PNSt15iterator_traitsISI_E10value_typeET2_T3_PNSJ_ISO_E10value_typeET4_T5_PST_SU_PNS1_23onesweep_lookback_stateEbbT6_jjT7_P12ihipStream_tbENKUlT_T0_SI_SN_E_clIPxSD_S15_SD_EEDaS11_S12_SI_SN_EUlS11_E_NS1_11comp_targetILNS1_3genE5ELNS1_11target_archE942ELNS1_3gpuE9ELNS1_3repE0EEENS1_47radix_sort_onesweep_sort_config_static_selectorELNS0_4arch9wavefront6targetE1EEEvSI_
	.globl	_ZN7rocprim17ROCPRIM_400000_NS6detail17trampoline_kernelINS0_14default_configENS1_35radix_sort_onesweep_config_selectorIxxEEZZNS1_29radix_sort_onesweep_iterationIS3_Lb0EN6thrust23THRUST_200600_302600_NS6detail15normal_iteratorINS8_10device_ptrIxEEEESD_SD_SD_jNS0_19identity_decomposerENS1_16block_id_wrapperIjLb1EEEEE10hipError_tT1_PNSt15iterator_traitsISI_E10value_typeET2_T3_PNSJ_ISO_E10value_typeET4_T5_PST_SU_PNS1_23onesweep_lookback_stateEbbT6_jjT7_P12ihipStream_tbENKUlT_T0_SI_SN_E_clIPxSD_S15_SD_EEDaS11_S12_SI_SN_EUlS11_E_NS1_11comp_targetILNS1_3genE5ELNS1_11target_archE942ELNS1_3gpuE9ELNS1_3repE0EEENS1_47radix_sort_onesweep_sort_config_static_selectorELNS0_4arch9wavefront6targetE1EEEvSI_
	.p2align	8
	.type	_ZN7rocprim17ROCPRIM_400000_NS6detail17trampoline_kernelINS0_14default_configENS1_35radix_sort_onesweep_config_selectorIxxEEZZNS1_29radix_sort_onesweep_iterationIS3_Lb0EN6thrust23THRUST_200600_302600_NS6detail15normal_iteratorINS8_10device_ptrIxEEEESD_SD_SD_jNS0_19identity_decomposerENS1_16block_id_wrapperIjLb1EEEEE10hipError_tT1_PNSt15iterator_traitsISI_E10value_typeET2_T3_PNSJ_ISO_E10value_typeET4_T5_PST_SU_PNS1_23onesweep_lookback_stateEbbT6_jjT7_P12ihipStream_tbENKUlT_T0_SI_SN_E_clIPxSD_S15_SD_EEDaS11_S12_SI_SN_EUlS11_E_NS1_11comp_targetILNS1_3genE5ELNS1_11target_archE942ELNS1_3gpuE9ELNS1_3repE0EEENS1_47radix_sort_onesweep_sort_config_static_selectorELNS0_4arch9wavefront6targetE1EEEvSI_,@function
_ZN7rocprim17ROCPRIM_400000_NS6detail17trampoline_kernelINS0_14default_configENS1_35radix_sort_onesweep_config_selectorIxxEEZZNS1_29radix_sort_onesweep_iterationIS3_Lb0EN6thrust23THRUST_200600_302600_NS6detail15normal_iteratorINS8_10device_ptrIxEEEESD_SD_SD_jNS0_19identity_decomposerENS1_16block_id_wrapperIjLb1EEEEE10hipError_tT1_PNSt15iterator_traitsISI_E10value_typeET2_T3_PNSJ_ISO_E10value_typeET4_T5_PST_SU_PNS1_23onesweep_lookback_stateEbbT6_jjT7_P12ihipStream_tbENKUlT_T0_SI_SN_E_clIPxSD_S15_SD_EEDaS11_S12_SI_SN_EUlS11_E_NS1_11comp_targetILNS1_3genE5ELNS1_11target_archE942ELNS1_3gpuE9ELNS1_3repE0EEENS1_47radix_sort_onesweep_sort_config_static_selectorELNS0_4arch9wavefront6targetE1EEEvSI_: ; @_ZN7rocprim17ROCPRIM_400000_NS6detail17trampoline_kernelINS0_14default_configENS1_35radix_sort_onesweep_config_selectorIxxEEZZNS1_29radix_sort_onesweep_iterationIS3_Lb0EN6thrust23THRUST_200600_302600_NS6detail15normal_iteratorINS8_10device_ptrIxEEEESD_SD_SD_jNS0_19identity_decomposerENS1_16block_id_wrapperIjLb1EEEEE10hipError_tT1_PNSt15iterator_traitsISI_E10value_typeET2_T3_PNSJ_ISO_E10value_typeET4_T5_PST_SU_PNS1_23onesweep_lookback_stateEbbT6_jjT7_P12ihipStream_tbENKUlT_T0_SI_SN_E_clIPxSD_S15_SD_EEDaS11_S12_SI_SN_EUlS11_E_NS1_11comp_targetILNS1_3genE5ELNS1_11target_archE942ELNS1_3gpuE9ELNS1_3repE0EEENS1_47radix_sort_onesweep_sort_config_static_selectorELNS0_4arch9wavefront6targetE1EEEvSI_
; %bb.0:
	.section	.rodata,"a",@progbits
	.p2align	6, 0x0
	.amdhsa_kernel _ZN7rocprim17ROCPRIM_400000_NS6detail17trampoline_kernelINS0_14default_configENS1_35radix_sort_onesweep_config_selectorIxxEEZZNS1_29radix_sort_onesweep_iterationIS3_Lb0EN6thrust23THRUST_200600_302600_NS6detail15normal_iteratorINS8_10device_ptrIxEEEESD_SD_SD_jNS0_19identity_decomposerENS1_16block_id_wrapperIjLb1EEEEE10hipError_tT1_PNSt15iterator_traitsISI_E10value_typeET2_T3_PNSJ_ISO_E10value_typeET4_T5_PST_SU_PNS1_23onesweep_lookback_stateEbbT6_jjT7_P12ihipStream_tbENKUlT_T0_SI_SN_E_clIPxSD_S15_SD_EEDaS11_S12_SI_SN_EUlS11_E_NS1_11comp_targetILNS1_3genE5ELNS1_11target_archE942ELNS1_3gpuE9ELNS1_3repE0EEENS1_47radix_sort_onesweep_sort_config_static_selectorELNS0_4arch9wavefront6targetE1EEEvSI_
		.amdhsa_group_segment_fixed_size 0
		.amdhsa_private_segment_fixed_size 0
		.amdhsa_kernarg_size 88
		.amdhsa_user_sgpr_count 2
		.amdhsa_user_sgpr_dispatch_ptr 0
		.amdhsa_user_sgpr_queue_ptr 0
		.amdhsa_user_sgpr_kernarg_segment_ptr 1
		.amdhsa_user_sgpr_dispatch_id 0
		.amdhsa_user_sgpr_kernarg_preload_length 0
		.amdhsa_user_sgpr_kernarg_preload_offset 0
		.amdhsa_user_sgpr_private_segment_size 0
		.amdhsa_uses_dynamic_stack 0
		.amdhsa_enable_private_segment 0
		.amdhsa_system_sgpr_workgroup_id_x 1
		.amdhsa_system_sgpr_workgroup_id_y 0
		.amdhsa_system_sgpr_workgroup_id_z 0
		.amdhsa_system_sgpr_workgroup_info 0
		.amdhsa_system_vgpr_workitem_id 0
		.amdhsa_next_free_vgpr 1
		.amdhsa_next_free_sgpr 0
		.amdhsa_accum_offset 4
		.amdhsa_reserve_vcc 0
		.amdhsa_float_round_mode_32 0
		.amdhsa_float_round_mode_16_64 0
		.amdhsa_float_denorm_mode_32 3
		.amdhsa_float_denorm_mode_16_64 3
		.amdhsa_dx10_clamp 1
		.amdhsa_ieee_mode 1
		.amdhsa_fp16_overflow 0
		.amdhsa_tg_split 0
		.amdhsa_exception_fp_ieee_invalid_op 0
		.amdhsa_exception_fp_denorm_src 0
		.amdhsa_exception_fp_ieee_div_zero 0
		.amdhsa_exception_fp_ieee_overflow 0
		.amdhsa_exception_fp_ieee_underflow 0
		.amdhsa_exception_fp_ieee_inexact 0
		.amdhsa_exception_int_div_zero 0
	.end_amdhsa_kernel
	.section	.text._ZN7rocprim17ROCPRIM_400000_NS6detail17trampoline_kernelINS0_14default_configENS1_35radix_sort_onesweep_config_selectorIxxEEZZNS1_29radix_sort_onesweep_iterationIS3_Lb0EN6thrust23THRUST_200600_302600_NS6detail15normal_iteratorINS8_10device_ptrIxEEEESD_SD_SD_jNS0_19identity_decomposerENS1_16block_id_wrapperIjLb1EEEEE10hipError_tT1_PNSt15iterator_traitsISI_E10value_typeET2_T3_PNSJ_ISO_E10value_typeET4_T5_PST_SU_PNS1_23onesweep_lookback_stateEbbT6_jjT7_P12ihipStream_tbENKUlT_T0_SI_SN_E_clIPxSD_S15_SD_EEDaS11_S12_SI_SN_EUlS11_E_NS1_11comp_targetILNS1_3genE5ELNS1_11target_archE942ELNS1_3gpuE9ELNS1_3repE0EEENS1_47radix_sort_onesweep_sort_config_static_selectorELNS0_4arch9wavefront6targetE1EEEvSI_,"axG",@progbits,_ZN7rocprim17ROCPRIM_400000_NS6detail17trampoline_kernelINS0_14default_configENS1_35radix_sort_onesweep_config_selectorIxxEEZZNS1_29radix_sort_onesweep_iterationIS3_Lb0EN6thrust23THRUST_200600_302600_NS6detail15normal_iteratorINS8_10device_ptrIxEEEESD_SD_SD_jNS0_19identity_decomposerENS1_16block_id_wrapperIjLb1EEEEE10hipError_tT1_PNSt15iterator_traitsISI_E10value_typeET2_T3_PNSJ_ISO_E10value_typeET4_T5_PST_SU_PNS1_23onesweep_lookback_stateEbbT6_jjT7_P12ihipStream_tbENKUlT_T0_SI_SN_E_clIPxSD_S15_SD_EEDaS11_S12_SI_SN_EUlS11_E_NS1_11comp_targetILNS1_3genE5ELNS1_11target_archE942ELNS1_3gpuE9ELNS1_3repE0EEENS1_47radix_sort_onesweep_sort_config_static_selectorELNS0_4arch9wavefront6targetE1EEEvSI_,comdat
.Lfunc_end1217:
	.size	_ZN7rocprim17ROCPRIM_400000_NS6detail17trampoline_kernelINS0_14default_configENS1_35radix_sort_onesweep_config_selectorIxxEEZZNS1_29radix_sort_onesweep_iterationIS3_Lb0EN6thrust23THRUST_200600_302600_NS6detail15normal_iteratorINS8_10device_ptrIxEEEESD_SD_SD_jNS0_19identity_decomposerENS1_16block_id_wrapperIjLb1EEEEE10hipError_tT1_PNSt15iterator_traitsISI_E10value_typeET2_T3_PNSJ_ISO_E10value_typeET4_T5_PST_SU_PNS1_23onesweep_lookback_stateEbbT6_jjT7_P12ihipStream_tbENKUlT_T0_SI_SN_E_clIPxSD_S15_SD_EEDaS11_S12_SI_SN_EUlS11_E_NS1_11comp_targetILNS1_3genE5ELNS1_11target_archE942ELNS1_3gpuE9ELNS1_3repE0EEENS1_47radix_sort_onesweep_sort_config_static_selectorELNS0_4arch9wavefront6targetE1EEEvSI_, .Lfunc_end1217-_ZN7rocprim17ROCPRIM_400000_NS6detail17trampoline_kernelINS0_14default_configENS1_35radix_sort_onesweep_config_selectorIxxEEZZNS1_29radix_sort_onesweep_iterationIS3_Lb0EN6thrust23THRUST_200600_302600_NS6detail15normal_iteratorINS8_10device_ptrIxEEEESD_SD_SD_jNS0_19identity_decomposerENS1_16block_id_wrapperIjLb1EEEEE10hipError_tT1_PNSt15iterator_traitsISI_E10value_typeET2_T3_PNSJ_ISO_E10value_typeET4_T5_PST_SU_PNS1_23onesweep_lookback_stateEbbT6_jjT7_P12ihipStream_tbENKUlT_T0_SI_SN_E_clIPxSD_S15_SD_EEDaS11_S12_SI_SN_EUlS11_E_NS1_11comp_targetILNS1_3genE5ELNS1_11target_archE942ELNS1_3gpuE9ELNS1_3repE0EEENS1_47radix_sort_onesweep_sort_config_static_selectorELNS0_4arch9wavefront6targetE1EEEvSI_
                                        ; -- End function
	.set _ZN7rocprim17ROCPRIM_400000_NS6detail17trampoline_kernelINS0_14default_configENS1_35radix_sort_onesweep_config_selectorIxxEEZZNS1_29radix_sort_onesweep_iterationIS3_Lb0EN6thrust23THRUST_200600_302600_NS6detail15normal_iteratorINS8_10device_ptrIxEEEESD_SD_SD_jNS0_19identity_decomposerENS1_16block_id_wrapperIjLb1EEEEE10hipError_tT1_PNSt15iterator_traitsISI_E10value_typeET2_T3_PNSJ_ISO_E10value_typeET4_T5_PST_SU_PNS1_23onesweep_lookback_stateEbbT6_jjT7_P12ihipStream_tbENKUlT_T0_SI_SN_E_clIPxSD_S15_SD_EEDaS11_S12_SI_SN_EUlS11_E_NS1_11comp_targetILNS1_3genE5ELNS1_11target_archE942ELNS1_3gpuE9ELNS1_3repE0EEENS1_47radix_sort_onesweep_sort_config_static_selectorELNS0_4arch9wavefront6targetE1EEEvSI_.num_vgpr, 0
	.set _ZN7rocprim17ROCPRIM_400000_NS6detail17trampoline_kernelINS0_14default_configENS1_35radix_sort_onesweep_config_selectorIxxEEZZNS1_29radix_sort_onesweep_iterationIS3_Lb0EN6thrust23THRUST_200600_302600_NS6detail15normal_iteratorINS8_10device_ptrIxEEEESD_SD_SD_jNS0_19identity_decomposerENS1_16block_id_wrapperIjLb1EEEEE10hipError_tT1_PNSt15iterator_traitsISI_E10value_typeET2_T3_PNSJ_ISO_E10value_typeET4_T5_PST_SU_PNS1_23onesweep_lookback_stateEbbT6_jjT7_P12ihipStream_tbENKUlT_T0_SI_SN_E_clIPxSD_S15_SD_EEDaS11_S12_SI_SN_EUlS11_E_NS1_11comp_targetILNS1_3genE5ELNS1_11target_archE942ELNS1_3gpuE9ELNS1_3repE0EEENS1_47radix_sort_onesweep_sort_config_static_selectorELNS0_4arch9wavefront6targetE1EEEvSI_.num_agpr, 0
	.set _ZN7rocprim17ROCPRIM_400000_NS6detail17trampoline_kernelINS0_14default_configENS1_35radix_sort_onesweep_config_selectorIxxEEZZNS1_29radix_sort_onesweep_iterationIS3_Lb0EN6thrust23THRUST_200600_302600_NS6detail15normal_iteratorINS8_10device_ptrIxEEEESD_SD_SD_jNS0_19identity_decomposerENS1_16block_id_wrapperIjLb1EEEEE10hipError_tT1_PNSt15iterator_traitsISI_E10value_typeET2_T3_PNSJ_ISO_E10value_typeET4_T5_PST_SU_PNS1_23onesweep_lookback_stateEbbT6_jjT7_P12ihipStream_tbENKUlT_T0_SI_SN_E_clIPxSD_S15_SD_EEDaS11_S12_SI_SN_EUlS11_E_NS1_11comp_targetILNS1_3genE5ELNS1_11target_archE942ELNS1_3gpuE9ELNS1_3repE0EEENS1_47radix_sort_onesweep_sort_config_static_selectorELNS0_4arch9wavefront6targetE1EEEvSI_.numbered_sgpr, 0
	.set _ZN7rocprim17ROCPRIM_400000_NS6detail17trampoline_kernelINS0_14default_configENS1_35radix_sort_onesweep_config_selectorIxxEEZZNS1_29radix_sort_onesweep_iterationIS3_Lb0EN6thrust23THRUST_200600_302600_NS6detail15normal_iteratorINS8_10device_ptrIxEEEESD_SD_SD_jNS0_19identity_decomposerENS1_16block_id_wrapperIjLb1EEEEE10hipError_tT1_PNSt15iterator_traitsISI_E10value_typeET2_T3_PNSJ_ISO_E10value_typeET4_T5_PST_SU_PNS1_23onesweep_lookback_stateEbbT6_jjT7_P12ihipStream_tbENKUlT_T0_SI_SN_E_clIPxSD_S15_SD_EEDaS11_S12_SI_SN_EUlS11_E_NS1_11comp_targetILNS1_3genE5ELNS1_11target_archE942ELNS1_3gpuE9ELNS1_3repE0EEENS1_47radix_sort_onesweep_sort_config_static_selectorELNS0_4arch9wavefront6targetE1EEEvSI_.num_named_barrier, 0
	.set _ZN7rocprim17ROCPRIM_400000_NS6detail17trampoline_kernelINS0_14default_configENS1_35radix_sort_onesweep_config_selectorIxxEEZZNS1_29radix_sort_onesweep_iterationIS3_Lb0EN6thrust23THRUST_200600_302600_NS6detail15normal_iteratorINS8_10device_ptrIxEEEESD_SD_SD_jNS0_19identity_decomposerENS1_16block_id_wrapperIjLb1EEEEE10hipError_tT1_PNSt15iterator_traitsISI_E10value_typeET2_T3_PNSJ_ISO_E10value_typeET4_T5_PST_SU_PNS1_23onesweep_lookback_stateEbbT6_jjT7_P12ihipStream_tbENKUlT_T0_SI_SN_E_clIPxSD_S15_SD_EEDaS11_S12_SI_SN_EUlS11_E_NS1_11comp_targetILNS1_3genE5ELNS1_11target_archE942ELNS1_3gpuE9ELNS1_3repE0EEENS1_47radix_sort_onesweep_sort_config_static_selectorELNS0_4arch9wavefront6targetE1EEEvSI_.private_seg_size, 0
	.set _ZN7rocprim17ROCPRIM_400000_NS6detail17trampoline_kernelINS0_14default_configENS1_35radix_sort_onesweep_config_selectorIxxEEZZNS1_29radix_sort_onesweep_iterationIS3_Lb0EN6thrust23THRUST_200600_302600_NS6detail15normal_iteratorINS8_10device_ptrIxEEEESD_SD_SD_jNS0_19identity_decomposerENS1_16block_id_wrapperIjLb1EEEEE10hipError_tT1_PNSt15iterator_traitsISI_E10value_typeET2_T3_PNSJ_ISO_E10value_typeET4_T5_PST_SU_PNS1_23onesweep_lookback_stateEbbT6_jjT7_P12ihipStream_tbENKUlT_T0_SI_SN_E_clIPxSD_S15_SD_EEDaS11_S12_SI_SN_EUlS11_E_NS1_11comp_targetILNS1_3genE5ELNS1_11target_archE942ELNS1_3gpuE9ELNS1_3repE0EEENS1_47radix_sort_onesweep_sort_config_static_selectorELNS0_4arch9wavefront6targetE1EEEvSI_.uses_vcc, 0
	.set _ZN7rocprim17ROCPRIM_400000_NS6detail17trampoline_kernelINS0_14default_configENS1_35radix_sort_onesweep_config_selectorIxxEEZZNS1_29radix_sort_onesweep_iterationIS3_Lb0EN6thrust23THRUST_200600_302600_NS6detail15normal_iteratorINS8_10device_ptrIxEEEESD_SD_SD_jNS0_19identity_decomposerENS1_16block_id_wrapperIjLb1EEEEE10hipError_tT1_PNSt15iterator_traitsISI_E10value_typeET2_T3_PNSJ_ISO_E10value_typeET4_T5_PST_SU_PNS1_23onesweep_lookback_stateEbbT6_jjT7_P12ihipStream_tbENKUlT_T0_SI_SN_E_clIPxSD_S15_SD_EEDaS11_S12_SI_SN_EUlS11_E_NS1_11comp_targetILNS1_3genE5ELNS1_11target_archE942ELNS1_3gpuE9ELNS1_3repE0EEENS1_47radix_sort_onesweep_sort_config_static_selectorELNS0_4arch9wavefront6targetE1EEEvSI_.uses_flat_scratch, 0
	.set _ZN7rocprim17ROCPRIM_400000_NS6detail17trampoline_kernelINS0_14default_configENS1_35radix_sort_onesweep_config_selectorIxxEEZZNS1_29radix_sort_onesweep_iterationIS3_Lb0EN6thrust23THRUST_200600_302600_NS6detail15normal_iteratorINS8_10device_ptrIxEEEESD_SD_SD_jNS0_19identity_decomposerENS1_16block_id_wrapperIjLb1EEEEE10hipError_tT1_PNSt15iterator_traitsISI_E10value_typeET2_T3_PNSJ_ISO_E10value_typeET4_T5_PST_SU_PNS1_23onesweep_lookback_stateEbbT6_jjT7_P12ihipStream_tbENKUlT_T0_SI_SN_E_clIPxSD_S15_SD_EEDaS11_S12_SI_SN_EUlS11_E_NS1_11comp_targetILNS1_3genE5ELNS1_11target_archE942ELNS1_3gpuE9ELNS1_3repE0EEENS1_47radix_sort_onesweep_sort_config_static_selectorELNS0_4arch9wavefront6targetE1EEEvSI_.has_dyn_sized_stack, 0
	.set _ZN7rocprim17ROCPRIM_400000_NS6detail17trampoline_kernelINS0_14default_configENS1_35radix_sort_onesweep_config_selectorIxxEEZZNS1_29radix_sort_onesweep_iterationIS3_Lb0EN6thrust23THRUST_200600_302600_NS6detail15normal_iteratorINS8_10device_ptrIxEEEESD_SD_SD_jNS0_19identity_decomposerENS1_16block_id_wrapperIjLb1EEEEE10hipError_tT1_PNSt15iterator_traitsISI_E10value_typeET2_T3_PNSJ_ISO_E10value_typeET4_T5_PST_SU_PNS1_23onesweep_lookback_stateEbbT6_jjT7_P12ihipStream_tbENKUlT_T0_SI_SN_E_clIPxSD_S15_SD_EEDaS11_S12_SI_SN_EUlS11_E_NS1_11comp_targetILNS1_3genE5ELNS1_11target_archE942ELNS1_3gpuE9ELNS1_3repE0EEENS1_47radix_sort_onesweep_sort_config_static_selectorELNS0_4arch9wavefront6targetE1EEEvSI_.has_recursion, 0
	.set _ZN7rocprim17ROCPRIM_400000_NS6detail17trampoline_kernelINS0_14default_configENS1_35radix_sort_onesweep_config_selectorIxxEEZZNS1_29radix_sort_onesweep_iterationIS3_Lb0EN6thrust23THRUST_200600_302600_NS6detail15normal_iteratorINS8_10device_ptrIxEEEESD_SD_SD_jNS0_19identity_decomposerENS1_16block_id_wrapperIjLb1EEEEE10hipError_tT1_PNSt15iterator_traitsISI_E10value_typeET2_T3_PNSJ_ISO_E10value_typeET4_T5_PST_SU_PNS1_23onesweep_lookback_stateEbbT6_jjT7_P12ihipStream_tbENKUlT_T0_SI_SN_E_clIPxSD_S15_SD_EEDaS11_S12_SI_SN_EUlS11_E_NS1_11comp_targetILNS1_3genE5ELNS1_11target_archE942ELNS1_3gpuE9ELNS1_3repE0EEENS1_47radix_sort_onesweep_sort_config_static_selectorELNS0_4arch9wavefront6targetE1EEEvSI_.has_indirect_call, 0
	.section	.AMDGPU.csdata,"",@progbits
; Kernel info:
; codeLenInByte = 0
; TotalNumSgprs: 6
; NumVgprs: 0
; NumAgprs: 0
; TotalNumVgprs: 0
; ScratchSize: 0
; MemoryBound: 0
; FloatMode: 240
; IeeeMode: 1
; LDSByteSize: 0 bytes/workgroup (compile time only)
; SGPRBlocks: 0
; VGPRBlocks: 0
; NumSGPRsForWavesPerEU: 6
; NumVGPRsForWavesPerEU: 1
; AccumOffset: 4
; Occupancy: 8
; WaveLimiterHint : 0
; COMPUTE_PGM_RSRC2:SCRATCH_EN: 0
; COMPUTE_PGM_RSRC2:USER_SGPR: 2
; COMPUTE_PGM_RSRC2:TRAP_HANDLER: 0
; COMPUTE_PGM_RSRC2:TGID_X_EN: 1
; COMPUTE_PGM_RSRC2:TGID_Y_EN: 0
; COMPUTE_PGM_RSRC2:TGID_Z_EN: 0
; COMPUTE_PGM_RSRC2:TIDIG_COMP_CNT: 0
; COMPUTE_PGM_RSRC3_GFX90A:ACCUM_OFFSET: 0
; COMPUTE_PGM_RSRC3_GFX90A:TG_SPLIT: 0
	.section	.text._ZN7rocprim17ROCPRIM_400000_NS6detail17trampoline_kernelINS0_14default_configENS1_35radix_sort_onesweep_config_selectorIxxEEZZNS1_29radix_sort_onesweep_iterationIS3_Lb0EN6thrust23THRUST_200600_302600_NS6detail15normal_iteratorINS8_10device_ptrIxEEEESD_SD_SD_jNS0_19identity_decomposerENS1_16block_id_wrapperIjLb1EEEEE10hipError_tT1_PNSt15iterator_traitsISI_E10value_typeET2_T3_PNSJ_ISO_E10value_typeET4_T5_PST_SU_PNS1_23onesweep_lookback_stateEbbT6_jjT7_P12ihipStream_tbENKUlT_T0_SI_SN_E_clIPxSD_S15_SD_EEDaS11_S12_SI_SN_EUlS11_E_NS1_11comp_targetILNS1_3genE2ELNS1_11target_archE906ELNS1_3gpuE6ELNS1_3repE0EEENS1_47radix_sort_onesweep_sort_config_static_selectorELNS0_4arch9wavefront6targetE1EEEvSI_,"axG",@progbits,_ZN7rocprim17ROCPRIM_400000_NS6detail17trampoline_kernelINS0_14default_configENS1_35radix_sort_onesweep_config_selectorIxxEEZZNS1_29radix_sort_onesweep_iterationIS3_Lb0EN6thrust23THRUST_200600_302600_NS6detail15normal_iteratorINS8_10device_ptrIxEEEESD_SD_SD_jNS0_19identity_decomposerENS1_16block_id_wrapperIjLb1EEEEE10hipError_tT1_PNSt15iterator_traitsISI_E10value_typeET2_T3_PNSJ_ISO_E10value_typeET4_T5_PST_SU_PNS1_23onesweep_lookback_stateEbbT6_jjT7_P12ihipStream_tbENKUlT_T0_SI_SN_E_clIPxSD_S15_SD_EEDaS11_S12_SI_SN_EUlS11_E_NS1_11comp_targetILNS1_3genE2ELNS1_11target_archE906ELNS1_3gpuE6ELNS1_3repE0EEENS1_47radix_sort_onesweep_sort_config_static_selectorELNS0_4arch9wavefront6targetE1EEEvSI_,comdat
	.protected	_ZN7rocprim17ROCPRIM_400000_NS6detail17trampoline_kernelINS0_14default_configENS1_35radix_sort_onesweep_config_selectorIxxEEZZNS1_29radix_sort_onesweep_iterationIS3_Lb0EN6thrust23THRUST_200600_302600_NS6detail15normal_iteratorINS8_10device_ptrIxEEEESD_SD_SD_jNS0_19identity_decomposerENS1_16block_id_wrapperIjLb1EEEEE10hipError_tT1_PNSt15iterator_traitsISI_E10value_typeET2_T3_PNSJ_ISO_E10value_typeET4_T5_PST_SU_PNS1_23onesweep_lookback_stateEbbT6_jjT7_P12ihipStream_tbENKUlT_T0_SI_SN_E_clIPxSD_S15_SD_EEDaS11_S12_SI_SN_EUlS11_E_NS1_11comp_targetILNS1_3genE2ELNS1_11target_archE906ELNS1_3gpuE6ELNS1_3repE0EEENS1_47radix_sort_onesweep_sort_config_static_selectorELNS0_4arch9wavefront6targetE1EEEvSI_ ; -- Begin function _ZN7rocprim17ROCPRIM_400000_NS6detail17trampoline_kernelINS0_14default_configENS1_35radix_sort_onesweep_config_selectorIxxEEZZNS1_29radix_sort_onesweep_iterationIS3_Lb0EN6thrust23THRUST_200600_302600_NS6detail15normal_iteratorINS8_10device_ptrIxEEEESD_SD_SD_jNS0_19identity_decomposerENS1_16block_id_wrapperIjLb1EEEEE10hipError_tT1_PNSt15iterator_traitsISI_E10value_typeET2_T3_PNSJ_ISO_E10value_typeET4_T5_PST_SU_PNS1_23onesweep_lookback_stateEbbT6_jjT7_P12ihipStream_tbENKUlT_T0_SI_SN_E_clIPxSD_S15_SD_EEDaS11_S12_SI_SN_EUlS11_E_NS1_11comp_targetILNS1_3genE2ELNS1_11target_archE906ELNS1_3gpuE6ELNS1_3repE0EEENS1_47radix_sort_onesweep_sort_config_static_selectorELNS0_4arch9wavefront6targetE1EEEvSI_
	.globl	_ZN7rocprim17ROCPRIM_400000_NS6detail17trampoline_kernelINS0_14default_configENS1_35radix_sort_onesweep_config_selectorIxxEEZZNS1_29radix_sort_onesweep_iterationIS3_Lb0EN6thrust23THRUST_200600_302600_NS6detail15normal_iteratorINS8_10device_ptrIxEEEESD_SD_SD_jNS0_19identity_decomposerENS1_16block_id_wrapperIjLb1EEEEE10hipError_tT1_PNSt15iterator_traitsISI_E10value_typeET2_T3_PNSJ_ISO_E10value_typeET4_T5_PST_SU_PNS1_23onesweep_lookback_stateEbbT6_jjT7_P12ihipStream_tbENKUlT_T0_SI_SN_E_clIPxSD_S15_SD_EEDaS11_S12_SI_SN_EUlS11_E_NS1_11comp_targetILNS1_3genE2ELNS1_11target_archE906ELNS1_3gpuE6ELNS1_3repE0EEENS1_47radix_sort_onesweep_sort_config_static_selectorELNS0_4arch9wavefront6targetE1EEEvSI_
	.p2align	8
	.type	_ZN7rocprim17ROCPRIM_400000_NS6detail17trampoline_kernelINS0_14default_configENS1_35radix_sort_onesweep_config_selectorIxxEEZZNS1_29radix_sort_onesweep_iterationIS3_Lb0EN6thrust23THRUST_200600_302600_NS6detail15normal_iteratorINS8_10device_ptrIxEEEESD_SD_SD_jNS0_19identity_decomposerENS1_16block_id_wrapperIjLb1EEEEE10hipError_tT1_PNSt15iterator_traitsISI_E10value_typeET2_T3_PNSJ_ISO_E10value_typeET4_T5_PST_SU_PNS1_23onesweep_lookback_stateEbbT6_jjT7_P12ihipStream_tbENKUlT_T0_SI_SN_E_clIPxSD_S15_SD_EEDaS11_S12_SI_SN_EUlS11_E_NS1_11comp_targetILNS1_3genE2ELNS1_11target_archE906ELNS1_3gpuE6ELNS1_3repE0EEENS1_47radix_sort_onesweep_sort_config_static_selectorELNS0_4arch9wavefront6targetE1EEEvSI_,@function
_ZN7rocprim17ROCPRIM_400000_NS6detail17trampoline_kernelINS0_14default_configENS1_35radix_sort_onesweep_config_selectorIxxEEZZNS1_29radix_sort_onesweep_iterationIS3_Lb0EN6thrust23THRUST_200600_302600_NS6detail15normal_iteratorINS8_10device_ptrIxEEEESD_SD_SD_jNS0_19identity_decomposerENS1_16block_id_wrapperIjLb1EEEEE10hipError_tT1_PNSt15iterator_traitsISI_E10value_typeET2_T3_PNSJ_ISO_E10value_typeET4_T5_PST_SU_PNS1_23onesweep_lookback_stateEbbT6_jjT7_P12ihipStream_tbENKUlT_T0_SI_SN_E_clIPxSD_S15_SD_EEDaS11_S12_SI_SN_EUlS11_E_NS1_11comp_targetILNS1_3genE2ELNS1_11target_archE906ELNS1_3gpuE6ELNS1_3repE0EEENS1_47radix_sort_onesweep_sort_config_static_selectorELNS0_4arch9wavefront6targetE1EEEvSI_: ; @_ZN7rocprim17ROCPRIM_400000_NS6detail17trampoline_kernelINS0_14default_configENS1_35radix_sort_onesweep_config_selectorIxxEEZZNS1_29radix_sort_onesweep_iterationIS3_Lb0EN6thrust23THRUST_200600_302600_NS6detail15normal_iteratorINS8_10device_ptrIxEEEESD_SD_SD_jNS0_19identity_decomposerENS1_16block_id_wrapperIjLb1EEEEE10hipError_tT1_PNSt15iterator_traitsISI_E10value_typeET2_T3_PNSJ_ISO_E10value_typeET4_T5_PST_SU_PNS1_23onesweep_lookback_stateEbbT6_jjT7_P12ihipStream_tbENKUlT_T0_SI_SN_E_clIPxSD_S15_SD_EEDaS11_S12_SI_SN_EUlS11_E_NS1_11comp_targetILNS1_3genE2ELNS1_11target_archE906ELNS1_3gpuE6ELNS1_3repE0EEENS1_47radix_sort_onesweep_sort_config_static_selectorELNS0_4arch9wavefront6targetE1EEEvSI_
; %bb.0:
	.section	.rodata,"a",@progbits
	.p2align	6, 0x0
	.amdhsa_kernel _ZN7rocprim17ROCPRIM_400000_NS6detail17trampoline_kernelINS0_14default_configENS1_35radix_sort_onesweep_config_selectorIxxEEZZNS1_29radix_sort_onesweep_iterationIS3_Lb0EN6thrust23THRUST_200600_302600_NS6detail15normal_iteratorINS8_10device_ptrIxEEEESD_SD_SD_jNS0_19identity_decomposerENS1_16block_id_wrapperIjLb1EEEEE10hipError_tT1_PNSt15iterator_traitsISI_E10value_typeET2_T3_PNSJ_ISO_E10value_typeET4_T5_PST_SU_PNS1_23onesweep_lookback_stateEbbT6_jjT7_P12ihipStream_tbENKUlT_T0_SI_SN_E_clIPxSD_S15_SD_EEDaS11_S12_SI_SN_EUlS11_E_NS1_11comp_targetILNS1_3genE2ELNS1_11target_archE906ELNS1_3gpuE6ELNS1_3repE0EEENS1_47radix_sort_onesweep_sort_config_static_selectorELNS0_4arch9wavefront6targetE1EEEvSI_
		.amdhsa_group_segment_fixed_size 0
		.amdhsa_private_segment_fixed_size 0
		.amdhsa_kernarg_size 88
		.amdhsa_user_sgpr_count 2
		.amdhsa_user_sgpr_dispatch_ptr 0
		.amdhsa_user_sgpr_queue_ptr 0
		.amdhsa_user_sgpr_kernarg_segment_ptr 1
		.amdhsa_user_sgpr_dispatch_id 0
		.amdhsa_user_sgpr_kernarg_preload_length 0
		.amdhsa_user_sgpr_kernarg_preload_offset 0
		.amdhsa_user_sgpr_private_segment_size 0
		.amdhsa_uses_dynamic_stack 0
		.amdhsa_enable_private_segment 0
		.amdhsa_system_sgpr_workgroup_id_x 1
		.amdhsa_system_sgpr_workgroup_id_y 0
		.amdhsa_system_sgpr_workgroup_id_z 0
		.amdhsa_system_sgpr_workgroup_info 0
		.amdhsa_system_vgpr_workitem_id 0
		.amdhsa_next_free_vgpr 1
		.amdhsa_next_free_sgpr 0
		.amdhsa_accum_offset 4
		.amdhsa_reserve_vcc 0
		.amdhsa_float_round_mode_32 0
		.amdhsa_float_round_mode_16_64 0
		.amdhsa_float_denorm_mode_32 3
		.amdhsa_float_denorm_mode_16_64 3
		.amdhsa_dx10_clamp 1
		.amdhsa_ieee_mode 1
		.amdhsa_fp16_overflow 0
		.amdhsa_tg_split 0
		.amdhsa_exception_fp_ieee_invalid_op 0
		.amdhsa_exception_fp_denorm_src 0
		.amdhsa_exception_fp_ieee_div_zero 0
		.amdhsa_exception_fp_ieee_overflow 0
		.amdhsa_exception_fp_ieee_underflow 0
		.amdhsa_exception_fp_ieee_inexact 0
		.amdhsa_exception_int_div_zero 0
	.end_amdhsa_kernel
	.section	.text._ZN7rocprim17ROCPRIM_400000_NS6detail17trampoline_kernelINS0_14default_configENS1_35radix_sort_onesweep_config_selectorIxxEEZZNS1_29radix_sort_onesweep_iterationIS3_Lb0EN6thrust23THRUST_200600_302600_NS6detail15normal_iteratorINS8_10device_ptrIxEEEESD_SD_SD_jNS0_19identity_decomposerENS1_16block_id_wrapperIjLb1EEEEE10hipError_tT1_PNSt15iterator_traitsISI_E10value_typeET2_T3_PNSJ_ISO_E10value_typeET4_T5_PST_SU_PNS1_23onesweep_lookback_stateEbbT6_jjT7_P12ihipStream_tbENKUlT_T0_SI_SN_E_clIPxSD_S15_SD_EEDaS11_S12_SI_SN_EUlS11_E_NS1_11comp_targetILNS1_3genE2ELNS1_11target_archE906ELNS1_3gpuE6ELNS1_3repE0EEENS1_47radix_sort_onesweep_sort_config_static_selectorELNS0_4arch9wavefront6targetE1EEEvSI_,"axG",@progbits,_ZN7rocprim17ROCPRIM_400000_NS6detail17trampoline_kernelINS0_14default_configENS1_35radix_sort_onesweep_config_selectorIxxEEZZNS1_29radix_sort_onesweep_iterationIS3_Lb0EN6thrust23THRUST_200600_302600_NS6detail15normal_iteratorINS8_10device_ptrIxEEEESD_SD_SD_jNS0_19identity_decomposerENS1_16block_id_wrapperIjLb1EEEEE10hipError_tT1_PNSt15iterator_traitsISI_E10value_typeET2_T3_PNSJ_ISO_E10value_typeET4_T5_PST_SU_PNS1_23onesweep_lookback_stateEbbT6_jjT7_P12ihipStream_tbENKUlT_T0_SI_SN_E_clIPxSD_S15_SD_EEDaS11_S12_SI_SN_EUlS11_E_NS1_11comp_targetILNS1_3genE2ELNS1_11target_archE906ELNS1_3gpuE6ELNS1_3repE0EEENS1_47radix_sort_onesweep_sort_config_static_selectorELNS0_4arch9wavefront6targetE1EEEvSI_,comdat
.Lfunc_end1218:
	.size	_ZN7rocprim17ROCPRIM_400000_NS6detail17trampoline_kernelINS0_14default_configENS1_35radix_sort_onesweep_config_selectorIxxEEZZNS1_29radix_sort_onesweep_iterationIS3_Lb0EN6thrust23THRUST_200600_302600_NS6detail15normal_iteratorINS8_10device_ptrIxEEEESD_SD_SD_jNS0_19identity_decomposerENS1_16block_id_wrapperIjLb1EEEEE10hipError_tT1_PNSt15iterator_traitsISI_E10value_typeET2_T3_PNSJ_ISO_E10value_typeET4_T5_PST_SU_PNS1_23onesweep_lookback_stateEbbT6_jjT7_P12ihipStream_tbENKUlT_T0_SI_SN_E_clIPxSD_S15_SD_EEDaS11_S12_SI_SN_EUlS11_E_NS1_11comp_targetILNS1_3genE2ELNS1_11target_archE906ELNS1_3gpuE6ELNS1_3repE0EEENS1_47radix_sort_onesweep_sort_config_static_selectorELNS0_4arch9wavefront6targetE1EEEvSI_, .Lfunc_end1218-_ZN7rocprim17ROCPRIM_400000_NS6detail17trampoline_kernelINS0_14default_configENS1_35radix_sort_onesweep_config_selectorIxxEEZZNS1_29radix_sort_onesweep_iterationIS3_Lb0EN6thrust23THRUST_200600_302600_NS6detail15normal_iteratorINS8_10device_ptrIxEEEESD_SD_SD_jNS0_19identity_decomposerENS1_16block_id_wrapperIjLb1EEEEE10hipError_tT1_PNSt15iterator_traitsISI_E10value_typeET2_T3_PNSJ_ISO_E10value_typeET4_T5_PST_SU_PNS1_23onesweep_lookback_stateEbbT6_jjT7_P12ihipStream_tbENKUlT_T0_SI_SN_E_clIPxSD_S15_SD_EEDaS11_S12_SI_SN_EUlS11_E_NS1_11comp_targetILNS1_3genE2ELNS1_11target_archE906ELNS1_3gpuE6ELNS1_3repE0EEENS1_47radix_sort_onesweep_sort_config_static_selectorELNS0_4arch9wavefront6targetE1EEEvSI_
                                        ; -- End function
	.set _ZN7rocprim17ROCPRIM_400000_NS6detail17trampoline_kernelINS0_14default_configENS1_35radix_sort_onesweep_config_selectorIxxEEZZNS1_29radix_sort_onesweep_iterationIS3_Lb0EN6thrust23THRUST_200600_302600_NS6detail15normal_iteratorINS8_10device_ptrIxEEEESD_SD_SD_jNS0_19identity_decomposerENS1_16block_id_wrapperIjLb1EEEEE10hipError_tT1_PNSt15iterator_traitsISI_E10value_typeET2_T3_PNSJ_ISO_E10value_typeET4_T5_PST_SU_PNS1_23onesweep_lookback_stateEbbT6_jjT7_P12ihipStream_tbENKUlT_T0_SI_SN_E_clIPxSD_S15_SD_EEDaS11_S12_SI_SN_EUlS11_E_NS1_11comp_targetILNS1_3genE2ELNS1_11target_archE906ELNS1_3gpuE6ELNS1_3repE0EEENS1_47radix_sort_onesweep_sort_config_static_selectorELNS0_4arch9wavefront6targetE1EEEvSI_.num_vgpr, 0
	.set _ZN7rocprim17ROCPRIM_400000_NS6detail17trampoline_kernelINS0_14default_configENS1_35radix_sort_onesweep_config_selectorIxxEEZZNS1_29radix_sort_onesweep_iterationIS3_Lb0EN6thrust23THRUST_200600_302600_NS6detail15normal_iteratorINS8_10device_ptrIxEEEESD_SD_SD_jNS0_19identity_decomposerENS1_16block_id_wrapperIjLb1EEEEE10hipError_tT1_PNSt15iterator_traitsISI_E10value_typeET2_T3_PNSJ_ISO_E10value_typeET4_T5_PST_SU_PNS1_23onesweep_lookback_stateEbbT6_jjT7_P12ihipStream_tbENKUlT_T0_SI_SN_E_clIPxSD_S15_SD_EEDaS11_S12_SI_SN_EUlS11_E_NS1_11comp_targetILNS1_3genE2ELNS1_11target_archE906ELNS1_3gpuE6ELNS1_3repE0EEENS1_47radix_sort_onesweep_sort_config_static_selectorELNS0_4arch9wavefront6targetE1EEEvSI_.num_agpr, 0
	.set _ZN7rocprim17ROCPRIM_400000_NS6detail17trampoline_kernelINS0_14default_configENS1_35radix_sort_onesweep_config_selectorIxxEEZZNS1_29radix_sort_onesweep_iterationIS3_Lb0EN6thrust23THRUST_200600_302600_NS6detail15normal_iteratorINS8_10device_ptrIxEEEESD_SD_SD_jNS0_19identity_decomposerENS1_16block_id_wrapperIjLb1EEEEE10hipError_tT1_PNSt15iterator_traitsISI_E10value_typeET2_T3_PNSJ_ISO_E10value_typeET4_T5_PST_SU_PNS1_23onesweep_lookback_stateEbbT6_jjT7_P12ihipStream_tbENKUlT_T0_SI_SN_E_clIPxSD_S15_SD_EEDaS11_S12_SI_SN_EUlS11_E_NS1_11comp_targetILNS1_3genE2ELNS1_11target_archE906ELNS1_3gpuE6ELNS1_3repE0EEENS1_47radix_sort_onesweep_sort_config_static_selectorELNS0_4arch9wavefront6targetE1EEEvSI_.numbered_sgpr, 0
	.set _ZN7rocprim17ROCPRIM_400000_NS6detail17trampoline_kernelINS0_14default_configENS1_35radix_sort_onesweep_config_selectorIxxEEZZNS1_29radix_sort_onesweep_iterationIS3_Lb0EN6thrust23THRUST_200600_302600_NS6detail15normal_iteratorINS8_10device_ptrIxEEEESD_SD_SD_jNS0_19identity_decomposerENS1_16block_id_wrapperIjLb1EEEEE10hipError_tT1_PNSt15iterator_traitsISI_E10value_typeET2_T3_PNSJ_ISO_E10value_typeET4_T5_PST_SU_PNS1_23onesweep_lookback_stateEbbT6_jjT7_P12ihipStream_tbENKUlT_T0_SI_SN_E_clIPxSD_S15_SD_EEDaS11_S12_SI_SN_EUlS11_E_NS1_11comp_targetILNS1_3genE2ELNS1_11target_archE906ELNS1_3gpuE6ELNS1_3repE0EEENS1_47radix_sort_onesweep_sort_config_static_selectorELNS0_4arch9wavefront6targetE1EEEvSI_.num_named_barrier, 0
	.set _ZN7rocprim17ROCPRIM_400000_NS6detail17trampoline_kernelINS0_14default_configENS1_35radix_sort_onesweep_config_selectorIxxEEZZNS1_29radix_sort_onesweep_iterationIS3_Lb0EN6thrust23THRUST_200600_302600_NS6detail15normal_iteratorINS8_10device_ptrIxEEEESD_SD_SD_jNS0_19identity_decomposerENS1_16block_id_wrapperIjLb1EEEEE10hipError_tT1_PNSt15iterator_traitsISI_E10value_typeET2_T3_PNSJ_ISO_E10value_typeET4_T5_PST_SU_PNS1_23onesweep_lookback_stateEbbT6_jjT7_P12ihipStream_tbENKUlT_T0_SI_SN_E_clIPxSD_S15_SD_EEDaS11_S12_SI_SN_EUlS11_E_NS1_11comp_targetILNS1_3genE2ELNS1_11target_archE906ELNS1_3gpuE6ELNS1_3repE0EEENS1_47radix_sort_onesweep_sort_config_static_selectorELNS0_4arch9wavefront6targetE1EEEvSI_.private_seg_size, 0
	.set _ZN7rocprim17ROCPRIM_400000_NS6detail17trampoline_kernelINS0_14default_configENS1_35radix_sort_onesweep_config_selectorIxxEEZZNS1_29radix_sort_onesweep_iterationIS3_Lb0EN6thrust23THRUST_200600_302600_NS6detail15normal_iteratorINS8_10device_ptrIxEEEESD_SD_SD_jNS0_19identity_decomposerENS1_16block_id_wrapperIjLb1EEEEE10hipError_tT1_PNSt15iterator_traitsISI_E10value_typeET2_T3_PNSJ_ISO_E10value_typeET4_T5_PST_SU_PNS1_23onesweep_lookback_stateEbbT6_jjT7_P12ihipStream_tbENKUlT_T0_SI_SN_E_clIPxSD_S15_SD_EEDaS11_S12_SI_SN_EUlS11_E_NS1_11comp_targetILNS1_3genE2ELNS1_11target_archE906ELNS1_3gpuE6ELNS1_3repE0EEENS1_47radix_sort_onesweep_sort_config_static_selectorELNS0_4arch9wavefront6targetE1EEEvSI_.uses_vcc, 0
	.set _ZN7rocprim17ROCPRIM_400000_NS6detail17trampoline_kernelINS0_14default_configENS1_35radix_sort_onesweep_config_selectorIxxEEZZNS1_29radix_sort_onesweep_iterationIS3_Lb0EN6thrust23THRUST_200600_302600_NS6detail15normal_iteratorINS8_10device_ptrIxEEEESD_SD_SD_jNS0_19identity_decomposerENS1_16block_id_wrapperIjLb1EEEEE10hipError_tT1_PNSt15iterator_traitsISI_E10value_typeET2_T3_PNSJ_ISO_E10value_typeET4_T5_PST_SU_PNS1_23onesweep_lookback_stateEbbT6_jjT7_P12ihipStream_tbENKUlT_T0_SI_SN_E_clIPxSD_S15_SD_EEDaS11_S12_SI_SN_EUlS11_E_NS1_11comp_targetILNS1_3genE2ELNS1_11target_archE906ELNS1_3gpuE6ELNS1_3repE0EEENS1_47radix_sort_onesweep_sort_config_static_selectorELNS0_4arch9wavefront6targetE1EEEvSI_.uses_flat_scratch, 0
	.set _ZN7rocprim17ROCPRIM_400000_NS6detail17trampoline_kernelINS0_14default_configENS1_35radix_sort_onesweep_config_selectorIxxEEZZNS1_29radix_sort_onesweep_iterationIS3_Lb0EN6thrust23THRUST_200600_302600_NS6detail15normal_iteratorINS8_10device_ptrIxEEEESD_SD_SD_jNS0_19identity_decomposerENS1_16block_id_wrapperIjLb1EEEEE10hipError_tT1_PNSt15iterator_traitsISI_E10value_typeET2_T3_PNSJ_ISO_E10value_typeET4_T5_PST_SU_PNS1_23onesweep_lookback_stateEbbT6_jjT7_P12ihipStream_tbENKUlT_T0_SI_SN_E_clIPxSD_S15_SD_EEDaS11_S12_SI_SN_EUlS11_E_NS1_11comp_targetILNS1_3genE2ELNS1_11target_archE906ELNS1_3gpuE6ELNS1_3repE0EEENS1_47radix_sort_onesweep_sort_config_static_selectorELNS0_4arch9wavefront6targetE1EEEvSI_.has_dyn_sized_stack, 0
	.set _ZN7rocprim17ROCPRIM_400000_NS6detail17trampoline_kernelINS0_14default_configENS1_35radix_sort_onesweep_config_selectorIxxEEZZNS1_29radix_sort_onesweep_iterationIS3_Lb0EN6thrust23THRUST_200600_302600_NS6detail15normal_iteratorINS8_10device_ptrIxEEEESD_SD_SD_jNS0_19identity_decomposerENS1_16block_id_wrapperIjLb1EEEEE10hipError_tT1_PNSt15iterator_traitsISI_E10value_typeET2_T3_PNSJ_ISO_E10value_typeET4_T5_PST_SU_PNS1_23onesweep_lookback_stateEbbT6_jjT7_P12ihipStream_tbENKUlT_T0_SI_SN_E_clIPxSD_S15_SD_EEDaS11_S12_SI_SN_EUlS11_E_NS1_11comp_targetILNS1_3genE2ELNS1_11target_archE906ELNS1_3gpuE6ELNS1_3repE0EEENS1_47radix_sort_onesweep_sort_config_static_selectorELNS0_4arch9wavefront6targetE1EEEvSI_.has_recursion, 0
	.set _ZN7rocprim17ROCPRIM_400000_NS6detail17trampoline_kernelINS0_14default_configENS1_35radix_sort_onesweep_config_selectorIxxEEZZNS1_29radix_sort_onesweep_iterationIS3_Lb0EN6thrust23THRUST_200600_302600_NS6detail15normal_iteratorINS8_10device_ptrIxEEEESD_SD_SD_jNS0_19identity_decomposerENS1_16block_id_wrapperIjLb1EEEEE10hipError_tT1_PNSt15iterator_traitsISI_E10value_typeET2_T3_PNSJ_ISO_E10value_typeET4_T5_PST_SU_PNS1_23onesweep_lookback_stateEbbT6_jjT7_P12ihipStream_tbENKUlT_T0_SI_SN_E_clIPxSD_S15_SD_EEDaS11_S12_SI_SN_EUlS11_E_NS1_11comp_targetILNS1_3genE2ELNS1_11target_archE906ELNS1_3gpuE6ELNS1_3repE0EEENS1_47radix_sort_onesweep_sort_config_static_selectorELNS0_4arch9wavefront6targetE1EEEvSI_.has_indirect_call, 0
	.section	.AMDGPU.csdata,"",@progbits
; Kernel info:
; codeLenInByte = 0
; TotalNumSgprs: 6
; NumVgprs: 0
; NumAgprs: 0
; TotalNumVgprs: 0
; ScratchSize: 0
; MemoryBound: 0
; FloatMode: 240
; IeeeMode: 1
; LDSByteSize: 0 bytes/workgroup (compile time only)
; SGPRBlocks: 0
; VGPRBlocks: 0
; NumSGPRsForWavesPerEU: 6
; NumVGPRsForWavesPerEU: 1
; AccumOffset: 4
; Occupancy: 8
; WaveLimiterHint : 0
; COMPUTE_PGM_RSRC2:SCRATCH_EN: 0
; COMPUTE_PGM_RSRC2:USER_SGPR: 2
; COMPUTE_PGM_RSRC2:TRAP_HANDLER: 0
; COMPUTE_PGM_RSRC2:TGID_X_EN: 1
; COMPUTE_PGM_RSRC2:TGID_Y_EN: 0
; COMPUTE_PGM_RSRC2:TGID_Z_EN: 0
; COMPUTE_PGM_RSRC2:TIDIG_COMP_CNT: 0
; COMPUTE_PGM_RSRC3_GFX90A:ACCUM_OFFSET: 0
; COMPUTE_PGM_RSRC3_GFX90A:TG_SPLIT: 0
	.section	.text._ZN7rocprim17ROCPRIM_400000_NS6detail17trampoline_kernelINS0_14default_configENS1_35radix_sort_onesweep_config_selectorIxxEEZZNS1_29radix_sort_onesweep_iterationIS3_Lb0EN6thrust23THRUST_200600_302600_NS6detail15normal_iteratorINS8_10device_ptrIxEEEESD_SD_SD_jNS0_19identity_decomposerENS1_16block_id_wrapperIjLb1EEEEE10hipError_tT1_PNSt15iterator_traitsISI_E10value_typeET2_T3_PNSJ_ISO_E10value_typeET4_T5_PST_SU_PNS1_23onesweep_lookback_stateEbbT6_jjT7_P12ihipStream_tbENKUlT_T0_SI_SN_E_clIPxSD_S15_SD_EEDaS11_S12_SI_SN_EUlS11_E_NS1_11comp_targetILNS1_3genE4ELNS1_11target_archE910ELNS1_3gpuE8ELNS1_3repE0EEENS1_47radix_sort_onesweep_sort_config_static_selectorELNS0_4arch9wavefront6targetE1EEEvSI_,"axG",@progbits,_ZN7rocprim17ROCPRIM_400000_NS6detail17trampoline_kernelINS0_14default_configENS1_35radix_sort_onesweep_config_selectorIxxEEZZNS1_29radix_sort_onesweep_iterationIS3_Lb0EN6thrust23THRUST_200600_302600_NS6detail15normal_iteratorINS8_10device_ptrIxEEEESD_SD_SD_jNS0_19identity_decomposerENS1_16block_id_wrapperIjLb1EEEEE10hipError_tT1_PNSt15iterator_traitsISI_E10value_typeET2_T3_PNSJ_ISO_E10value_typeET4_T5_PST_SU_PNS1_23onesweep_lookback_stateEbbT6_jjT7_P12ihipStream_tbENKUlT_T0_SI_SN_E_clIPxSD_S15_SD_EEDaS11_S12_SI_SN_EUlS11_E_NS1_11comp_targetILNS1_3genE4ELNS1_11target_archE910ELNS1_3gpuE8ELNS1_3repE0EEENS1_47radix_sort_onesweep_sort_config_static_selectorELNS0_4arch9wavefront6targetE1EEEvSI_,comdat
	.protected	_ZN7rocprim17ROCPRIM_400000_NS6detail17trampoline_kernelINS0_14default_configENS1_35radix_sort_onesweep_config_selectorIxxEEZZNS1_29radix_sort_onesweep_iterationIS3_Lb0EN6thrust23THRUST_200600_302600_NS6detail15normal_iteratorINS8_10device_ptrIxEEEESD_SD_SD_jNS0_19identity_decomposerENS1_16block_id_wrapperIjLb1EEEEE10hipError_tT1_PNSt15iterator_traitsISI_E10value_typeET2_T3_PNSJ_ISO_E10value_typeET4_T5_PST_SU_PNS1_23onesweep_lookback_stateEbbT6_jjT7_P12ihipStream_tbENKUlT_T0_SI_SN_E_clIPxSD_S15_SD_EEDaS11_S12_SI_SN_EUlS11_E_NS1_11comp_targetILNS1_3genE4ELNS1_11target_archE910ELNS1_3gpuE8ELNS1_3repE0EEENS1_47radix_sort_onesweep_sort_config_static_selectorELNS0_4arch9wavefront6targetE1EEEvSI_ ; -- Begin function _ZN7rocprim17ROCPRIM_400000_NS6detail17trampoline_kernelINS0_14default_configENS1_35radix_sort_onesweep_config_selectorIxxEEZZNS1_29radix_sort_onesweep_iterationIS3_Lb0EN6thrust23THRUST_200600_302600_NS6detail15normal_iteratorINS8_10device_ptrIxEEEESD_SD_SD_jNS0_19identity_decomposerENS1_16block_id_wrapperIjLb1EEEEE10hipError_tT1_PNSt15iterator_traitsISI_E10value_typeET2_T3_PNSJ_ISO_E10value_typeET4_T5_PST_SU_PNS1_23onesweep_lookback_stateEbbT6_jjT7_P12ihipStream_tbENKUlT_T0_SI_SN_E_clIPxSD_S15_SD_EEDaS11_S12_SI_SN_EUlS11_E_NS1_11comp_targetILNS1_3genE4ELNS1_11target_archE910ELNS1_3gpuE8ELNS1_3repE0EEENS1_47radix_sort_onesweep_sort_config_static_selectorELNS0_4arch9wavefront6targetE1EEEvSI_
	.globl	_ZN7rocprim17ROCPRIM_400000_NS6detail17trampoline_kernelINS0_14default_configENS1_35radix_sort_onesweep_config_selectorIxxEEZZNS1_29radix_sort_onesweep_iterationIS3_Lb0EN6thrust23THRUST_200600_302600_NS6detail15normal_iteratorINS8_10device_ptrIxEEEESD_SD_SD_jNS0_19identity_decomposerENS1_16block_id_wrapperIjLb1EEEEE10hipError_tT1_PNSt15iterator_traitsISI_E10value_typeET2_T3_PNSJ_ISO_E10value_typeET4_T5_PST_SU_PNS1_23onesweep_lookback_stateEbbT6_jjT7_P12ihipStream_tbENKUlT_T0_SI_SN_E_clIPxSD_S15_SD_EEDaS11_S12_SI_SN_EUlS11_E_NS1_11comp_targetILNS1_3genE4ELNS1_11target_archE910ELNS1_3gpuE8ELNS1_3repE0EEENS1_47radix_sort_onesweep_sort_config_static_selectorELNS0_4arch9wavefront6targetE1EEEvSI_
	.p2align	8
	.type	_ZN7rocprim17ROCPRIM_400000_NS6detail17trampoline_kernelINS0_14default_configENS1_35radix_sort_onesweep_config_selectorIxxEEZZNS1_29radix_sort_onesweep_iterationIS3_Lb0EN6thrust23THRUST_200600_302600_NS6detail15normal_iteratorINS8_10device_ptrIxEEEESD_SD_SD_jNS0_19identity_decomposerENS1_16block_id_wrapperIjLb1EEEEE10hipError_tT1_PNSt15iterator_traitsISI_E10value_typeET2_T3_PNSJ_ISO_E10value_typeET4_T5_PST_SU_PNS1_23onesweep_lookback_stateEbbT6_jjT7_P12ihipStream_tbENKUlT_T0_SI_SN_E_clIPxSD_S15_SD_EEDaS11_S12_SI_SN_EUlS11_E_NS1_11comp_targetILNS1_3genE4ELNS1_11target_archE910ELNS1_3gpuE8ELNS1_3repE0EEENS1_47radix_sort_onesweep_sort_config_static_selectorELNS0_4arch9wavefront6targetE1EEEvSI_,@function
_ZN7rocprim17ROCPRIM_400000_NS6detail17trampoline_kernelINS0_14default_configENS1_35radix_sort_onesweep_config_selectorIxxEEZZNS1_29radix_sort_onesweep_iterationIS3_Lb0EN6thrust23THRUST_200600_302600_NS6detail15normal_iteratorINS8_10device_ptrIxEEEESD_SD_SD_jNS0_19identity_decomposerENS1_16block_id_wrapperIjLb1EEEEE10hipError_tT1_PNSt15iterator_traitsISI_E10value_typeET2_T3_PNSJ_ISO_E10value_typeET4_T5_PST_SU_PNS1_23onesweep_lookback_stateEbbT6_jjT7_P12ihipStream_tbENKUlT_T0_SI_SN_E_clIPxSD_S15_SD_EEDaS11_S12_SI_SN_EUlS11_E_NS1_11comp_targetILNS1_3genE4ELNS1_11target_archE910ELNS1_3gpuE8ELNS1_3repE0EEENS1_47radix_sort_onesweep_sort_config_static_selectorELNS0_4arch9wavefront6targetE1EEEvSI_: ; @_ZN7rocprim17ROCPRIM_400000_NS6detail17trampoline_kernelINS0_14default_configENS1_35radix_sort_onesweep_config_selectorIxxEEZZNS1_29radix_sort_onesweep_iterationIS3_Lb0EN6thrust23THRUST_200600_302600_NS6detail15normal_iteratorINS8_10device_ptrIxEEEESD_SD_SD_jNS0_19identity_decomposerENS1_16block_id_wrapperIjLb1EEEEE10hipError_tT1_PNSt15iterator_traitsISI_E10value_typeET2_T3_PNSJ_ISO_E10value_typeET4_T5_PST_SU_PNS1_23onesweep_lookback_stateEbbT6_jjT7_P12ihipStream_tbENKUlT_T0_SI_SN_E_clIPxSD_S15_SD_EEDaS11_S12_SI_SN_EUlS11_E_NS1_11comp_targetILNS1_3genE4ELNS1_11target_archE910ELNS1_3gpuE8ELNS1_3repE0EEENS1_47radix_sort_onesweep_sort_config_static_selectorELNS0_4arch9wavefront6targetE1EEEvSI_
; %bb.0:
	.section	.rodata,"a",@progbits
	.p2align	6, 0x0
	.amdhsa_kernel _ZN7rocprim17ROCPRIM_400000_NS6detail17trampoline_kernelINS0_14default_configENS1_35radix_sort_onesweep_config_selectorIxxEEZZNS1_29radix_sort_onesweep_iterationIS3_Lb0EN6thrust23THRUST_200600_302600_NS6detail15normal_iteratorINS8_10device_ptrIxEEEESD_SD_SD_jNS0_19identity_decomposerENS1_16block_id_wrapperIjLb1EEEEE10hipError_tT1_PNSt15iterator_traitsISI_E10value_typeET2_T3_PNSJ_ISO_E10value_typeET4_T5_PST_SU_PNS1_23onesweep_lookback_stateEbbT6_jjT7_P12ihipStream_tbENKUlT_T0_SI_SN_E_clIPxSD_S15_SD_EEDaS11_S12_SI_SN_EUlS11_E_NS1_11comp_targetILNS1_3genE4ELNS1_11target_archE910ELNS1_3gpuE8ELNS1_3repE0EEENS1_47radix_sort_onesweep_sort_config_static_selectorELNS0_4arch9wavefront6targetE1EEEvSI_
		.amdhsa_group_segment_fixed_size 0
		.amdhsa_private_segment_fixed_size 0
		.amdhsa_kernarg_size 88
		.amdhsa_user_sgpr_count 2
		.amdhsa_user_sgpr_dispatch_ptr 0
		.amdhsa_user_sgpr_queue_ptr 0
		.amdhsa_user_sgpr_kernarg_segment_ptr 1
		.amdhsa_user_sgpr_dispatch_id 0
		.amdhsa_user_sgpr_kernarg_preload_length 0
		.amdhsa_user_sgpr_kernarg_preload_offset 0
		.amdhsa_user_sgpr_private_segment_size 0
		.amdhsa_uses_dynamic_stack 0
		.amdhsa_enable_private_segment 0
		.amdhsa_system_sgpr_workgroup_id_x 1
		.amdhsa_system_sgpr_workgroup_id_y 0
		.amdhsa_system_sgpr_workgroup_id_z 0
		.amdhsa_system_sgpr_workgroup_info 0
		.amdhsa_system_vgpr_workitem_id 0
		.amdhsa_next_free_vgpr 1
		.amdhsa_next_free_sgpr 0
		.amdhsa_accum_offset 4
		.amdhsa_reserve_vcc 0
		.amdhsa_float_round_mode_32 0
		.amdhsa_float_round_mode_16_64 0
		.amdhsa_float_denorm_mode_32 3
		.amdhsa_float_denorm_mode_16_64 3
		.amdhsa_dx10_clamp 1
		.amdhsa_ieee_mode 1
		.amdhsa_fp16_overflow 0
		.amdhsa_tg_split 0
		.amdhsa_exception_fp_ieee_invalid_op 0
		.amdhsa_exception_fp_denorm_src 0
		.amdhsa_exception_fp_ieee_div_zero 0
		.amdhsa_exception_fp_ieee_overflow 0
		.amdhsa_exception_fp_ieee_underflow 0
		.amdhsa_exception_fp_ieee_inexact 0
		.amdhsa_exception_int_div_zero 0
	.end_amdhsa_kernel
	.section	.text._ZN7rocprim17ROCPRIM_400000_NS6detail17trampoline_kernelINS0_14default_configENS1_35radix_sort_onesweep_config_selectorIxxEEZZNS1_29radix_sort_onesweep_iterationIS3_Lb0EN6thrust23THRUST_200600_302600_NS6detail15normal_iteratorINS8_10device_ptrIxEEEESD_SD_SD_jNS0_19identity_decomposerENS1_16block_id_wrapperIjLb1EEEEE10hipError_tT1_PNSt15iterator_traitsISI_E10value_typeET2_T3_PNSJ_ISO_E10value_typeET4_T5_PST_SU_PNS1_23onesweep_lookback_stateEbbT6_jjT7_P12ihipStream_tbENKUlT_T0_SI_SN_E_clIPxSD_S15_SD_EEDaS11_S12_SI_SN_EUlS11_E_NS1_11comp_targetILNS1_3genE4ELNS1_11target_archE910ELNS1_3gpuE8ELNS1_3repE0EEENS1_47radix_sort_onesweep_sort_config_static_selectorELNS0_4arch9wavefront6targetE1EEEvSI_,"axG",@progbits,_ZN7rocprim17ROCPRIM_400000_NS6detail17trampoline_kernelINS0_14default_configENS1_35radix_sort_onesweep_config_selectorIxxEEZZNS1_29radix_sort_onesweep_iterationIS3_Lb0EN6thrust23THRUST_200600_302600_NS6detail15normal_iteratorINS8_10device_ptrIxEEEESD_SD_SD_jNS0_19identity_decomposerENS1_16block_id_wrapperIjLb1EEEEE10hipError_tT1_PNSt15iterator_traitsISI_E10value_typeET2_T3_PNSJ_ISO_E10value_typeET4_T5_PST_SU_PNS1_23onesweep_lookback_stateEbbT6_jjT7_P12ihipStream_tbENKUlT_T0_SI_SN_E_clIPxSD_S15_SD_EEDaS11_S12_SI_SN_EUlS11_E_NS1_11comp_targetILNS1_3genE4ELNS1_11target_archE910ELNS1_3gpuE8ELNS1_3repE0EEENS1_47radix_sort_onesweep_sort_config_static_selectorELNS0_4arch9wavefront6targetE1EEEvSI_,comdat
.Lfunc_end1219:
	.size	_ZN7rocprim17ROCPRIM_400000_NS6detail17trampoline_kernelINS0_14default_configENS1_35radix_sort_onesweep_config_selectorIxxEEZZNS1_29radix_sort_onesweep_iterationIS3_Lb0EN6thrust23THRUST_200600_302600_NS6detail15normal_iteratorINS8_10device_ptrIxEEEESD_SD_SD_jNS0_19identity_decomposerENS1_16block_id_wrapperIjLb1EEEEE10hipError_tT1_PNSt15iterator_traitsISI_E10value_typeET2_T3_PNSJ_ISO_E10value_typeET4_T5_PST_SU_PNS1_23onesweep_lookback_stateEbbT6_jjT7_P12ihipStream_tbENKUlT_T0_SI_SN_E_clIPxSD_S15_SD_EEDaS11_S12_SI_SN_EUlS11_E_NS1_11comp_targetILNS1_3genE4ELNS1_11target_archE910ELNS1_3gpuE8ELNS1_3repE0EEENS1_47radix_sort_onesweep_sort_config_static_selectorELNS0_4arch9wavefront6targetE1EEEvSI_, .Lfunc_end1219-_ZN7rocprim17ROCPRIM_400000_NS6detail17trampoline_kernelINS0_14default_configENS1_35radix_sort_onesweep_config_selectorIxxEEZZNS1_29radix_sort_onesweep_iterationIS3_Lb0EN6thrust23THRUST_200600_302600_NS6detail15normal_iteratorINS8_10device_ptrIxEEEESD_SD_SD_jNS0_19identity_decomposerENS1_16block_id_wrapperIjLb1EEEEE10hipError_tT1_PNSt15iterator_traitsISI_E10value_typeET2_T3_PNSJ_ISO_E10value_typeET4_T5_PST_SU_PNS1_23onesweep_lookback_stateEbbT6_jjT7_P12ihipStream_tbENKUlT_T0_SI_SN_E_clIPxSD_S15_SD_EEDaS11_S12_SI_SN_EUlS11_E_NS1_11comp_targetILNS1_3genE4ELNS1_11target_archE910ELNS1_3gpuE8ELNS1_3repE0EEENS1_47radix_sort_onesweep_sort_config_static_selectorELNS0_4arch9wavefront6targetE1EEEvSI_
                                        ; -- End function
	.set _ZN7rocprim17ROCPRIM_400000_NS6detail17trampoline_kernelINS0_14default_configENS1_35radix_sort_onesweep_config_selectorIxxEEZZNS1_29radix_sort_onesweep_iterationIS3_Lb0EN6thrust23THRUST_200600_302600_NS6detail15normal_iteratorINS8_10device_ptrIxEEEESD_SD_SD_jNS0_19identity_decomposerENS1_16block_id_wrapperIjLb1EEEEE10hipError_tT1_PNSt15iterator_traitsISI_E10value_typeET2_T3_PNSJ_ISO_E10value_typeET4_T5_PST_SU_PNS1_23onesweep_lookback_stateEbbT6_jjT7_P12ihipStream_tbENKUlT_T0_SI_SN_E_clIPxSD_S15_SD_EEDaS11_S12_SI_SN_EUlS11_E_NS1_11comp_targetILNS1_3genE4ELNS1_11target_archE910ELNS1_3gpuE8ELNS1_3repE0EEENS1_47radix_sort_onesweep_sort_config_static_selectorELNS0_4arch9wavefront6targetE1EEEvSI_.num_vgpr, 0
	.set _ZN7rocprim17ROCPRIM_400000_NS6detail17trampoline_kernelINS0_14default_configENS1_35radix_sort_onesweep_config_selectorIxxEEZZNS1_29radix_sort_onesweep_iterationIS3_Lb0EN6thrust23THRUST_200600_302600_NS6detail15normal_iteratorINS8_10device_ptrIxEEEESD_SD_SD_jNS0_19identity_decomposerENS1_16block_id_wrapperIjLb1EEEEE10hipError_tT1_PNSt15iterator_traitsISI_E10value_typeET2_T3_PNSJ_ISO_E10value_typeET4_T5_PST_SU_PNS1_23onesweep_lookback_stateEbbT6_jjT7_P12ihipStream_tbENKUlT_T0_SI_SN_E_clIPxSD_S15_SD_EEDaS11_S12_SI_SN_EUlS11_E_NS1_11comp_targetILNS1_3genE4ELNS1_11target_archE910ELNS1_3gpuE8ELNS1_3repE0EEENS1_47radix_sort_onesweep_sort_config_static_selectorELNS0_4arch9wavefront6targetE1EEEvSI_.num_agpr, 0
	.set _ZN7rocprim17ROCPRIM_400000_NS6detail17trampoline_kernelINS0_14default_configENS1_35radix_sort_onesweep_config_selectorIxxEEZZNS1_29radix_sort_onesweep_iterationIS3_Lb0EN6thrust23THRUST_200600_302600_NS6detail15normal_iteratorINS8_10device_ptrIxEEEESD_SD_SD_jNS0_19identity_decomposerENS1_16block_id_wrapperIjLb1EEEEE10hipError_tT1_PNSt15iterator_traitsISI_E10value_typeET2_T3_PNSJ_ISO_E10value_typeET4_T5_PST_SU_PNS1_23onesweep_lookback_stateEbbT6_jjT7_P12ihipStream_tbENKUlT_T0_SI_SN_E_clIPxSD_S15_SD_EEDaS11_S12_SI_SN_EUlS11_E_NS1_11comp_targetILNS1_3genE4ELNS1_11target_archE910ELNS1_3gpuE8ELNS1_3repE0EEENS1_47radix_sort_onesweep_sort_config_static_selectorELNS0_4arch9wavefront6targetE1EEEvSI_.numbered_sgpr, 0
	.set _ZN7rocprim17ROCPRIM_400000_NS6detail17trampoline_kernelINS0_14default_configENS1_35radix_sort_onesweep_config_selectorIxxEEZZNS1_29radix_sort_onesweep_iterationIS3_Lb0EN6thrust23THRUST_200600_302600_NS6detail15normal_iteratorINS8_10device_ptrIxEEEESD_SD_SD_jNS0_19identity_decomposerENS1_16block_id_wrapperIjLb1EEEEE10hipError_tT1_PNSt15iterator_traitsISI_E10value_typeET2_T3_PNSJ_ISO_E10value_typeET4_T5_PST_SU_PNS1_23onesweep_lookback_stateEbbT6_jjT7_P12ihipStream_tbENKUlT_T0_SI_SN_E_clIPxSD_S15_SD_EEDaS11_S12_SI_SN_EUlS11_E_NS1_11comp_targetILNS1_3genE4ELNS1_11target_archE910ELNS1_3gpuE8ELNS1_3repE0EEENS1_47radix_sort_onesweep_sort_config_static_selectorELNS0_4arch9wavefront6targetE1EEEvSI_.num_named_barrier, 0
	.set _ZN7rocprim17ROCPRIM_400000_NS6detail17trampoline_kernelINS0_14default_configENS1_35radix_sort_onesweep_config_selectorIxxEEZZNS1_29radix_sort_onesweep_iterationIS3_Lb0EN6thrust23THRUST_200600_302600_NS6detail15normal_iteratorINS8_10device_ptrIxEEEESD_SD_SD_jNS0_19identity_decomposerENS1_16block_id_wrapperIjLb1EEEEE10hipError_tT1_PNSt15iterator_traitsISI_E10value_typeET2_T3_PNSJ_ISO_E10value_typeET4_T5_PST_SU_PNS1_23onesweep_lookback_stateEbbT6_jjT7_P12ihipStream_tbENKUlT_T0_SI_SN_E_clIPxSD_S15_SD_EEDaS11_S12_SI_SN_EUlS11_E_NS1_11comp_targetILNS1_3genE4ELNS1_11target_archE910ELNS1_3gpuE8ELNS1_3repE0EEENS1_47radix_sort_onesweep_sort_config_static_selectorELNS0_4arch9wavefront6targetE1EEEvSI_.private_seg_size, 0
	.set _ZN7rocprim17ROCPRIM_400000_NS6detail17trampoline_kernelINS0_14default_configENS1_35radix_sort_onesweep_config_selectorIxxEEZZNS1_29radix_sort_onesweep_iterationIS3_Lb0EN6thrust23THRUST_200600_302600_NS6detail15normal_iteratorINS8_10device_ptrIxEEEESD_SD_SD_jNS0_19identity_decomposerENS1_16block_id_wrapperIjLb1EEEEE10hipError_tT1_PNSt15iterator_traitsISI_E10value_typeET2_T3_PNSJ_ISO_E10value_typeET4_T5_PST_SU_PNS1_23onesweep_lookback_stateEbbT6_jjT7_P12ihipStream_tbENKUlT_T0_SI_SN_E_clIPxSD_S15_SD_EEDaS11_S12_SI_SN_EUlS11_E_NS1_11comp_targetILNS1_3genE4ELNS1_11target_archE910ELNS1_3gpuE8ELNS1_3repE0EEENS1_47radix_sort_onesweep_sort_config_static_selectorELNS0_4arch9wavefront6targetE1EEEvSI_.uses_vcc, 0
	.set _ZN7rocprim17ROCPRIM_400000_NS6detail17trampoline_kernelINS0_14default_configENS1_35radix_sort_onesweep_config_selectorIxxEEZZNS1_29radix_sort_onesweep_iterationIS3_Lb0EN6thrust23THRUST_200600_302600_NS6detail15normal_iteratorINS8_10device_ptrIxEEEESD_SD_SD_jNS0_19identity_decomposerENS1_16block_id_wrapperIjLb1EEEEE10hipError_tT1_PNSt15iterator_traitsISI_E10value_typeET2_T3_PNSJ_ISO_E10value_typeET4_T5_PST_SU_PNS1_23onesweep_lookback_stateEbbT6_jjT7_P12ihipStream_tbENKUlT_T0_SI_SN_E_clIPxSD_S15_SD_EEDaS11_S12_SI_SN_EUlS11_E_NS1_11comp_targetILNS1_3genE4ELNS1_11target_archE910ELNS1_3gpuE8ELNS1_3repE0EEENS1_47radix_sort_onesweep_sort_config_static_selectorELNS0_4arch9wavefront6targetE1EEEvSI_.uses_flat_scratch, 0
	.set _ZN7rocprim17ROCPRIM_400000_NS6detail17trampoline_kernelINS0_14default_configENS1_35radix_sort_onesweep_config_selectorIxxEEZZNS1_29radix_sort_onesweep_iterationIS3_Lb0EN6thrust23THRUST_200600_302600_NS6detail15normal_iteratorINS8_10device_ptrIxEEEESD_SD_SD_jNS0_19identity_decomposerENS1_16block_id_wrapperIjLb1EEEEE10hipError_tT1_PNSt15iterator_traitsISI_E10value_typeET2_T3_PNSJ_ISO_E10value_typeET4_T5_PST_SU_PNS1_23onesweep_lookback_stateEbbT6_jjT7_P12ihipStream_tbENKUlT_T0_SI_SN_E_clIPxSD_S15_SD_EEDaS11_S12_SI_SN_EUlS11_E_NS1_11comp_targetILNS1_3genE4ELNS1_11target_archE910ELNS1_3gpuE8ELNS1_3repE0EEENS1_47radix_sort_onesweep_sort_config_static_selectorELNS0_4arch9wavefront6targetE1EEEvSI_.has_dyn_sized_stack, 0
	.set _ZN7rocprim17ROCPRIM_400000_NS6detail17trampoline_kernelINS0_14default_configENS1_35radix_sort_onesweep_config_selectorIxxEEZZNS1_29radix_sort_onesweep_iterationIS3_Lb0EN6thrust23THRUST_200600_302600_NS6detail15normal_iteratorINS8_10device_ptrIxEEEESD_SD_SD_jNS0_19identity_decomposerENS1_16block_id_wrapperIjLb1EEEEE10hipError_tT1_PNSt15iterator_traitsISI_E10value_typeET2_T3_PNSJ_ISO_E10value_typeET4_T5_PST_SU_PNS1_23onesweep_lookback_stateEbbT6_jjT7_P12ihipStream_tbENKUlT_T0_SI_SN_E_clIPxSD_S15_SD_EEDaS11_S12_SI_SN_EUlS11_E_NS1_11comp_targetILNS1_3genE4ELNS1_11target_archE910ELNS1_3gpuE8ELNS1_3repE0EEENS1_47radix_sort_onesweep_sort_config_static_selectorELNS0_4arch9wavefront6targetE1EEEvSI_.has_recursion, 0
	.set _ZN7rocprim17ROCPRIM_400000_NS6detail17trampoline_kernelINS0_14default_configENS1_35radix_sort_onesweep_config_selectorIxxEEZZNS1_29radix_sort_onesweep_iterationIS3_Lb0EN6thrust23THRUST_200600_302600_NS6detail15normal_iteratorINS8_10device_ptrIxEEEESD_SD_SD_jNS0_19identity_decomposerENS1_16block_id_wrapperIjLb1EEEEE10hipError_tT1_PNSt15iterator_traitsISI_E10value_typeET2_T3_PNSJ_ISO_E10value_typeET4_T5_PST_SU_PNS1_23onesweep_lookback_stateEbbT6_jjT7_P12ihipStream_tbENKUlT_T0_SI_SN_E_clIPxSD_S15_SD_EEDaS11_S12_SI_SN_EUlS11_E_NS1_11comp_targetILNS1_3genE4ELNS1_11target_archE910ELNS1_3gpuE8ELNS1_3repE0EEENS1_47radix_sort_onesweep_sort_config_static_selectorELNS0_4arch9wavefront6targetE1EEEvSI_.has_indirect_call, 0
	.section	.AMDGPU.csdata,"",@progbits
; Kernel info:
; codeLenInByte = 0
; TotalNumSgprs: 6
; NumVgprs: 0
; NumAgprs: 0
; TotalNumVgprs: 0
; ScratchSize: 0
; MemoryBound: 0
; FloatMode: 240
; IeeeMode: 1
; LDSByteSize: 0 bytes/workgroup (compile time only)
; SGPRBlocks: 0
; VGPRBlocks: 0
; NumSGPRsForWavesPerEU: 6
; NumVGPRsForWavesPerEU: 1
; AccumOffset: 4
; Occupancy: 8
; WaveLimiterHint : 0
; COMPUTE_PGM_RSRC2:SCRATCH_EN: 0
; COMPUTE_PGM_RSRC2:USER_SGPR: 2
; COMPUTE_PGM_RSRC2:TRAP_HANDLER: 0
; COMPUTE_PGM_RSRC2:TGID_X_EN: 1
; COMPUTE_PGM_RSRC2:TGID_Y_EN: 0
; COMPUTE_PGM_RSRC2:TGID_Z_EN: 0
; COMPUTE_PGM_RSRC2:TIDIG_COMP_CNT: 0
; COMPUTE_PGM_RSRC3_GFX90A:ACCUM_OFFSET: 0
; COMPUTE_PGM_RSRC3_GFX90A:TG_SPLIT: 0
	.section	.text._ZN7rocprim17ROCPRIM_400000_NS6detail17trampoline_kernelINS0_14default_configENS1_35radix_sort_onesweep_config_selectorIxxEEZZNS1_29radix_sort_onesweep_iterationIS3_Lb0EN6thrust23THRUST_200600_302600_NS6detail15normal_iteratorINS8_10device_ptrIxEEEESD_SD_SD_jNS0_19identity_decomposerENS1_16block_id_wrapperIjLb1EEEEE10hipError_tT1_PNSt15iterator_traitsISI_E10value_typeET2_T3_PNSJ_ISO_E10value_typeET4_T5_PST_SU_PNS1_23onesweep_lookback_stateEbbT6_jjT7_P12ihipStream_tbENKUlT_T0_SI_SN_E_clIPxSD_S15_SD_EEDaS11_S12_SI_SN_EUlS11_E_NS1_11comp_targetILNS1_3genE3ELNS1_11target_archE908ELNS1_3gpuE7ELNS1_3repE0EEENS1_47radix_sort_onesweep_sort_config_static_selectorELNS0_4arch9wavefront6targetE1EEEvSI_,"axG",@progbits,_ZN7rocprim17ROCPRIM_400000_NS6detail17trampoline_kernelINS0_14default_configENS1_35radix_sort_onesweep_config_selectorIxxEEZZNS1_29radix_sort_onesweep_iterationIS3_Lb0EN6thrust23THRUST_200600_302600_NS6detail15normal_iteratorINS8_10device_ptrIxEEEESD_SD_SD_jNS0_19identity_decomposerENS1_16block_id_wrapperIjLb1EEEEE10hipError_tT1_PNSt15iterator_traitsISI_E10value_typeET2_T3_PNSJ_ISO_E10value_typeET4_T5_PST_SU_PNS1_23onesweep_lookback_stateEbbT6_jjT7_P12ihipStream_tbENKUlT_T0_SI_SN_E_clIPxSD_S15_SD_EEDaS11_S12_SI_SN_EUlS11_E_NS1_11comp_targetILNS1_3genE3ELNS1_11target_archE908ELNS1_3gpuE7ELNS1_3repE0EEENS1_47radix_sort_onesweep_sort_config_static_selectorELNS0_4arch9wavefront6targetE1EEEvSI_,comdat
	.protected	_ZN7rocprim17ROCPRIM_400000_NS6detail17trampoline_kernelINS0_14default_configENS1_35radix_sort_onesweep_config_selectorIxxEEZZNS1_29radix_sort_onesweep_iterationIS3_Lb0EN6thrust23THRUST_200600_302600_NS6detail15normal_iteratorINS8_10device_ptrIxEEEESD_SD_SD_jNS0_19identity_decomposerENS1_16block_id_wrapperIjLb1EEEEE10hipError_tT1_PNSt15iterator_traitsISI_E10value_typeET2_T3_PNSJ_ISO_E10value_typeET4_T5_PST_SU_PNS1_23onesweep_lookback_stateEbbT6_jjT7_P12ihipStream_tbENKUlT_T0_SI_SN_E_clIPxSD_S15_SD_EEDaS11_S12_SI_SN_EUlS11_E_NS1_11comp_targetILNS1_3genE3ELNS1_11target_archE908ELNS1_3gpuE7ELNS1_3repE0EEENS1_47radix_sort_onesweep_sort_config_static_selectorELNS0_4arch9wavefront6targetE1EEEvSI_ ; -- Begin function _ZN7rocprim17ROCPRIM_400000_NS6detail17trampoline_kernelINS0_14default_configENS1_35radix_sort_onesweep_config_selectorIxxEEZZNS1_29radix_sort_onesweep_iterationIS3_Lb0EN6thrust23THRUST_200600_302600_NS6detail15normal_iteratorINS8_10device_ptrIxEEEESD_SD_SD_jNS0_19identity_decomposerENS1_16block_id_wrapperIjLb1EEEEE10hipError_tT1_PNSt15iterator_traitsISI_E10value_typeET2_T3_PNSJ_ISO_E10value_typeET4_T5_PST_SU_PNS1_23onesweep_lookback_stateEbbT6_jjT7_P12ihipStream_tbENKUlT_T0_SI_SN_E_clIPxSD_S15_SD_EEDaS11_S12_SI_SN_EUlS11_E_NS1_11comp_targetILNS1_3genE3ELNS1_11target_archE908ELNS1_3gpuE7ELNS1_3repE0EEENS1_47radix_sort_onesweep_sort_config_static_selectorELNS0_4arch9wavefront6targetE1EEEvSI_
	.globl	_ZN7rocprim17ROCPRIM_400000_NS6detail17trampoline_kernelINS0_14default_configENS1_35radix_sort_onesweep_config_selectorIxxEEZZNS1_29radix_sort_onesweep_iterationIS3_Lb0EN6thrust23THRUST_200600_302600_NS6detail15normal_iteratorINS8_10device_ptrIxEEEESD_SD_SD_jNS0_19identity_decomposerENS1_16block_id_wrapperIjLb1EEEEE10hipError_tT1_PNSt15iterator_traitsISI_E10value_typeET2_T3_PNSJ_ISO_E10value_typeET4_T5_PST_SU_PNS1_23onesweep_lookback_stateEbbT6_jjT7_P12ihipStream_tbENKUlT_T0_SI_SN_E_clIPxSD_S15_SD_EEDaS11_S12_SI_SN_EUlS11_E_NS1_11comp_targetILNS1_3genE3ELNS1_11target_archE908ELNS1_3gpuE7ELNS1_3repE0EEENS1_47radix_sort_onesweep_sort_config_static_selectorELNS0_4arch9wavefront6targetE1EEEvSI_
	.p2align	8
	.type	_ZN7rocprim17ROCPRIM_400000_NS6detail17trampoline_kernelINS0_14default_configENS1_35radix_sort_onesweep_config_selectorIxxEEZZNS1_29radix_sort_onesweep_iterationIS3_Lb0EN6thrust23THRUST_200600_302600_NS6detail15normal_iteratorINS8_10device_ptrIxEEEESD_SD_SD_jNS0_19identity_decomposerENS1_16block_id_wrapperIjLb1EEEEE10hipError_tT1_PNSt15iterator_traitsISI_E10value_typeET2_T3_PNSJ_ISO_E10value_typeET4_T5_PST_SU_PNS1_23onesweep_lookback_stateEbbT6_jjT7_P12ihipStream_tbENKUlT_T0_SI_SN_E_clIPxSD_S15_SD_EEDaS11_S12_SI_SN_EUlS11_E_NS1_11comp_targetILNS1_3genE3ELNS1_11target_archE908ELNS1_3gpuE7ELNS1_3repE0EEENS1_47radix_sort_onesweep_sort_config_static_selectorELNS0_4arch9wavefront6targetE1EEEvSI_,@function
_ZN7rocprim17ROCPRIM_400000_NS6detail17trampoline_kernelINS0_14default_configENS1_35radix_sort_onesweep_config_selectorIxxEEZZNS1_29radix_sort_onesweep_iterationIS3_Lb0EN6thrust23THRUST_200600_302600_NS6detail15normal_iteratorINS8_10device_ptrIxEEEESD_SD_SD_jNS0_19identity_decomposerENS1_16block_id_wrapperIjLb1EEEEE10hipError_tT1_PNSt15iterator_traitsISI_E10value_typeET2_T3_PNSJ_ISO_E10value_typeET4_T5_PST_SU_PNS1_23onesweep_lookback_stateEbbT6_jjT7_P12ihipStream_tbENKUlT_T0_SI_SN_E_clIPxSD_S15_SD_EEDaS11_S12_SI_SN_EUlS11_E_NS1_11comp_targetILNS1_3genE3ELNS1_11target_archE908ELNS1_3gpuE7ELNS1_3repE0EEENS1_47radix_sort_onesweep_sort_config_static_selectorELNS0_4arch9wavefront6targetE1EEEvSI_: ; @_ZN7rocprim17ROCPRIM_400000_NS6detail17trampoline_kernelINS0_14default_configENS1_35radix_sort_onesweep_config_selectorIxxEEZZNS1_29radix_sort_onesweep_iterationIS3_Lb0EN6thrust23THRUST_200600_302600_NS6detail15normal_iteratorINS8_10device_ptrIxEEEESD_SD_SD_jNS0_19identity_decomposerENS1_16block_id_wrapperIjLb1EEEEE10hipError_tT1_PNSt15iterator_traitsISI_E10value_typeET2_T3_PNSJ_ISO_E10value_typeET4_T5_PST_SU_PNS1_23onesweep_lookback_stateEbbT6_jjT7_P12ihipStream_tbENKUlT_T0_SI_SN_E_clIPxSD_S15_SD_EEDaS11_S12_SI_SN_EUlS11_E_NS1_11comp_targetILNS1_3genE3ELNS1_11target_archE908ELNS1_3gpuE7ELNS1_3repE0EEENS1_47radix_sort_onesweep_sort_config_static_selectorELNS0_4arch9wavefront6targetE1EEEvSI_
; %bb.0:
	.section	.rodata,"a",@progbits
	.p2align	6, 0x0
	.amdhsa_kernel _ZN7rocprim17ROCPRIM_400000_NS6detail17trampoline_kernelINS0_14default_configENS1_35radix_sort_onesweep_config_selectorIxxEEZZNS1_29radix_sort_onesweep_iterationIS3_Lb0EN6thrust23THRUST_200600_302600_NS6detail15normal_iteratorINS8_10device_ptrIxEEEESD_SD_SD_jNS0_19identity_decomposerENS1_16block_id_wrapperIjLb1EEEEE10hipError_tT1_PNSt15iterator_traitsISI_E10value_typeET2_T3_PNSJ_ISO_E10value_typeET4_T5_PST_SU_PNS1_23onesweep_lookback_stateEbbT6_jjT7_P12ihipStream_tbENKUlT_T0_SI_SN_E_clIPxSD_S15_SD_EEDaS11_S12_SI_SN_EUlS11_E_NS1_11comp_targetILNS1_3genE3ELNS1_11target_archE908ELNS1_3gpuE7ELNS1_3repE0EEENS1_47radix_sort_onesweep_sort_config_static_selectorELNS0_4arch9wavefront6targetE1EEEvSI_
		.amdhsa_group_segment_fixed_size 0
		.amdhsa_private_segment_fixed_size 0
		.amdhsa_kernarg_size 88
		.amdhsa_user_sgpr_count 2
		.amdhsa_user_sgpr_dispatch_ptr 0
		.amdhsa_user_sgpr_queue_ptr 0
		.amdhsa_user_sgpr_kernarg_segment_ptr 1
		.amdhsa_user_sgpr_dispatch_id 0
		.amdhsa_user_sgpr_kernarg_preload_length 0
		.amdhsa_user_sgpr_kernarg_preload_offset 0
		.amdhsa_user_sgpr_private_segment_size 0
		.amdhsa_uses_dynamic_stack 0
		.amdhsa_enable_private_segment 0
		.amdhsa_system_sgpr_workgroup_id_x 1
		.amdhsa_system_sgpr_workgroup_id_y 0
		.amdhsa_system_sgpr_workgroup_id_z 0
		.amdhsa_system_sgpr_workgroup_info 0
		.amdhsa_system_vgpr_workitem_id 0
		.amdhsa_next_free_vgpr 1
		.amdhsa_next_free_sgpr 0
		.amdhsa_accum_offset 4
		.amdhsa_reserve_vcc 0
		.amdhsa_float_round_mode_32 0
		.amdhsa_float_round_mode_16_64 0
		.amdhsa_float_denorm_mode_32 3
		.amdhsa_float_denorm_mode_16_64 3
		.amdhsa_dx10_clamp 1
		.amdhsa_ieee_mode 1
		.amdhsa_fp16_overflow 0
		.amdhsa_tg_split 0
		.amdhsa_exception_fp_ieee_invalid_op 0
		.amdhsa_exception_fp_denorm_src 0
		.amdhsa_exception_fp_ieee_div_zero 0
		.amdhsa_exception_fp_ieee_overflow 0
		.amdhsa_exception_fp_ieee_underflow 0
		.amdhsa_exception_fp_ieee_inexact 0
		.amdhsa_exception_int_div_zero 0
	.end_amdhsa_kernel
	.section	.text._ZN7rocprim17ROCPRIM_400000_NS6detail17trampoline_kernelINS0_14default_configENS1_35radix_sort_onesweep_config_selectorIxxEEZZNS1_29radix_sort_onesweep_iterationIS3_Lb0EN6thrust23THRUST_200600_302600_NS6detail15normal_iteratorINS8_10device_ptrIxEEEESD_SD_SD_jNS0_19identity_decomposerENS1_16block_id_wrapperIjLb1EEEEE10hipError_tT1_PNSt15iterator_traitsISI_E10value_typeET2_T3_PNSJ_ISO_E10value_typeET4_T5_PST_SU_PNS1_23onesweep_lookback_stateEbbT6_jjT7_P12ihipStream_tbENKUlT_T0_SI_SN_E_clIPxSD_S15_SD_EEDaS11_S12_SI_SN_EUlS11_E_NS1_11comp_targetILNS1_3genE3ELNS1_11target_archE908ELNS1_3gpuE7ELNS1_3repE0EEENS1_47radix_sort_onesweep_sort_config_static_selectorELNS0_4arch9wavefront6targetE1EEEvSI_,"axG",@progbits,_ZN7rocprim17ROCPRIM_400000_NS6detail17trampoline_kernelINS0_14default_configENS1_35radix_sort_onesweep_config_selectorIxxEEZZNS1_29radix_sort_onesweep_iterationIS3_Lb0EN6thrust23THRUST_200600_302600_NS6detail15normal_iteratorINS8_10device_ptrIxEEEESD_SD_SD_jNS0_19identity_decomposerENS1_16block_id_wrapperIjLb1EEEEE10hipError_tT1_PNSt15iterator_traitsISI_E10value_typeET2_T3_PNSJ_ISO_E10value_typeET4_T5_PST_SU_PNS1_23onesweep_lookback_stateEbbT6_jjT7_P12ihipStream_tbENKUlT_T0_SI_SN_E_clIPxSD_S15_SD_EEDaS11_S12_SI_SN_EUlS11_E_NS1_11comp_targetILNS1_3genE3ELNS1_11target_archE908ELNS1_3gpuE7ELNS1_3repE0EEENS1_47radix_sort_onesweep_sort_config_static_selectorELNS0_4arch9wavefront6targetE1EEEvSI_,comdat
.Lfunc_end1220:
	.size	_ZN7rocprim17ROCPRIM_400000_NS6detail17trampoline_kernelINS0_14default_configENS1_35radix_sort_onesweep_config_selectorIxxEEZZNS1_29radix_sort_onesweep_iterationIS3_Lb0EN6thrust23THRUST_200600_302600_NS6detail15normal_iteratorINS8_10device_ptrIxEEEESD_SD_SD_jNS0_19identity_decomposerENS1_16block_id_wrapperIjLb1EEEEE10hipError_tT1_PNSt15iterator_traitsISI_E10value_typeET2_T3_PNSJ_ISO_E10value_typeET4_T5_PST_SU_PNS1_23onesweep_lookback_stateEbbT6_jjT7_P12ihipStream_tbENKUlT_T0_SI_SN_E_clIPxSD_S15_SD_EEDaS11_S12_SI_SN_EUlS11_E_NS1_11comp_targetILNS1_3genE3ELNS1_11target_archE908ELNS1_3gpuE7ELNS1_3repE0EEENS1_47radix_sort_onesweep_sort_config_static_selectorELNS0_4arch9wavefront6targetE1EEEvSI_, .Lfunc_end1220-_ZN7rocprim17ROCPRIM_400000_NS6detail17trampoline_kernelINS0_14default_configENS1_35radix_sort_onesweep_config_selectorIxxEEZZNS1_29radix_sort_onesweep_iterationIS3_Lb0EN6thrust23THRUST_200600_302600_NS6detail15normal_iteratorINS8_10device_ptrIxEEEESD_SD_SD_jNS0_19identity_decomposerENS1_16block_id_wrapperIjLb1EEEEE10hipError_tT1_PNSt15iterator_traitsISI_E10value_typeET2_T3_PNSJ_ISO_E10value_typeET4_T5_PST_SU_PNS1_23onesweep_lookback_stateEbbT6_jjT7_P12ihipStream_tbENKUlT_T0_SI_SN_E_clIPxSD_S15_SD_EEDaS11_S12_SI_SN_EUlS11_E_NS1_11comp_targetILNS1_3genE3ELNS1_11target_archE908ELNS1_3gpuE7ELNS1_3repE0EEENS1_47radix_sort_onesweep_sort_config_static_selectorELNS0_4arch9wavefront6targetE1EEEvSI_
                                        ; -- End function
	.set _ZN7rocprim17ROCPRIM_400000_NS6detail17trampoline_kernelINS0_14default_configENS1_35radix_sort_onesweep_config_selectorIxxEEZZNS1_29radix_sort_onesweep_iterationIS3_Lb0EN6thrust23THRUST_200600_302600_NS6detail15normal_iteratorINS8_10device_ptrIxEEEESD_SD_SD_jNS0_19identity_decomposerENS1_16block_id_wrapperIjLb1EEEEE10hipError_tT1_PNSt15iterator_traitsISI_E10value_typeET2_T3_PNSJ_ISO_E10value_typeET4_T5_PST_SU_PNS1_23onesweep_lookback_stateEbbT6_jjT7_P12ihipStream_tbENKUlT_T0_SI_SN_E_clIPxSD_S15_SD_EEDaS11_S12_SI_SN_EUlS11_E_NS1_11comp_targetILNS1_3genE3ELNS1_11target_archE908ELNS1_3gpuE7ELNS1_3repE0EEENS1_47radix_sort_onesweep_sort_config_static_selectorELNS0_4arch9wavefront6targetE1EEEvSI_.num_vgpr, 0
	.set _ZN7rocprim17ROCPRIM_400000_NS6detail17trampoline_kernelINS0_14default_configENS1_35radix_sort_onesweep_config_selectorIxxEEZZNS1_29radix_sort_onesweep_iterationIS3_Lb0EN6thrust23THRUST_200600_302600_NS6detail15normal_iteratorINS8_10device_ptrIxEEEESD_SD_SD_jNS0_19identity_decomposerENS1_16block_id_wrapperIjLb1EEEEE10hipError_tT1_PNSt15iterator_traitsISI_E10value_typeET2_T3_PNSJ_ISO_E10value_typeET4_T5_PST_SU_PNS1_23onesweep_lookback_stateEbbT6_jjT7_P12ihipStream_tbENKUlT_T0_SI_SN_E_clIPxSD_S15_SD_EEDaS11_S12_SI_SN_EUlS11_E_NS1_11comp_targetILNS1_3genE3ELNS1_11target_archE908ELNS1_3gpuE7ELNS1_3repE0EEENS1_47radix_sort_onesweep_sort_config_static_selectorELNS0_4arch9wavefront6targetE1EEEvSI_.num_agpr, 0
	.set _ZN7rocprim17ROCPRIM_400000_NS6detail17trampoline_kernelINS0_14default_configENS1_35radix_sort_onesweep_config_selectorIxxEEZZNS1_29radix_sort_onesweep_iterationIS3_Lb0EN6thrust23THRUST_200600_302600_NS6detail15normal_iteratorINS8_10device_ptrIxEEEESD_SD_SD_jNS0_19identity_decomposerENS1_16block_id_wrapperIjLb1EEEEE10hipError_tT1_PNSt15iterator_traitsISI_E10value_typeET2_T3_PNSJ_ISO_E10value_typeET4_T5_PST_SU_PNS1_23onesweep_lookback_stateEbbT6_jjT7_P12ihipStream_tbENKUlT_T0_SI_SN_E_clIPxSD_S15_SD_EEDaS11_S12_SI_SN_EUlS11_E_NS1_11comp_targetILNS1_3genE3ELNS1_11target_archE908ELNS1_3gpuE7ELNS1_3repE0EEENS1_47radix_sort_onesweep_sort_config_static_selectorELNS0_4arch9wavefront6targetE1EEEvSI_.numbered_sgpr, 0
	.set _ZN7rocprim17ROCPRIM_400000_NS6detail17trampoline_kernelINS0_14default_configENS1_35radix_sort_onesweep_config_selectorIxxEEZZNS1_29radix_sort_onesweep_iterationIS3_Lb0EN6thrust23THRUST_200600_302600_NS6detail15normal_iteratorINS8_10device_ptrIxEEEESD_SD_SD_jNS0_19identity_decomposerENS1_16block_id_wrapperIjLb1EEEEE10hipError_tT1_PNSt15iterator_traitsISI_E10value_typeET2_T3_PNSJ_ISO_E10value_typeET4_T5_PST_SU_PNS1_23onesweep_lookback_stateEbbT6_jjT7_P12ihipStream_tbENKUlT_T0_SI_SN_E_clIPxSD_S15_SD_EEDaS11_S12_SI_SN_EUlS11_E_NS1_11comp_targetILNS1_3genE3ELNS1_11target_archE908ELNS1_3gpuE7ELNS1_3repE0EEENS1_47radix_sort_onesweep_sort_config_static_selectorELNS0_4arch9wavefront6targetE1EEEvSI_.num_named_barrier, 0
	.set _ZN7rocprim17ROCPRIM_400000_NS6detail17trampoline_kernelINS0_14default_configENS1_35radix_sort_onesweep_config_selectorIxxEEZZNS1_29radix_sort_onesweep_iterationIS3_Lb0EN6thrust23THRUST_200600_302600_NS6detail15normal_iteratorINS8_10device_ptrIxEEEESD_SD_SD_jNS0_19identity_decomposerENS1_16block_id_wrapperIjLb1EEEEE10hipError_tT1_PNSt15iterator_traitsISI_E10value_typeET2_T3_PNSJ_ISO_E10value_typeET4_T5_PST_SU_PNS1_23onesweep_lookback_stateEbbT6_jjT7_P12ihipStream_tbENKUlT_T0_SI_SN_E_clIPxSD_S15_SD_EEDaS11_S12_SI_SN_EUlS11_E_NS1_11comp_targetILNS1_3genE3ELNS1_11target_archE908ELNS1_3gpuE7ELNS1_3repE0EEENS1_47radix_sort_onesweep_sort_config_static_selectorELNS0_4arch9wavefront6targetE1EEEvSI_.private_seg_size, 0
	.set _ZN7rocprim17ROCPRIM_400000_NS6detail17trampoline_kernelINS0_14default_configENS1_35radix_sort_onesweep_config_selectorIxxEEZZNS1_29radix_sort_onesweep_iterationIS3_Lb0EN6thrust23THRUST_200600_302600_NS6detail15normal_iteratorINS8_10device_ptrIxEEEESD_SD_SD_jNS0_19identity_decomposerENS1_16block_id_wrapperIjLb1EEEEE10hipError_tT1_PNSt15iterator_traitsISI_E10value_typeET2_T3_PNSJ_ISO_E10value_typeET4_T5_PST_SU_PNS1_23onesweep_lookback_stateEbbT6_jjT7_P12ihipStream_tbENKUlT_T0_SI_SN_E_clIPxSD_S15_SD_EEDaS11_S12_SI_SN_EUlS11_E_NS1_11comp_targetILNS1_3genE3ELNS1_11target_archE908ELNS1_3gpuE7ELNS1_3repE0EEENS1_47radix_sort_onesweep_sort_config_static_selectorELNS0_4arch9wavefront6targetE1EEEvSI_.uses_vcc, 0
	.set _ZN7rocprim17ROCPRIM_400000_NS6detail17trampoline_kernelINS0_14default_configENS1_35radix_sort_onesweep_config_selectorIxxEEZZNS1_29radix_sort_onesweep_iterationIS3_Lb0EN6thrust23THRUST_200600_302600_NS6detail15normal_iteratorINS8_10device_ptrIxEEEESD_SD_SD_jNS0_19identity_decomposerENS1_16block_id_wrapperIjLb1EEEEE10hipError_tT1_PNSt15iterator_traitsISI_E10value_typeET2_T3_PNSJ_ISO_E10value_typeET4_T5_PST_SU_PNS1_23onesweep_lookback_stateEbbT6_jjT7_P12ihipStream_tbENKUlT_T0_SI_SN_E_clIPxSD_S15_SD_EEDaS11_S12_SI_SN_EUlS11_E_NS1_11comp_targetILNS1_3genE3ELNS1_11target_archE908ELNS1_3gpuE7ELNS1_3repE0EEENS1_47radix_sort_onesweep_sort_config_static_selectorELNS0_4arch9wavefront6targetE1EEEvSI_.uses_flat_scratch, 0
	.set _ZN7rocprim17ROCPRIM_400000_NS6detail17trampoline_kernelINS0_14default_configENS1_35radix_sort_onesweep_config_selectorIxxEEZZNS1_29radix_sort_onesweep_iterationIS3_Lb0EN6thrust23THRUST_200600_302600_NS6detail15normal_iteratorINS8_10device_ptrIxEEEESD_SD_SD_jNS0_19identity_decomposerENS1_16block_id_wrapperIjLb1EEEEE10hipError_tT1_PNSt15iterator_traitsISI_E10value_typeET2_T3_PNSJ_ISO_E10value_typeET4_T5_PST_SU_PNS1_23onesweep_lookback_stateEbbT6_jjT7_P12ihipStream_tbENKUlT_T0_SI_SN_E_clIPxSD_S15_SD_EEDaS11_S12_SI_SN_EUlS11_E_NS1_11comp_targetILNS1_3genE3ELNS1_11target_archE908ELNS1_3gpuE7ELNS1_3repE0EEENS1_47radix_sort_onesweep_sort_config_static_selectorELNS0_4arch9wavefront6targetE1EEEvSI_.has_dyn_sized_stack, 0
	.set _ZN7rocprim17ROCPRIM_400000_NS6detail17trampoline_kernelINS0_14default_configENS1_35radix_sort_onesweep_config_selectorIxxEEZZNS1_29radix_sort_onesweep_iterationIS3_Lb0EN6thrust23THRUST_200600_302600_NS6detail15normal_iteratorINS8_10device_ptrIxEEEESD_SD_SD_jNS0_19identity_decomposerENS1_16block_id_wrapperIjLb1EEEEE10hipError_tT1_PNSt15iterator_traitsISI_E10value_typeET2_T3_PNSJ_ISO_E10value_typeET4_T5_PST_SU_PNS1_23onesweep_lookback_stateEbbT6_jjT7_P12ihipStream_tbENKUlT_T0_SI_SN_E_clIPxSD_S15_SD_EEDaS11_S12_SI_SN_EUlS11_E_NS1_11comp_targetILNS1_3genE3ELNS1_11target_archE908ELNS1_3gpuE7ELNS1_3repE0EEENS1_47radix_sort_onesweep_sort_config_static_selectorELNS0_4arch9wavefront6targetE1EEEvSI_.has_recursion, 0
	.set _ZN7rocprim17ROCPRIM_400000_NS6detail17trampoline_kernelINS0_14default_configENS1_35radix_sort_onesweep_config_selectorIxxEEZZNS1_29radix_sort_onesweep_iterationIS3_Lb0EN6thrust23THRUST_200600_302600_NS6detail15normal_iteratorINS8_10device_ptrIxEEEESD_SD_SD_jNS0_19identity_decomposerENS1_16block_id_wrapperIjLb1EEEEE10hipError_tT1_PNSt15iterator_traitsISI_E10value_typeET2_T3_PNSJ_ISO_E10value_typeET4_T5_PST_SU_PNS1_23onesweep_lookback_stateEbbT6_jjT7_P12ihipStream_tbENKUlT_T0_SI_SN_E_clIPxSD_S15_SD_EEDaS11_S12_SI_SN_EUlS11_E_NS1_11comp_targetILNS1_3genE3ELNS1_11target_archE908ELNS1_3gpuE7ELNS1_3repE0EEENS1_47radix_sort_onesweep_sort_config_static_selectorELNS0_4arch9wavefront6targetE1EEEvSI_.has_indirect_call, 0
	.section	.AMDGPU.csdata,"",@progbits
; Kernel info:
; codeLenInByte = 0
; TotalNumSgprs: 6
; NumVgprs: 0
; NumAgprs: 0
; TotalNumVgprs: 0
; ScratchSize: 0
; MemoryBound: 0
; FloatMode: 240
; IeeeMode: 1
; LDSByteSize: 0 bytes/workgroup (compile time only)
; SGPRBlocks: 0
; VGPRBlocks: 0
; NumSGPRsForWavesPerEU: 6
; NumVGPRsForWavesPerEU: 1
; AccumOffset: 4
; Occupancy: 8
; WaveLimiterHint : 0
; COMPUTE_PGM_RSRC2:SCRATCH_EN: 0
; COMPUTE_PGM_RSRC2:USER_SGPR: 2
; COMPUTE_PGM_RSRC2:TRAP_HANDLER: 0
; COMPUTE_PGM_RSRC2:TGID_X_EN: 1
; COMPUTE_PGM_RSRC2:TGID_Y_EN: 0
; COMPUTE_PGM_RSRC2:TGID_Z_EN: 0
; COMPUTE_PGM_RSRC2:TIDIG_COMP_CNT: 0
; COMPUTE_PGM_RSRC3_GFX90A:ACCUM_OFFSET: 0
; COMPUTE_PGM_RSRC3_GFX90A:TG_SPLIT: 0
	.section	.text._ZN7rocprim17ROCPRIM_400000_NS6detail17trampoline_kernelINS0_14default_configENS1_35radix_sort_onesweep_config_selectorIxxEEZZNS1_29radix_sort_onesweep_iterationIS3_Lb0EN6thrust23THRUST_200600_302600_NS6detail15normal_iteratorINS8_10device_ptrIxEEEESD_SD_SD_jNS0_19identity_decomposerENS1_16block_id_wrapperIjLb1EEEEE10hipError_tT1_PNSt15iterator_traitsISI_E10value_typeET2_T3_PNSJ_ISO_E10value_typeET4_T5_PST_SU_PNS1_23onesweep_lookback_stateEbbT6_jjT7_P12ihipStream_tbENKUlT_T0_SI_SN_E_clIPxSD_S15_SD_EEDaS11_S12_SI_SN_EUlS11_E_NS1_11comp_targetILNS1_3genE10ELNS1_11target_archE1201ELNS1_3gpuE5ELNS1_3repE0EEENS1_47radix_sort_onesweep_sort_config_static_selectorELNS0_4arch9wavefront6targetE1EEEvSI_,"axG",@progbits,_ZN7rocprim17ROCPRIM_400000_NS6detail17trampoline_kernelINS0_14default_configENS1_35radix_sort_onesweep_config_selectorIxxEEZZNS1_29radix_sort_onesweep_iterationIS3_Lb0EN6thrust23THRUST_200600_302600_NS6detail15normal_iteratorINS8_10device_ptrIxEEEESD_SD_SD_jNS0_19identity_decomposerENS1_16block_id_wrapperIjLb1EEEEE10hipError_tT1_PNSt15iterator_traitsISI_E10value_typeET2_T3_PNSJ_ISO_E10value_typeET4_T5_PST_SU_PNS1_23onesweep_lookback_stateEbbT6_jjT7_P12ihipStream_tbENKUlT_T0_SI_SN_E_clIPxSD_S15_SD_EEDaS11_S12_SI_SN_EUlS11_E_NS1_11comp_targetILNS1_3genE10ELNS1_11target_archE1201ELNS1_3gpuE5ELNS1_3repE0EEENS1_47radix_sort_onesweep_sort_config_static_selectorELNS0_4arch9wavefront6targetE1EEEvSI_,comdat
	.protected	_ZN7rocprim17ROCPRIM_400000_NS6detail17trampoline_kernelINS0_14default_configENS1_35radix_sort_onesweep_config_selectorIxxEEZZNS1_29radix_sort_onesweep_iterationIS3_Lb0EN6thrust23THRUST_200600_302600_NS6detail15normal_iteratorINS8_10device_ptrIxEEEESD_SD_SD_jNS0_19identity_decomposerENS1_16block_id_wrapperIjLb1EEEEE10hipError_tT1_PNSt15iterator_traitsISI_E10value_typeET2_T3_PNSJ_ISO_E10value_typeET4_T5_PST_SU_PNS1_23onesweep_lookback_stateEbbT6_jjT7_P12ihipStream_tbENKUlT_T0_SI_SN_E_clIPxSD_S15_SD_EEDaS11_S12_SI_SN_EUlS11_E_NS1_11comp_targetILNS1_3genE10ELNS1_11target_archE1201ELNS1_3gpuE5ELNS1_3repE0EEENS1_47radix_sort_onesweep_sort_config_static_selectorELNS0_4arch9wavefront6targetE1EEEvSI_ ; -- Begin function _ZN7rocprim17ROCPRIM_400000_NS6detail17trampoline_kernelINS0_14default_configENS1_35radix_sort_onesweep_config_selectorIxxEEZZNS1_29radix_sort_onesweep_iterationIS3_Lb0EN6thrust23THRUST_200600_302600_NS6detail15normal_iteratorINS8_10device_ptrIxEEEESD_SD_SD_jNS0_19identity_decomposerENS1_16block_id_wrapperIjLb1EEEEE10hipError_tT1_PNSt15iterator_traitsISI_E10value_typeET2_T3_PNSJ_ISO_E10value_typeET4_T5_PST_SU_PNS1_23onesweep_lookback_stateEbbT6_jjT7_P12ihipStream_tbENKUlT_T0_SI_SN_E_clIPxSD_S15_SD_EEDaS11_S12_SI_SN_EUlS11_E_NS1_11comp_targetILNS1_3genE10ELNS1_11target_archE1201ELNS1_3gpuE5ELNS1_3repE0EEENS1_47radix_sort_onesweep_sort_config_static_selectorELNS0_4arch9wavefront6targetE1EEEvSI_
	.globl	_ZN7rocprim17ROCPRIM_400000_NS6detail17trampoline_kernelINS0_14default_configENS1_35radix_sort_onesweep_config_selectorIxxEEZZNS1_29radix_sort_onesweep_iterationIS3_Lb0EN6thrust23THRUST_200600_302600_NS6detail15normal_iteratorINS8_10device_ptrIxEEEESD_SD_SD_jNS0_19identity_decomposerENS1_16block_id_wrapperIjLb1EEEEE10hipError_tT1_PNSt15iterator_traitsISI_E10value_typeET2_T3_PNSJ_ISO_E10value_typeET4_T5_PST_SU_PNS1_23onesweep_lookback_stateEbbT6_jjT7_P12ihipStream_tbENKUlT_T0_SI_SN_E_clIPxSD_S15_SD_EEDaS11_S12_SI_SN_EUlS11_E_NS1_11comp_targetILNS1_3genE10ELNS1_11target_archE1201ELNS1_3gpuE5ELNS1_3repE0EEENS1_47radix_sort_onesweep_sort_config_static_selectorELNS0_4arch9wavefront6targetE1EEEvSI_
	.p2align	8
	.type	_ZN7rocprim17ROCPRIM_400000_NS6detail17trampoline_kernelINS0_14default_configENS1_35radix_sort_onesweep_config_selectorIxxEEZZNS1_29radix_sort_onesweep_iterationIS3_Lb0EN6thrust23THRUST_200600_302600_NS6detail15normal_iteratorINS8_10device_ptrIxEEEESD_SD_SD_jNS0_19identity_decomposerENS1_16block_id_wrapperIjLb1EEEEE10hipError_tT1_PNSt15iterator_traitsISI_E10value_typeET2_T3_PNSJ_ISO_E10value_typeET4_T5_PST_SU_PNS1_23onesweep_lookback_stateEbbT6_jjT7_P12ihipStream_tbENKUlT_T0_SI_SN_E_clIPxSD_S15_SD_EEDaS11_S12_SI_SN_EUlS11_E_NS1_11comp_targetILNS1_3genE10ELNS1_11target_archE1201ELNS1_3gpuE5ELNS1_3repE0EEENS1_47radix_sort_onesweep_sort_config_static_selectorELNS0_4arch9wavefront6targetE1EEEvSI_,@function
_ZN7rocprim17ROCPRIM_400000_NS6detail17trampoline_kernelINS0_14default_configENS1_35radix_sort_onesweep_config_selectorIxxEEZZNS1_29radix_sort_onesweep_iterationIS3_Lb0EN6thrust23THRUST_200600_302600_NS6detail15normal_iteratorINS8_10device_ptrIxEEEESD_SD_SD_jNS0_19identity_decomposerENS1_16block_id_wrapperIjLb1EEEEE10hipError_tT1_PNSt15iterator_traitsISI_E10value_typeET2_T3_PNSJ_ISO_E10value_typeET4_T5_PST_SU_PNS1_23onesweep_lookback_stateEbbT6_jjT7_P12ihipStream_tbENKUlT_T0_SI_SN_E_clIPxSD_S15_SD_EEDaS11_S12_SI_SN_EUlS11_E_NS1_11comp_targetILNS1_3genE10ELNS1_11target_archE1201ELNS1_3gpuE5ELNS1_3repE0EEENS1_47radix_sort_onesweep_sort_config_static_selectorELNS0_4arch9wavefront6targetE1EEEvSI_: ; @_ZN7rocprim17ROCPRIM_400000_NS6detail17trampoline_kernelINS0_14default_configENS1_35radix_sort_onesweep_config_selectorIxxEEZZNS1_29radix_sort_onesweep_iterationIS3_Lb0EN6thrust23THRUST_200600_302600_NS6detail15normal_iteratorINS8_10device_ptrIxEEEESD_SD_SD_jNS0_19identity_decomposerENS1_16block_id_wrapperIjLb1EEEEE10hipError_tT1_PNSt15iterator_traitsISI_E10value_typeET2_T3_PNSJ_ISO_E10value_typeET4_T5_PST_SU_PNS1_23onesweep_lookback_stateEbbT6_jjT7_P12ihipStream_tbENKUlT_T0_SI_SN_E_clIPxSD_S15_SD_EEDaS11_S12_SI_SN_EUlS11_E_NS1_11comp_targetILNS1_3genE10ELNS1_11target_archE1201ELNS1_3gpuE5ELNS1_3repE0EEENS1_47radix_sort_onesweep_sort_config_static_selectorELNS0_4arch9wavefront6targetE1EEEvSI_
; %bb.0:
	.section	.rodata,"a",@progbits
	.p2align	6, 0x0
	.amdhsa_kernel _ZN7rocprim17ROCPRIM_400000_NS6detail17trampoline_kernelINS0_14default_configENS1_35radix_sort_onesweep_config_selectorIxxEEZZNS1_29radix_sort_onesweep_iterationIS3_Lb0EN6thrust23THRUST_200600_302600_NS6detail15normal_iteratorINS8_10device_ptrIxEEEESD_SD_SD_jNS0_19identity_decomposerENS1_16block_id_wrapperIjLb1EEEEE10hipError_tT1_PNSt15iterator_traitsISI_E10value_typeET2_T3_PNSJ_ISO_E10value_typeET4_T5_PST_SU_PNS1_23onesweep_lookback_stateEbbT6_jjT7_P12ihipStream_tbENKUlT_T0_SI_SN_E_clIPxSD_S15_SD_EEDaS11_S12_SI_SN_EUlS11_E_NS1_11comp_targetILNS1_3genE10ELNS1_11target_archE1201ELNS1_3gpuE5ELNS1_3repE0EEENS1_47radix_sort_onesweep_sort_config_static_selectorELNS0_4arch9wavefront6targetE1EEEvSI_
		.amdhsa_group_segment_fixed_size 0
		.amdhsa_private_segment_fixed_size 0
		.amdhsa_kernarg_size 88
		.amdhsa_user_sgpr_count 2
		.amdhsa_user_sgpr_dispatch_ptr 0
		.amdhsa_user_sgpr_queue_ptr 0
		.amdhsa_user_sgpr_kernarg_segment_ptr 1
		.amdhsa_user_sgpr_dispatch_id 0
		.amdhsa_user_sgpr_kernarg_preload_length 0
		.amdhsa_user_sgpr_kernarg_preload_offset 0
		.amdhsa_user_sgpr_private_segment_size 0
		.amdhsa_uses_dynamic_stack 0
		.amdhsa_enable_private_segment 0
		.amdhsa_system_sgpr_workgroup_id_x 1
		.amdhsa_system_sgpr_workgroup_id_y 0
		.amdhsa_system_sgpr_workgroup_id_z 0
		.amdhsa_system_sgpr_workgroup_info 0
		.amdhsa_system_vgpr_workitem_id 0
		.amdhsa_next_free_vgpr 1
		.amdhsa_next_free_sgpr 0
		.amdhsa_accum_offset 4
		.amdhsa_reserve_vcc 0
		.amdhsa_float_round_mode_32 0
		.amdhsa_float_round_mode_16_64 0
		.amdhsa_float_denorm_mode_32 3
		.amdhsa_float_denorm_mode_16_64 3
		.amdhsa_dx10_clamp 1
		.amdhsa_ieee_mode 1
		.amdhsa_fp16_overflow 0
		.amdhsa_tg_split 0
		.amdhsa_exception_fp_ieee_invalid_op 0
		.amdhsa_exception_fp_denorm_src 0
		.amdhsa_exception_fp_ieee_div_zero 0
		.amdhsa_exception_fp_ieee_overflow 0
		.amdhsa_exception_fp_ieee_underflow 0
		.amdhsa_exception_fp_ieee_inexact 0
		.amdhsa_exception_int_div_zero 0
	.end_amdhsa_kernel
	.section	.text._ZN7rocprim17ROCPRIM_400000_NS6detail17trampoline_kernelINS0_14default_configENS1_35radix_sort_onesweep_config_selectorIxxEEZZNS1_29radix_sort_onesweep_iterationIS3_Lb0EN6thrust23THRUST_200600_302600_NS6detail15normal_iteratorINS8_10device_ptrIxEEEESD_SD_SD_jNS0_19identity_decomposerENS1_16block_id_wrapperIjLb1EEEEE10hipError_tT1_PNSt15iterator_traitsISI_E10value_typeET2_T3_PNSJ_ISO_E10value_typeET4_T5_PST_SU_PNS1_23onesweep_lookback_stateEbbT6_jjT7_P12ihipStream_tbENKUlT_T0_SI_SN_E_clIPxSD_S15_SD_EEDaS11_S12_SI_SN_EUlS11_E_NS1_11comp_targetILNS1_3genE10ELNS1_11target_archE1201ELNS1_3gpuE5ELNS1_3repE0EEENS1_47radix_sort_onesweep_sort_config_static_selectorELNS0_4arch9wavefront6targetE1EEEvSI_,"axG",@progbits,_ZN7rocprim17ROCPRIM_400000_NS6detail17trampoline_kernelINS0_14default_configENS1_35radix_sort_onesweep_config_selectorIxxEEZZNS1_29radix_sort_onesweep_iterationIS3_Lb0EN6thrust23THRUST_200600_302600_NS6detail15normal_iteratorINS8_10device_ptrIxEEEESD_SD_SD_jNS0_19identity_decomposerENS1_16block_id_wrapperIjLb1EEEEE10hipError_tT1_PNSt15iterator_traitsISI_E10value_typeET2_T3_PNSJ_ISO_E10value_typeET4_T5_PST_SU_PNS1_23onesweep_lookback_stateEbbT6_jjT7_P12ihipStream_tbENKUlT_T0_SI_SN_E_clIPxSD_S15_SD_EEDaS11_S12_SI_SN_EUlS11_E_NS1_11comp_targetILNS1_3genE10ELNS1_11target_archE1201ELNS1_3gpuE5ELNS1_3repE0EEENS1_47radix_sort_onesweep_sort_config_static_selectorELNS0_4arch9wavefront6targetE1EEEvSI_,comdat
.Lfunc_end1221:
	.size	_ZN7rocprim17ROCPRIM_400000_NS6detail17trampoline_kernelINS0_14default_configENS1_35radix_sort_onesweep_config_selectorIxxEEZZNS1_29radix_sort_onesweep_iterationIS3_Lb0EN6thrust23THRUST_200600_302600_NS6detail15normal_iteratorINS8_10device_ptrIxEEEESD_SD_SD_jNS0_19identity_decomposerENS1_16block_id_wrapperIjLb1EEEEE10hipError_tT1_PNSt15iterator_traitsISI_E10value_typeET2_T3_PNSJ_ISO_E10value_typeET4_T5_PST_SU_PNS1_23onesweep_lookback_stateEbbT6_jjT7_P12ihipStream_tbENKUlT_T0_SI_SN_E_clIPxSD_S15_SD_EEDaS11_S12_SI_SN_EUlS11_E_NS1_11comp_targetILNS1_3genE10ELNS1_11target_archE1201ELNS1_3gpuE5ELNS1_3repE0EEENS1_47radix_sort_onesweep_sort_config_static_selectorELNS0_4arch9wavefront6targetE1EEEvSI_, .Lfunc_end1221-_ZN7rocprim17ROCPRIM_400000_NS6detail17trampoline_kernelINS0_14default_configENS1_35radix_sort_onesweep_config_selectorIxxEEZZNS1_29radix_sort_onesweep_iterationIS3_Lb0EN6thrust23THRUST_200600_302600_NS6detail15normal_iteratorINS8_10device_ptrIxEEEESD_SD_SD_jNS0_19identity_decomposerENS1_16block_id_wrapperIjLb1EEEEE10hipError_tT1_PNSt15iterator_traitsISI_E10value_typeET2_T3_PNSJ_ISO_E10value_typeET4_T5_PST_SU_PNS1_23onesweep_lookback_stateEbbT6_jjT7_P12ihipStream_tbENKUlT_T0_SI_SN_E_clIPxSD_S15_SD_EEDaS11_S12_SI_SN_EUlS11_E_NS1_11comp_targetILNS1_3genE10ELNS1_11target_archE1201ELNS1_3gpuE5ELNS1_3repE0EEENS1_47radix_sort_onesweep_sort_config_static_selectorELNS0_4arch9wavefront6targetE1EEEvSI_
                                        ; -- End function
	.set _ZN7rocprim17ROCPRIM_400000_NS6detail17trampoline_kernelINS0_14default_configENS1_35radix_sort_onesweep_config_selectorIxxEEZZNS1_29radix_sort_onesweep_iterationIS3_Lb0EN6thrust23THRUST_200600_302600_NS6detail15normal_iteratorINS8_10device_ptrIxEEEESD_SD_SD_jNS0_19identity_decomposerENS1_16block_id_wrapperIjLb1EEEEE10hipError_tT1_PNSt15iterator_traitsISI_E10value_typeET2_T3_PNSJ_ISO_E10value_typeET4_T5_PST_SU_PNS1_23onesweep_lookback_stateEbbT6_jjT7_P12ihipStream_tbENKUlT_T0_SI_SN_E_clIPxSD_S15_SD_EEDaS11_S12_SI_SN_EUlS11_E_NS1_11comp_targetILNS1_3genE10ELNS1_11target_archE1201ELNS1_3gpuE5ELNS1_3repE0EEENS1_47radix_sort_onesweep_sort_config_static_selectorELNS0_4arch9wavefront6targetE1EEEvSI_.num_vgpr, 0
	.set _ZN7rocprim17ROCPRIM_400000_NS6detail17trampoline_kernelINS0_14default_configENS1_35radix_sort_onesweep_config_selectorIxxEEZZNS1_29radix_sort_onesweep_iterationIS3_Lb0EN6thrust23THRUST_200600_302600_NS6detail15normal_iteratorINS8_10device_ptrIxEEEESD_SD_SD_jNS0_19identity_decomposerENS1_16block_id_wrapperIjLb1EEEEE10hipError_tT1_PNSt15iterator_traitsISI_E10value_typeET2_T3_PNSJ_ISO_E10value_typeET4_T5_PST_SU_PNS1_23onesweep_lookback_stateEbbT6_jjT7_P12ihipStream_tbENKUlT_T0_SI_SN_E_clIPxSD_S15_SD_EEDaS11_S12_SI_SN_EUlS11_E_NS1_11comp_targetILNS1_3genE10ELNS1_11target_archE1201ELNS1_3gpuE5ELNS1_3repE0EEENS1_47radix_sort_onesweep_sort_config_static_selectorELNS0_4arch9wavefront6targetE1EEEvSI_.num_agpr, 0
	.set _ZN7rocprim17ROCPRIM_400000_NS6detail17trampoline_kernelINS0_14default_configENS1_35radix_sort_onesweep_config_selectorIxxEEZZNS1_29radix_sort_onesweep_iterationIS3_Lb0EN6thrust23THRUST_200600_302600_NS6detail15normal_iteratorINS8_10device_ptrIxEEEESD_SD_SD_jNS0_19identity_decomposerENS1_16block_id_wrapperIjLb1EEEEE10hipError_tT1_PNSt15iterator_traitsISI_E10value_typeET2_T3_PNSJ_ISO_E10value_typeET4_T5_PST_SU_PNS1_23onesweep_lookback_stateEbbT6_jjT7_P12ihipStream_tbENKUlT_T0_SI_SN_E_clIPxSD_S15_SD_EEDaS11_S12_SI_SN_EUlS11_E_NS1_11comp_targetILNS1_3genE10ELNS1_11target_archE1201ELNS1_3gpuE5ELNS1_3repE0EEENS1_47radix_sort_onesweep_sort_config_static_selectorELNS0_4arch9wavefront6targetE1EEEvSI_.numbered_sgpr, 0
	.set _ZN7rocprim17ROCPRIM_400000_NS6detail17trampoline_kernelINS0_14default_configENS1_35radix_sort_onesweep_config_selectorIxxEEZZNS1_29radix_sort_onesweep_iterationIS3_Lb0EN6thrust23THRUST_200600_302600_NS6detail15normal_iteratorINS8_10device_ptrIxEEEESD_SD_SD_jNS0_19identity_decomposerENS1_16block_id_wrapperIjLb1EEEEE10hipError_tT1_PNSt15iterator_traitsISI_E10value_typeET2_T3_PNSJ_ISO_E10value_typeET4_T5_PST_SU_PNS1_23onesweep_lookback_stateEbbT6_jjT7_P12ihipStream_tbENKUlT_T0_SI_SN_E_clIPxSD_S15_SD_EEDaS11_S12_SI_SN_EUlS11_E_NS1_11comp_targetILNS1_3genE10ELNS1_11target_archE1201ELNS1_3gpuE5ELNS1_3repE0EEENS1_47radix_sort_onesweep_sort_config_static_selectorELNS0_4arch9wavefront6targetE1EEEvSI_.num_named_barrier, 0
	.set _ZN7rocprim17ROCPRIM_400000_NS6detail17trampoline_kernelINS0_14default_configENS1_35radix_sort_onesweep_config_selectorIxxEEZZNS1_29radix_sort_onesweep_iterationIS3_Lb0EN6thrust23THRUST_200600_302600_NS6detail15normal_iteratorINS8_10device_ptrIxEEEESD_SD_SD_jNS0_19identity_decomposerENS1_16block_id_wrapperIjLb1EEEEE10hipError_tT1_PNSt15iterator_traitsISI_E10value_typeET2_T3_PNSJ_ISO_E10value_typeET4_T5_PST_SU_PNS1_23onesweep_lookback_stateEbbT6_jjT7_P12ihipStream_tbENKUlT_T0_SI_SN_E_clIPxSD_S15_SD_EEDaS11_S12_SI_SN_EUlS11_E_NS1_11comp_targetILNS1_3genE10ELNS1_11target_archE1201ELNS1_3gpuE5ELNS1_3repE0EEENS1_47radix_sort_onesweep_sort_config_static_selectorELNS0_4arch9wavefront6targetE1EEEvSI_.private_seg_size, 0
	.set _ZN7rocprim17ROCPRIM_400000_NS6detail17trampoline_kernelINS0_14default_configENS1_35radix_sort_onesweep_config_selectorIxxEEZZNS1_29radix_sort_onesweep_iterationIS3_Lb0EN6thrust23THRUST_200600_302600_NS6detail15normal_iteratorINS8_10device_ptrIxEEEESD_SD_SD_jNS0_19identity_decomposerENS1_16block_id_wrapperIjLb1EEEEE10hipError_tT1_PNSt15iterator_traitsISI_E10value_typeET2_T3_PNSJ_ISO_E10value_typeET4_T5_PST_SU_PNS1_23onesweep_lookback_stateEbbT6_jjT7_P12ihipStream_tbENKUlT_T0_SI_SN_E_clIPxSD_S15_SD_EEDaS11_S12_SI_SN_EUlS11_E_NS1_11comp_targetILNS1_3genE10ELNS1_11target_archE1201ELNS1_3gpuE5ELNS1_3repE0EEENS1_47radix_sort_onesweep_sort_config_static_selectorELNS0_4arch9wavefront6targetE1EEEvSI_.uses_vcc, 0
	.set _ZN7rocprim17ROCPRIM_400000_NS6detail17trampoline_kernelINS0_14default_configENS1_35radix_sort_onesweep_config_selectorIxxEEZZNS1_29radix_sort_onesweep_iterationIS3_Lb0EN6thrust23THRUST_200600_302600_NS6detail15normal_iteratorINS8_10device_ptrIxEEEESD_SD_SD_jNS0_19identity_decomposerENS1_16block_id_wrapperIjLb1EEEEE10hipError_tT1_PNSt15iterator_traitsISI_E10value_typeET2_T3_PNSJ_ISO_E10value_typeET4_T5_PST_SU_PNS1_23onesweep_lookback_stateEbbT6_jjT7_P12ihipStream_tbENKUlT_T0_SI_SN_E_clIPxSD_S15_SD_EEDaS11_S12_SI_SN_EUlS11_E_NS1_11comp_targetILNS1_3genE10ELNS1_11target_archE1201ELNS1_3gpuE5ELNS1_3repE0EEENS1_47radix_sort_onesweep_sort_config_static_selectorELNS0_4arch9wavefront6targetE1EEEvSI_.uses_flat_scratch, 0
	.set _ZN7rocprim17ROCPRIM_400000_NS6detail17trampoline_kernelINS0_14default_configENS1_35radix_sort_onesweep_config_selectorIxxEEZZNS1_29radix_sort_onesweep_iterationIS3_Lb0EN6thrust23THRUST_200600_302600_NS6detail15normal_iteratorINS8_10device_ptrIxEEEESD_SD_SD_jNS0_19identity_decomposerENS1_16block_id_wrapperIjLb1EEEEE10hipError_tT1_PNSt15iterator_traitsISI_E10value_typeET2_T3_PNSJ_ISO_E10value_typeET4_T5_PST_SU_PNS1_23onesweep_lookback_stateEbbT6_jjT7_P12ihipStream_tbENKUlT_T0_SI_SN_E_clIPxSD_S15_SD_EEDaS11_S12_SI_SN_EUlS11_E_NS1_11comp_targetILNS1_3genE10ELNS1_11target_archE1201ELNS1_3gpuE5ELNS1_3repE0EEENS1_47radix_sort_onesweep_sort_config_static_selectorELNS0_4arch9wavefront6targetE1EEEvSI_.has_dyn_sized_stack, 0
	.set _ZN7rocprim17ROCPRIM_400000_NS6detail17trampoline_kernelINS0_14default_configENS1_35radix_sort_onesweep_config_selectorIxxEEZZNS1_29radix_sort_onesweep_iterationIS3_Lb0EN6thrust23THRUST_200600_302600_NS6detail15normal_iteratorINS8_10device_ptrIxEEEESD_SD_SD_jNS0_19identity_decomposerENS1_16block_id_wrapperIjLb1EEEEE10hipError_tT1_PNSt15iterator_traitsISI_E10value_typeET2_T3_PNSJ_ISO_E10value_typeET4_T5_PST_SU_PNS1_23onesweep_lookback_stateEbbT6_jjT7_P12ihipStream_tbENKUlT_T0_SI_SN_E_clIPxSD_S15_SD_EEDaS11_S12_SI_SN_EUlS11_E_NS1_11comp_targetILNS1_3genE10ELNS1_11target_archE1201ELNS1_3gpuE5ELNS1_3repE0EEENS1_47radix_sort_onesweep_sort_config_static_selectorELNS0_4arch9wavefront6targetE1EEEvSI_.has_recursion, 0
	.set _ZN7rocprim17ROCPRIM_400000_NS6detail17trampoline_kernelINS0_14default_configENS1_35radix_sort_onesweep_config_selectorIxxEEZZNS1_29radix_sort_onesweep_iterationIS3_Lb0EN6thrust23THRUST_200600_302600_NS6detail15normal_iteratorINS8_10device_ptrIxEEEESD_SD_SD_jNS0_19identity_decomposerENS1_16block_id_wrapperIjLb1EEEEE10hipError_tT1_PNSt15iterator_traitsISI_E10value_typeET2_T3_PNSJ_ISO_E10value_typeET4_T5_PST_SU_PNS1_23onesweep_lookback_stateEbbT6_jjT7_P12ihipStream_tbENKUlT_T0_SI_SN_E_clIPxSD_S15_SD_EEDaS11_S12_SI_SN_EUlS11_E_NS1_11comp_targetILNS1_3genE10ELNS1_11target_archE1201ELNS1_3gpuE5ELNS1_3repE0EEENS1_47radix_sort_onesweep_sort_config_static_selectorELNS0_4arch9wavefront6targetE1EEEvSI_.has_indirect_call, 0
	.section	.AMDGPU.csdata,"",@progbits
; Kernel info:
; codeLenInByte = 0
; TotalNumSgprs: 6
; NumVgprs: 0
; NumAgprs: 0
; TotalNumVgprs: 0
; ScratchSize: 0
; MemoryBound: 0
; FloatMode: 240
; IeeeMode: 1
; LDSByteSize: 0 bytes/workgroup (compile time only)
; SGPRBlocks: 0
; VGPRBlocks: 0
; NumSGPRsForWavesPerEU: 6
; NumVGPRsForWavesPerEU: 1
; AccumOffset: 4
; Occupancy: 8
; WaveLimiterHint : 0
; COMPUTE_PGM_RSRC2:SCRATCH_EN: 0
; COMPUTE_PGM_RSRC2:USER_SGPR: 2
; COMPUTE_PGM_RSRC2:TRAP_HANDLER: 0
; COMPUTE_PGM_RSRC2:TGID_X_EN: 1
; COMPUTE_PGM_RSRC2:TGID_Y_EN: 0
; COMPUTE_PGM_RSRC2:TGID_Z_EN: 0
; COMPUTE_PGM_RSRC2:TIDIG_COMP_CNT: 0
; COMPUTE_PGM_RSRC3_GFX90A:ACCUM_OFFSET: 0
; COMPUTE_PGM_RSRC3_GFX90A:TG_SPLIT: 0
	.section	.text._ZN7rocprim17ROCPRIM_400000_NS6detail17trampoline_kernelINS0_14default_configENS1_35radix_sort_onesweep_config_selectorIxxEEZZNS1_29radix_sort_onesweep_iterationIS3_Lb0EN6thrust23THRUST_200600_302600_NS6detail15normal_iteratorINS8_10device_ptrIxEEEESD_SD_SD_jNS0_19identity_decomposerENS1_16block_id_wrapperIjLb1EEEEE10hipError_tT1_PNSt15iterator_traitsISI_E10value_typeET2_T3_PNSJ_ISO_E10value_typeET4_T5_PST_SU_PNS1_23onesweep_lookback_stateEbbT6_jjT7_P12ihipStream_tbENKUlT_T0_SI_SN_E_clIPxSD_S15_SD_EEDaS11_S12_SI_SN_EUlS11_E_NS1_11comp_targetILNS1_3genE9ELNS1_11target_archE1100ELNS1_3gpuE3ELNS1_3repE0EEENS1_47radix_sort_onesweep_sort_config_static_selectorELNS0_4arch9wavefront6targetE1EEEvSI_,"axG",@progbits,_ZN7rocprim17ROCPRIM_400000_NS6detail17trampoline_kernelINS0_14default_configENS1_35radix_sort_onesweep_config_selectorIxxEEZZNS1_29radix_sort_onesweep_iterationIS3_Lb0EN6thrust23THRUST_200600_302600_NS6detail15normal_iteratorINS8_10device_ptrIxEEEESD_SD_SD_jNS0_19identity_decomposerENS1_16block_id_wrapperIjLb1EEEEE10hipError_tT1_PNSt15iterator_traitsISI_E10value_typeET2_T3_PNSJ_ISO_E10value_typeET4_T5_PST_SU_PNS1_23onesweep_lookback_stateEbbT6_jjT7_P12ihipStream_tbENKUlT_T0_SI_SN_E_clIPxSD_S15_SD_EEDaS11_S12_SI_SN_EUlS11_E_NS1_11comp_targetILNS1_3genE9ELNS1_11target_archE1100ELNS1_3gpuE3ELNS1_3repE0EEENS1_47radix_sort_onesweep_sort_config_static_selectorELNS0_4arch9wavefront6targetE1EEEvSI_,comdat
	.protected	_ZN7rocprim17ROCPRIM_400000_NS6detail17trampoline_kernelINS0_14default_configENS1_35radix_sort_onesweep_config_selectorIxxEEZZNS1_29radix_sort_onesweep_iterationIS3_Lb0EN6thrust23THRUST_200600_302600_NS6detail15normal_iteratorINS8_10device_ptrIxEEEESD_SD_SD_jNS0_19identity_decomposerENS1_16block_id_wrapperIjLb1EEEEE10hipError_tT1_PNSt15iterator_traitsISI_E10value_typeET2_T3_PNSJ_ISO_E10value_typeET4_T5_PST_SU_PNS1_23onesweep_lookback_stateEbbT6_jjT7_P12ihipStream_tbENKUlT_T0_SI_SN_E_clIPxSD_S15_SD_EEDaS11_S12_SI_SN_EUlS11_E_NS1_11comp_targetILNS1_3genE9ELNS1_11target_archE1100ELNS1_3gpuE3ELNS1_3repE0EEENS1_47radix_sort_onesweep_sort_config_static_selectorELNS0_4arch9wavefront6targetE1EEEvSI_ ; -- Begin function _ZN7rocprim17ROCPRIM_400000_NS6detail17trampoline_kernelINS0_14default_configENS1_35radix_sort_onesweep_config_selectorIxxEEZZNS1_29radix_sort_onesweep_iterationIS3_Lb0EN6thrust23THRUST_200600_302600_NS6detail15normal_iteratorINS8_10device_ptrIxEEEESD_SD_SD_jNS0_19identity_decomposerENS1_16block_id_wrapperIjLb1EEEEE10hipError_tT1_PNSt15iterator_traitsISI_E10value_typeET2_T3_PNSJ_ISO_E10value_typeET4_T5_PST_SU_PNS1_23onesweep_lookback_stateEbbT6_jjT7_P12ihipStream_tbENKUlT_T0_SI_SN_E_clIPxSD_S15_SD_EEDaS11_S12_SI_SN_EUlS11_E_NS1_11comp_targetILNS1_3genE9ELNS1_11target_archE1100ELNS1_3gpuE3ELNS1_3repE0EEENS1_47radix_sort_onesweep_sort_config_static_selectorELNS0_4arch9wavefront6targetE1EEEvSI_
	.globl	_ZN7rocprim17ROCPRIM_400000_NS6detail17trampoline_kernelINS0_14default_configENS1_35radix_sort_onesweep_config_selectorIxxEEZZNS1_29radix_sort_onesweep_iterationIS3_Lb0EN6thrust23THRUST_200600_302600_NS6detail15normal_iteratorINS8_10device_ptrIxEEEESD_SD_SD_jNS0_19identity_decomposerENS1_16block_id_wrapperIjLb1EEEEE10hipError_tT1_PNSt15iterator_traitsISI_E10value_typeET2_T3_PNSJ_ISO_E10value_typeET4_T5_PST_SU_PNS1_23onesweep_lookback_stateEbbT6_jjT7_P12ihipStream_tbENKUlT_T0_SI_SN_E_clIPxSD_S15_SD_EEDaS11_S12_SI_SN_EUlS11_E_NS1_11comp_targetILNS1_3genE9ELNS1_11target_archE1100ELNS1_3gpuE3ELNS1_3repE0EEENS1_47radix_sort_onesweep_sort_config_static_selectorELNS0_4arch9wavefront6targetE1EEEvSI_
	.p2align	8
	.type	_ZN7rocprim17ROCPRIM_400000_NS6detail17trampoline_kernelINS0_14default_configENS1_35radix_sort_onesweep_config_selectorIxxEEZZNS1_29radix_sort_onesweep_iterationIS3_Lb0EN6thrust23THRUST_200600_302600_NS6detail15normal_iteratorINS8_10device_ptrIxEEEESD_SD_SD_jNS0_19identity_decomposerENS1_16block_id_wrapperIjLb1EEEEE10hipError_tT1_PNSt15iterator_traitsISI_E10value_typeET2_T3_PNSJ_ISO_E10value_typeET4_T5_PST_SU_PNS1_23onesweep_lookback_stateEbbT6_jjT7_P12ihipStream_tbENKUlT_T0_SI_SN_E_clIPxSD_S15_SD_EEDaS11_S12_SI_SN_EUlS11_E_NS1_11comp_targetILNS1_3genE9ELNS1_11target_archE1100ELNS1_3gpuE3ELNS1_3repE0EEENS1_47radix_sort_onesweep_sort_config_static_selectorELNS0_4arch9wavefront6targetE1EEEvSI_,@function
_ZN7rocprim17ROCPRIM_400000_NS6detail17trampoline_kernelINS0_14default_configENS1_35radix_sort_onesweep_config_selectorIxxEEZZNS1_29radix_sort_onesweep_iterationIS3_Lb0EN6thrust23THRUST_200600_302600_NS6detail15normal_iteratorINS8_10device_ptrIxEEEESD_SD_SD_jNS0_19identity_decomposerENS1_16block_id_wrapperIjLb1EEEEE10hipError_tT1_PNSt15iterator_traitsISI_E10value_typeET2_T3_PNSJ_ISO_E10value_typeET4_T5_PST_SU_PNS1_23onesweep_lookback_stateEbbT6_jjT7_P12ihipStream_tbENKUlT_T0_SI_SN_E_clIPxSD_S15_SD_EEDaS11_S12_SI_SN_EUlS11_E_NS1_11comp_targetILNS1_3genE9ELNS1_11target_archE1100ELNS1_3gpuE3ELNS1_3repE0EEENS1_47radix_sort_onesweep_sort_config_static_selectorELNS0_4arch9wavefront6targetE1EEEvSI_: ; @_ZN7rocprim17ROCPRIM_400000_NS6detail17trampoline_kernelINS0_14default_configENS1_35radix_sort_onesweep_config_selectorIxxEEZZNS1_29radix_sort_onesweep_iterationIS3_Lb0EN6thrust23THRUST_200600_302600_NS6detail15normal_iteratorINS8_10device_ptrIxEEEESD_SD_SD_jNS0_19identity_decomposerENS1_16block_id_wrapperIjLb1EEEEE10hipError_tT1_PNSt15iterator_traitsISI_E10value_typeET2_T3_PNSJ_ISO_E10value_typeET4_T5_PST_SU_PNS1_23onesweep_lookback_stateEbbT6_jjT7_P12ihipStream_tbENKUlT_T0_SI_SN_E_clIPxSD_S15_SD_EEDaS11_S12_SI_SN_EUlS11_E_NS1_11comp_targetILNS1_3genE9ELNS1_11target_archE1100ELNS1_3gpuE3ELNS1_3repE0EEENS1_47radix_sort_onesweep_sort_config_static_selectorELNS0_4arch9wavefront6targetE1EEEvSI_
; %bb.0:
	.section	.rodata,"a",@progbits
	.p2align	6, 0x0
	.amdhsa_kernel _ZN7rocprim17ROCPRIM_400000_NS6detail17trampoline_kernelINS0_14default_configENS1_35radix_sort_onesweep_config_selectorIxxEEZZNS1_29radix_sort_onesweep_iterationIS3_Lb0EN6thrust23THRUST_200600_302600_NS6detail15normal_iteratorINS8_10device_ptrIxEEEESD_SD_SD_jNS0_19identity_decomposerENS1_16block_id_wrapperIjLb1EEEEE10hipError_tT1_PNSt15iterator_traitsISI_E10value_typeET2_T3_PNSJ_ISO_E10value_typeET4_T5_PST_SU_PNS1_23onesweep_lookback_stateEbbT6_jjT7_P12ihipStream_tbENKUlT_T0_SI_SN_E_clIPxSD_S15_SD_EEDaS11_S12_SI_SN_EUlS11_E_NS1_11comp_targetILNS1_3genE9ELNS1_11target_archE1100ELNS1_3gpuE3ELNS1_3repE0EEENS1_47radix_sort_onesweep_sort_config_static_selectorELNS0_4arch9wavefront6targetE1EEEvSI_
		.amdhsa_group_segment_fixed_size 0
		.amdhsa_private_segment_fixed_size 0
		.amdhsa_kernarg_size 88
		.amdhsa_user_sgpr_count 2
		.amdhsa_user_sgpr_dispatch_ptr 0
		.amdhsa_user_sgpr_queue_ptr 0
		.amdhsa_user_sgpr_kernarg_segment_ptr 1
		.amdhsa_user_sgpr_dispatch_id 0
		.amdhsa_user_sgpr_kernarg_preload_length 0
		.amdhsa_user_sgpr_kernarg_preload_offset 0
		.amdhsa_user_sgpr_private_segment_size 0
		.amdhsa_uses_dynamic_stack 0
		.amdhsa_enable_private_segment 0
		.amdhsa_system_sgpr_workgroup_id_x 1
		.amdhsa_system_sgpr_workgroup_id_y 0
		.amdhsa_system_sgpr_workgroup_id_z 0
		.amdhsa_system_sgpr_workgroup_info 0
		.amdhsa_system_vgpr_workitem_id 0
		.amdhsa_next_free_vgpr 1
		.amdhsa_next_free_sgpr 0
		.amdhsa_accum_offset 4
		.amdhsa_reserve_vcc 0
		.amdhsa_float_round_mode_32 0
		.amdhsa_float_round_mode_16_64 0
		.amdhsa_float_denorm_mode_32 3
		.amdhsa_float_denorm_mode_16_64 3
		.amdhsa_dx10_clamp 1
		.amdhsa_ieee_mode 1
		.amdhsa_fp16_overflow 0
		.amdhsa_tg_split 0
		.amdhsa_exception_fp_ieee_invalid_op 0
		.amdhsa_exception_fp_denorm_src 0
		.amdhsa_exception_fp_ieee_div_zero 0
		.amdhsa_exception_fp_ieee_overflow 0
		.amdhsa_exception_fp_ieee_underflow 0
		.amdhsa_exception_fp_ieee_inexact 0
		.amdhsa_exception_int_div_zero 0
	.end_amdhsa_kernel
	.section	.text._ZN7rocprim17ROCPRIM_400000_NS6detail17trampoline_kernelINS0_14default_configENS1_35radix_sort_onesweep_config_selectorIxxEEZZNS1_29radix_sort_onesweep_iterationIS3_Lb0EN6thrust23THRUST_200600_302600_NS6detail15normal_iteratorINS8_10device_ptrIxEEEESD_SD_SD_jNS0_19identity_decomposerENS1_16block_id_wrapperIjLb1EEEEE10hipError_tT1_PNSt15iterator_traitsISI_E10value_typeET2_T3_PNSJ_ISO_E10value_typeET4_T5_PST_SU_PNS1_23onesweep_lookback_stateEbbT6_jjT7_P12ihipStream_tbENKUlT_T0_SI_SN_E_clIPxSD_S15_SD_EEDaS11_S12_SI_SN_EUlS11_E_NS1_11comp_targetILNS1_3genE9ELNS1_11target_archE1100ELNS1_3gpuE3ELNS1_3repE0EEENS1_47radix_sort_onesweep_sort_config_static_selectorELNS0_4arch9wavefront6targetE1EEEvSI_,"axG",@progbits,_ZN7rocprim17ROCPRIM_400000_NS6detail17trampoline_kernelINS0_14default_configENS1_35radix_sort_onesweep_config_selectorIxxEEZZNS1_29radix_sort_onesweep_iterationIS3_Lb0EN6thrust23THRUST_200600_302600_NS6detail15normal_iteratorINS8_10device_ptrIxEEEESD_SD_SD_jNS0_19identity_decomposerENS1_16block_id_wrapperIjLb1EEEEE10hipError_tT1_PNSt15iterator_traitsISI_E10value_typeET2_T3_PNSJ_ISO_E10value_typeET4_T5_PST_SU_PNS1_23onesweep_lookback_stateEbbT6_jjT7_P12ihipStream_tbENKUlT_T0_SI_SN_E_clIPxSD_S15_SD_EEDaS11_S12_SI_SN_EUlS11_E_NS1_11comp_targetILNS1_3genE9ELNS1_11target_archE1100ELNS1_3gpuE3ELNS1_3repE0EEENS1_47radix_sort_onesweep_sort_config_static_selectorELNS0_4arch9wavefront6targetE1EEEvSI_,comdat
.Lfunc_end1222:
	.size	_ZN7rocprim17ROCPRIM_400000_NS6detail17trampoline_kernelINS0_14default_configENS1_35radix_sort_onesweep_config_selectorIxxEEZZNS1_29radix_sort_onesweep_iterationIS3_Lb0EN6thrust23THRUST_200600_302600_NS6detail15normal_iteratorINS8_10device_ptrIxEEEESD_SD_SD_jNS0_19identity_decomposerENS1_16block_id_wrapperIjLb1EEEEE10hipError_tT1_PNSt15iterator_traitsISI_E10value_typeET2_T3_PNSJ_ISO_E10value_typeET4_T5_PST_SU_PNS1_23onesweep_lookback_stateEbbT6_jjT7_P12ihipStream_tbENKUlT_T0_SI_SN_E_clIPxSD_S15_SD_EEDaS11_S12_SI_SN_EUlS11_E_NS1_11comp_targetILNS1_3genE9ELNS1_11target_archE1100ELNS1_3gpuE3ELNS1_3repE0EEENS1_47radix_sort_onesweep_sort_config_static_selectorELNS0_4arch9wavefront6targetE1EEEvSI_, .Lfunc_end1222-_ZN7rocprim17ROCPRIM_400000_NS6detail17trampoline_kernelINS0_14default_configENS1_35radix_sort_onesweep_config_selectorIxxEEZZNS1_29radix_sort_onesweep_iterationIS3_Lb0EN6thrust23THRUST_200600_302600_NS6detail15normal_iteratorINS8_10device_ptrIxEEEESD_SD_SD_jNS0_19identity_decomposerENS1_16block_id_wrapperIjLb1EEEEE10hipError_tT1_PNSt15iterator_traitsISI_E10value_typeET2_T3_PNSJ_ISO_E10value_typeET4_T5_PST_SU_PNS1_23onesweep_lookback_stateEbbT6_jjT7_P12ihipStream_tbENKUlT_T0_SI_SN_E_clIPxSD_S15_SD_EEDaS11_S12_SI_SN_EUlS11_E_NS1_11comp_targetILNS1_3genE9ELNS1_11target_archE1100ELNS1_3gpuE3ELNS1_3repE0EEENS1_47radix_sort_onesweep_sort_config_static_selectorELNS0_4arch9wavefront6targetE1EEEvSI_
                                        ; -- End function
	.set _ZN7rocprim17ROCPRIM_400000_NS6detail17trampoline_kernelINS0_14default_configENS1_35radix_sort_onesweep_config_selectorIxxEEZZNS1_29radix_sort_onesweep_iterationIS3_Lb0EN6thrust23THRUST_200600_302600_NS6detail15normal_iteratorINS8_10device_ptrIxEEEESD_SD_SD_jNS0_19identity_decomposerENS1_16block_id_wrapperIjLb1EEEEE10hipError_tT1_PNSt15iterator_traitsISI_E10value_typeET2_T3_PNSJ_ISO_E10value_typeET4_T5_PST_SU_PNS1_23onesweep_lookback_stateEbbT6_jjT7_P12ihipStream_tbENKUlT_T0_SI_SN_E_clIPxSD_S15_SD_EEDaS11_S12_SI_SN_EUlS11_E_NS1_11comp_targetILNS1_3genE9ELNS1_11target_archE1100ELNS1_3gpuE3ELNS1_3repE0EEENS1_47radix_sort_onesweep_sort_config_static_selectorELNS0_4arch9wavefront6targetE1EEEvSI_.num_vgpr, 0
	.set _ZN7rocprim17ROCPRIM_400000_NS6detail17trampoline_kernelINS0_14default_configENS1_35radix_sort_onesweep_config_selectorIxxEEZZNS1_29radix_sort_onesweep_iterationIS3_Lb0EN6thrust23THRUST_200600_302600_NS6detail15normal_iteratorINS8_10device_ptrIxEEEESD_SD_SD_jNS0_19identity_decomposerENS1_16block_id_wrapperIjLb1EEEEE10hipError_tT1_PNSt15iterator_traitsISI_E10value_typeET2_T3_PNSJ_ISO_E10value_typeET4_T5_PST_SU_PNS1_23onesweep_lookback_stateEbbT6_jjT7_P12ihipStream_tbENKUlT_T0_SI_SN_E_clIPxSD_S15_SD_EEDaS11_S12_SI_SN_EUlS11_E_NS1_11comp_targetILNS1_3genE9ELNS1_11target_archE1100ELNS1_3gpuE3ELNS1_3repE0EEENS1_47radix_sort_onesweep_sort_config_static_selectorELNS0_4arch9wavefront6targetE1EEEvSI_.num_agpr, 0
	.set _ZN7rocprim17ROCPRIM_400000_NS6detail17trampoline_kernelINS0_14default_configENS1_35radix_sort_onesweep_config_selectorIxxEEZZNS1_29radix_sort_onesweep_iterationIS3_Lb0EN6thrust23THRUST_200600_302600_NS6detail15normal_iteratorINS8_10device_ptrIxEEEESD_SD_SD_jNS0_19identity_decomposerENS1_16block_id_wrapperIjLb1EEEEE10hipError_tT1_PNSt15iterator_traitsISI_E10value_typeET2_T3_PNSJ_ISO_E10value_typeET4_T5_PST_SU_PNS1_23onesweep_lookback_stateEbbT6_jjT7_P12ihipStream_tbENKUlT_T0_SI_SN_E_clIPxSD_S15_SD_EEDaS11_S12_SI_SN_EUlS11_E_NS1_11comp_targetILNS1_3genE9ELNS1_11target_archE1100ELNS1_3gpuE3ELNS1_3repE0EEENS1_47radix_sort_onesweep_sort_config_static_selectorELNS0_4arch9wavefront6targetE1EEEvSI_.numbered_sgpr, 0
	.set _ZN7rocprim17ROCPRIM_400000_NS6detail17trampoline_kernelINS0_14default_configENS1_35radix_sort_onesweep_config_selectorIxxEEZZNS1_29radix_sort_onesweep_iterationIS3_Lb0EN6thrust23THRUST_200600_302600_NS6detail15normal_iteratorINS8_10device_ptrIxEEEESD_SD_SD_jNS0_19identity_decomposerENS1_16block_id_wrapperIjLb1EEEEE10hipError_tT1_PNSt15iterator_traitsISI_E10value_typeET2_T3_PNSJ_ISO_E10value_typeET4_T5_PST_SU_PNS1_23onesweep_lookback_stateEbbT6_jjT7_P12ihipStream_tbENKUlT_T0_SI_SN_E_clIPxSD_S15_SD_EEDaS11_S12_SI_SN_EUlS11_E_NS1_11comp_targetILNS1_3genE9ELNS1_11target_archE1100ELNS1_3gpuE3ELNS1_3repE0EEENS1_47radix_sort_onesweep_sort_config_static_selectorELNS0_4arch9wavefront6targetE1EEEvSI_.num_named_barrier, 0
	.set _ZN7rocprim17ROCPRIM_400000_NS6detail17trampoline_kernelINS0_14default_configENS1_35radix_sort_onesweep_config_selectorIxxEEZZNS1_29radix_sort_onesweep_iterationIS3_Lb0EN6thrust23THRUST_200600_302600_NS6detail15normal_iteratorINS8_10device_ptrIxEEEESD_SD_SD_jNS0_19identity_decomposerENS1_16block_id_wrapperIjLb1EEEEE10hipError_tT1_PNSt15iterator_traitsISI_E10value_typeET2_T3_PNSJ_ISO_E10value_typeET4_T5_PST_SU_PNS1_23onesweep_lookback_stateEbbT6_jjT7_P12ihipStream_tbENKUlT_T0_SI_SN_E_clIPxSD_S15_SD_EEDaS11_S12_SI_SN_EUlS11_E_NS1_11comp_targetILNS1_3genE9ELNS1_11target_archE1100ELNS1_3gpuE3ELNS1_3repE0EEENS1_47radix_sort_onesweep_sort_config_static_selectorELNS0_4arch9wavefront6targetE1EEEvSI_.private_seg_size, 0
	.set _ZN7rocprim17ROCPRIM_400000_NS6detail17trampoline_kernelINS0_14default_configENS1_35radix_sort_onesweep_config_selectorIxxEEZZNS1_29radix_sort_onesweep_iterationIS3_Lb0EN6thrust23THRUST_200600_302600_NS6detail15normal_iteratorINS8_10device_ptrIxEEEESD_SD_SD_jNS0_19identity_decomposerENS1_16block_id_wrapperIjLb1EEEEE10hipError_tT1_PNSt15iterator_traitsISI_E10value_typeET2_T3_PNSJ_ISO_E10value_typeET4_T5_PST_SU_PNS1_23onesweep_lookback_stateEbbT6_jjT7_P12ihipStream_tbENKUlT_T0_SI_SN_E_clIPxSD_S15_SD_EEDaS11_S12_SI_SN_EUlS11_E_NS1_11comp_targetILNS1_3genE9ELNS1_11target_archE1100ELNS1_3gpuE3ELNS1_3repE0EEENS1_47radix_sort_onesweep_sort_config_static_selectorELNS0_4arch9wavefront6targetE1EEEvSI_.uses_vcc, 0
	.set _ZN7rocprim17ROCPRIM_400000_NS6detail17trampoline_kernelINS0_14default_configENS1_35radix_sort_onesweep_config_selectorIxxEEZZNS1_29radix_sort_onesweep_iterationIS3_Lb0EN6thrust23THRUST_200600_302600_NS6detail15normal_iteratorINS8_10device_ptrIxEEEESD_SD_SD_jNS0_19identity_decomposerENS1_16block_id_wrapperIjLb1EEEEE10hipError_tT1_PNSt15iterator_traitsISI_E10value_typeET2_T3_PNSJ_ISO_E10value_typeET4_T5_PST_SU_PNS1_23onesweep_lookback_stateEbbT6_jjT7_P12ihipStream_tbENKUlT_T0_SI_SN_E_clIPxSD_S15_SD_EEDaS11_S12_SI_SN_EUlS11_E_NS1_11comp_targetILNS1_3genE9ELNS1_11target_archE1100ELNS1_3gpuE3ELNS1_3repE0EEENS1_47radix_sort_onesweep_sort_config_static_selectorELNS0_4arch9wavefront6targetE1EEEvSI_.uses_flat_scratch, 0
	.set _ZN7rocprim17ROCPRIM_400000_NS6detail17trampoline_kernelINS0_14default_configENS1_35radix_sort_onesweep_config_selectorIxxEEZZNS1_29radix_sort_onesweep_iterationIS3_Lb0EN6thrust23THRUST_200600_302600_NS6detail15normal_iteratorINS8_10device_ptrIxEEEESD_SD_SD_jNS0_19identity_decomposerENS1_16block_id_wrapperIjLb1EEEEE10hipError_tT1_PNSt15iterator_traitsISI_E10value_typeET2_T3_PNSJ_ISO_E10value_typeET4_T5_PST_SU_PNS1_23onesweep_lookback_stateEbbT6_jjT7_P12ihipStream_tbENKUlT_T0_SI_SN_E_clIPxSD_S15_SD_EEDaS11_S12_SI_SN_EUlS11_E_NS1_11comp_targetILNS1_3genE9ELNS1_11target_archE1100ELNS1_3gpuE3ELNS1_3repE0EEENS1_47radix_sort_onesweep_sort_config_static_selectorELNS0_4arch9wavefront6targetE1EEEvSI_.has_dyn_sized_stack, 0
	.set _ZN7rocprim17ROCPRIM_400000_NS6detail17trampoline_kernelINS0_14default_configENS1_35radix_sort_onesweep_config_selectorIxxEEZZNS1_29radix_sort_onesweep_iterationIS3_Lb0EN6thrust23THRUST_200600_302600_NS6detail15normal_iteratorINS8_10device_ptrIxEEEESD_SD_SD_jNS0_19identity_decomposerENS1_16block_id_wrapperIjLb1EEEEE10hipError_tT1_PNSt15iterator_traitsISI_E10value_typeET2_T3_PNSJ_ISO_E10value_typeET4_T5_PST_SU_PNS1_23onesweep_lookback_stateEbbT6_jjT7_P12ihipStream_tbENKUlT_T0_SI_SN_E_clIPxSD_S15_SD_EEDaS11_S12_SI_SN_EUlS11_E_NS1_11comp_targetILNS1_3genE9ELNS1_11target_archE1100ELNS1_3gpuE3ELNS1_3repE0EEENS1_47radix_sort_onesweep_sort_config_static_selectorELNS0_4arch9wavefront6targetE1EEEvSI_.has_recursion, 0
	.set _ZN7rocprim17ROCPRIM_400000_NS6detail17trampoline_kernelINS0_14default_configENS1_35radix_sort_onesweep_config_selectorIxxEEZZNS1_29radix_sort_onesweep_iterationIS3_Lb0EN6thrust23THRUST_200600_302600_NS6detail15normal_iteratorINS8_10device_ptrIxEEEESD_SD_SD_jNS0_19identity_decomposerENS1_16block_id_wrapperIjLb1EEEEE10hipError_tT1_PNSt15iterator_traitsISI_E10value_typeET2_T3_PNSJ_ISO_E10value_typeET4_T5_PST_SU_PNS1_23onesweep_lookback_stateEbbT6_jjT7_P12ihipStream_tbENKUlT_T0_SI_SN_E_clIPxSD_S15_SD_EEDaS11_S12_SI_SN_EUlS11_E_NS1_11comp_targetILNS1_3genE9ELNS1_11target_archE1100ELNS1_3gpuE3ELNS1_3repE0EEENS1_47radix_sort_onesweep_sort_config_static_selectorELNS0_4arch9wavefront6targetE1EEEvSI_.has_indirect_call, 0
	.section	.AMDGPU.csdata,"",@progbits
; Kernel info:
; codeLenInByte = 0
; TotalNumSgprs: 6
; NumVgprs: 0
; NumAgprs: 0
; TotalNumVgprs: 0
; ScratchSize: 0
; MemoryBound: 0
; FloatMode: 240
; IeeeMode: 1
; LDSByteSize: 0 bytes/workgroup (compile time only)
; SGPRBlocks: 0
; VGPRBlocks: 0
; NumSGPRsForWavesPerEU: 6
; NumVGPRsForWavesPerEU: 1
; AccumOffset: 4
; Occupancy: 8
; WaveLimiterHint : 0
; COMPUTE_PGM_RSRC2:SCRATCH_EN: 0
; COMPUTE_PGM_RSRC2:USER_SGPR: 2
; COMPUTE_PGM_RSRC2:TRAP_HANDLER: 0
; COMPUTE_PGM_RSRC2:TGID_X_EN: 1
; COMPUTE_PGM_RSRC2:TGID_Y_EN: 0
; COMPUTE_PGM_RSRC2:TGID_Z_EN: 0
; COMPUTE_PGM_RSRC2:TIDIG_COMP_CNT: 0
; COMPUTE_PGM_RSRC3_GFX90A:ACCUM_OFFSET: 0
; COMPUTE_PGM_RSRC3_GFX90A:TG_SPLIT: 0
	.section	.text._ZN7rocprim17ROCPRIM_400000_NS6detail17trampoline_kernelINS0_14default_configENS1_35radix_sort_onesweep_config_selectorIxxEEZZNS1_29radix_sort_onesweep_iterationIS3_Lb0EN6thrust23THRUST_200600_302600_NS6detail15normal_iteratorINS8_10device_ptrIxEEEESD_SD_SD_jNS0_19identity_decomposerENS1_16block_id_wrapperIjLb1EEEEE10hipError_tT1_PNSt15iterator_traitsISI_E10value_typeET2_T3_PNSJ_ISO_E10value_typeET4_T5_PST_SU_PNS1_23onesweep_lookback_stateEbbT6_jjT7_P12ihipStream_tbENKUlT_T0_SI_SN_E_clIPxSD_S15_SD_EEDaS11_S12_SI_SN_EUlS11_E_NS1_11comp_targetILNS1_3genE8ELNS1_11target_archE1030ELNS1_3gpuE2ELNS1_3repE0EEENS1_47radix_sort_onesweep_sort_config_static_selectorELNS0_4arch9wavefront6targetE1EEEvSI_,"axG",@progbits,_ZN7rocprim17ROCPRIM_400000_NS6detail17trampoline_kernelINS0_14default_configENS1_35radix_sort_onesweep_config_selectorIxxEEZZNS1_29radix_sort_onesweep_iterationIS3_Lb0EN6thrust23THRUST_200600_302600_NS6detail15normal_iteratorINS8_10device_ptrIxEEEESD_SD_SD_jNS0_19identity_decomposerENS1_16block_id_wrapperIjLb1EEEEE10hipError_tT1_PNSt15iterator_traitsISI_E10value_typeET2_T3_PNSJ_ISO_E10value_typeET4_T5_PST_SU_PNS1_23onesweep_lookback_stateEbbT6_jjT7_P12ihipStream_tbENKUlT_T0_SI_SN_E_clIPxSD_S15_SD_EEDaS11_S12_SI_SN_EUlS11_E_NS1_11comp_targetILNS1_3genE8ELNS1_11target_archE1030ELNS1_3gpuE2ELNS1_3repE0EEENS1_47radix_sort_onesweep_sort_config_static_selectorELNS0_4arch9wavefront6targetE1EEEvSI_,comdat
	.protected	_ZN7rocprim17ROCPRIM_400000_NS6detail17trampoline_kernelINS0_14default_configENS1_35radix_sort_onesweep_config_selectorIxxEEZZNS1_29radix_sort_onesweep_iterationIS3_Lb0EN6thrust23THRUST_200600_302600_NS6detail15normal_iteratorINS8_10device_ptrIxEEEESD_SD_SD_jNS0_19identity_decomposerENS1_16block_id_wrapperIjLb1EEEEE10hipError_tT1_PNSt15iterator_traitsISI_E10value_typeET2_T3_PNSJ_ISO_E10value_typeET4_T5_PST_SU_PNS1_23onesweep_lookback_stateEbbT6_jjT7_P12ihipStream_tbENKUlT_T0_SI_SN_E_clIPxSD_S15_SD_EEDaS11_S12_SI_SN_EUlS11_E_NS1_11comp_targetILNS1_3genE8ELNS1_11target_archE1030ELNS1_3gpuE2ELNS1_3repE0EEENS1_47radix_sort_onesweep_sort_config_static_selectorELNS0_4arch9wavefront6targetE1EEEvSI_ ; -- Begin function _ZN7rocprim17ROCPRIM_400000_NS6detail17trampoline_kernelINS0_14default_configENS1_35radix_sort_onesweep_config_selectorIxxEEZZNS1_29radix_sort_onesweep_iterationIS3_Lb0EN6thrust23THRUST_200600_302600_NS6detail15normal_iteratorINS8_10device_ptrIxEEEESD_SD_SD_jNS0_19identity_decomposerENS1_16block_id_wrapperIjLb1EEEEE10hipError_tT1_PNSt15iterator_traitsISI_E10value_typeET2_T3_PNSJ_ISO_E10value_typeET4_T5_PST_SU_PNS1_23onesweep_lookback_stateEbbT6_jjT7_P12ihipStream_tbENKUlT_T0_SI_SN_E_clIPxSD_S15_SD_EEDaS11_S12_SI_SN_EUlS11_E_NS1_11comp_targetILNS1_3genE8ELNS1_11target_archE1030ELNS1_3gpuE2ELNS1_3repE0EEENS1_47radix_sort_onesweep_sort_config_static_selectorELNS0_4arch9wavefront6targetE1EEEvSI_
	.globl	_ZN7rocprim17ROCPRIM_400000_NS6detail17trampoline_kernelINS0_14default_configENS1_35radix_sort_onesweep_config_selectorIxxEEZZNS1_29radix_sort_onesweep_iterationIS3_Lb0EN6thrust23THRUST_200600_302600_NS6detail15normal_iteratorINS8_10device_ptrIxEEEESD_SD_SD_jNS0_19identity_decomposerENS1_16block_id_wrapperIjLb1EEEEE10hipError_tT1_PNSt15iterator_traitsISI_E10value_typeET2_T3_PNSJ_ISO_E10value_typeET4_T5_PST_SU_PNS1_23onesweep_lookback_stateEbbT6_jjT7_P12ihipStream_tbENKUlT_T0_SI_SN_E_clIPxSD_S15_SD_EEDaS11_S12_SI_SN_EUlS11_E_NS1_11comp_targetILNS1_3genE8ELNS1_11target_archE1030ELNS1_3gpuE2ELNS1_3repE0EEENS1_47radix_sort_onesweep_sort_config_static_selectorELNS0_4arch9wavefront6targetE1EEEvSI_
	.p2align	8
	.type	_ZN7rocprim17ROCPRIM_400000_NS6detail17trampoline_kernelINS0_14default_configENS1_35radix_sort_onesweep_config_selectorIxxEEZZNS1_29radix_sort_onesweep_iterationIS3_Lb0EN6thrust23THRUST_200600_302600_NS6detail15normal_iteratorINS8_10device_ptrIxEEEESD_SD_SD_jNS0_19identity_decomposerENS1_16block_id_wrapperIjLb1EEEEE10hipError_tT1_PNSt15iterator_traitsISI_E10value_typeET2_T3_PNSJ_ISO_E10value_typeET4_T5_PST_SU_PNS1_23onesweep_lookback_stateEbbT6_jjT7_P12ihipStream_tbENKUlT_T0_SI_SN_E_clIPxSD_S15_SD_EEDaS11_S12_SI_SN_EUlS11_E_NS1_11comp_targetILNS1_3genE8ELNS1_11target_archE1030ELNS1_3gpuE2ELNS1_3repE0EEENS1_47radix_sort_onesweep_sort_config_static_selectorELNS0_4arch9wavefront6targetE1EEEvSI_,@function
_ZN7rocprim17ROCPRIM_400000_NS6detail17trampoline_kernelINS0_14default_configENS1_35radix_sort_onesweep_config_selectorIxxEEZZNS1_29radix_sort_onesweep_iterationIS3_Lb0EN6thrust23THRUST_200600_302600_NS6detail15normal_iteratorINS8_10device_ptrIxEEEESD_SD_SD_jNS0_19identity_decomposerENS1_16block_id_wrapperIjLb1EEEEE10hipError_tT1_PNSt15iterator_traitsISI_E10value_typeET2_T3_PNSJ_ISO_E10value_typeET4_T5_PST_SU_PNS1_23onesweep_lookback_stateEbbT6_jjT7_P12ihipStream_tbENKUlT_T0_SI_SN_E_clIPxSD_S15_SD_EEDaS11_S12_SI_SN_EUlS11_E_NS1_11comp_targetILNS1_3genE8ELNS1_11target_archE1030ELNS1_3gpuE2ELNS1_3repE0EEENS1_47radix_sort_onesweep_sort_config_static_selectorELNS0_4arch9wavefront6targetE1EEEvSI_: ; @_ZN7rocprim17ROCPRIM_400000_NS6detail17trampoline_kernelINS0_14default_configENS1_35radix_sort_onesweep_config_selectorIxxEEZZNS1_29radix_sort_onesweep_iterationIS3_Lb0EN6thrust23THRUST_200600_302600_NS6detail15normal_iteratorINS8_10device_ptrIxEEEESD_SD_SD_jNS0_19identity_decomposerENS1_16block_id_wrapperIjLb1EEEEE10hipError_tT1_PNSt15iterator_traitsISI_E10value_typeET2_T3_PNSJ_ISO_E10value_typeET4_T5_PST_SU_PNS1_23onesweep_lookback_stateEbbT6_jjT7_P12ihipStream_tbENKUlT_T0_SI_SN_E_clIPxSD_S15_SD_EEDaS11_S12_SI_SN_EUlS11_E_NS1_11comp_targetILNS1_3genE8ELNS1_11target_archE1030ELNS1_3gpuE2ELNS1_3repE0EEENS1_47radix_sort_onesweep_sort_config_static_selectorELNS0_4arch9wavefront6targetE1EEEvSI_
; %bb.0:
	.section	.rodata,"a",@progbits
	.p2align	6, 0x0
	.amdhsa_kernel _ZN7rocprim17ROCPRIM_400000_NS6detail17trampoline_kernelINS0_14default_configENS1_35radix_sort_onesweep_config_selectorIxxEEZZNS1_29radix_sort_onesweep_iterationIS3_Lb0EN6thrust23THRUST_200600_302600_NS6detail15normal_iteratorINS8_10device_ptrIxEEEESD_SD_SD_jNS0_19identity_decomposerENS1_16block_id_wrapperIjLb1EEEEE10hipError_tT1_PNSt15iterator_traitsISI_E10value_typeET2_T3_PNSJ_ISO_E10value_typeET4_T5_PST_SU_PNS1_23onesweep_lookback_stateEbbT6_jjT7_P12ihipStream_tbENKUlT_T0_SI_SN_E_clIPxSD_S15_SD_EEDaS11_S12_SI_SN_EUlS11_E_NS1_11comp_targetILNS1_3genE8ELNS1_11target_archE1030ELNS1_3gpuE2ELNS1_3repE0EEENS1_47radix_sort_onesweep_sort_config_static_selectorELNS0_4arch9wavefront6targetE1EEEvSI_
		.amdhsa_group_segment_fixed_size 0
		.amdhsa_private_segment_fixed_size 0
		.amdhsa_kernarg_size 88
		.amdhsa_user_sgpr_count 2
		.amdhsa_user_sgpr_dispatch_ptr 0
		.amdhsa_user_sgpr_queue_ptr 0
		.amdhsa_user_sgpr_kernarg_segment_ptr 1
		.amdhsa_user_sgpr_dispatch_id 0
		.amdhsa_user_sgpr_kernarg_preload_length 0
		.amdhsa_user_sgpr_kernarg_preload_offset 0
		.amdhsa_user_sgpr_private_segment_size 0
		.amdhsa_uses_dynamic_stack 0
		.amdhsa_enable_private_segment 0
		.amdhsa_system_sgpr_workgroup_id_x 1
		.amdhsa_system_sgpr_workgroup_id_y 0
		.amdhsa_system_sgpr_workgroup_id_z 0
		.amdhsa_system_sgpr_workgroup_info 0
		.amdhsa_system_vgpr_workitem_id 0
		.amdhsa_next_free_vgpr 1
		.amdhsa_next_free_sgpr 0
		.amdhsa_accum_offset 4
		.amdhsa_reserve_vcc 0
		.amdhsa_float_round_mode_32 0
		.amdhsa_float_round_mode_16_64 0
		.amdhsa_float_denorm_mode_32 3
		.amdhsa_float_denorm_mode_16_64 3
		.amdhsa_dx10_clamp 1
		.amdhsa_ieee_mode 1
		.amdhsa_fp16_overflow 0
		.amdhsa_tg_split 0
		.amdhsa_exception_fp_ieee_invalid_op 0
		.amdhsa_exception_fp_denorm_src 0
		.amdhsa_exception_fp_ieee_div_zero 0
		.amdhsa_exception_fp_ieee_overflow 0
		.amdhsa_exception_fp_ieee_underflow 0
		.amdhsa_exception_fp_ieee_inexact 0
		.amdhsa_exception_int_div_zero 0
	.end_amdhsa_kernel
	.section	.text._ZN7rocprim17ROCPRIM_400000_NS6detail17trampoline_kernelINS0_14default_configENS1_35radix_sort_onesweep_config_selectorIxxEEZZNS1_29radix_sort_onesweep_iterationIS3_Lb0EN6thrust23THRUST_200600_302600_NS6detail15normal_iteratorINS8_10device_ptrIxEEEESD_SD_SD_jNS0_19identity_decomposerENS1_16block_id_wrapperIjLb1EEEEE10hipError_tT1_PNSt15iterator_traitsISI_E10value_typeET2_T3_PNSJ_ISO_E10value_typeET4_T5_PST_SU_PNS1_23onesweep_lookback_stateEbbT6_jjT7_P12ihipStream_tbENKUlT_T0_SI_SN_E_clIPxSD_S15_SD_EEDaS11_S12_SI_SN_EUlS11_E_NS1_11comp_targetILNS1_3genE8ELNS1_11target_archE1030ELNS1_3gpuE2ELNS1_3repE0EEENS1_47radix_sort_onesweep_sort_config_static_selectorELNS0_4arch9wavefront6targetE1EEEvSI_,"axG",@progbits,_ZN7rocprim17ROCPRIM_400000_NS6detail17trampoline_kernelINS0_14default_configENS1_35radix_sort_onesweep_config_selectorIxxEEZZNS1_29radix_sort_onesweep_iterationIS3_Lb0EN6thrust23THRUST_200600_302600_NS6detail15normal_iteratorINS8_10device_ptrIxEEEESD_SD_SD_jNS0_19identity_decomposerENS1_16block_id_wrapperIjLb1EEEEE10hipError_tT1_PNSt15iterator_traitsISI_E10value_typeET2_T3_PNSJ_ISO_E10value_typeET4_T5_PST_SU_PNS1_23onesweep_lookback_stateEbbT6_jjT7_P12ihipStream_tbENKUlT_T0_SI_SN_E_clIPxSD_S15_SD_EEDaS11_S12_SI_SN_EUlS11_E_NS1_11comp_targetILNS1_3genE8ELNS1_11target_archE1030ELNS1_3gpuE2ELNS1_3repE0EEENS1_47radix_sort_onesweep_sort_config_static_selectorELNS0_4arch9wavefront6targetE1EEEvSI_,comdat
.Lfunc_end1223:
	.size	_ZN7rocprim17ROCPRIM_400000_NS6detail17trampoline_kernelINS0_14default_configENS1_35radix_sort_onesweep_config_selectorIxxEEZZNS1_29radix_sort_onesweep_iterationIS3_Lb0EN6thrust23THRUST_200600_302600_NS6detail15normal_iteratorINS8_10device_ptrIxEEEESD_SD_SD_jNS0_19identity_decomposerENS1_16block_id_wrapperIjLb1EEEEE10hipError_tT1_PNSt15iterator_traitsISI_E10value_typeET2_T3_PNSJ_ISO_E10value_typeET4_T5_PST_SU_PNS1_23onesweep_lookback_stateEbbT6_jjT7_P12ihipStream_tbENKUlT_T0_SI_SN_E_clIPxSD_S15_SD_EEDaS11_S12_SI_SN_EUlS11_E_NS1_11comp_targetILNS1_3genE8ELNS1_11target_archE1030ELNS1_3gpuE2ELNS1_3repE0EEENS1_47radix_sort_onesweep_sort_config_static_selectorELNS0_4arch9wavefront6targetE1EEEvSI_, .Lfunc_end1223-_ZN7rocprim17ROCPRIM_400000_NS6detail17trampoline_kernelINS0_14default_configENS1_35radix_sort_onesweep_config_selectorIxxEEZZNS1_29radix_sort_onesweep_iterationIS3_Lb0EN6thrust23THRUST_200600_302600_NS6detail15normal_iteratorINS8_10device_ptrIxEEEESD_SD_SD_jNS0_19identity_decomposerENS1_16block_id_wrapperIjLb1EEEEE10hipError_tT1_PNSt15iterator_traitsISI_E10value_typeET2_T3_PNSJ_ISO_E10value_typeET4_T5_PST_SU_PNS1_23onesweep_lookback_stateEbbT6_jjT7_P12ihipStream_tbENKUlT_T0_SI_SN_E_clIPxSD_S15_SD_EEDaS11_S12_SI_SN_EUlS11_E_NS1_11comp_targetILNS1_3genE8ELNS1_11target_archE1030ELNS1_3gpuE2ELNS1_3repE0EEENS1_47radix_sort_onesweep_sort_config_static_selectorELNS0_4arch9wavefront6targetE1EEEvSI_
                                        ; -- End function
	.set _ZN7rocprim17ROCPRIM_400000_NS6detail17trampoline_kernelINS0_14default_configENS1_35radix_sort_onesweep_config_selectorIxxEEZZNS1_29radix_sort_onesweep_iterationIS3_Lb0EN6thrust23THRUST_200600_302600_NS6detail15normal_iteratorINS8_10device_ptrIxEEEESD_SD_SD_jNS0_19identity_decomposerENS1_16block_id_wrapperIjLb1EEEEE10hipError_tT1_PNSt15iterator_traitsISI_E10value_typeET2_T3_PNSJ_ISO_E10value_typeET4_T5_PST_SU_PNS1_23onesweep_lookback_stateEbbT6_jjT7_P12ihipStream_tbENKUlT_T0_SI_SN_E_clIPxSD_S15_SD_EEDaS11_S12_SI_SN_EUlS11_E_NS1_11comp_targetILNS1_3genE8ELNS1_11target_archE1030ELNS1_3gpuE2ELNS1_3repE0EEENS1_47radix_sort_onesweep_sort_config_static_selectorELNS0_4arch9wavefront6targetE1EEEvSI_.num_vgpr, 0
	.set _ZN7rocprim17ROCPRIM_400000_NS6detail17trampoline_kernelINS0_14default_configENS1_35radix_sort_onesweep_config_selectorIxxEEZZNS1_29radix_sort_onesweep_iterationIS3_Lb0EN6thrust23THRUST_200600_302600_NS6detail15normal_iteratorINS8_10device_ptrIxEEEESD_SD_SD_jNS0_19identity_decomposerENS1_16block_id_wrapperIjLb1EEEEE10hipError_tT1_PNSt15iterator_traitsISI_E10value_typeET2_T3_PNSJ_ISO_E10value_typeET4_T5_PST_SU_PNS1_23onesweep_lookback_stateEbbT6_jjT7_P12ihipStream_tbENKUlT_T0_SI_SN_E_clIPxSD_S15_SD_EEDaS11_S12_SI_SN_EUlS11_E_NS1_11comp_targetILNS1_3genE8ELNS1_11target_archE1030ELNS1_3gpuE2ELNS1_3repE0EEENS1_47radix_sort_onesweep_sort_config_static_selectorELNS0_4arch9wavefront6targetE1EEEvSI_.num_agpr, 0
	.set _ZN7rocprim17ROCPRIM_400000_NS6detail17trampoline_kernelINS0_14default_configENS1_35radix_sort_onesweep_config_selectorIxxEEZZNS1_29radix_sort_onesweep_iterationIS3_Lb0EN6thrust23THRUST_200600_302600_NS6detail15normal_iteratorINS8_10device_ptrIxEEEESD_SD_SD_jNS0_19identity_decomposerENS1_16block_id_wrapperIjLb1EEEEE10hipError_tT1_PNSt15iterator_traitsISI_E10value_typeET2_T3_PNSJ_ISO_E10value_typeET4_T5_PST_SU_PNS1_23onesweep_lookback_stateEbbT6_jjT7_P12ihipStream_tbENKUlT_T0_SI_SN_E_clIPxSD_S15_SD_EEDaS11_S12_SI_SN_EUlS11_E_NS1_11comp_targetILNS1_3genE8ELNS1_11target_archE1030ELNS1_3gpuE2ELNS1_3repE0EEENS1_47radix_sort_onesweep_sort_config_static_selectorELNS0_4arch9wavefront6targetE1EEEvSI_.numbered_sgpr, 0
	.set _ZN7rocprim17ROCPRIM_400000_NS6detail17trampoline_kernelINS0_14default_configENS1_35radix_sort_onesweep_config_selectorIxxEEZZNS1_29radix_sort_onesweep_iterationIS3_Lb0EN6thrust23THRUST_200600_302600_NS6detail15normal_iteratorINS8_10device_ptrIxEEEESD_SD_SD_jNS0_19identity_decomposerENS1_16block_id_wrapperIjLb1EEEEE10hipError_tT1_PNSt15iterator_traitsISI_E10value_typeET2_T3_PNSJ_ISO_E10value_typeET4_T5_PST_SU_PNS1_23onesweep_lookback_stateEbbT6_jjT7_P12ihipStream_tbENKUlT_T0_SI_SN_E_clIPxSD_S15_SD_EEDaS11_S12_SI_SN_EUlS11_E_NS1_11comp_targetILNS1_3genE8ELNS1_11target_archE1030ELNS1_3gpuE2ELNS1_3repE0EEENS1_47radix_sort_onesweep_sort_config_static_selectorELNS0_4arch9wavefront6targetE1EEEvSI_.num_named_barrier, 0
	.set _ZN7rocprim17ROCPRIM_400000_NS6detail17trampoline_kernelINS0_14default_configENS1_35radix_sort_onesweep_config_selectorIxxEEZZNS1_29radix_sort_onesweep_iterationIS3_Lb0EN6thrust23THRUST_200600_302600_NS6detail15normal_iteratorINS8_10device_ptrIxEEEESD_SD_SD_jNS0_19identity_decomposerENS1_16block_id_wrapperIjLb1EEEEE10hipError_tT1_PNSt15iterator_traitsISI_E10value_typeET2_T3_PNSJ_ISO_E10value_typeET4_T5_PST_SU_PNS1_23onesweep_lookback_stateEbbT6_jjT7_P12ihipStream_tbENKUlT_T0_SI_SN_E_clIPxSD_S15_SD_EEDaS11_S12_SI_SN_EUlS11_E_NS1_11comp_targetILNS1_3genE8ELNS1_11target_archE1030ELNS1_3gpuE2ELNS1_3repE0EEENS1_47radix_sort_onesweep_sort_config_static_selectorELNS0_4arch9wavefront6targetE1EEEvSI_.private_seg_size, 0
	.set _ZN7rocprim17ROCPRIM_400000_NS6detail17trampoline_kernelINS0_14default_configENS1_35radix_sort_onesweep_config_selectorIxxEEZZNS1_29radix_sort_onesweep_iterationIS3_Lb0EN6thrust23THRUST_200600_302600_NS6detail15normal_iteratorINS8_10device_ptrIxEEEESD_SD_SD_jNS0_19identity_decomposerENS1_16block_id_wrapperIjLb1EEEEE10hipError_tT1_PNSt15iterator_traitsISI_E10value_typeET2_T3_PNSJ_ISO_E10value_typeET4_T5_PST_SU_PNS1_23onesweep_lookback_stateEbbT6_jjT7_P12ihipStream_tbENKUlT_T0_SI_SN_E_clIPxSD_S15_SD_EEDaS11_S12_SI_SN_EUlS11_E_NS1_11comp_targetILNS1_3genE8ELNS1_11target_archE1030ELNS1_3gpuE2ELNS1_3repE0EEENS1_47radix_sort_onesweep_sort_config_static_selectorELNS0_4arch9wavefront6targetE1EEEvSI_.uses_vcc, 0
	.set _ZN7rocprim17ROCPRIM_400000_NS6detail17trampoline_kernelINS0_14default_configENS1_35radix_sort_onesweep_config_selectorIxxEEZZNS1_29radix_sort_onesweep_iterationIS3_Lb0EN6thrust23THRUST_200600_302600_NS6detail15normal_iteratorINS8_10device_ptrIxEEEESD_SD_SD_jNS0_19identity_decomposerENS1_16block_id_wrapperIjLb1EEEEE10hipError_tT1_PNSt15iterator_traitsISI_E10value_typeET2_T3_PNSJ_ISO_E10value_typeET4_T5_PST_SU_PNS1_23onesweep_lookback_stateEbbT6_jjT7_P12ihipStream_tbENKUlT_T0_SI_SN_E_clIPxSD_S15_SD_EEDaS11_S12_SI_SN_EUlS11_E_NS1_11comp_targetILNS1_3genE8ELNS1_11target_archE1030ELNS1_3gpuE2ELNS1_3repE0EEENS1_47radix_sort_onesweep_sort_config_static_selectorELNS0_4arch9wavefront6targetE1EEEvSI_.uses_flat_scratch, 0
	.set _ZN7rocprim17ROCPRIM_400000_NS6detail17trampoline_kernelINS0_14default_configENS1_35radix_sort_onesweep_config_selectorIxxEEZZNS1_29radix_sort_onesweep_iterationIS3_Lb0EN6thrust23THRUST_200600_302600_NS6detail15normal_iteratorINS8_10device_ptrIxEEEESD_SD_SD_jNS0_19identity_decomposerENS1_16block_id_wrapperIjLb1EEEEE10hipError_tT1_PNSt15iterator_traitsISI_E10value_typeET2_T3_PNSJ_ISO_E10value_typeET4_T5_PST_SU_PNS1_23onesweep_lookback_stateEbbT6_jjT7_P12ihipStream_tbENKUlT_T0_SI_SN_E_clIPxSD_S15_SD_EEDaS11_S12_SI_SN_EUlS11_E_NS1_11comp_targetILNS1_3genE8ELNS1_11target_archE1030ELNS1_3gpuE2ELNS1_3repE0EEENS1_47radix_sort_onesweep_sort_config_static_selectorELNS0_4arch9wavefront6targetE1EEEvSI_.has_dyn_sized_stack, 0
	.set _ZN7rocprim17ROCPRIM_400000_NS6detail17trampoline_kernelINS0_14default_configENS1_35radix_sort_onesweep_config_selectorIxxEEZZNS1_29radix_sort_onesweep_iterationIS3_Lb0EN6thrust23THRUST_200600_302600_NS6detail15normal_iteratorINS8_10device_ptrIxEEEESD_SD_SD_jNS0_19identity_decomposerENS1_16block_id_wrapperIjLb1EEEEE10hipError_tT1_PNSt15iterator_traitsISI_E10value_typeET2_T3_PNSJ_ISO_E10value_typeET4_T5_PST_SU_PNS1_23onesweep_lookback_stateEbbT6_jjT7_P12ihipStream_tbENKUlT_T0_SI_SN_E_clIPxSD_S15_SD_EEDaS11_S12_SI_SN_EUlS11_E_NS1_11comp_targetILNS1_3genE8ELNS1_11target_archE1030ELNS1_3gpuE2ELNS1_3repE0EEENS1_47radix_sort_onesweep_sort_config_static_selectorELNS0_4arch9wavefront6targetE1EEEvSI_.has_recursion, 0
	.set _ZN7rocprim17ROCPRIM_400000_NS6detail17trampoline_kernelINS0_14default_configENS1_35radix_sort_onesweep_config_selectorIxxEEZZNS1_29radix_sort_onesweep_iterationIS3_Lb0EN6thrust23THRUST_200600_302600_NS6detail15normal_iteratorINS8_10device_ptrIxEEEESD_SD_SD_jNS0_19identity_decomposerENS1_16block_id_wrapperIjLb1EEEEE10hipError_tT1_PNSt15iterator_traitsISI_E10value_typeET2_T3_PNSJ_ISO_E10value_typeET4_T5_PST_SU_PNS1_23onesweep_lookback_stateEbbT6_jjT7_P12ihipStream_tbENKUlT_T0_SI_SN_E_clIPxSD_S15_SD_EEDaS11_S12_SI_SN_EUlS11_E_NS1_11comp_targetILNS1_3genE8ELNS1_11target_archE1030ELNS1_3gpuE2ELNS1_3repE0EEENS1_47radix_sort_onesweep_sort_config_static_selectorELNS0_4arch9wavefront6targetE1EEEvSI_.has_indirect_call, 0
	.section	.AMDGPU.csdata,"",@progbits
; Kernel info:
; codeLenInByte = 0
; TotalNumSgprs: 6
; NumVgprs: 0
; NumAgprs: 0
; TotalNumVgprs: 0
; ScratchSize: 0
; MemoryBound: 0
; FloatMode: 240
; IeeeMode: 1
; LDSByteSize: 0 bytes/workgroup (compile time only)
; SGPRBlocks: 0
; VGPRBlocks: 0
; NumSGPRsForWavesPerEU: 6
; NumVGPRsForWavesPerEU: 1
; AccumOffset: 4
; Occupancy: 8
; WaveLimiterHint : 0
; COMPUTE_PGM_RSRC2:SCRATCH_EN: 0
; COMPUTE_PGM_RSRC2:USER_SGPR: 2
; COMPUTE_PGM_RSRC2:TRAP_HANDLER: 0
; COMPUTE_PGM_RSRC2:TGID_X_EN: 1
; COMPUTE_PGM_RSRC2:TGID_Y_EN: 0
; COMPUTE_PGM_RSRC2:TGID_Z_EN: 0
; COMPUTE_PGM_RSRC2:TIDIG_COMP_CNT: 0
; COMPUTE_PGM_RSRC3_GFX90A:ACCUM_OFFSET: 0
; COMPUTE_PGM_RSRC3_GFX90A:TG_SPLIT: 0
	.section	.text._ZN7rocprim17ROCPRIM_400000_NS6detail17trampoline_kernelINS0_14default_configENS1_35radix_sort_onesweep_config_selectorIxxEEZZNS1_29radix_sort_onesweep_iterationIS3_Lb0EN6thrust23THRUST_200600_302600_NS6detail15normal_iteratorINS8_10device_ptrIxEEEESD_SD_SD_jNS0_19identity_decomposerENS1_16block_id_wrapperIjLb0EEEEE10hipError_tT1_PNSt15iterator_traitsISI_E10value_typeET2_T3_PNSJ_ISO_E10value_typeET4_T5_PST_SU_PNS1_23onesweep_lookback_stateEbbT6_jjT7_P12ihipStream_tbENKUlT_T0_SI_SN_E_clISD_SD_SD_SD_EEDaS11_S12_SI_SN_EUlS11_E_NS1_11comp_targetILNS1_3genE0ELNS1_11target_archE4294967295ELNS1_3gpuE0ELNS1_3repE0EEENS1_47radix_sort_onesweep_sort_config_static_selectorELNS0_4arch9wavefront6targetE1EEEvSI_,"axG",@progbits,_ZN7rocprim17ROCPRIM_400000_NS6detail17trampoline_kernelINS0_14default_configENS1_35radix_sort_onesweep_config_selectorIxxEEZZNS1_29radix_sort_onesweep_iterationIS3_Lb0EN6thrust23THRUST_200600_302600_NS6detail15normal_iteratorINS8_10device_ptrIxEEEESD_SD_SD_jNS0_19identity_decomposerENS1_16block_id_wrapperIjLb0EEEEE10hipError_tT1_PNSt15iterator_traitsISI_E10value_typeET2_T3_PNSJ_ISO_E10value_typeET4_T5_PST_SU_PNS1_23onesweep_lookback_stateEbbT6_jjT7_P12ihipStream_tbENKUlT_T0_SI_SN_E_clISD_SD_SD_SD_EEDaS11_S12_SI_SN_EUlS11_E_NS1_11comp_targetILNS1_3genE0ELNS1_11target_archE4294967295ELNS1_3gpuE0ELNS1_3repE0EEENS1_47radix_sort_onesweep_sort_config_static_selectorELNS0_4arch9wavefront6targetE1EEEvSI_,comdat
	.protected	_ZN7rocprim17ROCPRIM_400000_NS6detail17trampoline_kernelINS0_14default_configENS1_35radix_sort_onesweep_config_selectorIxxEEZZNS1_29radix_sort_onesweep_iterationIS3_Lb0EN6thrust23THRUST_200600_302600_NS6detail15normal_iteratorINS8_10device_ptrIxEEEESD_SD_SD_jNS0_19identity_decomposerENS1_16block_id_wrapperIjLb0EEEEE10hipError_tT1_PNSt15iterator_traitsISI_E10value_typeET2_T3_PNSJ_ISO_E10value_typeET4_T5_PST_SU_PNS1_23onesweep_lookback_stateEbbT6_jjT7_P12ihipStream_tbENKUlT_T0_SI_SN_E_clISD_SD_SD_SD_EEDaS11_S12_SI_SN_EUlS11_E_NS1_11comp_targetILNS1_3genE0ELNS1_11target_archE4294967295ELNS1_3gpuE0ELNS1_3repE0EEENS1_47radix_sort_onesweep_sort_config_static_selectorELNS0_4arch9wavefront6targetE1EEEvSI_ ; -- Begin function _ZN7rocprim17ROCPRIM_400000_NS6detail17trampoline_kernelINS0_14default_configENS1_35radix_sort_onesweep_config_selectorIxxEEZZNS1_29radix_sort_onesweep_iterationIS3_Lb0EN6thrust23THRUST_200600_302600_NS6detail15normal_iteratorINS8_10device_ptrIxEEEESD_SD_SD_jNS0_19identity_decomposerENS1_16block_id_wrapperIjLb0EEEEE10hipError_tT1_PNSt15iterator_traitsISI_E10value_typeET2_T3_PNSJ_ISO_E10value_typeET4_T5_PST_SU_PNS1_23onesweep_lookback_stateEbbT6_jjT7_P12ihipStream_tbENKUlT_T0_SI_SN_E_clISD_SD_SD_SD_EEDaS11_S12_SI_SN_EUlS11_E_NS1_11comp_targetILNS1_3genE0ELNS1_11target_archE4294967295ELNS1_3gpuE0ELNS1_3repE0EEENS1_47radix_sort_onesweep_sort_config_static_selectorELNS0_4arch9wavefront6targetE1EEEvSI_
	.globl	_ZN7rocprim17ROCPRIM_400000_NS6detail17trampoline_kernelINS0_14default_configENS1_35radix_sort_onesweep_config_selectorIxxEEZZNS1_29radix_sort_onesweep_iterationIS3_Lb0EN6thrust23THRUST_200600_302600_NS6detail15normal_iteratorINS8_10device_ptrIxEEEESD_SD_SD_jNS0_19identity_decomposerENS1_16block_id_wrapperIjLb0EEEEE10hipError_tT1_PNSt15iterator_traitsISI_E10value_typeET2_T3_PNSJ_ISO_E10value_typeET4_T5_PST_SU_PNS1_23onesweep_lookback_stateEbbT6_jjT7_P12ihipStream_tbENKUlT_T0_SI_SN_E_clISD_SD_SD_SD_EEDaS11_S12_SI_SN_EUlS11_E_NS1_11comp_targetILNS1_3genE0ELNS1_11target_archE4294967295ELNS1_3gpuE0ELNS1_3repE0EEENS1_47radix_sort_onesweep_sort_config_static_selectorELNS0_4arch9wavefront6targetE1EEEvSI_
	.p2align	8
	.type	_ZN7rocprim17ROCPRIM_400000_NS6detail17trampoline_kernelINS0_14default_configENS1_35radix_sort_onesweep_config_selectorIxxEEZZNS1_29radix_sort_onesweep_iterationIS3_Lb0EN6thrust23THRUST_200600_302600_NS6detail15normal_iteratorINS8_10device_ptrIxEEEESD_SD_SD_jNS0_19identity_decomposerENS1_16block_id_wrapperIjLb0EEEEE10hipError_tT1_PNSt15iterator_traitsISI_E10value_typeET2_T3_PNSJ_ISO_E10value_typeET4_T5_PST_SU_PNS1_23onesweep_lookback_stateEbbT6_jjT7_P12ihipStream_tbENKUlT_T0_SI_SN_E_clISD_SD_SD_SD_EEDaS11_S12_SI_SN_EUlS11_E_NS1_11comp_targetILNS1_3genE0ELNS1_11target_archE4294967295ELNS1_3gpuE0ELNS1_3repE0EEENS1_47radix_sort_onesweep_sort_config_static_selectorELNS0_4arch9wavefront6targetE1EEEvSI_,@function
_ZN7rocprim17ROCPRIM_400000_NS6detail17trampoline_kernelINS0_14default_configENS1_35radix_sort_onesweep_config_selectorIxxEEZZNS1_29radix_sort_onesweep_iterationIS3_Lb0EN6thrust23THRUST_200600_302600_NS6detail15normal_iteratorINS8_10device_ptrIxEEEESD_SD_SD_jNS0_19identity_decomposerENS1_16block_id_wrapperIjLb0EEEEE10hipError_tT1_PNSt15iterator_traitsISI_E10value_typeET2_T3_PNSJ_ISO_E10value_typeET4_T5_PST_SU_PNS1_23onesweep_lookback_stateEbbT6_jjT7_P12ihipStream_tbENKUlT_T0_SI_SN_E_clISD_SD_SD_SD_EEDaS11_S12_SI_SN_EUlS11_E_NS1_11comp_targetILNS1_3genE0ELNS1_11target_archE4294967295ELNS1_3gpuE0ELNS1_3repE0EEENS1_47radix_sort_onesweep_sort_config_static_selectorELNS0_4arch9wavefront6targetE1EEEvSI_: ; @_ZN7rocprim17ROCPRIM_400000_NS6detail17trampoline_kernelINS0_14default_configENS1_35radix_sort_onesweep_config_selectorIxxEEZZNS1_29radix_sort_onesweep_iterationIS3_Lb0EN6thrust23THRUST_200600_302600_NS6detail15normal_iteratorINS8_10device_ptrIxEEEESD_SD_SD_jNS0_19identity_decomposerENS1_16block_id_wrapperIjLb0EEEEE10hipError_tT1_PNSt15iterator_traitsISI_E10value_typeET2_T3_PNSJ_ISO_E10value_typeET4_T5_PST_SU_PNS1_23onesweep_lookback_stateEbbT6_jjT7_P12ihipStream_tbENKUlT_T0_SI_SN_E_clISD_SD_SD_SD_EEDaS11_S12_SI_SN_EUlS11_E_NS1_11comp_targetILNS1_3genE0ELNS1_11target_archE4294967295ELNS1_3gpuE0ELNS1_3repE0EEENS1_47radix_sort_onesweep_sort_config_static_selectorELNS0_4arch9wavefront6targetE1EEEvSI_
; %bb.0:
	.section	.rodata,"a",@progbits
	.p2align	6, 0x0
	.amdhsa_kernel _ZN7rocprim17ROCPRIM_400000_NS6detail17trampoline_kernelINS0_14default_configENS1_35radix_sort_onesweep_config_selectorIxxEEZZNS1_29radix_sort_onesweep_iterationIS3_Lb0EN6thrust23THRUST_200600_302600_NS6detail15normal_iteratorINS8_10device_ptrIxEEEESD_SD_SD_jNS0_19identity_decomposerENS1_16block_id_wrapperIjLb0EEEEE10hipError_tT1_PNSt15iterator_traitsISI_E10value_typeET2_T3_PNSJ_ISO_E10value_typeET4_T5_PST_SU_PNS1_23onesweep_lookback_stateEbbT6_jjT7_P12ihipStream_tbENKUlT_T0_SI_SN_E_clISD_SD_SD_SD_EEDaS11_S12_SI_SN_EUlS11_E_NS1_11comp_targetILNS1_3genE0ELNS1_11target_archE4294967295ELNS1_3gpuE0ELNS1_3repE0EEENS1_47radix_sort_onesweep_sort_config_static_selectorELNS0_4arch9wavefront6targetE1EEEvSI_
		.amdhsa_group_segment_fixed_size 0
		.amdhsa_private_segment_fixed_size 0
		.amdhsa_kernarg_size 88
		.amdhsa_user_sgpr_count 2
		.amdhsa_user_sgpr_dispatch_ptr 0
		.amdhsa_user_sgpr_queue_ptr 0
		.amdhsa_user_sgpr_kernarg_segment_ptr 1
		.amdhsa_user_sgpr_dispatch_id 0
		.amdhsa_user_sgpr_kernarg_preload_length 0
		.amdhsa_user_sgpr_kernarg_preload_offset 0
		.amdhsa_user_sgpr_private_segment_size 0
		.amdhsa_uses_dynamic_stack 0
		.amdhsa_enable_private_segment 0
		.amdhsa_system_sgpr_workgroup_id_x 1
		.amdhsa_system_sgpr_workgroup_id_y 0
		.amdhsa_system_sgpr_workgroup_id_z 0
		.amdhsa_system_sgpr_workgroup_info 0
		.amdhsa_system_vgpr_workitem_id 0
		.amdhsa_next_free_vgpr 1
		.amdhsa_next_free_sgpr 0
		.amdhsa_accum_offset 4
		.amdhsa_reserve_vcc 0
		.amdhsa_float_round_mode_32 0
		.amdhsa_float_round_mode_16_64 0
		.amdhsa_float_denorm_mode_32 3
		.amdhsa_float_denorm_mode_16_64 3
		.amdhsa_dx10_clamp 1
		.amdhsa_ieee_mode 1
		.amdhsa_fp16_overflow 0
		.amdhsa_tg_split 0
		.amdhsa_exception_fp_ieee_invalid_op 0
		.amdhsa_exception_fp_denorm_src 0
		.amdhsa_exception_fp_ieee_div_zero 0
		.amdhsa_exception_fp_ieee_overflow 0
		.amdhsa_exception_fp_ieee_underflow 0
		.amdhsa_exception_fp_ieee_inexact 0
		.amdhsa_exception_int_div_zero 0
	.end_amdhsa_kernel
	.section	.text._ZN7rocprim17ROCPRIM_400000_NS6detail17trampoline_kernelINS0_14default_configENS1_35radix_sort_onesweep_config_selectorIxxEEZZNS1_29radix_sort_onesweep_iterationIS3_Lb0EN6thrust23THRUST_200600_302600_NS6detail15normal_iteratorINS8_10device_ptrIxEEEESD_SD_SD_jNS0_19identity_decomposerENS1_16block_id_wrapperIjLb0EEEEE10hipError_tT1_PNSt15iterator_traitsISI_E10value_typeET2_T3_PNSJ_ISO_E10value_typeET4_T5_PST_SU_PNS1_23onesweep_lookback_stateEbbT6_jjT7_P12ihipStream_tbENKUlT_T0_SI_SN_E_clISD_SD_SD_SD_EEDaS11_S12_SI_SN_EUlS11_E_NS1_11comp_targetILNS1_3genE0ELNS1_11target_archE4294967295ELNS1_3gpuE0ELNS1_3repE0EEENS1_47radix_sort_onesweep_sort_config_static_selectorELNS0_4arch9wavefront6targetE1EEEvSI_,"axG",@progbits,_ZN7rocprim17ROCPRIM_400000_NS6detail17trampoline_kernelINS0_14default_configENS1_35radix_sort_onesweep_config_selectorIxxEEZZNS1_29radix_sort_onesweep_iterationIS3_Lb0EN6thrust23THRUST_200600_302600_NS6detail15normal_iteratorINS8_10device_ptrIxEEEESD_SD_SD_jNS0_19identity_decomposerENS1_16block_id_wrapperIjLb0EEEEE10hipError_tT1_PNSt15iterator_traitsISI_E10value_typeET2_T3_PNSJ_ISO_E10value_typeET4_T5_PST_SU_PNS1_23onesweep_lookback_stateEbbT6_jjT7_P12ihipStream_tbENKUlT_T0_SI_SN_E_clISD_SD_SD_SD_EEDaS11_S12_SI_SN_EUlS11_E_NS1_11comp_targetILNS1_3genE0ELNS1_11target_archE4294967295ELNS1_3gpuE0ELNS1_3repE0EEENS1_47radix_sort_onesweep_sort_config_static_selectorELNS0_4arch9wavefront6targetE1EEEvSI_,comdat
.Lfunc_end1224:
	.size	_ZN7rocprim17ROCPRIM_400000_NS6detail17trampoline_kernelINS0_14default_configENS1_35radix_sort_onesweep_config_selectorIxxEEZZNS1_29radix_sort_onesweep_iterationIS3_Lb0EN6thrust23THRUST_200600_302600_NS6detail15normal_iteratorINS8_10device_ptrIxEEEESD_SD_SD_jNS0_19identity_decomposerENS1_16block_id_wrapperIjLb0EEEEE10hipError_tT1_PNSt15iterator_traitsISI_E10value_typeET2_T3_PNSJ_ISO_E10value_typeET4_T5_PST_SU_PNS1_23onesweep_lookback_stateEbbT6_jjT7_P12ihipStream_tbENKUlT_T0_SI_SN_E_clISD_SD_SD_SD_EEDaS11_S12_SI_SN_EUlS11_E_NS1_11comp_targetILNS1_3genE0ELNS1_11target_archE4294967295ELNS1_3gpuE0ELNS1_3repE0EEENS1_47radix_sort_onesweep_sort_config_static_selectorELNS0_4arch9wavefront6targetE1EEEvSI_, .Lfunc_end1224-_ZN7rocprim17ROCPRIM_400000_NS6detail17trampoline_kernelINS0_14default_configENS1_35radix_sort_onesweep_config_selectorIxxEEZZNS1_29radix_sort_onesweep_iterationIS3_Lb0EN6thrust23THRUST_200600_302600_NS6detail15normal_iteratorINS8_10device_ptrIxEEEESD_SD_SD_jNS0_19identity_decomposerENS1_16block_id_wrapperIjLb0EEEEE10hipError_tT1_PNSt15iterator_traitsISI_E10value_typeET2_T3_PNSJ_ISO_E10value_typeET4_T5_PST_SU_PNS1_23onesweep_lookback_stateEbbT6_jjT7_P12ihipStream_tbENKUlT_T0_SI_SN_E_clISD_SD_SD_SD_EEDaS11_S12_SI_SN_EUlS11_E_NS1_11comp_targetILNS1_3genE0ELNS1_11target_archE4294967295ELNS1_3gpuE0ELNS1_3repE0EEENS1_47radix_sort_onesweep_sort_config_static_selectorELNS0_4arch9wavefront6targetE1EEEvSI_
                                        ; -- End function
	.set _ZN7rocprim17ROCPRIM_400000_NS6detail17trampoline_kernelINS0_14default_configENS1_35radix_sort_onesweep_config_selectorIxxEEZZNS1_29radix_sort_onesweep_iterationIS3_Lb0EN6thrust23THRUST_200600_302600_NS6detail15normal_iteratorINS8_10device_ptrIxEEEESD_SD_SD_jNS0_19identity_decomposerENS1_16block_id_wrapperIjLb0EEEEE10hipError_tT1_PNSt15iterator_traitsISI_E10value_typeET2_T3_PNSJ_ISO_E10value_typeET4_T5_PST_SU_PNS1_23onesweep_lookback_stateEbbT6_jjT7_P12ihipStream_tbENKUlT_T0_SI_SN_E_clISD_SD_SD_SD_EEDaS11_S12_SI_SN_EUlS11_E_NS1_11comp_targetILNS1_3genE0ELNS1_11target_archE4294967295ELNS1_3gpuE0ELNS1_3repE0EEENS1_47radix_sort_onesweep_sort_config_static_selectorELNS0_4arch9wavefront6targetE1EEEvSI_.num_vgpr, 0
	.set _ZN7rocprim17ROCPRIM_400000_NS6detail17trampoline_kernelINS0_14default_configENS1_35radix_sort_onesweep_config_selectorIxxEEZZNS1_29radix_sort_onesweep_iterationIS3_Lb0EN6thrust23THRUST_200600_302600_NS6detail15normal_iteratorINS8_10device_ptrIxEEEESD_SD_SD_jNS0_19identity_decomposerENS1_16block_id_wrapperIjLb0EEEEE10hipError_tT1_PNSt15iterator_traitsISI_E10value_typeET2_T3_PNSJ_ISO_E10value_typeET4_T5_PST_SU_PNS1_23onesweep_lookback_stateEbbT6_jjT7_P12ihipStream_tbENKUlT_T0_SI_SN_E_clISD_SD_SD_SD_EEDaS11_S12_SI_SN_EUlS11_E_NS1_11comp_targetILNS1_3genE0ELNS1_11target_archE4294967295ELNS1_3gpuE0ELNS1_3repE0EEENS1_47radix_sort_onesweep_sort_config_static_selectorELNS0_4arch9wavefront6targetE1EEEvSI_.num_agpr, 0
	.set _ZN7rocprim17ROCPRIM_400000_NS6detail17trampoline_kernelINS0_14default_configENS1_35radix_sort_onesweep_config_selectorIxxEEZZNS1_29radix_sort_onesweep_iterationIS3_Lb0EN6thrust23THRUST_200600_302600_NS6detail15normal_iteratorINS8_10device_ptrIxEEEESD_SD_SD_jNS0_19identity_decomposerENS1_16block_id_wrapperIjLb0EEEEE10hipError_tT1_PNSt15iterator_traitsISI_E10value_typeET2_T3_PNSJ_ISO_E10value_typeET4_T5_PST_SU_PNS1_23onesweep_lookback_stateEbbT6_jjT7_P12ihipStream_tbENKUlT_T0_SI_SN_E_clISD_SD_SD_SD_EEDaS11_S12_SI_SN_EUlS11_E_NS1_11comp_targetILNS1_3genE0ELNS1_11target_archE4294967295ELNS1_3gpuE0ELNS1_3repE0EEENS1_47radix_sort_onesweep_sort_config_static_selectorELNS0_4arch9wavefront6targetE1EEEvSI_.numbered_sgpr, 0
	.set _ZN7rocprim17ROCPRIM_400000_NS6detail17trampoline_kernelINS0_14default_configENS1_35radix_sort_onesweep_config_selectorIxxEEZZNS1_29radix_sort_onesweep_iterationIS3_Lb0EN6thrust23THRUST_200600_302600_NS6detail15normal_iteratorINS8_10device_ptrIxEEEESD_SD_SD_jNS0_19identity_decomposerENS1_16block_id_wrapperIjLb0EEEEE10hipError_tT1_PNSt15iterator_traitsISI_E10value_typeET2_T3_PNSJ_ISO_E10value_typeET4_T5_PST_SU_PNS1_23onesweep_lookback_stateEbbT6_jjT7_P12ihipStream_tbENKUlT_T0_SI_SN_E_clISD_SD_SD_SD_EEDaS11_S12_SI_SN_EUlS11_E_NS1_11comp_targetILNS1_3genE0ELNS1_11target_archE4294967295ELNS1_3gpuE0ELNS1_3repE0EEENS1_47radix_sort_onesweep_sort_config_static_selectorELNS0_4arch9wavefront6targetE1EEEvSI_.num_named_barrier, 0
	.set _ZN7rocprim17ROCPRIM_400000_NS6detail17trampoline_kernelINS0_14default_configENS1_35radix_sort_onesweep_config_selectorIxxEEZZNS1_29radix_sort_onesweep_iterationIS3_Lb0EN6thrust23THRUST_200600_302600_NS6detail15normal_iteratorINS8_10device_ptrIxEEEESD_SD_SD_jNS0_19identity_decomposerENS1_16block_id_wrapperIjLb0EEEEE10hipError_tT1_PNSt15iterator_traitsISI_E10value_typeET2_T3_PNSJ_ISO_E10value_typeET4_T5_PST_SU_PNS1_23onesweep_lookback_stateEbbT6_jjT7_P12ihipStream_tbENKUlT_T0_SI_SN_E_clISD_SD_SD_SD_EEDaS11_S12_SI_SN_EUlS11_E_NS1_11comp_targetILNS1_3genE0ELNS1_11target_archE4294967295ELNS1_3gpuE0ELNS1_3repE0EEENS1_47radix_sort_onesweep_sort_config_static_selectorELNS0_4arch9wavefront6targetE1EEEvSI_.private_seg_size, 0
	.set _ZN7rocprim17ROCPRIM_400000_NS6detail17trampoline_kernelINS0_14default_configENS1_35radix_sort_onesweep_config_selectorIxxEEZZNS1_29radix_sort_onesweep_iterationIS3_Lb0EN6thrust23THRUST_200600_302600_NS6detail15normal_iteratorINS8_10device_ptrIxEEEESD_SD_SD_jNS0_19identity_decomposerENS1_16block_id_wrapperIjLb0EEEEE10hipError_tT1_PNSt15iterator_traitsISI_E10value_typeET2_T3_PNSJ_ISO_E10value_typeET4_T5_PST_SU_PNS1_23onesweep_lookback_stateEbbT6_jjT7_P12ihipStream_tbENKUlT_T0_SI_SN_E_clISD_SD_SD_SD_EEDaS11_S12_SI_SN_EUlS11_E_NS1_11comp_targetILNS1_3genE0ELNS1_11target_archE4294967295ELNS1_3gpuE0ELNS1_3repE0EEENS1_47radix_sort_onesweep_sort_config_static_selectorELNS0_4arch9wavefront6targetE1EEEvSI_.uses_vcc, 0
	.set _ZN7rocprim17ROCPRIM_400000_NS6detail17trampoline_kernelINS0_14default_configENS1_35radix_sort_onesweep_config_selectorIxxEEZZNS1_29radix_sort_onesweep_iterationIS3_Lb0EN6thrust23THRUST_200600_302600_NS6detail15normal_iteratorINS8_10device_ptrIxEEEESD_SD_SD_jNS0_19identity_decomposerENS1_16block_id_wrapperIjLb0EEEEE10hipError_tT1_PNSt15iterator_traitsISI_E10value_typeET2_T3_PNSJ_ISO_E10value_typeET4_T5_PST_SU_PNS1_23onesweep_lookback_stateEbbT6_jjT7_P12ihipStream_tbENKUlT_T0_SI_SN_E_clISD_SD_SD_SD_EEDaS11_S12_SI_SN_EUlS11_E_NS1_11comp_targetILNS1_3genE0ELNS1_11target_archE4294967295ELNS1_3gpuE0ELNS1_3repE0EEENS1_47radix_sort_onesweep_sort_config_static_selectorELNS0_4arch9wavefront6targetE1EEEvSI_.uses_flat_scratch, 0
	.set _ZN7rocprim17ROCPRIM_400000_NS6detail17trampoline_kernelINS0_14default_configENS1_35radix_sort_onesweep_config_selectorIxxEEZZNS1_29radix_sort_onesweep_iterationIS3_Lb0EN6thrust23THRUST_200600_302600_NS6detail15normal_iteratorINS8_10device_ptrIxEEEESD_SD_SD_jNS0_19identity_decomposerENS1_16block_id_wrapperIjLb0EEEEE10hipError_tT1_PNSt15iterator_traitsISI_E10value_typeET2_T3_PNSJ_ISO_E10value_typeET4_T5_PST_SU_PNS1_23onesweep_lookback_stateEbbT6_jjT7_P12ihipStream_tbENKUlT_T0_SI_SN_E_clISD_SD_SD_SD_EEDaS11_S12_SI_SN_EUlS11_E_NS1_11comp_targetILNS1_3genE0ELNS1_11target_archE4294967295ELNS1_3gpuE0ELNS1_3repE0EEENS1_47radix_sort_onesweep_sort_config_static_selectorELNS0_4arch9wavefront6targetE1EEEvSI_.has_dyn_sized_stack, 0
	.set _ZN7rocprim17ROCPRIM_400000_NS6detail17trampoline_kernelINS0_14default_configENS1_35radix_sort_onesweep_config_selectorIxxEEZZNS1_29radix_sort_onesweep_iterationIS3_Lb0EN6thrust23THRUST_200600_302600_NS6detail15normal_iteratorINS8_10device_ptrIxEEEESD_SD_SD_jNS0_19identity_decomposerENS1_16block_id_wrapperIjLb0EEEEE10hipError_tT1_PNSt15iterator_traitsISI_E10value_typeET2_T3_PNSJ_ISO_E10value_typeET4_T5_PST_SU_PNS1_23onesweep_lookback_stateEbbT6_jjT7_P12ihipStream_tbENKUlT_T0_SI_SN_E_clISD_SD_SD_SD_EEDaS11_S12_SI_SN_EUlS11_E_NS1_11comp_targetILNS1_3genE0ELNS1_11target_archE4294967295ELNS1_3gpuE0ELNS1_3repE0EEENS1_47radix_sort_onesweep_sort_config_static_selectorELNS0_4arch9wavefront6targetE1EEEvSI_.has_recursion, 0
	.set _ZN7rocprim17ROCPRIM_400000_NS6detail17trampoline_kernelINS0_14default_configENS1_35radix_sort_onesweep_config_selectorIxxEEZZNS1_29radix_sort_onesweep_iterationIS3_Lb0EN6thrust23THRUST_200600_302600_NS6detail15normal_iteratorINS8_10device_ptrIxEEEESD_SD_SD_jNS0_19identity_decomposerENS1_16block_id_wrapperIjLb0EEEEE10hipError_tT1_PNSt15iterator_traitsISI_E10value_typeET2_T3_PNSJ_ISO_E10value_typeET4_T5_PST_SU_PNS1_23onesweep_lookback_stateEbbT6_jjT7_P12ihipStream_tbENKUlT_T0_SI_SN_E_clISD_SD_SD_SD_EEDaS11_S12_SI_SN_EUlS11_E_NS1_11comp_targetILNS1_3genE0ELNS1_11target_archE4294967295ELNS1_3gpuE0ELNS1_3repE0EEENS1_47radix_sort_onesweep_sort_config_static_selectorELNS0_4arch9wavefront6targetE1EEEvSI_.has_indirect_call, 0
	.section	.AMDGPU.csdata,"",@progbits
; Kernel info:
; codeLenInByte = 0
; TotalNumSgprs: 6
; NumVgprs: 0
; NumAgprs: 0
; TotalNumVgprs: 0
; ScratchSize: 0
; MemoryBound: 0
; FloatMode: 240
; IeeeMode: 1
; LDSByteSize: 0 bytes/workgroup (compile time only)
; SGPRBlocks: 0
; VGPRBlocks: 0
; NumSGPRsForWavesPerEU: 6
; NumVGPRsForWavesPerEU: 1
; AccumOffset: 4
; Occupancy: 8
; WaveLimiterHint : 0
; COMPUTE_PGM_RSRC2:SCRATCH_EN: 0
; COMPUTE_PGM_RSRC2:USER_SGPR: 2
; COMPUTE_PGM_RSRC2:TRAP_HANDLER: 0
; COMPUTE_PGM_RSRC2:TGID_X_EN: 1
; COMPUTE_PGM_RSRC2:TGID_Y_EN: 0
; COMPUTE_PGM_RSRC2:TGID_Z_EN: 0
; COMPUTE_PGM_RSRC2:TIDIG_COMP_CNT: 0
; COMPUTE_PGM_RSRC3_GFX90A:ACCUM_OFFSET: 0
; COMPUTE_PGM_RSRC3_GFX90A:TG_SPLIT: 0
	.section	.text._ZN7rocprim17ROCPRIM_400000_NS6detail17trampoline_kernelINS0_14default_configENS1_35radix_sort_onesweep_config_selectorIxxEEZZNS1_29radix_sort_onesweep_iterationIS3_Lb0EN6thrust23THRUST_200600_302600_NS6detail15normal_iteratorINS8_10device_ptrIxEEEESD_SD_SD_jNS0_19identity_decomposerENS1_16block_id_wrapperIjLb0EEEEE10hipError_tT1_PNSt15iterator_traitsISI_E10value_typeET2_T3_PNSJ_ISO_E10value_typeET4_T5_PST_SU_PNS1_23onesweep_lookback_stateEbbT6_jjT7_P12ihipStream_tbENKUlT_T0_SI_SN_E_clISD_SD_SD_SD_EEDaS11_S12_SI_SN_EUlS11_E_NS1_11comp_targetILNS1_3genE6ELNS1_11target_archE950ELNS1_3gpuE13ELNS1_3repE0EEENS1_47radix_sort_onesweep_sort_config_static_selectorELNS0_4arch9wavefront6targetE1EEEvSI_,"axG",@progbits,_ZN7rocprim17ROCPRIM_400000_NS6detail17trampoline_kernelINS0_14default_configENS1_35radix_sort_onesweep_config_selectorIxxEEZZNS1_29radix_sort_onesweep_iterationIS3_Lb0EN6thrust23THRUST_200600_302600_NS6detail15normal_iteratorINS8_10device_ptrIxEEEESD_SD_SD_jNS0_19identity_decomposerENS1_16block_id_wrapperIjLb0EEEEE10hipError_tT1_PNSt15iterator_traitsISI_E10value_typeET2_T3_PNSJ_ISO_E10value_typeET4_T5_PST_SU_PNS1_23onesweep_lookback_stateEbbT6_jjT7_P12ihipStream_tbENKUlT_T0_SI_SN_E_clISD_SD_SD_SD_EEDaS11_S12_SI_SN_EUlS11_E_NS1_11comp_targetILNS1_3genE6ELNS1_11target_archE950ELNS1_3gpuE13ELNS1_3repE0EEENS1_47radix_sort_onesweep_sort_config_static_selectorELNS0_4arch9wavefront6targetE1EEEvSI_,comdat
	.protected	_ZN7rocprim17ROCPRIM_400000_NS6detail17trampoline_kernelINS0_14default_configENS1_35radix_sort_onesweep_config_selectorIxxEEZZNS1_29radix_sort_onesweep_iterationIS3_Lb0EN6thrust23THRUST_200600_302600_NS6detail15normal_iteratorINS8_10device_ptrIxEEEESD_SD_SD_jNS0_19identity_decomposerENS1_16block_id_wrapperIjLb0EEEEE10hipError_tT1_PNSt15iterator_traitsISI_E10value_typeET2_T3_PNSJ_ISO_E10value_typeET4_T5_PST_SU_PNS1_23onesweep_lookback_stateEbbT6_jjT7_P12ihipStream_tbENKUlT_T0_SI_SN_E_clISD_SD_SD_SD_EEDaS11_S12_SI_SN_EUlS11_E_NS1_11comp_targetILNS1_3genE6ELNS1_11target_archE950ELNS1_3gpuE13ELNS1_3repE0EEENS1_47radix_sort_onesweep_sort_config_static_selectorELNS0_4arch9wavefront6targetE1EEEvSI_ ; -- Begin function _ZN7rocprim17ROCPRIM_400000_NS6detail17trampoline_kernelINS0_14default_configENS1_35radix_sort_onesweep_config_selectorIxxEEZZNS1_29radix_sort_onesweep_iterationIS3_Lb0EN6thrust23THRUST_200600_302600_NS6detail15normal_iteratorINS8_10device_ptrIxEEEESD_SD_SD_jNS0_19identity_decomposerENS1_16block_id_wrapperIjLb0EEEEE10hipError_tT1_PNSt15iterator_traitsISI_E10value_typeET2_T3_PNSJ_ISO_E10value_typeET4_T5_PST_SU_PNS1_23onesweep_lookback_stateEbbT6_jjT7_P12ihipStream_tbENKUlT_T0_SI_SN_E_clISD_SD_SD_SD_EEDaS11_S12_SI_SN_EUlS11_E_NS1_11comp_targetILNS1_3genE6ELNS1_11target_archE950ELNS1_3gpuE13ELNS1_3repE0EEENS1_47radix_sort_onesweep_sort_config_static_selectorELNS0_4arch9wavefront6targetE1EEEvSI_
	.globl	_ZN7rocprim17ROCPRIM_400000_NS6detail17trampoline_kernelINS0_14default_configENS1_35radix_sort_onesweep_config_selectorIxxEEZZNS1_29radix_sort_onesweep_iterationIS3_Lb0EN6thrust23THRUST_200600_302600_NS6detail15normal_iteratorINS8_10device_ptrIxEEEESD_SD_SD_jNS0_19identity_decomposerENS1_16block_id_wrapperIjLb0EEEEE10hipError_tT1_PNSt15iterator_traitsISI_E10value_typeET2_T3_PNSJ_ISO_E10value_typeET4_T5_PST_SU_PNS1_23onesweep_lookback_stateEbbT6_jjT7_P12ihipStream_tbENKUlT_T0_SI_SN_E_clISD_SD_SD_SD_EEDaS11_S12_SI_SN_EUlS11_E_NS1_11comp_targetILNS1_3genE6ELNS1_11target_archE950ELNS1_3gpuE13ELNS1_3repE0EEENS1_47radix_sort_onesweep_sort_config_static_selectorELNS0_4arch9wavefront6targetE1EEEvSI_
	.p2align	8
	.type	_ZN7rocprim17ROCPRIM_400000_NS6detail17trampoline_kernelINS0_14default_configENS1_35radix_sort_onesweep_config_selectorIxxEEZZNS1_29radix_sort_onesweep_iterationIS3_Lb0EN6thrust23THRUST_200600_302600_NS6detail15normal_iteratorINS8_10device_ptrIxEEEESD_SD_SD_jNS0_19identity_decomposerENS1_16block_id_wrapperIjLb0EEEEE10hipError_tT1_PNSt15iterator_traitsISI_E10value_typeET2_T3_PNSJ_ISO_E10value_typeET4_T5_PST_SU_PNS1_23onesweep_lookback_stateEbbT6_jjT7_P12ihipStream_tbENKUlT_T0_SI_SN_E_clISD_SD_SD_SD_EEDaS11_S12_SI_SN_EUlS11_E_NS1_11comp_targetILNS1_3genE6ELNS1_11target_archE950ELNS1_3gpuE13ELNS1_3repE0EEENS1_47radix_sort_onesweep_sort_config_static_selectorELNS0_4arch9wavefront6targetE1EEEvSI_,@function
_ZN7rocprim17ROCPRIM_400000_NS6detail17trampoline_kernelINS0_14default_configENS1_35radix_sort_onesweep_config_selectorIxxEEZZNS1_29radix_sort_onesweep_iterationIS3_Lb0EN6thrust23THRUST_200600_302600_NS6detail15normal_iteratorINS8_10device_ptrIxEEEESD_SD_SD_jNS0_19identity_decomposerENS1_16block_id_wrapperIjLb0EEEEE10hipError_tT1_PNSt15iterator_traitsISI_E10value_typeET2_T3_PNSJ_ISO_E10value_typeET4_T5_PST_SU_PNS1_23onesweep_lookback_stateEbbT6_jjT7_P12ihipStream_tbENKUlT_T0_SI_SN_E_clISD_SD_SD_SD_EEDaS11_S12_SI_SN_EUlS11_E_NS1_11comp_targetILNS1_3genE6ELNS1_11target_archE950ELNS1_3gpuE13ELNS1_3repE0EEENS1_47radix_sort_onesweep_sort_config_static_selectorELNS0_4arch9wavefront6targetE1EEEvSI_: ; @_ZN7rocprim17ROCPRIM_400000_NS6detail17trampoline_kernelINS0_14default_configENS1_35radix_sort_onesweep_config_selectorIxxEEZZNS1_29radix_sort_onesweep_iterationIS3_Lb0EN6thrust23THRUST_200600_302600_NS6detail15normal_iteratorINS8_10device_ptrIxEEEESD_SD_SD_jNS0_19identity_decomposerENS1_16block_id_wrapperIjLb0EEEEE10hipError_tT1_PNSt15iterator_traitsISI_E10value_typeET2_T3_PNSJ_ISO_E10value_typeET4_T5_PST_SU_PNS1_23onesweep_lookback_stateEbbT6_jjT7_P12ihipStream_tbENKUlT_T0_SI_SN_E_clISD_SD_SD_SD_EEDaS11_S12_SI_SN_EUlS11_E_NS1_11comp_targetILNS1_3genE6ELNS1_11target_archE950ELNS1_3gpuE13ELNS1_3repE0EEENS1_47radix_sort_onesweep_sort_config_static_selectorELNS0_4arch9wavefront6targetE1EEEvSI_
; %bb.0:
	s_load_dwordx4 s[52:55], s[2:3], 0x44
	s_load_dwordx8 s[40:47], s[2:3], 0x0
	s_load_dwordx4 s[48:51], s[2:3], 0x28
	s_load_dwordx2 s[38:39], s[2:3], 0x38
	v_and_b32_e32 v2, 0x3ff, v0
	v_bfe_u32 v3, v0, 10, 10
	v_bfe_u32 v28, v0, 20, 10
	s_mov_b64 s[6:7], -1
	s_waitcnt lgkmcnt(0)
	s_cmp_ge_u32 s4, s54
	v_mbcnt_lo_u32_b32 v30, -1, 0
	v_lshlrev_b32_e32 v29, 3, v2
	s_cbranch_scc0 .LBB1225_116
; %bb.1:
	s_load_dword s5, s[2:3], 0x20
	s_lshl_b32 s8, s54, 13
	s_lshl_b32 s6, s4, 13
	s_mov_b32 s7, 0
	s_lshl_b64 s[54:55], s[6:7], 3
	s_waitcnt lgkmcnt(0)
	s_sub_i32 s5, s5, s8
	v_mbcnt_hi_u32_b32 v26, -1, v30
	s_add_u32 s6, s40, s54
	v_and_b32_e32 v8, 63, v26
	s_addc_u32 s7, s41, s55
	v_and_b32_e32 v9, 0x1e00, v29
	v_mov_b32_e32 v1, 0
	v_lshlrev_b32_e32 v0, 3, v8
	v_lshl_add_u64 v[6:7], s[6:7], 0, v[0:1]
	v_lshlrev_b32_e32 v4, 3, v9
	v_mov_b32_e32 v5, v1
	v_or_b32_e32 v1, v8, v9
	v_lshl_add_u64 v[22:23], v[6:7], 0, v[4:5]
	v_cmp_gt_u32_e32 vcc, s5, v1
	v_mov_b64_e32 v[6:7], -1
	v_mov_b64_e32 v[8:9], -1
	s_and_saveexec_b64 s[6:7], vcc
	s_cbranch_execz .LBB1225_3
; %bb.2:
	global_load_dwordx2 v[8:9], v[22:23], off
	s_waitcnt vmcnt(0)
	v_xor_b32_e32 v9, 0x80000000, v9
.LBB1225_3:
	s_or_b64 exec, exec, s[6:7]
	v_or_b32_e32 v5, 64, v1
	v_cmp_gt_u32_e64 s[16:17], s5, v5
	s_and_saveexec_b64 s[6:7], s[16:17]
	s_cbranch_execz .LBB1225_5
; %bb.4:
	global_load_dwordx2 v[6:7], v[22:23], off offset:512
	s_waitcnt vmcnt(0)
	v_xor_b32_e32 v7, 0x80000000, v7
.LBB1225_5:
	s_or_b64 exec, exec, s[6:7]
	v_or_b32_e32 v5, 0x80, v1
	v_cmp_gt_u32_e64 s[26:27], s5, v5
	v_mov_b64_e32 v[10:11], -1
	v_mov_b64_e32 v[12:13], -1
	s_and_saveexec_b64 s[6:7], s[26:27]
	s_cbranch_execz .LBB1225_7
; %bb.6:
	global_load_dwordx2 v[12:13], v[22:23], off offset:1024
	s_waitcnt vmcnt(0)
	v_xor_b32_e32 v13, 0x80000000, v13
.LBB1225_7:
	s_or_b64 exec, exec, s[6:7]
	v_or_b32_e32 v5, 0xc0, v1
	v_cmp_gt_u32_e64 s[6:7], s5, v5
	s_and_saveexec_b64 s[8:9], s[6:7]
	s_cbranch_execz .LBB1225_9
; %bb.8:
	global_load_dwordx2 v[10:11], v[22:23], off offset:1536
	s_waitcnt vmcnt(0)
	v_xor_b32_e32 v11, 0x80000000, v11
.LBB1225_9:
	s_or_b64 exec, exec, s[8:9]
	v_or_b32_e32 v5, 0x100, v1
	v_cmp_gt_u32_e64 s[8:9], s5, v5
	v_mov_b64_e32 v[14:15], -1
	v_mov_b64_e32 v[16:17], -1
	s_and_saveexec_b64 s[10:11], s[8:9]
	s_cbranch_execz .LBB1225_11
; %bb.10:
	global_load_dwordx2 v[16:17], v[22:23], off offset:2048
	s_waitcnt vmcnt(0)
	v_xor_b32_e32 v17, 0x80000000, v17
.LBB1225_11:
	;; [unrolled: 22-line block ×3, first 2 shown]
	s_or_b64 exec, exec, s[14:15]
	v_or_b32_e32 v1, 0x1c0, v1
	v_cmp_gt_u32_e64 s[14:15], s5, v1
	s_and_saveexec_b64 s[18:19], s[14:15]
	s_cbranch_execz .LBB1225_17
; %bb.16:
	global_load_dwordx2 v[18:19], v[22:23], off offset:3584
	s_waitcnt vmcnt(0)
	v_xor_b32_e32 v19, 0x80000000, v19
.LBB1225_17:
	s_or_b64 exec, exec, s[18:19]
	s_load_dword s18, s[2:3], 0x64
	s_load_dword s33, s[2:3], 0x58
	s_add_u32 s19, s2, 0x58
	s_addc_u32 s20, s3, 0
	v_mov_b32_e32 v23, 0
	s_waitcnt lgkmcnt(0)
	s_lshr_b32 s21, s18, 16
	s_cmp_lt_u32 s4, s33
	s_cselect_b32 s18, 12, 18
	s_add_u32 s18, s19, s18
	s_addc_u32 s19, s20, 0
	global_load_ushort v1, v23, s[18:19]
	v_lshrrev_b64 v[24:25], s52, v[8:9]
	s_lshl_b32 s18, -1, s53
	v_bitop3_b32 v24, v24, s18, v24 bitop3:0x30
	s_movk_i32 s57, 0x44
	v_and_b32_e32 v22, 1, v24
	v_lshlrev_b32_e32 v33, 30, v24
	v_mov_b32_e32 v32, v23
	s_not_b32 s56, s18
	v_mul_lo_u32 v31, v24, s57
	v_lshlrev_b32_e32 v35, 29, v24
	v_lshlrev_b32_e32 v37, 28, v24
	;; [unrolled: 1-line block ×6, first 2 shown]
	v_lshl_add_u64 v[24:25], v[22:23], 0, -1
	v_cmp_ne_u32_e64 s[18:19], 0, v22
	v_not_b32_e32 v22, v33
	v_mov_b32_e32 v34, v23
	v_mov_b32_e32 v36, v23
	v_mad_u32_u24 v27, v28, s21, v3
	v_cmp_gt_i64_e64 s[20:21], 0, v[32:33]
	v_not_b32_e32 v32, v35
	v_xor_b32_e32 v25, s19, v25
	v_ashrrev_i32_e32 v22, 31, v22
	v_mov_b32_e32 v38, v23
	v_cmp_gt_i64_e64 s[22:23], 0, v[34:35]
	v_cmp_gt_i64_e64 s[24:25], 0, v[36:37]
	v_not_b32_e32 v33, v37
	v_xor_b32_e32 v24, s18, v24
	v_ashrrev_i32_e32 v32, 31, v32
	v_and_b32_e32 v25, exec_hi, v25
	v_xor_b32_e32 v37, s21, v22
	v_cmp_gt_i64_e64 s[28:29], 0, v[38:39]
	v_not_b32_e32 v34, v39
	v_ashrrev_i32_e32 v33, 31, v33
	v_and_b32_e32 v24, exec_lo, v24
	v_xor_b32_e32 v22, s20, v22
	v_xor_b32_e32 v38, s23, v32
	v_and_b32_e32 v25, v25, v37
	v_mov_b32_e32 v40, v23
	v_not_b32_e32 v35, v41
	v_ashrrev_i32_e32 v34, 31, v34
	v_xor_b32_e32 v39, s25, v33
	v_and_b32_e32 v22, v24, v22
	v_and_b32_e32 v24, v25, v38
	v_mov_b32_e32 v42, v23
	v_cmp_gt_i64_e64 s[30:31], 0, v[40:41]
	v_not_b32_e32 v36, v43
	v_ashrrev_i32_e32 v35, 31, v35
	v_xor_b32_e32 v32, s22, v32
	v_xor_b32_e32 v40, s29, v34
	v_and_b32_e32 v24, v24, v39
	v_cmp_gt_i64_e64 s[34:35], 0, v[42:43]
	v_ashrrev_i32_e32 v36, 31, v36
	v_xor_b32_e32 v33, s24, v33
	v_xor_b32_e32 v41, s31, v35
	v_and_b32_e32 v22, v22, v32
	v_and_b32_e32 v24, v24, v40
	v_xor_b32_e32 v34, s28, v34
	v_xor_b32_e32 v42, s35, v36
	v_and_b32_e32 v22, v22, v33
	v_and_b32_e32 v24, v24, v41
	v_mov_b32_e32 v44, v23
	v_xor_b32_e32 v35, s30, v35
	v_and_b32_e32 v22, v22, v34
	v_and_b32_e32 v32, v24, v42
	v_cmp_gt_i64_e64 s[36:37], 0, v[44:45]
	v_xor_b32_e32 v36, s34, v36
	v_and_b32_e32 v22, v22, v35
	v_and_b32_e32 v22, v22, v36
	v_mul_u32_u24_e32 v5, 20, v2
	ds_write2_b32 v5, v23, v23 offset0:16 offset1:17
	ds_write2_b32 v5, v23, v23 offset0:18 offset1:19
	ds_write_b32 v5, v23 offset:80
	s_waitcnt lgkmcnt(0)
	s_barrier
	s_waitcnt vmcnt(0)
	; wave barrier
	v_mad_u64_u32 v[24:25], s[18:19], v27, v1, v[2:3]
	v_not_b32_e32 v1, v45
	v_ashrrev_i32_e32 v1, 31, v1
	v_lshrrev_b32_e32 v40, 6, v24
	v_xor_b32_e32 v24, s37, v1
	v_xor_b32_e32 v1, s36, v1
	v_and_b32_e32 v25, v32, v24
	v_and_b32_e32 v24, v22, v1
	v_mbcnt_lo_u32_b32 v1, v24, 0
	v_lshl_add_u32 v27, v40, 2, v31
	v_mbcnt_hi_u32_b32 v31, v25, v1
	v_cmp_eq_u32_e64 s[18:19], 0, v31
	v_cmp_ne_u64_e64 s[20:21], 0, v[24:25]
	s_and_b64 s[20:21], s[20:21], s[18:19]
	s_and_saveexec_b64 s[18:19], s[20:21]
; %bb.18:
	v_bcnt_u32_b32 v1, v24, 0
	v_bcnt_u32_b32 v1, v25, v1
	ds_write_b32 v27, v1 offset:64
; %bb.19:
	s_or_b64 exec, exec, s[18:19]
	v_lshrrev_b64 v[24:25], s52, v[6:7]
	v_and_b32_e32 v32, s56, v24
	v_and_b32_e32 v22, 1, v32
	v_lshl_add_u64 v[24:25], v[22:23], 0, -1
	v_cmp_ne_u32_e64 s[18:19], 0, v22
	v_mul_lo_u32 v1, v32, s57
	v_lshl_add_u32 v34, v40, 2, v1
	v_xor_b32_e32 v24, s18, v24
	v_xor_b32_e32 v22, s19, v25
	v_and_b32_e32 v33, exec_lo, v24
	v_lshlrev_b32_e32 v25, 30, v32
	v_mov_b32_e32 v24, v23
	v_cmp_gt_i64_e64 s[18:19], 0, v[24:25]
	v_not_b32_e32 v24, v25
	v_ashrrev_i32_e32 v24, 31, v24
	v_and_b32_e32 v22, exec_hi, v22
	v_xor_b32_e32 v25, s19, v24
	v_xor_b32_e32 v24, s18, v24
	v_and_b32_e32 v22, v22, v25
	v_and_b32_e32 v33, v33, v24
	v_lshlrev_b32_e32 v25, 29, v32
	v_mov_b32_e32 v24, v23
	v_cmp_gt_i64_e64 s[18:19], 0, v[24:25]
	v_not_b32_e32 v24, v25
	v_ashrrev_i32_e32 v24, 31, v24
	v_xor_b32_e32 v25, s19, v24
	v_xor_b32_e32 v24, s18, v24
	v_and_b32_e32 v22, v22, v25
	v_and_b32_e32 v33, v33, v24
	v_lshlrev_b32_e32 v25, 28, v32
	v_mov_b32_e32 v24, v23
	v_cmp_gt_i64_e64 s[18:19], 0, v[24:25]
	v_not_b32_e32 v24, v25
	v_ashrrev_i32_e32 v24, 31, v24
	v_xor_b32_e32 v25, s19, v24
	v_xor_b32_e32 v24, s18, v24
	v_and_b32_e32 v22, v22, v25
	v_and_b32_e32 v33, v33, v24
	v_lshlrev_b32_e32 v25, 27, v32
	v_mov_b32_e32 v24, v23
	v_cmp_gt_i64_e64 s[18:19], 0, v[24:25]
	v_not_b32_e32 v24, v25
	v_ashrrev_i32_e32 v24, 31, v24
	v_xor_b32_e32 v25, s19, v24
	v_xor_b32_e32 v24, s18, v24
	v_and_b32_e32 v22, v22, v25
	v_and_b32_e32 v33, v33, v24
	v_lshlrev_b32_e32 v25, 26, v32
	v_mov_b32_e32 v24, v23
	v_cmp_gt_i64_e64 s[18:19], 0, v[24:25]
	v_not_b32_e32 v24, v25
	v_ashrrev_i32_e32 v24, 31, v24
	v_xor_b32_e32 v25, s19, v24
	v_xor_b32_e32 v24, s18, v24
	v_and_b32_e32 v22, v22, v25
	v_and_b32_e32 v33, v33, v24
	v_lshlrev_b32_e32 v25, 25, v32
	v_mov_b32_e32 v24, v23
	v_cmp_gt_i64_e64 s[18:19], 0, v[24:25]
	v_not_b32_e32 v24, v25
	v_ashrrev_i32_e32 v24, 31, v24
	v_xor_b32_e32 v25, s19, v24
	v_xor_b32_e32 v24, s18, v24
	v_and_b32_e32 v22, v22, v25
	v_lshlrev_b32_e32 v25, 24, v32
	v_and_b32_e32 v33, v33, v24
	v_mov_b32_e32 v24, v23
	v_not_b32_e32 v23, v25
	v_cmp_gt_i64_e64 s[18:19], 0, v[24:25]
	v_ashrrev_i32_e32 v23, 31, v23
	s_nop 0
	v_xor_b32_e32 v24, s19, v23
	v_xor_b32_e32 v25, s18, v23
	; wave barrier
	ds_read_b32 v1, v34 offset:64
	v_and_b32_e32 v23, v22, v24
	v_and_b32_e32 v22, v33, v25
	v_mbcnt_lo_u32_b32 v24, v22, 0
	v_mbcnt_hi_u32_b32 v32, v23, v24
	v_cmp_eq_u32_e64 s[18:19], 0, v32
	v_cmp_ne_u64_e64 s[20:21], 0, v[22:23]
	s_and_b64 s[20:21], s[20:21], s[18:19]
	; wave barrier
	s_and_saveexec_b64 s[18:19], s[20:21]
	s_cbranch_execz .LBB1225_21
; %bb.20:
	v_bcnt_u32_b32 v22, v22, 0
	v_bcnt_u32_b32 v22, v23, v22
	s_waitcnt lgkmcnt(0)
	v_add_u32_e32 v22, v1, v22
	ds_write_b32 v34, v22 offset:64
.LBB1225_21:
	s_or_b64 exec, exec, s[18:19]
	v_lshrrev_b64 v[22:23], s52, v[12:13]
	v_and_b32_e32 v35, s56, v22
	s_movk_i32 s22, 0x44
	v_mul_lo_u32 v22, v35, s22
	v_lshl_add_u32 v37, v40, 2, v22
	v_and_b32_e32 v22, 1, v35
	v_mov_b32_e32 v23, 0
	v_lshl_add_u64 v[24:25], v[22:23], 0, -1
	v_cmp_ne_u32_e64 s[18:19], 0, v22
	; wave barrier
	s_nop 1
	v_xor_b32_e32 v24, s18, v24
	v_xor_b32_e32 v22, s19, v25
	v_and_b32_e32 v36, exec_lo, v24
	v_lshlrev_b32_e32 v25, 30, v35
	v_mov_b32_e32 v24, v23
	v_cmp_gt_i64_e64 s[18:19], 0, v[24:25]
	v_not_b32_e32 v24, v25
	v_ashrrev_i32_e32 v24, 31, v24
	v_and_b32_e32 v22, exec_hi, v22
	v_xor_b32_e32 v25, s19, v24
	v_xor_b32_e32 v24, s18, v24
	v_and_b32_e32 v22, v22, v25
	v_and_b32_e32 v36, v36, v24
	v_lshlrev_b32_e32 v25, 29, v35
	v_mov_b32_e32 v24, v23
	v_cmp_gt_i64_e64 s[18:19], 0, v[24:25]
	v_not_b32_e32 v24, v25
	v_ashrrev_i32_e32 v24, 31, v24
	v_xor_b32_e32 v25, s19, v24
	v_xor_b32_e32 v24, s18, v24
	v_and_b32_e32 v22, v22, v25
	v_and_b32_e32 v36, v36, v24
	v_lshlrev_b32_e32 v25, 28, v35
	v_mov_b32_e32 v24, v23
	v_cmp_gt_i64_e64 s[18:19], 0, v[24:25]
	v_not_b32_e32 v24, v25
	v_ashrrev_i32_e32 v24, 31, v24
	v_xor_b32_e32 v25, s19, v24
	v_xor_b32_e32 v24, s18, v24
	v_and_b32_e32 v22, v22, v25
	v_and_b32_e32 v36, v36, v24
	v_lshlrev_b32_e32 v25, 27, v35
	v_mov_b32_e32 v24, v23
	v_cmp_gt_i64_e64 s[18:19], 0, v[24:25]
	v_not_b32_e32 v24, v25
	v_ashrrev_i32_e32 v24, 31, v24
	v_xor_b32_e32 v25, s19, v24
	v_xor_b32_e32 v24, s18, v24
	v_and_b32_e32 v22, v22, v25
	v_and_b32_e32 v36, v36, v24
	v_lshlrev_b32_e32 v25, 26, v35
	v_mov_b32_e32 v24, v23
	v_cmp_gt_i64_e64 s[18:19], 0, v[24:25]
	v_not_b32_e32 v24, v25
	v_ashrrev_i32_e32 v24, 31, v24
	v_xor_b32_e32 v25, s19, v24
	v_xor_b32_e32 v24, s18, v24
	v_and_b32_e32 v22, v22, v25
	v_and_b32_e32 v36, v36, v24
	v_lshlrev_b32_e32 v25, 25, v35
	v_mov_b32_e32 v24, v23
	v_cmp_gt_i64_e64 s[18:19], 0, v[24:25]
	v_not_b32_e32 v24, v25
	v_ashrrev_i32_e32 v24, 31, v24
	v_xor_b32_e32 v25, s19, v24
	v_xor_b32_e32 v24, s18, v24
	v_and_b32_e32 v22, v22, v25
	v_and_b32_e32 v36, v36, v24
	v_lshlrev_b32_e32 v25, 24, v35
	v_mov_b32_e32 v24, v23
	v_cmp_gt_i64_e64 s[18:19], 0, v[24:25]
	v_not_b32_e32 v24, v25
	v_ashrrev_i32_e32 v24, 31, v24
	v_xor_b32_e32 v25, s19, v24
	v_xor_b32_e32 v24, s18, v24
	ds_read_b32 v33, v37 offset:64
	v_and_b32_e32 v24, v36, v24
	v_and_b32_e32 v25, v22, v25
	v_mbcnt_lo_u32_b32 v22, v24, 0
	v_mbcnt_hi_u32_b32 v35, v25, v22
	v_cmp_eq_u32_e64 s[18:19], 0, v35
	v_cmp_ne_u64_e64 s[20:21], 0, v[24:25]
	s_and_b64 s[20:21], s[20:21], s[18:19]
	; wave barrier
	s_and_saveexec_b64 s[18:19], s[20:21]
	s_cbranch_execz .LBB1225_23
; %bb.22:
	v_bcnt_u32_b32 v22, v24, 0
	v_bcnt_u32_b32 v22, v25, v22
	s_waitcnt lgkmcnt(0)
	v_add_u32_e32 v22, v33, v22
	ds_write_b32 v37, v22 offset:64
.LBB1225_23:
	s_or_b64 exec, exec, s[18:19]
	v_lshrrev_b64 v[24:25], s52, v[10:11]
	v_and_b32_e32 v38, s56, v24
	v_mul_lo_u32 v22, v38, s22
	v_lshl_add_u32 v41, v40, 2, v22
	v_and_b32_e32 v22, 1, v38
	v_lshl_add_u64 v[24:25], v[22:23], 0, -1
	v_cmp_ne_u32_e64 s[18:19], 0, v22
	; wave barrier
	s_nop 1
	v_xor_b32_e32 v24, s18, v24
	v_xor_b32_e32 v22, s19, v25
	v_and_b32_e32 v39, exec_lo, v24
	v_lshlrev_b32_e32 v25, 30, v38
	v_mov_b32_e32 v24, v23
	v_cmp_gt_i64_e64 s[18:19], 0, v[24:25]
	v_not_b32_e32 v24, v25
	v_ashrrev_i32_e32 v24, 31, v24
	v_and_b32_e32 v22, exec_hi, v22
	v_xor_b32_e32 v25, s19, v24
	v_xor_b32_e32 v24, s18, v24
	v_and_b32_e32 v22, v22, v25
	v_and_b32_e32 v39, v39, v24
	v_lshlrev_b32_e32 v25, 29, v38
	v_mov_b32_e32 v24, v23
	v_cmp_gt_i64_e64 s[18:19], 0, v[24:25]
	v_not_b32_e32 v24, v25
	v_ashrrev_i32_e32 v24, 31, v24
	v_xor_b32_e32 v25, s19, v24
	v_xor_b32_e32 v24, s18, v24
	v_and_b32_e32 v22, v22, v25
	v_and_b32_e32 v39, v39, v24
	v_lshlrev_b32_e32 v25, 28, v38
	v_mov_b32_e32 v24, v23
	v_cmp_gt_i64_e64 s[18:19], 0, v[24:25]
	v_not_b32_e32 v24, v25
	v_ashrrev_i32_e32 v24, 31, v24
	;; [unrolled: 9-line block ×5, first 2 shown]
	v_xor_b32_e32 v25, s19, v24
	v_xor_b32_e32 v24, s18, v24
	v_and_b32_e32 v22, v22, v25
	v_lshlrev_b32_e32 v25, 24, v38
	v_and_b32_e32 v39, v39, v24
	v_mov_b32_e32 v24, v23
	v_not_b32_e32 v23, v25
	v_cmp_gt_i64_e64 s[18:19], 0, v[24:25]
	v_ashrrev_i32_e32 v23, 31, v23
	ds_read_b32 v36, v41 offset:64
	v_xor_b32_e32 v24, s19, v23
	v_xor_b32_e32 v25, s18, v23
	v_and_b32_e32 v23, v22, v24
	v_and_b32_e32 v22, v39, v25
	v_mbcnt_lo_u32_b32 v24, v22, 0
	v_mbcnt_hi_u32_b32 v38, v23, v24
	v_cmp_eq_u32_e64 s[18:19], 0, v38
	v_cmp_ne_u64_e64 s[20:21], 0, v[22:23]
	s_and_b64 s[20:21], s[20:21], s[18:19]
	; wave barrier
	s_and_saveexec_b64 s[18:19], s[20:21]
	s_cbranch_execz .LBB1225_25
; %bb.24:
	v_bcnt_u32_b32 v22, v22, 0
	v_bcnt_u32_b32 v22, v23, v22
	s_waitcnt lgkmcnt(0)
	v_add_u32_e32 v22, v36, v22
	ds_write_b32 v41, v22 offset:64
.LBB1225_25:
	s_or_b64 exec, exec, s[18:19]
	v_lshrrev_b64 v[22:23], s52, v[16:17]
	v_and_b32_e32 v42, s56, v22
	v_mul_lo_u32 v22, v42, s22
	v_lshl_add_u32 v44, v40, 2, v22
	v_and_b32_e32 v22, 1, v42
	v_mov_b32_e32 v23, 0
	v_lshl_add_u64 v[24:25], v[22:23], 0, -1
	v_cmp_ne_u32_e64 s[18:19], 0, v22
	; wave barrier
	s_nop 1
	v_xor_b32_e32 v24, s18, v24
	v_xor_b32_e32 v22, s19, v25
	v_and_b32_e32 v43, exec_lo, v24
	v_lshlrev_b32_e32 v25, 30, v42
	v_mov_b32_e32 v24, v23
	v_cmp_gt_i64_e64 s[18:19], 0, v[24:25]
	v_not_b32_e32 v24, v25
	v_ashrrev_i32_e32 v24, 31, v24
	v_and_b32_e32 v22, exec_hi, v22
	v_xor_b32_e32 v25, s19, v24
	v_xor_b32_e32 v24, s18, v24
	v_and_b32_e32 v22, v22, v25
	v_and_b32_e32 v43, v43, v24
	v_lshlrev_b32_e32 v25, 29, v42
	v_mov_b32_e32 v24, v23
	v_cmp_gt_i64_e64 s[18:19], 0, v[24:25]
	v_not_b32_e32 v24, v25
	v_ashrrev_i32_e32 v24, 31, v24
	v_xor_b32_e32 v25, s19, v24
	v_xor_b32_e32 v24, s18, v24
	v_and_b32_e32 v22, v22, v25
	v_and_b32_e32 v43, v43, v24
	v_lshlrev_b32_e32 v25, 28, v42
	v_mov_b32_e32 v24, v23
	v_cmp_gt_i64_e64 s[18:19], 0, v[24:25]
	v_not_b32_e32 v24, v25
	v_ashrrev_i32_e32 v24, 31, v24
	;; [unrolled: 9-line block ×6, first 2 shown]
	v_xor_b32_e32 v25, s19, v24
	v_xor_b32_e32 v24, s18, v24
	ds_read_b32 v39, v44 offset:64
	v_and_b32_e32 v24, v43, v24
	v_and_b32_e32 v25, v22, v25
	v_mbcnt_lo_u32_b32 v22, v24, 0
	v_mbcnt_hi_u32_b32 v42, v25, v22
	v_cmp_eq_u32_e64 s[18:19], 0, v42
	v_cmp_ne_u64_e64 s[20:21], 0, v[24:25]
	s_and_b64 s[20:21], s[20:21], s[18:19]
	; wave barrier
	s_and_saveexec_b64 s[18:19], s[20:21]
	s_cbranch_execz .LBB1225_27
; %bb.26:
	v_bcnt_u32_b32 v22, v24, 0
	v_bcnt_u32_b32 v22, v25, v22
	s_waitcnt lgkmcnt(0)
	v_add_u32_e32 v22, v39, v22
	ds_write_b32 v44, v22 offset:64
.LBB1225_27:
	s_or_b64 exec, exec, s[18:19]
	v_lshrrev_b64 v[24:25], s52, v[14:15]
	v_and_b32_e32 v45, s56, v24
	v_mul_lo_u32 v22, v45, s22
	v_lshl_add_u32 v47, v40, 2, v22
	v_and_b32_e32 v22, 1, v45
	v_lshl_add_u64 v[24:25], v[22:23], 0, -1
	v_cmp_ne_u32_e64 s[18:19], 0, v22
	; wave barrier
	s_nop 1
	v_xor_b32_e32 v24, s18, v24
	v_xor_b32_e32 v22, s19, v25
	v_and_b32_e32 v46, exec_lo, v24
	v_lshlrev_b32_e32 v25, 30, v45
	v_mov_b32_e32 v24, v23
	v_cmp_gt_i64_e64 s[18:19], 0, v[24:25]
	v_not_b32_e32 v24, v25
	v_ashrrev_i32_e32 v24, 31, v24
	v_and_b32_e32 v22, exec_hi, v22
	v_xor_b32_e32 v25, s19, v24
	v_xor_b32_e32 v24, s18, v24
	v_and_b32_e32 v22, v22, v25
	v_and_b32_e32 v46, v46, v24
	v_lshlrev_b32_e32 v25, 29, v45
	v_mov_b32_e32 v24, v23
	v_cmp_gt_i64_e64 s[18:19], 0, v[24:25]
	v_not_b32_e32 v24, v25
	v_ashrrev_i32_e32 v24, 31, v24
	v_xor_b32_e32 v25, s19, v24
	v_xor_b32_e32 v24, s18, v24
	v_and_b32_e32 v22, v22, v25
	v_and_b32_e32 v46, v46, v24
	v_lshlrev_b32_e32 v25, 28, v45
	v_mov_b32_e32 v24, v23
	v_cmp_gt_i64_e64 s[18:19], 0, v[24:25]
	v_not_b32_e32 v24, v25
	v_ashrrev_i32_e32 v24, 31, v24
	v_xor_b32_e32 v25, s19, v24
	v_xor_b32_e32 v24, s18, v24
	v_and_b32_e32 v22, v22, v25
	v_and_b32_e32 v46, v46, v24
	v_lshlrev_b32_e32 v25, 27, v45
	v_mov_b32_e32 v24, v23
	v_cmp_gt_i64_e64 s[18:19], 0, v[24:25]
	v_not_b32_e32 v24, v25
	v_ashrrev_i32_e32 v24, 31, v24
	v_xor_b32_e32 v25, s19, v24
	v_xor_b32_e32 v24, s18, v24
	v_and_b32_e32 v22, v22, v25
	v_and_b32_e32 v46, v46, v24
	v_lshlrev_b32_e32 v25, 26, v45
	v_mov_b32_e32 v24, v23
	v_cmp_gt_i64_e64 s[18:19], 0, v[24:25]
	v_not_b32_e32 v24, v25
	v_ashrrev_i32_e32 v24, 31, v24
	v_xor_b32_e32 v25, s19, v24
	v_xor_b32_e32 v24, s18, v24
	v_and_b32_e32 v22, v22, v25
	v_and_b32_e32 v46, v46, v24
	v_lshlrev_b32_e32 v25, 25, v45
	v_mov_b32_e32 v24, v23
	v_cmp_gt_i64_e64 s[18:19], 0, v[24:25]
	v_not_b32_e32 v24, v25
	v_ashrrev_i32_e32 v24, 31, v24
	v_xor_b32_e32 v25, s19, v24
	v_xor_b32_e32 v24, s18, v24
	v_and_b32_e32 v22, v22, v25
	v_lshlrev_b32_e32 v25, 24, v45
	v_and_b32_e32 v46, v46, v24
	v_mov_b32_e32 v24, v23
	v_not_b32_e32 v23, v25
	v_cmp_gt_i64_e64 s[18:19], 0, v[24:25]
	v_ashrrev_i32_e32 v23, 31, v23
	ds_read_b32 v43, v47 offset:64
	v_xor_b32_e32 v24, s19, v23
	v_xor_b32_e32 v25, s18, v23
	v_and_b32_e32 v23, v22, v24
	v_and_b32_e32 v22, v46, v25
	v_mbcnt_lo_u32_b32 v24, v22, 0
	v_mbcnt_hi_u32_b32 v45, v23, v24
	v_cmp_eq_u32_e64 s[18:19], 0, v45
	v_cmp_ne_u64_e64 s[20:21], 0, v[22:23]
	s_and_b64 s[20:21], s[20:21], s[18:19]
	; wave barrier
	s_and_saveexec_b64 s[18:19], s[20:21]
	s_cbranch_execz .LBB1225_29
; %bb.28:
	v_bcnt_u32_b32 v22, v22, 0
	v_bcnt_u32_b32 v22, v23, v22
	s_waitcnt lgkmcnt(0)
	v_add_u32_e32 v22, v43, v22
	ds_write_b32 v47, v22 offset:64
.LBB1225_29:
	s_or_b64 exec, exec, s[18:19]
	v_lshrrev_b64 v[22:23], s52, v[20:21]
	v_and_b32_e32 v48, s56, v22
	v_mul_lo_u32 v22, v48, s22
	v_lshl_add_u32 v50, v40, 2, v22
	v_and_b32_e32 v22, 1, v48
	v_mov_b32_e32 v23, 0
	v_lshl_add_u64 v[24:25], v[22:23], 0, -1
	v_cmp_ne_u32_e64 s[18:19], 0, v22
	; wave barrier
	s_nop 1
	v_xor_b32_e32 v24, s18, v24
	v_xor_b32_e32 v22, s19, v25
	v_and_b32_e32 v49, exec_lo, v24
	v_lshlrev_b32_e32 v25, 30, v48
	v_mov_b32_e32 v24, v23
	v_cmp_gt_i64_e64 s[18:19], 0, v[24:25]
	v_not_b32_e32 v24, v25
	v_ashrrev_i32_e32 v24, 31, v24
	v_and_b32_e32 v22, exec_hi, v22
	v_xor_b32_e32 v25, s19, v24
	v_xor_b32_e32 v24, s18, v24
	v_and_b32_e32 v22, v22, v25
	v_and_b32_e32 v49, v49, v24
	v_lshlrev_b32_e32 v25, 29, v48
	v_mov_b32_e32 v24, v23
	v_cmp_gt_i64_e64 s[18:19], 0, v[24:25]
	v_not_b32_e32 v24, v25
	v_ashrrev_i32_e32 v24, 31, v24
	v_xor_b32_e32 v25, s19, v24
	v_xor_b32_e32 v24, s18, v24
	v_and_b32_e32 v22, v22, v25
	v_and_b32_e32 v49, v49, v24
	v_lshlrev_b32_e32 v25, 28, v48
	v_mov_b32_e32 v24, v23
	v_cmp_gt_i64_e64 s[18:19], 0, v[24:25]
	v_not_b32_e32 v24, v25
	v_ashrrev_i32_e32 v24, 31, v24
	;; [unrolled: 9-line block ×6, first 2 shown]
	v_xor_b32_e32 v25, s19, v24
	v_xor_b32_e32 v24, s18, v24
	ds_read_b32 v46, v50 offset:64
	v_and_b32_e32 v24, v49, v24
	v_and_b32_e32 v25, v22, v25
	v_mbcnt_lo_u32_b32 v22, v24, 0
	v_mbcnt_hi_u32_b32 v48, v25, v22
	v_cmp_eq_u32_e64 s[18:19], 0, v48
	v_cmp_ne_u64_e64 s[20:21], 0, v[24:25]
	s_and_b64 s[20:21], s[20:21], s[18:19]
	; wave barrier
	s_and_saveexec_b64 s[18:19], s[20:21]
	s_cbranch_execz .LBB1225_31
; %bb.30:
	v_bcnt_u32_b32 v22, v24, 0
	v_bcnt_u32_b32 v22, v25, v22
	s_waitcnt lgkmcnt(0)
	v_add_u32_e32 v22, v46, v22
	ds_write_b32 v50, v22 offset:64
.LBB1225_31:
	s_or_b64 exec, exec, s[18:19]
	v_lshrrev_b64 v[24:25], s52, v[18:19]
	v_and_b32_e32 v51, s56, v24
	v_mul_lo_u32 v22, v51, s22
	v_lshl_add_u32 v40, v40, 2, v22
	v_and_b32_e32 v22, 1, v51
	v_lshl_add_u64 v[24:25], v[22:23], 0, -1
	v_cmp_ne_u32_e64 s[18:19], 0, v22
	; wave barrier
	s_nop 1
	v_xor_b32_e32 v24, s18, v24
	v_xor_b32_e32 v22, s19, v25
	v_and_b32_e32 v52, exec_lo, v24
	v_lshlrev_b32_e32 v25, 30, v51
	v_mov_b32_e32 v24, v23
	v_cmp_gt_i64_e64 s[18:19], 0, v[24:25]
	v_not_b32_e32 v24, v25
	v_ashrrev_i32_e32 v24, 31, v24
	v_and_b32_e32 v22, exec_hi, v22
	v_xor_b32_e32 v25, s19, v24
	v_xor_b32_e32 v24, s18, v24
	v_and_b32_e32 v22, v22, v25
	v_and_b32_e32 v52, v52, v24
	v_lshlrev_b32_e32 v25, 29, v51
	v_mov_b32_e32 v24, v23
	v_cmp_gt_i64_e64 s[18:19], 0, v[24:25]
	v_not_b32_e32 v24, v25
	v_ashrrev_i32_e32 v24, 31, v24
	v_xor_b32_e32 v25, s19, v24
	v_xor_b32_e32 v24, s18, v24
	v_and_b32_e32 v22, v22, v25
	v_and_b32_e32 v52, v52, v24
	v_lshlrev_b32_e32 v25, 28, v51
	v_mov_b32_e32 v24, v23
	v_cmp_gt_i64_e64 s[18:19], 0, v[24:25]
	v_not_b32_e32 v24, v25
	v_ashrrev_i32_e32 v24, 31, v24
	;; [unrolled: 9-line block ×5, first 2 shown]
	v_xor_b32_e32 v25, s19, v24
	v_xor_b32_e32 v24, s18, v24
	v_and_b32_e32 v22, v22, v25
	v_lshlrev_b32_e32 v25, 24, v51
	v_and_b32_e32 v52, v52, v24
	v_mov_b32_e32 v24, v23
	v_not_b32_e32 v23, v25
	v_cmp_gt_i64_e64 s[18:19], 0, v[24:25]
	v_ashrrev_i32_e32 v23, 31, v23
	ds_read_b32 v49, v40 offset:64
	v_xor_b32_e32 v24, s19, v23
	v_xor_b32_e32 v25, s18, v23
	v_and_b32_e32 v23, v22, v24
	v_and_b32_e32 v22, v52, v25
	v_mbcnt_lo_u32_b32 v24, v22, 0
	v_mbcnt_hi_u32_b32 v51, v23, v24
	v_cmp_eq_u32_e64 s[18:19], 0, v51
	v_cmp_ne_u64_e64 s[20:21], 0, v[22:23]
	s_and_b64 s[20:21], s[20:21], s[18:19]
	; wave barrier
	s_and_saveexec_b64 s[18:19], s[20:21]
	s_cbranch_execz .LBB1225_33
; %bb.32:
	v_bcnt_u32_b32 v22, v22, 0
	v_bcnt_u32_b32 v22, v23, v22
	s_waitcnt lgkmcnt(0)
	v_add_u32_e32 v22, v49, v22
	ds_write_b32 v40, v22 offset:64
.LBB1225_33:
	s_or_b64 exec, exec, s[18:19]
	; wave barrier
	s_waitcnt lgkmcnt(0)
	s_barrier
	ds_read2_b32 v[24:25], v5 offset0:16 offset1:17
	ds_read2_b32 v[22:23], v5 offset0:18 offset1:19
	ds_read_b32 v52, v5 offset:80
	v_cmp_lt_u32_e64 s[28:29], 31, v26
	s_waitcnt lgkmcnt(1)
	v_add3_u32 v53, v25, v24, v22
	s_waitcnt lgkmcnt(0)
	v_add3_u32 v52, v53, v23, v52
	v_and_b32_e32 v53, 15, v26
	v_cmp_eq_u32_e64 s[18:19], 0, v53
	v_mov_b32_dpp v54, v52 row_shr:1 row_mask:0xf bank_mask:0xf
	v_cmp_lt_u32_e64 s[20:21], 1, v53
	v_cndmask_b32_e64 v54, v54, 0, s[18:19]
	v_add_u32_e32 v52, v54, v52
	v_cmp_lt_u32_e64 s[22:23], 3, v53
	v_cmp_lt_u32_e64 s[24:25], 7, v53
	v_mov_b32_dpp v54, v52 row_shr:2 row_mask:0xf bank_mask:0xf
	v_cndmask_b32_e64 v54, 0, v54, s[20:21]
	v_add_u32_e32 v52, v52, v54
	s_nop 1
	v_mov_b32_dpp v54, v52 row_shr:4 row_mask:0xf bank_mask:0xf
	v_cndmask_b32_e64 v54, 0, v54, s[22:23]
	v_add_u32_e32 v52, v52, v54
	s_nop 1
	v_mov_b32_dpp v54, v52 row_shr:8 row_mask:0xf bank_mask:0xf
	v_cndmask_b32_e64 v53, 0, v54, s[24:25]
	v_add_u32_e32 v52, v52, v53
	v_bfe_i32 v54, v26, 4, 1
	s_nop 0
	v_mov_b32_dpp v53, v52 row_bcast:15 row_mask:0xf bank_mask:0xf
	v_and_b32_e32 v53, v54, v53
	v_add_u32_e32 v52, v52, v53
	v_and_b32_e32 v54, 63, v2
	s_nop 0
	v_mov_b32_dpp v53, v52 row_bcast:31 row_mask:0xf bank_mask:0xf
	v_cndmask_b32_e64 v53, 0, v53, s[28:29]
	v_add_u32_e32 v52, v52, v53
	v_lshrrev_b32_e32 v53, 6, v2
	v_cmp_eq_u32_e64 s[28:29], 63, v54
	s_and_saveexec_b64 s[30:31], s[28:29]
; %bb.34:
	v_lshlrev_b32_e32 v54, 2, v53
	ds_write_b32 v54, v52
; %bb.35:
	s_or_b64 exec, exec, s[30:31]
	v_cmp_gt_u32_e64 s[28:29], 16, v2
	s_waitcnt lgkmcnt(0)
	s_barrier
	s_and_saveexec_b64 s[30:31], s[28:29]
	s_cbranch_execz .LBB1225_37
; %bb.36:
	v_lshlrev_b32_e32 v54, 2, v2
	ds_read_b32 v55, v54
	s_waitcnt lgkmcnt(0)
	s_nop 0
	v_mov_b32_dpp v56, v55 row_shr:1 row_mask:0xf bank_mask:0xf
	v_cndmask_b32_e64 v56, v56, 0, s[18:19]
	v_add_u32_e32 v55, v56, v55
	s_nop 1
	v_mov_b32_dpp v56, v55 row_shr:2 row_mask:0xf bank_mask:0xf
	v_cndmask_b32_e64 v56, 0, v56, s[20:21]
	v_add_u32_e32 v55, v55, v56
	;; [unrolled: 4-line block ×4, first 2 shown]
	ds_write_b32 v54, v55
.LBB1225_37:
	s_or_b64 exec, exec, s[30:31]
	v_cmp_lt_u32_e64 s[18:19], 63, v2
	v_mov_b32_e32 v54, 0
	s_waitcnt lgkmcnt(0)
	s_barrier
	s_and_saveexec_b64 s[20:21], s[18:19]
; %bb.38:
	v_lshl_add_u32 v53, v53, 2, -4
	ds_read_b32 v54, v53
; %bb.39:
	s_or_b64 exec, exec, s[20:21]
	v_subrev_co_u32_e64 v53, s[18:19], 1, v26
	v_and_b32_e32 v55, 64, v26
	v_cmp_lt_i32_e64 s[20:21], v53, v55
	s_waitcnt lgkmcnt(0)
	v_add_u32_e32 v52, v54, v52
	s_movk_i32 s22, 0x100
	v_cndmask_b32_e64 v26, v53, v26, s[20:21]
	v_lshlrev_b32_e32 v26, 2, v26
	ds_bpermute_b32 v26, v26, v52
	v_cmp_gt_u32_e64 s[20:21], s22, v2
	s_waitcnt lgkmcnt(0)
	v_cndmask_b32_e64 v26, v26, v54, s[18:19]
	v_cmp_ne_u32_e64 s[18:19], 0, v2
	s_nop 1
	v_cndmask_b32_e64 v26, 0, v26, s[18:19]
	v_add_u32_e32 v24, v26, v24
	v_add_u32_e32 v25, v24, v25
	;; [unrolled: 1-line block ×4, first 2 shown]
	ds_write2_b32 v5, v26, v24 offset0:16 offset1:17
	ds_write2_b32 v5, v25, v22 offset0:18 offset1:19
	ds_write_b32 v5, v23 offset:80
	s_waitcnt lgkmcnt(0)
	s_barrier
	ds_read_b32 v55, v27 offset:64
	ds_read_b32 v5, v34 offset:64
	ds_read_b32 v52, v37 offset:64
	ds_read_b32 v53, v41 offset:64
	ds_read_b32 v54, v44 offset:64
	ds_read_b32 v47, v47 offset:64
	ds_read_b32 v41, v50 offset:64
	ds_read_b32 v44, v40 offset:64
	s_movk_i32 s18, 0xff
	v_cmp_lt_u32_e64 s[18:19], s18, v2
                                        ; implicit-def: $vgpr34
                                        ; implicit-def: $vgpr37
	s_and_saveexec_b64 s[24:25], s[20:21]
	s_cbranch_execz .LBB1225_43
; %bb.40:
	v_mul_u32_u24_e32 v22, 0x44, v2
	ds_read_b32 v34, v22 offset:64
	v_add_u32_e32 v23, 1, v2
	v_cmp_ne_u32_e64 s[22:23], s22, v23
	v_mov_b32_e32 v22, 0x2000
	s_and_saveexec_b64 s[28:29], s[22:23]
; %bb.41:
	v_mul_u32_u24_e32 v22, 0x44, v23
	ds_read_b32 v22, v22 offset:64
; %bb.42:
	s_or_b64 exec, exec, s[28:29]
	s_waitcnt lgkmcnt(0)
	v_sub_u32_e32 v37, v22, v34
.LBB1225_43:
	s_or_b64 exec, exec, s[24:25]
	v_mov_b32_e32 v23, 0
	v_lshlrev_b32_e32 v40, 2, v2
	s_waitcnt lgkmcnt(0)
	s_barrier
	s_and_saveexec_b64 s[22:23], s[20:21]
	s_cbranch_execz .LBB1225_53
; %bb.44:
	v_lshl_add_u32 v22, s4, 8, v2
	v_lshl_add_u64 v[24:25], v[22:23], 2, s[38:39]
	v_or_b32_e32 v22, 2.0, v37
	s_mov_b64 s[24:25], 0
	s_brev_b32 s34, -4
	s_mov_b32 s35, s4
	v_mov_b32_e32 v50, 0
	global_store_dword v[24:25], v22, off sc1
                                        ; implicit-def: $sgpr20_sgpr21
	s_branch .LBB1225_47
.LBB1225_45:                            ;   in Loop: Header=BB1225_47 Depth=1
	s_or_b64 exec, exec, s[30:31]
.LBB1225_46:                            ;   in Loop: Header=BB1225_47 Depth=1
	s_or_b64 exec, exec, s[28:29]
	v_and_b32_e32 v26, 0x3fffffff, v22
	v_add_u32_e32 v50, v26, v50
	v_cmp_gt_i32_e64 s[20:21], -2.0, v22
	s_and_b64 s[28:29], exec, s[20:21]
	s_or_b64 s[24:25], s[28:29], s[24:25]
	s_andn2_b64 exec, exec, s[24:25]
	s_cbranch_execz .LBB1225_52
.LBB1225_47:                            ; =>This Loop Header: Depth=1
                                        ;     Child Loop BB1225_50 Depth 2
	s_or_b64 s[20:21], s[20:21], exec
	s_cmp_eq_u32 s35, 0
	s_cbranch_scc1 .LBB1225_51
; %bb.48:                               ;   in Loop: Header=BB1225_47 Depth=1
	s_add_i32 s35, s35, -1
	v_lshl_or_b32 v22, s35, 8, v2
	v_lshl_add_u64 v[26:27], v[22:23], 2, s[38:39]
	global_load_dword v22, v[26:27], off sc1
	s_waitcnt vmcnt(0)
	v_cmp_gt_u32_e64 s[20:21], 2.0, v22
	s_and_saveexec_b64 s[28:29], s[20:21]
	s_cbranch_execz .LBB1225_46
; %bb.49:                               ;   in Loop: Header=BB1225_47 Depth=1
	s_mov_b64 s[30:31], 0
.LBB1225_50:                            ;   Parent Loop BB1225_47 Depth=1
                                        ; =>  This Inner Loop Header: Depth=2
	global_load_dword v22, v[26:27], off sc1
	s_waitcnt vmcnt(0)
	v_cmp_lt_u32_e64 s[20:21], s34, v22
	s_or_b64 s[30:31], s[20:21], s[30:31]
	s_andn2_b64 exec, exec, s[30:31]
	s_cbranch_execnz .LBB1225_50
	s_branch .LBB1225_45
.LBB1225_51:                            ;   in Loop: Header=BB1225_47 Depth=1
                                        ; implicit-def: $sgpr35
	s_and_b64 s[28:29], exec, s[20:21]
	s_or_b64 s[24:25], s[28:29], s[24:25]
	s_andn2_b64 exec, exec, s[24:25]
	s_cbranch_execnz .LBB1225_47
.LBB1225_52:
	s_or_b64 exec, exec, s[24:25]
	v_add_u32_e32 v22, v50, v37
	v_or_b32_e32 v22, 0x80000000, v22
	global_store_dword v[24:25], v22, off sc1
	global_load_dword v22, v40, s[48:49]
	v_sub_u32_e32 v23, v50, v34
	s_waitcnt vmcnt(0)
	v_add_u32_e32 v22, v23, v22
	ds_write_b32 v40, v22
.LBB1225_53:
	s_or_b64 exec, exec, s[22:23]
	s_load_dwordx2 s[20:21], s[0:1], 0x4
	v_add_u32_e32 v24, v55, v31
	v_add3_u32 v22, v32, v1, v5
	v_add3_u32 v23, v35, v33, v52
	;; [unrolled: 1-line block ×3, first 2 shown]
	s_waitcnt lgkmcnt(0)
	s_lshr_b32 s0, s20, 16
	s_mul_i32 s0, s0, s21
	v_mul_lo_u32 v25, s0, v2
	v_mul_u32_u24_e32 v27, s21, v3
	v_add3_u32 v25, v25, v27, v28
	v_mov_b32_e32 v27, 0x5050
	v_add3_u32 v55, v42, v39, v54
	v_add3_u32 v56, v45, v43, v47
	;; [unrolled: 1-line block ×4, first 2 shown]
	v_lshl_add_u32 v25, v25, 5, v27
	v_mov_b32_e32 v57, 0x400
	s_movk_i32 s22, 0x400
	v_lshl_add_u32 v26, v26, 3, v57
	v_add3_u32 v27, v51, v44, v49
	v_lshl_add_u32 v31, v31, 3, v57
	v_add3_u32 v41, v48, v41, v46
	;; [unrolled: 2-line block ×7, first 2 shown]
	v_lshl_add_u32 v46, v24, 3, v57
	s_mov_b32 s23, 0
	s_movk_i32 s24, 0x800
	v_add_u32_e32 v47, v40, v40
	v_mov_b32_e32 v23, 0
	v_mov_b32_e32 v1, v2
	;; [unrolled: 1-line block ×3, first 2 shown]
	s_mov_b32 s25, 0
	s_branch .LBB1225_55
.LBB1225_54:                            ;   in Loop: Header=BB1225_55 Depth=1
	s_or_b64 exec, exec, s[20:21]
	s_addk_i32 s25, 0xc000
	s_addk_i32 s23, 0xf800
	v_add_u32_e32 v5, 8, v5
	s_cmp_eq_u32 s25, 0xffff0000
	v_add_u32_e32 v1, 0x800, v1
	s_waitcnt lgkmcnt(0)
	s_barrier
	s_cbranch_scc1 .LBB1225_75
.LBB1225_55:                            ; =>This Inner Loop Header: Depth=1
	v_add_u32_e32 v22, s23, v24
	v_cmp_gt_u32_e64 s[0:1], s24, v22
	s_and_saveexec_b64 s[20:21], s[0:1]
; %bb.56:                               ;   in Loop: Header=BB1225_55 Depth=1
	v_add_u32_e32 v22, s25, v46
	ds_write_b64 v22, v[8:9]
; %bb.57:                               ;   in Loop: Header=BB1225_55 Depth=1
	s_or_b64 exec, exec, s[20:21]
	v_add_u32_e32 v22, s23, v32
	v_cmp_gt_u32_e64 s[0:1], s24, v22
	s_and_saveexec_b64 s[20:21], s[0:1]
; %bb.58:                               ;   in Loop: Header=BB1225_55 Depth=1
	v_add_u32_e32 v22, s25, v35
	ds_write_b64 v22, v[6:7]
; %bb.59:                               ;   in Loop: Header=BB1225_55 Depth=1
	s_or_b64 exec, exec, s[20:21]
	;; [unrolled: 8-line block ×8, first 2 shown]
	v_cmp_gt_u32_e64 s[0:1], s5, v1
	s_waitcnt lgkmcnt(0)
	s_barrier
	s_and_saveexec_b64 s[20:21], s[0:1]
	s_cbranch_execz .LBB1225_73
; %bb.72:                               ;   in Loop: Header=BB1225_55 Depth=1
	ds_read_b64 v[48:49], v47 offset:1024
	s_waitcnt lgkmcnt(0)
	v_lshrrev_b64 v[50:51], s52, v[48:49]
	v_and_b32_e32 v52, s56, v50
	v_lshlrev_b32_e32 v22, 2, v52
	ds_read_b32 v22, v22
	v_xor_b32_e32 v49, 0x80000000, v49
	ds_write_b32 v5, v52
	s_waitcnt lgkmcnt(1)
	v_add_u32_e32 v22, v1, v22
	v_lshl_add_u64 v[50:51], v[22:23], 3, s[42:43]
	global_store_dwordx2 v[50:51], v[48:49], off
.LBB1225_73:                            ;   in Loop: Header=BB1225_55 Depth=1
	s_or_b64 exec, exec, s[20:21]
	v_add_u32_e32 v22, 0x400, v1
	v_cmp_gt_u32_e64 s[0:1], s5, v22
	s_and_saveexec_b64 s[20:21], s[0:1]
	s_cbranch_execz .LBB1225_54
; %bb.74:                               ;   in Loop: Header=BB1225_55 Depth=1
	ds_read_b64 v[48:49], v47 offset:9216
	s_waitcnt lgkmcnt(0)
	v_lshrrev_b64 v[50:51], s52, v[48:49]
	v_and_b32_e32 v52, s56, v50
	v_lshlrev_b32_e32 v22, 2, v52
	ds_read_b32 v22, v22
	v_xor_b32_e32 v49, 0x80000000, v49
	ds_write_b32 v5, v52 offset:4
	s_waitcnt lgkmcnt(1)
	v_add3_u32 v22, v1, v22, s22
	v_lshl_add_u64 v[50:51], v[22:23], 3, s[42:43]
	global_store_dwordx2 v[50:51], v[48:49], off
	s_branch .LBB1225_54
.LBB1225_75:
	s_add_u32 s0, s44, s54
	s_addc_u32 s1, s45, s55
	v_mov_b32_e32 v1, 0
	v_lshl_add_u64 v[6:7], s[0:1], 0, v[0:1]
	v_mov_b32_e32 v5, v1
	v_lshl_add_u64 v[18:19], v[6:7], 0, v[4:5]
                                        ; implicit-def: $vgpr0_vgpr1
	s_and_saveexec_b64 s[0:1], vcc
	s_cbranch_execz .LBB1225_83
; %bb.76:
	global_load_dwordx2 v[0:1], v[18:19], off
	s_or_b64 exec, exec, s[0:1]
                                        ; implicit-def: $vgpr4_vgpr5
	s_and_saveexec_b64 s[0:1], s[16:17]
	s_cbranch_execnz .LBB1225_84
.LBB1225_77:
	s_or_b64 exec, exec, s[0:1]
                                        ; implicit-def: $vgpr6_vgpr7
	s_and_saveexec_b64 s[0:1], s[26:27]
	s_cbranch_execz .LBB1225_85
.LBB1225_78:
	global_load_dwordx2 v[6:7], v[18:19], off offset:1024
	s_or_b64 exec, exec, s[0:1]
                                        ; implicit-def: $vgpr8_vgpr9
	s_and_saveexec_b64 s[0:1], s[6:7]
	s_cbranch_execnz .LBB1225_86
.LBB1225_79:
	s_or_b64 exec, exec, s[0:1]
                                        ; implicit-def: $vgpr10_vgpr11
	s_and_saveexec_b64 s[0:1], s[8:9]
	s_cbranch_execz .LBB1225_87
.LBB1225_80:
	global_load_dwordx2 v[10:11], v[18:19], off offset:2048
	s_or_b64 exec, exec, s[0:1]
                                        ; implicit-def: $vgpr12_vgpr13
	s_and_saveexec_b64 s[0:1], s[10:11]
	s_cbranch_execnz .LBB1225_88
.LBB1225_81:
	s_or_b64 exec, exec, s[0:1]
                                        ; implicit-def: $vgpr14_vgpr15
	s_and_saveexec_b64 s[0:1], s[12:13]
	s_cbranch_execz .LBB1225_89
.LBB1225_82:
	global_load_dwordx2 v[14:15], v[18:19], off offset:3072
	s_or_b64 exec, exec, s[0:1]
                                        ; implicit-def: $vgpr16_vgpr17
	s_and_saveexec_b64 s[0:1], s[14:15]
	s_cbranch_execnz .LBB1225_90
	s_branch .LBB1225_91
.LBB1225_83:
	s_or_b64 exec, exec, s[0:1]
                                        ; implicit-def: $vgpr4_vgpr5
	s_and_saveexec_b64 s[0:1], s[16:17]
	s_cbranch_execz .LBB1225_77
.LBB1225_84:
	global_load_dwordx2 v[4:5], v[18:19], off offset:512
	s_or_b64 exec, exec, s[0:1]
                                        ; implicit-def: $vgpr6_vgpr7
	s_and_saveexec_b64 s[0:1], s[26:27]
	s_cbranch_execnz .LBB1225_78
.LBB1225_85:
	s_or_b64 exec, exec, s[0:1]
                                        ; implicit-def: $vgpr8_vgpr9
	s_and_saveexec_b64 s[0:1], s[6:7]
	s_cbranch_execz .LBB1225_79
.LBB1225_86:
	global_load_dwordx2 v[8:9], v[18:19], off offset:1536
	s_or_b64 exec, exec, s[0:1]
                                        ; implicit-def: $vgpr10_vgpr11
	s_and_saveexec_b64 s[0:1], s[8:9]
	s_cbranch_execnz .LBB1225_80
.LBB1225_87:
	s_or_b64 exec, exec, s[0:1]
                                        ; implicit-def: $vgpr12_vgpr13
	s_and_saveexec_b64 s[0:1], s[10:11]
	s_cbranch_execz .LBB1225_81
.LBB1225_88:
	global_load_dwordx2 v[12:13], v[18:19], off offset:2560
	s_or_b64 exec, exec, s[0:1]
                                        ; implicit-def: $vgpr14_vgpr15
	s_and_saveexec_b64 s[0:1], s[12:13]
	s_cbranch_execnz .LBB1225_82
.LBB1225_89:
	s_or_b64 exec, exec, s[0:1]
                                        ; implicit-def: $vgpr16_vgpr17
	s_and_saveexec_b64 s[0:1], s[14:15]
	s_cbranch_execz .LBB1225_91
.LBB1225_90:
	global_load_dwordx2 v[16:17], v[18:19], off offset:3584
.LBB1225_91:
	s_or_b64 exec, exec, s[0:1]
	s_mov_b32 s6, 0
	s_movk_i32 s7, 0x800
	v_mov_b32_e32 v19, 0
	s_movk_i32 s8, 0x400
	s_mov_b32 s9, 0
	v_mov_b32_e32 v20, v2
	s_waitcnt vmcnt(0)
	s_branch .LBB1225_93
.LBB1225_92:                            ;   in Loop: Header=BB1225_93 Depth=1
	s_or_b64 exec, exec, s[0:1]
	s_addk_i32 s9, 0xc000
	s_addk_i32 s6, 0xf800
	v_add_u32_e32 v20, 0x800, v20
	s_cmp_eq_u32 s9, 0xffff0000
	v_add_u32_e32 v25, 8, v25
	s_barrier
	s_cbranch_scc1 .LBB1225_113
.LBB1225_93:                            ; =>This Inner Loop Header: Depth=1
	v_add_u32_e32 v18, s6, v24
	v_cmp_gt_u32_e32 vcc, s7, v18
	s_and_saveexec_b64 s[0:1], vcc
; %bb.94:                               ;   in Loop: Header=BB1225_93 Depth=1
	v_add_u32_e32 v18, s9, v46
	ds_write_b64 v18, v[0:1]
; %bb.95:                               ;   in Loop: Header=BB1225_93 Depth=1
	s_or_b64 exec, exec, s[0:1]
	v_add_u32_e32 v18, s6, v32
	v_cmp_gt_u32_e32 vcc, s7, v18
	s_and_saveexec_b64 s[0:1], vcc
; %bb.96:                               ;   in Loop: Header=BB1225_93 Depth=1
	v_add_u32_e32 v18, s9, v35
	ds_write_b64 v18, v[4:5]
; %bb.97:                               ;   in Loop: Header=BB1225_93 Depth=1
	s_or_b64 exec, exec, s[0:1]
	;; [unrolled: 8-line block ×3, first 2 shown]
	v_add_u32_e32 v18, s6, v36
	v_cmp_gt_u32_e32 vcc, s7, v18
	s_and_saveexec_b64 s[0:1], vcc
; %bb.100:                              ;   in Loop: Header=BB1225_93 Depth=1
	v_add_u32_e32 v18, s9, v42
	ds_write_b64 v18, v[8:9]
; %bb.101:                              ;   in Loop: Header=BB1225_93 Depth=1
	s_or_b64 exec, exec, s[0:1]
	v_add_u32_e32 v18, s6, v39
	v_cmp_gt_u32_e32 vcc, s7, v18
	s_and_saveexec_b64 s[0:1], vcc
; %bb.102:                              ;   in Loop: Header=BB1225_93 Depth=1
	v_add_u32_e32 v18, s9, v45
	ds_write_b64 v18, v[10:11]
; %bb.103:                              ;   in Loop: Header=BB1225_93 Depth=1
	s_or_b64 exec, exec, s[0:1]
	;; [unrolled: 8-line block ×5, first 2 shown]
	v_cmp_gt_u32_e32 vcc, s5, v20
	s_waitcnt lgkmcnt(0)
	s_barrier
	s_and_saveexec_b64 s[0:1], vcc
	s_cbranch_execz .LBB1225_111
; %bb.110:                              ;   in Loop: Header=BB1225_93 Depth=1
	ds_read_b32 v18, v25
	s_waitcnt lgkmcnt(0)
	v_lshlrev_b32_e32 v18, 2, v18
	ds_read_b32 v18, v18
	ds_read_b64 v[22:23], v47 offset:1024
	s_waitcnt lgkmcnt(1)
	v_add_u32_e32 v18, v20, v18
	v_lshl_add_u64 v[48:49], v[18:19], 3, s[46:47]
	s_waitcnt lgkmcnt(0)
	global_store_dwordx2 v[48:49], v[22:23], off
.LBB1225_111:                           ;   in Loop: Header=BB1225_93 Depth=1
	s_or_b64 exec, exec, s[0:1]
	v_add_u32_e32 v18, 0x400, v20
	v_cmp_gt_u32_e32 vcc, s5, v18
	s_and_saveexec_b64 s[0:1], vcc
	s_cbranch_execz .LBB1225_92
; %bb.112:                              ;   in Loop: Header=BB1225_93 Depth=1
	ds_read_b32 v18, v25 offset:4
	s_waitcnt lgkmcnt(0)
	v_lshlrev_b32_e32 v18, 2, v18
	ds_read_b32 v18, v18
	ds_read_b64 v[22:23], v47 offset:9216
	s_waitcnt lgkmcnt(1)
	v_add3_u32 v18, v20, v18, s8
	v_lshl_add_u64 v[48:49], v[18:19], 3, s[46:47]
	s_waitcnt lgkmcnt(0)
	global_store_dwordx2 v[48:49], v[22:23], off
	s_branch .LBB1225_92
.LBB1225_113:
	s_add_i32 s33, s33, -1
	s_cmp_eq_u32 s4, s33
	s_cselect_b64 s[0:1], -1, 0
	s_xor_b64 s[6:7], s[18:19], -1
	s_and_b64 s[6:7], s[6:7], s[0:1]
	s_and_saveexec_b64 s[0:1], s[6:7]
	s_cbranch_execz .LBB1225_115
; %bb.114:
	ds_read_b32 v0, v40
	s_waitcnt lgkmcnt(0)
	v_add3_u32 v0, v34, v37, v0
	global_store_dword v40, v0, s[50:51]
.LBB1225_115:
	s_or_b64 exec, exec, s[0:1]
	s_mov_b64 s[6:7], 0
.LBB1225_116:
	s_and_b64 vcc, exec, s[6:7]
	s_cbranch_vccz .LBB1225_191
; %bb.117:
	s_lshl_b32 s0, s4, 13
	s_mov_b32 s1, 0
	s_lshl_b64 s[10:11], s[0:1], 3
	v_mbcnt_hi_u32_b32 v26, -1, v30
	s_add_u32 s0, s40, s10
	v_and_b32_e32 v0, 63, v26
	v_mov_b32_e32 v23, 0
	s_addc_u32 s1, s41, s11
	v_and_b32_e32 v4, 0x1e00, v29
	v_lshlrev_b32_e32 v0, 3, v0
	v_mov_b32_e32 v1, v23
	v_lshl_add_u64 v[6:7], s[0:1], 0, v[0:1]
	v_lshlrev_b32_e32 v4, 3, v4
	v_mov_b32_e32 v5, v23
	v_lshl_add_u64 v[24:25], v[6:7], 0, v[4:5]
	global_load_dwordx2 v[6:7], v[24:25], off
	s_load_dword s0, s[2:3], 0x64
	s_load_dword s5, s[2:3], 0x58
	s_add_u32 s1, s2, 0x58
	s_addc_u32 s2, s3, 0
	v_mul_u32_u24_e32 v1, 20, v2
	s_waitcnt lgkmcnt(0)
	s_lshr_b32 s3, s0, 16
	s_cmp_lt_u32 s4, s5
	s_cselect_b32 s0, 12, 18
	s_add_u32 s0, s1, s0
	s_addc_u32 s1, s2, 0
	global_load_ushort v5, v23, s[0:1]
	ds_write2_b32 v1, v23, v23 offset0:16 offset1:17
	ds_write2_b32 v1, v23, v23 offset0:18 offset1:19
	ds_write_b32 v1, v23 offset:80
	global_load_dwordx2 v[8:9], v[24:25], off offset:512
	global_load_dwordx2 v[10:11], v[24:25], off offset:1024
	;; [unrolled: 1-line block ×7, first 2 shown]
	s_lshl_b32 s0, -1, s53
	v_mad_u32_u24 v3, v28, s3, v3
	v_mov_b32_e32 v30, v23
	s_not_b32 s14, s0
	v_mov_b32_e32 v32, v23
	v_mov_b32_e32 v34, v23
	;; [unrolled: 1-line block ×4, first 2 shown]
	s_movk_i32 s12, 0x44
	s_waitcnt lgkmcnt(0)
	s_barrier
	s_waitcnt vmcnt(8)
	; wave barrier
	v_xor_b32_e32 v7, 0x80000000, v7
	v_lshrrev_b64 v[24:25], s52, v[6:7]
	v_bitop3_b32 v40, v24, s0, v24 bitop3:0x30
	v_and_b32_e32 v22, 1, v40
	v_lshlrev_b32_e32 v31, 30, v40
	v_lshlrev_b32_e32 v33, 29, v40
	v_lshl_add_u64 v[28:29], v[22:23], 0, -1
	v_cmp_ne_u32_e32 vcc, 0, v22
	v_lshlrev_b32_e32 v35, 28, v40
	v_cmp_gt_i64_e64 s[2:3], 0, v[32:33]
	s_waitcnt vmcnt(7)
	v_mad_u64_u32 v[24:25], s[0:1], v3, v5, v[2:3]
	v_not_b32_e32 v3, v31
	v_cmp_gt_i64_e64 s[0:1], 0, v[30:31]
	v_not_b32_e32 v5, v33
	v_xor_b32_e32 v28, vcc_lo, v28
	v_ashrrev_i32_e32 v3, 31, v3
	v_cmp_gt_i64_e64 s[6:7], 0, v[34:35]
	v_not_b32_e32 v22, v35
	v_lshrrev_b32_e32 v34, 6, v24
	v_xor_b32_e32 v24, vcc_hi, v29
	v_ashrrev_i32_e32 v5, 31, v5
	v_and_b32_e32 v28, exec_lo, v28
	v_xor_b32_e32 v29, s1, v3
	v_xor_b32_e32 v3, s0, v3
	v_lshlrev_b32_e32 v37, 27, v40
	v_ashrrev_i32_e32 v22, 31, v22
	v_and_b32_e32 v24, exec_hi, v24
	v_xor_b32_e32 v30, s3, v5
	v_xor_b32_e32 v5, s2, v5
	v_and_b32_e32 v3, v28, v3
	v_lshlrev_b32_e32 v39, 26, v40
	v_not_b32_e32 v25, v37
	v_xor_b32_e32 v31, s7, v22
	v_xor_b32_e32 v22, s6, v22
	v_and_b32_e32 v24, v24, v29
	v_and_b32_e32 v3, v3, v5
	v_cmp_gt_i64_e64 s[8:9], 0, v[36:37]
	v_ashrrev_i32_e32 v25, 31, v25
	v_and_b32_e32 v24, v24, v30
	v_and_b32_e32 v3, v3, v22
	v_not_b32_e32 v22, v39
	v_xor_b32_e32 v32, s9, v25
	v_xor_b32_e32 v25, s8, v25
	v_and_b32_e32 v5, v24, v31
	v_cmp_gt_i64_e32 vcc, 0, v[38:39]
	v_ashrrev_i32_e32 v22, 31, v22
	v_and_b32_e32 v5, v5, v32
	v_and_b32_e32 v3, v3, v25
	v_xor_b32_e32 v24, vcc_hi, v22
	v_xor_b32_e32 v22, vcc_lo, v22
	v_lshlrev_b32_e32 v25, 25, v40
	v_and_b32_e32 v5, v5, v24
	v_and_b32_e32 v3, v3, v22
	v_mov_b32_e32 v24, v23
	v_not_b32_e32 v22, v25
	v_cmp_gt_i64_e32 vcc, 0, v[24:25]
	v_ashrrev_i32_e32 v22, 31, v22
	v_lshlrev_b32_e32 v25, 24, v40
	v_xor_b32_e32 v24, vcc_hi, v22
	v_xor_b32_e32 v22, vcc_lo, v22
	v_and_b32_e32 v5, v5, v24
	v_and_b32_e32 v3, v3, v22
	v_mov_b32_e32 v24, v23
	v_not_b32_e32 v22, v25
	v_cmp_gt_i64_e32 vcc, 0, v[24:25]
	v_ashrrev_i32_e32 v22, 31, v22
	v_mul_lo_u32 v27, v40, s12
	v_xor_b32_e32 v24, vcc_hi, v22
	v_xor_b32_e32 v22, vcc_lo, v22
	v_and_b32_e32 v25, v5, v24
	v_and_b32_e32 v24, v3, v22
	v_mbcnt_lo_u32_b32 v3, v24, 0
	v_mbcnt_hi_u32_b32 v5, v25, v3
	v_cmp_eq_u32_e32 vcc, 0, v5
	v_cmp_ne_u64_e64 s[0:1], 0, v[24:25]
	v_lshl_add_u32 v27, v34, 2, v27
	s_and_b64 s[2:3], s[0:1], vcc
	s_and_saveexec_b64 s[0:1], s[2:3]
; %bb.118:
	v_bcnt_u32_b32 v3, v24, 0
	v_bcnt_u32_b32 v3, v25, v3
	ds_write_b32 v27, v3 offset:64
; %bb.119:
	s_or_b64 exec, exec, s[0:1]
	s_waitcnt vmcnt(6)
	v_xor_b32_e32 v9, 0x80000000, v9
	v_lshrrev_b64 v[24:25], s52, v[8:9]
	v_and_b32_e32 v28, s14, v24
	v_and_b32_e32 v22, 1, v28
	v_lshl_add_u64 v[24:25], v[22:23], 0, -1
	v_cmp_ne_u32_e32 vcc, 0, v22
	v_mul_lo_u32 v3, v28, s12
	v_lshl_add_u32 v30, v34, 2, v3
	v_xor_b32_e32 v24, vcc_lo, v24
	v_xor_b32_e32 v22, vcc_hi, v25
	v_and_b32_e32 v29, exec_lo, v24
	v_lshlrev_b32_e32 v25, 30, v28
	v_mov_b32_e32 v24, v23
	v_cmp_gt_i64_e32 vcc, 0, v[24:25]
	v_not_b32_e32 v24, v25
	v_ashrrev_i32_e32 v24, 31, v24
	v_and_b32_e32 v22, exec_hi, v22
	v_xor_b32_e32 v25, vcc_hi, v24
	v_xor_b32_e32 v24, vcc_lo, v24
	v_and_b32_e32 v22, v22, v25
	v_and_b32_e32 v29, v29, v24
	v_lshlrev_b32_e32 v25, 29, v28
	v_mov_b32_e32 v24, v23
	v_cmp_gt_i64_e32 vcc, 0, v[24:25]
	v_not_b32_e32 v24, v25
	v_ashrrev_i32_e32 v24, 31, v24
	v_xor_b32_e32 v25, vcc_hi, v24
	v_xor_b32_e32 v24, vcc_lo, v24
	v_and_b32_e32 v22, v22, v25
	v_and_b32_e32 v29, v29, v24
	v_lshlrev_b32_e32 v25, 28, v28
	v_mov_b32_e32 v24, v23
	v_cmp_gt_i64_e32 vcc, 0, v[24:25]
	v_not_b32_e32 v24, v25
	v_ashrrev_i32_e32 v24, 31, v24
	;; [unrolled: 9-line block ×5, first 2 shown]
	v_xor_b32_e32 v25, vcc_hi, v24
	v_xor_b32_e32 v24, vcc_lo, v24
	v_and_b32_e32 v22, v22, v25
	v_lshlrev_b32_e32 v25, 24, v28
	v_and_b32_e32 v29, v29, v24
	v_mov_b32_e32 v24, v23
	v_not_b32_e32 v23, v25
	v_cmp_gt_i64_e32 vcc, 0, v[24:25]
	v_ashrrev_i32_e32 v23, 31, v23
	s_nop 0
	v_xor_b32_e32 v24, vcc_hi, v23
	v_xor_b32_e32 v25, vcc_lo, v23
	; wave barrier
	ds_read_b32 v3, v30 offset:64
	v_and_b32_e32 v23, v22, v24
	v_and_b32_e32 v22, v29, v25
	v_mbcnt_lo_u32_b32 v24, v22, 0
	v_mbcnt_hi_u32_b32 v28, v23, v24
	v_cmp_eq_u32_e32 vcc, 0, v28
	v_cmp_ne_u64_e64 s[0:1], 0, v[22:23]
	s_and_b64 s[2:3], s[0:1], vcc
	; wave barrier
	s_and_saveexec_b64 s[0:1], s[2:3]
	s_cbranch_execz .LBB1225_121
; %bb.120:
	v_bcnt_u32_b32 v22, v22, 0
	v_bcnt_u32_b32 v22, v23, v22
	s_waitcnt lgkmcnt(0)
	v_add_u32_e32 v22, v3, v22
	ds_write_b32 v30, v22 offset:64
.LBB1225_121:
	s_or_b64 exec, exec, s[0:1]
	s_waitcnt vmcnt(5)
	v_xor_b32_e32 v11, 0x80000000, v11
	v_lshrrev_b64 v[22:23], s52, v[10:11]
	v_and_b32_e32 v31, s14, v22
	s_movk_i32 s2, 0x44
	v_mul_lo_u32 v22, v31, s2
	v_lshl_add_u32 v33, v34, 2, v22
	v_and_b32_e32 v22, 1, v31
	v_mov_b32_e32 v23, 0
	v_lshl_add_u64 v[24:25], v[22:23], 0, -1
	v_cmp_ne_u32_e32 vcc, 0, v22
	; wave barrier
	s_nop 1
	v_xor_b32_e32 v24, vcc_lo, v24
	v_xor_b32_e32 v22, vcc_hi, v25
	v_and_b32_e32 v32, exec_lo, v24
	v_lshlrev_b32_e32 v25, 30, v31
	v_mov_b32_e32 v24, v23
	v_cmp_gt_i64_e32 vcc, 0, v[24:25]
	v_not_b32_e32 v24, v25
	v_ashrrev_i32_e32 v24, 31, v24
	v_and_b32_e32 v22, exec_hi, v22
	v_xor_b32_e32 v25, vcc_hi, v24
	v_xor_b32_e32 v24, vcc_lo, v24
	v_and_b32_e32 v22, v22, v25
	v_and_b32_e32 v32, v32, v24
	v_lshlrev_b32_e32 v25, 29, v31
	v_mov_b32_e32 v24, v23
	v_cmp_gt_i64_e32 vcc, 0, v[24:25]
	v_not_b32_e32 v24, v25
	v_ashrrev_i32_e32 v24, 31, v24
	v_xor_b32_e32 v25, vcc_hi, v24
	v_xor_b32_e32 v24, vcc_lo, v24
	v_and_b32_e32 v22, v22, v25
	v_and_b32_e32 v32, v32, v24
	v_lshlrev_b32_e32 v25, 28, v31
	v_mov_b32_e32 v24, v23
	v_cmp_gt_i64_e32 vcc, 0, v[24:25]
	v_not_b32_e32 v24, v25
	v_ashrrev_i32_e32 v24, 31, v24
	;; [unrolled: 9-line block ×6, first 2 shown]
	v_xor_b32_e32 v25, vcc_hi, v24
	v_xor_b32_e32 v24, vcc_lo, v24
	ds_read_b32 v29, v33 offset:64
	v_and_b32_e32 v24, v32, v24
	v_and_b32_e32 v25, v22, v25
	v_mbcnt_lo_u32_b32 v22, v24, 0
	v_mbcnt_hi_u32_b32 v31, v25, v22
	v_cmp_eq_u32_e32 vcc, 0, v31
	v_cmp_ne_u64_e64 s[0:1], 0, v[24:25]
	s_and_b64 s[6:7], s[0:1], vcc
	; wave barrier
	s_and_saveexec_b64 s[0:1], s[6:7]
	s_cbranch_execz .LBB1225_123
; %bb.122:
	v_bcnt_u32_b32 v22, v24, 0
	v_bcnt_u32_b32 v22, v25, v22
	s_waitcnt lgkmcnt(0)
	v_add_u32_e32 v22, v29, v22
	ds_write_b32 v33, v22 offset:64
.LBB1225_123:
	s_or_b64 exec, exec, s[0:1]
	s_waitcnt vmcnt(4)
	v_xor_b32_e32 v13, 0x80000000, v13
	v_lshrrev_b64 v[24:25], s52, v[12:13]
	v_and_b32_e32 v35, s14, v24
	v_mul_lo_u32 v22, v35, s2
	v_lshl_add_u32 v37, v34, 2, v22
	v_and_b32_e32 v22, 1, v35
	v_lshl_add_u64 v[24:25], v[22:23], 0, -1
	v_cmp_ne_u32_e32 vcc, 0, v22
	; wave barrier
	s_nop 1
	v_xor_b32_e32 v24, vcc_lo, v24
	v_xor_b32_e32 v22, vcc_hi, v25
	v_and_b32_e32 v36, exec_lo, v24
	v_lshlrev_b32_e32 v25, 30, v35
	v_mov_b32_e32 v24, v23
	v_cmp_gt_i64_e32 vcc, 0, v[24:25]
	v_not_b32_e32 v24, v25
	v_ashrrev_i32_e32 v24, 31, v24
	v_and_b32_e32 v22, exec_hi, v22
	v_xor_b32_e32 v25, vcc_hi, v24
	v_xor_b32_e32 v24, vcc_lo, v24
	v_and_b32_e32 v22, v22, v25
	v_and_b32_e32 v36, v36, v24
	v_lshlrev_b32_e32 v25, 29, v35
	v_mov_b32_e32 v24, v23
	v_cmp_gt_i64_e32 vcc, 0, v[24:25]
	v_not_b32_e32 v24, v25
	v_ashrrev_i32_e32 v24, 31, v24
	v_xor_b32_e32 v25, vcc_hi, v24
	v_xor_b32_e32 v24, vcc_lo, v24
	v_and_b32_e32 v22, v22, v25
	v_and_b32_e32 v36, v36, v24
	v_lshlrev_b32_e32 v25, 28, v35
	v_mov_b32_e32 v24, v23
	v_cmp_gt_i64_e32 vcc, 0, v[24:25]
	v_not_b32_e32 v24, v25
	v_ashrrev_i32_e32 v24, 31, v24
	;; [unrolled: 9-line block ×5, first 2 shown]
	v_xor_b32_e32 v25, vcc_hi, v24
	v_xor_b32_e32 v24, vcc_lo, v24
	v_and_b32_e32 v22, v22, v25
	v_lshlrev_b32_e32 v25, 24, v35
	v_and_b32_e32 v36, v36, v24
	v_mov_b32_e32 v24, v23
	v_not_b32_e32 v23, v25
	v_cmp_gt_i64_e32 vcc, 0, v[24:25]
	v_ashrrev_i32_e32 v23, 31, v23
	ds_read_b32 v32, v37 offset:64
	v_xor_b32_e32 v24, vcc_hi, v23
	v_xor_b32_e32 v25, vcc_lo, v23
	v_and_b32_e32 v23, v22, v24
	v_and_b32_e32 v22, v36, v25
	v_mbcnt_lo_u32_b32 v24, v22, 0
	v_mbcnt_hi_u32_b32 v35, v23, v24
	v_cmp_eq_u32_e32 vcc, 0, v35
	v_cmp_ne_u64_e64 s[0:1], 0, v[22:23]
	s_and_b64 s[2:3], s[0:1], vcc
	; wave barrier
	s_and_saveexec_b64 s[0:1], s[2:3]
	s_cbranch_execz .LBB1225_125
; %bb.124:
	v_bcnt_u32_b32 v22, v22, 0
	v_bcnt_u32_b32 v22, v23, v22
	s_waitcnt lgkmcnt(0)
	v_add_u32_e32 v22, v32, v22
	ds_write_b32 v37, v22 offset:64
.LBB1225_125:
	s_or_b64 exec, exec, s[0:1]
	s_waitcnt vmcnt(3)
	v_xor_b32_e32 v15, 0x80000000, v15
	v_lshrrev_b64 v[22:23], s52, v[14:15]
	v_and_b32_e32 v38, s14, v22
	s_movk_i32 s2, 0x44
	v_mul_lo_u32 v22, v38, s2
	v_lshl_add_u32 v40, v34, 2, v22
	v_and_b32_e32 v22, 1, v38
	v_mov_b32_e32 v23, 0
	v_lshl_add_u64 v[24:25], v[22:23], 0, -1
	v_cmp_ne_u32_e32 vcc, 0, v22
	; wave barrier
	s_nop 1
	v_xor_b32_e32 v24, vcc_lo, v24
	v_xor_b32_e32 v22, vcc_hi, v25
	v_and_b32_e32 v39, exec_lo, v24
	v_lshlrev_b32_e32 v25, 30, v38
	v_mov_b32_e32 v24, v23
	v_cmp_gt_i64_e32 vcc, 0, v[24:25]
	v_not_b32_e32 v24, v25
	v_ashrrev_i32_e32 v24, 31, v24
	v_and_b32_e32 v22, exec_hi, v22
	v_xor_b32_e32 v25, vcc_hi, v24
	v_xor_b32_e32 v24, vcc_lo, v24
	v_and_b32_e32 v22, v22, v25
	v_and_b32_e32 v39, v39, v24
	v_lshlrev_b32_e32 v25, 29, v38
	v_mov_b32_e32 v24, v23
	v_cmp_gt_i64_e32 vcc, 0, v[24:25]
	v_not_b32_e32 v24, v25
	v_ashrrev_i32_e32 v24, 31, v24
	v_xor_b32_e32 v25, vcc_hi, v24
	v_xor_b32_e32 v24, vcc_lo, v24
	v_and_b32_e32 v22, v22, v25
	v_and_b32_e32 v39, v39, v24
	v_lshlrev_b32_e32 v25, 28, v38
	v_mov_b32_e32 v24, v23
	v_cmp_gt_i64_e32 vcc, 0, v[24:25]
	v_not_b32_e32 v24, v25
	v_ashrrev_i32_e32 v24, 31, v24
	v_xor_b32_e32 v25, vcc_hi, v24
	v_xor_b32_e32 v24, vcc_lo, v24
	v_and_b32_e32 v22, v22, v25
	v_and_b32_e32 v39, v39, v24
	v_lshlrev_b32_e32 v25, 27, v38
	v_mov_b32_e32 v24, v23
	v_cmp_gt_i64_e32 vcc, 0, v[24:25]
	v_not_b32_e32 v24, v25
	v_ashrrev_i32_e32 v24, 31, v24
	v_xor_b32_e32 v25, vcc_hi, v24
	v_xor_b32_e32 v24, vcc_lo, v24
	v_and_b32_e32 v22, v22, v25
	v_and_b32_e32 v39, v39, v24
	v_lshlrev_b32_e32 v25, 26, v38
	v_mov_b32_e32 v24, v23
	v_cmp_gt_i64_e32 vcc, 0, v[24:25]
	v_not_b32_e32 v24, v25
	v_ashrrev_i32_e32 v24, 31, v24
	v_xor_b32_e32 v25, vcc_hi, v24
	v_xor_b32_e32 v24, vcc_lo, v24
	v_and_b32_e32 v22, v22, v25
	v_and_b32_e32 v39, v39, v24
	v_lshlrev_b32_e32 v25, 25, v38
	v_mov_b32_e32 v24, v23
	v_cmp_gt_i64_e32 vcc, 0, v[24:25]
	v_not_b32_e32 v24, v25
	v_ashrrev_i32_e32 v24, 31, v24
	v_xor_b32_e32 v25, vcc_hi, v24
	v_xor_b32_e32 v24, vcc_lo, v24
	v_and_b32_e32 v22, v22, v25
	v_and_b32_e32 v39, v39, v24
	v_lshlrev_b32_e32 v25, 24, v38
	v_mov_b32_e32 v24, v23
	v_cmp_gt_i64_e32 vcc, 0, v[24:25]
	v_not_b32_e32 v24, v25
	v_ashrrev_i32_e32 v24, 31, v24
	v_xor_b32_e32 v25, vcc_hi, v24
	v_xor_b32_e32 v24, vcc_lo, v24
	ds_read_b32 v36, v40 offset:64
	v_and_b32_e32 v24, v39, v24
	v_and_b32_e32 v25, v22, v25
	v_mbcnt_lo_u32_b32 v22, v24, 0
	v_mbcnt_hi_u32_b32 v38, v25, v22
	v_cmp_eq_u32_e32 vcc, 0, v38
	v_cmp_ne_u64_e64 s[0:1], 0, v[24:25]
	s_and_b64 s[6:7], s[0:1], vcc
	; wave barrier
	s_and_saveexec_b64 s[0:1], s[6:7]
	s_cbranch_execz .LBB1225_127
; %bb.126:
	v_bcnt_u32_b32 v22, v24, 0
	v_bcnt_u32_b32 v22, v25, v22
	s_waitcnt lgkmcnt(0)
	v_add_u32_e32 v22, v36, v22
	ds_write_b32 v40, v22 offset:64
.LBB1225_127:
	s_or_b64 exec, exec, s[0:1]
	s_waitcnt vmcnt(2)
	v_xor_b32_e32 v17, 0x80000000, v17
	v_lshrrev_b64 v[24:25], s52, v[16:17]
	v_and_b32_e32 v41, s14, v24
	v_mul_lo_u32 v22, v41, s2
	v_lshl_add_u32 v43, v34, 2, v22
	v_and_b32_e32 v22, 1, v41
	v_lshl_add_u64 v[24:25], v[22:23], 0, -1
	v_cmp_ne_u32_e32 vcc, 0, v22
	; wave barrier
	s_nop 1
	v_xor_b32_e32 v24, vcc_lo, v24
	v_xor_b32_e32 v22, vcc_hi, v25
	v_and_b32_e32 v42, exec_lo, v24
	v_lshlrev_b32_e32 v25, 30, v41
	v_mov_b32_e32 v24, v23
	v_cmp_gt_i64_e32 vcc, 0, v[24:25]
	v_not_b32_e32 v24, v25
	v_ashrrev_i32_e32 v24, 31, v24
	v_and_b32_e32 v22, exec_hi, v22
	v_xor_b32_e32 v25, vcc_hi, v24
	v_xor_b32_e32 v24, vcc_lo, v24
	v_and_b32_e32 v22, v22, v25
	v_and_b32_e32 v42, v42, v24
	v_lshlrev_b32_e32 v25, 29, v41
	v_mov_b32_e32 v24, v23
	v_cmp_gt_i64_e32 vcc, 0, v[24:25]
	v_not_b32_e32 v24, v25
	v_ashrrev_i32_e32 v24, 31, v24
	v_xor_b32_e32 v25, vcc_hi, v24
	v_xor_b32_e32 v24, vcc_lo, v24
	v_and_b32_e32 v22, v22, v25
	v_and_b32_e32 v42, v42, v24
	v_lshlrev_b32_e32 v25, 28, v41
	v_mov_b32_e32 v24, v23
	v_cmp_gt_i64_e32 vcc, 0, v[24:25]
	v_not_b32_e32 v24, v25
	v_ashrrev_i32_e32 v24, 31, v24
	;; [unrolled: 9-line block ×5, first 2 shown]
	v_xor_b32_e32 v25, vcc_hi, v24
	v_xor_b32_e32 v24, vcc_lo, v24
	v_and_b32_e32 v22, v22, v25
	v_lshlrev_b32_e32 v25, 24, v41
	v_and_b32_e32 v42, v42, v24
	v_mov_b32_e32 v24, v23
	v_not_b32_e32 v23, v25
	v_cmp_gt_i64_e32 vcc, 0, v[24:25]
	v_ashrrev_i32_e32 v23, 31, v23
	ds_read_b32 v39, v43 offset:64
	v_xor_b32_e32 v24, vcc_hi, v23
	v_xor_b32_e32 v25, vcc_lo, v23
	v_and_b32_e32 v23, v22, v24
	v_and_b32_e32 v22, v42, v25
	v_mbcnt_lo_u32_b32 v24, v22, 0
	v_mbcnt_hi_u32_b32 v41, v23, v24
	v_cmp_eq_u32_e32 vcc, 0, v41
	v_cmp_ne_u64_e64 s[0:1], 0, v[22:23]
	s_and_b64 s[2:3], s[0:1], vcc
	; wave barrier
	s_and_saveexec_b64 s[0:1], s[2:3]
	s_cbranch_execz .LBB1225_129
; %bb.128:
	v_bcnt_u32_b32 v22, v22, 0
	v_bcnt_u32_b32 v22, v23, v22
	s_waitcnt lgkmcnt(0)
	v_add_u32_e32 v22, v39, v22
	ds_write_b32 v43, v22 offset:64
.LBB1225_129:
	s_or_b64 exec, exec, s[0:1]
	s_waitcnt vmcnt(1)
	v_xor_b32_e32 v19, 0x80000000, v19
	v_lshrrev_b64 v[22:23], s52, v[18:19]
	v_and_b32_e32 v44, s14, v22
	s_movk_i32 s2, 0x44
	v_mul_lo_u32 v22, v44, s2
	v_lshl_add_u32 v46, v34, 2, v22
	v_and_b32_e32 v22, 1, v44
	v_mov_b32_e32 v23, 0
	v_lshl_add_u64 v[24:25], v[22:23], 0, -1
	v_cmp_ne_u32_e32 vcc, 0, v22
	; wave barrier
	s_nop 1
	v_xor_b32_e32 v24, vcc_lo, v24
	v_xor_b32_e32 v22, vcc_hi, v25
	v_and_b32_e32 v45, exec_lo, v24
	v_lshlrev_b32_e32 v25, 30, v44
	v_mov_b32_e32 v24, v23
	v_cmp_gt_i64_e32 vcc, 0, v[24:25]
	v_not_b32_e32 v24, v25
	v_ashrrev_i32_e32 v24, 31, v24
	v_and_b32_e32 v22, exec_hi, v22
	v_xor_b32_e32 v25, vcc_hi, v24
	v_xor_b32_e32 v24, vcc_lo, v24
	v_and_b32_e32 v22, v22, v25
	v_and_b32_e32 v45, v45, v24
	v_lshlrev_b32_e32 v25, 29, v44
	v_mov_b32_e32 v24, v23
	v_cmp_gt_i64_e32 vcc, 0, v[24:25]
	v_not_b32_e32 v24, v25
	v_ashrrev_i32_e32 v24, 31, v24
	v_xor_b32_e32 v25, vcc_hi, v24
	v_xor_b32_e32 v24, vcc_lo, v24
	v_and_b32_e32 v22, v22, v25
	v_and_b32_e32 v45, v45, v24
	v_lshlrev_b32_e32 v25, 28, v44
	v_mov_b32_e32 v24, v23
	v_cmp_gt_i64_e32 vcc, 0, v[24:25]
	v_not_b32_e32 v24, v25
	v_ashrrev_i32_e32 v24, 31, v24
	;; [unrolled: 9-line block ×6, first 2 shown]
	v_xor_b32_e32 v25, vcc_hi, v24
	v_xor_b32_e32 v24, vcc_lo, v24
	ds_read_b32 v42, v46 offset:64
	v_and_b32_e32 v24, v45, v24
	v_and_b32_e32 v25, v22, v25
	v_mbcnt_lo_u32_b32 v22, v24, 0
	v_mbcnt_hi_u32_b32 v44, v25, v22
	v_cmp_eq_u32_e32 vcc, 0, v44
	v_cmp_ne_u64_e64 s[0:1], 0, v[24:25]
	s_and_b64 s[6:7], s[0:1], vcc
	; wave barrier
	s_and_saveexec_b64 s[0:1], s[6:7]
	s_cbranch_execz .LBB1225_131
; %bb.130:
	v_bcnt_u32_b32 v22, v24, 0
	v_bcnt_u32_b32 v22, v25, v22
	s_waitcnt lgkmcnt(0)
	v_add_u32_e32 v22, v42, v22
	ds_write_b32 v46, v22 offset:64
.LBB1225_131:
	s_or_b64 exec, exec, s[0:1]
	s_waitcnt vmcnt(0)
	v_xor_b32_e32 v21, 0x80000000, v21
	v_lshrrev_b64 v[24:25], s52, v[20:21]
	v_and_b32_e32 v47, s14, v24
	v_mul_lo_u32 v22, v47, s2
	v_lshl_add_u32 v48, v34, 2, v22
	v_and_b32_e32 v22, 1, v47
	v_lshl_add_u64 v[24:25], v[22:23], 0, -1
	v_cmp_ne_u32_e32 vcc, 0, v22
	; wave barrier
	s_nop 1
	v_xor_b32_e32 v24, vcc_lo, v24
	v_xor_b32_e32 v22, vcc_hi, v25
	v_and_b32_e32 v34, exec_lo, v24
	v_lshlrev_b32_e32 v25, 30, v47
	v_mov_b32_e32 v24, v23
	v_cmp_gt_i64_e32 vcc, 0, v[24:25]
	v_not_b32_e32 v24, v25
	v_ashrrev_i32_e32 v24, 31, v24
	v_and_b32_e32 v22, exec_hi, v22
	v_xor_b32_e32 v25, vcc_hi, v24
	v_xor_b32_e32 v24, vcc_lo, v24
	v_and_b32_e32 v22, v22, v25
	v_and_b32_e32 v34, v34, v24
	v_lshlrev_b32_e32 v25, 29, v47
	v_mov_b32_e32 v24, v23
	v_cmp_gt_i64_e32 vcc, 0, v[24:25]
	v_not_b32_e32 v24, v25
	v_ashrrev_i32_e32 v24, 31, v24
	v_xor_b32_e32 v25, vcc_hi, v24
	v_xor_b32_e32 v24, vcc_lo, v24
	v_and_b32_e32 v22, v22, v25
	v_and_b32_e32 v34, v34, v24
	v_lshlrev_b32_e32 v25, 28, v47
	v_mov_b32_e32 v24, v23
	v_cmp_gt_i64_e32 vcc, 0, v[24:25]
	v_not_b32_e32 v24, v25
	v_ashrrev_i32_e32 v24, 31, v24
	;; [unrolled: 9-line block ×5, first 2 shown]
	v_xor_b32_e32 v25, vcc_hi, v24
	v_xor_b32_e32 v24, vcc_lo, v24
	v_and_b32_e32 v22, v22, v25
	v_lshlrev_b32_e32 v25, 24, v47
	v_and_b32_e32 v34, v34, v24
	v_mov_b32_e32 v24, v23
	v_not_b32_e32 v23, v25
	v_cmp_gt_i64_e32 vcc, 0, v[24:25]
	v_ashrrev_i32_e32 v23, 31, v23
	ds_read_b32 v45, v48 offset:64
	v_xor_b32_e32 v24, vcc_hi, v23
	v_xor_b32_e32 v25, vcc_lo, v23
	v_and_b32_e32 v23, v22, v24
	v_and_b32_e32 v22, v34, v25
	v_mbcnt_lo_u32_b32 v24, v22, 0
	v_mbcnt_hi_u32_b32 v47, v23, v24
	v_cmp_eq_u32_e32 vcc, 0, v47
	v_cmp_ne_u64_e64 s[0:1], 0, v[22:23]
	s_and_b64 s[2:3], s[0:1], vcc
	; wave barrier
	s_and_saveexec_b64 s[0:1], s[2:3]
	s_cbranch_execz .LBB1225_133
; %bb.132:
	v_bcnt_u32_b32 v22, v22, 0
	v_bcnt_u32_b32 v22, v23, v22
	s_waitcnt lgkmcnt(0)
	v_add_u32_e32 v22, v45, v22
	ds_write_b32 v48, v22 offset:64
.LBB1225_133:
	s_or_b64 exec, exec, s[0:1]
	; wave barrier
	s_waitcnt lgkmcnt(0)
	s_barrier
	ds_read2_b32 v[24:25], v1 offset0:16 offset1:17
	ds_read2_b32 v[22:23], v1 offset0:18 offset1:19
	ds_read_b32 v34, v1 offset:80
	v_cmp_lt_u32_e64 s[8:9], 31, v26
	s_waitcnt lgkmcnt(1)
	v_add3_u32 v49, v25, v24, v22
	s_waitcnt lgkmcnt(0)
	v_add3_u32 v34, v49, v23, v34
	v_and_b32_e32 v49, 15, v26
	v_cmp_eq_u32_e32 vcc, 0, v49
	v_mov_b32_dpp v50, v34 row_shr:1 row_mask:0xf bank_mask:0xf
	v_cmp_lt_u32_e64 s[0:1], 1, v49
	v_cndmask_b32_e64 v50, v50, 0, vcc
	v_add_u32_e32 v34, v50, v34
	v_cmp_lt_u32_e64 s[2:3], 3, v49
	v_cmp_lt_u32_e64 s[6:7], 7, v49
	v_mov_b32_dpp v50, v34 row_shr:2 row_mask:0xf bank_mask:0xf
	v_cndmask_b32_e64 v50, 0, v50, s[0:1]
	v_add_u32_e32 v34, v34, v50
	s_nop 1
	v_mov_b32_dpp v50, v34 row_shr:4 row_mask:0xf bank_mask:0xf
	v_cndmask_b32_e64 v50, 0, v50, s[2:3]
	v_add_u32_e32 v34, v34, v50
	s_nop 1
	v_mov_b32_dpp v50, v34 row_shr:8 row_mask:0xf bank_mask:0xf
	v_cndmask_b32_e64 v49, 0, v50, s[6:7]
	v_add_u32_e32 v34, v34, v49
	v_bfe_i32 v50, v26, 4, 1
	s_nop 0
	v_mov_b32_dpp v49, v34 row_bcast:15 row_mask:0xf bank_mask:0xf
	v_and_b32_e32 v49, v50, v49
	v_add_u32_e32 v34, v34, v49
	v_lshrrev_b32_e32 v50, 6, v2
	s_nop 0
	v_mov_b32_dpp v49, v34 row_bcast:31 row_mask:0xf bank_mask:0xf
	v_cndmask_b32_e64 v49, 0, v49, s[8:9]
	v_add_u32_e32 v49, v34, v49
	v_and_b32_e32 v34, 63, v2
	v_cmp_eq_u32_e64 s[8:9], 63, v34
	s_and_saveexec_b64 s[12:13], s[8:9]
; %bb.134:
	v_lshlrev_b32_e32 v34, 2, v50
	ds_write_b32 v34, v49
; %bb.135:
	s_or_b64 exec, exec, s[12:13]
	v_cmp_gt_u32_e64 s[8:9], 16, v2
	v_lshlrev_b32_e32 v34, 2, v2
	s_waitcnt lgkmcnt(0)
	s_barrier
	s_and_saveexec_b64 s[12:13], s[8:9]
	s_cbranch_execz .LBB1225_137
; %bb.136:
	ds_read_b32 v51, v34
	s_waitcnt lgkmcnt(0)
	s_nop 0
	v_mov_b32_dpp v52, v51 row_shr:1 row_mask:0xf bank_mask:0xf
	v_cndmask_b32_e64 v52, v52, 0, vcc
	v_add_u32_e32 v51, v52, v51
	s_nop 1
	v_mov_b32_dpp v52, v51 row_shr:2 row_mask:0xf bank_mask:0xf
	v_cndmask_b32_e64 v52, 0, v52, s[0:1]
	v_add_u32_e32 v51, v51, v52
	s_nop 1
	v_mov_b32_dpp v52, v51 row_shr:4 row_mask:0xf bank_mask:0xf
	v_cndmask_b32_e64 v52, 0, v52, s[2:3]
	;; [unrolled: 4-line block ×3, first 2 shown]
	v_add_u32_e32 v51, v51, v52
	ds_write_b32 v34, v51
.LBB1225_137:
	s_or_b64 exec, exec, s[12:13]
	v_cmp_lt_u32_e32 vcc, 63, v2
	v_mov_b32_e32 v51, 0
	s_waitcnt lgkmcnt(0)
	s_barrier
	s_and_saveexec_b64 s[0:1], vcc
; %bb.138:
	v_lshl_add_u32 v50, v50, 2, -4
	ds_read_b32 v51, v50
; %bb.139:
	s_or_b64 exec, exec, s[0:1]
	v_subrev_co_u32_e32 v50, vcc, 1, v26
	v_and_b32_e32 v52, 64, v26
	v_cmp_lt_i32_e64 s[0:1], v50, v52
	s_waitcnt lgkmcnt(0)
	v_add_u32_e32 v49, v51, v49
	s_movk_i32 s2, 0x100
	v_cndmask_b32_e64 v26, v50, v26, s[0:1]
	v_lshlrev_b32_e32 v26, 2, v26
	ds_bpermute_b32 v26, v26, v49
	s_movk_i32 s0, 0xff
	s_waitcnt lgkmcnt(0)
	v_cndmask_b32_e32 v26, v26, v51, vcc
	v_cmp_ne_u32_e32 vcc, 0, v2
	s_nop 1
	v_cndmask_b32_e32 v26, 0, v26, vcc
	v_add_u32_e32 v24, v26, v24
	v_add_u32_e32 v25, v24, v25
	;; [unrolled: 1-line block ×4, first 2 shown]
	ds_write2_b32 v1, v26, v24 offset0:16 offset1:17
	ds_write2_b32 v1, v25, v22 offset0:18 offset1:19
	ds_write_b32 v1, v23 offset:80
	s_waitcnt lgkmcnt(0)
	s_barrier
	ds_read_b32 v52, v27 offset:64
	ds_read_b32 v1, v30 offset:64
	;; [unrolled: 1-line block ×8, first 2 shown]
	v_cmp_lt_u32_e32 vcc, s0, v2
	v_cmp_gt_u32_e64 s[0:1], s2, v2
                                        ; implicit-def: $vgpr30
                                        ; implicit-def: $vgpr33
	s_and_saveexec_b64 s[6:7], s[0:1]
	s_cbranch_execz .LBB1225_143
; %bb.140:
	v_mul_u32_u24_e32 v22, 0x44, v2
	ds_read_b32 v30, v22 offset:64
	v_add_u32_e32 v23, 1, v2
	v_cmp_ne_u32_e64 s[2:3], s2, v23
	v_mov_b32_e32 v22, 0x2000
	s_and_saveexec_b64 s[8:9], s[2:3]
; %bb.141:
	v_mul_u32_u24_e32 v22, 0x44, v23
	ds_read_b32 v22, v22 offset:64
; %bb.142:
	s_or_b64 exec, exec, s[8:9]
	s_waitcnt lgkmcnt(0)
	v_sub_u32_e32 v33, v22, v30
.LBB1225_143:
	s_or_b64 exec, exec, s[6:7]
	v_mov_b32_e32 v23, 0
	s_waitcnt lgkmcnt(0)
	s_barrier
	s_and_saveexec_b64 s[2:3], s[0:1]
	s_cbranch_execz .LBB1225_153
; %bb.144:
	v_lshl_add_u32 v22, s4, 8, v2
	v_lshl_add_u64 v[24:25], v[22:23], 2, s[38:39]
	v_or_b32_e32 v22, 2.0, v33
	s_mov_b64 s[6:7], 0
	s_brev_b32 s15, -4
	s_mov_b32 s16, s4
	v_mov_b32_e32 v46, 0
	global_store_dword v[24:25], v22, off sc1
                                        ; implicit-def: $sgpr0_sgpr1
	s_branch .LBB1225_147
.LBB1225_145:                           ;   in Loop: Header=BB1225_147 Depth=1
	s_or_b64 exec, exec, s[12:13]
.LBB1225_146:                           ;   in Loop: Header=BB1225_147 Depth=1
	s_or_b64 exec, exec, s[8:9]
	v_and_b32_e32 v26, 0x3fffffff, v22
	v_add_u32_e32 v46, v26, v46
	v_cmp_gt_i32_e64 s[0:1], -2.0, v22
	s_and_b64 s[8:9], exec, s[0:1]
	s_or_b64 s[6:7], s[8:9], s[6:7]
	s_andn2_b64 exec, exec, s[6:7]
	s_cbranch_execz .LBB1225_152
.LBB1225_147:                           ; =>This Loop Header: Depth=1
                                        ;     Child Loop BB1225_150 Depth 2
	s_or_b64 s[0:1], s[0:1], exec
	s_cmp_eq_u32 s16, 0
	s_cbranch_scc1 .LBB1225_151
; %bb.148:                              ;   in Loop: Header=BB1225_147 Depth=1
	s_add_i32 s16, s16, -1
	v_lshl_or_b32 v22, s16, 8, v2
	v_lshl_add_u64 v[26:27], v[22:23], 2, s[38:39]
	global_load_dword v22, v[26:27], off sc1
	s_waitcnt vmcnt(0)
	v_cmp_gt_u32_e64 s[0:1], 2.0, v22
	s_and_saveexec_b64 s[8:9], s[0:1]
	s_cbranch_execz .LBB1225_146
; %bb.149:                              ;   in Loop: Header=BB1225_147 Depth=1
	s_mov_b64 s[12:13], 0
.LBB1225_150:                           ;   Parent Loop BB1225_147 Depth=1
                                        ; =>  This Inner Loop Header: Depth=2
	global_load_dword v22, v[26:27], off sc1
	s_waitcnt vmcnt(0)
	v_cmp_lt_u32_e64 s[0:1], s15, v22
	s_or_b64 s[12:13], s[0:1], s[12:13]
	s_andn2_b64 exec, exec, s[12:13]
	s_cbranch_execnz .LBB1225_150
	s_branch .LBB1225_145
.LBB1225_151:                           ;   in Loop: Header=BB1225_147 Depth=1
                                        ; implicit-def: $sgpr16
	s_and_b64 s[8:9], exec, s[0:1]
	s_or_b64 s[6:7], s[8:9], s[6:7]
	s_andn2_b64 exec, exec, s[6:7]
	s_cbranch_execnz .LBB1225_147
.LBB1225_152:
	s_or_b64 exec, exec, s[6:7]
	v_add_u32_e32 v22, v46, v33
	v_or_b32_e32 v22, 0x80000000, v22
	global_store_dword v[24:25], v22, off sc1
	global_load_dword v22, v34, s[48:49]
	v_sub_u32_e32 v23, v46, v30
	s_waitcnt vmcnt(0)
	v_add_u32_e32 v22, v23, v22
	ds_write_b32 v34, v22
.LBB1225_153:
	s_or_b64 exec, exec, s[2:3]
	v_add_u32_e32 v24, v52, v5
	v_add3_u32 v5, v28, v3, v1
	v_add3_u32 v22, v31, v29, v49
	;; [unrolled: 1-line block ×7, first 2 shown]
	v_mov_b32_e32 v52, 0x400
	s_mov_b32 s6, s52
	s_mov_b32 s7, s14
	s_movk_i32 s8, 0x400
	v_lshl_add_u32 v25, v25, 3, v52
	v_add3_u32 v26, v47, v40, v45
	v_lshl_add_u32 v27, v27, 3, v52
	v_add3_u32 v37, v44, v37, v42
	;; [unrolled: 2-line block ×7, first 2 shown]
	v_lshl_add_u32 v28, v24, 3, v52
	s_mov_b32 s9, 0
	s_mov_b32 s12, 0
	s_movk_i32 s13, 0x800
	v_add_u32_e32 v42, v34, v34
	v_mov_b32_e32 v23, 0
	v_mov_b32_e32 v1, v2
	s_mov_b32 s15, 0
	s_branch .LBB1225_155
.LBB1225_154:                           ;   in Loop: Header=BB1225_155 Depth=1
	s_or_b64 exec, exec, s[2:3]
	s_waitcnt lgkmcnt(0)
	s_barrier
	ds_read2st64_b64 v[44:47], v42 offset0:2 offset1:18
	s_addk_i32 s15, 0xc000
	s_addk_i32 s12, 0xf800
	s_waitcnt lgkmcnt(0)
	v_xor_b32_e32 v49, 0x80000000, v45
	v_mov_b32_e32 v48, v44
	v_lshrrev_b64 v[44:45], s52, v[44:45]
	v_lshrrev_b64 v[52:53], s6, v[46:47]
	v_and_b32_e32 v44, s14, v44
	v_lshlrev_b32_e32 v5, 2, v44
	v_and_b32_e32 v45, s7, v52
	ds_read_b32 v5, v5
	v_lshlrev_b32_e32 v22, 2, v45
	ds_read_b32 v43, v22
	v_xor_b32_e32 v51, 0x80000000, v47
	v_mov_b32_e32 v50, v46
	s_waitcnt lgkmcnt(1)
	v_add_u32_e32 v22, v1, v5
	v_lshl_add_u64 v[46:47], v[22:23], 3, s[42:43]
	s_waitcnt lgkmcnt(0)
	v_add3_u32 v22, v1, v43, s8
	global_store_dwordx2 v[46:47], v[48:49], off
	v_lshl_add_u64 v[46:47], v[22:23], 3, s[42:43]
	global_store_dwordx2 v[46:47], v[50:51], off
	scratch_store_dwordx2 off, v[44:45], s9
	s_add_i32 s9, s9, 8
	s_cmp_eq_u32 s15, 0xffff0000
	v_add_u32_e32 v1, 0x800, v1
	s_barrier
	s_cbranch_scc1 .LBB1225_171
.LBB1225_155:                           ; =>This Inner Loop Header: Depth=1
	v_add_u32_e32 v5, s12, v24
	v_cmp_gt_u32_e64 s[0:1], s13, v5
	s_and_saveexec_b64 s[2:3], s[0:1]
; %bb.156:                              ;   in Loop: Header=BB1225_155 Depth=1
	v_add_u32_e32 v5, s15, v28
	ds_write_b64 v5, v[6:7]
; %bb.157:                              ;   in Loop: Header=BB1225_155 Depth=1
	s_or_b64 exec, exec, s[2:3]
	v_add_u32_e32 v5, s12, v3
	v_cmp_gt_u32_e64 s[0:1], s13, v5
	s_and_saveexec_b64 s[2:3], s[0:1]
; %bb.158:                              ;   in Loop: Header=BB1225_155 Depth=1
	v_add_u32_e32 v5, s15, v31
	ds_write_b64 v5, v[8:9]
; %bb.159:                              ;   in Loop: Header=BB1225_155 Depth=1
	s_or_b64 exec, exec, s[2:3]
	;; [unrolled: 8-line block ×7, first 2 shown]
	v_add_u32_e32 v5, s12, v26
	v_cmp_gt_u32_e64 s[0:1], s13, v5
	s_and_saveexec_b64 s[2:3], s[0:1]
	s_cbranch_execz .LBB1225_154
; %bb.170:                              ;   in Loop: Header=BB1225_155 Depth=1
	v_add_u32_e32 v5, s15, v25
	ds_write_b64 v5, v[20:21]
	s_branch .LBB1225_154
.LBB1225_171:
	s_add_u32 s0, s44, s10
	s_addc_u32 s1, s45, s11
	v_mov_b32_e32 v1, 0
	v_lshl_add_u64 v[6:7], s[0:1], 0, v[0:1]
	v_mov_b32_e32 v5, v1
	v_lshl_add_u64 v[20:21], v[6:7], 0, v[4:5]
	global_load_dwordx2 v[4:5], v[20:21], off
	global_load_dwordx2 v[6:7], v[20:21], off offset:512
	global_load_dwordx2 v[8:9], v[20:21], off offset:1024
	;; [unrolled: 1-line block ×7, first 2 shown]
	s_mov_b32 s6, 0
	s_mov_b32 s7, 0
	s_movk_i32 s8, 0x800
	s_movk_i32 s9, 0x400
	s_mov_b32 s10, 0
	s_branch .LBB1225_173
.LBB1225_172:                           ;   in Loop: Header=BB1225_173 Depth=1
	s_or_b64 exec, exec, s[2:3]
	s_waitcnt lgkmcnt(0)
	s_barrier
	scratch_load_dwordx2 v[44:45], off, s6
	ds_read2st64_b64 v[20:23], v42 offset0:2 offset1:18
	s_addk_i32 s10, 0xc000
	s_addk_i32 s7, 0xf800
	s_add_i32 s6, s6, 8
	s_cmp_eq_u32 s10, 0xffff0000
	s_waitcnt vmcnt(0)
	v_lshlrev_b32_e32 v0, 2, v44
	ds_read_b32 v0, v0
	v_lshlrev_b32_e32 v43, 2, v45
	ds_read_b32 v43, v43
	s_waitcnt lgkmcnt(1)
	v_add_u32_e32 v0, v2, v0
	v_lshl_add_u64 v[44:45], v[0:1], 3, s[46:47]
	s_waitcnt lgkmcnt(0)
	v_add3_u32 v0, v2, v43, s9
	global_store_dwordx2 v[44:45], v[20:21], off
	v_lshl_add_u64 v[20:21], v[0:1], 3, s[46:47]
	v_add_u32_e32 v2, 0x800, v2
	global_store_dwordx2 v[20:21], v[22:23], off
	s_barrier
	s_cbranch_scc1 .LBB1225_189
.LBB1225_173:                           ; =>This Inner Loop Header: Depth=1
	v_add_u32_e32 v0, s7, v24
	v_cmp_gt_u32_e64 s[0:1], s8, v0
	s_and_saveexec_b64 s[2:3], s[0:1]
	s_cbranch_execz .LBB1225_175
; %bb.174:                              ;   in Loop: Header=BB1225_173 Depth=1
	v_add_u32_e32 v0, s10, v28
	s_waitcnt vmcnt(7)
	ds_write_b64 v0, v[4:5]
.LBB1225_175:                           ;   in Loop: Header=BB1225_173 Depth=1
	s_or_b64 exec, exec, s[2:3]
	v_add_u32_e32 v0, s7, v3
	v_cmp_gt_u32_e64 s[0:1], s8, v0
	s_and_saveexec_b64 s[2:3], s[0:1]
	s_cbranch_execz .LBB1225_177
; %bb.176:                              ;   in Loop: Header=BB1225_173 Depth=1
	v_add_u32_e32 v0, s10, v31
	s_waitcnt vmcnt(6)
	ds_write_b64 v0, v[6:7]
.LBB1225_177:                           ;   in Loop: Header=BB1225_173 Depth=1
	s_or_b64 exec, exec, s[2:3]
	;; [unrolled: 10-line block ×7, first 2 shown]
	v_add_u32_e32 v0, s7, v26
	v_cmp_gt_u32_e64 s[0:1], s8, v0
	s_and_saveexec_b64 s[2:3], s[0:1]
	s_cbranch_execz .LBB1225_172
; %bb.188:                              ;   in Loop: Header=BB1225_173 Depth=1
	v_add_u32_e32 v0, s10, v25
	s_waitcnt vmcnt(0)
	ds_write_b64 v0, v[18:19]
	s_branch .LBB1225_172
.LBB1225_189:
	s_add_i32 s5, s5, -1
	s_cmp_eq_u32 s4, s5
	s_cselect_b64 s[0:1], -1, 0
	s_xor_b64 s[2:3], vcc, -1
	s_and_b64 s[0:1], s[2:3], s[0:1]
	s_and_saveexec_b64 s[2:3], s[0:1]
	s_cbranch_execz .LBB1225_191
; %bb.190:
	ds_read_b32 v0, v34
	s_waitcnt lgkmcnt(0)
	v_add3_u32 v0, v30, v33, v0
	global_store_dword v34, v0, s[50:51]
.LBB1225_191:
	s_endpgm
	.section	.rodata,"a",@progbits
	.p2align	6, 0x0
	.amdhsa_kernel _ZN7rocprim17ROCPRIM_400000_NS6detail17trampoline_kernelINS0_14default_configENS1_35radix_sort_onesweep_config_selectorIxxEEZZNS1_29radix_sort_onesweep_iterationIS3_Lb0EN6thrust23THRUST_200600_302600_NS6detail15normal_iteratorINS8_10device_ptrIxEEEESD_SD_SD_jNS0_19identity_decomposerENS1_16block_id_wrapperIjLb0EEEEE10hipError_tT1_PNSt15iterator_traitsISI_E10value_typeET2_T3_PNSJ_ISO_E10value_typeET4_T5_PST_SU_PNS1_23onesweep_lookback_stateEbbT6_jjT7_P12ihipStream_tbENKUlT_T0_SI_SN_E_clISD_SD_SD_SD_EEDaS11_S12_SI_SN_EUlS11_E_NS1_11comp_targetILNS1_3genE6ELNS1_11target_archE950ELNS1_3gpuE13ELNS1_3repE0EEENS1_47radix_sort_onesweep_sort_config_static_selectorELNS0_4arch9wavefront6targetE1EEEvSI_
		.amdhsa_group_segment_fixed_size 53328
		.amdhsa_private_segment_fixed_size 48
		.amdhsa_kernarg_size 344
		.amdhsa_user_sgpr_count 4
		.amdhsa_user_sgpr_dispatch_ptr 1
		.amdhsa_user_sgpr_queue_ptr 0
		.amdhsa_user_sgpr_kernarg_segment_ptr 1
		.amdhsa_user_sgpr_dispatch_id 0
		.amdhsa_user_sgpr_kernarg_preload_length 0
		.amdhsa_user_sgpr_kernarg_preload_offset 0
		.amdhsa_user_sgpr_private_segment_size 0
		.amdhsa_uses_dynamic_stack 0
		.amdhsa_enable_private_segment 1
		.amdhsa_system_sgpr_workgroup_id_x 1
		.amdhsa_system_sgpr_workgroup_id_y 0
		.amdhsa_system_sgpr_workgroup_id_z 0
		.amdhsa_system_sgpr_workgroup_info 0
		.amdhsa_system_vgpr_workitem_id 2
		.amdhsa_next_free_vgpr 58
		.amdhsa_next_free_sgpr 58
		.amdhsa_accum_offset 60
		.amdhsa_reserve_vcc 1
		.amdhsa_float_round_mode_32 0
		.amdhsa_float_round_mode_16_64 0
		.amdhsa_float_denorm_mode_32 3
		.amdhsa_float_denorm_mode_16_64 3
		.amdhsa_dx10_clamp 1
		.amdhsa_ieee_mode 1
		.amdhsa_fp16_overflow 0
		.amdhsa_tg_split 0
		.amdhsa_exception_fp_ieee_invalid_op 0
		.amdhsa_exception_fp_denorm_src 0
		.amdhsa_exception_fp_ieee_div_zero 0
		.amdhsa_exception_fp_ieee_overflow 0
		.amdhsa_exception_fp_ieee_underflow 0
		.amdhsa_exception_fp_ieee_inexact 0
		.amdhsa_exception_int_div_zero 0
	.end_amdhsa_kernel
	.section	.text._ZN7rocprim17ROCPRIM_400000_NS6detail17trampoline_kernelINS0_14default_configENS1_35radix_sort_onesweep_config_selectorIxxEEZZNS1_29radix_sort_onesweep_iterationIS3_Lb0EN6thrust23THRUST_200600_302600_NS6detail15normal_iteratorINS8_10device_ptrIxEEEESD_SD_SD_jNS0_19identity_decomposerENS1_16block_id_wrapperIjLb0EEEEE10hipError_tT1_PNSt15iterator_traitsISI_E10value_typeET2_T3_PNSJ_ISO_E10value_typeET4_T5_PST_SU_PNS1_23onesweep_lookback_stateEbbT6_jjT7_P12ihipStream_tbENKUlT_T0_SI_SN_E_clISD_SD_SD_SD_EEDaS11_S12_SI_SN_EUlS11_E_NS1_11comp_targetILNS1_3genE6ELNS1_11target_archE950ELNS1_3gpuE13ELNS1_3repE0EEENS1_47radix_sort_onesweep_sort_config_static_selectorELNS0_4arch9wavefront6targetE1EEEvSI_,"axG",@progbits,_ZN7rocprim17ROCPRIM_400000_NS6detail17trampoline_kernelINS0_14default_configENS1_35radix_sort_onesweep_config_selectorIxxEEZZNS1_29radix_sort_onesweep_iterationIS3_Lb0EN6thrust23THRUST_200600_302600_NS6detail15normal_iteratorINS8_10device_ptrIxEEEESD_SD_SD_jNS0_19identity_decomposerENS1_16block_id_wrapperIjLb0EEEEE10hipError_tT1_PNSt15iterator_traitsISI_E10value_typeET2_T3_PNSJ_ISO_E10value_typeET4_T5_PST_SU_PNS1_23onesweep_lookback_stateEbbT6_jjT7_P12ihipStream_tbENKUlT_T0_SI_SN_E_clISD_SD_SD_SD_EEDaS11_S12_SI_SN_EUlS11_E_NS1_11comp_targetILNS1_3genE6ELNS1_11target_archE950ELNS1_3gpuE13ELNS1_3repE0EEENS1_47radix_sort_onesweep_sort_config_static_selectorELNS0_4arch9wavefront6targetE1EEEvSI_,comdat
.Lfunc_end1225:
	.size	_ZN7rocprim17ROCPRIM_400000_NS6detail17trampoline_kernelINS0_14default_configENS1_35radix_sort_onesweep_config_selectorIxxEEZZNS1_29radix_sort_onesweep_iterationIS3_Lb0EN6thrust23THRUST_200600_302600_NS6detail15normal_iteratorINS8_10device_ptrIxEEEESD_SD_SD_jNS0_19identity_decomposerENS1_16block_id_wrapperIjLb0EEEEE10hipError_tT1_PNSt15iterator_traitsISI_E10value_typeET2_T3_PNSJ_ISO_E10value_typeET4_T5_PST_SU_PNS1_23onesweep_lookback_stateEbbT6_jjT7_P12ihipStream_tbENKUlT_T0_SI_SN_E_clISD_SD_SD_SD_EEDaS11_S12_SI_SN_EUlS11_E_NS1_11comp_targetILNS1_3genE6ELNS1_11target_archE950ELNS1_3gpuE13ELNS1_3repE0EEENS1_47radix_sort_onesweep_sort_config_static_selectorELNS0_4arch9wavefront6targetE1EEEvSI_, .Lfunc_end1225-_ZN7rocprim17ROCPRIM_400000_NS6detail17trampoline_kernelINS0_14default_configENS1_35radix_sort_onesweep_config_selectorIxxEEZZNS1_29radix_sort_onesweep_iterationIS3_Lb0EN6thrust23THRUST_200600_302600_NS6detail15normal_iteratorINS8_10device_ptrIxEEEESD_SD_SD_jNS0_19identity_decomposerENS1_16block_id_wrapperIjLb0EEEEE10hipError_tT1_PNSt15iterator_traitsISI_E10value_typeET2_T3_PNSJ_ISO_E10value_typeET4_T5_PST_SU_PNS1_23onesweep_lookback_stateEbbT6_jjT7_P12ihipStream_tbENKUlT_T0_SI_SN_E_clISD_SD_SD_SD_EEDaS11_S12_SI_SN_EUlS11_E_NS1_11comp_targetILNS1_3genE6ELNS1_11target_archE950ELNS1_3gpuE13ELNS1_3repE0EEENS1_47radix_sort_onesweep_sort_config_static_selectorELNS0_4arch9wavefront6targetE1EEEvSI_
                                        ; -- End function
	.set _ZN7rocprim17ROCPRIM_400000_NS6detail17trampoline_kernelINS0_14default_configENS1_35radix_sort_onesweep_config_selectorIxxEEZZNS1_29radix_sort_onesweep_iterationIS3_Lb0EN6thrust23THRUST_200600_302600_NS6detail15normal_iteratorINS8_10device_ptrIxEEEESD_SD_SD_jNS0_19identity_decomposerENS1_16block_id_wrapperIjLb0EEEEE10hipError_tT1_PNSt15iterator_traitsISI_E10value_typeET2_T3_PNSJ_ISO_E10value_typeET4_T5_PST_SU_PNS1_23onesweep_lookback_stateEbbT6_jjT7_P12ihipStream_tbENKUlT_T0_SI_SN_E_clISD_SD_SD_SD_EEDaS11_S12_SI_SN_EUlS11_E_NS1_11comp_targetILNS1_3genE6ELNS1_11target_archE950ELNS1_3gpuE13ELNS1_3repE0EEENS1_47radix_sort_onesweep_sort_config_static_selectorELNS0_4arch9wavefront6targetE1EEEvSI_.num_vgpr, 58
	.set _ZN7rocprim17ROCPRIM_400000_NS6detail17trampoline_kernelINS0_14default_configENS1_35radix_sort_onesweep_config_selectorIxxEEZZNS1_29radix_sort_onesweep_iterationIS3_Lb0EN6thrust23THRUST_200600_302600_NS6detail15normal_iteratorINS8_10device_ptrIxEEEESD_SD_SD_jNS0_19identity_decomposerENS1_16block_id_wrapperIjLb0EEEEE10hipError_tT1_PNSt15iterator_traitsISI_E10value_typeET2_T3_PNSJ_ISO_E10value_typeET4_T5_PST_SU_PNS1_23onesweep_lookback_stateEbbT6_jjT7_P12ihipStream_tbENKUlT_T0_SI_SN_E_clISD_SD_SD_SD_EEDaS11_S12_SI_SN_EUlS11_E_NS1_11comp_targetILNS1_3genE6ELNS1_11target_archE950ELNS1_3gpuE13ELNS1_3repE0EEENS1_47radix_sort_onesweep_sort_config_static_selectorELNS0_4arch9wavefront6targetE1EEEvSI_.num_agpr, 0
	.set _ZN7rocprim17ROCPRIM_400000_NS6detail17trampoline_kernelINS0_14default_configENS1_35radix_sort_onesweep_config_selectorIxxEEZZNS1_29radix_sort_onesweep_iterationIS3_Lb0EN6thrust23THRUST_200600_302600_NS6detail15normal_iteratorINS8_10device_ptrIxEEEESD_SD_SD_jNS0_19identity_decomposerENS1_16block_id_wrapperIjLb0EEEEE10hipError_tT1_PNSt15iterator_traitsISI_E10value_typeET2_T3_PNSJ_ISO_E10value_typeET4_T5_PST_SU_PNS1_23onesweep_lookback_stateEbbT6_jjT7_P12ihipStream_tbENKUlT_T0_SI_SN_E_clISD_SD_SD_SD_EEDaS11_S12_SI_SN_EUlS11_E_NS1_11comp_targetILNS1_3genE6ELNS1_11target_archE950ELNS1_3gpuE13ELNS1_3repE0EEENS1_47radix_sort_onesweep_sort_config_static_selectorELNS0_4arch9wavefront6targetE1EEEvSI_.numbered_sgpr, 58
	.set _ZN7rocprim17ROCPRIM_400000_NS6detail17trampoline_kernelINS0_14default_configENS1_35radix_sort_onesweep_config_selectorIxxEEZZNS1_29radix_sort_onesweep_iterationIS3_Lb0EN6thrust23THRUST_200600_302600_NS6detail15normal_iteratorINS8_10device_ptrIxEEEESD_SD_SD_jNS0_19identity_decomposerENS1_16block_id_wrapperIjLb0EEEEE10hipError_tT1_PNSt15iterator_traitsISI_E10value_typeET2_T3_PNSJ_ISO_E10value_typeET4_T5_PST_SU_PNS1_23onesweep_lookback_stateEbbT6_jjT7_P12ihipStream_tbENKUlT_T0_SI_SN_E_clISD_SD_SD_SD_EEDaS11_S12_SI_SN_EUlS11_E_NS1_11comp_targetILNS1_3genE6ELNS1_11target_archE950ELNS1_3gpuE13ELNS1_3repE0EEENS1_47radix_sort_onesweep_sort_config_static_selectorELNS0_4arch9wavefront6targetE1EEEvSI_.num_named_barrier, 0
	.set _ZN7rocprim17ROCPRIM_400000_NS6detail17trampoline_kernelINS0_14default_configENS1_35radix_sort_onesweep_config_selectorIxxEEZZNS1_29radix_sort_onesweep_iterationIS3_Lb0EN6thrust23THRUST_200600_302600_NS6detail15normal_iteratorINS8_10device_ptrIxEEEESD_SD_SD_jNS0_19identity_decomposerENS1_16block_id_wrapperIjLb0EEEEE10hipError_tT1_PNSt15iterator_traitsISI_E10value_typeET2_T3_PNSJ_ISO_E10value_typeET4_T5_PST_SU_PNS1_23onesweep_lookback_stateEbbT6_jjT7_P12ihipStream_tbENKUlT_T0_SI_SN_E_clISD_SD_SD_SD_EEDaS11_S12_SI_SN_EUlS11_E_NS1_11comp_targetILNS1_3genE6ELNS1_11target_archE950ELNS1_3gpuE13ELNS1_3repE0EEENS1_47radix_sort_onesweep_sort_config_static_selectorELNS0_4arch9wavefront6targetE1EEEvSI_.private_seg_size, 48
	.set _ZN7rocprim17ROCPRIM_400000_NS6detail17trampoline_kernelINS0_14default_configENS1_35radix_sort_onesweep_config_selectorIxxEEZZNS1_29radix_sort_onesweep_iterationIS3_Lb0EN6thrust23THRUST_200600_302600_NS6detail15normal_iteratorINS8_10device_ptrIxEEEESD_SD_SD_jNS0_19identity_decomposerENS1_16block_id_wrapperIjLb0EEEEE10hipError_tT1_PNSt15iterator_traitsISI_E10value_typeET2_T3_PNSJ_ISO_E10value_typeET4_T5_PST_SU_PNS1_23onesweep_lookback_stateEbbT6_jjT7_P12ihipStream_tbENKUlT_T0_SI_SN_E_clISD_SD_SD_SD_EEDaS11_S12_SI_SN_EUlS11_E_NS1_11comp_targetILNS1_3genE6ELNS1_11target_archE950ELNS1_3gpuE13ELNS1_3repE0EEENS1_47radix_sort_onesweep_sort_config_static_selectorELNS0_4arch9wavefront6targetE1EEEvSI_.uses_vcc, 1
	.set _ZN7rocprim17ROCPRIM_400000_NS6detail17trampoline_kernelINS0_14default_configENS1_35radix_sort_onesweep_config_selectorIxxEEZZNS1_29radix_sort_onesweep_iterationIS3_Lb0EN6thrust23THRUST_200600_302600_NS6detail15normal_iteratorINS8_10device_ptrIxEEEESD_SD_SD_jNS0_19identity_decomposerENS1_16block_id_wrapperIjLb0EEEEE10hipError_tT1_PNSt15iterator_traitsISI_E10value_typeET2_T3_PNSJ_ISO_E10value_typeET4_T5_PST_SU_PNS1_23onesweep_lookback_stateEbbT6_jjT7_P12ihipStream_tbENKUlT_T0_SI_SN_E_clISD_SD_SD_SD_EEDaS11_S12_SI_SN_EUlS11_E_NS1_11comp_targetILNS1_3genE6ELNS1_11target_archE950ELNS1_3gpuE13ELNS1_3repE0EEENS1_47radix_sort_onesweep_sort_config_static_selectorELNS0_4arch9wavefront6targetE1EEEvSI_.uses_flat_scratch, 0
	.set _ZN7rocprim17ROCPRIM_400000_NS6detail17trampoline_kernelINS0_14default_configENS1_35radix_sort_onesweep_config_selectorIxxEEZZNS1_29radix_sort_onesweep_iterationIS3_Lb0EN6thrust23THRUST_200600_302600_NS6detail15normal_iteratorINS8_10device_ptrIxEEEESD_SD_SD_jNS0_19identity_decomposerENS1_16block_id_wrapperIjLb0EEEEE10hipError_tT1_PNSt15iterator_traitsISI_E10value_typeET2_T3_PNSJ_ISO_E10value_typeET4_T5_PST_SU_PNS1_23onesweep_lookback_stateEbbT6_jjT7_P12ihipStream_tbENKUlT_T0_SI_SN_E_clISD_SD_SD_SD_EEDaS11_S12_SI_SN_EUlS11_E_NS1_11comp_targetILNS1_3genE6ELNS1_11target_archE950ELNS1_3gpuE13ELNS1_3repE0EEENS1_47radix_sort_onesweep_sort_config_static_selectorELNS0_4arch9wavefront6targetE1EEEvSI_.has_dyn_sized_stack, 0
	.set _ZN7rocprim17ROCPRIM_400000_NS6detail17trampoline_kernelINS0_14default_configENS1_35radix_sort_onesweep_config_selectorIxxEEZZNS1_29radix_sort_onesweep_iterationIS3_Lb0EN6thrust23THRUST_200600_302600_NS6detail15normal_iteratorINS8_10device_ptrIxEEEESD_SD_SD_jNS0_19identity_decomposerENS1_16block_id_wrapperIjLb0EEEEE10hipError_tT1_PNSt15iterator_traitsISI_E10value_typeET2_T3_PNSJ_ISO_E10value_typeET4_T5_PST_SU_PNS1_23onesweep_lookback_stateEbbT6_jjT7_P12ihipStream_tbENKUlT_T0_SI_SN_E_clISD_SD_SD_SD_EEDaS11_S12_SI_SN_EUlS11_E_NS1_11comp_targetILNS1_3genE6ELNS1_11target_archE950ELNS1_3gpuE13ELNS1_3repE0EEENS1_47radix_sort_onesweep_sort_config_static_selectorELNS0_4arch9wavefront6targetE1EEEvSI_.has_recursion, 0
	.set _ZN7rocprim17ROCPRIM_400000_NS6detail17trampoline_kernelINS0_14default_configENS1_35radix_sort_onesweep_config_selectorIxxEEZZNS1_29radix_sort_onesweep_iterationIS3_Lb0EN6thrust23THRUST_200600_302600_NS6detail15normal_iteratorINS8_10device_ptrIxEEEESD_SD_SD_jNS0_19identity_decomposerENS1_16block_id_wrapperIjLb0EEEEE10hipError_tT1_PNSt15iterator_traitsISI_E10value_typeET2_T3_PNSJ_ISO_E10value_typeET4_T5_PST_SU_PNS1_23onesweep_lookback_stateEbbT6_jjT7_P12ihipStream_tbENKUlT_T0_SI_SN_E_clISD_SD_SD_SD_EEDaS11_S12_SI_SN_EUlS11_E_NS1_11comp_targetILNS1_3genE6ELNS1_11target_archE950ELNS1_3gpuE13ELNS1_3repE0EEENS1_47radix_sort_onesweep_sort_config_static_selectorELNS0_4arch9wavefront6targetE1EEEvSI_.has_indirect_call, 0
	.section	.AMDGPU.csdata,"",@progbits
; Kernel info:
; codeLenInByte = 12800
; TotalNumSgprs: 64
; NumVgprs: 58
; NumAgprs: 0
; TotalNumVgprs: 58
; ScratchSize: 48
; MemoryBound: 1
; FloatMode: 240
; IeeeMode: 1
; LDSByteSize: 53328 bytes/workgroup (compile time only)
; SGPRBlocks: 7
; VGPRBlocks: 7
; NumSGPRsForWavesPerEU: 64
; NumVGPRsForWavesPerEU: 58
; AccumOffset: 60
; Occupancy: 8
; WaveLimiterHint : 1
; COMPUTE_PGM_RSRC2:SCRATCH_EN: 1
; COMPUTE_PGM_RSRC2:USER_SGPR: 4
; COMPUTE_PGM_RSRC2:TRAP_HANDLER: 0
; COMPUTE_PGM_RSRC2:TGID_X_EN: 1
; COMPUTE_PGM_RSRC2:TGID_Y_EN: 0
; COMPUTE_PGM_RSRC2:TGID_Z_EN: 0
; COMPUTE_PGM_RSRC2:TIDIG_COMP_CNT: 2
; COMPUTE_PGM_RSRC3_GFX90A:ACCUM_OFFSET: 14
; COMPUTE_PGM_RSRC3_GFX90A:TG_SPLIT: 0
	.section	.text._ZN7rocprim17ROCPRIM_400000_NS6detail17trampoline_kernelINS0_14default_configENS1_35radix_sort_onesweep_config_selectorIxxEEZZNS1_29radix_sort_onesweep_iterationIS3_Lb0EN6thrust23THRUST_200600_302600_NS6detail15normal_iteratorINS8_10device_ptrIxEEEESD_SD_SD_jNS0_19identity_decomposerENS1_16block_id_wrapperIjLb0EEEEE10hipError_tT1_PNSt15iterator_traitsISI_E10value_typeET2_T3_PNSJ_ISO_E10value_typeET4_T5_PST_SU_PNS1_23onesweep_lookback_stateEbbT6_jjT7_P12ihipStream_tbENKUlT_T0_SI_SN_E_clISD_SD_SD_SD_EEDaS11_S12_SI_SN_EUlS11_E_NS1_11comp_targetILNS1_3genE5ELNS1_11target_archE942ELNS1_3gpuE9ELNS1_3repE0EEENS1_47radix_sort_onesweep_sort_config_static_selectorELNS0_4arch9wavefront6targetE1EEEvSI_,"axG",@progbits,_ZN7rocprim17ROCPRIM_400000_NS6detail17trampoline_kernelINS0_14default_configENS1_35radix_sort_onesweep_config_selectorIxxEEZZNS1_29radix_sort_onesweep_iterationIS3_Lb0EN6thrust23THRUST_200600_302600_NS6detail15normal_iteratorINS8_10device_ptrIxEEEESD_SD_SD_jNS0_19identity_decomposerENS1_16block_id_wrapperIjLb0EEEEE10hipError_tT1_PNSt15iterator_traitsISI_E10value_typeET2_T3_PNSJ_ISO_E10value_typeET4_T5_PST_SU_PNS1_23onesweep_lookback_stateEbbT6_jjT7_P12ihipStream_tbENKUlT_T0_SI_SN_E_clISD_SD_SD_SD_EEDaS11_S12_SI_SN_EUlS11_E_NS1_11comp_targetILNS1_3genE5ELNS1_11target_archE942ELNS1_3gpuE9ELNS1_3repE0EEENS1_47radix_sort_onesweep_sort_config_static_selectorELNS0_4arch9wavefront6targetE1EEEvSI_,comdat
	.protected	_ZN7rocprim17ROCPRIM_400000_NS6detail17trampoline_kernelINS0_14default_configENS1_35radix_sort_onesweep_config_selectorIxxEEZZNS1_29radix_sort_onesweep_iterationIS3_Lb0EN6thrust23THRUST_200600_302600_NS6detail15normal_iteratorINS8_10device_ptrIxEEEESD_SD_SD_jNS0_19identity_decomposerENS1_16block_id_wrapperIjLb0EEEEE10hipError_tT1_PNSt15iterator_traitsISI_E10value_typeET2_T3_PNSJ_ISO_E10value_typeET4_T5_PST_SU_PNS1_23onesweep_lookback_stateEbbT6_jjT7_P12ihipStream_tbENKUlT_T0_SI_SN_E_clISD_SD_SD_SD_EEDaS11_S12_SI_SN_EUlS11_E_NS1_11comp_targetILNS1_3genE5ELNS1_11target_archE942ELNS1_3gpuE9ELNS1_3repE0EEENS1_47radix_sort_onesweep_sort_config_static_selectorELNS0_4arch9wavefront6targetE1EEEvSI_ ; -- Begin function _ZN7rocprim17ROCPRIM_400000_NS6detail17trampoline_kernelINS0_14default_configENS1_35radix_sort_onesweep_config_selectorIxxEEZZNS1_29radix_sort_onesweep_iterationIS3_Lb0EN6thrust23THRUST_200600_302600_NS6detail15normal_iteratorINS8_10device_ptrIxEEEESD_SD_SD_jNS0_19identity_decomposerENS1_16block_id_wrapperIjLb0EEEEE10hipError_tT1_PNSt15iterator_traitsISI_E10value_typeET2_T3_PNSJ_ISO_E10value_typeET4_T5_PST_SU_PNS1_23onesweep_lookback_stateEbbT6_jjT7_P12ihipStream_tbENKUlT_T0_SI_SN_E_clISD_SD_SD_SD_EEDaS11_S12_SI_SN_EUlS11_E_NS1_11comp_targetILNS1_3genE5ELNS1_11target_archE942ELNS1_3gpuE9ELNS1_3repE0EEENS1_47radix_sort_onesweep_sort_config_static_selectorELNS0_4arch9wavefront6targetE1EEEvSI_
	.globl	_ZN7rocprim17ROCPRIM_400000_NS6detail17trampoline_kernelINS0_14default_configENS1_35radix_sort_onesweep_config_selectorIxxEEZZNS1_29radix_sort_onesweep_iterationIS3_Lb0EN6thrust23THRUST_200600_302600_NS6detail15normal_iteratorINS8_10device_ptrIxEEEESD_SD_SD_jNS0_19identity_decomposerENS1_16block_id_wrapperIjLb0EEEEE10hipError_tT1_PNSt15iterator_traitsISI_E10value_typeET2_T3_PNSJ_ISO_E10value_typeET4_T5_PST_SU_PNS1_23onesweep_lookback_stateEbbT6_jjT7_P12ihipStream_tbENKUlT_T0_SI_SN_E_clISD_SD_SD_SD_EEDaS11_S12_SI_SN_EUlS11_E_NS1_11comp_targetILNS1_3genE5ELNS1_11target_archE942ELNS1_3gpuE9ELNS1_3repE0EEENS1_47radix_sort_onesweep_sort_config_static_selectorELNS0_4arch9wavefront6targetE1EEEvSI_
	.p2align	8
	.type	_ZN7rocprim17ROCPRIM_400000_NS6detail17trampoline_kernelINS0_14default_configENS1_35radix_sort_onesweep_config_selectorIxxEEZZNS1_29radix_sort_onesweep_iterationIS3_Lb0EN6thrust23THRUST_200600_302600_NS6detail15normal_iteratorINS8_10device_ptrIxEEEESD_SD_SD_jNS0_19identity_decomposerENS1_16block_id_wrapperIjLb0EEEEE10hipError_tT1_PNSt15iterator_traitsISI_E10value_typeET2_T3_PNSJ_ISO_E10value_typeET4_T5_PST_SU_PNS1_23onesweep_lookback_stateEbbT6_jjT7_P12ihipStream_tbENKUlT_T0_SI_SN_E_clISD_SD_SD_SD_EEDaS11_S12_SI_SN_EUlS11_E_NS1_11comp_targetILNS1_3genE5ELNS1_11target_archE942ELNS1_3gpuE9ELNS1_3repE0EEENS1_47radix_sort_onesweep_sort_config_static_selectorELNS0_4arch9wavefront6targetE1EEEvSI_,@function
_ZN7rocprim17ROCPRIM_400000_NS6detail17trampoline_kernelINS0_14default_configENS1_35radix_sort_onesweep_config_selectorIxxEEZZNS1_29radix_sort_onesweep_iterationIS3_Lb0EN6thrust23THRUST_200600_302600_NS6detail15normal_iteratorINS8_10device_ptrIxEEEESD_SD_SD_jNS0_19identity_decomposerENS1_16block_id_wrapperIjLb0EEEEE10hipError_tT1_PNSt15iterator_traitsISI_E10value_typeET2_T3_PNSJ_ISO_E10value_typeET4_T5_PST_SU_PNS1_23onesweep_lookback_stateEbbT6_jjT7_P12ihipStream_tbENKUlT_T0_SI_SN_E_clISD_SD_SD_SD_EEDaS11_S12_SI_SN_EUlS11_E_NS1_11comp_targetILNS1_3genE5ELNS1_11target_archE942ELNS1_3gpuE9ELNS1_3repE0EEENS1_47radix_sort_onesweep_sort_config_static_selectorELNS0_4arch9wavefront6targetE1EEEvSI_: ; @_ZN7rocprim17ROCPRIM_400000_NS6detail17trampoline_kernelINS0_14default_configENS1_35radix_sort_onesweep_config_selectorIxxEEZZNS1_29radix_sort_onesweep_iterationIS3_Lb0EN6thrust23THRUST_200600_302600_NS6detail15normal_iteratorINS8_10device_ptrIxEEEESD_SD_SD_jNS0_19identity_decomposerENS1_16block_id_wrapperIjLb0EEEEE10hipError_tT1_PNSt15iterator_traitsISI_E10value_typeET2_T3_PNSJ_ISO_E10value_typeET4_T5_PST_SU_PNS1_23onesweep_lookback_stateEbbT6_jjT7_P12ihipStream_tbENKUlT_T0_SI_SN_E_clISD_SD_SD_SD_EEDaS11_S12_SI_SN_EUlS11_E_NS1_11comp_targetILNS1_3genE5ELNS1_11target_archE942ELNS1_3gpuE9ELNS1_3repE0EEENS1_47radix_sort_onesweep_sort_config_static_selectorELNS0_4arch9wavefront6targetE1EEEvSI_
; %bb.0:
	.section	.rodata,"a",@progbits
	.p2align	6, 0x0
	.amdhsa_kernel _ZN7rocprim17ROCPRIM_400000_NS6detail17trampoline_kernelINS0_14default_configENS1_35radix_sort_onesweep_config_selectorIxxEEZZNS1_29radix_sort_onesweep_iterationIS3_Lb0EN6thrust23THRUST_200600_302600_NS6detail15normal_iteratorINS8_10device_ptrIxEEEESD_SD_SD_jNS0_19identity_decomposerENS1_16block_id_wrapperIjLb0EEEEE10hipError_tT1_PNSt15iterator_traitsISI_E10value_typeET2_T3_PNSJ_ISO_E10value_typeET4_T5_PST_SU_PNS1_23onesweep_lookback_stateEbbT6_jjT7_P12ihipStream_tbENKUlT_T0_SI_SN_E_clISD_SD_SD_SD_EEDaS11_S12_SI_SN_EUlS11_E_NS1_11comp_targetILNS1_3genE5ELNS1_11target_archE942ELNS1_3gpuE9ELNS1_3repE0EEENS1_47radix_sort_onesweep_sort_config_static_selectorELNS0_4arch9wavefront6targetE1EEEvSI_
		.amdhsa_group_segment_fixed_size 0
		.amdhsa_private_segment_fixed_size 0
		.amdhsa_kernarg_size 88
		.amdhsa_user_sgpr_count 2
		.amdhsa_user_sgpr_dispatch_ptr 0
		.amdhsa_user_sgpr_queue_ptr 0
		.amdhsa_user_sgpr_kernarg_segment_ptr 1
		.amdhsa_user_sgpr_dispatch_id 0
		.amdhsa_user_sgpr_kernarg_preload_length 0
		.amdhsa_user_sgpr_kernarg_preload_offset 0
		.amdhsa_user_sgpr_private_segment_size 0
		.amdhsa_uses_dynamic_stack 0
		.amdhsa_enable_private_segment 0
		.amdhsa_system_sgpr_workgroup_id_x 1
		.amdhsa_system_sgpr_workgroup_id_y 0
		.amdhsa_system_sgpr_workgroup_id_z 0
		.amdhsa_system_sgpr_workgroup_info 0
		.amdhsa_system_vgpr_workitem_id 0
		.amdhsa_next_free_vgpr 1
		.amdhsa_next_free_sgpr 0
		.amdhsa_accum_offset 4
		.amdhsa_reserve_vcc 0
		.amdhsa_float_round_mode_32 0
		.amdhsa_float_round_mode_16_64 0
		.amdhsa_float_denorm_mode_32 3
		.amdhsa_float_denorm_mode_16_64 3
		.amdhsa_dx10_clamp 1
		.amdhsa_ieee_mode 1
		.amdhsa_fp16_overflow 0
		.amdhsa_tg_split 0
		.amdhsa_exception_fp_ieee_invalid_op 0
		.amdhsa_exception_fp_denorm_src 0
		.amdhsa_exception_fp_ieee_div_zero 0
		.amdhsa_exception_fp_ieee_overflow 0
		.amdhsa_exception_fp_ieee_underflow 0
		.amdhsa_exception_fp_ieee_inexact 0
		.amdhsa_exception_int_div_zero 0
	.end_amdhsa_kernel
	.section	.text._ZN7rocprim17ROCPRIM_400000_NS6detail17trampoline_kernelINS0_14default_configENS1_35radix_sort_onesweep_config_selectorIxxEEZZNS1_29radix_sort_onesweep_iterationIS3_Lb0EN6thrust23THRUST_200600_302600_NS6detail15normal_iteratorINS8_10device_ptrIxEEEESD_SD_SD_jNS0_19identity_decomposerENS1_16block_id_wrapperIjLb0EEEEE10hipError_tT1_PNSt15iterator_traitsISI_E10value_typeET2_T3_PNSJ_ISO_E10value_typeET4_T5_PST_SU_PNS1_23onesweep_lookback_stateEbbT6_jjT7_P12ihipStream_tbENKUlT_T0_SI_SN_E_clISD_SD_SD_SD_EEDaS11_S12_SI_SN_EUlS11_E_NS1_11comp_targetILNS1_3genE5ELNS1_11target_archE942ELNS1_3gpuE9ELNS1_3repE0EEENS1_47radix_sort_onesweep_sort_config_static_selectorELNS0_4arch9wavefront6targetE1EEEvSI_,"axG",@progbits,_ZN7rocprim17ROCPRIM_400000_NS6detail17trampoline_kernelINS0_14default_configENS1_35radix_sort_onesweep_config_selectorIxxEEZZNS1_29radix_sort_onesweep_iterationIS3_Lb0EN6thrust23THRUST_200600_302600_NS6detail15normal_iteratorINS8_10device_ptrIxEEEESD_SD_SD_jNS0_19identity_decomposerENS1_16block_id_wrapperIjLb0EEEEE10hipError_tT1_PNSt15iterator_traitsISI_E10value_typeET2_T3_PNSJ_ISO_E10value_typeET4_T5_PST_SU_PNS1_23onesweep_lookback_stateEbbT6_jjT7_P12ihipStream_tbENKUlT_T0_SI_SN_E_clISD_SD_SD_SD_EEDaS11_S12_SI_SN_EUlS11_E_NS1_11comp_targetILNS1_3genE5ELNS1_11target_archE942ELNS1_3gpuE9ELNS1_3repE0EEENS1_47radix_sort_onesweep_sort_config_static_selectorELNS0_4arch9wavefront6targetE1EEEvSI_,comdat
.Lfunc_end1226:
	.size	_ZN7rocprim17ROCPRIM_400000_NS6detail17trampoline_kernelINS0_14default_configENS1_35radix_sort_onesweep_config_selectorIxxEEZZNS1_29radix_sort_onesweep_iterationIS3_Lb0EN6thrust23THRUST_200600_302600_NS6detail15normal_iteratorINS8_10device_ptrIxEEEESD_SD_SD_jNS0_19identity_decomposerENS1_16block_id_wrapperIjLb0EEEEE10hipError_tT1_PNSt15iterator_traitsISI_E10value_typeET2_T3_PNSJ_ISO_E10value_typeET4_T5_PST_SU_PNS1_23onesweep_lookback_stateEbbT6_jjT7_P12ihipStream_tbENKUlT_T0_SI_SN_E_clISD_SD_SD_SD_EEDaS11_S12_SI_SN_EUlS11_E_NS1_11comp_targetILNS1_3genE5ELNS1_11target_archE942ELNS1_3gpuE9ELNS1_3repE0EEENS1_47radix_sort_onesweep_sort_config_static_selectorELNS0_4arch9wavefront6targetE1EEEvSI_, .Lfunc_end1226-_ZN7rocprim17ROCPRIM_400000_NS6detail17trampoline_kernelINS0_14default_configENS1_35radix_sort_onesweep_config_selectorIxxEEZZNS1_29radix_sort_onesweep_iterationIS3_Lb0EN6thrust23THRUST_200600_302600_NS6detail15normal_iteratorINS8_10device_ptrIxEEEESD_SD_SD_jNS0_19identity_decomposerENS1_16block_id_wrapperIjLb0EEEEE10hipError_tT1_PNSt15iterator_traitsISI_E10value_typeET2_T3_PNSJ_ISO_E10value_typeET4_T5_PST_SU_PNS1_23onesweep_lookback_stateEbbT6_jjT7_P12ihipStream_tbENKUlT_T0_SI_SN_E_clISD_SD_SD_SD_EEDaS11_S12_SI_SN_EUlS11_E_NS1_11comp_targetILNS1_3genE5ELNS1_11target_archE942ELNS1_3gpuE9ELNS1_3repE0EEENS1_47radix_sort_onesweep_sort_config_static_selectorELNS0_4arch9wavefront6targetE1EEEvSI_
                                        ; -- End function
	.set _ZN7rocprim17ROCPRIM_400000_NS6detail17trampoline_kernelINS0_14default_configENS1_35radix_sort_onesweep_config_selectorIxxEEZZNS1_29radix_sort_onesweep_iterationIS3_Lb0EN6thrust23THRUST_200600_302600_NS6detail15normal_iteratorINS8_10device_ptrIxEEEESD_SD_SD_jNS0_19identity_decomposerENS1_16block_id_wrapperIjLb0EEEEE10hipError_tT1_PNSt15iterator_traitsISI_E10value_typeET2_T3_PNSJ_ISO_E10value_typeET4_T5_PST_SU_PNS1_23onesweep_lookback_stateEbbT6_jjT7_P12ihipStream_tbENKUlT_T0_SI_SN_E_clISD_SD_SD_SD_EEDaS11_S12_SI_SN_EUlS11_E_NS1_11comp_targetILNS1_3genE5ELNS1_11target_archE942ELNS1_3gpuE9ELNS1_3repE0EEENS1_47radix_sort_onesweep_sort_config_static_selectorELNS0_4arch9wavefront6targetE1EEEvSI_.num_vgpr, 0
	.set _ZN7rocprim17ROCPRIM_400000_NS6detail17trampoline_kernelINS0_14default_configENS1_35radix_sort_onesweep_config_selectorIxxEEZZNS1_29radix_sort_onesweep_iterationIS3_Lb0EN6thrust23THRUST_200600_302600_NS6detail15normal_iteratorINS8_10device_ptrIxEEEESD_SD_SD_jNS0_19identity_decomposerENS1_16block_id_wrapperIjLb0EEEEE10hipError_tT1_PNSt15iterator_traitsISI_E10value_typeET2_T3_PNSJ_ISO_E10value_typeET4_T5_PST_SU_PNS1_23onesweep_lookback_stateEbbT6_jjT7_P12ihipStream_tbENKUlT_T0_SI_SN_E_clISD_SD_SD_SD_EEDaS11_S12_SI_SN_EUlS11_E_NS1_11comp_targetILNS1_3genE5ELNS1_11target_archE942ELNS1_3gpuE9ELNS1_3repE0EEENS1_47radix_sort_onesweep_sort_config_static_selectorELNS0_4arch9wavefront6targetE1EEEvSI_.num_agpr, 0
	.set _ZN7rocprim17ROCPRIM_400000_NS6detail17trampoline_kernelINS0_14default_configENS1_35radix_sort_onesweep_config_selectorIxxEEZZNS1_29radix_sort_onesweep_iterationIS3_Lb0EN6thrust23THRUST_200600_302600_NS6detail15normal_iteratorINS8_10device_ptrIxEEEESD_SD_SD_jNS0_19identity_decomposerENS1_16block_id_wrapperIjLb0EEEEE10hipError_tT1_PNSt15iterator_traitsISI_E10value_typeET2_T3_PNSJ_ISO_E10value_typeET4_T5_PST_SU_PNS1_23onesweep_lookback_stateEbbT6_jjT7_P12ihipStream_tbENKUlT_T0_SI_SN_E_clISD_SD_SD_SD_EEDaS11_S12_SI_SN_EUlS11_E_NS1_11comp_targetILNS1_3genE5ELNS1_11target_archE942ELNS1_3gpuE9ELNS1_3repE0EEENS1_47radix_sort_onesweep_sort_config_static_selectorELNS0_4arch9wavefront6targetE1EEEvSI_.numbered_sgpr, 0
	.set _ZN7rocprim17ROCPRIM_400000_NS6detail17trampoline_kernelINS0_14default_configENS1_35radix_sort_onesweep_config_selectorIxxEEZZNS1_29radix_sort_onesweep_iterationIS3_Lb0EN6thrust23THRUST_200600_302600_NS6detail15normal_iteratorINS8_10device_ptrIxEEEESD_SD_SD_jNS0_19identity_decomposerENS1_16block_id_wrapperIjLb0EEEEE10hipError_tT1_PNSt15iterator_traitsISI_E10value_typeET2_T3_PNSJ_ISO_E10value_typeET4_T5_PST_SU_PNS1_23onesweep_lookback_stateEbbT6_jjT7_P12ihipStream_tbENKUlT_T0_SI_SN_E_clISD_SD_SD_SD_EEDaS11_S12_SI_SN_EUlS11_E_NS1_11comp_targetILNS1_3genE5ELNS1_11target_archE942ELNS1_3gpuE9ELNS1_3repE0EEENS1_47radix_sort_onesweep_sort_config_static_selectorELNS0_4arch9wavefront6targetE1EEEvSI_.num_named_barrier, 0
	.set _ZN7rocprim17ROCPRIM_400000_NS6detail17trampoline_kernelINS0_14default_configENS1_35radix_sort_onesweep_config_selectorIxxEEZZNS1_29radix_sort_onesweep_iterationIS3_Lb0EN6thrust23THRUST_200600_302600_NS6detail15normal_iteratorINS8_10device_ptrIxEEEESD_SD_SD_jNS0_19identity_decomposerENS1_16block_id_wrapperIjLb0EEEEE10hipError_tT1_PNSt15iterator_traitsISI_E10value_typeET2_T3_PNSJ_ISO_E10value_typeET4_T5_PST_SU_PNS1_23onesweep_lookback_stateEbbT6_jjT7_P12ihipStream_tbENKUlT_T0_SI_SN_E_clISD_SD_SD_SD_EEDaS11_S12_SI_SN_EUlS11_E_NS1_11comp_targetILNS1_3genE5ELNS1_11target_archE942ELNS1_3gpuE9ELNS1_3repE0EEENS1_47radix_sort_onesweep_sort_config_static_selectorELNS0_4arch9wavefront6targetE1EEEvSI_.private_seg_size, 0
	.set _ZN7rocprim17ROCPRIM_400000_NS6detail17trampoline_kernelINS0_14default_configENS1_35radix_sort_onesweep_config_selectorIxxEEZZNS1_29radix_sort_onesweep_iterationIS3_Lb0EN6thrust23THRUST_200600_302600_NS6detail15normal_iteratorINS8_10device_ptrIxEEEESD_SD_SD_jNS0_19identity_decomposerENS1_16block_id_wrapperIjLb0EEEEE10hipError_tT1_PNSt15iterator_traitsISI_E10value_typeET2_T3_PNSJ_ISO_E10value_typeET4_T5_PST_SU_PNS1_23onesweep_lookback_stateEbbT6_jjT7_P12ihipStream_tbENKUlT_T0_SI_SN_E_clISD_SD_SD_SD_EEDaS11_S12_SI_SN_EUlS11_E_NS1_11comp_targetILNS1_3genE5ELNS1_11target_archE942ELNS1_3gpuE9ELNS1_3repE0EEENS1_47radix_sort_onesweep_sort_config_static_selectorELNS0_4arch9wavefront6targetE1EEEvSI_.uses_vcc, 0
	.set _ZN7rocprim17ROCPRIM_400000_NS6detail17trampoline_kernelINS0_14default_configENS1_35radix_sort_onesweep_config_selectorIxxEEZZNS1_29radix_sort_onesweep_iterationIS3_Lb0EN6thrust23THRUST_200600_302600_NS6detail15normal_iteratorINS8_10device_ptrIxEEEESD_SD_SD_jNS0_19identity_decomposerENS1_16block_id_wrapperIjLb0EEEEE10hipError_tT1_PNSt15iterator_traitsISI_E10value_typeET2_T3_PNSJ_ISO_E10value_typeET4_T5_PST_SU_PNS1_23onesweep_lookback_stateEbbT6_jjT7_P12ihipStream_tbENKUlT_T0_SI_SN_E_clISD_SD_SD_SD_EEDaS11_S12_SI_SN_EUlS11_E_NS1_11comp_targetILNS1_3genE5ELNS1_11target_archE942ELNS1_3gpuE9ELNS1_3repE0EEENS1_47radix_sort_onesweep_sort_config_static_selectorELNS0_4arch9wavefront6targetE1EEEvSI_.uses_flat_scratch, 0
	.set _ZN7rocprim17ROCPRIM_400000_NS6detail17trampoline_kernelINS0_14default_configENS1_35radix_sort_onesweep_config_selectorIxxEEZZNS1_29radix_sort_onesweep_iterationIS3_Lb0EN6thrust23THRUST_200600_302600_NS6detail15normal_iteratorINS8_10device_ptrIxEEEESD_SD_SD_jNS0_19identity_decomposerENS1_16block_id_wrapperIjLb0EEEEE10hipError_tT1_PNSt15iterator_traitsISI_E10value_typeET2_T3_PNSJ_ISO_E10value_typeET4_T5_PST_SU_PNS1_23onesweep_lookback_stateEbbT6_jjT7_P12ihipStream_tbENKUlT_T0_SI_SN_E_clISD_SD_SD_SD_EEDaS11_S12_SI_SN_EUlS11_E_NS1_11comp_targetILNS1_3genE5ELNS1_11target_archE942ELNS1_3gpuE9ELNS1_3repE0EEENS1_47radix_sort_onesweep_sort_config_static_selectorELNS0_4arch9wavefront6targetE1EEEvSI_.has_dyn_sized_stack, 0
	.set _ZN7rocprim17ROCPRIM_400000_NS6detail17trampoline_kernelINS0_14default_configENS1_35radix_sort_onesweep_config_selectorIxxEEZZNS1_29radix_sort_onesweep_iterationIS3_Lb0EN6thrust23THRUST_200600_302600_NS6detail15normal_iteratorINS8_10device_ptrIxEEEESD_SD_SD_jNS0_19identity_decomposerENS1_16block_id_wrapperIjLb0EEEEE10hipError_tT1_PNSt15iterator_traitsISI_E10value_typeET2_T3_PNSJ_ISO_E10value_typeET4_T5_PST_SU_PNS1_23onesweep_lookback_stateEbbT6_jjT7_P12ihipStream_tbENKUlT_T0_SI_SN_E_clISD_SD_SD_SD_EEDaS11_S12_SI_SN_EUlS11_E_NS1_11comp_targetILNS1_3genE5ELNS1_11target_archE942ELNS1_3gpuE9ELNS1_3repE0EEENS1_47radix_sort_onesweep_sort_config_static_selectorELNS0_4arch9wavefront6targetE1EEEvSI_.has_recursion, 0
	.set _ZN7rocprim17ROCPRIM_400000_NS6detail17trampoline_kernelINS0_14default_configENS1_35radix_sort_onesweep_config_selectorIxxEEZZNS1_29radix_sort_onesweep_iterationIS3_Lb0EN6thrust23THRUST_200600_302600_NS6detail15normal_iteratorINS8_10device_ptrIxEEEESD_SD_SD_jNS0_19identity_decomposerENS1_16block_id_wrapperIjLb0EEEEE10hipError_tT1_PNSt15iterator_traitsISI_E10value_typeET2_T3_PNSJ_ISO_E10value_typeET4_T5_PST_SU_PNS1_23onesweep_lookback_stateEbbT6_jjT7_P12ihipStream_tbENKUlT_T0_SI_SN_E_clISD_SD_SD_SD_EEDaS11_S12_SI_SN_EUlS11_E_NS1_11comp_targetILNS1_3genE5ELNS1_11target_archE942ELNS1_3gpuE9ELNS1_3repE0EEENS1_47radix_sort_onesweep_sort_config_static_selectorELNS0_4arch9wavefront6targetE1EEEvSI_.has_indirect_call, 0
	.section	.AMDGPU.csdata,"",@progbits
; Kernel info:
; codeLenInByte = 0
; TotalNumSgprs: 6
; NumVgprs: 0
; NumAgprs: 0
; TotalNumVgprs: 0
; ScratchSize: 0
; MemoryBound: 0
; FloatMode: 240
; IeeeMode: 1
; LDSByteSize: 0 bytes/workgroup (compile time only)
; SGPRBlocks: 0
; VGPRBlocks: 0
; NumSGPRsForWavesPerEU: 6
; NumVGPRsForWavesPerEU: 1
; AccumOffset: 4
; Occupancy: 8
; WaveLimiterHint : 0
; COMPUTE_PGM_RSRC2:SCRATCH_EN: 0
; COMPUTE_PGM_RSRC2:USER_SGPR: 2
; COMPUTE_PGM_RSRC2:TRAP_HANDLER: 0
; COMPUTE_PGM_RSRC2:TGID_X_EN: 1
; COMPUTE_PGM_RSRC2:TGID_Y_EN: 0
; COMPUTE_PGM_RSRC2:TGID_Z_EN: 0
; COMPUTE_PGM_RSRC2:TIDIG_COMP_CNT: 0
; COMPUTE_PGM_RSRC3_GFX90A:ACCUM_OFFSET: 0
; COMPUTE_PGM_RSRC3_GFX90A:TG_SPLIT: 0
	.section	.text._ZN7rocprim17ROCPRIM_400000_NS6detail17trampoline_kernelINS0_14default_configENS1_35radix_sort_onesweep_config_selectorIxxEEZZNS1_29radix_sort_onesweep_iterationIS3_Lb0EN6thrust23THRUST_200600_302600_NS6detail15normal_iteratorINS8_10device_ptrIxEEEESD_SD_SD_jNS0_19identity_decomposerENS1_16block_id_wrapperIjLb0EEEEE10hipError_tT1_PNSt15iterator_traitsISI_E10value_typeET2_T3_PNSJ_ISO_E10value_typeET4_T5_PST_SU_PNS1_23onesweep_lookback_stateEbbT6_jjT7_P12ihipStream_tbENKUlT_T0_SI_SN_E_clISD_SD_SD_SD_EEDaS11_S12_SI_SN_EUlS11_E_NS1_11comp_targetILNS1_3genE2ELNS1_11target_archE906ELNS1_3gpuE6ELNS1_3repE0EEENS1_47radix_sort_onesweep_sort_config_static_selectorELNS0_4arch9wavefront6targetE1EEEvSI_,"axG",@progbits,_ZN7rocprim17ROCPRIM_400000_NS6detail17trampoline_kernelINS0_14default_configENS1_35radix_sort_onesweep_config_selectorIxxEEZZNS1_29radix_sort_onesweep_iterationIS3_Lb0EN6thrust23THRUST_200600_302600_NS6detail15normal_iteratorINS8_10device_ptrIxEEEESD_SD_SD_jNS0_19identity_decomposerENS1_16block_id_wrapperIjLb0EEEEE10hipError_tT1_PNSt15iterator_traitsISI_E10value_typeET2_T3_PNSJ_ISO_E10value_typeET4_T5_PST_SU_PNS1_23onesweep_lookback_stateEbbT6_jjT7_P12ihipStream_tbENKUlT_T0_SI_SN_E_clISD_SD_SD_SD_EEDaS11_S12_SI_SN_EUlS11_E_NS1_11comp_targetILNS1_3genE2ELNS1_11target_archE906ELNS1_3gpuE6ELNS1_3repE0EEENS1_47radix_sort_onesweep_sort_config_static_selectorELNS0_4arch9wavefront6targetE1EEEvSI_,comdat
	.protected	_ZN7rocprim17ROCPRIM_400000_NS6detail17trampoline_kernelINS0_14default_configENS1_35radix_sort_onesweep_config_selectorIxxEEZZNS1_29radix_sort_onesweep_iterationIS3_Lb0EN6thrust23THRUST_200600_302600_NS6detail15normal_iteratorINS8_10device_ptrIxEEEESD_SD_SD_jNS0_19identity_decomposerENS1_16block_id_wrapperIjLb0EEEEE10hipError_tT1_PNSt15iterator_traitsISI_E10value_typeET2_T3_PNSJ_ISO_E10value_typeET4_T5_PST_SU_PNS1_23onesweep_lookback_stateEbbT6_jjT7_P12ihipStream_tbENKUlT_T0_SI_SN_E_clISD_SD_SD_SD_EEDaS11_S12_SI_SN_EUlS11_E_NS1_11comp_targetILNS1_3genE2ELNS1_11target_archE906ELNS1_3gpuE6ELNS1_3repE0EEENS1_47radix_sort_onesweep_sort_config_static_selectorELNS0_4arch9wavefront6targetE1EEEvSI_ ; -- Begin function _ZN7rocprim17ROCPRIM_400000_NS6detail17trampoline_kernelINS0_14default_configENS1_35radix_sort_onesweep_config_selectorIxxEEZZNS1_29radix_sort_onesweep_iterationIS3_Lb0EN6thrust23THRUST_200600_302600_NS6detail15normal_iteratorINS8_10device_ptrIxEEEESD_SD_SD_jNS0_19identity_decomposerENS1_16block_id_wrapperIjLb0EEEEE10hipError_tT1_PNSt15iterator_traitsISI_E10value_typeET2_T3_PNSJ_ISO_E10value_typeET4_T5_PST_SU_PNS1_23onesweep_lookback_stateEbbT6_jjT7_P12ihipStream_tbENKUlT_T0_SI_SN_E_clISD_SD_SD_SD_EEDaS11_S12_SI_SN_EUlS11_E_NS1_11comp_targetILNS1_3genE2ELNS1_11target_archE906ELNS1_3gpuE6ELNS1_3repE0EEENS1_47radix_sort_onesweep_sort_config_static_selectorELNS0_4arch9wavefront6targetE1EEEvSI_
	.globl	_ZN7rocprim17ROCPRIM_400000_NS6detail17trampoline_kernelINS0_14default_configENS1_35radix_sort_onesweep_config_selectorIxxEEZZNS1_29radix_sort_onesweep_iterationIS3_Lb0EN6thrust23THRUST_200600_302600_NS6detail15normal_iteratorINS8_10device_ptrIxEEEESD_SD_SD_jNS0_19identity_decomposerENS1_16block_id_wrapperIjLb0EEEEE10hipError_tT1_PNSt15iterator_traitsISI_E10value_typeET2_T3_PNSJ_ISO_E10value_typeET4_T5_PST_SU_PNS1_23onesweep_lookback_stateEbbT6_jjT7_P12ihipStream_tbENKUlT_T0_SI_SN_E_clISD_SD_SD_SD_EEDaS11_S12_SI_SN_EUlS11_E_NS1_11comp_targetILNS1_3genE2ELNS1_11target_archE906ELNS1_3gpuE6ELNS1_3repE0EEENS1_47radix_sort_onesweep_sort_config_static_selectorELNS0_4arch9wavefront6targetE1EEEvSI_
	.p2align	8
	.type	_ZN7rocprim17ROCPRIM_400000_NS6detail17trampoline_kernelINS0_14default_configENS1_35radix_sort_onesweep_config_selectorIxxEEZZNS1_29radix_sort_onesweep_iterationIS3_Lb0EN6thrust23THRUST_200600_302600_NS6detail15normal_iteratorINS8_10device_ptrIxEEEESD_SD_SD_jNS0_19identity_decomposerENS1_16block_id_wrapperIjLb0EEEEE10hipError_tT1_PNSt15iterator_traitsISI_E10value_typeET2_T3_PNSJ_ISO_E10value_typeET4_T5_PST_SU_PNS1_23onesweep_lookback_stateEbbT6_jjT7_P12ihipStream_tbENKUlT_T0_SI_SN_E_clISD_SD_SD_SD_EEDaS11_S12_SI_SN_EUlS11_E_NS1_11comp_targetILNS1_3genE2ELNS1_11target_archE906ELNS1_3gpuE6ELNS1_3repE0EEENS1_47radix_sort_onesweep_sort_config_static_selectorELNS0_4arch9wavefront6targetE1EEEvSI_,@function
_ZN7rocprim17ROCPRIM_400000_NS6detail17trampoline_kernelINS0_14default_configENS1_35radix_sort_onesweep_config_selectorIxxEEZZNS1_29radix_sort_onesweep_iterationIS3_Lb0EN6thrust23THRUST_200600_302600_NS6detail15normal_iteratorINS8_10device_ptrIxEEEESD_SD_SD_jNS0_19identity_decomposerENS1_16block_id_wrapperIjLb0EEEEE10hipError_tT1_PNSt15iterator_traitsISI_E10value_typeET2_T3_PNSJ_ISO_E10value_typeET4_T5_PST_SU_PNS1_23onesweep_lookback_stateEbbT6_jjT7_P12ihipStream_tbENKUlT_T0_SI_SN_E_clISD_SD_SD_SD_EEDaS11_S12_SI_SN_EUlS11_E_NS1_11comp_targetILNS1_3genE2ELNS1_11target_archE906ELNS1_3gpuE6ELNS1_3repE0EEENS1_47radix_sort_onesweep_sort_config_static_selectorELNS0_4arch9wavefront6targetE1EEEvSI_: ; @_ZN7rocprim17ROCPRIM_400000_NS6detail17trampoline_kernelINS0_14default_configENS1_35radix_sort_onesweep_config_selectorIxxEEZZNS1_29radix_sort_onesweep_iterationIS3_Lb0EN6thrust23THRUST_200600_302600_NS6detail15normal_iteratorINS8_10device_ptrIxEEEESD_SD_SD_jNS0_19identity_decomposerENS1_16block_id_wrapperIjLb0EEEEE10hipError_tT1_PNSt15iterator_traitsISI_E10value_typeET2_T3_PNSJ_ISO_E10value_typeET4_T5_PST_SU_PNS1_23onesweep_lookback_stateEbbT6_jjT7_P12ihipStream_tbENKUlT_T0_SI_SN_E_clISD_SD_SD_SD_EEDaS11_S12_SI_SN_EUlS11_E_NS1_11comp_targetILNS1_3genE2ELNS1_11target_archE906ELNS1_3gpuE6ELNS1_3repE0EEENS1_47radix_sort_onesweep_sort_config_static_selectorELNS0_4arch9wavefront6targetE1EEEvSI_
; %bb.0:
	.section	.rodata,"a",@progbits
	.p2align	6, 0x0
	.amdhsa_kernel _ZN7rocprim17ROCPRIM_400000_NS6detail17trampoline_kernelINS0_14default_configENS1_35radix_sort_onesweep_config_selectorIxxEEZZNS1_29radix_sort_onesweep_iterationIS3_Lb0EN6thrust23THRUST_200600_302600_NS6detail15normal_iteratorINS8_10device_ptrIxEEEESD_SD_SD_jNS0_19identity_decomposerENS1_16block_id_wrapperIjLb0EEEEE10hipError_tT1_PNSt15iterator_traitsISI_E10value_typeET2_T3_PNSJ_ISO_E10value_typeET4_T5_PST_SU_PNS1_23onesweep_lookback_stateEbbT6_jjT7_P12ihipStream_tbENKUlT_T0_SI_SN_E_clISD_SD_SD_SD_EEDaS11_S12_SI_SN_EUlS11_E_NS1_11comp_targetILNS1_3genE2ELNS1_11target_archE906ELNS1_3gpuE6ELNS1_3repE0EEENS1_47radix_sort_onesweep_sort_config_static_selectorELNS0_4arch9wavefront6targetE1EEEvSI_
		.amdhsa_group_segment_fixed_size 0
		.amdhsa_private_segment_fixed_size 0
		.amdhsa_kernarg_size 88
		.amdhsa_user_sgpr_count 2
		.amdhsa_user_sgpr_dispatch_ptr 0
		.amdhsa_user_sgpr_queue_ptr 0
		.amdhsa_user_sgpr_kernarg_segment_ptr 1
		.amdhsa_user_sgpr_dispatch_id 0
		.amdhsa_user_sgpr_kernarg_preload_length 0
		.amdhsa_user_sgpr_kernarg_preload_offset 0
		.amdhsa_user_sgpr_private_segment_size 0
		.amdhsa_uses_dynamic_stack 0
		.amdhsa_enable_private_segment 0
		.amdhsa_system_sgpr_workgroup_id_x 1
		.amdhsa_system_sgpr_workgroup_id_y 0
		.amdhsa_system_sgpr_workgroup_id_z 0
		.amdhsa_system_sgpr_workgroup_info 0
		.amdhsa_system_vgpr_workitem_id 0
		.amdhsa_next_free_vgpr 1
		.amdhsa_next_free_sgpr 0
		.amdhsa_accum_offset 4
		.amdhsa_reserve_vcc 0
		.amdhsa_float_round_mode_32 0
		.amdhsa_float_round_mode_16_64 0
		.amdhsa_float_denorm_mode_32 3
		.amdhsa_float_denorm_mode_16_64 3
		.amdhsa_dx10_clamp 1
		.amdhsa_ieee_mode 1
		.amdhsa_fp16_overflow 0
		.amdhsa_tg_split 0
		.amdhsa_exception_fp_ieee_invalid_op 0
		.amdhsa_exception_fp_denorm_src 0
		.amdhsa_exception_fp_ieee_div_zero 0
		.amdhsa_exception_fp_ieee_overflow 0
		.amdhsa_exception_fp_ieee_underflow 0
		.amdhsa_exception_fp_ieee_inexact 0
		.amdhsa_exception_int_div_zero 0
	.end_amdhsa_kernel
	.section	.text._ZN7rocprim17ROCPRIM_400000_NS6detail17trampoline_kernelINS0_14default_configENS1_35radix_sort_onesweep_config_selectorIxxEEZZNS1_29radix_sort_onesweep_iterationIS3_Lb0EN6thrust23THRUST_200600_302600_NS6detail15normal_iteratorINS8_10device_ptrIxEEEESD_SD_SD_jNS0_19identity_decomposerENS1_16block_id_wrapperIjLb0EEEEE10hipError_tT1_PNSt15iterator_traitsISI_E10value_typeET2_T3_PNSJ_ISO_E10value_typeET4_T5_PST_SU_PNS1_23onesweep_lookback_stateEbbT6_jjT7_P12ihipStream_tbENKUlT_T0_SI_SN_E_clISD_SD_SD_SD_EEDaS11_S12_SI_SN_EUlS11_E_NS1_11comp_targetILNS1_3genE2ELNS1_11target_archE906ELNS1_3gpuE6ELNS1_3repE0EEENS1_47radix_sort_onesweep_sort_config_static_selectorELNS0_4arch9wavefront6targetE1EEEvSI_,"axG",@progbits,_ZN7rocprim17ROCPRIM_400000_NS6detail17trampoline_kernelINS0_14default_configENS1_35radix_sort_onesweep_config_selectorIxxEEZZNS1_29radix_sort_onesweep_iterationIS3_Lb0EN6thrust23THRUST_200600_302600_NS6detail15normal_iteratorINS8_10device_ptrIxEEEESD_SD_SD_jNS0_19identity_decomposerENS1_16block_id_wrapperIjLb0EEEEE10hipError_tT1_PNSt15iterator_traitsISI_E10value_typeET2_T3_PNSJ_ISO_E10value_typeET4_T5_PST_SU_PNS1_23onesweep_lookback_stateEbbT6_jjT7_P12ihipStream_tbENKUlT_T0_SI_SN_E_clISD_SD_SD_SD_EEDaS11_S12_SI_SN_EUlS11_E_NS1_11comp_targetILNS1_3genE2ELNS1_11target_archE906ELNS1_3gpuE6ELNS1_3repE0EEENS1_47radix_sort_onesweep_sort_config_static_selectorELNS0_4arch9wavefront6targetE1EEEvSI_,comdat
.Lfunc_end1227:
	.size	_ZN7rocprim17ROCPRIM_400000_NS6detail17trampoline_kernelINS0_14default_configENS1_35radix_sort_onesweep_config_selectorIxxEEZZNS1_29radix_sort_onesweep_iterationIS3_Lb0EN6thrust23THRUST_200600_302600_NS6detail15normal_iteratorINS8_10device_ptrIxEEEESD_SD_SD_jNS0_19identity_decomposerENS1_16block_id_wrapperIjLb0EEEEE10hipError_tT1_PNSt15iterator_traitsISI_E10value_typeET2_T3_PNSJ_ISO_E10value_typeET4_T5_PST_SU_PNS1_23onesweep_lookback_stateEbbT6_jjT7_P12ihipStream_tbENKUlT_T0_SI_SN_E_clISD_SD_SD_SD_EEDaS11_S12_SI_SN_EUlS11_E_NS1_11comp_targetILNS1_3genE2ELNS1_11target_archE906ELNS1_3gpuE6ELNS1_3repE0EEENS1_47radix_sort_onesweep_sort_config_static_selectorELNS0_4arch9wavefront6targetE1EEEvSI_, .Lfunc_end1227-_ZN7rocprim17ROCPRIM_400000_NS6detail17trampoline_kernelINS0_14default_configENS1_35radix_sort_onesweep_config_selectorIxxEEZZNS1_29radix_sort_onesweep_iterationIS3_Lb0EN6thrust23THRUST_200600_302600_NS6detail15normal_iteratorINS8_10device_ptrIxEEEESD_SD_SD_jNS0_19identity_decomposerENS1_16block_id_wrapperIjLb0EEEEE10hipError_tT1_PNSt15iterator_traitsISI_E10value_typeET2_T3_PNSJ_ISO_E10value_typeET4_T5_PST_SU_PNS1_23onesweep_lookback_stateEbbT6_jjT7_P12ihipStream_tbENKUlT_T0_SI_SN_E_clISD_SD_SD_SD_EEDaS11_S12_SI_SN_EUlS11_E_NS1_11comp_targetILNS1_3genE2ELNS1_11target_archE906ELNS1_3gpuE6ELNS1_3repE0EEENS1_47radix_sort_onesweep_sort_config_static_selectorELNS0_4arch9wavefront6targetE1EEEvSI_
                                        ; -- End function
	.set _ZN7rocprim17ROCPRIM_400000_NS6detail17trampoline_kernelINS0_14default_configENS1_35radix_sort_onesweep_config_selectorIxxEEZZNS1_29radix_sort_onesweep_iterationIS3_Lb0EN6thrust23THRUST_200600_302600_NS6detail15normal_iteratorINS8_10device_ptrIxEEEESD_SD_SD_jNS0_19identity_decomposerENS1_16block_id_wrapperIjLb0EEEEE10hipError_tT1_PNSt15iterator_traitsISI_E10value_typeET2_T3_PNSJ_ISO_E10value_typeET4_T5_PST_SU_PNS1_23onesweep_lookback_stateEbbT6_jjT7_P12ihipStream_tbENKUlT_T0_SI_SN_E_clISD_SD_SD_SD_EEDaS11_S12_SI_SN_EUlS11_E_NS1_11comp_targetILNS1_3genE2ELNS1_11target_archE906ELNS1_3gpuE6ELNS1_3repE0EEENS1_47radix_sort_onesweep_sort_config_static_selectorELNS0_4arch9wavefront6targetE1EEEvSI_.num_vgpr, 0
	.set _ZN7rocprim17ROCPRIM_400000_NS6detail17trampoline_kernelINS0_14default_configENS1_35radix_sort_onesweep_config_selectorIxxEEZZNS1_29radix_sort_onesweep_iterationIS3_Lb0EN6thrust23THRUST_200600_302600_NS6detail15normal_iteratorINS8_10device_ptrIxEEEESD_SD_SD_jNS0_19identity_decomposerENS1_16block_id_wrapperIjLb0EEEEE10hipError_tT1_PNSt15iterator_traitsISI_E10value_typeET2_T3_PNSJ_ISO_E10value_typeET4_T5_PST_SU_PNS1_23onesweep_lookback_stateEbbT6_jjT7_P12ihipStream_tbENKUlT_T0_SI_SN_E_clISD_SD_SD_SD_EEDaS11_S12_SI_SN_EUlS11_E_NS1_11comp_targetILNS1_3genE2ELNS1_11target_archE906ELNS1_3gpuE6ELNS1_3repE0EEENS1_47radix_sort_onesweep_sort_config_static_selectorELNS0_4arch9wavefront6targetE1EEEvSI_.num_agpr, 0
	.set _ZN7rocprim17ROCPRIM_400000_NS6detail17trampoline_kernelINS0_14default_configENS1_35radix_sort_onesweep_config_selectorIxxEEZZNS1_29radix_sort_onesweep_iterationIS3_Lb0EN6thrust23THRUST_200600_302600_NS6detail15normal_iteratorINS8_10device_ptrIxEEEESD_SD_SD_jNS0_19identity_decomposerENS1_16block_id_wrapperIjLb0EEEEE10hipError_tT1_PNSt15iterator_traitsISI_E10value_typeET2_T3_PNSJ_ISO_E10value_typeET4_T5_PST_SU_PNS1_23onesweep_lookback_stateEbbT6_jjT7_P12ihipStream_tbENKUlT_T0_SI_SN_E_clISD_SD_SD_SD_EEDaS11_S12_SI_SN_EUlS11_E_NS1_11comp_targetILNS1_3genE2ELNS1_11target_archE906ELNS1_3gpuE6ELNS1_3repE0EEENS1_47radix_sort_onesweep_sort_config_static_selectorELNS0_4arch9wavefront6targetE1EEEvSI_.numbered_sgpr, 0
	.set _ZN7rocprim17ROCPRIM_400000_NS6detail17trampoline_kernelINS0_14default_configENS1_35radix_sort_onesweep_config_selectorIxxEEZZNS1_29radix_sort_onesweep_iterationIS3_Lb0EN6thrust23THRUST_200600_302600_NS6detail15normal_iteratorINS8_10device_ptrIxEEEESD_SD_SD_jNS0_19identity_decomposerENS1_16block_id_wrapperIjLb0EEEEE10hipError_tT1_PNSt15iterator_traitsISI_E10value_typeET2_T3_PNSJ_ISO_E10value_typeET4_T5_PST_SU_PNS1_23onesweep_lookback_stateEbbT6_jjT7_P12ihipStream_tbENKUlT_T0_SI_SN_E_clISD_SD_SD_SD_EEDaS11_S12_SI_SN_EUlS11_E_NS1_11comp_targetILNS1_3genE2ELNS1_11target_archE906ELNS1_3gpuE6ELNS1_3repE0EEENS1_47radix_sort_onesweep_sort_config_static_selectorELNS0_4arch9wavefront6targetE1EEEvSI_.num_named_barrier, 0
	.set _ZN7rocprim17ROCPRIM_400000_NS6detail17trampoline_kernelINS0_14default_configENS1_35radix_sort_onesweep_config_selectorIxxEEZZNS1_29radix_sort_onesweep_iterationIS3_Lb0EN6thrust23THRUST_200600_302600_NS6detail15normal_iteratorINS8_10device_ptrIxEEEESD_SD_SD_jNS0_19identity_decomposerENS1_16block_id_wrapperIjLb0EEEEE10hipError_tT1_PNSt15iterator_traitsISI_E10value_typeET2_T3_PNSJ_ISO_E10value_typeET4_T5_PST_SU_PNS1_23onesweep_lookback_stateEbbT6_jjT7_P12ihipStream_tbENKUlT_T0_SI_SN_E_clISD_SD_SD_SD_EEDaS11_S12_SI_SN_EUlS11_E_NS1_11comp_targetILNS1_3genE2ELNS1_11target_archE906ELNS1_3gpuE6ELNS1_3repE0EEENS1_47radix_sort_onesweep_sort_config_static_selectorELNS0_4arch9wavefront6targetE1EEEvSI_.private_seg_size, 0
	.set _ZN7rocprim17ROCPRIM_400000_NS6detail17trampoline_kernelINS0_14default_configENS1_35radix_sort_onesweep_config_selectorIxxEEZZNS1_29radix_sort_onesweep_iterationIS3_Lb0EN6thrust23THRUST_200600_302600_NS6detail15normal_iteratorINS8_10device_ptrIxEEEESD_SD_SD_jNS0_19identity_decomposerENS1_16block_id_wrapperIjLb0EEEEE10hipError_tT1_PNSt15iterator_traitsISI_E10value_typeET2_T3_PNSJ_ISO_E10value_typeET4_T5_PST_SU_PNS1_23onesweep_lookback_stateEbbT6_jjT7_P12ihipStream_tbENKUlT_T0_SI_SN_E_clISD_SD_SD_SD_EEDaS11_S12_SI_SN_EUlS11_E_NS1_11comp_targetILNS1_3genE2ELNS1_11target_archE906ELNS1_3gpuE6ELNS1_3repE0EEENS1_47radix_sort_onesweep_sort_config_static_selectorELNS0_4arch9wavefront6targetE1EEEvSI_.uses_vcc, 0
	.set _ZN7rocprim17ROCPRIM_400000_NS6detail17trampoline_kernelINS0_14default_configENS1_35radix_sort_onesweep_config_selectorIxxEEZZNS1_29radix_sort_onesweep_iterationIS3_Lb0EN6thrust23THRUST_200600_302600_NS6detail15normal_iteratorINS8_10device_ptrIxEEEESD_SD_SD_jNS0_19identity_decomposerENS1_16block_id_wrapperIjLb0EEEEE10hipError_tT1_PNSt15iterator_traitsISI_E10value_typeET2_T3_PNSJ_ISO_E10value_typeET4_T5_PST_SU_PNS1_23onesweep_lookback_stateEbbT6_jjT7_P12ihipStream_tbENKUlT_T0_SI_SN_E_clISD_SD_SD_SD_EEDaS11_S12_SI_SN_EUlS11_E_NS1_11comp_targetILNS1_3genE2ELNS1_11target_archE906ELNS1_3gpuE6ELNS1_3repE0EEENS1_47radix_sort_onesweep_sort_config_static_selectorELNS0_4arch9wavefront6targetE1EEEvSI_.uses_flat_scratch, 0
	.set _ZN7rocprim17ROCPRIM_400000_NS6detail17trampoline_kernelINS0_14default_configENS1_35radix_sort_onesweep_config_selectorIxxEEZZNS1_29radix_sort_onesweep_iterationIS3_Lb0EN6thrust23THRUST_200600_302600_NS6detail15normal_iteratorINS8_10device_ptrIxEEEESD_SD_SD_jNS0_19identity_decomposerENS1_16block_id_wrapperIjLb0EEEEE10hipError_tT1_PNSt15iterator_traitsISI_E10value_typeET2_T3_PNSJ_ISO_E10value_typeET4_T5_PST_SU_PNS1_23onesweep_lookback_stateEbbT6_jjT7_P12ihipStream_tbENKUlT_T0_SI_SN_E_clISD_SD_SD_SD_EEDaS11_S12_SI_SN_EUlS11_E_NS1_11comp_targetILNS1_3genE2ELNS1_11target_archE906ELNS1_3gpuE6ELNS1_3repE0EEENS1_47radix_sort_onesweep_sort_config_static_selectorELNS0_4arch9wavefront6targetE1EEEvSI_.has_dyn_sized_stack, 0
	.set _ZN7rocprim17ROCPRIM_400000_NS6detail17trampoline_kernelINS0_14default_configENS1_35radix_sort_onesweep_config_selectorIxxEEZZNS1_29radix_sort_onesweep_iterationIS3_Lb0EN6thrust23THRUST_200600_302600_NS6detail15normal_iteratorINS8_10device_ptrIxEEEESD_SD_SD_jNS0_19identity_decomposerENS1_16block_id_wrapperIjLb0EEEEE10hipError_tT1_PNSt15iterator_traitsISI_E10value_typeET2_T3_PNSJ_ISO_E10value_typeET4_T5_PST_SU_PNS1_23onesweep_lookback_stateEbbT6_jjT7_P12ihipStream_tbENKUlT_T0_SI_SN_E_clISD_SD_SD_SD_EEDaS11_S12_SI_SN_EUlS11_E_NS1_11comp_targetILNS1_3genE2ELNS1_11target_archE906ELNS1_3gpuE6ELNS1_3repE0EEENS1_47radix_sort_onesweep_sort_config_static_selectorELNS0_4arch9wavefront6targetE1EEEvSI_.has_recursion, 0
	.set _ZN7rocprim17ROCPRIM_400000_NS6detail17trampoline_kernelINS0_14default_configENS1_35radix_sort_onesweep_config_selectorIxxEEZZNS1_29radix_sort_onesweep_iterationIS3_Lb0EN6thrust23THRUST_200600_302600_NS6detail15normal_iteratorINS8_10device_ptrIxEEEESD_SD_SD_jNS0_19identity_decomposerENS1_16block_id_wrapperIjLb0EEEEE10hipError_tT1_PNSt15iterator_traitsISI_E10value_typeET2_T3_PNSJ_ISO_E10value_typeET4_T5_PST_SU_PNS1_23onesweep_lookback_stateEbbT6_jjT7_P12ihipStream_tbENKUlT_T0_SI_SN_E_clISD_SD_SD_SD_EEDaS11_S12_SI_SN_EUlS11_E_NS1_11comp_targetILNS1_3genE2ELNS1_11target_archE906ELNS1_3gpuE6ELNS1_3repE0EEENS1_47radix_sort_onesweep_sort_config_static_selectorELNS0_4arch9wavefront6targetE1EEEvSI_.has_indirect_call, 0
	.section	.AMDGPU.csdata,"",@progbits
; Kernel info:
; codeLenInByte = 0
; TotalNumSgprs: 6
; NumVgprs: 0
; NumAgprs: 0
; TotalNumVgprs: 0
; ScratchSize: 0
; MemoryBound: 0
; FloatMode: 240
; IeeeMode: 1
; LDSByteSize: 0 bytes/workgroup (compile time only)
; SGPRBlocks: 0
; VGPRBlocks: 0
; NumSGPRsForWavesPerEU: 6
; NumVGPRsForWavesPerEU: 1
; AccumOffset: 4
; Occupancy: 8
; WaveLimiterHint : 0
; COMPUTE_PGM_RSRC2:SCRATCH_EN: 0
; COMPUTE_PGM_RSRC2:USER_SGPR: 2
; COMPUTE_PGM_RSRC2:TRAP_HANDLER: 0
; COMPUTE_PGM_RSRC2:TGID_X_EN: 1
; COMPUTE_PGM_RSRC2:TGID_Y_EN: 0
; COMPUTE_PGM_RSRC2:TGID_Z_EN: 0
; COMPUTE_PGM_RSRC2:TIDIG_COMP_CNT: 0
; COMPUTE_PGM_RSRC3_GFX90A:ACCUM_OFFSET: 0
; COMPUTE_PGM_RSRC3_GFX90A:TG_SPLIT: 0
	.section	.text._ZN7rocprim17ROCPRIM_400000_NS6detail17trampoline_kernelINS0_14default_configENS1_35radix_sort_onesweep_config_selectorIxxEEZZNS1_29radix_sort_onesweep_iterationIS3_Lb0EN6thrust23THRUST_200600_302600_NS6detail15normal_iteratorINS8_10device_ptrIxEEEESD_SD_SD_jNS0_19identity_decomposerENS1_16block_id_wrapperIjLb0EEEEE10hipError_tT1_PNSt15iterator_traitsISI_E10value_typeET2_T3_PNSJ_ISO_E10value_typeET4_T5_PST_SU_PNS1_23onesweep_lookback_stateEbbT6_jjT7_P12ihipStream_tbENKUlT_T0_SI_SN_E_clISD_SD_SD_SD_EEDaS11_S12_SI_SN_EUlS11_E_NS1_11comp_targetILNS1_3genE4ELNS1_11target_archE910ELNS1_3gpuE8ELNS1_3repE0EEENS1_47radix_sort_onesweep_sort_config_static_selectorELNS0_4arch9wavefront6targetE1EEEvSI_,"axG",@progbits,_ZN7rocprim17ROCPRIM_400000_NS6detail17trampoline_kernelINS0_14default_configENS1_35radix_sort_onesweep_config_selectorIxxEEZZNS1_29radix_sort_onesweep_iterationIS3_Lb0EN6thrust23THRUST_200600_302600_NS6detail15normal_iteratorINS8_10device_ptrIxEEEESD_SD_SD_jNS0_19identity_decomposerENS1_16block_id_wrapperIjLb0EEEEE10hipError_tT1_PNSt15iterator_traitsISI_E10value_typeET2_T3_PNSJ_ISO_E10value_typeET4_T5_PST_SU_PNS1_23onesweep_lookback_stateEbbT6_jjT7_P12ihipStream_tbENKUlT_T0_SI_SN_E_clISD_SD_SD_SD_EEDaS11_S12_SI_SN_EUlS11_E_NS1_11comp_targetILNS1_3genE4ELNS1_11target_archE910ELNS1_3gpuE8ELNS1_3repE0EEENS1_47radix_sort_onesweep_sort_config_static_selectorELNS0_4arch9wavefront6targetE1EEEvSI_,comdat
	.protected	_ZN7rocprim17ROCPRIM_400000_NS6detail17trampoline_kernelINS0_14default_configENS1_35radix_sort_onesweep_config_selectorIxxEEZZNS1_29radix_sort_onesweep_iterationIS3_Lb0EN6thrust23THRUST_200600_302600_NS6detail15normal_iteratorINS8_10device_ptrIxEEEESD_SD_SD_jNS0_19identity_decomposerENS1_16block_id_wrapperIjLb0EEEEE10hipError_tT1_PNSt15iterator_traitsISI_E10value_typeET2_T3_PNSJ_ISO_E10value_typeET4_T5_PST_SU_PNS1_23onesweep_lookback_stateEbbT6_jjT7_P12ihipStream_tbENKUlT_T0_SI_SN_E_clISD_SD_SD_SD_EEDaS11_S12_SI_SN_EUlS11_E_NS1_11comp_targetILNS1_3genE4ELNS1_11target_archE910ELNS1_3gpuE8ELNS1_3repE0EEENS1_47radix_sort_onesweep_sort_config_static_selectorELNS0_4arch9wavefront6targetE1EEEvSI_ ; -- Begin function _ZN7rocprim17ROCPRIM_400000_NS6detail17trampoline_kernelINS0_14default_configENS1_35radix_sort_onesweep_config_selectorIxxEEZZNS1_29radix_sort_onesweep_iterationIS3_Lb0EN6thrust23THRUST_200600_302600_NS6detail15normal_iteratorINS8_10device_ptrIxEEEESD_SD_SD_jNS0_19identity_decomposerENS1_16block_id_wrapperIjLb0EEEEE10hipError_tT1_PNSt15iterator_traitsISI_E10value_typeET2_T3_PNSJ_ISO_E10value_typeET4_T5_PST_SU_PNS1_23onesweep_lookback_stateEbbT6_jjT7_P12ihipStream_tbENKUlT_T0_SI_SN_E_clISD_SD_SD_SD_EEDaS11_S12_SI_SN_EUlS11_E_NS1_11comp_targetILNS1_3genE4ELNS1_11target_archE910ELNS1_3gpuE8ELNS1_3repE0EEENS1_47radix_sort_onesweep_sort_config_static_selectorELNS0_4arch9wavefront6targetE1EEEvSI_
	.globl	_ZN7rocprim17ROCPRIM_400000_NS6detail17trampoline_kernelINS0_14default_configENS1_35radix_sort_onesweep_config_selectorIxxEEZZNS1_29radix_sort_onesweep_iterationIS3_Lb0EN6thrust23THRUST_200600_302600_NS6detail15normal_iteratorINS8_10device_ptrIxEEEESD_SD_SD_jNS0_19identity_decomposerENS1_16block_id_wrapperIjLb0EEEEE10hipError_tT1_PNSt15iterator_traitsISI_E10value_typeET2_T3_PNSJ_ISO_E10value_typeET4_T5_PST_SU_PNS1_23onesweep_lookback_stateEbbT6_jjT7_P12ihipStream_tbENKUlT_T0_SI_SN_E_clISD_SD_SD_SD_EEDaS11_S12_SI_SN_EUlS11_E_NS1_11comp_targetILNS1_3genE4ELNS1_11target_archE910ELNS1_3gpuE8ELNS1_3repE0EEENS1_47radix_sort_onesweep_sort_config_static_selectorELNS0_4arch9wavefront6targetE1EEEvSI_
	.p2align	8
	.type	_ZN7rocprim17ROCPRIM_400000_NS6detail17trampoline_kernelINS0_14default_configENS1_35radix_sort_onesweep_config_selectorIxxEEZZNS1_29radix_sort_onesweep_iterationIS3_Lb0EN6thrust23THRUST_200600_302600_NS6detail15normal_iteratorINS8_10device_ptrIxEEEESD_SD_SD_jNS0_19identity_decomposerENS1_16block_id_wrapperIjLb0EEEEE10hipError_tT1_PNSt15iterator_traitsISI_E10value_typeET2_T3_PNSJ_ISO_E10value_typeET4_T5_PST_SU_PNS1_23onesweep_lookback_stateEbbT6_jjT7_P12ihipStream_tbENKUlT_T0_SI_SN_E_clISD_SD_SD_SD_EEDaS11_S12_SI_SN_EUlS11_E_NS1_11comp_targetILNS1_3genE4ELNS1_11target_archE910ELNS1_3gpuE8ELNS1_3repE0EEENS1_47radix_sort_onesweep_sort_config_static_selectorELNS0_4arch9wavefront6targetE1EEEvSI_,@function
_ZN7rocprim17ROCPRIM_400000_NS6detail17trampoline_kernelINS0_14default_configENS1_35radix_sort_onesweep_config_selectorIxxEEZZNS1_29radix_sort_onesweep_iterationIS3_Lb0EN6thrust23THRUST_200600_302600_NS6detail15normal_iteratorINS8_10device_ptrIxEEEESD_SD_SD_jNS0_19identity_decomposerENS1_16block_id_wrapperIjLb0EEEEE10hipError_tT1_PNSt15iterator_traitsISI_E10value_typeET2_T3_PNSJ_ISO_E10value_typeET4_T5_PST_SU_PNS1_23onesweep_lookback_stateEbbT6_jjT7_P12ihipStream_tbENKUlT_T0_SI_SN_E_clISD_SD_SD_SD_EEDaS11_S12_SI_SN_EUlS11_E_NS1_11comp_targetILNS1_3genE4ELNS1_11target_archE910ELNS1_3gpuE8ELNS1_3repE0EEENS1_47radix_sort_onesweep_sort_config_static_selectorELNS0_4arch9wavefront6targetE1EEEvSI_: ; @_ZN7rocprim17ROCPRIM_400000_NS6detail17trampoline_kernelINS0_14default_configENS1_35radix_sort_onesweep_config_selectorIxxEEZZNS1_29radix_sort_onesweep_iterationIS3_Lb0EN6thrust23THRUST_200600_302600_NS6detail15normal_iteratorINS8_10device_ptrIxEEEESD_SD_SD_jNS0_19identity_decomposerENS1_16block_id_wrapperIjLb0EEEEE10hipError_tT1_PNSt15iterator_traitsISI_E10value_typeET2_T3_PNSJ_ISO_E10value_typeET4_T5_PST_SU_PNS1_23onesweep_lookback_stateEbbT6_jjT7_P12ihipStream_tbENKUlT_T0_SI_SN_E_clISD_SD_SD_SD_EEDaS11_S12_SI_SN_EUlS11_E_NS1_11comp_targetILNS1_3genE4ELNS1_11target_archE910ELNS1_3gpuE8ELNS1_3repE0EEENS1_47radix_sort_onesweep_sort_config_static_selectorELNS0_4arch9wavefront6targetE1EEEvSI_
; %bb.0:
	.section	.rodata,"a",@progbits
	.p2align	6, 0x0
	.amdhsa_kernel _ZN7rocprim17ROCPRIM_400000_NS6detail17trampoline_kernelINS0_14default_configENS1_35radix_sort_onesweep_config_selectorIxxEEZZNS1_29radix_sort_onesweep_iterationIS3_Lb0EN6thrust23THRUST_200600_302600_NS6detail15normal_iteratorINS8_10device_ptrIxEEEESD_SD_SD_jNS0_19identity_decomposerENS1_16block_id_wrapperIjLb0EEEEE10hipError_tT1_PNSt15iterator_traitsISI_E10value_typeET2_T3_PNSJ_ISO_E10value_typeET4_T5_PST_SU_PNS1_23onesweep_lookback_stateEbbT6_jjT7_P12ihipStream_tbENKUlT_T0_SI_SN_E_clISD_SD_SD_SD_EEDaS11_S12_SI_SN_EUlS11_E_NS1_11comp_targetILNS1_3genE4ELNS1_11target_archE910ELNS1_3gpuE8ELNS1_3repE0EEENS1_47radix_sort_onesweep_sort_config_static_selectorELNS0_4arch9wavefront6targetE1EEEvSI_
		.amdhsa_group_segment_fixed_size 0
		.amdhsa_private_segment_fixed_size 0
		.amdhsa_kernarg_size 88
		.amdhsa_user_sgpr_count 2
		.amdhsa_user_sgpr_dispatch_ptr 0
		.amdhsa_user_sgpr_queue_ptr 0
		.amdhsa_user_sgpr_kernarg_segment_ptr 1
		.amdhsa_user_sgpr_dispatch_id 0
		.amdhsa_user_sgpr_kernarg_preload_length 0
		.amdhsa_user_sgpr_kernarg_preload_offset 0
		.amdhsa_user_sgpr_private_segment_size 0
		.amdhsa_uses_dynamic_stack 0
		.amdhsa_enable_private_segment 0
		.amdhsa_system_sgpr_workgroup_id_x 1
		.amdhsa_system_sgpr_workgroup_id_y 0
		.amdhsa_system_sgpr_workgroup_id_z 0
		.amdhsa_system_sgpr_workgroup_info 0
		.amdhsa_system_vgpr_workitem_id 0
		.amdhsa_next_free_vgpr 1
		.amdhsa_next_free_sgpr 0
		.amdhsa_accum_offset 4
		.amdhsa_reserve_vcc 0
		.amdhsa_float_round_mode_32 0
		.amdhsa_float_round_mode_16_64 0
		.amdhsa_float_denorm_mode_32 3
		.amdhsa_float_denorm_mode_16_64 3
		.amdhsa_dx10_clamp 1
		.amdhsa_ieee_mode 1
		.amdhsa_fp16_overflow 0
		.amdhsa_tg_split 0
		.amdhsa_exception_fp_ieee_invalid_op 0
		.amdhsa_exception_fp_denorm_src 0
		.amdhsa_exception_fp_ieee_div_zero 0
		.amdhsa_exception_fp_ieee_overflow 0
		.amdhsa_exception_fp_ieee_underflow 0
		.amdhsa_exception_fp_ieee_inexact 0
		.amdhsa_exception_int_div_zero 0
	.end_amdhsa_kernel
	.section	.text._ZN7rocprim17ROCPRIM_400000_NS6detail17trampoline_kernelINS0_14default_configENS1_35radix_sort_onesweep_config_selectorIxxEEZZNS1_29radix_sort_onesweep_iterationIS3_Lb0EN6thrust23THRUST_200600_302600_NS6detail15normal_iteratorINS8_10device_ptrIxEEEESD_SD_SD_jNS0_19identity_decomposerENS1_16block_id_wrapperIjLb0EEEEE10hipError_tT1_PNSt15iterator_traitsISI_E10value_typeET2_T3_PNSJ_ISO_E10value_typeET4_T5_PST_SU_PNS1_23onesweep_lookback_stateEbbT6_jjT7_P12ihipStream_tbENKUlT_T0_SI_SN_E_clISD_SD_SD_SD_EEDaS11_S12_SI_SN_EUlS11_E_NS1_11comp_targetILNS1_3genE4ELNS1_11target_archE910ELNS1_3gpuE8ELNS1_3repE0EEENS1_47radix_sort_onesweep_sort_config_static_selectorELNS0_4arch9wavefront6targetE1EEEvSI_,"axG",@progbits,_ZN7rocprim17ROCPRIM_400000_NS6detail17trampoline_kernelINS0_14default_configENS1_35radix_sort_onesweep_config_selectorIxxEEZZNS1_29radix_sort_onesweep_iterationIS3_Lb0EN6thrust23THRUST_200600_302600_NS6detail15normal_iteratorINS8_10device_ptrIxEEEESD_SD_SD_jNS0_19identity_decomposerENS1_16block_id_wrapperIjLb0EEEEE10hipError_tT1_PNSt15iterator_traitsISI_E10value_typeET2_T3_PNSJ_ISO_E10value_typeET4_T5_PST_SU_PNS1_23onesweep_lookback_stateEbbT6_jjT7_P12ihipStream_tbENKUlT_T0_SI_SN_E_clISD_SD_SD_SD_EEDaS11_S12_SI_SN_EUlS11_E_NS1_11comp_targetILNS1_3genE4ELNS1_11target_archE910ELNS1_3gpuE8ELNS1_3repE0EEENS1_47radix_sort_onesweep_sort_config_static_selectorELNS0_4arch9wavefront6targetE1EEEvSI_,comdat
.Lfunc_end1228:
	.size	_ZN7rocprim17ROCPRIM_400000_NS6detail17trampoline_kernelINS0_14default_configENS1_35radix_sort_onesweep_config_selectorIxxEEZZNS1_29radix_sort_onesweep_iterationIS3_Lb0EN6thrust23THRUST_200600_302600_NS6detail15normal_iteratorINS8_10device_ptrIxEEEESD_SD_SD_jNS0_19identity_decomposerENS1_16block_id_wrapperIjLb0EEEEE10hipError_tT1_PNSt15iterator_traitsISI_E10value_typeET2_T3_PNSJ_ISO_E10value_typeET4_T5_PST_SU_PNS1_23onesweep_lookback_stateEbbT6_jjT7_P12ihipStream_tbENKUlT_T0_SI_SN_E_clISD_SD_SD_SD_EEDaS11_S12_SI_SN_EUlS11_E_NS1_11comp_targetILNS1_3genE4ELNS1_11target_archE910ELNS1_3gpuE8ELNS1_3repE0EEENS1_47radix_sort_onesweep_sort_config_static_selectorELNS0_4arch9wavefront6targetE1EEEvSI_, .Lfunc_end1228-_ZN7rocprim17ROCPRIM_400000_NS6detail17trampoline_kernelINS0_14default_configENS1_35radix_sort_onesweep_config_selectorIxxEEZZNS1_29radix_sort_onesweep_iterationIS3_Lb0EN6thrust23THRUST_200600_302600_NS6detail15normal_iteratorINS8_10device_ptrIxEEEESD_SD_SD_jNS0_19identity_decomposerENS1_16block_id_wrapperIjLb0EEEEE10hipError_tT1_PNSt15iterator_traitsISI_E10value_typeET2_T3_PNSJ_ISO_E10value_typeET4_T5_PST_SU_PNS1_23onesweep_lookback_stateEbbT6_jjT7_P12ihipStream_tbENKUlT_T0_SI_SN_E_clISD_SD_SD_SD_EEDaS11_S12_SI_SN_EUlS11_E_NS1_11comp_targetILNS1_3genE4ELNS1_11target_archE910ELNS1_3gpuE8ELNS1_3repE0EEENS1_47radix_sort_onesweep_sort_config_static_selectorELNS0_4arch9wavefront6targetE1EEEvSI_
                                        ; -- End function
	.set _ZN7rocprim17ROCPRIM_400000_NS6detail17trampoline_kernelINS0_14default_configENS1_35radix_sort_onesweep_config_selectorIxxEEZZNS1_29radix_sort_onesweep_iterationIS3_Lb0EN6thrust23THRUST_200600_302600_NS6detail15normal_iteratorINS8_10device_ptrIxEEEESD_SD_SD_jNS0_19identity_decomposerENS1_16block_id_wrapperIjLb0EEEEE10hipError_tT1_PNSt15iterator_traitsISI_E10value_typeET2_T3_PNSJ_ISO_E10value_typeET4_T5_PST_SU_PNS1_23onesweep_lookback_stateEbbT6_jjT7_P12ihipStream_tbENKUlT_T0_SI_SN_E_clISD_SD_SD_SD_EEDaS11_S12_SI_SN_EUlS11_E_NS1_11comp_targetILNS1_3genE4ELNS1_11target_archE910ELNS1_3gpuE8ELNS1_3repE0EEENS1_47radix_sort_onesweep_sort_config_static_selectorELNS0_4arch9wavefront6targetE1EEEvSI_.num_vgpr, 0
	.set _ZN7rocprim17ROCPRIM_400000_NS6detail17trampoline_kernelINS0_14default_configENS1_35radix_sort_onesweep_config_selectorIxxEEZZNS1_29radix_sort_onesweep_iterationIS3_Lb0EN6thrust23THRUST_200600_302600_NS6detail15normal_iteratorINS8_10device_ptrIxEEEESD_SD_SD_jNS0_19identity_decomposerENS1_16block_id_wrapperIjLb0EEEEE10hipError_tT1_PNSt15iterator_traitsISI_E10value_typeET2_T3_PNSJ_ISO_E10value_typeET4_T5_PST_SU_PNS1_23onesweep_lookback_stateEbbT6_jjT7_P12ihipStream_tbENKUlT_T0_SI_SN_E_clISD_SD_SD_SD_EEDaS11_S12_SI_SN_EUlS11_E_NS1_11comp_targetILNS1_3genE4ELNS1_11target_archE910ELNS1_3gpuE8ELNS1_3repE0EEENS1_47radix_sort_onesweep_sort_config_static_selectorELNS0_4arch9wavefront6targetE1EEEvSI_.num_agpr, 0
	.set _ZN7rocprim17ROCPRIM_400000_NS6detail17trampoline_kernelINS0_14default_configENS1_35radix_sort_onesweep_config_selectorIxxEEZZNS1_29radix_sort_onesweep_iterationIS3_Lb0EN6thrust23THRUST_200600_302600_NS6detail15normal_iteratorINS8_10device_ptrIxEEEESD_SD_SD_jNS0_19identity_decomposerENS1_16block_id_wrapperIjLb0EEEEE10hipError_tT1_PNSt15iterator_traitsISI_E10value_typeET2_T3_PNSJ_ISO_E10value_typeET4_T5_PST_SU_PNS1_23onesweep_lookback_stateEbbT6_jjT7_P12ihipStream_tbENKUlT_T0_SI_SN_E_clISD_SD_SD_SD_EEDaS11_S12_SI_SN_EUlS11_E_NS1_11comp_targetILNS1_3genE4ELNS1_11target_archE910ELNS1_3gpuE8ELNS1_3repE0EEENS1_47radix_sort_onesweep_sort_config_static_selectorELNS0_4arch9wavefront6targetE1EEEvSI_.numbered_sgpr, 0
	.set _ZN7rocprim17ROCPRIM_400000_NS6detail17trampoline_kernelINS0_14default_configENS1_35radix_sort_onesweep_config_selectorIxxEEZZNS1_29radix_sort_onesweep_iterationIS3_Lb0EN6thrust23THRUST_200600_302600_NS6detail15normal_iteratorINS8_10device_ptrIxEEEESD_SD_SD_jNS0_19identity_decomposerENS1_16block_id_wrapperIjLb0EEEEE10hipError_tT1_PNSt15iterator_traitsISI_E10value_typeET2_T3_PNSJ_ISO_E10value_typeET4_T5_PST_SU_PNS1_23onesweep_lookback_stateEbbT6_jjT7_P12ihipStream_tbENKUlT_T0_SI_SN_E_clISD_SD_SD_SD_EEDaS11_S12_SI_SN_EUlS11_E_NS1_11comp_targetILNS1_3genE4ELNS1_11target_archE910ELNS1_3gpuE8ELNS1_3repE0EEENS1_47radix_sort_onesweep_sort_config_static_selectorELNS0_4arch9wavefront6targetE1EEEvSI_.num_named_barrier, 0
	.set _ZN7rocprim17ROCPRIM_400000_NS6detail17trampoline_kernelINS0_14default_configENS1_35radix_sort_onesweep_config_selectorIxxEEZZNS1_29radix_sort_onesweep_iterationIS3_Lb0EN6thrust23THRUST_200600_302600_NS6detail15normal_iteratorINS8_10device_ptrIxEEEESD_SD_SD_jNS0_19identity_decomposerENS1_16block_id_wrapperIjLb0EEEEE10hipError_tT1_PNSt15iterator_traitsISI_E10value_typeET2_T3_PNSJ_ISO_E10value_typeET4_T5_PST_SU_PNS1_23onesweep_lookback_stateEbbT6_jjT7_P12ihipStream_tbENKUlT_T0_SI_SN_E_clISD_SD_SD_SD_EEDaS11_S12_SI_SN_EUlS11_E_NS1_11comp_targetILNS1_3genE4ELNS1_11target_archE910ELNS1_3gpuE8ELNS1_3repE0EEENS1_47radix_sort_onesweep_sort_config_static_selectorELNS0_4arch9wavefront6targetE1EEEvSI_.private_seg_size, 0
	.set _ZN7rocprim17ROCPRIM_400000_NS6detail17trampoline_kernelINS0_14default_configENS1_35radix_sort_onesweep_config_selectorIxxEEZZNS1_29radix_sort_onesweep_iterationIS3_Lb0EN6thrust23THRUST_200600_302600_NS6detail15normal_iteratorINS8_10device_ptrIxEEEESD_SD_SD_jNS0_19identity_decomposerENS1_16block_id_wrapperIjLb0EEEEE10hipError_tT1_PNSt15iterator_traitsISI_E10value_typeET2_T3_PNSJ_ISO_E10value_typeET4_T5_PST_SU_PNS1_23onesweep_lookback_stateEbbT6_jjT7_P12ihipStream_tbENKUlT_T0_SI_SN_E_clISD_SD_SD_SD_EEDaS11_S12_SI_SN_EUlS11_E_NS1_11comp_targetILNS1_3genE4ELNS1_11target_archE910ELNS1_3gpuE8ELNS1_3repE0EEENS1_47radix_sort_onesweep_sort_config_static_selectorELNS0_4arch9wavefront6targetE1EEEvSI_.uses_vcc, 0
	.set _ZN7rocprim17ROCPRIM_400000_NS6detail17trampoline_kernelINS0_14default_configENS1_35radix_sort_onesweep_config_selectorIxxEEZZNS1_29radix_sort_onesweep_iterationIS3_Lb0EN6thrust23THRUST_200600_302600_NS6detail15normal_iteratorINS8_10device_ptrIxEEEESD_SD_SD_jNS0_19identity_decomposerENS1_16block_id_wrapperIjLb0EEEEE10hipError_tT1_PNSt15iterator_traitsISI_E10value_typeET2_T3_PNSJ_ISO_E10value_typeET4_T5_PST_SU_PNS1_23onesweep_lookback_stateEbbT6_jjT7_P12ihipStream_tbENKUlT_T0_SI_SN_E_clISD_SD_SD_SD_EEDaS11_S12_SI_SN_EUlS11_E_NS1_11comp_targetILNS1_3genE4ELNS1_11target_archE910ELNS1_3gpuE8ELNS1_3repE0EEENS1_47radix_sort_onesweep_sort_config_static_selectorELNS0_4arch9wavefront6targetE1EEEvSI_.uses_flat_scratch, 0
	.set _ZN7rocprim17ROCPRIM_400000_NS6detail17trampoline_kernelINS0_14default_configENS1_35radix_sort_onesweep_config_selectorIxxEEZZNS1_29radix_sort_onesweep_iterationIS3_Lb0EN6thrust23THRUST_200600_302600_NS6detail15normal_iteratorINS8_10device_ptrIxEEEESD_SD_SD_jNS0_19identity_decomposerENS1_16block_id_wrapperIjLb0EEEEE10hipError_tT1_PNSt15iterator_traitsISI_E10value_typeET2_T3_PNSJ_ISO_E10value_typeET4_T5_PST_SU_PNS1_23onesweep_lookback_stateEbbT6_jjT7_P12ihipStream_tbENKUlT_T0_SI_SN_E_clISD_SD_SD_SD_EEDaS11_S12_SI_SN_EUlS11_E_NS1_11comp_targetILNS1_3genE4ELNS1_11target_archE910ELNS1_3gpuE8ELNS1_3repE0EEENS1_47radix_sort_onesweep_sort_config_static_selectorELNS0_4arch9wavefront6targetE1EEEvSI_.has_dyn_sized_stack, 0
	.set _ZN7rocprim17ROCPRIM_400000_NS6detail17trampoline_kernelINS0_14default_configENS1_35radix_sort_onesweep_config_selectorIxxEEZZNS1_29radix_sort_onesweep_iterationIS3_Lb0EN6thrust23THRUST_200600_302600_NS6detail15normal_iteratorINS8_10device_ptrIxEEEESD_SD_SD_jNS0_19identity_decomposerENS1_16block_id_wrapperIjLb0EEEEE10hipError_tT1_PNSt15iterator_traitsISI_E10value_typeET2_T3_PNSJ_ISO_E10value_typeET4_T5_PST_SU_PNS1_23onesweep_lookback_stateEbbT6_jjT7_P12ihipStream_tbENKUlT_T0_SI_SN_E_clISD_SD_SD_SD_EEDaS11_S12_SI_SN_EUlS11_E_NS1_11comp_targetILNS1_3genE4ELNS1_11target_archE910ELNS1_3gpuE8ELNS1_3repE0EEENS1_47radix_sort_onesweep_sort_config_static_selectorELNS0_4arch9wavefront6targetE1EEEvSI_.has_recursion, 0
	.set _ZN7rocprim17ROCPRIM_400000_NS6detail17trampoline_kernelINS0_14default_configENS1_35radix_sort_onesweep_config_selectorIxxEEZZNS1_29radix_sort_onesweep_iterationIS3_Lb0EN6thrust23THRUST_200600_302600_NS6detail15normal_iteratorINS8_10device_ptrIxEEEESD_SD_SD_jNS0_19identity_decomposerENS1_16block_id_wrapperIjLb0EEEEE10hipError_tT1_PNSt15iterator_traitsISI_E10value_typeET2_T3_PNSJ_ISO_E10value_typeET4_T5_PST_SU_PNS1_23onesweep_lookback_stateEbbT6_jjT7_P12ihipStream_tbENKUlT_T0_SI_SN_E_clISD_SD_SD_SD_EEDaS11_S12_SI_SN_EUlS11_E_NS1_11comp_targetILNS1_3genE4ELNS1_11target_archE910ELNS1_3gpuE8ELNS1_3repE0EEENS1_47radix_sort_onesweep_sort_config_static_selectorELNS0_4arch9wavefront6targetE1EEEvSI_.has_indirect_call, 0
	.section	.AMDGPU.csdata,"",@progbits
; Kernel info:
; codeLenInByte = 0
; TotalNumSgprs: 6
; NumVgprs: 0
; NumAgprs: 0
; TotalNumVgprs: 0
; ScratchSize: 0
; MemoryBound: 0
; FloatMode: 240
; IeeeMode: 1
; LDSByteSize: 0 bytes/workgroup (compile time only)
; SGPRBlocks: 0
; VGPRBlocks: 0
; NumSGPRsForWavesPerEU: 6
; NumVGPRsForWavesPerEU: 1
; AccumOffset: 4
; Occupancy: 8
; WaveLimiterHint : 0
; COMPUTE_PGM_RSRC2:SCRATCH_EN: 0
; COMPUTE_PGM_RSRC2:USER_SGPR: 2
; COMPUTE_PGM_RSRC2:TRAP_HANDLER: 0
; COMPUTE_PGM_RSRC2:TGID_X_EN: 1
; COMPUTE_PGM_RSRC2:TGID_Y_EN: 0
; COMPUTE_PGM_RSRC2:TGID_Z_EN: 0
; COMPUTE_PGM_RSRC2:TIDIG_COMP_CNT: 0
; COMPUTE_PGM_RSRC3_GFX90A:ACCUM_OFFSET: 0
; COMPUTE_PGM_RSRC3_GFX90A:TG_SPLIT: 0
	.section	.text._ZN7rocprim17ROCPRIM_400000_NS6detail17trampoline_kernelINS0_14default_configENS1_35radix_sort_onesweep_config_selectorIxxEEZZNS1_29radix_sort_onesweep_iterationIS3_Lb0EN6thrust23THRUST_200600_302600_NS6detail15normal_iteratorINS8_10device_ptrIxEEEESD_SD_SD_jNS0_19identity_decomposerENS1_16block_id_wrapperIjLb0EEEEE10hipError_tT1_PNSt15iterator_traitsISI_E10value_typeET2_T3_PNSJ_ISO_E10value_typeET4_T5_PST_SU_PNS1_23onesweep_lookback_stateEbbT6_jjT7_P12ihipStream_tbENKUlT_T0_SI_SN_E_clISD_SD_SD_SD_EEDaS11_S12_SI_SN_EUlS11_E_NS1_11comp_targetILNS1_3genE3ELNS1_11target_archE908ELNS1_3gpuE7ELNS1_3repE0EEENS1_47radix_sort_onesweep_sort_config_static_selectorELNS0_4arch9wavefront6targetE1EEEvSI_,"axG",@progbits,_ZN7rocprim17ROCPRIM_400000_NS6detail17trampoline_kernelINS0_14default_configENS1_35radix_sort_onesweep_config_selectorIxxEEZZNS1_29radix_sort_onesweep_iterationIS3_Lb0EN6thrust23THRUST_200600_302600_NS6detail15normal_iteratorINS8_10device_ptrIxEEEESD_SD_SD_jNS0_19identity_decomposerENS1_16block_id_wrapperIjLb0EEEEE10hipError_tT1_PNSt15iterator_traitsISI_E10value_typeET2_T3_PNSJ_ISO_E10value_typeET4_T5_PST_SU_PNS1_23onesweep_lookback_stateEbbT6_jjT7_P12ihipStream_tbENKUlT_T0_SI_SN_E_clISD_SD_SD_SD_EEDaS11_S12_SI_SN_EUlS11_E_NS1_11comp_targetILNS1_3genE3ELNS1_11target_archE908ELNS1_3gpuE7ELNS1_3repE0EEENS1_47radix_sort_onesweep_sort_config_static_selectorELNS0_4arch9wavefront6targetE1EEEvSI_,comdat
	.protected	_ZN7rocprim17ROCPRIM_400000_NS6detail17trampoline_kernelINS0_14default_configENS1_35radix_sort_onesweep_config_selectorIxxEEZZNS1_29radix_sort_onesweep_iterationIS3_Lb0EN6thrust23THRUST_200600_302600_NS6detail15normal_iteratorINS8_10device_ptrIxEEEESD_SD_SD_jNS0_19identity_decomposerENS1_16block_id_wrapperIjLb0EEEEE10hipError_tT1_PNSt15iterator_traitsISI_E10value_typeET2_T3_PNSJ_ISO_E10value_typeET4_T5_PST_SU_PNS1_23onesweep_lookback_stateEbbT6_jjT7_P12ihipStream_tbENKUlT_T0_SI_SN_E_clISD_SD_SD_SD_EEDaS11_S12_SI_SN_EUlS11_E_NS1_11comp_targetILNS1_3genE3ELNS1_11target_archE908ELNS1_3gpuE7ELNS1_3repE0EEENS1_47radix_sort_onesweep_sort_config_static_selectorELNS0_4arch9wavefront6targetE1EEEvSI_ ; -- Begin function _ZN7rocprim17ROCPRIM_400000_NS6detail17trampoline_kernelINS0_14default_configENS1_35radix_sort_onesweep_config_selectorIxxEEZZNS1_29radix_sort_onesweep_iterationIS3_Lb0EN6thrust23THRUST_200600_302600_NS6detail15normal_iteratorINS8_10device_ptrIxEEEESD_SD_SD_jNS0_19identity_decomposerENS1_16block_id_wrapperIjLb0EEEEE10hipError_tT1_PNSt15iterator_traitsISI_E10value_typeET2_T3_PNSJ_ISO_E10value_typeET4_T5_PST_SU_PNS1_23onesweep_lookback_stateEbbT6_jjT7_P12ihipStream_tbENKUlT_T0_SI_SN_E_clISD_SD_SD_SD_EEDaS11_S12_SI_SN_EUlS11_E_NS1_11comp_targetILNS1_3genE3ELNS1_11target_archE908ELNS1_3gpuE7ELNS1_3repE0EEENS1_47radix_sort_onesweep_sort_config_static_selectorELNS0_4arch9wavefront6targetE1EEEvSI_
	.globl	_ZN7rocprim17ROCPRIM_400000_NS6detail17trampoline_kernelINS0_14default_configENS1_35radix_sort_onesweep_config_selectorIxxEEZZNS1_29radix_sort_onesweep_iterationIS3_Lb0EN6thrust23THRUST_200600_302600_NS6detail15normal_iteratorINS8_10device_ptrIxEEEESD_SD_SD_jNS0_19identity_decomposerENS1_16block_id_wrapperIjLb0EEEEE10hipError_tT1_PNSt15iterator_traitsISI_E10value_typeET2_T3_PNSJ_ISO_E10value_typeET4_T5_PST_SU_PNS1_23onesweep_lookback_stateEbbT6_jjT7_P12ihipStream_tbENKUlT_T0_SI_SN_E_clISD_SD_SD_SD_EEDaS11_S12_SI_SN_EUlS11_E_NS1_11comp_targetILNS1_3genE3ELNS1_11target_archE908ELNS1_3gpuE7ELNS1_3repE0EEENS1_47radix_sort_onesweep_sort_config_static_selectorELNS0_4arch9wavefront6targetE1EEEvSI_
	.p2align	8
	.type	_ZN7rocprim17ROCPRIM_400000_NS6detail17trampoline_kernelINS0_14default_configENS1_35radix_sort_onesweep_config_selectorIxxEEZZNS1_29radix_sort_onesweep_iterationIS3_Lb0EN6thrust23THRUST_200600_302600_NS6detail15normal_iteratorINS8_10device_ptrIxEEEESD_SD_SD_jNS0_19identity_decomposerENS1_16block_id_wrapperIjLb0EEEEE10hipError_tT1_PNSt15iterator_traitsISI_E10value_typeET2_T3_PNSJ_ISO_E10value_typeET4_T5_PST_SU_PNS1_23onesweep_lookback_stateEbbT6_jjT7_P12ihipStream_tbENKUlT_T0_SI_SN_E_clISD_SD_SD_SD_EEDaS11_S12_SI_SN_EUlS11_E_NS1_11comp_targetILNS1_3genE3ELNS1_11target_archE908ELNS1_3gpuE7ELNS1_3repE0EEENS1_47radix_sort_onesweep_sort_config_static_selectorELNS0_4arch9wavefront6targetE1EEEvSI_,@function
_ZN7rocprim17ROCPRIM_400000_NS6detail17trampoline_kernelINS0_14default_configENS1_35radix_sort_onesweep_config_selectorIxxEEZZNS1_29radix_sort_onesweep_iterationIS3_Lb0EN6thrust23THRUST_200600_302600_NS6detail15normal_iteratorINS8_10device_ptrIxEEEESD_SD_SD_jNS0_19identity_decomposerENS1_16block_id_wrapperIjLb0EEEEE10hipError_tT1_PNSt15iterator_traitsISI_E10value_typeET2_T3_PNSJ_ISO_E10value_typeET4_T5_PST_SU_PNS1_23onesweep_lookback_stateEbbT6_jjT7_P12ihipStream_tbENKUlT_T0_SI_SN_E_clISD_SD_SD_SD_EEDaS11_S12_SI_SN_EUlS11_E_NS1_11comp_targetILNS1_3genE3ELNS1_11target_archE908ELNS1_3gpuE7ELNS1_3repE0EEENS1_47radix_sort_onesweep_sort_config_static_selectorELNS0_4arch9wavefront6targetE1EEEvSI_: ; @_ZN7rocprim17ROCPRIM_400000_NS6detail17trampoline_kernelINS0_14default_configENS1_35radix_sort_onesweep_config_selectorIxxEEZZNS1_29radix_sort_onesweep_iterationIS3_Lb0EN6thrust23THRUST_200600_302600_NS6detail15normal_iteratorINS8_10device_ptrIxEEEESD_SD_SD_jNS0_19identity_decomposerENS1_16block_id_wrapperIjLb0EEEEE10hipError_tT1_PNSt15iterator_traitsISI_E10value_typeET2_T3_PNSJ_ISO_E10value_typeET4_T5_PST_SU_PNS1_23onesweep_lookback_stateEbbT6_jjT7_P12ihipStream_tbENKUlT_T0_SI_SN_E_clISD_SD_SD_SD_EEDaS11_S12_SI_SN_EUlS11_E_NS1_11comp_targetILNS1_3genE3ELNS1_11target_archE908ELNS1_3gpuE7ELNS1_3repE0EEENS1_47radix_sort_onesweep_sort_config_static_selectorELNS0_4arch9wavefront6targetE1EEEvSI_
; %bb.0:
	.section	.rodata,"a",@progbits
	.p2align	6, 0x0
	.amdhsa_kernel _ZN7rocprim17ROCPRIM_400000_NS6detail17trampoline_kernelINS0_14default_configENS1_35radix_sort_onesweep_config_selectorIxxEEZZNS1_29radix_sort_onesweep_iterationIS3_Lb0EN6thrust23THRUST_200600_302600_NS6detail15normal_iteratorINS8_10device_ptrIxEEEESD_SD_SD_jNS0_19identity_decomposerENS1_16block_id_wrapperIjLb0EEEEE10hipError_tT1_PNSt15iterator_traitsISI_E10value_typeET2_T3_PNSJ_ISO_E10value_typeET4_T5_PST_SU_PNS1_23onesweep_lookback_stateEbbT6_jjT7_P12ihipStream_tbENKUlT_T0_SI_SN_E_clISD_SD_SD_SD_EEDaS11_S12_SI_SN_EUlS11_E_NS1_11comp_targetILNS1_3genE3ELNS1_11target_archE908ELNS1_3gpuE7ELNS1_3repE0EEENS1_47radix_sort_onesweep_sort_config_static_selectorELNS0_4arch9wavefront6targetE1EEEvSI_
		.amdhsa_group_segment_fixed_size 0
		.amdhsa_private_segment_fixed_size 0
		.amdhsa_kernarg_size 88
		.amdhsa_user_sgpr_count 2
		.amdhsa_user_sgpr_dispatch_ptr 0
		.amdhsa_user_sgpr_queue_ptr 0
		.amdhsa_user_sgpr_kernarg_segment_ptr 1
		.amdhsa_user_sgpr_dispatch_id 0
		.amdhsa_user_sgpr_kernarg_preload_length 0
		.amdhsa_user_sgpr_kernarg_preload_offset 0
		.amdhsa_user_sgpr_private_segment_size 0
		.amdhsa_uses_dynamic_stack 0
		.amdhsa_enable_private_segment 0
		.amdhsa_system_sgpr_workgroup_id_x 1
		.amdhsa_system_sgpr_workgroup_id_y 0
		.amdhsa_system_sgpr_workgroup_id_z 0
		.amdhsa_system_sgpr_workgroup_info 0
		.amdhsa_system_vgpr_workitem_id 0
		.amdhsa_next_free_vgpr 1
		.amdhsa_next_free_sgpr 0
		.amdhsa_accum_offset 4
		.amdhsa_reserve_vcc 0
		.amdhsa_float_round_mode_32 0
		.amdhsa_float_round_mode_16_64 0
		.amdhsa_float_denorm_mode_32 3
		.amdhsa_float_denorm_mode_16_64 3
		.amdhsa_dx10_clamp 1
		.amdhsa_ieee_mode 1
		.amdhsa_fp16_overflow 0
		.amdhsa_tg_split 0
		.amdhsa_exception_fp_ieee_invalid_op 0
		.amdhsa_exception_fp_denorm_src 0
		.amdhsa_exception_fp_ieee_div_zero 0
		.amdhsa_exception_fp_ieee_overflow 0
		.amdhsa_exception_fp_ieee_underflow 0
		.amdhsa_exception_fp_ieee_inexact 0
		.amdhsa_exception_int_div_zero 0
	.end_amdhsa_kernel
	.section	.text._ZN7rocprim17ROCPRIM_400000_NS6detail17trampoline_kernelINS0_14default_configENS1_35radix_sort_onesweep_config_selectorIxxEEZZNS1_29radix_sort_onesweep_iterationIS3_Lb0EN6thrust23THRUST_200600_302600_NS6detail15normal_iteratorINS8_10device_ptrIxEEEESD_SD_SD_jNS0_19identity_decomposerENS1_16block_id_wrapperIjLb0EEEEE10hipError_tT1_PNSt15iterator_traitsISI_E10value_typeET2_T3_PNSJ_ISO_E10value_typeET4_T5_PST_SU_PNS1_23onesweep_lookback_stateEbbT6_jjT7_P12ihipStream_tbENKUlT_T0_SI_SN_E_clISD_SD_SD_SD_EEDaS11_S12_SI_SN_EUlS11_E_NS1_11comp_targetILNS1_3genE3ELNS1_11target_archE908ELNS1_3gpuE7ELNS1_3repE0EEENS1_47radix_sort_onesweep_sort_config_static_selectorELNS0_4arch9wavefront6targetE1EEEvSI_,"axG",@progbits,_ZN7rocprim17ROCPRIM_400000_NS6detail17trampoline_kernelINS0_14default_configENS1_35radix_sort_onesweep_config_selectorIxxEEZZNS1_29radix_sort_onesweep_iterationIS3_Lb0EN6thrust23THRUST_200600_302600_NS6detail15normal_iteratorINS8_10device_ptrIxEEEESD_SD_SD_jNS0_19identity_decomposerENS1_16block_id_wrapperIjLb0EEEEE10hipError_tT1_PNSt15iterator_traitsISI_E10value_typeET2_T3_PNSJ_ISO_E10value_typeET4_T5_PST_SU_PNS1_23onesweep_lookback_stateEbbT6_jjT7_P12ihipStream_tbENKUlT_T0_SI_SN_E_clISD_SD_SD_SD_EEDaS11_S12_SI_SN_EUlS11_E_NS1_11comp_targetILNS1_3genE3ELNS1_11target_archE908ELNS1_3gpuE7ELNS1_3repE0EEENS1_47radix_sort_onesweep_sort_config_static_selectorELNS0_4arch9wavefront6targetE1EEEvSI_,comdat
.Lfunc_end1229:
	.size	_ZN7rocprim17ROCPRIM_400000_NS6detail17trampoline_kernelINS0_14default_configENS1_35radix_sort_onesweep_config_selectorIxxEEZZNS1_29radix_sort_onesweep_iterationIS3_Lb0EN6thrust23THRUST_200600_302600_NS6detail15normal_iteratorINS8_10device_ptrIxEEEESD_SD_SD_jNS0_19identity_decomposerENS1_16block_id_wrapperIjLb0EEEEE10hipError_tT1_PNSt15iterator_traitsISI_E10value_typeET2_T3_PNSJ_ISO_E10value_typeET4_T5_PST_SU_PNS1_23onesweep_lookback_stateEbbT6_jjT7_P12ihipStream_tbENKUlT_T0_SI_SN_E_clISD_SD_SD_SD_EEDaS11_S12_SI_SN_EUlS11_E_NS1_11comp_targetILNS1_3genE3ELNS1_11target_archE908ELNS1_3gpuE7ELNS1_3repE0EEENS1_47radix_sort_onesweep_sort_config_static_selectorELNS0_4arch9wavefront6targetE1EEEvSI_, .Lfunc_end1229-_ZN7rocprim17ROCPRIM_400000_NS6detail17trampoline_kernelINS0_14default_configENS1_35radix_sort_onesweep_config_selectorIxxEEZZNS1_29radix_sort_onesweep_iterationIS3_Lb0EN6thrust23THRUST_200600_302600_NS6detail15normal_iteratorINS8_10device_ptrIxEEEESD_SD_SD_jNS0_19identity_decomposerENS1_16block_id_wrapperIjLb0EEEEE10hipError_tT1_PNSt15iterator_traitsISI_E10value_typeET2_T3_PNSJ_ISO_E10value_typeET4_T5_PST_SU_PNS1_23onesweep_lookback_stateEbbT6_jjT7_P12ihipStream_tbENKUlT_T0_SI_SN_E_clISD_SD_SD_SD_EEDaS11_S12_SI_SN_EUlS11_E_NS1_11comp_targetILNS1_3genE3ELNS1_11target_archE908ELNS1_3gpuE7ELNS1_3repE0EEENS1_47radix_sort_onesweep_sort_config_static_selectorELNS0_4arch9wavefront6targetE1EEEvSI_
                                        ; -- End function
	.set _ZN7rocprim17ROCPRIM_400000_NS6detail17trampoline_kernelINS0_14default_configENS1_35radix_sort_onesweep_config_selectorIxxEEZZNS1_29radix_sort_onesweep_iterationIS3_Lb0EN6thrust23THRUST_200600_302600_NS6detail15normal_iteratorINS8_10device_ptrIxEEEESD_SD_SD_jNS0_19identity_decomposerENS1_16block_id_wrapperIjLb0EEEEE10hipError_tT1_PNSt15iterator_traitsISI_E10value_typeET2_T3_PNSJ_ISO_E10value_typeET4_T5_PST_SU_PNS1_23onesweep_lookback_stateEbbT6_jjT7_P12ihipStream_tbENKUlT_T0_SI_SN_E_clISD_SD_SD_SD_EEDaS11_S12_SI_SN_EUlS11_E_NS1_11comp_targetILNS1_3genE3ELNS1_11target_archE908ELNS1_3gpuE7ELNS1_3repE0EEENS1_47radix_sort_onesweep_sort_config_static_selectorELNS0_4arch9wavefront6targetE1EEEvSI_.num_vgpr, 0
	.set _ZN7rocprim17ROCPRIM_400000_NS6detail17trampoline_kernelINS0_14default_configENS1_35radix_sort_onesweep_config_selectorIxxEEZZNS1_29radix_sort_onesweep_iterationIS3_Lb0EN6thrust23THRUST_200600_302600_NS6detail15normal_iteratorINS8_10device_ptrIxEEEESD_SD_SD_jNS0_19identity_decomposerENS1_16block_id_wrapperIjLb0EEEEE10hipError_tT1_PNSt15iterator_traitsISI_E10value_typeET2_T3_PNSJ_ISO_E10value_typeET4_T5_PST_SU_PNS1_23onesweep_lookback_stateEbbT6_jjT7_P12ihipStream_tbENKUlT_T0_SI_SN_E_clISD_SD_SD_SD_EEDaS11_S12_SI_SN_EUlS11_E_NS1_11comp_targetILNS1_3genE3ELNS1_11target_archE908ELNS1_3gpuE7ELNS1_3repE0EEENS1_47radix_sort_onesweep_sort_config_static_selectorELNS0_4arch9wavefront6targetE1EEEvSI_.num_agpr, 0
	.set _ZN7rocprim17ROCPRIM_400000_NS6detail17trampoline_kernelINS0_14default_configENS1_35radix_sort_onesweep_config_selectorIxxEEZZNS1_29radix_sort_onesweep_iterationIS3_Lb0EN6thrust23THRUST_200600_302600_NS6detail15normal_iteratorINS8_10device_ptrIxEEEESD_SD_SD_jNS0_19identity_decomposerENS1_16block_id_wrapperIjLb0EEEEE10hipError_tT1_PNSt15iterator_traitsISI_E10value_typeET2_T3_PNSJ_ISO_E10value_typeET4_T5_PST_SU_PNS1_23onesweep_lookback_stateEbbT6_jjT7_P12ihipStream_tbENKUlT_T0_SI_SN_E_clISD_SD_SD_SD_EEDaS11_S12_SI_SN_EUlS11_E_NS1_11comp_targetILNS1_3genE3ELNS1_11target_archE908ELNS1_3gpuE7ELNS1_3repE0EEENS1_47radix_sort_onesweep_sort_config_static_selectorELNS0_4arch9wavefront6targetE1EEEvSI_.numbered_sgpr, 0
	.set _ZN7rocprim17ROCPRIM_400000_NS6detail17trampoline_kernelINS0_14default_configENS1_35radix_sort_onesweep_config_selectorIxxEEZZNS1_29radix_sort_onesweep_iterationIS3_Lb0EN6thrust23THRUST_200600_302600_NS6detail15normal_iteratorINS8_10device_ptrIxEEEESD_SD_SD_jNS0_19identity_decomposerENS1_16block_id_wrapperIjLb0EEEEE10hipError_tT1_PNSt15iterator_traitsISI_E10value_typeET2_T3_PNSJ_ISO_E10value_typeET4_T5_PST_SU_PNS1_23onesweep_lookback_stateEbbT6_jjT7_P12ihipStream_tbENKUlT_T0_SI_SN_E_clISD_SD_SD_SD_EEDaS11_S12_SI_SN_EUlS11_E_NS1_11comp_targetILNS1_3genE3ELNS1_11target_archE908ELNS1_3gpuE7ELNS1_3repE0EEENS1_47radix_sort_onesweep_sort_config_static_selectorELNS0_4arch9wavefront6targetE1EEEvSI_.num_named_barrier, 0
	.set _ZN7rocprim17ROCPRIM_400000_NS6detail17trampoline_kernelINS0_14default_configENS1_35radix_sort_onesweep_config_selectorIxxEEZZNS1_29radix_sort_onesweep_iterationIS3_Lb0EN6thrust23THRUST_200600_302600_NS6detail15normal_iteratorINS8_10device_ptrIxEEEESD_SD_SD_jNS0_19identity_decomposerENS1_16block_id_wrapperIjLb0EEEEE10hipError_tT1_PNSt15iterator_traitsISI_E10value_typeET2_T3_PNSJ_ISO_E10value_typeET4_T5_PST_SU_PNS1_23onesweep_lookback_stateEbbT6_jjT7_P12ihipStream_tbENKUlT_T0_SI_SN_E_clISD_SD_SD_SD_EEDaS11_S12_SI_SN_EUlS11_E_NS1_11comp_targetILNS1_3genE3ELNS1_11target_archE908ELNS1_3gpuE7ELNS1_3repE0EEENS1_47radix_sort_onesweep_sort_config_static_selectorELNS0_4arch9wavefront6targetE1EEEvSI_.private_seg_size, 0
	.set _ZN7rocprim17ROCPRIM_400000_NS6detail17trampoline_kernelINS0_14default_configENS1_35radix_sort_onesweep_config_selectorIxxEEZZNS1_29radix_sort_onesweep_iterationIS3_Lb0EN6thrust23THRUST_200600_302600_NS6detail15normal_iteratorINS8_10device_ptrIxEEEESD_SD_SD_jNS0_19identity_decomposerENS1_16block_id_wrapperIjLb0EEEEE10hipError_tT1_PNSt15iterator_traitsISI_E10value_typeET2_T3_PNSJ_ISO_E10value_typeET4_T5_PST_SU_PNS1_23onesweep_lookback_stateEbbT6_jjT7_P12ihipStream_tbENKUlT_T0_SI_SN_E_clISD_SD_SD_SD_EEDaS11_S12_SI_SN_EUlS11_E_NS1_11comp_targetILNS1_3genE3ELNS1_11target_archE908ELNS1_3gpuE7ELNS1_3repE0EEENS1_47radix_sort_onesweep_sort_config_static_selectorELNS0_4arch9wavefront6targetE1EEEvSI_.uses_vcc, 0
	.set _ZN7rocprim17ROCPRIM_400000_NS6detail17trampoline_kernelINS0_14default_configENS1_35radix_sort_onesweep_config_selectorIxxEEZZNS1_29radix_sort_onesweep_iterationIS3_Lb0EN6thrust23THRUST_200600_302600_NS6detail15normal_iteratorINS8_10device_ptrIxEEEESD_SD_SD_jNS0_19identity_decomposerENS1_16block_id_wrapperIjLb0EEEEE10hipError_tT1_PNSt15iterator_traitsISI_E10value_typeET2_T3_PNSJ_ISO_E10value_typeET4_T5_PST_SU_PNS1_23onesweep_lookback_stateEbbT6_jjT7_P12ihipStream_tbENKUlT_T0_SI_SN_E_clISD_SD_SD_SD_EEDaS11_S12_SI_SN_EUlS11_E_NS1_11comp_targetILNS1_3genE3ELNS1_11target_archE908ELNS1_3gpuE7ELNS1_3repE0EEENS1_47radix_sort_onesweep_sort_config_static_selectorELNS0_4arch9wavefront6targetE1EEEvSI_.uses_flat_scratch, 0
	.set _ZN7rocprim17ROCPRIM_400000_NS6detail17trampoline_kernelINS0_14default_configENS1_35radix_sort_onesweep_config_selectorIxxEEZZNS1_29radix_sort_onesweep_iterationIS3_Lb0EN6thrust23THRUST_200600_302600_NS6detail15normal_iteratorINS8_10device_ptrIxEEEESD_SD_SD_jNS0_19identity_decomposerENS1_16block_id_wrapperIjLb0EEEEE10hipError_tT1_PNSt15iterator_traitsISI_E10value_typeET2_T3_PNSJ_ISO_E10value_typeET4_T5_PST_SU_PNS1_23onesweep_lookback_stateEbbT6_jjT7_P12ihipStream_tbENKUlT_T0_SI_SN_E_clISD_SD_SD_SD_EEDaS11_S12_SI_SN_EUlS11_E_NS1_11comp_targetILNS1_3genE3ELNS1_11target_archE908ELNS1_3gpuE7ELNS1_3repE0EEENS1_47radix_sort_onesweep_sort_config_static_selectorELNS0_4arch9wavefront6targetE1EEEvSI_.has_dyn_sized_stack, 0
	.set _ZN7rocprim17ROCPRIM_400000_NS6detail17trampoline_kernelINS0_14default_configENS1_35radix_sort_onesweep_config_selectorIxxEEZZNS1_29radix_sort_onesweep_iterationIS3_Lb0EN6thrust23THRUST_200600_302600_NS6detail15normal_iteratorINS8_10device_ptrIxEEEESD_SD_SD_jNS0_19identity_decomposerENS1_16block_id_wrapperIjLb0EEEEE10hipError_tT1_PNSt15iterator_traitsISI_E10value_typeET2_T3_PNSJ_ISO_E10value_typeET4_T5_PST_SU_PNS1_23onesweep_lookback_stateEbbT6_jjT7_P12ihipStream_tbENKUlT_T0_SI_SN_E_clISD_SD_SD_SD_EEDaS11_S12_SI_SN_EUlS11_E_NS1_11comp_targetILNS1_3genE3ELNS1_11target_archE908ELNS1_3gpuE7ELNS1_3repE0EEENS1_47radix_sort_onesweep_sort_config_static_selectorELNS0_4arch9wavefront6targetE1EEEvSI_.has_recursion, 0
	.set _ZN7rocprim17ROCPRIM_400000_NS6detail17trampoline_kernelINS0_14default_configENS1_35radix_sort_onesweep_config_selectorIxxEEZZNS1_29radix_sort_onesweep_iterationIS3_Lb0EN6thrust23THRUST_200600_302600_NS6detail15normal_iteratorINS8_10device_ptrIxEEEESD_SD_SD_jNS0_19identity_decomposerENS1_16block_id_wrapperIjLb0EEEEE10hipError_tT1_PNSt15iterator_traitsISI_E10value_typeET2_T3_PNSJ_ISO_E10value_typeET4_T5_PST_SU_PNS1_23onesweep_lookback_stateEbbT6_jjT7_P12ihipStream_tbENKUlT_T0_SI_SN_E_clISD_SD_SD_SD_EEDaS11_S12_SI_SN_EUlS11_E_NS1_11comp_targetILNS1_3genE3ELNS1_11target_archE908ELNS1_3gpuE7ELNS1_3repE0EEENS1_47radix_sort_onesweep_sort_config_static_selectorELNS0_4arch9wavefront6targetE1EEEvSI_.has_indirect_call, 0
	.section	.AMDGPU.csdata,"",@progbits
; Kernel info:
; codeLenInByte = 0
; TotalNumSgprs: 6
; NumVgprs: 0
; NumAgprs: 0
; TotalNumVgprs: 0
; ScratchSize: 0
; MemoryBound: 0
; FloatMode: 240
; IeeeMode: 1
; LDSByteSize: 0 bytes/workgroup (compile time only)
; SGPRBlocks: 0
; VGPRBlocks: 0
; NumSGPRsForWavesPerEU: 6
; NumVGPRsForWavesPerEU: 1
; AccumOffset: 4
; Occupancy: 8
; WaveLimiterHint : 0
; COMPUTE_PGM_RSRC2:SCRATCH_EN: 0
; COMPUTE_PGM_RSRC2:USER_SGPR: 2
; COMPUTE_PGM_RSRC2:TRAP_HANDLER: 0
; COMPUTE_PGM_RSRC2:TGID_X_EN: 1
; COMPUTE_PGM_RSRC2:TGID_Y_EN: 0
; COMPUTE_PGM_RSRC2:TGID_Z_EN: 0
; COMPUTE_PGM_RSRC2:TIDIG_COMP_CNT: 0
; COMPUTE_PGM_RSRC3_GFX90A:ACCUM_OFFSET: 0
; COMPUTE_PGM_RSRC3_GFX90A:TG_SPLIT: 0
	.section	.text._ZN7rocprim17ROCPRIM_400000_NS6detail17trampoline_kernelINS0_14default_configENS1_35radix_sort_onesweep_config_selectorIxxEEZZNS1_29radix_sort_onesweep_iterationIS3_Lb0EN6thrust23THRUST_200600_302600_NS6detail15normal_iteratorINS8_10device_ptrIxEEEESD_SD_SD_jNS0_19identity_decomposerENS1_16block_id_wrapperIjLb0EEEEE10hipError_tT1_PNSt15iterator_traitsISI_E10value_typeET2_T3_PNSJ_ISO_E10value_typeET4_T5_PST_SU_PNS1_23onesweep_lookback_stateEbbT6_jjT7_P12ihipStream_tbENKUlT_T0_SI_SN_E_clISD_SD_SD_SD_EEDaS11_S12_SI_SN_EUlS11_E_NS1_11comp_targetILNS1_3genE10ELNS1_11target_archE1201ELNS1_3gpuE5ELNS1_3repE0EEENS1_47radix_sort_onesweep_sort_config_static_selectorELNS0_4arch9wavefront6targetE1EEEvSI_,"axG",@progbits,_ZN7rocprim17ROCPRIM_400000_NS6detail17trampoline_kernelINS0_14default_configENS1_35radix_sort_onesweep_config_selectorIxxEEZZNS1_29radix_sort_onesweep_iterationIS3_Lb0EN6thrust23THRUST_200600_302600_NS6detail15normal_iteratorINS8_10device_ptrIxEEEESD_SD_SD_jNS0_19identity_decomposerENS1_16block_id_wrapperIjLb0EEEEE10hipError_tT1_PNSt15iterator_traitsISI_E10value_typeET2_T3_PNSJ_ISO_E10value_typeET4_T5_PST_SU_PNS1_23onesweep_lookback_stateEbbT6_jjT7_P12ihipStream_tbENKUlT_T0_SI_SN_E_clISD_SD_SD_SD_EEDaS11_S12_SI_SN_EUlS11_E_NS1_11comp_targetILNS1_3genE10ELNS1_11target_archE1201ELNS1_3gpuE5ELNS1_3repE0EEENS1_47radix_sort_onesweep_sort_config_static_selectorELNS0_4arch9wavefront6targetE1EEEvSI_,comdat
	.protected	_ZN7rocprim17ROCPRIM_400000_NS6detail17trampoline_kernelINS0_14default_configENS1_35radix_sort_onesweep_config_selectorIxxEEZZNS1_29radix_sort_onesweep_iterationIS3_Lb0EN6thrust23THRUST_200600_302600_NS6detail15normal_iteratorINS8_10device_ptrIxEEEESD_SD_SD_jNS0_19identity_decomposerENS1_16block_id_wrapperIjLb0EEEEE10hipError_tT1_PNSt15iterator_traitsISI_E10value_typeET2_T3_PNSJ_ISO_E10value_typeET4_T5_PST_SU_PNS1_23onesweep_lookback_stateEbbT6_jjT7_P12ihipStream_tbENKUlT_T0_SI_SN_E_clISD_SD_SD_SD_EEDaS11_S12_SI_SN_EUlS11_E_NS1_11comp_targetILNS1_3genE10ELNS1_11target_archE1201ELNS1_3gpuE5ELNS1_3repE0EEENS1_47radix_sort_onesweep_sort_config_static_selectorELNS0_4arch9wavefront6targetE1EEEvSI_ ; -- Begin function _ZN7rocprim17ROCPRIM_400000_NS6detail17trampoline_kernelINS0_14default_configENS1_35radix_sort_onesweep_config_selectorIxxEEZZNS1_29radix_sort_onesweep_iterationIS3_Lb0EN6thrust23THRUST_200600_302600_NS6detail15normal_iteratorINS8_10device_ptrIxEEEESD_SD_SD_jNS0_19identity_decomposerENS1_16block_id_wrapperIjLb0EEEEE10hipError_tT1_PNSt15iterator_traitsISI_E10value_typeET2_T3_PNSJ_ISO_E10value_typeET4_T5_PST_SU_PNS1_23onesweep_lookback_stateEbbT6_jjT7_P12ihipStream_tbENKUlT_T0_SI_SN_E_clISD_SD_SD_SD_EEDaS11_S12_SI_SN_EUlS11_E_NS1_11comp_targetILNS1_3genE10ELNS1_11target_archE1201ELNS1_3gpuE5ELNS1_3repE0EEENS1_47radix_sort_onesweep_sort_config_static_selectorELNS0_4arch9wavefront6targetE1EEEvSI_
	.globl	_ZN7rocprim17ROCPRIM_400000_NS6detail17trampoline_kernelINS0_14default_configENS1_35radix_sort_onesweep_config_selectorIxxEEZZNS1_29radix_sort_onesweep_iterationIS3_Lb0EN6thrust23THRUST_200600_302600_NS6detail15normal_iteratorINS8_10device_ptrIxEEEESD_SD_SD_jNS0_19identity_decomposerENS1_16block_id_wrapperIjLb0EEEEE10hipError_tT1_PNSt15iterator_traitsISI_E10value_typeET2_T3_PNSJ_ISO_E10value_typeET4_T5_PST_SU_PNS1_23onesweep_lookback_stateEbbT6_jjT7_P12ihipStream_tbENKUlT_T0_SI_SN_E_clISD_SD_SD_SD_EEDaS11_S12_SI_SN_EUlS11_E_NS1_11comp_targetILNS1_3genE10ELNS1_11target_archE1201ELNS1_3gpuE5ELNS1_3repE0EEENS1_47radix_sort_onesweep_sort_config_static_selectorELNS0_4arch9wavefront6targetE1EEEvSI_
	.p2align	8
	.type	_ZN7rocprim17ROCPRIM_400000_NS6detail17trampoline_kernelINS0_14default_configENS1_35radix_sort_onesweep_config_selectorIxxEEZZNS1_29radix_sort_onesweep_iterationIS3_Lb0EN6thrust23THRUST_200600_302600_NS6detail15normal_iteratorINS8_10device_ptrIxEEEESD_SD_SD_jNS0_19identity_decomposerENS1_16block_id_wrapperIjLb0EEEEE10hipError_tT1_PNSt15iterator_traitsISI_E10value_typeET2_T3_PNSJ_ISO_E10value_typeET4_T5_PST_SU_PNS1_23onesweep_lookback_stateEbbT6_jjT7_P12ihipStream_tbENKUlT_T0_SI_SN_E_clISD_SD_SD_SD_EEDaS11_S12_SI_SN_EUlS11_E_NS1_11comp_targetILNS1_3genE10ELNS1_11target_archE1201ELNS1_3gpuE5ELNS1_3repE0EEENS1_47radix_sort_onesweep_sort_config_static_selectorELNS0_4arch9wavefront6targetE1EEEvSI_,@function
_ZN7rocprim17ROCPRIM_400000_NS6detail17trampoline_kernelINS0_14default_configENS1_35radix_sort_onesweep_config_selectorIxxEEZZNS1_29radix_sort_onesweep_iterationIS3_Lb0EN6thrust23THRUST_200600_302600_NS6detail15normal_iteratorINS8_10device_ptrIxEEEESD_SD_SD_jNS0_19identity_decomposerENS1_16block_id_wrapperIjLb0EEEEE10hipError_tT1_PNSt15iterator_traitsISI_E10value_typeET2_T3_PNSJ_ISO_E10value_typeET4_T5_PST_SU_PNS1_23onesweep_lookback_stateEbbT6_jjT7_P12ihipStream_tbENKUlT_T0_SI_SN_E_clISD_SD_SD_SD_EEDaS11_S12_SI_SN_EUlS11_E_NS1_11comp_targetILNS1_3genE10ELNS1_11target_archE1201ELNS1_3gpuE5ELNS1_3repE0EEENS1_47radix_sort_onesweep_sort_config_static_selectorELNS0_4arch9wavefront6targetE1EEEvSI_: ; @_ZN7rocprim17ROCPRIM_400000_NS6detail17trampoline_kernelINS0_14default_configENS1_35radix_sort_onesweep_config_selectorIxxEEZZNS1_29radix_sort_onesweep_iterationIS3_Lb0EN6thrust23THRUST_200600_302600_NS6detail15normal_iteratorINS8_10device_ptrIxEEEESD_SD_SD_jNS0_19identity_decomposerENS1_16block_id_wrapperIjLb0EEEEE10hipError_tT1_PNSt15iterator_traitsISI_E10value_typeET2_T3_PNSJ_ISO_E10value_typeET4_T5_PST_SU_PNS1_23onesweep_lookback_stateEbbT6_jjT7_P12ihipStream_tbENKUlT_T0_SI_SN_E_clISD_SD_SD_SD_EEDaS11_S12_SI_SN_EUlS11_E_NS1_11comp_targetILNS1_3genE10ELNS1_11target_archE1201ELNS1_3gpuE5ELNS1_3repE0EEENS1_47radix_sort_onesweep_sort_config_static_selectorELNS0_4arch9wavefront6targetE1EEEvSI_
; %bb.0:
	.section	.rodata,"a",@progbits
	.p2align	6, 0x0
	.amdhsa_kernel _ZN7rocprim17ROCPRIM_400000_NS6detail17trampoline_kernelINS0_14default_configENS1_35radix_sort_onesweep_config_selectorIxxEEZZNS1_29radix_sort_onesweep_iterationIS3_Lb0EN6thrust23THRUST_200600_302600_NS6detail15normal_iteratorINS8_10device_ptrIxEEEESD_SD_SD_jNS0_19identity_decomposerENS1_16block_id_wrapperIjLb0EEEEE10hipError_tT1_PNSt15iterator_traitsISI_E10value_typeET2_T3_PNSJ_ISO_E10value_typeET4_T5_PST_SU_PNS1_23onesweep_lookback_stateEbbT6_jjT7_P12ihipStream_tbENKUlT_T0_SI_SN_E_clISD_SD_SD_SD_EEDaS11_S12_SI_SN_EUlS11_E_NS1_11comp_targetILNS1_3genE10ELNS1_11target_archE1201ELNS1_3gpuE5ELNS1_3repE0EEENS1_47radix_sort_onesweep_sort_config_static_selectorELNS0_4arch9wavefront6targetE1EEEvSI_
		.amdhsa_group_segment_fixed_size 0
		.amdhsa_private_segment_fixed_size 0
		.amdhsa_kernarg_size 88
		.amdhsa_user_sgpr_count 2
		.amdhsa_user_sgpr_dispatch_ptr 0
		.amdhsa_user_sgpr_queue_ptr 0
		.amdhsa_user_sgpr_kernarg_segment_ptr 1
		.amdhsa_user_sgpr_dispatch_id 0
		.amdhsa_user_sgpr_kernarg_preload_length 0
		.amdhsa_user_sgpr_kernarg_preload_offset 0
		.amdhsa_user_sgpr_private_segment_size 0
		.amdhsa_uses_dynamic_stack 0
		.amdhsa_enable_private_segment 0
		.amdhsa_system_sgpr_workgroup_id_x 1
		.amdhsa_system_sgpr_workgroup_id_y 0
		.amdhsa_system_sgpr_workgroup_id_z 0
		.amdhsa_system_sgpr_workgroup_info 0
		.amdhsa_system_vgpr_workitem_id 0
		.amdhsa_next_free_vgpr 1
		.amdhsa_next_free_sgpr 0
		.amdhsa_accum_offset 4
		.amdhsa_reserve_vcc 0
		.amdhsa_float_round_mode_32 0
		.amdhsa_float_round_mode_16_64 0
		.amdhsa_float_denorm_mode_32 3
		.amdhsa_float_denorm_mode_16_64 3
		.amdhsa_dx10_clamp 1
		.amdhsa_ieee_mode 1
		.amdhsa_fp16_overflow 0
		.amdhsa_tg_split 0
		.amdhsa_exception_fp_ieee_invalid_op 0
		.amdhsa_exception_fp_denorm_src 0
		.amdhsa_exception_fp_ieee_div_zero 0
		.amdhsa_exception_fp_ieee_overflow 0
		.amdhsa_exception_fp_ieee_underflow 0
		.amdhsa_exception_fp_ieee_inexact 0
		.amdhsa_exception_int_div_zero 0
	.end_amdhsa_kernel
	.section	.text._ZN7rocprim17ROCPRIM_400000_NS6detail17trampoline_kernelINS0_14default_configENS1_35radix_sort_onesweep_config_selectorIxxEEZZNS1_29radix_sort_onesweep_iterationIS3_Lb0EN6thrust23THRUST_200600_302600_NS6detail15normal_iteratorINS8_10device_ptrIxEEEESD_SD_SD_jNS0_19identity_decomposerENS1_16block_id_wrapperIjLb0EEEEE10hipError_tT1_PNSt15iterator_traitsISI_E10value_typeET2_T3_PNSJ_ISO_E10value_typeET4_T5_PST_SU_PNS1_23onesweep_lookback_stateEbbT6_jjT7_P12ihipStream_tbENKUlT_T0_SI_SN_E_clISD_SD_SD_SD_EEDaS11_S12_SI_SN_EUlS11_E_NS1_11comp_targetILNS1_3genE10ELNS1_11target_archE1201ELNS1_3gpuE5ELNS1_3repE0EEENS1_47radix_sort_onesweep_sort_config_static_selectorELNS0_4arch9wavefront6targetE1EEEvSI_,"axG",@progbits,_ZN7rocprim17ROCPRIM_400000_NS6detail17trampoline_kernelINS0_14default_configENS1_35radix_sort_onesweep_config_selectorIxxEEZZNS1_29radix_sort_onesweep_iterationIS3_Lb0EN6thrust23THRUST_200600_302600_NS6detail15normal_iteratorINS8_10device_ptrIxEEEESD_SD_SD_jNS0_19identity_decomposerENS1_16block_id_wrapperIjLb0EEEEE10hipError_tT1_PNSt15iterator_traitsISI_E10value_typeET2_T3_PNSJ_ISO_E10value_typeET4_T5_PST_SU_PNS1_23onesweep_lookback_stateEbbT6_jjT7_P12ihipStream_tbENKUlT_T0_SI_SN_E_clISD_SD_SD_SD_EEDaS11_S12_SI_SN_EUlS11_E_NS1_11comp_targetILNS1_3genE10ELNS1_11target_archE1201ELNS1_3gpuE5ELNS1_3repE0EEENS1_47radix_sort_onesweep_sort_config_static_selectorELNS0_4arch9wavefront6targetE1EEEvSI_,comdat
.Lfunc_end1230:
	.size	_ZN7rocprim17ROCPRIM_400000_NS6detail17trampoline_kernelINS0_14default_configENS1_35radix_sort_onesweep_config_selectorIxxEEZZNS1_29radix_sort_onesweep_iterationIS3_Lb0EN6thrust23THRUST_200600_302600_NS6detail15normal_iteratorINS8_10device_ptrIxEEEESD_SD_SD_jNS0_19identity_decomposerENS1_16block_id_wrapperIjLb0EEEEE10hipError_tT1_PNSt15iterator_traitsISI_E10value_typeET2_T3_PNSJ_ISO_E10value_typeET4_T5_PST_SU_PNS1_23onesweep_lookback_stateEbbT6_jjT7_P12ihipStream_tbENKUlT_T0_SI_SN_E_clISD_SD_SD_SD_EEDaS11_S12_SI_SN_EUlS11_E_NS1_11comp_targetILNS1_3genE10ELNS1_11target_archE1201ELNS1_3gpuE5ELNS1_3repE0EEENS1_47radix_sort_onesweep_sort_config_static_selectorELNS0_4arch9wavefront6targetE1EEEvSI_, .Lfunc_end1230-_ZN7rocprim17ROCPRIM_400000_NS6detail17trampoline_kernelINS0_14default_configENS1_35radix_sort_onesweep_config_selectorIxxEEZZNS1_29radix_sort_onesweep_iterationIS3_Lb0EN6thrust23THRUST_200600_302600_NS6detail15normal_iteratorINS8_10device_ptrIxEEEESD_SD_SD_jNS0_19identity_decomposerENS1_16block_id_wrapperIjLb0EEEEE10hipError_tT1_PNSt15iterator_traitsISI_E10value_typeET2_T3_PNSJ_ISO_E10value_typeET4_T5_PST_SU_PNS1_23onesweep_lookback_stateEbbT6_jjT7_P12ihipStream_tbENKUlT_T0_SI_SN_E_clISD_SD_SD_SD_EEDaS11_S12_SI_SN_EUlS11_E_NS1_11comp_targetILNS1_3genE10ELNS1_11target_archE1201ELNS1_3gpuE5ELNS1_3repE0EEENS1_47radix_sort_onesweep_sort_config_static_selectorELNS0_4arch9wavefront6targetE1EEEvSI_
                                        ; -- End function
	.set _ZN7rocprim17ROCPRIM_400000_NS6detail17trampoline_kernelINS0_14default_configENS1_35radix_sort_onesweep_config_selectorIxxEEZZNS1_29radix_sort_onesweep_iterationIS3_Lb0EN6thrust23THRUST_200600_302600_NS6detail15normal_iteratorINS8_10device_ptrIxEEEESD_SD_SD_jNS0_19identity_decomposerENS1_16block_id_wrapperIjLb0EEEEE10hipError_tT1_PNSt15iterator_traitsISI_E10value_typeET2_T3_PNSJ_ISO_E10value_typeET4_T5_PST_SU_PNS1_23onesweep_lookback_stateEbbT6_jjT7_P12ihipStream_tbENKUlT_T0_SI_SN_E_clISD_SD_SD_SD_EEDaS11_S12_SI_SN_EUlS11_E_NS1_11comp_targetILNS1_3genE10ELNS1_11target_archE1201ELNS1_3gpuE5ELNS1_3repE0EEENS1_47radix_sort_onesweep_sort_config_static_selectorELNS0_4arch9wavefront6targetE1EEEvSI_.num_vgpr, 0
	.set _ZN7rocprim17ROCPRIM_400000_NS6detail17trampoline_kernelINS0_14default_configENS1_35radix_sort_onesweep_config_selectorIxxEEZZNS1_29radix_sort_onesweep_iterationIS3_Lb0EN6thrust23THRUST_200600_302600_NS6detail15normal_iteratorINS8_10device_ptrIxEEEESD_SD_SD_jNS0_19identity_decomposerENS1_16block_id_wrapperIjLb0EEEEE10hipError_tT1_PNSt15iterator_traitsISI_E10value_typeET2_T3_PNSJ_ISO_E10value_typeET4_T5_PST_SU_PNS1_23onesweep_lookback_stateEbbT6_jjT7_P12ihipStream_tbENKUlT_T0_SI_SN_E_clISD_SD_SD_SD_EEDaS11_S12_SI_SN_EUlS11_E_NS1_11comp_targetILNS1_3genE10ELNS1_11target_archE1201ELNS1_3gpuE5ELNS1_3repE0EEENS1_47radix_sort_onesweep_sort_config_static_selectorELNS0_4arch9wavefront6targetE1EEEvSI_.num_agpr, 0
	.set _ZN7rocprim17ROCPRIM_400000_NS6detail17trampoline_kernelINS0_14default_configENS1_35radix_sort_onesweep_config_selectorIxxEEZZNS1_29radix_sort_onesweep_iterationIS3_Lb0EN6thrust23THRUST_200600_302600_NS6detail15normal_iteratorINS8_10device_ptrIxEEEESD_SD_SD_jNS0_19identity_decomposerENS1_16block_id_wrapperIjLb0EEEEE10hipError_tT1_PNSt15iterator_traitsISI_E10value_typeET2_T3_PNSJ_ISO_E10value_typeET4_T5_PST_SU_PNS1_23onesweep_lookback_stateEbbT6_jjT7_P12ihipStream_tbENKUlT_T0_SI_SN_E_clISD_SD_SD_SD_EEDaS11_S12_SI_SN_EUlS11_E_NS1_11comp_targetILNS1_3genE10ELNS1_11target_archE1201ELNS1_3gpuE5ELNS1_3repE0EEENS1_47radix_sort_onesweep_sort_config_static_selectorELNS0_4arch9wavefront6targetE1EEEvSI_.numbered_sgpr, 0
	.set _ZN7rocprim17ROCPRIM_400000_NS6detail17trampoline_kernelINS0_14default_configENS1_35radix_sort_onesweep_config_selectorIxxEEZZNS1_29radix_sort_onesweep_iterationIS3_Lb0EN6thrust23THRUST_200600_302600_NS6detail15normal_iteratorINS8_10device_ptrIxEEEESD_SD_SD_jNS0_19identity_decomposerENS1_16block_id_wrapperIjLb0EEEEE10hipError_tT1_PNSt15iterator_traitsISI_E10value_typeET2_T3_PNSJ_ISO_E10value_typeET4_T5_PST_SU_PNS1_23onesweep_lookback_stateEbbT6_jjT7_P12ihipStream_tbENKUlT_T0_SI_SN_E_clISD_SD_SD_SD_EEDaS11_S12_SI_SN_EUlS11_E_NS1_11comp_targetILNS1_3genE10ELNS1_11target_archE1201ELNS1_3gpuE5ELNS1_3repE0EEENS1_47radix_sort_onesweep_sort_config_static_selectorELNS0_4arch9wavefront6targetE1EEEvSI_.num_named_barrier, 0
	.set _ZN7rocprim17ROCPRIM_400000_NS6detail17trampoline_kernelINS0_14default_configENS1_35radix_sort_onesweep_config_selectorIxxEEZZNS1_29radix_sort_onesweep_iterationIS3_Lb0EN6thrust23THRUST_200600_302600_NS6detail15normal_iteratorINS8_10device_ptrIxEEEESD_SD_SD_jNS0_19identity_decomposerENS1_16block_id_wrapperIjLb0EEEEE10hipError_tT1_PNSt15iterator_traitsISI_E10value_typeET2_T3_PNSJ_ISO_E10value_typeET4_T5_PST_SU_PNS1_23onesweep_lookback_stateEbbT6_jjT7_P12ihipStream_tbENKUlT_T0_SI_SN_E_clISD_SD_SD_SD_EEDaS11_S12_SI_SN_EUlS11_E_NS1_11comp_targetILNS1_3genE10ELNS1_11target_archE1201ELNS1_3gpuE5ELNS1_3repE0EEENS1_47radix_sort_onesweep_sort_config_static_selectorELNS0_4arch9wavefront6targetE1EEEvSI_.private_seg_size, 0
	.set _ZN7rocprim17ROCPRIM_400000_NS6detail17trampoline_kernelINS0_14default_configENS1_35radix_sort_onesweep_config_selectorIxxEEZZNS1_29radix_sort_onesweep_iterationIS3_Lb0EN6thrust23THRUST_200600_302600_NS6detail15normal_iteratorINS8_10device_ptrIxEEEESD_SD_SD_jNS0_19identity_decomposerENS1_16block_id_wrapperIjLb0EEEEE10hipError_tT1_PNSt15iterator_traitsISI_E10value_typeET2_T3_PNSJ_ISO_E10value_typeET4_T5_PST_SU_PNS1_23onesweep_lookback_stateEbbT6_jjT7_P12ihipStream_tbENKUlT_T0_SI_SN_E_clISD_SD_SD_SD_EEDaS11_S12_SI_SN_EUlS11_E_NS1_11comp_targetILNS1_3genE10ELNS1_11target_archE1201ELNS1_3gpuE5ELNS1_3repE0EEENS1_47radix_sort_onesweep_sort_config_static_selectorELNS0_4arch9wavefront6targetE1EEEvSI_.uses_vcc, 0
	.set _ZN7rocprim17ROCPRIM_400000_NS6detail17trampoline_kernelINS0_14default_configENS1_35radix_sort_onesweep_config_selectorIxxEEZZNS1_29radix_sort_onesweep_iterationIS3_Lb0EN6thrust23THRUST_200600_302600_NS6detail15normal_iteratorINS8_10device_ptrIxEEEESD_SD_SD_jNS0_19identity_decomposerENS1_16block_id_wrapperIjLb0EEEEE10hipError_tT1_PNSt15iterator_traitsISI_E10value_typeET2_T3_PNSJ_ISO_E10value_typeET4_T5_PST_SU_PNS1_23onesweep_lookback_stateEbbT6_jjT7_P12ihipStream_tbENKUlT_T0_SI_SN_E_clISD_SD_SD_SD_EEDaS11_S12_SI_SN_EUlS11_E_NS1_11comp_targetILNS1_3genE10ELNS1_11target_archE1201ELNS1_3gpuE5ELNS1_3repE0EEENS1_47radix_sort_onesweep_sort_config_static_selectorELNS0_4arch9wavefront6targetE1EEEvSI_.uses_flat_scratch, 0
	.set _ZN7rocprim17ROCPRIM_400000_NS6detail17trampoline_kernelINS0_14default_configENS1_35radix_sort_onesweep_config_selectorIxxEEZZNS1_29radix_sort_onesweep_iterationIS3_Lb0EN6thrust23THRUST_200600_302600_NS6detail15normal_iteratorINS8_10device_ptrIxEEEESD_SD_SD_jNS0_19identity_decomposerENS1_16block_id_wrapperIjLb0EEEEE10hipError_tT1_PNSt15iterator_traitsISI_E10value_typeET2_T3_PNSJ_ISO_E10value_typeET4_T5_PST_SU_PNS1_23onesweep_lookback_stateEbbT6_jjT7_P12ihipStream_tbENKUlT_T0_SI_SN_E_clISD_SD_SD_SD_EEDaS11_S12_SI_SN_EUlS11_E_NS1_11comp_targetILNS1_3genE10ELNS1_11target_archE1201ELNS1_3gpuE5ELNS1_3repE0EEENS1_47radix_sort_onesweep_sort_config_static_selectorELNS0_4arch9wavefront6targetE1EEEvSI_.has_dyn_sized_stack, 0
	.set _ZN7rocprim17ROCPRIM_400000_NS6detail17trampoline_kernelINS0_14default_configENS1_35radix_sort_onesweep_config_selectorIxxEEZZNS1_29radix_sort_onesweep_iterationIS3_Lb0EN6thrust23THRUST_200600_302600_NS6detail15normal_iteratorINS8_10device_ptrIxEEEESD_SD_SD_jNS0_19identity_decomposerENS1_16block_id_wrapperIjLb0EEEEE10hipError_tT1_PNSt15iterator_traitsISI_E10value_typeET2_T3_PNSJ_ISO_E10value_typeET4_T5_PST_SU_PNS1_23onesweep_lookback_stateEbbT6_jjT7_P12ihipStream_tbENKUlT_T0_SI_SN_E_clISD_SD_SD_SD_EEDaS11_S12_SI_SN_EUlS11_E_NS1_11comp_targetILNS1_3genE10ELNS1_11target_archE1201ELNS1_3gpuE5ELNS1_3repE0EEENS1_47radix_sort_onesweep_sort_config_static_selectorELNS0_4arch9wavefront6targetE1EEEvSI_.has_recursion, 0
	.set _ZN7rocprim17ROCPRIM_400000_NS6detail17trampoline_kernelINS0_14default_configENS1_35radix_sort_onesweep_config_selectorIxxEEZZNS1_29radix_sort_onesweep_iterationIS3_Lb0EN6thrust23THRUST_200600_302600_NS6detail15normal_iteratorINS8_10device_ptrIxEEEESD_SD_SD_jNS0_19identity_decomposerENS1_16block_id_wrapperIjLb0EEEEE10hipError_tT1_PNSt15iterator_traitsISI_E10value_typeET2_T3_PNSJ_ISO_E10value_typeET4_T5_PST_SU_PNS1_23onesweep_lookback_stateEbbT6_jjT7_P12ihipStream_tbENKUlT_T0_SI_SN_E_clISD_SD_SD_SD_EEDaS11_S12_SI_SN_EUlS11_E_NS1_11comp_targetILNS1_3genE10ELNS1_11target_archE1201ELNS1_3gpuE5ELNS1_3repE0EEENS1_47radix_sort_onesweep_sort_config_static_selectorELNS0_4arch9wavefront6targetE1EEEvSI_.has_indirect_call, 0
	.section	.AMDGPU.csdata,"",@progbits
; Kernel info:
; codeLenInByte = 0
; TotalNumSgprs: 6
; NumVgprs: 0
; NumAgprs: 0
; TotalNumVgprs: 0
; ScratchSize: 0
; MemoryBound: 0
; FloatMode: 240
; IeeeMode: 1
; LDSByteSize: 0 bytes/workgroup (compile time only)
; SGPRBlocks: 0
; VGPRBlocks: 0
; NumSGPRsForWavesPerEU: 6
; NumVGPRsForWavesPerEU: 1
; AccumOffset: 4
; Occupancy: 8
; WaveLimiterHint : 0
; COMPUTE_PGM_RSRC2:SCRATCH_EN: 0
; COMPUTE_PGM_RSRC2:USER_SGPR: 2
; COMPUTE_PGM_RSRC2:TRAP_HANDLER: 0
; COMPUTE_PGM_RSRC2:TGID_X_EN: 1
; COMPUTE_PGM_RSRC2:TGID_Y_EN: 0
; COMPUTE_PGM_RSRC2:TGID_Z_EN: 0
; COMPUTE_PGM_RSRC2:TIDIG_COMP_CNT: 0
; COMPUTE_PGM_RSRC3_GFX90A:ACCUM_OFFSET: 0
; COMPUTE_PGM_RSRC3_GFX90A:TG_SPLIT: 0
	.section	.text._ZN7rocprim17ROCPRIM_400000_NS6detail17trampoline_kernelINS0_14default_configENS1_35radix_sort_onesweep_config_selectorIxxEEZZNS1_29radix_sort_onesweep_iterationIS3_Lb0EN6thrust23THRUST_200600_302600_NS6detail15normal_iteratorINS8_10device_ptrIxEEEESD_SD_SD_jNS0_19identity_decomposerENS1_16block_id_wrapperIjLb0EEEEE10hipError_tT1_PNSt15iterator_traitsISI_E10value_typeET2_T3_PNSJ_ISO_E10value_typeET4_T5_PST_SU_PNS1_23onesweep_lookback_stateEbbT6_jjT7_P12ihipStream_tbENKUlT_T0_SI_SN_E_clISD_SD_SD_SD_EEDaS11_S12_SI_SN_EUlS11_E_NS1_11comp_targetILNS1_3genE9ELNS1_11target_archE1100ELNS1_3gpuE3ELNS1_3repE0EEENS1_47radix_sort_onesweep_sort_config_static_selectorELNS0_4arch9wavefront6targetE1EEEvSI_,"axG",@progbits,_ZN7rocprim17ROCPRIM_400000_NS6detail17trampoline_kernelINS0_14default_configENS1_35radix_sort_onesweep_config_selectorIxxEEZZNS1_29radix_sort_onesweep_iterationIS3_Lb0EN6thrust23THRUST_200600_302600_NS6detail15normal_iteratorINS8_10device_ptrIxEEEESD_SD_SD_jNS0_19identity_decomposerENS1_16block_id_wrapperIjLb0EEEEE10hipError_tT1_PNSt15iterator_traitsISI_E10value_typeET2_T3_PNSJ_ISO_E10value_typeET4_T5_PST_SU_PNS1_23onesweep_lookback_stateEbbT6_jjT7_P12ihipStream_tbENKUlT_T0_SI_SN_E_clISD_SD_SD_SD_EEDaS11_S12_SI_SN_EUlS11_E_NS1_11comp_targetILNS1_3genE9ELNS1_11target_archE1100ELNS1_3gpuE3ELNS1_3repE0EEENS1_47radix_sort_onesweep_sort_config_static_selectorELNS0_4arch9wavefront6targetE1EEEvSI_,comdat
	.protected	_ZN7rocprim17ROCPRIM_400000_NS6detail17trampoline_kernelINS0_14default_configENS1_35radix_sort_onesweep_config_selectorIxxEEZZNS1_29radix_sort_onesweep_iterationIS3_Lb0EN6thrust23THRUST_200600_302600_NS6detail15normal_iteratorINS8_10device_ptrIxEEEESD_SD_SD_jNS0_19identity_decomposerENS1_16block_id_wrapperIjLb0EEEEE10hipError_tT1_PNSt15iterator_traitsISI_E10value_typeET2_T3_PNSJ_ISO_E10value_typeET4_T5_PST_SU_PNS1_23onesweep_lookback_stateEbbT6_jjT7_P12ihipStream_tbENKUlT_T0_SI_SN_E_clISD_SD_SD_SD_EEDaS11_S12_SI_SN_EUlS11_E_NS1_11comp_targetILNS1_3genE9ELNS1_11target_archE1100ELNS1_3gpuE3ELNS1_3repE0EEENS1_47radix_sort_onesweep_sort_config_static_selectorELNS0_4arch9wavefront6targetE1EEEvSI_ ; -- Begin function _ZN7rocprim17ROCPRIM_400000_NS6detail17trampoline_kernelINS0_14default_configENS1_35radix_sort_onesweep_config_selectorIxxEEZZNS1_29radix_sort_onesweep_iterationIS3_Lb0EN6thrust23THRUST_200600_302600_NS6detail15normal_iteratorINS8_10device_ptrIxEEEESD_SD_SD_jNS0_19identity_decomposerENS1_16block_id_wrapperIjLb0EEEEE10hipError_tT1_PNSt15iterator_traitsISI_E10value_typeET2_T3_PNSJ_ISO_E10value_typeET4_T5_PST_SU_PNS1_23onesweep_lookback_stateEbbT6_jjT7_P12ihipStream_tbENKUlT_T0_SI_SN_E_clISD_SD_SD_SD_EEDaS11_S12_SI_SN_EUlS11_E_NS1_11comp_targetILNS1_3genE9ELNS1_11target_archE1100ELNS1_3gpuE3ELNS1_3repE0EEENS1_47radix_sort_onesweep_sort_config_static_selectorELNS0_4arch9wavefront6targetE1EEEvSI_
	.globl	_ZN7rocprim17ROCPRIM_400000_NS6detail17trampoline_kernelINS0_14default_configENS1_35radix_sort_onesweep_config_selectorIxxEEZZNS1_29radix_sort_onesweep_iterationIS3_Lb0EN6thrust23THRUST_200600_302600_NS6detail15normal_iteratorINS8_10device_ptrIxEEEESD_SD_SD_jNS0_19identity_decomposerENS1_16block_id_wrapperIjLb0EEEEE10hipError_tT1_PNSt15iterator_traitsISI_E10value_typeET2_T3_PNSJ_ISO_E10value_typeET4_T5_PST_SU_PNS1_23onesweep_lookback_stateEbbT6_jjT7_P12ihipStream_tbENKUlT_T0_SI_SN_E_clISD_SD_SD_SD_EEDaS11_S12_SI_SN_EUlS11_E_NS1_11comp_targetILNS1_3genE9ELNS1_11target_archE1100ELNS1_3gpuE3ELNS1_3repE0EEENS1_47radix_sort_onesweep_sort_config_static_selectorELNS0_4arch9wavefront6targetE1EEEvSI_
	.p2align	8
	.type	_ZN7rocprim17ROCPRIM_400000_NS6detail17trampoline_kernelINS0_14default_configENS1_35radix_sort_onesweep_config_selectorIxxEEZZNS1_29radix_sort_onesweep_iterationIS3_Lb0EN6thrust23THRUST_200600_302600_NS6detail15normal_iteratorINS8_10device_ptrIxEEEESD_SD_SD_jNS0_19identity_decomposerENS1_16block_id_wrapperIjLb0EEEEE10hipError_tT1_PNSt15iterator_traitsISI_E10value_typeET2_T3_PNSJ_ISO_E10value_typeET4_T5_PST_SU_PNS1_23onesweep_lookback_stateEbbT6_jjT7_P12ihipStream_tbENKUlT_T0_SI_SN_E_clISD_SD_SD_SD_EEDaS11_S12_SI_SN_EUlS11_E_NS1_11comp_targetILNS1_3genE9ELNS1_11target_archE1100ELNS1_3gpuE3ELNS1_3repE0EEENS1_47radix_sort_onesweep_sort_config_static_selectorELNS0_4arch9wavefront6targetE1EEEvSI_,@function
_ZN7rocprim17ROCPRIM_400000_NS6detail17trampoline_kernelINS0_14default_configENS1_35radix_sort_onesweep_config_selectorIxxEEZZNS1_29radix_sort_onesweep_iterationIS3_Lb0EN6thrust23THRUST_200600_302600_NS6detail15normal_iteratorINS8_10device_ptrIxEEEESD_SD_SD_jNS0_19identity_decomposerENS1_16block_id_wrapperIjLb0EEEEE10hipError_tT1_PNSt15iterator_traitsISI_E10value_typeET2_T3_PNSJ_ISO_E10value_typeET4_T5_PST_SU_PNS1_23onesweep_lookback_stateEbbT6_jjT7_P12ihipStream_tbENKUlT_T0_SI_SN_E_clISD_SD_SD_SD_EEDaS11_S12_SI_SN_EUlS11_E_NS1_11comp_targetILNS1_3genE9ELNS1_11target_archE1100ELNS1_3gpuE3ELNS1_3repE0EEENS1_47radix_sort_onesweep_sort_config_static_selectorELNS0_4arch9wavefront6targetE1EEEvSI_: ; @_ZN7rocprim17ROCPRIM_400000_NS6detail17trampoline_kernelINS0_14default_configENS1_35radix_sort_onesweep_config_selectorIxxEEZZNS1_29radix_sort_onesweep_iterationIS3_Lb0EN6thrust23THRUST_200600_302600_NS6detail15normal_iteratorINS8_10device_ptrIxEEEESD_SD_SD_jNS0_19identity_decomposerENS1_16block_id_wrapperIjLb0EEEEE10hipError_tT1_PNSt15iterator_traitsISI_E10value_typeET2_T3_PNSJ_ISO_E10value_typeET4_T5_PST_SU_PNS1_23onesweep_lookback_stateEbbT6_jjT7_P12ihipStream_tbENKUlT_T0_SI_SN_E_clISD_SD_SD_SD_EEDaS11_S12_SI_SN_EUlS11_E_NS1_11comp_targetILNS1_3genE9ELNS1_11target_archE1100ELNS1_3gpuE3ELNS1_3repE0EEENS1_47radix_sort_onesweep_sort_config_static_selectorELNS0_4arch9wavefront6targetE1EEEvSI_
; %bb.0:
	.section	.rodata,"a",@progbits
	.p2align	6, 0x0
	.amdhsa_kernel _ZN7rocprim17ROCPRIM_400000_NS6detail17trampoline_kernelINS0_14default_configENS1_35radix_sort_onesweep_config_selectorIxxEEZZNS1_29radix_sort_onesweep_iterationIS3_Lb0EN6thrust23THRUST_200600_302600_NS6detail15normal_iteratorINS8_10device_ptrIxEEEESD_SD_SD_jNS0_19identity_decomposerENS1_16block_id_wrapperIjLb0EEEEE10hipError_tT1_PNSt15iterator_traitsISI_E10value_typeET2_T3_PNSJ_ISO_E10value_typeET4_T5_PST_SU_PNS1_23onesweep_lookback_stateEbbT6_jjT7_P12ihipStream_tbENKUlT_T0_SI_SN_E_clISD_SD_SD_SD_EEDaS11_S12_SI_SN_EUlS11_E_NS1_11comp_targetILNS1_3genE9ELNS1_11target_archE1100ELNS1_3gpuE3ELNS1_3repE0EEENS1_47radix_sort_onesweep_sort_config_static_selectorELNS0_4arch9wavefront6targetE1EEEvSI_
		.amdhsa_group_segment_fixed_size 0
		.amdhsa_private_segment_fixed_size 0
		.amdhsa_kernarg_size 88
		.amdhsa_user_sgpr_count 2
		.amdhsa_user_sgpr_dispatch_ptr 0
		.amdhsa_user_sgpr_queue_ptr 0
		.amdhsa_user_sgpr_kernarg_segment_ptr 1
		.amdhsa_user_sgpr_dispatch_id 0
		.amdhsa_user_sgpr_kernarg_preload_length 0
		.amdhsa_user_sgpr_kernarg_preload_offset 0
		.amdhsa_user_sgpr_private_segment_size 0
		.amdhsa_uses_dynamic_stack 0
		.amdhsa_enable_private_segment 0
		.amdhsa_system_sgpr_workgroup_id_x 1
		.amdhsa_system_sgpr_workgroup_id_y 0
		.amdhsa_system_sgpr_workgroup_id_z 0
		.amdhsa_system_sgpr_workgroup_info 0
		.amdhsa_system_vgpr_workitem_id 0
		.amdhsa_next_free_vgpr 1
		.amdhsa_next_free_sgpr 0
		.amdhsa_accum_offset 4
		.amdhsa_reserve_vcc 0
		.amdhsa_float_round_mode_32 0
		.amdhsa_float_round_mode_16_64 0
		.amdhsa_float_denorm_mode_32 3
		.amdhsa_float_denorm_mode_16_64 3
		.amdhsa_dx10_clamp 1
		.amdhsa_ieee_mode 1
		.amdhsa_fp16_overflow 0
		.amdhsa_tg_split 0
		.amdhsa_exception_fp_ieee_invalid_op 0
		.amdhsa_exception_fp_denorm_src 0
		.amdhsa_exception_fp_ieee_div_zero 0
		.amdhsa_exception_fp_ieee_overflow 0
		.amdhsa_exception_fp_ieee_underflow 0
		.amdhsa_exception_fp_ieee_inexact 0
		.amdhsa_exception_int_div_zero 0
	.end_amdhsa_kernel
	.section	.text._ZN7rocprim17ROCPRIM_400000_NS6detail17trampoline_kernelINS0_14default_configENS1_35radix_sort_onesweep_config_selectorIxxEEZZNS1_29radix_sort_onesweep_iterationIS3_Lb0EN6thrust23THRUST_200600_302600_NS6detail15normal_iteratorINS8_10device_ptrIxEEEESD_SD_SD_jNS0_19identity_decomposerENS1_16block_id_wrapperIjLb0EEEEE10hipError_tT1_PNSt15iterator_traitsISI_E10value_typeET2_T3_PNSJ_ISO_E10value_typeET4_T5_PST_SU_PNS1_23onesweep_lookback_stateEbbT6_jjT7_P12ihipStream_tbENKUlT_T0_SI_SN_E_clISD_SD_SD_SD_EEDaS11_S12_SI_SN_EUlS11_E_NS1_11comp_targetILNS1_3genE9ELNS1_11target_archE1100ELNS1_3gpuE3ELNS1_3repE0EEENS1_47radix_sort_onesweep_sort_config_static_selectorELNS0_4arch9wavefront6targetE1EEEvSI_,"axG",@progbits,_ZN7rocprim17ROCPRIM_400000_NS6detail17trampoline_kernelINS0_14default_configENS1_35radix_sort_onesweep_config_selectorIxxEEZZNS1_29radix_sort_onesweep_iterationIS3_Lb0EN6thrust23THRUST_200600_302600_NS6detail15normal_iteratorINS8_10device_ptrIxEEEESD_SD_SD_jNS0_19identity_decomposerENS1_16block_id_wrapperIjLb0EEEEE10hipError_tT1_PNSt15iterator_traitsISI_E10value_typeET2_T3_PNSJ_ISO_E10value_typeET4_T5_PST_SU_PNS1_23onesweep_lookback_stateEbbT6_jjT7_P12ihipStream_tbENKUlT_T0_SI_SN_E_clISD_SD_SD_SD_EEDaS11_S12_SI_SN_EUlS11_E_NS1_11comp_targetILNS1_3genE9ELNS1_11target_archE1100ELNS1_3gpuE3ELNS1_3repE0EEENS1_47radix_sort_onesweep_sort_config_static_selectorELNS0_4arch9wavefront6targetE1EEEvSI_,comdat
.Lfunc_end1231:
	.size	_ZN7rocprim17ROCPRIM_400000_NS6detail17trampoline_kernelINS0_14default_configENS1_35radix_sort_onesweep_config_selectorIxxEEZZNS1_29radix_sort_onesweep_iterationIS3_Lb0EN6thrust23THRUST_200600_302600_NS6detail15normal_iteratorINS8_10device_ptrIxEEEESD_SD_SD_jNS0_19identity_decomposerENS1_16block_id_wrapperIjLb0EEEEE10hipError_tT1_PNSt15iterator_traitsISI_E10value_typeET2_T3_PNSJ_ISO_E10value_typeET4_T5_PST_SU_PNS1_23onesweep_lookback_stateEbbT6_jjT7_P12ihipStream_tbENKUlT_T0_SI_SN_E_clISD_SD_SD_SD_EEDaS11_S12_SI_SN_EUlS11_E_NS1_11comp_targetILNS1_3genE9ELNS1_11target_archE1100ELNS1_3gpuE3ELNS1_3repE0EEENS1_47radix_sort_onesweep_sort_config_static_selectorELNS0_4arch9wavefront6targetE1EEEvSI_, .Lfunc_end1231-_ZN7rocprim17ROCPRIM_400000_NS6detail17trampoline_kernelINS0_14default_configENS1_35radix_sort_onesweep_config_selectorIxxEEZZNS1_29radix_sort_onesweep_iterationIS3_Lb0EN6thrust23THRUST_200600_302600_NS6detail15normal_iteratorINS8_10device_ptrIxEEEESD_SD_SD_jNS0_19identity_decomposerENS1_16block_id_wrapperIjLb0EEEEE10hipError_tT1_PNSt15iterator_traitsISI_E10value_typeET2_T3_PNSJ_ISO_E10value_typeET4_T5_PST_SU_PNS1_23onesweep_lookback_stateEbbT6_jjT7_P12ihipStream_tbENKUlT_T0_SI_SN_E_clISD_SD_SD_SD_EEDaS11_S12_SI_SN_EUlS11_E_NS1_11comp_targetILNS1_3genE9ELNS1_11target_archE1100ELNS1_3gpuE3ELNS1_3repE0EEENS1_47radix_sort_onesweep_sort_config_static_selectorELNS0_4arch9wavefront6targetE1EEEvSI_
                                        ; -- End function
	.set _ZN7rocprim17ROCPRIM_400000_NS6detail17trampoline_kernelINS0_14default_configENS1_35radix_sort_onesweep_config_selectorIxxEEZZNS1_29radix_sort_onesweep_iterationIS3_Lb0EN6thrust23THRUST_200600_302600_NS6detail15normal_iteratorINS8_10device_ptrIxEEEESD_SD_SD_jNS0_19identity_decomposerENS1_16block_id_wrapperIjLb0EEEEE10hipError_tT1_PNSt15iterator_traitsISI_E10value_typeET2_T3_PNSJ_ISO_E10value_typeET4_T5_PST_SU_PNS1_23onesweep_lookback_stateEbbT6_jjT7_P12ihipStream_tbENKUlT_T0_SI_SN_E_clISD_SD_SD_SD_EEDaS11_S12_SI_SN_EUlS11_E_NS1_11comp_targetILNS1_3genE9ELNS1_11target_archE1100ELNS1_3gpuE3ELNS1_3repE0EEENS1_47radix_sort_onesweep_sort_config_static_selectorELNS0_4arch9wavefront6targetE1EEEvSI_.num_vgpr, 0
	.set _ZN7rocprim17ROCPRIM_400000_NS6detail17trampoline_kernelINS0_14default_configENS1_35radix_sort_onesweep_config_selectorIxxEEZZNS1_29radix_sort_onesweep_iterationIS3_Lb0EN6thrust23THRUST_200600_302600_NS6detail15normal_iteratorINS8_10device_ptrIxEEEESD_SD_SD_jNS0_19identity_decomposerENS1_16block_id_wrapperIjLb0EEEEE10hipError_tT1_PNSt15iterator_traitsISI_E10value_typeET2_T3_PNSJ_ISO_E10value_typeET4_T5_PST_SU_PNS1_23onesweep_lookback_stateEbbT6_jjT7_P12ihipStream_tbENKUlT_T0_SI_SN_E_clISD_SD_SD_SD_EEDaS11_S12_SI_SN_EUlS11_E_NS1_11comp_targetILNS1_3genE9ELNS1_11target_archE1100ELNS1_3gpuE3ELNS1_3repE0EEENS1_47radix_sort_onesweep_sort_config_static_selectorELNS0_4arch9wavefront6targetE1EEEvSI_.num_agpr, 0
	.set _ZN7rocprim17ROCPRIM_400000_NS6detail17trampoline_kernelINS0_14default_configENS1_35radix_sort_onesweep_config_selectorIxxEEZZNS1_29radix_sort_onesweep_iterationIS3_Lb0EN6thrust23THRUST_200600_302600_NS6detail15normal_iteratorINS8_10device_ptrIxEEEESD_SD_SD_jNS0_19identity_decomposerENS1_16block_id_wrapperIjLb0EEEEE10hipError_tT1_PNSt15iterator_traitsISI_E10value_typeET2_T3_PNSJ_ISO_E10value_typeET4_T5_PST_SU_PNS1_23onesweep_lookback_stateEbbT6_jjT7_P12ihipStream_tbENKUlT_T0_SI_SN_E_clISD_SD_SD_SD_EEDaS11_S12_SI_SN_EUlS11_E_NS1_11comp_targetILNS1_3genE9ELNS1_11target_archE1100ELNS1_3gpuE3ELNS1_3repE0EEENS1_47radix_sort_onesweep_sort_config_static_selectorELNS0_4arch9wavefront6targetE1EEEvSI_.numbered_sgpr, 0
	.set _ZN7rocprim17ROCPRIM_400000_NS6detail17trampoline_kernelINS0_14default_configENS1_35radix_sort_onesweep_config_selectorIxxEEZZNS1_29radix_sort_onesweep_iterationIS3_Lb0EN6thrust23THRUST_200600_302600_NS6detail15normal_iteratorINS8_10device_ptrIxEEEESD_SD_SD_jNS0_19identity_decomposerENS1_16block_id_wrapperIjLb0EEEEE10hipError_tT1_PNSt15iterator_traitsISI_E10value_typeET2_T3_PNSJ_ISO_E10value_typeET4_T5_PST_SU_PNS1_23onesweep_lookback_stateEbbT6_jjT7_P12ihipStream_tbENKUlT_T0_SI_SN_E_clISD_SD_SD_SD_EEDaS11_S12_SI_SN_EUlS11_E_NS1_11comp_targetILNS1_3genE9ELNS1_11target_archE1100ELNS1_3gpuE3ELNS1_3repE0EEENS1_47radix_sort_onesweep_sort_config_static_selectorELNS0_4arch9wavefront6targetE1EEEvSI_.num_named_barrier, 0
	.set _ZN7rocprim17ROCPRIM_400000_NS6detail17trampoline_kernelINS0_14default_configENS1_35radix_sort_onesweep_config_selectorIxxEEZZNS1_29radix_sort_onesweep_iterationIS3_Lb0EN6thrust23THRUST_200600_302600_NS6detail15normal_iteratorINS8_10device_ptrIxEEEESD_SD_SD_jNS0_19identity_decomposerENS1_16block_id_wrapperIjLb0EEEEE10hipError_tT1_PNSt15iterator_traitsISI_E10value_typeET2_T3_PNSJ_ISO_E10value_typeET4_T5_PST_SU_PNS1_23onesweep_lookback_stateEbbT6_jjT7_P12ihipStream_tbENKUlT_T0_SI_SN_E_clISD_SD_SD_SD_EEDaS11_S12_SI_SN_EUlS11_E_NS1_11comp_targetILNS1_3genE9ELNS1_11target_archE1100ELNS1_3gpuE3ELNS1_3repE0EEENS1_47radix_sort_onesweep_sort_config_static_selectorELNS0_4arch9wavefront6targetE1EEEvSI_.private_seg_size, 0
	.set _ZN7rocprim17ROCPRIM_400000_NS6detail17trampoline_kernelINS0_14default_configENS1_35radix_sort_onesweep_config_selectorIxxEEZZNS1_29radix_sort_onesweep_iterationIS3_Lb0EN6thrust23THRUST_200600_302600_NS6detail15normal_iteratorINS8_10device_ptrIxEEEESD_SD_SD_jNS0_19identity_decomposerENS1_16block_id_wrapperIjLb0EEEEE10hipError_tT1_PNSt15iterator_traitsISI_E10value_typeET2_T3_PNSJ_ISO_E10value_typeET4_T5_PST_SU_PNS1_23onesweep_lookback_stateEbbT6_jjT7_P12ihipStream_tbENKUlT_T0_SI_SN_E_clISD_SD_SD_SD_EEDaS11_S12_SI_SN_EUlS11_E_NS1_11comp_targetILNS1_3genE9ELNS1_11target_archE1100ELNS1_3gpuE3ELNS1_3repE0EEENS1_47radix_sort_onesweep_sort_config_static_selectorELNS0_4arch9wavefront6targetE1EEEvSI_.uses_vcc, 0
	.set _ZN7rocprim17ROCPRIM_400000_NS6detail17trampoline_kernelINS0_14default_configENS1_35radix_sort_onesweep_config_selectorIxxEEZZNS1_29radix_sort_onesweep_iterationIS3_Lb0EN6thrust23THRUST_200600_302600_NS6detail15normal_iteratorINS8_10device_ptrIxEEEESD_SD_SD_jNS0_19identity_decomposerENS1_16block_id_wrapperIjLb0EEEEE10hipError_tT1_PNSt15iterator_traitsISI_E10value_typeET2_T3_PNSJ_ISO_E10value_typeET4_T5_PST_SU_PNS1_23onesweep_lookback_stateEbbT6_jjT7_P12ihipStream_tbENKUlT_T0_SI_SN_E_clISD_SD_SD_SD_EEDaS11_S12_SI_SN_EUlS11_E_NS1_11comp_targetILNS1_3genE9ELNS1_11target_archE1100ELNS1_3gpuE3ELNS1_3repE0EEENS1_47radix_sort_onesweep_sort_config_static_selectorELNS0_4arch9wavefront6targetE1EEEvSI_.uses_flat_scratch, 0
	.set _ZN7rocprim17ROCPRIM_400000_NS6detail17trampoline_kernelINS0_14default_configENS1_35radix_sort_onesweep_config_selectorIxxEEZZNS1_29radix_sort_onesweep_iterationIS3_Lb0EN6thrust23THRUST_200600_302600_NS6detail15normal_iteratorINS8_10device_ptrIxEEEESD_SD_SD_jNS0_19identity_decomposerENS1_16block_id_wrapperIjLb0EEEEE10hipError_tT1_PNSt15iterator_traitsISI_E10value_typeET2_T3_PNSJ_ISO_E10value_typeET4_T5_PST_SU_PNS1_23onesweep_lookback_stateEbbT6_jjT7_P12ihipStream_tbENKUlT_T0_SI_SN_E_clISD_SD_SD_SD_EEDaS11_S12_SI_SN_EUlS11_E_NS1_11comp_targetILNS1_3genE9ELNS1_11target_archE1100ELNS1_3gpuE3ELNS1_3repE0EEENS1_47radix_sort_onesweep_sort_config_static_selectorELNS0_4arch9wavefront6targetE1EEEvSI_.has_dyn_sized_stack, 0
	.set _ZN7rocprim17ROCPRIM_400000_NS6detail17trampoline_kernelINS0_14default_configENS1_35radix_sort_onesweep_config_selectorIxxEEZZNS1_29radix_sort_onesweep_iterationIS3_Lb0EN6thrust23THRUST_200600_302600_NS6detail15normal_iteratorINS8_10device_ptrIxEEEESD_SD_SD_jNS0_19identity_decomposerENS1_16block_id_wrapperIjLb0EEEEE10hipError_tT1_PNSt15iterator_traitsISI_E10value_typeET2_T3_PNSJ_ISO_E10value_typeET4_T5_PST_SU_PNS1_23onesweep_lookback_stateEbbT6_jjT7_P12ihipStream_tbENKUlT_T0_SI_SN_E_clISD_SD_SD_SD_EEDaS11_S12_SI_SN_EUlS11_E_NS1_11comp_targetILNS1_3genE9ELNS1_11target_archE1100ELNS1_3gpuE3ELNS1_3repE0EEENS1_47radix_sort_onesweep_sort_config_static_selectorELNS0_4arch9wavefront6targetE1EEEvSI_.has_recursion, 0
	.set _ZN7rocprim17ROCPRIM_400000_NS6detail17trampoline_kernelINS0_14default_configENS1_35radix_sort_onesweep_config_selectorIxxEEZZNS1_29radix_sort_onesweep_iterationIS3_Lb0EN6thrust23THRUST_200600_302600_NS6detail15normal_iteratorINS8_10device_ptrIxEEEESD_SD_SD_jNS0_19identity_decomposerENS1_16block_id_wrapperIjLb0EEEEE10hipError_tT1_PNSt15iterator_traitsISI_E10value_typeET2_T3_PNSJ_ISO_E10value_typeET4_T5_PST_SU_PNS1_23onesweep_lookback_stateEbbT6_jjT7_P12ihipStream_tbENKUlT_T0_SI_SN_E_clISD_SD_SD_SD_EEDaS11_S12_SI_SN_EUlS11_E_NS1_11comp_targetILNS1_3genE9ELNS1_11target_archE1100ELNS1_3gpuE3ELNS1_3repE0EEENS1_47radix_sort_onesweep_sort_config_static_selectorELNS0_4arch9wavefront6targetE1EEEvSI_.has_indirect_call, 0
	.section	.AMDGPU.csdata,"",@progbits
; Kernel info:
; codeLenInByte = 0
; TotalNumSgprs: 6
; NumVgprs: 0
; NumAgprs: 0
; TotalNumVgprs: 0
; ScratchSize: 0
; MemoryBound: 0
; FloatMode: 240
; IeeeMode: 1
; LDSByteSize: 0 bytes/workgroup (compile time only)
; SGPRBlocks: 0
; VGPRBlocks: 0
; NumSGPRsForWavesPerEU: 6
; NumVGPRsForWavesPerEU: 1
; AccumOffset: 4
; Occupancy: 8
; WaveLimiterHint : 0
; COMPUTE_PGM_RSRC2:SCRATCH_EN: 0
; COMPUTE_PGM_RSRC2:USER_SGPR: 2
; COMPUTE_PGM_RSRC2:TRAP_HANDLER: 0
; COMPUTE_PGM_RSRC2:TGID_X_EN: 1
; COMPUTE_PGM_RSRC2:TGID_Y_EN: 0
; COMPUTE_PGM_RSRC2:TGID_Z_EN: 0
; COMPUTE_PGM_RSRC2:TIDIG_COMP_CNT: 0
; COMPUTE_PGM_RSRC3_GFX90A:ACCUM_OFFSET: 0
; COMPUTE_PGM_RSRC3_GFX90A:TG_SPLIT: 0
	.section	.text._ZN7rocprim17ROCPRIM_400000_NS6detail17trampoline_kernelINS0_14default_configENS1_35radix_sort_onesweep_config_selectorIxxEEZZNS1_29radix_sort_onesweep_iterationIS3_Lb0EN6thrust23THRUST_200600_302600_NS6detail15normal_iteratorINS8_10device_ptrIxEEEESD_SD_SD_jNS0_19identity_decomposerENS1_16block_id_wrapperIjLb0EEEEE10hipError_tT1_PNSt15iterator_traitsISI_E10value_typeET2_T3_PNSJ_ISO_E10value_typeET4_T5_PST_SU_PNS1_23onesweep_lookback_stateEbbT6_jjT7_P12ihipStream_tbENKUlT_T0_SI_SN_E_clISD_SD_SD_SD_EEDaS11_S12_SI_SN_EUlS11_E_NS1_11comp_targetILNS1_3genE8ELNS1_11target_archE1030ELNS1_3gpuE2ELNS1_3repE0EEENS1_47radix_sort_onesweep_sort_config_static_selectorELNS0_4arch9wavefront6targetE1EEEvSI_,"axG",@progbits,_ZN7rocprim17ROCPRIM_400000_NS6detail17trampoline_kernelINS0_14default_configENS1_35radix_sort_onesweep_config_selectorIxxEEZZNS1_29radix_sort_onesweep_iterationIS3_Lb0EN6thrust23THRUST_200600_302600_NS6detail15normal_iteratorINS8_10device_ptrIxEEEESD_SD_SD_jNS0_19identity_decomposerENS1_16block_id_wrapperIjLb0EEEEE10hipError_tT1_PNSt15iterator_traitsISI_E10value_typeET2_T3_PNSJ_ISO_E10value_typeET4_T5_PST_SU_PNS1_23onesweep_lookback_stateEbbT6_jjT7_P12ihipStream_tbENKUlT_T0_SI_SN_E_clISD_SD_SD_SD_EEDaS11_S12_SI_SN_EUlS11_E_NS1_11comp_targetILNS1_3genE8ELNS1_11target_archE1030ELNS1_3gpuE2ELNS1_3repE0EEENS1_47radix_sort_onesweep_sort_config_static_selectorELNS0_4arch9wavefront6targetE1EEEvSI_,comdat
	.protected	_ZN7rocprim17ROCPRIM_400000_NS6detail17trampoline_kernelINS0_14default_configENS1_35radix_sort_onesweep_config_selectorIxxEEZZNS1_29radix_sort_onesweep_iterationIS3_Lb0EN6thrust23THRUST_200600_302600_NS6detail15normal_iteratorINS8_10device_ptrIxEEEESD_SD_SD_jNS0_19identity_decomposerENS1_16block_id_wrapperIjLb0EEEEE10hipError_tT1_PNSt15iterator_traitsISI_E10value_typeET2_T3_PNSJ_ISO_E10value_typeET4_T5_PST_SU_PNS1_23onesweep_lookback_stateEbbT6_jjT7_P12ihipStream_tbENKUlT_T0_SI_SN_E_clISD_SD_SD_SD_EEDaS11_S12_SI_SN_EUlS11_E_NS1_11comp_targetILNS1_3genE8ELNS1_11target_archE1030ELNS1_3gpuE2ELNS1_3repE0EEENS1_47radix_sort_onesweep_sort_config_static_selectorELNS0_4arch9wavefront6targetE1EEEvSI_ ; -- Begin function _ZN7rocprim17ROCPRIM_400000_NS6detail17trampoline_kernelINS0_14default_configENS1_35radix_sort_onesweep_config_selectorIxxEEZZNS1_29radix_sort_onesweep_iterationIS3_Lb0EN6thrust23THRUST_200600_302600_NS6detail15normal_iteratorINS8_10device_ptrIxEEEESD_SD_SD_jNS0_19identity_decomposerENS1_16block_id_wrapperIjLb0EEEEE10hipError_tT1_PNSt15iterator_traitsISI_E10value_typeET2_T3_PNSJ_ISO_E10value_typeET4_T5_PST_SU_PNS1_23onesweep_lookback_stateEbbT6_jjT7_P12ihipStream_tbENKUlT_T0_SI_SN_E_clISD_SD_SD_SD_EEDaS11_S12_SI_SN_EUlS11_E_NS1_11comp_targetILNS1_3genE8ELNS1_11target_archE1030ELNS1_3gpuE2ELNS1_3repE0EEENS1_47radix_sort_onesweep_sort_config_static_selectorELNS0_4arch9wavefront6targetE1EEEvSI_
	.globl	_ZN7rocprim17ROCPRIM_400000_NS6detail17trampoline_kernelINS0_14default_configENS1_35radix_sort_onesweep_config_selectorIxxEEZZNS1_29radix_sort_onesweep_iterationIS3_Lb0EN6thrust23THRUST_200600_302600_NS6detail15normal_iteratorINS8_10device_ptrIxEEEESD_SD_SD_jNS0_19identity_decomposerENS1_16block_id_wrapperIjLb0EEEEE10hipError_tT1_PNSt15iterator_traitsISI_E10value_typeET2_T3_PNSJ_ISO_E10value_typeET4_T5_PST_SU_PNS1_23onesweep_lookback_stateEbbT6_jjT7_P12ihipStream_tbENKUlT_T0_SI_SN_E_clISD_SD_SD_SD_EEDaS11_S12_SI_SN_EUlS11_E_NS1_11comp_targetILNS1_3genE8ELNS1_11target_archE1030ELNS1_3gpuE2ELNS1_3repE0EEENS1_47radix_sort_onesweep_sort_config_static_selectorELNS0_4arch9wavefront6targetE1EEEvSI_
	.p2align	8
	.type	_ZN7rocprim17ROCPRIM_400000_NS6detail17trampoline_kernelINS0_14default_configENS1_35radix_sort_onesweep_config_selectorIxxEEZZNS1_29radix_sort_onesweep_iterationIS3_Lb0EN6thrust23THRUST_200600_302600_NS6detail15normal_iteratorINS8_10device_ptrIxEEEESD_SD_SD_jNS0_19identity_decomposerENS1_16block_id_wrapperIjLb0EEEEE10hipError_tT1_PNSt15iterator_traitsISI_E10value_typeET2_T3_PNSJ_ISO_E10value_typeET4_T5_PST_SU_PNS1_23onesweep_lookback_stateEbbT6_jjT7_P12ihipStream_tbENKUlT_T0_SI_SN_E_clISD_SD_SD_SD_EEDaS11_S12_SI_SN_EUlS11_E_NS1_11comp_targetILNS1_3genE8ELNS1_11target_archE1030ELNS1_3gpuE2ELNS1_3repE0EEENS1_47radix_sort_onesweep_sort_config_static_selectorELNS0_4arch9wavefront6targetE1EEEvSI_,@function
_ZN7rocprim17ROCPRIM_400000_NS6detail17trampoline_kernelINS0_14default_configENS1_35radix_sort_onesweep_config_selectorIxxEEZZNS1_29radix_sort_onesweep_iterationIS3_Lb0EN6thrust23THRUST_200600_302600_NS6detail15normal_iteratorINS8_10device_ptrIxEEEESD_SD_SD_jNS0_19identity_decomposerENS1_16block_id_wrapperIjLb0EEEEE10hipError_tT1_PNSt15iterator_traitsISI_E10value_typeET2_T3_PNSJ_ISO_E10value_typeET4_T5_PST_SU_PNS1_23onesweep_lookback_stateEbbT6_jjT7_P12ihipStream_tbENKUlT_T0_SI_SN_E_clISD_SD_SD_SD_EEDaS11_S12_SI_SN_EUlS11_E_NS1_11comp_targetILNS1_3genE8ELNS1_11target_archE1030ELNS1_3gpuE2ELNS1_3repE0EEENS1_47radix_sort_onesweep_sort_config_static_selectorELNS0_4arch9wavefront6targetE1EEEvSI_: ; @_ZN7rocprim17ROCPRIM_400000_NS6detail17trampoline_kernelINS0_14default_configENS1_35radix_sort_onesweep_config_selectorIxxEEZZNS1_29radix_sort_onesweep_iterationIS3_Lb0EN6thrust23THRUST_200600_302600_NS6detail15normal_iteratorINS8_10device_ptrIxEEEESD_SD_SD_jNS0_19identity_decomposerENS1_16block_id_wrapperIjLb0EEEEE10hipError_tT1_PNSt15iterator_traitsISI_E10value_typeET2_T3_PNSJ_ISO_E10value_typeET4_T5_PST_SU_PNS1_23onesweep_lookback_stateEbbT6_jjT7_P12ihipStream_tbENKUlT_T0_SI_SN_E_clISD_SD_SD_SD_EEDaS11_S12_SI_SN_EUlS11_E_NS1_11comp_targetILNS1_3genE8ELNS1_11target_archE1030ELNS1_3gpuE2ELNS1_3repE0EEENS1_47radix_sort_onesweep_sort_config_static_selectorELNS0_4arch9wavefront6targetE1EEEvSI_
; %bb.0:
	.section	.rodata,"a",@progbits
	.p2align	6, 0x0
	.amdhsa_kernel _ZN7rocprim17ROCPRIM_400000_NS6detail17trampoline_kernelINS0_14default_configENS1_35radix_sort_onesweep_config_selectorIxxEEZZNS1_29radix_sort_onesweep_iterationIS3_Lb0EN6thrust23THRUST_200600_302600_NS6detail15normal_iteratorINS8_10device_ptrIxEEEESD_SD_SD_jNS0_19identity_decomposerENS1_16block_id_wrapperIjLb0EEEEE10hipError_tT1_PNSt15iterator_traitsISI_E10value_typeET2_T3_PNSJ_ISO_E10value_typeET4_T5_PST_SU_PNS1_23onesweep_lookback_stateEbbT6_jjT7_P12ihipStream_tbENKUlT_T0_SI_SN_E_clISD_SD_SD_SD_EEDaS11_S12_SI_SN_EUlS11_E_NS1_11comp_targetILNS1_3genE8ELNS1_11target_archE1030ELNS1_3gpuE2ELNS1_3repE0EEENS1_47radix_sort_onesweep_sort_config_static_selectorELNS0_4arch9wavefront6targetE1EEEvSI_
		.amdhsa_group_segment_fixed_size 0
		.amdhsa_private_segment_fixed_size 0
		.amdhsa_kernarg_size 88
		.amdhsa_user_sgpr_count 2
		.amdhsa_user_sgpr_dispatch_ptr 0
		.amdhsa_user_sgpr_queue_ptr 0
		.amdhsa_user_sgpr_kernarg_segment_ptr 1
		.amdhsa_user_sgpr_dispatch_id 0
		.amdhsa_user_sgpr_kernarg_preload_length 0
		.amdhsa_user_sgpr_kernarg_preload_offset 0
		.amdhsa_user_sgpr_private_segment_size 0
		.amdhsa_uses_dynamic_stack 0
		.amdhsa_enable_private_segment 0
		.amdhsa_system_sgpr_workgroup_id_x 1
		.amdhsa_system_sgpr_workgroup_id_y 0
		.amdhsa_system_sgpr_workgroup_id_z 0
		.amdhsa_system_sgpr_workgroup_info 0
		.amdhsa_system_vgpr_workitem_id 0
		.amdhsa_next_free_vgpr 1
		.amdhsa_next_free_sgpr 0
		.amdhsa_accum_offset 4
		.amdhsa_reserve_vcc 0
		.amdhsa_float_round_mode_32 0
		.amdhsa_float_round_mode_16_64 0
		.amdhsa_float_denorm_mode_32 3
		.amdhsa_float_denorm_mode_16_64 3
		.amdhsa_dx10_clamp 1
		.amdhsa_ieee_mode 1
		.amdhsa_fp16_overflow 0
		.amdhsa_tg_split 0
		.amdhsa_exception_fp_ieee_invalid_op 0
		.amdhsa_exception_fp_denorm_src 0
		.amdhsa_exception_fp_ieee_div_zero 0
		.amdhsa_exception_fp_ieee_overflow 0
		.amdhsa_exception_fp_ieee_underflow 0
		.amdhsa_exception_fp_ieee_inexact 0
		.amdhsa_exception_int_div_zero 0
	.end_amdhsa_kernel
	.section	.text._ZN7rocprim17ROCPRIM_400000_NS6detail17trampoline_kernelINS0_14default_configENS1_35radix_sort_onesweep_config_selectorIxxEEZZNS1_29radix_sort_onesweep_iterationIS3_Lb0EN6thrust23THRUST_200600_302600_NS6detail15normal_iteratorINS8_10device_ptrIxEEEESD_SD_SD_jNS0_19identity_decomposerENS1_16block_id_wrapperIjLb0EEEEE10hipError_tT1_PNSt15iterator_traitsISI_E10value_typeET2_T3_PNSJ_ISO_E10value_typeET4_T5_PST_SU_PNS1_23onesweep_lookback_stateEbbT6_jjT7_P12ihipStream_tbENKUlT_T0_SI_SN_E_clISD_SD_SD_SD_EEDaS11_S12_SI_SN_EUlS11_E_NS1_11comp_targetILNS1_3genE8ELNS1_11target_archE1030ELNS1_3gpuE2ELNS1_3repE0EEENS1_47radix_sort_onesweep_sort_config_static_selectorELNS0_4arch9wavefront6targetE1EEEvSI_,"axG",@progbits,_ZN7rocprim17ROCPRIM_400000_NS6detail17trampoline_kernelINS0_14default_configENS1_35radix_sort_onesweep_config_selectorIxxEEZZNS1_29radix_sort_onesweep_iterationIS3_Lb0EN6thrust23THRUST_200600_302600_NS6detail15normal_iteratorINS8_10device_ptrIxEEEESD_SD_SD_jNS0_19identity_decomposerENS1_16block_id_wrapperIjLb0EEEEE10hipError_tT1_PNSt15iterator_traitsISI_E10value_typeET2_T3_PNSJ_ISO_E10value_typeET4_T5_PST_SU_PNS1_23onesweep_lookback_stateEbbT6_jjT7_P12ihipStream_tbENKUlT_T0_SI_SN_E_clISD_SD_SD_SD_EEDaS11_S12_SI_SN_EUlS11_E_NS1_11comp_targetILNS1_3genE8ELNS1_11target_archE1030ELNS1_3gpuE2ELNS1_3repE0EEENS1_47radix_sort_onesweep_sort_config_static_selectorELNS0_4arch9wavefront6targetE1EEEvSI_,comdat
.Lfunc_end1232:
	.size	_ZN7rocprim17ROCPRIM_400000_NS6detail17trampoline_kernelINS0_14default_configENS1_35radix_sort_onesweep_config_selectorIxxEEZZNS1_29radix_sort_onesweep_iterationIS3_Lb0EN6thrust23THRUST_200600_302600_NS6detail15normal_iteratorINS8_10device_ptrIxEEEESD_SD_SD_jNS0_19identity_decomposerENS1_16block_id_wrapperIjLb0EEEEE10hipError_tT1_PNSt15iterator_traitsISI_E10value_typeET2_T3_PNSJ_ISO_E10value_typeET4_T5_PST_SU_PNS1_23onesweep_lookback_stateEbbT6_jjT7_P12ihipStream_tbENKUlT_T0_SI_SN_E_clISD_SD_SD_SD_EEDaS11_S12_SI_SN_EUlS11_E_NS1_11comp_targetILNS1_3genE8ELNS1_11target_archE1030ELNS1_3gpuE2ELNS1_3repE0EEENS1_47radix_sort_onesweep_sort_config_static_selectorELNS0_4arch9wavefront6targetE1EEEvSI_, .Lfunc_end1232-_ZN7rocprim17ROCPRIM_400000_NS6detail17trampoline_kernelINS0_14default_configENS1_35radix_sort_onesweep_config_selectorIxxEEZZNS1_29radix_sort_onesweep_iterationIS3_Lb0EN6thrust23THRUST_200600_302600_NS6detail15normal_iteratorINS8_10device_ptrIxEEEESD_SD_SD_jNS0_19identity_decomposerENS1_16block_id_wrapperIjLb0EEEEE10hipError_tT1_PNSt15iterator_traitsISI_E10value_typeET2_T3_PNSJ_ISO_E10value_typeET4_T5_PST_SU_PNS1_23onesweep_lookback_stateEbbT6_jjT7_P12ihipStream_tbENKUlT_T0_SI_SN_E_clISD_SD_SD_SD_EEDaS11_S12_SI_SN_EUlS11_E_NS1_11comp_targetILNS1_3genE8ELNS1_11target_archE1030ELNS1_3gpuE2ELNS1_3repE0EEENS1_47radix_sort_onesweep_sort_config_static_selectorELNS0_4arch9wavefront6targetE1EEEvSI_
                                        ; -- End function
	.set _ZN7rocprim17ROCPRIM_400000_NS6detail17trampoline_kernelINS0_14default_configENS1_35radix_sort_onesweep_config_selectorIxxEEZZNS1_29radix_sort_onesweep_iterationIS3_Lb0EN6thrust23THRUST_200600_302600_NS6detail15normal_iteratorINS8_10device_ptrIxEEEESD_SD_SD_jNS0_19identity_decomposerENS1_16block_id_wrapperIjLb0EEEEE10hipError_tT1_PNSt15iterator_traitsISI_E10value_typeET2_T3_PNSJ_ISO_E10value_typeET4_T5_PST_SU_PNS1_23onesweep_lookback_stateEbbT6_jjT7_P12ihipStream_tbENKUlT_T0_SI_SN_E_clISD_SD_SD_SD_EEDaS11_S12_SI_SN_EUlS11_E_NS1_11comp_targetILNS1_3genE8ELNS1_11target_archE1030ELNS1_3gpuE2ELNS1_3repE0EEENS1_47radix_sort_onesweep_sort_config_static_selectorELNS0_4arch9wavefront6targetE1EEEvSI_.num_vgpr, 0
	.set _ZN7rocprim17ROCPRIM_400000_NS6detail17trampoline_kernelINS0_14default_configENS1_35radix_sort_onesweep_config_selectorIxxEEZZNS1_29radix_sort_onesweep_iterationIS3_Lb0EN6thrust23THRUST_200600_302600_NS6detail15normal_iteratorINS8_10device_ptrIxEEEESD_SD_SD_jNS0_19identity_decomposerENS1_16block_id_wrapperIjLb0EEEEE10hipError_tT1_PNSt15iterator_traitsISI_E10value_typeET2_T3_PNSJ_ISO_E10value_typeET4_T5_PST_SU_PNS1_23onesweep_lookback_stateEbbT6_jjT7_P12ihipStream_tbENKUlT_T0_SI_SN_E_clISD_SD_SD_SD_EEDaS11_S12_SI_SN_EUlS11_E_NS1_11comp_targetILNS1_3genE8ELNS1_11target_archE1030ELNS1_3gpuE2ELNS1_3repE0EEENS1_47radix_sort_onesweep_sort_config_static_selectorELNS0_4arch9wavefront6targetE1EEEvSI_.num_agpr, 0
	.set _ZN7rocprim17ROCPRIM_400000_NS6detail17trampoline_kernelINS0_14default_configENS1_35radix_sort_onesweep_config_selectorIxxEEZZNS1_29radix_sort_onesweep_iterationIS3_Lb0EN6thrust23THRUST_200600_302600_NS6detail15normal_iteratorINS8_10device_ptrIxEEEESD_SD_SD_jNS0_19identity_decomposerENS1_16block_id_wrapperIjLb0EEEEE10hipError_tT1_PNSt15iterator_traitsISI_E10value_typeET2_T3_PNSJ_ISO_E10value_typeET4_T5_PST_SU_PNS1_23onesweep_lookback_stateEbbT6_jjT7_P12ihipStream_tbENKUlT_T0_SI_SN_E_clISD_SD_SD_SD_EEDaS11_S12_SI_SN_EUlS11_E_NS1_11comp_targetILNS1_3genE8ELNS1_11target_archE1030ELNS1_3gpuE2ELNS1_3repE0EEENS1_47radix_sort_onesweep_sort_config_static_selectorELNS0_4arch9wavefront6targetE1EEEvSI_.numbered_sgpr, 0
	.set _ZN7rocprim17ROCPRIM_400000_NS6detail17trampoline_kernelINS0_14default_configENS1_35radix_sort_onesweep_config_selectorIxxEEZZNS1_29radix_sort_onesweep_iterationIS3_Lb0EN6thrust23THRUST_200600_302600_NS6detail15normal_iteratorINS8_10device_ptrIxEEEESD_SD_SD_jNS0_19identity_decomposerENS1_16block_id_wrapperIjLb0EEEEE10hipError_tT1_PNSt15iterator_traitsISI_E10value_typeET2_T3_PNSJ_ISO_E10value_typeET4_T5_PST_SU_PNS1_23onesweep_lookback_stateEbbT6_jjT7_P12ihipStream_tbENKUlT_T0_SI_SN_E_clISD_SD_SD_SD_EEDaS11_S12_SI_SN_EUlS11_E_NS1_11comp_targetILNS1_3genE8ELNS1_11target_archE1030ELNS1_3gpuE2ELNS1_3repE0EEENS1_47radix_sort_onesweep_sort_config_static_selectorELNS0_4arch9wavefront6targetE1EEEvSI_.num_named_barrier, 0
	.set _ZN7rocprim17ROCPRIM_400000_NS6detail17trampoline_kernelINS0_14default_configENS1_35radix_sort_onesweep_config_selectorIxxEEZZNS1_29radix_sort_onesweep_iterationIS3_Lb0EN6thrust23THRUST_200600_302600_NS6detail15normal_iteratorINS8_10device_ptrIxEEEESD_SD_SD_jNS0_19identity_decomposerENS1_16block_id_wrapperIjLb0EEEEE10hipError_tT1_PNSt15iterator_traitsISI_E10value_typeET2_T3_PNSJ_ISO_E10value_typeET4_T5_PST_SU_PNS1_23onesweep_lookback_stateEbbT6_jjT7_P12ihipStream_tbENKUlT_T0_SI_SN_E_clISD_SD_SD_SD_EEDaS11_S12_SI_SN_EUlS11_E_NS1_11comp_targetILNS1_3genE8ELNS1_11target_archE1030ELNS1_3gpuE2ELNS1_3repE0EEENS1_47radix_sort_onesweep_sort_config_static_selectorELNS0_4arch9wavefront6targetE1EEEvSI_.private_seg_size, 0
	.set _ZN7rocprim17ROCPRIM_400000_NS6detail17trampoline_kernelINS0_14default_configENS1_35radix_sort_onesweep_config_selectorIxxEEZZNS1_29radix_sort_onesweep_iterationIS3_Lb0EN6thrust23THRUST_200600_302600_NS6detail15normal_iteratorINS8_10device_ptrIxEEEESD_SD_SD_jNS0_19identity_decomposerENS1_16block_id_wrapperIjLb0EEEEE10hipError_tT1_PNSt15iterator_traitsISI_E10value_typeET2_T3_PNSJ_ISO_E10value_typeET4_T5_PST_SU_PNS1_23onesweep_lookback_stateEbbT6_jjT7_P12ihipStream_tbENKUlT_T0_SI_SN_E_clISD_SD_SD_SD_EEDaS11_S12_SI_SN_EUlS11_E_NS1_11comp_targetILNS1_3genE8ELNS1_11target_archE1030ELNS1_3gpuE2ELNS1_3repE0EEENS1_47radix_sort_onesweep_sort_config_static_selectorELNS0_4arch9wavefront6targetE1EEEvSI_.uses_vcc, 0
	.set _ZN7rocprim17ROCPRIM_400000_NS6detail17trampoline_kernelINS0_14default_configENS1_35radix_sort_onesweep_config_selectorIxxEEZZNS1_29radix_sort_onesweep_iterationIS3_Lb0EN6thrust23THRUST_200600_302600_NS6detail15normal_iteratorINS8_10device_ptrIxEEEESD_SD_SD_jNS0_19identity_decomposerENS1_16block_id_wrapperIjLb0EEEEE10hipError_tT1_PNSt15iterator_traitsISI_E10value_typeET2_T3_PNSJ_ISO_E10value_typeET4_T5_PST_SU_PNS1_23onesweep_lookback_stateEbbT6_jjT7_P12ihipStream_tbENKUlT_T0_SI_SN_E_clISD_SD_SD_SD_EEDaS11_S12_SI_SN_EUlS11_E_NS1_11comp_targetILNS1_3genE8ELNS1_11target_archE1030ELNS1_3gpuE2ELNS1_3repE0EEENS1_47radix_sort_onesweep_sort_config_static_selectorELNS0_4arch9wavefront6targetE1EEEvSI_.uses_flat_scratch, 0
	.set _ZN7rocprim17ROCPRIM_400000_NS6detail17trampoline_kernelINS0_14default_configENS1_35radix_sort_onesweep_config_selectorIxxEEZZNS1_29radix_sort_onesweep_iterationIS3_Lb0EN6thrust23THRUST_200600_302600_NS6detail15normal_iteratorINS8_10device_ptrIxEEEESD_SD_SD_jNS0_19identity_decomposerENS1_16block_id_wrapperIjLb0EEEEE10hipError_tT1_PNSt15iterator_traitsISI_E10value_typeET2_T3_PNSJ_ISO_E10value_typeET4_T5_PST_SU_PNS1_23onesweep_lookback_stateEbbT6_jjT7_P12ihipStream_tbENKUlT_T0_SI_SN_E_clISD_SD_SD_SD_EEDaS11_S12_SI_SN_EUlS11_E_NS1_11comp_targetILNS1_3genE8ELNS1_11target_archE1030ELNS1_3gpuE2ELNS1_3repE0EEENS1_47radix_sort_onesweep_sort_config_static_selectorELNS0_4arch9wavefront6targetE1EEEvSI_.has_dyn_sized_stack, 0
	.set _ZN7rocprim17ROCPRIM_400000_NS6detail17trampoline_kernelINS0_14default_configENS1_35radix_sort_onesweep_config_selectorIxxEEZZNS1_29radix_sort_onesweep_iterationIS3_Lb0EN6thrust23THRUST_200600_302600_NS6detail15normal_iteratorINS8_10device_ptrIxEEEESD_SD_SD_jNS0_19identity_decomposerENS1_16block_id_wrapperIjLb0EEEEE10hipError_tT1_PNSt15iterator_traitsISI_E10value_typeET2_T3_PNSJ_ISO_E10value_typeET4_T5_PST_SU_PNS1_23onesweep_lookback_stateEbbT6_jjT7_P12ihipStream_tbENKUlT_T0_SI_SN_E_clISD_SD_SD_SD_EEDaS11_S12_SI_SN_EUlS11_E_NS1_11comp_targetILNS1_3genE8ELNS1_11target_archE1030ELNS1_3gpuE2ELNS1_3repE0EEENS1_47radix_sort_onesweep_sort_config_static_selectorELNS0_4arch9wavefront6targetE1EEEvSI_.has_recursion, 0
	.set _ZN7rocprim17ROCPRIM_400000_NS6detail17trampoline_kernelINS0_14default_configENS1_35radix_sort_onesweep_config_selectorIxxEEZZNS1_29radix_sort_onesweep_iterationIS3_Lb0EN6thrust23THRUST_200600_302600_NS6detail15normal_iteratorINS8_10device_ptrIxEEEESD_SD_SD_jNS0_19identity_decomposerENS1_16block_id_wrapperIjLb0EEEEE10hipError_tT1_PNSt15iterator_traitsISI_E10value_typeET2_T3_PNSJ_ISO_E10value_typeET4_T5_PST_SU_PNS1_23onesweep_lookback_stateEbbT6_jjT7_P12ihipStream_tbENKUlT_T0_SI_SN_E_clISD_SD_SD_SD_EEDaS11_S12_SI_SN_EUlS11_E_NS1_11comp_targetILNS1_3genE8ELNS1_11target_archE1030ELNS1_3gpuE2ELNS1_3repE0EEENS1_47radix_sort_onesweep_sort_config_static_selectorELNS0_4arch9wavefront6targetE1EEEvSI_.has_indirect_call, 0
	.section	.AMDGPU.csdata,"",@progbits
; Kernel info:
; codeLenInByte = 0
; TotalNumSgprs: 6
; NumVgprs: 0
; NumAgprs: 0
; TotalNumVgprs: 0
; ScratchSize: 0
; MemoryBound: 0
; FloatMode: 240
; IeeeMode: 1
; LDSByteSize: 0 bytes/workgroup (compile time only)
; SGPRBlocks: 0
; VGPRBlocks: 0
; NumSGPRsForWavesPerEU: 6
; NumVGPRsForWavesPerEU: 1
; AccumOffset: 4
; Occupancy: 8
; WaveLimiterHint : 0
; COMPUTE_PGM_RSRC2:SCRATCH_EN: 0
; COMPUTE_PGM_RSRC2:USER_SGPR: 2
; COMPUTE_PGM_RSRC2:TRAP_HANDLER: 0
; COMPUTE_PGM_RSRC2:TGID_X_EN: 1
; COMPUTE_PGM_RSRC2:TGID_Y_EN: 0
; COMPUTE_PGM_RSRC2:TGID_Z_EN: 0
; COMPUTE_PGM_RSRC2:TIDIG_COMP_CNT: 0
; COMPUTE_PGM_RSRC3_GFX90A:ACCUM_OFFSET: 0
; COMPUTE_PGM_RSRC3_GFX90A:TG_SPLIT: 0
	.section	.text._ZN7rocprim17ROCPRIM_400000_NS6detail17trampoline_kernelINS0_14default_configENS1_35radix_sort_onesweep_config_selectorIxxEEZZNS1_29radix_sort_onesweep_iterationIS3_Lb0EN6thrust23THRUST_200600_302600_NS6detail15normal_iteratorINS8_10device_ptrIxEEEESD_SD_SD_jNS0_19identity_decomposerENS1_16block_id_wrapperIjLb0EEEEE10hipError_tT1_PNSt15iterator_traitsISI_E10value_typeET2_T3_PNSJ_ISO_E10value_typeET4_T5_PST_SU_PNS1_23onesweep_lookback_stateEbbT6_jjT7_P12ihipStream_tbENKUlT_T0_SI_SN_E_clISD_PxSD_S15_EEDaS11_S12_SI_SN_EUlS11_E_NS1_11comp_targetILNS1_3genE0ELNS1_11target_archE4294967295ELNS1_3gpuE0ELNS1_3repE0EEENS1_47radix_sort_onesweep_sort_config_static_selectorELNS0_4arch9wavefront6targetE1EEEvSI_,"axG",@progbits,_ZN7rocprim17ROCPRIM_400000_NS6detail17trampoline_kernelINS0_14default_configENS1_35radix_sort_onesweep_config_selectorIxxEEZZNS1_29radix_sort_onesweep_iterationIS3_Lb0EN6thrust23THRUST_200600_302600_NS6detail15normal_iteratorINS8_10device_ptrIxEEEESD_SD_SD_jNS0_19identity_decomposerENS1_16block_id_wrapperIjLb0EEEEE10hipError_tT1_PNSt15iterator_traitsISI_E10value_typeET2_T3_PNSJ_ISO_E10value_typeET4_T5_PST_SU_PNS1_23onesweep_lookback_stateEbbT6_jjT7_P12ihipStream_tbENKUlT_T0_SI_SN_E_clISD_PxSD_S15_EEDaS11_S12_SI_SN_EUlS11_E_NS1_11comp_targetILNS1_3genE0ELNS1_11target_archE4294967295ELNS1_3gpuE0ELNS1_3repE0EEENS1_47radix_sort_onesweep_sort_config_static_selectorELNS0_4arch9wavefront6targetE1EEEvSI_,comdat
	.protected	_ZN7rocprim17ROCPRIM_400000_NS6detail17trampoline_kernelINS0_14default_configENS1_35radix_sort_onesweep_config_selectorIxxEEZZNS1_29radix_sort_onesweep_iterationIS3_Lb0EN6thrust23THRUST_200600_302600_NS6detail15normal_iteratorINS8_10device_ptrIxEEEESD_SD_SD_jNS0_19identity_decomposerENS1_16block_id_wrapperIjLb0EEEEE10hipError_tT1_PNSt15iterator_traitsISI_E10value_typeET2_T3_PNSJ_ISO_E10value_typeET4_T5_PST_SU_PNS1_23onesweep_lookback_stateEbbT6_jjT7_P12ihipStream_tbENKUlT_T0_SI_SN_E_clISD_PxSD_S15_EEDaS11_S12_SI_SN_EUlS11_E_NS1_11comp_targetILNS1_3genE0ELNS1_11target_archE4294967295ELNS1_3gpuE0ELNS1_3repE0EEENS1_47radix_sort_onesweep_sort_config_static_selectorELNS0_4arch9wavefront6targetE1EEEvSI_ ; -- Begin function _ZN7rocprim17ROCPRIM_400000_NS6detail17trampoline_kernelINS0_14default_configENS1_35radix_sort_onesweep_config_selectorIxxEEZZNS1_29radix_sort_onesweep_iterationIS3_Lb0EN6thrust23THRUST_200600_302600_NS6detail15normal_iteratorINS8_10device_ptrIxEEEESD_SD_SD_jNS0_19identity_decomposerENS1_16block_id_wrapperIjLb0EEEEE10hipError_tT1_PNSt15iterator_traitsISI_E10value_typeET2_T3_PNSJ_ISO_E10value_typeET4_T5_PST_SU_PNS1_23onesweep_lookback_stateEbbT6_jjT7_P12ihipStream_tbENKUlT_T0_SI_SN_E_clISD_PxSD_S15_EEDaS11_S12_SI_SN_EUlS11_E_NS1_11comp_targetILNS1_3genE0ELNS1_11target_archE4294967295ELNS1_3gpuE0ELNS1_3repE0EEENS1_47radix_sort_onesweep_sort_config_static_selectorELNS0_4arch9wavefront6targetE1EEEvSI_
	.globl	_ZN7rocprim17ROCPRIM_400000_NS6detail17trampoline_kernelINS0_14default_configENS1_35radix_sort_onesweep_config_selectorIxxEEZZNS1_29radix_sort_onesweep_iterationIS3_Lb0EN6thrust23THRUST_200600_302600_NS6detail15normal_iteratorINS8_10device_ptrIxEEEESD_SD_SD_jNS0_19identity_decomposerENS1_16block_id_wrapperIjLb0EEEEE10hipError_tT1_PNSt15iterator_traitsISI_E10value_typeET2_T3_PNSJ_ISO_E10value_typeET4_T5_PST_SU_PNS1_23onesweep_lookback_stateEbbT6_jjT7_P12ihipStream_tbENKUlT_T0_SI_SN_E_clISD_PxSD_S15_EEDaS11_S12_SI_SN_EUlS11_E_NS1_11comp_targetILNS1_3genE0ELNS1_11target_archE4294967295ELNS1_3gpuE0ELNS1_3repE0EEENS1_47radix_sort_onesweep_sort_config_static_selectorELNS0_4arch9wavefront6targetE1EEEvSI_
	.p2align	8
	.type	_ZN7rocprim17ROCPRIM_400000_NS6detail17trampoline_kernelINS0_14default_configENS1_35radix_sort_onesweep_config_selectorIxxEEZZNS1_29radix_sort_onesweep_iterationIS3_Lb0EN6thrust23THRUST_200600_302600_NS6detail15normal_iteratorINS8_10device_ptrIxEEEESD_SD_SD_jNS0_19identity_decomposerENS1_16block_id_wrapperIjLb0EEEEE10hipError_tT1_PNSt15iterator_traitsISI_E10value_typeET2_T3_PNSJ_ISO_E10value_typeET4_T5_PST_SU_PNS1_23onesweep_lookback_stateEbbT6_jjT7_P12ihipStream_tbENKUlT_T0_SI_SN_E_clISD_PxSD_S15_EEDaS11_S12_SI_SN_EUlS11_E_NS1_11comp_targetILNS1_3genE0ELNS1_11target_archE4294967295ELNS1_3gpuE0ELNS1_3repE0EEENS1_47radix_sort_onesweep_sort_config_static_selectorELNS0_4arch9wavefront6targetE1EEEvSI_,@function
_ZN7rocprim17ROCPRIM_400000_NS6detail17trampoline_kernelINS0_14default_configENS1_35radix_sort_onesweep_config_selectorIxxEEZZNS1_29radix_sort_onesweep_iterationIS3_Lb0EN6thrust23THRUST_200600_302600_NS6detail15normal_iteratorINS8_10device_ptrIxEEEESD_SD_SD_jNS0_19identity_decomposerENS1_16block_id_wrapperIjLb0EEEEE10hipError_tT1_PNSt15iterator_traitsISI_E10value_typeET2_T3_PNSJ_ISO_E10value_typeET4_T5_PST_SU_PNS1_23onesweep_lookback_stateEbbT6_jjT7_P12ihipStream_tbENKUlT_T0_SI_SN_E_clISD_PxSD_S15_EEDaS11_S12_SI_SN_EUlS11_E_NS1_11comp_targetILNS1_3genE0ELNS1_11target_archE4294967295ELNS1_3gpuE0ELNS1_3repE0EEENS1_47radix_sort_onesweep_sort_config_static_selectorELNS0_4arch9wavefront6targetE1EEEvSI_: ; @_ZN7rocprim17ROCPRIM_400000_NS6detail17trampoline_kernelINS0_14default_configENS1_35radix_sort_onesweep_config_selectorIxxEEZZNS1_29radix_sort_onesweep_iterationIS3_Lb0EN6thrust23THRUST_200600_302600_NS6detail15normal_iteratorINS8_10device_ptrIxEEEESD_SD_SD_jNS0_19identity_decomposerENS1_16block_id_wrapperIjLb0EEEEE10hipError_tT1_PNSt15iterator_traitsISI_E10value_typeET2_T3_PNSJ_ISO_E10value_typeET4_T5_PST_SU_PNS1_23onesweep_lookback_stateEbbT6_jjT7_P12ihipStream_tbENKUlT_T0_SI_SN_E_clISD_PxSD_S15_EEDaS11_S12_SI_SN_EUlS11_E_NS1_11comp_targetILNS1_3genE0ELNS1_11target_archE4294967295ELNS1_3gpuE0ELNS1_3repE0EEENS1_47radix_sort_onesweep_sort_config_static_selectorELNS0_4arch9wavefront6targetE1EEEvSI_
; %bb.0:
	.section	.rodata,"a",@progbits
	.p2align	6, 0x0
	.amdhsa_kernel _ZN7rocprim17ROCPRIM_400000_NS6detail17trampoline_kernelINS0_14default_configENS1_35radix_sort_onesweep_config_selectorIxxEEZZNS1_29radix_sort_onesweep_iterationIS3_Lb0EN6thrust23THRUST_200600_302600_NS6detail15normal_iteratorINS8_10device_ptrIxEEEESD_SD_SD_jNS0_19identity_decomposerENS1_16block_id_wrapperIjLb0EEEEE10hipError_tT1_PNSt15iterator_traitsISI_E10value_typeET2_T3_PNSJ_ISO_E10value_typeET4_T5_PST_SU_PNS1_23onesweep_lookback_stateEbbT6_jjT7_P12ihipStream_tbENKUlT_T0_SI_SN_E_clISD_PxSD_S15_EEDaS11_S12_SI_SN_EUlS11_E_NS1_11comp_targetILNS1_3genE0ELNS1_11target_archE4294967295ELNS1_3gpuE0ELNS1_3repE0EEENS1_47radix_sort_onesweep_sort_config_static_selectorELNS0_4arch9wavefront6targetE1EEEvSI_
		.amdhsa_group_segment_fixed_size 0
		.amdhsa_private_segment_fixed_size 0
		.amdhsa_kernarg_size 88
		.amdhsa_user_sgpr_count 2
		.amdhsa_user_sgpr_dispatch_ptr 0
		.amdhsa_user_sgpr_queue_ptr 0
		.amdhsa_user_sgpr_kernarg_segment_ptr 1
		.amdhsa_user_sgpr_dispatch_id 0
		.amdhsa_user_sgpr_kernarg_preload_length 0
		.amdhsa_user_sgpr_kernarg_preload_offset 0
		.amdhsa_user_sgpr_private_segment_size 0
		.amdhsa_uses_dynamic_stack 0
		.amdhsa_enable_private_segment 0
		.amdhsa_system_sgpr_workgroup_id_x 1
		.amdhsa_system_sgpr_workgroup_id_y 0
		.amdhsa_system_sgpr_workgroup_id_z 0
		.amdhsa_system_sgpr_workgroup_info 0
		.amdhsa_system_vgpr_workitem_id 0
		.amdhsa_next_free_vgpr 1
		.amdhsa_next_free_sgpr 0
		.amdhsa_accum_offset 4
		.amdhsa_reserve_vcc 0
		.amdhsa_float_round_mode_32 0
		.amdhsa_float_round_mode_16_64 0
		.amdhsa_float_denorm_mode_32 3
		.amdhsa_float_denorm_mode_16_64 3
		.amdhsa_dx10_clamp 1
		.amdhsa_ieee_mode 1
		.amdhsa_fp16_overflow 0
		.amdhsa_tg_split 0
		.amdhsa_exception_fp_ieee_invalid_op 0
		.amdhsa_exception_fp_denorm_src 0
		.amdhsa_exception_fp_ieee_div_zero 0
		.amdhsa_exception_fp_ieee_overflow 0
		.amdhsa_exception_fp_ieee_underflow 0
		.amdhsa_exception_fp_ieee_inexact 0
		.amdhsa_exception_int_div_zero 0
	.end_amdhsa_kernel
	.section	.text._ZN7rocprim17ROCPRIM_400000_NS6detail17trampoline_kernelINS0_14default_configENS1_35radix_sort_onesweep_config_selectorIxxEEZZNS1_29radix_sort_onesweep_iterationIS3_Lb0EN6thrust23THRUST_200600_302600_NS6detail15normal_iteratorINS8_10device_ptrIxEEEESD_SD_SD_jNS0_19identity_decomposerENS1_16block_id_wrapperIjLb0EEEEE10hipError_tT1_PNSt15iterator_traitsISI_E10value_typeET2_T3_PNSJ_ISO_E10value_typeET4_T5_PST_SU_PNS1_23onesweep_lookback_stateEbbT6_jjT7_P12ihipStream_tbENKUlT_T0_SI_SN_E_clISD_PxSD_S15_EEDaS11_S12_SI_SN_EUlS11_E_NS1_11comp_targetILNS1_3genE0ELNS1_11target_archE4294967295ELNS1_3gpuE0ELNS1_3repE0EEENS1_47radix_sort_onesweep_sort_config_static_selectorELNS0_4arch9wavefront6targetE1EEEvSI_,"axG",@progbits,_ZN7rocprim17ROCPRIM_400000_NS6detail17trampoline_kernelINS0_14default_configENS1_35radix_sort_onesweep_config_selectorIxxEEZZNS1_29radix_sort_onesweep_iterationIS3_Lb0EN6thrust23THRUST_200600_302600_NS6detail15normal_iteratorINS8_10device_ptrIxEEEESD_SD_SD_jNS0_19identity_decomposerENS1_16block_id_wrapperIjLb0EEEEE10hipError_tT1_PNSt15iterator_traitsISI_E10value_typeET2_T3_PNSJ_ISO_E10value_typeET4_T5_PST_SU_PNS1_23onesweep_lookback_stateEbbT6_jjT7_P12ihipStream_tbENKUlT_T0_SI_SN_E_clISD_PxSD_S15_EEDaS11_S12_SI_SN_EUlS11_E_NS1_11comp_targetILNS1_3genE0ELNS1_11target_archE4294967295ELNS1_3gpuE0ELNS1_3repE0EEENS1_47radix_sort_onesweep_sort_config_static_selectorELNS0_4arch9wavefront6targetE1EEEvSI_,comdat
.Lfunc_end1233:
	.size	_ZN7rocprim17ROCPRIM_400000_NS6detail17trampoline_kernelINS0_14default_configENS1_35radix_sort_onesweep_config_selectorIxxEEZZNS1_29radix_sort_onesweep_iterationIS3_Lb0EN6thrust23THRUST_200600_302600_NS6detail15normal_iteratorINS8_10device_ptrIxEEEESD_SD_SD_jNS0_19identity_decomposerENS1_16block_id_wrapperIjLb0EEEEE10hipError_tT1_PNSt15iterator_traitsISI_E10value_typeET2_T3_PNSJ_ISO_E10value_typeET4_T5_PST_SU_PNS1_23onesweep_lookback_stateEbbT6_jjT7_P12ihipStream_tbENKUlT_T0_SI_SN_E_clISD_PxSD_S15_EEDaS11_S12_SI_SN_EUlS11_E_NS1_11comp_targetILNS1_3genE0ELNS1_11target_archE4294967295ELNS1_3gpuE0ELNS1_3repE0EEENS1_47radix_sort_onesweep_sort_config_static_selectorELNS0_4arch9wavefront6targetE1EEEvSI_, .Lfunc_end1233-_ZN7rocprim17ROCPRIM_400000_NS6detail17trampoline_kernelINS0_14default_configENS1_35radix_sort_onesweep_config_selectorIxxEEZZNS1_29radix_sort_onesweep_iterationIS3_Lb0EN6thrust23THRUST_200600_302600_NS6detail15normal_iteratorINS8_10device_ptrIxEEEESD_SD_SD_jNS0_19identity_decomposerENS1_16block_id_wrapperIjLb0EEEEE10hipError_tT1_PNSt15iterator_traitsISI_E10value_typeET2_T3_PNSJ_ISO_E10value_typeET4_T5_PST_SU_PNS1_23onesweep_lookback_stateEbbT6_jjT7_P12ihipStream_tbENKUlT_T0_SI_SN_E_clISD_PxSD_S15_EEDaS11_S12_SI_SN_EUlS11_E_NS1_11comp_targetILNS1_3genE0ELNS1_11target_archE4294967295ELNS1_3gpuE0ELNS1_3repE0EEENS1_47radix_sort_onesweep_sort_config_static_selectorELNS0_4arch9wavefront6targetE1EEEvSI_
                                        ; -- End function
	.set _ZN7rocprim17ROCPRIM_400000_NS6detail17trampoline_kernelINS0_14default_configENS1_35radix_sort_onesweep_config_selectorIxxEEZZNS1_29radix_sort_onesweep_iterationIS3_Lb0EN6thrust23THRUST_200600_302600_NS6detail15normal_iteratorINS8_10device_ptrIxEEEESD_SD_SD_jNS0_19identity_decomposerENS1_16block_id_wrapperIjLb0EEEEE10hipError_tT1_PNSt15iterator_traitsISI_E10value_typeET2_T3_PNSJ_ISO_E10value_typeET4_T5_PST_SU_PNS1_23onesweep_lookback_stateEbbT6_jjT7_P12ihipStream_tbENKUlT_T0_SI_SN_E_clISD_PxSD_S15_EEDaS11_S12_SI_SN_EUlS11_E_NS1_11comp_targetILNS1_3genE0ELNS1_11target_archE4294967295ELNS1_3gpuE0ELNS1_3repE0EEENS1_47radix_sort_onesweep_sort_config_static_selectorELNS0_4arch9wavefront6targetE1EEEvSI_.num_vgpr, 0
	.set _ZN7rocprim17ROCPRIM_400000_NS6detail17trampoline_kernelINS0_14default_configENS1_35radix_sort_onesweep_config_selectorIxxEEZZNS1_29radix_sort_onesweep_iterationIS3_Lb0EN6thrust23THRUST_200600_302600_NS6detail15normal_iteratorINS8_10device_ptrIxEEEESD_SD_SD_jNS0_19identity_decomposerENS1_16block_id_wrapperIjLb0EEEEE10hipError_tT1_PNSt15iterator_traitsISI_E10value_typeET2_T3_PNSJ_ISO_E10value_typeET4_T5_PST_SU_PNS1_23onesweep_lookback_stateEbbT6_jjT7_P12ihipStream_tbENKUlT_T0_SI_SN_E_clISD_PxSD_S15_EEDaS11_S12_SI_SN_EUlS11_E_NS1_11comp_targetILNS1_3genE0ELNS1_11target_archE4294967295ELNS1_3gpuE0ELNS1_3repE0EEENS1_47radix_sort_onesweep_sort_config_static_selectorELNS0_4arch9wavefront6targetE1EEEvSI_.num_agpr, 0
	.set _ZN7rocprim17ROCPRIM_400000_NS6detail17trampoline_kernelINS0_14default_configENS1_35radix_sort_onesweep_config_selectorIxxEEZZNS1_29radix_sort_onesweep_iterationIS3_Lb0EN6thrust23THRUST_200600_302600_NS6detail15normal_iteratorINS8_10device_ptrIxEEEESD_SD_SD_jNS0_19identity_decomposerENS1_16block_id_wrapperIjLb0EEEEE10hipError_tT1_PNSt15iterator_traitsISI_E10value_typeET2_T3_PNSJ_ISO_E10value_typeET4_T5_PST_SU_PNS1_23onesweep_lookback_stateEbbT6_jjT7_P12ihipStream_tbENKUlT_T0_SI_SN_E_clISD_PxSD_S15_EEDaS11_S12_SI_SN_EUlS11_E_NS1_11comp_targetILNS1_3genE0ELNS1_11target_archE4294967295ELNS1_3gpuE0ELNS1_3repE0EEENS1_47radix_sort_onesweep_sort_config_static_selectorELNS0_4arch9wavefront6targetE1EEEvSI_.numbered_sgpr, 0
	.set _ZN7rocprim17ROCPRIM_400000_NS6detail17trampoline_kernelINS0_14default_configENS1_35radix_sort_onesweep_config_selectorIxxEEZZNS1_29radix_sort_onesweep_iterationIS3_Lb0EN6thrust23THRUST_200600_302600_NS6detail15normal_iteratorINS8_10device_ptrIxEEEESD_SD_SD_jNS0_19identity_decomposerENS1_16block_id_wrapperIjLb0EEEEE10hipError_tT1_PNSt15iterator_traitsISI_E10value_typeET2_T3_PNSJ_ISO_E10value_typeET4_T5_PST_SU_PNS1_23onesweep_lookback_stateEbbT6_jjT7_P12ihipStream_tbENKUlT_T0_SI_SN_E_clISD_PxSD_S15_EEDaS11_S12_SI_SN_EUlS11_E_NS1_11comp_targetILNS1_3genE0ELNS1_11target_archE4294967295ELNS1_3gpuE0ELNS1_3repE0EEENS1_47radix_sort_onesweep_sort_config_static_selectorELNS0_4arch9wavefront6targetE1EEEvSI_.num_named_barrier, 0
	.set _ZN7rocprim17ROCPRIM_400000_NS6detail17trampoline_kernelINS0_14default_configENS1_35radix_sort_onesweep_config_selectorIxxEEZZNS1_29radix_sort_onesweep_iterationIS3_Lb0EN6thrust23THRUST_200600_302600_NS6detail15normal_iteratorINS8_10device_ptrIxEEEESD_SD_SD_jNS0_19identity_decomposerENS1_16block_id_wrapperIjLb0EEEEE10hipError_tT1_PNSt15iterator_traitsISI_E10value_typeET2_T3_PNSJ_ISO_E10value_typeET4_T5_PST_SU_PNS1_23onesweep_lookback_stateEbbT6_jjT7_P12ihipStream_tbENKUlT_T0_SI_SN_E_clISD_PxSD_S15_EEDaS11_S12_SI_SN_EUlS11_E_NS1_11comp_targetILNS1_3genE0ELNS1_11target_archE4294967295ELNS1_3gpuE0ELNS1_3repE0EEENS1_47radix_sort_onesweep_sort_config_static_selectorELNS0_4arch9wavefront6targetE1EEEvSI_.private_seg_size, 0
	.set _ZN7rocprim17ROCPRIM_400000_NS6detail17trampoline_kernelINS0_14default_configENS1_35radix_sort_onesweep_config_selectorIxxEEZZNS1_29radix_sort_onesweep_iterationIS3_Lb0EN6thrust23THRUST_200600_302600_NS6detail15normal_iteratorINS8_10device_ptrIxEEEESD_SD_SD_jNS0_19identity_decomposerENS1_16block_id_wrapperIjLb0EEEEE10hipError_tT1_PNSt15iterator_traitsISI_E10value_typeET2_T3_PNSJ_ISO_E10value_typeET4_T5_PST_SU_PNS1_23onesweep_lookback_stateEbbT6_jjT7_P12ihipStream_tbENKUlT_T0_SI_SN_E_clISD_PxSD_S15_EEDaS11_S12_SI_SN_EUlS11_E_NS1_11comp_targetILNS1_3genE0ELNS1_11target_archE4294967295ELNS1_3gpuE0ELNS1_3repE0EEENS1_47radix_sort_onesweep_sort_config_static_selectorELNS0_4arch9wavefront6targetE1EEEvSI_.uses_vcc, 0
	.set _ZN7rocprim17ROCPRIM_400000_NS6detail17trampoline_kernelINS0_14default_configENS1_35radix_sort_onesweep_config_selectorIxxEEZZNS1_29radix_sort_onesweep_iterationIS3_Lb0EN6thrust23THRUST_200600_302600_NS6detail15normal_iteratorINS8_10device_ptrIxEEEESD_SD_SD_jNS0_19identity_decomposerENS1_16block_id_wrapperIjLb0EEEEE10hipError_tT1_PNSt15iterator_traitsISI_E10value_typeET2_T3_PNSJ_ISO_E10value_typeET4_T5_PST_SU_PNS1_23onesweep_lookback_stateEbbT6_jjT7_P12ihipStream_tbENKUlT_T0_SI_SN_E_clISD_PxSD_S15_EEDaS11_S12_SI_SN_EUlS11_E_NS1_11comp_targetILNS1_3genE0ELNS1_11target_archE4294967295ELNS1_3gpuE0ELNS1_3repE0EEENS1_47radix_sort_onesweep_sort_config_static_selectorELNS0_4arch9wavefront6targetE1EEEvSI_.uses_flat_scratch, 0
	.set _ZN7rocprim17ROCPRIM_400000_NS6detail17trampoline_kernelINS0_14default_configENS1_35radix_sort_onesweep_config_selectorIxxEEZZNS1_29radix_sort_onesweep_iterationIS3_Lb0EN6thrust23THRUST_200600_302600_NS6detail15normal_iteratorINS8_10device_ptrIxEEEESD_SD_SD_jNS0_19identity_decomposerENS1_16block_id_wrapperIjLb0EEEEE10hipError_tT1_PNSt15iterator_traitsISI_E10value_typeET2_T3_PNSJ_ISO_E10value_typeET4_T5_PST_SU_PNS1_23onesweep_lookback_stateEbbT6_jjT7_P12ihipStream_tbENKUlT_T0_SI_SN_E_clISD_PxSD_S15_EEDaS11_S12_SI_SN_EUlS11_E_NS1_11comp_targetILNS1_3genE0ELNS1_11target_archE4294967295ELNS1_3gpuE0ELNS1_3repE0EEENS1_47radix_sort_onesweep_sort_config_static_selectorELNS0_4arch9wavefront6targetE1EEEvSI_.has_dyn_sized_stack, 0
	.set _ZN7rocprim17ROCPRIM_400000_NS6detail17trampoline_kernelINS0_14default_configENS1_35radix_sort_onesweep_config_selectorIxxEEZZNS1_29radix_sort_onesweep_iterationIS3_Lb0EN6thrust23THRUST_200600_302600_NS6detail15normal_iteratorINS8_10device_ptrIxEEEESD_SD_SD_jNS0_19identity_decomposerENS1_16block_id_wrapperIjLb0EEEEE10hipError_tT1_PNSt15iterator_traitsISI_E10value_typeET2_T3_PNSJ_ISO_E10value_typeET4_T5_PST_SU_PNS1_23onesweep_lookback_stateEbbT6_jjT7_P12ihipStream_tbENKUlT_T0_SI_SN_E_clISD_PxSD_S15_EEDaS11_S12_SI_SN_EUlS11_E_NS1_11comp_targetILNS1_3genE0ELNS1_11target_archE4294967295ELNS1_3gpuE0ELNS1_3repE0EEENS1_47radix_sort_onesweep_sort_config_static_selectorELNS0_4arch9wavefront6targetE1EEEvSI_.has_recursion, 0
	.set _ZN7rocprim17ROCPRIM_400000_NS6detail17trampoline_kernelINS0_14default_configENS1_35radix_sort_onesweep_config_selectorIxxEEZZNS1_29radix_sort_onesweep_iterationIS3_Lb0EN6thrust23THRUST_200600_302600_NS6detail15normal_iteratorINS8_10device_ptrIxEEEESD_SD_SD_jNS0_19identity_decomposerENS1_16block_id_wrapperIjLb0EEEEE10hipError_tT1_PNSt15iterator_traitsISI_E10value_typeET2_T3_PNSJ_ISO_E10value_typeET4_T5_PST_SU_PNS1_23onesweep_lookback_stateEbbT6_jjT7_P12ihipStream_tbENKUlT_T0_SI_SN_E_clISD_PxSD_S15_EEDaS11_S12_SI_SN_EUlS11_E_NS1_11comp_targetILNS1_3genE0ELNS1_11target_archE4294967295ELNS1_3gpuE0ELNS1_3repE0EEENS1_47radix_sort_onesweep_sort_config_static_selectorELNS0_4arch9wavefront6targetE1EEEvSI_.has_indirect_call, 0
	.section	.AMDGPU.csdata,"",@progbits
; Kernel info:
; codeLenInByte = 0
; TotalNumSgprs: 6
; NumVgprs: 0
; NumAgprs: 0
; TotalNumVgprs: 0
; ScratchSize: 0
; MemoryBound: 0
; FloatMode: 240
; IeeeMode: 1
; LDSByteSize: 0 bytes/workgroup (compile time only)
; SGPRBlocks: 0
; VGPRBlocks: 0
; NumSGPRsForWavesPerEU: 6
; NumVGPRsForWavesPerEU: 1
; AccumOffset: 4
; Occupancy: 8
; WaveLimiterHint : 0
; COMPUTE_PGM_RSRC2:SCRATCH_EN: 0
; COMPUTE_PGM_RSRC2:USER_SGPR: 2
; COMPUTE_PGM_RSRC2:TRAP_HANDLER: 0
; COMPUTE_PGM_RSRC2:TGID_X_EN: 1
; COMPUTE_PGM_RSRC2:TGID_Y_EN: 0
; COMPUTE_PGM_RSRC2:TGID_Z_EN: 0
; COMPUTE_PGM_RSRC2:TIDIG_COMP_CNT: 0
; COMPUTE_PGM_RSRC3_GFX90A:ACCUM_OFFSET: 0
; COMPUTE_PGM_RSRC3_GFX90A:TG_SPLIT: 0
	.section	.text._ZN7rocprim17ROCPRIM_400000_NS6detail17trampoline_kernelINS0_14default_configENS1_35radix_sort_onesweep_config_selectorIxxEEZZNS1_29radix_sort_onesweep_iterationIS3_Lb0EN6thrust23THRUST_200600_302600_NS6detail15normal_iteratorINS8_10device_ptrIxEEEESD_SD_SD_jNS0_19identity_decomposerENS1_16block_id_wrapperIjLb0EEEEE10hipError_tT1_PNSt15iterator_traitsISI_E10value_typeET2_T3_PNSJ_ISO_E10value_typeET4_T5_PST_SU_PNS1_23onesweep_lookback_stateEbbT6_jjT7_P12ihipStream_tbENKUlT_T0_SI_SN_E_clISD_PxSD_S15_EEDaS11_S12_SI_SN_EUlS11_E_NS1_11comp_targetILNS1_3genE6ELNS1_11target_archE950ELNS1_3gpuE13ELNS1_3repE0EEENS1_47radix_sort_onesweep_sort_config_static_selectorELNS0_4arch9wavefront6targetE1EEEvSI_,"axG",@progbits,_ZN7rocprim17ROCPRIM_400000_NS6detail17trampoline_kernelINS0_14default_configENS1_35radix_sort_onesweep_config_selectorIxxEEZZNS1_29radix_sort_onesweep_iterationIS3_Lb0EN6thrust23THRUST_200600_302600_NS6detail15normal_iteratorINS8_10device_ptrIxEEEESD_SD_SD_jNS0_19identity_decomposerENS1_16block_id_wrapperIjLb0EEEEE10hipError_tT1_PNSt15iterator_traitsISI_E10value_typeET2_T3_PNSJ_ISO_E10value_typeET4_T5_PST_SU_PNS1_23onesweep_lookback_stateEbbT6_jjT7_P12ihipStream_tbENKUlT_T0_SI_SN_E_clISD_PxSD_S15_EEDaS11_S12_SI_SN_EUlS11_E_NS1_11comp_targetILNS1_3genE6ELNS1_11target_archE950ELNS1_3gpuE13ELNS1_3repE0EEENS1_47radix_sort_onesweep_sort_config_static_selectorELNS0_4arch9wavefront6targetE1EEEvSI_,comdat
	.protected	_ZN7rocprim17ROCPRIM_400000_NS6detail17trampoline_kernelINS0_14default_configENS1_35radix_sort_onesweep_config_selectorIxxEEZZNS1_29radix_sort_onesweep_iterationIS3_Lb0EN6thrust23THRUST_200600_302600_NS6detail15normal_iteratorINS8_10device_ptrIxEEEESD_SD_SD_jNS0_19identity_decomposerENS1_16block_id_wrapperIjLb0EEEEE10hipError_tT1_PNSt15iterator_traitsISI_E10value_typeET2_T3_PNSJ_ISO_E10value_typeET4_T5_PST_SU_PNS1_23onesweep_lookback_stateEbbT6_jjT7_P12ihipStream_tbENKUlT_T0_SI_SN_E_clISD_PxSD_S15_EEDaS11_S12_SI_SN_EUlS11_E_NS1_11comp_targetILNS1_3genE6ELNS1_11target_archE950ELNS1_3gpuE13ELNS1_3repE0EEENS1_47radix_sort_onesweep_sort_config_static_selectorELNS0_4arch9wavefront6targetE1EEEvSI_ ; -- Begin function _ZN7rocprim17ROCPRIM_400000_NS6detail17trampoline_kernelINS0_14default_configENS1_35radix_sort_onesweep_config_selectorIxxEEZZNS1_29radix_sort_onesweep_iterationIS3_Lb0EN6thrust23THRUST_200600_302600_NS6detail15normal_iteratorINS8_10device_ptrIxEEEESD_SD_SD_jNS0_19identity_decomposerENS1_16block_id_wrapperIjLb0EEEEE10hipError_tT1_PNSt15iterator_traitsISI_E10value_typeET2_T3_PNSJ_ISO_E10value_typeET4_T5_PST_SU_PNS1_23onesweep_lookback_stateEbbT6_jjT7_P12ihipStream_tbENKUlT_T0_SI_SN_E_clISD_PxSD_S15_EEDaS11_S12_SI_SN_EUlS11_E_NS1_11comp_targetILNS1_3genE6ELNS1_11target_archE950ELNS1_3gpuE13ELNS1_3repE0EEENS1_47radix_sort_onesweep_sort_config_static_selectorELNS0_4arch9wavefront6targetE1EEEvSI_
	.globl	_ZN7rocprim17ROCPRIM_400000_NS6detail17trampoline_kernelINS0_14default_configENS1_35radix_sort_onesweep_config_selectorIxxEEZZNS1_29radix_sort_onesweep_iterationIS3_Lb0EN6thrust23THRUST_200600_302600_NS6detail15normal_iteratorINS8_10device_ptrIxEEEESD_SD_SD_jNS0_19identity_decomposerENS1_16block_id_wrapperIjLb0EEEEE10hipError_tT1_PNSt15iterator_traitsISI_E10value_typeET2_T3_PNSJ_ISO_E10value_typeET4_T5_PST_SU_PNS1_23onesweep_lookback_stateEbbT6_jjT7_P12ihipStream_tbENKUlT_T0_SI_SN_E_clISD_PxSD_S15_EEDaS11_S12_SI_SN_EUlS11_E_NS1_11comp_targetILNS1_3genE6ELNS1_11target_archE950ELNS1_3gpuE13ELNS1_3repE0EEENS1_47radix_sort_onesweep_sort_config_static_selectorELNS0_4arch9wavefront6targetE1EEEvSI_
	.p2align	8
	.type	_ZN7rocprim17ROCPRIM_400000_NS6detail17trampoline_kernelINS0_14default_configENS1_35radix_sort_onesweep_config_selectorIxxEEZZNS1_29radix_sort_onesweep_iterationIS3_Lb0EN6thrust23THRUST_200600_302600_NS6detail15normal_iteratorINS8_10device_ptrIxEEEESD_SD_SD_jNS0_19identity_decomposerENS1_16block_id_wrapperIjLb0EEEEE10hipError_tT1_PNSt15iterator_traitsISI_E10value_typeET2_T3_PNSJ_ISO_E10value_typeET4_T5_PST_SU_PNS1_23onesweep_lookback_stateEbbT6_jjT7_P12ihipStream_tbENKUlT_T0_SI_SN_E_clISD_PxSD_S15_EEDaS11_S12_SI_SN_EUlS11_E_NS1_11comp_targetILNS1_3genE6ELNS1_11target_archE950ELNS1_3gpuE13ELNS1_3repE0EEENS1_47radix_sort_onesweep_sort_config_static_selectorELNS0_4arch9wavefront6targetE1EEEvSI_,@function
_ZN7rocprim17ROCPRIM_400000_NS6detail17trampoline_kernelINS0_14default_configENS1_35radix_sort_onesweep_config_selectorIxxEEZZNS1_29radix_sort_onesweep_iterationIS3_Lb0EN6thrust23THRUST_200600_302600_NS6detail15normal_iteratorINS8_10device_ptrIxEEEESD_SD_SD_jNS0_19identity_decomposerENS1_16block_id_wrapperIjLb0EEEEE10hipError_tT1_PNSt15iterator_traitsISI_E10value_typeET2_T3_PNSJ_ISO_E10value_typeET4_T5_PST_SU_PNS1_23onesweep_lookback_stateEbbT6_jjT7_P12ihipStream_tbENKUlT_T0_SI_SN_E_clISD_PxSD_S15_EEDaS11_S12_SI_SN_EUlS11_E_NS1_11comp_targetILNS1_3genE6ELNS1_11target_archE950ELNS1_3gpuE13ELNS1_3repE0EEENS1_47radix_sort_onesweep_sort_config_static_selectorELNS0_4arch9wavefront6targetE1EEEvSI_: ; @_ZN7rocprim17ROCPRIM_400000_NS6detail17trampoline_kernelINS0_14default_configENS1_35radix_sort_onesweep_config_selectorIxxEEZZNS1_29radix_sort_onesweep_iterationIS3_Lb0EN6thrust23THRUST_200600_302600_NS6detail15normal_iteratorINS8_10device_ptrIxEEEESD_SD_SD_jNS0_19identity_decomposerENS1_16block_id_wrapperIjLb0EEEEE10hipError_tT1_PNSt15iterator_traitsISI_E10value_typeET2_T3_PNSJ_ISO_E10value_typeET4_T5_PST_SU_PNS1_23onesweep_lookback_stateEbbT6_jjT7_P12ihipStream_tbENKUlT_T0_SI_SN_E_clISD_PxSD_S15_EEDaS11_S12_SI_SN_EUlS11_E_NS1_11comp_targetILNS1_3genE6ELNS1_11target_archE950ELNS1_3gpuE13ELNS1_3repE0EEENS1_47radix_sort_onesweep_sort_config_static_selectorELNS0_4arch9wavefront6targetE1EEEvSI_
; %bb.0:
	s_load_dwordx4 s[52:55], s[2:3], 0x44
	s_load_dwordx8 s[40:47], s[2:3], 0x0
	s_load_dwordx4 s[48:51], s[2:3], 0x28
	s_load_dwordx2 s[38:39], s[2:3], 0x38
	v_and_b32_e32 v2, 0x3ff, v0
	v_bfe_u32 v3, v0, 10, 10
	v_bfe_u32 v28, v0, 20, 10
	s_mov_b64 s[6:7], -1
	s_waitcnt lgkmcnt(0)
	s_cmp_ge_u32 s4, s54
	v_mbcnt_lo_u32_b32 v30, -1, 0
	v_lshlrev_b32_e32 v29, 3, v2
	s_cbranch_scc0 .LBB1234_116
; %bb.1:
	s_load_dword s5, s[2:3], 0x20
	s_lshl_b32 s8, s54, 13
	s_lshl_b32 s6, s4, 13
	s_mov_b32 s7, 0
	s_lshl_b64 s[54:55], s[6:7], 3
	s_waitcnt lgkmcnt(0)
	s_sub_i32 s5, s5, s8
	v_mbcnt_hi_u32_b32 v26, -1, v30
	s_add_u32 s6, s40, s54
	v_and_b32_e32 v8, 63, v26
	s_addc_u32 s7, s41, s55
	v_and_b32_e32 v9, 0x1e00, v29
	v_mov_b32_e32 v1, 0
	v_lshlrev_b32_e32 v0, 3, v8
	v_lshl_add_u64 v[6:7], s[6:7], 0, v[0:1]
	v_lshlrev_b32_e32 v4, 3, v9
	v_mov_b32_e32 v5, v1
	v_or_b32_e32 v1, v8, v9
	v_lshl_add_u64 v[22:23], v[6:7], 0, v[4:5]
	v_cmp_gt_u32_e32 vcc, s5, v1
	v_mov_b64_e32 v[6:7], -1
	v_mov_b64_e32 v[8:9], -1
	s_and_saveexec_b64 s[6:7], vcc
	s_cbranch_execz .LBB1234_3
; %bb.2:
	global_load_dwordx2 v[8:9], v[22:23], off
	s_waitcnt vmcnt(0)
	v_xor_b32_e32 v9, 0x80000000, v9
.LBB1234_3:
	s_or_b64 exec, exec, s[6:7]
	v_or_b32_e32 v5, 64, v1
	v_cmp_gt_u32_e64 s[16:17], s5, v5
	s_and_saveexec_b64 s[6:7], s[16:17]
	s_cbranch_execz .LBB1234_5
; %bb.4:
	global_load_dwordx2 v[6:7], v[22:23], off offset:512
	s_waitcnt vmcnt(0)
	v_xor_b32_e32 v7, 0x80000000, v7
.LBB1234_5:
	s_or_b64 exec, exec, s[6:7]
	v_or_b32_e32 v5, 0x80, v1
	v_cmp_gt_u32_e64 s[26:27], s5, v5
	v_mov_b64_e32 v[10:11], -1
	v_mov_b64_e32 v[12:13], -1
	s_and_saveexec_b64 s[6:7], s[26:27]
	s_cbranch_execz .LBB1234_7
; %bb.6:
	global_load_dwordx2 v[12:13], v[22:23], off offset:1024
	s_waitcnt vmcnt(0)
	v_xor_b32_e32 v13, 0x80000000, v13
.LBB1234_7:
	s_or_b64 exec, exec, s[6:7]
	v_or_b32_e32 v5, 0xc0, v1
	v_cmp_gt_u32_e64 s[6:7], s5, v5
	s_and_saveexec_b64 s[8:9], s[6:7]
	s_cbranch_execz .LBB1234_9
; %bb.8:
	global_load_dwordx2 v[10:11], v[22:23], off offset:1536
	s_waitcnt vmcnt(0)
	v_xor_b32_e32 v11, 0x80000000, v11
.LBB1234_9:
	s_or_b64 exec, exec, s[8:9]
	v_or_b32_e32 v5, 0x100, v1
	v_cmp_gt_u32_e64 s[8:9], s5, v5
	v_mov_b64_e32 v[14:15], -1
	v_mov_b64_e32 v[16:17], -1
	s_and_saveexec_b64 s[10:11], s[8:9]
	s_cbranch_execz .LBB1234_11
; %bb.10:
	global_load_dwordx2 v[16:17], v[22:23], off offset:2048
	s_waitcnt vmcnt(0)
	v_xor_b32_e32 v17, 0x80000000, v17
.LBB1234_11:
	;; [unrolled: 22-line block ×3, first 2 shown]
	s_or_b64 exec, exec, s[14:15]
	v_or_b32_e32 v1, 0x1c0, v1
	v_cmp_gt_u32_e64 s[14:15], s5, v1
	s_and_saveexec_b64 s[18:19], s[14:15]
	s_cbranch_execz .LBB1234_17
; %bb.16:
	global_load_dwordx2 v[18:19], v[22:23], off offset:3584
	s_waitcnt vmcnt(0)
	v_xor_b32_e32 v19, 0x80000000, v19
.LBB1234_17:
	s_or_b64 exec, exec, s[18:19]
	s_load_dword s18, s[2:3], 0x64
	s_load_dword s33, s[2:3], 0x58
	s_add_u32 s19, s2, 0x58
	s_addc_u32 s20, s3, 0
	v_mov_b32_e32 v23, 0
	s_waitcnt lgkmcnt(0)
	s_lshr_b32 s21, s18, 16
	s_cmp_lt_u32 s4, s33
	s_cselect_b32 s18, 12, 18
	s_add_u32 s18, s19, s18
	s_addc_u32 s19, s20, 0
	global_load_ushort v1, v23, s[18:19]
	v_lshrrev_b64 v[24:25], s52, v[8:9]
	s_lshl_b32 s18, -1, s53
	v_bitop3_b32 v24, v24, s18, v24 bitop3:0x30
	s_movk_i32 s57, 0x44
	v_and_b32_e32 v22, 1, v24
	v_lshlrev_b32_e32 v33, 30, v24
	v_mov_b32_e32 v32, v23
	s_not_b32 s56, s18
	v_mul_lo_u32 v31, v24, s57
	v_lshlrev_b32_e32 v35, 29, v24
	v_lshlrev_b32_e32 v37, 28, v24
	;; [unrolled: 1-line block ×6, first 2 shown]
	v_lshl_add_u64 v[24:25], v[22:23], 0, -1
	v_cmp_ne_u32_e64 s[18:19], 0, v22
	v_not_b32_e32 v22, v33
	v_mov_b32_e32 v34, v23
	v_mov_b32_e32 v36, v23
	v_mad_u32_u24 v27, v28, s21, v3
	v_cmp_gt_i64_e64 s[20:21], 0, v[32:33]
	v_not_b32_e32 v32, v35
	v_xor_b32_e32 v25, s19, v25
	v_ashrrev_i32_e32 v22, 31, v22
	v_mov_b32_e32 v38, v23
	v_cmp_gt_i64_e64 s[22:23], 0, v[34:35]
	v_cmp_gt_i64_e64 s[24:25], 0, v[36:37]
	v_not_b32_e32 v33, v37
	v_xor_b32_e32 v24, s18, v24
	v_ashrrev_i32_e32 v32, 31, v32
	v_and_b32_e32 v25, exec_hi, v25
	v_xor_b32_e32 v37, s21, v22
	v_cmp_gt_i64_e64 s[28:29], 0, v[38:39]
	v_not_b32_e32 v34, v39
	v_ashrrev_i32_e32 v33, 31, v33
	v_and_b32_e32 v24, exec_lo, v24
	v_xor_b32_e32 v22, s20, v22
	v_xor_b32_e32 v38, s23, v32
	v_and_b32_e32 v25, v25, v37
	v_mov_b32_e32 v40, v23
	v_not_b32_e32 v35, v41
	v_ashrrev_i32_e32 v34, 31, v34
	v_xor_b32_e32 v39, s25, v33
	v_and_b32_e32 v22, v24, v22
	v_and_b32_e32 v24, v25, v38
	v_mov_b32_e32 v42, v23
	v_cmp_gt_i64_e64 s[30:31], 0, v[40:41]
	v_not_b32_e32 v36, v43
	v_ashrrev_i32_e32 v35, 31, v35
	v_xor_b32_e32 v32, s22, v32
	v_xor_b32_e32 v40, s29, v34
	v_and_b32_e32 v24, v24, v39
	v_cmp_gt_i64_e64 s[34:35], 0, v[42:43]
	v_ashrrev_i32_e32 v36, 31, v36
	v_xor_b32_e32 v33, s24, v33
	v_xor_b32_e32 v41, s31, v35
	v_and_b32_e32 v22, v22, v32
	v_and_b32_e32 v24, v24, v40
	v_xor_b32_e32 v34, s28, v34
	v_xor_b32_e32 v42, s35, v36
	v_and_b32_e32 v22, v22, v33
	v_and_b32_e32 v24, v24, v41
	v_mov_b32_e32 v44, v23
	v_xor_b32_e32 v35, s30, v35
	v_and_b32_e32 v22, v22, v34
	v_and_b32_e32 v32, v24, v42
	v_cmp_gt_i64_e64 s[36:37], 0, v[44:45]
	v_xor_b32_e32 v36, s34, v36
	v_and_b32_e32 v22, v22, v35
	v_and_b32_e32 v22, v22, v36
	v_mul_u32_u24_e32 v5, 20, v2
	ds_write2_b32 v5, v23, v23 offset0:16 offset1:17
	ds_write2_b32 v5, v23, v23 offset0:18 offset1:19
	ds_write_b32 v5, v23 offset:80
	s_waitcnt lgkmcnt(0)
	s_barrier
	s_waitcnt vmcnt(0)
	; wave barrier
	v_mad_u64_u32 v[24:25], s[18:19], v27, v1, v[2:3]
	v_not_b32_e32 v1, v45
	v_ashrrev_i32_e32 v1, 31, v1
	v_lshrrev_b32_e32 v40, 6, v24
	v_xor_b32_e32 v24, s37, v1
	v_xor_b32_e32 v1, s36, v1
	v_and_b32_e32 v25, v32, v24
	v_and_b32_e32 v24, v22, v1
	v_mbcnt_lo_u32_b32 v1, v24, 0
	v_lshl_add_u32 v27, v40, 2, v31
	v_mbcnt_hi_u32_b32 v31, v25, v1
	v_cmp_eq_u32_e64 s[18:19], 0, v31
	v_cmp_ne_u64_e64 s[20:21], 0, v[24:25]
	s_and_b64 s[20:21], s[20:21], s[18:19]
	s_and_saveexec_b64 s[18:19], s[20:21]
; %bb.18:
	v_bcnt_u32_b32 v1, v24, 0
	v_bcnt_u32_b32 v1, v25, v1
	ds_write_b32 v27, v1 offset:64
; %bb.19:
	s_or_b64 exec, exec, s[18:19]
	v_lshrrev_b64 v[24:25], s52, v[6:7]
	v_and_b32_e32 v32, s56, v24
	v_and_b32_e32 v22, 1, v32
	v_lshl_add_u64 v[24:25], v[22:23], 0, -1
	v_cmp_ne_u32_e64 s[18:19], 0, v22
	v_mul_lo_u32 v1, v32, s57
	v_lshl_add_u32 v34, v40, 2, v1
	v_xor_b32_e32 v24, s18, v24
	v_xor_b32_e32 v22, s19, v25
	v_and_b32_e32 v33, exec_lo, v24
	v_lshlrev_b32_e32 v25, 30, v32
	v_mov_b32_e32 v24, v23
	v_cmp_gt_i64_e64 s[18:19], 0, v[24:25]
	v_not_b32_e32 v24, v25
	v_ashrrev_i32_e32 v24, 31, v24
	v_and_b32_e32 v22, exec_hi, v22
	v_xor_b32_e32 v25, s19, v24
	v_xor_b32_e32 v24, s18, v24
	v_and_b32_e32 v22, v22, v25
	v_and_b32_e32 v33, v33, v24
	v_lshlrev_b32_e32 v25, 29, v32
	v_mov_b32_e32 v24, v23
	v_cmp_gt_i64_e64 s[18:19], 0, v[24:25]
	v_not_b32_e32 v24, v25
	v_ashrrev_i32_e32 v24, 31, v24
	v_xor_b32_e32 v25, s19, v24
	v_xor_b32_e32 v24, s18, v24
	v_and_b32_e32 v22, v22, v25
	v_and_b32_e32 v33, v33, v24
	v_lshlrev_b32_e32 v25, 28, v32
	v_mov_b32_e32 v24, v23
	v_cmp_gt_i64_e64 s[18:19], 0, v[24:25]
	v_not_b32_e32 v24, v25
	v_ashrrev_i32_e32 v24, 31, v24
	;; [unrolled: 9-line block ×5, first 2 shown]
	v_xor_b32_e32 v25, s19, v24
	v_xor_b32_e32 v24, s18, v24
	v_and_b32_e32 v22, v22, v25
	v_lshlrev_b32_e32 v25, 24, v32
	v_and_b32_e32 v33, v33, v24
	v_mov_b32_e32 v24, v23
	v_not_b32_e32 v23, v25
	v_cmp_gt_i64_e64 s[18:19], 0, v[24:25]
	v_ashrrev_i32_e32 v23, 31, v23
	s_nop 0
	v_xor_b32_e32 v24, s19, v23
	v_xor_b32_e32 v25, s18, v23
	; wave barrier
	ds_read_b32 v1, v34 offset:64
	v_and_b32_e32 v23, v22, v24
	v_and_b32_e32 v22, v33, v25
	v_mbcnt_lo_u32_b32 v24, v22, 0
	v_mbcnt_hi_u32_b32 v32, v23, v24
	v_cmp_eq_u32_e64 s[18:19], 0, v32
	v_cmp_ne_u64_e64 s[20:21], 0, v[22:23]
	s_and_b64 s[20:21], s[20:21], s[18:19]
	; wave barrier
	s_and_saveexec_b64 s[18:19], s[20:21]
	s_cbranch_execz .LBB1234_21
; %bb.20:
	v_bcnt_u32_b32 v22, v22, 0
	v_bcnt_u32_b32 v22, v23, v22
	s_waitcnt lgkmcnt(0)
	v_add_u32_e32 v22, v1, v22
	ds_write_b32 v34, v22 offset:64
.LBB1234_21:
	s_or_b64 exec, exec, s[18:19]
	v_lshrrev_b64 v[22:23], s52, v[12:13]
	v_and_b32_e32 v35, s56, v22
	s_movk_i32 s22, 0x44
	v_mul_lo_u32 v22, v35, s22
	v_lshl_add_u32 v37, v40, 2, v22
	v_and_b32_e32 v22, 1, v35
	v_mov_b32_e32 v23, 0
	v_lshl_add_u64 v[24:25], v[22:23], 0, -1
	v_cmp_ne_u32_e64 s[18:19], 0, v22
	; wave barrier
	s_nop 1
	v_xor_b32_e32 v24, s18, v24
	v_xor_b32_e32 v22, s19, v25
	v_and_b32_e32 v36, exec_lo, v24
	v_lshlrev_b32_e32 v25, 30, v35
	v_mov_b32_e32 v24, v23
	v_cmp_gt_i64_e64 s[18:19], 0, v[24:25]
	v_not_b32_e32 v24, v25
	v_ashrrev_i32_e32 v24, 31, v24
	v_and_b32_e32 v22, exec_hi, v22
	v_xor_b32_e32 v25, s19, v24
	v_xor_b32_e32 v24, s18, v24
	v_and_b32_e32 v22, v22, v25
	v_and_b32_e32 v36, v36, v24
	v_lshlrev_b32_e32 v25, 29, v35
	v_mov_b32_e32 v24, v23
	v_cmp_gt_i64_e64 s[18:19], 0, v[24:25]
	v_not_b32_e32 v24, v25
	v_ashrrev_i32_e32 v24, 31, v24
	v_xor_b32_e32 v25, s19, v24
	v_xor_b32_e32 v24, s18, v24
	v_and_b32_e32 v22, v22, v25
	v_and_b32_e32 v36, v36, v24
	v_lshlrev_b32_e32 v25, 28, v35
	v_mov_b32_e32 v24, v23
	v_cmp_gt_i64_e64 s[18:19], 0, v[24:25]
	v_not_b32_e32 v24, v25
	v_ashrrev_i32_e32 v24, 31, v24
	;; [unrolled: 9-line block ×6, first 2 shown]
	v_xor_b32_e32 v25, s19, v24
	v_xor_b32_e32 v24, s18, v24
	ds_read_b32 v33, v37 offset:64
	v_and_b32_e32 v24, v36, v24
	v_and_b32_e32 v25, v22, v25
	v_mbcnt_lo_u32_b32 v22, v24, 0
	v_mbcnt_hi_u32_b32 v35, v25, v22
	v_cmp_eq_u32_e64 s[18:19], 0, v35
	v_cmp_ne_u64_e64 s[20:21], 0, v[24:25]
	s_and_b64 s[20:21], s[20:21], s[18:19]
	; wave barrier
	s_and_saveexec_b64 s[18:19], s[20:21]
	s_cbranch_execz .LBB1234_23
; %bb.22:
	v_bcnt_u32_b32 v22, v24, 0
	v_bcnt_u32_b32 v22, v25, v22
	s_waitcnt lgkmcnt(0)
	v_add_u32_e32 v22, v33, v22
	ds_write_b32 v37, v22 offset:64
.LBB1234_23:
	s_or_b64 exec, exec, s[18:19]
	v_lshrrev_b64 v[24:25], s52, v[10:11]
	v_and_b32_e32 v38, s56, v24
	v_mul_lo_u32 v22, v38, s22
	v_lshl_add_u32 v41, v40, 2, v22
	v_and_b32_e32 v22, 1, v38
	v_lshl_add_u64 v[24:25], v[22:23], 0, -1
	v_cmp_ne_u32_e64 s[18:19], 0, v22
	; wave barrier
	s_nop 1
	v_xor_b32_e32 v24, s18, v24
	v_xor_b32_e32 v22, s19, v25
	v_and_b32_e32 v39, exec_lo, v24
	v_lshlrev_b32_e32 v25, 30, v38
	v_mov_b32_e32 v24, v23
	v_cmp_gt_i64_e64 s[18:19], 0, v[24:25]
	v_not_b32_e32 v24, v25
	v_ashrrev_i32_e32 v24, 31, v24
	v_and_b32_e32 v22, exec_hi, v22
	v_xor_b32_e32 v25, s19, v24
	v_xor_b32_e32 v24, s18, v24
	v_and_b32_e32 v22, v22, v25
	v_and_b32_e32 v39, v39, v24
	v_lshlrev_b32_e32 v25, 29, v38
	v_mov_b32_e32 v24, v23
	v_cmp_gt_i64_e64 s[18:19], 0, v[24:25]
	v_not_b32_e32 v24, v25
	v_ashrrev_i32_e32 v24, 31, v24
	v_xor_b32_e32 v25, s19, v24
	v_xor_b32_e32 v24, s18, v24
	v_and_b32_e32 v22, v22, v25
	v_and_b32_e32 v39, v39, v24
	v_lshlrev_b32_e32 v25, 28, v38
	v_mov_b32_e32 v24, v23
	v_cmp_gt_i64_e64 s[18:19], 0, v[24:25]
	v_not_b32_e32 v24, v25
	v_ashrrev_i32_e32 v24, 31, v24
	;; [unrolled: 9-line block ×5, first 2 shown]
	v_xor_b32_e32 v25, s19, v24
	v_xor_b32_e32 v24, s18, v24
	v_and_b32_e32 v22, v22, v25
	v_lshlrev_b32_e32 v25, 24, v38
	v_and_b32_e32 v39, v39, v24
	v_mov_b32_e32 v24, v23
	v_not_b32_e32 v23, v25
	v_cmp_gt_i64_e64 s[18:19], 0, v[24:25]
	v_ashrrev_i32_e32 v23, 31, v23
	ds_read_b32 v36, v41 offset:64
	v_xor_b32_e32 v24, s19, v23
	v_xor_b32_e32 v25, s18, v23
	v_and_b32_e32 v23, v22, v24
	v_and_b32_e32 v22, v39, v25
	v_mbcnt_lo_u32_b32 v24, v22, 0
	v_mbcnt_hi_u32_b32 v38, v23, v24
	v_cmp_eq_u32_e64 s[18:19], 0, v38
	v_cmp_ne_u64_e64 s[20:21], 0, v[22:23]
	s_and_b64 s[20:21], s[20:21], s[18:19]
	; wave barrier
	s_and_saveexec_b64 s[18:19], s[20:21]
	s_cbranch_execz .LBB1234_25
; %bb.24:
	v_bcnt_u32_b32 v22, v22, 0
	v_bcnt_u32_b32 v22, v23, v22
	s_waitcnt lgkmcnt(0)
	v_add_u32_e32 v22, v36, v22
	ds_write_b32 v41, v22 offset:64
.LBB1234_25:
	s_or_b64 exec, exec, s[18:19]
	v_lshrrev_b64 v[22:23], s52, v[16:17]
	v_and_b32_e32 v42, s56, v22
	v_mul_lo_u32 v22, v42, s22
	v_lshl_add_u32 v44, v40, 2, v22
	v_and_b32_e32 v22, 1, v42
	v_mov_b32_e32 v23, 0
	v_lshl_add_u64 v[24:25], v[22:23], 0, -1
	v_cmp_ne_u32_e64 s[18:19], 0, v22
	; wave barrier
	s_nop 1
	v_xor_b32_e32 v24, s18, v24
	v_xor_b32_e32 v22, s19, v25
	v_and_b32_e32 v43, exec_lo, v24
	v_lshlrev_b32_e32 v25, 30, v42
	v_mov_b32_e32 v24, v23
	v_cmp_gt_i64_e64 s[18:19], 0, v[24:25]
	v_not_b32_e32 v24, v25
	v_ashrrev_i32_e32 v24, 31, v24
	v_and_b32_e32 v22, exec_hi, v22
	v_xor_b32_e32 v25, s19, v24
	v_xor_b32_e32 v24, s18, v24
	v_and_b32_e32 v22, v22, v25
	v_and_b32_e32 v43, v43, v24
	v_lshlrev_b32_e32 v25, 29, v42
	v_mov_b32_e32 v24, v23
	v_cmp_gt_i64_e64 s[18:19], 0, v[24:25]
	v_not_b32_e32 v24, v25
	v_ashrrev_i32_e32 v24, 31, v24
	v_xor_b32_e32 v25, s19, v24
	v_xor_b32_e32 v24, s18, v24
	v_and_b32_e32 v22, v22, v25
	v_and_b32_e32 v43, v43, v24
	v_lshlrev_b32_e32 v25, 28, v42
	v_mov_b32_e32 v24, v23
	v_cmp_gt_i64_e64 s[18:19], 0, v[24:25]
	v_not_b32_e32 v24, v25
	v_ashrrev_i32_e32 v24, 31, v24
	;; [unrolled: 9-line block ×6, first 2 shown]
	v_xor_b32_e32 v25, s19, v24
	v_xor_b32_e32 v24, s18, v24
	ds_read_b32 v39, v44 offset:64
	v_and_b32_e32 v24, v43, v24
	v_and_b32_e32 v25, v22, v25
	v_mbcnt_lo_u32_b32 v22, v24, 0
	v_mbcnt_hi_u32_b32 v42, v25, v22
	v_cmp_eq_u32_e64 s[18:19], 0, v42
	v_cmp_ne_u64_e64 s[20:21], 0, v[24:25]
	s_and_b64 s[20:21], s[20:21], s[18:19]
	; wave barrier
	s_and_saveexec_b64 s[18:19], s[20:21]
	s_cbranch_execz .LBB1234_27
; %bb.26:
	v_bcnt_u32_b32 v22, v24, 0
	v_bcnt_u32_b32 v22, v25, v22
	s_waitcnt lgkmcnt(0)
	v_add_u32_e32 v22, v39, v22
	ds_write_b32 v44, v22 offset:64
.LBB1234_27:
	s_or_b64 exec, exec, s[18:19]
	v_lshrrev_b64 v[24:25], s52, v[14:15]
	v_and_b32_e32 v45, s56, v24
	v_mul_lo_u32 v22, v45, s22
	v_lshl_add_u32 v47, v40, 2, v22
	v_and_b32_e32 v22, 1, v45
	v_lshl_add_u64 v[24:25], v[22:23], 0, -1
	v_cmp_ne_u32_e64 s[18:19], 0, v22
	; wave barrier
	s_nop 1
	v_xor_b32_e32 v24, s18, v24
	v_xor_b32_e32 v22, s19, v25
	v_and_b32_e32 v46, exec_lo, v24
	v_lshlrev_b32_e32 v25, 30, v45
	v_mov_b32_e32 v24, v23
	v_cmp_gt_i64_e64 s[18:19], 0, v[24:25]
	v_not_b32_e32 v24, v25
	v_ashrrev_i32_e32 v24, 31, v24
	v_and_b32_e32 v22, exec_hi, v22
	v_xor_b32_e32 v25, s19, v24
	v_xor_b32_e32 v24, s18, v24
	v_and_b32_e32 v22, v22, v25
	v_and_b32_e32 v46, v46, v24
	v_lshlrev_b32_e32 v25, 29, v45
	v_mov_b32_e32 v24, v23
	v_cmp_gt_i64_e64 s[18:19], 0, v[24:25]
	v_not_b32_e32 v24, v25
	v_ashrrev_i32_e32 v24, 31, v24
	v_xor_b32_e32 v25, s19, v24
	v_xor_b32_e32 v24, s18, v24
	v_and_b32_e32 v22, v22, v25
	v_and_b32_e32 v46, v46, v24
	v_lshlrev_b32_e32 v25, 28, v45
	v_mov_b32_e32 v24, v23
	v_cmp_gt_i64_e64 s[18:19], 0, v[24:25]
	v_not_b32_e32 v24, v25
	v_ashrrev_i32_e32 v24, 31, v24
	v_xor_b32_e32 v25, s19, v24
	v_xor_b32_e32 v24, s18, v24
	v_and_b32_e32 v22, v22, v25
	v_and_b32_e32 v46, v46, v24
	v_lshlrev_b32_e32 v25, 27, v45
	v_mov_b32_e32 v24, v23
	v_cmp_gt_i64_e64 s[18:19], 0, v[24:25]
	v_not_b32_e32 v24, v25
	v_ashrrev_i32_e32 v24, 31, v24
	v_xor_b32_e32 v25, s19, v24
	v_xor_b32_e32 v24, s18, v24
	v_and_b32_e32 v22, v22, v25
	v_and_b32_e32 v46, v46, v24
	v_lshlrev_b32_e32 v25, 26, v45
	v_mov_b32_e32 v24, v23
	v_cmp_gt_i64_e64 s[18:19], 0, v[24:25]
	v_not_b32_e32 v24, v25
	v_ashrrev_i32_e32 v24, 31, v24
	v_xor_b32_e32 v25, s19, v24
	v_xor_b32_e32 v24, s18, v24
	v_and_b32_e32 v22, v22, v25
	v_and_b32_e32 v46, v46, v24
	v_lshlrev_b32_e32 v25, 25, v45
	v_mov_b32_e32 v24, v23
	v_cmp_gt_i64_e64 s[18:19], 0, v[24:25]
	v_not_b32_e32 v24, v25
	v_ashrrev_i32_e32 v24, 31, v24
	v_xor_b32_e32 v25, s19, v24
	v_xor_b32_e32 v24, s18, v24
	v_and_b32_e32 v22, v22, v25
	v_lshlrev_b32_e32 v25, 24, v45
	v_and_b32_e32 v46, v46, v24
	v_mov_b32_e32 v24, v23
	v_not_b32_e32 v23, v25
	v_cmp_gt_i64_e64 s[18:19], 0, v[24:25]
	v_ashrrev_i32_e32 v23, 31, v23
	ds_read_b32 v43, v47 offset:64
	v_xor_b32_e32 v24, s19, v23
	v_xor_b32_e32 v25, s18, v23
	v_and_b32_e32 v23, v22, v24
	v_and_b32_e32 v22, v46, v25
	v_mbcnt_lo_u32_b32 v24, v22, 0
	v_mbcnt_hi_u32_b32 v45, v23, v24
	v_cmp_eq_u32_e64 s[18:19], 0, v45
	v_cmp_ne_u64_e64 s[20:21], 0, v[22:23]
	s_and_b64 s[20:21], s[20:21], s[18:19]
	; wave barrier
	s_and_saveexec_b64 s[18:19], s[20:21]
	s_cbranch_execz .LBB1234_29
; %bb.28:
	v_bcnt_u32_b32 v22, v22, 0
	v_bcnt_u32_b32 v22, v23, v22
	s_waitcnt lgkmcnt(0)
	v_add_u32_e32 v22, v43, v22
	ds_write_b32 v47, v22 offset:64
.LBB1234_29:
	s_or_b64 exec, exec, s[18:19]
	v_lshrrev_b64 v[22:23], s52, v[20:21]
	v_and_b32_e32 v48, s56, v22
	v_mul_lo_u32 v22, v48, s22
	v_lshl_add_u32 v50, v40, 2, v22
	v_and_b32_e32 v22, 1, v48
	v_mov_b32_e32 v23, 0
	v_lshl_add_u64 v[24:25], v[22:23], 0, -1
	v_cmp_ne_u32_e64 s[18:19], 0, v22
	; wave barrier
	s_nop 1
	v_xor_b32_e32 v24, s18, v24
	v_xor_b32_e32 v22, s19, v25
	v_and_b32_e32 v49, exec_lo, v24
	v_lshlrev_b32_e32 v25, 30, v48
	v_mov_b32_e32 v24, v23
	v_cmp_gt_i64_e64 s[18:19], 0, v[24:25]
	v_not_b32_e32 v24, v25
	v_ashrrev_i32_e32 v24, 31, v24
	v_and_b32_e32 v22, exec_hi, v22
	v_xor_b32_e32 v25, s19, v24
	v_xor_b32_e32 v24, s18, v24
	v_and_b32_e32 v22, v22, v25
	v_and_b32_e32 v49, v49, v24
	v_lshlrev_b32_e32 v25, 29, v48
	v_mov_b32_e32 v24, v23
	v_cmp_gt_i64_e64 s[18:19], 0, v[24:25]
	v_not_b32_e32 v24, v25
	v_ashrrev_i32_e32 v24, 31, v24
	v_xor_b32_e32 v25, s19, v24
	v_xor_b32_e32 v24, s18, v24
	v_and_b32_e32 v22, v22, v25
	v_and_b32_e32 v49, v49, v24
	v_lshlrev_b32_e32 v25, 28, v48
	v_mov_b32_e32 v24, v23
	v_cmp_gt_i64_e64 s[18:19], 0, v[24:25]
	v_not_b32_e32 v24, v25
	v_ashrrev_i32_e32 v24, 31, v24
	;; [unrolled: 9-line block ×6, first 2 shown]
	v_xor_b32_e32 v25, s19, v24
	v_xor_b32_e32 v24, s18, v24
	ds_read_b32 v46, v50 offset:64
	v_and_b32_e32 v24, v49, v24
	v_and_b32_e32 v25, v22, v25
	v_mbcnt_lo_u32_b32 v22, v24, 0
	v_mbcnt_hi_u32_b32 v48, v25, v22
	v_cmp_eq_u32_e64 s[18:19], 0, v48
	v_cmp_ne_u64_e64 s[20:21], 0, v[24:25]
	s_and_b64 s[20:21], s[20:21], s[18:19]
	; wave barrier
	s_and_saveexec_b64 s[18:19], s[20:21]
	s_cbranch_execz .LBB1234_31
; %bb.30:
	v_bcnt_u32_b32 v22, v24, 0
	v_bcnt_u32_b32 v22, v25, v22
	s_waitcnt lgkmcnt(0)
	v_add_u32_e32 v22, v46, v22
	ds_write_b32 v50, v22 offset:64
.LBB1234_31:
	s_or_b64 exec, exec, s[18:19]
	v_lshrrev_b64 v[24:25], s52, v[18:19]
	v_and_b32_e32 v51, s56, v24
	v_mul_lo_u32 v22, v51, s22
	v_lshl_add_u32 v40, v40, 2, v22
	v_and_b32_e32 v22, 1, v51
	v_lshl_add_u64 v[24:25], v[22:23], 0, -1
	v_cmp_ne_u32_e64 s[18:19], 0, v22
	; wave barrier
	s_nop 1
	v_xor_b32_e32 v24, s18, v24
	v_xor_b32_e32 v22, s19, v25
	v_and_b32_e32 v52, exec_lo, v24
	v_lshlrev_b32_e32 v25, 30, v51
	v_mov_b32_e32 v24, v23
	v_cmp_gt_i64_e64 s[18:19], 0, v[24:25]
	v_not_b32_e32 v24, v25
	v_ashrrev_i32_e32 v24, 31, v24
	v_and_b32_e32 v22, exec_hi, v22
	v_xor_b32_e32 v25, s19, v24
	v_xor_b32_e32 v24, s18, v24
	v_and_b32_e32 v22, v22, v25
	v_and_b32_e32 v52, v52, v24
	v_lshlrev_b32_e32 v25, 29, v51
	v_mov_b32_e32 v24, v23
	v_cmp_gt_i64_e64 s[18:19], 0, v[24:25]
	v_not_b32_e32 v24, v25
	v_ashrrev_i32_e32 v24, 31, v24
	v_xor_b32_e32 v25, s19, v24
	v_xor_b32_e32 v24, s18, v24
	v_and_b32_e32 v22, v22, v25
	v_and_b32_e32 v52, v52, v24
	v_lshlrev_b32_e32 v25, 28, v51
	v_mov_b32_e32 v24, v23
	v_cmp_gt_i64_e64 s[18:19], 0, v[24:25]
	v_not_b32_e32 v24, v25
	v_ashrrev_i32_e32 v24, 31, v24
	;; [unrolled: 9-line block ×5, first 2 shown]
	v_xor_b32_e32 v25, s19, v24
	v_xor_b32_e32 v24, s18, v24
	v_and_b32_e32 v22, v22, v25
	v_lshlrev_b32_e32 v25, 24, v51
	v_and_b32_e32 v52, v52, v24
	v_mov_b32_e32 v24, v23
	v_not_b32_e32 v23, v25
	v_cmp_gt_i64_e64 s[18:19], 0, v[24:25]
	v_ashrrev_i32_e32 v23, 31, v23
	ds_read_b32 v49, v40 offset:64
	v_xor_b32_e32 v24, s19, v23
	v_xor_b32_e32 v25, s18, v23
	v_and_b32_e32 v23, v22, v24
	v_and_b32_e32 v22, v52, v25
	v_mbcnt_lo_u32_b32 v24, v22, 0
	v_mbcnt_hi_u32_b32 v51, v23, v24
	v_cmp_eq_u32_e64 s[18:19], 0, v51
	v_cmp_ne_u64_e64 s[20:21], 0, v[22:23]
	s_and_b64 s[20:21], s[20:21], s[18:19]
	; wave barrier
	s_and_saveexec_b64 s[18:19], s[20:21]
	s_cbranch_execz .LBB1234_33
; %bb.32:
	v_bcnt_u32_b32 v22, v22, 0
	v_bcnt_u32_b32 v22, v23, v22
	s_waitcnt lgkmcnt(0)
	v_add_u32_e32 v22, v49, v22
	ds_write_b32 v40, v22 offset:64
.LBB1234_33:
	s_or_b64 exec, exec, s[18:19]
	; wave barrier
	s_waitcnt lgkmcnt(0)
	s_barrier
	ds_read2_b32 v[24:25], v5 offset0:16 offset1:17
	ds_read2_b32 v[22:23], v5 offset0:18 offset1:19
	ds_read_b32 v52, v5 offset:80
	v_cmp_lt_u32_e64 s[28:29], 31, v26
	s_waitcnt lgkmcnt(1)
	v_add3_u32 v53, v25, v24, v22
	s_waitcnt lgkmcnt(0)
	v_add3_u32 v52, v53, v23, v52
	v_and_b32_e32 v53, 15, v26
	v_cmp_eq_u32_e64 s[18:19], 0, v53
	v_mov_b32_dpp v54, v52 row_shr:1 row_mask:0xf bank_mask:0xf
	v_cmp_lt_u32_e64 s[20:21], 1, v53
	v_cndmask_b32_e64 v54, v54, 0, s[18:19]
	v_add_u32_e32 v52, v54, v52
	v_cmp_lt_u32_e64 s[22:23], 3, v53
	v_cmp_lt_u32_e64 s[24:25], 7, v53
	v_mov_b32_dpp v54, v52 row_shr:2 row_mask:0xf bank_mask:0xf
	v_cndmask_b32_e64 v54, 0, v54, s[20:21]
	v_add_u32_e32 v52, v52, v54
	s_nop 1
	v_mov_b32_dpp v54, v52 row_shr:4 row_mask:0xf bank_mask:0xf
	v_cndmask_b32_e64 v54, 0, v54, s[22:23]
	v_add_u32_e32 v52, v52, v54
	s_nop 1
	v_mov_b32_dpp v54, v52 row_shr:8 row_mask:0xf bank_mask:0xf
	v_cndmask_b32_e64 v53, 0, v54, s[24:25]
	v_add_u32_e32 v52, v52, v53
	v_bfe_i32 v54, v26, 4, 1
	s_nop 0
	v_mov_b32_dpp v53, v52 row_bcast:15 row_mask:0xf bank_mask:0xf
	v_and_b32_e32 v53, v54, v53
	v_add_u32_e32 v52, v52, v53
	v_and_b32_e32 v54, 63, v2
	s_nop 0
	v_mov_b32_dpp v53, v52 row_bcast:31 row_mask:0xf bank_mask:0xf
	v_cndmask_b32_e64 v53, 0, v53, s[28:29]
	v_add_u32_e32 v52, v52, v53
	v_lshrrev_b32_e32 v53, 6, v2
	v_cmp_eq_u32_e64 s[28:29], 63, v54
	s_and_saveexec_b64 s[30:31], s[28:29]
; %bb.34:
	v_lshlrev_b32_e32 v54, 2, v53
	ds_write_b32 v54, v52
; %bb.35:
	s_or_b64 exec, exec, s[30:31]
	v_cmp_gt_u32_e64 s[28:29], 16, v2
	s_waitcnt lgkmcnt(0)
	s_barrier
	s_and_saveexec_b64 s[30:31], s[28:29]
	s_cbranch_execz .LBB1234_37
; %bb.36:
	v_lshlrev_b32_e32 v54, 2, v2
	ds_read_b32 v55, v54
	s_waitcnt lgkmcnt(0)
	s_nop 0
	v_mov_b32_dpp v56, v55 row_shr:1 row_mask:0xf bank_mask:0xf
	v_cndmask_b32_e64 v56, v56, 0, s[18:19]
	v_add_u32_e32 v55, v56, v55
	s_nop 1
	v_mov_b32_dpp v56, v55 row_shr:2 row_mask:0xf bank_mask:0xf
	v_cndmask_b32_e64 v56, 0, v56, s[20:21]
	v_add_u32_e32 v55, v55, v56
	;; [unrolled: 4-line block ×4, first 2 shown]
	ds_write_b32 v54, v55
.LBB1234_37:
	s_or_b64 exec, exec, s[30:31]
	v_cmp_lt_u32_e64 s[18:19], 63, v2
	v_mov_b32_e32 v54, 0
	s_waitcnt lgkmcnt(0)
	s_barrier
	s_and_saveexec_b64 s[20:21], s[18:19]
; %bb.38:
	v_lshl_add_u32 v53, v53, 2, -4
	ds_read_b32 v54, v53
; %bb.39:
	s_or_b64 exec, exec, s[20:21]
	v_subrev_co_u32_e64 v53, s[18:19], 1, v26
	v_and_b32_e32 v55, 64, v26
	v_cmp_lt_i32_e64 s[20:21], v53, v55
	s_waitcnt lgkmcnt(0)
	v_add_u32_e32 v52, v54, v52
	s_movk_i32 s22, 0x100
	v_cndmask_b32_e64 v26, v53, v26, s[20:21]
	v_lshlrev_b32_e32 v26, 2, v26
	ds_bpermute_b32 v26, v26, v52
	v_cmp_gt_u32_e64 s[20:21], s22, v2
	s_waitcnt lgkmcnt(0)
	v_cndmask_b32_e64 v26, v26, v54, s[18:19]
	v_cmp_ne_u32_e64 s[18:19], 0, v2
	s_nop 1
	v_cndmask_b32_e64 v26, 0, v26, s[18:19]
	v_add_u32_e32 v24, v26, v24
	v_add_u32_e32 v25, v24, v25
	;; [unrolled: 1-line block ×4, first 2 shown]
	ds_write2_b32 v5, v26, v24 offset0:16 offset1:17
	ds_write2_b32 v5, v25, v22 offset0:18 offset1:19
	ds_write_b32 v5, v23 offset:80
	s_waitcnt lgkmcnt(0)
	s_barrier
	ds_read_b32 v55, v27 offset:64
	ds_read_b32 v5, v34 offset:64
	;; [unrolled: 1-line block ×8, first 2 shown]
	s_movk_i32 s18, 0xff
	v_cmp_lt_u32_e64 s[18:19], s18, v2
                                        ; implicit-def: $vgpr34
                                        ; implicit-def: $vgpr37
	s_and_saveexec_b64 s[24:25], s[20:21]
	s_cbranch_execz .LBB1234_43
; %bb.40:
	v_mul_u32_u24_e32 v22, 0x44, v2
	ds_read_b32 v34, v22 offset:64
	v_add_u32_e32 v23, 1, v2
	v_cmp_ne_u32_e64 s[22:23], s22, v23
	v_mov_b32_e32 v22, 0x2000
	s_and_saveexec_b64 s[28:29], s[22:23]
; %bb.41:
	v_mul_u32_u24_e32 v22, 0x44, v23
	ds_read_b32 v22, v22 offset:64
; %bb.42:
	s_or_b64 exec, exec, s[28:29]
	s_waitcnt lgkmcnt(0)
	v_sub_u32_e32 v37, v22, v34
.LBB1234_43:
	s_or_b64 exec, exec, s[24:25]
	v_mov_b32_e32 v23, 0
	v_lshlrev_b32_e32 v40, 2, v2
	s_waitcnt lgkmcnt(0)
	s_barrier
	s_and_saveexec_b64 s[22:23], s[20:21]
	s_cbranch_execz .LBB1234_53
; %bb.44:
	v_lshl_add_u32 v22, s4, 8, v2
	v_lshl_add_u64 v[24:25], v[22:23], 2, s[38:39]
	v_or_b32_e32 v22, 2.0, v37
	s_mov_b64 s[24:25], 0
	s_brev_b32 s34, -4
	s_mov_b32 s35, s4
	v_mov_b32_e32 v50, 0
	global_store_dword v[24:25], v22, off sc1
                                        ; implicit-def: $sgpr20_sgpr21
	s_branch .LBB1234_47
.LBB1234_45:                            ;   in Loop: Header=BB1234_47 Depth=1
	s_or_b64 exec, exec, s[30:31]
.LBB1234_46:                            ;   in Loop: Header=BB1234_47 Depth=1
	s_or_b64 exec, exec, s[28:29]
	v_and_b32_e32 v26, 0x3fffffff, v22
	v_add_u32_e32 v50, v26, v50
	v_cmp_gt_i32_e64 s[20:21], -2.0, v22
	s_and_b64 s[28:29], exec, s[20:21]
	s_or_b64 s[24:25], s[28:29], s[24:25]
	s_andn2_b64 exec, exec, s[24:25]
	s_cbranch_execz .LBB1234_52
.LBB1234_47:                            ; =>This Loop Header: Depth=1
                                        ;     Child Loop BB1234_50 Depth 2
	s_or_b64 s[20:21], s[20:21], exec
	s_cmp_eq_u32 s35, 0
	s_cbranch_scc1 .LBB1234_51
; %bb.48:                               ;   in Loop: Header=BB1234_47 Depth=1
	s_add_i32 s35, s35, -1
	v_lshl_or_b32 v22, s35, 8, v2
	v_lshl_add_u64 v[26:27], v[22:23], 2, s[38:39]
	global_load_dword v22, v[26:27], off sc1
	s_waitcnt vmcnt(0)
	v_cmp_gt_u32_e64 s[20:21], 2.0, v22
	s_and_saveexec_b64 s[28:29], s[20:21]
	s_cbranch_execz .LBB1234_46
; %bb.49:                               ;   in Loop: Header=BB1234_47 Depth=1
	s_mov_b64 s[30:31], 0
.LBB1234_50:                            ;   Parent Loop BB1234_47 Depth=1
                                        ; =>  This Inner Loop Header: Depth=2
	global_load_dword v22, v[26:27], off sc1
	s_waitcnt vmcnt(0)
	v_cmp_lt_u32_e64 s[20:21], s34, v22
	s_or_b64 s[30:31], s[20:21], s[30:31]
	s_andn2_b64 exec, exec, s[30:31]
	s_cbranch_execnz .LBB1234_50
	s_branch .LBB1234_45
.LBB1234_51:                            ;   in Loop: Header=BB1234_47 Depth=1
                                        ; implicit-def: $sgpr35
	s_and_b64 s[28:29], exec, s[20:21]
	s_or_b64 s[24:25], s[28:29], s[24:25]
	s_andn2_b64 exec, exec, s[24:25]
	s_cbranch_execnz .LBB1234_47
.LBB1234_52:
	s_or_b64 exec, exec, s[24:25]
	v_add_u32_e32 v22, v50, v37
	v_or_b32_e32 v22, 0x80000000, v22
	global_store_dword v[24:25], v22, off sc1
	global_load_dword v22, v40, s[48:49]
	v_sub_u32_e32 v23, v50, v34
	s_waitcnt vmcnt(0)
	v_add_u32_e32 v22, v23, v22
	ds_write_b32 v40, v22
.LBB1234_53:
	s_or_b64 exec, exec, s[22:23]
	s_load_dwordx2 s[20:21], s[0:1], 0x4
	v_add_u32_e32 v24, v55, v31
	v_add3_u32 v22, v32, v1, v5
	v_add3_u32 v23, v35, v33, v52
	v_add3_u32 v50, v38, v36, v53
	s_waitcnt lgkmcnt(0)
	s_lshr_b32 s0, s20, 16
	s_mul_i32 s0, s0, s21
	v_mul_lo_u32 v25, s0, v2
	v_mul_u32_u24_e32 v27, s21, v3
	v_add3_u32 v25, v25, v27, v28
	v_mov_b32_e32 v27, 0x5050
	v_add3_u32 v55, v42, v39, v54
	v_add3_u32 v56, v45, v43, v47
	;; [unrolled: 1-line block ×4, first 2 shown]
	v_lshl_add_u32 v25, v25, 5, v27
	v_mov_b32_e32 v57, 0x400
	s_movk_i32 s22, 0x400
	v_lshl_add_u32 v26, v26, 3, v57
	v_add3_u32 v27, v51, v44, v49
	v_lshl_add_u32 v31, v31, 3, v57
	v_add3_u32 v41, v48, v41, v46
	;; [unrolled: 2-line block ×7, first 2 shown]
	v_lshl_add_u32 v46, v24, 3, v57
	s_mov_b32 s23, 0
	s_movk_i32 s24, 0x800
	v_add_u32_e32 v47, v40, v40
	v_mov_b32_e32 v23, 0
	v_mov_b32_e32 v1, v2
	;; [unrolled: 1-line block ×3, first 2 shown]
	s_mov_b32 s25, 0
	s_branch .LBB1234_55
.LBB1234_54:                            ;   in Loop: Header=BB1234_55 Depth=1
	s_or_b64 exec, exec, s[20:21]
	s_addk_i32 s25, 0xc000
	s_addk_i32 s23, 0xf800
	v_add_u32_e32 v5, 8, v5
	s_cmp_eq_u32 s25, 0xffff0000
	v_add_u32_e32 v1, 0x800, v1
	s_waitcnt lgkmcnt(0)
	s_barrier
	s_cbranch_scc1 .LBB1234_75
.LBB1234_55:                            ; =>This Inner Loop Header: Depth=1
	v_add_u32_e32 v22, s23, v24
	v_cmp_gt_u32_e64 s[0:1], s24, v22
	s_and_saveexec_b64 s[20:21], s[0:1]
; %bb.56:                               ;   in Loop: Header=BB1234_55 Depth=1
	v_add_u32_e32 v22, s25, v46
	ds_write_b64 v22, v[8:9]
; %bb.57:                               ;   in Loop: Header=BB1234_55 Depth=1
	s_or_b64 exec, exec, s[20:21]
	v_add_u32_e32 v22, s23, v32
	v_cmp_gt_u32_e64 s[0:1], s24, v22
	s_and_saveexec_b64 s[20:21], s[0:1]
; %bb.58:                               ;   in Loop: Header=BB1234_55 Depth=1
	v_add_u32_e32 v22, s25, v35
	ds_write_b64 v22, v[6:7]
; %bb.59:                               ;   in Loop: Header=BB1234_55 Depth=1
	s_or_b64 exec, exec, s[20:21]
	;; [unrolled: 8-line block ×8, first 2 shown]
	v_cmp_gt_u32_e64 s[0:1], s5, v1
	s_waitcnt lgkmcnt(0)
	s_barrier
	s_and_saveexec_b64 s[20:21], s[0:1]
	s_cbranch_execz .LBB1234_73
; %bb.72:                               ;   in Loop: Header=BB1234_55 Depth=1
	ds_read_b64 v[48:49], v47 offset:1024
	s_waitcnt lgkmcnt(0)
	v_lshrrev_b64 v[50:51], s52, v[48:49]
	v_and_b32_e32 v52, s56, v50
	v_lshlrev_b32_e32 v22, 2, v52
	ds_read_b32 v22, v22
	v_xor_b32_e32 v49, 0x80000000, v49
	ds_write_b32 v5, v52
	s_waitcnt lgkmcnt(1)
	v_add_u32_e32 v22, v1, v22
	v_lshl_add_u64 v[50:51], v[22:23], 3, s[42:43]
	global_store_dwordx2 v[50:51], v[48:49], off
.LBB1234_73:                            ;   in Loop: Header=BB1234_55 Depth=1
	s_or_b64 exec, exec, s[20:21]
	v_add_u32_e32 v22, 0x400, v1
	v_cmp_gt_u32_e64 s[0:1], s5, v22
	s_and_saveexec_b64 s[20:21], s[0:1]
	s_cbranch_execz .LBB1234_54
; %bb.74:                               ;   in Loop: Header=BB1234_55 Depth=1
	ds_read_b64 v[48:49], v47 offset:9216
	s_waitcnt lgkmcnt(0)
	v_lshrrev_b64 v[50:51], s52, v[48:49]
	v_and_b32_e32 v52, s56, v50
	v_lshlrev_b32_e32 v22, 2, v52
	ds_read_b32 v22, v22
	v_xor_b32_e32 v49, 0x80000000, v49
	ds_write_b32 v5, v52 offset:4
	s_waitcnt lgkmcnt(1)
	v_add3_u32 v22, v1, v22, s22
	v_lshl_add_u64 v[50:51], v[22:23], 3, s[42:43]
	global_store_dwordx2 v[50:51], v[48:49], off
	s_branch .LBB1234_54
.LBB1234_75:
	s_add_u32 s0, s44, s54
	s_addc_u32 s1, s45, s55
	v_mov_b32_e32 v1, 0
	v_lshl_add_u64 v[6:7], s[0:1], 0, v[0:1]
	v_mov_b32_e32 v5, v1
	v_lshl_add_u64 v[18:19], v[6:7], 0, v[4:5]
                                        ; implicit-def: $vgpr0_vgpr1
	s_and_saveexec_b64 s[0:1], vcc
	s_cbranch_execz .LBB1234_83
; %bb.76:
	global_load_dwordx2 v[0:1], v[18:19], off
	s_or_b64 exec, exec, s[0:1]
                                        ; implicit-def: $vgpr4_vgpr5
	s_and_saveexec_b64 s[0:1], s[16:17]
	s_cbranch_execnz .LBB1234_84
.LBB1234_77:
	s_or_b64 exec, exec, s[0:1]
                                        ; implicit-def: $vgpr6_vgpr7
	s_and_saveexec_b64 s[0:1], s[26:27]
	s_cbranch_execz .LBB1234_85
.LBB1234_78:
	global_load_dwordx2 v[6:7], v[18:19], off offset:1024
	s_or_b64 exec, exec, s[0:1]
                                        ; implicit-def: $vgpr8_vgpr9
	s_and_saveexec_b64 s[0:1], s[6:7]
	s_cbranch_execnz .LBB1234_86
.LBB1234_79:
	s_or_b64 exec, exec, s[0:1]
                                        ; implicit-def: $vgpr10_vgpr11
	s_and_saveexec_b64 s[0:1], s[8:9]
	s_cbranch_execz .LBB1234_87
.LBB1234_80:
	global_load_dwordx2 v[10:11], v[18:19], off offset:2048
	s_or_b64 exec, exec, s[0:1]
                                        ; implicit-def: $vgpr12_vgpr13
	s_and_saveexec_b64 s[0:1], s[10:11]
	s_cbranch_execnz .LBB1234_88
.LBB1234_81:
	s_or_b64 exec, exec, s[0:1]
                                        ; implicit-def: $vgpr14_vgpr15
	s_and_saveexec_b64 s[0:1], s[12:13]
	s_cbranch_execz .LBB1234_89
.LBB1234_82:
	global_load_dwordx2 v[14:15], v[18:19], off offset:3072
	s_or_b64 exec, exec, s[0:1]
                                        ; implicit-def: $vgpr16_vgpr17
	s_and_saveexec_b64 s[0:1], s[14:15]
	s_cbranch_execnz .LBB1234_90
	s_branch .LBB1234_91
.LBB1234_83:
	s_or_b64 exec, exec, s[0:1]
                                        ; implicit-def: $vgpr4_vgpr5
	s_and_saveexec_b64 s[0:1], s[16:17]
	s_cbranch_execz .LBB1234_77
.LBB1234_84:
	global_load_dwordx2 v[4:5], v[18:19], off offset:512
	s_or_b64 exec, exec, s[0:1]
                                        ; implicit-def: $vgpr6_vgpr7
	s_and_saveexec_b64 s[0:1], s[26:27]
	s_cbranch_execnz .LBB1234_78
.LBB1234_85:
	s_or_b64 exec, exec, s[0:1]
                                        ; implicit-def: $vgpr8_vgpr9
	s_and_saveexec_b64 s[0:1], s[6:7]
	s_cbranch_execz .LBB1234_79
.LBB1234_86:
	global_load_dwordx2 v[8:9], v[18:19], off offset:1536
	s_or_b64 exec, exec, s[0:1]
                                        ; implicit-def: $vgpr10_vgpr11
	s_and_saveexec_b64 s[0:1], s[8:9]
	s_cbranch_execnz .LBB1234_80
.LBB1234_87:
	s_or_b64 exec, exec, s[0:1]
                                        ; implicit-def: $vgpr12_vgpr13
	s_and_saveexec_b64 s[0:1], s[10:11]
	s_cbranch_execz .LBB1234_81
.LBB1234_88:
	global_load_dwordx2 v[12:13], v[18:19], off offset:2560
	s_or_b64 exec, exec, s[0:1]
                                        ; implicit-def: $vgpr14_vgpr15
	s_and_saveexec_b64 s[0:1], s[12:13]
	s_cbranch_execnz .LBB1234_82
.LBB1234_89:
	s_or_b64 exec, exec, s[0:1]
                                        ; implicit-def: $vgpr16_vgpr17
	s_and_saveexec_b64 s[0:1], s[14:15]
	s_cbranch_execz .LBB1234_91
.LBB1234_90:
	global_load_dwordx2 v[16:17], v[18:19], off offset:3584
.LBB1234_91:
	s_or_b64 exec, exec, s[0:1]
	s_mov_b32 s6, 0
	s_movk_i32 s7, 0x800
	v_mov_b32_e32 v19, 0
	s_movk_i32 s8, 0x400
	s_mov_b32 s9, 0
	v_mov_b32_e32 v20, v2
	s_waitcnt vmcnt(0)
	s_branch .LBB1234_93
.LBB1234_92:                            ;   in Loop: Header=BB1234_93 Depth=1
	s_or_b64 exec, exec, s[0:1]
	s_addk_i32 s9, 0xc000
	s_addk_i32 s6, 0xf800
	v_add_u32_e32 v20, 0x800, v20
	s_cmp_eq_u32 s9, 0xffff0000
	v_add_u32_e32 v25, 8, v25
	s_barrier
	s_cbranch_scc1 .LBB1234_113
.LBB1234_93:                            ; =>This Inner Loop Header: Depth=1
	v_add_u32_e32 v18, s6, v24
	v_cmp_gt_u32_e32 vcc, s7, v18
	s_and_saveexec_b64 s[0:1], vcc
; %bb.94:                               ;   in Loop: Header=BB1234_93 Depth=1
	v_add_u32_e32 v18, s9, v46
	ds_write_b64 v18, v[0:1]
; %bb.95:                               ;   in Loop: Header=BB1234_93 Depth=1
	s_or_b64 exec, exec, s[0:1]
	v_add_u32_e32 v18, s6, v32
	v_cmp_gt_u32_e32 vcc, s7, v18
	s_and_saveexec_b64 s[0:1], vcc
; %bb.96:                               ;   in Loop: Header=BB1234_93 Depth=1
	v_add_u32_e32 v18, s9, v35
	ds_write_b64 v18, v[4:5]
; %bb.97:                               ;   in Loop: Header=BB1234_93 Depth=1
	s_or_b64 exec, exec, s[0:1]
	;; [unrolled: 8-line block ×3, first 2 shown]
	v_add_u32_e32 v18, s6, v36
	v_cmp_gt_u32_e32 vcc, s7, v18
	s_and_saveexec_b64 s[0:1], vcc
; %bb.100:                              ;   in Loop: Header=BB1234_93 Depth=1
	v_add_u32_e32 v18, s9, v42
	ds_write_b64 v18, v[8:9]
; %bb.101:                              ;   in Loop: Header=BB1234_93 Depth=1
	s_or_b64 exec, exec, s[0:1]
	v_add_u32_e32 v18, s6, v39
	v_cmp_gt_u32_e32 vcc, s7, v18
	s_and_saveexec_b64 s[0:1], vcc
; %bb.102:                              ;   in Loop: Header=BB1234_93 Depth=1
	v_add_u32_e32 v18, s9, v45
	ds_write_b64 v18, v[10:11]
; %bb.103:                              ;   in Loop: Header=BB1234_93 Depth=1
	s_or_b64 exec, exec, s[0:1]
	;; [unrolled: 8-line block ×5, first 2 shown]
	v_cmp_gt_u32_e32 vcc, s5, v20
	s_waitcnt lgkmcnt(0)
	s_barrier
	s_and_saveexec_b64 s[0:1], vcc
	s_cbranch_execz .LBB1234_111
; %bb.110:                              ;   in Loop: Header=BB1234_93 Depth=1
	ds_read_b32 v18, v25
	s_waitcnt lgkmcnt(0)
	v_lshlrev_b32_e32 v18, 2, v18
	ds_read_b32 v18, v18
	ds_read_b64 v[22:23], v47 offset:1024
	s_waitcnt lgkmcnt(1)
	v_add_u32_e32 v18, v20, v18
	v_lshl_add_u64 v[48:49], v[18:19], 3, s[46:47]
	s_waitcnt lgkmcnt(0)
	global_store_dwordx2 v[48:49], v[22:23], off
.LBB1234_111:                           ;   in Loop: Header=BB1234_93 Depth=1
	s_or_b64 exec, exec, s[0:1]
	v_add_u32_e32 v18, 0x400, v20
	v_cmp_gt_u32_e32 vcc, s5, v18
	s_and_saveexec_b64 s[0:1], vcc
	s_cbranch_execz .LBB1234_92
; %bb.112:                              ;   in Loop: Header=BB1234_93 Depth=1
	ds_read_b32 v18, v25 offset:4
	s_waitcnt lgkmcnt(0)
	v_lshlrev_b32_e32 v18, 2, v18
	ds_read_b32 v18, v18
	ds_read_b64 v[22:23], v47 offset:9216
	s_waitcnt lgkmcnt(1)
	v_add3_u32 v18, v20, v18, s8
	v_lshl_add_u64 v[48:49], v[18:19], 3, s[46:47]
	s_waitcnt lgkmcnt(0)
	global_store_dwordx2 v[48:49], v[22:23], off
	s_branch .LBB1234_92
.LBB1234_113:
	s_add_i32 s33, s33, -1
	s_cmp_eq_u32 s4, s33
	s_cselect_b64 s[0:1], -1, 0
	s_xor_b64 s[6:7], s[18:19], -1
	s_and_b64 s[6:7], s[6:7], s[0:1]
	s_and_saveexec_b64 s[0:1], s[6:7]
	s_cbranch_execz .LBB1234_115
; %bb.114:
	ds_read_b32 v0, v40
	s_waitcnt lgkmcnt(0)
	v_add3_u32 v0, v34, v37, v0
	global_store_dword v40, v0, s[50:51]
.LBB1234_115:
	s_or_b64 exec, exec, s[0:1]
	s_mov_b64 s[6:7], 0
.LBB1234_116:
	s_and_b64 vcc, exec, s[6:7]
	s_cbranch_vccz .LBB1234_191
; %bb.117:
	s_lshl_b32 s0, s4, 13
	s_mov_b32 s1, 0
	s_lshl_b64 s[10:11], s[0:1], 3
	v_mbcnt_hi_u32_b32 v26, -1, v30
	s_add_u32 s0, s40, s10
	v_and_b32_e32 v0, 63, v26
	v_mov_b32_e32 v23, 0
	s_addc_u32 s1, s41, s11
	v_and_b32_e32 v4, 0x1e00, v29
	v_lshlrev_b32_e32 v0, 3, v0
	v_mov_b32_e32 v1, v23
	v_lshl_add_u64 v[6:7], s[0:1], 0, v[0:1]
	v_lshlrev_b32_e32 v4, 3, v4
	v_mov_b32_e32 v5, v23
	v_lshl_add_u64 v[24:25], v[6:7], 0, v[4:5]
	global_load_dwordx2 v[6:7], v[24:25], off
	s_load_dword s0, s[2:3], 0x64
	s_load_dword s5, s[2:3], 0x58
	s_add_u32 s1, s2, 0x58
	s_addc_u32 s2, s3, 0
	v_mul_u32_u24_e32 v1, 20, v2
	s_waitcnt lgkmcnt(0)
	s_lshr_b32 s3, s0, 16
	s_cmp_lt_u32 s4, s5
	s_cselect_b32 s0, 12, 18
	s_add_u32 s0, s1, s0
	s_addc_u32 s1, s2, 0
	global_load_ushort v5, v23, s[0:1]
	ds_write2_b32 v1, v23, v23 offset0:16 offset1:17
	ds_write2_b32 v1, v23, v23 offset0:18 offset1:19
	ds_write_b32 v1, v23 offset:80
	global_load_dwordx2 v[8:9], v[24:25], off offset:512
	global_load_dwordx2 v[10:11], v[24:25], off offset:1024
	;; [unrolled: 1-line block ×7, first 2 shown]
	s_lshl_b32 s0, -1, s53
	v_mad_u32_u24 v3, v28, s3, v3
	v_mov_b32_e32 v30, v23
	s_not_b32 s14, s0
	v_mov_b32_e32 v32, v23
	v_mov_b32_e32 v34, v23
	;; [unrolled: 1-line block ×4, first 2 shown]
	s_movk_i32 s12, 0x44
	s_waitcnt lgkmcnt(0)
	s_barrier
	s_waitcnt vmcnt(8)
	; wave barrier
	v_xor_b32_e32 v7, 0x80000000, v7
	v_lshrrev_b64 v[24:25], s52, v[6:7]
	v_bitop3_b32 v40, v24, s0, v24 bitop3:0x30
	v_and_b32_e32 v22, 1, v40
	v_lshlrev_b32_e32 v31, 30, v40
	v_lshlrev_b32_e32 v33, 29, v40
	v_lshl_add_u64 v[28:29], v[22:23], 0, -1
	v_cmp_ne_u32_e32 vcc, 0, v22
	v_lshlrev_b32_e32 v35, 28, v40
	v_cmp_gt_i64_e64 s[2:3], 0, v[32:33]
	s_waitcnt vmcnt(7)
	v_mad_u64_u32 v[24:25], s[0:1], v3, v5, v[2:3]
	v_not_b32_e32 v3, v31
	v_cmp_gt_i64_e64 s[0:1], 0, v[30:31]
	v_not_b32_e32 v5, v33
	v_xor_b32_e32 v28, vcc_lo, v28
	v_ashrrev_i32_e32 v3, 31, v3
	v_cmp_gt_i64_e64 s[6:7], 0, v[34:35]
	v_not_b32_e32 v22, v35
	v_lshrrev_b32_e32 v34, 6, v24
	v_xor_b32_e32 v24, vcc_hi, v29
	v_ashrrev_i32_e32 v5, 31, v5
	v_and_b32_e32 v28, exec_lo, v28
	v_xor_b32_e32 v29, s1, v3
	v_xor_b32_e32 v3, s0, v3
	v_lshlrev_b32_e32 v37, 27, v40
	v_ashrrev_i32_e32 v22, 31, v22
	v_and_b32_e32 v24, exec_hi, v24
	v_xor_b32_e32 v30, s3, v5
	v_xor_b32_e32 v5, s2, v5
	v_and_b32_e32 v3, v28, v3
	v_lshlrev_b32_e32 v39, 26, v40
	v_not_b32_e32 v25, v37
	v_xor_b32_e32 v31, s7, v22
	v_xor_b32_e32 v22, s6, v22
	v_and_b32_e32 v24, v24, v29
	v_and_b32_e32 v3, v3, v5
	v_cmp_gt_i64_e64 s[8:9], 0, v[36:37]
	v_ashrrev_i32_e32 v25, 31, v25
	v_and_b32_e32 v24, v24, v30
	v_and_b32_e32 v3, v3, v22
	v_not_b32_e32 v22, v39
	v_xor_b32_e32 v32, s9, v25
	v_xor_b32_e32 v25, s8, v25
	v_and_b32_e32 v5, v24, v31
	v_cmp_gt_i64_e32 vcc, 0, v[38:39]
	v_ashrrev_i32_e32 v22, 31, v22
	v_and_b32_e32 v5, v5, v32
	v_and_b32_e32 v3, v3, v25
	v_xor_b32_e32 v24, vcc_hi, v22
	v_xor_b32_e32 v22, vcc_lo, v22
	v_lshlrev_b32_e32 v25, 25, v40
	v_and_b32_e32 v5, v5, v24
	v_and_b32_e32 v3, v3, v22
	v_mov_b32_e32 v24, v23
	v_not_b32_e32 v22, v25
	v_cmp_gt_i64_e32 vcc, 0, v[24:25]
	v_ashrrev_i32_e32 v22, 31, v22
	v_lshlrev_b32_e32 v25, 24, v40
	v_xor_b32_e32 v24, vcc_hi, v22
	v_xor_b32_e32 v22, vcc_lo, v22
	v_and_b32_e32 v5, v5, v24
	v_and_b32_e32 v3, v3, v22
	v_mov_b32_e32 v24, v23
	v_not_b32_e32 v22, v25
	v_cmp_gt_i64_e32 vcc, 0, v[24:25]
	v_ashrrev_i32_e32 v22, 31, v22
	v_mul_lo_u32 v27, v40, s12
	v_xor_b32_e32 v24, vcc_hi, v22
	v_xor_b32_e32 v22, vcc_lo, v22
	v_and_b32_e32 v25, v5, v24
	v_and_b32_e32 v24, v3, v22
	v_mbcnt_lo_u32_b32 v3, v24, 0
	v_mbcnt_hi_u32_b32 v5, v25, v3
	v_cmp_eq_u32_e32 vcc, 0, v5
	v_cmp_ne_u64_e64 s[0:1], 0, v[24:25]
	v_lshl_add_u32 v27, v34, 2, v27
	s_and_b64 s[2:3], s[0:1], vcc
	s_and_saveexec_b64 s[0:1], s[2:3]
; %bb.118:
	v_bcnt_u32_b32 v3, v24, 0
	v_bcnt_u32_b32 v3, v25, v3
	ds_write_b32 v27, v3 offset:64
; %bb.119:
	s_or_b64 exec, exec, s[0:1]
	s_waitcnt vmcnt(6)
	v_xor_b32_e32 v9, 0x80000000, v9
	v_lshrrev_b64 v[24:25], s52, v[8:9]
	v_and_b32_e32 v28, s14, v24
	v_and_b32_e32 v22, 1, v28
	v_lshl_add_u64 v[24:25], v[22:23], 0, -1
	v_cmp_ne_u32_e32 vcc, 0, v22
	v_mul_lo_u32 v3, v28, s12
	v_lshl_add_u32 v30, v34, 2, v3
	v_xor_b32_e32 v24, vcc_lo, v24
	v_xor_b32_e32 v22, vcc_hi, v25
	v_and_b32_e32 v29, exec_lo, v24
	v_lshlrev_b32_e32 v25, 30, v28
	v_mov_b32_e32 v24, v23
	v_cmp_gt_i64_e32 vcc, 0, v[24:25]
	v_not_b32_e32 v24, v25
	v_ashrrev_i32_e32 v24, 31, v24
	v_and_b32_e32 v22, exec_hi, v22
	v_xor_b32_e32 v25, vcc_hi, v24
	v_xor_b32_e32 v24, vcc_lo, v24
	v_and_b32_e32 v22, v22, v25
	v_and_b32_e32 v29, v29, v24
	v_lshlrev_b32_e32 v25, 29, v28
	v_mov_b32_e32 v24, v23
	v_cmp_gt_i64_e32 vcc, 0, v[24:25]
	v_not_b32_e32 v24, v25
	v_ashrrev_i32_e32 v24, 31, v24
	v_xor_b32_e32 v25, vcc_hi, v24
	v_xor_b32_e32 v24, vcc_lo, v24
	v_and_b32_e32 v22, v22, v25
	v_and_b32_e32 v29, v29, v24
	v_lshlrev_b32_e32 v25, 28, v28
	v_mov_b32_e32 v24, v23
	v_cmp_gt_i64_e32 vcc, 0, v[24:25]
	v_not_b32_e32 v24, v25
	v_ashrrev_i32_e32 v24, 31, v24
	;; [unrolled: 9-line block ×5, first 2 shown]
	v_xor_b32_e32 v25, vcc_hi, v24
	v_xor_b32_e32 v24, vcc_lo, v24
	v_and_b32_e32 v22, v22, v25
	v_lshlrev_b32_e32 v25, 24, v28
	v_and_b32_e32 v29, v29, v24
	v_mov_b32_e32 v24, v23
	v_not_b32_e32 v23, v25
	v_cmp_gt_i64_e32 vcc, 0, v[24:25]
	v_ashrrev_i32_e32 v23, 31, v23
	s_nop 0
	v_xor_b32_e32 v24, vcc_hi, v23
	v_xor_b32_e32 v25, vcc_lo, v23
	; wave barrier
	ds_read_b32 v3, v30 offset:64
	v_and_b32_e32 v23, v22, v24
	v_and_b32_e32 v22, v29, v25
	v_mbcnt_lo_u32_b32 v24, v22, 0
	v_mbcnt_hi_u32_b32 v28, v23, v24
	v_cmp_eq_u32_e32 vcc, 0, v28
	v_cmp_ne_u64_e64 s[0:1], 0, v[22:23]
	s_and_b64 s[2:3], s[0:1], vcc
	; wave barrier
	s_and_saveexec_b64 s[0:1], s[2:3]
	s_cbranch_execz .LBB1234_121
; %bb.120:
	v_bcnt_u32_b32 v22, v22, 0
	v_bcnt_u32_b32 v22, v23, v22
	s_waitcnt lgkmcnt(0)
	v_add_u32_e32 v22, v3, v22
	ds_write_b32 v30, v22 offset:64
.LBB1234_121:
	s_or_b64 exec, exec, s[0:1]
	s_waitcnt vmcnt(5)
	v_xor_b32_e32 v11, 0x80000000, v11
	v_lshrrev_b64 v[22:23], s52, v[10:11]
	v_and_b32_e32 v31, s14, v22
	s_movk_i32 s2, 0x44
	v_mul_lo_u32 v22, v31, s2
	v_lshl_add_u32 v33, v34, 2, v22
	v_and_b32_e32 v22, 1, v31
	v_mov_b32_e32 v23, 0
	v_lshl_add_u64 v[24:25], v[22:23], 0, -1
	v_cmp_ne_u32_e32 vcc, 0, v22
	; wave barrier
	s_nop 1
	v_xor_b32_e32 v24, vcc_lo, v24
	v_xor_b32_e32 v22, vcc_hi, v25
	v_and_b32_e32 v32, exec_lo, v24
	v_lshlrev_b32_e32 v25, 30, v31
	v_mov_b32_e32 v24, v23
	v_cmp_gt_i64_e32 vcc, 0, v[24:25]
	v_not_b32_e32 v24, v25
	v_ashrrev_i32_e32 v24, 31, v24
	v_and_b32_e32 v22, exec_hi, v22
	v_xor_b32_e32 v25, vcc_hi, v24
	v_xor_b32_e32 v24, vcc_lo, v24
	v_and_b32_e32 v22, v22, v25
	v_and_b32_e32 v32, v32, v24
	v_lshlrev_b32_e32 v25, 29, v31
	v_mov_b32_e32 v24, v23
	v_cmp_gt_i64_e32 vcc, 0, v[24:25]
	v_not_b32_e32 v24, v25
	v_ashrrev_i32_e32 v24, 31, v24
	v_xor_b32_e32 v25, vcc_hi, v24
	v_xor_b32_e32 v24, vcc_lo, v24
	v_and_b32_e32 v22, v22, v25
	v_and_b32_e32 v32, v32, v24
	v_lshlrev_b32_e32 v25, 28, v31
	v_mov_b32_e32 v24, v23
	v_cmp_gt_i64_e32 vcc, 0, v[24:25]
	v_not_b32_e32 v24, v25
	v_ashrrev_i32_e32 v24, 31, v24
	;; [unrolled: 9-line block ×6, first 2 shown]
	v_xor_b32_e32 v25, vcc_hi, v24
	v_xor_b32_e32 v24, vcc_lo, v24
	ds_read_b32 v29, v33 offset:64
	v_and_b32_e32 v24, v32, v24
	v_and_b32_e32 v25, v22, v25
	v_mbcnt_lo_u32_b32 v22, v24, 0
	v_mbcnt_hi_u32_b32 v31, v25, v22
	v_cmp_eq_u32_e32 vcc, 0, v31
	v_cmp_ne_u64_e64 s[0:1], 0, v[24:25]
	s_and_b64 s[6:7], s[0:1], vcc
	; wave barrier
	s_and_saveexec_b64 s[0:1], s[6:7]
	s_cbranch_execz .LBB1234_123
; %bb.122:
	v_bcnt_u32_b32 v22, v24, 0
	v_bcnt_u32_b32 v22, v25, v22
	s_waitcnt lgkmcnt(0)
	v_add_u32_e32 v22, v29, v22
	ds_write_b32 v33, v22 offset:64
.LBB1234_123:
	s_or_b64 exec, exec, s[0:1]
	s_waitcnt vmcnt(4)
	v_xor_b32_e32 v13, 0x80000000, v13
	v_lshrrev_b64 v[24:25], s52, v[12:13]
	v_and_b32_e32 v35, s14, v24
	v_mul_lo_u32 v22, v35, s2
	v_lshl_add_u32 v37, v34, 2, v22
	v_and_b32_e32 v22, 1, v35
	v_lshl_add_u64 v[24:25], v[22:23], 0, -1
	v_cmp_ne_u32_e32 vcc, 0, v22
	; wave barrier
	s_nop 1
	v_xor_b32_e32 v24, vcc_lo, v24
	v_xor_b32_e32 v22, vcc_hi, v25
	v_and_b32_e32 v36, exec_lo, v24
	v_lshlrev_b32_e32 v25, 30, v35
	v_mov_b32_e32 v24, v23
	v_cmp_gt_i64_e32 vcc, 0, v[24:25]
	v_not_b32_e32 v24, v25
	v_ashrrev_i32_e32 v24, 31, v24
	v_and_b32_e32 v22, exec_hi, v22
	v_xor_b32_e32 v25, vcc_hi, v24
	v_xor_b32_e32 v24, vcc_lo, v24
	v_and_b32_e32 v22, v22, v25
	v_and_b32_e32 v36, v36, v24
	v_lshlrev_b32_e32 v25, 29, v35
	v_mov_b32_e32 v24, v23
	v_cmp_gt_i64_e32 vcc, 0, v[24:25]
	v_not_b32_e32 v24, v25
	v_ashrrev_i32_e32 v24, 31, v24
	v_xor_b32_e32 v25, vcc_hi, v24
	v_xor_b32_e32 v24, vcc_lo, v24
	v_and_b32_e32 v22, v22, v25
	v_and_b32_e32 v36, v36, v24
	v_lshlrev_b32_e32 v25, 28, v35
	v_mov_b32_e32 v24, v23
	v_cmp_gt_i64_e32 vcc, 0, v[24:25]
	v_not_b32_e32 v24, v25
	v_ashrrev_i32_e32 v24, 31, v24
	;; [unrolled: 9-line block ×5, first 2 shown]
	v_xor_b32_e32 v25, vcc_hi, v24
	v_xor_b32_e32 v24, vcc_lo, v24
	v_and_b32_e32 v22, v22, v25
	v_lshlrev_b32_e32 v25, 24, v35
	v_and_b32_e32 v36, v36, v24
	v_mov_b32_e32 v24, v23
	v_not_b32_e32 v23, v25
	v_cmp_gt_i64_e32 vcc, 0, v[24:25]
	v_ashrrev_i32_e32 v23, 31, v23
	ds_read_b32 v32, v37 offset:64
	v_xor_b32_e32 v24, vcc_hi, v23
	v_xor_b32_e32 v25, vcc_lo, v23
	v_and_b32_e32 v23, v22, v24
	v_and_b32_e32 v22, v36, v25
	v_mbcnt_lo_u32_b32 v24, v22, 0
	v_mbcnt_hi_u32_b32 v35, v23, v24
	v_cmp_eq_u32_e32 vcc, 0, v35
	v_cmp_ne_u64_e64 s[0:1], 0, v[22:23]
	s_and_b64 s[2:3], s[0:1], vcc
	; wave barrier
	s_and_saveexec_b64 s[0:1], s[2:3]
	s_cbranch_execz .LBB1234_125
; %bb.124:
	v_bcnt_u32_b32 v22, v22, 0
	v_bcnt_u32_b32 v22, v23, v22
	s_waitcnt lgkmcnt(0)
	v_add_u32_e32 v22, v32, v22
	ds_write_b32 v37, v22 offset:64
.LBB1234_125:
	s_or_b64 exec, exec, s[0:1]
	s_waitcnt vmcnt(3)
	v_xor_b32_e32 v15, 0x80000000, v15
	v_lshrrev_b64 v[22:23], s52, v[14:15]
	v_and_b32_e32 v38, s14, v22
	s_movk_i32 s2, 0x44
	v_mul_lo_u32 v22, v38, s2
	v_lshl_add_u32 v40, v34, 2, v22
	v_and_b32_e32 v22, 1, v38
	v_mov_b32_e32 v23, 0
	v_lshl_add_u64 v[24:25], v[22:23], 0, -1
	v_cmp_ne_u32_e32 vcc, 0, v22
	; wave barrier
	s_nop 1
	v_xor_b32_e32 v24, vcc_lo, v24
	v_xor_b32_e32 v22, vcc_hi, v25
	v_and_b32_e32 v39, exec_lo, v24
	v_lshlrev_b32_e32 v25, 30, v38
	v_mov_b32_e32 v24, v23
	v_cmp_gt_i64_e32 vcc, 0, v[24:25]
	v_not_b32_e32 v24, v25
	v_ashrrev_i32_e32 v24, 31, v24
	v_and_b32_e32 v22, exec_hi, v22
	v_xor_b32_e32 v25, vcc_hi, v24
	v_xor_b32_e32 v24, vcc_lo, v24
	v_and_b32_e32 v22, v22, v25
	v_and_b32_e32 v39, v39, v24
	v_lshlrev_b32_e32 v25, 29, v38
	v_mov_b32_e32 v24, v23
	v_cmp_gt_i64_e32 vcc, 0, v[24:25]
	v_not_b32_e32 v24, v25
	v_ashrrev_i32_e32 v24, 31, v24
	v_xor_b32_e32 v25, vcc_hi, v24
	v_xor_b32_e32 v24, vcc_lo, v24
	v_and_b32_e32 v22, v22, v25
	v_and_b32_e32 v39, v39, v24
	v_lshlrev_b32_e32 v25, 28, v38
	v_mov_b32_e32 v24, v23
	v_cmp_gt_i64_e32 vcc, 0, v[24:25]
	v_not_b32_e32 v24, v25
	v_ashrrev_i32_e32 v24, 31, v24
	;; [unrolled: 9-line block ×6, first 2 shown]
	v_xor_b32_e32 v25, vcc_hi, v24
	v_xor_b32_e32 v24, vcc_lo, v24
	ds_read_b32 v36, v40 offset:64
	v_and_b32_e32 v24, v39, v24
	v_and_b32_e32 v25, v22, v25
	v_mbcnt_lo_u32_b32 v22, v24, 0
	v_mbcnt_hi_u32_b32 v38, v25, v22
	v_cmp_eq_u32_e32 vcc, 0, v38
	v_cmp_ne_u64_e64 s[0:1], 0, v[24:25]
	s_and_b64 s[6:7], s[0:1], vcc
	; wave barrier
	s_and_saveexec_b64 s[0:1], s[6:7]
	s_cbranch_execz .LBB1234_127
; %bb.126:
	v_bcnt_u32_b32 v22, v24, 0
	v_bcnt_u32_b32 v22, v25, v22
	s_waitcnt lgkmcnt(0)
	v_add_u32_e32 v22, v36, v22
	ds_write_b32 v40, v22 offset:64
.LBB1234_127:
	s_or_b64 exec, exec, s[0:1]
	s_waitcnt vmcnt(2)
	v_xor_b32_e32 v17, 0x80000000, v17
	v_lshrrev_b64 v[24:25], s52, v[16:17]
	v_and_b32_e32 v41, s14, v24
	v_mul_lo_u32 v22, v41, s2
	v_lshl_add_u32 v43, v34, 2, v22
	v_and_b32_e32 v22, 1, v41
	v_lshl_add_u64 v[24:25], v[22:23], 0, -1
	v_cmp_ne_u32_e32 vcc, 0, v22
	; wave barrier
	s_nop 1
	v_xor_b32_e32 v24, vcc_lo, v24
	v_xor_b32_e32 v22, vcc_hi, v25
	v_and_b32_e32 v42, exec_lo, v24
	v_lshlrev_b32_e32 v25, 30, v41
	v_mov_b32_e32 v24, v23
	v_cmp_gt_i64_e32 vcc, 0, v[24:25]
	v_not_b32_e32 v24, v25
	v_ashrrev_i32_e32 v24, 31, v24
	v_and_b32_e32 v22, exec_hi, v22
	v_xor_b32_e32 v25, vcc_hi, v24
	v_xor_b32_e32 v24, vcc_lo, v24
	v_and_b32_e32 v22, v22, v25
	v_and_b32_e32 v42, v42, v24
	v_lshlrev_b32_e32 v25, 29, v41
	v_mov_b32_e32 v24, v23
	v_cmp_gt_i64_e32 vcc, 0, v[24:25]
	v_not_b32_e32 v24, v25
	v_ashrrev_i32_e32 v24, 31, v24
	v_xor_b32_e32 v25, vcc_hi, v24
	v_xor_b32_e32 v24, vcc_lo, v24
	v_and_b32_e32 v22, v22, v25
	v_and_b32_e32 v42, v42, v24
	v_lshlrev_b32_e32 v25, 28, v41
	v_mov_b32_e32 v24, v23
	v_cmp_gt_i64_e32 vcc, 0, v[24:25]
	v_not_b32_e32 v24, v25
	v_ashrrev_i32_e32 v24, 31, v24
	;; [unrolled: 9-line block ×5, first 2 shown]
	v_xor_b32_e32 v25, vcc_hi, v24
	v_xor_b32_e32 v24, vcc_lo, v24
	v_and_b32_e32 v22, v22, v25
	v_lshlrev_b32_e32 v25, 24, v41
	v_and_b32_e32 v42, v42, v24
	v_mov_b32_e32 v24, v23
	v_not_b32_e32 v23, v25
	v_cmp_gt_i64_e32 vcc, 0, v[24:25]
	v_ashrrev_i32_e32 v23, 31, v23
	ds_read_b32 v39, v43 offset:64
	v_xor_b32_e32 v24, vcc_hi, v23
	v_xor_b32_e32 v25, vcc_lo, v23
	v_and_b32_e32 v23, v22, v24
	v_and_b32_e32 v22, v42, v25
	v_mbcnt_lo_u32_b32 v24, v22, 0
	v_mbcnt_hi_u32_b32 v41, v23, v24
	v_cmp_eq_u32_e32 vcc, 0, v41
	v_cmp_ne_u64_e64 s[0:1], 0, v[22:23]
	s_and_b64 s[2:3], s[0:1], vcc
	; wave barrier
	s_and_saveexec_b64 s[0:1], s[2:3]
	s_cbranch_execz .LBB1234_129
; %bb.128:
	v_bcnt_u32_b32 v22, v22, 0
	v_bcnt_u32_b32 v22, v23, v22
	s_waitcnt lgkmcnt(0)
	v_add_u32_e32 v22, v39, v22
	ds_write_b32 v43, v22 offset:64
.LBB1234_129:
	s_or_b64 exec, exec, s[0:1]
	s_waitcnt vmcnt(1)
	v_xor_b32_e32 v19, 0x80000000, v19
	v_lshrrev_b64 v[22:23], s52, v[18:19]
	v_and_b32_e32 v44, s14, v22
	s_movk_i32 s2, 0x44
	v_mul_lo_u32 v22, v44, s2
	v_lshl_add_u32 v46, v34, 2, v22
	v_and_b32_e32 v22, 1, v44
	v_mov_b32_e32 v23, 0
	v_lshl_add_u64 v[24:25], v[22:23], 0, -1
	v_cmp_ne_u32_e32 vcc, 0, v22
	; wave barrier
	s_nop 1
	v_xor_b32_e32 v24, vcc_lo, v24
	v_xor_b32_e32 v22, vcc_hi, v25
	v_and_b32_e32 v45, exec_lo, v24
	v_lshlrev_b32_e32 v25, 30, v44
	v_mov_b32_e32 v24, v23
	v_cmp_gt_i64_e32 vcc, 0, v[24:25]
	v_not_b32_e32 v24, v25
	v_ashrrev_i32_e32 v24, 31, v24
	v_and_b32_e32 v22, exec_hi, v22
	v_xor_b32_e32 v25, vcc_hi, v24
	v_xor_b32_e32 v24, vcc_lo, v24
	v_and_b32_e32 v22, v22, v25
	v_and_b32_e32 v45, v45, v24
	v_lshlrev_b32_e32 v25, 29, v44
	v_mov_b32_e32 v24, v23
	v_cmp_gt_i64_e32 vcc, 0, v[24:25]
	v_not_b32_e32 v24, v25
	v_ashrrev_i32_e32 v24, 31, v24
	v_xor_b32_e32 v25, vcc_hi, v24
	v_xor_b32_e32 v24, vcc_lo, v24
	v_and_b32_e32 v22, v22, v25
	v_and_b32_e32 v45, v45, v24
	v_lshlrev_b32_e32 v25, 28, v44
	v_mov_b32_e32 v24, v23
	v_cmp_gt_i64_e32 vcc, 0, v[24:25]
	v_not_b32_e32 v24, v25
	v_ashrrev_i32_e32 v24, 31, v24
	;; [unrolled: 9-line block ×6, first 2 shown]
	v_xor_b32_e32 v25, vcc_hi, v24
	v_xor_b32_e32 v24, vcc_lo, v24
	ds_read_b32 v42, v46 offset:64
	v_and_b32_e32 v24, v45, v24
	v_and_b32_e32 v25, v22, v25
	v_mbcnt_lo_u32_b32 v22, v24, 0
	v_mbcnt_hi_u32_b32 v44, v25, v22
	v_cmp_eq_u32_e32 vcc, 0, v44
	v_cmp_ne_u64_e64 s[0:1], 0, v[24:25]
	s_and_b64 s[6:7], s[0:1], vcc
	; wave barrier
	s_and_saveexec_b64 s[0:1], s[6:7]
	s_cbranch_execz .LBB1234_131
; %bb.130:
	v_bcnt_u32_b32 v22, v24, 0
	v_bcnt_u32_b32 v22, v25, v22
	s_waitcnt lgkmcnt(0)
	v_add_u32_e32 v22, v42, v22
	ds_write_b32 v46, v22 offset:64
.LBB1234_131:
	s_or_b64 exec, exec, s[0:1]
	s_waitcnt vmcnt(0)
	v_xor_b32_e32 v21, 0x80000000, v21
	v_lshrrev_b64 v[24:25], s52, v[20:21]
	v_and_b32_e32 v47, s14, v24
	v_mul_lo_u32 v22, v47, s2
	v_lshl_add_u32 v48, v34, 2, v22
	v_and_b32_e32 v22, 1, v47
	v_lshl_add_u64 v[24:25], v[22:23], 0, -1
	v_cmp_ne_u32_e32 vcc, 0, v22
	; wave barrier
	s_nop 1
	v_xor_b32_e32 v24, vcc_lo, v24
	v_xor_b32_e32 v22, vcc_hi, v25
	v_and_b32_e32 v34, exec_lo, v24
	v_lshlrev_b32_e32 v25, 30, v47
	v_mov_b32_e32 v24, v23
	v_cmp_gt_i64_e32 vcc, 0, v[24:25]
	v_not_b32_e32 v24, v25
	v_ashrrev_i32_e32 v24, 31, v24
	v_and_b32_e32 v22, exec_hi, v22
	v_xor_b32_e32 v25, vcc_hi, v24
	v_xor_b32_e32 v24, vcc_lo, v24
	v_and_b32_e32 v22, v22, v25
	v_and_b32_e32 v34, v34, v24
	v_lshlrev_b32_e32 v25, 29, v47
	v_mov_b32_e32 v24, v23
	v_cmp_gt_i64_e32 vcc, 0, v[24:25]
	v_not_b32_e32 v24, v25
	v_ashrrev_i32_e32 v24, 31, v24
	v_xor_b32_e32 v25, vcc_hi, v24
	v_xor_b32_e32 v24, vcc_lo, v24
	v_and_b32_e32 v22, v22, v25
	v_and_b32_e32 v34, v34, v24
	v_lshlrev_b32_e32 v25, 28, v47
	v_mov_b32_e32 v24, v23
	v_cmp_gt_i64_e32 vcc, 0, v[24:25]
	v_not_b32_e32 v24, v25
	v_ashrrev_i32_e32 v24, 31, v24
	v_xor_b32_e32 v25, vcc_hi, v24
	v_xor_b32_e32 v24, vcc_lo, v24
	v_and_b32_e32 v22, v22, v25
	v_and_b32_e32 v34, v34, v24
	v_lshlrev_b32_e32 v25, 27, v47
	v_mov_b32_e32 v24, v23
	v_cmp_gt_i64_e32 vcc, 0, v[24:25]
	v_not_b32_e32 v24, v25
	v_ashrrev_i32_e32 v24, 31, v24
	v_xor_b32_e32 v25, vcc_hi, v24
	v_xor_b32_e32 v24, vcc_lo, v24
	v_and_b32_e32 v22, v22, v25
	v_and_b32_e32 v34, v34, v24
	v_lshlrev_b32_e32 v25, 26, v47
	v_mov_b32_e32 v24, v23
	v_cmp_gt_i64_e32 vcc, 0, v[24:25]
	v_not_b32_e32 v24, v25
	v_ashrrev_i32_e32 v24, 31, v24
	v_xor_b32_e32 v25, vcc_hi, v24
	v_xor_b32_e32 v24, vcc_lo, v24
	v_and_b32_e32 v22, v22, v25
	v_and_b32_e32 v34, v34, v24
	v_lshlrev_b32_e32 v25, 25, v47
	v_mov_b32_e32 v24, v23
	v_cmp_gt_i64_e32 vcc, 0, v[24:25]
	v_not_b32_e32 v24, v25
	v_ashrrev_i32_e32 v24, 31, v24
	v_xor_b32_e32 v25, vcc_hi, v24
	v_xor_b32_e32 v24, vcc_lo, v24
	v_and_b32_e32 v22, v22, v25
	v_lshlrev_b32_e32 v25, 24, v47
	v_and_b32_e32 v34, v34, v24
	v_mov_b32_e32 v24, v23
	v_not_b32_e32 v23, v25
	v_cmp_gt_i64_e32 vcc, 0, v[24:25]
	v_ashrrev_i32_e32 v23, 31, v23
	ds_read_b32 v45, v48 offset:64
	v_xor_b32_e32 v24, vcc_hi, v23
	v_xor_b32_e32 v25, vcc_lo, v23
	v_and_b32_e32 v23, v22, v24
	v_and_b32_e32 v22, v34, v25
	v_mbcnt_lo_u32_b32 v24, v22, 0
	v_mbcnt_hi_u32_b32 v47, v23, v24
	v_cmp_eq_u32_e32 vcc, 0, v47
	v_cmp_ne_u64_e64 s[0:1], 0, v[22:23]
	s_and_b64 s[2:3], s[0:1], vcc
	; wave barrier
	s_and_saveexec_b64 s[0:1], s[2:3]
	s_cbranch_execz .LBB1234_133
; %bb.132:
	v_bcnt_u32_b32 v22, v22, 0
	v_bcnt_u32_b32 v22, v23, v22
	s_waitcnt lgkmcnt(0)
	v_add_u32_e32 v22, v45, v22
	ds_write_b32 v48, v22 offset:64
.LBB1234_133:
	s_or_b64 exec, exec, s[0:1]
	; wave barrier
	s_waitcnt lgkmcnt(0)
	s_barrier
	ds_read2_b32 v[24:25], v1 offset0:16 offset1:17
	ds_read2_b32 v[22:23], v1 offset0:18 offset1:19
	ds_read_b32 v34, v1 offset:80
	v_cmp_lt_u32_e64 s[8:9], 31, v26
	s_waitcnt lgkmcnt(1)
	v_add3_u32 v49, v25, v24, v22
	s_waitcnt lgkmcnt(0)
	v_add3_u32 v34, v49, v23, v34
	v_and_b32_e32 v49, 15, v26
	v_cmp_eq_u32_e32 vcc, 0, v49
	v_mov_b32_dpp v50, v34 row_shr:1 row_mask:0xf bank_mask:0xf
	v_cmp_lt_u32_e64 s[0:1], 1, v49
	v_cndmask_b32_e64 v50, v50, 0, vcc
	v_add_u32_e32 v34, v50, v34
	v_cmp_lt_u32_e64 s[2:3], 3, v49
	v_cmp_lt_u32_e64 s[6:7], 7, v49
	v_mov_b32_dpp v50, v34 row_shr:2 row_mask:0xf bank_mask:0xf
	v_cndmask_b32_e64 v50, 0, v50, s[0:1]
	v_add_u32_e32 v34, v34, v50
	s_nop 1
	v_mov_b32_dpp v50, v34 row_shr:4 row_mask:0xf bank_mask:0xf
	v_cndmask_b32_e64 v50, 0, v50, s[2:3]
	v_add_u32_e32 v34, v34, v50
	s_nop 1
	v_mov_b32_dpp v50, v34 row_shr:8 row_mask:0xf bank_mask:0xf
	v_cndmask_b32_e64 v49, 0, v50, s[6:7]
	v_add_u32_e32 v34, v34, v49
	v_bfe_i32 v50, v26, 4, 1
	s_nop 0
	v_mov_b32_dpp v49, v34 row_bcast:15 row_mask:0xf bank_mask:0xf
	v_and_b32_e32 v49, v50, v49
	v_add_u32_e32 v34, v34, v49
	v_lshrrev_b32_e32 v50, 6, v2
	s_nop 0
	v_mov_b32_dpp v49, v34 row_bcast:31 row_mask:0xf bank_mask:0xf
	v_cndmask_b32_e64 v49, 0, v49, s[8:9]
	v_add_u32_e32 v49, v34, v49
	v_and_b32_e32 v34, 63, v2
	v_cmp_eq_u32_e64 s[8:9], 63, v34
	s_and_saveexec_b64 s[12:13], s[8:9]
; %bb.134:
	v_lshlrev_b32_e32 v34, 2, v50
	ds_write_b32 v34, v49
; %bb.135:
	s_or_b64 exec, exec, s[12:13]
	v_cmp_gt_u32_e64 s[8:9], 16, v2
	v_lshlrev_b32_e32 v34, 2, v2
	s_waitcnt lgkmcnt(0)
	s_barrier
	s_and_saveexec_b64 s[12:13], s[8:9]
	s_cbranch_execz .LBB1234_137
; %bb.136:
	ds_read_b32 v51, v34
	s_waitcnt lgkmcnt(0)
	s_nop 0
	v_mov_b32_dpp v52, v51 row_shr:1 row_mask:0xf bank_mask:0xf
	v_cndmask_b32_e64 v52, v52, 0, vcc
	v_add_u32_e32 v51, v52, v51
	s_nop 1
	v_mov_b32_dpp v52, v51 row_shr:2 row_mask:0xf bank_mask:0xf
	v_cndmask_b32_e64 v52, 0, v52, s[0:1]
	v_add_u32_e32 v51, v51, v52
	s_nop 1
	v_mov_b32_dpp v52, v51 row_shr:4 row_mask:0xf bank_mask:0xf
	v_cndmask_b32_e64 v52, 0, v52, s[2:3]
	;; [unrolled: 4-line block ×3, first 2 shown]
	v_add_u32_e32 v51, v51, v52
	ds_write_b32 v34, v51
.LBB1234_137:
	s_or_b64 exec, exec, s[12:13]
	v_cmp_lt_u32_e32 vcc, 63, v2
	v_mov_b32_e32 v51, 0
	s_waitcnt lgkmcnt(0)
	s_barrier
	s_and_saveexec_b64 s[0:1], vcc
; %bb.138:
	v_lshl_add_u32 v50, v50, 2, -4
	ds_read_b32 v51, v50
; %bb.139:
	s_or_b64 exec, exec, s[0:1]
	v_subrev_co_u32_e32 v50, vcc, 1, v26
	v_and_b32_e32 v52, 64, v26
	v_cmp_lt_i32_e64 s[0:1], v50, v52
	s_waitcnt lgkmcnt(0)
	v_add_u32_e32 v49, v51, v49
	s_movk_i32 s2, 0x100
	v_cndmask_b32_e64 v26, v50, v26, s[0:1]
	v_lshlrev_b32_e32 v26, 2, v26
	ds_bpermute_b32 v26, v26, v49
	s_movk_i32 s0, 0xff
	s_waitcnt lgkmcnt(0)
	v_cndmask_b32_e32 v26, v26, v51, vcc
	v_cmp_ne_u32_e32 vcc, 0, v2
	s_nop 1
	v_cndmask_b32_e32 v26, 0, v26, vcc
	v_add_u32_e32 v24, v26, v24
	v_add_u32_e32 v25, v24, v25
	;; [unrolled: 1-line block ×4, first 2 shown]
	ds_write2_b32 v1, v26, v24 offset0:16 offset1:17
	ds_write2_b32 v1, v25, v22 offset0:18 offset1:19
	ds_write_b32 v1, v23 offset:80
	s_waitcnt lgkmcnt(0)
	s_barrier
	ds_read_b32 v52, v27 offset:64
	ds_read_b32 v1, v30 offset:64
	;; [unrolled: 1-line block ×8, first 2 shown]
	v_cmp_lt_u32_e32 vcc, s0, v2
	v_cmp_gt_u32_e64 s[0:1], s2, v2
                                        ; implicit-def: $vgpr30
                                        ; implicit-def: $vgpr33
	s_and_saveexec_b64 s[6:7], s[0:1]
	s_cbranch_execz .LBB1234_143
; %bb.140:
	v_mul_u32_u24_e32 v22, 0x44, v2
	ds_read_b32 v30, v22 offset:64
	v_add_u32_e32 v23, 1, v2
	v_cmp_ne_u32_e64 s[2:3], s2, v23
	v_mov_b32_e32 v22, 0x2000
	s_and_saveexec_b64 s[8:9], s[2:3]
; %bb.141:
	v_mul_u32_u24_e32 v22, 0x44, v23
	ds_read_b32 v22, v22 offset:64
; %bb.142:
	s_or_b64 exec, exec, s[8:9]
	s_waitcnt lgkmcnt(0)
	v_sub_u32_e32 v33, v22, v30
.LBB1234_143:
	s_or_b64 exec, exec, s[6:7]
	v_mov_b32_e32 v23, 0
	s_waitcnt lgkmcnt(0)
	s_barrier
	s_and_saveexec_b64 s[2:3], s[0:1]
	s_cbranch_execz .LBB1234_153
; %bb.144:
	v_lshl_add_u32 v22, s4, 8, v2
	v_lshl_add_u64 v[24:25], v[22:23], 2, s[38:39]
	v_or_b32_e32 v22, 2.0, v33
	s_mov_b64 s[6:7], 0
	s_brev_b32 s15, -4
	s_mov_b32 s16, s4
	v_mov_b32_e32 v46, 0
	global_store_dword v[24:25], v22, off sc1
                                        ; implicit-def: $sgpr0_sgpr1
	s_branch .LBB1234_147
.LBB1234_145:                           ;   in Loop: Header=BB1234_147 Depth=1
	s_or_b64 exec, exec, s[12:13]
.LBB1234_146:                           ;   in Loop: Header=BB1234_147 Depth=1
	s_or_b64 exec, exec, s[8:9]
	v_and_b32_e32 v26, 0x3fffffff, v22
	v_add_u32_e32 v46, v26, v46
	v_cmp_gt_i32_e64 s[0:1], -2.0, v22
	s_and_b64 s[8:9], exec, s[0:1]
	s_or_b64 s[6:7], s[8:9], s[6:7]
	s_andn2_b64 exec, exec, s[6:7]
	s_cbranch_execz .LBB1234_152
.LBB1234_147:                           ; =>This Loop Header: Depth=1
                                        ;     Child Loop BB1234_150 Depth 2
	s_or_b64 s[0:1], s[0:1], exec
	s_cmp_eq_u32 s16, 0
	s_cbranch_scc1 .LBB1234_151
; %bb.148:                              ;   in Loop: Header=BB1234_147 Depth=1
	s_add_i32 s16, s16, -1
	v_lshl_or_b32 v22, s16, 8, v2
	v_lshl_add_u64 v[26:27], v[22:23], 2, s[38:39]
	global_load_dword v22, v[26:27], off sc1
	s_waitcnt vmcnt(0)
	v_cmp_gt_u32_e64 s[0:1], 2.0, v22
	s_and_saveexec_b64 s[8:9], s[0:1]
	s_cbranch_execz .LBB1234_146
; %bb.149:                              ;   in Loop: Header=BB1234_147 Depth=1
	s_mov_b64 s[12:13], 0
.LBB1234_150:                           ;   Parent Loop BB1234_147 Depth=1
                                        ; =>  This Inner Loop Header: Depth=2
	global_load_dword v22, v[26:27], off sc1
	s_waitcnt vmcnt(0)
	v_cmp_lt_u32_e64 s[0:1], s15, v22
	s_or_b64 s[12:13], s[0:1], s[12:13]
	s_andn2_b64 exec, exec, s[12:13]
	s_cbranch_execnz .LBB1234_150
	s_branch .LBB1234_145
.LBB1234_151:                           ;   in Loop: Header=BB1234_147 Depth=1
                                        ; implicit-def: $sgpr16
	s_and_b64 s[8:9], exec, s[0:1]
	s_or_b64 s[6:7], s[8:9], s[6:7]
	s_andn2_b64 exec, exec, s[6:7]
	s_cbranch_execnz .LBB1234_147
.LBB1234_152:
	s_or_b64 exec, exec, s[6:7]
	v_add_u32_e32 v22, v46, v33
	v_or_b32_e32 v22, 0x80000000, v22
	global_store_dword v[24:25], v22, off sc1
	global_load_dword v22, v34, s[48:49]
	v_sub_u32_e32 v23, v46, v30
	s_waitcnt vmcnt(0)
	v_add_u32_e32 v22, v23, v22
	ds_write_b32 v34, v22
.LBB1234_153:
	s_or_b64 exec, exec, s[2:3]
	v_add_u32_e32 v24, v52, v5
	v_add3_u32 v5, v28, v3, v1
	v_add3_u32 v22, v31, v29, v49
	v_add3_u32 v23, v35, v32, v50
	v_add3_u32 v46, v38, v36, v51
	v_add3_u32 v48, v41, v39, v43
	v_add3_u32 v27, v44, v42, v37
	v_add3_u32 v25, v47, v45, v40
	v_mov_b32_e32 v52, 0x400
	s_mov_b32 s6, s52
	s_mov_b32 s7, s14
	s_movk_i32 s8, 0x400
	v_lshl_add_u32 v25, v25, 3, v52
	v_add3_u32 v26, v47, v40, v45
	v_lshl_add_u32 v27, v27, 3, v52
	v_add3_u32 v37, v44, v37, v42
	;; [unrolled: 2-line block ×7, first 2 shown]
	v_lshl_add_u32 v28, v24, 3, v52
	s_mov_b32 s9, 0
	s_mov_b32 s12, 0
	s_movk_i32 s13, 0x800
	v_add_u32_e32 v42, v34, v34
	v_mov_b32_e32 v23, 0
	v_mov_b32_e32 v1, v2
	s_mov_b32 s15, 0
	s_branch .LBB1234_155
.LBB1234_154:                           ;   in Loop: Header=BB1234_155 Depth=1
	s_or_b64 exec, exec, s[2:3]
	s_waitcnt lgkmcnt(0)
	s_barrier
	ds_read2st64_b64 v[44:47], v42 offset0:2 offset1:18
	s_addk_i32 s15, 0xc000
	s_addk_i32 s12, 0xf800
	s_waitcnt lgkmcnt(0)
	v_xor_b32_e32 v49, 0x80000000, v45
	v_mov_b32_e32 v48, v44
	v_lshrrev_b64 v[44:45], s52, v[44:45]
	v_lshrrev_b64 v[52:53], s6, v[46:47]
	v_and_b32_e32 v44, s14, v44
	v_lshlrev_b32_e32 v5, 2, v44
	v_and_b32_e32 v45, s7, v52
	ds_read_b32 v5, v5
	v_lshlrev_b32_e32 v22, 2, v45
	ds_read_b32 v43, v22
	v_xor_b32_e32 v51, 0x80000000, v47
	v_mov_b32_e32 v50, v46
	s_waitcnt lgkmcnt(1)
	v_add_u32_e32 v22, v1, v5
	v_lshl_add_u64 v[46:47], v[22:23], 3, s[42:43]
	s_waitcnt lgkmcnt(0)
	v_add3_u32 v22, v1, v43, s8
	global_store_dwordx2 v[46:47], v[48:49], off
	v_lshl_add_u64 v[46:47], v[22:23], 3, s[42:43]
	global_store_dwordx2 v[46:47], v[50:51], off
	scratch_store_dwordx2 off, v[44:45], s9
	s_add_i32 s9, s9, 8
	s_cmp_eq_u32 s15, 0xffff0000
	v_add_u32_e32 v1, 0x800, v1
	s_barrier
	s_cbranch_scc1 .LBB1234_171
.LBB1234_155:                           ; =>This Inner Loop Header: Depth=1
	v_add_u32_e32 v5, s12, v24
	v_cmp_gt_u32_e64 s[0:1], s13, v5
	s_and_saveexec_b64 s[2:3], s[0:1]
; %bb.156:                              ;   in Loop: Header=BB1234_155 Depth=1
	v_add_u32_e32 v5, s15, v28
	ds_write_b64 v5, v[6:7]
; %bb.157:                              ;   in Loop: Header=BB1234_155 Depth=1
	s_or_b64 exec, exec, s[2:3]
	v_add_u32_e32 v5, s12, v3
	v_cmp_gt_u32_e64 s[0:1], s13, v5
	s_and_saveexec_b64 s[2:3], s[0:1]
; %bb.158:                              ;   in Loop: Header=BB1234_155 Depth=1
	v_add_u32_e32 v5, s15, v31
	ds_write_b64 v5, v[8:9]
; %bb.159:                              ;   in Loop: Header=BB1234_155 Depth=1
	s_or_b64 exec, exec, s[2:3]
	;; [unrolled: 8-line block ×7, first 2 shown]
	v_add_u32_e32 v5, s12, v26
	v_cmp_gt_u32_e64 s[0:1], s13, v5
	s_and_saveexec_b64 s[2:3], s[0:1]
	s_cbranch_execz .LBB1234_154
; %bb.170:                              ;   in Loop: Header=BB1234_155 Depth=1
	v_add_u32_e32 v5, s15, v25
	ds_write_b64 v5, v[20:21]
	s_branch .LBB1234_154
.LBB1234_171:
	s_add_u32 s0, s44, s10
	s_addc_u32 s1, s45, s11
	v_mov_b32_e32 v1, 0
	v_lshl_add_u64 v[6:7], s[0:1], 0, v[0:1]
	v_mov_b32_e32 v5, v1
	v_lshl_add_u64 v[20:21], v[6:7], 0, v[4:5]
	global_load_dwordx2 v[4:5], v[20:21], off
	global_load_dwordx2 v[6:7], v[20:21], off offset:512
	global_load_dwordx2 v[8:9], v[20:21], off offset:1024
	;; [unrolled: 1-line block ×7, first 2 shown]
	s_mov_b32 s6, 0
	s_mov_b32 s7, 0
	s_movk_i32 s8, 0x800
	s_movk_i32 s9, 0x400
	s_mov_b32 s10, 0
	s_branch .LBB1234_173
.LBB1234_172:                           ;   in Loop: Header=BB1234_173 Depth=1
	s_or_b64 exec, exec, s[2:3]
	s_waitcnt lgkmcnt(0)
	s_barrier
	scratch_load_dwordx2 v[44:45], off, s6
	ds_read2st64_b64 v[20:23], v42 offset0:2 offset1:18
	s_addk_i32 s10, 0xc000
	s_addk_i32 s7, 0xf800
	s_add_i32 s6, s6, 8
	s_cmp_eq_u32 s10, 0xffff0000
	s_waitcnt vmcnt(0)
	v_lshlrev_b32_e32 v0, 2, v44
	ds_read_b32 v0, v0
	v_lshlrev_b32_e32 v43, 2, v45
	ds_read_b32 v43, v43
	s_waitcnt lgkmcnt(1)
	v_add_u32_e32 v0, v2, v0
	v_lshl_add_u64 v[44:45], v[0:1], 3, s[46:47]
	s_waitcnt lgkmcnt(0)
	v_add3_u32 v0, v2, v43, s9
	global_store_dwordx2 v[44:45], v[20:21], off
	v_lshl_add_u64 v[20:21], v[0:1], 3, s[46:47]
	v_add_u32_e32 v2, 0x800, v2
	global_store_dwordx2 v[20:21], v[22:23], off
	s_barrier
	s_cbranch_scc1 .LBB1234_189
.LBB1234_173:                           ; =>This Inner Loop Header: Depth=1
	v_add_u32_e32 v0, s7, v24
	v_cmp_gt_u32_e64 s[0:1], s8, v0
	s_and_saveexec_b64 s[2:3], s[0:1]
	s_cbranch_execz .LBB1234_175
; %bb.174:                              ;   in Loop: Header=BB1234_173 Depth=1
	v_add_u32_e32 v0, s10, v28
	s_waitcnt vmcnt(7)
	ds_write_b64 v0, v[4:5]
.LBB1234_175:                           ;   in Loop: Header=BB1234_173 Depth=1
	s_or_b64 exec, exec, s[2:3]
	v_add_u32_e32 v0, s7, v3
	v_cmp_gt_u32_e64 s[0:1], s8, v0
	s_and_saveexec_b64 s[2:3], s[0:1]
	s_cbranch_execz .LBB1234_177
; %bb.176:                              ;   in Loop: Header=BB1234_173 Depth=1
	v_add_u32_e32 v0, s10, v31
	s_waitcnt vmcnt(6)
	ds_write_b64 v0, v[6:7]
.LBB1234_177:                           ;   in Loop: Header=BB1234_173 Depth=1
	s_or_b64 exec, exec, s[2:3]
	;; [unrolled: 10-line block ×7, first 2 shown]
	v_add_u32_e32 v0, s7, v26
	v_cmp_gt_u32_e64 s[0:1], s8, v0
	s_and_saveexec_b64 s[2:3], s[0:1]
	s_cbranch_execz .LBB1234_172
; %bb.188:                              ;   in Loop: Header=BB1234_173 Depth=1
	v_add_u32_e32 v0, s10, v25
	s_waitcnt vmcnt(0)
	ds_write_b64 v0, v[18:19]
	s_branch .LBB1234_172
.LBB1234_189:
	s_add_i32 s5, s5, -1
	s_cmp_eq_u32 s4, s5
	s_cselect_b64 s[0:1], -1, 0
	s_xor_b64 s[2:3], vcc, -1
	s_and_b64 s[0:1], s[2:3], s[0:1]
	s_and_saveexec_b64 s[2:3], s[0:1]
	s_cbranch_execz .LBB1234_191
; %bb.190:
	ds_read_b32 v0, v34
	s_waitcnt lgkmcnt(0)
	v_add3_u32 v0, v30, v33, v0
	global_store_dword v34, v0, s[50:51]
.LBB1234_191:
	s_endpgm
	.section	.rodata,"a",@progbits
	.p2align	6, 0x0
	.amdhsa_kernel _ZN7rocprim17ROCPRIM_400000_NS6detail17trampoline_kernelINS0_14default_configENS1_35radix_sort_onesweep_config_selectorIxxEEZZNS1_29radix_sort_onesweep_iterationIS3_Lb0EN6thrust23THRUST_200600_302600_NS6detail15normal_iteratorINS8_10device_ptrIxEEEESD_SD_SD_jNS0_19identity_decomposerENS1_16block_id_wrapperIjLb0EEEEE10hipError_tT1_PNSt15iterator_traitsISI_E10value_typeET2_T3_PNSJ_ISO_E10value_typeET4_T5_PST_SU_PNS1_23onesweep_lookback_stateEbbT6_jjT7_P12ihipStream_tbENKUlT_T0_SI_SN_E_clISD_PxSD_S15_EEDaS11_S12_SI_SN_EUlS11_E_NS1_11comp_targetILNS1_3genE6ELNS1_11target_archE950ELNS1_3gpuE13ELNS1_3repE0EEENS1_47radix_sort_onesweep_sort_config_static_selectorELNS0_4arch9wavefront6targetE1EEEvSI_
		.amdhsa_group_segment_fixed_size 53328
		.amdhsa_private_segment_fixed_size 48
		.amdhsa_kernarg_size 344
		.amdhsa_user_sgpr_count 4
		.amdhsa_user_sgpr_dispatch_ptr 1
		.amdhsa_user_sgpr_queue_ptr 0
		.amdhsa_user_sgpr_kernarg_segment_ptr 1
		.amdhsa_user_sgpr_dispatch_id 0
		.amdhsa_user_sgpr_kernarg_preload_length 0
		.amdhsa_user_sgpr_kernarg_preload_offset 0
		.amdhsa_user_sgpr_private_segment_size 0
		.amdhsa_uses_dynamic_stack 0
		.amdhsa_enable_private_segment 1
		.amdhsa_system_sgpr_workgroup_id_x 1
		.amdhsa_system_sgpr_workgroup_id_y 0
		.amdhsa_system_sgpr_workgroup_id_z 0
		.amdhsa_system_sgpr_workgroup_info 0
		.amdhsa_system_vgpr_workitem_id 2
		.amdhsa_next_free_vgpr 58
		.amdhsa_next_free_sgpr 58
		.amdhsa_accum_offset 60
		.amdhsa_reserve_vcc 1
		.amdhsa_float_round_mode_32 0
		.amdhsa_float_round_mode_16_64 0
		.amdhsa_float_denorm_mode_32 3
		.amdhsa_float_denorm_mode_16_64 3
		.amdhsa_dx10_clamp 1
		.amdhsa_ieee_mode 1
		.amdhsa_fp16_overflow 0
		.amdhsa_tg_split 0
		.amdhsa_exception_fp_ieee_invalid_op 0
		.amdhsa_exception_fp_denorm_src 0
		.amdhsa_exception_fp_ieee_div_zero 0
		.amdhsa_exception_fp_ieee_overflow 0
		.amdhsa_exception_fp_ieee_underflow 0
		.amdhsa_exception_fp_ieee_inexact 0
		.amdhsa_exception_int_div_zero 0
	.end_amdhsa_kernel
	.section	.text._ZN7rocprim17ROCPRIM_400000_NS6detail17trampoline_kernelINS0_14default_configENS1_35radix_sort_onesweep_config_selectorIxxEEZZNS1_29radix_sort_onesweep_iterationIS3_Lb0EN6thrust23THRUST_200600_302600_NS6detail15normal_iteratorINS8_10device_ptrIxEEEESD_SD_SD_jNS0_19identity_decomposerENS1_16block_id_wrapperIjLb0EEEEE10hipError_tT1_PNSt15iterator_traitsISI_E10value_typeET2_T3_PNSJ_ISO_E10value_typeET4_T5_PST_SU_PNS1_23onesweep_lookback_stateEbbT6_jjT7_P12ihipStream_tbENKUlT_T0_SI_SN_E_clISD_PxSD_S15_EEDaS11_S12_SI_SN_EUlS11_E_NS1_11comp_targetILNS1_3genE6ELNS1_11target_archE950ELNS1_3gpuE13ELNS1_3repE0EEENS1_47radix_sort_onesweep_sort_config_static_selectorELNS0_4arch9wavefront6targetE1EEEvSI_,"axG",@progbits,_ZN7rocprim17ROCPRIM_400000_NS6detail17trampoline_kernelINS0_14default_configENS1_35radix_sort_onesweep_config_selectorIxxEEZZNS1_29radix_sort_onesweep_iterationIS3_Lb0EN6thrust23THRUST_200600_302600_NS6detail15normal_iteratorINS8_10device_ptrIxEEEESD_SD_SD_jNS0_19identity_decomposerENS1_16block_id_wrapperIjLb0EEEEE10hipError_tT1_PNSt15iterator_traitsISI_E10value_typeET2_T3_PNSJ_ISO_E10value_typeET4_T5_PST_SU_PNS1_23onesweep_lookback_stateEbbT6_jjT7_P12ihipStream_tbENKUlT_T0_SI_SN_E_clISD_PxSD_S15_EEDaS11_S12_SI_SN_EUlS11_E_NS1_11comp_targetILNS1_3genE6ELNS1_11target_archE950ELNS1_3gpuE13ELNS1_3repE0EEENS1_47radix_sort_onesweep_sort_config_static_selectorELNS0_4arch9wavefront6targetE1EEEvSI_,comdat
.Lfunc_end1234:
	.size	_ZN7rocprim17ROCPRIM_400000_NS6detail17trampoline_kernelINS0_14default_configENS1_35radix_sort_onesweep_config_selectorIxxEEZZNS1_29radix_sort_onesweep_iterationIS3_Lb0EN6thrust23THRUST_200600_302600_NS6detail15normal_iteratorINS8_10device_ptrIxEEEESD_SD_SD_jNS0_19identity_decomposerENS1_16block_id_wrapperIjLb0EEEEE10hipError_tT1_PNSt15iterator_traitsISI_E10value_typeET2_T3_PNSJ_ISO_E10value_typeET4_T5_PST_SU_PNS1_23onesweep_lookback_stateEbbT6_jjT7_P12ihipStream_tbENKUlT_T0_SI_SN_E_clISD_PxSD_S15_EEDaS11_S12_SI_SN_EUlS11_E_NS1_11comp_targetILNS1_3genE6ELNS1_11target_archE950ELNS1_3gpuE13ELNS1_3repE0EEENS1_47radix_sort_onesweep_sort_config_static_selectorELNS0_4arch9wavefront6targetE1EEEvSI_, .Lfunc_end1234-_ZN7rocprim17ROCPRIM_400000_NS6detail17trampoline_kernelINS0_14default_configENS1_35radix_sort_onesweep_config_selectorIxxEEZZNS1_29radix_sort_onesweep_iterationIS3_Lb0EN6thrust23THRUST_200600_302600_NS6detail15normal_iteratorINS8_10device_ptrIxEEEESD_SD_SD_jNS0_19identity_decomposerENS1_16block_id_wrapperIjLb0EEEEE10hipError_tT1_PNSt15iterator_traitsISI_E10value_typeET2_T3_PNSJ_ISO_E10value_typeET4_T5_PST_SU_PNS1_23onesweep_lookback_stateEbbT6_jjT7_P12ihipStream_tbENKUlT_T0_SI_SN_E_clISD_PxSD_S15_EEDaS11_S12_SI_SN_EUlS11_E_NS1_11comp_targetILNS1_3genE6ELNS1_11target_archE950ELNS1_3gpuE13ELNS1_3repE0EEENS1_47radix_sort_onesweep_sort_config_static_selectorELNS0_4arch9wavefront6targetE1EEEvSI_
                                        ; -- End function
	.set _ZN7rocprim17ROCPRIM_400000_NS6detail17trampoline_kernelINS0_14default_configENS1_35radix_sort_onesweep_config_selectorIxxEEZZNS1_29radix_sort_onesweep_iterationIS3_Lb0EN6thrust23THRUST_200600_302600_NS6detail15normal_iteratorINS8_10device_ptrIxEEEESD_SD_SD_jNS0_19identity_decomposerENS1_16block_id_wrapperIjLb0EEEEE10hipError_tT1_PNSt15iterator_traitsISI_E10value_typeET2_T3_PNSJ_ISO_E10value_typeET4_T5_PST_SU_PNS1_23onesweep_lookback_stateEbbT6_jjT7_P12ihipStream_tbENKUlT_T0_SI_SN_E_clISD_PxSD_S15_EEDaS11_S12_SI_SN_EUlS11_E_NS1_11comp_targetILNS1_3genE6ELNS1_11target_archE950ELNS1_3gpuE13ELNS1_3repE0EEENS1_47radix_sort_onesweep_sort_config_static_selectorELNS0_4arch9wavefront6targetE1EEEvSI_.num_vgpr, 58
	.set _ZN7rocprim17ROCPRIM_400000_NS6detail17trampoline_kernelINS0_14default_configENS1_35radix_sort_onesweep_config_selectorIxxEEZZNS1_29radix_sort_onesweep_iterationIS3_Lb0EN6thrust23THRUST_200600_302600_NS6detail15normal_iteratorINS8_10device_ptrIxEEEESD_SD_SD_jNS0_19identity_decomposerENS1_16block_id_wrapperIjLb0EEEEE10hipError_tT1_PNSt15iterator_traitsISI_E10value_typeET2_T3_PNSJ_ISO_E10value_typeET4_T5_PST_SU_PNS1_23onesweep_lookback_stateEbbT6_jjT7_P12ihipStream_tbENKUlT_T0_SI_SN_E_clISD_PxSD_S15_EEDaS11_S12_SI_SN_EUlS11_E_NS1_11comp_targetILNS1_3genE6ELNS1_11target_archE950ELNS1_3gpuE13ELNS1_3repE0EEENS1_47radix_sort_onesweep_sort_config_static_selectorELNS0_4arch9wavefront6targetE1EEEvSI_.num_agpr, 0
	.set _ZN7rocprim17ROCPRIM_400000_NS6detail17trampoline_kernelINS0_14default_configENS1_35radix_sort_onesweep_config_selectorIxxEEZZNS1_29radix_sort_onesweep_iterationIS3_Lb0EN6thrust23THRUST_200600_302600_NS6detail15normal_iteratorINS8_10device_ptrIxEEEESD_SD_SD_jNS0_19identity_decomposerENS1_16block_id_wrapperIjLb0EEEEE10hipError_tT1_PNSt15iterator_traitsISI_E10value_typeET2_T3_PNSJ_ISO_E10value_typeET4_T5_PST_SU_PNS1_23onesweep_lookback_stateEbbT6_jjT7_P12ihipStream_tbENKUlT_T0_SI_SN_E_clISD_PxSD_S15_EEDaS11_S12_SI_SN_EUlS11_E_NS1_11comp_targetILNS1_3genE6ELNS1_11target_archE950ELNS1_3gpuE13ELNS1_3repE0EEENS1_47radix_sort_onesweep_sort_config_static_selectorELNS0_4arch9wavefront6targetE1EEEvSI_.numbered_sgpr, 58
	.set _ZN7rocprim17ROCPRIM_400000_NS6detail17trampoline_kernelINS0_14default_configENS1_35radix_sort_onesweep_config_selectorIxxEEZZNS1_29radix_sort_onesweep_iterationIS3_Lb0EN6thrust23THRUST_200600_302600_NS6detail15normal_iteratorINS8_10device_ptrIxEEEESD_SD_SD_jNS0_19identity_decomposerENS1_16block_id_wrapperIjLb0EEEEE10hipError_tT1_PNSt15iterator_traitsISI_E10value_typeET2_T3_PNSJ_ISO_E10value_typeET4_T5_PST_SU_PNS1_23onesweep_lookback_stateEbbT6_jjT7_P12ihipStream_tbENKUlT_T0_SI_SN_E_clISD_PxSD_S15_EEDaS11_S12_SI_SN_EUlS11_E_NS1_11comp_targetILNS1_3genE6ELNS1_11target_archE950ELNS1_3gpuE13ELNS1_3repE0EEENS1_47radix_sort_onesweep_sort_config_static_selectorELNS0_4arch9wavefront6targetE1EEEvSI_.num_named_barrier, 0
	.set _ZN7rocprim17ROCPRIM_400000_NS6detail17trampoline_kernelINS0_14default_configENS1_35radix_sort_onesweep_config_selectorIxxEEZZNS1_29radix_sort_onesweep_iterationIS3_Lb0EN6thrust23THRUST_200600_302600_NS6detail15normal_iteratorINS8_10device_ptrIxEEEESD_SD_SD_jNS0_19identity_decomposerENS1_16block_id_wrapperIjLb0EEEEE10hipError_tT1_PNSt15iterator_traitsISI_E10value_typeET2_T3_PNSJ_ISO_E10value_typeET4_T5_PST_SU_PNS1_23onesweep_lookback_stateEbbT6_jjT7_P12ihipStream_tbENKUlT_T0_SI_SN_E_clISD_PxSD_S15_EEDaS11_S12_SI_SN_EUlS11_E_NS1_11comp_targetILNS1_3genE6ELNS1_11target_archE950ELNS1_3gpuE13ELNS1_3repE0EEENS1_47radix_sort_onesweep_sort_config_static_selectorELNS0_4arch9wavefront6targetE1EEEvSI_.private_seg_size, 48
	.set _ZN7rocprim17ROCPRIM_400000_NS6detail17trampoline_kernelINS0_14default_configENS1_35radix_sort_onesweep_config_selectorIxxEEZZNS1_29radix_sort_onesweep_iterationIS3_Lb0EN6thrust23THRUST_200600_302600_NS6detail15normal_iteratorINS8_10device_ptrIxEEEESD_SD_SD_jNS0_19identity_decomposerENS1_16block_id_wrapperIjLb0EEEEE10hipError_tT1_PNSt15iterator_traitsISI_E10value_typeET2_T3_PNSJ_ISO_E10value_typeET4_T5_PST_SU_PNS1_23onesweep_lookback_stateEbbT6_jjT7_P12ihipStream_tbENKUlT_T0_SI_SN_E_clISD_PxSD_S15_EEDaS11_S12_SI_SN_EUlS11_E_NS1_11comp_targetILNS1_3genE6ELNS1_11target_archE950ELNS1_3gpuE13ELNS1_3repE0EEENS1_47radix_sort_onesweep_sort_config_static_selectorELNS0_4arch9wavefront6targetE1EEEvSI_.uses_vcc, 1
	.set _ZN7rocprim17ROCPRIM_400000_NS6detail17trampoline_kernelINS0_14default_configENS1_35radix_sort_onesweep_config_selectorIxxEEZZNS1_29radix_sort_onesweep_iterationIS3_Lb0EN6thrust23THRUST_200600_302600_NS6detail15normal_iteratorINS8_10device_ptrIxEEEESD_SD_SD_jNS0_19identity_decomposerENS1_16block_id_wrapperIjLb0EEEEE10hipError_tT1_PNSt15iterator_traitsISI_E10value_typeET2_T3_PNSJ_ISO_E10value_typeET4_T5_PST_SU_PNS1_23onesweep_lookback_stateEbbT6_jjT7_P12ihipStream_tbENKUlT_T0_SI_SN_E_clISD_PxSD_S15_EEDaS11_S12_SI_SN_EUlS11_E_NS1_11comp_targetILNS1_3genE6ELNS1_11target_archE950ELNS1_3gpuE13ELNS1_3repE0EEENS1_47radix_sort_onesweep_sort_config_static_selectorELNS0_4arch9wavefront6targetE1EEEvSI_.uses_flat_scratch, 0
	.set _ZN7rocprim17ROCPRIM_400000_NS6detail17trampoline_kernelINS0_14default_configENS1_35radix_sort_onesweep_config_selectorIxxEEZZNS1_29radix_sort_onesweep_iterationIS3_Lb0EN6thrust23THRUST_200600_302600_NS6detail15normal_iteratorINS8_10device_ptrIxEEEESD_SD_SD_jNS0_19identity_decomposerENS1_16block_id_wrapperIjLb0EEEEE10hipError_tT1_PNSt15iterator_traitsISI_E10value_typeET2_T3_PNSJ_ISO_E10value_typeET4_T5_PST_SU_PNS1_23onesweep_lookback_stateEbbT6_jjT7_P12ihipStream_tbENKUlT_T0_SI_SN_E_clISD_PxSD_S15_EEDaS11_S12_SI_SN_EUlS11_E_NS1_11comp_targetILNS1_3genE6ELNS1_11target_archE950ELNS1_3gpuE13ELNS1_3repE0EEENS1_47radix_sort_onesweep_sort_config_static_selectorELNS0_4arch9wavefront6targetE1EEEvSI_.has_dyn_sized_stack, 0
	.set _ZN7rocprim17ROCPRIM_400000_NS6detail17trampoline_kernelINS0_14default_configENS1_35radix_sort_onesweep_config_selectorIxxEEZZNS1_29radix_sort_onesweep_iterationIS3_Lb0EN6thrust23THRUST_200600_302600_NS6detail15normal_iteratorINS8_10device_ptrIxEEEESD_SD_SD_jNS0_19identity_decomposerENS1_16block_id_wrapperIjLb0EEEEE10hipError_tT1_PNSt15iterator_traitsISI_E10value_typeET2_T3_PNSJ_ISO_E10value_typeET4_T5_PST_SU_PNS1_23onesweep_lookback_stateEbbT6_jjT7_P12ihipStream_tbENKUlT_T0_SI_SN_E_clISD_PxSD_S15_EEDaS11_S12_SI_SN_EUlS11_E_NS1_11comp_targetILNS1_3genE6ELNS1_11target_archE950ELNS1_3gpuE13ELNS1_3repE0EEENS1_47radix_sort_onesweep_sort_config_static_selectorELNS0_4arch9wavefront6targetE1EEEvSI_.has_recursion, 0
	.set _ZN7rocprim17ROCPRIM_400000_NS6detail17trampoline_kernelINS0_14default_configENS1_35radix_sort_onesweep_config_selectorIxxEEZZNS1_29radix_sort_onesweep_iterationIS3_Lb0EN6thrust23THRUST_200600_302600_NS6detail15normal_iteratorINS8_10device_ptrIxEEEESD_SD_SD_jNS0_19identity_decomposerENS1_16block_id_wrapperIjLb0EEEEE10hipError_tT1_PNSt15iterator_traitsISI_E10value_typeET2_T3_PNSJ_ISO_E10value_typeET4_T5_PST_SU_PNS1_23onesweep_lookback_stateEbbT6_jjT7_P12ihipStream_tbENKUlT_T0_SI_SN_E_clISD_PxSD_S15_EEDaS11_S12_SI_SN_EUlS11_E_NS1_11comp_targetILNS1_3genE6ELNS1_11target_archE950ELNS1_3gpuE13ELNS1_3repE0EEENS1_47radix_sort_onesweep_sort_config_static_selectorELNS0_4arch9wavefront6targetE1EEEvSI_.has_indirect_call, 0
	.section	.AMDGPU.csdata,"",@progbits
; Kernel info:
; codeLenInByte = 12800
; TotalNumSgprs: 64
; NumVgprs: 58
; NumAgprs: 0
; TotalNumVgprs: 58
; ScratchSize: 48
; MemoryBound: 1
; FloatMode: 240
; IeeeMode: 1
; LDSByteSize: 53328 bytes/workgroup (compile time only)
; SGPRBlocks: 7
; VGPRBlocks: 7
; NumSGPRsForWavesPerEU: 64
; NumVGPRsForWavesPerEU: 58
; AccumOffset: 60
; Occupancy: 8
; WaveLimiterHint : 1
; COMPUTE_PGM_RSRC2:SCRATCH_EN: 1
; COMPUTE_PGM_RSRC2:USER_SGPR: 4
; COMPUTE_PGM_RSRC2:TRAP_HANDLER: 0
; COMPUTE_PGM_RSRC2:TGID_X_EN: 1
; COMPUTE_PGM_RSRC2:TGID_Y_EN: 0
; COMPUTE_PGM_RSRC2:TGID_Z_EN: 0
; COMPUTE_PGM_RSRC2:TIDIG_COMP_CNT: 2
; COMPUTE_PGM_RSRC3_GFX90A:ACCUM_OFFSET: 14
; COMPUTE_PGM_RSRC3_GFX90A:TG_SPLIT: 0
	.section	.text._ZN7rocprim17ROCPRIM_400000_NS6detail17trampoline_kernelINS0_14default_configENS1_35radix_sort_onesweep_config_selectorIxxEEZZNS1_29radix_sort_onesweep_iterationIS3_Lb0EN6thrust23THRUST_200600_302600_NS6detail15normal_iteratorINS8_10device_ptrIxEEEESD_SD_SD_jNS0_19identity_decomposerENS1_16block_id_wrapperIjLb0EEEEE10hipError_tT1_PNSt15iterator_traitsISI_E10value_typeET2_T3_PNSJ_ISO_E10value_typeET4_T5_PST_SU_PNS1_23onesweep_lookback_stateEbbT6_jjT7_P12ihipStream_tbENKUlT_T0_SI_SN_E_clISD_PxSD_S15_EEDaS11_S12_SI_SN_EUlS11_E_NS1_11comp_targetILNS1_3genE5ELNS1_11target_archE942ELNS1_3gpuE9ELNS1_3repE0EEENS1_47radix_sort_onesweep_sort_config_static_selectorELNS0_4arch9wavefront6targetE1EEEvSI_,"axG",@progbits,_ZN7rocprim17ROCPRIM_400000_NS6detail17trampoline_kernelINS0_14default_configENS1_35radix_sort_onesweep_config_selectorIxxEEZZNS1_29radix_sort_onesweep_iterationIS3_Lb0EN6thrust23THRUST_200600_302600_NS6detail15normal_iteratorINS8_10device_ptrIxEEEESD_SD_SD_jNS0_19identity_decomposerENS1_16block_id_wrapperIjLb0EEEEE10hipError_tT1_PNSt15iterator_traitsISI_E10value_typeET2_T3_PNSJ_ISO_E10value_typeET4_T5_PST_SU_PNS1_23onesweep_lookback_stateEbbT6_jjT7_P12ihipStream_tbENKUlT_T0_SI_SN_E_clISD_PxSD_S15_EEDaS11_S12_SI_SN_EUlS11_E_NS1_11comp_targetILNS1_3genE5ELNS1_11target_archE942ELNS1_3gpuE9ELNS1_3repE0EEENS1_47radix_sort_onesweep_sort_config_static_selectorELNS0_4arch9wavefront6targetE1EEEvSI_,comdat
	.protected	_ZN7rocprim17ROCPRIM_400000_NS6detail17trampoline_kernelINS0_14default_configENS1_35radix_sort_onesweep_config_selectorIxxEEZZNS1_29radix_sort_onesweep_iterationIS3_Lb0EN6thrust23THRUST_200600_302600_NS6detail15normal_iteratorINS8_10device_ptrIxEEEESD_SD_SD_jNS0_19identity_decomposerENS1_16block_id_wrapperIjLb0EEEEE10hipError_tT1_PNSt15iterator_traitsISI_E10value_typeET2_T3_PNSJ_ISO_E10value_typeET4_T5_PST_SU_PNS1_23onesweep_lookback_stateEbbT6_jjT7_P12ihipStream_tbENKUlT_T0_SI_SN_E_clISD_PxSD_S15_EEDaS11_S12_SI_SN_EUlS11_E_NS1_11comp_targetILNS1_3genE5ELNS1_11target_archE942ELNS1_3gpuE9ELNS1_3repE0EEENS1_47radix_sort_onesweep_sort_config_static_selectorELNS0_4arch9wavefront6targetE1EEEvSI_ ; -- Begin function _ZN7rocprim17ROCPRIM_400000_NS6detail17trampoline_kernelINS0_14default_configENS1_35radix_sort_onesweep_config_selectorIxxEEZZNS1_29radix_sort_onesweep_iterationIS3_Lb0EN6thrust23THRUST_200600_302600_NS6detail15normal_iteratorINS8_10device_ptrIxEEEESD_SD_SD_jNS0_19identity_decomposerENS1_16block_id_wrapperIjLb0EEEEE10hipError_tT1_PNSt15iterator_traitsISI_E10value_typeET2_T3_PNSJ_ISO_E10value_typeET4_T5_PST_SU_PNS1_23onesweep_lookback_stateEbbT6_jjT7_P12ihipStream_tbENKUlT_T0_SI_SN_E_clISD_PxSD_S15_EEDaS11_S12_SI_SN_EUlS11_E_NS1_11comp_targetILNS1_3genE5ELNS1_11target_archE942ELNS1_3gpuE9ELNS1_3repE0EEENS1_47radix_sort_onesweep_sort_config_static_selectorELNS0_4arch9wavefront6targetE1EEEvSI_
	.globl	_ZN7rocprim17ROCPRIM_400000_NS6detail17trampoline_kernelINS0_14default_configENS1_35radix_sort_onesweep_config_selectorIxxEEZZNS1_29radix_sort_onesweep_iterationIS3_Lb0EN6thrust23THRUST_200600_302600_NS6detail15normal_iteratorINS8_10device_ptrIxEEEESD_SD_SD_jNS0_19identity_decomposerENS1_16block_id_wrapperIjLb0EEEEE10hipError_tT1_PNSt15iterator_traitsISI_E10value_typeET2_T3_PNSJ_ISO_E10value_typeET4_T5_PST_SU_PNS1_23onesweep_lookback_stateEbbT6_jjT7_P12ihipStream_tbENKUlT_T0_SI_SN_E_clISD_PxSD_S15_EEDaS11_S12_SI_SN_EUlS11_E_NS1_11comp_targetILNS1_3genE5ELNS1_11target_archE942ELNS1_3gpuE9ELNS1_3repE0EEENS1_47radix_sort_onesweep_sort_config_static_selectorELNS0_4arch9wavefront6targetE1EEEvSI_
	.p2align	8
	.type	_ZN7rocprim17ROCPRIM_400000_NS6detail17trampoline_kernelINS0_14default_configENS1_35radix_sort_onesweep_config_selectorIxxEEZZNS1_29radix_sort_onesweep_iterationIS3_Lb0EN6thrust23THRUST_200600_302600_NS6detail15normal_iteratorINS8_10device_ptrIxEEEESD_SD_SD_jNS0_19identity_decomposerENS1_16block_id_wrapperIjLb0EEEEE10hipError_tT1_PNSt15iterator_traitsISI_E10value_typeET2_T3_PNSJ_ISO_E10value_typeET4_T5_PST_SU_PNS1_23onesweep_lookback_stateEbbT6_jjT7_P12ihipStream_tbENKUlT_T0_SI_SN_E_clISD_PxSD_S15_EEDaS11_S12_SI_SN_EUlS11_E_NS1_11comp_targetILNS1_3genE5ELNS1_11target_archE942ELNS1_3gpuE9ELNS1_3repE0EEENS1_47radix_sort_onesweep_sort_config_static_selectorELNS0_4arch9wavefront6targetE1EEEvSI_,@function
_ZN7rocprim17ROCPRIM_400000_NS6detail17trampoline_kernelINS0_14default_configENS1_35radix_sort_onesweep_config_selectorIxxEEZZNS1_29radix_sort_onesweep_iterationIS3_Lb0EN6thrust23THRUST_200600_302600_NS6detail15normal_iteratorINS8_10device_ptrIxEEEESD_SD_SD_jNS0_19identity_decomposerENS1_16block_id_wrapperIjLb0EEEEE10hipError_tT1_PNSt15iterator_traitsISI_E10value_typeET2_T3_PNSJ_ISO_E10value_typeET4_T5_PST_SU_PNS1_23onesweep_lookback_stateEbbT6_jjT7_P12ihipStream_tbENKUlT_T0_SI_SN_E_clISD_PxSD_S15_EEDaS11_S12_SI_SN_EUlS11_E_NS1_11comp_targetILNS1_3genE5ELNS1_11target_archE942ELNS1_3gpuE9ELNS1_3repE0EEENS1_47radix_sort_onesweep_sort_config_static_selectorELNS0_4arch9wavefront6targetE1EEEvSI_: ; @_ZN7rocprim17ROCPRIM_400000_NS6detail17trampoline_kernelINS0_14default_configENS1_35radix_sort_onesweep_config_selectorIxxEEZZNS1_29radix_sort_onesweep_iterationIS3_Lb0EN6thrust23THRUST_200600_302600_NS6detail15normal_iteratorINS8_10device_ptrIxEEEESD_SD_SD_jNS0_19identity_decomposerENS1_16block_id_wrapperIjLb0EEEEE10hipError_tT1_PNSt15iterator_traitsISI_E10value_typeET2_T3_PNSJ_ISO_E10value_typeET4_T5_PST_SU_PNS1_23onesweep_lookback_stateEbbT6_jjT7_P12ihipStream_tbENKUlT_T0_SI_SN_E_clISD_PxSD_S15_EEDaS11_S12_SI_SN_EUlS11_E_NS1_11comp_targetILNS1_3genE5ELNS1_11target_archE942ELNS1_3gpuE9ELNS1_3repE0EEENS1_47radix_sort_onesweep_sort_config_static_selectorELNS0_4arch9wavefront6targetE1EEEvSI_
; %bb.0:
	.section	.rodata,"a",@progbits
	.p2align	6, 0x0
	.amdhsa_kernel _ZN7rocprim17ROCPRIM_400000_NS6detail17trampoline_kernelINS0_14default_configENS1_35radix_sort_onesweep_config_selectorIxxEEZZNS1_29radix_sort_onesweep_iterationIS3_Lb0EN6thrust23THRUST_200600_302600_NS6detail15normal_iteratorINS8_10device_ptrIxEEEESD_SD_SD_jNS0_19identity_decomposerENS1_16block_id_wrapperIjLb0EEEEE10hipError_tT1_PNSt15iterator_traitsISI_E10value_typeET2_T3_PNSJ_ISO_E10value_typeET4_T5_PST_SU_PNS1_23onesweep_lookback_stateEbbT6_jjT7_P12ihipStream_tbENKUlT_T0_SI_SN_E_clISD_PxSD_S15_EEDaS11_S12_SI_SN_EUlS11_E_NS1_11comp_targetILNS1_3genE5ELNS1_11target_archE942ELNS1_3gpuE9ELNS1_3repE0EEENS1_47radix_sort_onesweep_sort_config_static_selectorELNS0_4arch9wavefront6targetE1EEEvSI_
		.amdhsa_group_segment_fixed_size 0
		.amdhsa_private_segment_fixed_size 0
		.amdhsa_kernarg_size 88
		.amdhsa_user_sgpr_count 2
		.amdhsa_user_sgpr_dispatch_ptr 0
		.amdhsa_user_sgpr_queue_ptr 0
		.amdhsa_user_sgpr_kernarg_segment_ptr 1
		.amdhsa_user_sgpr_dispatch_id 0
		.amdhsa_user_sgpr_kernarg_preload_length 0
		.amdhsa_user_sgpr_kernarg_preload_offset 0
		.amdhsa_user_sgpr_private_segment_size 0
		.amdhsa_uses_dynamic_stack 0
		.amdhsa_enable_private_segment 0
		.amdhsa_system_sgpr_workgroup_id_x 1
		.amdhsa_system_sgpr_workgroup_id_y 0
		.amdhsa_system_sgpr_workgroup_id_z 0
		.amdhsa_system_sgpr_workgroup_info 0
		.amdhsa_system_vgpr_workitem_id 0
		.amdhsa_next_free_vgpr 1
		.amdhsa_next_free_sgpr 0
		.amdhsa_accum_offset 4
		.amdhsa_reserve_vcc 0
		.amdhsa_float_round_mode_32 0
		.amdhsa_float_round_mode_16_64 0
		.amdhsa_float_denorm_mode_32 3
		.amdhsa_float_denorm_mode_16_64 3
		.amdhsa_dx10_clamp 1
		.amdhsa_ieee_mode 1
		.amdhsa_fp16_overflow 0
		.amdhsa_tg_split 0
		.amdhsa_exception_fp_ieee_invalid_op 0
		.amdhsa_exception_fp_denorm_src 0
		.amdhsa_exception_fp_ieee_div_zero 0
		.amdhsa_exception_fp_ieee_overflow 0
		.amdhsa_exception_fp_ieee_underflow 0
		.amdhsa_exception_fp_ieee_inexact 0
		.amdhsa_exception_int_div_zero 0
	.end_amdhsa_kernel
	.section	.text._ZN7rocprim17ROCPRIM_400000_NS6detail17trampoline_kernelINS0_14default_configENS1_35radix_sort_onesweep_config_selectorIxxEEZZNS1_29radix_sort_onesweep_iterationIS3_Lb0EN6thrust23THRUST_200600_302600_NS6detail15normal_iteratorINS8_10device_ptrIxEEEESD_SD_SD_jNS0_19identity_decomposerENS1_16block_id_wrapperIjLb0EEEEE10hipError_tT1_PNSt15iterator_traitsISI_E10value_typeET2_T3_PNSJ_ISO_E10value_typeET4_T5_PST_SU_PNS1_23onesweep_lookback_stateEbbT6_jjT7_P12ihipStream_tbENKUlT_T0_SI_SN_E_clISD_PxSD_S15_EEDaS11_S12_SI_SN_EUlS11_E_NS1_11comp_targetILNS1_3genE5ELNS1_11target_archE942ELNS1_3gpuE9ELNS1_3repE0EEENS1_47radix_sort_onesweep_sort_config_static_selectorELNS0_4arch9wavefront6targetE1EEEvSI_,"axG",@progbits,_ZN7rocprim17ROCPRIM_400000_NS6detail17trampoline_kernelINS0_14default_configENS1_35radix_sort_onesweep_config_selectorIxxEEZZNS1_29radix_sort_onesweep_iterationIS3_Lb0EN6thrust23THRUST_200600_302600_NS6detail15normal_iteratorINS8_10device_ptrIxEEEESD_SD_SD_jNS0_19identity_decomposerENS1_16block_id_wrapperIjLb0EEEEE10hipError_tT1_PNSt15iterator_traitsISI_E10value_typeET2_T3_PNSJ_ISO_E10value_typeET4_T5_PST_SU_PNS1_23onesweep_lookback_stateEbbT6_jjT7_P12ihipStream_tbENKUlT_T0_SI_SN_E_clISD_PxSD_S15_EEDaS11_S12_SI_SN_EUlS11_E_NS1_11comp_targetILNS1_3genE5ELNS1_11target_archE942ELNS1_3gpuE9ELNS1_3repE0EEENS1_47radix_sort_onesweep_sort_config_static_selectorELNS0_4arch9wavefront6targetE1EEEvSI_,comdat
.Lfunc_end1235:
	.size	_ZN7rocprim17ROCPRIM_400000_NS6detail17trampoline_kernelINS0_14default_configENS1_35radix_sort_onesweep_config_selectorIxxEEZZNS1_29radix_sort_onesweep_iterationIS3_Lb0EN6thrust23THRUST_200600_302600_NS6detail15normal_iteratorINS8_10device_ptrIxEEEESD_SD_SD_jNS0_19identity_decomposerENS1_16block_id_wrapperIjLb0EEEEE10hipError_tT1_PNSt15iterator_traitsISI_E10value_typeET2_T3_PNSJ_ISO_E10value_typeET4_T5_PST_SU_PNS1_23onesweep_lookback_stateEbbT6_jjT7_P12ihipStream_tbENKUlT_T0_SI_SN_E_clISD_PxSD_S15_EEDaS11_S12_SI_SN_EUlS11_E_NS1_11comp_targetILNS1_3genE5ELNS1_11target_archE942ELNS1_3gpuE9ELNS1_3repE0EEENS1_47radix_sort_onesweep_sort_config_static_selectorELNS0_4arch9wavefront6targetE1EEEvSI_, .Lfunc_end1235-_ZN7rocprim17ROCPRIM_400000_NS6detail17trampoline_kernelINS0_14default_configENS1_35radix_sort_onesweep_config_selectorIxxEEZZNS1_29radix_sort_onesweep_iterationIS3_Lb0EN6thrust23THRUST_200600_302600_NS6detail15normal_iteratorINS8_10device_ptrIxEEEESD_SD_SD_jNS0_19identity_decomposerENS1_16block_id_wrapperIjLb0EEEEE10hipError_tT1_PNSt15iterator_traitsISI_E10value_typeET2_T3_PNSJ_ISO_E10value_typeET4_T5_PST_SU_PNS1_23onesweep_lookback_stateEbbT6_jjT7_P12ihipStream_tbENKUlT_T0_SI_SN_E_clISD_PxSD_S15_EEDaS11_S12_SI_SN_EUlS11_E_NS1_11comp_targetILNS1_3genE5ELNS1_11target_archE942ELNS1_3gpuE9ELNS1_3repE0EEENS1_47radix_sort_onesweep_sort_config_static_selectorELNS0_4arch9wavefront6targetE1EEEvSI_
                                        ; -- End function
	.set _ZN7rocprim17ROCPRIM_400000_NS6detail17trampoline_kernelINS0_14default_configENS1_35radix_sort_onesweep_config_selectorIxxEEZZNS1_29radix_sort_onesweep_iterationIS3_Lb0EN6thrust23THRUST_200600_302600_NS6detail15normal_iteratorINS8_10device_ptrIxEEEESD_SD_SD_jNS0_19identity_decomposerENS1_16block_id_wrapperIjLb0EEEEE10hipError_tT1_PNSt15iterator_traitsISI_E10value_typeET2_T3_PNSJ_ISO_E10value_typeET4_T5_PST_SU_PNS1_23onesweep_lookback_stateEbbT6_jjT7_P12ihipStream_tbENKUlT_T0_SI_SN_E_clISD_PxSD_S15_EEDaS11_S12_SI_SN_EUlS11_E_NS1_11comp_targetILNS1_3genE5ELNS1_11target_archE942ELNS1_3gpuE9ELNS1_3repE0EEENS1_47radix_sort_onesweep_sort_config_static_selectorELNS0_4arch9wavefront6targetE1EEEvSI_.num_vgpr, 0
	.set _ZN7rocprim17ROCPRIM_400000_NS6detail17trampoline_kernelINS0_14default_configENS1_35radix_sort_onesweep_config_selectorIxxEEZZNS1_29radix_sort_onesweep_iterationIS3_Lb0EN6thrust23THRUST_200600_302600_NS6detail15normal_iteratorINS8_10device_ptrIxEEEESD_SD_SD_jNS0_19identity_decomposerENS1_16block_id_wrapperIjLb0EEEEE10hipError_tT1_PNSt15iterator_traitsISI_E10value_typeET2_T3_PNSJ_ISO_E10value_typeET4_T5_PST_SU_PNS1_23onesweep_lookback_stateEbbT6_jjT7_P12ihipStream_tbENKUlT_T0_SI_SN_E_clISD_PxSD_S15_EEDaS11_S12_SI_SN_EUlS11_E_NS1_11comp_targetILNS1_3genE5ELNS1_11target_archE942ELNS1_3gpuE9ELNS1_3repE0EEENS1_47radix_sort_onesweep_sort_config_static_selectorELNS0_4arch9wavefront6targetE1EEEvSI_.num_agpr, 0
	.set _ZN7rocprim17ROCPRIM_400000_NS6detail17trampoline_kernelINS0_14default_configENS1_35radix_sort_onesweep_config_selectorIxxEEZZNS1_29radix_sort_onesweep_iterationIS3_Lb0EN6thrust23THRUST_200600_302600_NS6detail15normal_iteratorINS8_10device_ptrIxEEEESD_SD_SD_jNS0_19identity_decomposerENS1_16block_id_wrapperIjLb0EEEEE10hipError_tT1_PNSt15iterator_traitsISI_E10value_typeET2_T3_PNSJ_ISO_E10value_typeET4_T5_PST_SU_PNS1_23onesweep_lookback_stateEbbT6_jjT7_P12ihipStream_tbENKUlT_T0_SI_SN_E_clISD_PxSD_S15_EEDaS11_S12_SI_SN_EUlS11_E_NS1_11comp_targetILNS1_3genE5ELNS1_11target_archE942ELNS1_3gpuE9ELNS1_3repE0EEENS1_47radix_sort_onesweep_sort_config_static_selectorELNS0_4arch9wavefront6targetE1EEEvSI_.numbered_sgpr, 0
	.set _ZN7rocprim17ROCPRIM_400000_NS6detail17trampoline_kernelINS0_14default_configENS1_35radix_sort_onesweep_config_selectorIxxEEZZNS1_29radix_sort_onesweep_iterationIS3_Lb0EN6thrust23THRUST_200600_302600_NS6detail15normal_iteratorINS8_10device_ptrIxEEEESD_SD_SD_jNS0_19identity_decomposerENS1_16block_id_wrapperIjLb0EEEEE10hipError_tT1_PNSt15iterator_traitsISI_E10value_typeET2_T3_PNSJ_ISO_E10value_typeET4_T5_PST_SU_PNS1_23onesweep_lookback_stateEbbT6_jjT7_P12ihipStream_tbENKUlT_T0_SI_SN_E_clISD_PxSD_S15_EEDaS11_S12_SI_SN_EUlS11_E_NS1_11comp_targetILNS1_3genE5ELNS1_11target_archE942ELNS1_3gpuE9ELNS1_3repE0EEENS1_47radix_sort_onesweep_sort_config_static_selectorELNS0_4arch9wavefront6targetE1EEEvSI_.num_named_barrier, 0
	.set _ZN7rocprim17ROCPRIM_400000_NS6detail17trampoline_kernelINS0_14default_configENS1_35radix_sort_onesweep_config_selectorIxxEEZZNS1_29radix_sort_onesweep_iterationIS3_Lb0EN6thrust23THRUST_200600_302600_NS6detail15normal_iteratorINS8_10device_ptrIxEEEESD_SD_SD_jNS0_19identity_decomposerENS1_16block_id_wrapperIjLb0EEEEE10hipError_tT1_PNSt15iterator_traitsISI_E10value_typeET2_T3_PNSJ_ISO_E10value_typeET4_T5_PST_SU_PNS1_23onesweep_lookback_stateEbbT6_jjT7_P12ihipStream_tbENKUlT_T0_SI_SN_E_clISD_PxSD_S15_EEDaS11_S12_SI_SN_EUlS11_E_NS1_11comp_targetILNS1_3genE5ELNS1_11target_archE942ELNS1_3gpuE9ELNS1_3repE0EEENS1_47radix_sort_onesweep_sort_config_static_selectorELNS0_4arch9wavefront6targetE1EEEvSI_.private_seg_size, 0
	.set _ZN7rocprim17ROCPRIM_400000_NS6detail17trampoline_kernelINS0_14default_configENS1_35radix_sort_onesweep_config_selectorIxxEEZZNS1_29radix_sort_onesweep_iterationIS3_Lb0EN6thrust23THRUST_200600_302600_NS6detail15normal_iteratorINS8_10device_ptrIxEEEESD_SD_SD_jNS0_19identity_decomposerENS1_16block_id_wrapperIjLb0EEEEE10hipError_tT1_PNSt15iterator_traitsISI_E10value_typeET2_T3_PNSJ_ISO_E10value_typeET4_T5_PST_SU_PNS1_23onesweep_lookback_stateEbbT6_jjT7_P12ihipStream_tbENKUlT_T0_SI_SN_E_clISD_PxSD_S15_EEDaS11_S12_SI_SN_EUlS11_E_NS1_11comp_targetILNS1_3genE5ELNS1_11target_archE942ELNS1_3gpuE9ELNS1_3repE0EEENS1_47radix_sort_onesweep_sort_config_static_selectorELNS0_4arch9wavefront6targetE1EEEvSI_.uses_vcc, 0
	.set _ZN7rocprim17ROCPRIM_400000_NS6detail17trampoline_kernelINS0_14default_configENS1_35radix_sort_onesweep_config_selectorIxxEEZZNS1_29radix_sort_onesweep_iterationIS3_Lb0EN6thrust23THRUST_200600_302600_NS6detail15normal_iteratorINS8_10device_ptrIxEEEESD_SD_SD_jNS0_19identity_decomposerENS1_16block_id_wrapperIjLb0EEEEE10hipError_tT1_PNSt15iterator_traitsISI_E10value_typeET2_T3_PNSJ_ISO_E10value_typeET4_T5_PST_SU_PNS1_23onesweep_lookback_stateEbbT6_jjT7_P12ihipStream_tbENKUlT_T0_SI_SN_E_clISD_PxSD_S15_EEDaS11_S12_SI_SN_EUlS11_E_NS1_11comp_targetILNS1_3genE5ELNS1_11target_archE942ELNS1_3gpuE9ELNS1_3repE0EEENS1_47radix_sort_onesweep_sort_config_static_selectorELNS0_4arch9wavefront6targetE1EEEvSI_.uses_flat_scratch, 0
	.set _ZN7rocprim17ROCPRIM_400000_NS6detail17trampoline_kernelINS0_14default_configENS1_35radix_sort_onesweep_config_selectorIxxEEZZNS1_29radix_sort_onesweep_iterationIS3_Lb0EN6thrust23THRUST_200600_302600_NS6detail15normal_iteratorINS8_10device_ptrIxEEEESD_SD_SD_jNS0_19identity_decomposerENS1_16block_id_wrapperIjLb0EEEEE10hipError_tT1_PNSt15iterator_traitsISI_E10value_typeET2_T3_PNSJ_ISO_E10value_typeET4_T5_PST_SU_PNS1_23onesweep_lookback_stateEbbT6_jjT7_P12ihipStream_tbENKUlT_T0_SI_SN_E_clISD_PxSD_S15_EEDaS11_S12_SI_SN_EUlS11_E_NS1_11comp_targetILNS1_3genE5ELNS1_11target_archE942ELNS1_3gpuE9ELNS1_3repE0EEENS1_47radix_sort_onesweep_sort_config_static_selectorELNS0_4arch9wavefront6targetE1EEEvSI_.has_dyn_sized_stack, 0
	.set _ZN7rocprim17ROCPRIM_400000_NS6detail17trampoline_kernelINS0_14default_configENS1_35radix_sort_onesweep_config_selectorIxxEEZZNS1_29radix_sort_onesweep_iterationIS3_Lb0EN6thrust23THRUST_200600_302600_NS6detail15normal_iteratorINS8_10device_ptrIxEEEESD_SD_SD_jNS0_19identity_decomposerENS1_16block_id_wrapperIjLb0EEEEE10hipError_tT1_PNSt15iterator_traitsISI_E10value_typeET2_T3_PNSJ_ISO_E10value_typeET4_T5_PST_SU_PNS1_23onesweep_lookback_stateEbbT6_jjT7_P12ihipStream_tbENKUlT_T0_SI_SN_E_clISD_PxSD_S15_EEDaS11_S12_SI_SN_EUlS11_E_NS1_11comp_targetILNS1_3genE5ELNS1_11target_archE942ELNS1_3gpuE9ELNS1_3repE0EEENS1_47radix_sort_onesweep_sort_config_static_selectorELNS0_4arch9wavefront6targetE1EEEvSI_.has_recursion, 0
	.set _ZN7rocprim17ROCPRIM_400000_NS6detail17trampoline_kernelINS0_14default_configENS1_35radix_sort_onesweep_config_selectorIxxEEZZNS1_29radix_sort_onesweep_iterationIS3_Lb0EN6thrust23THRUST_200600_302600_NS6detail15normal_iteratorINS8_10device_ptrIxEEEESD_SD_SD_jNS0_19identity_decomposerENS1_16block_id_wrapperIjLb0EEEEE10hipError_tT1_PNSt15iterator_traitsISI_E10value_typeET2_T3_PNSJ_ISO_E10value_typeET4_T5_PST_SU_PNS1_23onesweep_lookback_stateEbbT6_jjT7_P12ihipStream_tbENKUlT_T0_SI_SN_E_clISD_PxSD_S15_EEDaS11_S12_SI_SN_EUlS11_E_NS1_11comp_targetILNS1_3genE5ELNS1_11target_archE942ELNS1_3gpuE9ELNS1_3repE0EEENS1_47radix_sort_onesweep_sort_config_static_selectorELNS0_4arch9wavefront6targetE1EEEvSI_.has_indirect_call, 0
	.section	.AMDGPU.csdata,"",@progbits
; Kernel info:
; codeLenInByte = 0
; TotalNumSgprs: 6
; NumVgprs: 0
; NumAgprs: 0
; TotalNumVgprs: 0
; ScratchSize: 0
; MemoryBound: 0
; FloatMode: 240
; IeeeMode: 1
; LDSByteSize: 0 bytes/workgroup (compile time only)
; SGPRBlocks: 0
; VGPRBlocks: 0
; NumSGPRsForWavesPerEU: 6
; NumVGPRsForWavesPerEU: 1
; AccumOffset: 4
; Occupancy: 8
; WaveLimiterHint : 0
; COMPUTE_PGM_RSRC2:SCRATCH_EN: 0
; COMPUTE_PGM_RSRC2:USER_SGPR: 2
; COMPUTE_PGM_RSRC2:TRAP_HANDLER: 0
; COMPUTE_PGM_RSRC2:TGID_X_EN: 1
; COMPUTE_PGM_RSRC2:TGID_Y_EN: 0
; COMPUTE_PGM_RSRC2:TGID_Z_EN: 0
; COMPUTE_PGM_RSRC2:TIDIG_COMP_CNT: 0
; COMPUTE_PGM_RSRC3_GFX90A:ACCUM_OFFSET: 0
; COMPUTE_PGM_RSRC3_GFX90A:TG_SPLIT: 0
	.section	.text._ZN7rocprim17ROCPRIM_400000_NS6detail17trampoline_kernelINS0_14default_configENS1_35radix_sort_onesweep_config_selectorIxxEEZZNS1_29radix_sort_onesweep_iterationIS3_Lb0EN6thrust23THRUST_200600_302600_NS6detail15normal_iteratorINS8_10device_ptrIxEEEESD_SD_SD_jNS0_19identity_decomposerENS1_16block_id_wrapperIjLb0EEEEE10hipError_tT1_PNSt15iterator_traitsISI_E10value_typeET2_T3_PNSJ_ISO_E10value_typeET4_T5_PST_SU_PNS1_23onesweep_lookback_stateEbbT6_jjT7_P12ihipStream_tbENKUlT_T0_SI_SN_E_clISD_PxSD_S15_EEDaS11_S12_SI_SN_EUlS11_E_NS1_11comp_targetILNS1_3genE2ELNS1_11target_archE906ELNS1_3gpuE6ELNS1_3repE0EEENS1_47radix_sort_onesweep_sort_config_static_selectorELNS0_4arch9wavefront6targetE1EEEvSI_,"axG",@progbits,_ZN7rocprim17ROCPRIM_400000_NS6detail17trampoline_kernelINS0_14default_configENS1_35radix_sort_onesweep_config_selectorIxxEEZZNS1_29radix_sort_onesweep_iterationIS3_Lb0EN6thrust23THRUST_200600_302600_NS6detail15normal_iteratorINS8_10device_ptrIxEEEESD_SD_SD_jNS0_19identity_decomposerENS1_16block_id_wrapperIjLb0EEEEE10hipError_tT1_PNSt15iterator_traitsISI_E10value_typeET2_T3_PNSJ_ISO_E10value_typeET4_T5_PST_SU_PNS1_23onesweep_lookback_stateEbbT6_jjT7_P12ihipStream_tbENKUlT_T0_SI_SN_E_clISD_PxSD_S15_EEDaS11_S12_SI_SN_EUlS11_E_NS1_11comp_targetILNS1_3genE2ELNS1_11target_archE906ELNS1_3gpuE6ELNS1_3repE0EEENS1_47radix_sort_onesweep_sort_config_static_selectorELNS0_4arch9wavefront6targetE1EEEvSI_,comdat
	.protected	_ZN7rocprim17ROCPRIM_400000_NS6detail17trampoline_kernelINS0_14default_configENS1_35radix_sort_onesweep_config_selectorIxxEEZZNS1_29radix_sort_onesweep_iterationIS3_Lb0EN6thrust23THRUST_200600_302600_NS6detail15normal_iteratorINS8_10device_ptrIxEEEESD_SD_SD_jNS0_19identity_decomposerENS1_16block_id_wrapperIjLb0EEEEE10hipError_tT1_PNSt15iterator_traitsISI_E10value_typeET2_T3_PNSJ_ISO_E10value_typeET4_T5_PST_SU_PNS1_23onesweep_lookback_stateEbbT6_jjT7_P12ihipStream_tbENKUlT_T0_SI_SN_E_clISD_PxSD_S15_EEDaS11_S12_SI_SN_EUlS11_E_NS1_11comp_targetILNS1_3genE2ELNS1_11target_archE906ELNS1_3gpuE6ELNS1_3repE0EEENS1_47radix_sort_onesweep_sort_config_static_selectorELNS0_4arch9wavefront6targetE1EEEvSI_ ; -- Begin function _ZN7rocprim17ROCPRIM_400000_NS6detail17trampoline_kernelINS0_14default_configENS1_35radix_sort_onesweep_config_selectorIxxEEZZNS1_29radix_sort_onesweep_iterationIS3_Lb0EN6thrust23THRUST_200600_302600_NS6detail15normal_iteratorINS8_10device_ptrIxEEEESD_SD_SD_jNS0_19identity_decomposerENS1_16block_id_wrapperIjLb0EEEEE10hipError_tT1_PNSt15iterator_traitsISI_E10value_typeET2_T3_PNSJ_ISO_E10value_typeET4_T5_PST_SU_PNS1_23onesweep_lookback_stateEbbT6_jjT7_P12ihipStream_tbENKUlT_T0_SI_SN_E_clISD_PxSD_S15_EEDaS11_S12_SI_SN_EUlS11_E_NS1_11comp_targetILNS1_3genE2ELNS1_11target_archE906ELNS1_3gpuE6ELNS1_3repE0EEENS1_47radix_sort_onesweep_sort_config_static_selectorELNS0_4arch9wavefront6targetE1EEEvSI_
	.globl	_ZN7rocprim17ROCPRIM_400000_NS6detail17trampoline_kernelINS0_14default_configENS1_35radix_sort_onesweep_config_selectorIxxEEZZNS1_29radix_sort_onesweep_iterationIS3_Lb0EN6thrust23THRUST_200600_302600_NS6detail15normal_iteratorINS8_10device_ptrIxEEEESD_SD_SD_jNS0_19identity_decomposerENS1_16block_id_wrapperIjLb0EEEEE10hipError_tT1_PNSt15iterator_traitsISI_E10value_typeET2_T3_PNSJ_ISO_E10value_typeET4_T5_PST_SU_PNS1_23onesweep_lookback_stateEbbT6_jjT7_P12ihipStream_tbENKUlT_T0_SI_SN_E_clISD_PxSD_S15_EEDaS11_S12_SI_SN_EUlS11_E_NS1_11comp_targetILNS1_3genE2ELNS1_11target_archE906ELNS1_3gpuE6ELNS1_3repE0EEENS1_47radix_sort_onesweep_sort_config_static_selectorELNS0_4arch9wavefront6targetE1EEEvSI_
	.p2align	8
	.type	_ZN7rocprim17ROCPRIM_400000_NS6detail17trampoline_kernelINS0_14default_configENS1_35radix_sort_onesweep_config_selectorIxxEEZZNS1_29radix_sort_onesweep_iterationIS3_Lb0EN6thrust23THRUST_200600_302600_NS6detail15normal_iteratorINS8_10device_ptrIxEEEESD_SD_SD_jNS0_19identity_decomposerENS1_16block_id_wrapperIjLb0EEEEE10hipError_tT1_PNSt15iterator_traitsISI_E10value_typeET2_T3_PNSJ_ISO_E10value_typeET4_T5_PST_SU_PNS1_23onesweep_lookback_stateEbbT6_jjT7_P12ihipStream_tbENKUlT_T0_SI_SN_E_clISD_PxSD_S15_EEDaS11_S12_SI_SN_EUlS11_E_NS1_11comp_targetILNS1_3genE2ELNS1_11target_archE906ELNS1_3gpuE6ELNS1_3repE0EEENS1_47radix_sort_onesweep_sort_config_static_selectorELNS0_4arch9wavefront6targetE1EEEvSI_,@function
_ZN7rocprim17ROCPRIM_400000_NS6detail17trampoline_kernelINS0_14default_configENS1_35radix_sort_onesweep_config_selectorIxxEEZZNS1_29radix_sort_onesweep_iterationIS3_Lb0EN6thrust23THRUST_200600_302600_NS6detail15normal_iteratorINS8_10device_ptrIxEEEESD_SD_SD_jNS0_19identity_decomposerENS1_16block_id_wrapperIjLb0EEEEE10hipError_tT1_PNSt15iterator_traitsISI_E10value_typeET2_T3_PNSJ_ISO_E10value_typeET4_T5_PST_SU_PNS1_23onesweep_lookback_stateEbbT6_jjT7_P12ihipStream_tbENKUlT_T0_SI_SN_E_clISD_PxSD_S15_EEDaS11_S12_SI_SN_EUlS11_E_NS1_11comp_targetILNS1_3genE2ELNS1_11target_archE906ELNS1_3gpuE6ELNS1_3repE0EEENS1_47radix_sort_onesweep_sort_config_static_selectorELNS0_4arch9wavefront6targetE1EEEvSI_: ; @_ZN7rocprim17ROCPRIM_400000_NS6detail17trampoline_kernelINS0_14default_configENS1_35radix_sort_onesweep_config_selectorIxxEEZZNS1_29radix_sort_onesweep_iterationIS3_Lb0EN6thrust23THRUST_200600_302600_NS6detail15normal_iteratorINS8_10device_ptrIxEEEESD_SD_SD_jNS0_19identity_decomposerENS1_16block_id_wrapperIjLb0EEEEE10hipError_tT1_PNSt15iterator_traitsISI_E10value_typeET2_T3_PNSJ_ISO_E10value_typeET4_T5_PST_SU_PNS1_23onesweep_lookback_stateEbbT6_jjT7_P12ihipStream_tbENKUlT_T0_SI_SN_E_clISD_PxSD_S15_EEDaS11_S12_SI_SN_EUlS11_E_NS1_11comp_targetILNS1_3genE2ELNS1_11target_archE906ELNS1_3gpuE6ELNS1_3repE0EEENS1_47radix_sort_onesweep_sort_config_static_selectorELNS0_4arch9wavefront6targetE1EEEvSI_
; %bb.0:
	.section	.rodata,"a",@progbits
	.p2align	6, 0x0
	.amdhsa_kernel _ZN7rocprim17ROCPRIM_400000_NS6detail17trampoline_kernelINS0_14default_configENS1_35radix_sort_onesweep_config_selectorIxxEEZZNS1_29radix_sort_onesweep_iterationIS3_Lb0EN6thrust23THRUST_200600_302600_NS6detail15normal_iteratorINS8_10device_ptrIxEEEESD_SD_SD_jNS0_19identity_decomposerENS1_16block_id_wrapperIjLb0EEEEE10hipError_tT1_PNSt15iterator_traitsISI_E10value_typeET2_T3_PNSJ_ISO_E10value_typeET4_T5_PST_SU_PNS1_23onesweep_lookback_stateEbbT6_jjT7_P12ihipStream_tbENKUlT_T0_SI_SN_E_clISD_PxSD_S15_EEDaS11_S12_SI_SN_EUlS11_E_NS1_11comp_targetILNS1_3genE2ELNS1_11target_archE906ELNS1_3gpuE6ELNS1_3repE0EEENS1_47radix_sort_onesweep_sort_config_static_selectorELNS0_4arch9wavefront6targetE1EEEvSI_
		.amdhsa_group_segment_fixed_size 0
		.amdhsa_private_segment_fixed_size 0
		.amdhsa_kernarg_size 88
		.amdhsa_user_sgpr_count 2
		.amdhsa_user_sgpr_dispatch_ptr 0
		.amdhsa_user_sgpr_queue_ptr 0
		.amdhsa_user_sgpr_kernarg_segment_ptr 1
		.amdhsa_user_sgpr_dispatch_id 0
		.amdhsa_user_sgpr_kernarg_preload_length 0
		.amdhsa_user_sgpr_kernarg_preload_offset 0
		.amdhsa_user_sgpr_private_segment_size 0
		.amdhsa_uses_dynamic_stack 0
		.amdhsa_enable_private_segment 0
		.amdhsa_system_sgpr_workgroup_id_x 1
		.amdhsa_system_sgpr_workgroup_id_y 0
		.amdhsa_system_sgpr_workgroup_id_z 0
		.amdhsa_system_sgpr_workgroup_info 0
		.amdhsa_system_vgpr_workitem_id 0
		.amdhsa_next_free_vgpr 1
		.amdhsa_next_free_sgpr 0
		.amdhsa_accum_offset 4
		.amdhsa_reserve_vcc 0
		.amdhsa_float_round_mode_32 0
		.amdhsa_float_round_mode_16_64 0
		.amdhsa_float_denorm_mode_32 3
		.amdhsa_float_denorm_mode_16_64 3
		.amdhsa_dx10_clamp 1
		.amdhsa_ieee_mode 1
		.amdhsa_fp16_overflow 0
		.amdhsa_tg_split 0
		.amdhsa_exception_fp_ieee_invalid_op 0
		.amdhsa_exception_fp_denorm_src 0
		.amdhsa_exception_fp_ieee_div_zero 0
		.amdhsa_exception_fp_ieee_overflow 0
		.amdhsa_exception_fp_ieee_underflow 0
		.amdhsa_exception_fp_ieee_inexact 0
		.amdhsa_exception_int_div_zero 0
	.end_amdhsa_kernel
	.section	.text._ZN7rocprim17ROCPRIM_400000_NS6detail17trampoline_kernelINS0_14default_configENS1_35radix_sort_onesweep_config_selectorIxxEEZZNS1_29radix_sort_onesweep_iterationIS3_Lb0EN6thrust23THRUST_200600_302600_NS6detail15normal_iteratorINS8_10device_ptrIxEEEESD_SD_SD_jNS0_19identity_decomposerENS1_16block_id_wrapperIjLb0EEEEE10hipError_tT1_PNSt15iterator_traitsISI_E10value_typeET2_T3_PNSJ_ISO_E10value_typeET4_T5_PST_SU_PNS1_23onesweep_lookback_stateEbbT6_jjT7_P12ihipStream_tbENKUlT_T0_SI_SN_E_clISD_PxSD_S15_EEDaS11_S12_SI_SN_EUlS11_E_NS1_11comp_targetILNS1_3genE2ELNS1_11target_archE906ELNS1_3gpuE6ELNS1_3repE0EEENS1_47radix_sort_onesweep_sort_config_static_selectorELNS0_4arch9wavefront6targetE1EEEvSI_,"axG",@progbits,_ZN7rocprim17ROCPRIM_400000_NS6detail17trampoline_kernelINS0_14default_configENS1_35radix_sort_onesweep_config_selectorIxxEEZZNS1_29radix_sort_onesweep_iterationIS3_Lb0EN6thrust23THRUST_200600_302600_NS6detail15normal_iteratorINS8_10device_ptrIxEEEESD_SD_SD_jNS0_19identity_decomposerENS1_16block_id_wrapperIjLb0EEEEE10hipError_tT1_PNSt15iterator_traitsISI_E10value_typeET2_T3_PNSJ_ISO_E10value_typeET4_T5_PST_SU_PNS1_23onesweep_lookback_stateEbbT6_jjT7_P12ihipStream_tbENKUlT_T0_SI_SN_E_clISD_PxSD_S15_EEDaS11_S12_SI_SN_EUlS11_E_NS1_11comp_targetILNS1_3genE2ELNS1_11target_archE906ELNS1_3gpuE6ELNS1_3repE0EEENS1_47radix_sort_onesweep_sort_config_static_selectorELNS0_4arch9wavefront6targetE1EEEvSI_,comdat
.Lfunc_end1236:
	.size	_ZN7rocprim17ROCPRIM_400000_NS6detail17trampoline_kernelINS0_14default_configENS1_35radix_sort_onesweep_config_selectorIxxEEZZNS1_29radix_sort_onesweep_iterationIS3_Lb0EN6thrust23THRUST_200600_302600_NS6detail15normal_iteratorINS8_10device_ptrIxEEEESD_SD_SD_jNS0_19identity_decomposerENS1_16block_id_wrapperIjLb0EEEEE10hipError_tT1_PNSt15iterator_traitsISI_E10value_typeET2_T3_PNSJ_ISO_E10value_typeET4_T5_PST_SU_PNS1_23onesweep_lookback_stateEbbT6_jjT7_P12ihipStream_tbENKUlT_T0_SI_SN_E_clISD_PxSD_S15_EEDaS11_S12_SI_SN_EUlS11_E_NS1_11comp_targetILNS1_3genE2ELNS1_11target_archE906ELNS1_3gpuE6ELNS1_3repE0EEENS1_47radix_sort_onesweep_sort_config_static_selectorELNS0_4arch9wavefront6targetE1EEEvSI_, .Lfunc_end1236-_ZN7rocprim17ROCPRIM_400000_NS6detail17trampoline_kernelINS0_14default_configENS1_35radix_sort_onesweep_config_selectorIxxEEZZNS1_29radix_sort_onesweep_iterationIS3_Lb0EN6thrust23THRUST_200600_302600_NS6detail15normal_iteratorINS8_10device_ptrIxEEEESD_SD_SD_jNS0_19identity_decomposerENS1_16block_id_wrapperIjLb0EEEEE10hipError_tT1_PNSt15iterator_traitsISI_E10value_typeET2_T3_PNSJ_ISO_E10value_typeET4_T5_PST_SU_PNS1_23onesweep_lookback_stateEbbT6_jjT7_P12ihipStream_tbENKUlT_T0_SI_SN_E_clISD_PxSD_S15_EEDaS11_S12_SI_SN_EUlS11_E_NS1_11comp_targetILNS1_3genE2ELNS1_11target_archE906ELNS1_3gpuE6ELNS1_3repE0EEENS1_47radix_sort_onesweep_sort_config_static_selectorELNS0_4arch9wavefront6targetE1EEEvSI_
                                        ; -- End function
	.set _ZN7rocprim17ROCPRIM_400000_NS6detail17trampoline_kernelINS0_14default_configENS1_35radix_sort_onesweep_config_selectorIxxEEZZNS1_29radix_sort_onesweep_iterationIS3_Lb0EN6thrust23THRUST_200600_302600_NS6detail15normal_iteratorINS8_10device_ptrIxEEEESD_SD_SD_jNS0_19identity_decomposerENS1_16block_id_wrapperIjLb0EEEEE10hipError_tT1_PNSt15iterator_traitsISI_E10value_typeET2_T3_PNSJ_ISO_E10value_typeET4_T5_PST_SU_PNS1_23onesweep_lookback_stateEbbT6_jjT7_P12ihipStream_tbENKUlT_T0_SI_SN_E_clISD_PxSD_S15_EEDaS11_S12_SI_SN_EUlS11_E_NS1_11comp_targetILNS1_3genE2ELNS1_11target_archE906ELNS1_3gpuE6ELNS1_3repE0EEENS1_47radix_sort_onesweep_sort_config_static_selectorELNS0_4arch9wavefront6targetE1EEEvSI_.num_vgpr, 0
	.set _ZN7rocprim17ROCPRIM_400000_NS6detail17trampoline_kernelINS0_14default_configENS1_35radix_sort_onesweep_config_selectorIxxEEZZNS1_29radix_sort_onesweep_iterationIS3_Lb0EN6thrust23THRUST_200600_302600_NS6detail15normal_iteratorINS8_10device_ptrIxEEEESD_SD_SD_jNS0_19identity_decomposerENS1_16block_id_wrapperIjLb0EEEEE10hipError_tT1_PNSt15iterator_traitsISI_E10value_typeET2_T3_PNSJ_ISO_E10value_typeET4_T5_PST_SU_PNS1_23onesweep_lookback_stateEbbT6_jjT7_P12ihipStream_tbENKUlT_T0_SI_SN_E_clISD_PxSD_S15_EEDaS11_S12_SI_SN_EUlS11_E_NS1_11comp_targetILNS1_3genE2ELNS1_11target_archE906ELNS1_3gpuE6ELNS1_3repE0EEENS1_47radix_sort_onesweep_sort_config_static_selectorELNS0_4arch9wavefront6targetE1EEEvSI_.num_agpr, 0
	.set _ZN7rocprim17ROCPRIM_400000_NS6detail17trampoline_kernelINS0_14default_configENS1_35radix_sort_onesweep_config_selectorIxxEEZZNS1_29radix_sort_onesweep_iterationIS3_Lb0EN6thrust23THRUST_200600_302600_NS6detail15normal_iteratorINS8_10device_ptrIxEEEESD_SD_SD_jNS0_19identity_decomposerENS1_16block_id_wrapperIjLb0EEEEE10hipError_tT1_PNSt15iterator_traitsISI_E10value_typeET2_T3_PNSJ_ISO_E10value_typeET4_T5_PST_SU_PNS1_23onesweep_lookback_stateEbbT6_jjT7_P12ihipStream_tbENKUlT_T0_SI_SN_E_clISD_PxSD_S15_EEDaS11_S12_SI_SN_EUlS11_E_NS1_11comp_targetILNS1_3genE2ELNS1_11target_archE906ELNS1_3gpuE6ELNS1_3repE0EEENS1_47radix_sort_onesweep_sort_config_static_selectorELNS0_4arch9wavefront6targetE1EEEvSI_.numbered_sgpr, 0
	.set _ZN7rocprim17ROCPRIM_400000_NS6detail17trampoline_kernelINS0_14default_configENS1_35radix_sort_onesweep_config_selectorIxxEEZZNS1_29radix_sort_onesweep_iterationIS3_Lb0EN6thrust23THRUST_200600_302600_NS6detail15normal_iteratorINS8_10device_ptrIxEEEESD_SD_SD_jNS0_19identity_decomposerENS1_16block_id_wrapperIjLb0EEEEE10hipError_tT1_PNSt15iterator_traitsISI_E10value_typeET2_T3_PNSJ_ISO_E10value_typeET4_T5_PST_SU_PNS1_23onesweep_lookback_stateEbbT6_jjT7_P12ihipStream_tbENKUlT_T0_SI_SN_E_clISD_PxSD_S15_EEDaS11_S12_SI_SN_EUlS11_E_NS1_11comp_targetILNS1_3genE2ELNS1_11target_archE906ELNS1_3gpuE6ELNS1_3repE0EEENS1_47radix_sort_onesweep_sort_config_static_selectorELNS0_4arch9wavefront6targetE1EEEvSI_.num_named_barrier, 0
	.set _ZN7rocprim17ROCPRIM_400000_NS6detail17trampoline_kernelINS0_14default_configENS1_35radix_sort_onesweep_config_selectorIxxEEZZNS1_29radix_sort_onesweep_iterationIS3_Lb0EN6thrust23THRUST_200600_302600_NS6detail15normal_iteratorINS8_10device_ptrIxEEEESD_SD_SD_jNS0_19identity_decomposerENS1_16block_id_wrapperIjLb0EEEEE10hipError_tT1_PNSt15iterator_traitsISI_E10value_typeET2_T3_PNSJ_ISO_E10value_typeET4_T5_PST_SU_PNS1_23onesweep_lookback_stateEbbT6_jjT7_P12ihipStream_tbENKUlT_T0_SI_SN_E_clISD_PxSD_S15_EEDaS11_S12_SI_SN_EUlS11_E_NS1_11comp_targetILNS1_3genE2ELNS1_11target_archE906ELNS1_3gpuE6ELNS1_3repE0EEENS1_47radix_sort_onesweep_sort_config_static_selectorELNS0_4arch9wavefront6targetE1EEEvSI_.private_seg_size, 0
	.set _ZN7rocprim17ROCPRIM_400000_NS6detail17trampoline_kernelINS0_14default_configENS1_35radix_sort_onesweep_config_selectorIxxEEZZNS1_29radix_sort_onesweep_iterationIS3_Lb0EN6thrust23THRUST_200600_302600_NS6detail15normal_iteratorINS8_10device_ptrIxEEEESD_SD_SD_jNS0_19identity_decomposerENS1_16block_id_wrapperIjLb0EEEEE10hipError_tT1_PNSt15iterator_traitsISI_E10value_typeET2_T3_PNSJ_ISO_E10value_typeET4_T5_PST_SU_PNS1_23onesweep_lookback_stateEbbT6_jjT7_P12ihipStream_tbENKUlT_T0_SI_SN_E_clISD_PxSD_S15_EEDaS11_S12_SI_SN_EUlS11_E_NS1_11comp_targetILNS1_3genE2ELNS1_11target_archE906ELNS1_3gpuE6ELNS1_3repE0EEENS1_47radix_sort_onesweep_sort_config_static_selectorELNS0_4arch9wavefront6targetE1EEEvSI_.uses_vcc, 0
	.set _ZN7rocprim17ROCPRIM_400000_NS6detail17trampoline_kernelINS0_14default_configENS1_35radix_sort_onesweep_config_selectorIxxEEZZNS1_29radix_sort_onesweep_iterationIS3_Lb0EN6thrust23THRUST_200600_302600_NS6detail15normal_iteratorINS8_10device_ptrIxEEEESD_SD_SD_jNS0_19identity_decomposerENS1_16block_id_wrapperIjLb0EEEEE10hipError_tT1_PNSt15iterator_traitsISI_E10value_typeET2_T3_PNSJ_ISO_E10value_typeET4_T5_PST_SU_PNS1_23onesweep_lookback_stateEbbT6_jjT7_P12ihipStream_tbENKUlT_T0_SI_SN_E_clISD_PxSD_S15_EEDaS11_S12_SI_SN_EUlS11_E_NS1_11comp_targetILNS1_3genE2ELNS1_11target_archE906ELNS1_3gpuE6ELNS1_3repE0EEENS1_47radix_sort_onesweep_sort_config_static_selectorELNS0_4arch9wavefront6targetE1EEEvSI_.uses_flat_scratch, 0
	.set _ZN7rocprim17ROCPRIM_400000_NS6detail17trampoline_kernelINS0_14default_configENS1_35radix_sort_onesweep_config_selectorIxxEEZZNS1_29radix_sort_onesweep_iterationIS3_Lb0EN6thrust23THRUST_200600_302600_NS6detail15normal_iteratorINS8_10device_ptrIxEEEESD_SD_SD_jNS0_19identity_decomposerENS1_16block_id_wrapperIjLb0EEEEE10hipError_tT1_PNSt15iterator_traitsISI_E10value_typeET2_T3_PNSJ_ISO_E10value_typeET4_T5_PST_SU_PNS1_23onesweep_lookback_stateEbbT6_jjT7_P12ihipStream_tbENKUlT_T0_SI_SN_E_clISD_PxSD_S15_EEDaS11_S12_SI_SN_EUlS11_E_NS1_11comp_targetILNS1_3genE2ELNS1_11target_archE906ELNS1_3gpuE6ELNS1_3repE0EEENS1_47radix_sort_onesweep_sort_config_static_selectorELNS0_4arch9wavefront6targetE1EEEvSI_.has_dyn_sized_stack, 0
	.set _ZN7rocprim17ROCPRIM_400000_NS6detail17trampoline_kernelINS0_14default_configENS1_35radix_sort_onesweep_config_selectorIxxEEZZNS1_29radix_sort_onesweep_iterationIS3_Lb0EN6thrust23THRUST_200600_302600_NS6detail15normal_iteratorINS8_10device_ptrIxEEEESD_SD_SD_jNS0_19identity_decomposerENS1_16block_id_wrapperIjLb0EEEEE10hipError_tT1_PNSt15iterator_traitsISI_E10value_typeET2_T3_PNSJ_ISO_E10value_typeET4_T5_PST_SU_PNS1_23onesweep_lookback_stateEbbT6_jjT7_P12ihipStream_tbENKUlT_T0_SI_SN_E_clISD_PxSD_S15_EEDaS11_S12_SI_SN_EUlS11_E_NS1_11comp_targetILNS1_3genE2ELNS1_11target_archE906ELNS1_3gpuE6ELNS1_3repE0EEENS1_47radix_sort_onesweep_sort_config_static_selectorELNS0_4arch9wavefront6targetE1EEEvSI_.has_recursion, 0
	.set _ZN7rocprim17ROCPRIM_400000_NS6detail17trampoline_kernelINS0_14default_configENS1_35radix_sort_onesweep_config_selectorIxxEEZZNS1_29radix_sort_onesweep_iterationIS3_Lb0EN6thrust23THRUST_200600_302600_NS6detail15normal_iteratorINS8_10device_ptrIxEEEESD_SD_SD_jNS0_19identity_decomposerENS1_16block_id_wrapperIjLb0EEEEE10hipError_tT1_PNSt15iterator_traitsISI_E10value_typeET2_T3_PNSJ_ISO_E10value_typeET4_T5_PST_SU_PNS1_23onesweep_lookback_stateEbbT6_jjT7_P12ihipStream_tbENKUlT_T0_SI_SN_E_clISD_PxSD_S15_EEDaS11_S12_SI_SN_EUlS11_E_NS1_11comp_targetILNS1_3genE2ELNS1_11target_archE906ELNS1_3gpuE6ELNS1_3repE0EEENS1_47radix_sort_onesweep_sort_config_static_selectorELNS0_4arch9wavefront6targetE1EEEvSI_.has_indirect_call, 0
	.section	.AMDGPU.csdata,"",@progbits
; Kernel info:
; codeLenInByte = 0
; TotalNumSgprs: 6
; NumVgprs: 0
; NumAgprs: 0
; TotalNumVgprs: 0
; ScratchSize: 0
; MemoryBound: 0
; FloatMode: 240
; IeeeMode: 1
; LDSByteSize: 0 bytes/workgroup (compile time only)
; SGPRBlocks: 0
; VGPRBlocks: 0
; NumSGPRsForWavesPerEU: 6
; NumVGPRsForWavesPerEU: 1
; AccumOffset: 4
; Occupancy: 8
; WaveLimiterHint : 0
; COMPUTE_PGM_RSRC2:SCRATCH_EN: 0
; COMPUTE_PGM_RSRC2:USER_SGPR: 2
; COMPUTE_PGM_RSRC2:TRAP_HANDLER: 0
; COMPUTE_PGM_RSRC2:TGID_X_EN: 1
; COMPUTE_PGM_RSRC2:TGID_Y_EN: 0
; COMPUTE_PGM_RSRC2:TGID_Z_EN: 0
; COMPUTE_PGM_RSRC2:TIDIG_COMP_CNT: 0
; COMPUTE_PGM_RSRC3_GFX90A:ACCUM_OFFSET: 0
; COMPUTE_PGM_RSRC3_GFX90A:TG_SPLIT: 0
	.section	.text._ZN7rocprim17ROCPRIM_400000_NS6detail17trampoline_kernelINS0_14default_configENS1_35radix_sort_onesweep_config_selectorIxxEEZZNS1_29radix_sort_onesweep_iterationIS3_Lb0EN6thrust23THRUST_200600_302600_NS6detail15normal_iteratorINS8_10device_ptrIxEEEESD_SD_SD_jNS0_19identity_decomposerENS1_16block_id_wrapperIjLb0EEEEE10hipError_tT1_PNSt15iterator_traitsISI_E10value_typeET2_T3_PNSJ_ISO_E10value_typeET4_T5_PST_SU_PNS1_23onesweep_lookback_stateEbbT6_jjT7_P12ihipStream_tbENKUlT_T0_SI_SN_E_clISD_PxSD_S15_EEDaS11_S12_SI_SN_EUlS11_E_NS1_11comp_targetILNS1_3genE4ELNS1_11target_archE910ELNS1_3gpuE8ELNS1_3repE0EEENS1_47radix_sort_onesweep_sort_config_static_selectorELNS0_4arch9wavefront6targetE1EEEvSI_,"axG",@progbits,_ZN7rocprim17ROCPRIM_400000_NS6detail17trampoline_kernelINS0_14default_configENS1_35radix_sort_onesweep_config_selectorIxxEEZZNS1_29radix_sort_onesweep_iterationIS3_Lb0EN6thrust23THRUST_200600_302600_NS6detail15normal_iteratorINS8_10device_ptrIxEEEESD_SD_SD_jNS0_19identity_decomposerENS1_16block_id_wrapperIjLb0EEEEE10hipError_tT1_PNSt15iterator_traitsISI_E10value_typeET2_T3_PNSJ_ISO_E10value_typeET4_T5_PST_SU_PNS1_23onesweep_lookback_stateEbbT6_jjT7_P12ihipStream_tbENKUlT_T0_SI_SN_E_clISD_PxSD_S15_EEDaS11_S12_SI_SN_EUlS11_E_NS1_11comp_targetILNS1_3genE4ELNS1_11target_archE910ELNS1_3gpuE8ELNS1_3repE0EEENS1_47radix_sort_onesweep_sort_config_static_selectorELNS0_4arch9wavefront6targetE1EEEvSI_,comdat
	.protected	_ZN7rocprim17ROCPRIM_400000_NS6detail17trampoline_kernelINS0_14default_configENS1_35radix_sort_onesweep_config_selectorIxxEEZZNS1_29radix_sort_onesweep_iterationIS3_Lb0EN6thrust23THRUST_200600_302600_NS6detail15normal_iteratorINS8_10device_ptrIxEEEESD_SD_SD_jNS0_19identity_decomposerENS1_16block_id_wrapperIjLb0EEEEE10hipError_tT1_PNSt15iterator_traitsISI_E10value_typeET2_T3_PNSJ_ISO_E10value_typeET4_T5_PST_SU_PNS1_23onesweep_lookback_stateEbbT6_jjT7_P12ihipStream_tbENKUlT_T0_SI_SN_E_clISD_PxSD_S15_EEDaS11_S12_SI_SN_EUlS11_E_NS1_11comp_targetILNS1_3genE4ELNS1_11target_archE910ELNS1_3gpuE8ELNS1_3repE0EEENS1_47radix_sort_onesweep_sort_config_static_selectorELNS0_4arch9wavefront6targetE1EEEvSI_ ; -- Begin function _ZN7rocprim17ROCPRIM_400000_NS6detail17trampoline_kernelINS0_14default_configENS1_35radix_sort_onesweep_config_selectorIxxEEZZNS1_29radix_sort_onesweep_iterationIS3_Lb0EN6thrust23THRUST_200600_302600_NS6detail15normal_iteratorINS8_10device_ptrIxEEEESD_SD_SD_jNS0_19identity_decomposerENS1_16block_id_wrapperIjLb0EEEEE10hipError_tT1_PNSt15iterator_traitsISI_E10value_typeET2_T3_PNSJ_ISO_E10value_typeET4_T5_PST_SU_PNS1_23onesweep_lookback_stateEbbT6_jjT7_P12ihipStream_tbENKUlT_T0_SI_SN_E_clISD_PxSD_S15_EEDaS11_S12_SI_SN_EUlS11_E_NS1_11comp_targetILNS1_3genE4ELNS1_11target_archE910ELNS1_3gpuE8ELNS1_3repE0EEENS1_47radix_sort_onesweep_sort_config_static_selectorELNS0_4arch9wavefront6targetE1EEEvSI_
	.globl	_ZN7rocprim17ROCPRIM_400000_NS6detail17trampoline_kernelINS0_14default_configENS1_35radix_sort_onesweep_config_selectorIxxEEZZNS1_29radix_sort_onesweep_iterationIS3_Lb0EN6thrust23THRUST_200600_302600_NS6detail15normal_iteratorINS8_10device_ptrIxEEEESD_SD_SD_jNS0_19identity_decomposerENS1_16block_id_wrapperIjLb0EEEEE10hipError_tT1_PNSt15iterator_traitsISI_E10value_typeET2_T3_PNSJ_ISO_E10value_typeET4_T5_PST_SU_PNS1_23onesweep_lookback_stateEbbT6_jjT7_P12ihipStream_tbENKUlT_T0_SI_SN_E_clISD_PxSD_S15_EEDaS11_S12_SI_SN_EUlS11_E_NS1_11comp_targetILNS1_3genE4ELNS1_11target_archE910ELNS1_3gpuE8ELNS1_3repE0EEENS1_47radix_sort_onesweep_sort_config_static_selectorELNS0_4arch9wavefront6targetE1EEEvSI_
	.p2align	8
	.type	_ZN7rocprim17ROCPRIM_400000_NS6detail17trampoline_kernelINS0_14default_configENS1_35radix_sort_onesweep_config_selectorIxxEEZZNS1_29radix_sort_onesweep_iterationIS3_Lb0EN6thrust23THRUST_200600_302600_NS6detail15normal_iteratorINS8_10device_ptrIxEEEESD_SD_SD_jNS0_19identity_decomposerENS1_16block_id_wrapperIjLb0EEEEE10hipError_tT1_PNSt15iterator_traitsISI_E10value_typeET2_T3_PNSJ_ISO_E10value_typeET4_T5_PST_SU_PNS1_23onesweep_lookback_stateEbbT6_jjT7_P12ihipStream_tbENKUlT_T0_SI_SN_E_clISD_PxSD_S15_EEDaS11_S12_SI_SN_EUlS11_E_NS1_11comp_targetILNS1_3genE4ELNS1_11target_archE910ELNS1_3gpuE8ELNS1_3repE0EEENS1_47radix_sort_onesweep_sort_config_static_selectorELNS0_4arch9wavefront6targetE1EEEvSI_,@function
_ZN7rocprim17ROCPRIM_400000_NS6detail17trampoline_kernelINS0_14default_configENS1_35radix_sort_onesweep_config_selectorIxxEEZZNS1_29radix_sort_onesweep_iterationIS3_Lb0EN6thrust23THRUST_200600_302600_NS6detail15normal_iteratorINS8_10device_ptrIxEEEESD_SD_SD_jNS0_19identity_decomposerENS1_16block_id_wrapperIjLb0EEEEE10hipError_tT1_PNSt15iterator_traitsISI_E10value_typeET2_T3_PNSJ_ISO_E10value_typeET4_T5_PST_SU_PNS1_23onesweep_lookback_stateEbbT6_jjT7_P12ihipStream_tbENKUlT_T0_SI_SN_E_clISD_PxSD_S15_EEDaS11_S12_SI_SN_EUlS11_E_NS1_11comp_targetILNS1_3genE4ELNS1_11target_archE910ELNS1_3gpuE8ELNS1_3repE0EEENS1_47radix_sort_onesweep_sort_config_static_selectorELNS0_4arch9wavefront6targetE1EEEvSI_: ; @_ZN7rocprim17ROCPRIM_400000_NS6detail17trampoline_kernelINS0_14default_configENS1_35radix_sort_onesweep_config_selectorIxxEEZZNS1_29radix_sort_onesweep_iterationIS3_Lb0EN6thrust23THRUST_200600_302600_NS6detail15normal_iteratorINS8_10device_ptrIxEEEESD_SD_SD_jNS0_19identity_decomposerENS1_16block_id_wrapperIjLb0EEEEE10hipError_tT1_PNSt15iterator_traitsISI_E10value_typeET2_T3_PNSJ_ISO_E10value_typeET4_T5_PST_SU_PNS1_23onesweep_lookback_stateEbbT6_jjT7_P12ihipStream_tbENKUlT_T0_SI_SN_E_clISD_PxSD_S15_EEDaS11_S12_SI_SN_EUlS11_E_NS1_11comp_targetILNS1_3genE4ELNS1_11target_archE910ELNS1_3gpuE8ELNS1_3repE0EEENS1_47radix_sort_onesweep_sort_config_static_selectorELNS0_4arch9wavefront6targetE1EEEvSI_
; %bb.0:
	.section	.rodata,"a",@progbits
	.p2align	6, 0x0
	.amdhsa_kernel _ZN7rocprim17ROCPRIM_400000_NS6detail17trampoline_kernelINS0_14default_configENS1_35radix_sort_onesweep_config_selectorIxxEEZZNS1_29radix_sort_onesweep_iterationIS3_Lb0EN6thrust23THRUST_200600_302600_NS6detail15normal_iteratorINS8_10device_ptrIxEEEESD_SD_SD_jNS0_19identity_decomposerENS1_16block_id_wrapperIjLb0EEEEE10hipError_tT1_PNSt15iterator_traitsISI_E10value_typeET2_T3_PNSJ_ISO_E10value_typeET4_T5_PST_SU_PNS1_23onesweep_lookback_stateEbbT6_jjT7_P12ihipStream_tbENKUlT_T0_SI_SN_E_clISD_PxSD_S15_EEDaS11_S12_SI_SN_EUlS11_E_NS1_11comp_targetILNS1_3genE4ELNS1_11target_archE910ELNS1_3gpuE8ELNS1_3repE0EEENS1_47radix_sort_onesweep_sort_config_static_selectorELNS0_4arch9wavefront6targetE1EEEvSI_
		.amdhsa_group_segment_fixed_size 0
		.amdhsa_private_segment_fixed_size 0
		.amdhsa_kernarg_size 88
		.amdhsa_user_sgpr_count 2
		.amdhsa_user_sgpr_dispatch_ptr 0
		.amdhsa_user_sgpr_queue_ptr 0
		.amdhsa_user_sgpr_kernarg_segment_ptr 1
		.amdhsa_user_sgpr_dispatch_id 0
		.amdhsa_user_sgpr_kernarg_preload_length 0
		.amdhsa_user_sgpr_kernarg_preload_offset 0
		.amdhsa_user_sgpr_private_segment_size 0
		.amdhsa_uses_dynamic_stack 0
		.amdhsa_enable_private_segment 0
		.amdhsa_system_sgpr_workgroup_id_x 1
		.amdhsa_system_sgpr_workgroup_id_y 0
		.amdhsa_system_sgpr_workgroup_id_z 0
		.amdhsa_system_sgpr_workgroup_info 0
		.amdhsa_system_vgpr_workitem_id 0
		.amdhsa_next_free_vgpr 1
		.amdhsa_next_free_sgpr 0
		.amdhsa_accum_offset 4
		.amdhsa_reserve_vcc 0
		.amdhsa_float_round_mode_32 0
		.amdhsa_float_round_mode_16_64 0
		.amdhsa_float_denorm_mode_32 3
		.amdhsa_float_denorm_mode_16_64 3
		.amdhsa_dx10_clamp 1
		.amdhsa_ieee_mode 1
		.amdhsa_fp16_overflow 0
		.amdhsa_tg_split 0
		.amdhsa_exception_fp_ieee_invalid_op 0
		.amdhsa_exception_fp_denorm_src 0
		.amdhsa_exception_fp_ieee_div_zero 0
		.amdhsa_exception_fp_ieee_overflow 0
		.amdhsa_exception_fp_ieee_underflow 0
		.amdhsa_exception_fp_ieee_inexact 0
		.amdhsa_exception_int_div_zero 0
	.end_amdhsa_kernel
	.section	.text._ZN7rocprim17ROCPRIM_400000_NS6detail17trampoline_kernelINS0_14default_configENS1_35radix_sort_onesweep_config_selectorIxxEEZZNS1_29radix_sort_onesweep_iterationIS3_Lb0EN6thrust23THRUST_200600_302600_NS6detail15normal_iteratorINS8_10device_ptrIxEEEESD_SD_SD_jNS0_19identity_decomposerENS1_16block_id_wrapperIjLb0EEEEE10hipError_tT1_PNSt15iterator_traitsISI_E10value_typeET2_T3_PNSJ_ISO_E10value_typeET4_T5_PST_SU_PNS1_23onesweep_lookback_stateEbbT6_jjT7_P12ihipStream_tbENKUlT_T0_SI_SN_E_clISD_PxSD_S15_EEDaS11_S12_SI_SN_EUlS11_E_NS1_11comp_targetILNS1_3genE4ELNS1_11target_archE910ELNS1_3gpuE8ELNS1_3repE0EEENS1_47radix_sort_onesweep_sort_config_static_selectorELNS0_4arch9wavefront6targetE1EEEvSI_,"axG",@progbits,_ZN7rocprim17ROCPRIM_400000_NS6detail17trampoline_kernelINS0_14default_configENS1_35radix_sort_onesweep_config_selectorIxxEEZZNS1_29radix_sort_onesweep_iterationIS3_Lb0EN6thrust23THRUST_200600_302600_NS6detail15normal_iteratorINS8_10device_ptrIxEEEESD_SD_SD_jNS0_19identity_decomposerENS1_16block_id_wrapperIjLb0EEEEE10hipError_tT1_PNSt15iterator_traitsISI_E10value_typeET2_T3_PNSJ_ISO_E10value_typeET4_T5_PST_SU_PNS1_23onesweep_lookback_stateEbbT6_jjT7_P12ihipStream_tbENKUlT_T0_SI_SN_E_clISD_PxSD_S15_EEDaS11_S12_SI_SN_EUlS11_E_NS1_11comp_targetILNS1_3genE4ELNS1_11target_archE910ELNS1_3gpuE8ELNS1_3repE0EEENS1_47radix_sort_onesweep_sort_config_static_selectorELNS0_4arch9wavefront6targetE1EEEvSI_,comdat
.Lfunc_end1237:
	.size	_ZN7rocprim17ROCPRIM_400000_NS6detail17trampoline_kernelINS0_14default_configENS1_35radix_sort_onesweep_config_selectorIxxEEZZNS1_29radix_sort_onesweep_iterationIS3_Lb0EN6thrust23THRUST_200600_302600_NS6detail15normal_iteratorINS8_10device_ptrIxEEEESD_SD_SD_jNS0_19identity_decomposerENS1_16block_id_wrapperIjLb0EEEEE10hipError_tT1_PNSt15iterator_traitsISI_E10value_typeET2_T3_PNSJ_ISO_E10value_typeET4_T5_PST_SU_PNS1_23onesweep_lookback_stateEbbT6_jjT7_P12ihipStream_tbENKUlT_T0_SI_SN_E_clISD_PxSD_S15_EEDaS11_S12_SI_SN_EUlS11_E_NS1_11comp_targetILNS1_3genE4ELNS1_11target_archE910ELNS1_3gpuE8ELNS1_3repE0EEENS1_47radix_sort_onesweep_sort_config_static_selectorELNS0_4arch9wavefront6targetE1EEEvSI_, .Lfunc_end1237-_ZN7rocprim17ROCPRIM_400000_NS6detail17trampoline_kernelINS0_14default_configENS1_35radix_sort_onesweep_config_selectorIxxEEZZNS1_29radix_sort_onesweep_iterationIS3_Lb0EN6thrust23THRUST_200600_302600_NS6detail15normal_iteratorINS8_10device_ptrIxEEEESD_SD_SD_jNS0_19identity_decomposerENS1_16block_id_wrapperIjLb0EEEEE10hipError_tT1_PNSt15iterator_traitsISI_E10value_typeET2_T3_PNSJ_ISO_E10value_typeET4_T5_PST_SU_PNS1_23onesweep_lookback_stateEbbT6_jjT7_P12ihipStream_tbENKUlT_T0_SI_SN_E_clISD_PxSD_S15_EEDaS11_S12_SI_SN_EUlS11_E_NS1_11comp_targetILNS1_3genE4ELNS1_11target_archE910ELNS1_3gpuE8ELNS1_3repE0EEENS1_47radix_sort_onesweep_sort_config_static_selectorELNS0_4arch9wavefront6targetE1EEEvSI_
                                        ; -- End function
	.set _ZN7rocprim17ROCPRIM_400000_NS6detail17trampoline_kernelINS0_14default_configENS1_35radix_sort_onesweep_config_selectorIxxEEZZNS1_29radix_sort_onesweep_iterationIS3_Lb0EN6thrust23THRUST_200600_302600_NS6detail15normal_iteratorINS8_10device_ptrIxEEEESD_SD_SD_jNS0_19identity_decomposerENS1_16block_id_wrapperIjLb0EEEEE10hipError_tT1_PNSt15iterator_traitsISI_E10value_typeET2_T3_PNSJ_ISO_E10value_typeET4_T5_PST_SU_PNS1_23onesweep_lookback_stateEbbT6_jjT7_P12ihipStream_tbENKUlT_T0_SI_SN_E_clISD_PxSD_S15_EEDaS11_S12_SI_SN_EUlS11_E_NS1_11comp_targetILNS1_3genE4ELNS1_11target_archE910ELNS1_3gpuE8ELNS1_3repE0EEENS1_47radix_sort_onesweep_sort_config_static_selectorELNS0_4arch9wavefront6targetE1EEEvSI_.num_vgpr, 0
	.set _ZN7rocprim17ROCPRIM_400000_NS6detail17trampoline_kernelINS0_14default_configENS1_35radix_sort_onesweep_config_selectorIxxEEZZNS1_29radix_sort_onesweep_iterationIS3_Lb0EN6thrust23THRUST_200600_302600_NS6detail15normal_iteratorINS8_10device_ptrIxEEEESD_SD_SD_jNS0_19identity_decomposerENS1_16block_id_wrapperIjLb0EEEEE10hipError_tT1_PNSt15iterator_traitsISI_E10value_typeET2_T3_PNSJ_ISO_E10value_typeET4_T5_PST_SU_PNS1_23onesweep_lookback_stateEbbT6_jjT7_P12ihipStream_tbENKUlT_T0_SI_SN_E_clISD_PxSD_S15_EEDaS11_S12_SI_SN_EUlS11_E_NS1_11comp_targetILNS1_3genE4ELNS1_11target_archE910ELNS1_3gpuE8ELNS1_3repE0EEENS1_47radix_sort_onesweep_sort_config_static_selectorELNS0_4arch9wavefront6targetE1EEEvSI_.num_agpr, 0
	.set _ZN7rocprim17ROCPRIM_400000_NS6detail17trampoline_kernelINS0_14default_configENS1_35radix_sort_onesweep_config_selectorIxxEEZZNS1_29radix_sort_onesweep_iterationIS3_Lb0EN6thrust23THRUST_200600_302600_NS6detail15normal_iteratorINS8_10device_ptrIxEEEESD_SD_SD_jNS0_19identity_decomposerENS1_16block_id_wrapperIjLb0EEEEE10hipError_tT1_PNSt15iterator_traitsISI_E10value_typeET2_T3_PNSJ_ISO_E10value_typeET4_T5_PST_SU_PNS1_23onesweep_lookback_stateEbbT6_jjT7_P12ihipStream_tbENKUlT_T0_SI_SN_E_clISD_PxSD_S15_EEDaS11_S12_SI_SN_EUlS11_E_NS1_11comp_targetILNS1_3genE4ELNS1_11target_archE910ELNS1_3gpuE8ELNS1_3repE0EEENS1_47radix_sort_onesweep_sort_config_static_selectorELNS0_4arch9wavefront6targetE1EEEvSI_.numbered_sgpr, 0
	.set _ZN7rocprim17ROCPRIM_400000_NS6detail17trampoline_kernelINS0_14default_configENS1_35radix_sort_onesweep_config_selectorIxxEEZZNS1_29radix_sort_onesweep_iterationIS3_Lb0EN6thrust23THRUST_200600_302600_NS6detail15normal_iteratorINS8_10device_ptrIxEEEESD_SD_SD_jNS0_19identity_decomposerENS1_16block_id_wrapperIjLb0EEEEE10hipError_tT1_PNSt15iterator_traitsISI_E10value_typeET2_T3_PNSJ_ISO_E10value_typeET4_T5_PST_SU_PNS1_23onesweep_lookback_stateEbbT6_jjT7_P12ihipStream_tbENKUlT_T0_SI_SN_E_clISD_PxSD_S15_EEDaS11_S12_SI_SN_EUlS11_E_NS1_11comp_targetILNS1_3genE4ELNS1_11target_archE910ELNS1_3gpuE8ELNS1_3repE0EEENS1_47radix_sort_onesweep_sort_config_static_selectorELNS0_4arch9wavefront6targetE1EEEvSI_.num_named_barrier, 0
	.set _ZN7rocprim17ROCPRIM_400000_NS6detail17trampoline_kernelINS0_14default_configENS1_35radix_sort_onesweep_config_selectorIxxEEZZNS1_29radix_sort_onesweep_iterationIS3_Lb0EN6thrust23THRUST_200600_302600_NS6detail15normal_iteratorINS8_10device_ptrIxEEEESD_SD_SD_jNS0_19identity_decomposerENS1_16block_id_wrapperIjLb0EEEEE10hipError_tT1_PNSt15iterator_traitsISI_E10value_typeET2_T3_PNSJ_ISO_E10value_typeET4_T5_PST_SU_PNS1_23onesweep_lookback_stateEbbT6_jjT7_P12ihipStream_tbENKUlT_T0_SI_SN_E_clISD_PxSD_S15_EEDaS11_S12_SI_SN_EUlS11_E_NS1_11comp_targetILNS1_3genE4ELNS1_11target_archE910ELNS1_3gpuE8ELNS1_3repE0EEENS1_47radix_sort_onesweep_sort_config_static_selectorELNS0_4arch9wavefront6targetE1EEEvSI_.private_seg_size, 0
	.set _ZN7rocprim17ROCPRIM_400000_NS6detail17trampoline_kernelINS0_14default_configENS1_35radix_sort_onesweep_config_selectorIxxEEZZNS1_29radix_sort_onesweep_iterationIS3_Lb0EN6thrust23THRUST_200600_302600_NS6detail15normal_iteratorINS8_10device_ptrIxEEEESD_SD_SD_jNS0_19identity_decomposerENS1_16block_id_wrapperIjLb0EEEEE10hipError_tT1_PNSt15iterator_traitsISI_E10value_typeET2_T3_PNSJ_ISO_E10value_typeET4_T5_PST_SU_PNS1_23onesweep_lookback_stateEbbT6_jjT7_P12ihipStream_tbENKUlT_T0_SI_SN_E_clISD_PxSD_S15_EEDaS11_S12_SI_SN_EUlS11_E_NS1_11comp_targetILNS1_3genE4ELNS1_11target_archE910ELNS1_3gpuE8ELNS1_3repE0EEENS1_47radix_sort_onesweep_sort_config_static_selectorELNS0_4arch9wavefront6targetE1EEEvSI_.uses_vcc, 0
	.set _ZN7rocprim17ROCPRIM_400000_NS6detail17trampoline_kernelINS0_14default_configENS1_35radix_sort_onesweep_config_selectorIxxEEZZNS1_29radix_sort_onesweep_iterationIS3_Lb0EN6thrust23THRUST_200600_302600_NS6detail15normal_iteratorINS8_10device_ptrIxEEEESD_SD_SD_jNS0_19identity_decomposerENS1_16block_id_wrapperIjLb0EEEEE10hipError_tT1_PNSt15iterator_traitsISI_E10value_typeET2_T3_PNSJ_ISO_E10value_typeET4_T5_PST_SU_PNS1_23onesweep_lookback_stateEbbT6_jjT7_P12ihipStream_tbENKUlT_T0_SI_SN_E_clISD_PxSD_S15_EEDaS11_S12_SI_SN_EUlS11_E_NS1_11comp_targetILNS1_3genE4ELNS1_11target_archE910ELNS1_3gpuE8ELNS1_3repE0EEENS1_47radix_sort_onesweep_sort_config_static_selectorELNS0_4arch9wavefront6targetE1EEEvSI_.uses_flat_scratch, 0
	.set _ZN7rocprim17ROCPRIM_400000_NS6detail17trampoline_kernelINS0_14default_configENS1_35radix_sort_onesweep_config_selectorIxxEEZZNS1_29radix_sort_onesweep_iterationIS3_Lb0EN6thrust23THRUST_200600_302600_NS6detail15normal_iteratorINS8_10device_ptrIxEEEESD_SD_SD_jNS0_19identity_decomposerENS1_16block_id_wrapperIjLb0EEEEE10hipError_tT1_PNSt15iterator_traitsISI_E10value_typeET2_T3_PNSJ_ISO_E10value_typeET4_T5_PST_SU_PNS1_23onesweep_lookback_stateEbbT6_jjT7_P12ihipStream_tbENKUlT_T0_SI_SN_E_clISD_PxSD_S15_EEDaS11_S12_SI_SN_EUlS11_E_NS1_11comp_targetILNS1_3genE4ELNS1_11target_archE910ELNS1_3gpuE8ELNS1_3repE0EEENS1_47radix_sort_onesweep_sort_config_static_selectorELNS0_4arch9wavefront6targetE1EEEvSI_.has_dyn_sized_stack, 0
	.set _ZN7rocprim17ROCPRIM_400000_NS6detail17trampoline_kernelINS0_14default_configENS1_35radix_sort_onesweep_config_selectorIxxEEZZNS1_29radix_sort_onesweep_iterationIS3_Lb0EN6thrust23THRUST_200600_302600_NS6detail15normal_iteratorINS8_10device_ptrIxEEEESD_SD_SD_jNS0_19identity_decomposerENS1_16block_id_wrapperIjLb0EEEEE10hipError_tT1_PNSt15iterator_traitsISI_E10value_typeET2_T3_PNSJ_ISO_E10value_typeET4_T5_PST_SU_PNS1_23onesweep_lookback_stateEbbT6_jjT7_P12ihipStream_tbENKUlT_T0_SI_SN_E_clISD_PxSD_S15_EEDaS11_S12_SI_SN_EUlS11_E_NS1_11comp_targetILNS1_3genE4ELNS1_11target_archE910ELNS1_3gpuE8ELNS1_3repE0EEENS1_47radix_sort_onesweep_sort_config_static_selectorELNS0_4arch9wavefront6targetE1EEEvSI_.has_recursion, 0
	.set _ZN7rocprim17ROCPRIM_400000_NS6detail17trampoline_kernelINS0_14default_configENS1_35radix_sort_onesweep_config_selectorIxxEEZZNS1_29radix_sort_onesweep_iterationIS3_Lb0EN6thrust23THRUST_200600_302600_NS6detail15normal_iteratorINS8_10device_ptrIxEEEESD_SD_SD_jNS0_19identity_decomposerENS1_16block_id_wrapperIjLb0EEEEE10hipError_tT1_PNSt15iterator_traitsISI_E10value_typeET2_T3_PNSJ_ISO_E10value_typeET4_T5_PST_SU_PNS1_23onesweep_lookback_stateEbbT6_jjT7_P12ihipStream_tbENKUlT_T0_SI_SN_E_clISD_PxSD_S15_EEDaS11_S12_SI_SN_EUlS11_E_NS1_11comp_targetILNS1_3genE4ELNS1_11target_archE910ELNS1_3gpuE8ELNS1_3repE0EEENS1_47radix_sort_onesweep_sort_config_static_selectorELNS0_4arch9wavefront6targetE1EEEvSI_.has_indirect_call, 0
	.section	.AMDGPU.csdata,"",@progbits
; Kernel info:
; codeLenInByte = 0
; TotalNumSgprs: 6
; NumVgprs: 0
; NumAgprs: 0
; TotalNumVgprs: 0
; ScratchSize: 0
; MemoryBound: 0
; FloatMode: 240
; IeeeMode: 1
; LDSByteSize: 0 bytes/workgroup (compile time only)
; SGPRBlocks: 0
; VGPRBlocks: 0
; NumSGPRsForWavesPerEU: 6
; NumVGPRsForWavesPerEU: 1
; AccumOffset: 4
; Occupancy: 8
; WaveLimiterHint : 0
; COMPUTE_PGM_RSRC2:SCRATCH_EN: 0
; COMPUTE_PGM_RSRC2:USER_SGPR: 2
; COMPUTE_PGM_RSRC2:TRAP_HANDLER: 0
; COMPUTE_PGM_RSRC2:TGID_X_EN: 1
; COMPUTE_PGM_RSRC2:TGID_Y_EN: 0
; COMPUTE_PGM_RSRC2:TGID_Z_EN: 0
; COMPUTE_PGM_RSRC2:TIDIG_COMP_CNT: 0
; COMPUTE_PGM_RSRC3_GFX90A:ACCUM_OFFSET: 0
; COMPUTE_PGM_RSRC3_GFX90A:TG_SPLIT: 0
	.section	.text._ZN7rocprim17ROCPRIM_400000_NS6detail17trampoline_kernelINS0_14default_configENS1_35radix_sort_onesweep_config_selectorIxxEEZZNS1_29radix_sort_onesweep_iterationIS3_Lb0EN6thrust23THRUST_200600_302600_NS6detail15normal_iteratorINS8_10device_ptrIxEEEESD_SD_SD_jNS0_19identity_decomposerENS1_16block_id_wrapperIjLb0EEEEE10hipError_tT1_PNSt15iterator_traitsISI_E10value_typeET2_T3_PNSJ_ISO_E10value_typeET4_T5_PST_SU_PNS1_23onesweep_lookback_stateEbbT6_jjT7_P12ihipStream_tbENKUlT_T0_SI_SN_E_clISD_PxSD_S15_EEDaS11_S12_SI_SN_EUlS11_E_NS1_11comp_targetILNS1_3genE3ELNS1_11target_archE908ELNS1_3gpuE7ELNS1_3repE0EEENS1_47radix_sort_onesweep_sort_config_static_selectorELNS0_4arch9wavefront6targetE1EEEvSI_,"axG",@progbits,_ZN7rocprim17ROCPRIM_400000_NS6detail17trampoline_kernelINS0_14default_configENS1_35radix_sort_onesweep_config_selectorIxxEEZZNS1_29radix_sort_onesweep_iterationIS3_Lb0EN6thrust23THRUST_200600_302600_NS6detail15normal_iteratorINS8_10device_ptrIxEEEESD_SD_SD_jNS0_19identity_decomposerENS1_16block_id_wrapperIjLb0EEEEE10hipError_tT1_PNSt15iterator_traitsISI_E10value_typeET2_T3_PNSJ_ISO_E10value_typeET4_T5_PST_SU_PNS1_23onesweep_lookback_stateEbbT6_jjT7_P12ihipStream_tbENKUlT_T0_SI_SN_E_clISD_PxSD_S15_EEDaS11_S12_SI_SN_EUlS11_E_NS1_11comp_targetILNS1_3genE3ELNS1_11target_archE908ELNS1_3gpuE7ELNS1_3repE0EEENS1_47radix_sort_onesweep_sort_config_static_selectorELNS0_4arch9wavefront6targetE1EEEvSI_,comdat
	.protected	_ZN7rocprim17ROCPRIM_400000_NS6detail17trampoline_kernelINS0_14default_configENS1_35radix_sort_onesweep_config_selectorIxxEEZZNS1_29radix_sort_onesweep_iterationIS3_Lb0EN6thrust23THRUST_200600_302600_NS6detail15normal_iteratorINS8_10device_ptrIxEEEESD_SD_SD_jNS0_19identity_decomposerENS1_16block_id_wrapperIjLb0EEEEE10hipError_tT1_PNSt15iterator_traitsISI_E10value_typeET2_T3_PNSJ_ISO_E10value_typeET4_T5_PST_SU_PNS1_23onesweep_lookback_stateEbbT6_jjT7_P12ihipStream_tbENKUlT_T0_SI_SN_E_clISD_PxSD_S15_EEDaS11_S12_SI_SN_EUlS11_E_NS1_11comp_targetILNS1_3genE3ELNS1_11target_archE908ELNS1_3gpuE7ELNS1_3repE0EEENS1_47radix_sort_onesweep_sort_config_static_selectorELNS0_4arch9wavefront6targetE1EEEvSI_ ; -- Begin function _ZN7rocprim17ROCPRIM_400000_NS6detail17trampoline_kernelINS0_14default_configENS1_35radix_sort_onesweep_config_selectorIxxEEZZNS1_29radix_sort_onesweep_iterationIS3_Lb0EN6thrust23THRUST_200600_302600_NS6detail15normal_iteratorINS8_10device_ptrIxEEEESD_SD_SD_jNS0_19identity_decomposerENS1_16block_id_wrapperIjLb0EEEEE10hipError_tT1_PNSt15iterator_traitsISI_E10value_typeET2_T3_PNSJ_ISO_E10value_typeET4_T5_PST_SU_PNS1_23onesweep_lookback_stateEbbT6_jjT7_P12ihipStream_tbENKUlT_T0_SI_SN_E_clISD_PxSD_S15_EEDaS11_S12_SI_SN_EUlS11_E_NS1_11comp_targetILNS1_3genE3ELNS1_11target_archE908ELNS1_3gpuE7ELNS1_3repE0EEENS1_47radix_sort_onesweep_sort_config_static_selectorELNS0_4arch9wavefront6targetE1EEEvSI_
	.globl	_ZN7rocprim17ROCPRIM_400000_NS6detail17trampoline_kernelINS0_14default_configENS1_35radix_sort_onesweep_config_selectorIxxEEZZNS1_29radix_sort_onesweep_iterationIS3_Lb0EN6thrust23THRUST_200600_302600_NS6detail15normal_iteratorINS8_10device_ptrIxEEEESD_SD_SD_jNS0_19identity_decomposerENS1_16block_id_wrapperIjLb0EEEEE10hipError_tT1_PNSt15iterator_traitsISI_E10value_typeET2_T3_PNSJ_ISO_E10value_typeET4_T5_PST_SU_PNS1_23onesweep_lookback_stateEbbT6_jjT7_P12ihipStream_tbENKUlT_T0_SI_SN_E_clISD_PxSD_S15_EEDaS11_S12_SI_SN_EUlS11_E_NS1_11comp_targetILNS1_3genE3ELNS1_11target_archE908ELNS1_3gpuE7ELNS1_3repE0EEENS1_47radix_sort_onesweep_sort_config_static_selectorELNS0_4arch9wavefront6targetE1EEEvSI_
	.p2align	8
	.type	_ZN7rocprim17ROCPRIM_400000_NS6detail17trampoline_kernelINS0_14default_configENS1_35radix_sort_onesweep_config_selectorIxxEEZZNS1_29radix_sort_onesweep_iterationIS3_Lb0EN6thrust23THRUST_200600_302600_NS6detail15normal_iteratorINS8_10device_ptrIxEEEESD_SD_SD_jNS0_19identity_decomposerENS1_16block_id_wrapperIjLb0EEEEE10hipError_tT1_PNSt15iterator_traitsISI_E10value_typeET2_T3_PNSJ_ISO_E10value_typeET4_T5_PST_SU_PNS1_23onesweep_lookback_stateEbbT6_jjT7_P12ihipStream_tbENKUlT_T0_SI_SN_E_clISD_PxSD_S15_EEDaS11_S12_SI_SN_EUlS11_E_NS1_11comp_targetILNS1_3genE3ELNS1_11target_archE908ELNS1_3gpuE7ELNS1_3repE0EEENS1_47radix_sort_onesweep_sort_config_static_selectorELNS0_4arch9wavefront6targetE1EEEvSI_,@function
_ZN7rocprim17ROCPRIM_400000_NS6detail17trampoline_kernelINS0_14default_configENS1_35radix_sort_onesweep_config_selectorIxxEEZZNS1_29radix_sort_onesweep_iterationIS3_Lb0EN6thrust23THRUST_200600_302600_NS6detail15normal_iteratorINS8_10device_ptrIxEEEESD_SD_SD_jNS0_19identity_decomposerENS1_16block_id_wrapperIjLb0EEEEE10hipError_tT1_PNSt15iterator_traitsISI_E10value_typeET2_T3_PNSJ_ISO_E10value_typeET4_T5_PST_SU_PNS1_23onesweep_lookback_stateEbbT6_jjT7_P12ihipStream_tbENKUlT_T0_SI_SN_E_clISD_PxSD_S15_EEDaS11_S12_SI_SN_EUlS11_E_NS1_11comp_targetILNS1_3genE3ELNS1_11target_archE908ELNS1_3gpuE7ELNS1_3repE0EEENS1_47radix_sort_onesweep_sort_config_static_selectorELNS0_4arch9wavefront6targetE1EEEvSI_: ; @_ZN7rocprim17ROCPRIM_400000_NS6detail17trampoline_kernelINS0_14default_configENS1_35radix_sort_onesweep_config_selectorIxxEEZZNS1_29radix_sort_onesweep_iterationIS3_Lb0EN6thrust23THRUST_200600_302600_NS6detail15normal_iteratorINS8_10device_ptrIxEEEESD_SD_SD_jNS0_19identity_decomposerENS1_16block_id_wrapperIjLb0EEEEE10hipError_tT1_PNSt15iterator_traitsISI_E10value_typeET2_T3_PNSJ_ISO_E10value_typeET4_T5_PST_SU_PNS1_23onesweep_lookback_stateEbbT6_jjT7_P12ihipStream_tbENKUlT_T0_SI_SN_E_clISD_PxSD_S15_EEDaS11_S12_SI_SN_EUlS11_E_NS1_11comp_targetILNS1_3genE3ELNS1_11target_archE908ELNS1_3gpuE7ELNS1_3repE0EEENS1_47radix_sort_onesweep_sort_config_static_selectorELNS0_4arch9wavefront6targetE1EEEvSI_
; %bb.0:
	.section	.rodata,"a",@progbits
	.p2align	6, 0x0
	.amdhsa_kernel _ZN7rocprim17ROCPRIM_400000_NS6detail17trampoline_kernelINS0_14default_configENS1_35radix_sort_onesweep_config_selectorIxxEEZZNS1_29radix_sort_onesweep_iterationIS3_Lb0EN6thrust23THRUST_200600_302600_NS6detail15normal_iteratorINS8_10device_ptrIxEEEESD_SD_SD_jNS0_19identity_decomposerENS1_16block_id_wrapperIjLb0EEEEE10hipError_tT1_PNSt15iterator_traitsISI_E10value_typeET2_T3_PNSJ_ISO_E10value_typeET4_T5_PST_SU_PNS1_23onesweep_lookback_stateEbbT6_jjT7_P12ihipStream_tbENKUlT_T0_SI_SN_E_clISD_PxSD_S15_EEDaS11_S12_SI_SN_EUlS11_E_NS1_11comp_targetILNS1_3genE3ELNS1_11target_archE908ELNS1_3gpuE7ELNS1_3repE0EEENS1_47radix_sort_onesweep_sort_config_static_selectorELNS0_4arch9wavefront6targetE1EEEvSI_
		.amdhsa_group_segment_fixed_size 0
		.amdhsa_private_segment_fixed_size 0
		.amdhsa_kernarg_size 88
		.amdhsa_user_sgpr_count 2
		.amdhsa_user_sgpr_dispatch_ptr 0
		.amdhsa_user_sgpr_queue_ptr 0
		.amdhsa_user_sgpr_kernarg_segment_ptr 1
		.amdhsa_user_sgpr_dispatch_id 0
		.amdhsa_user_sgpr_kernarg_preload_length 0
		.amdhsa_user_sgpr_kernarg_preload_offset 0
		.amdhsa_user_sgpr_private_segment_size 0
		.amdhsa_uses_dynamic_stack 0
		.amdhsa_enable_private_segment 0
		.amdhsa_system_sgpr_workgroup_id_x 1
		.amdhsa_system_sgpr_workgroup_id_y 0
		.amdhsa_system_sgpr_workgroup_id_z 0
		.amdhsa_system_sgpr_workgroup_info 0
		.amdhsa_system_vgpr_workitem_id 0
		.amdhsa_next_free_vgpr 1
		.amdhsa_next_free_sgpr 0
		.amdhsa_accum_offset 4
		.amdhsa_reserve_vcc 0
		.amdhsa_float_round_mode_32 0
		.amdhsa_float_round_mode_16_64 0
		.amdhsa_float_denorm_mode_32 3
		.amdhsa_float_denorm_mode_16_64 3
		.amdhsa_dx10_clamp 1
		.amdhsa_ieee_mode 1
		.amdhsa_fp16_overflow 0
		.amdhsa_tg_split 0
		.amdhsa_exception_fp_ieee_invalid_op 0
		.amdhsa_exception_fp_denorm_src 0
		.amdhsa_exception_fp_ieee_div_zero 0
		.amdhsa_exception_fp_ieee_overflow 0
		.amdhsa_exception_fp_ieee_underflow 0
		.amdhsa_exception_fp_ieee_inexact 0
		.amdhsa_exception_int_div_zero 0
	.end_amdhsa_kernel
	.section	.text._ZN7rocprim17ROCPRIM_400000_NS6detail17trampoline_kernelINS0_14default_configENS1_35radix_sort_onesweep_config_selectorIxxEEZZNS1_29radix_sort_onesweep_iterationIS3_Lb0EN6thrust23THRUST_200600_302600_NS6detail15normal_iteratorINS8_10device_ptrIxEEEESD_SD_SD_jNS0_19identity_decomposerENS1_16block_id_wrapperIjLb0EEEEE10hipError_tT1_PNSt15iterator_traitsISI_E10value_typeET2_T3_PNSJ_ISO_E10value_typeET4_T5_PST_SU_PNS1_23onesweep_lookback_stateEbbT6_jjT7_P12ihipStream_tbENKUlT_T0_SI_SN_E_clISD_PxSD_S15_EEDaS11_S12_SI_SN_EUlS11_E_NS1_11comp_targetILNS1_3genE3ELNS1_11target_archE908ELNS1_3gpuE7ELNS1_3repE0EEENS1_47radix_sort_onesweep_sort_config_static_selectorELNS0_4arch9wavefront6targetE1EEEvSI_,"axG",@progbits,_ZN7rocprim17ROCPRIM_400000_NS6detail17trampoline_kernelINS0_14default_configENS1_35radix_sort_onesweep_config_selectorIxxEEZZNS1_29radix_sort_onesweep_iterationIS3_Lb0EN6thrust23THRUST_200600_302600_NS6detail15normal_iteratorINS8_10device_ptrIxEEEESD_SD_SD_jNS0_19identity_decomposerENS1_16block_id_wrapperIjLb0EEEEE10hipError_tT1_PNSt15iterator_traitsISI_E10value_typeET2_T3_PNSJ_ISO_E10value_typeET4_T5_PST_SU_PNS1_23onesweep_lookback_stateEbbT6_jjT7_P12ihipStream_tbENKUlT_T0_SI_SN_E_clISD_PxSD_S15_EEDaS11_S12_SI_SN_EUlS11_E_NS1_11comp_targetILNS1_3genE3ELNS1_11target_archE908ELNS1_3gpuE7ELNS1_3repE0EEENS1_47radix_sort_onesweep_sort_config_static_selectorELNS0_4arch9wavefront6targetE1EEEvSI_,comdat
.Lfunc_end1238:
	.size	_ZN7rocprim17ROCPRIM_400000_NS6detail17trampoline_kernelINS0_14default_configENS1_35radix_sort_onesweep_config_selectorIxxEEZZNS1_29radix_sort_onesweep_iterationIS3_Lb0EN6thrust23THRUST_200600_302600_NS6detail15normal_iteratorINS8_10device_ptrIxEEEESD_SD_SD_jNS0_19identity_decomposerENS1_16block_id_wrapperIjLb0EEEEE10hipError_tT1_PNSt15iterator_traitsISI_E10value_typeET2_T3_PNSJ_ISO_E10value_typeET4_T5_PST_SU_PNS1_23onesweep_lookback_stateEbbT6_jjT7_P12ihipStream_tbENKUlT_T0_SI_SN_E_clISD_PxSD_S15_EEDaS11_S12_SI_SN_EUlS11_E_NS1_11comp_targetILNS1_3genE3ELNS1_11target_archE908ELNS1_3gpuE7ELNS1_3repE0EEENS1_47radix_sort_onesweep_sort_config_static_selectorELNS0_4arch9wavefront6targetE1EEEvSI_, .Lfunc_end1238-_ZN7rocprim17ROCPRIM_400000_NS6detail17trampoline_kernelINS0_14default_configENS1_35radix_sort_onesweep_config_selectorIxxEEZZNS1_29radix_sort_onesweep_iterationIS3_Lb0EN6thrust23THRUST_200600_302600_NS6detail15normal_iteratorINS8_10device_ptrIxEEEESD_SD_SD_jNS0_19identity_decomposerENS1_16block_id_wrapperIjLb0EEEEE10hipError_tT1_PNSt15iterator_traitsISI_E10value_typeET2_T3_PNSJ_ISO_E10value_typeET4_T5_PST_SU_PNS1_23onesweep_lookback_stateEbbT6_jjT7_P12ihipStream_tbENKUlT_T0_SI_SN_E_clISD_PxSD_S15_EEDaS11_S12_SI_SN_EUlS11_E_NS1_11comp_targetILNS1_3genE3ELNS1_11target_archE908ELNS1_3gpuE7ELNS1_3repE0EEENS1_47radix_sort_onesweep_sort_config_static_selectorELNS0_4arch9wavefront6targetE1EEEvSI_
                                        ; -- End function
	.set _ZN7rocprim17ROCPRIM_400000_NS6detail17trampoline_kernelINS0_14default_configENS1_35radix_sort_onesweep_config_selectorIxxEEZZNS1_29radix_sort_onesweep_iterationIS3_Lb0EN6thrust23THRUST_200600_302600_NS6detail15normal_iteratorINS8_10device_ptrIxEEEESD_SD_SD_jNS0_19identity_decomposerENS1_16block_id_wrapperIjLb0EEEEE10hipError_tT1_PNSt15iterator_traitsISI_E10value_typeET2_T3_PNSJ_ISO_E10value_typeET4_T5_PST_SU_PNS1_23onesweep_lookback_stateEbbT6_jjT7_P12ihipStream_tbENKUlT_T0_SI_SN_E_clISD_PxSD_S15_EEDaS11_S12_SI_SN_EUlS11_E_NS1_11comp_targetILNS1_3genE3ELNS1_11target_archE908ELNS1_3gpuE7ELNS1_3repE0EEENS1_47radix_sort_onesweep_sort_config_static_selectorELNS0_4arch9wavefront6targetE1EEEvSI_.num_vgpr, 0
	.set _ZN7rocprim17ROCPRIM_400000_NS6detail17trampoline_kernelINS0_14default_configENS1_35radix_sort_onesweep_config_selectorIxxEEZZNS1_29radix_sort_onesweep_iterationIS3_Lb0EN6thrust23THRUST_200600_302600_NS6detail15normal_iteratorINS8_10device_ptrIxEEEESD_SD_SD_jNS0_19identity_decomposerENS1_16block_id_wrapperIjLb0EEEEE10hipError_tT1_PNSt15iterator_traitsISI_E10value_typeET2_T3_PNSJ_ISO_E10value_typeET4_T5_PST_SU_PNS1_23onesweep_lookback_stateEbbT6_jjT7_P12ihipStream_tbENKUlT_T0_SI_SN_E_clISD_PxSD_S15_EEDaS11_S12_SI_SN_EUlS11_E_NS1_11comp_targetILNS1_3genE3ELNS1_11target_archE908ELNS1_3gpuE7ELNS1_3repE0EEENS1_47radix_sort_onesweep_sort_config_static_selectorELNS0_4arch9wavefront6targetE1EEEvSI_.num_agpr, 0
	.set _ZN7rocprim17ROCPRIM_400000_NS6detail17trampoline_kernelINS0_14default_configENS1_35radix_sort_onesweep_config_selectorIxxEEZZNS1_29radix_sort_onesweep_iterationIS3_Lb0EN6thrust23THRUST_200600_302600_NS6detail15normal_iteratorINS8_10device_ptrIxEEEESD_SD_SD_jNS0_19identity_decomposerENS1_16block_id_wrapperIjLb0EEEEE10hipError_tT1_PNSt15iterator_traitsISI_E10value_typeET2_T3_PNSJ_ISO_E10value_typeET4_T5_PST_SU_PNS1_23onesweep_lookback_stateEbbT6_jjT7_P12ihipStream_tbENKUlT_T0_SI_SN_E_clISD_PxSD_S15_EEDaS11_S12_SI_SN_EUlS11_E_NS1_11comp_targetILNS1_3genE3ELNS1_11target_archE908ELNS1_3gpuE7ELNS1_3repE0EEENS1_47radix_sort_onesweep_sort_config_static_selectorELNS0_4arch9wavefront6targetE1EEEvSI_.numbered_sgpr, 0
	.set _ZN7rocprim17ROCPRIM_400000_NS6detail17trampoline_kernelINS0_14default_configENS1_35radix_sort_onesweep_config_selectorIxxEEZZNS1_29radix_sort_onesweep_iterationIS3_Lb0EN6thrust23THRUST_200600_302600_NS6detail15normal_iteratorINS8_10device_ptrIxEEEESD_SD_SD_jNS0_19identity_decomposerENS1_16block_id_wrapperIjLb0EEEEE10hipError_tT1_PNSt15iterator_traitsISI_E10value_typeET2_T3_PNSJ_ISO_E10value_typeET4_T5_PST_SU_PNS1_23onesweep_lookback_stateEbbT6_jjT7_P12ihipStream_tbENKUlT_T0_SI_SN_E_clISD_PxSD_S15_EEDaS11_S12_SI_SN_EUlS11_E_NS1_11comp_targetILNS1_3genE3ELNS1_11target_archE908ELNS1_3gpuE7ELNS1_3repE0EEENS1_47radix_sort_onesweep_sort_config_static_selectorELNS0_4arch9wavefront6targetE1EEEvSI_.num_named_barrier, 0
	.set _ZN7rocprim17ROCPRIM_400000_NS6detail17trampoline_kernelINS0_14default_configENS1_35radix_sort_onesweep_config_selectorIxxEEZZNS1_29radix_sort_onesweep_iterationIS3_Lb0EN6thrust23THRUST_200600_302600_NS6detail15normal_iteratorINS8_10device_ptrIxEEEESD_SD_SD_jNS0_19identity_decomposerENS1_16block_id_wrapperIjLb0EEEEE10hipError_tT1_PNSt15iterator_traitsISI_E10value_typeET2_T3_PNSJ_ISO_E10value_typeET4_T5_PST_SU_PNS1_23onesweep_lookback_stateEbbT6_jjT7_P12ihipStream_tbENKUlT_T0_SI_SN_E_clISD_PxSD_S15_EEDaS11_S12_SI_SN_EUlS11_E_NS1_11comp_targetILNS1_3genE3ELNS1_11target_archE908ELNS1_3gpuE7ELNS1_3repE0EEENS1_47radix_sort_onesweep_sort_config_static_selectorELNS0_4arch9wavefront6targetE1EEEvSI_.private_seg_size, 0
	.set _ZN7rocprim17ROCPRIM_400000_NS6detail17trampoline_kernelINS0_14default_configENS1_35radix_sort_onesweep_config_selectorIxxEEZZNS1_29radix_sort_onesweep_iterationIS3_Lb0EN6thrust23THRUST_200600_302600_NS6detail15normal_iteratorINS8_10device_ptrIxEEEESD_SD_SD_jNS0_19identity_decomposerENS1_16block_id_wrapperIjLb0EEEEE10hipError_tT1_PNSt15iterator_traitsISI_E10value_typeET2_T3_PNSJ_ISO_E10value_typeET4_T5_PST_SU_PNS1_23onesweep_lookback_stateEbbT6_jjT7_P12ihipStream_tbENKUlT_T0_SI_SN_E_clISD_PxSD_S15_EEDaS11_S12_SI_SN_EUlS11_E_NS1_11comp_targetILNS1_3genE3ELNS1_11target_archE908ELNS1_3gpuE7ELNS1_3repE0EEENS1_47radix_sort_onesweep_sort_config_static_selectorELNS0_4arch9wavefront6targetE1EEEvSI_.uses_vcc, 0
	.set _ZN7rocprim17ROCPRIM_400000_NS6detail17trampoline_kernelINS0_14default_configENS1_35radix_sort_onesweep_config_selectorIxxEEZZNS1_29radix_sort_onesweep_iterationIS3_Lb0EN6thrust23THRUST_200600_302600_NS6detail15normal_iteratorINS8_10device_ptrIxEEEESD_SD_SD_jNS0_19identity_decomposerENS1_16block_id_wrapperIjLb0EEEEE10hipError_tT1_PNSt15iterator_traitsISI_E10value_typeET2_T3_PNSJ_ISO_E10value_typeET4_T5_PST_SU_PNS1_23onesweep_lookback_stateEbbT6_jjT7_P12ihipStream_tbENKUlT_T0_SI_SN_E_clISD_PxSD_S15_EEDaS11_S12_SI_SN_EUlS11_E_NS1_11comp_targetILNS1_3genE3ELNS1_11target_archE908ELNS1_3gpuE7ELNS1_3repE0EEENS1_47radix_sort_onesweep_sort_config_static_selectorELNS0_4arch9wavefront6targetE1EEEvSI_.uses_flat_scratch, 0
	.set _ZN7rocprim17ROCPRIM_400000_NS6detail17trampoline_kernelINS0_14default_configENS1_35radix_sort_onesweep_config_selectorIxxEEZZNS1_29radix_sort_onesweep_iterationIS3_Lb0EN6thrust23THRUST_200600_302600_NS6detail15normal_iteratorINS8_10device_ptrIxEEEESD_SD_SD_jNS0_19identity_decomposerENS1_16block_id_wrapperIjLb0EEEEE10hipError_tT1_PNSt15iterator_traitsISI_E10value_typeET2_T3_PNSJ_ISO_E10value_typeET4_T5_PST_SU_PNS1_23onesweep_lookback_stateEbbT6_jjT7_P12ihipStream_tbENKUlT_T0_SI_SN_E_clISD_PxSD_S15_EEDaS11_S12_SI_SN_EUlS11_E_NS1_11comp_targetILNS1_3genE3ELNS1_11target_archE908ELNS1_3gpuE7ELNS1_3repE0EEENS1_47radix_sort_onesweep_sort_config_static_selectorELNS0_4arch9wavefront6targetE1EEEvSI_.has_dyn_sized_stack, 0
	.set _ZN7rocprim17ROCPRIM_400000_NS6detail17trampoline_kernelINS0_14default_configENS1_35radix_sort_onesweep_config_selectorIxxEEZZNS1_29radix_sort_onesweep_iterationIS3_Lb0EN6thrust23THRUST_200600_302600_NS6detail15normal_iteratorINS8_10device_ptrIxEEEESD_SD_SD_jNS0_19identity_decomposerENS1_16block_id_wrapperIjLb0EEEEE10hipError_tT1_PNSt15iterator_traitsISI_E10value_typeET2_T3_PNSJ_ISO_E10value_typeET4_T5_PST_SU_PNS1_23onesweep_lookback_stateEbbT6_jjT7_P12ihipStream_tbENKUlT_T0_SI_SN_E_clISD_PxSD_S15_EEDaS11_S12_SI_SN_EUlS11_E_NS1_11comp_targetILNS1_3genE3ELNS1_11target_archE908ELNS1_3gpuE7ELNS1_3repE0EEENS1_47radix_sort_onesweep_sort_config_static_selectorELNS0_4arch9wavefront6targetE1EEEvSI_.has_recursion, 0
	.set _ZN7rocprim17ROCPRIM_400000_NS6detail17trampoline_kernelINS0_14default_configENS1_35radix_sort_onesweep_config_selectorIxxEEZZNS1_29radix_sort_onesweep_iterationIS3_Lb0EN6thrust23THRUST_200600_302600_NS6detail15normal_iteratorINS8_10device_ptrIxEEEESD_SD_SD_jNS0_19identity_decomposerENS1_16block_id_wrapperIjLb0EEEEE10hipError_tT1_PNSt15iterator_traitsISI_E10value_typeET2_T3_PNSJ_ISO_E10value_typeET4_T5_PST_SU_PNS1_23onesweep_lookback_stateEbbT6_jjT7_P12ihipStream_tbENKUlT_T0_SI_SN_E_clISD_PxSD_S15_EEDaS11_S12_SI_SN_EUlS11_E_NS1_11comp_targetILNS1_3genE3ELNS1_11target_archE908ELNS1_3gpuE7ELNS1_3repE0EEENS1_47radix_sort_onesweep_sort_config_static_selectorELNS0_4arch9wavefront6targetE1EEEvSI_.has_indirect_call, 0
	.section	.AMDGPU.csdata,"",@progbits
; Kernel info:
; codeLenInByte = 0
; TotalNumSgprs: 6
; NumVgprs: 0
; NumAgprs: 0
; TotalNumVgprs: 0
; ScratchSize: 0
; MemoryBound: 0
; FloatMode: 240
; IeeeMode: 1
; LDSByteSize: 0 bytes/workgroup (compile time only)
; SGPRBlocks: 0
; VGPRBlocks: 0
; NumSGPRsForWavesPerEU: 6
; NumVGPRsForWavesPerEU: 1
; AccumOffset: 4
; Occupancy: 8
; WaveLimiterHint : 0
; COMPUTE_PGM_RSRC2:SCRATCH_EN: 0
; COMPUTE_PGM_RSRC2:USER_SGPR: 2
; COMPUTE_PGM_RSRC2:TRAP_HANDLER: 0
; COMPUTE_PGM_RSRC2:TGID_X_EN: 1
; COMPUTE_PGM_RSRC2:TGID_Y_EN: 0
; COMPUTE_PGM_RSRC2:TGID_Z_EN: 0
; COMPUTE_PGM_RSRC2:TIDIG_COMP_CNT: 0
; COMPUTE_PGM_RSRC3_GFX90A:ACCUM_OFFSET: 0
; COMPUTE_PGM_RSRC3_GFX90A:TG_SPLIT: 0
	.section	.text._ZN7rocprim17ROCPRIM_400000_NS6detail17trampoline_kernelINS0_14default_configENS1_35radix_sort_onesweep_config_selectorIxxEEZZNS1_29radix_sort_onesweep_iterationIS3_Lb0EN6thrust23THRUST_200600_302600_NS6detail15normal_iteratorINS8_10device_ptrIxEEEESD_SD_SD_jNS0_19identity_decomposerENS1_16block_id_wrapperIjLb0EEEEE10hipError_tT1_PNSt15iterator_traitsISI_E10value_typeET2_T3_PNSJ_ISO_E10value_typeET4_T5_PST_SU_PNS1_23onesweep_lookback_stateEbbT6_jjT7_P12ihipStream_tbENKUlT_T0_SI_SN_E_clISD_PxSD_S15_EEDaS11_S12_SI_SN_EUlS11_E_NS1_11comp_targetILNS1_3genE10ELNS1_11target_archE1201ELNS1_3gpuE5ELNS1_3repE0EEENS1_47radix_sort_onesweep_sort_config_static_selectorELNS0_4arch9wavefront6targetE1EEEvSI_,"axG",@progbits,_ZN7rocprim17ROCPRIM_400000_NS6detail17trampoline_kernelINS0_14default_configENS1_35radix_sort_onesweep_config_selectorIxxEEZZNS1_29radix_sort_onesweep_iterationIS3_Lb0EN6thrust23THRUST_200600_302600_NS6detail15normal_iteratorINS8_10device_ptrIxEEEESD_SD_SD_jNS0_19identity_decomposerENS1_16block_id_wrapperIjLb0EEEEE10hipError_tT1_PNSt15iterator_traitsISI_E10value_typeET2_T3_PNSJ_ISO_E10value_typeET4_T5_PST_SU_PNS1_23onesweep_lookback_stateEbbT6_jjT7_P12ihipStream_tbENKUlT_T0_SI_SN_E_clISD_PxSD_S15_EEDaS11_S12_SI_SN_EUlS11_E_NS1_11comp_targetILNS1_3genE10ELNS1_11target_archE1201ELNS1_3gpuE5ELNS1_3repE0EEENS1_47radix_sort_onesweep_sort_config_static_selectorELNS0_4arch9wavefront6targetE1EEEvSI_,comdat
	.protected	_ZN7rocprim17ROCPRIM_400000_NS6detail17trampoline_kernelINS0_14default_configENS1_35radix_sort_onesweep_config_selectorIxxEEZZNS1_29radix_sort_onesweep_iterationIS3_Lb0EN6thrust23THRUST_200600_302600_NS6detail15normal_iteratorINS8_10device_ptrIxEEEESD_SD_SD_jNS0_19identity_decomposerENS1_16block_id_wrapperIjLb0EEEEE10hipError_tT1_PNSt15iterator_traitsISI_E10value_typeET2_T3_PNSJ_ISO_E10value_typeET4_T5_PST_SU_PNS1_23onesweep_lookback_stateEbbT6_jjT7_P12ihipStream_tbENKUlT_T0_SI_SN_E_clISD_PxSD_S15_EEDaS11_S12_SI_SN_EUlS11_E_NS1_11comp_targetILNS1_3genE10ELNS1_11target_archE1201ELNS1_3gpuE5ELNS1_3repE0EEENS1_47radix_sort_onesweep_sort_config_static_selectorELNS0_4arch9wavefront6targetE1EEEvSI_ ; -- Begin function _ZN7rocprim17ROCPRIM_400000_NS6detail17trampoline_kernelINS0_14default_configENS1_35radix_sort_onesweep_config_selectorIxxEEZZNS1_29radix_sort_onesweep_iterationIS3_Lb0EN6thrust23THRUST_200600_302600_NS6detail15normal_iteratorINS8_10device_ptrIxEEEESD_SD_SD_jNS0_19identity_decomposerENS1_16block_id_wrapperIjLb0EEEEE10hipError_tT1_PNSt15iterator_traitsISI_E10value_typeET2_T3_PNSJ_ISO_E10value_typeET4_T5_PST_SU_PNS1_23onesweep_lookback_stateEbbT6_jjT7_P12ihipStream_tbENKUlT_T0_SI_SN_E_clISD_PxSD_S15_EEDaS11_S12_SI_SN_EUlS11_E_NS1_11comp_targetILNS1_3genE10ELNS1_11target_archE1201ELNS1_3gpuE5ELNS1_3repE0EEENS1_47radix_sort_onesweep_sort_config_static_selectorELNS0_4arch9wavefront6targetE1EEEvSI_
	.globl	_ZN7rocprim17ROCPRIM_400000_NS6detail17trampoline_kernelINS0_14default_configENS1_35radix_sort_onesweep_config_selectorIxxEEZZNS1_29radix_sort_onesweep_iterationIS3_Lb0EN6thrust23THRUST_200600_302600_NS6detail15normal_iteratorINS8_10device_ptrIxEEEESD_SD_SD_jNS0_19identity_decomposerENS1_16block_id_wrapperIjLb0EEEEE10hipError_tT1_PNSt15iterator_traitsISI_E10value_typeET2_T3_PNSJ_ISO_E10value_typeET4_T5_PST_SU_PNS1_23onesweep_lookback_stateEbbT6_jjT7_P12ihipStream_tbENKUlT_T0_SI_SN_E_clISD_PxSD_S15_EEDaS11_S12_SI_SN_EUlS11_E_NS1_11comp_targetILNS1_3genE10ELNS1_11target_archE1201ELNS1_3gpuE5ELNS1_3repE0EEENS1_47radix_sort_onesweep_sort_config_static_selectorELNS0_4arch9wavefront6targetE1EEEvSI_
	.p2align	8
	.type	_ZN7rocprim17ROCPRIM_400000_NS6detail17trampoline_kernelINS0_14default_configENS1_35radix_sort_onesweep_config_selectorIxxEEZZNS1_29radix_sort_onesweep_iterationIS3_Lb0EN6thrust23THRUST_200600_302600_NS6detail15normal_iteratorINS8_10device_ptrIxEEEESD_SD_SD_jNS0_19identity_decomposerENS1_16block_id_wrapperIjLb0EEEEE10hipError_tT1_PNSt15iterator_traitsISI_E10value_typeET2_T3_PNSJ_ISO_E10value_typeET4_T5_PST_SU_PNS1_23onesweep_lookback_stateEbbT6_jjT7_P12ihipStream_tbENKUlT_T0_SI_SN_E_clISD_PxSD_S15_EEDaS11_S12_SI_SN_EUlS11_E_NS1_11comp_targetILNS1_3genE10ELNS1_11target_archE1201ELNS1_3gpuE5ELNS1_3repE0EEENS1_47radix_sort_onesweep_sort_config_static_selectorELNS0_4arch9wavefront6targetE1EEEvSI_,@function
_ZN7rocprim17ROCPRIM_400000_NS6detail17trampoline_kernelINS0_14default_configENS1_35radix_sort_onesweep_config_selectorIxxEEZZNS1_29radix_sort_onesweep_iterationIS3_Lb0EN6thrust23THRUST_200600_302600_NS6detail15normal_iteratorINS8_10device_ptrIxEEEESD_SD_SD_jNS0_19identity_decomposerENS1_16block_id_wrapperIjLb0EEEEE10hipError_tT1_PNSt15iterator_traitsISI_E10value_typeET2_T3_PNSJ_ISO_E10value_typeET4_T5_PST_SU_PNS1_23onesweep_lookback_stateEbbT6_jjT7_P12ihipStream_tbENKUlT_T0_SI_SN_E_clISD_PxSD_S15_EEDaS11_S12_SI_SN_EUlS11_E_NS1_11comp_targetILNS1_3genE10ELNS1_11target_archE1201ELNS1_3gpuE5ELNS1_3repE0EEENS1_47radix_sort_onesweep_sort_config_static_selectorELNS0_4arch9wavefront6targetE1EEEvSI_: ; @_ZN7rocprim17ROCPRIM_400000_NS6detail17trampoline_kernelINS0_14default_configENS1_35radix_sort_onesweep_config_selectorIxxEEZZNS1_29radix_sort_onesweep_iterationIS3_Lb0EN6thrust23THRUST_200600_302600_NS6detail15normal_iteratorINS8_10device_ptrIxEEEESD_SD_SD_jNS0_19identity_decomposerENS1_16block_id_wrapperIjLb0EEEEE10hipError_tT1_PNSt15iterator_traitsISI_E10value_typeET2_T3_PNSJ_ISO_E10value_typeET4_T5_PST_SU_PNS1_23onesweep_lookback_stateEbbT6_jjT7_P12ihipStream_tbENKUlT_T0_SI_SN_E_clISD_PxSD_S15_EEDaS11_S12_SI_SN_EUlS11_E_NS1_11comp_targetILNS1_3genE10ELNS1_11target_archE1201ELNS1_3gpuE5ELNS1_3repE0EEENS1_47radix_sort_onesweep_sort_config_static_selectorELNS0_4arch9wavefront6targetE1EEEvSI_
; %bb.0:
	.section	.rodata,"a",@progbits
	.p2align	6, 0x0
	.amdhsa_kernel _ZN7rocprim17ROCPRIM_400000_NS6detail17trampoline_kernelINS0_14default_configENS1_35radix_sort_onesweep_config_selectorIxxEEZZNS1_29radix_sort_onesweep_iterationIS3_Lb0EN6thrust23THRUST_200600_302600_NS6detail15normal_iteratorINS8_10device_ptrIxEEEESD_SD_SD_jNS0_19identity_decomposerENS1_16block_id_wrapperIjLb0EEEEE10hipError_tT1_PNSt15iterator_traitsISI_E10value_typeET2_T3_PNSJ_ISO_E10value_typeET4_T5_PST_SU_PNS1_23onesweep_lookback_stateEbbT6_jjT7_P12ihipStream_tbENKUlT_T0_SI_SN_E_clISD_PxSD_S15_EEDaS11_S12_SI_SN_EUlS11_E_NS1_11comp_targetILNS1_3genE10ELNS1_11target_archE1201ELNS1_3gpuE5ELNS1_3repE0EEENS1_47radix_sort_onesweep_sort_config_static_selectorELNS0_4arch9wavefront6targetE1EEEvSI_
		.amdhsa_group_segment_fixed_size 0
		.amdhsa_private_segment_fixed_size 0
		.amdhsa_kernarg_size 88
		.amdhsa_user_sgpr_count 2
		.amdhsa_user_sgpr_dispatch_ptr 0
		.amdhsa_user_sgpr_queue_ptr 0
		.amdhsa_user_sgpr_kernarg_segment_ptr 1
		.amdhsa_user_sgpr_dispatch_id 0
		.amdhsa_user_sgpr_kernarg_preload_length 0
		.amdhsa_user_sgpr_kernarg_preload_offset 0
		.amdhsa_user_sgpr_private_segment_size 0
		.amdhsa_uses_dynamic_stack 0
		.amdhsa_enable_private_segment 0
		.amdhsa_system_sgpr_workgroup_id_x 1
		.amdhsa_system_sgpr_workgroup_id_y 0
		.amdhsa_system_sgpr_workgroup_id_z 0
		.amdhsa_system_sgpr_workgroup_info 0
		.amdhsa_system_vgpr_workitem_id 0
		.amdhsa_next_free_vgpr 1
		.amdhsa_next_free_sgpr 0
		.amdhsa_accum_offset 4
		.amdhsa_reserve_vcc 0
		.amdhsa_float_round_mode_32 0
		.amdhsa_float_round_mode_16_64 0
		.amdhsa_float_denorm_mode_32 3
		.amdhsa_float_denorm_mode_16_64 3
		.amdhsa_dx10_clamp 1
		.amdhsa_ieee_mode 1
		.amdhsa_fp16_overflow 0
		.amdhsa_tg_split 0
		.amdhsa_exception_fp_ieee_invalid_op 0
		.amdhsa_exception_fp_denorm_src 0
		.amdhsa_exception_fp_ieee_div_zero 0
		.amdhsa_exception_fp_ieee_overflow 0
		.amdhsa_exception_fp_ieee_underflow 0
		.amdhsa_exception_fp_ieee_inexact 0
		.amdhsa_exception_int_div_zero 0
	.end_amdhsa_kernel
	.section	.text._ZN7rocprim17ROCPRIM_400000_NS6detail17trampoline_kernelINS0_14default_configENS1_35radix_sort_onesweep_config_selectorIxxEEZZNS1_29radix_sort_onesweep_iterationIS3_Lb0EN6thrust23THRUST_200600_302600_NS6detail15normal_iteratorINS8_10device_ptrIxEEEESD_SD_SD_jNS0_19identity_decomposerENS1_16block_id_wrapperIjLb0EEEEE10hipError_tT1_PNSt15iterator_traitsISI_E10value_typeET2_T3_PNSJ_ISO_E10value_typeET4_T5_PST_SU_PNS1_23onesweep_lookback_stateEbbT6_jjT7_P12ihipStream_tbENKUlT_T0_SI_SN_E_clISD_PxSD_S15_EEDaS11_S12_SI_SN_EUlS11_E_NS1_11comp_targetILNS1_3genE10ELNS1_11target_archE1201ELNS1_3gpuE5ELNS1_3repE0EEENS1_47radix_sort_onesweep_sort_config_static_selectorELNS0_4arch9wavefront6targetE1EEEvSI_,"axG",@progbits,_ZN7rocprim17ROCPRIM_400000_NS6detail17trampoline_kernelINS0_14default_configENS1_35radix_sort_onesweep_config_selectorIxxEEZZNS1_29radix_sort_onesweep_iterationIS3_Lb0EN6thrust23THRUST_200600_302600_NS6detail15normal_iteratorINS8_10device_ptrIxEEEESD_SD_SD_jNS0_19identity_decomposerENS1_16block_id_wrapperIjLb0EEEEE10hipError_tT1_PNSt15iterator_traitsISI_E10value_typeET2_T3_PNSJ_ISO_E10value_typeET4_T5_PST_SU_PNS1_23onesweep_lookback_stateEbbT6_jjT7_P12ihipStream_tbENKUlT_T0_SI_SN_E_clISD_PxSD_S15_EEDaS11_S12_SI_SN_EUlS11_E_NS1_11comp_targetILNS1_3genE10ELNS1_11target_archE1201ELNS1_3gpuE5ELNS1_3repE0EEENS1_47radix_sort_onesweep_sort_config_static_selectorELNS0_4arch9wavefront6targetE1EEEvSI_,comdat
.Lfunc_end1239:
	.size	_ZN7rocprim17ROCPRIM_400000_NS6detail17trampoline_kernelINS0_14default_configENS1_35radix_sort_onesweep_config_selectorIxxEEZZNS1_29radix_sort_onesweep_iterationIS3_Lb0EN6thrust23THRUST_200600_302600_NS6detail15normal_iteratorINS8_10device_ptrIxEEEESD_SD_SD_jNS0_19identity_decomposerENS1_16block_id_wrapperIjLb0EEEEE10hipError_tT1_PNSt15iterator_traitsISI_E10value_typeET2_T3_PNSJ_ISO_E10value_typeET4_T5_PST_SU_PNS1_23onesweep_lookback_stateEbbT6_jjT7_P12ihipStream_tbENKUlT_T0_SI_SN_E_clISD_PxSD_S15_EEDaS11_S12_SI_SN_EUlS11_E_NS1_11comp_targetILNS1_3genE10ELNS1_11target_archE1201ELNS1_3gpuE5ELNS1_3repE0EEENS1_47radix_sort_onesweep_sort_config_static_selectorELNS0_4arch9wavefront6targetE1EEEvSI_, .Lfunc_end1239-_ZN7rocprim17ROCPRIM_400000_NS6detail17trampoline_kernelINS0_14default_configENS1_35radix_sort_onesweep_config_selectorIxxEEZZNS1_29radix_sort_onesweep_iterationIS3_Lb0EN6thrust23THRUST_200600_302600_NS6detail15normal_iteratorINS8_10device_ptrIxEEEESD_SD_SD_jNS0_19identity_decomposerENS1_16block_id_wrapperIjLb0EEEEE10hipError_tT1_PNSt15iterator_traitsISI_E10value_typeET2_T3_PNSJ_ISO_E10value_typeET4_T5_PST_SU_PNS1_23onesweep_lookback_stateEbbT6_jjT7_P12ihipStream_tbENKUlT_T0_SI_SN_E_clISD_PxSD_S15_EEDaS11_S12_SI_SN_EUlS11_E_NS1_11comp_targetILNS1_3genE10ELNS1_11target_archE1201ELNS1_3gpuE5ELNS1_3repE0EEENS1_47radix_sort_onesweep_sort_config_static_selectorELNS0_4arch9wavefront6targetE1EEEvSI_
                                        ; -- End function
	.set _ZN7rocprim17ROCPRIM_400000_NS6detail17trampoline_kernelINS0_14default_configENS1_35radix_sort_onesweep_config_selectorIxxEEZZNS1_29radix_sort_onesweep_iterationIS3_Lb0EN6thrust23THRUST_200600_302600_NS6detail15normal_iteratorINS8_10device_ptrIxEEEESD_SD_SD_jNS0_19identity_decomposerENS1_16block_id_wrapperIjLb0EEEEE10hipError_tT1_PNSt15iterator_traitsISI_E10value_typeET2_T3_PNSJ_ISO_E10value_typeET4_T5_PST_SU_PNS1_23onesweep_lookback_stateEbbT6_jjT7_P12ihipStream_tbENKUlT_T0_SI_SN_E_clISD_PxSD_S15_EEDaS11_S12_SI_SN_EUlS11_E_NS1_11comp_targetILNS1_3genE10ELNS1_11target_archE1201ELNS1_3gpuE5ELNS1_3repE0EEENS1_47radix_sort_onesweep_sort_config_static_selectorELNS0_4arch9wavefront6targetE1EEEvSI_.num_vgpr, 0
	.set _ZN7rocprim17ROCPRIM_400000_NS6detail17trampoline_kernelINS0_14default_configENS1_35radix_sort_onesweep_config_selectorIxxEEZZNS1_29radix_sort_onesweep_iterationIS3_Lb0EN6thrust23THRUST_200600_302600_NS6detail15normal_iteratorINS8_10device_ptrIxEEEESD_SD_SD_jNS0_19identity_decomposerENS1_16block_id_wrapperIjLb0EEEEE10hipError_tT1_PNSt15iterator_traitsISI_E10value_typeET2_T3_PNSJ_ISO_E10value_typeET4_T5_PST_SU_PNS1_23onesweep_lookback_stateEbbT6_jjT7_P12ihipStream_tbENKUlT_T0_SI_SN_E_clISD_PxSD_S15_EEDaS11_S12_SI_SN_EUlS11_E_NS1_11comp_targetILNS1_3genE10ELNS1_11target_archE1201ELNS1_3gpuE5ELNS1_3repE0EEENS1_47radix_sort_onesweep_sort_config_static_selectorELNS0_4arch9wavefront6targetE1EEEvSI_.num_agpr, 0
	.set _ZN7rocprim17ROCPRIM_400000_NS6detail17trampoline_kernelINS0_14default_configENS1_35radix_sort_onesweep_config_selectorIxxEEZZNS1_29radix_sort_onesweep_iterationIS3_Lb0EN6thrust23THRUST_200600_302600_NS6detail15normal_iteratorINS8_10device_ptrIxEEEESD_SD_SD_jNS0_19identity_decomposerENS1_16block_id_wrapperIjLb0EEEEE10hipError_tT1_PNSt15iterator_traitsISI_E10value_typeET2_T3_PNSJ_ISO_E10value_typeET4_T5_PST_SU_PNS1_23onesweep_lookback_stateEbbT6_jjT7_P12ihipStream_tbENKUlT_T0_SI_SN_E_clISD_PxSD_S15_EEDaS11_S12_SI_SN_EUlS11_E_NS1_11comp_targetILNS1_3genE10ELNS1_11target_archE1201ELNS1_3gpuE5ELNS1_3repE0EEENS1_47radix_sort_onesweep_sort_config_static_selectorELNS0_4arch9wavefront6targetE1EEEvSI_.numbered_sgpr, 0
	.set _ZN7rocprim17ROCPRIM_400000_NS6detail17trampoline_kernelINS0_14default_configENS1_35radix_sort_onesweep_config_selectorIxxEEZZNS1_29radix_sort_onesweep_iterationIS3_Lb0EN6thrust23THRUST_200600_302600_NS6detail15normal_iteratorINS8_10device_ptrIxEEEESD_SD_SD_jNS0_19identity_decomposerENS1_16block_id_wrapperIjLb0EEEEE10hipError_tT1_PNSt15iterator_traitsISI_E10value_typeET2_T3_PNSJ_ISO_E10value_typeET4_T5_PST_SU_PNS1_23onesweep_lookback_stateEbbT6_jjT7_P12ihipStream_tbENKUlT_T0_SI_SN_E_clISD_PxSD_S15_EEDaS11_S12_SI_SN_EUlS11_E_NS1_11comp_targetILNS1_3genE10ELNS1_11target_archE1201ELNS1_3gpuE5ELNS1_3repE0EEENS1_47radix_sort_onesweep_sort_config_static_selectorELNS0_4arch9wavefront6targetE1EEEvSI_.num_named_barrier, 0
	.set _ZN7rocprim17ROCPRIM_400000_NS6detail17trampoline_kernelINS0_14default_configENS1_35radix_sort_onesweep_config_selectorIxxEEZZNS1_29radix_sort_onesweep_iterationIS3_Lb0EN6thrust23THRUST_200600_302600_NS6detail15normal_iteratorINS8_10device_ptrIxEEEESD_SD_SD_jNS0_19identity_decomposerENS1_16block_id_wrapperIjLb0EEEEE10hipError_tT1_PNSt15iterator_traitsISI_E10value_typeET2_T3_PNSJ_ISO_E10value_typeET4_T5_PST_SU_PNS1_23onesweep_lookback_stateEbbT6_jjT7_P12ihipStream_tbENKUlT_T0_SI_SN_E_clISD_PxSD_S15_EEDaS11_S12_SI_SN_EUlS11_E_NS1_11comp_targetILNS1_3genE10ELNS1_11target_archE1201ELNS1_3gpuE5ELNS1_3repE0EEENS1_47radix_sort_onesweep_sort_config_static_selectorELNS0_4arch9wavefront6targetE1EEEvSI_.private_seg_size, 0
	.set _ZN7rocprim17ROCPRIM_400000_NS6detail17trampoline_kernelINS0_14default_configENS1_35radix_sort_onesweep_config_selectorIxxEEZZNS1_29radix_sort_onesweep_iterationIS3_Lb0EN6thrust23THRUST_200600_302600_NS6detail15normal_iteratorINS8_10device_ptrIxEEEESD_SD_SD_jNS0_19identity_decomposerENS1_16block_id_wrapperIjLb0EEEEE10hipError_tT1_PNSt15iterator_traitsISI_E10value_typeET2_T3_PNSJ_ISO_E10value_typeET4_T5_PST_SU_PNS1_23onesweep_lookback_stateEbbT6_jjT7_P12ihipStream_tbENKUlT_T0_SI_SN_E_clISD_PxSD_S15_EEDaS11_S12_SI_SN_EUlS11_E_NS1_11comp_targetILNS1_3genE10ELNS1_11target_archE1201ELNS1_3gpuE5ELNS1_3repE0EEENS1_47radix_sort_onesweep_sort_config_static_selectorELNS0_4arch9wavefront6targetE1EEEvSI_.uses_vcc, 0
	.set _ZN7rocprim17ROCPRIM_400000_NS6detail17trampoline_kernelINS0_14default_configENS1_35radix_sort_onesweep_config_selectorIxxEEZZNS1_29radix_sort_onesweep_iterationIS3_Lb0EN6thrust23THRUST_200600_302600_NS6detail15normal_iteratorINS8_10device_ptrIxEEEESD_SD_SD_jNS0_19identity_decomposerENS1_16block_id_wrapperIjLb0EEEEE10hipError_tT1_PNSt15iterator_traitsISI_E10value_typeET2_T3_PNSJ_ISO_E10value_typeET4_T5_PST_SU_PNS1_23onesweep_lookback_stateEbbT6_jjT7_P12ihipStream_tbENKUlT_T0_SI_SN_E_clISD_PxSD_S15_EEDaS11_S12_SI_SN_EUlS11_E_NS1_11comp_targetILNS1_3genE10ELNS1_11target_archE1201ELNS1_3gpuE5ELNS1_3repE0EEENS1_47radix_sort_onesweep_sort_config_static_selectorELNS0_4arch9wavefront6targetE1EEEvSI_.uses_flat_scratch, 0
	.set _ZN7rocprim17ROCPRIM_400000_NS6detail17trampoline_kernelINS0_14default_configENS1_35radix_sort_onesweep_config_selectorIxxEEZZNS1_29radix_sort_onesweep_iterationIS3_Lb0EN6thrust23THRUST_200600_302600_NS6detail15normal_iteratorINS8_10device_ptrIxEEEESD_SD_SD_jNS0_19identity_decomposerENS1_16block_id_wrapperIjLb0EEEEE10hipError_tT1_PNSt15iterator_traitsISI_E10value_typeET2_T3_PNSJ_ISO_E10value_typeET4_T5_PST_SU_PNS1_23onesweep_lookback_stateEbbT6_jjT7_P12ihipStream_tbENKUlT_T0_SI_SN_E_clISD_PxSD_S15_EEDaS11_S12_SI_SN_EUlS11_E_NS1_11comp_targetILNS1_3genE10ELNS1_11target_archE1201ELNS1_3gpuE5ELNS1_3repE0EEENS1_47radix_sort_onesweep_sort_config_static_selectorELNS0_4arch9wavefront6targetE1EEEvSI_.has_dyn_sized_stack, 0
	.set _ZN7rocprim17ROCPRIM_400000_NS6detail17trampoline_kernelINS0_14default_configENS1_35radix_sort_onesweep_config_selectorIxxEEZZNS1_29radix_sort_onesweep_iterationIS3_Lb0EN6thrust23THRUST_200600_302600_NS6detail15normal_iteratorINS8_10device_ptrIxEEEESD_SD_SD_jNS0_19identity_decomposerENS1_16block_id_wrapperIjLb0EEEEE10hipError_tT1_PNSt15iterator_traitsISI_E10value_typeET2_T3_PNSJ_ISO_E10value_typeET4_T5_PST_SU_PNS1_23onesweep_lookback_stateEbbT6_jjT7_P12ihipStream_tbENKUlT_T0_SI_SN_E_clISD_PxSD_S15_EEDaS11_S12_SI_SN_EUlS11_E_NS1_11comp_targetILNS1_3genE10ELNS1_11target_archE1201ELNS1_3gpuE5ELNS1_3repE0EEENS1_47radix_sort_onesweep_sort_config_static_selectorELNS0_4arch9wavefront6targetE1EEEvSI_.has_recursion, 0
	.set _ZN7rocprim17ROCPRIM_400000_NS6detail17trampoline_kernelINS0_14default_configENS1_35radix_sort_onesweep_config_selectorIxxEEZZNS1_29radix_sort_onesweep_iterationIS3_Lb0EN6thrust23THRUST_200600_302600_NS6detail15normal_iteratorINS8_10device_ptrIxEEEESD_SD_SD_jNS0_19identity_decomposerENS1_16block_id_wrapperIjLb0EEEEE10hipError_tT1_PNSt15iterator_traitsISI_E10value_typeET2_T3_PNSJ_ISO_E10value_typeET4_T5_PST_SU_PNS1_23onesweep_lookback_stateEbbT6_jjT7_P12ihipStream_tbENKUlT_T0_SI_SN_E_clISD_PxSD_S15_EEDaS11_S12_SI_SN_EUlS11_E_NS1_11comp_targetILNS1_3genE10ELNS1_11target_archE1201ELNS1_3gpuE5ELNS1_3repE0EEENS1_47radix_sort_onesweep_sort_config_static_selectorELNS0_4arch9wavefront6targetE1EEEvSI_.has_indirect_call, 0
	.section	.AMDGPU.csdata,"",@progbits
; Kernel info:
; codeLenInByte = 0
; TotalNumSgprs: 6
; NumVgprs: 0
; NumAgprs: 0
; TotalNumVgprs: 0
; ScratchSize: 0
; MemoryBound: 0
; FloatMode: 240
; IeeeMode: 1
; LDSByteSize: 0 bytes/workgroup (compile time only)
; SGPRBlocks: 0
; VGPRBlocks: 0
; NumSGPRsForWavesPerEU: 6
; NumVGPRsForWavesPerEU: 1
; AccumOffset: 4
; Occupancy: 8
; WaveLimiterHint : 0
; COMPUTE_PGM_RSRC2:SCRATCH_EN: 0
; COMPUTE_PGM_RSRC2:USER_SGPR: 2
; COMPUTE_PGM_RSRC2:TRAP_HANDLER: 0
; COMPUTE_PGM_RSRC2:TGID_X_EN: 1
; COMPUTE_PGM_RSRC2:TGID_Y_EN: 0
; COMPUTE_PGM_RSRC2:TGID_Z_EN: 0
; COMPUTE_PGM_RSRC2:TIDIG_COMP_CNT: 0
; COMPUTE_PGM_RSRC3_GFX90A:ACCUM_OFFSET: 0
; COMPUTE_PGM_RSRC3_GFX90A:TG_SPLIT: 0
	.section	.text._ZN7rocprim17ROCPRIM_400000_NS6detail17trampoline_kernelINS0_14default_configENS1_35radix_sort_onesweep_config_selectorIxxEEZZNS1_29radix_sort_onesweep_iterationIS3_Lb0EN6thrust23THRUST_200600_302600_NS6detail15normal_iteratorINS8_10device_ptrIxEEEESD_SD_SD_jNS0_19identity_decomposerENS1_16block_id_wrapperIjLb0EEEEE10hipError_tT1_PNSt15iterator_traitsISI_E10value_typeET2_T3_PNSJ_ISO_E10value_typeET4_T5_PST_SU_PNS1_23onesweep_lookback_stateEbbT6_jjT7_P12ihipStream_tbENKUlT_T0_SI_SN_E_clISD_PxSD_S15_EEDaS11_S12_SI_SN_EUlS11_E_NS1_11comp_targetILNS1_3genE9ELNS1_11target_archE1100ELNS1_3gpuE3ELNS1_3repE0EEENS1_47radix_sort_onesweep_sort_config_static_selectorELNS0_4arch9wavefront6targetE1EEEvSI_,"axG",@progbits,_ZN7rocprim17ROCPRIM_400000_NS6detail17trampoline_kernelINS0_14default_configENS1_35radix_sort_onesweep_config_selectorIxxEEZZNS1_29radix_sort_onesweep_iterationIS3_Lb0EN6thrust23THRUST_200600_302600_NS6detail15normal_iteratorINS8_10device_ptrIxEEEESD_SD_SD_jNS0_19identity_decomposerENS1_16block_id_wrapperIjLb0EEEEE10hipError_tT1_PNSt15iterator_traitsISI_E10value_typeET2_T3_PNSJ_ISO_E10value_typeET4_T5_PST_SU_PNS1_23onesweep_lookback_stateEbbT6_jjT7_P12ihipStream_tbENKUlT_T0_SI_SN_E_clISD_PxSD_S15_EEDaS11_S12_SI_SN_EUlS11_E_NS1_11comp_targetILNS1_3genE9ELNS1_11target_archE1100ELNS1_3gpuE3ELNS1_3repE0EEENS1_47radix_sort_onesweep_sort_config_static_selectorELNS0_4arch9wavefront6targetE1EEEvSI_,comdat
	.protected	_ZN7rocprim17ROCPRIM_400000_NS6detail17trampoline_kernelINS0_14default_configENS1_35radix_sort_onesweep_config_selectorIxxEEZZNS1_29radix_sort_onesweep_iterationIS3_Lb0EN6thrust23THRUST_200600_302600_NS6detail15normal_iteratorINS8_10device_ptrIxEEEESD_SD_SD_jNS0_19identity_decomposerENS1_16block_id_wrapperIjLb0EEEEE10hipError_tT1_PNSt15iterator_traitsISI_E10value_typeET2_T3_PNSJ_ISO_E10value_typeET4_T5_PST_SU_PNS1_23onesweep_lookback_stateEbbT6_jjT7_P12ihipStream_tbENKUlT_T0_SI_SN_E_clISD_PxSD_S15_EEDaS11_S12_SI_SN_EUlS11_E_NS1_11comp_targetILNS1_3genE9ELNS1_11target_archE1100ELNS1_3gpuE3ELNS1_3repE0EEENS1_47radix_sort_onesweep_sort_config_static_selectorELNS0_4arch9wavefront6targetE1EEEvSI_ ; -- Begin function _ZN7rocprim17ROCPRIM_400000_NS6detail17trampoline_kernelINS0_14default_configENS1_35radix_sort_onesweep_config_selectorIxxEEZZNS1_29radix_sort_onesweep_iterationIS3_Lb0EN6thrust23THRUST_200600_302600_NS6detail15normal_iteratorINS8_10device_ptrIxEEEESD_SD_SD_jNS0_19identity_decomposerENS1_16block_id_wrapperIjLb0EEEEE10hipError_tT1_PNSt15iterator_traitsISI_E10value_typeET2_T3_PNSJ_ISO_E10value_typeET4_T5_PST_SU_PNS1_23onesweep_lookback_stateEbbT6_jjT7_P12ihipStream_tbENKUlT_T0_SI_SN_E_clISD_PxSD_S15_EEDaS11_S12_SI_SN_EUlS11_E_NS1_11comp_targetILNS1_3genE9ELNS1_11target_archE1100ELNS1_3gpuE3ELNS1_3repE0EEENS1_47radix_sort_onesweep_sort_config_static_selectorELNS0_4arch9wavefront6targetE1EEEvSI_
	.globl	_ZN7rocprim17ROCPRIM_400000_NS6detail17trampoline_kernelINS0_14default_configENS1_35radix_sort_onesweep_config_selectorIxxEEZZNS1_29radix_sort_onesweep_iterationIS3_Lb0EN6thrust23THRUST_200600_302600_NS6detail15normal_iteratorINS8_10device_ptrIxEEEESD_SD_SD_jNS0_19identity_decomposerENS1_16block_id_wrapperIjLb0EEEEE10hipError_tT1_PNSt15iterator_traitsISI_E10value_typeET2_T3_PNSJ_ISO_E10value_typeET4_T5_PST_SU_PNS1_23onesweep_lookback_stateEbbT6_jjT7_P12ihipStream_tbENKUlT_T0_SI_SN_E_clISD_PxSD_S15_EEDaS11_S12_SI_SN_EUlS11_E_NS1_11comp_targetILNS1_3genE9ELNS1_11target_archE1100ELNS1_3gpuE3ELNS1_3repE0EEENS1_47radix_sort_onesweep_sort_config_static_selectorELNS0_4arch9wavefront6targetE1EEEvSI_
	.p2align	8
	.type	_ZN7rocprim17ROCPRIM_400000_NS6detail17trampoline_kernelINS0_14default_configENS1_35radix_sort_onesweep_config_selectorIxxEEZZNS1_29radix_sort_onesweep_iterationIS3_Lb0EN6thrust23THRUST_200600_302600_NS6detail15normal_iteratorINS8_10device_ptrIxEEEESD_SD_SD_jNS0_19identity_decomposerENS1_16block_id_wrapperIjLb0EEEEE10hipError_tT1_PNSt15iterator_traitsISI_E10value_typeET2_T3_PNSJ_ISO_E10value_typeET4_T5_PST_SU_PNS1_23onesweep_lookback_stateEbbT6_jjT7_P12ihipStream_tbENKUlT_T0_SI_SN_E_clISD_PxSD_S15_EEDaS11_S12_SI_SN_EUlS11_E_NS1_11comp_targetILNS1_3genE9ELNS1_11target_archE1100ELNS1_3gpuE3ELNS1_3repE0EEENS1_47radix_sort_onesweep_sort_config_static_selectorELNS0_4arch9wavefront6targetE1EEEvSI_,@function
_ZN7rocprim17ROCPRIM_400000_NS6detail17trampoline_kernelINS0_14default_configENS1_35radix_sort_onesweep_config_selectorIxxEEZZNS1_29radix_sort_onesweep_iterationIS3_Lb0EN6thrust23THRUST_200600_302600_NS6detail15normal_iteratorINS8_10device_ptrIxEEEESD_SD_SD_jNS0_19identity_decomposerENS1_16block_id_wrapperIjLb0EEEEE10hipError_tT1_PNSt15iterator_traitsISI_E10value_typeET2_T3_PNSJ_ISO_E10value_typeET4_T5_PST_SU_PNS1_23onesweep_lookback_stateEbbT6_jjT7_P12ihipStream_tbENKUlT_T0_SI_SN_E_clISD_PxSD_S15_EEDaS11_S12_SI_SN_EUlS11_E_NS1_11comp_targetILNS1_3genE9ELNS1_11target_archE1100ELNS1_3gpuE3ELNS1_3repE0EEENS1_47radix_sort_onesweep_sort_config_static_selectorELNS0_4arch9wavefront6targetE1EEEvSI_: ; @_ZN7rocprim17ROCPRIM_400000_NS6detail17trampoline_kernelINS0_14default_configENS1_35radix_sort_onesweep_config_selectorIxxEEZZNS1_29radix_sort_onesweep_iterationIS3_Lb0EN6thrust23THRUST_200600_302600_NS6detail15normal_iteratorINS8_10device_ptrIxEEEESD_SD_SD_jNS0_19identity_decomposerENS1_16block_id_wrapperIjLb0EEEEE10hipError_tT1_PNSt15iterator_traitsISI_E10value_typeET2_T3_PNSJ_ISO_E10value_typeET4_T5_PST_SU_PNS1_23onesweep_lookback_stateEbbT6_jjT7_P12ihipStream_tbENKUlT_T0_SI_SN_E_clISD_PxSD_S15_EEDaS11_S12_SI_SN_EUlS11_E_NS1_11comp_targetILNS1_3genE9ELNS1_11target_archE1100ELNS1_3gpuE3ELNS1_3repE0EEENS1_47radix_sort_onesweep_sort_config_static_selectorELNS0_4arch9wavefront6targetE1EEEvSI_
; %bb.0:
	.section	.rodata,"a",@progbits
	.p2align	6, 0x0
	.amdhsa_kernel _ZN7rocprim17ROCPRIM_400000_NS6detail17trampoline_kernelINS0_14default_configENS1_35radix_sort_onesweep_config_selectorIxxEEZZNS1_29radix_sort_onesweep_iterationIS3_Lb0EN6thrust23THRUST_200600_302600_NS6detail15normal_iteratorINS8_10device_ptrIxEEEESD_SD_SD_jNS0_19identity_decomposerENS1_16block_id_wrapperIjLb0EEEEE10hipError_tT1_PNSt15iterator_traitsISI_E10value_typeET2_T3_PNSJ_ISO_E10value_typeET4_T5_PST_SU_PNS1_23onesweep_lookback_stateEbbT6_jjT7_P12ihipStream_tbENKUlT_T0_SI_SN_E_clISD_PxSD_S15_EEDaS11_S12_SI_SN_EUlS11_E_NS1_11comp_targetILNS1_3genE9ELNS1_11target_archE1100ELNS1_3gpuE3ELNS1_3repE0EEENS1_47radix_sort_onesweep_sort_config_static_selectorELNS0_4arch9wavefront6targetE1EEEvSI_
		.amdhsa_group_segment_fixed_size 0
		.amdhsa_private_segment_fixed_size 0
		.amdhsa_kernarg_size 88
		.amdhsa_user_sgpr_count 2
		.amdhsa_user_sgpr_dispatch_ptr 0
		.amdhsa_user_sgpr_queue_ptr 0
		.amdhsa_user_sgpr_kernarg_segment_ptr 1
		.amdhsa_user_sgpr_dispatch_id 0
		.amdhsa_user_sgpr_kernarg_preload_length 0
		.amdhsa_user_sgpr_kernarg_preload_offset 0
		.amdhsa_user_sgpr_private_segment_size 0
		.amdhsa_uses_dynamic_stack 0
		.amdhsa_enable_private_segment 0
		.amdhsa_system_sgpr_workgroup_id_x 1
		.amdhsa_system_sgpr_workgroup_id_y 0
		.amdhsa_system_sgpr_workgroup_id_z 0
		.amdhsa_system_sgpr_workgroup_info 0
		.amdhsa_system_vgpr_workitem_id 0
		.amdhsa_next_free_vgpr 1
		.amdhsa_next_free_sgpr 0
		.amdhsa_accum_offset 4
		.amdhsa_reserve_vcc 0
		.amdhsa_float_round_mode_32 0
		.amdhsa_float_round_mode_16_64 0
		.amdhsa_float_denorm_mode_32 3
		.amdhsa_float_denorm_mode_16_64 3
		.amdhsa_dx10_clamp 1
		.amdhsa_ieee_mode 1
		.amdhsa_fp16_overflow 0
		.amdhsa_tg_split 0
		.amdhsa_exception_fp_ieee_invalid_op 0
		.amdhsa_exception_fp_denorm_src 0
		.amdhsa_exception_fp_ieee_div_zero 0
		.amdhsa_exception_fp_ieee_overflow 0
		.amdhsa_exception_fp_ieee_underflow 0
		.amdhsa_exception_fp_ieee_inexact 0
		.amdhsa_exception_int_div_zero 0
	.end_amdhsa_kernel
	.section	.text._ZN7rocprim17ROCPRIM_400000_NS6detail17trampoline_kernelINS0_14default_configENS1_35radix_sort_onesweep_config_selectorIxxEEZZNS1_29radix_sort_onesweep_iterationIS3_Lb0EN6thrust23THRUST_200600_302600_NS6detail15normal_iteratorINS8_10device_ptrIxEEEESD_SD_SD_jNS0_19identity_decomposerENS1_16block_id_wrapperIjLb0EEEEE10hipError_tT1_PNSt15iterator_traitsISI_E10value_typeET2_T3_PNSJ_ISO_E10value_typeET4_T5_PST_SU_PNS1_23onesweep_lookback_stateEbbT6_jjT7_P12ihipStream_tbENKUlT_T0_SI_SN_E_clISD_PxSD_S15_EEDaS11_S12_SI_SN_EUlS11_E_NS1_11comp_targetILNS1_3genE9ELNS1_11target_archE1100ELNS1_3gpuE3ELNS1_3repE0EEENS1_47radix_sort_onesweep_sort_config_static_selectorELNS0_4arch9wavefront6targetE1EEEvSI_,"axG",@progbits,_ZN7rocprim17ROCPRIM_400000_NS6detail17trampoline_kernelINS0_14default_configENS1_35radix_sort_onesweep_config_selectorIxxEEZZNS1_29radix_sort_onesweep_iterationIS3_Lb0EN6thrust23THRUST_200600_302600_NS6detail15normal_iteratorINS8_10device_ptrIxEEEESD_SD_SD_jNS0_19identity_decomposerENS1_16block_id_wrapperIjLb0EEEEE10hipError_tT1_PNSt15iterator_traitsISI_E10value_typeET2_T3_PNSJ_ISO_E10value_typeET4_T5_PST_SU_PNS1_23onesweep_lookback_stateEbbT6_jjT7_P12ihipStream_tbENKUlT_T0_SI_SN_E_clISD_PxSD_S15_EEDaS11_S12_SI_SN_EUlS11_E_NS1_11comp_targetILNS1_3genE9ELNS1_11target_archE1100ELNS1_3gpuE3ELNS1_3repE0EEENS1_47radix_sort_onesweep_sort_config_static_selectorELNS0_4arch9wavefront6targetE1EEEvSI_,comdat
.Lfunc_end1240:
	.size	_ZN7rocprim17ROCPRIM_400000_NS6detail17trampoline_kernelINS0_14default_configENS1_35radix_sort_onesweep_config_selectorIxxEEZZNS1_29radix_sort_onesweep_iterationIS3_Lb0EN6thrust23THRUST_200600_302600_NS6detail15normal_iteratorINS8_10device_ptrIxEEEESD_SD_SD_jNS0_19identity_decomposerENS1_16block_id_wrapperIjLb0EEEEE10hipError_tT1_PNSt15iterator_traitsISI_E10value_typeET2_T3_PNSJ_ISO_E10value_typeET4_T5_PST_SU_PNS1_23onesweep_lookback_stateEbbT6_jjT7_P12ihipStream_tbENKUlT_T0_SI_SN_E_clISD_PxSD_S15_EEDaS11_S12_SI_SN_EUlS11_E_NS1_11comp_targetILNS1_3genE9ELNS1_11target_archE1100ELNS1_3gpuE3ELNS1_3repE0EEENS1_47radix_sort_onesweep_sort_config_static_selectorELNS0_4arch9wavefront6targetE1EEEvSI_, .Lfunc_end1240-_ZN7rocprim17ROCPRIM_400000_NS6detail17trampoline_kernelINS0_14default_configENS1_35radix_sort_onesweep_config_selectorIxxEEZZNS1_29radix_sort_onesweep_iterationIS3_Lb0EN6thrust23THRUST_200600_302600_NS6detail15normal_iteratorINS8_10device_ptrIxEEEESD_SD_SD_jNS0_19identity_decomposerENS1_16block_id_wrapperIjLb0EEEEE10hipError_tT1_PNSt15iterator_traitsISI_E10value_typeET2_T3_PNSJ_ISO_E10value_typeET4_T5_PST_SU_PNS1_23onesweep_lookback_stateEbbT6_jjT7_P12ihipStream_tbENKUlT_T0_SI_SN_E_clISD_PxSD_S15_EEDaS11_S12_SI_SN_EUlS11_E_NS1_11comp_targetILNS1_3genE9ELNS1_11target_archE1100ELNS1_3gpuE3ELNS1_3repE0EEENS1_47radix_sort_onesweep_sort_config_static_selectorELNS0_4arch9wavefront6targetE1EEEvSI_
                                        ; -- End function
	.set _ZN7rocprim17ROCPRIM_400000_NS6detail17trampoline_kernelINS0_14default_configENS1_35radix_sort_onesweep_config_selectorIxxEEZZNS1_29radix_sort_onesweep_iterationIS3_Lb0EN6thrust23THRUST_200600_302600_NS6detail15normal_iteratorINS8_10device_ptrIxEEEESD_SD_SD_jNS0_19identity_decomposerENS1_16block_id_wrapperIjLb0EEEEE10hipError_tT1_PNSt15iterator_traitsISI_E10value_typeET2_T3_PNSJ_ISO_E10value_typeET4_T5_PST_SU_PNS1_23onesweep_lookback_stateEbbT6_jjT7_P12ihipStream_tbENKUlT_T0_SI_SN_E_clISD_PxSD_S15_EEDaS11_S12_SI_SN_EUlS11_E_NS1_11comp_targetILNS1_3genE9ELNS1_11target_archE1100ELNS1_3gpuE3ELNS1_3repE0EEENS1_47radix_sort_onesweep_sort_config_static_selectorELNS0_4arch9wavefront6targetE1EEEvSI_.num_vgpr, 0
	.set _ZN7rocprim17ROCPRIM_400000_NS6detail17trampoline_kernelINS0_14default_configENS1_35radix_sort_onesweep_config_selectorIxxEEZZNS1_29radix_sort_onesweep_iterationIS3_Lb0EN6thrust23THRUST_200600_302600_NS6detail15normal_iteratorINS8_10device_ptrIxEEEESD_SD_SD_jNS0_19identity_decomposerENS1_16block_id_wrapperIjLb0EEEEE10hipError_tT1_PNSt15iterator_traitsISI_E10value_typeET2_T3_PNSJ_ISO_E10value_typeET4_T5_PST_SU_PNS1_23onesweep_lookback_stateEbbT6_jjT7_P12ihipStream_tbENKUlT_T0_SI_SN_E_clISD_PxSD_S15_EEDaS11_S12_SI_SN_EUlS11_E_NS1_11comp_targetILNS1_3genE9ELNS1_11target_archE1100ELNS1_3gpuE3ELNS1_3repE0EEENS1_47radix_sort_onesweep_sort_config_static_selectorELNS0_4arch9wavefront6targetE1EEEvSI_.num_agpr, 0
	.set _ZN7rocprim17ROCPRIM_400000_NS6detail17trampoline_kernelINS0_14default_configENS1_35radix_sort_onesweep_config_selectorIxxEEZZNS1_29radix_sort_onesweep_iterationIS3_Lb0EN6thrust23THRUST_200600_302600_NS6detail15normal_iteratorINS8_10device_ptrIxEEEESD_SD_SD_jNS0_19identity_decomposerENS1_16block_id_wrapperIjLb0EEEEE10hipError_tT1_PNSt15iterator_traitsISI_E10value_typeET2_T3_PNSJ_ISO_E10value_typeET4_T5_PST_SU_PNS1_23onesweep_lookback_stateEbbT6_jjT7_P12ihipStream_tbENKUlT_T0_SI_SN_E_clISD_PxSD_S15_EEDaS11_S12_SI_SN_EUlS11_E_NS1_11comp_targetILNS1_3genE9ELNS1_11target_archE1100ELNS1_3gpuE3ELNS1_3repE0EEENS1_47radix_sort_onesweep_sort_config_static_selectorELNS0_4arch9wavefront6targetE1EEEvSI_.numbered_sgpr, 0
	.set _ZN7rocprim17ROCPRIM_400000_NS6detail17trampoline_kernelINS0_14default_configENS1_35radix_sort_onesweep_config_selectorIxxEEZZNS1_29radix_sort_onesweep_iterationIS3_Lb0EN6thrust23THRUST_200600_302600_NS6detail15normal_iteratorINS8_10device_ptrIxEEEESD_SD_SD_jNS0_19identity_decomposerENS1_16block_id_wrapperIjLb0EEEEE10hipError_tT1_PNSt15iterator_traitsISI_E10value_typeET2_T3_PNSJ_ISO_E10value_typeET4_T5_PST_SU_PNS1_23onesweep_lookback_stateEbbT6_jjT7_P12ihipStream_tbENKUlT_T0_SI_SN_E_clISD_PxSD_S15_EEDaS11_S12_SI_SN_EUlS11_E_NS1_11comp_targetILNS1_3genE9ELNS1_11target_archE1100ELNS1_3gpuE3ELNS1_3repE0EEENS1_47radix_sort_onesweep_sort_config_static_selectorELNS0_4arch9wavefront6targetE1EEEvSI_.num_named_barrier, 0
	.set _ZN7rocprim17ROCPRIM_400000_NS6detail17trampoline_kernelINS0_14default_configENS1_35radix_sort_onesweep_config_selectorIxxEEZZNS1_29radix_sort_onesweep_iterationIS3_Lb0EN6thrust23THRUST_200600_302600_NS6detail15normal_iteratorINS8_10device_ptrIxEEEESD_SD_SD_jNS0_19identity_decomposerENS1_16block_id_wrapperIjLb0EEEEE10hipError_tT1_PNSt15iterator_traitsISI_E10value_typeET2_T3_PNSJ_ISO_E10value_typeET4_T5_PST_SU_PNS1_23onesweep_lookback_stateEbbT6_jjT7_P12ihipStream_tbENKUlT_T0_SI_SN_E_clISD_PxSD_S15_EEDaS11_S12_SI_SN_EUlS11_E_NS1_11comp_targetILNS1_3genE9ELNS1_11target_archE1100ELNS1_3gpuE3ELNS1_3repE0EEENS1_47radix_sort_onesweep_sort_config_static_selectorELNS0_4arch9wavefront6targetE1EEEvSI_.private_seg_size, 0
	.set _ZN7rocprim17ROCPRIM_400000_NS6detail17trampoline_kernelINS0_14default_configENS1_35radix_sort_onesweep_config_selectorIxxEEZZNS1_29radix_sort_onesweep_iterationIS3_Lb0EN6thrust23THRUST_200600_302600_NS6detail15normal_iteratorINS8_10device_ptrIxEEEESD_SD_SD_jNS0_19identity_decomposerENS1_16block_id_wrapperIjLb0EEEEE10hipError_tT1_PNSt15iterator_traitsISI_E10value_typeET2_T3_PNSJ_ISO_E10value_typeET4_T5_PST_SU_PNS1_23onesweep_lookback_stateEbbT6_jjT7_P12ihipStream_tbENKUlT_T0_SI_SN_E_clISD_PxSD_S15_EEDaS11_S12_SI_SN_EUlS11_E_NS1_11comp_targetILNS1_3genE9ELNS1_11target_archE1100ELNS1_3gpuE3ELNS1_3repE0EEENS1_47radix_sort_onesweep_sort_config_static_selectorELNS0_4arch9wavefront6targetE1EEEvSI_.uses_vcc, 0
	.set _ZN7rocprim17ROCPRIM_400000_NS6detail17trampoline_kernelINS0_14default_configENS1_35radix_sort_onesweep_config_selectorIxxEEZZNS1_29radix_sort_onesweep_iterationIS3_Lb0EN6thrust23THRUST_200600_302600_NS6detail15normal_iteratorINS8_10device_ptrIxEEEESD_SD_SD_jNS0_19identity_decomposerENS1_16block_id_wrapperIjLb0EEEEE10hipError_tT1_PNSt15iterator_traitsISI_E10value_typeET2_T3_PNSJ_ISO_E10value_typeET4_T5_PST_SU_PNS1_23onesweep_lookback_stateEbbT6_jjT7_P12ihipStream_tbENKUlT_T0_SI_SN_E_clISD_PxSD_S15_EEDaS11_S12_SI_SN_EUlS11_E_NS1_11comp_targetILNS1_3genE9ELNS1_11target_archE1100ELNS1_3gpuE3ELNS1_3repE0EEENS1_47radix_sort_onesweep_sort_config_static_selectorELNS0_4arch9wavefront6targetE1EEEvSI_.uses_flat_scratch, 0
	.set _ZN7rocprim17ROCPRIM_400000_NS6detail17trampoline_kernelINS0_14default_configENS1_35radix_sort_onesweep_config_selectorIxxEEZZNS1_29radix_sort_onesweep_iterationIS3_Lb0EN6thrust23THRUST_200600_302600_NS6detail15normal_iteratorINS8_10device_ptrIxEEEESD_SD_SD_jNS0_19identity_decomposerENS1_16block_id_wrapperIjLb0EEEEE10hipError_tT1_PNSt15iterator_traitsISI_E10value_typeET2_T3_PNSJ_ISO_E10value_typeET4_T5_PST_SU_PNS1_23onesweep_lookback_stateEbbT6_jjT7_P12ihipStream_tbENKUlT_T0_SI_SN_E_clISD_PxSD_S15_EEDaS11_S12_SI_SN_EUlS11_E_NS1_11comp_targetILNS1_3genE9ELNS1_11target_archE1100ELNS1_3gpuE3ELNS1_3repE0EEENS1_47radix_sort_onesweep_sort_config_static_selectorELNS0_4arch9wavefront6targetE1EEEvSI_.has_dyn_sized_stack, 0
	.set _ZN7rocprim17ROCPRIM_400000_NS6detail17trampoline_kernelINS0_14default_configENS1_35radix_sort_onesweep_config_selectorIxxEEZZNS1_29radix_sort_onesweep_iterationIS3_Lb0EN6thrust23THRUST_200600_302600_NS6detail15normal_iteratorINS8_10device_ptrIxEEEESD_SD_SD_jNS0_19identity_decomposerENS1_16block_id_wrapperIjLb0EEEEE10hipError_tT1_PNSt15iterator_traitsISI_E10value_typeET2_T3_PNSJ_ISO_E10value_typeET4_T5_PST_SU_PNS1_23onesweep_lookback_stateEbbT6_jjT7_P12ihipStream_tbENKUlT_T0_SI_SN_E_clISD_PxSD_S15_EEDaS11_S12_SI_SN_EUlS11_E_NS1_11comp_targetILNS1_3genE9ELNS1_11target_archE1100ELNS1_3gpuE3ELNS1_3repE0EEENS1_47radix_sort_onesweep_sort_config_static_selectorELNS0_4arch9wavefront6targetE1EEEvSI_.has_recursion, 0
	.set _ZN7rocprim17ROCPRIM_400000_NS6detail17trampoline_kernelINS0_14default_configENS1_35radix_sort_onesweep_config_selectorIxxEEZZNS1_29radix_sort_onesweep_iterationIS3_Lb0EN6thrust23THRUST_200600_302600_NS6detail15normal_iteratorINS8_10device_ptrIxEEEESD_SD_SD_jNS0_19identity_decomposerENS1_16block_id_wrapperIjLb0EEEEE10hipError_tT1_PNSt15iterator_traitsISI_E10value_typeET2_T3_PNSJ_ISO_E10value_typeET4_T5_PST_SU_PNS1_23onesweep_lookback_stateEbbT6_jjT7_P12ihipStream_tbENKUlT_T0_SI_SN_E_clISD_PxSD_S15_EEDaS11_S12_SI_SN_EUlS11_E_NS1_11comp_targetILNS1_3genE9ELNS1_11target_archE1100ELNS1_3gpuE3ELNS1_3repE0EEENS1_47radix_sort_onesweep_sort_config_static_selectorELNS0_4arch9wavefront6targetE1EEEvSI_.has_indirect_call, 0
	.section	.AMDGPU.csdata,"",@progbits
; Kernel info:
; codeLenInByte = 0
; TotalNumSgprs: 6
; NumVgprs: 0
; NumAgprs: 0
; TotalNumVgprs: 0
; ScratchSize: 0
; MemoryBound: 0
; FloatMode: 240
; IeeeMode: 1
; LDSByteSize: 0 bytes/workgroup (compile time only)
; SGPRBlocks: 0
; VGPRBlocks: 0
; NumSGPRsForWavesPerEU: 6
; NumVGPRsForWavesPerEU: 1
; AccumOffset: 4
; Occupancy: 8
; WaveLimiterHint : 0
; COMPUTE_PGM_RSRC2:SCRATCH_EN: 0
; COMPUTE_PGM_RSRC2:USER_SGPR: 2
; COMPUTE_PGM_RSRC2:TRAP_HANDLER: 0
; COMPUTE_PGM_RSRC2:TGID_X_EN: 1
; COMPUTE_PGM_RSRC2:TGID_Y_EN: 0
; COMPUTE_PGM_RSRC2:TGID_Z_EN: 0
; COMPUTE_PGM_RSRC2:TIDIG_COMP_CNT: 0
; COMPUTE_PGM_RSRC3_GFX90A:ACCUM_OFFSET: 0
; COMPUTE_PGM_RSRC3_GFX90A:TG_SPLIT: 0
	.section	.text._ZN7rocprim17ROCPRIM_400000_NS6detail17trampoline_kernelINS0_14default_configENS1_35radix_sort_onesweep_config_selectorIxxEEZZNS1_29radix_sort_onesweep_iterationIS3_Lb0EN6thrust23THRUST_200600_302600_NS6detail15normal_iteratorINS8_10device_ptrIxEEEESD_SD_SD_jNS0_19identity_decomposerENS1_16block_id_wrapperIjLb0EEEEE10hipError_tT1_PNSt15iterator_traitsISI_E10value_typeET2_T3_PNSJ_ISO_E10value_typeET4_T5_PST_SU_PNS1_23onesweep_lookback_stateEbbT6_jjT7_P12ihipStream_tbENKUlT_T0_SI_SN_E_clISD_PxSD_S15_EEDaS11_S12_SI_SN_EUlS11_E_NS1_11comp_targetILNS1_3genE8ELNS1_11target_archE1030ELNS1_3gpuE2ELNS1_3repE0EEENS1_47radix_sort_onesweep_sort_config_static_selectorELNS0_4arch9wavefront6targetE1EEEvSI_,"axG",@progbits,_ZN7rocprim17ROCPRIM_400000_NS6detail17trampoline_kernelINS0_14default_configENS1_35radix_sort_onesweep_config_selectorIxxEEZZNS1_29radix_sort_onesweep_iterationIS3_Lb0EN6thrust23THRUST_200600_302600_NS6detail15normal_iteratorINS8_10device_ptrIxEEEESD_SD_SD_jNS0_19identity_decomposerENS1_16block_id_wrapperIjLb0EEEEE10hipError_tT1_PNSt15iterator_traitsISI_E10value_typeET2_T3_PNSJ_ISO_E10value_typeET4_T5_PST_SU_PNS1_23onesweep_lookback_stateEbbT6_jjT7_P12ihipStream_tbENKUlT_T0_SI_SN_E_clISD_PxSD_S15_EEDaS11_S12_SI_SN_EUlS11_E_NS1_11comp_targetILNS1_3genE8ELNS1_11target_archE1030ELNS1_3gpuE2ELNS1_3repE0EEENS1_47radix_sort_onesweep_sort_config_static_selectorELNS0_4arch9wavefront6targetE1EEEvSI_,comdat
	.protected	_ZN7rocprim17ROCPRIM_400000_NS6detail17trampoline_kernelINS0_14default_configENS1_35radix_sort_onesweep_config_selectorIxxEEZZNS1_29radix_sort_onesweep_iterationIS3_Lb0EN6thrust23THRUST_200600_302600_NS6detail15normal_iteratorINS8_10device_ptrIxEEEESD_SD_SD_jNS0_19identity_decomposerENS1_16block_id_wrapperIjLb0EEEEE10hipError_tT1_PNSt15iterator_traitsISI_E10value_typeET2_T3_PNSJ_ISO_E10value_typeET4_T5_PST_SU_PNS1_23onesweep_lookback_stateEbbT6_jjT7_P12ihipStream_tbENKUlT_T0_SI_SN_E_clISD_PxSD_S15_EEDaS11_S12_SI_SN_EUlS11_E_NS1_11comp_targetILNS1_3genE8ELNS1_11target_archE1030ELNS1_3gpuE2ELNS1_3repE0EEENS1_47radix_sort_onesweep_sort_config_static_selectorELNS0_4arch9wavefront6targetE1EEEvSI_ ; -- Begin function _ZN7rocprim17ROCPRIM_400000_NS6detail17trampoline_kernelINS0_14default_configENS1_35radix_sort_onesweep_config_selectorIxxEEZZNS1_29radix_sort_onesweep_iterationIS3_Lb0EN6thrust23THRUST_200600_302600_NS6detail15normal_iteratorINS8_10device_ptrIxEEEESD_SD_SD_jNS0_19identity_decomposerENS1_16block_id_wrapperIjLb0EEEEE10hipError_tT1_PNSt15iterator_traitsISI_E10value_typeET2_T3_PNSJ_ISO_E10value_typeET4_T5_PST_SU_PNS1_23onesweep_lookback_stateEbbT6_jjT7_P12ihipStream_tbENKUlT_T0_SI_SN_E_clISD_PxSD_S15_EEDaS11_S12_SI_SN_EUlS11_E_NS1_11comp_targetILNS1_3genE8ELNS1_11target_archE1030ELNS1_3gpuE2ELNS1_3repE0EEENS1_47radix_sort_onesweep_sort_config_static_selectorELNS0_4arch9wavefront6targetE1EEEvSI_
	.globl	_ZN7rocprim17ROCPRIM_400000_NS6detail17trampoline_kernelINS0_14default_configENS1_35radix_sort_onesweep_config_selectorIxxEEZZNS1_29radix_sort_onesweep_iterationIS3_Lb0EN6thrust23THRUST_200600_302600_NS6detail15normal_iteratorINS8_10device_ptrIxEEEESD_SD_SD_jNS0_19identity_decomposerENS1_16block_id_wrapperIjLb0EEEEE10hipError_tT1_PNSt15iterator_traitsISI_E10value_typeET2_T3_PNSJ_ISO_E10value_typeET4_T5_PST_SU_PNS1_23onesweep_lookback_stateEbbT6_jjT7_P12ihipStream_tbENKUlT_T0_SI_SN_E_clISD_PxSD_S15_EEDaS11_S12_SI_SN_EUlS11_E_NS1_11comp_targetILNS1_3genE8ELNS1_11target_archE1030ELNS1_3gpuE2ELNS1_3repE0EEENS1_47radix_sort_onesweep_sort_config_static_selectorELNS0_4arch9wavefront6targetE1EEEvSI_
	.p2align	8
	.type	_ZN7rocprim17ROCPRIM_400000_NS6detail17trampoline_kernelINS0_14default_configENS1_35radix_sort_onesweep_config_selectorIxxEEZZNS1_29radix_sort_onesweep_iterationIS3_Lb0EN6thrust23THRUST_200600_302600_NS6detail15normal_iteratorINS8_10device_ptrIxEEEESD_SD_SD_jNS0_19identity_decomposerENS1_16block_id_wrapperIjLb0EEEEE10hipError_tT1_PNSt15iterator_traitsISI_E10value_typeET2_T3_PNSJ_ISO_E10value_typeET4_T5_PST_SU_PNS1_23onesweep_lookback_stateEbbT6_jjT7_P12ihipStream_tbENKUlT_T0_SI_SN_E_clISD_PxSD_S15_EEDaS11_S12_SI_SN_EUlS11_E_NS1_11comp_targetILNS1_3genE8ELNS1_11target_archE1030ELNS1_3gpuE2ELNS1_3repE0EEENS1_47radix_sort_onesweep_sort_config_static_selectorELNS0_4arch9wavefront6targetE1EEEvSI_,@function
_ZN7rocprim17ROCPRIM_400000_NS6detail17trampoline_kernelINS0_14default_configENS1_35radix_sort_onesweep_config_selectorIxxEEZZNS1_29radix_sort_onesweep_iterationIS3_Lb0EN6thrust23THRUST_200600_302600_NS6detail15normal_iteratorINS8_10device_ptrIxEEEESD_SD_SD_jNS0_19identity_decomposerENS1_16block_id_wrapperIjLb0EEEEE10hipError_tT1_PNSt15iterator_traitsISI_E10value_typeET2_T3_PNSJ_ISO_E10value_typeET4_T5_PST_SU_PNS1_23onesweep_lookback_stateEbbT6_jjT7_P12ihipStream_tbENKUlT_T0_SI_SN_E_clISD_PxSD_S15_EEDaS11_S12_SI_SN_EUlS11_E_NS1_11comp_targetILNS1_3genE8ELNS1_11target_archE1030ELNS1_3gpuE2ELNS1_3repE0EEENS1_47radix_sort_onesweep_sort_config_static_selectorELNS0_4arch9wavefront6targetE1EEEvSI_: ; @_ZN7rocprim17ROCPRIM_400000_NS6detail17trampoline_kernelINS0_14default_configENS1_35radix_sort_onesweep_config_selectorIxxEEZZNS1_29radix_sort_onesweep_iterationIS3_Lb0EN6thrust23THRUST_200600_302600_NS6detail15normal_iteratorINS8_10device_ptrIxEEEESD_SD_SD_jNS0_19identity_decomposerENS1_16block_id_wrapperIjLb0EEEEE10hipError_tT1_PNSt15iterator_traitsISI_E10value_typeET2_T3_PNSJ_ISO_E10value_typeET4_T5_PST_SU_PNS1_23onesweep_lookback_stateEbbT6_jjT7_P12ihipStream_tbENKUlT_T0_SI_SN_E_clISD_PxSD_S15_EEDaS11_S12_SI_SN_EUlS11_E_NS1_11comp_targetILNS1_3genE8ELNS1_11target_archE1030ELNS1_3gpuE2ELNS1_3repE0EEENS1_47radix_sort_onesweep_sort_config_static_selectorELNS0_4arch9wavefront6targetE1EEEvSI_
; %bb.0:
	.section	.rodata,"a",@progbits
	.p2align	6, 0x0
	.amdhsa_kernel _ZN7rocprim17ROCPRIM_400000_NS6detail17trampoline_kernelINS0_14default_configENS1_35radix_sort_onesweep_config_selectorIxxEEZZNS1_29radix_sort_onesweep_iterationIS3_Lb0EN6thrust23THRUST_200600_302600_NS6detail15normal_iteratorINS8_10device_ptrIxEEEESD_SD_SD_jNS0_19identity_decomposerENS1_16block_id_wrapperIjLb0EEEEE10hipError_tT1_PNSt15iterator_traitsISI_E10value_typeET2_T3_PNSJ_ISO_E10value_typeET4_T5_PST_SU_PNS1_23onesweep_lookback_stateEbbT6_jjT7_P12ihipStream_tbENKUlT_T0_SI_SN_E_clISD_PxSD_S15_EEDaS11_S12_SI_SN_EUlS11_E_NS1_11comp_targetILNS1_3genE8ELNS1_11target_archE1030ELNS1_3gpuE2ELNS1_3repE0EEENS1_47radix_sort_onesweep_sort_config_static_selectorELNS0_4arch9wavefront6targetE1EEEvSI_
		.amdhsa_group_segment_fixed_size 0
		.amdhsa_private_segment_fixed_size 0
		.amdhsa_kernarg_size 88
		.amdhsa_user_sgpr_count 2
		.amdhsa_user_sgpr_dispatch_ptr 0
		.amdhsa_user_sgpr_queue_ptr 0
		.amdhsa_user_sgpr_kernarg_segment_ptr 1
		.amdhsa_user_sgpr_dispatch_id 0
		.amdhsa_user_sgpr_kernarg_preload_length 0
		.amdhsa_user_sgpr_kernarg_preload_offset 0
		.amdhsa_user_sgpr_private_segment_size 0
		.amdhsa_uses_dynamic_stack 0
		.amdhsa_enable_private_segment 0
		.amdhsa_system_sgpr_workgroup_id_x 1
		.amdhsa_system_sgpr_workgroup_id_y 0
		.amdhsa_system_sgpr_workgroup_id_z 0
		.amdhsa_system_sgpr_workgroup_info 0
		.amdhsa_system_vgpr_workitem_id 0
		.amdhsa_next_free_vgpr 1
		.amdhsa_next_free_sgpr 0
		.amdhsa_accum_offset 4
		.amdhsa_reserve_vcc 0
		.amdhsa_float_round_mode_32 0
		.amdhsa_float_round_mode_16_64 0
		.amdhsa_float_denorm_mode_32 3
		.amdhsa_float_denorm_mode_16_64 3
		.amdhsa_dx10_clamp 1
		.amdhsa_ieee_mode 1
		.amdhsa_fp16_overflow 0
		.amdhsa_tg_split 0
		.amdhsa_exception_fp_ieee_invalid_op 0
		.amdhsa_exception_fp_denorm_src 0
		.amdhsa_exception_fp_ieee_div_zero 0
		.amdhsa_exception_fp_ieee_overflow 0
		.amdhsa_exception_fp_ieee_underflow 0
		.amdhsa_exception_fp_ieee_inexact 0
		.amdhsa_exception_int_div_zero 0
	.end_amdhsa_kernel
	.section	.text._ZN7rocprim17ROCPRIM_400000_NS6detail17trampoline_kernelINS0_14default_configENS1_35radix_sort_onesweep_config_selectorIxxEEZZNS1_29radix_sort_onesweep_iterationIS3_Lb0EN6thrust23THRUST_200600_302600_NS6detail15normal_iteratorINS8_10device_ptrIxEEEESD_SD_SD_jNS0_19identity_decomposerENS1_16block_id_wrapperIjLb0EEEEE10hipError_tT1_PNSt15iterator_traitsISI_E10value_typeET2_T3_PNSJ_ISO_E10value_typeET4_T5_PST_SU_PNS1_23onesweep_lookback_stateEbbT6_jjT7_P12ihipStream_tbENKUlT_T0_SI_SN_E_clISD_PxSD_S15_EEDaS11_S12_SI_SN_EUlS11_E_NS1_11comp_targetILNS1_3genE8ELNS1_11target_archE1030ELNS1_3gpuE2ELNS1_3repE0EEENS1_47radix_sort_onesweep_sort_config_static_selectorELNS0_4arch9wavefront6targetE1EEEvSI_,"axG",@progbits,_ZN7rocprim17ROCPRIM_400000_NS6detail17trampoline_kernelINS0_14default_configENS1_35radix_sort_onesweep_config_selectorIxxEEZZNS1_29radix_sort_onesweep_iterationIS3_Lb0EN6thrust23THRUST_200600_302600_NS6detail15normal_iteratorINS8_10device_ptrIxEEEESD_SD_SD_jNS0_19identity_decomposerENS1_16block_id_wrapperIjLb0EEEEE10hipError_tT1_PNSt15iterator_traitsISI_E10value_typeET2_T3_PNSJ_ISO_E10value_typeET4_T5_PST_SU_PNS1_23onesweep_lookback_stateEbbT6_jjT7_P12ihipStream_tbENKUlT_T0_SI_SN_E_clISD_PxSD_S15_EEDaS11_S12_SI_SN_EUlS11_E_NS1_11comp_targetILNS1_3genE8ELNS1_11target_archE1030ELNS1_3gpuE2ELNS1_3repE0EEENS1_47radix_sort_onesweep_sort_config_static_selectorELNS0_4arch9wavefront6targetE1EEEvSI_,comdat
.Lfunc_end1241:
	.size	_ZN7rocprim17ROCPRIM_400000_NS6detail17trampoline_kernelINS0_14default_configENS1_35radix_sort_onesweep_config_selectorIxxEEZZNS1_29radix_sort_onesweep_iterationIS3_Lb0EN6thrust23THRUST_200600_302600_NS6detail15normal_iteratorINS8_10device_ptrIxEEEESD_SD_SD_jNS0_19identity_decomposerENS1_16block_id_wrapperIjLb0EEEEE10hipError_tT1_PNSt15iterator_traitsISI_E10value_typeET2_T3_PNSJ_ISO_E10value_typeET4_T5_PST_SU_PNS1_23onesweep_lookback_stateEbbT6_jjT7_P12ihipStream_tbENKUlT_T0_SI_SN_E_clISD_PxSD_S15_EEDaS11_S12_SI_SN_EUlS11_E_NS1_11comp_targetILNS1_3genE8ELNS1_11target_archE1030ELNS1_3gpuE2ELNS1_3repE0EEENS1_47radix_sort_onesweep_sort_config_static_selectorELNS0_4arch9wavefront6targetE1EEEvSI_, .Lfunc_end1241-_ZN7rocprim17ROCPRIM_400000_NS6detail17trampoline_kernelINS0_14default_configENS1_35radix_sort_onesweep_config_selectorIxxEEZZNS1_29radix_sort_onesweep_iterationIS3_Lb0EN6thrust23THRUST_200600_302600_NS6detail15normal_iteratorINS8_10device_ptrIxEEEESD_SD_SD_jNS0_19identity_decomposerENS1_16block_id_wrapperIjLb0EEEEE10hipError_tT1_PNSt15iterator_traitsISI_E10value_typeET2_T3_PNSJ_ISO_E10value_typeET4_T5_PST_SU_PNS1_23onesweep_lookback_stateEbbT6_jjT7_P12ihipStream_tbENKUlT_T0_SI_SN_E_clISD_PxSD_S15_EEDaS11_S12_SI_SN_EUlS11_E_NS1_11comp_targetILNS1_3genE8ELNS1_11target_archE1030ELNS1_3gpuE2ELNS1_3repE0EEENS1_47radix_sort_onesweep_sort_config_static_selectorELNS0_4arch9wavefront6targetE1EEEvSI_
                                        ; -- End function
	.set _ZN7rocprim17ROCPRIM_400000_NS6detail17trampoline_kernelINS0_14default_configENS1_35radix_sort_onesweep_config_selectorIxxEEZZNS1_29radix_sort_onesweep_iterationIS3_Lb0EN6thrust23THRUST_200600_302600_NS6detail15normal_iteratorINS8_10device_ptrIxEEEESD_SD_SD_jNS0_19identity_decomposerENS1_16block_id_wrapperIjLb0EEEEE10hipError_tT1_PNSt15iterator_traitsISI_E10value_typeET2_T3_PNSJ_ISO_E10value_typeET4_T5_PST_SU_PNS1_23onesweep_lookback_stateEbbT6_jjT7_P12ihipStream_tbENKUlT_T0_SI_SN_E_clISD_PxSD_S15_EEDaS11_S12_SI_SN_EUlS11_E_NS1_11comp_targetILNS1_3genE8ELNS1_11target_archE1030ELNS1_3gpuE2ELNS1_3repE0EEENS1_47radix_sort_onesweep_sort_config_static_selectorELNS0_4arch9wavefront6targetE1EEEvSI_.num_vgpr, 0
	.set _ZN7rocprim17ROCPRIM_400000_NS6detail17trampoline_kernelINS0_14default_configENS1_35radix_sort_onesweep_config_selectorIxxEEZZNS1_29radix_sort_onesweep_iterationIS3_Lb0EN6thrust23THRUST_200600_302600_NS6detail15normal_iteratorINS8_10device_ptrIxEEEESD_SD_SD_jNS0_19identity_decomposerENS1_16block_id_wrapperIjLb0EEEEE10hipError_tT1_PNSt15iterator_traitsISI_E10value_typeET2_T3_PNSJ_ISO_E10value_typeET4_T5_PST_SU_PNS1_23onesweep_lookback_stateEbbT6_jjT7_P12ihipStream_tbENKUlT_T0_SI_SN_E_clISD_PxSD_S15_EEDaS11_S12_SI_SN_EUlS11_E_NS1_11comp_targetILNS1_3genE8ELNS1_11target_archE1030ELNS1_3gpuE2ELNS1_3repE0EEENS1_47radix_sort_onesweep_sort_config_static_selectorELNS0_4arch9wavefront6targetE1EEEvSI_.num_agpr, 0
	.set _ZN7rocprim17ROCPRIM_400000_NS6detail17trampoline_kernelINS0_14default_configENS1_35radix_sort_onesweep_config_selectorIxxEEZZNS1_29radix_sort_onesweep_iterationIS3_Lb0EN6thrust23THRUST_200600_302600_NS6detail15normal_iteratorINS8_10device_ptrIxEEEESD_SD_SD_jNS0_19identity_decomposerENS1_16block_id_wrapperIjLb0EEEEE10hipError_tT1_PNSt15iterator_traitsISI_E10value_typeET2_T3_PNSJ_ISO_E10value_typeET4_T5_PST_SU_PNS1_23onesweep_lookback_stateEbbT6_jjT7_P12ihipStream_tbENKUlT_T0_SI_SN_E_clISD_PxSD_S15_EEDaS11_S12_SI_SN_EUlS11_E_NS1_11comp_targetILNS1_3genE8ELNS1_11target_archE1030ELNS1_3gpuE2ELNS1_3repE0EEENS1_47radix_sort_onesweep_sort_config_static_selectorELNS0_4arch9wavefront6targetE1EEEvSI_.numbered_sgpr, 0
	.set _ZN7rocprim17ROCPRIM_400000_NS6detail17trampoline_kernelINS0_14default_configENS1_35radix_sort_onesweep_config_selectorIxxEEZZNS1_29radix_sort_onesweep_iterationIS3_Lb0EN6thrust23THRUST_200600_302600_NS6detail15normal_iteratorINS8_10device_ptrIxEEEESD_SD_SD_jNS0_19identity_decomposerENS1_16block_id_wrapperIjLb0EEEEE10hipError_tT1_PNSt15iterator_traitsISI_E10value_typeET2_T3_PNSJ_ISO_E10value_typeET4_T5_PST_SU_PNS1_23onesweep_lookback_stateEbbT6_jjT7_P12ihipStream_tbENKUlT_T0_SI_SN_E_clISD_PxSD_S15_EEDaS11_S12_SI_SN_EUlS11_E_NS1_11comp_targetILNS1_3genE8ELNS1_11target_archE1030ELNS1_3gpuE2ELNS1_3repE0EEENS1_47radix_sort_onesweep_sort_config_static_selectorELNS0_4arch9wavefront6targetE1EEEvSI_.num_named_barrier, 0
	.set _ZN7rocprim17ROCPRIM_400000_NS6detail17trampoline_kernelINS0_14default_configENS1_35radix_sort_onesweep_config_selectorIxxEEZZNS1_29radix_sort_onesweep_iterationIS3_Lb0EN6thrust23THRUST_200600_302600_NS6detail15normal_iteratorINS8_10device_ptrIxEEEESD_SD_SD_jNS0_19identity_decomposerENS1_16block_id_wrapperIjLb0EEEEE10hipError_tT1_PNSt15iterator_traitsISI_E10value_typeET2_T3_PNSJ_ISO_E10value_typeET4_T5_PST_SU_PNS1_23onesweep_lookback_stateEbbT6_jjT7_P12ihipStream_tbENKUlT_T0_SI_SN_E_clISD_PxSD_S15_EEDaS11_S12_SI_SN_EUlS11_E_NS1_11comp_targetILNS1_3genE8ELNS1_11target_archE1030ELNS1_3gpuE2ELNS1_3repE0EEENS1_47radix_sort_onesweep_sort_config_static_selectorELNS0_4arch9wavefront6targetE1EEEvSI_.private_seg_size, 0
	.set _ZN7rocprim17ROCPRIM_400000_NS6detail17trampoline_kernelINS0_14default_configENS1_35radix_sort_onesweep_config_selectorIxxEEZZNS1_29radix_sort_onesweep_iterationIS3_Lb0EN6thrust23THRUST_200600_302600_NS6detail15normal_iteratorINS8_10device_ptrIxEEEESD_SD_SD_jNS0_19identity_decomposerENS1_16block_id_wrapperIjLb0EEEEE10hipError_tT1_PNSt15iterator_traitsISI_E10value_typeET2_T3_PNSJ_ISO_E10value_typeET4_T5_PST_SU_PNS1_23onesweep_lookback_stateEbbT6_jjT7_P12ihipStream_tbENKUlT_T0_SI_SN_E_clISD_PxSD_S15_EEDaS11_S12_SI_SN_EUlS11_E_NS1_11comp_targetILNS1_3genE8ELNS1_11target_archE1030ELNS1_3gpuE2ELNS1_3repE0EEENS1_47radix_sort_onesweep_sort_config_static_selectorELNS0_4arch9wavefront6targetE1EEEvSI_.uses_vcc, 0
	.set _ZN7rocprim17ROCPRIM_400000_NS6detail17trampoline_kernelINS0_14default_configENS1_35radix_sort_onesweep_config_selectorIxxEEZZNS1_29radix_sort_onesweep_iterationIS3_Lb0EN6thrust23THRUST_200600_302600_NS6detail15normal_iteratorINS8_10device_ptrIxEEEESD_SD_SD_jNS0_19identity_decomposerENS1_16block_id_wrapperIjLb0EEEEE10hipError_tT1_PNSt15iterator_traitsISI_E10value_typeET2_T3_PNSJ_ISO_E10value_typeET4_T5_PST_SU_PNS1_23onesweep_lookback_stateEbbT6_jjT7_P12ihipStream_tbENKUlT_T0_SI_SN_E_clISD_PxSD_S15_EEDaS11_S12_SI_SN_EUlS11_E_NS1_11comp_targetILNS1_3genE8ELNS1_11target_archE1030ELNS1_3gpuE2ELNS1_3repE0EEENS1_47radix_sort_onesweep_sort_config_static_selectorELNS0_4arch9wavefront6targetE1EEEvSI_.uses_flat_scratch, 0
	.set _ZN7rocprim17ROCPRIM_400000_NS6detail17trampoline_kernelINS0_14default_configENS1_35radix_sort_onesweep_config_selectorIxxEEZZNS1_29radix_sort_onesweep_iterationIS3_Lb0EN6thrust23THRUST_200600_302600_NS6detail15normal_iteratorINS8_10device_ptrIxEEEESD_SD_SD_jNS0_19identity_decomposerENS1_16block_id_wrapperIjLb0EEEEE10hipError_tT1_PNSt15iterator_traitsISI_E10value_typeET2_T3_PNSJ_ISO_E10value_typeET4_T5_PST_SU_PNS1_23onesweep_lookback_stateEbbT6_jjT7_P12ihipStream_tbENKUlT_T0_SI_SN_E_clISD_PxSD_S15_EEDaS11_S12_SI_SN_EUlS11_E_NS1_11comp_targetILNS1_3genE8ELNS1_11target_archE1030ELNS1_3gpuE2ELNS1_3repE0EEENS1_47radix_sort_onesweep_sort_config_static_selectorELNS0_4arch9wavefront6targetE1EEEvSI_.has_dyn_sized_stack, 0
	.set _ZN7rocprim17ROCPRIM_400000_NS6detail17trampoline_kernelINS0_14default_configENS1_35radix_sort_onesweep_config_selectorIxxEEZZNS1_29radix_sort_onesweep_iterationIS3_Lb0EN6thrust23THRUST_200600_302600_NS6detail15normal_iteratorINS8_10device_ptrIxEEEESD_SD_SD_jNS0_19identity_decomposerENS1_16block_id_wrapperIjLb0EEEEE10hipError_tT1_PNSt15iterator_traitsISI_E10value_typeET2_T3_PNSJ_ISO_E10value_typeET4_T5_PST_SU_PNS1_23onesweep_lookback_stateEbbT6_jjT7_P12ihipStream_tbENKUlT_T0_SI_SN_E_clISD_PxSD_S15_EEDaS11_S12_SI_SN_EUlS11_E_NS1_11comp_targetILNS1_3genE8ELNS1_11target_archE1030ELNS1_3gpuE2ELNS1_3repE0EEENS1_47radix_sort_onesweep_sort_config_static_selectorELNS0_4arch9wavefront6targetE1EEEvSI_.has_recursion, 0
	.set _ZN7rocprim17ROCPRIM_400000_NS6detail17trampoline_kernelINS0_14default_configENS1_35radix_sort_onesweep_config_selectorIxxEEZZNS1_29radix_sort_onesweep_iterationIS3_Lb0EN6thrust23THRUST_200600_302600_NS6detail15normal_iteratorINS8_10device_ptrIxEEEESD_SD_SD_jNS0_19identity_decomposerENS1_16block_id_wrapperIjLb0EEEEE10hipError_tT1_PNSt15iterator_traitsISI_E10value_typeET2_T3_PNSJ_ISO_E10value_typeET4_T5_PST_SU_PNS1_23onesweep_lookback_stateEbbT6_jjT7_P12ihipStream_tbENKUlT_T0_SI_SN_E_clISD_PxSD_S15_EEDaS11_S12_SI_SN_EUlS11_E_NS1_11comp_targetILNS1_3genE8ELNS1_11target_archE1030ELNS1_3gpuE2ELNS1_3repE0EEENS1_47radix_sort_onesweep_sort_config_static_selectorELNS0_4arch9wavefront6targetE1EEEvSI_.has_indirect_call, 0
	.section	.AMDGPU.csdata,"",@progbits
; Kernel info:
; codeLenInByte = 0
; TotalNumSgprs: 6
; NumVgprs: 0
; NumAgprs: 0
; TotalNumVgprs: 0
; ScratchSize: 0
; MemoryBound: 0
; FloatMode: 240
; IeeeMode: 1
; LDSByteSize: 0 bytes/workgroup (compile time only)
; SGPRBlocks: 0
; VGPRBlocks: 0
; NumSGPRsForWavesPerEU: 6
; NumVGPRsForWavesPerEU: 1
; AccumOffset: 4
; Occupancy: 8
; WaveLimiterHint : 0
; COMPUTE_PGM_RSRC2:SCRATCH_EN: 0
; COMPUTE_PGM_RSRC2:USER_SGPR: 2
; COMPUTE_PGM_RSRC2:TRAP_HANDLER: 0
; COMPUTE_PGM_RSRC2:TGID_X_EN: 1
; COMPUTE_PGM_RSRC2:TGID_Y_EN: 0
; COMPUTE_PGM_RSRC2:TGID_Z_EN: 0
; COMPUTE_PGM_RSRC2:TIDIG_COMP_CNT: 0
; COMPUTE_PGM_RSRC3_GFX90A:ACCUM_OFFSET: 0
; COMPUTE_PGM_RSRC3_GFX90A:TG_SPLIT: 0
	.section	.text._ZN7rocprim17ROCPRIM_400000_NS6detail17trampoline_kernelINS0_14default_configENS1_35radix_sort_onesweep_config_selectorIxxEEZZNS1_29radix_sort_onesweep_iterationIS3_Lb0EN6thrust23THRUST_200600_302600_NS6detail15normal_iteratorINS8_10device_ptrIxEEEESD_SD_SD_jNS0_19identity_decomposerENS1_16block_id_wrapperIjLb0EEEEE10hipError_tT1_PNSt15iterator_traitsISI_E10value_typeET2_T3_PNSJ_ISO_E10value_typeET4_T5_PST_SU_PNS1_23onesweep_lookback_stateEbbT6_jjT7_P12ihipStream_tbENKUlT_T0_SI_SN_E_clIPxSD_S15_SD_EEDaS11_S12_SI_SN_EUlS11_E_NS1_11comp_targetILNS1_3genE0ELNS1_11target_archE4294967295ELNS1_3gpuE0ELNS1_3repE0EEENS1_47radix_sort_onesweep_sort_config_static_selectorELNS0_4arch9wavefront6targetE1EEEvSI_,"axG",@progbits,_ZN7rocprim17ROCPRIM_400000_NS6detail17trampoline_kernelINS0_14default_configENS1_35radix_sort_onesweep_config_selectorIxxEEZZNS1_29radix_sort_onesweep_iterationIS3_Lb0EN6thrust23THRUST_200600_302600_NS6detail15normal_iteratorINS8_10device_ptrIxEEEESD_SD_SD_jNS0_19identity_decomposerENS1_16block_id_wrapperIjLb0EEEEE10hipError_tT1_PNSt15iterator_traitsISI_E10value_typeET2_T3_PNSJ_ISO_E10value_typeET4_T5_PST_SU_PNS1_23onesweep_lookback_stateEbbT6_jjT7_P12ihipStream_tbENKUlT_T0_SI_SN_E_clIPxSD_S15_SD_EEDaS11_S12_SI_SN_EUlS11_E_NS1_11comp_targetILNS1_3genE0ELNS1_11target_archE4294967295ELNS1_3gpuE0ELNS1_3repE0EEENS1_47radix_sort_onesweep_sort_config_static_selectorELNS0_4arch9wavefront6targetE1EEEvSI_,comdat
	.protected	_ZN7rocprim17ROCPRIM_400000_NS6detail17trampoline_kernelINS0_14default_configENS1_35radix_sort_onesweep_config_selectorIxxEEZZNS1_29radix_sort_onesweep_iterationIS3_Lb0EN6thrust23THRUST_200600_302600_NS6detail15normal_iteratorINS8_10device_ptrIxEEEESD_SD_SD_jNS0_19identity_decomposerENS1_16block_id_wrapperIjLb0EEEEE10hipError_tT1_PNSt15iterator_traitsISI_E10value_typeET2_T3_PNSJ_ISO_E10value_typeET4_T5_PST_SU_PNS1_23onesweep_lookback_stateEbbT6_jjT7_P12ihipStream_tbENKUlT_T0_SI_SN_E_clIPxSD_S15_SD_EEDaS11_S12_SI_SN_EUlS11_E_NS1_11comp_targetILNS1_3genE0ELNS1_11target_archE4294967295ELNS1_3gpuE0ELNS1_3repE0EEENS1_47radix_sort_onesweep_sort_config_static_selectorELNS0_4arch9wavefront6targetE1EEEvSI_ ; -- Begin function _ZN7rocprim17ROCPRIM_400000_NS6detail17trampoline_kernelINS0_14default_configENS1_35radix_sort_onesweep_config_selectorIxxEEZZNS1_29radix_sort_onesweep_iterationIS3_Lb0EN6thrust23THRUST_200600_302600_NS6detail15normal_iteratorINS8_10device_ptrIxEEEESD_SD_SD_jNS0_19identity_decomposerENS1_16block_id_wrapperIjLb0EEEEE10hipError_tT1_PNSt15iterator_traitsISI_E10value_typeET2_T3_PNSJ_ISO_E10value_typeET4_T5_PST_SU_PNS1_23onesweep_lookback_stateEbbT6_jjT7_P12ihipStream_tbENKUlT_T0_SI_SN_E_clIPxSD_S15_SD_EEDaS11_S12_SI_SN_EUlS11_E_NS1_11comp_targetILNS1_3genE0ELNS1_11target_archE4294967295ELNS1_3gpuE0ELNS1_3repE0EEENS1_47radix_sort_onesweep_sort_config_static_selectorELNS0_4arch9wavefront6targetE1EEEvSI_
	.globl	_ZN7rocprim17ROCPRIM_400000_NS6detail17trampoline_kernelINS0_14default_configENS1_35radix_sort_onesweep_config_selectorIxxEEZZNS1_29radix_sort_onesweep_iterationIS3_Lb0EN6thrust23THRUST_200600_302600_NS6detail15normal_iteratorINS8_10device_ptrIxEEEESD_SD_SD_jNS0_19identity_decomposerENS1_16block_id_wrapperIjLb0EEEEE10hipError_tT1_PNSt15iterator_traitsISI_E10value_typeET2_T3_PNSJ_ISO_E10value_typeET4_T5_PST_SU_PNS1_23onesweep_lookback_stateEbbT6_jjT7_P12ihipStream_tbENKUlT_T0_SI_SN_E_clIPxSD_S15_SD_EEDaS11_S12_SI_SN_EUlS11_E_NS1_11comp_targetILNS1_3genE0ELNS1_11target_archE4294967295ELNS1_3gpuE0ELNS1_3repE0EEENS1_47radix_sort_onesweep_sort_config_static_selectorELNS0_4arch9wavefront6targetE1EEEvSI_
	.p2align	8
	.type	_ZN7rocprim17ROCPRIM_400000_NS6detail17trampoline_kernelINS0_14default_configENS1_35radix_sort_onesweep_config_selectorIxxEEZZNS1_29radix_sort_onesweep_iterationIS3_Lb0EN6thrust23THRUST_200600_302600_NS6detail15normal_iteratorINS8_10device_ptrIxEEEESD_SD_SD_jNS0_19identity_decomposerENS1_16block_id_wrapperIjLb0EEEEE10hipError_tT1_PNSt15iterator_traitsISI_E10value_typeET2_T3_PNSJ_ISO_E10value_typeET4_T5_PST_SU_PNS1_23onesweep_lookback_stateEbbT6_jjT7_P12ihipStream_tbENKUlT_T0_SI_SN_E_clIPxSD_S15_SD_EEDaS11_S12_SI_SN_EUlS11_E_NS1_11comp_targetILNS1_3genE0ELNS1_11target_archE4294967295ELNS1_3gpuE0ELNS1_3repE0EEENS1_47radix_sort_onesweep_sort_config_static_selectorELNS0_4arch9wavefront6targetE1EEEvSI_,@function
_ZN7rocprim17ROCPRIM_400000_NS6detail17trampoline_kernelINS0_14default_configENS1_35radix_sort_onesweep_config_selectorIxxEEZZNS1_29radix_sort_onesweep_iterationIS3_Lb0EN6thrust23THRUST_200600_302600_NS6detail15normal_iteratorINS8_10device_ptrIxEEEESD_SD_SD_jNS0_19identity_decomposerENS1_16block_id_wrapperIjLb0EEEEE10hipError_tT1_PNSt15iterator_traitsISI_E10value_typeET2_T3_PNSJ_ISO_E10value_typeET4_T5_PST_SU_PNS1_23onesweep_lookback_stateEbbT6_jjT7_P12ihipStream_tbENKUlT_T0_SI_SN_E_clIPxSD_S15_SD_EEDaS11_S12_SI_SN_EUlS11_E_NS1_11comp_targetILNS1_3genE0ELNS1_11target_archE4294967295ELNS1_3gpuE0ELNS1_3repE0EEENS1_47radix_sort_onesweep_sort_config_static_selectorELNS0_4arch9wavefront6targetE1EEEvSI_: ; @_ZN7rocprim17ROCPRIM_400000_NS6detail17trampoline_kernelINS0_14default_configENS1_35radix_sort_onesweep_config_selectorIxxEEZZNS1_29radix_sort_onesweep_iterationIS3_Lb0EN6thrust23THRUST_200600_302600_NS6detail15normal_iteratorINS8_10device_ptrIxEEEESD_SD_SD_jNS0_19identity_decomposerENS1_16block_id_wrapperIjLb0EEEEE10hipError_tT1_PNSt15iterator_traitsISI_E10value_typeET2_T3_PNSJ_ISO_E10value_typeET4_T5_PST_SU_PNS1_23onesweep_lookback_stateEbbT6_jjT7_P12ihipStream_tbENKUlT_T0_SI_SN_E_clIPxSD_S15_SD_EEDaS11_S12_SI_SN_EUlS11_E_NS1_11comp_targetILNS1_3genE0ELNS1_11target_archE4294967295ELNS1_3gpuE0ELNS1_3repE0EEENS1_47radix_sort_onesweep_sort_config_static_selectorELNS0_4arch9wavefront6targetE1EEEvSI_
; %bb.0:
	.section	.rodata,"a",@progbits
	.p2align	6, 0x0
	.amdhsa_kernel _ZN7rocprim17ROCPRIM_400000_NS6detail17trampoline_kernelINS0_14default_configENS1_35radix_sort_onesweep_config_selectorIxxEEZZNS1_29radix_sort_onesweep_iterationIS3_Lb0EN6thrust23THRUST_200600_302600_NS6detail15normal_iteratorINS8_10device_ptrIxEEEESD_SD_SD_jNS0_19identity_decomposerENS1_16block_id_wrapperIjLb0EEEEE10hipError_tT1_PNSt15iterator_traitsISI_E10value_typeET2_T3_PNSJ_ISO_E10value_typeET4_T5_PST_SU_PNS1_23onesweep_lookback_stateEbbT6_jjT7_P12ihipStream_tbENKUlT_T0_SI_SN_E_clIPxSD_S15_SD_EEDaS11_S12_SI_SN_EUlS11_E_NS1_11comp_targetILNS1_3genE0ELNS1_11target_archE4294967295ELNS1_3gpuE0ELNS1_3repE0EEENS1_47radix_sort_onesweep_sort_config_static_selectorELNS0_4arch9wavefront6targetE1EEEvSI_
		.amdhsa_group_segment_fixed_size 0
		.amdhsa_private_segment_fixed_size 0
		.amdhsa_kernarg_size 88
		.amdhsa_user_sgpr_count 2
		.amdhsa_user_sgpr_dispatch_ptr 0
		.amdhsa_user_sgpr_queue_ptr 0
		.amdhsa_user_sgpr_kernarg_segment_ptr 1
		.amdhsa_user_sgpr_dispatch_id 0
		.amdhsa_user_sgpr_kernarg_preload_length 0
		.amdhsa_user_sgpr_kernarg_preload_offset 0
		.amdhsa_user_sgpr_private_segment_size 0
		.amdhsa_uses_dynamic_stack 0
		.amdhsa_enable_private_segment 0
		.amdhsa_system_sgpr_workgroup_id_x 1
		.amdhsa_system_sgpr_workgroup_id_y 0
		.amdhsa_system_sgpr_workgroup_id_z 0
		.amdhsa_system_sgpr_workgroup_info 0
		.amdhsa_system_vgpr_workitem_id 0
		.amdhsa_next_free_vgpr 1
		.amdhsa_next_free_sgpr 0
		.amdhsa_accum_offset 4
		.amdhsa_reserve_vcc 0
		.amdhsa_float_round_mode_32 0
		.amdhsa_float_round_mode_16_64 0
		.amdhsa_float_denorm_mode_32 3
		.amdhsa_float_denorm_mode_16_64 3
		.amdhsa_dx10_clamp 1
		.amdhsa_ieee_mode 1
		.amdhsa_fp16_overflow 0
		.amdhsa_tg_split 0
		.amdhsa_exception_fp_ieee_invalid_op 0
		.amdhsa_exception_fp_denorm_src 0
		.amdhsa_exception_fp_ieee_div_zero 0
		.amdhsa_exception_fp_ieee_overflow 0
		.amdhsa_exception_fp_ieee_underflow 0
		.amdhsa_exception_fp_ieee_inexact 0
		.amdhsa_exception_int_div_zero 0
	.end_amdhsa_kernel
	.section	.text._ZN7rocprim17ROCPRIM_400000_NS6detail17trampoline_kernelINS0_14default_configENS1_35radix_sort_onesweep_config_selectorIxxEEZZNS1_29radix_sort_onesweep_iterationIS3_Lb0EN6thrust23THRUST_200600_302600_NS6detail15normal_iteratorINS8_10device_ptrIxEEEESD_SD_SD_jNS0_19identity_decomposerENS1_16block_id_wrapperIjLb0EEEEE10hipError_tT1_PNSt15iterator_traitsISI_E10value_typeET2_T3_PNSJ_ISO_E10value_typeET4_T5_PST_SU_PNS1_23onesweep_lookback_stateEbbT6_jjT7_P12ihipStream_tbENKUlT_T0_SI_SN_E_clIPxSD_S15_SD_EEDaS11_S12_SI_SN_EUlS11_E_NS1_11comp_targetILNS1_3genE0ELNS1_11target_archE4294967295ELNS1_3gpuE0ELNS1_3repE0EEENS1_47radix_sort_onesweep_sort_config_static_selectorELNS0_4arch9wavefront6targetE1EEEvSI_,"axG",@progbits,_ZN7rocprim17ROCPRIM_400000_NS6detail17trampoline_kernelINS0_14default_configENS1_35radix_sort_onesweep_config_selectorIxxEEZZNS1_29radix_sort_onesweep_iterationIS3_Lb0EN6thrust23THRUST_200600_302600_NS6detail15normal_iteratorINS8_10device_ptrIxEEEESD_SD_SD_jNS0_19identity_decomposerENS1_16block_id_wrapperIjLb0EEEEE10hipError_tT1_PNSt15iterator_traitsISI_E10value_typeET2_T3_PNSJ_ISO_E10value_typeET4_T5_PST_SU_PNS1_23onesweep_lookback_stateEbbT6_jjT7_P12ihipStream_tbENKUlT_T0_SI_SN_E_clIPxSD_S15_SD_EEDaS11_S12_SI_SN_EUlS11_E_NS1_11comp_targetILNS1_3genE0ELNS1_11target_archE4294967295ELNS1_3gpuE0ELNS1_3repE0EEENS1_47radix_sort_onesweep_sort_config_static_selectorELNS0_4arch9wavefront6targetE1EEEvSI_,comdat
.Lfunc_end1242:
	.size	_ZN7rocprim17ROCPRIM_400000_NS6detail17trampoline_kernelINS0_14default_configENS1_35radix_sort_onesweep_config_selectorIxxEEZZNS1_29radix_sort_onesweep_iterationIS3_Lb0EN6thrust23THRUST_200600_302600_NS6detail15normal_iteratorINS8_10device_ptrIxEEEESD_SD_SD_jNS0_19identity_decomposerENS1_16block_id_wrapperIjLb0EEEEE10hipError_tT1_PNSt15iterator_traitsISI_E10value_typeET2_T3_PNSJ_ISO_E10value_typeET4_T5_PST_SU_PNS1_23onesweep_lookback_stateEbbT6_jjT7_P12ihipStream_tbENKUlT_T0_SI_SN_E_clIPxSD_S15_SD_EEDaS11_S12_SI_SN_EUlS11_E_NS1_11comp_targetILNS1_3genE0ELNS1_11target_archE4294967295ELNS1_3gpuE0ELNS1_3repE0EEENS1_47radix_sort_onesweep_sort_config_static_selectorELNS0_4arch9wavefront6targetE1EEEvSI_, .Lfunc_end1242-_ZN7rocprim17ROCPRIM_400000_NS6detail17trampoline_kernelINS0_14default_configENS1_35radix_sort_onesweep_config_selectorIxxEEZZNS1_29radix_sort_onesweep_iterationIS3_Lb0EN6thrust23THRUST_200600_302600_NS6detail15normal_iteratorINS8_10device_ptrIxEEEESD_SD_SD_jNS0_19identity_decomposerENS1_16block_id_wrapperIjLb0EEEEE10hipError_tT1_PNSt15iterator_traitsISI_E10value_typeET2_T3_PNSJ_ISO_E10value_typeET4_T5_PST_SU_PNS1_23onesweep_lookback_stateEbbT6_jjT7_P12ihipStream_tbENKUlT_T0_SI_SN_E_clIPxSD_S15_SD_EEDaS11_S12_SI_SN_EUlS11_E_NS1_11comp_targetILNS1_3genE0ELNS1_11target_archE4294967295ELNS1_3gpuE0ELNS1_3repE0EEENS1_47radix_sort_onesweep_sort_config_static_selectorELNS0_4arch9wavefront6targetE1EEEvSI_
                                        ; -- End function
	.set _ZN7rocprim17ROCPRIM_400000_NS6detail17trampoline_kernelINS0_14default_configENS1_35radix_sort_onesweep_config_selectorIxxEEZZNS1_29radix_sort_onesweep_iterationIS3_Lb0EN6thrust23THRUST_200600_302600_NS6detail15normal_iteratorINS8_10device_ptrIxEEEESD_SD_SD_jNS0_19identity_decomposerENS1_16block_id_wrapperIjLb0EEEEE10hipError_tT1_PNSt15iterator_traitsISI_E10value_typeET2_T3_PNSJ_ISO_E10value_typeET4_T5_PST_SU_PNS1_23onesweep_lookback_stateEbbT6_jjT7_P12ihipStream_tbENKUlT_T0_SI_SN_E_clIPxSD_S15_SD_EEDaS11_S12_SI_SN_EUlS11_E_NS1_11comp_targetILNS1_3genE0ELNS1_11target_archE4294967295ELNS1_3gpuE0ELNS1_3repE0EEENS1_47radix_sort_onesweep_sort_config_static_selectorELNS0_4arch9wavefront6targetE1EEEvSI_.num_vgpr, 0
	.set _ZN7rocprim17ROCPRIM_400000_NS6detail17trampoline_kernelINS0_14default_configENS1_35radix_sort_onesweep_config_selectorIxxEEZZNS1_29radix_sort_onesweep_iterationIS3_Lb0EN6thrust23THRUST_200600_302600_NS6detail15normal_iteratorINS8_10device_ptrIxEEEESD_SD_SD_jNS0_19identity_decomposerENS1_16block_id_wrapperIjLb0EEEEE10hipError_tT1_PNSt15iterator_traitsISI_E10value_typeET2_T3_PNSJ_ISO_E10value_typeET4_T5_PST_SU_PNS1_23onesweep_lookback_stateEbbT6_jjT7_P12ihipStream_tbENKUlT_T0_SI_SN_E_clIPxSD_S15_SD_EEDaS11_S12_SI_SN_EUlS11_E_NS1_11comp_targetILNS1_3genE0ELNS1_11target_archE4294967295ELNS1_3gpuE0ELNS1_3repE0EEENS1_47radix_sort_onesweep_sort_config_static_selectorELNS0_4arch9wavefront6targetE1EEEvSI_.num_agpr, 0
	.set _ZN7rocprim17ROCPRIM_400000_NS6detail17trampoline_kernelINS0_14default_configENS1_35radix_sort_onesweep_config_selectorIxxEEZZNS1_29radix_sort_onesweep_iterationIS3_Lb0EN6thrust23THRUST_200600_302600_NS6detail15normal_iteratorINS8_10device_ptrIxEEEESD_SD_SD_jNS0_19identity_decomposerENS1_16block_id_wrapperIjLb0EEEEE10hipError_tT1_PNSt15iterator_traitsISI_E10value_typeET2_T3_PNSJ_ISO_E10value_typeET4_T5_PST_SU_PNS1_23onesweep_lookback_stateEbbT6_jjT7_P12ihipStream_tbENKUlT_T0_SI_SN_E_clIPxSD_S15_SD_EEDaS11_S12_SI_SN_EUlS11_E_NS1_11comp_targetILNS1_3genE0ELNS1_11target_archE4294967295ELNS1_3gpuE0ELNS1_3repE0EEENS1_47radix_sort_onesweep_sort_config_static_selectorELNS0_4arch9wavefront6targetE1EEEvSI_.numbered_sgpr, 0
	.set _ZN7rocprim17ROCPRIM_400000_NS6detail17trampoline_kernelINS0_14default_configENS1_35radix_sort_onesweep_config_selectorIxxEEZZNS1_29radix_sort_onesweep_iterationIS3_Lb0EN6thrust23THRUST_200600_302600_NS6detail15normal_iteratorINS8_10device_ptrIxEEEESD_SD_SD_jNS0_19identity_decomposerENS1_16block_id_wrapperIjLb0EEEEE10hipError_tT1_PNSt15iterator_traitsISI_E10value_typeET2_T3_PNSJ_ISO_E10value_typeET4_T5_PST_SU_PNS1_23onesweep_lookback_stateEbbT6_jjT7_P12ihipStream_tbENKUlT_T0_SI_SN_E_clIPxSD_S15_SD_EEDaS11_S12_SI_SN_EUlS11_E_NS1_11comp_targetILNS1_3genE0ELNS1_11target_archE4294967295ELNS1_3gpuE0ELNS1_3repE0EEENS1_47radix_sort_onesweep_sort_config_static_selectorELNS0_4arch9wavefront6targetE1EEEvSI_.num_named_barrier, 0
	.set _ZN7rocprim17ROCPRIM_400000_NS6detail17trampoline_kernelINS0_14default_configENS1_35radix_sort_onesweep_config_selectorIxxEEZZNS1_29radix_sort_onesweep_iterationIS3_Lb0EN6thrust23THRUST_200600_302600_NS6detail15normal_iteratorINS8_10device_ptrIxEEEESD_SD_SD_jNS0_19identity_decomposerENS1_16block_id_wrapperIjLb0EEEEE10hipError_tT1_PNSt15iterator_traitsISI_E10value_typeET2_T3_PNSJ_ISO_E10value_typeET4_T5_PST_SU_PNS1_23onesweep_lookback_stateEbbT6_jjT7_P12ihipStream_tbENKUlT_T0_SI_SN_E_clIPxSD_S15_SD_EEDaS11_S12_SI_SN_EUlS11_E_NS1_11comp_targetILNS1_3genE0ELNS1_11target_archE4294967295ELNS1_3gpuE0ELNS1_3repE0EEENS1_47radix_sort_onesweep_sort_config_static_selectorELNS0_4arch9wavefront6targetE1EEEvSI_.private_seg_size, 0
	.set _ZN7rocprim17ROCPRIM_400000_NS6detail17trampoline_kernelINS0_14default_configENS1_35radix_sort_onesweep_config_selectorIxxEEZZNS1_29radix_sort_onesweep_iterationIS3_Lb0EN6thrust23THRUST_200600_302600_NS6detail15normal_iteratorINS8_10device_ptrIxEEEESD_SD_SD_jNS0_19identity_decomposerENS1_16block_id_wrapperIjLb0EEEEE10hipError_tT1_PNSt15iterator_traitsISI_E10value_typeET2_T3_PNSJ_ISO_E10value_typeET4_T5_PST_SU_PNS1_23onesweep_lookback_stateEbbT6_jjT7_P12ihipStream_tbENKUlT_T0_SI_SN_E_clIPxSD_S15_SD_EEDaS11_S12_SI_SN_EUlS11_E_NS1_11comp_targetILNS1_3genE0ELNS1_11target_archE4294967295ELNS1_3gpuE0ELNS1_3repE0EEENS1_47radix_sort_onesweep_sort_config_static_selectorELNS0_4arch9wavefront6targetE1EEEvSI_.uses_vcc, 0
	.set _ZN7rocprim17ROCPRIM_400000_NS6detail17trampoline_kernelINS0_14default_configENS1_35radix_sort_onesweep_config_selectorIxxEEZZNS1_29radix_sort_onesweep_iterationIS3_Lb0EN6thrust23THRUST_200600_302600_NS6detail15normal_iteratorINS8_10device_ptrIxEEEESD_SD_SD_jNS0_19identity_decomposerENS1_16block_id_wrapperIjLb0EEEEE10hipError_tT1_PNSt15iterator_traitsISI_E10value_typeET2_T3_PNSJ_ISO_E10value_typeET4_T5_PST_SU_PNS1_23onesweep_lookback_stateEbbT6_jjT7_P12ihipStream_tbENKUlT_T0_SI_SN_E_clIPxSD_S15_SD_EEDaS11_S12_SI_SN_EUlS11_E_NS1_11comp_targetILNS1_3genE0ELNS1_11target_archE4294967295ELNS1_3gpuE0ELNS1_3repE0EEENS1_47radix_sort_onesweep_sort_config_static_selectorELNS0_4arch9wavefront6targetE1EEEvSI_.uses_flat_scratch, 0
	.set _ZN7rocprim17ROCPRIM_400000_NS6detail17trampoline_kernelINS0_14default_configENS1_35radix_sort_onesweep_config_selectorIxxEEZZNS1_29radix_sort_onesweep_iterationIS3_Lb0EN6thrust23THRUST_200600_302600_NS6detail15normal_iteratorINS8_10device_ptrIxEEEESD_SD_SD_jNS0_19identity_decomposerENS1_16block_id_wrapperIjLb0EEEEE10hipError_tT1_PNSt15iterator_traitsISI_E10value_typeET2_T3_PNSJ_ISO_E10value_typeET4_T5_PST_SU_PNS1_23onesweep_lookback_stateEbbT6_jjT7_P12ihipStream_tbENKUlT_T0_SI_SN_E_clIPxSD_S15_SD_EEDaS11_S12_SI_SN_EUlS11_E_NS1_11comp_targetILNS1_3genE0ELNS1_11target_archE4294967295ELNS1_3gpuE0ELNS1_3repE0EEENS1_47radix_sort_onesweep_sort_config_static_selectorELNS0_4arch9wavefront6targetE1EEEvSI_.has_dyn_sized_stack, 0
	.set _ZN7rocprim17ROCPRIM_400000_NS6detail17trampoline_kernelINS0_14default_configENS1_35radix_sort_onesweep_config_selectorIxxEEZZNS1_29radix_sort_onesweep_iterationIS3_Lb0EN6thrust23THRUST_200600_302600_NS6detail15normal_iteratorINS8_10device_ptrIxEEEESD_SD_SD_jNS0_19identity_decomposerENS1_16block_id_wrapperIjLb0EEEEE10hipError_tT1_PNSt15iterator_traitsISI_E10value_typeET2_T3_PNSJ_ISO_E10value_typeET4_T5_PST_SU_PNS1_23onesweep_lookback_stateEbbT6_jjT7_P12ihipStream_tbENKUlT_T0_SI_SN_E_clIPxSD_S15_SD_EEDaS11_S12_SI_SN_EUlS11_E_NS1_11comp_targetILNS1_3genE0ELNS1_11target_archE4294967295ELNS1_3gpuE0ELNS1_3repE0EEENS1_47radix_sort_onesweep_sort_config_static_selectorELNS0_4arch9wavefront6targetE1EEEvSI_.has_recursion, 0
	.set _ZN7rocprim17ROCPRIM_400000_NS6detail17trampoline_kernelINS0_14default_configENS1_35radix_sort_onesweep_config_selectorIxxEEZZNS1_29radix_sort_onesweep_iterationIS3_Lb0EN6thrust23THRUST_200600_302600_NS6detail15normal_iteratorINS8_10device_ptrIxEEEESD_SD_SD_jNS0_19identity_decomposerENS1_16block_id_wrapperIjLb0EEEEE10hipError_tT1_PNSt15iterator_traitsISI_E10value_typeET2_T3_PNSJ_ISO_E10value_typeET4_T5_PST_SU_PNS1_23onesweep_lookback_stateEbbT6_jjT7_P12ihipStream_tbENKUlT_T0_SI_SN_E_clIPxSD_S15_SD_EEDaS11_S12_SI_SN_EUlS11_E_NS1_11comp_targetILNS1_3genE0ELNS1_11target_archE4294967295ELNS1_3gpuE0ELNS1_3repE0EEENS1_47radix_sort_onesweep_sort_config_static_selectorELNS0_4arch9wavefront6targetE1EEEvSI_.has_indirect_call, 0
	.section	.AMDGPU.csdata,"",@progbits
; Kernel info:
; codeLenInByte = 0
; TotalNumSgprs: 6
; NumVgprs: 0
; NumAgprs: 0
; TotalNumVgprs: 0
; ScratchSize: 0
; MemoryBound: 0
; FloatMode: 240
; IeeeMode: 1
; LDSByteSize: 0 bytes/workgroup (compile time only)
; SGPRBlocks: 0
; VGPRBlocks: 0
; NumSGPRsForWavesPerEU: 6
; NumVGPRsForWavesPerEU: 1
; AccumOffset: 4
; Occupancy: 8
; WaveLimiterHint : 0
; COMPUTE_PGM_RSRC2:SCRATCH_EN: 0
; COMPUTE_PGM_RSRC2:USER_SGPR: 2
; COMPUTE_PGM_RSRC2:TRAP_HANDLER: 0
; COMPUTE_PGM_RSRC2:TGID_X_EN: 1
; COMPUTE_PGM_RSRC2:TGID_Y_EN: 0
; COMPUTE_PGM_RSRC2:TGID_Z_EN: 0
; COMPUTE_PGM_RSRC2:TIDIG_COMP_CNT: 0
; COMPUTE_PGM_RSRC3_GFX90A:ACCUM_OFFSET: 0
; COMPUTE_PGM_RSRC3_GFX90A:TG_SPLIT: 0
	.section	.text._ZN7rocprim17ROCPRIM_400000_NS6detail17trampoline_kernelINS0_14default_configENS1_35radix_sort_onesweep_config_selectorIxxEEZZNS1_29radix_sort_onesweep_iterationIS3_Lb0EN6thrust23THRUST_200600_302600_NS6detail15normal_iteratorINS8_10device_ptrIxEEEESD_SD_SD_jNS0_19identity_decomposerENS1_16block_id_wrapperIjLb0EEEEE10hipError_tT1_PNSt15iterator_traitsISI_E10value_typeET2_T3_PNSJ_ISO_E10value_typeET4_T5_PST_SU_PNS1_23onesweep_lookback_stateEbbT6_jjT7_P12ihipStream_tbENKUlT_T0_SI_SN_E_clIPxSD_S15_SD_EEDaS11_S12_SI_SN_EUlS11_E_NS1_11comp_targetILNS1_3genE6ELNS1_11target_archE950ELNS1_3gpuE13ELNS1_3repE0EEENS1_47radix_sort_onesweep_sort_config_static_selectorELNS0_4arch9wavefront6targetE1EEEvSI_,"axG",@progbits,_ZN7rocprim17ROCPRIM_400000_NS6detail17trampoline_kernelINS0_14default_configENS1_35radix_sort_onesweep_config_selectorIxxEEZZNS1_29radix_sort_onesweep_iterationIS3_Lb0EN6thrust23THRUST_200600_302600_NS6detail15normal_iteratorINS8_10device_ptrIxEEEESD_SD_SD_jNS0_19identity_decomposerENS1_16block_id_wrapperIjLb0EEEEE10hipError_tT1_PNSt15iterator_traitsISI_E10value_typeET2_T3_PNSJ_ISO_E10value_typeET4_T5_PST_SU_PNS1_23onesweep_lookback_stateEbbT6_jjT7_P12ihipStream_tbENKUlT_T0_SI_SN_E_clIPxSD_S15_SD_EEDaS11_S12_SI_SN_EUlS11_E_NS1_11comp_targetILNS1_3genE6ELNS1_11target_archE950ELNS1_3gpuE13ELNS1_3repE0EEENS1_47radix_sort_onesweep_sort_config_static_selectorELNS0_4arch9wavefront6targetE1EEEvSI_,comdat
	.protected	_ZN7rocprim17ROCPRIM_400000_NS6detail17trampoline_kernelINS0_14default_configENS1_35radix_sort_onesweep_config_selectorIxxEEZZNS1_29radix_sort_onesweep_iterationIS3_Lb0EN6thrust23THRUST_200600_302600_NS6detail15normal_iteratorINS8_10device_ptrIxEEEESD_SD_SD_jNS0_19identity_decomposerENS1_16block_id_wrapperIjLb0EEEEE10hipError_tT1_PNSt15iterator_traitsISI_E10value_typeET2_T3_PNSJ_ISO_E10value_typeET4_T5_PST_SU_PNS1_23onesweep_lookback_stateEbbT6_jjT7_P12ihipStream_tbENKUlT_T0_SI_SN_E_clIPxSD_S15_SD_EEDaS11_S12_SI_SN_EUlS11_E_NS1_11comp_targetILNS1_3genE6ELNS1_11target_archE950ELNS1_3gpuE13ELNS1_3repE0EEENS1_47radix_sort_onesweep_sort_config_static_selectorELNS0_4arch9wavefront6targetE1EEEvSI_ ; -- Begin function _ZN7rocprim17ROCPRIM_400000_NS6detail17trampoline_kernelINS0_14default_configENS1_35radix_sort_onesweep_config_selectorIxxEEZZNS1_29radix_sort_onesweep_iterationIS3_Lb0EN6thrust23THRUST_200600_302600_NS6detail15normal_iteratorINS8_10device_ptrIxEEEESD_SD_SD_jNS0_19identity_decomposerENS1_16block_id_wrapperIjLb0EEEEE10hipError_tT1_PNSt15iterator_traitsISI_E10value_typeET2_T3_PNSJ_ISO_E10value_typeET4_T5_PST_SU_PNS1_23onesweep_lookback_stateEbbT6_jjT7_P12ihipStream_tbENKUlT_T0_SI_SN_E_clIPxSD_S15_SD_EEDaS11_S12_SI_SN_EUlS11_E_NS1_11comp_targetILNS1_3genE6ELNS1_11target_archE950ELNS1_3gpuE13ELNS1_3repE0EEENS1_47radix_sort_onesweep_sort_config_static_selectorELNS0_4arch9wavefront6targetE1EEEvSI_
	.globl	_ZN7rocprim17ROCPRIM_400000_NS6detail17trampoline_kernelINS0_14default_configENS1_35radix_sort_onesweep_config_selectorIxxEEZZNS1_29radix_sort_onesweep_iterationIS3_Lb0EN6thrust23THRUST_200600_302600_NS6detail15normal_iteratorINS8_10device_ptrIxEEEESD_SD_SD_jNS0_19identity_decomposerENS1_16block_id_wrapperIjLb0EEEEE10hipError_tT1_PNSt15iterator_traitsISI_E10value_typeET2_T3_PNSJ_ISO_E10value_typeET4_T5_PST_SU_PNS1_23onesweep_lookback_stateEbbT6_jjT7_P12ihipStream_tbENKUlT_T0_SI_SN_E_clIPxSD_S15_SD_EEDaS11_S12_SI_SN_EUlS11_E_NS1_11comp_targetILNS1_3genE6ELNS1_11target_archE950ELNS1_3gpuE13ELNS1_3repE0EEENS1_47radix_sort_onesweep_sort_config_static_selectorELNS0_4arch9wavefront6targetE1EEEvSI_
	.p2align	8
	.type	_ZN7rocprim17ROCPRIM_400000_NS6detail17trampoline_kernelINS0_14default_configENS1_35radix_sort_onesweep_config_selectorIxxEEZZNS1_29radix_sort_onesweep_iterationIS3_Lb0EN6thrust23THRUST_200600_302600_NS6detail15normal_iteratorINS8_10device_ptrIxEEEESD_SD_SD_jNS0_19identity_decomposerENS1_16block_id_wrapperIjLb0EEEEE10hipError_tT1_PNSt15iterator_traitsISI_E10value_typeET2_T3_PNSJ_ISO_E10value_typeET4_T5_PST_SU_PNS1_23onesweep_lookback_stateEbbT6_jjT7_P12ihipStream_tbENKUlT_T0_SI_SN_E_clIPxSD_S15_SD_EEDaS11_S12_SI_SN_EUlS11_E_NS1_11comp_targetILNS1_3genE6ELNS1_11target_archE950ELNS1_3gpuE13ELNS1_3repE0EEENS1_47radix_sort_onesweep_sort_config_static_selectorELNS0_4arch9wavefront6targetE1EEEvSI_,@function
_ZN7rocprim17ROCPRIM_400000_NS6detail17trampoline_kernelINS0_14default_configENS1_35radix_sort_onesweep_config_selectorIxxEEZZNS1_29radix_sort_onesweep_iterationIS3_Lb0EN6thrust23THRUST_200600_302600_NS6detail15normal_iteratorINS8_10device_ptrIxEEEESD_SD_SD_jNS0_19identity_decomposerENS1_16block_id_wrapperIjLb0EEEEE10hipError_tT1_PNSt15iterator_traitsISI_E10value_typeET2_T3_PNSJ_ISO_E10value_typeET4_T5_PST_SU_PNS1_23onesweep_lookback_stateEbbT6_jjT7_P12ihipStream_tbENKUlT_T0_SI_SN_E_clIPxSD_S15_SD_EEDaS11_S12_SI_SN_EUlS11_E_NS1_11comp_targetILNS1_3genE6ELNS1_11target_archE950ELNS1_3gpuE13ELNS1_3repE0EEENS1_47radix_sort_onesweep_sort_config_static_selectorELNS0_4arch9wavefront6targetE1EEEvSI_: ; @_ZN7rocprim17ROCPRIM_400000_NS6detail17trampoline_kernelINS0_14default_configENS1_35radix_sort_onesweep_config_selectorIxxEEZZNS1_29radix_sort_onesweep_iterationIS3_Lb0EN6thrust23THRUST_200600_302600_NS6detail15normal_iteratorINS8_10device_ptrIxEEEESD_SD_SD_jNS0_19identity_decomposerENS1_16block_id_wrapperIjLb0EEEEE10hipError_tT1_PNSt15iterator_traitsISI_E10value_typeET2_T3_PNSJ_ISO_E10value_typeET4_T5_PST_SU_PNS1_23onesweep_lookback_stateEbbT6_jjT7_P12ihipStream_tbENKUlT_T0_SI_SN_E_clIPxSD_S15_SD_EEDaS11_S12_SI_SN_EUlS11_E_NS1_11comp_targetILNS1_3genE6ELNS1_11target_archE950ELNS1_3gpuE13ELNS1_3repE0EEENS1_47radix_sort_onesweep_sort_config_static_selectorELNS0_4arch9wavefront6targetE1EEEvSI_
; %bb.0:
	s_load_dwordx4 s[52:55], s[2:3], 0x44
	s_load_dwordx8 s[40:47], s[2:3], 0x0
	s_load_dwordx4 s[48:51], s[2:3], 0x28
	s_load_dwordx2 s[38:39], s[2:3], 0x38
	v_and_b32_e32 v2, 0x3ff, v0
	v_bfe_u32 v3, v0, 10, 10
	v_bfe_u32 v28, v0, 20, 10
	s_mov_b64 s[6:7], -1
	s_waitcnt lgkmcnt(0)
	s_cmp_ge_u32 s4, s54
	v_mbcnt_lo_u32_b32 v30, -1, 0
	v_lshlrev_b32_e32 v29, 3, v2
	s_cbranch_scc0 .LBB1243_116
; %bb.1:
	s_load_dword s5, s[2:3], 0x20
	s_lshl_b32 s8, s54, 13
	s_lshl_b32 s6, s4, 13
	s_mov_b32 s7, 0
	s_lshl_b64 s[54:55], s[6:7], 3
	s_waitcnt lgkmcnt(0)
	s_sub_i32 s5, s5, s8
	v_mbcnt_hi_u32_b32 v26, -1, v30
	s_add_u32 s6, s40, s54
	v_and_b32_e32 v8, 63, v26
	s_addc_u32 s7, s41, s55
	v_and_b32_e32 v9, 0x1e00, v29
	v_mov_b32_e32 v1, 0
	v_lshlrev_b32_e32 v0, 3, v8
	v_lshl_add_u64 v[6:7], s[6:7], 0, v[0:1]
	v_lshlrev_b32_e32 v4, 3, v9
	v_mov_b32_e32 v5, v1
	v_or_b32_e32 v1, v8, v9
	v_lshl_add_u64 v[22:23], v[6:7], 0, v[4:5]
	v_cmp_gt_u32_e32 vcc, s5, v1
	v_mov_b64_e32 v[6:7], -1
	v_mov_b64_e32 v[8:9], -1
	s_and_saveexec_b64 s[6:7], vcc
	s_cbranch_execz .LBB1243_3
; %bb.2:
	global_load_dwordx2 v[8:9], v[22:23], off
	s_waitcnt vmcnt(0)
	v_xor_b32_e32 v9, 0x80000000, v9
.LBB1243_3:
	s_or_b64 exec, exec, s[6:7]
	v_or_b32_e32 v5, 64, v1
	v_cmp_gt_u32_e64 s[16:17], s5, v5
	s_and_saveexec_b64 s[6:7], s[16:17]
	s_cbranch_execz .LBB1243_5
; %bb.4:
	global_load_dwordx2 v[6:7], v[22:23], off offset:512
	s_waitcnt vmcnt(0)
	v_xor_b32_e32 v7, 0x80000000, v7
.LBB1243_5:
	s_or_b64 exec, exec, s[6:7]
	v_or_b32_e32 v5, 0x80, v1
	v_cmp_gt_u32_e64 s[26:27], s5, v5
	v_mov_b64_e32 v[10:11], -1
	v_mov_b64_e32 v[12:13], -1
	s_and_saveexec_b64 s[6:7], s[26:27]
	s_cbranch_execz .LBB1243_7
; %bb.6:
	global_load_dwordx2 v[12:13], v[22:23], off offset:1024
	s_waitcnt vmcnt(0)
	v_xor_b32_e32 v13, 0x80000000, v13
.LBB1243_7:
	s_or_b64 exec, exec, s[6:7]
	v_or_b32_e32 v5, 0xc0, v1
	v_cmp_gt_u32_e64 s[6:7], s5, v5
	s_and_saveexec_b64 s[8:9], s[6:7]
	s_cbranch_execz .LBB1243_9
; %bb.8:
	global_load_dwordx2 v[10:11], v[22:23], off offset:1536
	s_waitcnt vmcnt(0)
	v_xor_b32_e32 v11, 0x80000000, v11
.LBB1243_9:
	s_or_b64 exec, exec, s[8:9]
	v_or_b32_e32 v5, 0x100, v1
	v_cmp_gt_u32_e64 s[8:9], s5, v5
	v_mov_b64_e32 v[14:15], -1
	v_mov_b64_e32 v[16:17], -1
	s_and_saveexec_b64 s[10:11], s[8:9]
	s_cbranch_execz .LBB1243_11
; %bb.10:
	global_load_dwordx2 v[16:17], v[22:23], off offset:2048
	s_waitcnt vmcnt(0)
	v_xor_b32_e32 v17, 0x80000000, v17
.LBB1243_11:
	;; [unrolled: 22-line block ×3, first 2 shown]
	s_or_b64 exec, exec, s[14:15]
	v_or_b32_e32 v1, 0x1c0, v1
	v_cmp_gt_u32_e64 s[14:15], s5, v1
	s_and_saveexec_b64 s[18:19], s[14:15]
	s_cbranch_execz .LBB1243_17
; %bb.16:
	global_load_dwordx2 v[18:19], v[22:23], off offset:3584
	s_waitcnt vmcnt(0)
	v_xor_b32_e32 v19, 0x80000000, v19
.LBB1243_17:
	s_or_b64 exec, exec, s[18:19]
	s_load_dword s18, s[2:3], 0x64
	s_load_dword s33, s[2:3], 0x58
	s_add_u32 s19, s2, 0x58
	s_addc_u32 s20, s3, 0
	v_mov_b32_e32 v23, 0
	s_waitcnt lgkmcnt(0)
	s_lshr_b32 s21, s18, 16
	s_cmp_lt_u32 s4, s33
	s_cselect_b32 s18, 12, 18
	s_add_u32 s18, s19, s18
	s_addc_u32 s19, s20, 0
	global_load_ushort v1, v23, s[18:19]
	v_lshrrev_b64 v[24:25], s52, v[8:9]
	s_lshl_b32 s18, -1, s53
	v_bitop3_b32 v24, v24, s18, v24 bitop3:0x30
	s_movk_i32 s57, 0x44
	v_and_b32_e32 v22, 1, v24
	v_lshlrev_b32_e32 v33, 30, v24
	v_mov_b32_e32 v32, v23
	s_not_b32 s56, s18
	v_mul_lo_u32 v31, v24, s57
	v_lshlrev_b32_e32 v35, 29, v24
	v_lshlrev_b32_e32 v37, 28, v24
	;; [unrolled: 1-line block ×6, first 2 shown]
	v_lshl_add_u64 v[24:25], v[22:23], 0, -1
	v_cmp_ne_u32_e64 s[18:19], 0, v22
	v_not_b32_e32 v22, v33
	v_mov_b32_e32 v34, v23
	v_mov_b32_e32 v36, v23
	v_mad_u32_u24 v27, v28, s21, v3
	v_cmp_gt_i64_e64 s[20:21], 0, v[32:33]
	v_not_b32_e32 v32, v35
	v_xor_b32_e32 v25, s19, v25
	v_ashrrev_i32_e32 v22, 31, v22
	v_mov_b32_e32 v38, v23
	v_cmp_gt_i64_e64 s[22:23], 0, v[34:35]
	v_cmp_gt_i64_e64 s[24:25], 0, v[36:37]
	v_not_b32_e32 v33, v37
	v_xor_b32_e32 v24, s18, v24
	v_ashrrev_i32_e32 v32, 31, v32
	v_and_b32_e32 v25, exec_hi, v25
	v_xor_b32_e32 v37, s21, v22
	v_cmp_gt_i64_e64 s[28:29], 0, v[38:39]
	v_not_b32_e32 v34, v39
	v_ashrrev_i32_e32 v33, 31, v33
	v_and_b32_e32 v24, exec_lo, v24
	v_xor_b32_e32 v22, s20, v22
	v_xor_b32_e32 v38, s23, v32
	v_and_b32_e32 v25, v25, v37
	v_mov_b32_e32 v40, v23
	v_not_b32_e32 v35, v41
	v_ashrrev_i32_e32 v34, 31, v34
	v_xor_b32_e32 v39, s25, v33
	v_and_b32_e32 v22, v24, v22
	v_and_b32_e32 v24, v25, v38
	v_mov_b32_e32 v42, v23
	v_cmp_gt_i64_e64 s[30:31], 0, v[40:41]
	v_not_b32_e32 v36, v43
	v_ashrrev_i32_e32 v35, 31, v35
	v_xor_b32_e32 v32, s22, v32
	v_xor_b32_e32 v40, s29, v34
	v_and_b32_e32 v24, v24, v39
	v_cmp_gt_i64_e64 s[34:35], 0, v[42:43]
	v_ashrrev_i32_e32 v36, 31, v36
	v_xor_b32_e32 v33, s24, v33
	v_xor_b32_e32 v41, s31, v35
	v_and_b32_e32 v22, v22, v32
	v_and_b32_e32 v24, v24, v40
	v_xor_b32_e32 v34, s28, v34
	v_xor_b32_e32 v42, s35, v36
	v_and_b32_e32 v22, v22, v33
	v_and_b32_e32 v24, v24, v41
	v_mov_b32_e32 v44, v23
	v_xor_b32_e32 v35, s30, v35
	v_and_b32_e32 v22, v22, v34
	v_and_b32_e32 v32, v24, v42
	v_cmp_gt_i64_e64 s[36:37], 0, v[44:45]
	v_xor_b32_e32 v36, s34, v36
	v_and_b32_e32 v22, v22, v35
	v_and_b32_e32 v22, v22, v36
	v_mul_u32_u24_e32 v5, 20, v2
	ds_write2_b32 v5, v23, v23 offset0:16 offset1:17
	ds_write2_b32 v5, v23, v23 offset0:18 offset1:19
	ds_write_b32 v5, v23 offset:80
	s_waitcnt lgkmcnt(0)
	s_barrier
	s_waitcnt vmcnt(0)
	; wave barrier
	v_mad_u64_u32 v[24:25], s[18:19], v27, v1, v[2:3]
	v_not_b32_e32 v1, v45
	v_ashrrev_i32_e32 v1, 31, v1
	v_lshrrev_b32_e32 v40, 6, v24
	v_xor_b32_e32 v24, s37, v1
	v_xor_b32_e32 v1, s36, v1
	v_and_b32_e32 v25, v32, v24
	v_and_b32_e32 v24, v22, v1
	v_mbcnt_lo_u32_b32 v1, v24, 0
	v_lshl_add_u32 v27, v40, 2, v31
	v_mbcnt_hi_u32_b32 v31, v25, v1
	v_cmp_eq_u32_e64 s[18:19], 0, v31
	v_cmp_ne_u64_e64 s[20:21], 0, v[24:25]
	s_and_b64 s[20:21], s[20:21], s[18:19]
	s_and_saveexec_b64 s[18:19], s[20:21]
; %bb.18:
	v_bcnt_u32_b32 v1, v24, 0
	v_bcnt_u32_b32 v1, v25, v1
	ds_write_b32 v27, v1 offset:64
; %bb.19:
	s_or_b64 exec, exec, s[18:19]
	v_lshrrev_b64 v[24:25], s52, v[6:7]
	v_and_b32_e32 v32, s56, v24
	v_and_b32_e32 v22, 1, v32
	v_lshl_add_u64 v[24:25], v[22:23], 0, -1
	v_cmp_ne_u32_e64 s[18:19], 0, v22
	v_mul_lo_u32 v1, v32, s57
	v_lshl_add_u32 v34, v40, 2, v1
	v_xor_b32_e32 v24, s18, v24
	v_xor_b32_e32 v22, s19, v25
	v_and_b32_e32 v33, exec_lo, v24
	v_lshlrev_b32_e32 v25, 30, v32
	v_mov_b32_e32 v24, v23
	v_cmp_gt_i64_e64 s[18:19], 0, v[24:25]
	v_not_b32_e32 v24, v25
	v_ashrrev_i32_e32 v24, 31, v24
	v_and_b32_e32 v22, exec_hi, v22
	v_xor_b32_e32 v25, s19, v24
	v_xor_b32_e32 v24, s18, v24
	v_and_b32_e32 v22, v22, v25
	v_and_b32_e32 v33, v33, v24
	v_lshlrev_b32_e32 v25, 29, v32
	v_mov_b32_e32 v24, v23
	v_cmp_gt_i64_e64 s[18:19], 0, v[24:25]
	v_not_b32_e32 v24, v25
	v_ashrrev_i32_e32 v24, 31, v24
	v_xor_b32_e32 v25, s19, v24
	v_xor_b32_e32 v24, s18, v24
	v_and_b32_e32 v22, v22, v25
	v_and_b32_e32 v33, v33, v24
	v_lshlrev_b32_e32 v25, 28, v32
	v_mov_b32_e32 v24, v23
	v_cmp_gt_i64_e64 s[18:19], 0, v[24:25]
	v_not_b32_e32 v24, v25
	v_ashrrev_i32_e32 v24, 31, v24
	;; [unrolled: 9-line block ×5, first 2 shown]
	v_xor_b32_e32 v25, s19, v24
	v_xor_b32_e32 v24, s18, v24
	v_and_b32_e32 v22, v22, v25
	v_lshlrev_b32_e32 v25, 24, v32
	v_and_b32_e32 v33, v33, v24
	v_mov_b32_e32 v24, v23
	v_not_b32_e32 v23, v25
	v_cmp_gt_i64_e64 s[18:19], 0, v[24:25]
	v_ashrrev_i32_e32 v23, 31, v23
	s_nop 0
	v_xor_b32_e32 v24, s19, v23
	v_xor_b32_e32 v25, s18, v23
	; wave barrier
	ds_read_b32 v1, v34 offset:64
	v_and_b32_e32 v23, v22, v24
	v_and_b32_e32 v22, v33, v25
	v_mbcnt_lo_u32_b32 v24, v22, 0
	v_mbcnt_hi_u32_b32 v32, v23, v24
	v_cmp_eq_u32_e64 s[18:19], 0, v32
	v_cmp_ne_u64_e64 s[20:21], 0, v[22:23]
	s_and_b64 s[20:21], s[20:21], s[18:19]
	; wave barrier
	s_and_saveexec_b64 s[18:19], s[20:21]
	s_cbranch_execz .LBB1243_21
; %bb.20:
	v_bcnt_u32_b32 v22, v22, 0
	v_bcnt_u32_b32 v22, v23, v22
	s_waitcnt lgkmcnt(0)
	v_add_u32_e32 v22, v1, v22
	ds_write_b32 v34, v22 offset:64
.LBB1243_21:
	s_or_b64 exec, exec, s[18:19]
	v_lshrrev_b64 v[22:23], s52, v[12:13]
	v_and_b32_e32 v35, s56, v22
	s_movk_i32 s22, 0x44
	v_mul_lo_u32 v22, v35, s22
	v_lshl_add_u32 v37, v40, 2, v22
	v_and_b32_e32 v22, 1, v35
	v_mov_b32_e32 v23, 0
	v_lshl_add_u64 v[24:25], v[22:23], 0, -1
	v_cmp_ne_u32_e64 s[18:19], 0, v22
	; wave barrier
	s_nop 1
	v_xor_b32_e32 v24, s18, v24
	v_xor_b32_e32 v22, s19, v25
	v_and_b32_e32 v36, exec_lo, v24
	v_lshlrev_b32_e32 v25, 30, v35
	v_mov_b32_e32 v24, v23
	v_cmp_gt_i64_e64 s[18:19], 0, v[24:25]
	v_not_b32_e32 v24, v25
	v_ashrrev_i32_e32 v24, 31, v24
	v_and_b32_e32 v22, exec_hi, v22
	v_xor_b32_e32 v25, s19, v24
	v_xor_b32_e32 v24, s18, v24
	v_and_b32_e32 v22, v22, v25
	v_and_b32_e32 v36, v36, v24
	v_lshlrev_b32_e32 v25, 29, v35
	v_mov_b32_e32 v24, v23
	v_cmp_gt_i64_e64 s[18:19], 0, v[24:25]
	v_not_b32_e32 v24, v25
	v_ashrrev_i32_e32 v24, 31, v24
	v_xor_b32_e32 v25, s19, v24
	v_xor_b32_e32 v24, s18, v24
	v_and_b32_e32 v22, v22, v25
	v_and_b32_e32 v36, v36, v24
	v_lshlrev_b32_e32 v25, 28, v35
	v_mov_b32_e32 v24, v23
	v_cmp_gt_i64_e64 s[18:19], 0, v[24:25]
	v_not_b32_e32 v24, v25
	v_ashrrev_i32_e32 v24, 31, v24
	;; [unrolled: 9-line block ×6, first 2 shown]
	v_xor_b32_e32 v25, s19, v24
	v_xor_b32_e32 v24, s18, v24
	ds_read_b32 v33, v37 offset:64
	v_and_b32_e32 v24, v36, v24
	v_and_b32_e32 v25, v22, v25
	v_mbcnt_lo_u32_b32 v22, v24, 0
	v_mbcnt_hi_u32_b32 v35, v25, v22
	v_cmp_eq_u32_e64 s[18:19], 0, v35
	v_cmp_ne_u64_e64 s[20:21], 0, v[24:25]
	s_and_b64 s[20:21], s[20:21], s[18:19]
	; wave barrier
	s_and_saveexec_b64 s[18:19], s[20:21]
	s_cbranch_execz .LBB1243_23
; %bb.22:
	v_bcnt_u32_b32 v22, v24, 0
	v_bcnt_u32_b32 v22, v25, v22
	s_waitcnt lgkmcnt(0)
	v_add_u32_e32 v22, v33, v22
	ds_write_b32 v37, v22 offset:64
.LBB1243_23:
	s_or_b64 exec, exec, s[18:19]
	v_lshrrev_b64 v[24:25], s52, v[10:11]
	v_and_b32_e32 v38, s56, v24
	v_mul_lo_u32 v22, v38, s22
	v_lshl_add_u32 v41, v40, 2, v22
	v_and_b32_e32 v22, 1, v38
	v_lshl_add_u64 v[24:25], v[22:23], 0, -1
	v_cmp_ne_u32_e64 s[18:19], 0, v22
	; wave barrier
	s_nop 1
	v_xor_b32_e32 v24, s18, v24
	v_xor_b32_e32 v22, s19, v25
	v_and_b32_e32 v39, exec_lo, v24
	v_lshlrev_b32_e32 v25, 30, v38
	v_mov_b32_e32 v24, v23
	v_cmp_gt_i64_e64 s[18:19], 0, v[24:25]
	v_not_b32_e32 v24, v25
	v_ashrrev_i32_e32 v24, 31, v24
	v_and_b32_e32 v22, exec_hi, v22
	v_xor_b32_e32 v25, s19, v24
	v_xor_b32_e32 v24, s18, v24
	v_and_b32_e32 v22, v22, v25
	v_and_b32_e32 v39, v39, v24
	v_lshlrev_b32_e32 v25, 29, v38
	v_mov_b32_e32 v24, v23
	v_cmp_gt_i64_e64 s[18:19], 0, v[24:25]
	v_not_b32_e32 v24, v25
	v_ashrrev_i32_e32 v24, 31, v24
	v_xor_b32_e32 v25, s19, v24
	v_xor_b32_e32 v24, s18, v24
	v_and_b32_e32 v22, v22, v25
	v_and_b32_e32 v39, v39, v24
	v_lshlrev_b32_e32 v25, 28, v38
	v_mov_b32_e32 v24, v23
	v_cmp_gt_i64_e64 s[18:19], 0, v[24:25]
	v_not_b32_e32 v24, v25
	v_ashrrev_i32_e32 v24, 31, v24
	;; [unrolled: 9-line block ×5, first 2 shown]
	v_xor_b32_e32 v25, s19, v24
	v_xor_b32_e32 v24, s18, v24
	v_and_b32_e32 v22, v22, v25
	v_lshlrev_b32_e32 v25, 24, v38
	v_and_b32_e32 v39, v39, v24
	v_mov_b32_e32 v24, v23
	v_not_b32_e32 v23, v25
	v_cmp_gt_i64_e64 s[18:19], 0, v[24:25]
	v_ashrrev_i32_e32 v23, 31, v23
	ds_read_b32 v36, v41 offset:64
	v_xor_b32_e32 v24, s19, v23
	v_xor_b32_e32 v25, s18, v23
	v_and_b32_e32 v23, v22, v24
	v_and_b32_e32 v22, v39, v25
	v_mbcnt_lo_u32_b32 v24, v22, 0
	v_mbcnt_hi_u32_b32 v38, v23, v24
	v_cmp_eq_u32_e64 s[18:19], 0, v38
	v_cmp_ne_u64_e64 s[20:21], 0, v[22:23]
	s_and_b64 s[20:21], s[20:21], s[18:19]
	; wave barrier
	s_and_saveexec_b64 s[18:19], s[20:21]
	s_cbranch_execz .LBB1243_25
; %bb.24:
	v_bcnt_u32_b32 v22, v22, 0
	v_bcnt_u32_b32 v22, v23, v22
	s_waitcnt lgkmcnt(0)
	v_add_u32_e32 v22, v36, v22
	ds_write_b32 v41, v22 offset:64
.LBB1243_25:
	s_or_b64 exec, exec, s[18:19]
	v_lshrrev_b64 v[22:23], s52, v[16:17]
	v_and_b32_e32 v42, s56, v22
	v_mul_lo_u32 v22, v42, s22
	v_lshl_add_u32 v44, v40, 2, v22
	v_and_b32_e32 v22, 1, v42
	v_mov_b32_e32 v23, 0
	v_lshl_add_u64 v[24:25], v[22:23], 0, -1
	v_cmp_ne_u32_e64 s[18:19], 0, v22
	; wave barrier
	s_nop 1
	v_xor_b32_e32 v24, s18, v24
	v_xor_b32_e32 v22, s19, v25
	v_and_b32_e32 v43, exec_lo, v24
	v_lshlrev_b32_e32 v25, 30, v42
	v_mov_b32_e32 v24, v23
	v_cmp_gt_i64_e64 s[18:19], 0, v[24:25]
	v_not_b32_e32 v24, v25
	v_ashrrev_i32_e32 v24, 31, v24
	v_and_b32_e32 v22, exec_hi, v22
	v_xor_b32_e32 v25, s19, v24
	v_xor_b32_e32 v24, s18, v24
	v_and_b32_e32 v22, v22, v25
	v_and_b32_e32 v43, v43, v24
	v_lshlrev_b32_e32 v25, 29, v42
	v_mov_b32_e32 v24, v23
	v_cmp_gt_i64_e64 s[18:19], 0, v[24:25]
	v_not_b32_e32 v24, v25
	v_ashrrev_i32_e32 v24, 31, v24
	v_xor_b32_e32 v25, s19, v24
	v_xor_b32_e32 v24, s18, v24
	v_and_b32_e32 v22, v22, v25
	v_and_b32_e32 v43, v43, v24
	v_lshlrev_b32_e32 v25, 28, v42
	v_mov_b32_e32 v24, v23
	v_cmp_gt_i64_e64 s[18:19], 0, v[24:25]
	v_not_b32_e32 v24, v25
	v_ashrrev_i32_e32 v24, 31, v24
	;; [unrolled: 9-line block ×6, first 2 shown]
	v_xor_b32_e32 v25, s19, v24
	v_xor_b32_e32 v24, s18, v24
	ds_read_b32 v39, v44 offset:64
	v_and_b32_e32 v24, v43, v24
	v_and_b32_e32 v25, v22, v25
	v_mbcnt_lo_u32_b32 v22, v24, 0
	v_mbcnt_hi_u32_b32 v42, v25, v22
	v_cmp_eq_u32_e64 s[18:19], 0, v42
	v_cmp_ne_u64_e64 s[20:21], 0, v[24:25]
	s_and_b64 s[20:21], s[20:21], s[18:19]
	; wave barrier
	s_and_saveexec_b64 s[18:19], s[20:21]
	s_cbranch_execz .LBB1243_27
; %bb.26:
	v_bcnt_u32_b32 v22, v24, 0
	v_bcnt_u32_b32 v22, v25, v22
	s_waitcnt lgkmcnt(0)
	v_add_u32_e32 v22, v39, v22
	ds_write_b32 v44, v22 offset:64
.LBB1243_27:
	s_or_b64 exec, exec, s[18:19]
	v_lshrrev_b64 v[24:25], s52, v[14:15]
	v_and_b32_e32 v45, s56, v24
	v_mul_lo_u32 v22, v45, s22
	v_lshl_add_u32 v47, v40, 2, v22
	v_and_b32_e32 v22, 1, v45
	v_lshl_add_u64 v[24:25], v[22:23], 0, -1
	v_cmp_ne_u32_e64 s[18:19], 0, v22
	; wave barrier
	s_nop 1
	v_xor_b32_e32 v24, s18, v24
	v_xor_b32_e32 v22, s19, v25
	v_and_b32_e32 v46, exec_lo, v24
	v_lshlrev_b32_e32 v25, 30, v45
	v_mov_b32_e32 v24, v23
	v_cmp_gt_i64_e64 s[18:19], 0, v[24:25]
	v_not_b32_e32 v24, v25
	v_ashrrev_i32_e32 v24, 31, v24
	v_and_b32_e32 v22, exec_hi, v22
	v_xor_b32_e32 v25, s19, v24
	v_xor_b32_e32 v24, s18, v24
	v_and_b32_e32 v22, v22, v25
	v_and_b32_e32 v46, v46, v24
	v_lshlrev_b32_e32 v25, 29, v45
	v_mov_b32_e32 v24, v23
	v_cmp_gt_i64_e64 s[18:19], 0, v[24:25]
	v_not_b32_e32 v24, v25
	v_ashrrev_i32_e32 v24, 31, v24
	v_xor_b32_e32 v25, s19, v24
	v_xor_b32_e32 v24, s18, v24
	v_and_b32_e32 v22, v22, v25
	v_and_b32_e32 v46, v46, v24
	v_lshlrev_b32_e32 v25, 28, v45
	v_mov_b32_e32 v24, v23
	v_cmp_gt_i64_e64 s[18:19], 0, v[24:25]
	v_not_b32_e32 v24, v25
	v_ashrrev_i32_e32 v24, 31, v24
	;; [unrolled: 9-line block ×5, first 2 shown]
	v_xor_b32_e32 v25, s19, v24
	v_xor_b32_e32 v24, s18, v24
	v_and_b32_e32 v22, v22, v25
	v_lshlrev_b32_e32 v25, 24, v45
	v_and_b32_e32 v46, v46, v24
	v_mov_b32_e32 v24, v23
	v_not_b32_e32 v23, v25
	v_cmp_gt_i64_e64 s[18:19], 0, v[24:25]
	v_ashrrev_i32_e32 v23, 31, v23
	ds_read_b32 v43, v47 offset:64
	v_xor_b32_e32 v24, s19, v23
	v_xor_b32_e32 v25, s18, v23
	v_and_b32_e32 v23, v22, v24
	v_and_b32_e32 v22, v46, v25
	v_mbcnt_lo_u32_b32 v24, v22, 0
	v_mbcnt_hi_u32_b32 v45, v23, v24
	v_cmp_eq_u32_e64 s[18:19], 0, v45
	v_cmp_ne_u64_e64 s[20:21], 0, v[22:23]
	s_and_b64 s[20:21], s[20:21], s[18:19]
	; wave barrier
	s_and_saveexec_b64 s[18:19], s[20:21]
	s_cbranch_execz .LBB1243_29
; %bb.28:
	v_bcnt_u32_b32 v22, v22, 0
	v_bcnt_u32_b32 v22, v23, v22
	s_waitcnt lgkmcnt(0)
	v_add_u32_e32 v22, v43, v22
	ds_write_b32 v47, v22 offset:64
.LBB1243_29:
	s_or_b64 exec, exec, s[18:19]
	v_lshrrev_b64 v[22:23], s52, v[20:21]
	v_and_b32_e32 v48, s56, v22
	v_mul_lo_u32 v22, v48, s22
	v_lshl_add_u32 v50, v40, 2, v22
	v_and_b32_e32 v22, 1, v48
	v_mov_b32_e32 v23, 0
	v_lshl_add_u64 v[24:25], v[22:23], 0, -1
	v_cmp_ne_u32_e64 s[18:19], 0, v22
	; wave barrier
	s_nop 1
	v_xor_b32_e32 v24, s18, v24
	v_xor_b32_e32 v22, s19, v25
	v_and_b32_e32 v49, exec_lo, v24
	v_lshlrev_b32_e32 v25, 30, v48
	v_mov_b32_e32 v24, v23
	v_cmp_gt_i64_e64 s[18:19], 0, v[24:25]
	v_not_b32_e32 v24, v25
	v_ashrrev_i32_e32 v24, 31, v24
	v_and_b32_e32 v22, exec_hi, v22
	v_xor_b32_e32 v25, s19, v24
	v_xor_b32_e32 v24, s18, v24
	v_and_b32_e32 v22, v22, v25
	v_and_b32_e32 v49, v49, v24
	v_lshlrev_b32_e32 v25, 29, v48
	v_mov_b32_e32 v24, v23
	v_cmp_gt_i64_e64 s[18:19], 0, v[24:25]
	v_not_b32_e32 v24, v25
	v_ashrrev_i32_e32 v24, 31, v24
	v_xor_b32_e32 v25, s19, v24
	v_xor_b32_e32 v24, s18, v24
	v_and_b32_e32 v22, v22, v25
	v_and_b32_e32 v49, v49, v24
	v_lshlrev_b32_e32 v25, 28, v48
	v_mov_b32_e32 v24, v23
	v_cmp_gt_i64_e64 s[18:19], 0, v[24:25]
	v_not_b32_e32 v24, v25
	v_ashrrev_i32_e32 v24, 31, v24
	;; [unrolled: 9-line block ×6, first 2 shown]
	v_xor_b32_e32 v25, s19, v24
	v_xor_b32_e32 v24, s18, v24
	ds_read_b32 v46, v50 offset:64
	v_and_b32_e32 v24, v49, v24
	v_and_b32_e32 v25, v22, v25
	v_mbcnt_lo_u32_b32 v22, v24, 0
	v_mbcnt_hi_u32_b32 v48, v25, v22
	v_cmp_eq_u32_e64 s[18:19], 0, v48
	v_cmp_ne_u64_e64 s[20:21], 0, v[24:25]
	s_and_b64 s[20:21], s[20:21], s[18:19]
	; wave barrier
	s_and_saveexec_b64 s[18:19], s[20:21]
	s_cbranch_execz .LBB1243_31
; %bb.30:
	v_bcnt_u32_b32 v22, v24, 0
	v_bcnt_u32_b32 v22, v25, v22
	s_waitcnt lgkmcnt(0)
	v_add_u32_e32 v22, v46, v22
	ds_write_b32 v50, v22 offset:64
.LBB1243_31:
	s_or_b64 exec, exec, s[18:19]
	v_lshrrev_b64 v[24:25], s52, v[18:19]
	v_and_b32_e32 v51, s56, v24
	v_mul_lo_u32 v22, v51, s22
	v_lshl_add_u32 v40, v40, 2, v22
	v_and_b32_e32 v22, 1, v51
	v_lshl_add_u64 v[24:25], v[22:23], 0, -1
	v_cmp_ne_u32_e64 s[18:19], 0, v22
	; wave barrier
	s_nop 1
	v_xor_b32_e32 v24, s18, v24
	v_xor_b32_e32 v22, s19, v25
	v_and_b32_e32 v52, exec_lo, v24
	v_lshlrev_b32_e32 v25, 30, v51
	v_mov_b32_e32 v24, v23
	v_cmp_gt_i64_e64 s[18:19], 0, v[24:25]
	v_not_b32_e32 v24, v25
	v_ashrrev_i32_e32 v24, 31, v24
	v_and_b32_e32 v22, exec_hi, v22
	v_xor_b32_e32 v25, s19, v24
	v_xor_b32_e32 v24, s18, v24
	v_and_b32_e32 v22, v22, v25
	v_and_b32_e32 v52, v52, v24
	v_lshlrev_b32_e32 v25, 29, v51
	v_mov_b32_e32 v24, v23
	v_cmp_gt_i64_e64 s[18:19], 0, v[24:25]
	v_not_b32_e32 v24, v25
	v_ashrrev_i32_e32 v24, 31, v24
	v_xor_b32_e32 v25, s19, v24
	v_xor_b32_e32 v24, s18, v24
	v_and_b32_e32 v22, v22, v25
	v_and_b32_e32 v52, v52, v24
	v_lshlrev_b32_e32 v25, 28, v51
	v_mov_b32_e32 v24, v23
	v_cmp_gt_i64_e64 s[18:19], 0, v[24:25]
	v_not_b32_e32 v24, v25
	v_ashrrev_i32_e32 v24, 31, v24
	;; [unrolled: 9-line block ×5, first 2 shown]
	v_xor_b32_e32 v25, s19, v24
	v_xor_b32_e32 v24, s18, v24
	v_and_b32_e32 v22, v22, v25
	v_lshlrev_b32_e32 v25, 24, v51
	v_and_b32_e32 v52, v52, v24
	v_mov_b32_e32 v24, v23
	v_not_b32_e32 v23, v25
	v_cmp_gt_i64_e64 s[18:19], 0, v[24:25]
	v_ashrrev_i32_e32 v23, 31, v23
	ds_read_b32 v49, v40 offset:64
	v_xor_b32_e32 v24, s19, v23
	v_xor_b32_e32 v25, s18, v23
	v_and_b32_e32 v23, v22, v24
	v_and_b32_e32 v22, v52, v25
	v_mbcnt_lo_u32_b32 v24, v22, 0
	v_mbcnt_hi_u32_b32 v51, v23, v24
	v_cmp_eq_u32_e64 s[18:19], 0, v51
	v_cmp_ne_u64_e64 s[20:21], 0, v[22:23]
	s_and_b64 s[20:21], s[20:21], s[18:19]
	; wave barrier
	s_and_saveexec_b64 s[18:19], s[20:21]
	s_cbranch_execz .LBB1243_33
; %bb.32:
	v_bcnt_u32_b32 v22, v22, 0
	v_bcnt_u32_b32 v22, v23, v22
	s_waitcnt lgkmcnt(0)
	v_add_u32_e32 v22, v49, v22
	ds_write_b32 v40, v22 offset:64
.LBB1243_33:
	s_or_b64 exec, exec, s[18:19]
	; wave barrier
	s_waitcnt lgkmcnt(0)
	s_barrier
	ds_read2_b32 v[24:25], v5 offset0:16 offset1:17
	ds_read2_b32 v[22:23], v5 offset0:18 offset1:19
	ds_read_b32 v52, v5 offset:80
	v_cmp_lt_u32_e64 s[28:29], 31, v26
	s_waitcnt lgkmcnt(1)
	v_add3_u32 v53, v25, v24, v22
	s_waitcnt lgkmcnt(0)
	v_add3_u32 v52, v53, v23, v52
	v_and_b32_e32 v53, 15, v26
	v_cmp_eq_u32_e64 s[18:19], 0, v53
	v_mov_b32_dpp v54, v52 row_shr:1 row_mask:0xf bank_mask:0xf
	v_cmp_lt_u32_e64 s[20:21], 1, v53
	v_cndmask_b32_e64 v54, v54, 0, s[18:19]
	v_add_u32_e32 v52, v54, v52
	v_cmp_lt_u32_e64 s[22:23], 3, v53
	v_cmp_lt_u32_e64 s[24:25], 7, v53
	v_mov_b32_dpp v54, v52 row_shr:2 row_mask:0xf bank_mask:0xf
	v_cndmask_b32_e64 v54, 0, v54, s[20:21]
	v_add_u32_e32 v52, v52, v54
	s_nop 1
	v_mov_b32_dpp v54, v52 row_shr:4 row_mask:0xf bank_mask:0xf
	v_cndmask_b32_e64 v54, 0, v54, s[22:23]
	v_add_u32_e32 v52, v52, v54
	s_nop 1
	v_mov_b32_dpp v54, v52 row_shr:8 row_mask:0xf bank_mask:0xf
	v_cndmask_b32_e64 v53, 0, v54, s[24:25]
	v_add_u32_e32 v52, v52, v53
	v_bfe_i32 v54, v26, 4, 1
	s_nop 0
	v_mov_b32_dpp v53, v52 row_bcast:15 row_mask:0xf bank_mask:0xf
	v_and_b32_e32 v53, v54, v53
	v_add_u32_e32 v52, v52, v53
	v_and_b32_e32 v54, 63, v2
	s_nop 0
	v_mov_b32_dpp v53, v52 row_bcast:31 row_mask:0xf bank_mask:0xf
	v_cndmask_b32_e64 v53, 0, v53, s[28:29]
	v_add_u32_e32 v52, v52, v53
	v_lshrrev_b32_e32 v53, 6, v2
	v_cmp_eq_u32_e64 s[28:29], 63, v54
	s_and_saveexec_b64 s[30:31], s[28:29]
; %bb.34:
	v_lshlrev_b32_e32 v54, 2, v53
	ds_write_b32 v54, v52
; %bb.35:
	s_or_b64 exec, exec, s[30:31]
	v_cmp_gt_u32_e64 s[28:29], 16, v2
	s_waitcnt lgkmcnt(0)
	s_barrier
	s_and_saveexec_b64 s[30:31], s[28:29]
	s_cbranch_execz .LBB1243_37
; %bb.36:
	v_lshlrev_b32_e32 v54, 2, v2
	ds_read_b32 v55, v54
	s_waitcnt lgkmcnt(0)
	s_nop 0
	v_mov_b32_dpp v56, v55 row_shr:1 row_mask:0xf bank_mask:0xf
	v_cndmask_b32_e64 v56, v56, 0, s[18:19]
	v_add_u32_e32 v55, v56, v55
	s_nop 1
	v_mov_b32_dpp v56, v55 row_shr:2 row_mask:0xf bank_mask:0xf
	v_cndmask_b32_e64 v56, 0, v56, s[20:21]
	v_add_u32_e32 v55, v55, v56
	;; [unrolled: 4-line block ×4, first 2 shown]
	ds_write_b32 v54, v55
.LBB1243_37:
	s_or_b64 exec, exec, s[30:31]
	v_cmp_lt_u32_e64 s[18:19], 63, v2
	v_mov_b32_e32 v54, 0
	s_waitcnt lgkmcnt(0)
	s_barrier
	s_and_saveexec_b64 s[20:21], s[18:19]
; %bb.38:
	v_lshl_add_u32 v53, v53, 2, -4
	ds_read_b32 v54, v53
; %bb.39:
	s_or_b64 exec, exec, s[20:21]
	v_subrev_co_u32_e64 v53, s[18:19], 1, v26
	v_and_b32_e32 v55, 64, v26
	v_cmp_lt_i32_e64 s[20:21], v53, v55
	s_waitcnt lgkmcnt(0)
	v_add_u32_e32 v52, v54, v52
	s_movk_i32 s22, 0x100
	v_cndmask_b32_e64 v26, v53, v26, s[20:21]
	v_lshlrev_b32_e32 v26, 2, v26
	ds_bpermute_b32 v26, v26, v52
	v_cmp_gt_u32_e64 s[20:21], s22, v2
	s_waitcnt lgkmcnt(0)
	v_cndmask_b32_e64 v26, v26, v54, s[18:19]
	v_cmp_ne_u32_e64 s[18:19], 0, v2
	s_nop 1
	v_cndmask_b32_e64 v26, 0, v26, s[18:19]
	v_add_u32_e32 v24, v26, v24
	v_add_u32_e32 v25, v24, v25
	;; [unrolled: 1-line block ×4, first 2 shown]
	ds_write2_b32 v5, v26, v24 offset0:16 offset1:17
	ds_write2_b32 v5, v25, v22 offset0:18 offset1:19
	ds_write_b32 v5, v23 offset:80
	s_waitcnt lgkmcnt(0)
	s_barrier
	ds_read_b32 v55, v27 offset:64
	ds_read_b32 v5, v34 offset:64
	;; [unrolled: 1-line block ×8, first 2 shown]
	s_movk_i32 s18, 0xff
	v_cmp_lt_u32_e64 s[18:19], s18, v2
                                        ; implicit-def: $vgpr34
                                        ; implicit-def: $vgpr37
	s_and_saveexec_b64 s[24:25], s[20:21]
	s_cbranch_execz .LBB1243_43
; %bb.40:
	v_mul_u32_u24_e32 v22, 0x44, v2
	ds_read_b32 v34, v22 offset:64
	v_add_u32_e32 v23, 1, v2
	v_cmp_ne_u32_e64 s[22:23], s22, v23
	v_mov_b32_e32 v22, 0x2000
	s_and_saveexec_b64 s[28:29], s[22:23]
; %bb.41:
	v_mul_u32_u24_e32 v22, 0x44, v23
	ds_read_b32 v22, v22 offset:64
; %bb.42:
	s_or_b64 exec, exec, s[28:29]
	s_waitcnt lgkmcnt(0)
	v_sub_u32_e32 v37, v22, v34
.LBB1243_43:
	s_or_b64 exec, exec, s[24:25]
	v_mov_b32_e32 v23, 0
	v_lshlrev_b32_e32 v40, 2, v2
	s_waitcnt lgkmcnt(0)
	s_barrier
	s_and_saveexec_b64 s[22:23], s[20:21]
	s_cbranch_execz .LBB1243_53
; %bb.44:
	v_lshl_add_u32 v22, s4, 8, v2
	v_lshl_add_u64 v[24:25], v[22:23], 2, s[38:39]
	v_or_b32_e32 v22, 2.0, v37
	s_mov_b64 s[24:25], 0
	s_brev_b32 s34, -4
	s_mov_b32 s35, s4
	v_mov_b32_e32 v50, 0
	global_store_dword v[24:25], v22, off sc1
                                        ; implicit-def: $sgpr20_sgpr21
	s_branch .LBB1243_47
.LBB1243_45:                            ;   in Loop: Header=BB1243_47 Depth=1
	s_or_b64 exec, exec, s[30:31]
.LBB1243_46:                            ;   in Loop: Header=BB1243_47 Depth=1
	s_or_b64 exec, exec, s[28:29]
	v_and_b32_e32 v26, 0x3fffffff, v22
	v_add_u32_e32 v50, v26, v50
	v_cmp_gt_i32_e64 s[20:21], -2.0, v22
	s_and_b64 s[28:29], exec, s[20:21]
	s_or_b64 s[24:25], s[28:29], s[24:25]
	s_andn2_b64 exec, exec, s[24:25]
	s_cbranch_execz .LBB1243_52
.LBB1243_47:                            ; =>This Loop Header: Depth=1
                                        ;     Child Loop BB1243_50 Depth 2
	s_or_b64 s[20:21], s[20:21], exec
	s_cmp_eq_u32 s35, 0
	s_cbranch_scc1 .LBB1243_51
; %bb.48:                               ;   in Loop: Header=BB1243_47 Depth=1
	s_add_i32 s35, s35, -1
	v_lshl_or_b32 v22, s35, 8, v2
	v_lshl_add_u64 v[26:27], v[22:23], 2, s[38:39]
	global_load_dword v22, v[26:27], off sc1
	s_waitcnt vmcnt(0)
	v_cmp_gt_u32_e64 s[20:21], 2.0, v22
	s_and_saveexec_b64 s[28:29], s[20:21]
	s_cbranch_execz .LBB1243_46
; %bb.49:                               ;   in Loop: Header=BB1243_47 Depth=1
	s_mov_b64 s[30:31], 0
.LBB1243_50:                            ;   Parent Loop BB1243_47 Depth=1
                                        ; =>  This Inner Loop Header: Depth=2
	global_load_dword v22, v[26:27], off sc1
	s_waitcnt vmcnt(0)
	v_cmp_lt_u32_e64 s[20:21], s34, v22
	s_or_b64 s[30:31], s[20:21], s[30:31]
	s_andn2_b64 exec, exec, s[30:31]
	s_cbranch_execnz .LBB1243_50
	s_branch .LBB1243_45
.LBB1243_51:                            ;   in Loop: Header=BB1243_47 Depth=1
                                        ; implicit-def: $sgpr35
	s_and_b64 s[28:29], exec, s[20:21]
	s_or_b64 s[24:25], s[28:29], s[24:25]
	s_andn2_b64 exec, exec, s[24:25]
	s_cbranch_execnz .LBB1243_47
.LBB1243_52:
	s_or_b64 exec, exec, s[24:25]
	v_add_u32_e32 v22, v50, v37
	v_or_b32_e32 v22, 0x80000000, v22
	global_store_dword v[24:25], v22, off sc1
	global_load_dword v22, v40, s[48:49]
	v_sub_u32_e32 v23, v50, v34
	s_waitcnt vmcnt(0)
	v_add_u32_e32 v22, v23, v22
	ds_write_b32 v40, v22
.LBB1243_53:
	s_or_b64 exec, exec, s[22:23]
	s_load_dwordx2 s[20:21], s[0:1], 0x4
	v_add_u32_e32 v24, v55, v31
	v_add3_u32 v22, v32, v1, v5
	v_add3_u32 v23, v35, v33, v52
	;; [unrolled: 1-line block ×3, first 2 shown]
	s_waitcnt lgkmcnt(0)
	s_lshr_b32 s0, s20, 16
	s_mul_i32 s0, s0, s21
	v_mul_lo_u32 v25, s0, v2
	v_mul_u32_u24_e32 v27, s21, v3
	v_add3_u32 v25, v25, v27, v28
	v_mov_b32_e32 v27, 0x5050
	v_add3_u32 v55, v42, v39, v54
	v_add3_u32 v56, v45, v43, v47
	;; [unrolled: 1-line block ×4, first 2 shown]
	v_lshl_add_u32 v25, v25, 5, v27
	v_mov_b32_e32 v57, 0x400
	s_movk_i32 s22, 0x400
	v_lshl_add_u32 v26, v26, 3, v57
	v_add3_u32 v27, v51, v44, v49
	v_lshl_add_u32 v31, v31, 3, v57
	v_add3_u32 v41, v48, v41, v46
	;; [unrolled: 2-line block ×7, first 2 shown]
	v_lshl_add_u32 v46, v24, 3, v57
	s_mov_b32 s23, 0
	s_movk_i32 s24, 0x800
	v_add_u32_e32 v47, v40, v40
	v_mov_b32_e32 v23, 0
	v_mov_b32_e32 v1, v2
	;; [unrolled: 1-line block ×3, first 2 shown]
	s_mov_b32 s25, 0
	s_branch .LBB1243_55
.LBB1243_54:                            ;   in Loop: Header=BB1243_55 Depth=1
	s_or_b64 exec, exec, s[20:21]
	s_addk_i32 s25, 0xc000
	s_addk_i32 s23, 0xf800
	v_add_u32_e32 v5, 8, v5
	s_cmp_eq_u32 s25, 0xffff0000
	v_add_u32_e32 v1, 0x800, v1
	s_waitcnt lgkmcnt(0)
	s_barrier
	s_cbranch_scc1 .LBB1243_75
.LBB1243_55:                            ; =>This Inner Loop Header: Depth=1
	v_add_u32_e32 v22, s23, v24
	v_cmp_gt_u32_e64 s[0:1], s24, v22
	s_and_saveexec_b64 s[20:21], s[0:1]
; %bb.56:                               ;   in Loop: Header=BB1243_55 Depth=1
	v_add_u32_e32 v22, s25, v46
	ds_write_b64 v22, v[8:9]
; %bb.57:                               ;   in Loop: Header=BB1243_55 Depth=1
	s_or_b64 exec, exec, s[20:21]
	v_add_u32_e32 v22, s23, v32
	v_cmp_gt_u32_e64 s[0:1], s24, v22
	s_and_saveexec_b64 s[20:21], s[0:1]
; %bb.58:                               ;   in Loop: Header=BB1243_55 Depth=1
	v_add_u32_e32 v22, s25, v35
	ds_write_b64 v22, v[6:7]
; %bb.59:                               ;   in Loop: Header=BB1243_55 Depth=1
	s_or_b64 exec, exec, s[20:21]
	;; [unrolled: 8-line block ×8, first 2 shown]
	v_cmp_gt_u32_e64 s[0:1], s5, v1
	s_waitcnt lgkmcnt(0)
	s_barrier
	s_and_saveexec_b64 s[20:21], s[0:1]
	s_cbranch_execz .LBB1243_73
; %bb.72:                               ;   in Loop: Header=BB1243_55 Depth=1
	ds_read_b64 v[48:49], v47 offset:1024
	s_waitcnt lgkmcnt(0)
	v_lshrrev_b64 v[50:51], s52, v[48:49]
	v_and_b32_e32 v52, s56, v50
	v_lshlrev_b32_e32 v22, 2, v52
	ds_read_b32 v22, v22
	v_xor_b32_e32 v49, 0x80000000, v49
	ds_write_b32 v5, v52
	s_waitcnt lgkmcnt(1)
	v_add_u32_e32 v22, v1, v22
	v_lshl_add_u64 v[50:51], v[22:23], 3, s[42:43]
	global_store_dwordx2 v[50:51], v[48:49], off
.LBB1243_73:                            ;   in Loop: Header=BB1243_55 Depth=1
	s_or_b64 exec, exec, s[20:21]
	v_add_u32_e32 v22, 0x400, v1
	v_cmp_gt_u32_e64 s[0:1], s5, v22
	s_and_saveexec_b64 s[20:21], s[0:1]
	s_cbranch_execz .LBB1243_54
; %bb.74:                               ;   in Loop: Header=BB1243_55 Depth=1
	ds_read_b64 v[48:49], v47 offset:9216
	s_waitcnt lgkmcnt(0)
	v_lshrrev_b64 v[50:51], s52, v[48:49]
	v_and_b32_e32 v52, s56, v50
	v_lshlrev_b32_e32 v22, 2, v52
	ds_read_b32 v22, v22
	v_xor_b32_e32 v49, 0x80000000, v49
	ds_write_b32 v5, v52 offset:4
	s_waitcnt lgkmcnt(1)
	v_add3_u32 v22, v1, v22, s22
	v_lshl_add_u64 v[50:51], v[22:23], 3, s[42:43]
	global_store_dwordx2 v[50:51], v[48:49], off
	s_branch .LBB1243_54
.LBB1243_75:
	s_add_u32 s0, s44, s54
	s_addc_u32 s1, s45, s55
	v_mov_b32_e32 v1, 0
	v_lshl_add_u64 v[6:7], s[0:1], 0, v[0:1]
	v_mov_b32_e32 v5, v1
	v_lshl_add_u64 v[18:19], v[6:7], 0, v[4:5]
                                        ; implicit-def: $vgpr0_vgpr1
	s_and_saveexec_b64 s[0:1], vcc
	s_cbranch_execz .LBB1243_83
; %bb.76:
	global_load_dwordx2 v[0:1], v[18:19], off
	s_or_b64 exec, exec, s[0:1]
                                        ; implicit-def: $vgpr4_vgpr5
	s_and_saveexec_b64 s[0:1], s[16:17]
	s_cbranch_execnz .LBB1243_84
.LBB1243_77:
	s_or_b64 exec, exec, s[0:1]
                                        ; implicit-def: $vgpr6_vgpr7
	s_and_saveexec_b64 s[0:1], s[26:27]
	s_cbranch_execz .LBB1243_85
.LBB1243_78:
	global_load_dwordx2 v[6:7], v[18:19], off offset:1024
	s_or_b64 exec, exec, s[0:1]
                                        ; implicit-def: $vgpr8_vgpr9
	s_and_saveexec_b64 s[0:1], s[6:7]
	s_cbranch_execnz .LBB1243_86
.LBB1243_79:
	s_or_b64 exec, exec, s[0:1]
                                        ; implicit-def: $vgpr10_vgpr11
	s_and_saveexec_b64 s[0:1], s[8:9]
	s_cbranch_execz .LBB1243_87
.LBB1243_80:
	global_load_dwordx2 v[10:11], v[18:19], off offset:2048
	s_or_b64 exec, exec, s[0:1]
                                        ; implicit-def: $vgpr12_vgpr13
	s_and_saveexec_b64 s[0:1], s[10:11]
	s_cbranch_execnz .LBB1243_88
.LBB1243_81:
	s_or_b64 exec, exec, s[0:1]
                                        ; implicit-def: $vgpr14_vgpr15
	s_and_saveexec_b64 s[0:1], s[12:13]
	s_cbranch_execz .LBB1243_89
.LBB1243_82:
	global_load_dwordx2 v[14:15], v[18:19], off offset:3072
	s_or_b64 exec, exec, s[0:1]
                                        ; implicit-def: $vgpr16_vgpr17
	s_and_saveexec_b64 s[0:1], s[14:15]
	s_cbranch_execnz .LBB1243_90
	s_branch .LBB1243_91
.LBB1243_83:
	s_or_b64 exec, exec, s[0:1]
                                        ; implicit-def: $vgpr4_vgpr5
	s_and_saveexec_b64 s[0:1], s[16:17]
	s_cbranch_execz .LBB1243_77
.LBB1243_84:
	global_load_dwordx2 v[4:5], v[18:19], off offset:512
	s_or_b64 exec, exec, s[0:1]
                                        ; implicit-def: $vgpr6_vgpr7
	s_and_saveexec_b64 s[0:1], s[26:27]
	s_cbranch_execnz .LBB1243_78
.LBB1243_85:
	s_or_b64 exec, exec, s[0:1]
                                        ; implicit-def: $vgpr8_vgpr9
	s_and_saveexec_b64 s[0:1], s[6:7]
	s_cbranch_execz .LBB1243_79
.LBB1243_86:
	global_load_dwordx2 v[8:9], v[18:19], off offset:1536
	s_or_b64 exec, exec, s[0:1]
                                        ; implicit-def: $vgpr10_vgpr11
	s_and_saveexec_b64 s[0:1], s[8:9]
	s_cbranch_execnz .LBB1243_80
.LBB1243_87:
	s_or_b64 exec, exec, s[0:1]
                                        ; implicit-def: $vgpr12_vgpr13
	s_and_saveexec_b64 s[0:1], s[10:11]
	s_cbranch_execz .LBB1243_81
.LBB1243_88:
	global_load_dwordx2 v[12:13], v[18:19], off offset:2560
	s_or_b64 exec, exec, s[0:1]
                                        ; implicit-def: $vgpr14_vgpr15
	s_and_saveexec_b64 s[0:1], s[12:13]
	s_cbranch_execnz .LBB1243_82
.LBB1243_89:
	s_or_b64 exec, exec, s[0:1]
                                        ; implicit-def: $vgpr16_vgpr17
	s_and_saveexec_b64 s[0:1], s[14:15]
	s_cbranch_execz .LBB1243_91
.LBB1243_90:
	global_load_dwordx2 v[16:17], v[18:19], off offset:3584
.LBB1243_91:
	s_or_b64 exec, exec, s[0:1]
	s_mov_b32 s6, 0
	s_movk_i32 s7, 0x800
	v_mov_b32_e32 v19, 0
	s_movk_i32 s8, 0x400
	s_mov_b32 s9, 0
	v_mov_b32_e32 v20, v2
	s_waitcnt vmcnt(0)
	s_branch .LBB1243_93
.LBB1243_92:                            ;   in Loop: Header=BB1243_93 Depth=1
	s_or_b64 exec, exec, s[0:1]
	s_addk_i32 s9, 0xc000
	s_addk_i32 s6, 0xf800
	v_add_u32_e32 v20, 0x800, v20
	s_cmp_eq_u32 s9, 0xffff0000
	v_add_u32_e32 v25, 8, v25
	s_barrier
	s_cbranch_scc1 .LBB1243_113
.LBB1243_93:                            ; =>This Inner Loop Header: Depth=1
	v_add_u32_e32 v18, s6, v24
	v_cmp_gt_u32_e32 vcc, s7, v18
	s_and_saveexec_b64 s[0:1], vcc
; %bb.94:                               ;   in Loop: Header=BB1243_93 Depth=1
	v_add_u32_e32 v18, s9, v46
	ds_write_b64 v18, v[0:1]
; %bb.95:                               ;   in Loop: Header=BB1243_93 Depth=1
	s_or_b64 exec, exec, s[0:1]
	v_add_u32_e32 v18, s6, v32
	v_cmp_gt_u32_e32 vcc, s7, v18
	s_and_saveexec_b64 s[0:1], vcc
; %bb.96:                               ;   in Loop: Header=BB1243_93 Depth=1
	v_add_u32_e32 v18, s9, v35
	ds_write_b64 v18, v[4:5]
; %bb.97:                               ;   in Loop: Header=BB1243_93 Depth=1
	s_or_b64 exec, exec, s[0:1]
	;; [unrolled: 8-line block ×3, first 2 shown]
	v_add_u32_e32 v18, s6, v36
	v_cmp_gt_u32_e32 vcc, s7, v18
	s_and_saveexec_b64 s[0:1], vcc
; %bb.100:                              ;   in Loop: Header=BB1243_93 Depth=1
	v_add_u32_e32 v18, s9, v42
	ds_write_b64 v18, v[8:9]
; %bb.101:                              ;   in Loop: Header=BB1243_93 Depth=1
	s_or_b64 exec, exec, s[0:1]
	v_add_u32_e32 v18, s6, v39
	v_cmp_gt_u32_e32 vcc, s7, v18
	s_and_saveexec_b64 s[0:1], vcc
; %bb.102:                              ;   in Loop: Header=BB1243_93 Depth=1
	v_add_u32_e32 v18, s9, v45
	ds_write_b64 v18, v[10:11]
; %bb.103:                              ;   in Loop: Header=BB1243_93 Depth=1
	s_or_b64 exec, exec, s[0:1]
	;; [unrolled: 8-line block ×5, first 2 shown]
	v_cmp_gt_u32_e32 vcc, s5, v20
	s_waitcnt lgkmcnt(0)
	s_barrier
	s_and_saveexec_b64 s[0:1], vcc
	s_cbranch_execz .LBB1243_111
; %bb.110:                              ;   in Loop: Header=BB1243_93 Depth=1
	ds_read_b32 v18, v25
	s_waitcnt lgkmcnt(0)
	v_lshlrev_b32_e32 v18, 2, v18
	ds_read_b32 v18, v18
	ds_read_b64 v[22:23], v47 offset:1024
	s_waitcnt lgkmcnt(1)
	v_add_u32_e32 v18, v20, v18
	v_lshl_add_u64 v[48:49], v[18:19], 3, s[46:47]
	s_waitcnt lgkmcnt(0)
	global_store_dwordx2 v[48:49], v[22:23], off
.LBB1243_111:                           ;   in Loop: Header=BB1243_93 Depth=1
	s_or_b64 exec, exec, s[0:1]
	v_add_u32_e32 v18, 0x400, v20
	v_cmp_gt_u32_e32 vcc, s5, v18
	s_and_saveexec_b64 s[0:1], vcc
	s_cbranch_execz .LBB1243_92
; %bb.112:                              ;   in Loop: Header=BB1243_93 Depth=1
	ds_read_b32 v18, v25 offset:4
	s_waitcnt lgkmcnt(0)
	v_lshlrev_b32_e32 v18, 2, v18
	ds_read_b32 v18, v18
	ds_read_b64 v[22:23], v47 offset:9216
	s_waitcnt lgkmcnt(1)
	v_add3_u32 v18, v20, v18, s8
	v_lshl_add_u64 v[48:49], v[18:19], 3, s[46:47]
	s_waitcnt lgkmcnt(0)
	global_store_dwordx2 v[48:49], v[22:23], off
	s_branch .LBB1243_92
.LBB1243_113:
	s_add_i32 s33, s33, -1
	s_cmp_eq_u32 s4, s33
	s_cselect_b64 s[0:1], -1, 0
	s_xor_b64 s[6:7], s[18:19], -1
	s_and_b64 s[6:7], s[6:7], s[0:1]
	s_and_saveexec_b64 s[0:1], s[6:7]
	s_cbranch_execz .LBB1243_115
; %bb.114:
	ds_read_b32 v0, v40
	s_waitcnt lgkmcnt(0)
	v_add3_u32 v0, v34, v37, v0
	global_store_dword v40, v0, s[50:51]
.LBB1243_115:
	s_or_b64 exec, exec, s[0:1]
	s_mov_b64 s[6:7], 0
.LBB1243_116:
	s_and_b64 vcc, exec, s[6:7]
	s_cbranch_vccz .LBB1243_191
; %bb.117:
	s_lshl_b32 s0, s4, 13
	s_mov_b32 s1, 0
	s_lshl_b64 s[10:11], s[0:1], 3
	v_mbcnt_hi_u32_b32 v26, -1, v30
	s_add_u32 s0, s40, s10
	v_and_b32_e32 v0, 63, v26
	v_mov_b32_e32 v23, 0
	s_addc_u32 s1, s41, s11
	v_and_b32_e32 v4, 0x1e00, v29
	v_lshlrev_b32_e32 v0, 3, v0
	v_mov_b32_e32 v1, v23
	v_lshl_add_u64 v[6:7], s[0:1], 0, v[0:1]
	v_lshlrev_b32_e32 v4, 3, v4
	v_mov_b32_e32 v5, v23
	v_lshl_add_u64 v[24:25], v[6:7], 0, v[4:5]
	global_load_dwordx2 v[6:7], v[24:25], off
	s_load_dword s0, s[2:3], 0x64
	s_load_dword s5, s[2:3], 0x58
	s_add_u32 s1, s2, 0x58
	s_addc_u32 s2, s3, 0
	v_mul_u32_u24_e32 v1, 20, v2
	s_waitcnt lgkmcnt(0)
	s_lshr_b32 s3, s0, 16
	s_cmp_lt_u32 s4, s5
	s_cselect_b32 s0, 12, 18
	s_add_u32 s0, s1, s0
	s_addc_u32 s1, s2, 0
	global_load_ushort v5, v23, s[0:1]
	ds_write2_b32 v1, v23, v23 offset0:16 offset1:17
	ds_write2_b32 v1, v23, v23 offset0:18 offset1:19
	ds_write_b32 v1, v23 offset:80
	global_load_dwordx2 v[8:9], v[24:25], off offset:512
	global_load_dwordx2 v[10:11], v[24:25], off offset:1024
	;; [unrolled: 1-line block ×7, first 2 shown]
	s_lshl_b32 s0, -1, s53
	v_mad_u32_u24 v3, v28, s3, v3
	v_mov_b32_e32 v30, v23
	s_not_b32 s14, s0
	v_mov_b32_e32 v32, v23
	v_mov_b32_e32 v34, v23
	;; [unrolled: 1-line block ×4, first 2 shown]
	s_movk_i32 s12, 0x44
	s_waitcnt lgkmcnt(0)
	s_barrier
	s_waitcnt vmcnt(8)
	; wave barrier
	v_xor_b32_e32 v7, 0x80000000, v7
	v_lshrrev_b64 v[24:25], s52, v[6:7]
	v_bitop3_b32 v40, v24, s0, v24 bitop3:0x30
	v_and_b32_e32 v22, 1, v40
	v_lshlrev_b32_e32 v31, 30, v40
	v_lshlrev_b32_e32 v33, 29, v40
	v_lshl_add_u64 v[28:29], v[22:23], 0, -1
	v_cmp_ne_u32_e32 vcc, 0, v22
	v_lshlrev_b32_e32 v35, 28, v40
	v_cmp_gt_i64_e64 s[2:3], 0, v[32:33]
	s_waitcnt vmcnt(7)
	v_mad_u64_u32 v[24:25], s[0:1], v3, v5, v[2:3]
	v_not_b32_e32 v3, v31
	v_cmp_gt_i64_e64 s[0:1], 0, v[30:31]
	v_not_b32_e32 v5, v33
	v_xor_b32_e32 v28, vcc_lo, v28
	v_ashrrev_i32_e32 v3, 31, v3
	v_cmp_gt_i64_e64 s[6:7], 0, v[34:35]
	v_not_b32_e32 v22, v35
	v_lshrrev_b32_e32 v34, 6, v24
	v_xor_b32_e32 v24, vcc_hi, v29
	v_ashrrev_i32_e32 v5, 31, v5
	v_and_b32_e32 v28, exec_lo, v28
	v_xor_b32_e32 v29, s1, v3
	v_xor_b32_e32 v3, s0, v3
	v_lshlrev_b32_e32 v37, 27, v40
	v_ashrrev_i32_e32 v22, 31, v22
	v_and_b32_e32 v24, exec_hi, v24
	v_xor_b32_e32 v30, s3, v5
	v_xor_b32_e32 v5, s2, v5
	v_and_b32_e32 v3, v28, v3
	v_lshlrev_b32_e32 v39, 26, v40
	v_not_b32_e32 v25, v37
	v_xor_b32_e32 v31, s7, v22
	v_xor_b32_e32 v22, s6, v22
	v_and_b32_e32 v24, v24, v29
	v_and_b32_e32 v3, v3, v5
	v_cmp_gt_i64_e64 s[8:9], 0, v[36:37]
	v_ashrrev_i32_e32 v25, 31, v25
	v_and_b32_e32 v24, v24, v30
	v_and_b32_e32 v3, v3, v22
	v_not_b32_e32 v22, v39
	v_xor_b32_e32 v32, s9, v25
	v_xor_b32_e32 v25, s8, v25
	v_and_b32_e32 v5, v24, v31
	v_cmp_gt_i64_e32 vcc, 0, v[38:39]
	v_ashrrev_i32_e32 v22, 31, v22
	v_and_b32_e32 v5, v5, v32
	v_and_b32_e32 v3, v3, v25
	v_xor_b32_e32 v24, vcc_hi, v22
	v_xor_b32_e32 v22, vcc_lo, v22
	v_lshlrev_b32_e32 v25, 25, v40
	v_and_b32_e32 v5, v5, v24
	v_and_b32_e32 v3, v3, v22
	v_mov_b32_e32 v24, v23
	v_not_b32_e32 v22, v25
	v_cmp_gt_i64_e32 vcc, 0, v[24:25]
	v_ashrrev_i32_e32 v22, 31, v22
	v_lshlrev_b32_e32 v25, 24, v40
	v_xor_b32_e32 v24, vcc_hi, v22
	v_xor_b32_e32 v22, vcc_lo, v22
	v_and_b32_e32 v5, v5, v24
	v_and_b32_e32 v3, v3, v22
	v_mov_b32_e32 v24, v23
	v_not_b32_e32 v22, v25
	v_cmp_gt_i64_e32 vcc, 0, v[24:25]
	v_ashrrev_i32_e32 v22, 31, v22
	v_mul_lo_u32 v27, v40, s12
	v_xor_b32_e32 v24, vcc_hi, v22
	v_xor_b32_e32 v22, vcc_lo, v22
	v_and_b32_e32 v25, v5, v24
	v_and_b32_e32 v24, v3, v22
	v_mbcnt_lo_u32_b32 v3, v24, 0
	v_mbcnt_hi_u32_b32 v5, v25, v3
	v_cmp_eq_u32_e32 vcc, 0, v5
	v_cmp_ne_u64_e64 s[0:1], 0, v[24:25]
	v_lshl_add_u32 v27, v34, 2, v27
	s_and_b64 s[2:3], s[0:1], vcc
	s_and_saveexec_b64 s[0:1], s[2:3]
; %bb.118:
	v_bcnt_u32_b32 v3, v24, 0
	v_bcnt_u32_b32 v3, v25, v3
	ds_write_b32 v27, v3 offset:64
; %bb.119:
	s_or_b64 exec, exec, s[0:1]
	s_waitcnt vmcnt(6)
	v_xor_b32_e32 v9, 0x80000000, v9
	v_lshrrev_b64 v[24:25], s52, v[8:9]
	v_and_b32_e32 v28, s14, v24
	v_and_b32_e32 v22, 1, v28
	v_lshl_add_u64 v[24:25], v[22:23], 0, -1
	v_cmp_ne_u32_e32 vcc, 0, v22
	v_mul_lo_u32 v3, v28, s12
	v_lshl_add_u32 v30, v34, 2, v3
	v_xor_b32_e32 v24, vcc_lo, v24
	v_xor_b32_e32 v22, vcc_hi, v25
	v_and_b32_e32 v29, exec_lo, v24
	v_lshlrev_b32_e32 v25, 30, v28
	v_mov_b32_e32 v24, v23
	v_cmp_gt_i64_e32 vcc, 0, v[24:25]
	v_not_b32_e32 v24, v25
	v_ashrrev_i32_e32 v24, 31, v24
	v_and_b32_e32 v22, exec_hi, v22
	v_xor_b32_e32 v25, vcc_hi, v24
	v_xor_b32_e32 v24, vcc_lo, v24
	v_and_b32_e32 v22, v22, v25
	v_and_b32_e32 v29, v29, v24
	v_lshlrev_b32_e32 v25, 29, v28
	v_mov_b32_e32 v24, v23
	v_cmp_gt_i64_e32 vcc, 0, v[24:25]
	v_not_b32_e32 v24, v25
	v_ashrrev_i32_e32 v24, 31, v24
	v_xor_b32_e32 v25, vcc_hi, v24
	v_xor_b32_e32 v24, vcc_lo, v24
	v_and_b32_e32 v22, v22, v25
	v_and_b32_e32 v29, v29, v24
	v_lshlrev_b32_e32 v25, 28, v28
	v_mov_b32_e32 v24, v23
	v_cmp_gt_i64_e32 vcc, 0, v[24:25]
	v_not_b32_e32 v24, v25
	v_ashrrev_i32_e32 v24, 31, v24
	;; [unrolled: 9-line block ×5, first 2 shown]
	v_xor_b32_e32 v25, vcc_hi, v24
	v_xor_b32_e32 v24, vcc_lo, v24
	v_and_b32_e32 v22, v22, v25
	v_lshlrev_b32_e32 v25, 24, v28
	v_and_b32_e32 v29, v29, v24
	v_mov_b32_e32 v24, v23
	v_not_b32_e32 v23, v25
	v_cmp_gt_i64_e32 vcc, 0, v[24:25]
	v_ashrrev_i32_e32 v23, 31, v23
	s_nop 0
	v_xor_b32_e32 v24, vcc_hi, v23
	v_xor_b32_e32 v25, vcc_lo, v23
	; wave barrier
	ds_read_b32 v3, v30 offset:64
	v_and_b32_e32 v23, v22, v24
	v_and_b32_e32 v22, v29, v25
	v_mbcnt_lo_u32_b32 v24, v22, 0
	v_mbcnt_hi_u32_b32 v28, v23, v24
	v_cmp_eq_u32_e32 vcc, 0, v28
	v_cmp_ne_u64_e64 s[0:1], 0, v[22:23]
	s_and_b64 s[2:3], s[0:1], vcc
	; wave barrier
	s_and_saveexec_b64 s[0:1], s[2:3]
	s_cbranch_execz .LBB1243_121
; %bb.120:
	v_bcnt_u32_b32 v22, v22, 0
	v_bcnt_u32_b32 v22, v23, v22
	s_waitcnt lgkmcnt(0)
	v_add_u32_e32 v22, v3, v22
	ds_write_b32 v30, v22 offset:64
.LBB1243_121:
	s_or_b64 exec, exec, s[0:1]
	s_waitcnt vmcnt(5)
	v_xor_b32_e32 v11, 0x80000000, v11
	v_lshrrev_b64 v[22:23], s52, v[10:11]
	v_and_b32_e32 v31, s14, v22
	s_movk_i32 s2, 0x44
	v_mul_lo_u32 v22, v31, s2
	v_lshl_add_u32 v33, v34, 2, v22
	v_and_b32_e32 v22, 1, v31
	v_mov_b32_e32 v23, 0
	v_lshl_add_u64 v[24:25], v[22:23], 0, -1
	v_cmp_ne_u32_e32 vcc, 0, v22
	; wave barrier
	s_nop 1
	v_xor_b32_e32 v24, vcc_lo, v24
	v_xor_b32_e32 v22, vcc_hi, v25
	v_and_b32_e32 v32, exec_lo, v24
	v_lshlrev_b32_e32 v25, 30, v31
	v_mov_b32_e32 v24, v23
	v_cmp_gt_i64_e32 vcc, 0, v[24:25]
	v_not_b32_e32 v24, v25
	v_ashrrev_i32_e32 v24, 31, v24
	v_and_b32_e32 v22, exec_hi, v22
	v_xor_b32_e32 v25, vcc_hi, v24
	v_xor_b32_e32 v24, vcc_lo, v24
	v_and_b32_e32 v22, v22, v25
	v_and_b32_e32 v32, v32, v24
	v_lshlrev_b32_e32 v25, 29, v31
	v_mov_b32_e32 v24, v23
	v_cmp_gt_i64_e32 vcc, 0, v[24:25]
	v_not_b32_e32 v24, v25
	v_ashrrev_i32_e32 v24, 31, v24
	v_xor_b32_e32 v25, vcc_hi, v24
	v_xor_b32_e32 v24, vcc_lo, v24
	v_and_b32_e32 v22, v22, v25
	v_and_b32_e32 v32, v32, v24
	v_lshlrev_b32_e32 v25, 28, v31
	v_mov_b32_e32 v24, v23
	v_cmp_gt_i64_e32 vcc, 0, v[24:25]
	v_not_b32_e32 v24, v25
	v_ashrrev_i32_e32 v24, 31, v24
	;; [unrolled: 9-line block ×6, first 2 shown]
	v_xor_b32_e32 v25, vcc_hi, v24
	v_xor_b32_e32 v24, vcc_lo, v24
	ds_read_b32 v29, v33 offset:64
	v_and_b32_e32 v24, v32, v24
	v_and_b32_e32 v25, v22, v25
	v_mbcnt_lo_u32_b32 v22, v24, 0
	v_mbcnt_hi_u32_b32 v31, v25, v22
	v_cmp_eq_u32_e32 vcc, 0, v31
	v_cmp_ne_u64_e64 s[0:1], 0, v[24:25]
	s_and_b64 s[6:7], s[0:1], vcc
	; wave barrier
	s_and_saveexec_b64 s[0:1], s[6:7]
	s_cbranch_execz .LBB1243_123
; %bb.122:
	v_bcnt_u32_b32 v22, v24, 0
	v_bcnt_u32_b32 v22, v25, v22
	s_waitcnt lgkmcnt(0)
	v_add_u32_e32 v22, v29, v22
	ds_write_b32 v33, v22 offset:64
.LBB1243_123:
	s_or_b64 exec, exec, s[0:1]
	s_waitcnt vmcnt(4)
	v_xor_b32_e32 v13, 0x80000000, v13
	v_lshrrev_b64 v[24:25], s52, v[12:13]
	v_and_b32_e32 v35, s14, v24
	v_mul_lo_u32 v22, v35, s2
	v_lshl_add_u32 v37, v34, 2, v22
	v_and_b32_e32 v22, 1, v35
	v_lshl_add_u64 v[24:25], v[22:23], 0, -1
	v_cmp_ne_u32_e32 vcc, 0, v22
	; wave barrier
	s_nop 1
	v_xor_b32_e32 v24, vcc_lo, v24
	v_xor_b32_e32 v22, vcc_hi, v25
	v_and_b32_e32 v36, exec_lo, v24
	v_lshlrev_b32_e32 v25, 30, v35
	v_mov_b32_e32 v24, v23
	v_cmp_gt_i64_e32 vcc, 0, v[24:25]
	v_not_b32_e32 v24, v25
	v_ashrrev_i32_e32 v24, 31, v24
	v_and_b32_e32 v22, exec_hi, v22
	v_xor_b32_e32 v25, vcc_hi, v24
	v_xor_b32_e32 v24, vcc_lo, v24
	v_and_b32_e32 v22, v22, v25
	v_and_b32_e32 v36, v36, v24
	v_lshlrev_b32_e32 v25, 29, v35
	v_mov_b32_e32 v24, v23
	v_cmp_gt_i64_e32 vcc, 0, v[24:25]
	v_not_b32_e32 v24, v25
	v_ashrrev_i32_e32 v24, 31, v24
	v_xor_b32_e32 v25, vcc_hi, v24
	v_xor_b32_e32 v24, vcc_lo, v24
	v_and_b32_e32 v22, v22, v25
	v_and_b32_e32 v36, v36, v24
	v_lshlrev_b32_e32 v25, 28, v35
	v_mov_b32_e32 v24, v23
	v_cmp_gt_i64_e32 vcc, 0, v[24:25]
	v_not_b32_e32 v24, v25
	v_ashrrev_i32_e32 v24, 31, v24
	;; [unrolled: 9-line block ×5, first 2 shown]
	v_xor_b32_e32 v25, vcc_hi, v24
	v_xor_b32_e32 v24, vcc_lo, v24
	v_and_b32_e32 v22, v22, v25
	v_lshlrev_b32_e32 v25, 24, v35
	v_and_b32_e32 v36, v36, v24
	v_mov_b32_e32 v24, v23
	v_not_b32_e32 v23, v25
	v_cmp_gt_i64_e32 vcc, 0, v[24:25]
	v_ashrrev_i32_e32 v23, 31, v23
	ds_read_b32 v32, v37 offset:64
	v_xor_b32_e32 v24, vcc_hi, v23
	v_xor_b32_e32 v25, vcc_lo, v23
	v_and_b32_e32 v23, v22, v24
	v_and_b32_e32 v22, v36, v25
	v_mbcnt_lo_u32_b32 v24, v22, 0
	v_mbcnt_hi_u32_b32 v35, v23, v24
	v_cmp_eq_u32_e32 vcc, 0, v35
	v_cmp_ne_u64_e64 s[0:1], 0, v[22:23]
	s_and_b64 s[2:3], s[0:1], vcc
	; wave barrier
	s_and_saveexec_b64 s[0:1], s[2:3]
	s_cbranch_execz .LBB1243_125
; %bb.124:
	v_bcnt_u32_b32 v22, v22, 0
	v_bcnt_u32_b32 v22, v23, v22
	s_waitcnt lgkmcnt(0)
	v_add_u32_e32 v22, v32, v22
	ds_write_b32 v37, v22 offset:64
.LBB1243_125:
	s_or_b64 exec, exec, s[0:1]
	s_waitcnt vmcnt(3)
	v_xor_b32_e32 v15, 0x80000000, v15
	v_lshrrev_b64 v[22:23], s52, v[14:15]
	v_and_b32_e32 v38, s14, v22
	s_movk_i32 s2, 0x44
	v_mul_lo_u32 v22, v38, s2
	v_lshl_add_u32 v40, v34, 2, v22
	v_and_b32_e32 v22, 1, v38
	v_mov_b32_e32 v23, 0
	v_lshl_add_u64 v[24:25], v[22:23], 0, -1
	v_cmp_ne_u32_e32 vcc, 0, v22
	; wave barrier
	s_nop 1
	v_xor_b32_e32 v24, vcc_lo, v24
	v_xor_b32_e32 v22, vcc_hi, v25
	v_and_b32_e32 v39, exec_lo, v24
	v_lshlrev_b32_e32 v25, 30, v38
	v_mov_b32_e32 v24, v23
	v_cmp_gt_i64_e32 vcc, 0, v[24:25]
	v_not_b32_e32 v24, v25
	v_ashrrev_i32_e32 v24, 31, v24
	v_and_b32_e32 v22, exec_hi, v22
	v_xor_b32_e32 v25, vcc_hi, v24
	v_xor_b32_e32 v24, vcc_lo, v24
	v_and_b32_e32 v22, v22, v25
	v_and_b32_e32 v39, v39, v24
	v_lshlrev_b32_e32 v25, 29, v38
	v_mov_b32_e32 v24, v23
	v_cmp_gt_i64_e32 vcc, 0, v[24:25]
	v_not_b32_e32 v24, v25
	v_ashrrev_i32_e32 v24, 31, v24
	v_xor_b32_e32 v25, vcc_hi, v24
	v_xor_b32_e32 v24, vcc_lo, v24
	v_and_b32_e32 v22, v22, v25
	v_and_b32_e32 v39, v39, v24
	v_lshlrev_b32_e32 v25, 28, v38
	v_mov_b32_e32 v24, v23
	v_cmp_gt_i64_e32 vcc, 0, v[24:25]
	v_not_b32_e32 v24, v25
	v_ashrrev_i32_e32 v24, 31, v24
	;; [unrolled: 9-line block ×6, first 2 shown]
	v_xor_b32_e32 v25, vcc_hi, v24
	v_xor_b32_e32 v24, vcc_lo, v24
	ds_read_b32 v36, v40 offset:64
	v_and_b32_e32 v24, v39, v24
	v_and_b32_e32 v25, v22, v25
	v_mbcnt_lo_u32_b32 v22, v24, 0
	v_mbcnt_hi_u32_b32 v38, v25, v22
	v_cmp_eq_u32_e32 vcc, 0, v38
	v_cmp_ne_u64_e64 s[0:1], 0, v[24:25]
	s_and_b64 s[6:7], s[0:1], vcc
	; wave barrier
	s_and_saveexec_b64 s[0:1], s[6:7]
	s_cbranch_execz .LBB1243_127
; %bb.126:
	v_bcnt_u32_b32 v22, v24, 0
	v_bcnt_u32_b32 v22, v25, v22
	s_waitcnt lgkmcnt(0)
	v_add_u32_e32 v22, v36, v22
	ds_write_b32 v40, v22 offset:64
.LBB1243_127:
	s_or_b64 exec, exec, s[0:1]
	s_waitcnt vmcnt(2)
	v_xor_b32_e32 v17, 0x80000000, v17
	v_lshrrev_b64 v[24:25], s52, v[16:17]
	v_and_b32_e32 v41, s14, v24
	v_mul_lo_u32 v22, v41, s2
	v_lshl_add_u32 v43, v34, 2, v22
	v_and_b32_e32 v22, 1, v41
	v_lshl_add_u64 v[24:25], v[22:23], 0, -1
	v_cmp_ne_u32_e32 vcc, 0, v22
	; wave barrier
	s_nop 1
	v_xor_b32_e32 v24, vcc_lo, v24
	v_xor_b32_e32 v22, vcc_hi, v25
	v_and_b32_e32 v42, exec_lo, v24
	v_lshlrev_b32_e32 v25, 30, v41
	v_mov_b32_e32 v24, v23
	v_cmp_gt_i64_e32 vcc, 0, v[24:25]
	v_not_b32_e32 v24, v25
	v_ashrrev_i32_e32 v24, 31, v24
	v_and_b32_e32 v22, exec_hi, v22
	v_xor_b32_e32 v25, vcc_hi, v24
	v_xor_b32_e32 v24, vcc_lo, v24
	v_and_b32_e32 v22, v22, v25
	v_and_b32_e32 v42, v42, v24
	v_lshlrev_b32_e32 v25, 29, v41
	v_mov_b32_e32 v24, v23
	v_cmp_gt_i64_e32 vcc, 0, v[24:25]
	v_not_b32_e32 v24, v25
	v_ashrrev_i32_e32 v24, 31, v24
	v_xor_b32_e32 v25, vcc_hi, v24
	v_xor_b32_e32 v24, vcc_lo, v24
	v_and_b32_e32 v22, v22, v25
	v_and_b32_e32 v42, v42, v24
	v_lshlrev_b32_e32 v25, 28, v41
	v_mov_b32_e32 v24, v23
	v_cmp_gt_i64_e32 vcc, 0, v[24:25]
	v_not_b32_e32 v24, v25
	v_ashrrev_i32_e32 v24, 31, v24
	;; [unrolled: 9-line block ×5, first 2 shown]
	v_xor_b32_e32 v25, vcc_hi, v24
	v_xor_b32_e32 v24, vcc_lo, v24
	v_and_b32_e32 v22, v22, v25
	v_lshlrev_b32_e32 v25, 24, v41
	v_and_b32_e32 v42, v42, v24
	v_mov_b32_e32 v24, v23
	v_not_b32_e32 v23, v25
	v_cmp_gt_i64_e32 vcc, 0, v[24:25]
	v_ashrrev_i32_e32 v23, 31, v23
	ds_read_b32 v39, v43 offset:64
	v_xor_b32_e32 v24, vcc_hi, v23
	v_xor_b32_e32 v25, vcc_lo, v23
	v_and_b32_e32 v23, v22, v24
	v_and_b32_e32 v22, v42, v25
	v_mbcnt_lo_u32_b32 v24, v22, 0
	v_mbcnt_hi_u32_b32 v41, v23, v24
	v_cmp_eq_u32_e32 vcc, 0, v41
	v_cmp_ne_u64_e64 s[0:1], 0, v[22:23]
	s_and_b64 s[2:3], s[0:1], vcc
	; wave barrier
	s_and_saveexec_b64 s[0:1], s[2:3]
	s_cbranch_execz .LBB1243_129
; %bb.128:
	v_bcnt_u32_b32 v22, v22, 0
	v_bcnt_u32_b32 v22, v23, v22
	s_waitcnt lgkmcnt(0)
	v_add_u32_e32 v22, v39, v22
	ds_write_b32 v43, v22 offset:64
.LBB1243_129:
	s_or_b64 exec, exec, s[0:1]
	s_waitcnt vmcnt(1)
	v_xor_b32_e32 v19, 0x80000000, v19
	v_lshrrev_b64 v[22:23], s52, v[18:19]
	v_and_b32_e32 v44, s14, v22
	s_movk_i32 s2, 0x44
	v_mul_lo_u32 v22, v44, s2
	v_lshl_add_u32 v46, v34, 2, v22
	v_and_b32_e32 v22, 1, v44
	v_mov_b32_e32 v23, 0
	v_lshl_add_u64 v[24:25], v[22:23], 0, -1
	v_cmp_ne_u32_e32 vcc, 0, v22
	; wave barrier
	s_nop 1
	v_xor_b32_e32 v24, vcc_lo, v24
	v_xor_b32_e32 v22, vcc_hi, v25
	v_and_b32_e32 v45, exec_lo, v24
	v_lshlrev_b32_e32 v25, 30, v44
	v_mov_b32_e32 v24, v23
	v_cmp_gt_i64_e32 vcc, 0, v[24:25]
	v_not_b32_e32 v24, v25
	v_ashrrev_i32_e32 v24, 31, v24
	v_and_b32_e32 v22, exec_hi, v22
	v_xor_b32_e32 v25, vcc_hi, v24
	v_xor_b32_e32 v24, vcc_lo, v24
	v_and_b32_e32 v22, v22, v25
	v_and_b32_e32 v45, v45, v24
	v_lshlrev_b32_e32 v25, 29, v44
	v_mov_b32_e32 v24, v23
	v_cmp_gt_i64_e32 vcc, 0, v[24:25]
	v_not_b32_e32 v24, v25
	v_ashrrev_i32_e32 v24, 31, v24
	v_xor_b32_e32 v25, vcc_hi, v24
	v_xor_b32_e32 v24, vcc_lo, v24
	v_and_b32_e32 v22, v22, v25
	v_and_b32_e32 v45, v45, v24
	v_lshlrev_b32_e32 v25, 28, v44
	v_mov_b32_e32 v24, v23
	v_cmp_gt_i64_e32 vcc, 0, v[24:25]
	v_not_b32_e32 v24, v25
	v_ashrrev_i32_e32 v24, 31, v24
	;; [unrolled: 9-line block ×6, first 2 shown]
	v_xor_b32_e32 v25, vcc_hi, v24
	v_xor_b32_e32 v24, vcc_lo, v24
	ds_read_b32 v42, v46 offset:64
	v_and_b32_e32 v24, v45, v24
	v_and_b32_e32 v25, v22, v25
	v_mbcnt_lo_u32_b32 v22, v24, 0
	v_mbcnt_hi_u32_b32 v44, v25, v22
	v_cmp_eq_u32_e32 vcc, 0, v44
	v_cmp_ne_u64_e64 s[0:1], 0, v[24:25]
	s_and_b64 s[6:7], s[0:1], vcc
	; wave barrier
	s_and_saveexec_b64 s[0:1], s[6:7]
	s_cbranch_execz .LBB1243_131
; %bb.130:
	v_bcnt_u32_b32 v22, v24, 0
	v_bcnt_u32_b32 v22, v25, v22
	s_waitcnt lgkmcnt(0)
	v_add_u32_e32 v22, v42, v22
	ds_write_b32 v46, v22 offset:64
.LBB1243_131:
	s_or_b64 exec, exec, s[0:1]
	s_waitcnt vmcnt(0)
	v_xor_b32_e32 v21, 0x80000000, v21
	v_lshrrev_b64 v[24:25], s52, v[20:21]
	v_and_b32_e32 v47, s14, v24
	v_mul_lo_u32 v22, v47, s2
	v_lshl_add_u32 v48, v34, 2, v22
	v_and_b32_e32 v22, 1, v47
	v_lshl_add_u64 v[24:25], v[22:23], 0, -1
	v_cmp_ne_u32_e32 vcc, 0, v22
	; wave barrier
	s_nop 1
	v_xor_b32_e32 v24, vcc_lo, v24
	v_xor_b32_e32 v22, vcc_hi, v25
	v_and_b32_e32 v34, exec_lo, v24
	v_lshlrev_b32_e32 v25, 30, v47
	v_mov_b32_e32 v24, v23
	v_cmp_gt_i64_e32 vcc, 0, v[24:25]
	v_not_b32_e32 v24, v25
	v_ashrrev_i32_e32 v24, 31, v24
	v_and_b32_e32 v22, exec_hi, v22
	v_xor_b32_e32 v25, vcc_hi, v24
	v_xor_b32_e32 v24, vcc_lo, v24
	v_and_b32_e32 v22, v22, v25
	v_and_b32_e32 v34, v34, v24
	v_lshlrev_b32_e32 v25, 29, v47
	v_mov_b32_e32 v24, v23
	v_cmp_gt_i64_e32 vcc, 0, v[24:25]
	v_not_b32_e32 v24, v25
	v_ashrrev_i32_e32 v24, 31, v24
	v_xor_b32_e32 v25, vcc_hi, v24
	v_xor_b32_e32 v24, vcc_lo, v24
	v_and_b32_e32 v22, v22, v25
	v_and_b32_e32 v34, v34, v24
	v_lshlrev_b32_e32 v25, 28, v47
	v_mov_b32_e32 v24, v23
	v_cmp_gt_i64_e32 vcc, 0, v[24:25]
	v_not_b32_e32 v24, v25
	v_ashrrev_i32_e32 v24, 31, v24
	;; [unrolled: 9-line block ×5, first 2 shown]
	v_xor_b32_e32 v25, vcc_hi, v24
	v_xor_b32_e32 v24, vcc_lo, v24
	v_and_b32_e32 v22, v22, v25
	v_lshlrev_b32_e32 v25, 24, v47
	v_and_b32_e32 v34, v34, v24
	v_mov_b32_e32 v24, v23
	v_not_b32_e32 v23, v25
	v_cmp_gt_i64_e32 vcc, 0, v[24:25]
	v_ashrrev_i32_e32 v23, 31, v23
	ds_read_b32 v45, v48 offset:64
	v_xor_b32_e32 v24, vcc_hi, v23
	v_xor_b32_e32 v25, vcc_lo, v23
	v_and_b32_e32 v23, v22, v24
	v_and_b32_e32 v22, v34, v25
	v_mbcnt_lo_u32_b32 v24, v22, 0
	v_mbcnt_hi_u32_b32 v47, v23, v24
	v_cmp_eq_u32_e32 vcc, 0, v47
	v_cmp_ne_u64_e64 s[0:1], 0, v[22:23]
	s_and_b64 s[2:3], s[0:1], vcc
	; wave barrier
	s_and_saveexec_b64 s[0:1], s[2:3]
	s_cbranch_execz .LBB1243_133
; %bb.132:
	v_bcnt_u32_b32 v22, v22, 0
	v_bcnt_u32_b32 v22, v23, v22
	s_waitcnt lgkmcnt(0)
	v_add_u32_e32 v22, v45, v22
	ds_write_b32 v48, v22 offset:64
.LBB1243_133:
	s_or_b64 exec, exec, s[0:1]
	; wave barrier
	s_waitcnt lgkmcnt(0)
	s_barrier
	ds_read2_b32 v[24:25], v1 offset0:16 offset1:17
	ds_read2_b32 v[22:23], v1 offset0:18 offset1:19
	ds_read_b32 v34, v1 offset:80
	v_cmp_lt_u32_e64 s[8:9], 31, v26
	s_waitcnt lgkmcnt(1)
	v_add3_u32 v49, v25, v24, v22
	s_waitcnt lgkmcnt(0)
	v_add3_u32 v34, v49, v23, v34
	v_and_b32_e32 v49, 15, v26
	v_cmp_eq_u32_e32 vcc, 0, v49
	v_mov_b32_dpp v50, v34 row_shr:1 row_mask:0xf bank_mask:0xf
	v_cmp_lt_u32_e64 s[0:1], 1, v49
	v_cndmask_b32_e64 v50, v50, 0, vcc
	v_add_u32_e32 v34, v50, v34
	v_cmp_lt_u32_e64 s[2:3], 3, v49
	v_cmp_lt_u32_e64 s[6:7], 7, v49
	v_mov_b32_dpp v50, v34 row_shr:2 row_mask:0xf bank_mask:0xf
	v_cndmask_b32_e64 v50, 0, v50, s[0:1]
	v_add_u32_e32 v34, v34, v50
	s_nop 1
	v_mov_b32_dpp v50, v34 row_shr:4 row_mask:0xf bank_mask:0xf
	v_cndmask_b32_e64 v50, 0, v50, s[2:3]
	v_add_u32_e32 v34, v34, v50
	s_nop 1
	v_mov_b32_dpp v50, v34 row_shr:8 row_mask:0xf bank_mask:0xf
	v_cndmask_b32_e64 v49, 0, v50, s[6:7]
	v_add_u32_e32 v34, v34, v49
	v_bfe_i32 v50, v26, 4, 1
	s_nop 0
	v_mov_b32_dpp v49, v34 row_bcast:15 row_mask:0xf bank_mask:0xf
	v_and_b32_e32 v49, v50, v49
	v_add_u32_e32 v34, v34, v49
	v_lshrrev_b32_e32 v50, 6, v2
	s_nop 0
	v_mov_b32_dpp v49, v34 row_bcast:31 row_mask:0xf bank_mask:0xf
	v_cndmask_b32_e64 v49, 0, v49, s[8:9]
	v_add_u32_e32 v49, v34, v49
	v_and_b32_e32 v34, 63, v2
	v_cmp_eq_u32_e64 s[8:9], 63, v34
	s_and_saveexec_b64 s[12:13], s[8:9]
; %bb.134:
	v_lshlrev_b32_e32 v34, 2, v50
	ds_write_b32 v34, v49
; %bb.135:
	s_or_b64 exec, exec, s[12:13]
	v_cmp_gt_u32_e64 s[8:9], 16, v2
	v_lshlrev_b32_e32 v34, 2, v2
	s_waitcnt lgkmcnt(0)
	s_barrier
	s_and_saveexec_b64 s[12:13], s[8:9]
	s_cbranch_execz .LBB1243_137
; %bb.136:
	ds_read_b32 v51, v34
	s_waitcnt lgkmcnt(0)
	s_nop 0
	v_mov_b32_dpp v52, v51 row_shr:1 row_mask:0xf bank_mask:0xf
	v_cndmask_b32_e64 v52, v52, 0, vcc
	v_add_u32_e32 v51, v52, v51
	s_nop 1
	v_mov_b32_dpp v52, v51 row_shr:2 row_mask:0xf bank_mask:0xf
	v_cndmask_b32_e64 v52, 0, v52, s[0:1]
	v_add_u32_e32 v51, v51, v52
	s_nop 1
	v_mov_b32_dpp v52, v51 row_shr:4 row_mask:0xf bank_mask:0xf
	v_cndmask_b32_e64 v52, 0, v52, s[2:3]
	v_add_u32_e32 v51, v51, v52
	s_nop 1
	v_mov_b32_dpp v52, v51 row_shr:8 row_mask:0xf bank_mask:0xf
	v_cndmask_b32_e64 v52, 0, v52, s[6:7]
	v_add_u32_e32 v51, v51, v52
	ds_write_b32 v34, v51
.LBB1243_137:
	s_or_b64 exec, exec, s[12:13]
	v_cmp_lt_u32_e32 vcc, 63, v2
	v_mov_b32_e32 v51, 0
	s_waitcnt lgkmcnt(0)
	s_barrier
	s_and_saveexec_b64 s[0:1], vcc
; %bb.138:
	v_lshl_add_u32 v50, v50, 2, -4
	ds_read_b32 v51, v50
; %bb.139:
	s_or_b64 exec, exec, s[0:1]
	v_subrev_co_u32_e32 v50, vcc, 1, v26
	v_and_b32_e32 v52, 64, v26
	v_cmp_lt_i32_e64 s[0:1], v50, v52
	s_waitcnt lgkmcnt(0)
	v_add_u32_e32 v49, v51, v49
	s_movk_i32 s2, 0x100
	v_cndmask_b32_e64 v26, v50, v26, s[0:1]
	v_lshlrev_b32_e32 v26, 2, v26
	ds_bpermute_b32 v26, v26, v49
	s_movk_i32 s0, 0xff
	s_waitcnt lgkmcnt(0)
	v_cndmask_b32_e32 v26, v26, v51, vcc
	v_cmp_ne_u32_e32 vcc, 0, v2
	s_nop 1
	v_cndmask_b32_e32 v26, 0, v26, vcc
	v_add_u32_e32 v24, v26, v24
	v_add_u32_e32 v25, v24, v25
	;; [unrolled: 1-line block ×4, first 2 shown]
	ds_write2_b32 v1, v26, v24 offset0:16 offset1:17
	ds_write2_b32 v1, v25, v22 offset0:18 offset1:19
	ds_write_b32 v1, v23 offset:80
	s_waitcnt lgkmcnt(0)
	s_barrier
	ds_read_b32 v52, v27 offset:64
	ds_read_b32 v1, v30 offset:64
	;; [unrolled: 1-line block ×8, first 2 shown]
	v_cmp_lt_u32_e32 vcc, s0, v2
	v_cmp_gt_u32_e64 s[0:1], s2, v2
                                        ; implicit-def: $vgpr30
                                        ; implicit-def: $vgpr33
	s_and_saveexec_b64 s[6:7], s[0:1]
	s_cbranch_execz .LBB1243_143
; %bb.140:
	v_mul_u32_u24_e32 v22, 0x44, v2
	ds_read_b32 v30, v22 offset:64
	v_add_u32_e32 v23, 1, v2
	v_cmp_ne_u32_e64 s[2:3], s2, v23
	v_mov_b32_e32 v22, 0x2000
	s_and_saveexec_b64 s[8:9], s[2:3]
; %bb.141:
	v_mul_u32_u24_e32 v22, 0x44, v23
	ds_read_b32 v22, v22 offset:64
; %bb.142:
	s_or_b64 exec, exec, s[8:9]
	s_waitcnt lgkmcnt(0)
	v_sub_u32_e32 v33, v22, v30
.LBB1243_143:
	s_or_b64 exec, exec, s[6:7]
	v_mov_b32_e32 v23, 0
	s_waitcnt lgkmcnt(0)
	s_barrier
	s_and_saveexec_b64 s[2:3], s[0:1]
	s_cbranch_execz .LBB1243_153
; %bb.144:
	v_lshl_add_u32 v22, s4, 8, v2
	v_lshl_add_u64 v[24:25], v[22:23], 2, s[38:39]
	v_or_b32_e32 v22, 2.0, v33
	s_mov_b64 s[6:7], 0
	s_brev_b32 s15, -4
	s_mov_b32 s16, s4
	v_mov_b32_e32 v46, 0
	global_store_dword v[24:25], v22, off sc1
                                        ; implicit-def: $sgpr0_sgpr1
	s_branch .LBB1243_147
.LBB1243_145:                           ;   in Loop: Header=BB1243_147 Depth=1
	s_or_b64 exec, exec, s[12:13]
.LBB1243_146:                           ;   in Loop: Header=BB1243_147 Depth=1
	s_or_b64 exec, exec, s[8:9]
	v_and_b32_e32 v26, 0x3fffffff, v22
	v_add_u32_e32 v46, v26, v46
	v_cmp_gt_i32_e64 s[0:1], -2.0, v22
	s_and_b64 s[8:9], exec, s[0:1]
	s_or_b64 s[6:7], s[8:9], s[6:7]
	s_andn2_b64 exec, exec, s[6:7]
	s_cbranch_execz .LBB1243_152
.LBB1243_147:                           ; =>This Loop Header: Depth=1
                                        ;     Child Loop BB1243_150 Depth 2
	s_or_b64 s[0:1], s[0:1], exec
	s_cmp_eq_u32 s16, 0
	s_cbranch_scc1 .LBB1243_151
; %bb.148:                              ;   in Loop: Header=BB1243_147 Depth=1
	s_add_i32 s16, s16, -1
	v_lshl_or_b32 v22, s16, 8, v2
	v_lshl_add_u64 v[26:27], v[22:23], 2, s[38:39]
	global_load_dword v22, v[26:27], off sc1
	s_waitcnt vmcnt(0)
	v_cmp_gt_u32_e64 s[0:1], 2.0, v22
	s_and_saveexec_b64 s[8:9], s[0:1]
	s_cbranch_execz .LBB1243_146
; %bb.149:                              ;   in Loop: Header=BB1243_147 Depth=1
	s_mov_b64 s[12:13], 0
.LBB1243_150:                           ;   Parent Loop BB1243_147 Depth=1
                                        ; =>  This Inner Loop Header: Depth=2
	global_load_dword v22, v[26:27], off sc1
	s_waitcnt vmcnt(0)
	v_cmp_lt_u32_e64 s[0:1], s15, v22
	s_or_b64 s[12:13], s[0:1], s[12:13]
	s_andn2_b64 exec, exec, s[12:13]
	s_cbranch_execnz .LBB1243_150
	s_branch .LBB1243_145
.LBB1243_151:                           ;   in Loop: Header=BB1243_147 Depth=1
                                        ; implicit-def: $sgpr16
	s_and_b64 s[8:9], exec, s[0:1]
	s_or_b64 s[6:7], s[8:9], s[6:7]
	s_andn2_b64 exec, exec, s[6:7]
	s_cbranch_execnz .LBB1243_147
.LBB1243_152:
	s_or_b64 exec, exec, s[6:7]
	v_add_u32_e32 v22, v46, v33
	v_or_b32_e32 v22, 0x80000000, v22
	global_store_dword v[24:25], v22, off sc1
	global_load_dword v22, v34, s[48:49]
	v_sub_u32_e32 v23, v46, v30
	s_waitcnt vmcnt(0)
	v_add_u32_e32 v22, v23, v22
	ds_write_b32 v34, v22
.LBB1243_153:
	s_or_b64 exec, exec, s[2:3]
	v_add_u32_e32 v24, v52, v5
	v_add3_u32 v5, v28, v3, v1
	v_add3_u32 v22, v31, v29, v49
	;; [unrolled: 1-line block ×7, first 2 shown]
	v_mov_b32_e32 v52, 0x400
	s_mov_b32 s6, s52
	s_mov_b32 s7, s14
	s_movk_i32 s8, 0x400
	v_lshl_add_u32 v25, v25, 3, v52
	v_add3_u32 v26, v47, v40, v45
	v_lshl_add_u32 v27, v27, 3, v52
	v_add3_u32 v37, v44, v37, v42
	;; [unrolled: 2-line block ×7, first 2 shown]
	v_lshl_add_u32 v28, v24, 3, v52
	s_mov_b32 s9, 0
	s_mov_b32 s12, 0
	s_movk_i32 s13, 0x800
	v_add_u32_e32 v42, v34, v34
	v_mov_b32_e32 v23, 0
	v_mov_b32_e32 v1, v2
	s_mov_b32 s15, 0
	s_branch .LBB1243_155
.LBB1243_154:                           ;   in Loop: Header=BB1243_155 Depth=1
	s_or_b64 exec, exec, s[2:3]
	s_waitcnt lgkmcnt(0)
	s_barrier
	ds_read2st64_b64 v[44:47], v42 offset0:2 offset1:18
	s_addk_i32 s15, 0xc000
	s_addk_i32 s12, 0xf800
	s_waitcnt lgkmcnt(0)
	v_xor_b32_e32 v49, 0x80000000, v45
	v_mov_b32_e32 v48, v44
	v_lshrrev_b64 v[44:45], s52, v[44:45]
	v_lshrrev_b64 v[52:53], s6, v[46:47]
	v_and_b32_e32 v44, s14, v44
	v_lshlrev_b32_e32 v5, 2, v44
	v_and_b32_e32 v45, s7, v52
	ds_read_b32 v5, v5
	v_lshlrev_b32_e32 v22, 2, v45
	ds_read_b32 v43, v22
	v_xor_b32_e32 v51, 0x80000000, v47
	v_mov_b32_e32 v50, v46
	s_waitcnt lgkmcnt(1)
	v_add_u32_e32 v22, v1, v5
	v_lshl_add_u64 v[46:47], v[22:23], 3, s[42:43]
	s_waitcnt lgkmcnt(0)
	v_add3_u32 v22, v1, v43, s8
	global_store_dwordx2 v[46:47], v[48:49], off
	v_lshl_add_u64 v[46:47], v[22:23], 3, s[42:43]
	global_store_dwordx2 v[46:47], v[50:51], off
	scratch_store_dwordx2 off, v[44:45], s9
	s_add_i32 s9, s9, 8
	s_cmp_eq_u32 s15, 0xffff0000
	v_add_u32_e32 v1, 0x800, v1
	s_barrier
	s_cbranch_scc1 .LBB1243_171
.LBB1243_155:                           ; =>This Inner Loop Header: Depth=1
	v_add_u32_e32 v5, s12, v24
	v_cmp_gt_u32_e64 s[0:1], s13, v5
	s_and_saveexec_b64 s[2:3], s[0:1]
; %bb.156:                              ;   in Loop: Header=BB1243_155 Depth=1
	v_add_u32_e32 v5, s15, v28
	ds_write_b64 v5, v[6:7]
; %bb.157:                              ;   in Loop: Header=BB1243_155 Depth=1
	s_or_b64 exec, exec, s[2:3]
	v_add_u32_e32 v5, s12, v3
	v_cmp_gt_u32_e64 s[0:1], s13, v5
	s_and_saveexec_b64 s[2:3], s[0:1]
; %bb.158:                              ;   in Loop: Header=BB1243_155 Depth=1
	v_add_u32_e32 v5, s15, v31
	ds_write_b64 v5, v[8:9]
; %bb.159:                              ;   in Loop: Header=BB1243_155 Depth=1
	s_or_b64 exec, exec, s[2:3]
	;; [unrolled: 8-line block ×7, first 2 shown]
	v_add_u32_e32 v5, s12, v26
	v_cmp_gt_u32_e64 s[0:1], s13, v5
	s_and_saveexec_b64 s[2:3], s[0:1]
	s_cbranch_execz .LBB1243_154
; %bb.170:                              ;   in Loop: Header=BB1243_155 Depth=1
	v_add_u32_e32 v5, s15, v25
	ds_write_b64 v5, v[20:21]
	s_branch .LBB1243_154
.LBB1243_171:
	s_add_u32 s0, s44, s10
	s_addc_u32 s1, s45, s11
	v_mov_b32_e32 v1, 0
	v_lshl_add_u64 v[6:7], s[0:1], 0, v[0:1]
	v_mov_b32_e32 v5, v1
	v_lshl_add_u64 v[20:21], v[6:7], 0, v[4:5]
	global_load_dwordx2 v[4:5], v[20:21], off
	global_load_dwordx2 v[6:7], v[20:21], off offset:512
	global_load_dwordx2 v[8:9], v[20:21], off offset:1024
	;; [unrolled: 1-line block ×7, first 2 shown]
	s_mov_b32 s6, 0
	s_mov_b32 s7, 0
	s_movk_i32 s8, 0x800
	s_movk_i32 s9, 0x400
	s_mov_b32 s10, 0
	s_branch .LBB1243_173
.LBB1243_172:                           ;   in Loop: Header=BB1243_173 Depth=1
	s_or_b64 exec, exec, s[2:3]
	s_waitcnt lgkmcnt(0)
	s_barrier
	scratch_load_dwordx2 v[44:45], off, s6
	ds_read2st64_b64 v[20:23], v42 offset0:2 offset1:18
	s_addk_i32 s10, 0xc000
	s_addk_i32 s7, 0xf800
	s_add_i32 s6, s6, 8
	s_cmp_eq_u32 s10, 0xffff0000
	s_waitcnt vmcnt(0)
	v_lshlrev_b32_e32 v0, 2, v44
	ds_read_b32 v0, v0
	v_lshlrev_b32_e32 v43, 2, v45
	ds_read_b32 v43, v43
	s_waitcnt lgkmcnt(1)
	v_add_u32_e32 v0, v2, v0
	v_lshl_add_u64 v[44:45], v[0:1], 3, s[46:47]
	s_waitcnt lgkmcnt(0)
	v_add3_u32 v0, v2, v43, s9
	global_store_dwordx2 v[44:45], v[20:21], off
	v_lshl_add_u64 v[20:21], v[0:1], 3, s[46:47]
	v_add_u32_e32 v2, 0x800, v2
	global_store_dwordx2 v[20:21], v[22:23], off
	s_barrier
	s_cbranch_scc1 .LBB1243_189
.LBB1243_173:                           ; =>This Inner Loop Header: Depth=1
	v_add_u32_e32 v0, s7, v24
	v_cmp_gt_u32_e64 s[0:1], s8, v0
	s_and_saveexec_b64 s[2:3], s[0:1]
	s_cbranch_execz .LBB1243_175
; %bb.174:                              ;   in Loop: Header=BB1243_173 Depth=1
	v_add_u32_e32 v0, s10, v28
	s_waitcnt vmcnt(7)
	ds_write_b64 v0, v[4:5]
.LBB1243_175:                           ;   in Loop: Header=BB1243_173 Depth=1
	s_or_b64 exec, exec, s[2:3]
	v_add_u32_e32 v0, s7, v3
	v_cmp_gt_u32_e64 s[0:1], s8, v0
	s_and_saveexec_b64 s[2:3], s[0:1]
	s_cbranch_execz .LBB1243_177
; %bb.176:                              ;   in Loop: Header=BB1243_173 Depth=1
	v_add_u32_e32 v0, s10, v31
	s_waitcnt vmcnt(6)
	ds_write_b64 v0, v[6:7]
.LBB1243_177:                           ;   in Loop: Header=BB1243_173 Depth=1
	s_or_b64 exec, exec, s[2:3]
	;; [unrolled: 10-line block ×7, first 2 shown]
	v_add_u32_e32 v0, s7, v26
	v_cmp_gt_u32_e64 s[0:1], s8, v0
	s_and_saveexec_b64 s[2:3], s[0:1]
	s_cbranch_execz .LBB1243_172
; %bb.188:                              ;   in Loop: Header=BB1243_173 Depth=1
	v_add_u32_e32 v0, s10, v25
	s_waitcnt vmcnt(0)
	ds_write_b64 v0, v[18:19]
	s_branch .LBB1243_172
.LBB1243_189:
	s_add_i32 s5, s5, -1
	s_cmp_eq_u32 s4, s5
	s_cselect_b64 s[0:1], -1, 0
	s_xor_b64 s[2:3], vcc, -1
	s_and_b64 s[0:1], s[2:3], s[0:1]
	s_and_saveexec_b64 s[2:3], s[0:1]
	s_cbranch_execz .LBB1243_191
; %bb.190:
	ds_read_b32 v0, v34
	s_waitcnt lgkmcnt(0)
	v_add3_u32 v0, v30, v33, v0
	global_store_dword v34, v0, s[50:51]
.LBB1243_191:
	s_endpgm
	.section	.rodata,"a",@progbits
	.p2align	6, 0x0
	.amdhsa_kernel _ZN7rocprim17ROCPRIM_400000_NS6detail17trampoline_kernelINS0_14default_configENS1_35radix_sort_onesweep_config_selectorIxxEEZZNS1_29radix_sort_onesweep_iterationIS3_Lb0EN6thrust23THRUST_200600_302600_NS6detail15normal_iteratorINS8_10device_ptrIxEEEESD_SD_SD_jNS0_19identity_decomposerENS1_16block_id_wrapperIjLb0EEEEE10hipError_tT1_PNSt15iterator_traitsISI_E10value_typeET2_T3_PNSJ_ISO_E10value_typeET4_T5_PST_SU_PNS1_23onesweep_lookback_stateEbbT6_jjT7_P12ihipStream_tbENKUlT_T0_SI_SN_E_clIPxSD_S15_SD_EEDaS11_S12_SI_SN_EUlS11_E_NS1_11comp_targetILNS1_3genE6ELNS1_11target_archE950ELNS1_3gpuE13ELNS1_3repE0EEENS1_47radix_sort_onesweep_sort_config_static_selectorELNS0_4arch9wavefront6targetE1EEEvSI_
		.amdhsa_group_segment_fixed_size 53328
		.amdhsa_private_segment_fixed_size 48
		.amdhsa_kernarg_size 344
		.amdhsa_user_sgpr_count 4
		.amdhsa_user_sgpr_dispatch_ptr 1
		.amdhsa_user_sgpr_queue_ptr 0
		.amdhsa_user_sgpr_kernarg_segment_ptr 1
		.amdhsa_user_sgpr_dispatch_id 0
		.amdhsa_user_sgpr_kernarg_preload_length 0
		.amdhsa_user_sgpr_kernarg_preload_offset 0
		.amdhsa_user_sgpr_private_segment_size 0
		.amdhsa_uses_dynamic_stack 0
		.amdhsa_enable_private_segment 1
		.amdhsa_system_sgpr_workgroup_id_x 1
		.amdhsa_system_sgpr_workgroup_id_y 0
		.amdhsa_system_sgpr_workgroup_id_z 0
		.amdhsa_system_sgpr_workgroup_info 0
		.amdhsa_system_vgpr_workitem_id 2
		.amdhsa_next_free_vgpr 58
		.amdhsa_next_free_sgpr 58
		.amdhsa_accum_offset 60
		.amdhsa_reserve_vcc 1
		.amdhsa_float_round_mode_32 0
		.amdhsa_float_round_mode_16_64 0
		.amdhsa_float_denorm_mode_32 3
		.amdhsa_float_denorm_mode_16_64 3
		.amdhsa_dx10_clamp 1
		.amdhsa_ieee_mode 1
		.amdhsa_fp16_overflow 0
		.amdhsa_tg_split 0
		.amdhsa_exception_fp_ieee_invalid_op 0
		.amdhsa_exception_fp_denorm_src 0
		.amdhsa_exception_fp_ieee_div_zero 0
		.amdhsa_exception_fp_ieee_overflow 0
		.amdhsa_exception_fp_ieee_underflow 0
		.amdhsa_exception_fp_ieee_inexact 0
		.amdhsa_exception_int_div_zero 0
	.end_amdhsa_kernel
	.section	.text._ZN7rocprim17ROCPRIM_400000_NS6detail17trampoline_kernelINS0_14default_configENS1_35radix_sort_onesweep_config_selectorIxxEEZZNS1_29radix_sort_onesweep_iterationIS3_Lb0EN6thrust23THRUST_200600_302600_NS6detail15normal_iteratorINS8_10device_ptrIxEEEESD_SD_SD_jNS0_19identity_decomposerENS1_16block_id_wrapperIjLb0EEEEE10hipError_tT1_PNSt15iterator_traitsISI_E10value_typeET2_T3_PNSJ_ISO_E10value_typeET4_T5_PST_SU_PNS1_23onesweep_lookback_stateEbbT6_jjT7_P12ihipStream_tbENKUlT_T0_SI_SN_E_clIPxSD_S15_SD_EEDaS11_S12_SI_SN_EUlS11_E_NS1_11comp_targetILNS1_3genE6ELNS1_11target_archE950ELNS1_3gpuE13ELNS1_3repE0EEENS1_47radix_sort_onesweep_sort_config_static_selectorELNS0_4arch9wavefront6targetE1EEEvSI_,"axG",@progbits,_ZN7rocprim17ROCPRIM_400000_NS6detail17trampoline_kernelINS0_14default_configENS1_35radix_sort_onesweep_config_selectorIxxEEZZNS1_29radix_sort_onesweep_iterationIS3_Lb0EN6thrust23THRUST_200600_302600_NS6detail15normal_iteratorINS8_10device_ptrIxEEEESD_SD_SD_jNS0_19identity_decomposerENS1_16block_id_wrapperIjLb0EEEEE10hipError_tT1_PNSt15iterator_traitsISI_E10value_typeET2_T3_PNSJ_ISO_E10value_typeET4_T5_PST_SU_PNS1_23onesweep_lookback_stateEbbT6_jjT7_P12ihipStream_tbENKUlT_T0_SI_SN_E_clIPxSD_S15_SD_EEDaS11_S12_SI_SN_EUlS11_E_NS1_11comp_targetILNS1_3genE6ELNS1_11target_archE950ELNS1_3gpuE13ELNS1_3repE0EEENS1_47radix_sort_onesweep_sort_config_static_selectorELNS0_4arch9wavefront6targetE1EEEvSI_,comdat
.Lfunc_end1243:
	.size	_ZN7rocprim17ROCPRIM_400000_NS6detail17trampoline_kernelINS0_14default_configENS1_35radix_sort_onesweep_config_selectorIxxEEZZNS1_29radix_sort_onesweep_iterationIS3_Lb0EN6thrust23THRUST_200600_302600_NS6detail15normal_iteratorINS8_10device_ptrIxEEEESD_SD_SD_jNS0_19identity_decomposerENS1_16block_id_wrapperIjLb0EEEEE10hipError_tT1_PNSt15iterator_traitsISI_E10value_typeET2_T3_PNSJ_ISO_E10value_typeET4_T5_PST_SU_PNS1_23onesweep_lookback_stateEbbT6_jjT7_P12ihipStream_tbENKUlT_T0_SI_SN_E_clIPxSD_S15_SD_EEDaS11_S12_SI_SN_EUlS11_E_NS1_11comp_targetILNS1_3genE6ELNS1_11target_archE950ELNS1_3gpuE13ELNS1_3repE0EEENS1_47radix_sort_onesweep_sort_config_static_selectorELNS0_4arch9wavefront6targetE1EEEvSI_, .Lfunc_end1243-_ZN7rocprim17ROCPRIM_400000_NS6detail17trampoline_kernelINS0_14default_configENS1_35radix_sort_onesweep_config_selectorIxxEEZZNS1_29radix_sort_onesweep_iterationIS3_Lb0EN6thrust23THRUST_200600_302600_NS6detail15normal_iteratorINS8_10device_ptrIxEEEESD_SD_SD_jNS0_19identity_decomposerENS1_16block_id_wrapperIjLb0EEEEE10hipError_tT1_PNSt15iterator_traitsISI_E10value_typeET2_T3_PNSJ_ISO_E10value_typeET4_T5_PST_SU_PNS1_23onesweep_lookback_stateEbbT6_jjT7_P12ihipStream_tbENKUlT_T0_SI_SN_E_clIPxSD_S15_SD_EEDaS11_S12_SI_SN_EUlS11_E_NS1_11comp_targetILNS1_3genE6ELNS1_11target_archE950ELNS1_3gpuE13ELNS1_3repE0EEENS1_47radix_sort_onesweep_sort_config_static_selectorELNS0_4arch9wavefront6targetE1EEEvSI_
                                        ; -- End function
	.set _ZN7rocprim17ROCPRIM_400000_NS6detail17trampoline_kernelINS0_14default_configENS1_35radix_sort_onesweep_config_selectorIxxEEZZNS1_29radix_sort_onesweep_iterationIS3_Lb0EN6thrust23THRUST_200600_302600_NS6detail15normal_iteratorINS8_10device_ptrIxEEEESD_SD_SD_jNS0_19identity_decomposerENS1_16block_id_wrapperIjLb0EEEEE10hipError_tT1_PNSt15iterator_traitsISI_E10value_typeET2_T3_PNSJ_ISO_E10value_typeET4_T5_PST_SU_PNS1_23onesweep_lookback_stateEbbT6_jjT7_P12ihipStream_tbENKUlT_T0_SI_SN_E_clIPxSD_S15_SD_EEDaS11_S12_SI_SN_EUlS11_E_NS1_11comp_targetILNS1_3genE6ELNS1_11target_archE950ELNS1_3gpuE13ELNS1_3repE0EEENS1_47radix_sort_onesweep_sort_config_static_selectorELNS0_4arch9wavefront6targetE1EEEvSI_.num_vgpr, 58
	.set _ZN7rocprim17ROCPRIM_400000_NS6detail17trampoline_kernelINS0_14default_configENS1_35radix_sort_onesweep_config_selectorIxxEEZZNS1_29radix_sort_onesweep_iterationIS3_Lb0EN6thrust23THRUST_200600_302600_NS6detail15normal_iteratorINS8_10device_ptrIxEEEESD_SD_SD_jNS0_19identity_decomposerENS1_16block_id_wrapperIjLb0EEEEE10hipError_tT1_PNSt15iterator_traitsISI_E10value_typeET2_T3_PNSJ_ISO_E10value_typeET4_T5_PST_SU_PNS1_23onesweep_lookback_stateEbbT6_jjT7_P12ihipStream_tbENKUlT_T0_SI_SN_E_clIPxSD_S15_SD_EEDaS11_S12_SI_SN_EUlS11_E_NS1_11comp_targetILNS1_3genE6ELNS1_11target_archE950ELNS1_3gpuE13ELNS1_3repE0EEENS1_47radix_sort_onesweep_sort_config_static_selectorELNS0_4arch9wavefront6targetE1EEEvSI_.num_agpr, 0
	.set _ZN7rocprim17ROCPRIM_400000_NS6detail17trampoline_kernelINS0_14default_configENS1_35radix_sort_onesweep_config_selectorIxxEEZZNS1_29radix_sort_onesweep_iterationIS3_Lb0EN6thrust23THRUST_200600_302600_NS6detail15normal_iteratorINS8_10device_ptrIxEEEESD_SD_SD_jNS0_19identity_decomposerENS1_16block_id_wrapperIjLb0EEEEE10hipError_tT1_PNSt15iterator_traitsISI_E10value_typeET2_T3_PNSJ_ISO_E10value_typeET4_T5_PST_SU_PNS1_23onesweep_lookback_stateEbbT6_jjT7_P12ihipStream_tbENKUlT_T0_SI_SN_E_clIPxSD_S15_SD_EEDaS11_S12_SI_SN_EUlS11_E_NS1_11comp_targetILNS1_3genE6ELNS1_11target_archE950ELNS1_3gpuE13ELNS1_3repE0EEENS1_47radix_sort_onesweep_sort_config_static_selectorELNS0_4arch9wavefront6targetE1EEEvSI_.numbered_sgpr, 58
	.set _ZN7rocprim17ROCPRIM_400000_NS6detail17trampoline_kernelINS0_14default_configENS1_35radix_sort_onesweep_config_selectorIxxEEZZNS1_29radix_sort_onesweep_iterationIS3_Lb0EN6thrust23THRUST_200600_302600_NS6detail15normal_iteratorINS8_10device_ptrIxEEEESD_SD_SD_jNS0_19identity_decomposerENS1_16block_id_wrapperIjLb0EEEEE10hipError_tT1_PNSt15iterator_traitsISI_E10value_typeET2_T3_PNSJ_ISO_E10value_typeET4_T5_PST_SU_PNS1_23onesweep_lookback_stateEbbT6_jjT7_P12ihipStream_tbENKUlT_T0_SI_SN_E_clIPxSD_S15_SD_EEDaS11_S12_SI_SN_EUlS11_E_NS1_11comp_targetILNS1_3genE6ELNS1_11target_archE950ELNS1_3gpuE13ELNS1_3repE0EEENS1_47radix_sort_onesweep_sort_config_static_selectorELNS0_4arch9wavefront6targetE1EEEvSI_.num_named_barrier, 0
	.set _ZN7rocprim17ROCPRIM_400000_NS6detail17trampoline_kernelINS0_14default_configENS1_35radix_sort_onesweep_config_selectorIxxEEZZNS1_29radix_sort_onesweep_iterationIS3_Lb0EN6thrust23THRUST_200600_302600_NS6detail15normal_iteratorINS8_10device_ptrIxEEEESD_SD_SD_jNS0_19identity_decomposerENS1_16block_id_wrapperIjLb0EEEEE10hipError_tT1_PNSt15iterator_traitsISI_E10value_typeET2_T3_PNSJ_ISO_E10value_typeET4_T5_PST_SU_PNS1_23onesweep_lookback_stateEbbT6_jjT7_P12ihipStream_tbENKUlT_T0_SI_SN_E_clIPxSD_S15_SD_EEDaS11_S12_SI_SN_EUlS11_E_NS1_11comp_targetILNS1_3genE6ELNS1_11target_archE950ELNS1_3gpuE13ELNS1_3repE0EEENS1_47radix_sort_onesweep_sort_config_static_selectorELNS0_4arch9wavefront6targetE1EEEvSI_.private_seg_size, 48
	.set _ZN7rocprim17ROCPRIM_400000_NS6detail17trampoline_kernelINS0_14default_configENS1_35radix_sort_onesweep_config_selectorIxxEEZZNS1_29radix_sort_onesweep_iterationIS3_Lb0EN6thrust23THRUST_200600_302600_NS6detail15normal_iteratorINS8_10device_ptrIxEEEESD_SD_SD_jNS0_19identity_decomposerENS1_16block_id_wrapperIjLb0EEEEE10hipError_tT1_PNSt15iterator_traitsISI_E10value_typeET2_T3_PNSJ_ISO_E10value_typeET4_T5_PST_SU_PNS1_23onesweep_lookback_stateEbbT6_jjT7_P12ihipStream_tbENKUlT_T0_SI_SN_E_clIPxSD_S15_SD_EEDaS11_S12_SI_SN_EUlS11_E_NS1_11comp_targetILNS1_3genE6ELNS1_11target_archE950ELNS1_3gpuE13ELNS1_3repE0EEENS1_47radix_sort_onesweep_sort_config_static_selectorELNS0_4arch9wavefront6targetE1EEEvSI_.uses_vcc, 1
	.set _ZN7rocprim17ROCPRIM_400000_NS6detail17trampoline_kernelINS0_14default_configENS1_35radix_sort_onesweep_config_selectorIxxEEZZNS1_29radix_sort_onesweep_iterationIS3_Lb0EN6thrust23THRUST_200600_302600_NS6detail15normal_iteratorINS8_10device_ptrIxEEEESD_SD_SD_jNS0_19identity_decomposerENS1_16block_id_wrapperIjLb0EEEEE10hipError_tT1_PNSt15iterator_traitsISI_E10value_typeET2_T3_PNSJ_ISO_E10value_typeET4_T5_PST_SU_PNS1_23onesweep_lookback_stateEbbT6_jjT7_P12ihipStream_tbENKUlT_T0_SI_SN_E_clIPxSD_S15_SD_EEDaS11_S12_SI_SN_EUlS11_E_NS1_11comp_targetILNS1_3genE6ELNS1_11target_archE950ELNS1_3gpuE13ELNS1_3repE0EEENS1_47radix_sort_onesweep_sort_config_static_selectorELNS0_4arch9wavefront6targetE1EEEvSI_.uses_flat_scratch, 0
	.set _ZN7rocprim17ROCPRIM_400000_NS6detail17trampoline_kernelINS0_14default_configENS1_35radix_sort_onesweep_config_selectorIxxEEZZNS1_29radix_sort_onesweep_iterationIS3_Lb0EN6thrust23THRUST_200600_302600_NS6detail15normal_iteratorINS8_10device_ptrIxEEEESD_SD_SD_jNS0_19identity_decomposerENS1_16block_id_wrapperIjLb0EEEEE10hipError_tT1_PNSt15iterator_traitsISI_E10value_typeET2_T3_PNSJ_ISO_E10value_typeET4_T5_PST_SU_PNS1_23onesweep_lookback_stateEbbT6_jjT7_P12ihipStream_tbENKUlT_T0_SI_SN_E_clIPxSD_S15_SD_EEDaS11_S12_SI_SN_EUlS11_E_NS1_11comp_targetILNS1_3genE6ELNS1_11target_archE950ELNS1_3gpuE13ELNS1_3repE0EEENS1_47radix_sort_onesweep_sort_config_static_selectorELNS0_4arch9wavefront6targetE1EEEvSI_.has_dyn_sized_stack, 0
	.set _ZN7rocprim17ROCPRIM_400000_NS6detail17trampoline_kernelINS0_14default_configENS1_35radix_sort_onesweep_config_selectorIxxEEZZNS1_29radix_sort_onesweep_iterationIS3_Lb0EN6thrust23THRUST_200600_302600_NS6detail15normal_iteratorINS8_10device_ptrIxEEEESD_SD_SD_jNS0_19identity_decomposerENS1_16block_id_wrapperIjLb0EEEEE10hipError_tT1_PNSt15iterator_traitsISI_E10value_typeET2_T3_PNSJ_ISO_E10value_typeET4_T5_PST_SU_PNS1_23onesweep_lookback_stateEbbT6_jjT7_P12ihipStream_tbENKUlT_T0_SI_SN_E_clIPxSD_S15_SD_EEDaS11_S12_SI_SN_EUlS11_E_NS1_11comp_targetILNS1_3genE6ELNS1_11target_archE950ELNS1_3gpuE13ELNS1_3repE0EEENS1_47radix_sort_onesweep_sort_config_static_selectorELNS0_4arch9wavefront6targetE1EEEvSI_.has_recursion, 0
	.set _ZN7rocprim17ROCPRIM_400000_NS6detail17trampoline_kernelINS0_14default_configENS1_35radix_sort_onesweep_config_selectorIxxEEZZNS1_29radix_sort_onesweep_iterationIS3_Lb0EN6thrust23THRUST_200600_302600_NS6detail15normal_iteratorINS8_10device_ptrIxEEEESD_SD_SD_jNS0_19identity_decomposerENS1_16block_id_wrapperIjLb0EEEEE10hipError_tT1_PNSt15iterator_traitsISI_E10value_typeET2_T3_PNSJ_ISO_E10value_typeET4_T5_PST_SU_PNS1_23onesweep_lookback_stateEbbT6_jjT7_P12ihipStream_tbENKUlT_T0_SI_SN_E_clIPxSD_S15_SD_EEDaS11_S12_SI_SN_EUlS11_E_NS1_11comp_targetILNS1_3genE6ELNS1_11target_archE950ELNS1_3gpuE13ELNS1_3repE0EEENS1_47radix_sort_onesweep_sort_config_static_selectorELNS0_4arch9wavefront6targetE1EEEvSI_.has_indirect_call, 0
	.section	.AMDGPU.csdata,"",@progbits
; Kernel info:
; codeLenInByte = 12800
; TotalNumSgprs: 64
; NumVgprs: 58
; NumAgprs: 0
; TotalNumVgprs: 58
; ScratchSize: 48
; MemoryBound: 1
; FloatMode: 240
; IeeeMode: 1
; LDSByteSize: 53328 bytes/workgroup (compile time only)
; SGPRBlocks: 7
; VGPRBlocks: 7
; NumSGPRsForWavesPerEU: 64
; NumVGPRsForWavesPerEU: 58
; AccumOffset: 60
; Occupancy: 8
; WaveLimiterHint : 1
; COMPUTE_PGM_RSRC2:SCRATCH_EN: 1
; COMPUTE_PGM_RSRC2:USER_SGPR: 4
; COMPUTE_PGM_RSRC2:TRAP_HANDLER: 0
; COMPUTE_PGM_RSRC2:TGID_X_EN: 1
; COMPUTE_PGM_RSRC2:TGID_Y_EN: 0
; COMPUTE_PGM_RSRC2:TGID_Z_EN: 0
; COMPUTE_PGM_RSRC2:TIDIG_COMP_CNT: 2
; COMPUTE_PGM_RSRC3_GFX90A:ACCUM_OFFSET: 14
; COMPUTE_PGM_RSRC3_GFX90A:TG_SPLIT: 0
	.section	.text._ZN7rocprim17ROCPRIM_400000_NS6detail17trampoline_kernelINS0_14default_configENS1_35radix_sort_onesweep_config_selectorIxxEEZZNS1_29radix_sort_onesweep_iterationIS3_Lb0EN6thrust23THRUST_200600_302600_NS6detail15normal_iteratorINS8_10device_ptrIxEEEESD_SD_SD_jNS0_19identity_decomposerENS1_16block_id_wrapperIjLb0EEEEE10hipError_tT1_PNSt15iterator_traitsISI_E10value_typeET2_T3_PNSJ_ISO_E10value_typeET4_T5_PST_SU_PNS1_23onesweep_lookback_stateEbbT6_jjT7_P12ihipStream_tbENKUlT_T0_SI_SN_E_clIPxSD_S15_SD_EEDaS11_S12_SI_SN_EUlS11_E_NS1_11comp_targetILNS1_3genE5ELNS1_11target_archE942ELNS1_3gpuE9ELNS1_3repE0EEENS1_47radix_sort_onesweep_sort_config_static_selectorELNS0_4arch9wavefront6targetE1EEEvSI_,"axG",@progbits,_ZN7rocprim17ROCPRIM_400000_NS6detail17trampoline_kernelINS0_14default_configENS1_35radix_sort_onesweep_config_selectorIxxEEZZNS1_29radix_sort_onesweep_iterationIS3_Lb0EN6thrust23THRUST_200600_302600_NS6detail15normal_iteratorINS8_10device_ptrIxEEEESD_SD_SD_jNS0_19identity_decomposerENS1_16block_id_wrapperIjLb0EEEEE10hipError_tT1_PNSt15iterator_traitsISI_E10value_typeET2_T3_PNSJ_ISO_E10value_typeET4_T5_PST_SU_PNS1_23onesweep_lookback_stateEbbT6_jjT7_P12ihipStream_tbENKUlT_T0_SI_SN_E_clIPxSD_S15_SD_EEDaS11_S12_SI_SN_EUlS11_E_NS1_11comp_targetILNS1_3genE5ELNS1_11target_archE942ELNS1_3gpuE9ELNS1_3repE0EEENS1_47radix_sort_onesweep_sort_config_static_selectorELNS0_4arch9wavefront6targetE1EEEvSI_,comdat
	.protected	_ZN7rocprim17ROCPRIM_400000_NS6detail17trampoline_kernelINS0_14default_configENS1_35radix_sort_onesweep_config_selectorIxxEEZZNS1_29radix_sort_onesweep_iterationIS3_Lb0EN6thrust23THRUST_200600_302600_NS6detail15normal_iteratorINS8_10device_ptrIxEEEESD_SD_SD_jNS0_19identity_decomposerENS1_16block_id_wrapperIjLb0EEEEE10hipError_tT1_PNSt15iterator_traitsISI_E10value_typeET2_T3_PNSJ_ISO_E10value_typeET4_T5_PST_SU_PNS1_23onesweep_lookback_stateEbbT6_jjT7_P12ihipStream_tbENKUlT_T0_SI_SN_E_clIPxSD_S15_SD_EEDaS11_S12_SI_SN_EUlS11_E_NS1_11comp_targetILNS1_3genE5ELNS1_11target_archE942ELNS1_3gpuE9ELNS1_3repE0EEENS1_47radix_sort_onesweep_sort_config_static_selectorELNS0_4arch9wavefront6targetE1EEEvSI_ ; -- Begin function _ZN7rocprim17ROCPRIM_400000_NS6detail17trampoline_kernelINS0_14default_configENS1_35radix_sort_onesweep_config_selectorIxxEEZZNS1_29radix_sort_onesweep_iterationIS3_Lb0EN6thrust23THRUST_200600_302600_NS6detail15normal_iteratorINS8_10device_ptrIxEEEESD_SD_SD_jNS0_19identity_decomposerENS1_16block_id_wrapperIjLb0EEEEE10hipError_tT1_PNSt15iterator_traitsISI_E10value_typeET2_T3_PNSJ_ISO_E10value_typeET4_T5_PST_SU_PNS1_23onesweep_lookback_stateEbbT6_jjT7_P12ihipStream_tbENKUlT_T0_SI_SN_E_clIPxSD_S15_SD_EEDaS11_S12_SI_SN_EUlS11_E_NS1_11comp_targetILNS1_3genE5ELNS1_11target_archE942ELNS1_3gpuE9ELNS1_3repE0EEENS1_47radix_sort_onesweep_sort_config_static_selectorELNS0_4arch9wavefront6targetE1EEEvSI_
	.globl	_ZN7rocprim17ROCPRIM_400000_NS6detail17trampoline_kernelINS0_14default_configENS1_35radix_sort_onesweep_config_selectorIxxEEZZNS1_29radix_sort_onesweep_iterationIS3_Lb0EN6thrust23THRUST_200600_302600_NS6detail15normal_iteratorINS8_10device_ptrIxEEEESD_SD_SD_jNS0_19identity_decomposerENS1_16block_id_wrapperIjLb0EEEEE10hipError_tT1_PNSt15iterator_traitsISI_E10value_typeET2_T3_PNSJ_ISO_E10value_typeET4_T5_PST_SU_PNS1_23onesweep_lookback_stateEbbT6_jjT7_P12ihipStream_tbENKUlT_T0_SI_SN_E_clIPxSD_S15_SD_EEDaS11_S12_SI_SN_EUlS11_E_NS1_11comp_targetILNS1_3genE5ELNS1_11target_archE942ELNS1_3gpuE9ELNS1_3repE0EEENS1_47radix_sort_onesweep_sort_config_static_selectorELNS0_4arch9wavefront6targetE1EEEvSI_
	.p2align	8
	.type	_ZN7rocprim17ROCPRIM_400000_NS6detail17trampoline_kernelINS0_14default_configENS1_35radix_sort_onesweep_config_selectorIxxEEZZNS1_29radix_sort_onesweep_iterationIS3_Lb0EN6thrust23THRUST_200600_302600_NS6detail15normal_iteratorINS8_10device_ptrIxEEEESD_SD_SD_jNS0_19identity_decomposerENS1_16block_id_wrapperIjLb0EEEEE10hipError_tT1_PNSt15iterator_traitsISI_E10value_typeET2_T3_PNSJ_ISO_E10value_typeET4_T5_PST_SU_PNS1_23onesweep_lookback_stateEbbT6_jjT7_P12ihipStream_tbENKUlT_T0_SI_SN_E_clIPxSD_S15_SD_EEDaS11_S12_SI_SN_EUlS11_E_NS1_11comp_targetILNS1_3genE5ELNS1_11target_archE942ELNS1_3gpuE9ELNS1_3repE0EEENS1_47radix_sort_onesweep_sort_config_static_selectorELNS0_4arch9wavefront6targetE1EEEvSI_,@function
_ZN7rocprim17ROCPRIM_400000_NS6detail17trampoline_kernelINS0_14default_configENS1_35radix_sort_onesweep_config_selectorIxxEEZZNS1_29radix_sort_onesweep_iterationIS3_Lb0EN6thrust23THRUST_200600_302600_NS6detail15normal_iteratorINS8_10device_ptrIxEEEESD_SD_SD_jNS0_19identity_decomposerENS1_16block_id_wrapperIjLb0EEEEE10hipError_tT1_PNSt15iterator_traitsISI_E10value_typeET2_T3_PNSJ_ISO_E10value_typeET4_T5_PST_SU_PNS1_23onesweep_lookback_stateEbbT6_jjT7_P12ihipStream_tbENKUlT_T0_SI_SN_E_clIPxSD_S15_SD_EEDaS11_S12_SI_SN_EUlS11_E_NS1_11comp_targetILNS1_3genE5ELNS1_11target_archE942ELNS1_3gpuE9ELNS1_3repE0EEENS1_47radix_sort_onesweep_sort_config_static_selectorELNS0_4arch9wavefront6targetE1EEEvSI_: ; @_ZN7rocprim17ROCPRIM_400000_NS6detail17trampoline_kernelINS0_14default_configENS1_35radix_sort_onesweep_config_selectorIxxEEZZNS1_29radix_sort_onesweep_iterationIS3_Lb0EN6thrust23THRUST_200600_302600_NS6detail15normal_iteratorINS8_10device_ptrIxEEEESD_SD_SD_jNS0_19identity_decomposerENS1_16block_id_wrapperIjLb0EEEEE10hipError_tT1_PNSt15iterator_traitsISI_E10value_typeET2_T3_PNSJ_ISO_E10value_typeET4_T5_PST_SU_PNS1_23onesweep_lookback_stateEbbT6_jjT7_P12ihipStream_tbENKUlT_T0_SI_SN_E_clIPxSD_S15_SD_EEDaS11_S12_SI_SN_EUlS11_E_NS1_11comp_targetILNS1_3genE5ELNS1_11target_archE942ELNS1_3gpuE9ELNS1_3repE0EEENS1_47radix_sort_onesweep_sort_config_static_selectorELNS0_4arch9wavefront6targetE1EEEvSI_
; %bb.0:
	.section	.rodata,"a",@progbits
	.p2align	6, 0x0
	.amdhsa_kernel _ZN7rocprim17ROCPRIM_400000_NS6detail17trampoline_kernelINS0_14default_configENS1_35radix_sort_onesweep_config_selectorIxxEEZZNS1_29radix_sort_onesweep_iterationIS3_Lb0EN6thrust23THRUST_200600_302600_NS6detail15normal_iteratorINS8_10device_ptrIxEEEESD_SD_SD_jNS0_19identity_decomposerENS1_16block_id_wrapperIjLb0EEEEE10hipError_tT1_PNSt15iterator_traitsISI_E10value_typeET2_T3_PNSJ_ISO_E10value_typeET4_T5_PST_SU_PNS1_23onesweep_lookback_stateEbbT6_jjT7_P12ihipStream_tbENKUlT_T0_SI_SN_E_clIPxSD_S15_SD_EEDaS11_S12_SI_SN_EUlS11_E_NS1_11comp_targetILNS1_3genE5ELNS1_11target_archE942ELNS1_3gpuE9ELNS1_3repE0EEENS1_47radix_sort_onesweep_sort_config_static_selectorELNS0_4arch9wavefront6targetE1EEEvSI_
		.amdhsa_group_segment_fixed_size 0
		.amdhsa_private_segment_fixed_size 0
		.amdhsa_kernarg_size 88
		.amdhsa_user_sgpr_count 2
		.amdhsa_user_sgpr_dispatch_ptr 0
		.amdhsa_user_sgpr_queue_ptr 0
		.amdhsa_user_sgpr_kernarg_segment_ptr 1
		.amdhsa_user_sgpr_dispatch_id 0
		.amdhsa_user_sgpr_kernarg_preload_length 0
		.amdhsa_user_sgpr_kernarg_preload_offset 0
		.amdhsa_user_sgpr_private_segment_size 0
		.amdhsa_uses_dynamic_stack 0
		.amdhsa_enable_private_segment 0
		.amdhsa_system_sgpr_workgroup_id_x 1
		.amdhsa_system_sgpr_workgroup_id_y 0
		.amdhsa_system_sgpr_workgroup_id_z 0
		.amdhsa_system_sgpr_workgroup_info 0
		.amdhsa_system_vgpr_workitem_id 0
		.amdhsa_next_free_vgpr 1
		.amdhsa_next_free_sgpr 0
		.amdhsa_accum_offset 4
		.amdhsa_reserve_vcc 0
		.amdhsa_float_round_mode_32 0
		.amdhsa_float_round_mode_16_64 0
		.amdhsa_float_denorm_mode_32 3
		.amdhsa_float_denorm_mode_16_64 3
		.amdhsa_dx10_clamp 1
		.amdhsa_ieee_mode 1
		.amdhsa_fp16_overflow 0
		.amdhsa_tg_split 0
		.amdhsa_exception_fp_ieee_invalid_op 0
		.amdhsa_exception_fp_denorm_src 0
		.amdhsa_exception_fp_ieee_div_zero 0
		.amdhsa_exception_fp_ieee_overflow 0
		.amdhsa_exception_fp_ieee_underflow 0
		.amdhsa_exception_fp_ieee_inexact 0
		.amdhsa_exception_int_div_zero 0
	.end_amdhsa_kernel
	.section	.text._ZN7rocprim17ROCPRIM_400000_NS6detail17trampoline_kernelINS0_14default_configENS1_35radix_sort_onesweep_config_selectorIxxEEZZNS1_29radix_sort_onesweep_iterationIS3_Lb0EN6thrust23THRUST_200600_302600_NS6detail15normal_iteratorINS8_10device_ptrIxEEEESD_SD_SD_jNS0_19identity_decomposerENS1_16block_id_wrapperIjLb0EEEEE10hipError_tT1_PNSt15iterator_traitsISI_E10value_typeET2_T3_PNSJ_ISO_E10value_typeET4_T5_PST_SU_PNS1_23onesweep_lookback_stateEbbT6_jjT7_P12ihipStream_tbENKUlT_T0_SI_SN_E_clIPxSD_S15_SD_EEDaS11_S12_SI_SN_EUlS11_E_NS1_11comp_targetILNS1_3genE5ELNS1_11target_archE942ELNS1_3gpuE9ELNS1_3repE0EEENS1_47radix_sort_onesweep_sort_config_static_selectorELNS0_4arch9wavefront6targetE1EEEvSI_,"axG",@progbits,_ZN7rocprim17ROCPRIM_400000_NS6detail17trampoline_kernelINS0_14default_configENS1_35radix_sort_onesweep_config_selectorIxxEEZZNS1_29radix_sort_onesweep_iterationIS3_Lb0EN6thrust23THRUST_200600_302600_NS6detail15normal_iteratorINS8_10device_ptrIxEEEESD_SD_SD_jNS0_19identity_decomposerENS1_16block_id_wrapperIjLb0EEEEE10hipError_tT1_PNSt15iterator_traitsISI_E10value_typeET2_T3_PNSJ_ISO_E10value_typeET4_T5_PST_SU_PNS1_23onesweep_lookback_stateEbbT6_jjT7_P12ihipStream_tbENKUlT_T0_SI_SN_E_clIPxSD_S15_SD_EEDaS11_S12_SI_SN_EUlS11_E_NS1_11comp_targetILNS1_3genE5ELNS1_11target_archE942ELNS1_3gpuE9ELNS1_3repE0EEENS1_47radix_sort_onesweep_sort_config_static_selectorELNS0_4arch9wavefront6targetE1EEEvSI_,comdat
.Lfunc_end1244:
	.size	_ZN7rocprim17ROCPRIM_400000_NS6detail17trampoline_kernelINS0_14default_configENS1_35radix_sort_onesweep_config_selectorIxxEEZZNS1_29radix_sort_onesweep_iterationIS3_Lb0EN6thrust23THRUST_200600_302600_NS6detail15normal_iteratorINS8_10device_ptrIxEEEESD_SD_SD_jNS0_19identity_decomposerENS1_16block_id_wrapperIjLb0EEEEE10hipError_tT1_PNSt15iterator_traitsISI_E10value_typeET2_T3_PNSJ_ISO_E10value_typeET4_T5_PST_SU_PNS1_23onesweep_lookback_stateEbbT6_jjT7_P12ihipStream_tbENKUlT_T0_SI_SN_E_clIPxSD_S15_SD_EEDaS11_S12_SI_SN_EUlS11_E_NS1_11comp_targetILNS1_3genE5ELNS1_11target_archE942ELNS1_3gpuE9ELNS1_3repE0EEENS1_47radix_sort_onesweep_sort_config_static_selectorELNS0_4arch9wavefront6targetE1EEEvSI_, .Lfunc_end1244-_ZN7rocprim17ROCPRIM_400000_NS6detail17trampoline_kernelINS0_14default_configENS1_35radix_sort_onesweep_config_selectorIxxEEZZNS1_29radix_sort_onesweep_iterationIS3_Lb0EN6thrust23THRUST_200600_302600_NS6detail15normal_iteratorINS8_10device_ptrIxEEEESD_SD_SD_jNS0_19identity_decomposerENS1_16block_id_wrapperIjLb0EEEEE10hipError_tT1_PNSt15iterator_traitsISI_E10value_typeET2_T3_PNSJ_ISO_E10value_typeET4_T5_PST_SU_PNS1_23onesweep_lookback_stateEbbT6_jjT7_P12ihipStream_tbENKUlT_T0_SI_SN_E_clIPxSD_S15_SD_EEDaS11_S12_SI_SN_EUlS11_E_NS1_11comp_targetILNS1_3genE5ELNS1_11target_archE942ELNS1_3gpuE9ELNS1_3repE0EEENS1_47radix_sort_onesweep_sort_config_static_selectorELNS0_4arch9wavefront6targetE1EEEvSI_
                                        ; -- End function
	.set _ZN7rocprim17ROCPRIM_400000_NS6detail17trampoline_kernelINS0_14default_configENS1_35radix_sort_onesweep_config_selectorIxxEEZZNS1_29radix_sort_onesweep_iterationIS3_Lb0EN6thrust23THRUST_200600_302600_NS6detail15normal_iteratorINS8_10device_ptrIxEEEESD_SD_SD_jNS0_19identity_decomposerENS1_16block_id_wrapperIjLb0EEEEE10hipError_tT1_PNSt15iterator_traitsISI_E10value_typeET2_T3_PNSJ_ISO_E10value_typeET4_T5_PST_SU_PNS1_23onesweep_lookback_stateEbbT6_jjT7_P12ihipStream_tbENKUlT_T0_SI_SN_E_clIPxSD_S15_SD_EEDaS11_S12_SI_SN_EUlS11_E_NS1_11comp_targetILNS1_3genE5ELNS1_11target_archE942ELNS1_3gpuE9ELNS1_3repE0EEENS1_47radix_sort_onesweep_sort_config_static_selectorELNS0_4arch9wavefront6targetE1EEEvSI_.num_vgpr, 0
	.set _ZN7rocprim17ROCPRIM_400000_NS6detail17trampoline_kernelINS0_14default_configENS1_35radix_sort_onesweep_config_selectorIxxEEZZNS1_29radix_sort_onesweep_iterationIS3_Lb0EN6thrust23THRUST_200600_302600_NS6detail15normal_iteratorINS8_10device_ptrIxEEEESD_SD_SD_jNS0_19identity_decomposerENS1_16block_id_wrapperIjLb0EEEEE10hipError_tT1_PNSt15iterator_traitsISI_E10value_typeET2_T3_PNSJ_ISO_E10value_typeET4_T5_PST_SU_PNS1_23onesweep_lookback_stateEbbT6_jjT7_P12ihipStream_tbENKUlT_T0_SI_SN_E_clIPxSD_S15_SD_EEDaS11_S12_SI_SN_EUlS11_E_NS1_11comp_targetILNS1_3genE5ELNS1_11target_archE942ELNS1_3gpuE9ELNS1_3repE0EEENS1_47radix_sort_onesweep_sort_config_static_selectorELNS0_4arch9wavefront6targetE1EEEvSI_.num_agpr, 0
	.set _ZN7rocprim17ROCPRIM_400000_NS6detail17trampoline_kernelINS0_14default_configENS1_35radix_sort_onesweep_config_selectorIxxEEZZNS1_29radix_sort_onesweep_iterationIS3_Lb0EN6thrust23THRUST_200600_302600_NS6detail15normal_iteratorINS8_10device_ptrIxEEEESD_SD_SD_jNS0_19identity_decomposerENS1_16block_id_wrapperIjLb0EEEEE10hipError_tT1_PNSt15iterator_traitsISI_E10value_typeET2_T3_PNSJ_ISO_E10value_typeET4_T5_PST_SU_PNS1_23onesweep_lookback_stateEbbT6_jjT7_P12ihipStream_tbENKUlT_T0_SI_SN_E_clIPxSD_S15_SD_EEDaS11_S12_SI_SN_EUlS11_E_NS1_11comp_targetILNS1_3genE5ELNS1_11target_archE942ELNS1_3gpuE9ELNS1_3repE0EEENS1_47radix_sort_onesweep_sort_config_static_selectorELNS0_4arch9wavefront6targetE1EEEvSI_.numbered_sgpr, 0
	.set _ZN7rocprim17ROCPRIM_400000_NS6detail17trampoline_kernelINS0_14default_configENS1_35radix_sort_onesweep_config_selectorIxxEEZZNS1_29radix_sort_onesweep_iterationIS3_Lb0EN6thrust23THRUST_200600_302600_NS6detail15normal_iteratorINS8_10device_ptrIxEEEESD_SD_SD_jNS0_19identity_decomposerENS1_16block_id_wrapperIjLb0EEEEE10hipError_tT1_PNSt15iterator_traitsISI_E10value_typeET2_T3_PNSJ_ISO_E10value_typeET4_T5_PST_SU_PNS1_23onesweep_lookback_stateEbbT6_jjT7_P12ihipStream_tbENKUlT_T0_SI_SN_E_clIPxSD_S15_SD_EEDaS11_S12_SI_SN_EUlS11_E_NS1_11comp_targetILNS1_3genE5ELNS1_11target_archE942ELNS1_3gpuE9ELNS1_3repE0EEENS1_47radix_sort_onesweep_sort_config_static_selectorELNS0_4arch9wavefront6targetE1EEEvSI_.num_named_barrier, 0
	.set _ZN7rocprim17ROCPRIM_400000_NS6detail17trampoline_kernelINS0_14default_configENS1_35radix_sort_onesweep_config_selectorIxxEEZZNS1_29radix_sort_onesweep_iterationIS3_Lb0EN6thrust23THRUST_200600_302600_NS6detail15normal_iteratorINS8_10device_ptrIxEEEESD_SD_SD_jNS0_19identity_decomposerENS1_16block_id_wrapperIjLb0EEEEE10hipError_tT1_PNSt15iterator_traitsISI_E10value_typeET2_T3_PNSJ_ISO_E10value_typeET4_T5_PST_SU_PNS1_23onesweep_lookback_stateEbbT6_jjT7_P12ihipStream_tbENKUlT_T0_SI_SN_E_clIPxSD_S15_SD_EEDaS11_S12_SI_SN_EUlS11_E_NS1_11comp_targetILNS1_3genE5ELNS1_11target_archE942ELNS1_3gpuE9ELNS1_3repE0EEENS1_47radix_sort_onesweep_sort_config_static_selectorELNS0_4arch9wavefront6targetE1EEEvSI_.private_seg_size, 0
	.set _ZN7rocprim17ROCPRIM_400000_NS6detail17trampoline_kernelINS0_14default_configENS1_35radix_sort_onesweep_config_selectorIxxEEZZNS1_29radix_sort_onesweep_iterationIS3_Lb0EN6thrust23THRUST_200600_302600_NS6detail15normal_iteratorINS8_10device_ptrIxEEEESD_SD_SD_jNS0_19identity_decomposerENS1_16block_id_wrapperIjLb0EEEEE10hipError_tT1_PNSt15iterator_traitsISI_E10value_typeET2_T3_PNSJ_ISO_E10value_typeET4_T5_PST_SU_PNS1_23onesweep_lookback_stateEbbT6_jjT7_P12ihipStream_tbENKUlT_T0_SI_SN_E_clIPxSD_S15_SD_EEDaS11_S12_SI_SN_EUlS11_E_NS1_11comp_targetILNS1_3genE5ELNS1_11target_archE942ELNS1_3gpuE9ELNS1_3repE0EEENS1_47radix_sort_onesweep_sort_config_static_selectorELNS0_4arch9wavefront6targetE1EEEvSI_.uses_vcc, 0
	.set _ZN7rocprim17ROCPRIM_400000_NS6detail17trampoline_kernelINS0_14default_configENS1_35radix_sort_onesweep_config_selectorIxxEEZZNS1_29radix_sort_onesweep_iterationIS3_Lb0EN6thrust23THRUST_200600_302600_NS6detail15normal_iteratorINS8_10device_ptrIxEEEESD_SD_SD_jNS0_19identity_decomposerENS1_16block_id_wrapperIjLb0EEEEE10hipError_tT1_PNSt15iterator_traitsISI_E10value_typeET2_T3_PNSJ_ISO_E10value_typeET4_T5_PST_SU_PNS1_23onesweep_lookback_stateEbbT6_jjT7_P12ihipStream_tbENKUlT_T0_SI_SN_E_clIPxSD_S15_SD_EEDaS11_S12_SI_SN_EUlS11_E_NS1_11comp_targetILNS1_3genE5ELNS1_11target_archE942ELNS1_3gpuE9ELNS1_3repE0EEENS1_47radix_sort_onesweep_sort_config_static_selectorELNS0_4arch9wavefront6targetE1EEEvSI_.uses_flat_scratch, 0
	.set _ZN7rocprim17ROCPRIM_400000_NS6detail17trampoline_kernelINS0_14default_configENS1_35radix_sort_onesweep_config_selectorIxxEEZZNS1_29radix_sort_onesweep_iterationIS3_Lb0EN6thrust23THRUST_200600_302600_NS6detail15normal_iteratorINS8_10device_ptrIxEEEESD_SD_SD_jNS0_19identity_decomposerENS1_16block_id_wrapperIjLb0EEEEE10hipError_tT1_PNSt15iterator_traitsISI_E10value_typeET2_T3_PNSJ_ISO_E10value_typeET4_T5_PST_SU_PNS1_23onesweep_lookback_stateEbbT6_jjT7_P12ihipStream_tbENKUlT_T0_SI_SN_E_clIPxSD_S15_SD_EEDaS11_S12_SI_SN_EUlS11_E_NS1_11comp_targetILNS1_3genE5ELNS1_11target_archE942ELNS1_3gpuE9ELNS1_3repE0EEENS1_47radix_sort_onesweep_sort_config_static_selectorELNS0_4arch9wavefront6targetE1EEEvSI_.has_dyn_sized_stack, 0
	.set _ZN7rocprim17ROCPRIM_400000_NS6detail17trampoline_kernelINS0_14default_configENS1_35radix_sort_onesweep_config_selectorIxxEEZZNS1_29radix_sort_onesweep_iterationIS3_Lb0EN6thrust23THRUST_200600_302600_NS6detail15normal_iteratorINS8_10device_ptrIxEEEESD_SD_SD_jNS0_19identity_decomposerENS1_16block_id_wrapperIjLb0EEEEE10hipError_tT1_PNSt15iterator_traitsISI_E10value_typeET2_T3_PNSJ_ISO_E10value_typeET4_T5_PST_SU_PNS1_23onesweep_lookback_stateEbbT6_jjT7_P12ihipStream_tbENKUlT_T0_SI_SN_E_clIPxSD_S15_SD_EEDaS11_S12_SI_SN_EUlS11_E_NS1_11comp_targetILNS1_3genE5ELNS1_11target_archE942ELNS1_3gpuE9ELNS1_3repE0EEENS1_47radix_sort_onesweep_sort_config_static_selectorELNS0_4arch9wavefront6targetE1EEEvSI_.has_recursion, 0
	.set _ZN7rocprim17ROCPRIM_400000_NS6detail17trampoline_kernelINS0_14default_configENS1_35radix_sort_onesweep_config_selectorIxxEEZZNS1_29radix_sort_onesweep_iterationIS3_Lb0EN6thrust23THRUST_200600_302600_NS6detail15normal_iteratorINS8_10device_ptrIxEEEESD_SD_SD_jNS0_19identity_decomposerENS1_16block_id_wrapperIjLb0EEEEE10hipError_tT1_PNSt15iterator_traitsISI_E10value_typeET2_T3_PNSJ_ISO_E10value_typeET4_T5_PST_SU_PNS1_23onesweep_lookback_stateEbbT6_jjT7_P12ihipStream_tbENKUlT_T0_SI_SN_E_clIPxSD_S15_SD_EEDaS11_S12_SI_SN_EUlS11_E_NS1_11comp_targetILNS1_3genE5ELNS1_11target_archE942ELNS1_3gpuE9ELNS1_3repE0EEENS1_47radix_sort_onesweep_sort_config_static_selectorELNS0_4arch9wavefront6targetE1EEEvSI_.has_indirect_call, 0
	.section	.AMDGPU.csdata,"",@progbits
; Kernel info:
; codeLenInByte = 0
; TotalNumSgprs: 6
; NumVgprs: 0
; NumAgprs: 0
; TotalNumVgprs: 0
; ScratchSize: 0
; MemoryBound: 0
; FloatMode: 240
; IeeeMode: 1
; LDSByteSize: 0 bytes/workgroup (compile time only)
; SGPRBlocks: 0
; VGPRBlocks: 0
; NumSGPRsForWavesPerEU: 6
; NumVGPRsForWavesPerEU: 1
; AccumOffset: 4
; Occupancy: 8
; WaveLimiterHint : 0
; COMPUTE_PGM_RSRC2:SCRATCH_EN: 0
; COMPUTE_PGM_RSRC2:USER_SGPR: 2
; COMPUTE_PGM_RSRC2:TRAP_HANDLER: 0
; COMPUTE_PGM_RSRC2:TGID_X_EN: 1
; COMPUTE_PGM_RSRC2:TGID_Y_EN: 0
; COMPUTE_PGM_RSRC2:TGID_Z_EN: 0
; COMPUTE_PGM_RSRC2:TIDIG_COMP_CNT: 0
; COMPUTE_PGM_RSRC3_GFX90A:ACCUM_OFFSET: 0
; COMPUTE_PGM_RSRC3_GFX90A:TG_SPLIT: 0
	.section	.text._ZN7rocprim17ROCPRIM_400000_NS6detail17trampoline_kernelINS0_14default_configENS1_35radix_sort_onesweep_config_selectorIxxEEZZNS1_29radix_sort_onesweep_iterationIS3_Lb0EN6thrust23THRUST_200600_302600_NS6detail15normal_iteratorINS8_10device_ptrIxEEEESD_SD_SD_jNS0_19identity_decomposerENS1_16block_id_wrapperIjLb0EEEEE10hipError_tT1_PNSt15iterator_traitsISI_E10value_typeET2_T3_PNSJ_ISO_E10value_typeET4_T5_PST_SU_PNS1_23onesweep_lookback_stateEbbT6_jjT7_P12ihipStream_tbENKUlT_T0_SI_SN_E_clIPxSD_S15_SD_EEDaS11_S12_SI_SN_EUlS11_E_NS1_11comp_targetILNS1_3genE2ELNS1_11target_archE906ELNS1_3gpuE6ELNS1_3repE0EEENS1_47radix_sort_onesweep_sort_config_static_selectorELNS0_4arch9wavefront6targetE1EEEvSI_,"axG",@progbits,_ZN7rocprim17ROCPRIM_400000_NS6detail17trampoline_kernelINS0_14default_configENS1_35radix_sort_onesweep_config_selectorIxxEEZZNS1_29radix_sort_onesweep_iterationIS3_Lb0EN6thrust23THRUST_200600_302600_NS6detail15normal_iteratorINS8_10device_ptrIxEEEESD_SD_SD_jNS0_19identity_decomposerENS1_16block_id_wrapperIjLb0EEEEE10hipError_tT1_PNSt15iterator_traitsISI_E10value_typeET2_T3_PNSJ_ISO_E10value_typeET4_T5_PST_SU_PNS1_23onesweep_lookback_stateEbbT6_jjT7_P12ihipStream_tbENKUlT_T0_SI_SN_E_clIPxSD_S15_SD_EEDaS11_S12_SI_SN_EUlS11_E_NS1_11comp_targetILNS1_3genE2ELNS1_11target_archE906ELNS1_3gpuE6ELNS1_3repE0EEENS1_47radix_sort_onesweep_sort_config_static_selectorELNS0_4arch9wavefront6targetE1EEEvSI_,comdat
	.protected	_ZN7rocprim17ROCPRIM_400000_NS6detail17trampoline_kernelINS0_14default_configENS1_35radix_sort_onesweep_config_selectorIxxEEZZNS1_29radix_sort_onesweep_iterationIS3_Lb0EN6thrust23THRUST_200600_302600_NS6detail15normal_iteratorINS8_10device_ptrIxEEEESD_SD_SD_jNS0_19identity_decomposerENS1_16block_id_wrapperIjLb0EEEEE10hipError_tT1_PNSt15iterator_traitsISI_E10value_typeET2_T3_PNSJ_ISO_E10value_typeET4_T5_PST_SU_PNS1_23onesweep_lookback_stateEbbT6_jjT7_P12ihipStream_tbENKUlT_T0_SI_SN_E_clIPxSD_S15_SD_EEDaS11_S12_SI_SN_EUlS11_E_NS1_11comp_targetILNS1_3genE2ELNS1_11target_archE906ELNS1_3gpuE6ELNS1_3repE0EEENS1_47radix_sort_onesweep_sort_config_static_selectorELNS0_4arch9wavefront6targetE1EEEvSI_ ; -- Begin function _ZN7rocprim17ROCPRIM_400000_NS6detail17trampoline_kernelINS0_14default_configENS1_35radix_sort_onesweep_config_selectorIxxEEZZNS1_29radix_sort_onesweep_iterationIS3_Lb0EN6thrust23THRUST_200600_302600_NS6detail15normal_iteratorINS8_10device_ptrIxEEEESD_SD_SD_jNS0_19identity_decomposerENS1_16block_id_wrapperIjLb0EEEEE10hipError_tT1_PNSt15iterator_traitsISI_E10value_typeET2_T3_PNSJ_ISO_E10value_typeET4_T5_PST_SU_PNS1_23onesweep_lookback_stateEbbT6_jjT7_P12ihipStream_tbENKUlT_T0_SI_SN_E_clIPxSD_S15_SD_EEDaS11_S12_SI_SN_EUlS11_E_NS1_11comp_targetILNS1_3genE2ELNS1_11target_archE906ELNS1_3gpuE6ELNS1_3repE0EEENS1_47radix_sort_onesweep_sort_config_static_selectorELNS0_4arch9wavefront6targetE1EEEvSI_
	.globl	_ZN7rocprim17ROCPRIM_400000_NS6detail17trampoline_kernelINS0_14default_configENS1_35radix_sort_onesweep_config_selectorIxxEEZZNS1_29radix_sort_onesweep_iterationIS3_Lb0EN6thrust23THRUST_200600_302600_NS6detail15normal_iteratorINS8_10device_ptrIxEEEESD_SD_SD_jNS0_19identity_decomposerENS1_16block_id_wrapperIjLb0EEEEE10hipError_tT1_PNSt15iterator_traitsISI_E10value_typeET2_T3_PNSJ_ISO_E10value_typeET4_T5_PST_SU_PNS1_23onesweep_lookback_stateEbbT6_jjT7_P12ihipStream_tbENKUlT_T0_SI_SN_E_clIPxSD_S15_SD_EEDaS11_S12_SI_SN_EUlS11_E_NS1_11comp_targetILNS1_3genE2ELNS1_11target_archE906ELNS1_3gpuE6ELNS1_3repE0EEENS1_47radix_sort_onesweep_sort_config_static_selectorELNS0_4arch9wavefront6targetE1EEEvSI_
	.p2align	8
	.type	_ZN7rocprim17ROCPRIM_400000_NS6detail17trampoline_kernelINS0_14default_configENS1_35radix_sort_onesweep_config_selectorIxxEEZZNS1_29radix_sort_onesweep_iterationIS3_Lb0EN6thrust23THRUST_200600_302600_NS6detail15normal_iteratorINS8_10device_ptrIxEEEESD_SD_SD_jNS0_19identity_decomposerENS1_16block_id_wrapperIjLb0EEEEE10hipError_tT1_PNSt15iterator_traitsISI_E10value_typeET2_T3_PNSJ_ISO_E10value_typeET4_T5_PST_SU_PNS1_23onesweep_lookback_stateEbbT6_jjT7_P12ihipStream_tbENKUlT_T0_SI_SN_E_clIPxSD_S15_SD_EEDaS11_S12_SI_SN_EUlS11_E_NS1_11comp_targetILNS1_3genE2ELNS1_11target_archE906ELNS1_3gpuE6ELNS1_3repE0EEENS1_47radix_sort_onesweep_sort_config_static_selectorELNS0_4arch9wavefront6targetE1EEEvSI_,@function
_ZN7rocprim17ROCPRIM_400000_NS6detail17trampoline_kernelINS0_14default_configENS1_35radix_sort_onesweep_config_selectorIxxEEZZNS1_29radix_sort_onesweep_iterationIS3_Lb0EN6thrust23THRUST_200600_302600_NS6detail15normal_iteratorINS8_10device_ptrIxEEEESD_SD_SD_jNS0_19identity_decomposerENS1_16block_id_wrapperIjLb0EEEEE10hipError_tT1_PNSt15iterator_traitsISI_E10value_typeET2_T3_PNSJ_ISO_E10value_typeET4_T5_PST_SU_PNS1_23onesweep_lookback_stateEbbT6_jjT7_P12ihipStream_tbENKUlT_T0_SI_SN_E_clIPxSD_S15_SD_EEDaS11_S12_SI_SN_EUlS11_E_NS1_11comp_targetILNS1_3genE2ELNS1_11target_archE906ELNS1_3gpuE6ELNS1_3repE0EEENS1_47radix_sort_onesweep_sort_config_static_selectorELNS0_4arch9wavefront6targetE1EEEvSI_: ; @_ZN7rocprim17ROCPRIM_400000_NS6detail17trampoline_kernelINS0_14default_configENS1_35radix_sort_onesweep_config_selectorIxxEEZZNS1_29radix_sort_onesweep_iterationIS3_Lb0EN6thrust23THRUST_200600_302600_NS6detail15normal_iteratorINS8_10device_ptrIxEEEESD_SD_SD_jNS0_19identity_decomposerENS1_16block_id_wrapperIjLb0EEEEE10hipError_tT1_PNSt15iterator_traitsISI_E10value_typeET2_T3_PNSJ_ISO_E10value_typeET4_T5_PST_SU_PNS1_23onesweep_lookback_stateEbbT6_jjT7_P12ihipStream_tbENKUlT_T0_SI_SN_E_clIPxSD_S15_SD_EEDaS11_S12_SI_SN_EUlS11_E_NS1_11comp_targetILNS1_3genE2ELNS1_11target_archE906ELNS1_3gpuE6ELNS1_3repE0EEENS1_47radix_sort_onesweep_sort_config_static_selectorELNS0_4arch9wavefront6targetE1EEEvSI_
; %bb.0:
	.section	.rodata,"a",@progbits
	.p2align	6, 0x0
	.amdhsa_kernel _ZN7rocprim17ROCPRIM_400000_NS6detail17trampoline_kernelINS0_14default_configENS1_35radix_sort_onesweep_config_selectorIxxEEZZNS1_29radix_sort_onesweep_iterationIS3_Lb0EN6thrust23THRUST_200600_302600_NS6detail15normal_iteratorINS8_10device_ptrIxEEEESD_SD_SD_jNS0_19identity_decomposerENS1_16block_id_wrapperIjLb0EEEEE10hipError_tT1_PNSt15iterator_traitsISI_E10value_typeET2_T3_PNSJ_ISO_E10value_typeET4_T5_PST_SU_PNS1_23onesweep_lookback_stateEbbT6_jjT7_P12ihipStream_tbENKUlT_T0_SI_SN_E_clIPxSD_S15_SD_EEDaS11_S12_SI_SN_EUlS11_E_NS1_11comp_targetILNS1_3genE2ELNS1_11target_archE906ELNS1_3gpuE6ELNS1_3repE0EEENS1_47radix_sort_onesweep_sort_config_static_selectorELNS0_4arch9wavefront6targetE1EEEvSI_
		.amdhsa_group_segment_fixed_size 0
		.amdhsa_private_segment_fixed_size 0
		.amdhsa_kernarg_size 88
		.amdhsa_user_sgpr_count 2
		.amdhsa_user_sgpr_dispatch_ptr 0
		.amdhsa_user_sgpr_queue_ptr 0
		.amdhsa_user_sgpr_kernarg_segment_ptr 1
		.amdhsa_user_sgpr_dispatch_id 0
		.amdhsa_user_sgpr_kernarg_preload_length 0
		.amdhsa_user_sgpr_kernarg_preload_offset 0
		.amdhsa_user_sgpr_private_segment_size 0
		.amdhsa_uses_dynamic_stack 0
		.amdhsa_enable_private_segment 0
		.amdhsa_system_sgpr_workgroup_id_x 1
		.amdhsa_system_sgpr_workgroup_id_y 0
		.amdhsa_system_sgpr_workgroup_id_z 0
		.amdhsa_system_sgpr_workgroup_info 0
		.amdhsa_system_vgpr_workitem_id 0
		.amdhsa_next_free_vgpr 1
		.amdhsa_next_free_sgpr 0
		.amdhsa_accum_offset 4
		.amdhsa_reserve_vcc 0
		.amdhsa_float_round_mode_32 0
		.amdhsa_float_round_mode_16_64 0
		.amdhsa_float_denorm_mode_32 3
		.amdhsa_float_denorm_mode_16_64 3
		.amdhsa_dx10_clamp 1
		.amdhsa_ieee_mode 1
		.amdhsa_fp16_overflow 0
		.amdhsa_tg_split 0
		.amdhsa_exception_fp_ieee_invalid_op 0
		.amdhsa_exception_fp_denorm_src 0
		.amdhsa_exception_fp_ieee_div_zero 0
		.amdhsa_exception_fp_ieee_overflow 0
		.amdhsa_exception_fp_ieee_underflow 0
		.amdhsa_exception_fp_ieee_inexact 0
		.amdhsa_exception_int_div_zero 0
	.end_amdhsa_kernel
	.section	.text._ZN7rocprim17ROCPRIM_400000_NS6detail17trampoline_kernelINS0_14default_configENS1_35radix_sort_onesweep_config_selectorIxxEEZZNS1_29radix_sort_onesweep_iterationIS3_Lb0EN6thrust23THRUST_200600_302600_NS6detail15normal_iteratorINS8_10device_ptrIxEEEESD_SD_SD_jNS0_19identity_decomposerENS1_16block_id_wrapperIjLb0EEEEE10hipError_tT1_PNSt15iterator_traitsISI_E10value_typeET2_T3_PNSJ_ISO_E10value_typeET4_T5_PST_SU_PNS1_23onesweep_lookback_stateEbbT6_jjT7_P12ihipStream_tbENKUlT_T0_SI_SN_E_clIPxSD_S15_SD_EEDaS11_S12_SI_SN_EUlS11_E_NS1_11comp_targetILNS1_3genE2ELNS1_11target_archE906ELNS1_3gpuE6ELNS1_3repE0EEENS1_47radix_sort_onesweep_sort_config_static_selectorELNS0_4arch9wavefront6targetE1EEEvSI_,"axG",@progbits,_ZN7rocprim17ROCPRIM_400000_NS6detail17trampoline_kernelINS0_14default_configENS1_35radix_sort_onesweep_config_selectorIxxEEZZNS1_29radix_sort_onesweep_iterationIS3_Lb0EN6thrust23THRUST_200600_302600_NS6detail15normal_iteratorINS8_10device_ptrIxEEEESD_SD_SD_jNS0_19identity_decomposerENS1_16block_id_wrapperIjLb0EEEEE10hipError_tT1_PNSt15iterator_traitsISI_E10value_typeET2_T3_PNSJ_ISO_E10value_typeET4_T5_PST_SU_PNS1_23onesweep_lookback_stateEbbT6_jjT7_P12ihipStream_tbENKUlT_T0_SI_SN_E_clIPxSD_S15_SD_EEDaS11_S12_SI_SN_EUlS11_E_NS1_11comp_targetILNS1_3genE2ELNS1_11target_archE906ELNS1_3gpuE6ELNS1_3repE0EEENS1_47radix_sort_onesweep_sort_config_static_selectorELNS0_4arch9wavefront6targetE1EEEvSI_,comdat
.Lfunc_end1245:
	.size	_ZN7rocprim17ROCPRIM_400000_NS6detail17trampoline_kernelINS0_14default_configENS1_35radix_sort_onesweep_config_selectorIxxEEZZNS1_29radix_sort_onesweep_iterationIS3_Lb0EN6thrust23THRUST_200600_302600_NS6detail15normal_iteratorINS8_10device_ptrIxEEEESD_SD_SD_jNS0_19identity_decomposerENS1_16block_id_wrapperIjLb0EEEEE10hipError_tT1_PNSt15iterator_traitsISI_E10value_typeET2_T3_PNSJ_ISO_E10value_typeET4_T5_PST_SU_PNS1_23onesweep_lookback_stateEbbT6_jjT7_P12ihipStream_tbENKUlT_T0_SI_SN_E_clIPxSD_S15_SD_EEDaS11_S12_SI_SN_EUlS11_E_NS1_11comp_targetILNS1_3genE2ELNS1_11target_archE906ELNS1_3gpuE6ELNS1_3repE0EEENS1_47radix_sort_onesweep_sort_config_static_selectorELNS0_4arch9wavefront6targetE1EEEvSI_, .Lfunc_end1245-_ZN7rocprim17ROCPRIM_400000_NS6detail17trampoline_kernelINS0_14default_configENS1_35radix_sort_onesweep_config_selectorIxxEEZZNS1_29radix_sort_onesweep_iterationIS3_Lb0EN6thrust23THRUST_200600_302600_NS6detail15normal_iteratorINS8_10device_ptrIxEEEESD_SD_SD_jNS0_19identity_decomposerENS1_16block_id_wrapperIjLb0EEEEE10hipError_tT1_PNSt15iterator_traitsISI_E10value_typeET2_T3_PNSJ_ISO_E10value_typeET4_T5_PST_SU_PNS1_23onesweep_lookback_stateEbbT6_jjT7_P12ihipStream_tbENKUlT_T0_SI_SN_E_clIPxSD_S15_SD_EEDaS11_S12_SI_SN_EUlS11_E_NS1_11comp_targetILNS1_3genE2ELNS1_11target_archE906ELNS1_3gpuE6ELNS1_3repE0EEENS1_47radix_sort_onesweep_sort_config_static_selectorELNS0_4arch9wavefront6targetE1EEEvSI_
                                        ; -- End function
	.set _ZN7rocprim17ROCPRIM_400000_NS6detail17trampoline_kernelINS0_14default_configENS1_35radix_sort_onesweep_config_selectorIxxEEZZNS1_29radix_sort_onesweep_iterationIS3_Lb0EN6thrust23THRUST_200600_302600_NS6detail15normal_iteratorINS8_10device_ptrIxEEEESD_SD_SD_jNS0_19identity_decomposerENS1_16block_id_wrapperIjLb0EEEEE10hipError_tT1_PNSt15iterator_traitsISI_E10value_typeET2_T3_PNSJ_ISO_E10value_typeET4_T5_PST_SU_PNS1_23onesweep_lookback_stateEbbT6_jjT7_P12ihipStream_tbENKUlT_T0_SI_SN_E_clIPxSD_S15_SD_EEDaS11_S12_SI_SN_EUlS11_E_NS1_11comp_targetILNS1_3genE2ELNS1_11target_archE906ELNS1_3gpuE6ELNS1_3repE0EEENS1_47radix_sort_onesweep_sort_config_static_selectorELNS0_4arch9wavefront6targetE1EEEvSI_.num_vgpr, 0
	.set _ZN7rocprim17ROCPRIM_400000_NS6detail17trampoline_kernelINS0_14default_configENS1_35radix_sort_onesweep_config_selectorIxxEEZZNS1_29radix_sort_onesweep_iterationIS3_Lb0EN6thrust23THRUST_200600_302600_NS6detail15normal_iteratorINS8_10device_ptrIxEEEESD_SD_SD_jNS0_19identity_decomposerENS1_16block_id_wrapperIjLb0EEEEE10hipError_tT1_PNSt15iterator_traitsISI_E10value_typeET2_T3_PNSJ_ISO_E10value_typeET4_T5_PST_SU_PNS1_23onesweep_lookback_stateEbbT6_jjT7_P12ihipStream_tbENKUlT_T0_SI_SN_E_clIPxSD_S15_SD_EEDaS11_S12_SI_SN_EUlS11_E_NS1_11comp_targetILNS1_3genE2ELNS1_11target_archE906ELNS1_3gpuE6ELNS1_3repE0EEENS1_47radix_sort_onesweep_sort_config_static_selectorELNS0_4arch9wavefront6targetE1EEEvSI_.num_agpr, 0
	.set _ZN7rocprim17ROCPRIM_400000_NS6detail17trampoline_kernelINS0_14default_configENS1_35radix_sort_onesweep_config_selectorIxxEEZZNS1_29radix_sort_onesweep_iterationIS3_Lb0EN6thrust23THRUST_200600_302600_NS6detail15normal_iteratorINS8_10device_ptrIxEEEESD_SD_SD_jNS0_19identity_decomposerENS1_16block_id_wrapperIjLb0EEEEE10hipError_tT1_PNSt15iterator_traitsISI_E10value_typeET2_T3_PNSJ_ISO_E10value_typeET4_T5_PST_SU_PNS1_23onesweep_lookback_stateEbbT6_jjT7_P12ihipStream_tbENKUlT_T0_SI_SN_E_clIPxSD_S15_SD_EEDaS11_S12_SI_SN_EUlS11_E_NS1_11comp_targetILNS1_3genE2ELNS1_11target_archE906ELNS1_3gpuE6ELNS1_3repE0EEENS1_47radix_sort_onesweep_sort_config_static_selectorELNS0_4arch9wavefront6targetE1EEEvSI_.numbered_sgpr, 0
	.set _ZN7rocprim17ROCPRIM_400000_NS6detail17trampoline_kernelINS0_14default_configENS1_35radix_sort_onesweep_config_selectorIxxEEZZNS1_29radix_sort_onesweep_iterationIS3_Lb0EN6thrust23THRUST_200600_302600_NS6detail15normal_iteratorINS8_10device_ptrIxEEEESD_SD_SD_jNS0_19identity_decomposerENS1_16block_id_wrapperIjLb0EEEEE10hipError_tT1_PNSt15iterator_traitsISI_E10value_typeET2_T3_PNSJ_ISO_E10value_typeET4_T5_PST_SU_PNS1_23onesweep_lookback_stateEbbT6_jjT7_P12ihipStream_tbENKUlT_T0_SI_SN_E_clIPxSD_S15_SD_EEDaS11_S12_SI_SN_EUlS11_E_NS1_11comp_targetILNS1_3genE2ELNS1_11target_archE906ELNS1_3gpuE6ELNS1_3repE0EEENS1_47radix_sort_onesweep_sort_config_static_selectorELNS0_4arch9wavefront6targetE1EEEvSI_.num_named_barrier, 0
	.set _ZN7rocprim17ROCPRIM_400000_NS6detail17trampoline_kernelINS0_14default_configENS1_35radix_sort_onesweep_config_selectorIxxEEZZNS1_29radix_sort_onesweep_iterationIS3_Lb0EN6thrust23THRUST_200600_302600_NS6detail15normal_iteratorINS8_10device_ptrIxEEEESD_SD_SD_jNS0_19identity_decomposerENS1_16block_id_wrapperIjLb0EEEEE10hipError_tT1_PNSt15iterator_traitsISI_E10value_typeET2_T3_PNSJ_ISO_E10value_typeET4_T5_PST_SU_PNS1_23onesweep_lookback_stateEbbT6_jjT7_P12ihipStream_tbENKUlT_T0_SI_SN_E_clIPxSD_S15_SD_EEDaS11_S12_SI_SN_EUlS11_E_NS1_11comp_targetILNS1_3genE2ELNS1_11target_archE906ELNS1_3gpuE6ELNS1_3repE0EEENS1_47radix_sort_onesweep_sort_config_static_selectorELNS0_4arch9wavefront6targetE1EEEvSI_.private_seg_size, 0
	.set _ZN7rocprim17ROCPRIM_400000_NS6detail17trampoline_kernelINS0_14default_configENS1_35radix_sort_onesweep_config_selectorIxxEEZZNS1_29radix_sort_onesweep_iterationIS3_Lb0EN6thrust23THRUST_200600_302600_NS6detail15normal_iteratorINS8_10device_ptrIxEEEESD_SD_SD_jNS0_19identity_decomposerENS1_16block_id_wrapperIjLb0EEEEE10hipError_tT1_PNSt15iterator_traitsISI_E10value_typeET2_T3_PNSJ_ISO_E10value_typeET4_T5_PST_SU_PNS1_23onesweep_lookback_stateEbbT6_jjT7_P12ihipStream_tbENKUlT_T0_SI_SN_E_clIPxSD_S15_SD_EEDaS11_S12_SI_SN_EUlS11_E_NS1_11comp_targetILNS1_3genE2ELNS1_11target_archE906ELNS1_3gpuE6ELNS1_3repE0EEENS1_47radix_sort_onesweep_sort_config_static_selectorELNS0_4arch9wavefront6targetE1EEEvSI_.uses_vcc, 0
	.set _ZN7rocprim17ROCPRIM_400000_NS6detail17trampoline_kernelINS0_14default_configENS1_35radix_sort_onesweep_config_selectorIxxEEZZNS1_29radix_sort_onesweep_iterationIS3_Lb0EN6thrust23THRUST_200600_302600_NS6detail15normal_iteratorINS8_10device_ptrIxEEEESD_SD_SD_jNS0_19identity_decomposerENS1_16block_id_wrapperIjLb0EEEEE10hipError_tT1_PNSt15iterator_traitsISI_E10value_typeET2_T3_PNSJ_ISO_E10value_typeET4_T5_PST_SU_PNS1_23onesweep_lookback_stateEbbT6_jjT7_P12ihipStream_tbENKUlT_T0_SI_SN_E_clIPxSD_S15_SD_EEDaS11_S12_SI_SN_EUlS11_E_NS1_11comp_targetILNS1_3genE2ELNS1_11target_archE906ELNS1_3gpuE6ELNS1_3repE0EEENS1_47radix_sort_onesweep_sort_config_static_selectorELNS0_4arch9wavefront6targetE1EEEvSI_.uses_flat_scratch, 0
	.set _ZN7rocprim17ROCPRIM_400000_NS6detail17trampoline_kernelINS0_14default_configENS1_35radix_sort_onesweep_config_selectorIxxEEZZNS1_29radix_sort_onesweep_iterationIS3_Lb0EN6thrust23THRUST_200600_302600_NS6detail15normal_iteratorINS8_10device_ptrIxEEEESD_SD_SD_jNS0_19identity_decomposerENS1_16block_id_wrapperIjLb0EEEEE10hipError_tT1_PNSt15iterator_traitsISI_E10value_typeET2_T3_PNSJ_ISO_E10value_typeET4_T5_PST_SU_PNS1_23onesweep_lookback_stateEbbT6_jjT7_P12ihipStream_tbENKUlT_T0_SI_SN_E_clIPxSD_S15_SD_EEDaS11_S12_SI_SN_EUlS11_E_NS1_11comp_targetILNS1_3genE2ELNS1_11target_archE906ELNS1_3gpuE6ELNS1_3repE0EEENS1_47radix_sort_onesweep_sort_config_static_selectorELNS0_4arch9wavefront6targetE1EEEvSI_.has_dyn_sized_stack, 0
	.set _ZN7rocprim17ROCPRIM_400000_NS6detail17trampoline_kernelINS0_14default_configENS1_35radix_sort_onesweep_config_selectorIxxEEZZNS1_29radix_sort_onesweep_iterationIS3_Lb0EN6thrust23THRUST_200600_302600_NS6detail15normal_iteratorINS8_10device_ptrIxEEEESD_SD_SD_jNS0_19identity_decomposerENS1_16block_id_wrapperIjLb0EEEEE10hipError_tT1_PNSt15iterator_traitsISI_E10value_typeET2_T3_PNSJ_ISO_E10value_typeET4_T5_PST_SU_PNS1_23onesweep_lookback_stateEbbT6_jjT7_P12ihipStream_tbENKUlT_T0_SI_SN_E_clIPxSD_S15_SD_EEDaS11_S12_SI_SN_EUlS11_E_NS1_11comp_targetILNS1_3genE2ELNS1_11target_archE906ELNS1_3gpuE6ELNS1_3repE0EEENS1_47radix_sort_onesweep_sort_config_static_selectorELNS0_4arch9wavefront6targetE1EEEvSI_.has_recursion, 0
	.set _ZN7rocprim17ROCPRIM_400000_NS6detail17trampoline_kernelINS0_14default_configENS1_35radix_sort_onesweep_config_selectorIxxEEZZNS1_29radix_sort_onesweep_iterationIS3_Lb0EN6thrust23THRUST_200600_302600_NS6detail15normal_iteratorINS8_10device_ptrIxEEEESD_SD_SD_jNS0_19identity_decomposerENS1_16block_id_wrapperIjLb0EEEEE10hipError_tT1_PNSt15iterator_traitsISI_E10value_typeET2_T3_PNSJ_ISO_E10value_typeET4_T5_PST_SU_PNS1_23onesweep_lookback_stateEbbT6_jjT7_P12ihipStream_tbENKUlT_T0_SI_SN_E_clIPxSD_S15_SD_EEDaS11_S12_SI_SN_EUlS11_E_NS1_11comp_targetILNS1_3genE2ELNS1_11target_archE906ELNS1_3gpuE6ELNS1_3repE0EEENS1_47radix_sort_onesweep_sort_config_static_selectorELNS0_4arch9wavefront6targetE1EEEvSI_.has_indirect_call, 0
	.section	.AMDGPU.csdata,"",@progbits
; Kernel info:
; codeLenInByte = 0
; TotalNumSgprs: 6
; NumVgprs: 0
; NumAgprs: 0
; TotalNumVgprs: 0
; ScratchSize: 0
; MemoryBound: 0
; FloatMode: 240
; IeeeMode: 1
; LDSByteSize: 0 bytes/workgroup (compile time only)
; SGPRBlocks: 0
; VGPRBlocks: 0
; NumSGPRsForWavesPerEU: 6
; NumVGPRsForWavesPerEU: 1
; AccumOffset: 4
; Occupancy: 8
; WaveLimiterHint : 0
; COMPUTE_PGM_RSRC2:SCRATCH_EN: 0
; COMPUTE_PGM_RSRC2:USER_SGPR: 2
; COMPUTE_PGM_RSRC2:TRAP_HANDLER: 0
; COMPUTE_PGM_RSRC2:TGID_X_EN: 1
; COMPUTE_PGM_RSRC2:TGID_Y_EN: 0
; COMPUTE_PGM_RSRC2:TGID_Z_EN: 0
; COMPUTE_PGM_RSRC2:TIDIG_COMP_CNT: 0
; COMPUTE_PGM_RSRC3_GFX90A:ACCUM_OFFSET: 0
; COMPUTE_PGM_RSRC3_GFX90A:TG_SPLIT: 0
	.section	.text._ZN7rocprim17ROCPRIM_400000_NS6detail17trampoline_kernelINS0_14default_configENS1_35radix_sort_onesweep_config_selectorIxxEEZZNS1_29radix_sort_onesweep_iterationIS3_Lb0EN6thrust23THRUST_200600_302600_NS6detail15normal_iteratorINS8_10device_ptrIxEEEESD_SD_SD_jNS0_19identity_decomposerENS1_16block_id_wrapperIjLb0EEEEE10hipError_tT1_PNSt15iterator_traitsISI_E10value_typeET2_T3_PNSJ_ISO_E10value_typeET4_T5_PST_SU_PNS1_23onesweep_lookback_stateEbbT6_jjT7_P12ihipStream_tbENKUlT_T0_SI_SN_E_clIPxSD_S15_SD_EEDaS11_S12_SI_SN_EUlS11_E_NS1_11comp_targetILNS1_3genE4ELNS1_11target_archE910ELNS1_3gpuE8ELNS1_3repE0EEENS1_47radix_sort_onesweep_sort_config_static_selectorELNS0_4arch9wavefront6targetE1EEEvSI_,"axG",@progbits,_ZN7rocprim17ROCPRIM_400000_NS6detail17trampoline_kernelINS0_14default_configENS1_35radix_sort_onesweep_config_selectorIxxEEZZNS1_29radix_sort_onesweep_iterationIS3_Lb0EN6thrust23THRUST_200600_302600_NS6detail15normal_iteratorINS8_10device_ptrIxEEEESD_SD_SD_jNS0_19identity_decomposerENS1_16block_id_wrapperIjLb0EEEEE10hipError_tT1_PNSt15iterator_traitsISI_E10value_typeET2_T3_PNSJ_ISO_E10value_typeET4_T5_PST_SU_PNS1_23onesweep_lookback_stateEbbT6_jjT7_P12ihipStream_tbENKUlT_T0_SI_SN_E_clIPxSD_S15_SD_EEDaS11_S12_SI_SN_EUlS11_E_NS1_11comp_targetILNS1_3genE4ELNS1_11target_archE910ELNS1_3gpuE8ELNS1_3repE0EEENS1_47radix_sort_onesweep_sort_config_static_selectorELNS0_4arch9wavefront6targetE1EEEvSI_,comdat
	.protected	_ZN7rocprim17ROCPRIM_400000_NS6detail17trampoline_kernelINS0_14default_configENS1_35radix_sort_onesweep_config_selectorIxxEEZZNS1_29radix_sort_onesweep_iterationIS3_Lb0EN6thrust23THRUST_200600_302600_NS6detail15normal_iteratorINS8_10device_ptrIxEEEESD_SD_SD_jNS0_19identity_decomposerENS1_16block_id_wrapperIjLb0EEEEE10hipError_tT1_PNSt15iterator_traitsISI_E10value_typeET2_T3_PNSJ_ISO_E10value_typeET4_T5_PST_SU_PNS1_23onesweep_lookback_stateEbbT6_jjT7_P12ihipStream_tbENKUlT_T0_SI_SN_E_clIPxSD_S15_SD_EEDaS11_S12_SI_SN_EUlS11_E_NS1_11comp_targetILNS1_3genE4ELNS1_11target_archE910ELNS1_3gpuE8ELNS1_3repE0EEENS1_47radix_sort_onesweep_sort_config_static_selectorELNS0_4arch9wavefront6targetE1EEEvSI_ ; -- Begin function _ZN7rocprim17ROCPRIM_400000_NS6detail17trampoline_kernelINS0_14default_configENS1_35radix_sort_onesweep_config_selectorIxxEEZZNS1_29radix_sort_onesweep_iterationIS3_Lb0EN6thrust23THRUST_200600_302600_NS6detail15normal_iteratorINS8_10device_ptrIxEEEESD_SD_SD_jNS0_19identity_decomposerENS1_16block_id_wrapperIjLb0EEEEE10hipError_tT1_PNSt15iterator_traitsISI_E10value_typeET2_T3_PNSJ_ISO_E10value_typeET4_T5_PST_SU_PNS1_23onesweep_lookback_stateEbbT6_jjT7_P12ihipStream_tbENKUlT_T0_SI_SN_E_clIPxSD_S15_SD_EEDaS11_S12_SI_SN_EUlS11_E_NS1_11comp_targetILNS1_3genE4ELNS1_11target_archE910ELNS1_3gpuE8ELNS1_3repE0EEENS1_47radix_sort_onesweep_sort_config_static_selectorELNS0_4arch9wavefront6targetE1EEEvSI_
	.globl	_ZN7rocprim17ROCPRIM_400000_NS6detail17trampoline_kernelINS0_14default_configENS1_35radix_sort_onesweep_config_selectorIxxEEZZNS1_29radix_sort_onesweep_iterationIS3_Lb0EN6thrust23THRUST_200600_302600_NS6detail15normal_iteratorINS8_10device_ptrIxEEEESD_SD_SD_jNS0_19identity_decomposerENS1_16block_id_wrapperIjLb0EEEEE10hipError_tT1_PNSt15iterator_traitsISI_E10value_typeET2_T3_PNSJ_ISO_E10value_typeET4_T5_PST_SU_PNS1_23onesweep_lookback_stateEbbT6_jjT7_P12ihipStream_tbENKUlT_T0_SI_SN_E_clIPxSD_S15_SD_EEDaS11_S12_SI_SN_EUlS11_E_NS1_11comp_targetILNS1_3genE4ELNS1_11target_archE910ELNS1_3gpuE8ELNS1_3repE0EEENS1_47radix_sort_onesweep_sort_config_static_selectorELNS0_4arch9wavefront6targetE1EEEvSI_
	.p2align	8
	.type	_ZN7rocprim17ROCPRIM_400000_NS6detail17trampoline_kernelINS0_14default_configENS1_35radix_sort_onesweep_config_selectorIxxEEZZNS1_29radix_sort_onesweep_iterationIS3_Lb0EN6thrust23THRUST_200600_302600_NS6detail15normal_iteratorINS8_10device_ptrIxEEEESD_SD_SD_jNS0_19identity_decomposerENS1_16block_id_wrapperIjLb0EEEEE10hipError_tT1_PNSt15iterator_traitsISI_E10value_typeET2_T3_PNSJ_ISO_E10value_typeET4_T5_PST_SU_PNS1_23onesweep_lookback_stateEbbT6_jjT7_P12ihipStream_tbENKUlT_T0_SI_SN_E_clIPxSD_S15_SD_EEDaS11_S12_SI_SN_EUlS11_E_NS1_11comp_targetILNS1_3genE4ELNS1_11target_archE910ELNS1_3gpuE8ELNS1_3repE0EEENS1_47radix_sort_onesweep_sort_config_static_selectorELNS0_4arch9wavefront6targetE1EEEvSI_,@function
_ZN7rocprim17ROCPRIM_400000_NS6detail17trampoline_kernelINS0_14default_configENS1_35radix_sort_onesweep_config_selectorIxxEEZZNS1_29radix_sort_onesweep_iterationIS3_Lb0EN6thrust23THRUST_200600_302600_NS6detail15normal_iteratorINS8_10device_ptrIxEEEESD_SD_SD_jNS0_19identity_decomposerENS1_16block_id_wrapperIjLb0EEEEE10hipError_tT1_PNSt15iterator_traitsISI_E10value_typeET2_T3_PNSJ_ISO_E10value_typeET4_T5_PST_SU_PNS1_23onesweep_lookback_stateEbbT6_jjT7_P12ihipStream_tbENKUlT_T0_SI_SN_E_clIPxSD_S15_SD_EEDaS11_S12_SI_SN_EUlS11_E_NS1_11comp_targetILNS1_3genE4ELNS1_11target_archE910ELNS1_3gpuE8ELNS1_3repE0EEENS1_47radix_sort_onesweep_sort_config_static_selectorELNS0_4arch9wavefront6targetE1EEEvSI_: ; @_ZN7rocprim17ROCPRIM_400000_NS6detail17trampoline_kernelINS0_14default_configENS1_35radix_sort_onesweep_config_selectorIxxEEZZNS1_29radix_sort_onesweep_iterationIS3_Lb0EN6thrust23THRUST_200600_302600_NS6detail15normal_iteratorINS8_10device_ptrIxEEEESD_SD_SD_jNS0_19identity_decomposerENS1_16block_id_wrapperIjLb0EEEEE10hipError_tT1_PNSt15iterator_traitsISI_E10value_typeET2_T3_PNSJ_ISO_E10value_typeET4_T5_PST_SU_PNS1_23onesweep_lookback_stateEbbT6_jjT7_P12ihipStream_tbENKUlT_T0_SI_SN_E_clIPxSD_S15_SD_EEDaS11_S12_SI_SN_EUlS11_E_NS1_11comp_targetILNS1_3genE4ELNS1_11target_archE910ELNS1_3gpuE8ELNS1_3repE0EEENS1_47radix_sort_onesweep_sort_config_static_selectorELNS0_4arch9wavefront6targetE1EEEvSI_
; %bb.0:
	.section	.rodata,"a",@progbits
	.p2align	6, 0x0
	.amdhsa_kernel _ZN7rocprim17ROCPRIM_400000_NS6detail17trampoline_kernelINS0_14default_configENS1_35radix_sort_onesweep_config_selectorIxxEEZZNS1_29radix_sort_onesweep_iterationIS3_Lb0EN6thrust23THRUST_200600_302600_NS6detail15normal_iteratorINS8_10device_ptrIxEEEESD_SD_SD_jNS0_19identity_decomposerENS1_16block_id_wrapperIjLb0EEEEE10hipError_tT1_PNSt15iterator_traitsISI_E10value_typeET2_T3_PNSJ_ISO_E10value_typeET4_T5_PST_SU_PNS1_23onesweep_lookback_stateEbbT6_jjT7_P12ihipStream_tbENKUlT_T0_SI_SN_E_clIPxSD_S15_SD_EEDaS11_S12_SI_SN_EUlS11_E_NS1_11comp_targetILNS1_3genE4ELNS1_11target_archE910ELNS1_3gpuE8ELNS1_3repE0EEENS1_47radix_sort_onesweep_sort_config_static_selectorELNS0_4arch9wavefront6targetE1EEEvSI_
		.amdhsa_group_segment_fixed_size 0
		.amdhsa_private_segment_fixed_size 0
		.amdhsa_kernarg_size 88
		.amdhsa_user_sgpr_count 2
		.amdhsa_user_sgpr_dispatch_ptr 0
		.amdhsa_user_sgpr_queue_ptr 0
		.amdhsa_user_sgpr_kernarg_segment_ptr 1
		.amdhsa_user_sgpr_dispatch_id 0
		.amdhsa_user_sgpr_kernarg_preload_length 0
		.amdhsa_user_sgpr_kernarg_preload_offset 0
		.amdhsa_user_sgpr_private_segment_size 0
		.amdhsa_uses_dynamic_stack 0
		.amdhsa_enable_private_segment 0
		.amdhsa_system_sgpr_workgroup_id_x 1
		.amdhsa_system_sgpr_workgroup_id_y 0
		.amdhsa_system_sgpr_workgroup_id_z 0
		.amdhsa_system_sgpr_workgroup_info 0
		.amdhsa_system_vgpr_workitem_id 0
		.amdhsa_next_free_vgpr 1
		.amdhsa_next_free_sgpr 0
		.amdhsa_accum_offset 4
		.amdhsa_reserve_vcc 0
		.amdhsa_float_round_mode_32 0
		.amdhsa_float_round_mode_16_64 0
		.amdhsa_float_denorm_mode_32 3
		.amdhsa_float_denorm_mode_16_64 3
		.amdhsa_dx10_clamp 1
		.amdhsa_ieee_mode 1
		.amdhsa_fp16_overflow 0
		.amdhsa_tg_split 0
		.amdhsa_exception_fp_ieee_invalid_op 0
		.amdhsa_exception_fp_denorm_src 0
		.amdhsa_exception_fp_ieee_div_zero 0
		.amdhsa_exception_fp_ieee_overflow 0
		.amdhsa_exception_fp_ieee_underflow 0
		.amdhsa_exception_fp_ieee_inexact 0
		.amdhsa_exception_int_div_zero 0
	.end_amdhsa_kernel
	.section	.text._ZN7rocprim17ROCPRIM_400000_NS6detail17trampoline_kernelINS0_14default_configENS1_35radix_sort_onesweep_config_selectorIxxEEZZNS1_29radix_sort_onesweep_iterationIS3_Lb0EN6thrust23THRUST_200600_302600_NS6detail15normal_iteratorINS8_10device_ptrIxEEEESD_SD_SD_jNS0_19identity_decomposerENS1_16block_id_wrapperIjLb0EEEEE10hipError_tT1_PNSt15iterator_traitsISI_E10value_typeET2_T3_PNSJ_ISO_E10value_typeET4_T5_PST_SU_PNS1_23onesweep_lookback_stateEbbT6_jjT7_P12ihipStream_tbENKUlT_T0_SI_SN_E_clIPxSD_S15_SD_EEDaS11_S12_SI_SN_EUlS11_E_NS1_11comp_targetILNS1_3genE4ELNS1_11target_archE910ELNS1_3gpuE8ELNS1_3repE0EEENS1_47radix_sort_onesweep_sort_config_static_selectorELNS0_4arch9wavefront6targetE1EEEvSI_,"axG",@progbits,_ZN7rocprim17ROCPRIM_400000_NS6detail17trampoline_kernelINS0_14default_configENS1_35radix_sort_onesweep_config_selectorIxxEEZZNS1_29radix_sort_onesweep_iterationIS3_Lb0EN6thrust23THRUST_200600_302600_NS6detail15normal_iteratorINS8_10device_ptrIxEEEESD_SD_SD_jNS0_19identity_decomposerENS1_16block_id_wrapperIjLb0EEEEE10hipError_tT1_PNSt15iterator_traitsISI_E10value_typeET2_T3_PNSJ_ISO_E10value_typeET4_T5_PST_SU_PNS1_23onesweep_lookback_stateEbbT6_jjT7_P12ihipStream_tbENKUlT_T0_SI_SN_E_clIPxSD_S15_SD_EEDaS11_S12_SI_SN_EUlS11_E_NS1_11comp_targetILNS1_3genE4ELNS1_11target_archE910ELNS1_3gpuE8ELNS1_3repE0EEENS1_47radix_sort_onesweep_sort_config_static_selectorELNS0_4arch9wavefront6targetE1EEEvSI_,comdat
.Lfunc_end1246:
	.size	_ZN7rocprim17ROCPRIM_400000_NS6detail17trampoline_kernelINS0_14default_configENS1_35radix_sort_onesweep_config_selectorIxxEEZZNS1_29radix_sort_onesweep_iterationIS3_Lb0EN6thrust23THRUST_200600_302600_NS6detail15normal_iteratorINS8_10device_ptrIxEEEESD_SD_SD_jNS0_19identity_decomposerENS1_16block_id_wrapperIjLb0EEEEE10hipError_tT1_PNSt15iterator_traitsISI_E10value_typeET2_T3_PNSJ_ISO_E10value_typeET4_T5_PST_SU_PNS1_23onesweep_lookback_stateEbbT6_jjT7_P12ihipStream_tbENKUlT_T0_SI_SN_E_clIPxSD_S15_SD_EEDaS11_S12_SI_SN_EUlS11_E_NS1_11comp_targetILNS1_3genE4ELNS1_11target_archE910ELNS1_3gpuE8ELNS1_3repE0EEENS1_47radix_sort_onesweep_sort_config_static_selectorELNS0_4arch9wavefront6targetE1EEEvSI_, .Lfunc_end1246-_ZN7rocprim17ROCPRIM_400000_NS6detail17trampoline_kernelINS0_14default_configENS1_35radix_sort_onesweep_config_selectorIxxEEZZNS1_29radix_sort_onesweep_iterationIS3_Lb0EN6thrust23THRUST_200600_302600_NS6detail15normal_iteratorINS8_10device_ptrIxEEEESD_SD_SD_jNS0_19identity_decomposerENS1_16block_id_wrapperIjLb0EEEEE10hipError_tT1_PNSt15iterator_traitsISI_E10value_typeET2_T3_PNSJ_ISO_E10value_typeET4_T5_PST_SU_PNS1_23onesweep_lookback_stateEbbT6_jjT7_P12ihipStream_tbENKUlT_T0_SI_SN_E_clIPxSD_S15_SD_EEDaS11_S12_SI_SN_EUlS11_E_NS1_11comp_targetILNS1_3genE4ELNS1_11target_archE910ELNS1_3gpuE8ELNS1_3repE0EEENS1_47radix_sort_onesweep_sort_config_static_selectorELNS0_4arch9wavefront6targetE1EEEvSI_
                                        ; -- End function
	.set _ZN7rocprim17ROCPRIM_400000_NS6detail17trampoline_kernelINS0_14default_configENS1_35radix_sort_onesweep_config_selectorIxxEEZZNS1_29radix_sort_onesweep_iterationIS3_Lb0EN6thrust23THRUST_200600_302600_NS6detail15normal_iteratorINS8_10device_ptrIxEEEESD_SD_SD_jNS0_19identity_decomposerENS1_16block_id_wrapperIjLb0EEEEE10hipError_tT1_PNSt15iterator_traitsISI_E10value_typeET2_T3_PNSJ_ISO_E10value_typeET4_T5_PST_SU_PNS1_23onesweep_lookback_stateEbbT6_jjT7_P12ihipStream_tbENKUlT_T0_SI_SN_E_clIPxSD_S15_SD_EEDaS11_S12_SI_SN_EUlS11_E_NS1_11comp_targetILNS1_3genE4ELNS1_11target_archE910ELNS1_3gpuE8ELNS1_3repE0EEENS1_47radix_sort_onesweep_sort_config_static_selectorELNS0_4arch9wavefront6targetE1EEEvSI_.num_vgpr, 0
	.set _ZN7rocprim17ROCPRIM_400000_NS6detail17trampoline_kernelINS0_14default_configENS1_35radix_sort_onesweep_config_selectorIxxEEZZNS1_29radix_sort_onesweep_iterationIS3_Lb0EN6thrust23THRUST_200600_302600_NS6detail15normal_iteratorINS8_10device_ptrIxEEEESD_SD_SD_jNS0_19identity_decomposerENS1_16block_id_wrapperIjLb0EEEEE10hipError_tT1_PNSt15iterator_traitsISI_E10value_typeET2_T3_PNSJ_ISO_E10value_typeET4_T5_PST_SU_PNS1_23onesweep_lookback_stateEbbT6_jjT7_P12ihipStream_tbENKUlT_T0_SI_SN_E_clIPxSD_S15_SD_EEDaS11_S12_SI_SN_EUlS11_E_NS1_11comp_targetILNS1_3genE4ELNS1_11target_archE910ELNS1_3gpuE8ELNS1_3repE0EEENS1_47radix_sort_onesweep_sort_config_static_selectorELNS0_4arch9wavefront6targetE1EEEvSI_.num_agpr, 0
	.set _ZN7rocprim17ROCPRIM_400000_NS6detail17trampoline_kernelINS0_14default_configENS1_35radix_sort_onesweep_config_selectorIxxEEZZNS1_29radix_sort_onesweep_iterationIS3_Lb0EN6thrust23THRUST_200600_302600_NS6detail15normal_iteratorINS8_10device_ptrIxEEEESD_SD_SD_jNS0_19identity_decomposerENS1_16block_id_wrapperIjLb0EEEEE10hipError_tT1_PNSt15iterator_traitsISI_E10value_typeET2_T3_PNSJ_ISO_E10value_typeET4_T5_PST_SU_PNS1_23onesweep_lookback_stateEbbT6_jjT7_P12ihipStream_tbENKUlT_T0_SI_SN_E_clIPxSD_S15_SD_EEDaS11_S12_SI_SN_EUlS11_E_NS1_11comp_targetILNS1_3genE4ELNS1_11target_archE910ELNS1_3gpuE8ELNS1_3repE0EEENS1_47radix_sort_onesweep_sort_config_static_selectorELNS0_4arch9wavefront6targetE1EEEvSI_.numbered_sgpr, 0
	.set _ZN7rocprim17ROCPRIM_400000_NS6detail17trampoline_kernelINS0_14default_configENS1_35radix_sort_onesweep_config_selectorIxxEEZZNS1_29radix_sort_onesweep_iterationIS3_Lb0EN6thrust23THRUST_200600_302600_NS6detail15normal_iteratorINS8_10device_ptrIxEEEESD_SD_SD_jNS0_19identity_decomposerENS1_16block_id_wrapperIjLb0EEEEE10hipError_tT1_PNSt15iterator_traitsISI_E10value_typeET2_T3_PNSJ_ISO_E10value_typeET4_T5_PST_SU_PNS1_23onesweep_lookback_stateEbbT6_jjT7_P12ihipStream_tbENKUlT_T0_SI_SN_E_clIPxSD_S15_SD_EEDaS11_S12_SI_SN_EUlS11_E_NS1_11comp_targetILNS1_3genE4ELNS1_11target_archE910ELNS1_3gpuE8ELNS1_3repE0EEENS1_47radix_sort_onesweep_sort_config_static_selectorELNS0_4arch9wavefront6targetE1EEEvSI_.num_named_barrier, 0
	.set _ZN7rocprim17ROCPRIM_400000_NS6detail17trampoline_kernelINS0_14default_configENS1_35radix_sort_onesweep_config_selectorIxxEEZZNS1_29radix_sort_onesweep_iterationIS3_Lb0EN6thrust23THRUST_200600_302600_NS6detail15normal_iteratorINS8_10device_ptrIxEEEESD_SD_SD_jNS0_19identity_decomposerENS1_16block_id_wrapperIjLb0EEEEE10hipError_tT1_PNSt15iterator_traitsISI_E10value_typeET2_T3_PNSJ_ISO_E10value_typeET4_T5_PST_SU_PNS1_23onesweep_lookback_stateEbbT6_jjT7_P12ihipStream_tbENKUlT_T0_SI_SN_E_clIPxSD_S15_SD_EEDaS11_S12_SI_SN_EUlS11_E_NS1_11comp_targetILNS1_3genE4ELNS1_11target_archE910ELNS1_3gpuE8ELNS1_3repE0EEENS1_47radix_sort_onesweep_sort_config_static_selectorELNS0_4arch9wavefront6targetE1EEEvSI_.private_seg_size, 0
	.set _ZN7rocprim17ROCPRIM_400000_NS6detail17trampoline_kernelINS0_14default_configENS1_35radix_sort_onesweep_config_selectorIxxEEZZNS1_29radix_sort_onesweep_iterationIS3_Lb0EN6thrust23THRUST_200600_302600_NS6detail15normal_iteratorINS8_10device_ptrIxEEEESD_SD_SD_jNS0_19identity_decomposerENS1_16block_id_wrapperIjLb0EEEEE10hipError_tT1_PNSt15iterator_traitsISI_E10value_typeET2_T3_PNSJ_ISO_E10value_typeET4_T5_PST_SU_PNS1_23onesweep_lookback_stateEbbT6_jjT7_P12ihipStream_tbENKUlT_T0_SI_SN_E_clIPxSD_S15_SD_EEDaS11_S12_SI_SN_EUlS11_E_NS1_11comp_targetILNS1_3genE4ELNS1_11target_archE910ELNS1_3gpuE8ELNS1_3repE0EEENS1_47radix_sort_onesweep_sort_config_static_selectorELNS0_4arch9wavefront6targetE1EEEvSI_.uses_vcc, 0
	.set _ZN7rocprim17ROCPRIM_400000_NS6detail17trampoline_kernelINS0_14default_configENS1_35radix_sort_onesweep_config_selectorIxxEEZZNS1_29radix_sort_onesweep_iterationIS3_Lb0EN6thrust23THRUST_200600_302600_NS6detail15normal_iteratorINS8_10device_ptrIxEEEESD_SD_SD_jNS0_19identity_decomposerENS1_16block_id_wrapperIjLb0EEEEE10hipError_tT1_PNSt15iterator_traitsISI_E10value_typeET2_T3_PNSJ_ISO_E10value_typeET4_T5_PST_SU_PNS1_23onesweep_lookback_stateEbbT6_jjT7_P12ihipStream_tbENKUlT_T0_SI_SN_E_clIPxSD_S15_SD_EEDaS11_S12_SI_SN_EUlS11_E_NS1_11comp_targetILNS1_3genE4ELNS1_11target_archE910ELNS1_3gpuE8ELNS1_3repE0EEENS1_47radix_sort_onesweep_sort_config_static_selectorELNS0_4arch9wavefront6targetE1EEEvSI_.uses_flat_scratch, 0
	.set _ZN7rocprim17ROCPRIM_400000_NS6detail17trampoline_kernelINS0_14default_configENS1_35radix_sort_onesweep_config_selectorIxxEEZZNS1_29radix_sort_onesweep_iterationIS3_Lb0EN6thrust23THRUST_200600_302600_NS6detail15normal_iteratorINS8_10device_ptrIxEEEESD_SD_SD_jNS0_19identity_decomposerENS1_16block_id_wrapperIjLb0EEEEE10hipError_tT1_PNSt15iterator_traitsISI_E10value_typeET2_T3_PNSJ_ISO_E10value_typeET4_T5_PST_SU_PNS1_23onesweep_lookback_stateEbbT6_jjT7_P12ihipStream_tbENKUlT_T0_SI_SN_E_clIPxSD_S15_SD_EEDaS11_S12_SI_SN_EUlS11_E_NS1_11comp_targetILNS1_3genE4ELNS1_11target_archE910ELNS1_3gpuE8ELNS1_3repE0EEENS1_47radix_sort_onesweep_sort_config_static_selectorELNS0_4arch9wavefront6targetE1EEEvSI_.has_dyn_sized_stack, 0
	.set _ZN7rocprim17ROCPRIM_400000_NS6detail17trampoline_kernelINS0_14default_configENS1_35radix_sort_onesweep_config_selectorIxxEEZZNS1_29radix_sort_onesweep_iterationIS3_Lb0EN6thrust23THRUST_200600_302600_NS6detail15normal_iteratorINS8_10device_ptrIxEEEESD_SD_SD_jNS0_19identity_decomposerENS1_16block_id_wrapperIjLb0EEEEE10hipError_tT1_PNSt15iterator_traitsISI_E10value_typeET2_T3_PNSJ_ISO_E10value_typeET4_T5_PST_SU_PNS1_23onesweep_lookback_stateEbbT6_jjT7_P12ihipStream_tbENKUlT_T0_SI_SN_E_clIPxSD_S15_SD_EEDaS11_S12_SI_SN_EUlS11_E_NS1_11comp_targetILNS1_3genE4ELNS1_11target_archE910ELNS1_3gpuE8ELNS1_3repE0EEENS1_47radix_sort_onesweep_sort_config_static_selectorELNS0_4arch9wavefront6targetE1EEEvSI_.has_recursion, 0
	.set _ZN7rocprim17ROCPRIM_400000_NS6detail17trampoline_kernelINS0_14default_configENS1_35radix_sort_onesweep_config_selectorIxxEEZZNS1_29radix_sort_onesweep_iterationIS3_Lb0EN6thrust23THRUST_200600_302600_NS6detail15normal_iteratorINS8_10device_ptrIxEEEESD_SD_SD_jNS0_19identity_decomposerENS1_16block_id_wrapperIjLb0EEEEE10hipError_tT1_PNSt15iterator_traitsISI_E10value_typeET2_T3_PNSJ_ISO_E10value_typeET4_T5_PST_SU_PNS1_23onesweep_lookback_stateEbbT6_jjT7_P12ihipStream_tbENKUlT_T0_SI_SN_E_clIPxSD_S15_SD_EEDaS11_S12_SI_SN_EUlS11_E_NS1_11comp_targetILNS1_3genE4ELNS1_11target_archE910ELNS1_3gpuE8ELNS1_3repE0EEENS1_47radix_sort_onesweep_sort_config_static_selectorELNS0_4arch9wavefront6targetE1EEEvSI_.has_indirect_call, 0
	.section	.AMDGPU.csdata,"",@progbits
; Kernel info:
; codeLenInByte = 0
; TotalNumSgprs: 6
; NumVgprs: 0
; NumAgprs: 0
; TotalNumVgprs: 0
; ScratchSize: 0
; MemoryBound: 0
; FloatMode: 240
; IeeeMode: 1
; LDSByteSize: 0 bytes/workgroup (compile time only)
; SGPRBlocks: 0
; VGPRBlocks: 0
; NumSGPRsForWavesPerEU: 6
; NumVGPRsForWavesPerEU: 1
; AccumOffset: 4
; Occupancy: 8
; WaveLimiterHint : 0
; COMPUTE_PGM_RSRC2:SCRATCH_EN: 0
; COMPUTE_PGM_RSRC2:USER_SGPR: 2
; COMPUTE_PGM_RSRC2:TRAP_HANDLER: 0
; COMPUTE_PGM_RSRC2:TGID_X_EN: 1
; COMPUTE_PGM_RSRC2:TGID_Y_EN: 0
; COMPUTE_PGM_RSRC2:TGID_Z_EN: 0
; COMPUTE_PGM_RSRC2:TIDIG_COMP_CNT: 0
; COMPUTE_PGM_RSRC3_GFX90A:ACCUM_OFFSET: 0
; COMPUTE_PGM_RSRC3_GFX90A:TG_SPLIT: 0
	.section	.text._ZN7rocprim17ROCPRIM_400000_NS6detail17trampoline_kernelINS0_14default_configENS1_35radix_sort_onesweep_config_selectorIxxEEZZNS1_29radix_sort_onesweep_iterationIS3_Lb0EN6thrust23THRUST_200600_302600_NS6detail15normal_iteratorINS8_10device_ptrIxEEEESD_SD_SD_jNS0_19identity_decomposerENS1_16block_id_wrapperIjLb0EEEEE10hipError_tT1_PNSt15iterator_traitsISI_E10value_typeET2_T3_PNSJ_ISO_E10value_typeET4_T5_PST_SU_PNS1_23onesweep_lookback_stateEbbT6_jjT7_P12ihipStream_tbENKUlT_T0_SI_SN_E_clIPxSD_S15_SD_EEDaS11_S12_SI_SN_EUlS11_E_NS1_11comp_targetILNS1_3genE3ELNS1_11target_archE908ELNS1_3gpuE7ELNS1_3repE0EEENS1_47radix_sort_onesweep_sort_config_static_selectorELNS0_4arch9wavefront6targetE1EEEvSI_,"axG",@progbits,_ZN7rocprim17ROCPRIM_400000_NS6detail17trampoline_kernelINS0_14default_configENS1_35radix_sort_onesweep_config_selectorIxxEEZZNS1_29radix_sort_onesweep_iterationIS3_Lb0EN6thrust23THRUST_200600_302600_NS6detail15normal_iteratorINS8_10device_ptrIxEEEESD_SD_SD_jNS0_19identity_decomposerENS1_16block_id_wrapperIjLb0EEEEE10hipError_tT1_PNSt15iterator_traitsISI_E10value_typeET2_T3_PNSJ_ISO_E10value_typeET4_T5_PST_SU_PNS1_23onesweep_lookback_stateEbbT6_jjT7_P12ihipStream_tbENKUlT_T0_SI_SN_E_clIPxSD_S15_SD_EEDaS11_S12_SI_SN_EUlS11_E_NS1_11comp_targetILNS1_3genE3ELNS1_11target_archE908ELNS1_3gpuE7ELNS1_3repE0EEENS1_47radix_sort_onesweep_sort_config_static_selectorELNS0_4arch9wavefront6targetE1EEEvSI_,comdat
	.protected	_ZN7rocprim17ROCPRIM_400000_NS6detail17trampoline_kernelINS0_14default_configENS1_35radix_sort_onesweep_config_selectorIxxEEZZNS1_29radix_sort_onesweep_iterationIS3_Lb0EN6thrust23THRUST_200600_302600_NS6detail15normal_iteratorINS8_10device_ptrIxEEEESD_SD_SD_jNS0_19identity_decomposerENS1_16block_id_wrapperIjLb0EEEEE10hipError_tT1_PNSt15iterator_traitsISI_E10value_typeET2_T3_PNSJ_ISO_E10value_typeET4_T5_PST_SU_PNS1_23onesweep_lookback_stateEbbT6_jjT7_P12ihipStream_tbENKUlT_T0_SI_SN_E_clIPxSD_S15_SD_EEDaS11_S12_SI_SN_EUlS11_E_NS1_11comp_targetILNS1_3genE3ELNS1_11target_archE908ELNS1_3gpuE7ELNS1_3repE0EEENS1_47radix_sort_onesweep_sort_config_static_selectorELNS0_4arch9wavefront6targetE1EEEvSI_ ; -- Begin function _ZN7rocprim17ROCPRIM_400000_NS6detail17trampoline_kernelINS0_14default_configENS1_35radix_sort_onesweep_config_selectorIxxEEZZNS1_29radix_sort_onesweep_iterationIS3_Lb0EN6thrust23THRUST_200600_302600_NS6detail15normal_iteratorINS8_10device_ptrIxEEEESD_SD_SD_jNS0_19identity_decomposerENS1_16block_id_wrapperIjLb0EEEEE10hipError_tT1_PNSt15iterator_traitsISI_E10value_typeET2_T3_PNSJ_ISO_E10value_typeET4_T5_PST_SU_PNS1_23onesweep_lookback_stateEbbT6_jjT7_P12ihipStream_tbENKUlT_T0_SI_SN_E_clIPxSD_S15_SD_EEDaS11_S12_SI_SN_EUlS11_E_NS1_11comp_targetILNS1_3genE3ELNS1_11target_archE908ELNS1_3gpuE7ELNS1_3repE0EEENS1_47radix_sort_onesweep_sort_config_static_selectorELNS0_4arch9wavefront6targetE1EEEvSI_
	.globl	_ZN7rocprim17ROCPRIM_400000_NS6detail17trampoline_kernelINS0_14default_configENS1_35radix_sort_onesweep_config_selectorIxxEEZZNS1_29radix_sort_onesweep_iterationIS3_Lb0EN6thrust23THRUST_200600_302600_NS6detail15normal_iteratorINS8_10device_ptrIxEEEESD_SD_SD_jNS0_19identity_decomposerENS1_16block_id_wrapperIjLb0EEEEE10hipError_tT1_PNSt15iterator_traitsISI_E10value_typeET2_T3_PNSJ_ISO_E10value_typeET4_T5_PST_SU_PNS1_23onesweep_lookback_stateEbbT6_jjT7_P12ihipStream_tbENKUlT_T0_SI_SN_E_clIPxSD_S15_SD_EEDaS11_S12_SI_SN_EUlS11_E_NS1_11comp_targetILNS1_3genE3ELNS1_11target_archE908ELNS1_3gpuE7ELNS1_3repE0EEENS1_47radix_sort_onesweep_sort_config_static_selectorELNS0_4arch9wavefront6targetE1EEEvSI_
	.p2align	8
	.type	_ZN7rocprim17ROCPRIM_400000_NS6detail17trampoline_kernelINS0_14default_configENS1_35radix_sort_onesweep_config_selectorIxxEEZZNS1_29radix_sort_onesweep_iterationIS3_Lb0EN6thrust23THRUST_200600_302600_NS6detail15normal_iteratorINS8_10device_ptrIxEEEESD_SD_SD_jNS0_19identity_decomposerENS1_16block_id_wrapperIjLb0EEEEE10hipError_tT1_PNSt15iterator_traitsISI_E10value_typeET2_T3_PNSJ_ISO_E10value_typeET4_T5_PST_SU_PNS1_23onesweep_lookback_stateEbbT6_jjT7_P12ihipStream_tbENKUlT_T0_SI_SN_E_clIPxSD_S15_SD_EEDaS11_S12_SI_SN_EUlS11_E_NS1_11comp_targetILNS1_3genE3ELNS1_11target_archE908ELNS1_3gpuE7ELNS1_3repE0EEENS1_47radix_sort_onesweep_sort_config_static_selectorELNS0_4arch9wavefront6targetE1EEEvSI_,@function
_ZN7rocprim17ROCPRIM_400000_NS6detail17trampoline_kernelINS0_14default_configENS1_35radix_sort_onesweep_config_selectorIxxEEZZNS1_29radix_sort_onesweep_iterationIS3_Lb0EN6thrust23THRUST_200600_302600_NS6detail15normal_iteratorINS8_10device_ptrIxEEEESD_SD_SD_jNS0_19identity_decomposerENS1_16block_id_wrapperIjLb0EEEEE10hipError_tT1_PNSt15iterator_traitsISI_E10value_typeET2_T3_PNSJ_ISO_E10value_typeET4_T5_PST_SU_PNS1_23onesweep_lookback_stateEbbT6_jjT7_P12ihipStream_tbENKUlT_T0_SI_SN_E_clIPxSD_S15_SD_EEDaS11_S12_SI_SN_EUlS11_E_NS1_11comp_targetILNS1_3genE3ELNS1_11target_archE908ELNS1_3gpuE7ELNS1_3repE0EEENS1_47radix_sort_onesweep_sort_config_static_selectorELNS0_4arch9wavefront6targetE1EEEvSI_: ; @_ZN7rocprim17ROCPRIM_400000_NS6detail17trampoline_kernelINS0_14default_configENS1_35radix_sort_onesweep_config_selectorIxxEEZZNS1_29radix_sort_onesweep_iterationIS3_Lb0EN6thrust23THRUST_200600_302600_NS6detail15normal_iteratorINS8_10device_ptrIxEEEESD_SD_SD_jNS0_19identity_decomposerENS1_16block_id_wrapperIjLb0EEEEE10hipError_tT1_PNSt15iterator_traitsISI_E10value_typeET2_T3_PNSJ_ISO_E10value_typeET4_T5_PST_SU_PNS1_23onesweep_lookback_stateEbbT6_jjT7_P12ihipStream_tbENKUlT_T0_SI_SN_E_clIPxSD_S15_SD_EEDaS11_S12_SI_SN_EUlS11_E_NS1_11comp_targetILNS1_3genE3ELNS1_11target_archE908ELNS1_3gpuE7ELNS1_3repE0EEENS1_47radix_sort_onesweep_sort_config_static_selectorELNS0_4arch9wavefront6targetE1EEEvSI_
; %bb.0:
	.section	.rodata,"a",@progbits
	.p2align	6, 0x0
	.amdhsa_kernel _ZN7rocprim17ROCPRIM_400000_NS6detail17trampoline_kernelINS0_14default_configENS1_35radix_sort_onesweep_config_selectorIxxEEZZNS1_29radix_sort_onesweep_iterationIS3_Lb0EN6thrust23THRUST_200600_302600_NS6detail15normal_iteratorINS8_10device_ptrIxEEEESD_SD_SD_jNS0_19identity_decomposerENS1_16block_id_wrapperIjLb0EEEEE10hipError_tT1_PNSt15iterator_traitsISI_E10value_typeET2_T3_PNSJ_ISO_E10value_typeET4_T5_PST_SU_PNS1_23onesweep_lookback_stateEbbT6_jjT7_P12ihipStream_tbENKUlT_T0_SI_SN_E_clIPxSD_S15_SD_EEDaS11_S12_SI_SN_EUlS11_E_NS1_11comp_targetILNS1_3genE3ELNS1_11target_archE908ELNS1_3gpuE7ELNS1_3repE0EEENS1_47radix_sort_onesweep_sort_config_static_selectorELNS0_4arch9wavefront6targetE1EEEvSI_
		.amdhsa_group_segment_fixed_size 0
		.amdhsa_private_segment_fixed_size 0
		.amdhsa_kernarg_size 88
		.amdhsa_user_sgpr_count 2
		.amdhsa_user_sgpr_dispatch_ptr 0
		.amdhsa_user_sgpr_queue_ptr 0
		.amdhsa_user_sgpr_kernarg_segment_ptr 1
		.amdhsa_user_sgpr_dispatch_id 0
		.amdhsa_user_sgpr_kernarg_preload_length 0
		.amdhsa_user_sgpr_kernarg_preload_offset 0
		.amdhsa_user_sgpr_private_segment_size 0
		.amdhsa_uses_dynamic_stack 0
		.amdhsa_enable_private_segment 0
		.amdhsa_system_sgpr_workgroup_id_x 1
		.amdhsa_system_sgpr_workgroup_id_y 0
		.amdhsa_system_sgpr_workgroup_id_z 0
		.amdhsa_system_sgpr_workgroup_info 0
		.amdhsa_system_vgpr_workitem_id 0
		.amdhsa_next_free_vgpr 1
		.amdhsa_next_free_sgpr 0
		.amdhsa_accum_offset 4
		.amdhsa_reserve_vcc 0
		.amdhsa_float_round_mode_32 0
		.amdhsa_float_round_mode_16_64 0
		.amdhsa_float_denorm_mode_32 3
		.amdhsa_float_denorm_mode_16_64 3
		.amdhsa_dx10_clamp 1
		.amdhsa_ieee_mode 1
		.amdhsa_fp16_overflow 0
		.amdhsa_tg_split 0
		.amdhsa_exception_fp_ieee_invalid_op 0
		.amdhsa_exception_fp_denorm_src 0
		.amdhsa_exception_fp_ieee_div_zero 0
		.amdhsa_exception_fp_ieee_overflow 0
		.amdhsa_exception_fp_ieee_underflow 0
		.amdhsa_exception_fp_ieee_inexact 0
		.amdhsa_exception_int_div_zero 0
	.end_amdhsa_kernel
	.section	.text._ZN7rocprim17ROCPRIM_400000_NS6detail17trampoline_kernelINS0_14default_configENS1_35radix_sort_onesweep_config_selectorIxxEEZZNS1_29radix_sort_onesweep_iterationIS3_Lb0EN6thrust23THRUST_200600_302600_NS6detail15normal_iteratorINS8_10device_ptrIxEEEESD_SD_SD_jNS0_19identity_decomposerENS1_16block_id_wrapperIjLb0EEEEE10hipError_tT1_PNSt15iterator_traitsISI_E10value_typeET2_T3_PNSJ_ISO_E10value_typeET4_T5_PST_SU_PNS1_23onesweep_lookback_stateEbbT6_jjT7_P12ihipStream_tbENKUlT_T0_SI_SN_E_clIPxSD_S15_SD_EEDaS11_S12_SI_SN_EUlS11_E_NS1_11comp_targetILNS1_3genE3ELNS1_11target_archE908ELNS1_3gpuE7ELNS1_3repE0EEENS1_47radix_sort_onesweep_sort_config_static_selectorELNS0_4arch9wavefront6targetE1EEEvSI_,"axG",@progbits,_ZN7rocprim17ROCPRIM_400000_NS6detail17trampoline_kernelINS0_14default_configENS1_35radix_sort_onesweep_config_selectorIxxEEZZNS1_29radix_sort_onesweep_iterationIS3_Lb0EN6thrust23THRUST_200600_302600_NS6detail15normal_iteratorINS8_10device_ptrIxEEEESD_SD_SD_jNS0_19identity_decomposerENS1_16block_id_wrapperIjLb0EEEEE10hipError_tT1_PNSt15iterator_traitsISI_E10value_typeET2_T3_PNSJ_ISO_E10value_typeET4_T5_PST_SU_PNS1_23onesweep_lookback_stateEbbT6_jjT7_P12ihipStream_tbENKUlT_T0_SI_SN_E_clIPxSD_S15_SD_EEDaS11_S12_SI_SN_EUlS11_E_NS1_11comp_targetILNS1_3genE3ELNS1_11target_archE908ELNS1_3gpuE7ELNS1_3repE0EEENS1_47radix_sort_onesweep_sort_config_static_selectorELNS0_4arch9wavefront6targetE1EEEvSI_,comdat
.Lfunc_end1247:
	.size	_ZN7rocprim17ROCPRIM_400000_NS6detail17trampoline_kernelINS0_14default_configENS1_35radix_sort_onesweep_config_selectorIxxEEZZNS1_29radix_sort_onesweep_iterationIS3_Lb0EN6thrust23THRUST_200600_302600_NS6detail15normal_iteratorINS8_10device_ptrIxEEEESD_SD_SD_jNS0_19identity_decomposerENS1_16block_id_wrapperIjLb0EEEEE10hipError_tT1_PNSt15iterator_traitsISI_E10value_typeET2_T3_PNSJ_ISO_E10value_typeET4_T5_PST_SU_PNS1_23onesweep_lookback_stateEbbT6_jjT7_P12ihipStream_tbENKUlT_T0_SI_SN_E_clIPxSD_S15_SD_EEDaS11_S12_SI_SN_EUlS11_E_NS1_11comp_targetILNS1_3genE3ELNS1_11target_archE908ELNS1_3gpuE7ELNS1_3repE0EEENS1_47radix_sort_onesweep_sort_config_static_selectorELNS0_4arch9wavefront6targetE1EEEvSI_, .Lfunc_end1247-_ZN7rocprim17ROCPRIM_400000_NS6detail17trampoline_kernelINS0_14default_configENS1_35radix_sort_onesweep_config_selectorIxxEEZZNS1_29radix_sort_onesweep_iterationIS3_Lb0EN6thrust23THRUST_200600_302600_NS6detail15normal_iteratorINS8_10device_ptrIxEEEESD_SD_SD_jNS0_19identity_decomposerENS1_16block_id_wrapperIjLb0EEEEE10hipError_tT1_PNSt15iterator_traitsISI_E10value_typeET2_T3_PNSJ_ISO_E10value_typeET4_T5_PST_SU_PNS1_23onesweep_lookback_stateEbbT6_jjT7_P12ihipStream_tbENKUlT_T0_SI_SN_E_clIPxSD_S15_SD_EEDaS11_S12_SI_SN_EUlS11_E_NS1_11comp_targetILNS1_3genE3ELNS1_11target_archE908ELNS1_3gpuE7ELNS1_3repE0EEENS1_47radix_sort_onesweep_sort_config_static_selectorELNS0_4arch9wavefront6targetE1EEEvSI_
                                        ; -- End function
	.set _ZN7rocprim17ROCPRIM_400000_NS6detail17trampoline_kernelINS0_14default_configENS1_35radix_sort_onesweep_config_selectorIxxEEZZNS1_29radix_sort_onesweep_iterationIS3_Lb0EN6thrust23THRUST_200600_302600_NS6detail15normal_iteratorINS8_10device_ptrIxEEEESD_SD_SD_jNS0_19identity_decomposerENS1_16block_id_wrapperIjLb0EEEEE10hipError_tT1_PNSt15iterator_traitsISI_E10value_typeET2_T3_PNSJ_ISO_E10value_typeET4_T5_PST_SU_PNS1_23onesweep_lookback_stateEbbT6_jjT7_P12ihipStream_tbENKUlT_T0_SI_SN_E_clIPxSD_S15_SD_EEDaS11_S12_SI_SN_EUlS11_E_NS1_11comp_targetILNS1_3genE3ELNS1_11target_archE908ELNS1_3gpuE7ELNS1_3repE0EEENS1_47radix_sort_onesweep_sort_config_static_selectorELNS0_4arch9wavefront6targetE1EEEvSI_.num_vgpr, 0
	.set _ZN7rocprim17ROCPRIM_400000_NS6detail17trampoline_kernelINS0_14default_configENS1_35radix_sort_onesweep_config_selectorIxxEEZZNS1_29radix_sort_onesweep_iterationIS3_Lb0EN6thrust23THRUST_200600_302600_NS6detail15normal_iteratorINS8_10device_ptrIxEEEESD_SD_SD_jNS0_19identity_decomposerENS1_16block_id_wrapperIjLb0EEEEE10hipError_tT1_PNSt15iterator_traitsISI_E10value_typeET2_T3_PNSJ_ISO_E10value_typeET4_T5_PST_SU_PNS1_23onesweep_lookback_stateEbbT6_jjT7_P12ihipStream_tbENKUlT_T0_SI_SN_E_clIPxSD_S15_SD_EEDaS11_S12_SI_SN_EUlS11_E_NS1_11comp_targetILNS1_3genE3ELNS1_11target_archE908ELNS1_3gpuE7ELNS1_3repE0EEENS1_47radix_sort_onesweep_sort_config_static_selectorELNS0_4arch9wavefront6targetE1EEEvSI_.num_agpr, 0
	.set _ZN7rocprim17ROCPRIM_400000_NS6detail17trampoline_kernelINS0_14default_configENS1_35radix_sort_onesweep_config_selectorIxxEEZZNS1_29radix_sort_onesweep_iterationIS3_Lb0EN6thrust23THRUST_200600_302600_NS6detail15normal_iteratorINS8_10device_ptrIxEEEESD_SD_SD_jNS0_19identity_decomposerENS1_16block_id_wrapperIjLb0EEEEE10hipError_tT1_PNSt15iterator_traitsISI_E10value_typeET2_T3_PNSJ_ISO_E10value_typeET4_T5_PST_SU_PNS1_23onesweep_lookback_stateEbbT6_jjT7_P12ihipStream_tbENKUlT_T0_SI_SN_E_clIPxSD_S15_SD_EEDaS11_S12_SI_SN_EUlS11_E_NS1_11comp_targetILNS1_3genE3ELNS1_11target_archE908ELNS1_3gpuE7ELNS1_3repE0EEENS1_47radix_sort_onesweep_sort_config_static_selectorELNS0_4arch9wavefront6targetE1EEEvSI_.numbered_sgpr, 0
	.set _ZN7rocprim17ROCPRIM_400000_NS6detail17trampoline_kernelINS0_14default_configENS1_35radix_sort_onesweep_config_selectorIxxEEZZNS1_29radix_sort_onesweep_iterationIS3_Lb0EN6thrust23THRUST_200600_302600_NS6detail15normal_iteratorINS8_10device_ptrIxEEEESD_SD_SD_jNS0_19identity_decomposerENS1_16block_id_wrapperIjLb0EEEEE10hipError_tT1_PNSt15iterator_traitsISI_E10value_typeET2_T3_PNSJ_ISO_E10value_typeET4_T5_PST_SU_PNS1_23onesweep_lookback_stateEbbT6_jjT7_P12ihipStream_tbENKUlT_T0_SI_SN_E_clIPxSD_S15_SD_EEDaS11_S12_SI_SN_EUlS11_E_NS1_11comp_targetILNS1_3genE3ELNS1_11target_archE908ELNS1_3gpuE7ELNS1_3repE0EEENS1_47radix_sort_onesweep_sort_config_static_selectorELNS0_4arch9wavefront6targetE1EEEvSI_.num_named_barrier, 0
	.set _ZN7rocprim17ROCPRIM_400000_NS6detail17trampoline_kernelINS0_14default_configENS1_35radix_sort_onesweep_config_selectorIxxEEZZNS1_29radix_sort_onesweep_iterationIS3_Lb0EN6thrust23THRUST_200600_302600_NS6detail15normal_iteratorINS8_10device_ptrIxEEEESD_SD_SD_jNS0_19identity_decomposerENS1_16block_id_wrapperIjLb0EEEEE10hipError_tT1_PNSt15iterator_traitsISI_E10value_typeET2_T3_PNSJ_ISO_E10value_typeET4_T5_PST_SU_PNS1_23onesweep_lookback_stateEbbT6_jjT7_P12ihipStream_tbENKUlT_T0_SI_SN_E_clIPxSD_S15_SD_EEDaS11_S12_SI_SN_EUlS11_E_NS1_11comp_targetILNS1_3genE3ELNS1_11target_archE908ELNS1_3gpuE7ELNS1_3repE0EEENS1_47radix_sort_onesweep_sort_config_static_selectorELNS0_4arch9wavefront6targetE1EEEvSI_.private_seg_size, 0
	.set _ZN7rocprim17ROCPRIM_400000_NS6detail17trampoline_kernelINS0_14default_configENS1_35radix_sort_onesweep_config_selectorIxxEEZZNS1_29radix_sort_onesweep_iterationIS3_Lb0EN6thrust23THRUST_200600_302600_NS6detail15normal_iteratorINS8_10device_ptrIxEEEESD_SD_SD_jNS0_19identity_decomposerENS1_16block_id_wrapperIjLb0EEEEE10hipError_tT1_PNSt15iterator_traitsISI_E10value_typeET2_T3_PNSJ_ISO_E10value_typeET4_T5_PST_SU_PNS1_23onesweep_lookback_stateEbbT6_jjT7_P12ihipStream_tbENKUlT_T0_SI_SN_E_clIPxSD_S15_SD_EEDaS11_S12_SI_SN_EUlS11_E_NS1_11comp_targetILNS1_3genE3ELNS1_11target_archE908ELNS1_3gpuE7ELNS1_3repE0EEENS1_47radix_sort_onesweep_sort_config_static_selectorELNS0_4arch9wavefront6targetE1EEEvSI_.uses_vcc, 0
	.set _ZN7rocprim17ROCPRIM_400000_NS6detail17trampoline_kernelINS0_14default_configENS1_35radix_sort_onesweep_config_selectorIxxEEZZNS1_29radix_sort_onesweep_iterationIS3_Lb0EN6thrust23THRUST_200600_302600_NS6detail15normal_iteratorINS8_10device_ptrIxEEEESD_SD_SD_jNS0_19identity_decomposerENS1_16block_id_wrapperIjLb0EEEEE10hipError_tT1_PNSt15iterator_traitsISI_E10value_typeET2_T3_PNSJ_ISO_E10value_typeET4_T5_PST_SU_PNS1_23onesweep_lookback_stateEbbT6_jjT7_P12ihipStream_tbENKUlT_T0_SI_SN_E_clIPxSD_S15_SD_EEDaS11_S12_SI_SN_EUlS11_E_NS1_11comp_targetILNS1_3genE3ELNS1_11target_archE908ELNS1_3gpuE7ELNS1_3repE0EEENS1_47radix_sort_onesweep_sort_config_static_selectorELNS0_4arch9wavefront6targetE1EEEvSI_.uses_flat_scratch, 0
	.set _ZN7rocprim17ROCPRIM_400000_NS6detail17trampoline_kernelINS0_14default_configENS1_35radix_sort_onesweep_config_selectorIxxEEZZNS1_29radix_sort_onesweep_iterationIS3_Lb0EN6thrust23THRUST_200600_302600_NS6detail15normal_iteratorINS8_10device_ptrIxEEEESD_SD_SD_jNS0_19identity_decomposerENS1_16block_id_wrapperIjLb0EEEEE10hipError_tT1_PNSt15iterator_traitsISI_E10value_typeET2_T3_PNSJ_ISO_E10value_typeET4_T5_PST_SU_PNS1_23onesweep_lookback_stateEbbT6_jjT7_P12ihipStream_tbENKUlT_T0_SI_SN_E_clIPxSD_S15_SD_EEDaS11_S12_SI_SN_EUlS11_E_NS1_11comp_targetILNS1_3genE3ELNS1_11target_archE908ELNS1_3gpuE7ELNS1_3repE0EEENS1_47radix_sort_onesweep_sort_config_static_selectorELNS0_4arch9wavefront6targetE1EEEvSI_.has_dyn_sized_stack, 0
	.set _ZN7rocprim17ROCPRIM_400000_NS6detail17trampoline_kernelINS0_14default_configENS1_35radix_sort_onesweep_config_selectorIxxEEZZNS1_29radix_sort_onesweep_iterationIS3_Lb0EN6thrust23THRUST_200600_302600_NS6detail15normal_iteratorINS8_10device_ptrIxEEEESD_SD_SD_jNS0_19identity_decomposerENS1_16block_id_wrapperIjLb0EEEEE10hipError_tT1_PNSt15iterator_traitsISI_E10value_typeET2_T3_PNSJ_ISO_E10value_typeET4_T5_PST_SU_PNS1_23onesweep_lookback_stateEbbT6_jjT7_P12ihipStream_tbENKUlT_T0_SI_SN_E_clIPxSD_S15_SD_EEDaS11_S12_SI_SN_EUlS11_E_NS1_11comp_targetILNS1_3genE3ELNS1_11target_archE908ELNS1_3gpuE7ELNS1_3repE0EEENS1_47radix_sort_onesweep_sort_config_static_selectorELNS0_4arch9wavefront6targetE1EEEvSI_.has_recursion, 0
	.set _ZN7rocprim17ROCPRIM_400000_NS6detail17trampoline_kernelINS0_14default_configENS1_35radix_sort_onesweep_config_selectorIxxEEZZNS1_29radix_sort_onesweep_iterationIS3_Lb0EN6thrust23THRUST_200600_302600_NS6detail15normal_iteratorINS8_10device_ptrIxEEEESD_SD_SD_jNS0_19identity_decomposerENS1_16block_id_wrapperIjLb0EEEEE10hipError_tT1_PNSt15iterator_traitsISI_E10value_typeET2_T3_PNSJ_ISO_E10value_typeET4_T5_PST_SU_PNS1_23onesweep_lookback_stateEbbT6_jjT7_P12ihipStream_tbENKUlT_T0_SI_SN_E_clIPxSD_S15_SD_EEDaS11_S12_SI_SN_EUlS11_E_NS1_11comp_targetILNS1_3genE3ELNS1_11target_archE908ELNS1_3gpuE7ELNS1_3repE0EEENS1_47radix_sort_onesweep_sort_config_static_selectorELNS0_4arch9wavefront6targetE1EEEvSI_.has_indirect_call, 0
	.section	.AMDGPU.csdata,"",@progbits
; Kernel info:
; codeLenInByte = 0
; TotalNumSgprs: 6
; NumVgprs: 0
; NumAgprs: 0
; TotalNumVgprs: 0
; ScratchSize: 0
; MemoryBound: 0
; FloatMode: 240
; IeeeMode: 1
; LDSByteSize: 0 bytes/workgroup (compile time only)
; SGPRBlocks: 0
; VGPRBlocks: 0
; NumSGPRsForWavesPerEU: 6
; NumVGPRsForWavesPerEU: 1
; AccumOffset: 4
; Occupancy: 8
; WaveLimiterHint : 0
; COMPUTE_PGM_RSRC2:SCRATCH_EN: 0
; COMPUTE_PGM_RSRC2:USER_SGPR: 2
; COMPUTE_PGM_RSRC2:TRAP_HANDLER: 0
; COMPUTE_PGM_RSRC2:TGID_X_EN: 1
; COMPUTE_PGM_RSRC2:TGID_Y_EN: 0
; COMPUTE_PGM_RSRC2:TGID_Z_EN: 0
; COMPUTE_PGM_RSRC2:TIDIG_COMP_CNT: 0
; COMPUTE_PGM_RSRC3_GFX90A:ACCUM_OFFSET: 0
; COMPUTE_PGM_RSRC3_GFX90A:TG_SPLIT: 0
	.section	.text._ZN7rocprim17ROCPRIM_400000_NS6detail17trampoline_kernelINS0_14default_configENS1_35radix_sort_onesweep_config_selectorIxxEEZZNS1_29radix_sort_onesweep_iterationIS3_Lb0EN6thrust23THRUST_200600_302600_NS6detail15normal_iteratorINS8_10device_ptrIxEEEESD_SD_SD_jNS0_19identity_decomposerENS1_16block_id_wrapperIjLb0EEEEE10hipError_tT1_PNSt15iterator_traitsISI_E10value_typeET2_T3_PNSJ_ISO_E10value_typeET4_T5_PST_SU_PNS1_23onesweep_lookback_stateEbbT6_jjT7_P12ihipStream_tbENKUlT_T0_SI_SN_E_clIPxSD_S15_SD_EEDaS11_S12_SI_SN_EUlS11_E_NS1_11comp_targetILNS1_3genE10ELNS1_11target_archE1201ELNS1_3gpuE5ELNS1_3repE0EEENS1_47radix_sort_onesweep_sort_config_static_selectorELNS0_4arch9wavefront6targetE1EEEvSI_,"axG",@progbits,_ZN7rocprim17ROCPRIM_400000_NS6detail17trampoline_kernelINS0_14default_configENS1_35radix_sort_onesweep_config_selectorIxxEEZZNS1_29radix_sort_onesweep_iterationIS3_Lb0EN6thrust23THRUST_200600_302600_NS6detail15normal_iteratorINS8_10device_ptrIxEEEESD_SD_SD_jNS0_19identity_decomposerENS1_16block_id_wrapperIjLb0EEEEE10hipError_tT1_PNSt15iterator_traitsISI_E10value_typeET2_T3_PNSJ_ISO_E10value_typeET4_T5_PST_SU_PNS1_23onesweep_lookback_stateEbbT6_jjT7_P12ihipStream_tbENKUlT_T0_SI_SN_E_clIPxSD_S15_SD_EEDaS11_S12_SI_SN_EUlS11_E_NS1_11comp_targetILNS1_3genE10ELNS1_11target_archE1201ELNS1_3gpuE5ELNS1_3repE0EEENS1_47radix_sort_onesweep_sort_config_static_selectorELNS0_4arch9wavefront6targetE1EEEvSI_,comdat
	.protected	_ZN7rocprim17ROCPRIM_400000_NS6detail17trampoline_kernelINS0_14default_configENS1_35radix_sort_onesweep_config_selectorIxxEEZZNS1_29radix_sort_onesweep_iterationIS3_Lb0EN6thrust23THRUST_200600_302600_NS6detail15normal_iteratorINS8_10device_ptrIxEEEESD_SD_SD_jNS0_19identity_decomposerENS1_16block_id_wrapperIjLb0EEEEE10hipError_tT1_PNSt15iterator_traitsISI_E10value_typeET2_T3_PNSJ_ISO_E10value_typeET4_T5_PST_SU_PNS1_23onesweep_lookback_stateEbbT6_jjT7_P12ihipStream_tbENKUlT_T0_SI_SN_E_clIPxSD_S15_SD_EEDaS11_S12_SI_SN_EUlS11_E_NS1_11comp_targetILNS1_3genE10ELNS1_11target_archE1201ELNS1_3gpuE5ELNS1_3repE0EEENS1_47radix_sort_onesweep_sort_config_static_selectorELNS0_4arch9wavefront6targetE1EEEvSI_ ; -- Begin function _ZN7rocprim17ROCPRIM_400000_NS6detail17trampoline_kernelINS0_14default_configENS1_35radix_sort_onesweep_config_selectorIxxEEZZNS1_29radix_sort_onesweep_iterationIS3_Lb0EN6thrust23THRUST_200600_302600_NS6detail15normal_iteratorINS8_10device_ptrIxEEEESD_SD_SD_jNS0_19identity_decomposerENS1_16block_id_wrapperIjLb0EEEEE10hipError_tT1_PNSt15iterator_traitsISI_E10value_typeET2_T3_PNSJ_ISO_E10value_typeET4_T5_PST_SU_PNS1_23onesweep_lookback_stateEbbT6_jjT7_P12ihipStream_tbENKUlT_T0_SI_SN_E_clIPxSD_S15_SD_EEDaS11_S12_SI_SN_EUlS11_E_NS1_11comp_targetILNS1_3genE10ELNS1_11target_archE1201ELNS1_3gpuE5ELNS1_3repE0EEENS1_47radix_sort_onesweep_sort_config_static_selectorELNS0_4arch9wavefront6targetE1EEEvSI_
	.globl	_ZN7rocprim17ROCPRIM_400000_NS6detail17trampoline_kernelINS0_14default_configENS1_35radix_sort_onesweep_config_selectorIxxEEZZNS1_29radix_sort_onesweep_iterationIS3_Lb0EN6thrust23THRUST_200600_302600_NS6detail15normal_iteratorINS8_10device_ptrIxEEEESD_SD_SD_jNS0_19identity_decomposerENS1_16block_id_wrapperIjLb0EEEEE10hipError_tT1_PNSt15iterator_traitsISI_E10value_typeET2_T3_PNSJ_ISO_E10value_typeET4_T5_PST_SU_PNS1_23onesweep_lookback_stateEbbT6_jjT7_P12ihipStream_tbENKUlT_T0_SI_SN_E_clIPxSD_S15_SD_EEDaS11_S12_SI_SN_EUlS11_E_NS1_11comp_targetILNS1_3genE10ELNS1_11target_archE1201ELNS1_3gpuE5ELNS1_3repE0EEENS1_47radix_sort_onesweep_sort_config_static_selectorELNS0_4arch9wavefront6targetE1EEEvSI_
	.p2align	8
	.type	_ZN7rocprim17ROCPRIM_400000_NS6detail17trampoline_kernelINS0_14default_configENS1_35radix_sort_onesweep_config_selectorIxxEEZZNS1_29radix_sort_onesweep_iterationIS3_Lb0EN6thrust23THRUST_200600_302600_NS6detail15normal_iteratorINS8_10device_ptrIxEEEESD_SD_SD_jNS0_19identity_decomposerENS1_16block_id_wrapperIjLb0EEEEE10hipError_tT1_PNSt15iterator_traitsISI_E10value_typeET2_T3_PNSJ_ISO_E10value_typeET4_T5_PST_SU_PNS1_23onesweep_lookback_stateEbbT6_jjT7_P12ihipStream_tbENKUlT_T0_SI_SN_E_clIPxSD_S15_SD_EEDaS11_S12_SI_SN_EUlS11_E_NS1_11comp_targetILNS1_3genE10ELNS1_11target_archE1201ELNS1_3gpuE5ELNS1_3repE0EEENS1_47radix_sort_onesweep_sort_config_static_selectorELNS0_4arch9wavefront6targetE1EEEvSI_,@function
_ZN7rocprim17ROCPRIM_400000_NS6detail17trampoline_kernelINS0_14default_configENS1_35radix_sort_onesweep_config_selectorIxxEEZZNS1_29radix_sort_onesweep_iterationIS3_Lb0EN6thrust23THRUST_200600_302600_NS6detail15normal_iteratorINS8_10device_ptrIxEEEESD_SD_SD_jNS0_19identity_decomposerENS1_16block_id_wrapperIjLb0EEEEE10hipError_tT1_PNSt15iterator_traitsISI_E10value_typeET2_T3_PNSJ_ISO_E10value_typeET4_T5_PST_SU_PNS1_23onesweep_lookback_stateEbbT6_jjT7_P12ihipStream_tbENKUlT_T0_SI_SN_E_clIPxSD_S15_SD_EEDaS11_S12_SI_SN_EUlS11_E_NS1_11comp_targetILNS1_3genE10ELNS1_11target_archE1201ELNS1_3gpuE5ELNS1_3repE0EEENS1_47radix_sort_onesweep_sort_config_static_selectorELNS0_4arch9wavefront6targetE1EEEvSI_: ; @_ZN7rocprim17ROCPRIM_400000_NS6detail17trampoline_kernelINS0_14default_configENS1_35radix_sort_onesweep_config_selectorIxxEEZZNS1_29radix_sort_onesweep_iterationIS3_Lb0EN6thrust23THRUST_200600_302600_NS6detail15normal_iteratorINS8_10device_ptrIxEEEESD_SD_SD_jNS0_19identity_decomposerENS1_16block_id_wrapperIjLb0EEEEE10hipError_tT1_PNSt15iterator_traitsISI_E10value_typeET2_T3_PNSJ_ISO_E10value_typeET4_T5_PST_SU_PNS1_23onesweep_lookback_stateEbbT6_jjT7_P12ihipStream_tbENKUlT_T0_SI_SN_E_clIPxSD_S15_SD_EEDaS11_S12_SI_SN_EUlS11_E_NS1_11comp_targetILNS1_3genE10ELNS1_11target_archE1201ELNS1_3gpuE5ELNS1_3repE0EEENS1_47radix_sort_onesweep_sort_config_static_selectorELNS0_4arch9wavefront6targetE1EEEvSI_
; %bb.0:
	.section	.rodata,"a",@progbits
	.p2align	6, 0x0
	.amdhsa_kernel _ZN7rocprim17ROCPRIM_400000_NS6detail17trampoline_kernelINS0_14default_configENS1_35radix_sort_onesweep_config_selectorIxxEEZZNS1_29radix_sort_onesweep_iterationIS3_Lb0EN6thrust23THRUST_200600_302600_NS6detail15normal_iteratorINS8_10device_ptrIxEEEESD_SD_SD_jNS0_19identity_decomposerENS1_16block_id_wrapperIjLb0EEEEE10hipError_tT1_PNSt15iterator_traitsISI_E10value_typeET2_T3_PNSJ_ISO_E10value_typeET4_T5_PST_SU_PNS1_23onesweep_lookback_stateEbbT6_jjT7_P12ihipStream_tbENKUlT_T0_SI_SN_E_clIPxSD_S15_SD_EEDaS11_S12_SI_SN_EUlS11_E_NS1_11comp_targetILNS1_3genE10ELNS1_11target_archE1201ELNS1_3gpuE5ELNS1_3repE0EEENS1_47radix_sort_onesweep_sort_config_static_selectorELNS0_4arch9wavefront6targetE1EEEvSI_
		.amdhsa_group_segment_fixed_size 0
		.amdhsa_private_segment_fixed_size 0
		.amdhsa_kernarg_size 88
		.amdhsa_user_sgpr_count 2
		.amdhsa_user_sgpr_dispatch_ptr 0
		.amdhsa_user_sgpr_queue_ptr 0
		.amdhsa_user_sgpr_kernarg_segment_ptr 1
		.amdhsa_user_sgpr_dispatch_id 0
		.amdhsa_user_sgpr_kernarg_preload_length 0
		.amdhsa_user_sgpr_kernarg_preload_offset 0
		.amdhsa_user_sgpr_private_segment_size 0
		.amdhsa_uses_dynamic_stack 0
		.amdhsa_enable_private_segment 0
		.amdhsa_system_sgpr_workgroup_id_x 1
		.amdhsa_system_sgpr_workgroup_id_y 0
		.amdhsa_system_sgpr_workgroup_id_z 0
		.amdhsa_system_sgpr_workgroup_info 0
		.amdhsa_system_vgpr_workitem_id 0
		.amdhsa_next_free_vgpr 1
		.amdhsa_next_free_sgpr 0
		.amdhsa_accum_offset 4
		.amdhsa_reserve_vcc 0
		.amdhsa_float_round_mode_32 0
		.amdhsa_float_round_mode_16_64 0
		.amdhsa_float_denorm_mode_32 3
		.amdhsa_float_denorm_mode_16_64 3
		.amdhsa_dx10_clamp 1
		.amdhsa_ieee_mode 1
		.amdhsa_fp16_overflow 0
		.amdhsa_tg_split 0
		.amdhsa_exception_fp_ieee_invalid_op 0
		.amdhsa_exception_fp_denorm_src 0
		.amdhsa_exception_fp_ieee_div_zero 0
		.amdhsa_exception_fp_ieee_overflow 0
		.amdhsa_exception_fp_ieee_underflow 0
		.amdhsa_exception_fp_ieee_inexact 0
		.amdhsa_exception_int_div_zero 0
	.end_amdhsa_kernel
	.section	.text._ZN7rocprim17ROCPRIM_400000_NS6detail17trampoline_kernelINS0_14default_configENS1_35radix_sort_onesweep_config_selectorIxxEEZZNS1_29radix_sort_onesweep_iterationIS3_Lb0EN6thrust23THRUST_200600_302600_NS6detail15normal_iteratorINS8_10device_ptrIxEEEESD_SD_SD_jNS0_19identity_decomposerENS1_16block_id_wrapperIjLb0EEEEE10hipError_tT1_PNSt15iterator_traitsISI_E10value_typeET2_T3_PNSJ_ISO_E10value_typeET4_T5_PST_SU_PNS1_23onesweep_lookback_stateEbbT6_jjT7_P12ihipStream_tbENKUlT_T0_SI_SN_E_clIPxSD_S15_SD_EEDaS11_S12_SI_SN_EUlS11_E_NS1_11comp_targetILNS1_3genE10ELNS1_11target_archE1201ELNS1_3gpuE5ELNS1_3repE0EEENS1_47radix_sort_onesweep_sort_config_static_selectorELNS0_4arch9wavefront6targetE1EEEvSI_,"axG",@progbits,_ZN7rocprim17ROCPRIM_400000_NS6detail17trampoline_kernelINS0_14default_configENS1_35radix_sort_onesweep_config_selectorIxxEEZZNS1_29radix_sort_onesweep_iterationIS3_Lb0EN6thrust23THRUST_200600_302600_NS6detail15normal_iteratorINS8_10device_ptrIxEEEESD_SD_SD_jNS0_19identity_decomposerENS1_16block_id_wrapperIjLb0EEEEE10hipError_tT1_PNSt15iterator_traitsISI_E10value_typeET2_T3_PNSJ_ISO_E10value_typeET4_T5_PST_SU_PNS1_23onesweep_lookback_stateEbbT6_jjT7_P12ihipStream_tbENKUlT_T0_SI_SN_E_clIPxSD_S15_SD_EEDaS11_S12_SI_SN_EUlS11_E_NS1_11comp_targetILNS1_3genE10ELNS1_11target_archE1201ELNS1_3gpuE5ELNS1_3repE0EEENS1_47radix_sort_onesweep_sort_config_static_selectorELNS0_4arch9wavefront6targetE1EEEvSI_,comdat
.Lfunc_end1248:
	.size	_ZN7rocprim17ROCPRIM_400000_NS6detail17trampoline_kernelINS0_14default_configENS1_35radix_sort_onesweep_config_selectorIxxEEZZNS1_29radix_sort_onesweep_iterationIS3_Lb0EN6thrust23THRUST_200600_302600_NS6detail15normal_iteratorINS8_10device_ptrIxEEEESD_SD_SD_jNS0_19identity_decomposerENS1_16block_id_wrapperIjLb0EEEEE10hipError_tT1_PNSt15iterator_traitsISI_E10value_typeET2_T3_PNSJ_ISO_E10value_typeET4_T5_PST_SU_PNS1_23onesweep_lookback_stateEbbT6_jjT7_P12ihipStream_tbENKUlT_T0_SI_SN_E_clIPxSD_S15_SD_EEDaS11_S12_SI_SN_EUlS11_E_NS1_11comp_targetILNS1_3genE10ELNS1_11target_archE1201ELNS1_3gpuE5ELNS1_3repE0EEENS1_47radix_sort_onesweep_sort_config_static_selectorELNS0_4arch9wavefront6targetE1EEEvSI_, .Lfunc_end1248-_ZN7rocprim17ROCPRIM_400000_NS6detail17trampoline_kernelINS0_14default_configENS1_35radix_sort_onesweep_config_selectorIxxEEZZNS1_29radix_sort_onesweep_iterationIS3_Lb0EN6thrust23THRUST_200600_302600_NS6detail15normal_iteratorINS8_10device_ptrIxEEEESD_SD_SD_jNS0_19identity_decomposerENS1_16block_id_wrapperIjLb0EEEEE10hipError_tT1_PNSt15iterator_traitsISI_E10value_typeET2_T3_PNSJ_ISO_E10value_typeET4_T5_PST_SU_PNS1_23onesweep_lookback_stateEbbT6_jjT7_P12ihipStream_tbENKUlT_T0_SI_SN_E_clIPxSD_S15_SD_EEDaS11_S12_SI_SN_EUlS11_E_NS1_11comp_targetILNS1_3genE10ELNS1_11target_archE1201ELNS1_3gpuE5ELNS1_3repE0EEENS1_47radix_sort_onesweep_sort_config_static_selectorELNS0_4arch9wavefront6targetE1EEEvSI_
                                        ; -- End function
	.set _ZN7rocprim17ROCPRIM_400000_NS6detail17trampoline_kernelINS0_14default_configENS1_35radix_sort_onesweep_config_selectorIxxEEZZNS1_29radix_sort_onesweep_iterationIS3_Lb0EN6thrust23THRUST_200600_302600_NS6detail15normal_iteratorINS8_10device_ptrIxEEEESD_SD_SD_jNS0_19identity_decomposerENS1_16block_id_wrapperIjLb0EEEEE10hipError_tT1_PNSt15iterator_traitsISI_E10value_typeET2_T3_PNSJ_ISO_E10value_typeET4_T5_PST_SU_PNS1_23onesweep_lookback_stateEbbT6_jjT7_P12ihipStream_tbENKUlT_T0_SI_SN_E_clIPxSD_S15_SD_EEDaS11_S12_SI_SN_EUlS11_E_NS1_11comp_targetILNS1_3genE10ELNS1_11target_archE1201ELNS1_3gpuE5ELNS1_3repE0EEENS1_47radix_sort_onesweep_sort_config_static_selectorELNS0_4arch9wavefront6targetE1EEEvSI_.num_vgpr, 0
	.set _ZN7rocprim17ROCPRIM_400000_NS6detail17trampoline_kernelINS0_14default_configENS1_35radix_sort_onesweep_config_selectorIxxEEZZNS1_29radix_sort_onesweep_iterationIS3_Lb0EN6thrust23THRUST_200600_302600_NS6detail15normal_iteratorINS8_10device_ptrIxEEEESD_SD_SD_jNS0_19identity_decomposerENS1_16block_id_wrapperIjLb0EEEEE10hipError_tT1_PNSt15iterator_traitsISI_E10value_typeET2_T3_PNSJ_ISO_E10value_typeET4_T5_PST_SU_PNS1_23onesweep_lookback_stateEbbT6_jjT7_P12ihipStream_tbENKUlT_T0_SI_SN_E_clIPxSD_S15_SD_EEDaS11_S12_SI_SN_EUlS11_E_NS1_11comp_targetILNS1_3genE10ELNS1_11target_archE1201ELNS1_3gpuE5ELNS1_3repE0EEENS1_47radix_sort_onesweep_sort_config_static_selectorELNS0_4arch9wavefront6targetE1EEEvSI_.num_agpr, 0
	.set _ZN7rocprim17ROCPRIM_400000_NS6detail17trampoline_kernelINS0_14default_configENS1_35radix_sort_onesweep_config_selectorIxxEEZZNS1_29radix_sort_onesweep_iterationIS3_Lb0EN6thrust23THRUST_200600_302600_NS6detail15normal_iteratorINS8_10device_ptrIxEEEESD_SD_SD_jNS0_19identity_decomposerENS1_16block_id_wrapperIjLb0EEEEE10hipError_tT1_PNSt15iterator_traitsISI_E10value_typeET2_T3_PNSJ_ISO_E10value_typeET4_T5_PST_SU_PNS1_23onesweep_lookback_stateEbbT6_jjT7_P12ihipStream_tbENKUlT_T0_SI_SN_E_clIPxSD_S15_SD_EEDaS11_S12_SI_SN_EUlS11_E_NS1_11comp_targetILNS1_3genE10ELNS1_11target_archE1201ELNS1_3gpuE5ELNS1_3repE0EEENS1_47radix_sort_onesweep_sort_config_static_selectorELNS0_4arch9wavefront6targetE1EEEvSI_.numbered_sgpr, 0
	.set _ZN7rocprim17ROCPRIM_400000_NS6detail17trampoline_kernelINS0_14default_configENS1_35radix_sort_onesweep_config_selectorIxxEEZZNS1_29radix_sort_onesweep_iterationIS3_Lb0EN6thrust23THRUST_200600_302600_NS6detail15normal_iteratorINS8_10device_ptrIxEEEESD_SD_SD_jNS0_19identity_decomposerENS1_16block_id_wrapperIjLb0EEEEE10hipError_tT1_PNSt15iterator_traitsISI_E10value_typeET2_T3_PNSJ_ISO_E10value_typeET4_T5_PST_SU_PNS1_23onesweep_lookback_stateEbbT6_jjT7_P12ihipStream_tbENKUlT_T0_SI_SN_E_clIPxSD_S15_SD_EEDaS11_S12_SI_SN_EUlS11_E_NS1_11comp_targetILNS1_3genE10ELNS1_11target_archE1201ELNS1_3gpuE5ELNS1_3repE0EEENS1_47radix_sort_onesweep_sort_config_static_selectorELNS0_4arch9wavefront6targetE1EEEvSI_.num_named_barrier, 0
	.set _ZN7rocprim17ROCPRIM_400000_NS6detail17trampoline_kernelINS0_14default_configENS1_35radix_sort_onesweep_config_selectorIxxEEZZNS1_29radix_sort_onesweep_iterationIS3_Lb0EN6thrust23THRUST_200600_302600_NS6detail15normal_iteratorINS8_10device_ptrIxEEEESD_SD_SD_jNS0_19identity_decomposerENS1_16block_id_wrapperIjLb0EEEEE10hipError_tT1_PNSt15iterator_traitsISI_E10value_typeET2_T3_PNSJ_ISO_E10value_typeET4_T5_PST_SU_PNS1_23onesweep_lookback_stateEbbT6_jjT7_P12ihipStream_tbENKUlT_T0_SI_SN_E_clIPxSD_S15_SD_EEDaS11_S12_SI_SN_EUlS11_E_NS1_11comp_targetILNS1_3genE10ELNS1_11target_archE1201ELNS1_3gpuE5ELNS1_3repE0EEENS1_47radix_sort_onesweep_sort_config_static_selectorELNS0_4arch9wavefront6targetE1EEEvSI_.private_seg_size, 0
	.set _ZN7rocprim17ROCPRIM_400000_NS6detail17trampoline_kernelINS0_14default_configENS1_35radix_sort_onesweep_config_selectorIxxEEZZNS1_29radix_sort_onesweep_iterationIS3_Lb0EN6thrust23THRUST_200600_302600_NS6detail15normal_iteratorINS8_10device_ptrIxEEEESD_SD_SD_jNS0_19identity_decomposerENS1_16block_id_wrapperIjLb0EEEEE10hipError_tT1_PNSt15iterator_traitsISI_E10value_typeET2_T3_PNSJ_ISO_E10value_typeET4_T5_PST_SU_PNS1_23onesweep_lookback_stateEbbT6_jjT7_P12ihipStream_tbENKUlT_T0_SI_SN_E_clIPxSD_S15_SD_EEDaS11_S12_SI_SN_EUlS11_E_NS1_11comp_targetILNS1_3genE10ELNS1_11target_archE1201ELNS1_3gpuE5ELNS1_3repE0EEENS1_47radix_sort_onesweep_sort_config_static_selectorELNS0_4arch9wavefront6targetE1EEEvSI_.uses_vcc, 0
	.set _ZN7rocprim17ROCPRIM_400000_NS6detail17trampoline_kernelINS0_14default_configENS1_35radix_sort_onesweep_config_selectorIxxEEZZNS1_29radix_sort_onesweep_iterationIS3_Lb0EN6thrust23THRUST_200600_302600_NS6detail15normal_iteratorINS8_10device_ptrIxEEEESD_SD_SD_jNS0_19identity_decomposerENS1_16block_id_wrapperIjLb0EEEEE10hipError_tT1_PNSt15iterator_traitsISI_E10value_typeET2_T3_PNSJ_ISO_E10value_typeET4_T5_PST_SU_PNS1_23onesweep_lookback_stateEbbT6_jjT7_P12ihipStream_tbENKUlT_T0_SI_SN_E_clIPxSD_S15_SD_EEDaS11_S12_SI_SN_EUlS11_E_NS1_11comp_targetILNS1_3genE10ELNS1_11target_archE1201ELNS1_3gpuE5ELNS1_3repE0EEENS1_47radix_sort_onesweep_sort_config_static_selectorELNS0_4arch9wavefront6targetE1EEEvSI_.uses_flat_scratch, 0
	.set _ZN7rocprim17ROCPRIM_400000_NS6detail17trampoline_kernelINS0_14default_configENS1_35radix_sort_onesweep_config_selectorIxxEEZZNS1_29radix_sort_onesweep_iterationIS3_Lb0EN6thrust23THRUST_200600_302600_NS6detail15normal_iteratorINS8_10device_ptrIxEEEESD_SD_SD_jNS0_19identity_decomposerENS1_16block_id_wrapperIjLb0EEEEE10hipError_tT1_PNSt15iterator_traitsISI_E10value_typeET2_T3_PNSJ_ISO_E10value_typeET4_T5_PST_SU_PNS1_23onesweep_lookback_stateEbbT6_jjT7_P12ihipStream_tbENKUlT_T0_SI_SN_E_clIPxSD_S15_SD_EEDaS11_S12_SI_SN_EUlS11_E_NS1_11comp_targetILNS1_3genE10ELNS1_11target_archE1201ELNS1_3gpuE5ELNS1_3repE0EEENS1_47radix_sort_onesweep_sort_config_static_selectorELNS0_4arch9wavefront6targetE1EEEvSI_.has_dyn_sized_stack, 0
	.set _ZN7rocprim17ROCPRIM_400000_NS6detail17trampoline_kernelINS0_14default_configENS1_35radix_sort_onesweep_config_selectorIxxEEZZNS1_29radix_sort_onesweep_iterationIS3_Lb0EN6thrust23THRUST_200600_302600_NS6detail15normal_iteratorINS8_10device_ptrIxEEEESD_SD_SD_jNS0_19identity_decomposerENS1_16block_id_wrapperIjLb0EEEEE10hipError_tT1_PNSt15iterator_traitsISI_E10value_typeET2_T3_PNSJ_ISO_E10value_typeET4_T5_PST_SU_PNS1_23onesweep_lookback_stateEbbT6_jjT7_P12ihipStream_tbENKUlT_T0_SI_SN_E_clIPxSD_S15_SD_EEDaS11_S12_SI_SN_EUlS11_E_NS1_11comp_targetILNS1_3genE10ELNS1_11target_archE1201ELNS1_3gpuE5ELNS1_3repE0EEENS1_47radix_sort_onesweep_sort_config_static_selectorELNS0_4arch9wavefront6targetE1EEEvSI_.has_recursion, 0
	.set _ZN7rocprim17ROCPRIM_400000_NS6detail17trampoline_kernelINS0_14default_configENS1_35radix_sort_onesweep_config_selectorIxxEEZZNS1_29radix_sort_onesweep_iterationIS3_Lb0EN6thrust23THRUST_200600_302600_NS6detail15normal_iteratorINS8_10device_ptrIxEEEESD_SD_SD_jNS0_19identity_decomposerENS1_16block_id_wrapperIjLb0EEEEE10hipError_tT1_PNSt15iterator_traitsISI_E10value_typeET2_T3_PNSJ_ISO_E10value_typeET4_T5_PST_SU_PNS1_23onesweep_lookback_stateEbbT6_jjT7_P12ihipStream_tbENKUlT_T0_SI_SN_E_clIPxSD_S15_SD_EEDaS11_S12_SI_SN_EUlS11_E_NS1_11comp_targetILNS1_3genE10ELNS1_11target_archE1201ELNS1_3gpuE5ELNS1_3repE0EEENS1_47radix_sort_onesweep_sort_config_static_selectorELNS0_4arch9wavefront6targetE1EEEvSI_.has_indirect_call, 0
	.section	.AMDGPU.csdata,"",@progbits
; Kernel info:
; codeLenInByte = 0
; TotalNumSgprs: 6
; NumVgprs: 0
; NumAgprs: 0
; TotalNumVgprs: 0
; ScratchSize: 0
; MemoryBound: 0
; FloatMode: 240
; IeeeMode: 1
; LDSByteSize: 0 bytes/workgroup (compile time only)
; SGPRBlocks: 0
; VGPRBlocks: 0
; NumSGPRsForWavesPerEU: 6
; NumVGPRsForWavesPerEU: 1
; AccumOffset: 4
; Occupancy: 8
; WaveLimiterHint : 0
; COMPUTE_PGM_RSRC2:SCRATCH_EN: 0
; COMPUTE_PGM_RSRC2:USER_SGPR: 2
; COMPUTE_PGM_RSRC2:TRAP_HANDLER: 0
; COMPUTE_PGM_RSRC2:TGID_X_EN: 1
; COMPUTE_PGM_RSRC2:TGID_Y_EN: 0
; COMPUTE_PGM_RSRC2:TGID_Z_EN: 0
; COMPUTE_PGM_RSRC2:TIDIG_COMP_CNT: 0
; COMPUTE_PGM_RSRC3_GFX90A:ACCUM_OFFSET: 0
; COMPUTE_PGM_RSRC3_GFX90A:TG_SPLIT: 0
	.section	.text._ZN7rocprim17ROCPRIM_400000_NS6detail17trampoline_kernelINS0_14default_configENS1_35radix_sort_onesweep_config_selectorIxxEEZZNS1_29radix_sort_onesweep_iterationIS3_Lb0EN6thrust23THRUST_200600_302600_NS6detail15normal_iteratorINS8_10device_ptrIxEEEESD_SD_SD_jNS0_19identity_decomposerENS1_16block_id_wrapperIjLb0EEEEE10hipError_tT1_PNSt15iterator_traitsISI_E10value_typeET2_T3_PNSJ_ISO_E10value_typeET4_T5_PST_SU_PNS1_23onesweep_lookback_stateEbbT6_jjT7_P12ihipStream_tbENKUlT_T0_SI_SN_E_clIPxSD_S15_SD_EEDaS11_S12_SI_SN_EUlS11_E_NS1_11comp_targetILNS1_3genE9ELNS1_11target_archE1100ELNS1_3gpuE3ELNS1_3repE0EEENS1_47radix_sort_onesweep_sort_config_static_selectorELNS0_4arch9wavefront6targetE1EEEvSI_,"axG",@progbits,_ZN7rocprim17ROCPRIM_400000_NS6detail17trampoline_kernelINS0_14default_configENS1_35radix_sort_onesweep_config_selectorIxxEEZZNS1_29radix_sort_onesweep_iterationIS3_Lb0EN6thrust23THRUST_200600_302600_NS6detail15normal_iteratorINS8_10device_ptrIxEEEESD_SD_SD_jNS0_19identity_decomposerENS1_16block_id_wrapperIjLb0EEEEE10hipError_tT1_PNSt15iterator_traitsISI_E10value_typeET2_T3_PNSJ_ISO_E10value_typeET4_T5_PST_SU_PNS1_23onesweep_lookback_stateEbbT6_jjT7_P12ihipStream_tbENKUlT_T0_SI_SN_E_clIPxSD_S15_SD_EEDaS11_S12_SI_SN_EUlS11_E_NS1_11comp_targetILNS1_3genE9ELNS1_11target_archE1100ELNS1_3gpuE3ELNS1_3repE0EEENS1_47radix_sort_onesweep_sort_config_static_selectorELNS0_4arch9wavefront6targetE1EEEvSI_,comdat
	.protected	_ZN7rocprim17ROCPRIM_400000_NS6detail17trampoline_kernelINS0_14default_configENS1_35radix_sort_onesweep_config_selectorIxxEEZZNS1_29radix_sort_onesweep_iterationIS3_Lb0EN6thrust23THRUST_200600_302600_NS6detail15normal_iteratorINS8_10device_ptrIxEEEESD_SD_SD_jNS0_19identity_decomposerENS1_16block_id_wrapperIjLb0EEEEE10hipError_tT1_PNSt15iterator_traitsISI_E10value_typeET2_T3_PNSJ_ISO_E10value_typeET4_T5_PST_SU_PNS1_23onesweep_lookback_stateEbbT6_jjT7_P12ihipStream_tbENKUlT_T0_SI_SN_E_clIPxSD_S15_SD_EEDaS11_S12_SI_SN_EUlS11_E_NS1_11comp_targetILNS1_3genE9ELNS1_11target_archE1100ELNS1_3gpuE3ELNS1_3repE0EEENS1_47radix_sort_onesweep_sort_config_static_selectorELNS0_4arch9wavefront6targetE1EEEvSI_ ; -- Begin function _ZN7rocprim17ROCPRIM_400000_NS6detail17trampoline_kernelINS0_14default_configENS1_35radix_sort_onesweep_config_selectorIxxEEZZNS1_29radix_sort_onesweep_iterationIS3_Lb0EN6thrust23THRUST_200600_302600_NS6detail15normal_iteratorINS8_10device_ptrIxEEEESD_SD_SD_jNS0_19identity_decomposerENS1_16block_id_wrapperIjLb0EEEEE10hipError_tT1_PNSt15iterator_traitsISI_E10value_typeET2_T3_PNSJ_ISO_E10value_typeET4_T5_PST_SU_PNS1_23onesweep_lookback_stateEbbT6_jjT7_P12ihipStream_tbENKUlT_T0_SI_SN_E_clIPxSD_S15_SD_EEDaS11_S12_SI_SN_EUlS11_E_NS1_11comp_targetILNS1_3genE9ELNS1_11target_archE1100ELNS1_3gpuE3ELNS1_3repE0EEENS1_47radix_sort_onesweep_sort_config_static_selectorELNS0_4arch9wavefront6targetE1EEEvSI_
	.globl	_ZN7rocprim17ROCPRIM_400000_NS6detail17trampoline_kernelINS0_14default_configENS1_35radix_sort_onesweep_config_selectorIxxEEZZNS1_29radix_sort_onesweep_iterationIS3_Lb0EN6thrust23THRUST_200600_302600_NS6detail15normal_iteratorINS8_10device_ptrIxEEEESD_SD_SD_jNS0_19identity_decomposerENS1_16block_id_wrapperIjLb0EEEEE10hipError_tT1_PNSt15iterator_traitsISI_E10value_typeET2_T3_PNSJ_ISO_E10value_typeET4_T5_PST_SU_PNS1_23onesweep_lookback_stateEbbT6_jjT7_P12ihipStream_tbENKUlT_T0_SI_SN_E_clIPxSD_S15_SD_EEDaS11_S12_SI_SN_EUlS11_E_NS1_11comp_targetILNS1_3genE9ELNS1_11target_archE1100ELNS1_3gpuE3ELNS1_3repE0EEENS1_47radix_sort_onesweep_sort_config_static_selectorELNS0_4arch9wavefront6targetE1EEEvSI_
	.p2align	8
	.type	_ZN7rocprim17ROCPRIM_400000_NS6detail17trampoline_kernelINS0_14default_configENS1_35radix_sort_onesweep_config_selectorIxxEEZZNS1_29radix_sort_onesweep_iterationIS3_Lb0EN6thrust23THRUST_200600_302600_NS6detail15normal_iteratorINS8_10device_ptrIxEEEESD_SD_SD_jNS0_19identity_decomposerENS1_16block_id_wrapperIjLb0EEEEE10hipError_tT1_PNSt15iterator_traitsISI_E10value_typeET2_T3_PNSJ_ISO_E10value_typeET4_T5_PST_SU_PNS1_23onesweep_lookback_stateEbbT6_jjT7_P12ihipStream_tbENKUlT_T0_SI_SN_E_clIPxSD_S15_SD_EEDaS11_S12_SI_SN_EUlS11_E_NS1_11comp_targetILNS1_3genE9ELNS1_11target_archE1100ELNS1_3gpuE3ELNS1_3repE0EEENS1_47radix_sort_onesweep_sort_config_static_selectorELNS0_4arch9wavefront6targetE1EEEvSI_,@function
_ZN7rocprim17ROCPRIM_400000_NS6detail17trampoline_kernelINS0_14default_configENS1_35radix_sort_onesweep_config_selectorIxxEEZZNS1_29radix_sort_onesweep_iterationIS3_Lb0EN6thrust23THRUST_200600_302600_NS6detail15normal_iteratorINS8_10device_ptrIxEEEESD_SD_SD_jNS0_19identity_decomposerENS1_16block_id_wrapperIjLb0EEEEE10hipError_tT1_PNSt15iterator_traitsISI_E10value_typeET2_T3_PNSJ_ISO_E10value_typeET4_T5_PST_SU_PNS1_23onesweep_lookback_stateEbbT6_jjT7_P12ihipStream_tbENKUlT_T0_SI_SN_E_clIPxSD_S15_SD_EEDaS11_S12_SI_SN_EUlS11_E_NS1_11comp_targetILNS1_3genE9ELNS1_11target_archE1100ELNS1_3gpuE3ELNS1_3repE0EEENS1_47radix_sort_onesweep_sort_config_static_selectorELNS0_4arch9wavefront6targetE1EEEvSI_: ; @_ZN7rocprim17ROCPRIM_400000_NS6detail17trampoline_kernelINS0_14default_configENS1_35radix_sort_onesweep_config_selectorIxxEEZZNS1_29radix_sort_onesweep_iterationIS3_Lb0EN6thrust23THRUST_200600_302600_NS6detail15normal_iteratorINS8_10device_ptrIxEEEESD_SD_SD_jNS0_19identity_decomposerENS1_16block_id_wrapperIjLb0EEEEE10hipError_tT1_PNSt15iterator_traitsISI_E10value_typeET2_T3_PNSJ_ISO_E10value_typeET4_T5_PST_SU_PNS1_23onesweep_lookback_stateEbbT6_jjT7_P12ihipStream_tbENKUlT_T0_SI_SN_E_clIPxSD_S15_SD_EEDaS11_S12_SI_SN_EUlS11_E_NS1_11comp_targetILNS1_3genE9ELNS1_11target_archE1100ELNS1_3gpuE3ELNS1_3repE0EEENS1_47radix_sort_onesweep_sort_config_static_selectorELNS0_4arch9wavefront6targetE1EEEvSI_
; %bb.0:
	.section	.rodata,"a",@progbits
	.p2align	6, 0x0
	.amdhsa_kernel _ZN7rocprim17ROCPRIM_400000_NS6detail17trampoline_kernelINS0_14default_configENS1_35radix_sort_onesweep_config_selectorIxxEEZZNS1_29radix_sort_onesweep_iterationIS3_Lb0EN6thrust23THRUST_200600_302600_NS6detail15normal_iteratorINS8_10device_ptrIxEEEESD_SD_SD_jNS0_19identity_decomposerENS1_16block_id_wrapperIjLb0EEEEE10hipError_tT1_PNSt15iterator_traitsISI_E10value_typeET2_T3_PNSJ_ISO_E10value_typeET4_T5_PST_SU_PNS1_23onesweep_lookback_stateEbbT6_jjT7_P12ihipStream_tbENKUlT_T0_SI_SN_E_clIPxSD_S15_SD_EEDaS11_S12_SI_SN_EUlS11_E_NS1_11comp_targetILNS1_3genE9ELNS1_11target_archE1100ELNS1_3gpuE3ELNS1_3repE0EEENS1_47radix_sort_onesweep_sort_config_static_selectorELNS0_4arch9wavefront6targetE1EEEvSI_
		.amdhsa_group_segment_fixed_size 0
		.amdhsa_private_segment_fixed_size 0
		.amdhsa_kernarg_size 88
		.amdhsa_user_sgpr_count 2
		.amdhsa_user_sgpr_dispatch_ptr 0
		.amdhsa_user_sgpr_queue_ptr 0
		.amdhsa_user_sgpr_kernarg_segment_ptr 1
		.amdhsa_user_sgpr_dispatch_id 0
		.amdhsa_user_sgpr_kernarg_preload_length 0
		.amdhsa_user_sgpr_kernarg_preload_offset 0
		.amdhsa_user_sgpr_private_segment_size 0
		.amdhsa_uses_dynamic_stack 0
		.amdhsa_enable_private_segment 0
		.amdhsa_system_sgpr_workgroup_id_x 1
		.amdhsa_system_sgpr_workgroup_id_y 0
		.amdhsa_system_sgpr_workgroup_id_z 0
		.amdhsa_system_sgpr_workgroup_info 0
		.amdhsa_system_vgpr_workitem_id 0
		.amdhsa_next_free_vgpr 1
		.amdhsa_next_free_sgpr 0
		.amdhsa_accum_offset 4
		.amdhsa_reserve_vcc 0
		.amdhsa_float_round_mode_32 0
		.amdhsa_float_round_mode_16_64 0
		.amdhsa_float_denorm_mode_32 3
		.amdhsa_float_denorm_mode_16_64 3
		.amdhsa_dx10_clamp 1
		.amdhsa_ieee_mode 1
		.amdhsa_fp16_overflow 0
		.amdhsa_tg_split 0
		.amdhsa_exception_fp_ieee_invalid_op 0
		.amdhsa_exception_fp_denorm_src 0
		.amdhsa_exception_fp_ieee_div_zero 0
		.amdhsa_exception_fp_ieee_overflow 0
		.amdhsa_exception_fp_ieee_underflow 0
		.amdhsa_exception_fp_ieee_inexact 0
		.amdhsa_exception_int_div_zero 0
	.end_amdhsa_kernel
	.section	.text._ZN7rocprim17ROCPRIM_400000_NS6detail17trampoline_kernelINS0_14default_configENS1_35radix_sort_onesweep_config_selectorIxxEEZZNS1_29radix_sort_onesweep_iterationIS3_Lb0EN6thrust23THRUST_200600_302600_NS6detail15normal_iteratorINS8_10device_ptrIxEEEESD_SD_SD_jNS0_19identity_decomposerENS1_16block_id_wrapperIjLb0EEEEE10hipError_tT1_PNSt15iterator_traitsISI_E10value_typeET2_T3_PNSJ_ISO_E10value_typeET4_T5_PST_SU_PNS1_23onesweep_lookback_stateEbbT6_jjT7_P12ihipStream_tbENKUlT_T0_SI_SN_E_clIPxSD_S15_SD_EEDaS11_S12_SI_SN_EUlS11_E_NS1_11comp_targetILNS1_3genE9ELNS1_11target_archE1100ELNS1_3gpuE3ELNS1_3repE0EEENS1_47radix_sort_onesweep_sort_config_static_selectorELNS0_4arch9wavefront6targetE1EEEvSI_,"axG",@progbits,_ZN7rocprim17ROCPRIM_400000_NS6detail17trampoline_kernelINS0_14default_configENS1_35radix_sort_onesweep_config_selectorIxxEEZZNS1_29radix_sort_onesweep_iterationIS3_Lb0EN6thrust23THRUST_200600_302600_NS6detail15normal_iteratorINS8_10device_ptrIxEEEESD_SD_SD_jNS0_19identity_decomposerENS1_16block_id_wrapperIjLb0EEEEE10hipError_tT1_PNSt15iterator_traitsISI_E10value_typeET2_T3_PNSJ_ISO_E10value_typeET4_T5_PST_SU_PNS1_23onesweep_lookback_stateEbbT6_jjT7_P12ihipStream_tbENKUlT_T0_SI_SN_E_clIPxSD_S15_SD_EEDaS11_S12_SI_SN_EUlS11_E_NS1_11comp_targetILNS1_3genE9ELNS1_11target_archE1100ELNS1_3gpuE3ELNS1_3repE0EEENS1_47radix_sort_onesweep_sort_config_static_selectorELNS0_4arch9wavefront6targetE1EEEvSI_,comdat
.Lfunc_end1249:
	.size	_ZN7rocprim17ROCPRIM_400000_NS6detail17trampoline_kernelINS0_14default_configENS1_35radix_sort_onesweep_config_selectorIxxEEZZNS1_29radix_sort_onesweep_iterationIS3_Lb0EN6thrust23THRUST_200600_302600_NS6detail15normal_iteratorINS8_10device_ptrIxEEEESD_SD_SD_jNS0_19identity_decomposerENS1_16block_id_wrapperIjLb0EEEEE10hipError_tT1_PNSt15iterator_traitsISI_E10value_typeET2_T3_PNSJ_ISO_E10value_typeET4_T5_PST_SU_PNS1_23onesweep_lookback_stateEbbT6_jjT7_P12ihipStream_tbENKUlT_T0_SI_SN_E_clIPxSD_S15_SD_EEDaS11_S12_SI_SN_EUlS11_E_NS1_11comp_targetILNS1_3genE9ELNS1_11target_archE1100ELNS1_3gpuE3ELNS1_3repE0EEENS1_47radix_sort_onesweep_sort_config_static_selectorELNS0_4arch9wavefront6targetE1EEEvSI_, .Lfunc_end1249-_ZN7rocprim17ROCPRIM_400000_NS6detail17trampoline_kernelINS0_14default_configENS1_35radix_sort_onesweep_config_selectorIxxEEZZNS1_29radix_sort_onesweep_iterationIS3_Lb0EN6thrust23THRUST_200600_302600_NS6detail15normal_iteratorINS8_10device_ptrIxEEEESD_SD_SD_jNS0_19identity_decomposerENS1_16block_id_wrapperIjLb0EEEEE10hipError_tT1_PNSt15iterator_traitsISI_E10value_typeET2_T3_PNSJ_ISO_E10value_typeET4_T5_PST_SU_PNS1_23onesweep_lookback_stateEbbT6_jjT7_P12ihipStream_tbENKUlT_T0_SI_SN_E_clIPxSD_S15_SD_EEDaS11_S12_SI_SN_EUlS11_E_NS1_11comp_targetILNS1_3genE9ELNS1_11target_archE1100ELNS1_3gpuE3ELNS1_3repE0EEENS1_47radix_sort_onesweep_sort_config_static_selectorELNS0_4arch9wavefront6targetE1EEEvSI_
                                        ; -- End function
	.set _ZN7rocprim17ROCPRIM_400000_NS6detail17trampoline_kernelINS0_14default_configENS1_35radix_sort_onesweep_config_selectorIxxEEZZNS1_29radix_sort_onesweep_iterationIS3_Lb0EN6thrust23THRUST_200600_302600_NS6detail15normal_iteratorINS8_10device_ptrIxEEEESD_SD_SD_jNS0_19identity_decomposerENS1_16block_id_wrapperIjLb0EEEEE10hipError_tT1_PNSt15iterator_traitsISI_E10value_typeET2_T3_PNSJ_ISO_E10value_typeET4_T5_PST_SU_PNS1_23onesweep_lookback_stateEbbT6_jjT7_P12ihipStream_tbENKUlT_T0_SI_SN_E_clIPxSD_S15_SD_EEDaS11_S12_SI_SN_EUlS11_E_NS1_11comp_targetILNS1_3genE9ELNS1_11target_archE1100ELNS1_3gpuE3ELNS1_3repE0EEENS1_47radix_sort_onesweep_sort_config_static_selectorELNS0_4arch9wavefront6targetE1EEEvSI_.num_vgpr, 0
	.set _ZN7rocprim17ROCPRIM_400000_NS6detail17trampoline_kernelINS0_14default_configENS1_35radix_sort_onesweep_config_selectorIxxEEZZNS1_29radix_sort_onesweep_iterationIS3_Lb0EN6thrust23THRUST_200600_302600_NS6detail15normal_iteratorINS8_10device_ptrIxEEEESD_SD_SD_jNS0_19identity_decomposerENS1_16block_id_wrapperIjLb0EEEEE10hipError_tT1_PNSt15iterator_traitsISI_E10value_typeET2_T3_PNSJ_ISO_E10value_typeET4_T5_PST_SU_PNS1_23onesweep_lookback_stateEbbT6_jjT7_P12ihipStream_tbENKUlT_T0_SI_SN_E_clIPxSD_S15_SD_EEDaS11_S12_SI_SN_EUlS11_E_NS1_11comp_targetILNS1_3genE9ELNS1_11target_archE1100ELNS1_3gpuE3ELNS1_3repE0EEENS1_47radix_sort_onesweep_sort_config_static_selectorELNS0_4arch9wavefront6targetE1EEEvSI_.num_agpr, 0
	.set _ZN7rocprim17ROCPRIM_400000_NS6detail17trampoline_kernelINS0_14default_configENS1_35radix_sort_onesweep_config_selectorIxxEEZZNS1_29radix_sort_onesweep_iterationIS3_Lb0EN6thrust23THRUST_200600_302600_NS6detail15normal_iteratorINS8_10device_ptrIxEEEESD_SD_SD_jNS0_19identity_decomposerENS1_16block_id_wrapperIjLb0EEEEE10hipError_tT1_PNSt15iterator_traitsISI_E10value_typeET2_T3_PNSJ_ISO_E10value_typeET4_T5_PST_SU_PNS1_23onesweep_lookback_stateEbbT6_jjT7_P12ihipStream_tbENKUlT_T0_SI_SN_E_clIPxSD_S15_SD_EEDaS11_S12_SI_SN_EUlS11_E_NS1_11comp_targetILNS1_3genE9ELNS1_11target_archE1100ELNS1_3gpuE3ELNS1_3repE0EEENS1_47radix_sort_onesweep_sort_config_static_selectorELNS0_4arch9wavefront6targetE1EEEvSI_.numbered_sgpr, 0
	.set _ZN7rocprim17ROCPRIM_400000_NS6detail17trampoline_kernelINS0_14default_configENS1_35radix_sort_onesweep_config_selectorIxxEEZZNS1_29radix_sort_onesweep_iterationIS3_Lb0EN6thrust23THRUST_200600_302600_NS6detail15normal_iteratorINS8_10device_ptrIxEEEESD_SD_SD_jNS0_19identity_decomposerENS1_16block_id_wrapperIjLb0EEEEE10hipError_tT1_PNSt15iterator_traitsISI_E10value_typeET2_T3_PNSJ_ISO_E10value_typeET4_T5_PST_SU_PNS1_23onesweep_lookback_stateEbbT6_jjT7_P12ihipStream_tbENKUlT_T0_SI_SN_E_clIPxSD_S15_SD_EEDaS11_S12_SI_SN_EUlS11_E_NS1_11comp_targetILNS1_3genE9ELNS1_11target_archE1100ELNS1_3gpuE3ELNS1_3repE0EEENS1_47radix_sort_onesweep_sort_config_static_selectorELNS0_4arch9wavefront6targetE1EEEvSI_.num_named_barrier, 0
	.set _ZN7rocprim17ROCPRIM_400000_NS6detail17trampoline_kernelINS0_14default_configENS1_35radix_sort_onesweep_config_selectorIxxEEZZNS1_29radix_sort_onesweep_iterationIS3_Lb0EN6thrust23THRUST_200600_302600_NS6detail15normal_iteratorINS8_10device_ptrIxEEEESD_SD_SD_jNS0_19identity_decomposerENS1_16block_id_wrapperIjLb0EEEEE10hipError_tT1_PNSt15iterator_traitsISI_E10value_typeET2_T3_PNSJ_ISO_E10value_typeET4_T5_PST_SU_PNS1_23onesweep_lookback_stateEbbT6_jjT7_P12ihipStream_tbENKUlT_T0_SI_SN_E_clIPxSD_S15_SD_EEDaS11_S12_SI_SN_EUlS11_E_NS1_11comp_targetILNS1_3genE9ELNS1_11target_archE1100ELNS1_3gpuE3ELNS1_3repE0EEENS1_47radix_sort_onesweep_sort_config_static_selectorELNS0_4arch9wavefront6targetE1EEEvSI_.private_seg_size, 0
	.set _ZN7rocprim17ROCPRIM_400000_NS6detail17trampoline_kernelINS0_14default_configENS1_35radix_sort_onesweep_config_selectorIxxEEZZNS1_29radix_sort_onesweep_iterationIS3_Lb0EN6thrust23THRUST_200600_302600_NS6detail15normal_iteratorINS8_10device_ptrIxEEEESD_SD_SD_jNS0_19identity_decomposerENS1_16block_id_wrapperIjLb0EEEEE10hipError_tT1_PNSt15iterator_traitsISI_E10value_typeET2_T3_PNSJ_ISO_E10value_typeET4_T5_PST_SU_PNS1_23onesweep_lookback_stateEbbT6_jjT7_P12ihipStream_tbENKUlT_T0_SI_SN_E_clIPxSD_S15_SD_EEDaS11_S12_SI_SN_EUlS11_E_NS1_11comp_targetILNS1_3genE9ELNS1_11target_archE1100ELNS1_3gpuE3ELNS1_3repE0EEENS1_47radix_sort_onesweep_sort_config_static_selectorELNS0_4arch9wavefront6targetE1EEEvSI_.uses_vcc, 0
	.set _ZN7rocprim17ROCPRIM_400000_NS6detail17trampoline_kernelINS0_14default_configENS1_35radix_sort_onesweep_config_selectorIxxEEZZNS1_29radix_sort_onesweep_iterationIS3_Lb0EN6thrust23THRUST_200600_302600_NS6detail15normal_iteratorINS8_10device_ptrIxEEEESD_SD_SD_jNS0_19identity_decomposerENS1_16block_id_wrapperIjLb0EEEEE10hipError_tT1_PNSt15iterator_traitsISI_E10value_typeET2_T3_PNSJ_ISO_E10value_typeET4_T5_PST_SU_PNS1_23onesweep_lookback_stateEbbT6_jjT7_P12ihipStream_tbENKUlT_T0_SI_SN_E_clIPxSD_S15_SD_EEDaS11_S12_SI_SN_EUlS11_E_NS1_11comp_targetILNS1_3genE9ELNS1_11target_archE1100ELNS1_3gpuE3ELNS1_3repE0EEENS1_47radix_sort_onesweep_sort_config_static_selectorELNS0_4arch9wavefront6targetE1EEEvSI_.uses_flat_scratch, 0
	.set _ZN7rocprim17ROCPRIM_400000_NS6detail17trampoline_kernelINS0_14default_configENS1_35radix_sort_onesweep_config_selectorIxxEEZZNS1_29radix_sort_onesweep_iterationIS3_Lb0EN6thrust23THRUST_200600_302600_NS6detail15normal_iteratorINS8_10device_ptrIxEEEESD_SD_SD_jNS0_19identity_decomposerENS1_16block_id_wrapperIjLb0EEEEE10hipError_tT1_PNSt15iterator_traitsISI_E10value_typeET2_T3_PNSJ_ISO_E10value_typeET4_T5_PST_SU_PNS1_23onesweep_lookback_stateEbbT6_jjT7_P12ihipStream_tbENKUlT_T0_SI_SN_E_clIPxSD_S15_SD_EEDaS11_S12_SI_SN_EUlS11_E_NS1_11comp_targetILNS1_3genE9ELNS1_11target_archE1100ELNS1_3gpuE3ELNS1_3repE0EEENS1_47radix_sort_onesweep_sort_config_static_selectorELNS0_4arch9wavefront6targetE1EEEvSI_.has_dyn_sized_stack, 0
	.set _ZN7rocprim17ROCPRIM_400000_NS6detail17trampoline_kernelINS0_14default_configENS1_35radix_sort_onesweep_config_selectorIxxEEZZNS1_29radix_sort_onesweep_iterationIS3_Lb0EN6thrust23THRUST_200600_302600_NS6detail15normal_iteratorINS8_10device_ptrIxEEEESD_SD_SD_jNS0_19identity_decomposerENS1_16block_id_wrapperIjLb0EEEEE10hipError_tT1_PNSt15iterator_traitsISI_E10value_typeET2_T3_PNSJ_ISO_E10value_typeET4_T5_PST_SU_PNS1_23onesweep_lookback_stateEbbT6_jjT7_P12ihipStream_tbENKUlT_T0_SI_SN_E_clIPxSD_S15_SD_EEDaS11_S12_SI_SN_EUlS11_E_NS1_11comp_targetILNS1_3genE9ELNS1_11target_archE1100ELNS1_3gpuE3ELNS1_3repE0EEENS1_47radix_sort_onesweep_sort_config_static_selectorELNS0_4arch9wavefront6targetE1EEEvSI_.has_recursion, 0
	.set _ZN7rocprim17ROCPRIM_400000_NS6detail17trampoline_kernelINS0_14default_configENS1_35radix_sort_onesweep_config_selectorIxxEEZZNS1_29radix_sort_onesweep_iterationIS3_Lb0EN6thrust23THRUST_200600_302600_NS6detail15normal_iteratorINS8_10device_ptrIxEEEESD_SD_SD_jNS0_19identity_decomposerENS1_16block_id_wrapperIjLb0EEEEE10hipError_tT1_PNSt15iterator_traitsISI_E10value_typeET2_T3_PNSJ_ISO_E10value_typeET4_T5_PST_SU_PNS1_23onesweep_lookback_stateEbbT6_jjT7_P12ihipStream_tbENKUlT_T0_SI_SN_E_clIPxSD_S15_SD_EEDaS11_S12_SI_SN_EUlS11_E_NS1_11comp_targetILNS1_3genE9ELNS1_11target_archE1100ELNS1_3gpuE3ELNS1_3repE0EEENS1_47radix_sort_onesweep_sort_config_static_selectorELNS0_4arch9wavefront6targetE1EEEvSI_.has_indirect_call, 0
	.section	.AMDGPU.csdata,"",@progbits
; Kernel info:
; codeLenInByte = 0
; TotalNumSgprs: 6
; NumVgprs: 0
; NumAgprs: 0
; TotalNumVgprs: 0
; ScratchSize: 0
; MemoryBound: 0
; FloatMode: 240
; IeeeMode: 1
; LDSByteSize: 0 bytes/workgroup (compile time only)
; SGPRBlocks: 0
; VGPRBlocks: 0
; NumSGPRsForWavesPerEU: 6
; NumVGPRsForWavesPerEU: 1
; AccumOffset: 4
; Occupancy: 8
; WaveLimiterHint : 0
; COMPUTE_PGM_RSRC2:SCRATCH_EN: 0
; COMPUTE_PGM_RSRC2:USER_SGPR: 2
; COMPUTE_PGM_RSRC2:TRAP_HANDLER: 0
; COMPUTE_PGM_RSRC2:TGID_X_EN: 1
; COMPUTE_PGM_RSRC2:TGID_Y_EN: 0
; COMPUTE_PGM_RSRC2:TGID_Z_EN: 0
; COMPUTE_PGM_RSRC2:TIDIG_COMP_CNT: 0
; COMPUTE_PGM_RSRC3_GFX90A:ACCUM_OFFSET: 0
; COMPUTE_PGM_RSRC3_GFX90A:TG_SPLIT: 0
	.section	.text._ZN7rocprim17ROCPRIM_400000_NS6detail17trampoline_kernelINS0_14default_configENS1_35radix_sort_onesweep_config_selectorIxxEEZZNS1_29radix_sort_onesweep_iterationIS3_Lb0EN6thrust23THRUST_200600_302600_NS6detail15normal_iteratorINS8_10device_ptrIxEEEESD_SD_SD_jNS0_19identity_decomposerENS1_16block_id_wrapperIjLb0EEEEE10hipError_tT1_PNSt15iterator_traitsISI_E10value_typeET2_T3_PNSJ_ISO_E10value_typeET4_T5_PST_SU_PNS1_23onesweep_lookback_stateEbbT6_jjT7_P12ihipStream_tbENKUlT_T0_SI_SN_E_clIPxSD_S15_SD_EEDaS11_S12_SI_SN_EUlS11_E_NS1_11comp_targetILNS1_3genE8ELNS1_11target_archE1030ELNS1_3gpuE2ELNS1_3repE0EEENS1_47radix_sort_onesweep_sort_config_static_selectorELNS0_4arch9wavefront6targetE1EEEvSI_,"axG",@progbits,_ZN7rocprim17ROCPRIM_400000_NS6detail17trampoline_kernelINS0_14default_configENS1_35radix_sort_onesweep_config_selectorIxxEEZZNS1_29radix_sort_onesweep_iterationIS3_Lb0EN6thrust23THRUST_200600_302600_NS6detail15normal_iteratorINS8_10device_ptrIxEEEESD_SD_SD_jNS0_19identity_decomposerENS1_16block_id_wrapperIjLb0EEEEE10hipError_tT1_PNSt15iterator_traitsISI_E10value_typeET2_T3_PNSJ_ISO_E10value_typeET4_T5_PST_SU_PNS1_23onesweep_lookback_stateEbbT6_jjT7_P12ihipStream_tbENKUlT_T0_SI_SN_E_clIPxSD_S15_SD_EEDaS11_S12_SI_SN_EUlS11_E_NS1_11comp_targetILNS1_3genE8ELNS1_11target_archE1030ELNS1_3gpuE2ELNS1_3repE0EEENS1_47radix_sort_onesweep_sort_config_static_selectorELNS0_4arch9wavefront6targetE1EEEvSI_,comdat
	.protected	_ZN7rocprim17ROCPRIM_400000_NS6detail17trampoline_kernelINS0_14default_configENS1_35radix_sort_onesweep_config_selectorIxxEEZZNS1_29radix_sort_onesweep_iterationIS3_Lb0EN6thrust23THRUST_200600_302600_NS6detail15normal_iteratorINS8_10device_ptrIxEEEESD_SD_SD_jNS0_19identity_decomposerENS1_16block_id_wrapperIjLb0EEEEE10hipError_tT1_PNSt15iterator_traitsISI_E10value_typeET2_T3_PNSJ_ISO_E10value_typeET4_T5_PST_SU_PNS1_23onesweep_lookback_stateEbbT6_jjT7_P12ihipStream_tbENKUlT_T0_SI_SN_E_clIPxSD_S15_SD_EEDaS11_S12_SI_SN_EUlS11_E_NS1_11comp_targetILNS1_3genE8ELNS1_11target_archE1030ELNS1_3gpuE2ELNS1_3repE0EEENS1_47radix_sort_onesweep_sort_config_static_selectorELNS0_4arch9wavefront6targetE1EEEvSI_ ; -- Begin function _ZN7rocprim17ROCPRIM_400000_NS6detail17trampoline_kernelINS0_14default_configENS1_35radix_sort_onesweep_config_selectorIxxEEZZNS1_29radix_sort_onesweep_iterationIS3_Lb0EN6thrust23THRUST_200600_302600_NS6detail15normal_iteratorINS8_10device_ptrIxEEEESD_SD_SD_jNS0_19identity_decomposerENS1_16block_id_wrapperIjLb0EEEEE10hipError_tT1_PNSt15iterator_traitsISI_E10value_typeET2_T3_PNSJ_ISO_E10value_typeET4_T5_PST_SU_PNS1_23onesweep_lookback_stateEbbT6_jjT7_P12ihipStream_tbENKUlT_T0_SI_SN_E_clIPxSD_S15_SD_EEDaS11_S12_SI_SN_EUlS11_E_NS1_11comp_targetILNS1_3genE8ELNS1_11target_archE1030ELNS1_3gpuE2ELNS1_3repE0EEENS1_47radix_sort_onesweep_sort_config_static_selectorELNS0_4arch9wavefront6targetE1EEEvSI_
	.globl	_ZN7rocprim17ROCPRIM_400000_NS6detail17trampoline_kernelINS0_14default_configENS1_35radix_sort_onesweep_config_selectorIxxEEZZNS1_29radix_sort_onesweep_iterationIS3_Lb0EN6thrust23THRUST_200600_302600_NS6detail15normal_iteratorINS8_10device_ptrIxEEEESD_SD_SD_jNS0_19identity_decomposerENS1_16block_id_wrapperIjLb0EEEEE10hipError_tT1_PNSt15iterator_traitsISI_E10value_typeET2_T3_PNSJ_ISO_E10value_typeET4_T5_PST_SU_PNS1_23onesweep_lookback_stateEbbT6_jjT7_P12ihipStream_tbENKUlT_T0_SI_SN_E_clIPxSD_S15_SD_EEDaS11_S12_SI_SN_EUlS11_E_NS1_11comp_targetILNS1_3genE8ELNS1_11target_archE1030ELNS1_3gpuE2ELNS1_3repE0EEENS1_47radix_sort_onesweep_sort_config_static_selectorELNS0_4arch9wavefront6targetE1EEEvSI_
	.p2align	8
	.type	_ZN7rocprim17ROCPRIM_400000_NS6detail17trampoline_kernelINS0_14default_configENS1_35radix_sort_onesweep_config_selectorIxxEEZZNS1_29radix_sort_onesweep_iterationIS3_Lb0EN6thrust23THRUST_200600_302600_NS6detail15normal_iteratorINS8_10device_ptrIxEEEESD_SD_SD_jNS0_19identity_decomposerENS1_16block_id_wrapperIjLb0EEEEE10hipError_tT1_PNSt15iterator_traitsISI_E10value_typeET2_T3_PNSJ_ISO_E10value_typeET4_T5_PST_SU_PNS1_23onesweep_lookback_stateEbbT6_jjT7_P12ihipStream_tbENKUlT_T0_SI_SN_E_clIPxSD_S15_SD_EEDaS11_S12_SI_SN_EUlS11_E_NS1_11comp_targetILNS1_3genE8ELNS1_11target_archE1030ELNS1_3gpuE2ELNS1_3repE0EEENS1_47radix_sort_onesweep_sort_config_static_selectorELNS0_4arch9wavefront6targetE1EEEvSI_,@function
_ZN7rocprim17ROCPRIM_400000_NS6detail17trampoline_kernelINS0_14default_configENS1_35radix_sort_onesweep_config_selectorIxxEEZZNS1_29radix_sort_onesweep_iterationIS3_Lb0EN6thrust23THRUST_200600_302600_NS6detail15normal_iteratorINS8_10device_ptrIxEEEESD_SD_SD_jNS0_19identity_decomposerENS1_16block_id_wrapperIjLb0EEEEE10hipError_tT1_PNSt15iterator_traitsISI_E10value_typeET2_T3_PNSJ_ISO_E10value_typeET4_T5_PST_SU_PNS1_23onesweep_lookback_stateEbbT6_jjT7_P12ihipStream_tbENKUlT_T0_SI_SN_E_clIPxSD_S15_SD_EEDaS11_S12_SI_SN_EUlS11_E_NS1_11comp_targetILNS1_3genE8ELNS1_11target_archE1030ELNS1_3gpuE2ELNS1_3repE0EEENS1_47radix_sort_onesweep_sort_config_static_selectorELNS0_4arch9wavefront6targetE1EEEvSI_: ; @_ZN7rocprim17ROCPRIM_400000_NS6detail17trampoline_kernelINS0_14default_configENS1_35radix_sort_onesweep_config_selectorIxxEEZZNS1_29radix_sort_onesweep_iterationIS3_Lb0EN6thrust23THRUST_200600_302600_NS6detail15normal_iteratorINS8_10device_ptrIxEEEESD_SD_SD_jNS0_19identity_decomposerENS1_16block_id_wrapperIjLb0EEEEE10hipError_tT1_PNSt15iterator_traitsISI_E10value_typeET2_T3_PNSJ_ISO_E10value_typeET4_T5_PST_SU_PNS1_23onesweep_lookback_stateEbbT6_jjT7_P12ihipStream_tbENKUlT_T0_SI_SN_E_clIPxSD_S15_SD_EEDaS11_S12_SI_SN_EUlS11_E_NS1_11comp_targetILNS1_3genE8ELNS1_11target_archE1030ELNS1_3gpuE2ELNS1_3repE0EEENS1_47radix_sort_onesweep_sort_config_static_selectorELNS0_4arch9wavefront6targetE1EEEvSI_
; %bb.0:
	.section	.rodata,"a",@progbits
	.p2align	6, 0x0
	.amdhsa_kernel _ZN7rocprim17ROCPRIM_400000_NS6detail17trampoline_kernelINS0_14default_configENS1_35radix_sort_onesweep_config_selectorIxxEEZZNS1_29radix_sort_onesweep_iterationIS3_Lb0EN6thrust23THRUST_200600_302600_NS6detail15normal_iteratorINS8_10device_ptrIxEEEESD_SD_SD_jNS0_19identity_decomposerENS1_16block_id_wrapperIjLb0EEEEE10hipError_tT1_PNSt15iterator_traitsISI_E10value_typeET2_T3_PNSJ_ISO_E10value_typeET4_T5_PST_SU_PNS1_23onesweep_lookback_stateEbbT6_jjT7_P12ihipStream_tbENKUlT_T0_SI_SN_E_clIPxSD_S15_SD_EEDaS11_S12_SI_SN_EUlS11_E_NS1_11comp_targetILNS1_3genE8ELNS1_11target_archE1030ELNS1_3gpuE2ELNS1_3repE0EEENS1_47radix_sort_onesweep_sort_config_static_selectorELNS0_4arch9wavefront6targetE1EEEvSI_
		.amdhsa_group_segment_fixed_size 0
		.amdhsa_private_segment_fixed_size 0
		.amdhsa_kernarg_size 88
		.amdhsa_user_sgpr_count 2
		.amdhsa_user_sgpr_dispatch_ptr 0
		.amdhsa_user_sgpr_queue_ptr 0
		.amdhsa_user_sgpr_kernarg_segment_ptr 1
		.amdhsa_user_sgpr_dispatch_id 0
		.amdhsa_user_sgpr_kernarg_preload_length 0
		.amdhsa_user_sgpr_kernarg_preload_offset 0
		.amdhsa_user_sgpr_private_segment_size 0
		.amdhsa_uses_dynamic_stack 0
		.amdhsa_enable_private_segment 0
		.amdhsa_system_sgpr_workgroup_id_x 1
		.amdhsa_system_sgpr_workgroup_id_y 0
		.amdhsa_system_sgpr_workgroup_id_z 0
		.amdhsa_system_sgpr_workgroup_info 0
		.amdhsa_system_vgpr_workitem_id 0
		.amdhsa_next_free_vgpr 1
		.amdhsa_next_free_sgpr 0
		.amdhsa_accum_offset 4
		.amdhsa_reserve_vcc 0
		.amdhsa_float_round_mode_32 0
		.amdhsa_float_round_mode_16_64 0
		.amdhsa_float_denorm_mode_32 3
		.amdhsa_float_denorm_mode_16_64 3
		.amdhsa_dx10_clamp 1
		.amdhsa_ieee_mode 1
		.amdhsa_fp16_overflow 0
		.amdhsa_tg_split 0
		.amdhsa_exception_fp_ieee_invalid_op 0
		.amdhsa_exception_fp_denorm_src 0
		.amdhsa_exception_fp_ieee_div_zero 0
		.amdhsa_exception_fp_ieee_overflow 0
		.amdhsa_exception_fp_ieee_underflow 0
		.amdhsa_exception_fp_ieee_inexact 0
		.amdhsa_exception_int_div_zero 0
	.end_amdhsa_kernel
	.section	.text._ZN7rocprim17ROCPRIM_400000_NS6detail17trampoline_kernelINS0_14default_configENS1_35radix_sort_onesweep_config_selectorIxxEEZZNS1_29radix_sort_onesweep_iterationIS3_Lb0EN6thrust23THRUST_200600_302600_NS6detail15normal_iteratorINS8_10device_ptrIxEEEESD_SD_SD_jNS0_19identity_decomposerENS1_16block_id_wrapperIjLb0EEEEE10hipError_tT1_PNSt15iterator_traitsISI_E10value_typeET2_T3_PNSJ_ISO_E10value_typeET4_T5_PST_SU_PNS1_23onesweep_lookback_stateEbbT6_jjT7_P12ihipStream_tbENKUlT_T0_SI_SN_E_clIPxSD_S15_SD_EEDaS11_S12_SI_SN_EUlS11_E_NS1_11comp_targetILNS1_3genE8ELNS1_11target_archE1030ELNS1_3gpuE2ELNS1_3repE0EEENS1_47radix_sort_onesweep_sort_config_static_selectorELNS0_4arch9wavefront6targetE1EEEvSI_,"axG",@progbits,_ZN7rocprim17ROCPRIM_400000_NS6detail17trampoline_kernelINS0_14default_configENS1_35radix_sort_onesweep_config_selectorIxxEEZZNS1_29radix_sort_onesweep_iterationIS3_Lb0EN6thrust23THRUST_200600_302600_NS6detail15normal_iteratorINS8_10device_ptrIxEEEESD_SD_SD_jNS0_19identity_decomposerENS1_16block_id_wrapperIjLb0EEEEE10hipError_tT1_PNSt15iterator_traitsISI_E10value_typeET2_T3_PNSJ_ISO_E10value_typeET4_T5_PST_SU_PNS1_23onesweep_lookback_stateEbbT6_jjT7_P12ihipStream_tbENKUlT_T0_SI_SN_E_clIPxSD_S15_SD_EEDaS11_S12_SI_SN_EUlS11_E_NS1_11comp_targetILNS1_3genE8ELNS1_11target_archE1030ELNS1_3gpuE2ELNS1_3repE0EEENS1_47radix_sort_onesweep_sort_config_static_selectorELNS0_4arch9wavefront6targetE1EEEvSI_,comdat
.Lfunc_end1250:
	.size	_ZN7rocprim17ROCPRIM_400000_NS6detail17trampoline_kernelINS0_14default_configENS1_35radix_sort_onesweep_config_selectorIxxEEZZNS1_29radix_sort_onesweep_iterationIS3_Lb0EN6thrust23THRUST_200600_302600_NS6detail15normal_iteratorINS8_10device_ptrIxEEEESD_SD_SD_jNS0_19identity_decomposerENS1_16block_id_wrapperIjLb0EEEEE10hipError_tT1_PNSt15iterator_traitsISI_E10value_typeET2_T3_PNSJ_ISO_E10value_typeET4_T5_PST_SU_PNS1_23onesweep_lookback_stateEbbT6_jjT7_P12ihipStream_tbENKUlT_T0_SI_SN_E_clIPxSD_S15_SD_EEDaS11_S12_SI_SN_EUlS11_E_NS1_11comp_targetILNS1_3genE8ELNS1_11target_archE1030ELNS1_3gpuE2ELNS1_3repE0EEENS1_47radix_sort_onesweep_sort_config_static_selectorELNS0_4arch9wavefront6targetE1EEEvSI_, .Lfunc_end1250-_ZN7rocprim17ROCPRIM_400000_NS6detail17trampoline_kernelINS0_14default_configENS1_35radix_sort_onesweep_config_selectorIxxEEZZNS1_29radix_sort_onesweep_iterationIS3_Lb0EN6thrust23THRUST_200600_302600_NS6detail15normal_iteratorINS8_10device_ptrIxEEEESD_SD_SD_jNS0_19identity_decomposerENS1_16block_id_wrapperIjLb0EEEEE10hipError_tT1_PNSt15iterator_traitsISI_E10value_typeET2_T3_PNSJ_ISO_E10value_typeET4_T5_PST_SU_PNS1_23onesweep_lookback_stateEbbT6_jjT7_P12ihipStream_tbENKUlT_T0_SI_SN_E_clIPxSD_S15_SD_EEDaS11_S12_SI_SN_EUlS11_E_NS1_11comp_targetILNS1_3genE8ELNS1_11target_archE1030ELNS1_3gpuE2ELNS1_3repE0EEENS1_47radix_sort_onesweep_sort_config_static_selectorELNS0_4arch9wavefront6targetE1EEEvSI_
                                        ; -- End function
	.set _ZN7rocprim17ROCPRIM_400000_NS6detail17trampoline_kernelINS0_14default_configENS1_35radix_sort_onesweep_config_selectorIxxEEZZNS1_29radix_sort_onesweep_iterationIS3_Lb0EN6thrust23THRUST_200600_302600_NS6detail15normal_iteratorINS8_10device_ptrIxEEEESD_SD_SD_jNS0_19identity_decomposerENS1_16block_id_wrapperIjLb0EEEEE10hipError_tT1_PNSt15iterator_traitsISI_E10value_typeET2_T3_PNSJ_ISO_E10value_typeET4_T5_PST_SU_PNS1_23onesweep_lookback_stateEbbT6_jjT7_P12ihipStream_tbENKUlT_T0_SI_SN_E_clIPxSD_S15_SD_EEDaS11_S12_SI_SN_EUlS11_E_NS1_11comp_targetILNS1_3genE8ELNS1_11target_archE1030ELNS1_3gpuE2ELNS1_3repE0EEENS1_47radix_sort_onesweep_sort_config_static_selectorELNS0_4arch9wavefront6targetE1EEEvSI_.num_vgpr, 0
	.set _ZN7rocprim17ROCPRIM_400000_NS6detail17trampoline_kernelINS0_14default_configENS1_35radix_sort_onesweep_config_selectorIxxEEZZNS1_29radix_sort_onesweep_iterationIS3_Lb0EN6thrust23THRUST_200600_302600_NS6detail15normal_iteratorINS8_10device_ptrIxEEEESD_SD_SD_jNS0_19identity_decomposerENS1_16block_id_wrapperIjLb0EEEEE10hipError_tT1_PNSt15iterator_traitsISI_E10value_typeET2_T3_PNSJ_ISO_E10value_typeET4_T5_PST_SU_PNS1_23onesweep_lookback_stateEbbT6_jjT7_P12ihipStream_tbENKUlT_T0_SI_SN_E_clIPxSD_S15_SD_EEDaS11_S12_SI_SN_EUlS11_E_NS1_11comp_targetILNS1_3genE8ELNS1_11target_archE1030ELNS1_3gpuE2ELNS1_3repE0EEENS1_47radix_sort_onesweep_sort_config_static_selectorELNS0_4arch9wavefront6targetE1EEEvSI_.num_agpr, 0
	.set _ZN7rocprim17ROCPRIM_400000_NS6detail17trampoline_kernelINS0_14default_configENS1_35radix_sort_onesweep_config_selectorIxxEEZZNS1_29radix_sort_onesweep_iterationIS3_Lb0EN6thrust23THRUST_200600_302600_NS6detail15normal_iteratorINS8_10device_ptrIxEEEESD_SD_SD_jNS0_19identity_decomposerENS1_16block_id_wrapperIjLb0EEEEE10hipError_tT1_PNSt15iterator_traitsISI_E10value_typeET2_T3_PNSJ_ISO_E10value_typeET4_T5_PST_SU_PNS1_23onesweep_lookback_stateEbbT6_jjT7_P12ihipStream_tbENKUlT_T0_SI_SN_E_clIPxSD_S15_SD_EEDaS11_S12_SI_SN_EUlS11_E_NS1_11comp_targetILNS1_3genE8ELNS1_11target_archE1030ELNS1_3gpuE2ELNS1_3repE0EEENS1_47radix_sort_onesweep_sort_config_static_selectorELNS0_4arch9wavefront6targetE1EEEvSI_.numbered_sgpr, 0
	.set _ZN7rocprim17ROCPRIM_400000_NS6detail17trampoline_kernelINS0_14default_configENS1_35radix_sort_onesweep_config_selectorIxxEEZZNS1_29radix_sort_onesweep_iterationIS3_Lb0EN6thrust23THRUST_200600_302600_NS6detail15normal_iteratorINS8_10device_ptrIxEEEESD_SD_SD_jNS0_19identity_decomposerENS1_16block_id_wrapperIjLb0EEEEE10hipError_tT1_PNSt15iterator_traitsISI_E10value_typeET2_T3_PNSJ_ISO_E10value_typeET4_T5_PST_SU_PNS1_23onesweep_lookback_stateEbbT6_jjT7_P12ihipStream_tbENKUlT_T0_SI_SN_E_clIPxSD_S15_SD_EEDaS11_S12_SI_SN_EUlS11_E_NS1_11comp_targetILNS1_3genE8ELNS1_11target_archE1030ELNS1_3gpuE2ELNS1_3repE0EEENS1_47radix_sort_onesweep_sort_config_static_selectorELNS0_4arch9wavefront6targetE1EEEvSI_.num_named_barrier, 0
	.set _ZN7rocprim17ROCPRIM_400000_NS6detail17trampoline_kernelINS0_14default_configENS1_35radix_sort_onesweep_config_selectorIxxEEZZNS1_29radix_sort_onesweep_iterationIS3_Lb0EN6thrust23THRUST_200600_302600_NS6detail15normal_iteratorINS8_10device_ptrIxEEEESD_SD_SD_jNS0_19identity_decomposerENS1_16block_id_wrapperIjLb0EEEEE10hipError_tT1_PNSt15iterator_traitsISI_E10value_typeET2_T3_PNSJ_ISO_E10value_typeET4_T5_PST_SU_PNS1_23onesweep_lookback_stateEbbT6_jjT7_P12ihipStream_tbENKUlT_T0_SI_SN_E_clIPxSD_S15_SD_EEDaS11_S12_SI_SN_EUlS11_E_NS1_11comp_targetILNS1_3genE8ELNS1_11target_archE1030ELNS1_3gpuE2ELNS1_3repE0EEENS1_47radix_sort_onesweep_sort_config_static_selectorELNS0_4arch9wavefront6targetE1EEEvSI_.private_seg_size, 0
	.set _ZN7rocprim17ROCPRIM_400000_NS6detail17trampoline_kernelINS0_14default_configENS1_35radix_sort_onesweep_config_selectorIxxEEZZNS1_29radix_sort_onesweep_iterationIS3_Lb0EN6thrust23THRUST_200600_302600_NS6detail15normal_iteratorINS8_10device_ptrIxEEEESD_SD_SD_jNS0_19identity_decomposerENS1_16block_id_wrapperIjLb0EEEEE10hipError_tT1_PNSt15iterator_traitsISI_E10value_typeET2_T3_PNSJ_ISO_E10value_typeET4_T5_PST_SU_PNS1_23onesweep_lookback_stateEbbT6_jjT7_P12ihipStream_tbENKUlT_T0_SI_SN_E_clIPxSD_S15_SD_EEDaS11_S12_SI_SN_EUlS11_E_NS1_11comp_targetILNS1_3genE8ELNS1_11target_archE1030ELNS1_3gpuE2ELNS1_3repE0EEENS1_47radix_sort_onesweep_sort_config_static_selectorELNS0_4arch9wavefront6targetE1EEEvSI_.uses_vcc, 0
	.set _ZN7rocprim17ROCPRIM_400000_NS6detail17trampoline_kernelINS0_14default_configENS1_35radix_sort_onesweep_config_selectorIxxEEZZNS1_29radix_sort_onesweep_iterationIS3_Lb0EN6thrust23THRUST_200600_302600_NS6detail15normal_iteratorINS8_10device_ptrIxEEEESD_SD_SD_jNS0_19identity_decomposerENS1_16block_id_wrapperIjLb0EEEEE10hipError_tT1_PNSt15iterator_traitsISI_E10value_typeET2_T3_PNSJ_ISO_E10value_typeET4_T5_PST_SU_PNS1_23onesweep_lookback_stateEbbT6_jjT7_P12ihipStream_tbENKUlT_T0_SI_SN_E_clIPxSD_S15_SD_EEDaS11_S12_SI_SN_EUlS11_E_NS1_11comp_targetILNS1_3genE8ELNS1_11target_archE1030ELNS1_3gpuE2ELNS1_3repE0EEENS1_47radix_sort_onesweep_sort_config_static_selectorELNS0_4arch9wavefront6targetE1EEEvSI_.uses_flat_scratch, 0
	.set _ZN7rocprim17ROCPRIM_400000_NS6detail17trampoline_kernelINS0_14default_configENS1_35radix_sort_onesweep_config_selectorIxxEEZZNS1_29radix_sort_onesweep_iterationIS3_Lb0EN6thrust23THRUST_200600_302600_NS6detail15normal_iteratorINS8_10device_ptrIxEEEESD_SD_SD_jNS0_19identity_decomposerENS1_16block_id_wrapperIjLb0EEEEE10hipError_tT1_PNSt15iterator_traitsISI_E10value_typeET2_T3_PNSJ_ISO_E10value_typeET4_T5_PST_SU_PNS1_23onesweep_lookback_stateEbbT6_jjT7_P12ihipStream_tbENKUlT_T0_SI_SN_E_clIPxSD_S15_SD_EEDaS11_S12_SI_SN_EUlS11_E_NS1_11comp_targetILNS1_3genE8ELNS1_11target_archE1030ELNS1_3gpuE2ELNS1_3repE0EEENS1_47radix_sort_onesweep_sort_config_static_selectorELNS0_4arch9wavefront6targetE1EEEvSI_.has_dyn_sized_stack, 0
	.set _ZN7rocprim17ROCPRIM_400000_NS6detail17trampoline_kernelINS0_14default_configENS1_35radix_sort_onesweep_config_selectorIxxEEZZNS1_29radix_sort_onesweep_iterationIS3_Lb0EN6thrust23THRUST_200600_302600_NS6detail15normal_iteratorINS8_10device_ptrIxEEEESD_SD_SD_jNS0_19identity_decomposerENS1_16block_id_wrapperIjLb0EEEEE10hipError_tT1_PNSt15iterator_traitsISI_E10value_typeET2_T3_PNSJ_ISO_E10value_typeET4_T5_PST_SU_PNS1_23onesweep_lookback_stateEbbT6_jjT7_P12ihipStream_tbENKUlT_T0_SI_SN_E_clIPxSD_S15_SD_EEDaS11_S12_SI_SN_EUlS11_E_NS1_11comp_targetILNS1_3genE8ELNS1_11target_archE1030ELNS1_3gpuE2ELNS1_3repE0EEENS1_47radix_sort_onesweep_sort_config_static_selectorELNS0_4arch9wavefront6targetE1EEEvSI_.has_recursion, 0
	.set _ZN7rocprim17ROCPRIM_400000_NS6detail17trampoline_kernelINS0_14default_configENS1_35radix_sort_onesweep_config_selectorIxxEEZZNS1_29radix_sort_onesweep_iterationIS3_Lb0EN6thrust23THRUST_200600_302600_NS6detail15normal_iteratorINS8_10device_ptrIxEEEESD_SD_SD_jNS0_19identity_decomposerENS1_16block_id_wrapperIjLb0EEEEE10hipError_tT1_PNSt15iterator_traitsISI_E10value_typeET2_T3_PNSJ_ISO_E10value_typeET4_T5_PST_SU_PNS1_23onesweep_lookback_stateEbbT6_jjT7_P12ihipStream_tbENKUlT_T0_SI_SN_E_clIPxSD_S15_SD_EEDaS11_S12_SI_SN_EUlS11_E_NS1_11comp_targetILNS1_3genE8ELNS1_11target_archE1030ELNS1_3gpuE2ELNS1_3repE0EEENS1_47radix_sort_onesweep_sort_config_static_selectorELNS0_4arch9wavefront6targetE1EEEvSI_.has_indirect_call, 0
	.section	.AMDGPU.csdata,"",@progbits
; Kernel info:
; codeLenInByte = 0
; TotalNumSgprs: 6
; NumVgprs: 0
; NumAgprs: 0
; TotalNumVgprs: 0
; ScratchSize: 0
; MemoryBound: 0
; FloatMode: 240
; IeeeMode: 1
; LDSByteSize: 0 bytes/workgroup (compile time only)
; SGPRBlocks: 0
; VGPRBlocks: 0
; NumSGPRsForWavesPerEU: 6
; NumVGPRsForWavesPerEU: 1
; AccumOffset: 4
; Occupancy: 8
; WaveLimiterHint : 0
; COMPUTE_PGM_RSRC2:SCRATCH_EN: 0
; COMPUTE_PGM_RSRC2:USER_SGPR: 2
; COMPUTE_PGM_RSRC2:TRAP_HANDLER: 0
; COMPUTE_PGM_RSRC2:TGID_X_EN: 1
; COMPUTE_PGM_RSRC2:TGID_Y_EN: 0
; COMPUTE_PGM_RSRC2:TGID_Z_EN: 0
; COMPUTE_PGM_RSRC2:TIDIG_COMP_CNT: 0
; COMPUTE_PGM_RSRC3_GFX90A:ACCUM_OFFSET: 0
; COMPUTE_PGM_RSRC3_GFX90A:TG_SPLIT: 0
	.section	.text._ZN7rocprim17ROCPRIM_400000_NS6detail17trampoline_kernelINS0_14default_configENS1_22reduce_config_selectorIN6thrust23THRUST_200600_302600_NS5tupleIblNS6_9null_typeES8_S8_S8_S8_S8_S8_S8_EEEEZNS1_11reduce_implILb1ES3_NS6_12zip_iteratorINS7_INS6_11hip_rocprim26transform_input_iterator_tIbNSD_35transform_pair_of_input_iterators_tIbNS6_6detail15normal_iteratorINS6_10device_ptrIKxEEEESL_NS6_8equal_toIxEEEENSG_9not_fun_tINSD_8identityEEEEENSD_19counting_iterator_tIlEES8_S8_S8_S8_S8_S8_S8_S8_EEEEPS9_S9_NSD_9__find_if7functorIS9_EEEE10hipError_tPvRmT1_T2_T3_mT4_P12ihipStream_tbEUlT_E0_NS1_11comp_targetILNS1_3genE0ELNS1_11target_archE4294967295ELNS1_3gpuE0ELNS1_3repE0EEENS1_30default_config_static_selectorELNS0_4arch9wavefront6targetE1EEEvS14_,"axG",@progbits,_ZN7rocprim17ROCPRIM_400000_NS6detail17trampoline_kernelINS0_14default_configENS1_22reduce_config_selectorIN6thrust23THRUST_200600_302600_NS5tupleIblNS6_9null_typeES8_S8_S8_S8_S8_S8_S8_EEEEZNS1_11reduce_implILb1ES3_NS6_12zip_iteratorINS7_INS6_11hip_rocprim26transform_input_iterator_tIbNSD_35transform_pair_of_input_iterators_tIbNS6_6detail15normal_iteratorINS6_10device_ptrIKxEEEESL_NS6_8equal_toIxEEEENSG_9not_fun_tINSD_8identityEEEEENSD_19counting_iterator_tIlEES8_S8_S8_S8_S8_S8_S8_S8_EEEEPS9_S9_NSD_9__find_if7functorIS9_EEEE10hipError_tPvRmT1_T2_T3_mT4_P12ihipStream_tbEUlT_E0_NS1_11comp_targetILNS1_3genE0ELNS1_11target_archE4294967295ELNS1_3gpuE0ELNS1_3repE0EEENS1_30default_config_static_selectorELNS0_4arch9wavefront6targetE1EEEvS14_,comdat
	.protected	_ZN7rocprim17ROCPRIM_400000_NS6detail17trampoline_kernelINS0_14default_configENS1_22reduce_config_selectorIN6thrust23THRUST_200600_302600_NS5tupleIblNS6_9null_typeES8_S8_S8_S8_S8_S8_S8_EEEEZNS1_11reduce_implILb1ES3_NS6_12zip_iteratorINS7_INS6_11hip_rocprim26transform_input_iterator_tIbNSD_35transform_pair_of_input_iterators_tIbNS6_6detail15normal_iteratorINS6_10device_ptrIKxEEEESL_NS6_8equal_toIxEEEENSG_9not_fun_tINSD_8identityEEEEENSD_19counting_iterator_tIlEES8_S8_S8_S8_S8_S8_S8_S8_EEEEPS9_S9_NSD_9__find_if7functorIS9_EEEE10hipError_tPvRmT1_T2_T3_mT4_P12ihipStream_tbEUlT_E0_NS1_11comp_targetILNS1_3genE0ELNS1_11target_archE4294967295ELNS1_3gpuE0ELNS1_3repE0EEENS1_30default_config_static_selectorELNS0_4arch9wavefront6targetE1EEEvS14_ ; -- Begin function _ZN7rocprim17ROCPRIM_400000_NS6detail17trampoline_kernelINS0_14default_configENS1_22reduce_config_selectorIN6thrust23THRUST_200600_302600_NS5tupleIblNS6_9null_typeES8_S8_S8_S8_S8_S8_S8_EEEEZNS1_11reduce_implILb1ES3_NS6_12zip_iteratorINS7_INS6_11hip_rocprim26transform_input_iterator_tIbNSD_35transform_pair_of_input_iterators_tIbNS6_6detail15normal_iteratorINS6_10device_ptrIKxEEEESL_NS6_8equal_toIxEEEENSG_9not_fun_tINSD_8identityEEEEENSD_19counting_iterator_tIlEES8_S8_S8_S8_S8_S8_S8_S8_EEEEPS9_S9_NSD_9__find_if7functorIS9_EEEE10hipError_tPvRmT1_T2_T3_mT4_P12ihipStream_tbEUlT_E0_NS1_11comp_targetILNS1_3genE0ELNS1_11target_archE4294967295ELNS1_3gpuE0ELNS1_3repE0EEENS1_30default_config_static_selectorELNS0_4arch9wavefront6targetE1EEEvS14_
	.globl	_ZN7rocprim17ROCPRIM_400000_NS6detail17trampoline_kernelINS0_14default_configENS1_22reduce_config_selectorIN6thrust23THRUST_200600_302600_NS5tupleIblNS6_9null_typeES8_S8_S8_S8_S8_S8_S8_EEEEZNS1_11reduce_implILb1ES3_NS6_12zip_iteratorINS7_INS6_11hip_rocprim26transform_input_iterator_tIbNSD_35transform_pair_of_input_iterators_tIbNS6_6detail15normal_iteratorINS6_10device_ptrIKxEEEESL_NS6_8equal_toIxEEEENSG_9not_fun_tINSD_8identityEEEEENSD_19counting_iterator_tIlEES8_S8_S8_S8_S8_S8_S8_S8_EEEEPS9_S9_NSD_9__find_if7functorIS9_EEEE10hipError_tPvRmT1_T2_T3_mT4_P12ihipStream_tbEUlT_E0_NS1_11comp_targetILNS1_3genE0ELNS1_11target_archE4294967295ELNS1_3gpuE0ELNS1_3repE0EEENS1_30default_config_static_selectorELNS0_4arch9wavefront6targetE1EEEvS14_
	.p2align	8
	.type	_ZN7rocprim17ROCPRIM_400000_NS6detail17trampoline_kernelINS0_14default_configENS1_22reduce_config_selectorIN6thrust23THRUST_200600_302600_NS5tupleIblNS6_9null_typeES8_S8_S8_S8_S8_S8_S8_EEEEZNS1_11reduce_implILb1ES3_NS6_12zip_iteratorINS7_INS6_11hip_rocprim26transform_input_iterator_tIbNSD_35transform_pair_of_input_iterators_tIbNS6_6detail15normal_iteratorINS6_10device_ptrIKxEEEESL_NS6_8equal_toIxEEEENSG_9not_fun_tINSD_8identityEEEEENSD_19counting_iterator_tIlEES8_S8_S8_S8_S8_S8_S8_S8_EEEEPS9_S9_NSD_9__find_if7functorIS9_EEEE10hipError_tPvRmT1_T2_T3_mT4_P12ihipStream_tbEUlT_E0_NS1_11comp_targetILNS1_3genE0ELNS1_11target_archE4294967295ELNS1_3gpuE0ELNS1_3repE0EEENS1_30default_config_static_selectorELNS0_4arch9wavefront6targetE1EEEvS14_,@function
_ZN7rocprim17ROCPRIM_400000_NS6detail17trampoline_kernelINS0_14default_configENS1_22reduce_config_selectorIN6thrust23THRUST_200600_302600_NS5tupleIblNS6_9null_typeES8_S8_S8_S8_S8_S8_S8_EEEEZNS1_11reduce_implILb1ES3_NS6_12zip_iteratorINS7_INS6_11hip_rocprim26transform_input_iterator_tIbNSD_35transform_pair_of_input_iterators_tIbNS6_6detail15normal_iteratorINS6_10device_ptrIKxEEEESL_NS6_8equal_toIxEEEENSG_9not_fun_tINSD_8identityEEEEENSD_19counting_iterator_tIlEES8_S8_S8_S8_S8_S8_S8_S8_EEEEPS9_S9_NSD_9__find_if7functorIS9_EEEE10hipError_tPvRmT1_T2_T3_mT4_P12ihipStream_tbEUlT_E0_NS1_11comp_targetILNS1_3genE0ELNS1_11target_archE4294967295ELNS1_3gpuE0ELNS1_3repE0EEENS1_30default_config_static_selectorELNS0_4arch9wavefront6targetE1EEEvS14_: ; @_ZN7rocprim17ROCPRIM_400000_NS6detail17trampoline_kernelINS0_14default_configENS1_22reduce_config_selectorIN6thrust23THRUST_200600_302600_NS5tupleIblNS6_9null_typeES8_S8_S8_S8_S8_S8_S8_EEEEZNS1_11reduce_implILb1ES3_NS6_12zip_iteratorINS7_INS6_11hip_rocprim26transform_input_iterator_tIbNSD_35transform_pair_of_input_iterators_tIbNS6_6detail15normal_iteratorINS6_10device_ptrIKxEEEESL_NS6_8equal_toIxEEEENSG_9not_fun_tINSD_8identityEEEEENSD_19counting_iterator_tIlEES8_S8_S8_S8_S8_S8_S8_S8_EEEEPS9_S9_NSD_9__find_if7functorIS9_EEEE10hipError_tPvRmT1_T2_T3_mT4_P12ihipStream_tbEUlT_E0_NS1_11comp_targetILNS1_3genE0ELNS1_11target_archE4294967295ELNS1_3gpuE0ELNS1_3repE0EEENS1_30default_config_static_selectorELNS0_4arch9wavefront6targetE1EEEvS14_
; %bb.0:
	s_load_dwordx8 s[8:15], s[0:1], 0x20
	s_load_dwordx4 s[4:7], s[0:1], 0x0
	s_load_dwordx4 s[16:19], s[0:1], 0x40
	s_mov_b32 s27, 0
	s_mov_b32 s3, s27
	s_waitcnt lgkmcnt(0)
	s_lshl_b64 s[20:21], s[10:11], 3
	s_add_u32 s22, s4, s20
	s_addc_u32 s23, s5, s21
	s_add_u32 s24, s6, s20
	s_addc_u32 s25, s7, s21
	s_lshl_b32 s26, s2, 8
	s_lshr_b64 s[4:5], s[12:13], 8
	s_lshl_b64 s[6:7], s[26:27], 3
	s_add_u32 s20, s22, s6
	s_addc_u32 s21, s23, s7
	s_add_u32 s22, s24, s6
	s_addc_u32 s23, s25, s7
	;; [unrolled: 2-line block ×4, first 2 shown]
	s_cmp_lg_u64 s[4:5], s[2:3]
	v_lshlrev_b32_e32 v10, 3, v0
	v_mbcnt_lo_u32_b32 v9, -1, 0
	s_cbranch_scc0 .LBB1251_10
; %bb.1:
	global_load_dwordx2 v[2:3], v10, s[22:23]
	global_load_dwordx2 v[6:7], v10, s[22:23] offset:1024
	global_load_dwordx2 v[12:13], v10, s[20:21] offset:1024
	global_load_dwordx2 v[14:15], v10, s[20:21]
	v_mov_b32_e32 v1, 0
	s_mov_b64 s[4:5], 0x80
	v_lshl_add_u64 v[16:17], s[24:25], 0, v[0:1]
	v_lshl_add_u64 v[18:19], v[16:17], 0, s[4:5]
	v_mbcnt_hi_u32_b32 v4, -1, v9
	v_lshlrev_b32_e32 v1, 2, v4
	v_or_b32_e32 v5, 0xfc, v1
	s_waitcnt vmcnt(1)
	v_cmp_ne_u64_e32 vcc, v[12:13], v[6:7]
	s_waitcnt vmcnt(0)
	v_cmp_ne_u64_e64 s[4:5], v[14:15], v[2:3]
	s_nop 1
	v_cndmask_b32_e64 v3, v19, v17, s[4:5]
	v_cndmask_b32_e64 v2, v18, v16, s[4:5]
	s_or_b64 s[4:5], s[4:5], vcc
	v_cndmask_b32_e64 v8, 0, 1, s[4:5]
	v_mov_b32_dpp v7, v3 quad_perm:[1,0,3,2] row_mask:0xf bank_mask:0xf bound_ctrl:1
	v_mov_b32_dpp v6, v2 quad_perm:[1,0,3,2] row_mask:0xf bank_mask:0xf bound_ctrl:1
	;; [unrolled: 1-line block ×3, first 2 shown]
	v_cmp_lt_i64_e32 vcc, v[2:3], v[6:7]
	v_and_b32_e32 v11, 1, v11
	s_and_b64 vcc, s[4:5], vcc
	v_cndmask_b32_e32 v6, v6, v2, vcc
	v_cndmask_b32_e32 v7, v7, v3, vcc
	v_cmp_eq_u32_e32 vcc, 1, v11
	s_nop 1
	v_cndmask_b32_e32 v3, v3, v7, vcc
	v_cndmask_b32_e32 v2, v2, v6, vcc
	v_cndmask_b32_e64 v8, v8, 1, vcc
	v_mov_b32_dpp v7, v3 quad_perm:[2,3,0,1] row_mask:0xf bank_mask:0xf bound_ctrl:1
	v_mov_b32_dpp v6, v2 quad_perm:[2,3,0,1] row_mask:0xf bank_mask:0xf bound_ctrl:1
	v_and_b32_e32 v12, 1, v8
	v_mov_b32_dpp v11, v8 quad_perm:[2,3,0,1] row_mask:0xf bank_mask:0xf bound_ctrl:1
	v_cmp_eq_u32_e32 vcc, 1, v12
	v_cmp_lt_i64_e64 s[4:5], v[2:3], v[6:7]
	v_and_b32_e32 v11, 1, v11
	s_and_b64 vcc, vcc, s[4:5]
	v_cmp_eq_u32_e64 s[6:7], 1, v11
	v_cndmask_b32_e32 v6, v6, v2, vcc
	v_cndmask_b32_e32 v7, v7, v3, vcc
	v_cndmask_b32_e64 v8, v8, 1, s[6:7]
	v_cndmask_b32_e64 v2, v2, v6, s[6:7]
	;; [unrolled: 1-line block ×3, first 2 shown]
	v_and_b32_e32 v12, 1, v8
	v_mov_b32_dpp v6, v2 row_ror:4 row_mask:0xf bank_mask:0xf bound_ctrl:1
	v_mov_b32_dpp v7, v3 row_ror:4 row_mask:0xf bank_mask:0xf bound_ctrl:1
	;; [unrolled: 1-line block ×3, first 2 shown]
	v_cmp_eq_u32_e32 vcc, 1, v12
	v_cmp_lt_i64_e64 s[6:7], v[2:3], v[6:7]
	v_and_b32_e32 v11, 1, v11
	s_and_b64 vcc, vcc, s[6:7]
	v_cmp_eq_u32_e64 s[4:5], 1, v11
	v_cndmask_b32_e32 v6, v6, v2, vcc
	v_cndmask_b32_e32 v7, v7, v3, vcc
	v_cndmask_b32_e64 v8, v8, 1, s[4:5]
	v_cndmask_b32_e64 v2, v2, v6, s[4:5]
	v_cndmask_b32_e64 v3, v3, v7, s[4:5]
	v_and_b32_e32 v12, 1, v8
	v_mov_b32_dpp v6, v2 row_ror:8 row_mask:0xf bank_mask:0xf bound_ctrl:1
	v_mov_b32_dpp v7, v3 row_ror:8 row_mask:0xf bank_mask:0xf bound_ctrl:1
	;; [unrolled: 1-line block ×3, first 2 shown]
	v_cmp_eq_u32_e64 s[6:7], 1, v12
	v_cmp_lt_i64_e64 s[8:9], v[2:3], v[6:7]
	v_and_b32_e32 v11, 1, v11
	s_and_b64 s[6:7], s[6:7], s[8:9]
	v_cmp_eq_u32_e32 vcc, 1, v11
	v_cndmask_b32_e64 v6, v6, v2, s[6:7]
	v_cndmask_b32_e64 v7, v7, v3, s[6:7]
	v_cndmask_b32_e64 v8, v8, 1, vcc
	v_cndmask_b32_e32 v2, v2, v6, vcc
	v_cndmask_b32_e32 v3, v3, v7, vcc
	v_and_b32_e32 v12, 1, v8
	v_mov_b32_dpp v6, v2 row_bcast:15 row_mask:0xf bank_mask:0xf bound_ctrl:1
	v_mov_b32_dpp v7, v3 row_bcast:15 row_mask:0xf bank_mask:0xf bound_ctrl:1
	;; [unrolled: 1-line block ×3, first 2 shown]
	v_cmp_eq_u32_e64 s[4:5], 1, v12
	v_cmp_lt_i64_e64 s[8:9], v[2:3], v[6:7]
	v_and_b32_e32 v11, 1, v11
	s_and_b64 s[4:5], s[4:5], s[8:9]
	v_cmp_eq_u32_e64 s[10:11], 1, v11
	v_cndmask_b32_e64 v6, v6, v2, s[4:5]
	v_cndmask_b32_e64 v7, v7, v3, s[4:5]
	;; [unrolled: 1-line block ×5, first 2 shown]
	v_and_b32_e32 v12, 1, v8
	v_mov_b32_dpp v6, v2 row_bcast:31 row_mask:0xf bank_mask:0xf bound_ctrl:1
	v_mov_b32_dpp v7, v3 row_bcast:31 row_mask:0xf bank_mask:0xf bound_ctrl:1
	;; [unrolled: 1-line block ×3, first 2 shown]
	v_cmp_eq_u32_e64 s[6:7], 1, v12
	v_cmp_lt_i64_e64 s[4:5], v[2:3], v[6:7]
	v_and_b32_e32 v11, 1, v11
	s_and_b64 s[4:5], s[6:7], s[4:5]
	v_cmp_eq_u32_e32 vcc, 1, v11
	v_cndmask_b32_e64 v6, v6, v2, s[4:5]
	v_cndmask_b32_e64 v7, v7, v3, s[4:5]
	v_cndmask_b32_e64 v8, v8, 1, vcc
	v_cndmask_b32_e32 v2, v2, v6, vcc
	v_cndmask_b32_e32 v3, v3, v7, vcc
	ds_bpermute_b32 v8, v5, v8
	ds_bpermute_b32 v2, v5, v2
	;; [unrolled: 1-line block ×3, first 2 shown]
	v_cmp_eq_u32_e32 vcc, 0, v4
	s_and_saveexec_b64 s[4:5], vcc
	s_cbranch_execz .LBB1251_3
; %bb.2:
	v_lshrrev_b32_e32 v5, 2, v0
	v_and_b32_e32 v5, 16, v5
	s_waitcnt lgkmcnt(2)
	ds_write_b8 v5, v8
	s_waitcnt lgkmcnt(1)
	ds_write_b64 v5, v[2:3] offset:8
.LBB1251_3:
	s_or_b64 exec, exec, s[4:5]
	v_cmp_gt_u32_e32 vcc, 64, v0
	s_waitcnt lgkmcnt(0)
	s_barrier
	s_and_saveexec_b64 s[4:5], vcc
	s_cbranch_execz .LBB1251_9
; %bb.4:
	v_and_b32_e32 v2, 1, v4
	v_lshlrev_b32_e32 v2, 4, v2
	ds_read_u8 v11, v2
	ds_read_b64 v[4:5], v2 offset:8
	v_or_b32_e32 v3, 4, v1
	s_waitcnt lgkmcnt(1)
	v_and_b32_e32 v2, 0xff, v11
	ds_bpermute_b32 v1, v3, v2
	s_waitcnt lgkmcnt(1)
	ds_bpermute_b32 v6, v3, v4
	ds_bpermute_b32 v7, v3, v5
	s_waitcnt lgkmcnt(2)
	v_and_b32_e32 v2, v11, v1
	v_and_b32_e32 v2, 1, v2
	v_cmp_eq_u32_e32 vcc, 1, v2
                                        ; implicit-def: $vgpr2_vgpr3
	s_and_saveexec_b64 s[6:7], vcc
	s_xor_b64 s[6:7], exec, s[6:7]
	s_cbranch_execz .LBB1251_6
; %bb.5:
	s_waitcnt lgkmcnt(0)
	v_cmp_lt_i64_e32 vcc, v[6:7], v[4:5]
                                        ; implicit-def: $vgpr11
                                        ; implicit-def: $vgpr1
	s_nop 1
	v_cndmask_b32_e32 v3, v5, v7, vcc
	v_cndmask_b32_e32 v2, v4, v6, vcc
                                        ; implicit-def: $vgpr6_vgpr7
                                        ; implicit-def: $vgpr4_vgpr5
.LBB1251_6:
	s_or_saveexec_b64 s[6:7], s[6:7]
	v_mov_b32_e32 v8, 1
	s_xor_b64 exec, exec, s[6:7]
	s_cbranch_execz .LBB1251_8
; %bb.7:
	v_and_b32_e32 v2, 1, v11
	v_cmp_eq_u32_e32 vcc, 1, v2
	s_waitcnt lgkmcnt(0)
	s_nop 0
	v_cndmask_b32_e32 v3, v7, v5, vcc
	v_cndmask_b32_e32 v2, v6, v4, vcc
	v_cndmask_b32_e64 v8, v1, 1, vcc
.LBB1251_8:
	s_or_b64 exec, exec, s[6:7]
.LBB1251_9:
	s_or_b64 exec, exec, s[4:5]
	s_load_dword s10, s[0:1], 0x50
	s_load_dwordx2 s[8:9], s[0:1], 0x58
	s_branch .LBB1251_62
.LBB1251_10:
                                        ; implicit-def: $vgpr2_vgpr3
                                        ; implicit-def: $vgpr8
	s_load_dword s10, s[0:1], 0x50
	s_load_dwordx2 s[8:9], s[0:1], 0x58
	s_cbranch_execz .LBB1251_62
; %bb.11:
	s_sub_i32 s11, s12, s26
	v_cmp_gt_u32_e32 vcc, s11, v0
	s_waitcnt lgkmcnt(0)
	v_mov_b32_e32 v7, 0
	v_mov_b64_e32 v[4:5], 0
	v_mov_b64_e32 v[2:3], 0
	v_mov_b32_e32 v1, 0
	s_and_saveexec_b64 s[0:1], vcc
	s_cbranch_execz .LBB1251_13
; %bb.12:
	global_load_dwordx2 v[12:13], v10, s[20:21]
	global_load_dwordx2 v[14:15], v10, s[22:23]
	v_mov_b32_e32 v1, 0
	v_lshl_add_u64 v[2:3], s[24:25], 0, v[0:1]
	s_waitcnt vmcnt(0)
	v_cmp_ne_u64_e32 vcc, v[12:13], v[14:15]
	s_nop 1
	v_cndmask_b32_e64 v1, 0, 1, vcc
.LBB1251_13:
	s_or_b64 exec, exec, s[0:1]
	v_or_b32_e32 v6, 0x80, v0
	v_cmp_gt_u32_e32 vcc, s11, v6
	s_and_saveexec_b64 s[4:5], vcc
	s_cbranch_execz .LBB1251_15
; %bb.14:
	global_load_dwordx2 v[12:13], v10, s[20:21] offset:1024
	global_load_dwordx2 v[14:15], v10, s[22:23] offset:1024
	v_mov_b32_e32 v7, 0
	v_lshl_add_u64 v[4:5], s[24:25], 0, v[6:7]
	s_waitcnt vmcnt(0)
	v_cmp_ne_u64_e64 s[0:1], v[12:13], v[14:15]
	s_nop 1
	v_cndmask_b32_e64 v7, 0, 1, s[0:1]
.LBB1251_15:
	s_or_b64 exec, exec, s[4:5]
	v_and_b32_e32 v8, 0xffff, v7
	v_and_b32_e32 v7, 1, v7
	;; [unrolled: 1-line block ×3, first 2 shown]
	v_cmp_eq_u32_e64 s[0:1], 1, v7
	v_and_b32_e32 v1, 1, v1
	v_cmp_lt_i64_e64 s[4:5], v[4:5], v[2:3]
	v_cmp_eq_u32_e64 s[6:7], 1, v1
	s_and_b64 s[0:1], s[0:1], s[4:5]
	v_cndmask_b32_e64 v7, v3, v5, s[0:1]
	v_cndmask_b32_e64 v1, v8, 1, s[6:7]
	;; [unrolled: 1-line block ×4, first 2 shown]
	v_cndmask_b32_e32 v8, v6, v1, vcc
	v_mbcnt_hi_u32_b32 v1, -1, v9
	v_cndmask_b32_e64 v5, v5, v7, s[6:7]
	v_and_b32_e32 v6, 63, v1
	v_cndmask_b32_e32 v3, v3, v5, vcc
	v_cndmask_b32_e32 v2, v2, v4, vcc
	v_cmp_ne_u32_e32 vcc, 63, v6
	s_min_u32 s6, s11, 0x80
	v_and_b32_e32 v7, 64, v0
	v_addc_co_u32_e32 v4, vcc, 0, v1, vcc
	v_lshlrev_b32_e32 v5, 2, v4
	ds_bpermute_b32 v9, v5, v8
	ds_bpermute_b32 v4, v5, v2
	;; [unrolled: 1-line block ×3, first 2 shown]
	v_sub_u32_e64 v7, s6, v7 clamp
	v_add_u32_e32 v10, 1, v6
	v_cmp_lt_u32_e32 vcc, v10, v7
	s_and_saveexec_b64 s[0:1], vcc
	s_cbranch_execz .LBB1251_21
; %bb.16:
	s_waitcnt lgkmcnt(2)
	v_and_b32_e32 v10, v9, v8
	v_cmp_ne_u32_e32 vcc, 0, v10
	s_and_saveexec_b64 s[4:5], vcc
	s_xor_b64 s[4:5], exec, s[4:5]
	s_cbranch_execz .LBB1251_18
; %bb.17:
	s_waitcnt lgkmcnt(0)
	v_cmp_lt_i64_e32 vcc, v[4:5], v[2:3]
                                        ; implicit-def: $vgpr8
                                        ; implicit-def: $vgpr9
	s_nop 1
	v_cndmask_b32_e32 v3, v3, v5, vcc
	v_cndmask_b32_e32 v2, v2, v4, vcc
                                        ; implicit-def: $vgpr4_vgpr5
.LBB1251_18:
	s_or_saveexec_b64 s[4:5], s[4:5]
	v_mov_b32_e32 v10, 1
	s_xor_b64 exec, exec, s[4:5]
	s_cbranch_execz .LBB1251_20
; %bb.19:
	v_and_b32_e32 v8, 1, v8
	v_cmp_eq_u32_e32 vcc, 1, v8
	s_waitcnt lgkmcnt(1)
	s_nop 0
	v_cndmask_b32_e32 v2, v4, v2, vcc
	v_and_b32_e32 v4, 0xff, v9
	s_waitcnt lgkmcnt(0)
	v_cndmask_b32_e32 v3, v5, v3, vcc
	v_cndmask_b32_e64 v10, v4, 1, vcc
.LBB1251_20:
	s_or_b64 exec, exec, s[4:5]
	v_mov_b32_e32 v8, v10
.LBB1251_21:
	s_or_b64 exec, exec, s[0:1]
	v_cmp_gt_u32_e32 vcc, 62, v6
	v_add_u32_e32 v10, 2, v6
	s_waitcnt lgkmcnt(1)
	v_cndmask_b32_e64 v4, 0, 2, vcc
	s_waitcnt lgkmcnt(0)
	v_add_lshl_u32 v5, v4, v1, 2
	ds_bpermute_b32 v9, v5, v8
	ds_bpermute_b32 v4, v5, v2
	ds_bpermute_b32 v5, v5, v3
	v_cmp_lt_u32_e32 vcc, v10, v7
	s_and_saveexec_b64 s[0:1], vcc
	s_cbranch_execz .LBB1251_27
; %bb.22:
	s_waitcnt lgkmcnt(2)
	v_and_b32_e32 v10, v8, v9
	v_and_b32_e32 v10, 1, v10
	v_cmp_eq_u32_e32 vcc, 1, v10
	s_and_saveexec_b64 s[4:5], vcc
	s_xor_b64 s[4:5], exec, s[4:5]
	s_cbranch_execz .LBB1251_24
; %bb.23:
	s_waitcnt lgkmcnt(0)
	v_cmp_lt_i64_e32 vcc, v[4:5], v[2:3]
                                        ; implicit-def: $vgpr8
                                        ; implicit-def: $vgpr9
	s_nop 1
	v_cndmask_b32_e32 v3, v3, v5, vcc
	v_cndmask_b32_e32 v2, v2, v4, vcc
                                        ; implicit-def: $vgpr4_vgpr5
.LBB1251_24:
	s_or_saveexec_b64 s[4:5], s[4:5]
	v_mov_b32_e32 v10, 1
	s_xor_b64 exec, exec, s[4:5]
	s_cbranch_execz .LBB1251_26
; %bb.25:
	v_and_b32_e32 v8, 1, v8
	v_cmp_eq_u32_e32 vcc, 1, v8
	s_waitcnt lgkmcnt(1)
	s_nop 0
	v_cndmask_b32_e32 v2, v4, v2, vcc
	v_and_b32_e32 v4, 0xff, v9
	s_waitcnt lgkmcnt(0)
	v_cndmask_b32_e32 v3, v5, v3, vcc
	v_cndmask_b32_e64 v10, v4, 1, vcc
.LBB1251_26:
	s_or_b64 exec, exec, s[4:5]
	v_mov_b32_e32 v8, v10
.LBB1251_27:
	s_or_b64 exec, exec, s[0:1]
	v_cmp_gt_u32_e32 vcc, 60, v6
	v_add_u32_e32 v10, 4, v6
	s_waitcnt lgkmcnt(1)
	v_cndmask_b32_e64 v4, 0, 4, vcc
	s_waitcnt lgkmcnt(0)
	v_add_lshl_u32 v5, v4, v1, 2
	ds_bpermute_b32 v9, v5, v8
	ds_bpermute_b32 v4, v5, v2
	ds_bpermute_b32 v5, v5, v3
	v_cmp_lt_u32_e32 vcc, v10, v7
	s_and_saveexec_b64 s[0:1], vcc
	s_cbranch_execz .LBB1251_33
; %bb.28:
	s_waitcnt lgkmcnt(2)
	v_and_b32_e32 v10, v8, v9
	v_and_b32_e32 v10, 1, v10
	v_cmp_eq_u32_e32 vcc, 1, v10
	s_and_saveexec_b64 s[4:5], vcc
	s_xor_b64 s[4:5], exec, s[4:5]
	s_cbranch_execz .LBB1251_30
; %bb.29:
	s_waitcnt lgkmcnt(0)
	v_cmp_lt_i64_e32 vcc, v[4:5], v[2:3]
                                        ; implicit-def: $vgpr8
                                        ; implicit-def: $vgpr9
	s_nop 1
	v_cndmask_b32_e32 v3, v3, v5, vcc
	v_cndmask_b32_e32 v2, v2, v4, vcc
                                        ; implicit-def: $vgpr4_vgpr5
.LBB1251_30:
	s_or_saveexec_b64 s[4:5], s[4:5]
	v_mov_b32_e32 v10, 1
	s_xor_b64 exec, exec, s[4:5]
	s_cbranch_execz .LBB1251_32
; %bb.31:
	v_and_b32_e32 v8, 1, v8
	v_cmp_eq_u32_e32 vcc, 1, v8
	s_waitcnt lgkmcnt(1)
	s_nop 0
	v_cndmask_b32_e32 v2, v4, v2, vcc
	v_and_b32_e32 v4, 0xff, v9
	s_waitcnt lgkmcnt(0)
	v_cndmask_b32_e32 v3, v5, v3, vcc
	v_cndmask_b32_e64 v10, v4, 1, vcc
.LBB1251_32:
	s_or_b64 exec, exec, s[4:5]
	v_mov_b32_e32 v8, v10
.LBB1251_33:
	;; [unrolled: 49-line block ×4, first 2 shown]
	s_or_b64 exec, exec, s[0:1]
	s_waitcnt lgkmcnt(2)
	v_lshlrev_b32_e32 v9, 2, v1
	s_waitcnt lgkmcnt(0)
	v_or_b32_e32 v5, 0x80, v9
	ds_bpermute_b32 v10, v5, v8
	ds_bpermute_b32 v4, v5, v2
	;; [unrolled: 1-line block ×3, first 2 shown]
	v_add_u32_e32 v6, 32, v6
	v_cmp_lt_u32_e32 vcc, v6, v7
	v_mov_b32_e32 v6, v8
	s_and_saveexec_b64 s[0:1], vcc
	s_cbranch_execz .LBB1251_51
; %bb.46:
	s_waitcnt lgkmcnt(2)
	v_and_b32_e32 v6, v8, v10
	v_and_b32_e32 v6, 1, v6
	v_cmp_eq_u32_e32 vcc, 1, v6
	s_and_saveexec_b64 s[4:5], vcc
	s_xor_b64 s[4:5], exec, s[4:5]
	s_cbranch_execz .LBB1251_48
; %bb.47:
	s_waitcnt lgkmcnt(0)
	v_cmp_lt_i64_e32 vcc, v[4:5], v[2:3]
                                        ; implicit-def: $vgpr8
                                        ; implicit-def: $vgpr10
	s_nop 1
	v_cndmask_b32_e32 v3, v3, v5, vcc
	v_cndmask_b32_e32 v2, v2, v4, vcc
                                        ; implicit-def: $vgpr4_vgpr5
.LBB1251_48:
	s_or_saveexec_b64 s[4:5], s[4:5]
	v_mov_b32_e32 v6, 1
	s_xor_b64 exec, exec, s[4:5]
	s_cbranch_execz .LBB1251_50
; %bb.49:
	v_and_b32_e32 v6, 1, v8
	v_cmp_eq_u32_e32 vcc, 1, v6
	s_nop 1
	v_cndmask_b32_e64 v6, v10, 1, vcc
	s_waitcnt lgkmcnt(0)
	v_cndmask_b32_e32 v3, v5, v3, vcc
	v_cndmask_b32_e32 v2, v4, v2, vcc
.LBB1251_50:
	s_or_b64 exec, exec, s[4:5]
	v_and_b32_e32 v8, 0xff, v6
.LBB1251_51:
	s_or_b64 exec, exec, s[0:1]
	v_cmp_eq_u32_e32 vcc, 0, v1
	s_and_saveexec_b64 s[0:1], vcc
	s_cbranch_execz .LBB1251_53
; %bb.52:
	s_waitcnt lgkmcnt(1)
	v_lshrrev_b32_e32 v4, 2, v0
	v_and_b32_e32 v4, 16, v4
	ds_write_b8 v4, v6 offset:32
	ds_write_b64 v4, v[2:3] offset:40
.LBB1251_53:
	s_or_b64 exec, exec, s[0:1]
	v_cmp_gt_u32_e32 vcc, 2, v0
	s_waitcnt lgkmcnt(0)
	s_barrier
	s_and_saveexec_b64 s[0:1], vcc
	s_cbranch_execz .LBB1251_61
; %bb.54:
	v_lshlrev_b32_e32 v2, 4, v1
	ds_read_u8 v6, v2 offset:32
	ds_read_b64 v[2:3], v2 offset:40
	v_or_b32_e32 v5, 4, v9
	s_add_i32 s6, s6, 63
	v_and_b32_e32 v1, 1, v1
	s_waitcnt lgkmcnt(1)
	v_and_b32_e32 v8, 0xff, v6
	s_waitcnt lgkmcnt(0)
	ds_bpermute_b32 v4, v5, v2
	ds_bpermute_b32 v7, v5, v8
	;; [unrolled: 1-line block ×3, first 2 shown]
	s_lshr_b32 s4, s6, 6
	v_add_u32_e32 v1, 1, v1
	v_cmp_gt_u32_e32 vcc, s4, v1
	s_and_saveexec_b64 s[4:5], vcc
	s_cbranch_execz .LBB1251_60
; %bb.55:
	s_waitcnt lgkmcnt(1)
	v_and_b32_e32 v1, v8, v7
	v_and_b32_e32 v1, 1, v1
	v_cmp_eq_u32_e32 vcc, 1, v1
	s_and_saveexec_b64 s[6:7], vcc
	s_xor_b64 s[6:7], exec, s[6:7]
	s_cbranch_execz .LBB1251_57
; %bb.56:
	s_waitcnt lgkmcnt(0)
	v_cmp_lt_i64_e32 vcc, v[4:5], v[2:3]
                                        ; implicit-def: $vgpr6
                                        ; implicit-def: $vgpr7
	s_nop 1
	v_cndmask_b32_e32 v3, v3, v5, vcc
	v_cndmask_b32_e32 v2, v2, v4, vcc
                                        ; implicit-def: $vgpr4_vgpr5
.LBB1251_57:
	s_or_saveexec_b64 s[6:7], s[6:7]
	v_mov_b32_e32 v8, 1
	s_xor_b64 exec, exec, s[6:7]
	s_cbranch_execz .LBB1251_59
; %bb.58:
	v_and_b32_e32 v1, 1, v6
	v_cmp_eq_u32_e32 vcc, 1, v1
	s_waitcnt lgkmcnt(0)
	s_nop 0
	v_cndmask_b32_e32 v3, v5, v3, vcc
	v_cndmask_b32_e32 v2, v4, v2, vcc
	v_cndmask_b32_e64 v8, v7, 1, vcc
.LBB1251_59:
	s_or_b64 exec, exec, s[6:7]
.LBB1251_60:
	s_or_b64 exec, exec, s[4:5]
.LBB1251_61:
	s_or_b64 exec, exec, s[0:1]
.LBB1251_62:
	v_cmp_eq_u32_e32 vcc, 0, v0
	s_and_saveexec_b64 s[0:1], vcc
	s_cbranch_execnz .LBB1251_64
; %bb.63:
	s_endpgm
.LBB1251_64:
	s_mul_i32 s0, s18, s17
	s_mul_hi_u32 s1, s18, s16
	s_add_i32 s0, s1, s0
	s_mul_i32 s1, s19, s16
	s_add_i32 s1, s0, s1
	s_mul_i32 s0, s18, s16
	s_lshl_b64 s[0:1], s[0:1], 4
	s_add_u32 s4, s14, s0
	s_addc_u32 s5, s15, s1
	s_cmp_eq_u64 s[12:13], 0
	s_waitcnt lgkmcnt(0)
	v_mov_b32_e32 v0, s9
	s_cselect_b64 vcc, -1, 0
	v_cndmask_b32_e32 v1, v3, v0, vcc
	v_mov_b32_e32 v0, s8
	s_lshl_b64 s[0:1], s[2:3], 4
	v_cndmask_b32_e32 v0, v2, v0, vcc
	v_mov_b32_e32 v2, s10
	s_add_u32 s0, s4, s0
	v_cndmask_b32_e32 v2, v8, v2, vcc
	s_addc_u32 s1, s5, s1
	v_mov_b32_e32 v3, 0
	global_store_byte v3, v2, s[0:1]
	global_store_dwordx2 v3, v[0:1], s[0:1] offset:8
	s_endpgm
	.section	.rodata,"a",@progbits
	.p2align	6, 0x0
	.amdhsa_kernel _ZN7rocprim17ROCPRIM_400000_NS6detail17trampoline_kernelINS0_14default_configENS1_22reduce_config_selectorIN6thrust23THRUST_200600_302600_NS5tupleIblNS6_9null_typeES8_S8_S8_S8_S8_S8_S8_EEEEZNS1_11reduce_implILb1ES3_NS6_12zip_iteratorINS7_INS6_11hip_rocprim26transform_input_iterator_tIbNSD_35transform_pair_of_input_iterators_tIbNS6_6detail15normal_iteratorINS6_10device_ptrIKxEEEESL_NS6_8equal_toIxEEEENSG_9not_fun_tINSD_8identityEEEEENSD_19counting_iterator_tIlEES8_S8_S8_S8_S8_S8_S8_S8_EEEEPS9_S9_NSD_9__find_if7functorIS9_EEEE10hipError_tPvRmT1_T2_T3_mT4_P12ihipStream_tbEUlT_E0_NS1_11comp_targetILNS1_3genE0ELNS1_11target_archE4294967295ELNS1_3gpuE0ELNS1_3repE0EEENS1_30default_config_static_selectorELNS0_4arch9wavefront6targetE1EEEvS14_
		.amdhsa_group_segment_fixed_size 64
		.amdhsa_private_segment_fixed_size 0
		.amdhsa_kernarg_size 104
		.amdhsa_user_sgpr_count 2
		.amdhsa_user_sgpr_dispatch_ptr 0
		.amdhsa_user_sgpr_queue_ptr 0
		.amdhsa_user_sgpr_kernarg_segment_ptr 1
		.amdhsa_user_sgpr_dispatch_id 0
		.amdhsa_user_sgpr_kernarg_preload_length 0
		.amdhsa_user_sgpr_kernarg_preload_offset 0
		.amdhsa_user_sgpr_private_segment_size 0
		.amdhsa_uses_dynamic_stack 0
		.amdhsa_enable_private_segment 0
		.amdhsa_system_sgpr_workgroup_id_x 1
		.amdhsa_system_sgpr_workgroup_id_y 0
		.amdhsa_system_sgpr_workgroup_id_z 0
		.amdhsa_system_sgpr_workgroup_info 0
		.amdhsa_system_vgpr_workitem_id 0
		.amdhsa_next_free_vgpr 20
		.amdhsa_next_free_sgpr 28
		.amdhsa_accum_offset 20
		.amdhsa_reserve_vcc 1
		.amdhsa_float_round_mode_32 0
		.amdhsa_float_round_mode_16_64 0
		.amdhsa_float_denorm_mode_32 3
		.amdhsa_float_denorm_mode_16_64 3
		.amdhsa_dx10_clamp 1
		.amdhsa_ieee_mode 1
		.amdhsa_fp16_overflow 0
		.amdhsa_tg_split 0
		.amdhsa_exception_fp_ieee_invalid_op 0
		.amdhsa_exception_fp_denorm_src 0
		.amdhsa_exception_fp_ieee_div_zero 0
		.amdhsa_exception_fp_ieee_overflow 0
		.amdhsa_exception_fp_ieee_underflow 0
		.amdhsa_exception_fp_ieee_inexact 0
		.amdhsa_exception_int_div_zero 0
	.end_amdhsa_kernel
	.section	.text._ZN7rocprim17ROCPRIM_400000_NS6detail17trampoline_kernelINS0_14default_configENS1_22reduce_config_selectorIN6thrust23THRUST_200600_302600_NS5tupleIblNS6_9null_typeES8_S8_S8_S8_S8_S8_S8_EEEEZNS1_11reduce_implILb1ES3_NS6_12zip_iteratorINS7_INS6_11hip_rocprim26transform_input_iterator_tIbNSD_35transform_pair_of_input_iterators_tIbNS6_6detail15normal_iteratorINS6_10device_ptrIKxEEEESL_NS6_8equal_toIxEEEENSG_9not_fun_tINSD_8identityEEEEENSD_19counting_iterator_tIlEES8_S8_S8_S8_S8_S8_S8_S8_EEEEPS9_S9_NSD_9__find_if7functorIS9_EEEE10hipError_tPvRmT1_T2_T3_mT4_P12ihipStream_tbEUlT_E0_NS1_11comp_targetILNS1_3genE0ELNS1_11target_archE4294967295ELNS1_3gpuE0ELNS1_3repE0EEENS1_30default_config_static_selectorELNS0_4arch9wavefront6targetE1EEEvS14_,"axG",@progbits,_ZN7rocprim17ROCPRIM_400000_NS6detail17trampoline_kernelINS0_14default_configENS1_22reduce_config_selectorIN6thrust23THRUST_200600_302600_NS5tupleIblNS6_9null_typeES8_S8_S8_S8_S8_S8_S8_EEEEZNS1_11reduce_implILb1ES3_NS6_12zip_iteratorINS7_INS6_11hip_rocprim26transform_input_iterator_tIbNSD_35transform_pair_of_input_iterators_tIbNS6_6detail15normal_iteratorINS6_10device_ptrIKxEEEESL_NS6_8equal_toIxEEEENSG_9not_fun_tINSD_8identityEEEEENSD_19counting_iterator_tIlEES8_S8_S8_S8_S8_S8_S8_S8_EEEEPS9_S9_NSD_9__find_if7functorIS9_EEEE10hipError_tPvRmT1_T2_T3_mT4_P12ihipStream_tbEUlT_E0_NS1_11comp_targetILNS1_3genE0ELNS1_11target_archE4294967295ELNS1_3gpuE0ELNS1_3repE0EEENS1_30default_config_static_selectorELNS0_4arch9wavefront6targetE1EEEvS14_,comdat
.Lfunc_end1251:
	.size	_ZN7rocprim17ROCPRIM_400000_NS6detail17trampoline_kernelINS0_14default_configENS1_22reduce_config_selectorIN6thrust23THRUST_200600_302600_NS5tupleIblNS6_9null_typeES8_S8_S8_S8_S8_S8_S8_EEEEZNS1_11reduce_implILb1ES3_NS6_12zip_iteratorINS7_INS6_11hip_rocprim26transform_input_iterator_tIbNSD_35transform_pair_of_input_iterators_tIbNS6_6detail15normal_iteratorINS6_10device_ptrIKxEEEESL_NS6_8equal_toIxEEEENSG_9not_fun_tINSD_8identityEEEEENSD_19counting_iterator_tIlEES8_S8_S8_S8_S8_S8_S8_S8_EEEEPS9_S9_NSD_9__find_if7functorIS9_EEEE10hipError_tPvRmT1_T2_T3_mT4_P12ihipStream_tbEUlT_E0_NS1_11comp_targetILNS1_3genE0ELNS1_11target_archE4294967295ELNS1_3gpuE0ELNS1_3repE0EEENS1_30default_config_static_selectorELNS0_4arch9wavefront6targetE1EEEvS14_, .Lfunc_end1251-_ZN7rocprim17ROCPRIM_400000_NS6detail17trampoline_kernelINS0_14default_configENS1_22reduce_config_selectorIN6thrust23THRUST_200600_302600_NS5tupleIblNS6_9null_typeES8_S8_S8_S8_S8_S8_S8_EEEEZNS1_11reduce_implILb1ES3_NS6_12zip_iteratorINS7_INS6_11hip_rocprim26transform_input_iterator_tIbNSD_35transform_pair_of_input_iterators_tIbNS6_6detail15normal_iteratorINS6_10device_ptrIKxEEEESL_NS6_8equal_toIxEEEENSG_9not_fun_tINSD_8identityEEEEENSD_19counting_iterator_tIlEES8_S8_S8_S8_S8_S8_S8_S8_EEEEPS9_S9_NSD_9__find_if7functorIS9_EEEE10hipError_tPvRmT1_T2_T3_mT4_P12ihipStream_tbEUlT_E0_NS1_11comp_targetILNS1_3genE0ELNS1_11target_archE4294967295ELNS1_3gpuE0ELNS1_3repE0EEENS1_30default_config_static_selectorELNS0_4arch9wavefront6targetE1EEEvS14_
                                        ; -- End function
	.set _ZN7rocprim17ROCPRIM_400000_NS6detail17trampoline_kernelINS0_14default_configENS1_22reduce_config_selectorIN6thrust23THRUST_200600_302600_NS5tupleIblNS6_9null_typeES8_S8_S8_S8_S8_S8_S8_EEEEZNS1_11reduce_implILb1ES3_NS6_12zip_iteratorINS7_INS6_11hip_rocprim26transform_input_iterator_tIbNSD_35transform_pair_of_input_iterators_tIbNS6_6detail15normal_iteratorINS6_10device_ptrIKxEEEESL_NS6_8equal_toIxEEEENSG_9not_fun_tINSD_8identityEEEEENSD_19counting_iterator_tIlEES8_S8_S8_S8_S8_S8_S8_S8_EEEEPS9_S9_NSD_9__find_if7functorIS9_EEEE10hipError_tPvRmT1_T2_T3_mT4_P12ihipStream_tbEUlT_E0_NS1_11comp_targetILNS1_3genE0ELNS1_11target_archE4294967295ELNS1_3gpuE0ELNS1_3repE0EEENS1_30default_config_static_selectorELNS0_4arch9wavefront6targetE1EEEvS14_.num_vgpr, 20
	.set _ZN7rocprim17ROCPRIM_400000_NS6detail17trampoline_kernelINS0_14default_configENS1_22reduce_config_selectorIN6thrust23THRUST_200600_302600_NS5tupleIblNS6_9null_typeES8_S8_S8_S8_S8_S8_S8_EEEEZNS1_11reduce_implILb1ES3_NS6_12zip_iteratorINS7_INS6_11hip_rocprim26transform_input_iterator_tIbNSD_35transform_pair_of_input_iterators_tIbNS6_6detail15normal_iteratorINS6_10device_ptrIKxEEEESL_NS6_8equal_toIxEEEENSG_9not_fun_tINSD_8identityEEEEENSD_19counting_iterator_tIlEES8_S8_S8_S8_S8_S8_S8_S8_EEEEPS9_S9_NSD_9__find_if7functorIS9_EEEE10hipError_tPvRmT1_T2_T3_mT4_P12ihipStream_tbEUlT_E0_NS1_11comp_targetILNS1_3genE0ELNS1_11target_archE4294967295ELNS1_3gpuE0ELNS1_3repE0EEENS1_30default_config_static_selectorELNS0_4arch9wavefront6targetE1EEEvS14_.num_agpr, 0
	.set _ZN7rocprim17ROCPRIM_400000_NS6detail17trampoline_kernelINS0_14default_configENS1_22reduce_config_selectorIN6thrust23THRUST_200600_302600_NS5tupleIblNS6_9null_typeES8_S8_S8_S8_S8_S8_S8_EEEEZNS1_11reduce_implILb1ES3_NS6_12zip_iteratorINS7_INS6_11hip_rocprim26transform_input_iterator_tIbNSD_35transform_pair_of_input_iterators_tIbNS6_6detail15normal_iteratorINS6_10device_ptrIKxEEEESL_NS6_8equal_toIxEEEENSG_9not_fun_tINSD_8identityEEEEENSD_19counting_iterator_tIlEES8_S8_S8_S8_S8_S8_S8_S8_EEEEPS9_S9_NSD_9__find_if7functorIS9_EEEE10hipError_tPvRmT1_T2_T3_mT4_P12ihipStream_tbEUlT_E0_NS1_11comp_targetILNS1_3genE0ELNS1_11target_archE4294967295ELNS1_3gpuE0ELNS1_3repE0EEENS1_30default_config_static_selectorELNS0_4arch9wavefront6targetE1EEEvS14_.numbered_sgpr, 28
	.set _ZN7rocprim17ROCPRIM_400000_NS6detail17trampoline_kernelINS0_14default_configENS1_22reduce_config_selectorIN6thrust23THRUST_200600_302600_NS5tupleIblNS6_9null_typeES8_S8_S8_S8_S8_S8_S8_EEEEZNS1_11reduce_implILb1ES3_NS6_12zip_iteratorINS7_INS6_11hip_rocprim26transform_input_iterator_tIbNSD_35transform_pair_of_input_iterators_tIbNS6_6detail15normal_iteratorINS6_10device_ptrIKxEEEESL_NS6_8equal_toIxEEEENSG_9not_fun_tINSD_8identityEEEEENSD_19counting_iterator_tIlEES8_S8_S8_S8_S8_S8_S8_S8_EEEEPS9_S9_NSD_9__find_if7functorIS9_EEEE10hipError_tPvRmT1_T2_T3_mT4_P12ihipStream_tbEUlT_E0_NS1_11comp_targetILNS1_3genE0ELNS1_11target_archE4294967295ELNS1_3gpuE0ELNS1_3repE0EEENS1_30default_config_static_selectorELNS0_4arch9wavefront6targetE1EEEvS14_.num_named_barrier, 0
	.set _ZN7rocprim17ROCPRIM_400000_NS6detail17trampoline_kernelINS0_14default_configENS1_22reduce_config_selectorIN6thrust23THRUST_200600_302600_NS5tupleIblNS6_9null_typeES8_S8_S8_S8_S8_S8_S8_EEEEZNS1_11reduce_implILb1ES3_NS6_12zip_iteratorINS7_INS6_11hip_rocprim26transform_input_iterator_tIbNSD_35transform_pair_of_input_iterators_tIbNS6_6detail15normal_iteratorINS6_10device_ptrIKxEEEESL_NS6_8equal_toIxEEEENSG_9not_fun_tINSD_8identityEEEEENSD_19counting_iterator_tIlEES8_S8_S8_S8_S8_S8_S8_S8_EEEEPS9_S9_NSD_9__find_if7functorIS9_EEEE10hipError_tPvRmT1_T2_T3_mT4_P12ihipStream_tbEUlT_E0_NS1_11comp_targetILNS1_3genE0ELNS1_11target_archE4294967295ELNS1_3gpuE0ELNS1_3repE0EEENS1_30default_config_static_selectorELNS0_4arch9wavefront6targetE1EEEvS14_.private_seg_size, 0
	.set _ZN7rocprim17ROCPRIM_400000_NS6detail17trampoline_kernelINS0_14default_configENS1_22reduce_config_selectorIN6thrust23THRUST_200600_302600_NS5tupleIblNS6_9null_typeES8_S8_S8_S8_S8_S8_S8_EEEEZNS1_11reduce_implILb1ES3_NS6_12zip_iteratorINS7_INS6_11hip_rocprim26transform_input_iterator_tIbNSD_35transform_pair_of_input_iterators_tIbNS6_6detail15normal_iteratorINS6_10device_ptrIKxEEEESL_NS6_8equal_toIxEEEENSG_9not_fun_tINSD_8identityEEEEENSD_19counting_iterator_tIlEES8_S8_S8_S8_S8_S8_S8_S8_EEEEPS9_S9_NSD_9__find_if7functorIS9_EEEE10hipError_tPvRmT1_T2_T3_mT4_P12ihipStream_tbEUlT_E0_NS1_11comp_targetILNS1_3genE0ELNS1_11target_archE4294967295ELNS1_3gpuE0ELNS1_3repE0EEENS1_30default_config_static_selectorELNS0_4arch9wavefront6targetE1EEEvS14_.uses_vcc, 1
	.set _ZN7rocprim17ROCPRIM_400000_NS6detail17trampoline_kernelINS0_14default_configENS1_22reduce_config_selectorIN6thrust23THRUST_200600_302600_NS5tupleIblNS6_9null_typeES8_S8_S8_S8_S8_S8_S8_EEEEZNS1_11reduce_implILb1ES3_NS6_12zip_iteratorINS7_INS6_11hip_rocprim26transform_input_iterator_tIbNSD_35transform_pair_of_input_iterators_tIbNS6_6detail15normal_iteratorINS6_10device_ptrIKxEEEESL_NS6_8equal_toIxEEEENSG_9not_fun_tINSD_8identityEEEEENSD_19counting_iterator_tIlEES8_S8_S8_S8_S8_S8_S8_S8_EEEEPS9_S9_NSD_9__find_if7functorIS9_EEEE10hipError_tPvRmT1_T2_T3_mT4_P12ihipStream_tbEUlT_E0_NS1_11comp_targetILNS1_3genE0ELNS1_11target_archE4294967295ELNS1_3gpuE0ELNS1_3repE0EEENS1_30default_config_static_selectorELNS0_4arch9wavefront6targetE1EEEvS14_.uses_flat_scratch, 0
	.set _ZN7rocprim17ROCPRIM_400000_NS6detail17trampoline_kernelINS0_14default_configENS1_22reduce_config_selectorIN6thrust23THRUST_200600_302600_NS5tupleIblNS6_9null_typeES8_S8_S8_S8_S8_S8_S8_EEEEZNS1_11reduce_implILb1ES3_NS6_12zip_iteratorINS7_INS6_11hip_rocprim26transform_input_iterator_tIbNSD_35transform_pair_of_input_iterators_tIbNS6_6detail15normal_iteratorINS6_10device_ptrIKxEEEESL_NS6_8equal_toIxEEEENSG_9not_fun_tINSD_8identityEEEEENSD_19counting_iterator_tIlEES8_S8_S8_S8_S8_S8_S8_S8_EEEEPS9_S9_NSD_9__find_if7functorIS9_EEEE10hipError_tPvRmT1_T2_T3_mT4_P12ihipStream_tbEUlT_E0_NS1_11comp_targetILNS1_3genE0ELNS1_11target_archE4294967295ELNS1_3gpuE0ELNS1_3repE0EEENS1_30default_config_static_selectorELNS0_4arch9wavefront6targetE1EEEvS14_.has_dyn_sized_stack, 0
	.set _ZN7rocprim17ROCPRIM_400000_NS6detail17trampoline_kernelINS0_14default_configENS1_22reduce_config_selectorIN6thrust23THRUST_200600_302600_NS5tupleIblNS6_9null_typeES8_S8_S8_S8_S8_S8_S8_EEEEZNS1_11reduce_implILb1ES3_NS6_12zip_iteratorINS7_INS6_11hip_rocprim26transform_input_iterator_tIbNSD_35transform_pair_of_input_iterators_tIbNS6_6detail15normal_iteratorINS6_10device_ptrIKxEEEESL_NS6_8equal_toIxEEEENSG_9not_fun_tINSD_8identityEEEEENSD_19counting_iterator_tIlEES8_S8_S8_S8_S8_S8_S8_S8_EEEEPS9_S9_NSD_9__find_if7functorIS9_EEEE10hipError_tPvRmT1_T2_T3_mT4_P12ihipStream_tbEUlT_E0_NS1_11comp_targetILNS1_3genE0ELNS1_11target_archE4294967295ELNS1_3gpuE0ELNS1_3repE0EEENS1_30default_config_static_selectorELNS0_4arch9wavefront6targetE1EEEvS14_.has_recursion, 0
	.set _ZN7rocprim17ROCPRIM_400000_NS6detail17trampoline_kernelINS0_14default_configENS1_22reduce_config_selectorIN6thrust23THRUST_200600_302600_NS5tupleIblNS6_9null_typeES8_S8_S8_S8_S8_S8_S8_EEEEZNS1_11reduce_implILb1ES3_NS6_12zip_iteratorINS7_INS6_11hip_rocprim26transform_input_iterator_tIbNSD_35transform_pair_of_input_iterators_tIbNS6_6detail15normal_iteratorINS6_10device_ptrIKxEEEESL_NS6_8equal_toIxEEEENSG_9not_fun_tINSD_8identityEEEEENSD_19counting_iterator_tIlEES8_S8_S8_S8_S8_S8_S8_S8_EEEEPS9_S9_NSD_9__find_if7functorIS9_EEEE10hipError_tPvRmT1_T2_T3_mT4_P12ihipStream_tbEUlT_E0_NS1_11comp_targetILNS1_3genE0ELNS1_11target_archE4294967295ELNS1_3gpuE0ELNS1_3repE0EEENS1_30default_config_static_selectorELNS0_4arch9wavefront6targetE1EEEvS14_.has_indirect_call, 0
	.section	.AMDGPU.csdata,"",@progbits
; Kernel info:
; codeLenInByte = 2860
; TotalNumSgprs: 34
; NumVgprs: 20
; NumAgprs: 0
; TotalNumVgprs: 20
; ScratchSize: 0
; MemoryBound: 0
; FloatMode: 240
; IeeeMode: 1
; LDSByteSize: 64 bytes/workgroup (compile time only)
; SGPRBlocks: 4
; VGPRBlocks: 2
; NumSGPRsForWavesPerEU: 34
; NumVGPRsForWavesPerEU: 20
; AccumOffset: 20
; Occupancy: 8
; WaveLimiterHint : 0
; COMPUTE_PGM_RSRC2:SCRATCH_EN: 0
; COMPUTE_PGM_RSRC2:USER_SGPR: 2
; COMPUTE_PGM_RSRC2:TRAP_HANDLER: 0
; COMPUTE_PGM_RSRC2:TGID_X_EN: 1
; COMPUTE_PGM_RSRC2:TGID_Y_EN: 0
; COMPUTE_PGM_RSRC2:TGID_Z_EN: 0
; COMPUTE_PGM_RSRC2:TIDIG_COMP_CNT: 0
; COMPUTE_PGM_RSRC3_GFX90A:ACCUM_OFFSET: 4
; COMPUTE_PGM_RSRC3_GFX90A:TG_SPLIT: 0
	.section	.text._ZN7rocprim17ROCPRIM_400000_NS6detail17trampoline_kernelINS0_14default_configENS1_22reduce_config_selectorIN6thrust23THRUST_200600_302600_NS5tupleIblNS6_9null_typeES8_S8_S8_S8_S8_S8_S8_EEEEZNS1_11reduce_implILb1ES3_NS6_12zip_iteratorINS7_INS6_11hip_rocprim26transform_input_iterator_tIbNSD_35transform_pair_of_input_iterators_tIbNS6_6detail15normal_iteratorINS6_10device_ptrIKxEEEESL_NS6_8equal_toIxEEEENSG_9not_fun_tINSD_8identityEEEEENSD_19counting_iterator_tIlEES8_S8_S8_S8_S8_S8_S8_S8_EEEEPS9_S9_NSD_9__find_if7functorIS9_EEEE10hipError_tPvRmT1_T2_T3_mT4_P12ihipStream_tbEUlT_E0_NS1_11comp_targetILNS1_3genE5ELNS1_11target_archE942ELNS1_3gpuE9ELNS1_3repE0EEENS1_30default_config_static_selectorELNS0_4arch9wavefront6targetE1EEEvS14_,"axG",@progbits,_ZN7rocprim17ROCPRIM_400000_NS6detail17trampoline_kernelINS0_14default_configENS1_22reduce_config_selectorIN6thrust23THRUST_200600_302600_NS5tupleIblNS6_9null_typeES8_S8_S8_S8_S8_S8_S8_EEEEZNS1_11reduce_implILb1ES3_NS6_12zip_iteratorINS7_INS6_11hip_rocprim26transform_input_iterator_tIbNSD_35transform_pair_of_input_iterators_tIbNS6_6detail15normal_iteratorINS6_10device_ptrIKxEEEESL_NS6_8equal_toIxEEEENSG_9not_fun_tINSD_8identityEEEEENSD_19counting_iterator_tIlEES8_S8_S8_S8_S8_S8_S8_S8_EEEEPS9_S9_NSD_9__find_if7functorIS9_EEEE10hipError_tPvRmT1_T2_T3_mT4_P12ihipStream_tbEUlT_E0_NS1_11comp_targetILNS1_3genE5ELNS1_11target_archE942ELNS1_3gpuE9ELNS1_3repE0EEENS1_30default_config_static_selectorELNS0_4arch9wavefront6targetE1EEEvS14_,comdat
	.protected	_ZN7rocprim17ROCPRIM_400000_NS6detail17trampoline_kernelINS0_14default_configENS1_22reduce_config_selectorIN6thrust23THRUST_200600_302600_NS5tupleIblNS6_9null_typeES8_S8_S8_S8_S8_S8_S8_EEEEZNS1_11reduce_implILb1ES3_NS6_12zip_iteratorINS7_INS6_11hip_rocprim26transform_input_iterator_tIbNSD_35transform_pair_of_input_iterators_tIbNS6_6detail15normal_iteratorINS6_10device_ptrIKxEEEESL_NS6_8equal_toIxEEEENSG_9not_fun_tINSD_8identityEEEEENSD_19counting_iterator_tIlEES8_S8_S8_S8_S8_S8_S8_S8_EEEEPS9_S9_NSD_9__find_if7functorIS9_EEEE10hipError_tPvRmT1_T2_T3_mT4_P12ihipStream_tbEUlT_E0_NS1_11comp_targetILNS1_3genE5ELNS1_11target_archE942ELNS1_3gpuE9ELNS1_3repE0EEENS1_30default_config_static_selectorELNS0_4arch9wavefront6targetE1EEEvS14_ ; -- Begin function _ZN7rocprim17ROCPRIM_400000_NS6detail17trampoline_kernelINS0_14default_configENS1_22reduce_config_selectorIN6thrust23THRUST_200600_302600_NS5tupleIblNS6_9null_typeES8_S8_S8_S8_S8_S8_S8_EEEEZNS1_11reduce_implILb1ES3_NS6_12zip_iteratorINS7_INS6_11hip_rocprim26transform_input_iterator_tIbNSD_35transform_pair_of_input_iterators_tIbNS6_6detail15normal_iteratorINS6_10device_ptrIKxEEEESL_NS6_8equal_toIxEEEENSG_9not_fun_tINSD_8identityEEEEENSD_19counting_iterator_tIlEES8_S8_S8_S8_S8_S8_S8_S8_EEEEPS9_S9_NSD_9__find_if7functorIS9_EEEE10hipError_tPvRmT1_T2_T3_mT4_P12ihipStream_tbEUlT_E0_NS1_11comp_targetILNS1_3genE5ELNS1_11target_archE942ELNS1_3gpuE9ELNS1_3repE0EEENS1_30default_config_static_selectorELNS0_4arch9wavefront6targetE1EEEvS14_
	.globl	_ZN7rocprim17ROCPRIM_400000_NS6detail17trampoline_kernelINS0_14default_configENS1_22reduce_config_selectorIN6thrust23THRUST_200600_302600_NS5tupleIblNS6_9null_typeES8_S8_S8_S8_S8_S8_S8_EEEEZNS1_11reduce_implILb1ES3_NS6_12zip_iteratorINS7_INS6_11hip_rocprim26transform_input_iterator_tIbNSD_35transform_pair_of_input_iterators_tIbNS6_6detail15normal_iteratorINS6_10device_ptrIKxEEEESL_NS6_8equal_toIxEEEENSG_9not_fun_tINSD_8identityEEEEENSD_19counting_iterator_tIlEES8_S8_S8_S8_S8_S8_S8_S8_EEEEPS9_S9_NSD_9__find_if7functorIS9_EEEE10hipError_tPvRmT1_T2_T3_mT4_P12ihipStream_tbEUlT_E0_NS1_11comp_targetILNS1_3genE5ELNS1_11target_archE942ELNS1_3gpuE9ELNS1_3repE0EEENS1_30default_config_static_selectorELNS0_4arch9wavefront6targetE1EEEvS14_
	.p2align	8
	.type	_ZN7rocprim17ROCPRIM_400000_NS6detail17trampoline_kernelINS0_14default_configENS1_22reduce_config_selectorIN6thrust23THRUST_200600_302600_NS5tupleIblNS6_9null_typeES8_S8_S8_S8_S8_S8_S8_EEEEZNS1_11reduce_implILb1ES3_NS6_12zip_iteratorINS7_INS6_11hip_rocprim26transform_input_iterator_tIbNSD_35transform_pair_of_input_iterators_tIbNS6_6detail15normal_iteratorINS6_10device_ptrIKxEEEESL_NS6_8equal_toIxEEEENSG_9not_fun_tINSD_8identityEEEEENSD_19counting_iterator_tIlEES8_S8_S8_S8_S8_S8_S8_S8_EEEEPS9_S9_NSD_9__find_if7functorIS9_EEEE10hipError_tPvRmT1_T2_T3_mT4_P12ihipStream_tbEUlT_E0_NS1_11comp_targetILNS1_3genE5ELNS1_11target_archE942ELNS1_3gpuE9ELNS1_3repE0EEENS1_30default_config_static_selectorELNS0_4arch9wavefront6targetE1EEEvS14_,@function
_ZN7rocprim17ROCPRIM_400000_NS6detail17trampoline_kernelINS0_14default_configENS1_22reduce_config_selectorIN6thrust23THRUST_200600_302600_NS5tupleIblNS6_9null_typeES8_S8_S8_S8_S8_S8_S8_EEEEZNS1_11reduce_implILb1ES3_NS6_12zip_iteratorINS7_INS6_11hip_rocprim26transform_input_iterator_tIbNSD_35transform_pair_of_input_iterators_tIbNS6_6detail15normal_iteratorINS6_10device_ptrIKxEEEESL_NS6_8equal_toIxEEEENSG_9not_fun_tINSD_8identityEEEEENSD_19counting_iterator_tIlEES8_S8_S8_S8_S8_S8_S8_S8_EEEEPS9_S9_NSD_9__find_if7functorIS9_EEEE10hipError_tPvRmT1_T2_T3_mT4_P12ihipStream_tbEUlT_E0_NS1_11comp_targetILNS1_3genE5ELNS1_11target_archE942ELNS1_3gpuE9ELNS1_3repE0EEENS1_30default_config_static_selectorELNS0_4arch9wavefront6targetE1EEEvS14_: ; @_ZN7rocprim17ROCPRIM_400000_NS6detail17trampoline_kernelINS0_14default_configENS1_22reduce_config_selectorIN6thrust23THRUST_200600_302600_NS5tupleIblNS6_9null_typeES8_S8_S8_S8_S8_S8_S8_EEEEZNS1_11reduce_implILb1ES3_NS6_12zip_iteratorINS7_INS6_11hip_rocprim26transform_input_iterator_tIbNSD_35transform_pair_of_input_iterators_tIbNS6_6detail15normal_iteratorINS6_10device_ptrIKxEEEESL_NS6_8equal_toIxEEEENSG_9not_fun_tINSD_8identityEEEEENSD_19counting_iterator_tIlEES8_S8_S8_S8_S8_S8_S8_S8_EEEEPS9_S9_NSD_9__find_if7functorIS9_EEEE10hipError_tPvRmT1_T2_T3_mT4_P12ihipStream_tbEUlT_E0_NS1_11comp_targetILNS1_3genE5ELNS1_11target_archE942ELNS1_3gpuE9ELNS1_3repE0EEENS1_30default_config_static_selectorELNS0_4arch9wavefront6targetE1EEEvS14_
; %bb.0:
	.section	.rodata,"a",@progbits
	.p2align	6, 0x0
	.amdhsa_kernel _ZN7rocprim17ROCPRIM_400000_NS6detail17trampoline_kernelINS0_14default_configENS1_22reduce_config_selectorIN6thrust23THRUST_200600_302600_NS5tupleIblNS6_9null_typeES8_S8_S8_S8_S8_S8_S8_EEEEZNS1_11reduce_implILb1ES3_NS6_12zip_iteratorINS7_INS6_11hip_rocprim26transform_input_iterator_tIbNSD_35transform_pair_of_input_iterators_tIbNS6_6detail15normal_iteratorINS6_10device_ptrIKxEEEESL_NS6_8equal_toIxEEEENSG_9not_fun_tINSD_8identityEEEEENSD_19counting_iterator_tIlEES8_S8_S8_S8_S8_S8_S8_S8_EEEEPS9_S9_NSD_9__find_if7functorIS9_EEEE10hipError_tPvRmT1_T2_T3_mT4_P12ihipStream_tbEUlT_E0_NS1_11comp_targetILNS1_3genE5ELNS1_11target_archE942ELNS1_3gpuE9ELNS1_3repE0EEENS1_30default_config_static_selectorELNS0_4arch9wavefront6targetE1EEEvS14_
		.amdhsa_group_segment_fixed_size 0
		.amdhsa_private_segment_fixed_size 0
		.amdhsa_kernarg_size 104
		.amdhsa_user_sgpr_count 2
		.amdhsa_user_sgpr_dispatch_ptr 0
		.amdhsa_user_sgpr_queue_ptr 0
		.amdhsa_user_sgpr_kernarg_segment_ptr 1
		.amdhsa_user_sgpr_dispatch_id 0
		.amdhsa_user_sgpr_kernarg_preload_length 0
		.amdhsa_user_sgpr_kernarg_preload_offset 0
		.amdhsa_user_sgpr_private_segment_size 0
		.amdhsa_uses_dynamic_stack 0
		.amdhsa_enable_private_segment 0
		.amdhsa_system_sgpr_workgroup_id_x 1
		.amdhsa_system_sgpr_workgroup_id_y 0
		.amdhsa_system_sgpr_workgroup_id_z 0
		.amdhsa_system_sgpr_workgroup_info 0
		.amdhsa_system_vgpr_workitem_id 0
		.amdhsa_next_free_vgpr 1
		.amdhsa_next_free_sgpr 0
		.amdhsa_accum_offset 4
		.amdhsa_reserve_vcc 0
		.amdhsa_float_round_mode_32 0
		.amdhsa_float_round_mode_16_64 0
		.amdhsa_float_denorm_mode_32 3
		.amdhsa_float_denorm_mode_16_64 3
		.amdhsa_dx10_clamp 1
		.amdhsa_ieee_mode 1
		.amdhsa_fp16_overflow 0
		.amdhsa_tg_split 0
		.amdhsa_exception_fp_ieee_invalid_op 0
		.amdhsa_exception_fp_denorm_src 0
		.amdhsa_exception_fp_ieee_div_zero 0
		.amdhsa_exception_fp_ieee_overflow 0
		.amdhsa_exception_fp_ieee_underflow 0
		.amdhsa_exception_fp_ieee_inexact 0
		.amdhsa_exception_int_div_zero 0
	.end_amdhsa_kernel
	.section	.text._ZN7rocprim17ROCPRIM_400000_NS6detail17trampoline_kernelINS0_14default_configENS1_22reduce_config_selectorIN6thrust23THRUST_200600_302600_NS5tupleIblNS6_9null_typeES8_S8_S8_S8_S8_S8_S8_EEEEZNS1_11reduce_implILb1ES3_NS6_12zip_iteratorINS7_INS6_11hip_rocprim26transform_input_iterator_tIbNSD_35transform_pair_of_input_iterators_tIbNS6_6detail15normal_iteratorINS6_10device_ptrIKxEEEESL_NS6_8equal_toIxEEEENSG_9not_fun_tINSD_8identityEEEEENSD_19counting_iterator_tIlEES8_S8_S8_S8_S8_S8_S8_S8_EEEEPS9_S9_NSD_9__find_if7functorIS9_EEEE10hipError_tPvRmT1_T2_T3_mT4_P12ihipStream_tbEUlT_E0_NS1_11comp_targetILNS1_3genE5ELNS1_11target_archE942ELNS1_3gpuE9ELNS1_3repE0EEENS1_30default_config_static_selectorELNS0_4arch9wavefront6targetE1EEEvS14_,"axG",@progbits,_ZN7rocprim17ROCPRIM_400000_NS6detail17trampoline_kernelINS0_14default_configENS1_22reduce_config_selectorIN6thrust23THRUST_200600_302600_NS5tupleIblNS6_9null_typeES8_S8_S8_S8_S8_S8_S8_EEEEZNS1_11reduce_implILb1ES3_NS6_12zip_iteratorINS7_INS6_11hip_rocprim26transform_input_iterator_tIbNSD_35transform_pair_of_input_iterators_tIbNS6_6detail15normal_iteratorINS6_10device_ptrIKxEEEESL_NS6_8equal_toIxEEEENSG_9not_fun_tINSD_8identityEEEEENSD_19counting_iterator_tIlEES8_S8_S8_S8_S8_S8_S8_S8_EEEEPS9_S9_NSD_9__find_if7functorIS9_EEEE10hipError_tPvRmT1_T2_T3_mT4_P12ihipStream_tbEUlT_E0_NS1_11comp_targetILNS1_3genE5ELNS1_11target_archE942ELNS1_3gpuE9ELNS1_3repE0EEENS1_30default_config_static_selectorELNS0_4arch9wavefront6targetE1EEEvS14_,comdat
.Lfunc_end1252:
	.size	_ZN7rocprim17ROCPRIM_400000_NS6detail17trampoline_kernelINS0_14default_configENS1_22reduce_config_selectorIN6thrust23THRUST_200600_302600_NS5tupleIblNS6_9null_typeES8_S8_S8_S8_S8_S8_S8_EEEEZNS1_11reduce_implILb1ES3_NS6_12zip_iteratorINS7_INS6_11hip_rocprim26transform_input_iterator_tIbNSD_35transform_pair_of_input_iterators_tIbNS6_6detail15normal_iteratorINS6_10device_ptrIKxEEEESL_NS6_8equal_toIxEEEENSG_9not_fun_tINSD_8identityEEEEENSD_19counting_iterator_tIlEES8_S8_S8_S8_S8_S8_S8_S8_EEEEPS9_S9_NSD_9__find_if7functorIS9_EEEE10hipError_tPvRmT1_T2_T3_mT4_P12ihipStream_tbEUlT_E0_NS1_11comp_targetILNS1_3genE5ELNS1_11target_archE942ELNS1_3gpuE9ELNS1_3repE0EEENS1_30default_config_static_selectorELNS0_4arch9wavefront6targetE1EEEvS14_, .Lfunc_end1252-_ZN7rocprim17ROCPRIM_400000_NS6detail17trampoline_kernelINS0_14default_configENS1_22reduce_config_selectorIN6thrust23THRUST_200600_302600_NS5tupleIblNS6_9null_typeES8_S8_S8_S8_S8_S8_S8_EEEEZNS1_11reduce_implILb1ES3_NS6_12zip_iteratorINS7_INS6_11hip_rocprim26transform_input_iterator_tIbNSD_35transform_pair_of_input_iterators_tIbNS6_6detail15normal_iteratorINS6_10device_ptrIKxEEEESL_NS6_8equal_toIxEEEENSG_9not_fun_tINSD_8identityEEEEENSD_19counting_iterator_tIlEES8_S8_S8_S8_S8_S8_S8_S8_EEEEPS9_S9_NSD_9__find_if7functorIS9_EEEE10hipError_tPvRmT1_T2_T3_mT4_P12ihipStream_tbEUlT_E0_NS1_11comp_targetILNS1_3genE5ELNS1_11target_archE942ELNS1_3gpuE9ELNS1_3repE0EEENS1_30default_config_static_selectorELNS0_4arch9wavefront6targetE1EEEvS14_
                                        ; -- End function
	.set _ZN7rocprim17ROCPRIM_400000_NS6detail17trampoline_kernelINS0_14default_configENS1_22reduce_config_selectorIN6thrust23THRUST_200600_302600_NS5tupleIblNS6_9null_typeES8_S8_S8_S8_S8_S8_S8_EEEEZNS1_11reduce_implILb1ES3_NS6_12zip_iteratorINS7_INS6_11hip_rocprim26transform_input_iterator_tIbNSD_35transform_pair_of_input_iterators_tIbNS6_6detail15normal_iteratorINS6_10device_ptrIKxEEEESL_NS6_8equal_toIxEEEENSG_9not_fun_tINSD_8identityEEEEENSD_19counting_iterator_tIlEES8_S8_S8_S8_S8_S8_S8_S8_EEEEPS9_S9_NSD_9__find_if7functorIS9_EEEE10hipError_tPvRmT1_T2_T3_mT4_P12ihipStream_tbEUlT_E0_NS1_11comp_targetILNS1_3genE5ELNS1_11target_archE942ELNS1_3gpuE9ELNS1_3repE0EEENS1_30default_config_static_selectorELNS0_4arch9wavefront6targetE1EEEvS14_.num_vgpr, 0
	.set _ZN7rocprim17ROCPRIM_400000_NS6detail17trampoline_kernelINS0_14default_configENS1_22reduce_config_selectorIN6thrust23THRUST_200600_302600_NS5tupleIblNS6_9null_typeES8_S8_S8_S8_S8_S8_S8_EEEEZNS1_11reduce_implILb1ES3_NS6_12zip_iteratorINS7_INS6_11hip_rocprim26transform_input_iterator_tIbNSD_35transform_pair_of_input_iterators_tIbNS6_6detail15normal_iteratorINS6_10device_ptrIKxEEEESL_NS6_8equal_toIxEEEENSG_9not_fun_tINSD_8identityEEEEENSD_19counting_iterator_tIlEES8_S8_S8_S8_S8_S8_S8_S8_EEEEPS9_S9_NSD_9__find_if7functorIS9_EEEE10hipError_tPvRmT1_T2_T3_mT4_P12ihipStream_tbEUlT_E0_NS1_11comp_targetILNS1_3genE5ELNS1_11target_archE942ELNS1_3gpuE9ELNS1_3repE0EEENS1_30default_config_static_selectorELNS0_4arch9wavefront6targetE1EEEvS14_.num_agpr, 0
	.set _ZN7rocprim17ROCPRIM_400000_NS6detail17trampoline_kernelINS0_14default_configENS1_22reduce_config_selectorIN6thrust23THRUST_200600_302600_NS5tupleIblNS6_9null_typeES8_S8_S8_S8_S8_S8_S8_EEEEZNS1_11reduce_implILb1ES3_NS6_12zip_iteratorINS7_INS6_11hip_rocprim26transform_input_iterator_tIbNSD_35transform_pair_of_input_iterators_tIbNS6_6detail15normal_iteratorINS6_10device_ptrIKxEEEESL_NS6_8equal_toIxEEEENSG_9not_fun_tINSD_8identityEEEEENSD_19counting_iterator_tIlEES8_S8_S8_S8_S8_S8_S8_S8_EEEEPS9_S9_NSD_9__find_if7functorIS9_EEEE10hipError_tPvRmT1_T2_T3_mT4_P12ihipStream_tbEUlT_E0_NS1_11comp_targetILNS1_3genE5ELNS1_11target_archE942ELNS1_3gpuE9ELNS1_3repE0EEENS1_30default_config_static_selectorELNS0_4arch9wavefront6targetE1EEEvS14_.numbered_sgpr, 0
	.set _ZN7rocprim17ROCPRIM_400000_NS6detail17trampoline_kernelINS0_14default_configENS1_22reduce_config_selectorIN6thrust23THRUST_200600_302600_NS5tupleIblNS6_9null_typeES8_S8_S8_S8_S8_S8_S8_EEEEZNS1_11reduce_implILb1ES3_NS6_12zip_iteratorINS7_INS6_11hip_rocprim26transform_input_iterator_tIbNSD_35transform_pair_of_input_iterators_tIbNS6_6detail15normal_iteratorINS6_10device_ptrIKxEEEESL_NS6_8equal_toIxEEEENSG_9not_fun_tINSD_8identityEEEEENSD_19counting_iterator_tIlEES8_S8_S8_S8_S8_S8_S8_S8_EEEEPS9_S9_NSD_9__find_if7functorIS9_EEEE10hipError_tPvRmT1_T2_T3_mT4_P12ihipStream_tbEUlT_E0_NS1_11comp_targetILNS1_3genE5ELNS1_11target_archE942ELNS1_3gpuE9ELNS1_3repE0EEENS1_30default_config_static_selectorELNS0_4arch9wavefront6targetE1EEEvS14_.num_named_barrier, 0
	.set _ZN7rocprim17ROCPRIM_400000_NS6detail17trampoline_kernelINS0_14default_configENS1_22reduce_config_selectorIN6thrust23THRUST_200600_302600_NS5tupleIblNS6_9null_typeES8_S8_S8_S8_S8_S8_S8_EEEEZNS1_11reduce_implILb1ES3_NS6_12zip_iteratorINS7_INS6_11hip_rocprim26transform_input_iterator_tIbNSD_35transform_pair_of_input_iterators_tIbNS6_6detail15normal_iteratorINS6_10device_ptrIKxEEEESL_NS6_8equal_toIxEEEENSG_9not_fun_tINSD_8identityEEEEENSD_19counting_iterator_tIlEES8_S8_S8_S8_S8_S8_S8_S8_EEEEPS9_S9_NSD_9__find_if7functorIS9_EEEE10hipError_tPvRmT1_T2_T3_mT4_P12ihipStream_tbEUlT_E0_NS1_11comp_targetILNS1_3genE5ELNS1_11target_archE942ELNS1_3gpuE9ELNS1_3repE0EEENS1_30default_config_static_selectorELNS0_4arch9wavefront6targetE1EEEvS14_.private_seg_size, 0
	.set _ZN7rocprim17ROCPRIM_400000_NS6detail17trampoline_kernelINS0_14default_configENS1_22reduce_config_selectorIN6thrust23THRUST_200600_302600_NS5tupleIblNS6_9null_typeES8_S8_S8_S8_S8_S8_S8_EEEEZNS1_11reduce_implILb1ES3_NS6_12zip_iteratorINS7_INS6_11hip_rocprim26transform_input_iterator_tIbNSD_35transform_pair_of_input_iterators_tIbNS6_6detail15normal_iteratorINS6_10device_ptrIKxEEEESL_NS6_8equal_toIxEEEENSG_9not_fun_tINSD_8identityEEEEENSD_19counting_iterator_tIlEES8_S8_S8_S8_S8_S8_S8_S8_EEEEPS9_S9_NSD_9__find_if7functorIS9_EEEE10hipError_tPvRmT1_T2_T3_mT4_P12ihipStream_tbEUlT_E0_NS1_11comp_targetILNS1_3genE5ELNS1_11target_archE942ELNS1_3gpuE9ELNS1_3repE0EEENS1_30default_config_static_selectorELNS0_4arch9wavefront6targetE1EEEvS14_.uses_vcc, 0
	.set _ZN7rocprim17ROCPRIM_400000_NS6detail17trampoline_kernelINS0_14default_configENS1_22reduce_config_selectorIN6thrust23THRUST_200600_302600_NS5tupleIblNS6_9null_typeES8_S8_S8_S8_S8_S8_S8_EEEEZNS1_11reduce_implILb1ES3_NS6_12zip_iteratorINS7_INS6_11hip_rocprim26transform_input_iterator_tIbNSD_35transform_pair_of_input_iterators_tIbNS6_6detail15normal_iteratorINS6_10device_ptrIKxEEEESL_NS6_8equal_toIxEEEENSG_9not_fun_tINSD_8identityEEEEENSD_19counting_iterator_tIlEES8_S8_S8_S8_S8_S8_S8_S8_EEEEPS9_S9_NSD_9__find_if7functorIS9_EEEE10hipError_tPvRmT1_T2_T3_mT4_P12ihipStream_tbEUlT_E0_NS1_11comp_targetILNS1_3genE5ELNS1_11target_archE942ELNS1_3gpuE9ELNS1_3repE0EEENS1_30default_config_static_selectorELNS0_4arch9wavefront6targetE1EEEvS14_.uses_flat_scratch, 0
	.set _ZN7rocprim17ROCPRIM_400000_NS6detail17trampoline_kernelINS0_14default_configENS1_22reduce_config_selectorIN6thrust23THRUST_200600_302600_NS5tupleIblNS6_9null_typeES8_S8_S8_S8_S8_S8_S8_EEEEZNS1_11reduce_implILb1ES3_NS6_12zip_iteratorINS7_INS6_11hip_rocprim26transform_input_iterator_tIbNSD_35transform_pair_of_input_iterators_tIbNS6_6detail15normal_iteratorINS6_10device_ptrIKxEEEESL_NS6_8equal_toIxEEEENSG_9not_fun_tINSD_8identityEEEEENSD_19counting_iterator_tIlEES8_S8_S8_S8_S8_S8_S8_S8_EEEEPS9_S9_NSD_9__find_if7functorIS9_EEEE10hipError_tPvRmT1_T2_T3_mT4_P12ihipStream_tbEUlT_E0_NS1_11comp_targetILNS1_3genE5ELNS1_11target_archE942ELNS1_3gpuE9ELNS1_3repE0EEENS1_30default_config_static_selectorELNS0_4arch9wavefront6targetE1EEEvS14_.has_dyn_sized_stack, 0
	.set _ZN7rocprim17ROCPRIM_400000_NS6detail17trampoline_kernelINS0_14default_configENS1_22reduce_config_selectorIN6thrust23THRUST_200600_302600_NS5tupleIblNS6_9null_typeES8_S8_S8_S8_S8_S8_S8_EEEEZNS1_11reduce_implILb1ES3_NS6_12zip_iteratorINS7_INS6_11hip_rocprim26transform_input_iterator_tIbNSD_35transform_pair_of_input_iterators_tIbNS6_6detail15normal_iteratorINS6_10device_ptrIKxEEEESL_NS6_8equal_toIxEEEENSG_9not_fun_tINSD_8identityEEEEENSD_19counting_iterator_tIlEES8_S8_S8_S8_S8_S8_S8_S8_EEEEPS9_S9_NSD_9__find_if7functorIS9_EEEE10hipError_tPvRmT1_T2_T3_mT4_P12ihipStream_tbEUlT_E0_NS1_11comp_targetILNS1_3genE5ELNS1_11target_archE942ELNS1_3gpuE9ELNS1_3repE0EEENS1_30default_config_static_selectorELNS0_4arch9wavefront6targetE1EEEvS14_.has_recursion, 0
	.set _ZN7rocprim17ROCPRIM_400000_NS6detail17trampoline_kernelINS0_14default_configENS1_22reduce_config_selectorIN6thrust23THRUST_200600_302600_NS5tupleIblNS6_9null_typeES8_S8_S8_S8_S8_S8_S8_EEEEZNS1_11reduce_implILb1ES3_NS6_12zip_iteratorINS7_INS6_11hip_rocprim26transform_input_iterator_tIbNSD_35transform_pair_of_input_iterators_tIbNS6_6detail15normal_iteratorINS6_10device_ptrIKxEEEESL_NS6_8equal_toIxEEEENSG_9not_fun_tINSD_8identityEEEEENSD_19counting_iterator_tIlEES8_S8_S8_S8_S8_S8_S8_S8_EEEEPS9_S9_NSD_9__find_if7functorIS9_EEEE10hipError_tPvRmT1_T2_T3_mT4_P12ihipStream_tbEUlT_E0_NS1_11comp_targetILNS1_3genE5ELNS1_11target_archE942ELNS1_3gpuE9ELNS1_3repE0EEENS1_30default_config_static_selectorELNS0_4arch9wavefront6targetE1EEEvS14_.has_indirect_call, 0
	.section	.AMDGPU.csdata,"",@progbits
; Kernel info:
; codeLenInByte = 0
; TotalNumSgprs: 6
; NumVgprs: 0
; NumAgprs: 0
; TotalNumVgprs: 0
; ScratchSize: 0
; MemoryBound: 0
; FloatMode: 240
; IeeeMode: 1
; LDSByteSize: 0 bytes/workgroup (compile time only)
; SGPRBlocks: 0
; VGPRBlocks: 0
; NumSGPRsForWavesPerEU: 6
; NumVGPRsForWavesPerEU: 1
; AccumOffset: 4
; Occupancy: 8
; WaveLimiterHint : 0
; COMPUTE_PGM_RSRC2:SCRATCH_EN: 0
; COMPUTE_PGM_RSRC2:USER_SGPR: 2
; COMPUTE_PGM_RSRC2:TRAP_HANDLER: 0
; COMPUTE_PGM_RSRC2:TGID_X_EN: 1
; COMPUTE_PGM_RSRC2:TGID_Y_EN: 0
; COMPUTE_PGM_RSRC2:TGID_Z_EN: 0
; COMPUTE_PGM_RSRC2:TIDIG_COMP_CNT: 0
; COMPUTE_PGM_RSRC3_GFX90A:ACCUM_OFFSET: 0
; COMPUTE_PGM_RSRC3_GFX90A:TG_SPLIT: 0
	.section	.text._ZN7rocprim17ROCPRIM_400000_NS6detail17trampoline_kernelINS0_14default_configENS1_22reduce_config_selectorIN6thrust23THRUST_200600_302600_NS5tupleIblNS6_9null_typeES8_S8_S8_S8_S8_S8_S8_EEEEZNS1_11reduce_implILb1ES3_NS6_12zip_iteratorINS7_INS6_11hip_rocprim26transform_input_iterator_tIbNSD_35transform_pair_of_input_iterators_tIbNS6_6detail15normal_iteratorINS6_10device_ptrIKxEEEESL_NS6_8equal_toIxEEEENSG_9not_fun_tINSD_8identityEEEEENSD_19counting_iterator_tIlEES8_S8_S8_S8_S8_S8_S8_S8_EEEEPS9_S9_NSD_9__find_if7functorIS9_EEEE10hipError_tPvRmT1_T2_T3_mT4_P12ihipStream_tbEUlT_E0_NS1_11comp_targetILNS1_3genE4ELNS1_11target_archE910ELNS1_3gpuE8ELNS1_3repE0EEENS1_30default_config_static_selectorELNS0_4arch9wavefront6targetE1EEEvS14_,"axG",@progbits,_ZN7rocprim17ROCPRIM_400000_NS6detail17trampoline_kernelINS0_14default_configENS1_22reduce_config_selectorIN6thrust23THRUST_200600_302600_NS5tupleIblNS6_9null_typeES8_S8_S8_S8_S8_S8_S8_EEEEZNS1_11reduce_implILb1ES3_NS6_12zip_iteratorINS7_INS6_11hip_rocprim26transform_input_iterator_tIbNSD_35transform_pair_of_input_iterators_tIbNS6_6detail15normal_iteratorINS6_10device_ptrIKxEEEESL_NS6_8equal_toIxEEEENSG_9not_fun_tINSD_8identityEEEEENSD_19counting_iterator_tIlEES8_S8_S8_S8_S8_S8_S8_S8_EEEEPS9_S9_NSD_9__find_if7functorIS9_EEEE10hipError_tPvRmT1_T2_T3_mT4_P12ihipStream_tbEUlT_E0_NS1_11comp_targetILNS1_3genE4ELNS1_11target_archE910ELNS1_3gpuE8ELNS1_3repE0EEENS1_30default_config_static_selectorELNS0_4arch9wavefront6targetE1EEEvS14_,comdat
	.protected	_ZN7rocprim17ROCPRIM_400000_NS6detail17trampoline_kernelINS0_14default_configENS1_22reduce_config_selectorIN6thrust23THRUST_200600_302600_NS5tupleIblNS6_9null_typeES8_S8_S8_S8_S8_S8_S8_EEEEZNS1_11reduce_implILb1ES3_NS6_12zip_iteratorINS7_INS6_11hip_rocprim26transform_input_iterator_tIbNSD_35transform_pair_of_input_iterators_tIbNS6_6detail15normal_iteratorINS6_10device_ptrIKxEEEESL_NS6_8equal_toIxEEEENSG_9not_fun_tINSD_8identityEEEEENSD_19counting_iterator_tIlEES8_S8_S8_S8_S8_S8_S8_S8_EEEEPS9_S9_NSD_9__find_if7functorIS9_EEEE10hipError_tPvRmT1_T2_T3_mT4_P12ihipStream_tbEUlT_E0_NS1_11comp_targetILNS1_3genE4ELNS1_11target_archE910ELNS1_3gpuE8ELNS1_3repE0EEENS1_30default_config_static_selectorELNS0_4arch9wavefront6targetE1EEEvS14_ ; -- Begin function _ZN7rocprim17ROCPRIM_400000_NS6detail17trampoline_kernelINS0_14default_configENS1_22reduce_config_selectorIN6thrust23THRUST_200600_302600_NS5tupleIblNS6_9null_typeES8_S8_S8_S8_S8_S8_S8_EEEEZNS1_11reduce_implILb1ES3_NS6_12zip_iteratorINS7_INS6_11hip_rocprim26transform_input_iterator_tIbNSD_35transform_pair_of_input_iterators_tIbNS6_6detail15normal_iteratorINS6_10device_ptrIKxEEEESL_NS6_8equal_toIxEEEENSG_9not_fun_tINSD_8identityEEEEENSD_19counting_iterator_tIlEES8_S8_S8_S8_S8_S8_S8_S8_EEEEPS9_S9_NSD_9__find_if7functorIS9_EEEE10hipError_tPvRmT1_T2_T3_mT4_P12ihipStream_tbEUlT_E0_NS1_11comp_targetILNS1_3genE4ELNS1_11target_archE910ELNS1_3gpuE8ELNS1_3repE0EEENS1_30default_config_static_selectorELNS0_4arch9wavefront6targetE1EEEvS14_
	.globl	_ZN7rocprim17ROCPRIM_400000_NS6detail17trampoline_kernelINS0_14default_configENS1_22reduce_config_selectorIN6thrust23THRUST_200600_302600_NS5tupleIblNS6_9null_typeES8_S8_S8_S8_S8_S8_S8_EEEEZNS1_11reduce_implILb1ES3_NS6_12zip_iteratorINS7_INS6_11hip_rocprim26transform_input_iterator_tIbNSD_35transform_pair_of_input_iterators_tIbNS6_6detail15normal_iteratorINS6_10device_ptrIKxEEEESL_NS6_8equal_toIxEEEENSG_9not_fun_tINSD_8identityEEEEENSD_19counting_iterator_tIlEES8_S8_S8_S8_S8_S8_S8_S8_EEEEPS9_S9_NSD_9__find_if7functorIS9_EEEE10hipError_tPvRmT1_T2_T3_mT4_P12ihipStream_tbEUlT_E0_NS1_11comp_targetILNS1_3genE4ELNS1_11target_archE910ELNS1_3gpuE8ELNS1_3repE0EEENS1_30default_config_static_selectorELNS0_4arch9wavefront6targetE1EEEvS14_
	.p2align	8
	.type	_ZN7rocprim17ROCPRIM_400000_NS6detail17trampoline_kernelINS0_14default_configENS1_22reduce_config_selectorIN6thrust23THRUST_200600_302600_NS5tupleIblNS6_9null_typeES8_S8_S8_S8_S8_S8_S8_EEEEZNS1_11reduce_implILb1ES3_NS6_12zip_iteratorINS7_INS6_11hip_rocprim26transform_input_iterator_tIbNSD_35transform_pair_of_input_iterators_tIbNS6_6detail15normal_iteratorINS6_10device_ptrIKxEEEESL_NS6_8equal_toIxEEEENSG_9not_fun_tINSD_8identityEEEEENSD_19counting_iterator_tIlEES8_S8_S8_S8_S8_S8_S8_S8_EEEEPS9_S9_NSD_9__find_if7functorIS9_EEEE10hipError_tPvRmT1_T2_T3_mT4_P12ihipStream_tbEUlT_E0_NS1_11comp_targetILNS1_3genE4ELNS1_11target_archE910ELNS1_3gpuE8ELNS1_3repE0EEENS1_30default_config_static_selectorELNS0_4arch9wavefront6targetE1EEEvS14_,@function
_ZN7rocprim17ROCPRIM_400000_NS6detail17trampoline_kernelINS0_14default_configENS1_22reduce_config_selectorIN6thrust23THRUST_200600_302600_NS5tupleIblNS6_9null_typeES8_S8_S8_S8_S8_S8_S8_EEEEZNS1_11reduce_implILb1ES3_NS6_12zip_iteratorINS7_INS6_11hip_rocprim26transform_input_iterator_tIbNSD_35transform_pair_of_input_iterators_tIbNS6_6detail15normal_iteratorINS6_10device_ptrIKxEEEESL_NS6_8equal_toIxEEEENSG_9not_fun_tINSD_8identityEEEEENSD_19counting_iterator_tIlEES8_S8_S8_S8_S8_S8_S8_S8_EEEEPS9_S9_NSD_9__find_if7functorIS9_EEEE10hipError_tPvRmT1_T2_T3_mT4_P12ihipStream_tbEUlT_E0_NS1_11comp_targetILNS1_3genE4ELNS1_11target_archE910ELNS1_3gpuE8ELNS1_3repE0EEENS1_30default_config_static_selectorELNS0_4arch9wavefront6targetE1EEEvS14_: ; @_ZN7rocprim17ROCPRIM_400000_NS6detail17trampoline_kernelINS0_14default_configENS1_22reduce_config_selectorIN6thrust23THRUST_200600_302600_NS5tupleIblNS6_9null_typeES8_S8_S8_S8_S8_S8_S8_EEEEZNS1_11reduce_implILb1ES3_NS6_12zip_iteratorINS7_INS6_11hip_rocprim26transform_input_iterator_tIbNSD_35transform_pair_of_input_iterators_tIbNS6_6detail15normal_iteratorINS6_10device_ptrIKxEEEESL_NS6_8equal_toIxEEEENSG_9not_fun_tINSD_8identityEEEEENSD_19counting_iterator_tIlEES8_S8_S8_S8_S8_S8_S8_S8_EEEEPS9_S9_NSD_9__find_if7functorIS9_EEEE10hipError_tPvRmT1_T2_T3_mT4_P12ihipStream_tbEUlT_E0_NS1_11comp_targetILNS1_3genE4ELNS1_11target_archE910ELNS1_3gpuE8ELNS1_3repE0EEENS1_30default_config_static_selectorELNS0_4arch9wavefront6targetE1EEEvS14_
; %bb.0:
	.section	.rodata,"a",@progbits
	.p2align	6, 0x0
	.amdhsa_kernel _ZN7rocprim17ROCPRIM_400000_NS6detail17trampoline_kernelINS0_14default_configENS1_22reduce_config_selectorIN6thrust23THRUST_200600_302600_NS5tupleIblNS6_9null_typeES8_S8_S8_S8_S8_S8_S8_EEEEZNS1_11reduce_implILb1ES3_NS6_12zip_iteratorINS7_INS6_11hip_rocprim26transform_input_iterator_tIbNSD_35transform_pair_of_input_iterators_tIbNS6_6detail15normal_iteratorINS6_10device_ptrIKxEEEESL_NS6_8equal_toIxEEEENSG_9not_fun_tINSD_8identityEEEEENSD_19counting_iterator_tIlEES8_S8_S8_S8_S8_S8_S8_S8_EEEEPS9_S9_NSD_9__find_if7functorIS9_EEEE10hipError_tPvRmT1_T2_T3_mT4_P12ihipStream_tbEUlT_E0_NS1_11comp_targetILNS1_3genE4ELNS1_11target_archE910ELNS1_3gpuE8ELNS1_3repE0EEENS1_30default_config_static_selectorELNS0_4arch9wavefront6targetE1EEEvS14_
		.amdhsa_group_segment_fixed_size 0
		.amdhsa_private_segment_fixed_size 0
		.amdhsa_kernarg_size 104
		.amdhsa_user_sgpr_count 2
		.amdhsa_user_sgpr_dispatch_ptr 0
		.amdhsa_user_sgpr_queue_ptr 0
		.amdhsa_user_sgpr_kernarg_segment_ptr 1
		.amdhsa_user_sgpr_dispatch_id 0
		.amdhsa_user_sgpr_kernarg_preload_length 0
		.amdhsa_user_sgpr_kernarg_preload_offset 0
		.amdhsa_user_sgpr_private_segment_size 0
		.amdhsa_uses_dynamic_stack 0
		.amdhsa_enable_private_segment 0
		.amdhsa_system_sgpr_workgroup_id_x 1
		.amdhsa_system_sgpr_workgroup_id_y 0
		.amdhsa_system_sgpr_workgroup_id_z 0
		.amdhsa_system_sgpr_workgroup_info 0
		.amdhsa_system_vgpr_workitem_id 0
		.amdhsa_next_free_vgpr 1
		.amdhsa_next_free_sgpr 0
		.amdhsa_accum_offset 4
		.amdhsa_reserve_vcc 0
		.amdhsa_float_round_mode_32 0
		.amdhsa_float_round_mode_16_64 0
		.amdhsa_float_denorm_mode_32 3
		.amdhsa_float_denorm_mode_16_64 3
		.amdhsa_dx10_clamp 1
		.amdhsa_ieee_mode 1
		.amdhsa_fp16_overflow 0
		.amdhsa_tg_split 0
		.amdhsa_exception_fp_ieee_invalid_op 0
		.amdhsa_exception_fp_denorm_src 0
		.amdhsa_exception_fp_ieee_div_zero 0
		.amdhsa_exception_fp_ieee_overflow 0
		.amdhsa_exception_fp_ieee_underflow 0
		.amdhsa_exception_fp_ieee_inexact 0
		.amdhsa_exception_int_div_zero 0
	.end_amdhsa_kernel
	.section	.text._ZN7rocprim17ROCPRIM_400000_NS6detail17trampoline_kernelINS0_14default_configENS1_22reduce_config_selectorIN6thrust23THRUST_200600_302600_NS5tupleIblNS6_9null_typeES8_S8_S8_S8_S8_S8_S8_EEEEZNS1_11reduce_implILb1ES3_NS6_12zip_iteratorINS7_INS6_11hip_rocprim26transform_input_iterator_tIbNSD_35transform_pair_of_input_iterators_tIbNS6_6detail15normal_iteratorINS6_10device_ptrIKxEEEESL_NS6_8equal_toIxEEEENSG_9not_fun_tINSD_8identityEEEEENSD_19counting_iterator_tIlEES8_S8_S8_S8_S8_S8_S8_S8_EEEEPS9_S9_NSD_9__find_if7functorIS9_EEEE10hipError_tPvRmT1_T2_T3_mT4_P12ihipStream_tbEUlT_E0_NS1_11comp_targetILNS1_3genE4ELNS1_11target_archE910ELNS1_3gpuE8ELNS1_3repE0EEENS1_30default_config_static_selectorELNS0_4arch9wavefront6targetE1EEEvS14_,"axG",@progbits,_ZN7rocprim17ROCPRIM_400000_NS6detail17trampoline_kernelINS0_14default_configENS1_22reduce_config_selectorIN6thrust23THRUST_200600_302600_NS5tupleIblNS6_9null_typeES8_S8_S8_S8_S8_S8_S8_EEEEZNS1_11reduce_implILb1ES3_NS6_12zip_iteratorINS7_INS6_11hip_rocprim26transform_input_iterator_tIbNSD_35transform_pair_of_input_iterators_tIbNS6_6detail15normal_iteratorINS6_10device_ptrIKxEEEESL_NS6_8equal_toIxEEEENSG_9not_fun_tINSD_8identityEEEEENSD_19counting_iterator_tIlEES8_S8_S8_S8_S8_S8_S8_S8_EEEEPS9_S9_NSD_9__find_if7functorIS9_EEEE10hipError_tPvRmT1_T2_T3_mT4_P12ihipStream_tbEUlT_E0_NS1_11comp_targetILNS1_3genE4ELNS1_11target_archE910ELNS1_3gpuE8ELNS1_3repE0EEENS1_30default_config_static_selectorELNS0_4arch9wavefront6targetE1EEEvS14_,comdat
.Lfunc_end1253:
	.size	_ZN7rocprim17ROCPRIM_400000_NS6detail17trampoline_kernelINS0_14default_configENS1_22reduce_config_selectorIN6thrust23THRUST_200600_302600_NS5tupleIblNS6_9null_typeES8_S8_S8_S8_S8_S8_S8_EEEEZNS1_11reduce_implILb1ES3_NS6_12zip_iteratorINS7_INS6_11hip_rocprim26transform_input_iterator_tIbNSD_35transform_pair_of_input_iterators_tIbNS6_6detail15normal_iteratorINS6_10device_ptrIKxEEEESL_NS6_8equal_toIxEEEENSG_9not_fun_tINSD_8identityEEEEENSD_19counting_iterator_tIlEES8_S8_S8_S8_S8_S8_S8_S8_EEEEPS9_S9_NSD_9__find_if7functorIS9_EEEE10hipError_tPvRmT1_T2_T3_mT4_P12ihipStream_tbEUlT_E0_NS1_11comp_targetILNS1_3genE4ELNS1_11target_archE910ELNS1_3gpuE8ELNS1_3repE0EEENS1_30default_config_static_selectorELNS0_4arch9wavefront6targetE1EEEvS14_, .Lfunc_end1253-_ZN7rocprim17ROCPRIM_400000_NS6detail17trampoline_kernelINS0_14default_configENS1_22reduce_config_selectorIN6thrust23THRUST_200600_302600_NS5tupleIblNS6_9null_typeES8_S8_S8_S8_S8_S8_S8_EEEEZNS1_11reduce_implILb1ES3_NS6_12zip_iteratorINS7_INS6_11hip_rocprim26transform_input_iterator_tIbNSD_35transform_pair_of_input_iterators_tIbNS6_6detail15normal_iteratorINS6_10device_ptrIKxEEEESL_NS6_8equal_toIxEEEENSG_9not_fun_tINSD_8identityEEEEENSD_19counting_iterator_tIlEES8_S8_S8_S8_S8_S8_S8_S8_EEEEPS9_S9_NSD_9__find_if7functorIS9_EEEE10hipError_tPvRmT1_T2_T3_mT4_P12ihipStream_tbEUlT_E0_NS1_11comp_targetILNS1_3genE4ELNS1_11target_archE910ELNS1_3gpuE8ELNS1_3repE0EEENS1_30default_config_static_selectorELNS0_4arch9wavefront6targetE1EEEvS14_
                                        ; -- End function
	.set _ZN7rocprim17ROCPRIM_400000_NS6detail17trampoline_kernelINS0_14default_configENS1_22reduce_config_selectorIN6thrust23THRUST_200600_302600_NS5tupleIblNS6_9null_typeES8_S8_S8_S8_S8_S8_S8_EEEEZNS1_11reduce_implILb1ES3_NS6_12zip_iteratorINS7_INS6_11hip_rocprim26transform_input_iterator_tIbNSD_35transform_pair_of_input_iterators_tIbNS6_6detail15normal_iteratorINS6_10device_ptrIKxEEEESL_NS6_8equal_toIxEEEENSG_9not_fun_tINSD_8identityEEEEENSD_19counting_iterator_tIlEES8_S8_S8_S8_S8_S8_S8_S8_EEEEPS9_S9_NSD_9__find_if7functorIS9_EEEE10hipError_tPvRmT1_T2_T3_mT4_P12ihipStream_tbEUlT_E0_NS1_11comp_targetILNS1_3genE4ELNS1_11target_archE910ELNS1_3gpuE8ELNS1_3repE0EEENS1_30default_config_static_selectorELNS0_4arch9wavefront6targetE1EEEvS14_.num_vgpr, 0
	.set _ZN7rocprim17ROCPRIM_400000_NS6detail17trampoline_kernelINS0_14default_configENS1_22reduce_config_selectorIN6thrust23THRUST_200600_302600_NS5tupleIblNS6_9null_typeES8_S8_S8_S8_S8_S8_S8_EEEEZNS1_11reduce_implILb1ES3_NS6_12zip_iteratorINS7_INS6_11hip_rocprim26transform_input_iterator_tIbNSD_35transform_pair_of_input_iterators_tIbNS6_6detail15normal_iteratorINS6_10device_ptrIKxEEEESL_NS6_8equal_toIxEEEENSG_9not_fun_tINSD_8identityEEEEENSD_19counting_iterator_tIlEES8_S8_S8_S8_S8_S8_S8_S8_EEEEPS9_S9_NSD_9__find_if7functorIS9_EEEE10hipError_tPvRmT1_T2_T3_mT4_P12ihipStream_tbEUlT_E0_NS1_11comp_targetILNS1_3genE4ELNS1_11target_archE910ELNS1_3gpuE8ELNS1_3repE0EEENS1_30default_config_static_selectorELNS0_4arch9wavefront6targetE1EEEvS14_.num_agpr, 0
	.set _ZN7rocprim17ROCPRIM_400000_NS6detail17trampoline_kernelINS0_14default_configENS1_22reduce_config_selectorIN6thrust23THRUST_200600_302600_NS5tupleIblNS6_9null_typeES8_S8_S8_S8_S8_S8_S8_EEEEZNS1_11reduce_implILb1ES3_NS6_12zip_iteratorINS7_INS6_11hip_rocprim26transform_input_iterator_tIbNSD_35transform_pair_of_input_iterators_tIbNS6_6detail15normal_iteratorINS6_10device_ptrIKxEEEESL_NS6_8equal_toIxEEEENSG_9not_fun_tINSD_8identityEEEEENSD_19counting_iterator_tIlEES8_S8_S8_S8_S8_S8_S8_S8_EEEEPS9_S9_NSD_9__find_if7functorIS9_EEEE10hipError_tPvRmT1_T2_T3_mT4_P12ihipStream_tbEUlT_E0_NS1_11comp_targetILNS1_3genE4ELNS1_11target_archE910ELNS1_3gpuE8ELNS1_3repE0EEENS1_30default_config_static_selectorELNS0_4arch9wavefront6targetE1EEEvS14_.numbered_sgpr, 0
	.set _ZN7rocprim17ROCPRIM_400000_NS6detail17trampoline_kernelINS0_14default_configENS1_22reduce_config_selectorIN6thrust23THRUST_200600_302600_NS5tupleIblNS6_9null_typeES8_S8_S8_S8_S8_S8_S8_EEEEZNS1_11reduce_implILb1ES3_NS6_12zip_iteratorINS7_INS6_11hip_rocprim26transform_input_iterator_tIbNSD_35transform_pair_of_input_iterators_tIbNS6_6detail15normal_iteratorINS6_10device_ptrIKxEEEESL_NS6_8equal_toIxEEEENSG_9not_fun_tINSD_8identityEEEEENSD_19counting_iterator_tIlEES8_S8_S8_S8_S8_S8_S8_S8_EEEEPS9_S9_NSD_9__find_if7functorIS9_EEEE10hipError_tPvRmT1_T2_T3_mT4_P12ihipStream_tbEUlT_E0_NS1_11comp_targetILNS1_3genE4ELNS1_11target_archE910ELNS1_3gpuE8ELNS1_3repE0EEENS1_30default_config_static_selectorELNS0_4arch9wavefront6targetE1EEEvS14_.num_named_barrier, 0
	.set _ZN7rocprim17ROCPRIM_400000_NS6detail17trampoline_kernelINS0_14default_configENS1_22reduce_config_selectorIN6thrust23THRUST_200600_302600_NS5tupleIblNS6_9null_typeES8_S8_S8_S8_S8_S8_S8_EEEEZNS1_11reduce_implILb1ES3_NS6_12zip_iteratorINS7_INS6_11hip_rocprim26transform_input_iterator_tIbNSD_35transform_pair_of_input_iterators_tIbNS6_6detail15normal_iteratorINS6_10device_ptrIKxEEEESL_NS6_8equal_toIxEEEENSG_9not_fun_tINSD_8identityEEEEENSD_19counting_iterator_tIlEES8_S8_S8_S8_S8_S8_S8_S8_EEEEPS9_S9_NSD_9__find_if7functorIS9_EEEE10hipError_tPvRmT1_T2_T3_mT4_P12ihipStream_tbEUlT_E0_NS1_11comp_targetILNS1_3genE4ELNS1_11target_archE910ELNS1_3gpuE8ELNS1_3repE0EEENS1_30default_config_static_selectorELNS0_4arch9wavefront6targetE1EEEvS14_.private_seg_size, 0
	.set _ZN7rocprim17ROCPRIM_400000_NS6detail17trampoline_kernelINS0_14default_configENS1_22reduce_config_selectorIN6thrust23THRUST_200600_302600_NS5tupleIblNS6_9null_typeES8_S8_S8_S8_S8_S8_S8_EEEEZNS1_11reduce_implILb1ES3_NS6_12zip_iteratorINS7_INS6_11hip_rocprim26transform_input_iterator_tIbNSD_35transform_pair_of_input_iterators_tIbNS6_6detail15normal_iteratorINS6_10device_ptrIKxEEEESL_NS6_8equal_toIxEEEENSG_9not_fun_tINSD_8identityEEEEENSD_19counting_iterator_tIlEES8_S8_S8_S8_S8_S8_S8_S8_EEEEPS9_S9_NSD_9__find_if7functorIS9_EEEE10hipError_tPvRmT1_T2_T3_mT4_P12ihipStream_tbEUlT_E0_NS1_11comp_targetILNS1_3genE4ELNS1_11target_archE910ELNS1_3gpuE8ELNS1_3repE0EEENS1_30default_config_static_selectorELNS0_4arch9wavefront6targetE1EEEvS14_.uses_vcc, 0
	.set _ZN7rocprim17ROCPRIM_400000_NS6detail17trampoline_kernelINS0_14default_configENS1_22reduce_config_selectorIN6thrust23THRUST_200600_302600_NS5tupleIblNS6_9null_typeES8_S8_S8_S8_S8_S8_S8_EEEEZNS1_11reduce_implILb1ES3_NS6_12zip_iteratorINS7_INS6_11hip_rocprim26transform_input_iterator_tIbNSD_35transform_pair_of_input_iterators_tIbNS6_6detail15normal_iteratorINS6_10device_ptrIKxEEEESL_NS6_8equal_toIxEEEENSG_9not_fun_tINSD_8identityEEEEENSD_19counting_iterator_tIlEES8_S8_S8_S8_S8_S8_S8_S8_EEEEPS9_S9_NSD_9__find_if7functorIS9_EEEE10hipError_tPvRmT1_T2_T3_mT4_P12ihipStream_tbEUlT_E0_NS1_11comp_targetILNS1_3genE4ELNS1_11target_archE910ELNS1_3gpuE8ELNS1_3repE0EEENS1_30default_config_static_selectorELNS0_4arch9wavefront6targetE1EEEvS14_.uses_flat_scratch, 0
	.set _ZN7rocprim17ROCPRIM_400000_NS6detail17trampoline_kernelINS0_14default_configENS1_22reduce_config_selectorIN6thrust23THRUST_200600_302600_NS5tupleIblNS6_9null_typeES8_S8_S8_S8_S8_S8_S8_EEEEZNS1_11reduce_implILb1ES3_NS6_12zip_iteratorINS7_INS6_11hip_rocprim26transform_input_iterator_tIbNSD_35transform_pair_of_input_iterators_tIbNS6_6detail15normal_iteratorINS6_10device_ptrIKxEEEESL_NS6_8equal_toIxEEEENSG_9not_fun_tINSD_8identityEEEEENSD_19counting_iterator_tIlEES8_S8_S8_S8_S8_S8_S8_S8_EEEEPS9_S9_NSD_9__find_if7functorIS9_EEEE10hipError_tPvRmT1_T2_T3_mT4_P12ihipStream_tbEUlT_E0_NS1_11comp_targetILNS1_3genE4ELNS1_11target_archE910ELNS1_3gpuE8ELNS1_3repE0EEENS1_30default_config_static_selectorELNS0_4arch9wavefront6targetE1EEEvS14_.has_dyn_sized_stack, 0
	.set _ZN7rocprim17ROCPRIM_400000_NS6detail17trampoline_kernelINS0_14default_configENS1_22reduce_config_selectorIN6thrust23THRUST_200600_302600_NS5tupleIblNS6_9null_typeES8_S8_S8_S8_S8_S8_S8_EEEEZNS1_11reduce_implILb1ES3_NS6_12zip_iteratorINS7_INS6_11hip_rocprim26transform_input_iterator_tIbNSD_35transform_pair_of_input_iterators_tIbNS6_6detail15normal_iteratorINS6_10device_ptrIKxEEEESL_NS6_8equal_toIxEEEENSG_9not_fun_tINSD_8identityEEEEENSD_19counting_iterator_tIlEES8_S8_S8_S8_S8_S8_S8_S8_EEEEPS9_S9_NSD_9__find_if7functorIS9_EEEE10hipError_tPvRmT1_T2_T3_mT4_P12ihipStream_tbEUlT_E0_NS1_11comp_targetILNS1_3genE4ELNS1_11target_archE910ELNS1_3gpuE8ELNS1_3repE0EEENS1_30default_config_static_selectorELNS0_4arch9wavefront6targetE1EEEvS14_.has_recursion, 0
	.set _ZN7rocprim17ROCPRIM_400000_NS6detail17trampoline_kernelINS0_14default_configENS1_22reduce_config_selectorIN6thrust23THRUST_200600_302600_NS5tupleIblNS6_9null_typeES8_S8_S8_S8_S8_S8_S8_EEEEZNS1_11reduce_implILb1ES3_NS6_12zip_iteratorINS7_INS6_11hip_rocprim26transform_input_iterator_tIbNSD_35transform_pair_of_input_iterators_tIbNS6_6detail15normal_iteratorINS6_10device_ptrIKxEEEESL_NS6_8equal_toIxEEEENSG_9not_fun_tINSD_8identityEEEEENSD_19counting_iterator_tIlEES8_S8_S8_S8_S8_S8_S8_S8_EEEEPS9_S9_NSD_9__find_if7functorIS9_EEEE10hipError_tPvRmT1_T2_T3_mT4_P12ihipStream_tbEUlT_E0_NS1_11comp_targetILNS1_3genE4ELNS1_11target_archE910ELNS1_3gpuE8ELNS1_3repE0EEENS1_30default_config_static_selectorELNS0_4arch9wavefront6targetE1EEEvS14_.has_indirect_call, 0
	.section	.AMDGPU.csdata,"",@progbits
; Kernel info:
; codeLenInByte = 0
; TotalNumSgprs: 6
; NumVgprs: 0
; NumAgprs: 0
; TotalNumVgprs: 0
; ScratchSize: 0
; MemoryBound: 0
; FloatMode: 240
; IeeeMode: 1
; LDSByteSize: 0 bytes/workgroup (compile time only)
; SGPRBlocks: 0
; VGPRBlocks: 0
; NumSGPRsForWavesPerEU: 6
; NumVGPRsForWavesPerEU: 1
; AccumOffset: 4
; Occupancy: 8
; WaveLimiterHint : 0
; COMPUTE_PGM_RSRC2:SCRATCH_EN: 0
; COMPUTE_PGM_RSRC2:USER_SGPR: 2
; COMPUTE_PGM_RSRC2:TRAP_HANDLER: 0
; COMPUTE_PGM_RSRC2:TGID_X_EN: 1
; COMPUTE_PGM_RSRC2:TGID_Y_EN: 0
; COMPUTE_PGM_RSRC2:TGID_Z_EN: 0
; COMPUTE_PGM_RSRC2:TIDIG_COMP_CNT: 0
; COMPUTE_PGM_RSRC3_GFX90A:ACCUM_OFFSET: 0
; COMPUTE_PGM_RSRC3_GFX90A:TG_SPLIT: 0
	.section	.text._ZN7rocprim17ROCPRIM_400000_NS6detail17trampoline_kernelINS0_14default_configENS1_22reduce_config_selectorIN6thrust23THRUST_200600_302600_NS5tupleIblNS6_9null_typeES8_S8_S8_S8_S8_S8_S8_EEEEZNS1_11reduce_implILb1ES3_NS6_12zip_iteratorINS7_INS6_11hip_rocprim26transform_input_iterator_tIbNSD_35transform_pair_of_input_iterators_tIbNS6_6detail15normal_iteratorINS6_10device_ptrIKxEEEESL_NS6_8equal_toIxEEEENSG_9not_fun_tINSD_8identityEEEEENSD_19counting_iterator_tIlEES8_S8_S8_S8_S8_S8_S8_S8_EEEEPS9_S9_NSD_9__find_if7functorIS9_EEEE10hipError_tPvRmT1_T2_T3_mT4_P12ihipStream_tbEUlT_E0_NS1_11comp_targetILNS1_3genE3ELNS1_11target_archE908ELNS1_3gpuE7ELNS1_3repE0EEENS1_30default_config_static_selectorELNS0_4arch9wavefront6targetE1EEEvS14_,"axG",@progbits,_ZN7rocprim17ROCPRIM_400000_NS6detail17trampoline_kernelINS0_14default_configENS1_22reduce_config_selectorIN6thrust23THRUST_200600_302600_NS5tupleIblNS6_9null_typeES8_S8_S8_S8_S8_S8_S8_EEEEZNS1_11reduce_implILb1ES3_NS6_12zip_iteratorINS7_INS6_11hip_rocprim26transform_input_iterator_tIbNSD_35transform_pair_of_input_iterators_tIbNS6_6detail15normal_iteratorINS6_10device_ptrIKxEEEESL_NS6_8equal_toIxEEEENSG_9not_fun_tINSD_8identityEEEEENSD_19counting_iterator_tIlEES8_S8_S8_S8_S8_S8_S8_S8_EEEEPS9_S9_NSD_9__find_if7functorIS9_EEEE10hipError_tPvRmT1_T2_T3_mT4_P12ihipStream_tbEUlT_E0_NS1_11comp_targetILNS1_3genE3ELNS1_11target_archE908ELNS1_3gpuE7ELNS1_3repE0EEENS1_30default_config_static_selectorELNS0_4arch9wavefront6targetE1EEEvS14_,comdat
	.protected	_ZN7rocprim17ROCPRIM_400000_NS6detail17trampoline_kernelINS0_14default_configENS1_22reduce_config_selectorIN6thrust23THRUST_200600_302600_NS5tupleIblNS6_9null_typeES8_S8_S8_S8_S8_S8_S8_EEEEZNS1_11reduce_implILb1ES3_NS6_12zip_iteratorINS7_INS6_11hip_rocprim26transform_input_iterator_tIbNSD_35transform_pair_of_input_iterators_tIbNS6_6detail15normal_iteratorINS6_10device_ptrIKxEEEESL_NS6_8equal_toIxEEEENSG_9not_fun_tINSD_8identityEEEEENSD_19counting_iterator_tIlEES8_S8_S8_S8_S8_S8_S8_S8_EEEEPS9_S9_NSD_9__find_if7functorIS9_EEEE10hipError_tPvRmT1_T2_T3_mT4_P12ihipStream_tbEUlT_E0_NS1_11comp_targetILNS1_3genE3ELNS1_11target_archE908ELNS1_3gpuE7ELNS1_3repE0EEENS1_30default_config_static_selectorELNS0_4arch9wavefront6targetE1EEEvS14_ ; -- Begin function _ZN7rocprim17ROCPRIM_400000_NS6detail17trampoline_kernelINS0_14default_configENS1_22reduce_config_selectorIN6thrust23THRUST_200600_302600_NS5tupleIblNS6_9null_typeES8_S8_S8_S8_S8_S8_S8_EEEEZNS1_11reduce_implILb1ES3_NS6_12zip_iteratorINS7_INS6_11hip_rocprim26transform_input_iterator_tIbNSD_35transform_pair_of_input_iterators_tIbNS6_6detail15normal_iteratorINS6_10device_ptrIKxEEEESL_NS6_8equal_toIxEEEENSG_9not_fun_tINSD_8identityEEEEENSD_19counting_iterator_tIlEES8_S8_S8_S8_S8_S8_S8_S8_EEEEPS9_S9_NSD_9__find_if7functorIS9_EEEE10hipError_tPvRmT1_T2_T3_mT4_P12ihipStream_tbEUlT_E0_NS1_11comp_targetILNS1_3genE3ELNS1_11target_archE908ELNS1_3gpuE7ELNS1_3repE0EEENS1_30default_config_static_selectorELNS0_4arch9wavefront6targetE1EEEvS14_
	.globl	_ZN7rocprim17ROCPRIM_400000_NS6detail17trampoline_kernelINS0_14default_configENS1_22reduce_config_selectorIN6thrust23THRUST_200600_302600_NS5tupleIblNS6_9null_typeES8_S8_S8_S8_S8_S8_S8_EEEEZNS1_11reduce_implILb1ES3_NS6_12zip_iteratorINS7_INS6_11hip_rocprim26transform_input_iterator_tIbNSD_35transform_pair_of_input_iterators_tIbNS6_6detail15normal_iteratorINS6_10device_ptrIKxEEEESL_NS6_8equal_toIxEEEENSG_9not_fun_tINSD_8identityEEEEENSD_19counting_iterator_tIlEES8_S8_S8_S8_S8_S8_S8_S8_EEEEPS9_S9_NSD_9__find_if7functorIS9_EEEE10hipError_tPvRmT1_T2_T3_mT4_P12ihipStream_tbEUlT_E0_NS1_11comp_targetILNS1_3genE3ELNS1_11target_archE908ELNS1_3gpuE7ELNS1_3repE0EEENS1_30default_config_static_selectorELNS0_4arch9wavefront6targetE1EEEvS14_
	.p2align	8
	.type	_ZN7rocprim17ROCPRIM_400000_NS6detail17trampoline_kernelINS0_14default_configENS1_22reduce_config_selectorIN6thrust23THRUST_200600_302600_NS5tupleIblNS6_9null_typeES8_S8_S8_S8_S8_S8_S8_EEEEZNS1_11reduce_implILb1ES3_NS6_12zip_iteratorINS7_INS6_11hip_rocprim26transform_input_iterator_tIbNSD_35transform_pair_of_input_iterators_tIbNS6_6detail15normal_iteratorINS6_10device_ptrIKxEEEESL_NS6_8equal_toIxEEEENSG_9not_fun_tINSD_8identityEEEEENSD_19counting_iterator_tIlEES8_S8_S8_S8_S8_S8_S8_S8_EEEEPS9_S9_NSD_9__find_if7functorIS9_EEEE10hipError_tPvRmT1_T2_T3_mT4_P12ihipStream_tbEUlT_E0_NS1_11comp_targetILNS1_3genE3ELNS1_11target_archE908ELNS1_3gpuE7ELNS1_3repE0EEENS1_30default_config_static_selectorELNS0_4arch9wavefront6targetE1EEEvS14_,@function
_ZN7rocprim17ROCPRIM_400000_NS6detail17trampoline_kernelINS0_14default_configENS1_22reduce_config_selectorIN6thrust23THRUST_200600_302600_NS5tupleIblNS6_9null_typeES8_S8_S8_S8_S8_S8_S8_EEEEZNS1_11reduce_implILb1ES3_NS6_12zip_iteratorINS7_INS6_11hip_rocprim26transform_input_iterator_tIbNSD_35transform_pair_of_input_iterators_tIbNS6_6detail15normal_iteratorINS6_10device_ptrIKxEEEESL_NS6_8equal_toIxEEEENSG_9not_fun_tINSD_8identityEEEEENSD_19counting_iterator_tIlEES8_S8_S8_S8_S8_S8_S8_S8_EEEEPS9_S9_NSD_9__find_if7functorIS9_EEEE10hipError_tPvRmT1_T2_T3_mT4_P12ihipStream_tbEUlT_E0_NS1_11comp_targetILNS1_3genE3ELNS1_11target_archE908ELNS1_3gpuE7ELNS1_3repE0EEENS1_30default_config_static_selectorELNS0_4arch9wavefront6targetE1EEEvS14_: ; @_ZN7rocprim17ROCPRIM_400000_NS6detail17trampoline_kernelINS0_14default_configENS1_22reduce_config_selectorIN6thrust23THRUST_200600_302600_NS5tupleIblNS6_9null_typeES8_S8_S8_S8_S8_S8_S8_EEEEZNS1_11reduce_implILb1ES3_NS6_12zip_iteratorINS7_INS6_11hip_rocprim26transform_input_iterator_tIbNSD_35transform_pair_of_input_iterators_tIbNS6_6detail15normal_iteratorINS6_10device_ptrIKxEEEESL_NS6_8equal_toIxEEEENSG_9not_fun_tINSD_8identityEEEEENSD_19counting_iterator_tIlEES8_S8_S8_S8_S8_S8_S8_S8_EEEEPS9_S9_NSD_9__find_if7functorIS9_EEEE10hipError_tPvRmT1_T2_T3_mT4_P12ihipStream_tbEUlT_E0_NS1_11comp_targetILNS1_3genE3ELNS1_11target_archE908ELNS1_3gpuE7ELNS1_3repE0EEENS1_30default_config_static_selectorELNS0_4arch9wavefront6targetE1EEEvS14_
; %bb.0:
	.section	.rodata,"a",@progbits
	.p2align	6, 0x0
	.amdhsa_kernel _ZN7rocprim17ROCPRIM_400000_NS6detail17trampoline_kernelINS0_14default_configENS1_22reduce_config_selectorIN6thrust23THRUST_200600_302600_NS5tupleIblNS6_9null_typeES8_S8_S8_S8_S8_S8_S8_EEEEZNS1_11reduce_implILb1ES3_NS6_12zip_iteratorINS7_INS6_11hip_rocprim26transform_input_iterator_tIbNSD_35transform_pair_of_input_iterators_tIbNS6_6detail15normal_iteratorINS6_10device_ptrIKxEEEESL_NS6_8equal_toIxEEEENSG_9not_fun_tINSD_8identityEEEEENSD_19counting_iterator_tIlEES8_S8_S8_S8_S8_S8_S8_S8_EEEEPS9_S9_NSD_9__find_if7functorIS9_EEEE10hipError_tPvRmT1_T2_T3_mT4_P12ihipStream_tbEUlT_E0_NS1_11comp_targetILNS1_3genE3ELNS1_11target_archE908ELNS1_3gpuE7ELNS1_3repE0EEENS1_30default_config_static_selectorELNS0_4arch9wavefront6targetE1EEEvS14_
		.amdhsa_group_segment_fixed_size 0
		.amdhsa_private_segment_fixed_size 0
		.amdhsa_kernarg_size 104
		.amdhsa_user_sgpr_count 2
		.amdhsa_user_sgpr_dispatch_ptr 0
		.amdhsa_user_sgpr_queue_ptr 0
		.amdhsa_user_sgpr_kernarg_segment_ptr 1
		.amdhsa_user_sgpr_dispatch_id 0
		.amdhsa_user_sgpr_kernarg_preload_length 0
		.amdhsa_user_sgpr_kernarg_preload_offset 0
		.amdhsa_user_sgpr_private_segment_size 0
		.amdhsa_uses_dynamic_stack 0
		.amdhsa_enable_private_segment 0
		.amdhsa_system_sgpr_workgroup_id_x 1
		.amdhsa_system_sgpr_workgroup_id_y 0
		.amdhsa_system_sgpr_workgroup_id_z 0
		.amdhsa_system_sgpr_workgroup_info 0
		.amdhsa_system_vgpr_workitem_id 0
		.amdhsa_next_free_vgpr 1
		.amdhsa_next_free_sgpr 0
		.amdhsa_accum_offset 4
		.amdhsa_reserve_vcc 0
		.amdhsa_float_round_mode_32 0
		.amdhsa_float_round_mode_16_64 0
		.amdhsa_float_denorm_mode_32 3
		.amdhsa_float_denorm_mode_16_64 3
		.amdhsa_dx10_clamp 1
		.amdhsa_ieee_mode 1
		.amdhsa_fp16_overflow 0
		.amdhsa_tg_split 0
		.amdhsa_exception_fp_ieee_invalid_op 0
		.amdhsa_exception_fp_denorm_src 0
		.amdhsa_exception_fp_ieee_div_zero 0
		.amdhsa_exception_fp_ieee_overflow 0
		.amdhsa_exception_fp_ieee_underflow 0
		.amdhsa_exception_fp_ieee_inexact 0
		.amdhsa_exception_int_div_zero 0
	.end_amdhsa_kernel
	.section	.text._ZN7rocprim17ROCPRIM_400000_NS6detail17trampoline_kernelINS0_14default_configENS1_22reduce_config_selectorIN6thrust23THRUST_200600_302600_NS5tupleIblNS6_9null_typeES8_S8_S8_S8_S8_S8_S8_EEEEZNS1_11reduce_implILb1ES3_NS6_12zip_iteratorINS7_INS6_11hip_rocprim26transform_input_iterator_tIbNSD_35transform_pair_of_input_iterators_tIbNS6_6detail15normal_iteratorINS6_10device_ptrIKxEEEESL_NS6_8equal_toIxEEEENSG_9not_fun_tINSD_8identityEEEEENSD_19counting_iterator_tIlEES8_S8_S8_S8_S8_S8_S8_S8_EEEEPS9_S9_NSD_9__find_if7functorIS9_EEEE10hipError_tPvRmT1_T2_T3_mT4_P12ihipStream_tbEUlT_E0_NS1_11comp_targetILNS1_3genE3ELNS1_11target_archE908ELNS1_3gpuE7ELNS1_3repE0EEENS1_30default_config_static_selectorELNS0_4arch9wavefront6targetE1EEEvS14_,"axG",@progbits,_ZN7rocprim17ROCPRIM_400000_NS6detail17trampoline_kernelINS0_14default_configENS1_22reduce_config_selectorIN6thrust23THRUST_200600_302600_NS5tupleIblNS6_9null_typeES8_S8_S8_S8_S8_S8_S8_EEEEZNS1_11reduce_implILb1ES3_NS6_12zip_iteratorINS7_INS6_11hip_rocprim26transform_input_iterator_tIbNSD_35transform_pair_of_input_iterators_tIbNS6_6detail15normal_iteratorINS6_10device_ptrIKxEEEESL_NS6_8equal_toIxEEEENSG_9not_fun_tINSD_8identityEEEEENSD_19counting_iterator_tIlEES8_S8_S8_S8_S8_S8_S8_S8_EEEEPS9_S9_NSD_9__find_if7functorIS9_EEEE10hipError_tPvRmT1_T2_T3_mT4_P12ihipStream_tbEUlT_E0_NS1_11comp_targetILNS1_3genE3ELNS1_11target_archE908ELNS1_3gpuE7ELNS1_3repE0EEENS1_30default_config_static_selectorELNS0_4arch9wavefront6targetE1EEEvS14_,comdat
.Lfunc_end1254:
	.size	_ZN7rocprim17ROCPRIM_400000_NS6detail17trampoline_kernelINS0_14default_configENS1_22reduce_config_selectorIN6thrust23THRUST_200600_302600_NS5tupleIblNS6_9null_typeES8_S8_S8_S8_S8_S8_S8_EEEEZNS1_11reduce_implILb1ES3_NS6_12zip_iteratorINS7_INS6_11hip_rocprim26transform_input_iterator_tIbNSD_35transform_pair_of_input_iterators_tIbNS6_6detail15normal_iteratorINS6_10device_ptrIKxEEEESL_NS6_8equal_toIxEEEENSG_9not_fun_tINSD_8identityEEEEENSD_19counting_iterator_tIlEES8_S8_S8_S8_S8_S8_S8_S8_EEEEPS9_S9_NSD_9__find_if7functorIS9_EEEE10hipError_tPvRmT1_T2_T3_mT4_P12ihipStream_tbEUlT_E0_NS1_11comp_targetILNS1_3genE3ELNS1_11target_archE908ELNS1_3gpuE7ELNS1_3repE0EEENS1_30default_config_static_selectorELNS0_4arch9wavefront6targetE1EEEvS14_, .Lfunc_end1254-_ZN7rocprim17ROCPRIM_400000_NS6detail17trampoline_kernelINS0_14default_configENS1_22reduce_config_selectorIN6thrust23THRUST_200600_302600_NS5tupleIblNS6_9null_typeES8_S8_S8_S8_S8_S8_S8_EEEEZNS1_11reduce_implILb1ES3_NS6_12zip_iteratorINS7_INS6_11hip_rocprim26transform_input_iterator_tIbNSD_35transform_pair_of_input_iterators_tIbNS6_6detail15normal_iteratorINS6_10device_ptrIKxEEEESL_NS6_8equal_toIxEEEENSG_9not_fun_tINSD_8identityEEEEENSD_19counting_iterator_tIlEES8_S8_S8_S8_S8_S8_S8_S8_EEEEPS9_S9_NSD_9__find_if7functorIS9_EEEE10hipError_tPvRmT1_T2_T3_mT4_P12ihipStream_tbEUlT_E0_NS1_11comp_targetILNS1_3genE3ELNS1_11target_archE908ELNS1_3gpuE7ELNS1_3repE0EEENS1_30default_config_static_selectorELNS0_4arch9wavefront6targetE1EEEvS14_
                                        ; -- End function
	.set _ZN7rocprim17ROCPRIM_400000_NS6detail17trampoline_kernelINS0_14default_configENS1_22reduce_config_selectorIN6thrust23THRUST_200600_302600_NS5tupleIblNS6_9null_typeES8_S8_S8_S8_S8_S8_S8_EEEEZNS1_11reduce_implILb1ES3_NS6_12zip_iteratorINS7_INS6_11hip_rocprim26transform_input_iterator_tIbNSD_35transform_pair_of_input_iterators_tIbNS6_6detail15normal_iteratorINS6_10device_ptrIKxEEEESL_NS6_8equal_toIxEEEENSG_9not_fun_tINSD_8identityEEEEENSD_19counting_iterator_tIlEES8_S8_S8_S8_S8_S8_S8_S8_EEEEPS9_S9_NSD_9__find_if7functorIS9_EEEE10hipError_tPvRmT1_T2_T3_mT4_P12ihipStream_tbEUlT_E0_NS1_11comp_targetILNS1_3genE3ELNS1_11target_archE908ELNS1_3gpuE7ELNS1_3repE0EEENS1_30default_config_static_selectorELNS0_4arch9wavefront6targetE1EEEvS14_.num_vgpr, 0
	.set _ZN7rocprim17ROCPRIM_400000_NS6detail17trampoline_kernelINS0_14default_configENS1_22reduce_config_selectorIN6thrust23THRUST_200600_302600_NS5tupleIblNS6_9null_typeES8_S8_S8_S8_S8_S8_S8_EEEEZNS1_11reduce_implILb1ES3_NS6_12zip_iteratorINS7_INS6_11hip_rocprim26transform_input_iterator_tIbNSD_35transform_pair_of_input_iterators_tIbNS6_6detail15normal_iteratorINS6_10device_ptrIKxEEEESL_NS6_8equal_toIxEEEENSG_9not_fun_tINSD_8identityEEEEENSD_19counting_iterator_tIlEES8_S8_S8_S8_S8_S8_S8_S8_EEEEPS9_S9_NSD_9__find_if7functorIS9_EEEE10hipError_tPvRmT1_T2_T3_mT4_P12ihipStream_tbEUlT_E0_NS1_11comp_targetILNS1_3genE3ELNS1_11target_archE908ELNS1_3gpuE7ELNS1_3repE0EEENS1_30default_config_static_selectorELNS0_4arch9wavefront6targetE1EEEvS14_.num_agpr, 0
	.set _ZN7rocprim17ROCPRIM_400000_NS6detail17trampoline_kernelINS0_14default_configENS1_22reduce_config_selectorIN6thrust23THRUST_200600_302600_NS5tupleIblNS6_9null_typeES8_S8_S8_S8_S8_S8_S8_EEEEZNS1_11reduce_implILb1ES3_NS6_12zip_iteratorINS7_INS6_11hip_rocprim26transform_input_iterator_tIbNSD_35transform_pair_of_input_iterators_tIbNS6_6detail15normal_iteratorINS6_10device_ptrIKxEEEESL_NS6_8equal_toIxEEEENSG_9not_fun_tINSD_8identityEEEEENSD_19counting_iterator_tIlEES8_S8_S8_S8_S8_S8_S8_S8_EEEEPS9_S9_NSD_9__find_if7functorIS9_EEEE10hipError_tPvRmT1_T2_T3_mT4_P12ihipStream_tbEUlT_E0_NS1_11comp_targetILNS1_3genE3ELNS1_11target_archE908ELNS1_3gpuE7ELNS1_3repE0EEENS1_30default_config_static_selectorELNS0_4arch9wavefront6targetE1EEEvS14_.numbered_sgpr, 0
	.set _ZN7rocprim17ROCPRIM_400000_NS6detail17trampoline_kernelINS0_14default_configENS1_22reduce_config_selectorIN6thrust23THRUST_200600_302600_NS5tupleIblNS6_9null_typeES8_S8_S8_S8_S8_S8_S8_EEEEZNS1_11reduce_implILb1ES3_NS6_12zip_iteratorINS7_INS6_11hip_rocprim26transform_input_iterator_tIbNSD_35transform_pair_of_input_iterators_tIbNS6_6detail15normal_iteratorINS6_10device_ptrIKxEEEESL_NS6_8equal_toIxEEEENSG_9not_fun_tINSD_8identityEEEEENSD_19counting_iterator_tIlEES8_S8_S8_S8_S8_S8_S8_S8_EEEEPS9_S9_NSD_9__find_if7functorIS9_EEEE10hipError_tPvRmT1_T2_T3_mT4_P12ihipStream_tbEUlT_E0_NS1_11comp_targetILNS1_3genE3ELNS1_11target_archE908ELNS1_3gpuE7ELNS1_3repE0EEENS1_30default_config_static_selectorELNS0_4arch9wavefront6targetE1EEEvS14_.num_named_barrier, 0
	.set _ZN7rocprim17ROCPRIM_400000_NS6detail17trampoline_kernelINS0_14default_configENS1_22reduce_config_selectorIN6thrust23THRUST_200600_302600_NS5tupleIblNS6_9null_typeES8_S8_S8_S8_S8_S8_S8_EEEEZNS1_11reduce_implILb1ES3_NS6_12zip_iteratorINS7_INS6_11hip_rocprim26transform_input_iterator_tIbNSD_35transform_pair_of_input_iterators_tIbNS6_6detail15normal_iteratorINS6_10device_ptrIKxEEEESL_NS6_8equal_toIxEEEENSG_9not_fun_tINSD_8identityEEEEENSD_19counting_iterator_tIlEES8_S8_S8_S8_S8_S8_S8_S8_EEEEPS9_S9_NSD_9__find_if7functorIS9_EEEE10hipError_tPvRmT1_T2_T3_mT4_P12ihipStream_tbEUlT_E0_NS1_11comp_targetILNS1_3genE3ELNS1_11target_archE908ELNS1_3gpuE7ELNS1_3repE0EEENS1_30default_config_static_selectorELNS0_4arch9wavefront6targetE1EEEvS14_.private_seg_size, 0
	.set _ZN7rocprim17ROCPRIM_400000_NS6detail17trampoline_kernelINS0_14default_configENS1_22reduce_config_selectorIN6thrust23THRUST_200600_302600_NS5tupleIblNS6_9null_typeES8_S8_S8_S8_S8_S8_S8_EEEEZNS1_11reduce_implILb1ES3_NS6_12zip_iteratorINS7_INS6_11hip_rocprim26transform_input_iterator_tIbNSD_35transform_pair_of_input_iterators_tIbNS6_6detail15normal_iteratorINS6_10device_ptrIKxEEEESL_NS6_8equal_toIxEEEENSG_9not_fun_tINSD_8identityEEEEENSD_19counting_iterator_tIlEES8_S8_S8_S8_S8_S8_S8_S8_EEEEPS9_S9_NSD_9__find_if7functorIS9_EEEE10hipError_tPvRmT1_T2_T3_mT4_P12ihipStream_tbEUlT_E0_NS1_11comp_targetILNS1_3genE3ELNS1_11target_archE908ELNS1_3gpuE7ELNS1_3repE0EEENS1_30default_config_static_selectorELNS0_4arch9wavefront6targetE1EEEvS14_.uses_vcc, 0
	.set _ZN7rocprim17ROCPRIM_400000_NS6detail17trampoline_kernelINS0_14default_configENS1_22reduce_config_selectorIN6thrust23THRUST_200600_302600_NS5tupleIblNS6_9null_typeES8_S8_S8_S8_S8_S8_S8_EEEEZNS1_11reduce_implILb1ES3_NS6_12zip_iteratorINS7_INS6_11hip_rocprim26transform_input_iterator_tIbNSD_35transform_pair_of_input_iterators_tIbNS6_6detail15normal_iteratorINS6_10device_ptrIKxEEEESL_NS6_8equal_toIxEEEENSG_9not_fun_tINSD_8identityEEEEENSD_19counting_iterator_tIlEES8_S8_S8_S8_S8_S8_S8_S8_EEEEPS9_S9_NSD_9__find_if7functorIS9_EEEE10hipError_tPvRmT1_T2_T3_mT4_P12ihipStream_tbEUlT_E0_NS1_11comp_targetILNS1_3genE3ELNS1_11target_archE908ELNS1_3gpuE7ELNS1_3repE0EEENS1_30default_config_static_selectorELNS0_4arch9wavefront6targetE1EEEvS14_.uses_flat_scratch, 0
	.set _ZN7rocprim17ROCPRIM_400000_NS6detail17trampoline_kernelINS0_14default_configENS1_22reduce_config_selectorIN6thrust23THRUST_200600_302600_NS5tupleIblNS6_9null_typeES8_S8_S8_S8_S8_S8_S8_EEEEZNS1_11reduce_implILb1ES3_NS6_12zip_iteratorINS7_INS6_11hip_rocprim26transform_input_iterator_tIbNSD_35transform_pair_of_input_iterators_tIbNS6_6detail15normal_iteratorINS6_10device_ptrIKxEEEESL_NS6_8equal_toIxEEEENSG_9not_fun_tINSD_8identityEEEEENSD_19counting_iterator_tIlEES8_S8_S8_S8_S8_S8_S8_S8_EEEEPS9_S9_NSD_9__find_if7functorIS9_EEEE10hipError_tPvRmT1_T2_T3_mT4_P12ihipStream_tbEUlT_E0_NS1_11comp_targetILNS1_3genE3ELNS1_11target_archE908ELNS1_3gpuE7ELNS1_3repE0EEENS1_30default_config_static_selectorELNS0_4arch9wavefront6targetE1EEEvS14_.has_dyn_sized_stack, 0
	.set _ZN7rocprim17ROCPRIM_400000_NS6detail17trampoline_kernelINS0_14default_configENS1_22reduce_config_selectorIN6thrust23THRUST_200600_302600_NS5tupleIblNS6_9null_typeES8_S8_S8_S8_S8_S8_S8_EEEEZNS1_11reduce_implILb1ES3_NS6_12zip_iteratorINS7_INS6_11hip_rocprim26transform_input_iterator_tIbNSD_35transform_pair_of_input_iterators_tIbNS6_6detail15normal_iteratorINS6_10device_ptrIKxEEEESL_NS6_8equal_toIxEEEENSG_9not_fun_tINSD_8identityEEEEENSD_19counting_iterator_tIlEES8_S8_S8_S8_S8_S8_S8_S8_EEEEPS9_S9_NSD_9__find_if7functorIS9_EEEE10hipError_tPvRmT1_T2_T3_mT4_P12ihipStream_tbEUlT_E0_NS1_11comp_targetILNS1_3genE3ELNS1_11target_archE908ELNS1_3gpuE7ELNS1_3repE0EEENS1_30default_config_static_selectorELNS0_4arch9wavefront6targetE1EEEvS14_.has_recursion, 0
	.set _ZN7rocprim17ROCPRIM_400000_NS6detail17trampoline_kernelINS0_14default_configENS1_22reduce_config_selectorIN6thrust23THRUST_200600_302600_NS5tupleIblNS6_9null_typeES8_S8_S8_S8_S8_S8_S8_EEEEZNS1_11reduce_implILb1ES3_NS6_12zip_iteratorINS7_INS6_11hip_rocprim26transform_input_iterator_tIbNSD_35transform_pair_of_input_iterators_tIbNS6_6detail15normal_iteratorINS6_10device_ptrIKxEEEESL_NS6_8equal_toIxEEEENSG_9not_fun_tINSD_8identityEEEEENSD_19counting_iterator_tIlEES8_S8_S8_S8_S8_S8_S8_S8_EEEEPS9_S9_NSD_9__find_if7functorIS9_EEEE10hipError_tPvRmT1_T2_T3_mT4_P12ihipStream_tbEUlT_E0_NS1_11comp_targetILNS1_3genE3ELNS1_11target_archE908ELNS1_3gpuE7ELNS1_3repE0EEENS1_30default_config_static_selectorELNS0_4arch9wavefront6targetE1EEEvS14_.has_indirect_call, 0
	.section	.AMDGPU.csdata,"",@progbits
; Kernel info:
; codeLenInByte = 0
; TotalNumSgprs: 6
; NumVgprs: 0
; NumAgprs: 0
; TotalNumVgprs: 0
; ScratchSize: 0
; MemoryBound: 0
; FloatMode: 240
; IeeeMode: 1
; LDSByteSize: 0 bytes/workgroup (compile time only)
; SGPRBlocks: 0
; VGPRBlocks: 0
; NumSGPRsForWavesPerEU: 6
; NumVGPRsForWavesPerEU: 1
; AccumOffset: 4
; Occupancy: 8
; WaveLimiterHint : 0
; COMPUTE_PGM_RSRC2:SCRATCH_EN: 0
; COMPUTE_PGM_RSRC2:USER_SGPR: 2
; COMPUTE_PGM_RSRC2:TRAP_HANDLER: 0
; COMPUTE_PGM_RSRC2:TGID_X_EN: 1
; COMPUTE_PGM_RSRC2:TGID_Y_EN: 0
; COMPUTE_PGM_RSRC2:TGID_Z_EN: 0
; COMPUTE_PGM_RSRC2:TIDIG_COMP_CNT: 0
; COMPUTE_PGM_RSRC3_GFX90A:ACCUM_OFFSET: 0
; COMPUTE_PGM_RSRC3_GFX90A:TG_SPLIT: 0
	.section	.text._ZN7rocprim17ROCPRIM_400000_NS6detail17trampoline_kernelINS0_14default_configENS1_22reduce_config_selectorIN6thrust23THRUST_200600_302600_NS5tupleIblNS6_9null_typeES8_S8_S8_S8_S8_S8_S8_EEEEZNS1_11reduce_implILb1ES3_NS6_12zip_iteratorINS7_INS6_11hip_rocprim26transform_input_iterator_tIbNSD_35transform_pair_of_input_iterators_tIbNS6_6detail15normal_iteratorINS6_10device_ptrIKxEEEESL_NS6_8equal_toIxEEEENSG_9not_fun_tINSD_8identityEEEEENSD_19counting_iterator_tIlEES8_S8_S8_S8_S8_S8_S8_S8_EEEEPS9_S9_NSD_9__find_if7functorIS9_EEEE10hipError_tPvRmT1_T2_T3_mT4_P12ihipStream_tbEUlT_E0_NS1_11comp_targetILNS1_3genE2ELNS1_11target_archE906ELNS1_3gpuE6ELNS1_3repE0EEENS1_30default_config_static_selectorELNS0_4arch9wavefront6targetE1EEEvS14_,"axG",@progbits,_ZN7rocprim17ROCPRIM_400000_NS6detail17trampoline_kernelINS0_14default_configENS1_22reduce_config_selectorIN6thrust23THRUST_200600_302600_NS5tupleIblNS6_9null_typeES8_S8_S8_S8_S8_S8_S8_EEEEZNS1_11reduce_implILb1ES3_NS6_12zip_iteratorINS7_INS6_11hip_rocprim26transform_input_iterator_tIbNSD_35transform_pair_of_input_iterators_tIbNS6_6detail15normal_iteratorINS6_10device_ptrIKxEEEESL_NS6_8equal_toIxEEEENSG_9not_fun_tINSD_8identityEEEEENSD_19counting_iterator_tIlEES8_S8_S8_S8_S8_S8_S8_S8_EEEEPS9_S9_NSD_9__find_if7functorIS9_EEEE10hipError_tPvRmT1_T2_T3_mT4_P12ihipStream_tbEUlT_E0_NS1_11comp_targetILNS1_3genE2ELNS1_11target_archE906ELNS1_3gpuE6ELNS1_3repE0EEENS1_30default_config_static_selectorELNS0_4arch9wavefront6targetE1EEEvS14_,comdat
	.protected	_ZN7rocprim17ROCPRIM_400000_NS6detail17trampoline_kernelINS0_14default_configENS1_22reduce_config_selectorIN6thrust23THRUST_200600_302600_NS5tupleIblNS6_9null_typeES8_S8_S8_S8_S8_S8_S8_EEEEZNS1_11reduce_implILb1ES3_NS6_12zip_iteratorINS7_INS6_11hip_rocprim26transform_input_iterator_tIbNSD_35transform_pair_of_input_iterators_tIbNS6_6detail15normal_iteratorINS6_10device_ptrIKxEEEESL_NS6_8equal_toIxEEEENSG_9not_fun_tINSD_8identityEEEEENSD_19counting_iterator_tIlEES8_S8_S8_S8_S8_S8_S8_S8_EEEEPS9_S9_NSD_9__find_if7functorIS9_EEEE10hipError_tPvRmT1_T2_T3_mT4_P12ihipStream_tbEUlT_E0_NS1_11comp_targetILNS1_3genE2ELNS1_11target_archE906ELNS1_3gpuE6ELNS1_3repE0EEENS1_30default_config_static_selectorELNS0_4arch9wavefront6targetE1EEEvS14_ ; -- Begin function _ZN7rocprim17ROCPRIM_400000_NS6detail17trampoline_kernelINS0_14default_configENS1_22reduce_config_selectorIN6thrust23THRUST_200600_302600_NS5tupleIblNS6_9null_typeES8_S8_S8_S8_S8_S8_S8_EEEEZNS1_11reduce_implILb1ES3_NS6_12zip_iteratorINS7_INS6_11hip_rocprim26transform_input_iterator_tIbNSD_35transform_pair_of_input_iterators_tIbNS6_6detail15normal_iteratorINS6_10device_ptrIKxEEEESL_NS6_8equal_toIxEEEENSG_9not_fun_tINSD_8identityEEEEENSD_19counting_iterator_tIlEES8_S8_S8_S8_S8_S8_S8_S8_EEEEPS9_S9_NSD_9__find_if7functorIS9_EEEE10hipError_tPvRmT1_T2_T3_mT4_P12ihipStream_tbEUlT_E0_NS1_11comp_targetILNS1_3genE2ELNS1_11target_archE906ELNS1_3gpuE6ELNS1_3repE0EEENS1_30default_config_static_selectorELNS0_4arch9wavefront6targetE1EEEvS14_
	.globl	_ZN7rocprim17ROCPRIM_400000_NS6detail17trampoline_kernelINS0_14default_configENS1_22reduce_config_selectorIN6thrust23THRUST_200600_302600_NS5tupleIblNS6_9null_typeES8_S8_S8_S8_S8_S8_S8_EEEEZNS1_11reduce_implILb1ES3_NS6_12zip_iteratorINS7_INS6_11hip_rocprim26transform_input_iterator_tIbNSD_35transform_pair_of_input_iterators_tIbNS6_6detail15normal_iteratorINS6_10device_ptrIKxEEEESL_NS6_8equal_toIxEEEENSG_9not_fun_tINSD_8identityEEEEENSD_19counting_iterator_tIlEES8_S8_S8_S8_S8_S8_S8_S8_EEEEPS9_S9_NSD_9__find_if7functorIS9_EEEE10hipError_tPvRmT1_T2_T3_mT4_P12ihipStream_tbEUlT_E0_NS1_11comp_targetILNS1_3genE2ELNS1_11target_archE906ELNS1_3gpuE6ELNS1_3repE0EEENS1_30default_config_static_selectorELNS0_4arch9wavefront6targetE1EEEvS14_
	.p2align	8
	.type	_ZN7rocprim17ROCPRIM_400000_NS6detail17trampoline_kernelINS0_14default_configENS1_22reduce_config_selectorIN6thrust23THRUST_200600_302600_NS5tupleIblNS6_9null_typeES8_S8_S8_S8_S8_S8_S8_EEEEZNS1_11reduce_implILb1ES3_NS6_12zip_iteratorINS7_INS6_11hip_rocprim26transform_input_iterator_tIbNSD_35transform_pair_of_input_iterators_tIbNS6_6detail15normal_iteratorINS6_10device_ptrIKxEEEESL_NS6_8equal_toIxEEEENSG_9not_fun_tINSD_8identityEEEEENSD_19counting_iterator_tIlEES8_S8_S8_S8_S8_S8_S8_S8_EEEEPS9_S9_NSD_9__find_if7functorIS9_EEEE10hipError_tPvRmT1_T2_T3_mT4_P12ihipStream_tbEUlT_E0_NS1_11comp_targetILNS1_3genE2ELNS1_11target_archE906ELNS1_3gpuE6ELNS1_3repE0EEENS1_30default_config_static_selectorELNS0_4arch9wavefront6targetE1EEEvS14_,@function
_ZN7rocprim17ROCPRIM_400000_NS6detail17trampoline_kernelINS0_14default_configENS1_22reduce_config_selectorIN6thrust23THRUST_200600_302600_NS5tupleIblNS6_9null_typeES8_S8_S8_S8_S8_S8_S8_EEEEZNS1_11reduce_implILb1ES3_NS6_12zip_iteratorINS7_INS6_11hip_rocprim26transform_input_iterator_tIbNSD_35transform_pair_of_input_iterators_tIbNS6_6detail15normal_iteratorINS6_10device_ptrIKxEEEESL_NS6_8equal_toIxEEEENSG_9not_fun_tINSD_8identityEEEEENSD_19counting_iterator_tIlEES8_S8_S8_S8_S8_S8_S8_S8_EEEEPS9_S9_NSD_9__find_if7functorIS9_EEEE10hipError_tPvRmT1_T2_T3_mT4_P12ihipStream_tbEUlT_E0_NS1_11comp_targetILNS1_3genE2ELNS1_11target_archE906ELNS1_3gpuE6ELNS1_3repE0EEENS1_30default_config_static_selectorELNS0_4arch9wavefront6targetE1EEEvS14_: ; @_ZN7rocprim17ROCPRIM_400000_NS6detail17trampoline_kernelINS0_14default_configENS1_22reduce_config_selectorIN6thrust23THRUST_200600_302600_NS5tupleIblNS6_9null_typeES8_S8_S8_S8_S8_S8_S8_EEEEZNS1_11reduce_implILb1ES3_NS6_12zip_iteratorINS7_INS6_11hip_rocprim26transform_input_iterator_tIbNSD_35transform_pair_of_input_iterators_tIbNS6_6detail15normal_iteratorINS6_10device_ptrIKxEEEESL_NS6_8equal_toIxEEEENSG_9not_fun_tINSD_8identityEEEEENSD_19counting_iterator_tIlEES8_S8_S8_S8_S8_S8_S8_S8_EEEEPS9_S9_NSD_9__find_if7functorIS9_EEEE10hipError_tPvRmT1_T2_T3_mT4_P12ihipStream_tbEUlT_E0_NS1_11comp_targetILNS1_3genE2ELNS1_11target_archE906ELNS1_3gpuE6ELNS1_3repE0EEENS1_30default_config_static_selectorELNS0_4arch9wavefront6targetE1EEEvS14_
; %bb.0:
	.section	.rodata,"a",@progbits
	.p2align	6, 0x0
	.amdhsa_kernel _ZN7rocprim17ROCPRIM_400000_NS6detail17trampoline_kernelINS0_14default_configENS1_22reduce_config_selectorIN6thrust23THRUST_200600_302600_NS5tupleIblNS6_9null_typeES8_S8_S8_S8_S8_S8_S8_EEEEZNS1_11reduce_implILb1ES3_NS6_12zip_iteratorINS7_INS6_11hip_rocprim26transform_input_iterator_tIbNSD_35transform_pair_of_input_iterators_tIbNS6_6detail15normal_iteratorINS6_10device_ptrIKxEEEESL_NS6_8equal_toIxEEEENSG_9not_fun_tINSD_8identityEEEEENSD_19counting_iterator_tIlEES8_S8_S8_S8_S8_S8_S8_S8_EEEEPS9_S9_NSD_9__find_if7functorIS9_EEEE10hipError_tPvRmT1_T2_T3_mT4_P12ihipStream_tbEUlT_E0_NS1_11comp_targetILNS1_3genE2ELNS1_11target_archE906ELNS1_3gpuE6ELNS1_3repE0EEENS1_30default_config_static_selectorELNS0_4arch9wavefront6targetE1EEEvS14_
		.amdhsa_group_segment_fixed_size 0
		.amdhsa_private_segment_fixed_size 0
		.amdhsa_kernarg_size 104
		.amdhsa_user_sgpr_count 2
		.amdhsa_user_sgpr_dispatch_ptr 0
		.amdhsa_user_sgpr_queue_ptr 0
		.amdhsa_user_sgpr_kernarg_segment_ptr 1
		.amdhsa_user_sgpr_dispatch_id 0
		.amdhsa_user_sgpr_kernarg_preload_length 0
		.amdhsa_user_sgpr_kernarg_preload_offset 0
		.amdhsa_user_sgpr_private_segment_size 0
		.amdhsa_uses_dynamic_stack 0
		.amdhsa_enable_private_segment 0
		.amdhsa_system_sgpr_workgroup_id_x 1
		.amdhsa_system_sgpr_workgroup_id_y 0
		.amdhsa_system_sgpr_workgroup_id_z 0
		.amdhsa_system_sgpr_workgroup_info 0
		.amdhsa_system_vgpr_workitem_id 0
		.amdhsa_next_free_vgpr 1
		.amdhsa_next_free_sgpr 0
		.amdhsa_accum_offset 4
		.amdhsa_reserve_vcc 0
		.amdhsa_float_round_mode_32 0
		.amdhsa_float_round_mode_16_64 0
		.amdhsa_float_denorm_mode_32 3
		.amdhsa_float_denorm_mode_16_64 3
		.amdhsa_dx10_clamp 1
		.amdhsa_ieee_mode 1
		.amdhsa_fp16_overflow 0
		.amdhsa_tg_split 0
		.amdhsa_exception_fp_ieee_invalid_op 0
		.amdhsa_exception_fp_denorm_src 0
		.amdhsa_exception_fp_ieee_div_zero 0
		.amdhsa_exception_fp_ieee_overflow 0
		.amdhsa_exception_fp_ieee_underflow 0
		.amdhsa_exception_fp_ieee_inexact 0
		.amdhsa_exception_int_div_zero 0
	.end_amdhsa_kernel
	.section	.text._ZN7rocprim17ROCPRIM_400000_NS6detail17trampoline_kernelINS0_14default_configENS1_22reduce_config_selectorIN6thrust23THRUST_200600_302600_NS5tupleIblNS6_9null_typeES8_S8_S8_S8_S8_S8_S8_EEEEZNS1_11reduce_implILb1ES3_NS6_12zip_iteratorINS7_INS6_11hip_rocprim26transform_input_iterator_tIbNSD_35transform_pair_of_input_iterators_tIbNS6_6detail15normal_iteratorINS6_10device_ptrIKxEEEESL_NS6_8equal_toIxEEEENSG_9not_fun_tINSD_8identityEEEEENSD_19counting_iterator_tIlEES8_S8_S8_S8_S8_S8_S8_S8_EEEEPS9_S9_NSD_9__find_if7functorIS9_EEEE10hipError_tPvRmT1_T2_T3_mT4_P12ihipStream_tbEUlT_E0_NS1_11comp_targetILNS1_3genE2ELNS1_11target_archE906ELNS1_3gpuE6ELNS1_3repE0EEENS1_30default_config_static_selectorELNS0_4arch9wavefront6targetE1EEEvS14_,"axG",@progbits,_ZN7rocprim17ROCPRIM_400000_NS6detail17trampoline_kernelINS0_14default_configENS1_22reduce_config_selectorIN6thrust23THRUST_200600_302600_NS5tupleIblNS6_9null_typeES8_S8_S8_S8_S8_S8_S8_EEEEZNS1_11reduce_implILb1ES3_NS6_12zip_iteratorINS7_INS6_11hip_rocprim26transform_input_iterator_tIbNSD_35transform_pair_of_input_iterators_tIbNS6_6detail15normal_iteratorINS6_10device_ptrIKxEEEESL_NS6_8equal_toIxEEEENSG_9not_fun_tINSD_8identityEEEEENSD_19counting_iterator_tIlEES8_S8_S8_S8_S8_S8_S8_S8_EEEEPS9_S9_NSD_9__find_if7functorIS9_EEEE10hipError_tPvRmT1_T2_T3_mT4_P12ihipStream_tbEUlT_E0_NS1_11comp_targetILNS1_3genE2ELNS1_11target_archE906ELNS1_3gpuE6ELNS1_3repE0EEENS1_30default_config_static_selectorELNS0_4arch9wavefront6targetE1EEEvS14_,comdat
.Lfunc_end1255:
	.size	_ZN7rocprim17ROCPRIM_400000_NS6detail17trampoline_kernelINS0_14default_configENS1_22reduce_config_selectorIN6thrust23THRUST_200600_302600_NS5tupleIblNS6_9null_typeES8_S8_S8_S8_S8_S8_S8_EEEEZNS1_11reduce_implILb1ES3_NS6_12zip_iteratorINS7_INS6_11hip_rocprim26transform_input_iterator_tIbNSD_35transform_pair_of_input_iterators_tIbNS6_6detail15normal_iteratorINS6_10device_ptrIKxEEEESL_NS6_8equal_toIxEEEENSG_9not_fun_tINSD_8identityEEEEENSD_19counting_iterator_tIlEES8_S8_S8_S8_S8_S8_S8_S8_EEEEPS9_S9_NSD_9__find_if7functorIS9_EEEE10hipError_tPvRmT1_T2_T3_mT4_P12ihipStream_tbEUlT_E0_NS1_11comp_targetILNS1_3genE2ELNS1_11target_archE906ELNS1_3gpuE6ELNS1_3repE0EEENS1_30default_config_static_selectorELNS0_4arch9wavefront6targetE1EEEvS14_, .Lfunc_end1255-_ZN7rocprim17ROCPRIM_400000_NS6detail17trampoline_kernelINS0_14default_configENS1_22reduce_config_selectorIN6thrust23THRUST_200600_302600_NS5tupleIblNS6_9null_typeES8_S8_S8_S8_S8_S8_S8_EEEEZNS1_11reduce_implILb1ES3_NS6_12zip_iteratorINS7_INS6_11hip_rocprim26transform_input_iterator_tIbNSD_35transform_pair_of_input_iterators_tIbNS6_6detail15normal_iteratorINS6_10device_ptrIKxEEEESL_NS6_8equal_toIxEEEENSG_9not_fun_tINSD_8identityEEEEENSD_19counting_iterator_tIlEES8_S8_S8_S8_S8_S8_S8_S8_EEEEPS9_S9_NSD_9__find_if7functorIS9_EEEE10hipError_tPvRmT1_T2_T3_mT4_P12ihipStream_tbEUlT_E0_NS1_11comp_targetILNS1_3genE2ELNS1_11target_archE906ELNS1_3gpuE6ELNS1_3repE0EEENS1_30default_config_static_selectorELNS0_4arch9wavefront6targetE1EEEvS14_
                                        ; -- End function
	.set _ZN7rocprim17ROCPRIM_400000_NS6detail17trampoline_kernelINS0_14default_configENS1_22reduce_config_selectorIN6thrust23THRUST_200600_302600_NS5tupleIblNS6_9null_typeES8_S8_S8_S8_S8_S8_S8_EEEEZNS1_11reduce_implILb1ES3_NS6_12zip_iteratorINS7_INS6_11hip_rocprim26transform_input_iterator_tIbNSD_35transform_pair_of_input_iterators_tIbNS6_6detail15normal_iteratorINS6_10device_ptrIKxEEEESL_NS6_8equal_toIxEEEENSG_9not_fun_tINSD_8identityEEEEENSD_19counting_iterator_tIlEES8_S8_S8_S8_S8_S8_S8_S8_EEEEPS9_S9_NSD_9__find_if7functorIS9_EEEE10hipError_tPvRmT1_T2_T3_mT4_P12ihipStream_tbEUlT_E0_NS1_11comp_targetILNS1_3genE2ELNS1_11target_archE906ELNS1_3gpuE6ELNS1_3repE0EEENS1_30default_config_static_selectorELNS0_4arch9wavefront6targetE1EEEvS14_.num_vgpr, 0
	.set _ZN7rocprim17ROCPRIM_400000_NS6detail17trampoline_kernelINS0_14default_configENS1_22reduce_config_selectorIN6thrust23THRUST_200600_302600_NS5tupleIblNS6_9null_typeES8_S8_S8_S8_S8_S8_S8_EEEEZNS1_11reduce_implILb1ES3_NS6_12zip_iteratorINS7_INS6_11hip_rocprim26transform_input_iterator_tIbNSD_35transform_pair_of_input_iterators_tIbNS6_6detail15normal_iteratorINS6_10device_ptrIKxEEEESL_NS6_8equal_toIxEEEENSG_9not_fun_tINSD_8identityEEEEENSD_19counting_iterator_tIlEES8_S8_S8_S8_S8_S8_S8_S8_EEEEPS9_S9_NSD_9__find_if7functorIS9_EEEE10hipError_tPvRmT1_T2_T3_mT4_P12ihipStream_tbEUlT_E0_NS1_11comp_targetILNS1_3genE2ELNS1_11target_archE906ELNS1_3gpuE6ELNS1_3repE0EEENS1_30default_config_static_selectorELNS0_4arch9wavefront6targetE1EEEvS14_.num_agpr, 0
	.set _ZN7rocprim17ROCPRIM_400000_NS6detail17trampoline_kernelINS0_14default_configENS1_22reduce_config_selectorIN6thrust23THRUST_200600_302600_NS5tupleIblNS6_9null_typeES8_S8_S8_S8_S8_S8_S8_EEEEZNS1_11reduce_implILb1ES3_NS6_12zip_iteratorINS7_INS6_11hip_rocprim26transform_input_iterator_tIbNSD_35transform_pair_of_input_iterators_tIbNS6_6detail15normal_iteratorINS6_10device_ptrIKxEEEESL_NS6_8equal_toIxEEEENSG_9not_fun_tINSD_8identityEEEEENSD_19counting_iterator_tIlEES8_S8_S8_S8_S8_S8_S8_S8_EEEEPS9_S9_NSD_9__find_if7functorIS9_EEEE10hipError_tPvRmT1_T2_T3_mT4_P12ihipStream_tbEUlT_E0_NS1_11comp_targetILNS1_3genE2ELNS1_11target_archE906ELNS1_3gpuE6ELNS1_3repE0EEENS1_30default_config_static_selectorELNS0_4arch9wavefront6targetE1EEEvS14_.numbered_sgpr, 0
	.set _ZN7rocprim17ROCPRIM_400000_NS6detail17trampoline_kernelINS0_14default_configENS1_22reduce_config_selectorIN6thrust23THRUST_200600_302600_NS5tupleIblNS6_9null_typeES8_S8_S8_S8_S8_S8_S8_EEEEZNS1_11reduce_implILb1ES3_NS6_12zip_iteratorINS7_INS6_11hip_rocprim26transform_input_iterator_tIbNSD_35transform_pair_of_input_iterators_tIbNS6_6detail15normal_iteratorINS6_10device_ptrIKxEEEESL_NS6_8equal_toIxEEEENSG_9not_fun_tINSD_8identityEEEEENSD_19counting_iterator_tIlEES8_S8_S8_S8_S8_S8_S8_S8_EEEEPS9_S9_NSD_9__find_if7functorIS9_EEEE10hipError_tPvRmT1_T2_T3_mT4_P12ihipStream_tbEUlT_E0_NS1_11comp_targetILNS1_3genE2ELNS1_11target_archE906ELNS1_3gpuE6ELNS1_3repE0EEENS1_30default_config_static_selectorELNS0_4arch9wavefront6targetE1EEEvS14_.num_named_barrier, 0
	.set _ZN7rocprim17ROCPRIM_400000_NS6detail17trampoline_kernelINS0_14default_configENS1_22reduce_config_selectorIN6thrust23THRUST_200600_302600_NS5tupleIblNS6_9null_typeES8_S8_S8_S8_S8_S8_S8_EEEEZNS1_11reduce_implILb1ES3_NS6_12zip_iteratorINS7_INS6_11hip_rocprim26transform_input_iterator_tIbNSD_35transform_pair_of_input_iterators_tIbNS6_6detail15normal_iteratorINS6_10device_ptrIKxEEEESL_NS6_8equal_toIxEEEENSG_9not_fun_tINSD_8identityEEEEENSD_19counting_iterator_tIlEES8_S8_S8_S8_S8_S8_S8_S8_EEEEPS9_S9_NSD_9__find_if7functorIS9_EEEE10hipError_tPvRmT1_T2_T3_mT4_P12ihipStream_tbEUlT_E0_NS1_11comp_targetILNS1_3genE2ELNS1_11target_archE906ELNS1_3gpuE6ELNS1_3repE0EEENS1_30default_config_static_selectorELNS0_4arch9wavefront6targetE1EEEvS14_.private_seg_size, 0
	.set _ZN7rocprim17ROCPRIM_400000_NS6detail17trampoline_kernelINS0_14default_configENS1_22reduce_config_selectorIN6thrust23THRUST_200600_302600_NS5tupleIblNS6_9null_typeES8_S8_S8_S8_S8_S8_S8_EEEEZNS1_11reduce_implILb1ES3_NS6_12zip_iteratorINS7_INS6_11hip_rocprim26transform_input_iterator_tIbNSD_35transform_pair_of_input_iterators_tIbNS6_6detail15normal_iteratorINS6_10device_ptrIKxEEEESL_NS6_8equal_toIxEEEENSG_9not_fun_tINSD_8identityEEEEENSD_19counting_iterator_tIlEES8_S8_S8_S8_S8_S8_S8_S8_EEEEPS9_S9_NSD_9__find_if7functorIS9_EEEE10hipError_tPvRmT1_T2_T3_mT4_P12ihipStream_tbEUlT_E0_NS1_11comp_targetILNS1_3genE2ELNS1_11target_archE906ELNS1_3gpuE6ELNS1_3repE0EEENS1_30default_config_static_selectorELNS0_4arch9wavefront6targetE1EEEvS14_.uses_vcc, 0
	.set _ZN7rocprim17ROCPRIM_400000_NS6detail17trampoline_kernelINS0_14default_configENS1_22reduce_config_selectorIN6thrust23THRUST_200600_302600_NS5tupleIblNS6_9null_typeES8_S8_S8_S8_S8_S8_S8_EEEEZNS1_11reduce_implILb1ES3_NS6_12zip_iteratorINS7_INS6_11hip_rocprim26transform_input_iterator_tIbNSD_35transform_pair_of_input_iterators_tIbNS6_6detail15normal_iteratorINS6_10device_ptrIKxEEEESL_NS6_8equal_toIxEEEENSG_9not_fun_tINSD_8identityEEEEENSD_19counting_iterator_tIlEES8_S8_S8_S8_S8_S8_S8_S8_EEEEPS9_S9_NSD_9__find_if7functorIS9_EEEE10hipError_tPvRmT1_T2_T3_mT4_P12ihipStream_tbEUlT_E0_NS1_11comp_targetILNS1_3genE2ELNS1_11target_archE906ELNS1_3gpuE6ELNS1_3repE0EEENS1_30default_config_static_selectorELNS0_4arch9wavefront6targetE1EEEvS14_.uses_flat_scratch, 0
	.set _ZN7rocprim17ROCPRIM_400000_NS6detail17trampoline_kernelINS0_14default_configENS1_22reduce_config_selectorIN6thrust23THRUST_200600_302600_NS5tupleIblNS6_9null_typeES8_S8_S8_S8_S8_S8_S8_EEEEZNS1_11reduce_implILb1ES3_NS6_12zip_iteratorINS7_INS6_11hip_rocprim26transform_input_iterator_tIbNSD_35transform_pair_of_input_iterators_tIbNS6_6detail15normal_iteratorINS6_10device_ptrIKxEEEESL_NS6_8equal_toIxEEEENSG_9not_fun_tINSD_8identityEEEEENSD_19counting_iterator_tIlEES8_S8_S8_S8_S8_S8_S8_S8_EEEEPS9_S9_NSD_9__find_if7functorIS9_EEEE10hipError_tPvRmT1_T2_T3_mT4_P12ihipStream_tbEUlT_E0_NS1_11comp_targetILNS1_3genE2ELNS1_11target_archE906ELNS1_3gpuE6ELNS1_3repE0EEENS1_30default_config_static_selectorELNS0_4arch9wavefront6targetE1EEEvS14_.has_dyn_sized_stack, 0
	.set _ZN7rocprim17ROCPRIM_400000_NS6detail17trampoline_kernelINS0_14default_configENS1_22reduce_config_selectorIN6thrust23THRUST_200600_302600_NS5tupleIblNS6_9null_typeES8_S8_S8_S8_S8_S8_S8_EEEEZNS1_11reduce_implILb1ES3_NS6_12zip_iteratorINS7_INS6_11hip_rocprim26transform_input_iterator_tIbNSD_35transform_pair_of_input_iterators_tIbNS6_6detail15normal_iteratorINS6_10device_ptrIKxEEEESL_NS6_8equal_toIxEEEENSG_9not_fun_tINSD_8identityEEEEENSD_19counting_iterator_tIlEES8_S8_S8_S8_S8_S8_S8_S8_EEEEPS9_S9_NSD_9__find_if7functorIS9_EEEE10hipError_tPvRmT1_T2_T3_mT4_P12ihipStream_tbEUlT_E0_NS1_11comp_targetILNS1_3genE2ELNS1_11target_archE906ELNS1_3gpuE6ELNS1_3repE0EEENS1_30default_config_static_selectorELNS0_4arch9wavefront6targetE1EEEvS14_.has_recursion, 0
	.set _ZN7rocprim17ROCPRIM_400000_NS6detail17trampoline_kernelINS0_14default_configENS1_22reduce_config_selectorIN6thrust23THRUST_200600_302600_NS5tupleIblNS6_9null_typeES8_S8_S8_S8_S8_S8_S8_EEEEZNS1_11reduce_implILb1ES3_NS6_12zip_iteratorINS7_INS6_11hip_rocprim26transform_input_iterator_tIbNSD_35transform_pair_of_input_iterators_tIbNS6_6detail15normal_iteratorINS6_10device_ptrIKxEEEESL_NS6_8equal_toIxEEEENSG_9not_fun_tINSD_8identityEEEEENSD_19counting_iterator_tIlEES8_S8_S8_S8_S8_S8_S8_S8_EEEEPS9_S9_NSD_9__find_if7functorIS9_EEEE10hipError_tPvRmT1_T2_T3_mT4_P12ihipStream_tbEUlT_E0_NS1_11comp_targetILNS1_3genE2ELNS1_11target_archE906ELNS1_3gpuE6ELNS1_3repE0EEENS1_30default_config_static_selectorELNS0_4arch9wavefront6targetE1EEEvS14_.has_indirect_call, 0
	.section	.AMDGPU.csdata,"",@progbits
; Kernel info:
; codeLenInByte = 0
; TotalNumSgprs: 6
; NumVgprs: 0
; NumAgprs: 0
; TotalNumVgprs: 0
; ScratchSize: 0
; MemoryBound: 0
; FloatMode: 240
; IeeeMode: 1
; LDSByteSize: 0 bytes/workgroup (compile time only)
; SGPRBlocks: 0
; VGPRBlocks: 0
; NumSGPRsForWavesPerEU: 6
; NumVGPRsForWavesPerEU: 1
; AccumOffset: 4
; Occupancy: 8
; WaveLimiterHint : 0
; COMPUTE_PGM_RSRC2:SCRATCH_EN: 0
; COMPUTE_PGM_RSRC2:USER_SGPR: 2
; COMPUTE_PGM_RSRC2:TRAP_HANDLER: 0
; COMPUTE_PGM_RSRC2:TGID_X_EN: 1
; COMPUTE_PGM_RSRC2:TGID_Y_EN: 0
; COMPUTE_PGM_RSRC2:TGID_Z_EN: 0
; COMPUTE_PGM_RSRC2:TIDIG_COMP_CNT: 0
; COMPUTE_PGM_RSRC3_GFX90A:ACCUM_OFFSET: 0
; COMPUTE_PGM_RSRC3_GFX90A:TG_SPLIT: 0
	.section	.text._ZN7rocprim17ROCPRIM_400000_NS6detail17trampoline_kernelINS0_14default_configENS1_22reduce_config_selectorIN6thrust23THRUST_200600_302600_NS5tupleIblNS6_9null_typeES8_S8_S8_S8_S8_S8_S8_EEEEZNS1_11reduce_implILb1ES3_NS6_12zip_iteratorINS7_INS6_11hip_rocprim26transform_input_iterator_tIbNSD_35transform_pair_of_input_iterators_tIbNS6_6detail15normal_iteratorINS6_10device_ptrIKxEEEESL_NS6_8equal_toIxEEEENSG_9not_fun_tINSD_8identityEEEEENSD_19counting_iterator_tIlEES8_S8_S8_S8_S8_S8_S8_S8_EEEEPS9_S9_NSD_9__find_if7functorIS9_EEEE10hipError_tPvRmT1_T2_T3_mT4_P12ihipStream_tbEUlT_E0_NS1_11comp_targetILNS1_3genE10ELNS1_11target_archE1201ELNS1_3gpuE5ELNS1_3repE0EEENS1_30default_config_static_selectorELNS0_4arch9wavefront6targetE1EEEvS14_,"axG",@progbits,_ZN7rocprim17ROCPRIM_400000_NS6detail17trampoline_kernelINS0_14default_configENS1_22reduce_config_selectorIN6thrust23THRUST_200600_302600_NS5tupleIblNS6_9null_typeES8_S8_S8_S8_S8_S8_S8_EEEEZNS1_11reduce_implILb1ES3_NS6_12zip_iteratorINS7_INS6_11hip_rocprim26transform_input_iterator_tIbNSD_35transform_pair_of_input_iterators_tIbNS6_6detail15normal_iteratorINS6_10device_ptrIKxEEEESL_NS6_8equal_toIxEEEENSG_9not_fun_tINSD_8identityEEEEENSD_19counting_iterator_tIlEES8_S8_S8_S8_S8_S8_S8_S8_EEEEPS9_S9_NSD_9__find_if7functorIS9_EEEE10hipError_tPvRmT1_T2_T3_mT4_P12ihipStream_tbEUlT_E0_NS1_11comp_targetILNS1_3genE10ELNS1_11target_archE1201ELNS1_3gpuE5ELNS1_3repE0EEENS1_30default_config_static_selectorELNS0_4arch9wavefront6targetE1EEEvS14_,comdat
	.protected	_ZN7rocprim17ROCPRIM_400000_NS6detail17trampoline_kernelINS0_14default_configENS1_22reduce_config_selectorIN6thrust23THRUST_200600_302600_NS5tupleIblNS6_9null_typeES8_S8_S8_S8_S8_S8_S8_EEEEZNS1_11reduce_implILb1ES3_NS6_12zip_iteratorINS7_INS6_11hip_rocprim26transform_input_iterator_tIbNSD_35transform_pair_of_input_iterators_tIbNS6_6detail15normal_iteratorINS6_10device_ptrIKxEEEESL_NS6_8equal_toIxEEEENSG_9not_fun_tINSD_8identityEEEEENSD_19counting_iterator_tIlEES8_S8_S8_S8_S8_S8_S8_S8_EEEEPS9_S9_NSD_9__find_if7functorIS9_EEEE10hipError_tPvRmT1_T2_T3_mT4_P12ihipStream_tbEUlT_E0_NS1_11comp_targetILNS1_3genE10ELNS1_11target_archE1201ELNS1_3gpuE5ELNS1_3repE0EEENS1_30default_config_static_selectorELNS0_4arch9wavefront6targetE1EEEvS14_ ; -- Begin function _ZN7rocprim17ROCPRIM_400000_NS6detail17trampoline_kernelINS0_14default_configENS1_22reduce_config_selectorIN6thrust23THRUST_200600_302600_NS5tupleIblNS6_9null_typeES8_S8_S8_S8_S8_S8_S8_EEEEZNS1_11reduce_implILb1ES3_NS6_12zip_iteratorINS7_INS6_11hip_rocprim26transform_input_iterator_tIbNSD_35transform_pair_of_input_iterators_tIbNS6_6detail15normal_iteratorINS6_10device_ptrIKxEEEESL_NS6_8equal_toIxEEEENSG_9not_fun_tINSD_8identityEEEEENSD_19counting_iterator_tIlEES8_S8_S8_S8_S8_S8_S8_S8_EEEEPS9_S9_NSD_9__find_if7functorIS9_EEEE10hipError_tPvRmT1_T2_T3_mT4_P12ihipStream_tbEUlT_E0_NS1_11comp_targetILNS1_3genE10ELNS1_11target_archE1201ELNS1_3gpuE5ELNS1_3repE0EEENS1_30default_config_static_selectorELNS0_4arch9wavefront6targetE1EEEvS14_
	.globl	_ZN7rocprim17ROCPRIM_400000_NS6detail17trampoline_kernelINS0_14default_configENS1_22reduce_config_selectorIN6thrust23THRUST_200600_302600_NS5tupleIblNS6_9null_typeES8_S8_S8_S8_S8_S8_S8_EEEEZNS1_11reduce_implILb1ES3_NS6_12zip_iteratorINS7_INS6_11hip_rocprim26transform_input_iterator_tIbNSD_35transform_pair_of_input_iterators_tIbNS6_6detail15normal_iteratorINS6_10device_ptrIKxEEEESL_NS6_8equal_toIxEEEENSG_9not_fun_tINSD_8identityEEEEENSD_19counting_iterator_tIlEES8_S8_S8_S8_S8_S8_S8_S8_EEEEPS9_S9_NSD_9__find_if7functorIS9_EEEE10hipError_tPvRmT1_T2_T3_mT4_P12ihipStream_tbEUlT_E0_NS1_11comp_targetILNS1_3genE10ELNS1_11target_archE1201ELNS1_3gpuE5ELNS1_3repE0EEENS1_30default_config_static_selectorELNS0_4arch9wavefront6targetE1EEEvS14_
	.p2align	8
	.type	_ZN7rocprim17ROCPRIM_400000_NS6detail17trampoline_kernelINS0_14default_configENS1_22reduce_config_selectorIN6thrust23THRUST_200600_302600_NS5tupleIblNS6_9null_typeES8_S8_S8_S8_S8_S8_S8_EEEEZNS1_11reduce_implILb1ES3_NS6_12zip_iteratorINS7_INS6_11hip_rocprim26transform_input_iterator_tIbNSD_35transform_pair_of_input_iterators_tIbNS6_6detail15normal_iteratorINS6_10device_ptrIKxEEEESL_NS6_8equal_toIxEEEENSG_9not_fun_tINSD_8identityEEEEENSD_19counting_iterator_tIlEES8_S8_S8_S8_S8_S8_S8_S8_EEEEPS9_S9_NSD_9__find_if7functorIS9_EEEE10hipError_tPvRmT1_T2_T3_mT4_P12ihipStream_tbEUlT_E0_NS1_11comp_targetILNS1_3genE10ELNS1_11target_archE1201ELNS1_3gpuE5ELNS1_3repE0EEENS1_30default_config_static_selectorELNS0_4arch9wavefront6targetE1EEEvS14_,@function
_ZN7rocprim17ROCPRIM_400000_NS6detail17trampoline_kernelINS0_14default_configENS1_22reduce_config_selectorIN6thrust23THRUST_200600_302600_NS5tupleIblNS6_9null_typeES8_S8_S8_S8_S8_S8_S8_EEEEZNS1_11reduce_implILb1ES3_NS6_12zip_iteratorINS7_INS6_11hip_rocprim26transform_input_iterator_tIbNSD_35transform_pair_of_input_iterators_tIbNS6_6detail15normal_iteratorINS6_10device_ptrIKxEEEESL_NS6_8equal_toIxEEEENSG_9not_fun_tINSD_8identityEEEEENSD_19counting_iterator_tIlEES8_S8_S8_S8_S8_S8_S8_S8_EEEEPS9_S9_NSD_9__find_if7functorIS9_EEEE10hipError_tPvRmT1_T2_T3_mT4_P12ihipStream_tbEUlT_E0_NS1_11comp_targetILNS1_3genE10ELNS1_11target_archE1201ELNS1_3gpuE5ELNS1_3repE0EEENS1_30default_config_static_selectorELNS0_4arch9wavefront6targetE1EEEvS14_: ; @_ZN7rocprim17ROCPRIM_400000_NS6detail17trampoline_kernelINS0_14default_configENS1_22reduce_config_selectorIN6thrust23THRUST_200600_302600_NS5tupleIblNS6_9null_typeES8_S8_S8_S8_S8_S8_S8_EEEEZNS1_11reduce_implILb1ES3_NS6_12zip_iteratorINS7_INS6_11hip_rocprim26transform_input_iterator_tIbNSD_35transform_pair_of_input_iterators_tIbNS6_6detail15normal_iteratorINS6_10device_ptrIKxEEEESL_NS6_8equal_toIxEEEENSG_9not_fun_tINSD_8identityEEEEENSD_19counting_iterator_tIlEES8_S8_S8_S8_S8_S8_S8_S8_EEEEPS9_S9_NSD_9__find_if7functorIS9_EEEE10hipError_tPvRmT1_T2_T3_mT4_P12ihipStream_tbEUlT_E0_NS1_11comp_targetILNS1_3genE10ELNS1_11target_archE1201ELNS1_3gpuE5ELNS1_3repE0EEENS1_30default_config_static_selectorELNS0_4arch9wavefront6targetE1EEEvS14_
; %bb.0:
	.section	.rodata,"a",@progbits
	.p2align	6, 0x0
	.amdhsa_kernel _ZN7rocprim17ROCPRIM_400000_NS6detail17trampoline_kernelINS0_14default_configENS1_22reduce_config_selectorIN6thrust23THRUST_200600_302600_NS5tupleIblNS6_9null_typeES8_S8_S8_S8_S8_S8_S8_EEEEZNS1_11reduce_implILb1ES3_NS6_12zip_iteratorINS7_INS6_11hip_rocprim26transform_input_iterator_tIbNSD_35transform_pair_of_input_iterators_tIbNS6_6detail15normal_iteratorINS6_10device_ptrIKxEEEESL_NS6_8equal_toIxEEEENSG_9not_fun_tINSD_8identityEEEEENSD_19counting_iterator_tIlEES8_S8_S8_S8_S8_S8_S8_S8_EEEEPS9_S9_NSD_9__find_if7functorIS9_EEEE10hipError_tPvRmT1_T2_T3_mT4_P12ihipStream_tbEUlT_E0_NS1_11comp_targetILNS1_3genE10ELNS1_11target_archE1201ELNS1_3gpuE5ELNS1_3repE0EEENS1_30default_config_static_selectorELNS0_4arch9wavefront6targetE1EEEvS14_
		.amdhsa_group_segment_fixed_size 0
		.amdhsa_private_segment_fixed_size 0
		.amdhsa_kernarg_size 104
		.amdhsa_user_sgpr_count 2
		.amdhsa_user_sgpr_dispatch_ptr 0
		.amdhsa_user_sgpr_queue_ptr 0
		.amdhsa_user_sgpr_kernarg_segment_ptr 1
		.amdhsa_user_sgpr_dispatch_id 0
		.amdhsa_user_sgpr_kernarg_preload_length 0
		.amdhsa_user_sgpr_kernarg_preload_offset 0
		.amdhsa_user_sgpr_private_segment_size 0
		.amdhsa_uses_dynamic_stack 0
		.amdhsa_enable_private_segment 0
		.amdhsa_system_sgpr_workgroup_id_x 1
		.amdhsa_system_sgpr_workgroup_id_y 0
		.amdhsa_system_sgpr_workgroup_id_z 0
		.amdhsa_system_sgpr_workgroup_info 0
		.amdhsa_system_vgpr_workitem_id 0
		.amdhsa_next_free_vgpr 1
		.amdhsa_next_free_sgpr 0
		.amdhsa_accum_offset 4
		.amdhsa_reserve_vcc 0
		.amdhsa_float_round_mode_32 0
		.amdhsa_float_round_mode_16_64 0
		.amdhsa_float_denorm_mode_32 3
		.amdhsa_float_denorm_mode_16_64 3
		.amdhsa_dx10_clamp 1
		.amdhsa_ieee_mode 1
		.amdhsa_fp16_overflow 0
		.amdhsa_tg_split 0
		.amdhsa_exception_fp_ieee_invalid_op 0
		.amdhsa_exception_fp_denorm_src 0
		.amdhsa_exception_fp_ieee_div_zero 0
		.amdhsa_exception_fp_ieee_overflow 0
		.amdhsa_exception_fp_ieee_underflow 0
		.amdhsa_exception_fp_ieee_inexact 0
		.amdhsa_exception_int_div_zero 0
	.end_amdhsa_kernel
	.section	.text._ZN7rocprim17ROCPRIM_400000_NS6detail17trampoline_kernelINS0_14default_configENS1_22reduce_config_selectorIN6thrust23THRUST_200600_302600_NS5tupleIblNS6_9null_typeES8_S8_S8_S8_S8_S8_S8_EEEEZNS1_11reduce_implILb1ES3_NS6_12zip_iteratorINS7_INS6_11hip_rocprim26transform_input_iterator_tIbNSD_35transform_pair_of_input_iterators_tIbNS6_6detail15normal_iteratorINS6_10device_ptrIKxEEEESL_NS6_8equal_toIxEEEENSG_9not_fun_tINSD_8identityEEEEENSD_19counting_iterator_tIlEES8_S8_S8_S8_S8_S8_S8_S8_EEEEPS9_S9_NSD_9__find_if7functorIS9_EEEE10hipError_tPvRmT1_T2_T3_mT4_P12ihipStream_tbEUlT_E0_NS1_11comp_targetILNS1_3genE10ELNS1_11target_archE1201ELNS1_3gpuE5ELNS1_3repE0EEENS1_30default_config_static_selectorELNS0_4arch9wavefront6targetE1EEEvS14_,"axG",@progbits,_ZN7rocprim17ROCPRIM_400000_NS6detail17trampoline_kernelINS0_14default_configENS1_22reduce_config_selectorIN6thrust23THRUST_200600_302600_NS5tupleIblNS6_9null_typeES8_S8_S8_S8_S8_S8_S8_EEEEZNS1_11reduce_implILb1ES3_NS6_12zip_iteratorINS7_INS6_11hip_rocprim26transform_input_iterator_tIbNSD_35transform_pair_of_input_iterators_tIbNS6_6detail15normal_iteratorINS6_10device_ptrIKxEEEESL_NS6_8equal_toIxEEEENSG_9not_fun_tINSD_8identityEEEEENSD_19counting_iterator_tIlEES8_S8_S8_S8_S8_S8_S8_S8_EEEEPS9_S9_NSD_9__find_if7functorIS9_EEEE10hipError_tPvRmT1_T2_T3_mT4_P12ihipStream_tbEUlT_E0_NS1_11comp_targetILNS1_3genE10ELNS1_11target_archE1201ELNS1_3gpuE5ELNS1_3repE0EEENS1_30default_config_static_selectorELNS0_4arch9wavefront6targetE1EEEvS14_,comdat
.Lfunc_end1256:
	.size	_ZN7rocprim17ROCPRIM_400000_NS6detail17trampoline_kernelINS0_14default_configENS1_22reduce_config_selectorIN6thrust23THRUST_200600_302600_NS5tupleIblNS6_9null_typeES8_S8_S8_S8_S8_S8_S8_EEEEZNS1_11reduce_implILb1ES3_NS6_12zip_iteratorINS7_INS6_11hip_rocprim26transform_input_iterator_tIbNSD_35transform_pair_of_input_iterators_tIbNS6_6detail15normal_iteratorINS6_10device_ptrIKxEEEESL_NS6_8equal_toIxEEEENSG_9not_fun_tINSD_8identityEEEEENSD_19counting_iterator_tIlEES8_S8_S8_S8_S8_S8_S8_S8_EEEEPS9_S9_NSD_9__find_if7functorIS9_EEEE10hipError_tPvRmT1_T2_T3_mT4_P12ihipStream_tbEUlT_E0_NS1_11comp_targetILNS1_3genE10ELNS1_11target_archE1201ELNS1_3gpuE5ELNS1_3repE0EEENS1_30default_config_static_selectorELNS0_4arch9wavefront6targetE1EEEvS14_, .Lfunc_end1256-_ZN7rocprim17ROCPRIM_400000_NS6detail17trampoline_kernelINS0_14default_configENS1_22reduce_config_selectorIN6thrust23THRUST_200600_302600_NS5tupleIblNS6_9null_typeES8_S8_S8_S8_S8_S8_S8_EEEEZNS1_11reduce_implILb1ES3_NS6_12zip_iteratorINS7_INS6_11hip_rocprim26transform_input_iterator_tIbNSD_35transform_pair_of_input_iterators_tIbNS6_6detail15normal_iteratorINS6_10device_ptrIKxEEEESL_NS6_8equal_toIxEEEENSG_9not_fun_tINSD_8identityEEEEENSD_19counting_iterator_tIlEES8_S8_S8_S8_S8_S8_S8_S8_EEEEPS9_S9_NSD_9__find_if7functorIS9_EEEE10hipError_tPvRmT1_T2_T3_mT4_P12ihipStream_tbEUlT_E0_NS1_11comp_targetILNS1_3genE10ELNS1_11target_archE1201ELNS1_3gpuE5ELNS1_3repE0EEENS1_30default_config_static_selectorELNS0_4arch9wavefront6targetE1EEEvS14_
                                        ; -- End function
	.set _ZN7rocprim17ROCPRIM_400000_NS6detail17trampoline_kernelINS0_14default_configENS1_22reduce_config_selectorIN6thrust23THRUST_200600_302600_NS5tupleIblNS6_9null_typeES8_S8_S8_S8_S8_S8_S8_EEEEZNS1_11reduce_implILb1ES3_NS6_12zip_iteratorINS7_INS6_11hip_rocprim26transform_input_iterator_tIbNSD_35transform_pair_of_input_iterators_tIbNS6_6detail15normal_iteratorINS6_10device_ptrIKxEEEESL_NS6_8equal_toIxEEEENSG_9not_fun_tINSD_8identityEEEEENSD_19counting_iterator_tIlEES8_S8_S8_S8_S8_S8_S8_S8_EEEEPS9_S9_NSD_9__find_if7functorIS9_EEEE10hipError_tPvRmT1_T2_T3_mT4_P12ihipStream_tbEUlT_E0_NS1_11comp_targetILNS1_3genE10ELNS1_11target_archE1201ELNS1_3gpuE5ELNS1_3repE0EEENS1_30default_config_static_selectorELNS0_4arch9wavefront6targetE1EEEvS14_.num_vgpr, 0
	.set _ZN7rocprim17ROCPRIM_400000_NS6detail17trampoline_kernelINS0_14default_configENS1_22reduce_config_selectorIN6thrust23THRUST_200600_302600_NS5tupleIblNS6_9null_typeES8_S8_S8_S8_S8_S8_S8_EEEEZNS1_11reduce_implILb1ES3_NS6_12zip_iteratorINS7_INS6_11hip_rocprim26transform_input_iterator_tIbNSD_35transform_pair_of_input_iterators_tIbNS6_6detail15normal_iteratorINS6_10device_ptrIKxEEEESL_NS6_8equal_toIxEEEENSG_9not_fun_tINSD_8identityEEEEENSD_19counting_iterator_tIlEES8_S8_S8_S8_S8_S8_S8_S8_EEEEPS9_S9_NSD_9__find_if7functorIS9_EEEE10hipError_tPvRmT1_T2_T3_mT4_P12ihipStream_tbEUlT_E0_NS1_11comp_targetILNS1_3genE10ELNS1_11target_archE1201ELNS1_3gpuE5ELNS1_3repE0EEENS1_30default_config_static_selectorELNS0_4arch9wavefront6targetE1EEEvS14_.num_agpr, 0
	.set _ZN7rocprim17ROCPRIM_400000_NS6detail17trampoline_kernelINS0_14default_configENS1_22reduce_config_selectorIN6thrust23THRUST_200600_302600_NS5tupleIblNS6_9null_typeES8_S8_S8_S8_S8_S8_S8_EEEEZNS1_11reduce_implILb1ES3_NS6_12zip_iteratorINS7_INS6_11hip_rocprim26transform_input_iterator_tIbNSD_35transform_pair_of_input_iterators_tIbNS6_6detail15normal_iteratorINS6_10device_ptrIKxEEEESL_NS6_8equal_toIxEEEENSG_9not_fun_tINSD_8identityEEEEENSD_19counting_iterator_tIlEES8_S8_S8_S8_S8_S8_S8_S8_EEEEPS9_S9_NSD_9__find_if7functorIS9_EEEE10hipError_tPvRmT1_T2_T3_mT4_P12ihipStream_tbEUlT_E0_NS1_11comp_targetILNS1_3genE10ELNS1_11target_archE1201ELNS1_3gpuE5ELNS1_3repE0EEENS1_30default_config_static_selectorELNS0_4arch9wavefront6targetE1EEEvS14_.numbered_sgpr, 0
	.set _ZN7rocprim17ROCPRIM_400000_NS6detail17trampoline_kernelINS0_14default_configENS1_22reduce_config_selectorIN6thrust23THRUST_200600_302600_NS5tupleIblNS6_9null_typeES8_S8_S8_S8_S8_S8_S8_EEEEZNS1_11reduce_implILb1ES3_NS6_12zip_iteratorINS7_INS6_11hip_rocprim26transform_input_iterator_tIbNSD_35transform_pair_of_input_iterators_tIbNS6_6detail15normal_iteratorINS6_10device_ptrIKxEEEESL_NS6_8equal_toIxEEEENSG_9not_fun_tINSD_8identityEEEEENSD_19counting_iterator_tIlEES8_S8_S8_S8_S8_S8_S8_S8_EEEEPS9_S9_NSD_9__find_if7functorIS9_EEEE10hipError_tPvRmT1_T2_T3_mT4_P12ihipStream_tbEUlT_E0_NS1_11comp_targetILNS1_3genE10ELNS1_11target_archE1201ELNS1_3gpuE5ELNS1_3repE0EEENS1_30default_config_static_selectorELNS0_4arch9wavefront6targetE1EEEvS14_.num_named_barrier, 0
	.set _ZN7rocprim17ROCPRIM_400000_NS6detail17trampoline_kernelINS0_14default_configENS1_22reduce_config_selectorIN6thrust23THRUST_200600_302600_NS5tupleIblNS6_9null_typeES8_S8_S8_S8_S8_S8_S8_EEEEZNS1_11reduce_implILb1ES3_NS6_12zip_iteratorINS7_INS6_11hip_rocprim26transform_input_iterator_tIbNSD_35transform_pair_of_input_iterators_tIbNS6_6detail15normal_iteratorINS6_10device_ptrIKxEEEESL_NS6_8equal_toIxEEEENSG_9not_fun_tINSD_8identityEEEEENSD_19counting_iterator_tIlEES8_S8_S8_S8_S8_S8_S8_S8_EEEEPS9_S9_NSD_9__find_if7functorIS9_EEEE10hipError_tPvRmT1_T2_T3_mT4_P12ihipStream_tbEUlT_E0_NS1_11comp_targetILNS1_3genE10ELNS1_11target_archE1201ELNS1_3gpuE5ELNS1_3repE0EEENS1_30default_config_static_selectorELNS0_4arch9wavefront6targetE1EEEvS14_.private_seg_size, 0
	.set _ZN7rocprim17ROCPRIM_400000_NS6detail17trampoline_kernelINS0_14default_configENS1_22reduce_config_selectorIN6thrust23THRUST_200600_302600_NS5tupleIblNS6_9null_typeES8_S8_S8_S8_S8_S8_S8_EEEEZNS1_11reduce_implILb1ES3_NS6_12zip_iteratorINS7_INS6_11hip_rocprim26transform_input_iterator_tIbNSD_35transform_pair_of_input_iterators_tIbNS6_6detail15normal_iteratorINS6_10device_ptrIKxEEEESL_NS6_8equal_toIxEEEENSG_9not_fun_tINSD_8identityEEEEENSD_19counting_iterator_tIlEES8_S8_S8_S8_S8_S8_S8_S8_EEEEPS9_S9_NSD_9__find_if7functorIS9_EEEE10hipError_tPvRmT1_T2_T3_mT4_P12ihipStream_tbEUlT_E0_NS1_11comp_targetILNS1_3genE10ELNS1_11target_archE1201ELNS1_3gpuE5ELNS1_3repE0EEENS1_30default_config_static_selectorELNS0_4arch9wavefront6targetE1EEEvS14_.uses_vcc, 0
	.set _ZN7rocprim17ROCPRIM_400000_NS6detail17trampoline_kernelINS0_14default_configENS1_22reduce_config_selectorIN6thrust23THRUST_200600_302600_NS5tupleIblNS6_9null_typeES8_S8_S8_S8_S8_S8_S8_EEEEZNS1_11reduce_implILb1ES3_NS6_12zip_iteratorINS7_INS6_11hip_rocprim26transform_input_iterator_tIbNSD_35transform_pair_of_input_iterators_tIbNS6_6detail15normal_iteratorINS6_10device_ptrIKxEEEESL_NS6_8equal_toIxEEEENSG_9not_fun_tINSD_8identityEEEEENSD_19counting_iterator_tIlEES8_S8_S8_S8_S8_S8_S8_S8_EEEEPS9_S9_NSD_9__find_if7functorIS9_EEEE10hipError_tPvRmT1_T2_T3_mT4_P12ihipStream_tbEUlT_E0_NS1_11comp_targetILNS1_3genE10ELNS1_11target_archE1201ELNS1_3gpuE5ELNS1_3repE0EEENS1_30default_config_static_selectorELNS0_4arch9wavefront6targetE1EEEvS14_.uses_flat_scratch, 0
	.set _ZN7rocprim17ROCPRIM_400000_NS6detail17trampoline_kernelINS0_14default_configENS1_22reduce_config_selectorIN6thrust23THRUST_200600_302600_NS5tupleIblNS6_9null_typeES8_S8_S8_S8_S8_S8_S8_EEEEZNS1_11reduce_implILb1ES3_NS6_12zip_iteratorINS7_INS6_11hip_rocprim26transform_input_iterator_tIbNSD_35transform_pair_of_input_iterators_tIbNS6_6detail15normal_iteratorINS6_10device_ptrIKxEEEESL_NS6_8equal_toIxEEEENSG_9not_fun_tINSD_8identityEEEEENSD_19counting_iterator_tIlEES8_S8_S8_S8_S8_S8_S8_S8_EEEEPS9_S9_NSD_9__find_if7functorIS9_EEEE10hipError_tPvRmT1_T2_T3_mT4_P12ihipStream_tbEUlT_E0_NS1_11comp_targetILNS1_3genE10ELNS1_11target_archE1201ELNS1_3gpuE5ELNS1_3repE0EEENS1_30default_config_static_selectorELNS0_4arch9wavefront6targetE1EEEvS14_.has_dyn_sized_stack, 0
	.set _ZN7rocprim17ROCPRIM_400000_NS6detail17trampoline_kernelINS0_14default_configENS1_22reduce_config_selectorIN6thrust23THRUST_200600_302600_NS5tupleIblNS6_9null_typeES8_S8_S8_S8_S8_S8_S8_EEEEZNS1_11reduce_implILb1ES3_NS6_12zip_iteratorINS7_INS6_11hip_rocprim26transform_input_iterator_tIbNSD_35transform_pair_of_input_iterators_tIbNS6_6detail15normal_iteratorINS6_10device_ptrIKxEEEESL_NS6_8equal_toIxEEEENSG_9not_fun_tINSD_8identityEEEEENSD_19counting_iterator_tIlEES8_S8_S8_S8_S8_S8_S8_S8_EEEEPS9_S9_NSD_9__find_if7functorIS9_EEEE10hipError_tPvRmT1_T2_T3_mT4_P12ihipStream_tbEUlT_E0_NS1_11comp_targetILNS1_3genE10ELNS1_11target_archE1201ELNS1_3gpuE5ELNS1_3repE0EEENS1_30default_config_static_selectorELNS0_4arch9wavefront6targetE1EEEvS14_.has_recursion, 0
	.set _ZN7rocprim17ROCPRIM_400000_NS6detail17trampoline_kernelINS0_14default_configENS1_22reduce_config_selectorIN6thrust23THRUST_200600_302600_NS5tupleIblNS6_9null_typeES8_S8_S8_S8_S8_S8_S8_EEEEZNS1_11reduce_implILb1ES3_NS6_12zip_iteratorINS7_INS6_11hip_rocprim26transform_input_iterator_tIbNSD_35transform_pair_of_input_iterators_tIbNS6_6detail15normal_iteratorINS6_10device_ptrIKxEEEESL_NS6_8equal_toIxEEEENSG_9not_fun_tINSD_8identityEEEEENSD_19counting_iterator_tIlEES8_S8_S8_S8_S8_S8_S8_S8_EEEEPS9_S9_NSD_9__find_if7functorIS9_EEEE10hipError_tPvRmT1_T2_T3_mT4_P12ihipStream_tbEUlT_E0_NS1_11comp_targetILNS1_3genE10ELNS1_11target_archE1201ELNS1_3gpuE5ELNS1_3repE0EEENS1_30default_config_static_selectorELNS0_4arch9wavefront6targetE1EEEvS14_.has_indirect_call, 0
	.section	.AMDGPU.csdata,"",@progbits
; Kernel info:
; codeLenInByte = 0
; TotalNumSgprs: 6
; NumVgprs: 0
; NumAgprs: 0
; TotalNumVgprs: 0
; ScratchSize: 0
; MemoryBound: 0
; FloatMode: 240
; IeeeMode: 1
; LDSByteSize: 0 bytes/workgroup (compile time only)
; SGPRBlocks: 0
; VGPRBlocks: 0
; NumSGPRsForWavesPerEU: 6
; NumVGPRsForWavesPerEU: 1
; AccumOffset: 4
; Occupancy: 8
; WaveLimiterHint : 0
; COMPUTE_PGM_RSRC2:SCRATCH_EN: 0
; COMPUTE_PGM_RSRC2:USER_SGPR: 2
; COMPUTE_PGM_RSRC2:TRAP_HANDLER: 0
; COMPUTE_PGM_RSRC2:TGID_X_EN: 1
; COMPUTE_PGM_RSRC2:TGID_Y_EN: 0
; COMPUTE_PGM_RSRC2:TGID_Z_EN: 0
; COMPUTE_PGM_RSRC2:TIDIG_COMP_CNT: 0
; COMPUTE_PGM_RSRC3_GFX90A:ACCUM_OFFSET: 0
; COMPUTE_PGM_RSRC3_GFX90A:TG_SPLIT: 0
	.section	.text._ZN7rocprim17ROCPRIM_400000_NS6detail17trampoline_kernelINS0_14default_configENS1_22reduce_config_selectorIN6thrust23THRUST_200600_302600_NS5tupleIblNS6_9null_typeES8_S8_S8_S8_S8_S8_S8_EEEEZNS1_11reduce_implILb1ES3_NS6_12zip_iteratorINS7_INS6_11hip_rocprim26transform_input_iterator_tIbNSD_35transform_pair_of_input_iterators_tIbNS6_6detail15normal_iteratorINS6_10device_ptrIKxEEEESL_NS6_8equal_toIxEEEENSG_9not_fun_tINSD_8identityEEEEENSD_19counting_iterator_tIlEES8_S8_S8_S8_S8_S8_S8_S8_EEEEPS9_S9_NSD_9__find_if7functorIS9_EEEE10hipError_tPvRmT1_T2_T3_mT4_P12ihipStream_tbEUlT_E0_NS1_11comp_targetILNS1_3genE10ELNS1_11target_archE1200ELNS1_3gpuE4ELNS1_3repE0EEENS1_30default_config_static_selectorELNS0_4arch9wavefront6targetE1EEEvS14_,"axG",@progbits,_ZN7rocprim17ROCPRIM_400000_NS6detail17trampoline_kernelINS0_14default_configENS1_22reduce_config_selectorIN6thrust23THRUST_200600_302600_NS5tupleIblNS6_9null_typeES8_S8_S8_S8_S8_S8_S8_EEEEZNS1_11reduce_implILb1ES3_NS6_12zip_iteratorINS7_INS6_11hip_rocprim26transform_input_iterator_tIbNSD_35transform_pair_of_input_iterators_tIbNS6_6detail15normal_iteratorINS6_10device_ptrIKxEEEESL_NS6_8equal_toIxEEEENSG_9not_fun_tINSD_8identityEEEEENSD_19counting_iterator_tIlEES8_S8_S8_S8_S8_S8_S8_S8_EEEEPS9_S9_NSD_9__find_if7functorIS9_EEEE10hipError_tPvRmT1_T2_T3_mT4_P12ihipStream_tbEUlT_E0_NS1_11comp_targetILNS1_3genE10ELNS1_11target_archE1200ELNS1_3gpuE4ELNS1_3repE0EEENS1_30default_config_static_selectorELNS0_4arch9wavefront6targetE1EEEvS14_,comdat
	.protected	_ZN7rocprim17ROCPRIM_400000_NS6detail17trampoline_kernelINS0_14default_configENS1_22reduce_config_selectorIN6thrust23THRUST_200600_302600_NS5tupleIblNS6_9null_typeES8_S8_S8_S8_S8_S8_S8_EEEEZNS1_11reduce_implILb1ES3_NS6_12zip_iteratorINS7_INS6_11hip_rocprim26transform_input_iterator_tIbNSD_35transform_pair_of_input_iterators_tIbNS6_6detail15normal_iteratorINS6_10device_ptrIKxEEEESL_NS6_8equal_toIxEEEENSG_9not_fun_tINSD_8identityEEEEENSD_19counting_iterator_tIlEES8_S8_S8_S8_S8_S8_S8_S8_EEEEPS9_S9_NSD_9__find_if7functorIS9_EEEE10hipError_tPvRmT1_T2_T3_mT4_P12ihipStream_tbEUlT_E0_NS1_11comp_targetILNS1_3genE10ELNS1_11target_archE1200ELNS1_3gpuE4ELNS1_3repE0EEENS1_30default_config_static_selectorELNS0_4arch9wavefront6targetE1EEEvS14_ ; -- Begin function _ZN7rocprim17ROCPRIM_400000_NS6detail17trampoline_kernelINS0_14default_configENS1_22reduce_config_selectorIN6thrust23THRUST_200600_302600_NS5tupleIblNS6_9null_typeES8_S8_S8_S8_S8_S8_S8_EEEEZNS1_11reduce_implILb1ES3_NS6_12zip_iteratorINS7_INS6_11hip_rocprim26transform_input_iterator_tIbNSD_35transform_pair_of_input_iterators_tIbNS6_6detail15normal_iteratorINS6_10device_ptrIKxEEEESL_NS6_8equal_toIxEEEENSG_9not_fun_tINSD_8identityEEEEENSD_19counting_iterator_tIlEES8_S8_S8_S8_S8_S8_S8_S8_EEEEPS9_S9_NSD_9__find_if7functorIS9_EEEE10hipError_tPvRmT1_T2_T3_mT4_P12ihipStream_tbEUlT_E0_NS1_11comp_targetILNS1_3genE10ELNS1_11target_archE1200ELNS1_3gpuE4ELNS1_3repE0EEENS1_30default_config_static_selectorELNS0_4arch9wavefront6targetE1EEEvS14_
	.globl	_ZN7rocprim17ROCPRIM_400000_NS6detail17trampoline_kernelINS0_14default_configENS1_22reduce_config_selectorIN6thrust23THRUST_200600_302600_NS5tupleIblNS6_9null_typeES8_S8_S8_S8_S8_S8_S8_EEEEZNS1_11reduce_implILb1ES3_NS6_12zip_iteratorINS7_INS6_11hip_rocprim26transform_input_iterator_tIbNSD_35transform_pair_of_input_iterators_tIbNS6_6detail15normal_iteratorINS6_10device_ptrIKxEEEESL_NS6_8equal_toIxEEEENSG_9not_fun_tINSD_8identityEEEEENSD_19counting_iterator_tIlEES8_S8_S8_S8_S8_S8_S8_S8_EEEEPS9_S9_NSD_9__find_if7functorIS9_EEEE10hipError_tPvRmT1_T2_T3_mT4_P12ihipStream_tbEUlT_E0_NS1_11comp_targetILNS1_3genE10ELNS1_11target_archE1200ELNS1_3gpuE4ELNS1_3repE0EEENS1_30default_config_static_selectorELNS0_4arch9wavefront6targetE1EEEvS14_
	.p2align	8
	.type	_ZN7rocprim17ROCPRIM_400000_NS6detail17trampoline_kernelINS0_14default_configENS1_22reduce_config_selectorIN6thrust23THRUST_200600_302600_NS5tupleIblNS6_9null_typeES8_S8_S8_S8_S8_S8_S8_EEEEZNS1_11reduce_implILb1ES3_NS6_12zip_iteratorINS7_INS6_11hip_rocprim26transform_input_iterator_tIbNSD_35transform_pair_of_input_iterators_tIbNS6_6detail15normal_iteratorINS6_10device_ptrIKxEEEESL_NS6_8equal_toIxEEEENSG_9not_fun_tINSD_8identityEEEEENSD_19counting_iterator_tIlEES8_S8_S8_S8_S8_S8_S8_S8_EEEEPS9_S9_NSD_9__find_if7functorIS9_EEEE10hipError_tPvRmT1_T2_T3_mT4_P12ihipStream_tbEUlT_E0_NS1_11comp_targetILNS1_3genE10ELNS1_11target_archE1200ELNS1_3gpuE4ELNS1_3repE0EEENS1_30default_config_static_selectorELNS0_4arch9wavefront6targetE1EEEvS14_,@function
_ZN7rocprim17ROCPRIM_400000_NS6detail17trampoline_kernelINS0_14default_configENS1_22reduce_config_selectorIN6thrust23THRUST_200600_302600_NS5tupleIblNS6_9null_typeES8_S8_S8_S8_S8_S8_S8_EEEEZNS1_11reduce_implILb1ES3_NS6_12zip_iteratorINS7_INS6_11hip_rocprim26transform_input_iterator_tIbNSD_35transform_pair_of_input_iterators_tIbNS6_6detail15normal_iteratorINS6_10device_ptrIKxEEEESL_NS6_8equal_toIxEEEENSG_9not_fun_tINSD_8identityEEEEENSD_19counting_iterator_tIlEES8_S8_S8_S8_S8_S8_S8_S8_EEEEPS9_S9_NSD_9__find_if7functorIS9_EEEE10hipError_tPvRmT1_T2_T3_mT4_P12ihipStream_tbEUlT_E0_NS1_11comp_targetILNS1_3genE10ELNS1_11target_archE1200ELNS1_3gpuE4ELNS1_3repE0EEENS1_30default_config_static_selectorELNS0_4arch9wavefront6targetE1EEEvS14_: ; @_ZN7rocprim17ROCPRIM_400000_NS6detail17trampoline_kernelINS0_14default_configENS1_22reduce_config_selectorIN6thrust23THRUST_200600_302600_NS5tupleIblNS6_9null_typeES8_S8_S8_S8_S8_S8_S8_EEEEZNS1_11reduce_implILb1ES3_NS6_12zip_iteratorINS7_INS6_11hip_rocprim26transform_input_iterator_tIbNSD_35transform_pair_of_input_iterators_tIbNS6_6detail15normal_iteratorINS6_10device_ptrIKxEEEESL_NS6_8equal_toIxEEEENSG_9not_fun_tINSD_8identityEEEEENSD_19counting_iterator_tIlEES8_S8_S8_S8_S8_S8_S8_S8_EEEEPS9_S9_NSD_9__find_if7functorIS9_EEEE10hipError_tPvRmT1_T2_T3_mT4_P12ihipStream_tbEUlT_E0_NS1_11comp_targetILNS1_3genE10ELNS1_11target_archE1200ELNS1_3gpuE4ELNS1_3repE0EEENS1_30default_config_static_selectorELNS0_4arch9wavefront6targetE1EEEvS14_
; %bb.0:
	.section	.rodata,"a",@progbits
	.p2align	6, 0x0
	.amdhsa_kernel _ZN7rocprim17ROCPRIM_400000_NS6detail17trampoline_kernelINS0_14default_configENS1_22reduce_config_selectorIN6thrust23THRUST_200600_302600_NS5tupleIblNS6_9null_typeES8_S8_S8_S8_S8_S8_S8_EEEEZNS1_11reduce_implILb1ES3_NS6_12zip_iteratorINS7_INS6_11hip_rocprim26transform_input_iterator_tIbNSD_35transform_pair_of_input_iterators_tIbNS6_6detail15normal_iteratorINS6_10device_ptrIKxEEEESL_NS6_8equal_toIxEEEENSG_9not_fun_tINSD_8identityEEEEENSD_19counting_iterator_tIlEES8_S8_S8_S8_S8_S8_S8_S8_EEEEPS9_S9_NSD_9__find_if7functorIS9_EEEE10hipError_tPvRmT1_T2_T3_mT4_P12ihipStream_tbEUlT_E0_NS1_11comp_targetILNS1_3genE10ELNS1_11target_archE1200ELNS1_3gpuE4ELNS1_3repE0EEENS1_30default_config_static_selectorELNS0_4arch9wavefront6targetE1EEEvS14_
		.amdhsa_group_segment_fixed_size 0
		.amdhsa_private_segment_fixed_size 0
		.amdhsa_kernarg_size 104
		.amdhsa_user_sgpr_count 2
		.amdhsa_user_sgpr_dispatch_ptr 0
		.amdhsa_user_sgpr_queue_ptr 0
		.amdhsa_user_sgpr_kernarg_segment_ptr 1
		.amdhsa_user_sgpr_dispatch_id 0
		.amdhsa_user_sgpr_kernarg_preload_length 0
		.amdhsa_user_sgpr_kernarg_preload_offset 0
		.amdhsa_user_sgpr_private_segment_size 0
		.amdhsa_uses_dynamic_stack 0
		.amdhsa_enable_private_segment 0
		.amdhsa_system_sgpr_workgroup_id_x 1
		.amdhsa_system_sgpr_workgroup_id_y 0
		.amdhsa_system_sgpr_workgroup_id_z 0
		.amdhsa_system_sgpr_workgroup_info 0
		.amdhsa_system_vgpr_workitem_id 0
		.amdhsa_next_free_vgpr 1
		.amdhsa_next_free_sgpr 0
		.amdhsa_accum_offset 4
		.amdhsa_reserve_vcc 0
		.amdhsa_float_round_mode_32 0
		.amdhsa_float_round_mode_16_64 0
		.amdhsa_float_denorm_mode_32 3
		.amdhsa_float_denorm_mode_16_64 3
		.amdhsa_dx10_clamp 1
		.amdhsa_ieee_mode 1
		.amdhsa_fp16_overflow 0
		.amdhsa_tg_split 0
		.amdhsa_exception_fp_ieee_invalid_op 0
		.amdhsa_exception_fp_denorm_src 0
		.amdhsa_exception_fp_ieee_div_zero 0
		.amdhsa_exception_fp_ieee_overflow 0
		.amdhsa_exception_fp_ieee_underflow 0
		.amdhsa_exception_fp_ieee_inexact 0
		.amdhsa_exception_int_div_zero 0
	.end_amdhsa_kernel
	.section	.text._ZN7rocprim17ROCPRIM_400000_NS6detail17trampoline_kernelINS0_14default_configENS1_22reduce_config_selectorIN6thrust23THRUST_200600_302600_NS5tupleIblNS6_9null_typeES8_S8_S8_S8_S8_S8_S8_EEEEZNS1_11reduce_implILb1ES3_NS6_12zip_iteratorINS7_INS6_11hip_rocprim26transform_input_iterator_tIbNSD_35transform_pair_of_input_iterators_tIbNS6_6detail15normal_iteratorINS6_10device_ptrIKxEEEESL_NS6_8equal_toIxEEEENSG_9not_fun_tINSD_8identityEEEEENSD_19counting_iterator_tIlEES8_S8_S8_S8_S8_S8_S8_S8_EEEEPS9_S9_NSD_9__find_if7functorIS9_EEEE10hipError_tPvRmT1_T2_T3_mT4_P12ihipStream_tbEUlT_E0_NS1_11comp_targetILNS1_3genE10ELNS1_11target_archE1200ELNS1_3gpuE4ELNS1_3repE0EEENS1_30default_config_static_selectorELNS0_4arch9wavefront6targetE1EEEvS14_,"axG",@progbits,_ZN7rocprim17ROCPRIM_400000_NS6detail17trampoline_kernelINS0_14default_configENS1_22reduce_config_selectorIN6thrust23THRUST_200600_302600_NS5tupleIblNS6_9null_typeES8_S8_S8_S8_S8_S8_S8_EEEEZNS1_11reduce_implILb1ES3_NS6_12zip_iteratorINS7_INS6_11hip_rocprim26transform_input_iterator_tIbNSD_35transform_pair_of_input_iterators_tIbNS6_6detail15normal_iteratorINS6_10device_ptrIKxEEEESL_NS6_8equal_toIxEEEENSG_9not_fun_tINSD_8identityEEEEENSD_19counting_iterator_tIlEES8_S8_S8_S8_S8_S8_S8_S8_EEEEPS9_S9_NSD_9__find_if7functorIS9_EEEE10hipError_tPvRmT1_T2_T3_mT4_P12ihipStream_tbEUlT_E0_NS1_11comp_targetILNS1_3genE10ELNS1_11target_archE1200ELNS1_3gpuE4ELNS1_3repE0EEENS1_30default_config_static_selectorELNS0_4arch9wavefront6targetE1EEEvS14_,comdat
.Lfunc_end1257:
	.size	_ZN7rocprim17ROCPRIM_400000_NS6detail17trampoline_kernelINS0_14default_configENS1_22reduce_config_selectorIN6thrust23THRUST_200600_302600_NS5tupleIblNS6_9null_typeES8_S8_S8_S8_S8_S8_S8_EEEEZNS1_11reduce_implILb1ES3_NS6_12zip_iteratorINS7_INS6_11hip_rocprim26transform_input_iterator_tIbNSD_35transform_pair_of_input_iterators_tIbNS6_6detail15normal_iteratorINS6_10device_ptrIKxEEEESL_NS6_8equal_toIxEEEENSG_9not_fun_tINSD_8identityEEEEENSD_19counting_iterator_tIlEES8_S8_S8_S8_S8_S8_S8_S8_EEEEPS9_S9_NSD_9__find_if7functorIS9_EEEE10hipError_tPvRmT1_T2_T3_mT4_P12ihipStream_tbEUlT_E0_NS1_11comp_targetILNS1_3genE10ELNS1_11target_archE1200ELNS1_3gpuE4ELNS1_3repE0EEENS1_30default_config_static_selectorELNS0_4arch9wavefront6targetE1EEEvS14_, .Lfunc_end1257-_ZN7rocprim17ROCPRIM_400000_NS6detail17trampoline_kernelINS0_14default_configENS1_22reduce_config_selectorIN6thrust23THRUST_200600_302600_NS5tupleIblNS6_9null_typeES8_S8_S8_S8_S8_S8_S8_EEEEZNS1_11reduce_implILb1ES3_NS6_12zip_iteratorINS7_INS6_11hip_rocprim26transform_input_iterator_tIbNSD_35transform_pair_of_input_iterators_tIbNS6_6detail15normal_iteratorINS6_10device_ptrIKxEEEESL_NS6_8equal_toIxEEEENSG_9not_fun_tINSD_8identityEEEEENSD_19counting_iterator_tIlEES8_S8_S8_S8_S8_S8_S8_S8_EEEEPS9_S9_NSD_9__find_if7functorIS9_EEEE10hipError_tPvRmT1_T2_T3_mT4_P12ihipStream_tbEUlT_E0_NS1_11comp_targetILNS1_3genE10ELNS1_11target_archE1200ELNS1_3gpuE4ELNS1_3repE0EEENS1_30default_config_static_selectorELNS0_4arch9wavefront6targetE1EEEvS14_
                                        ; -- End function
	.set _ZN7rocprim17ROCPRIM_400000_NS6detail17trampoline_kernelINS0_14default_configENS1_22reduce_config_selectorIN6thrust23THRUST_200600_302600_NS5tupleIblNS6_9null_typeES8_S8_S8_S8_S8_S8_S8_EEEEZNS1_11reduce_implILb1ES3_NS6_12zip_iteratorINS7_INS6_11hip_rocprim26transform_input_iterator_tIbNSD_35transform_pair_of_input_iterators_tIbNS6_6detail15normal_iteratorINS6_10device_ptrIKxEEEESL_NS6_8equal_toIxEEEENSG_9not_fun_tINSD_8identityEEEEENSD_19counting_iterator_tIlEES8_S8_S8_S8_S8_S8_S8_S8_EEEEPS9_S9_NSD_9__find_if7functorIS9_EEEE10hipError_tPvRmT1_T2_T3_mT4_P12ihipStream_tbEUlT_E0_NS1_11comp_targetILNS1_3genE10ELNS1_11target_archE1200ELNS1_3gpuE4ELNS1_3repE0EEENS1_30default_config_static_selectorELNS0_4arch9wavefront6targetE1EEEvS14_.num_vgpr, 0
	.set _ZN7rocprim17ROCPRIM_400000_NS6detail17trampoline_kernelINS0_14default_configENS1_22reduce_config_selectorIN6thrust23THRUST_200600_302600_NS5tupleIblNS6_9null_typeES8_S8_S8_S8_S8_S8_S8_EEEEZNS1_11reduce_implILb1ES3_NS6_12zip_iteratorINS7_INS6_11hip_rocprim26transform_input_iterator_tIbNSD_35transform_pair_of_input_iterators_tIbNS6_6detail15normal_iteratorINS6_10device_ptrIKxEEEESL_NS6_8equal_toIxEEEENSG_9not_fun_tINSD_8identityEEEEENSD_19counting_iterator_tIlEES8_S8_S8_S8_S8_S8_S8_S8_EEEEPS9_S9_NSD_9__find_if7functorIS9_EEEE10hipError_tPvRmT1_T2_T3_mT4_P12ihipStream_tbEUlT_E0_NS1_11comp_targetILNS1_3genE10ELNS1_11target_archE1200ELNS1_3gpuE4ELNS1_3repE0EEENS1_30default_config_static_selectorELNS0_4arch9wavefront6targetE1EEEvS14_.num_agpr, 0
	.set _ZN7rocprim17ROCPRIM_400000_NS6detail17trampoline_kernelINS0_14default_configENS1_22reduce_config_selectorIN6thrust23THRUST_200600_302600_NS5tupleIblNS6_9null_typeES8_S8_S8_S8_S8_S8_S8_EEEEZNS1_11reduce_implILb1ES3_NS6_12zip_iteratorINS7_INS6_11hip_rocprim26transform_input_iterator_tIbNSD_35transform_pair_of_input_iterators_tIbNS6_6detail15normal_iteratorINS6_10device_ptrIKxEEEESL_NS6_8equal_toIxEEEENSG_9not_fun_tINSD_8identityEEEEENSD_19counting_iterator_tIlEES8_S8_S8_S8_S8_S8_S8_S8_EEEEPS9_S9_NSD_9__find_if7functorIS9_EEEE10hipError_tPvRmT1_T2_T3_mT4_P12ihipStream_tbEUlT_E0_NS1_11comp_targetILNS1_3genE10ELNS1_11target_archE1200ELNS1_3gpuE4ELNS1_3repE0EEENS1_30default_config_static_selectorELNS0_4arch9wavefront6targetE1EEEvS14_.numbered_sgpr, 0
	.set _ZN7rocprim17ROCPRIM_400000_NS6detail17trampoline_kernelINS0_14default_configENS1_22reduce_config_selectorIN6thrust23THRUST_200600_302600_NS5tupleIblNS6_9null_typeES8_S8_S8_S8_S8_S8_S8_EEEEZNS1_11reduce_implILb1ES3_NS6_12zip_iteratorINS7_INS6_11hip_rocprim26transform_input_iterator_tIbNSD_35transform_pair_of_input_iterators_tIbNS6_6detail15normal_iteratorINS6_10device_ptrIKxEEEESL_NS6_8equal_toIxEEEENSG_9not_fun_tINSD_8identityEEEEENSD_19counting_iterator_tIlEES8_S8_S8_S8_S8_S8_S8_S8_EEEEPS9_S9_NSD_9__find_if7functorIS9_EEEE10hipError_tPvRmT1_T2_T3_mT4_P12ihipStream_tbEUlT_E0_NS1_11comp_targetILNS1_3genE10ELNS1_11target_archE1200ELNS1_3gpuE4ELNS1_3repE0EEENS1_30default_config_static_selectorELNS0_4arch9wavefront6targetE1EEEvS14_.num_named_barrier, 0
	.set _ZN7rocprim17ROCPRIM_400000_NS6detail17trampoline_kernelINS0_14default_configENS1_22reduce_config_selectorIN6thrust23THRUST_200600_302600_NS5tupleIblNS6_9null_typeES8_S8_S8_S8_S8_S8_S8_EEEEZNS1_11reduce_implILb1ES3_NS6_12zip_iteratorINS7_INS6_11hip_rocprim26transform_input_iterator_tIbNSD_35transform_pair_of_input_iterators_tIbNS6_6detail15normal_iteratorINS6_10device_ptrIKxEEEESL_NS6_8equal_toIxEEEENSG_9not_fun_tINSD_8identityEEEEENSD_19counting_iterator_tIlEES8_S8_S8_S8_S8_S8_S8_S8_EEEEPS9_S9_NSD_9__find_if7functorIS9_EEEE10hipError_tPvRmT1_T2_T3_mT4_P12ihipStream_tbEUlT_E0_NS1_11comp_targetILNS1_3genE10ELNS1_11target_archE1200ELNS1_3gpuE4ELNS1_3repE0EEENS1_30default_config_static_selectorELNS0_4arch9wavefront6targetE1EEEvS14_.private_seg_size, 0
	.set _ZN7rocprim17ROCPRIM_400000_NS6detail17trampoline_kernelINS0_14default_configENS1_22reduce_config_selectorIN6thrust23THRUST_200600_302600_NS5tupleIblNS6_9null_typeES8_S8_S8_S8_S8_S8_S8_EEEEZNS1_11reduce_implILb1ES3_NS6_12zip_iteratorINS7_INS6_11hip_rocprim26transform_input_iterator_tIbNSD_35transform_pair_of_input_iterators_tIbNS6_6detail15normal_iteratorINS6_10device_ptrIKxEEEESL_NS6_8equal_toIxEEEENSG_9not_fun_tINSD_8identityEEEEENSD_19counting_iterator_tIlEES8_S8_S8_S8_S8_S8_S8_S8_EEEEPS9_S9_NSD_9__find_if7functorIS9_EEEE10hipError_tPvRmT1_T2_T3_mT4_P12ihipStream_tbEUlT_E0_NS1_11comp_targetILNS1_3genE10ELNS1_11target_archE1200ELNS1_3gpuE4ELNS1_3repE0EEENS1_30default_config_static_selectorELNS0_4arch9wavefront6targetE1EEEvS14_.uses_vcc, 0
	.set _ZN7rocprim17ROCPRIM_400000_NS6detail17trampoline_kernelINS0_14default_configENS1_22reduce_config_selectorIN6thrust23THRUST_200600_302600_NS5tupleIblNS6_9null_typeES8_S8_S8_S8_S8_S8_S8_EEEEZNS1_11reduce_implILb1ES3_NS6_12zip_iteratorINS7_INS6_11hip_rocprim26transform_input_iterator_tIbNSD_35transform_pair_of_input_iterators_tIbNS6_6detail15normal_iteratorINS6_10device_ptrIKxEEEESL_NS6_8equal_toIxEEEENSG_9not_fun_tINSD_8identityEEEEENSD_19counting_iterator_tIlEES8_S8_S8_S8_S8_S8_S8_S8_EEEEPS9_S9_NSD_9__find_if7functorIS9_EEEE10hipError_tPvRmT1_T2_T3_mT4_P12ihipStream_tbEUlT_E0_NS1_11comp_targetILNS1_3genE10ELNS1_11target_archE1200ELNS1_3gpuE4ELNS1_3repE0EEENS1_30default_config_static_selectorELNS0_4arch9wavefront6targetE1EEEvS14_.uses_flat_scratch, 0
	.set _ZN7rocprim17ROCPRIM_400000_NS6detail17trampoline_kernelINS0_14default_configENS1_22reduce_config_selectorIN6thrust23THRUST_200600_302600_NS5tupleIblNS6_9null_typeES8_S8_S8_S8_S8_S8_S8_EEEEZNS1_11reduce_implILb1ES3_NS6_12zip_iteratorINS7_INS6_11hip_rocprim26transform_input_iterator_tIbNSD_35transform_pair_of_input_iterators_tIbNS6_6detail15normal_iteratorINS6_10device_ptrIKxEEEESL_NS6_8equal_toIxEEEENSG_9not_fun_tINSD_8identityEEEEENSD_19counting_iterator_tIlEES8_S8_S8_S8_S8_S8_S8_S8_EEEEPS9_S9_NSD_9__find_if7functorIS9_EEEE10hipError_tPvRmT1_T2_T3_mT4_P12ihipStream_tbEUlT_E0_NS1_11comp_targetILNS1_3genE10ELNS1_11target_archE1200ELNS1_3gpuE4ELNS1_3repE0EEENS1_30default_config_static_selectorELNS0_4arch9wavefront6targetE1EEEvS14_.has_dyn_sized_stack, 0
	.set _ZN7rocprim17ROCPRIM_400000_NS6detail17trampoline_kernelINS0_14default_configENS1_22reduce_config_selectorIN6thrust23THRUST_200600_302600_NS5tupleIblNS6_9null_typeES8_S8_S8_S8_S8_S8_S8_EEEEZNS1_11reduce_implILb1ES3_NS6_12zip_iteratorINS7_INS6_11hip_rocprim26transform_input_iterator_tIbNSD_35transform_pair_of_input_iterators_tIbNS6_6detail15normal_iteratorINS6_10device_ptrIKxEEEESL_NS6_8equal_toIxEEEENSG_9not_fun_tINSD_8identityEEEEENSD_19counting_iterator_tIlEES8_S8_S8_S8_S8_S8_S8_S8_EEEEPS9_S9_NSD_9__find_if7functorIS9_EEEE10hipError_tPvRmT1_T2_T3_mT4_P12ihipStream_tbEUlT_E0_NS1_11comp_targetILNS1_3genE10ELNS1_11target_archE1200ELNS1_3gpuE4ELNS1_3repE0EEENS1_30default_config_static_selectorELNS0_4arch9wavefront6targetE1EEEvS14_.has_recursion, 0
	.set _ZN7rocprim17ROCPRIM_400000_NS6detail17trampoline_kernelINS0_14default_configENS1_22reduce_config_selectorIN6thrust23THRUST_200600_302600_NS5tupleIblNS6_9null_typeES8_S8_S8_S8_S8_S8_S8_EEEEZNS1_11reduce_implILb1ES3_NS6_12zip_iteratorINS7_INS6_11hip_rocprim26transform_input_iterator_tIbNSD_35transform_pair_of_input_iterators_tIbNS6_6detail15normal_iteratorINS6_10device_ptrIKxEEEESL_NS6_8equal_toIxEEEENSG_9not_fun_tINSD_8identityEEEEENSD_19counting_iterator_tIlEES8_S8_S8_S8_S8_S8_S8_S8_EEEEPS9_S9_NSD_9__find_if7functorIS9_EEEE10hipError_tPvRmT1_T2_T3_mT4_P12ihipStream_tbEUlT_E0_NS1_11comp_targetILNS1_3genE10ELNS1_11target_archE1200ELNS1_3gpuE4ELNS1_3repE0EEENS1_30default_config_static_selectorELNS0_4arch9wavefront6targetE1EEEvS14_.has_indirect_call, 0
	.section	.AMDGPU.csdata,"",@progbits
; Kernel info:
; codeLenInByte = 0
; TotalNumSgprs: 6
; NumVgprs: 0
; NumAgprs: 0
; TotalNumVgprs: 0
; ScratchSize: 0
; MemoryBound: 0
; FloatMode: 240
; IeeeMode: 1
; LDSByteSize: 0 bytes/workgroup (compile time only)
; SGPRBlocks: 0
; VGPRBlocks: 0
; NumSGPRsForWavesPerEU: 6
; NumVGPRsForWavesPerEU: 1
; AccumOffset: 4
; Occupancy: 8
; WaveLimiterHint : 0
; COMPUTE_PGM_RSRC2:SCRATCH_EN: 0
; COMPUTE_PGM_RSRC2:USER_SGPR: 2
; COMPUTE_PGM_RSRC2:TRAP_HANDLER: 0
; COMPUTE_PGM_RSRC2:TGID_X_EN: 1
; COMPUTE_PGM_RSRC2:TGID_Y_EN: 0
; COMPUTE_PGM_RSRC2:TGID_Z_EN: 0
; COMPUTE_PGM_RSRC2:TIDIG_COMP_CNT: 0
; COMPUTE_PGM_RSRC3_GFX90A:ACCUM_OFFSET: 0
; COMPUTE_PGM_RSRC3_GFX90A:TG_SPLIT: 0
	.section	.text._ZN7rocprim17ROCPRIM_400000_NS6detail17trampoline_kernelINS0_14default_configENS1_22reduce_config_selectorIN6thrust23THRUST_200600_302600_NS5tupleIblNS6_9null_typeES8_S8_S8_S8_S8_S8_S8_EEEEZNS1_11reduce_implILb1ES3_NS6_12zip_iteratorINS7_INS6_11hip_rocprim26transform_input_iterator_tIbNSD_35transform_pair_of_input_iterators_tIbNS6_6detail15normal_iteratorINS6_10device_ptrIKxEEEESL_NS6_8equal_toIxEEEENSG_9not_fun_tINSD_8identityEEEEENSD_19counting_iterator_tIlEES8_S8_S8_S8_S8_S8_S8_S8_EEEEPS9_S9_NSD_9__find_if7functorIS9_EEEE10hipError_tPvRmT1_T2_T3_mT4_P12ihipStream_tbEUlT_E0_NS1_11comp_targetILNS1_3genE9ELNS1_11target_archE1100ELNS1_3gpuE3ELNS1_3repE0EEENS1_30default_config_static_selectorELNS0_4arch9wavefront6targetE1EEEvS14_,"axG",@progbits,_ZN7rocprim17ROCPRIM_400000_NS6detail17trampoline_kernelINS0_14default_configENS1_22reduce_config_selectorIN6thrust23THRUST_200600_302600_NS5tupleIblNS6_9null_typeES8_S8_S8_S8_S8_S8_S8_EEEEZNS1_11reduce_implILb1ES3_NS6_12zip_iteratorINS7_INS6_11hip_rocprim26transform_input_iterator_tIbNSD_35transform_pair_of_input_iterators_tIbNS6_6detail15normal_iteratorINS6_10device_ptrIKxEEEESL_NS6_8equal_toIxEEEENSG_9not_fun_tINSD_8identityEEEEENSD_19counting_iterator_tIlEES8_S8_S8_S8_S8_S8_S8_S8_EEEEPS9_S9_NSD_9__find_if7functorIS9_EEEE10hipError_tPvRmT1_T2_T3_mT4_P12ihipStream_tbEUlT_E0_NS1_11comp_targetILNS1_3genE9ELNS1_11target_archE1100ELNS1_3gpuE3ELNS1_3repE0EEENS1_30default_config_static_selectorELNS0_4arch9wavefront6targetE1EEEvS14_,comdat
	.protected	_ZN7rocprim17ROCPRIM_400000_NS6detail17trampoline_kernelINS0_14default_configENS1_22reduce_config_selectorIN6thrust23THRUST_200600_302600_NS5tupleIblNS6_9null_typeES8_S8_S8_S8_S8_S8_S8_EEEEZNS1_11reduce_implILb1ES3_NS6_12zip_iteratorINS7_INS6_11hip_rocprim26transform_input_iterator_tIbNSD_35transform_pair_of_input_iterators_tIbNS6_6detail15normal_iteratorINS6_10device_ptrIKxEEEESL_NS6_8equal_toIxEEEENSG_9not_fun_tINSD_8identityEEEEENSD_19counting_iterator_tIlEES8_S8_S8_S8_S8_S8_S8_S8_EEEEPS9_S9_NSD_9__find_if7functorIS9_EEEE10hipError_tPvRmT1_T2_T3_mT4_P12ihipStream_tbEUlT_E0_NS1_11comp_targetILNS1_3genE9ELNS1_11target_archE1100ELNS1_3gpuE3ELNS1_3repE0EEENS1_30default_config_static_selectorELNS0_4arch9wavefront6targetE1EEEvS14_ ; -- Begin function _ZN7rocprim17ROCPRIM_400000_NS6detail17trampoline_kernelINS0_14default_configENS1_22reduce_config_selectorIN6thrust23THRUST_200600_302600_NS5tupleIblNS6_9null_typeES8_S8_S8_S8_S8_S8_S8_EEEEZNS1_11reduce_implILb1ES3_NS6_12zip_iteratorINS7_INS6_11hip_rocprim26transform_input_iterator_tIbNSD_35transform_pair_of_input_iterators_tIbNS6_6detail15normal_iteratorINS6_10device_ptrIKxEEEESL_NS6_8equal_toIxEEEENSG_9not_fun_tINSD_8identityEEEEENSD_19counting_iterator_tIlEES8_S8_S8_S8_S8_S8_S8_S8_EEEEPS9_S9_NSD_9__find_if7functorIS9_EEEE10hipError_tPvRmT1_T2_T3_mT4_P12ihipStream_tbEUlT_E0_NS1_11comp_targetILNS1_3genE9ELNS1_11target_archE1100ELNS1_3gpuE3ELNS1_3repE0EEENS1_30default_config_static_selectorELNS0_4arch9wavefront6targetE1EEEvS14_
	.globl	_ZN7rocprim17ROCPRIM_400000_NS6detail17trampoline_kernelINS0_14default_configENS1_22reduce_config_selectorIN6thrust23THRUST_200600_302600_NS5tupleIblNS6_9null_typeES8_S8_S8_S8_S8_S8_S8_EEEEZNS1_11reduce_implILb1ES3_NS6_12zip_iteratorINS7_INS6_11hip_rocprim26transform_input_iterator_tIbNSD_35transform_pair_of_input_iterators_tIbNS6_6detail15normal_iteratorINS6_10device_ptrIKxEEEESL_NS6_8equal_toIxEEEENSG_9not_fun_tINSD_8identityEEEEENSD_19counting_iterator_tIlEES8_S8_S8_S8_S8_S8_S8_S8_EEEEPS9_S9_NSD_9__find_if7functorIS9_EEEE10hipError_tPvRmT1_T2_T3_mT4_P12ihipStream_tbEUlT_E0_NS1_11comp_targetILNS1_3genE9ELNS1_11target_archE1100ELNS1_3gpuE3ELNS1_3repE0EEENS1_30default_config_static_selectorELNS0_4arch9wavefront6targetE1EEEvS14_
	.p2align	8
	.type	_ZN7rocprim17ROCPRIM_400000_NS6detail17trampoline_kernelINS0_14default_configENS1_22reduce_config_selectorIN6thrust23THRUST_200600_302600_NS5tupleIblNS6_9null_typeES8_S8_S8_S8_S8_S8_S8_EEEEZNS1_11reduce_implILb1ES3_NS6_12zip_iteratorINS7_INS6_11hip_rocprim26transform_input_iterator_tIbNSD_35transform_pair_of_input_iterators_tIbNS6_6detail15normal_iteratorINS6_10device_ptrIKxEEEESL_NS6_8equal_toIxEEEENSG_9not_fun_tINSD_8identityEEEEENSD_19counting_iterator_tIlEES8_S8_S8_S8_S8_S8_S8_S8_EEEEPS9_S9_NSD_9__find_if7functorIS9_EEEE10hipError_tPvRmT1_T2_T3_mT4_P12ihipStream_tbEUlT_E0_NS1_11comp_targetILNS1_3genE9ELNS1_11target_archE1100ELNS1_3gpuE3ELNS1_3repE0EEENS1_30default_config_static_selectorELNS0_4arch9wavefront6targetE1EEEvS14_,@function
_ZN7rocprim17ROCPRIM_400000_NS6detail17trampoline_kernelINS0_14default_configENS1_22reduce_config_selectorIN6thrust23THRUST_200600_302600_NS5tupleIblNS6_9null_typeES8_S8_S8_S8_S8_S8_S8_EEEEZNS1_11reduce_implILb1ES3_NS6_12zip_iteratorINS7_INS6_11hip_rocprim26transform_input_iterator_tIbNSD_35transform_pair_of_input_iterators_tIbNS6_6detail15normal_iteratorINS6_10device_ptrIKxEEEESL_NS6_8equal_toIxEEEENSG_9not_fun_tINSD_8identityEEEEENSD_19counting_iterator_tIlEES8_S8_S8_S8_S8_S8_S8_S8_EEEEPS9_S9_NSD_9__find_if7functorIS9_EEEE10hipError_tPvRmT1_T2_T3_mT4_P12ihipStream_tbEUlT_E0_NS1_11comp_targetILNS1_3genE9ELNS1_11target_archE1100ELNS1_3gpuE3ELNS1_3repE0EEENS1_30default_config_static_selectorELNS0_4arch9wavefront6targetE1EEEvS14_: ; @_ZN7rocprim17ROCPRIM_400000_NS6detail17trampoline_kernelINS0_14default_configENS1_22reduce_config_selectorIN6thrust23THRUST_200600_302600_NS5tupleIblNS6_9null_typeES8_S8_S8_S8_S8_S8_S8_EEEEZNS1_11reduce_implILb1ES3_NS6_12zip_iteratorINS7_INS6_11hip_rocprim26transform_input_iterator_tIbNSD_35transform_pair_of_input_iterators_tIbNS6_6detail15normal_iteratorINS6_10device_ptrIKxEEEESL_NS6_8equal_toIxEEEENSG_9not_fun_tINSD_8identityEEEEENSD_19counting_iterator_tIlEES8_S8_S8_S8_S8_S8_S8_S8_EEEEPS9_S9_NSD_9__find_if7functorIS9_EEEE10hipError_tPvRmT1_T2_T3_mT4_P12ihipStream_tbEUlT_E0_NS1_11comp_targetILNS1_3genE9ELNS1_11target_archE1100ELNS1_3gpuE3ELNS1_3repE0EEENS1_30default_config_static_selectorELNS0_4arch9wavefront6targetE1EEEvS14_
; %bb.0:
	.section	.rodata,"a",@progbits
	.p2align	6, 0x0
	.amdhsa_kernel _ZN7rocprim17ROCPRIM_400000_NS6detail17trampoline_kernelINS0_14default_configENS1_22reduce_config_selectorIN6thrust23THRUST_200600_302600_NS5tupleIblNS6_9null_typeES8_S8_S8_S8_S8_S8_S8_EEEEZNS1_11reduce_implILb1ES3_NS6_12zip_iteratorINS7_INS6_11hip_rocprim26transform_input_iterator_tIbNSD_35transform_pair_of_input_iterators_tIbNS6_6detail15normal_iteratorINS6_10device_ptrIKxEEEESL_NS6_8equal_toIxEEEENSG_9not_fun_tINSD_8identityEEEEENSD_19counting_iterator_tIlEES8_S8_S8_S8_S8_S8_S8_S8_EEEEPS9_S9_NSD_9__find_if7functorIS9_EEEE10hipError_tPvRmT1_T2_T3_mT4_P12ihipStream_tbEUlT_E0_NS1_11comp_targetILNS1_3genE9ELNS1_11target_archE1100ELNS1_3gpuE3ELNS1_3repE0EEENS1_30default_config_static_selectorELNS0_4arch9wavefront6targetE1EEEvS14_
		.amdhsa_group_segment_fixed_size 0
		.amdhsa_private_segment_fixed_size 0
		.amdhsa_kernarg_size 104
		.amdhsa_user_sgpr_count 2
		.amdhsa_user_sgpr_dispatch_ptr 0
		.amdhsa_user_sgpr_queue_ptr 0
		.amdhsa_user_sgpr_kernarg_segment_ptr 1
		.amdhsa_user_sgpr_dispatch_id 0
		.amdhsa_user_sgpr_kernarg_preload_length 0
		.amdhsa_user_sgpr_kernarg_preload_offset 0
		.amdhsa_user_sgpr_private_segment_size 0
		.amdhsa_uses_dynamic_stack 0
		.amdhsa_enable_private_segment 0
		.amdhsa_system_sgpr_workgroup_id_x 1
		.amdhsa_system_sgpr_workgroup_id_y 0
		.amdhsa_system_sgpr_workgroup_id_z 0
		.amdhsa_system_sgpr_workgroup_info 0
		.amdhsa_system_vgpr_workitem_id 0
		.amdhsa_next_free_vgpr 1
		.amdhsa_next_free_sgpr 0
		.amdhsa_accum_offset 4
		.amdhsa_reserve_vcc 0
		.amdhsa_float_round_mode_32 0
		.amdhsa_float_round_mode_16_64 0
		.amdhsa_float_denorm_mode_32 3
		.amdhsa_float_denorm_mode_16_64 3
		.amdhsa_dx10_clamp 1
		.amdhsa_ieee_mode 1
		.amdhsa_fp16_overflow 0
		.amdhsa_tg_split 0
		.amdhsa_exception_fp_ieee_invalid_op 0
		.amdhsa_exception_fp_denorm_src 0
		.amdhsa_exception_fp_ieee_div_zero 0
		.amdhsa_exception_fp_ieee_overflow 0
		.amdhsa_exception_fp_ieee_underflow 0
		.amdhsa_exception_fp_ieee_inexact 0
		.amdhsa_exception_int_div_zero 0
	.end_amdhsa_kernel
	.section	.text._ZN7rocprim17ROCPRIM_400000_NS6detail17trampoline_kernelINS0_14default_configENS1_22reduce_config_selectorIN6thrust23THRUST_200600_302600_NS5tupleIblNS6_9null_typeES8_S8_S8_S8_S8_S8_S8_EEEEZNS1_11reduce_implILb1ES3_NS6_12zip_iteratorINS7_INS6_11hip_rocprim26transform_input_iterator_tIbNSD_35transform_pair_of_input_iterators_tIbNS6_6detail15normal_iteratorINS6_10device_ptrIKxEEEESL_NS6_8equal_toIxEEEENSG_9not_fun_tINSD_8identityEEEEENSD_19counting_iterator_tIlEES8_S8_S8_S8_S8_S8_S8_S8_EEEEPS9_S9_NSD_9__find_if7functorIS9_EEEE10hipError_tPvRmT1_T2_T3_mT4_P12ihipStream_tbEUlT_E0_NS1_11comp_targetILNS1_3genE9ELNS1_11target_archE1100ELNS1_3gpuE3ELNS1_3repE0EEENS1_30default_config_static_selectorELNS0_4arch9wavefront6targetE1EEEvS14_,"axG",@progbits,_ZN7rocprim17ROCPRIM_400000_NS6detail17trampoline_kernelINS0_14default_configENS1_22reduce_config_selectorIN6thrust23THRUST_200600_302600_NS5tupleIblNS6_9null_typeES8_S8_S8_S8_S8_S8_S8_EEEEZNS1_11reduce_implILb1ES3_NS6_12zip_iteratorINS7_INS6_11hip_rocprim26transform_input_iterator_tIbNSD_35transform_pair_of_input_iterators_tIbNS6_6detail15normal_iteratorINS6_10device_ptrIKxEEEESL_NS6_8equal_toIxEEEENSG_9not_fun_tINSD_8identityEEEEENSD_19counting_iterator_tIlEES8_S8_S8_S8_S8_S8_S8_S8_EEEEPS9_S9_NSD_9__find_if7functorIS9_EEEE10hipError_tPvRmT1_T2_T3_mT4_P12ihipStream_tbEUlT_E0_NS1_11comp_targetILNS1_3genE9ELNS1_11target_archE1100ELNS1_3gpuE3ELNS1_3repE0EEENS1_30default_config_static_selectorELNS0_4arch9wavefront6targetE1EEEvS14_,comdat
.Lfunc_end1258:
	.size	_ZN7rocprim17ROCPRIM_400000_NS6detail17trampoline_kernelINS0_14default_configENS1_22reduce_config_selectorIN6thrust23THRUST_200600_302600_NS5tupleIblNS6_9null_typeES8_S8_S8_S8_S8_S8_S8_EEEEZNS1_11reduce_implILb1ES3_NS6_12zip_iteratorINS7_INS6_11hip_rocprim26transform_input_iterator_tIbNSD_35transform_pair_of_input_iterators_tIbNS6_6detail15normal_iteratorINS6_10device_ptrIKxEEEESL_NS6_8equal_toIxEEEENSG_9not_fun_tINSD_8identityEEEEENSD_19counting_iterator_tIlEES8_S8_S8_S8_S8_S8_S8_S8_EEEEPS9_S9_NSD_9__find_if7functorIS9_EEEE10hipError_tPvRmT1_T2_T3_mT4_P12ihipStream_tbEUlT_E0_NS1_11comp_targetILNS1_3genE9ELNS1_11target_archE1100ELNS1_3gpuE3ELNS1_3repE0EEENS1_30default_config_static_selectorELNS0_4arch9wavefront6targetE1EEEvS14_, .Lfunc_end1258-_ZN7rocprim17ROCPRIM_400000_NS6detail17trampoline_kernelINS0_14default_configENS1_22reduce_config_selectorIN6thrust23THRUST_200600_302600_NS5tupleIblNS6_9null_typeES8_S8_S8_S8_S8_S8_S8_EEEEZNS1_11reduce_implILb1ES3_NS6_12zip_iteratorINS7_INS6_11hip_rocprim26transform_input_iterator_tIbNSD_35transform_pair_of_input_iterators_tIbNS6_6detail15normal_iteratorINS6_10device_ptrIKxEEEESL_NS6_8equal_toIxEEEENSG_9not_fun_tINSD_8identityEEEEENSD_19counting_iterator_tIlEES8_S8_S8_S8_S8_S8_S8_S8_EEEEPS9_S9_NSD_9__find_if7functorIS9_EEEE10hipError_tPvRmT1_T2_T3_mT4_P12ihipStream_tbEUlT_E0_NS1_11comp_targetILNS1_3genE9ELNS1_11target_archE1100ELNS1_3gpuE3ELNS1_3repE0EEENS1_30default_config_static_selectorELNS0_4arch9wavefront6targetE1EEEvS14_
                                        ; -- End function
	.set _ZN7rocprim17ROCPRIM_400000_NS6detail17trampoline_kernelINS0_14default_configENS1_22reduce_config_selectorIN6thrust23THRUST_200600_302600_NS5tupleIblNS6_9null_typeES8_S8_S8_S8_S8_S8_S8_EEEEZNS1_11reduce_implILb1ES3_NS6_12zip_iteratorINS7_INS6_11hip_rocprim26transform_input_iterator_tIbNSD_35transform_pair_of_input_iterators_tIbNS6_6detail15normal_iteratorINS6_10device_ptrIKxEEEESL_NS6_8equal_toIxEEEENSG_9not_fun_tINSD_8identityEEEEENSD_19counting_iterator_tIlEES8_S8_S8_S8_S8_S8_S8_S8_EEEEPS9_S9_NSD_9__find_if7functorIS9_EEEE10hipError_tPvRmT1_T2_T3_mT4_P12ihipStream_tbEUlT_E0_NS1_11comp_targetILNS1_3genE9ELNS1_11target_archE1100ELNS1_3gpuE3ELNS1_3repE0EEENS1_30default_config_static_selectorELNS0_4arch9wavefront6targetE1EEEvS14_.num_vgpr, 0
	.set _ZN7rocprim17ROCPRIM_400000_NS6detail17trampoline_kernelINS0_14default_configENS1_22reduce_config_selectorIN6thrust23THRUST_200600_302600_NS5tupleIblNS6_9null_typeES8_S8_S8_S8_S8_S8_S8_EEEEZNS1_11reduce_implILb1ES3_NS6_12zip_iteratorINS7_INS6_11hip_rocprim26transform_input_iterator_tIbNSD_35transform_pair_of_input_iterators_tIbNS6_6detail15normal_iteratorINS6_10device_ptrIKxEEEESL_NS6_8equal_toIxEEEENSG_9not_fun_tINSD_8identityEEEEENSD_19counting_iterator_tIlEES8_S8_S8_S8_S8_S8_S8_S8_EEEEPS9_S9_NSD_9__find_if7functorIS9_EEEE10hipError_tPvRmT1_T2_T3_mT4_P12ihipStream_tbEUlT_E0_NS1_11comp_targetILNS1_3genE9ELNS1_11target_archE1100ELNS1_3gpuE3ELNS1_3repE0EEENS1_30default_config_static_selectorELNS0_4arch9wavefront6targetE1EEEvS14_.num_agpr, 0
	.set _ZN7rocprim17ROCPRIM_400000_NS6detail17trampoline_kernelINS0_14default_configENS1_22reduce_config_selectorIN6thrust23THRUST_200600_302600_NS5tupleIblNS6_9null_typeES8_S8_S8_S8_S8_S8_S8_EEEEZNS1_11reduce_implILb1ES3_NS6_12zip_iteratorINS7_INS6_11hip_rocprim26transform_input_iterator_tIbNSD_35transform_pair_of_input_iterators_tIbNS6_6detail15normal_iteratorINS6_10device_ptrIKxEEEESL_NS6_8equal_toIxEEEENSG_9not_fun_tINSD_8identityEEEEENSD_19counting_iterator_tIlEES8_S8_S8_S8_S8_S8_S8_S8_EEEEPS9_S9_NSD_9__find_if7functorIS9_EEEE10hipError_tPvRmT1_T2_T3_mT4_P12ihipStream_tbEUlT_E0_NS1_11comp_targetILNS1_3genE9ELNS1_11target_archE1100ELNS1_3gpuE3ELNS1_3repE0EEENS1_30default_config_static_selectorELNS0_4arch9wavefront6targetE1EEEvS14_.numbered_sgpr, 0
	.set _ZN7rocprim17ROCPRIM_400000_NS6detail17trampoline_kernelINS0_14default_configENS1_22reduce_config_selectorIN6thrust23THRUST_200600_302600_NS5tupleIblNS6_9null_typeES8_S8_S8_S8_S8_S8_S8_EEEEZNS1_11reduce_implILb1ES3_NS6_12zip_iteratorINS7_INS6_11hip_rocprim26transform_input_iterator_tIbNSD_35transform_pair_of_input_iterators_tIbNS6_6detail15normal_iteratorINS6_10device_ptrIKxEEEESL_NS6_8equal_toIxEEEENSG_9not_fun_tINSD_8identityEEEEENSD_19counting_iterator_tIlEES8_S8_S8_S8_S8_S8_S8_S8_EEEEPS9_S9_NSD_9__find_if7functorIS9_EEEE10hipError_tPvRmT1_T2_T3_mT4_P12ihipStream_tbEUlT_E0_NS1_11comp_targetILNS1_3genE9ELNS1_11target_archE1100ELNS1_3gpuE3ELNS1_3repE0EEENS1_30default_config_static_selectorELNS0_4arch9wavefront6targetE1EEEvS14_.num_named_barrier, 0
	.set _ZN7rocprim17ROCPRIM_400000_NS6detail17trampoline_kernelINS0_14default_configENS1_22reduce_config_selectorIN6thrust23THRUST_200600_302600_NS5tupleIblNS6_9null_typeES8_S8_S8_S8_S8_S8_S8_EEEEZNS1_11reduce_implILb1ES3_NS6_12zip_iteratorINS7_INS6_11hip_rocprim26transform_input_iterator_tIbNSD_35transform_pair_of_input_iterators_tIbNS6_6detail15normal_iteratorINS6_10device_ptrIKxEEEESL_NS6_8equal_toIxEEEENSG_9not_fun_tINSD_8identityEEEEENSD_19counting_iterator_tIlEES8_S8_S8_S8_S8_S8_S8_S8_EEEEPS9_S9_NSD_9__find_if7functorIS9_EEEE10hipError_tPvRmT1_T2_T3_mT4_P12ihipStream_tbEUlT_E0_NS1_11comp_targetILNS1_3genE9ELNS1_11target_archE1100ELNS1_3gpuE3ELNS1_3repE0EEENS1_30default_config_static_selectorELNS0_4arch9wavefront6targetE1EEEvS14_.private_seg_size, 0
	.set _ZN7rocprim17ROCPRIM_400000_NS6detail17trampoline_kernelINS0_14default_configENS1_22reduce_config_selectorIN6thrust23THRUST_200600_302600_NS5tupleIblNS6_9null_typeES8_S8_S8_S8_S8_S8_S8_EEEEZNS1_11reduce_implILb1ES3_NS6_12zip_iteratorINS7_INS6_11hip_rocprim26transform_input_iterator_tIbNSD_35transform_pair_of_input_iterators_tIbNS6_6detail15normal_iteratorINS6_10device_ptrIKxEEEESL_NS6_8equal_toIxEEEENSG_9not_fun_tINSD_8identityEEEEENSD_19counting_iterator_tIlEES8_S8_S8_S8_S8_S8_S8_S8_EEEEPS9_S9_NSD_9__find_if7functorIS9_EEEE10hipError_tPvRmT1_T2_T3_mT4_P12ihipStream_tbEUlT_E0_NS1_11comp_targetILNS1_3genE9ELNS1_11target_archE1100ELNS1_3gpuE3ELNS1_3repE0EEENS1_30default_config_static_selectorELNS0_4arch9wavefront6targetE1EEEvS14_.uses_vcc, 0
	.set _ZN7rocprim17ROCPRIM_400000_NS6detail17trampoline_kernelINS0_14default_configENS1_22reduce_config_selectorIN6thrust23THRUST_200600_302600_NS5tupleIblNS6_9null_typeES8_S8_S8_S8_S8_S8_S8_EEEEZNS1_11reduce_implILb1ES3_NS6_12zip_iteratorINS7_INS6_11hip_rocprim26transform_input_iterator_tIbNSD_35transform_pair_of_input_iterators_tIbNS6_6detail15normal_iteratorINS6_10device_ptrIKxEEEESL_NS6_8equal_toIxEEEENSG_9not_fun_tINSD_8identityEEEEENSD_19counting_iterator_tIlEES8_S8_S8_S8_S8_S8_S8_S8_EEEEPS9_S9_NSD_9__find_if7functorIS9_EEEE10hipError_tPvRmT1_T2_T3_mT4_P12ihipStream_tbEUlT_E0_NS1_11comp_targetILNS1_3genE9ELNS1_11target_archE1100ELNS1_3gpuE3ELNS1_3repE0EEENS1_30default_config_static_selectorELNS0_4arch9wavefront6targetE1EEEvS14_.uses_flat_scratch, 0
	.set _ZN7rocprim17ROCPRIM_400000_NS6detail17trampoline_kernelINS0_14default_configENS1_22reduce_config_selectorIN6thrust23THRUST_200600_302600_NS5tupleIblNS6_9null_typeES8_S8_S8_S8_S8_S8_S8_EEEEZNS1_11reduce_implILb1ES3_NS6_12zip_iteratorINS7_INS6_11hip_rocprim26transform_input_iterator_tIbNSD_35transform_pair_of_input_iterators_tIbNS6_6detail15normal_iteratorINS6_10device_ptrIKxEEEESL_NS6_8equal_toIxEEEENSG_9not_fun_tINSD_8identityEEEEENSD_19counting_iterator_tIlEES8_S8_S8_S8_S8_S8_S8_S8_EEEEPS9_S9_NSD_9__find_if7functorIS9_EEEE10hipError_tPvRmT1_T2_T3_mT4_P12ihipStream_tbEUlT_E0_NS1_11comp_targetILNS1_3genE9ELNS1_11target_archE1100ELNS1_3gpuE3ELNS1_3repE0EEENS1_30default_config_static_selectorELNS0_4arch9wavefront6targetE1EEEvS14_.has_dyn_sized_stack, 0
	.set _ZN7rocprim17ROCPRIM_400000_NS6detail17trampoline_kernelINS0_14default_configENS1_22reduce_config_selectorIN6thrust23THRUST_200600_302600_NS5tupleIblNS6_9null_typeES8_S8_S8_S8_S8_S8_S8_EEEEZNS1_11reduce_implILb1ES3_NS6_12zip_iteratorINS7_INS6_11hip_rocprim26transform_input_iterator_tIbNSD_35transform_pair_of_input_iterators_tIbNS6_6detail15normal_iteratorINS6_10device_ptrIKxEEEESL_NS6_8equal_toIxEEEENSG_9not_fun_tINSD_8identityEEEEENSD_19counting_iterator_tIlEES8_S8_S8_S8_S8_S8_S8_S8_EEEEPS9_S9_NSD_9__find_if7functorIS9_EEEE10hipError_tPvRmT1_T2_T3_mT4_P12ihipStream_tbEUlT_E0_NS1_11comp_targetILNS1_3genE9ELNS1_11target_archE1100ELNS1_3gpuE3ELNS1_3repE0EEENS1_30default_config_static_selectorELNS0_4arch9wavefront6targetE1EEEvS14_.has_recursion, 0
	.set _ZN7rocprim17ROCPRIM_400000_NS6detail17trampoline_kernelINS0_14default_configENS1_22reduce_config_selectorIN6thrust23THRUST_200600_302600_NS5tupleIblNS6_9null_typeES8_S8_S8_S8_S8_S8_S8_EEEEZNS1_11reduce_implILb1ES3_NS6_12zip_iteratorINS7_INS6_11hip_rocprim26transform_input_iterator_tIbNSD_35transform_pair_of_input_iterators_tIbNS6_6detail15normal_iteratorINS6_10device_ptrIKxEEEESL_NS6_8equal_toIxEEEENSG_9not_fun_tINSD_8identityEEEEENSD_19counting_iterator_tIlEES8_S8_S8_S8_S8_S8_S8_S8_EEEEPS9_S9_NSD_9__find_if7functorIS9_EEEE10hipError_tPvRmT1_T2_T3_mT4_P12ihipStream_tbEUlT_E0_NS1_11comp_targetILNS1_3genE9ELNS1_11target_archE1100ELNS1_3gpuE3ELNS1_3repE0EEENS1_30default_config_static_selectorELNS0_4arch9wavefront6targetE1EEEvS14_.has_indirect_call, 0
	.section	.AMDGPU.csdata,"",@progbits
; Kernel info:
; codeLenInByte = 0
; TotalNumSgprs: 6
; NumVgprs: 0
; NumAgprs: 0
; TotalNumVgprs: 0
; ScratchSize: 0
; MemoryBound: 0
; FloatMode: 240
; IeeeMode: 1
; LDSByteSize: 0 bytes/workgroup (compile time only)
; SGPRBlocks: 0
; VGPRBlocks: 0
; NumSGPRsForWavesPerEU: 6
; NumVGPRsForWavesPerEU: 1
; AccumOffset: 4
; Occupancy: 8
; WaveLimiterHint : 0
; COMPUTE_PGM_RSRC2:SCRATCH_EN: 0
; COMPUTE_PGM_RSRC2:USER_SGPR: 2
; COMPUTE_PGM_RSRC2:TRAP_HANDLER: 0
; COMPUTE_PGM_RSRC2:TGID_X_EN: 1
; COMPUTE_PGM_RSRC2:TGID_Y_EN: 0
; COMPUTE_PGM_RSRC2:TGID_Z_EN: 0
; COMPUTE_PGM_RSRC2:TIDIG_COMP_CNT: 0
; COMPUTE_PGM_RSRC3_GFX90A:ACCUM_OFFSET: 0
; COMPUTE_PGM_RSRC3_GFX90A:TG_SPLIT: 0
	.section	.text._ZN7rocprim17ROCPRIM_400000_NS6detail17trampoline_kernelINS0_14default_configENS1_22reduce_config_selectorIN6thrust23THRUST_200600_302600_NS5tupleIblNS6_9null_typeES8_S8_S8_S8_S8_S8_S8_EEEEZNS1_11reduce_implILb1ES3_NS6_12zip_iteratorINS7_INS6_11hip_rocprim26transform_input_iterator_tIbNSD_35transform_pair_of_input_iterators_tIbNS6_6detail15normal_iteratorINS6_10device_ptrIKxEEEESL_NS6_8equal_toIxEEEENSG_9not_fun_tINSD_8identityEEEEENSD_19counting_iterator_tIlEES8_S8_S8_S8_S8_S8_S8_S8_EEEEPS9_S9_NSD_9__find_if7functorIS9_EEEE10hipError_tPvRmT1_T2_T3_mT4_P12ihipStream_tbEUlT_E0_NS1_11comp_targetILNS1_3genE8ELNS1_11target_archE1030ELNS1_3gpuE2ELNS1_3repE0EEENS1_30default_config_static_selectorELNS0_4arch9wavefront6targetE1EEEvS14_,"axG",@progbits,_ZN7rocprim17ROCPRIM_400000_NS6detail17trampoline_kernelINS0_14default_configENS1_22reduce_config_selectorIN6thrust23THRUST_200600_302600_NS5tupleIblNS6_9null_typeES8_S8_S8_S8_S8_S8_S8_EEEEZNS1_11reduce_implILb1ES3_NS6_12zip_iteratorINS7_INS6_11hip_rocprim26transform_input_iterator_tIbNSD_35transform_pair_of_input_iterators_tIbNS6_6detail15normal_iteratorINS6_10device_ptrIKxEEEESL_NS6_8equal_toIxEEEENSG_9not_fun_tINSD_8identityEEEEENSD_19counting_iterator_tIlEES8_S8_S8_S8_S8_S8_S8_S8_EEEEPS9_S9_NSD_9__find_if7functorIS9_EEEE10hipError_tPvRmT1_T2_T3_mT4_P12ihipStream_tbEUlT_E0_NS1_11comp_targetILNS1_3genE8ELNS1_11target_archE1030ELNS1_3gpuE2ELNS1_3repE0EEENS1_30default_config_static_selectorELNS0_4arch9wavefront6targetE1EEEvS14_,comdat
	.protected	_ZN7rocprim17ROCPRIM_400000_NS6detail17trampoline_kernelINS0_14default_configENS1_22reduce_config_selectorIN6thrust23THRUST_200600_302600_NS5tupleIblNS6_9null_typeES8_S8_S8_S8_S8_S8_S8_EEEEZNS1_11reduce_implILb1ES3_NS6_12zip_iteratorINS7_INS6_11hip_rocprim26transform_input_iterator_tIbNSD_35transform_pair_of_input_iterators_tIbNS6_6detail15normal_iteratorINS6_10device_ptrIKxEEEESL_NS6_8equal_toIxEEEENSG_9not_fun_tINSD_8identityEEEEENSD_19counting_iterator_tIlEES8_S8_S8_S8_S8_S8_S8_S8_EEEEPS9_S9_NSD_9__find_if7functorIS9_EEEE10hipError_tPvRmT1_T2_T3_mT4_P12ihipStream_tbEUlT_E0_NS1_11comp_targetILNS1_3genE8ELNS1_11target_archE1030ELNS1_3gpuE2ELNS1_3repE0EEENS1_30default_config_static_selectorELNS0_4arch9wavefront6targetE1EEEvS14_ ; -- Begin function _ZN7rocprim17ROCPRIM_400000_NS6detail17trampoline_kernelINS0_14default_configENS1_22reduce_config_selectorIN6thrust23THRUST_200600_302600_NS5tupleIblNS6_9null_typeES8_S8_S8_S8_S8_S8_S8_EEEEZNS1_11reduce_implILb1ES3_NS6_12zip_iteratorINS7_INS6_11hip_rocprim26transform_input_iterator_tIbNSD_35transform_pair_of_input_iterators_tIbNS6_6detail15normal_iteratorINS6_10device_ptrIKxEEEESL_NS6_8equal_toIxEEEENSG_9not_fun_tINSD_8identityEEEEENSD_19counting_iterator_tIlEES8_S8_S8_S8_S8_S8_S8_S8_EEEEPS9_S9_NSD_9__find_if7functorIS9_EEEE10hipError_tPvRmT1_T2_T3_mT4_P12ihipStream_tbEUlT_E0_NS1_11comp_targetILNS1_3genE8ELNS1_11target_archE1030ELNS1_3gpuE2ELNS1_3repE0EEENS1_30default_config_static_selectorELNS0_4arch9wavefront6targetE1EEEvS14_
	.globl	_ZN7rocprim17ROCPRIM_400000_NS6detail17trampoline_kernelINS0_14default_configENS1_22reduce_config_selectorIN6thrust23THRUST_200600_302600_NS5tupleIblNS6_9null_typeES8_S8_S8_S8_S8_S8_S8_EEEEZNS1_11reduce_implILb1ES3_NS6_12zip_iteratorINS7_INS6_11hip_rocprim26transform_input_iterator_tIbNSD_35transform_pair_of_input_iterators_tIbNS6_6detail15normal_iteratorINS6_10device_ptrIKxEEEESL_NS6_8equal_toIxEEEENSG_9not_fun_tINSD_8identityEEEEENSD_19counting_iterator_tIlEES8_S8_S8_S8_S8_S8_S8_S8_EEEEPS9_S9_NSD_9__find_if7functorIS9_EEEE10hipError_tPvRmT1_T2_T3_mT4_P12ihipStream_tbEUlT_E0_NS1_11comp_targetILNS1_3genE8ELNS1_11target_archE1030ELNS1_3gpuE2ELNS1_3repE0EEENS1_30default_config_static_selectorELNS0_4arch9wavefront6targetE1EEEvS14_
	.p2align	8
	.type	_ZN7rocprim17ROCPRIM_400000_NS6detail17trampoline_kernelINS0_14default_configENS1_22reduce_config_selectorIN6thrust23THRUST_200600_302600_NS5tupleIblNS6_9null_typeES8_S8_S8_S8_S8_S8_S8_EEEEZNS1_11reduce_implILb1ES3_NS6_12zip_iteratorINS7_INS6_11hip_rocprim26transform_input_iterator_tIbNSD_35transform_pair_of_input_iterators_tIbNS6_6detail15normal_iteratorINS6_10device_ptrIKxEEEESL_NS6_8equal_toIxEEEENSG_9not_fun_tINSD_8identityEEEEENSD_19counting_iterator_tIlEES8_S8_S8_S8_S8_S8_S8_S8_EEEEPS9_S9_NSD_9__find_if7functorIS9_EEEE10hipError_tPvRmT1_T2_T3_mT4_P12ihipStream_tbEUlT_E0_NS1_11comp_targetILNS1_3genE8ELNS1_11target_archE1030ELNS1_3gpuE2ELNS1_3repE0EEENS1_30default_config_static_selectorELNS0_4arch9wavefront6targetE1EEEvS14_,@function
_ZN7rocprim17ROCPRIM_400000_NS6detail17trampoline_kernelINS0_14default_configENS1_22reduce_config_selectorIN6thrust23THRUST_200600_302600_NS5tupleIblNS6_9null_typeES8_S8_S8_S8_S8_S8_S8_EEEEZNS1_11reduce_implILb1ES3_NS6_12zip_iteratorINS7_INS6_11hip_rocprim26transform_input_iterator_tIbNSD_35transform_pair_of_input_iterators_tIbNS6_6detail15normal_iteratorINS6_10device_ptrIKxEEEESL_NS6_8equal_toIxEEEENSG_9not_fun_tINSD_8identityEEEEENSD_19counting_iterator_tIlEES8_S8_S8_S8_S8_S8_S8_S8_EEEEPS9_S9_NSD_9__find_if7functorIS9_EEEE10hipError_tPvRmT1_T2_T3_mT4_P12ihipStream_tbEUlT_E0_NS1_11comp_targetILNS1_3genE8ELNS1_11target_archE1030ELNS1_3gpuE2ELNS1_3repE0EEENS1_30default_config_static_selectorELNS0_4arch9wavefront6targetE1EEEvS14_: ; @_ZN7rocprim17ROCPRIM_400000_NS6detail17trampoline_kernelINS0_14default_configENS1_22reduce_config_selectorIN6thrust23THRUST_200600_302600_NS5tupleIblNS6_9null_typeES8_S8_S8_S8_S8_S8_S8_EEEEZNS1_11reduce_implILb1ES3_NS6_12zip_iteratorINS7_INS6_11hip_rocprim26transform_input_iterator_tIbNSD_35transform_pair_of_input_iterators_tIbNS6_6detail15normal_iteratorINS6_10device_ptrIKxEEEESL_NS6_8equal_toIxEEEENSG_9not_fun_tINSD_8identityEEEEENSD_19counting_iterator_tIlEES8_S8_S8_S8_S8_S8_S8_S8_EEEEPS9_S9_NSD_9__find_if7functorIS9_EEEE10hipError_tPvRmT1_T2_T3_mT4_P12ihipStream_tbEUlT_E0_NS1_11comp_targetILNS1_3genE8ELNS1_11target_archE1030ELNS1_3gpuE2ELNS1_3repE0EEENS1_30default_config_static_selectorELNS0_4arch9wavefront6targetE1EEEvS14_
; %bb.0:
	.section	.rodata,"a",@progbits
	.p2align	6, 0x0
	.amdhsa_kernel _ZN7rocprim17ROCPRIM_400000_NS6detail17trampoline_kernelINS0_14default_configENS1_22reduce_config_selectorIN6thrust23THRUST_200600_302600_NS5tupleIblNS6_9null_typeES8_S8_S8_S8_S8_S8_S8_EEEEZNS1_11reduce_implILb1ES3_NS6_12zip_iteratorINS7_INS6_11hip_rocprim26transform_input_iterator_tIbNSD_35transform_pair_of_input_iterators_tIbNS6_6detail15normal_iteratorINS6_10device_ptrIKxEEEESL_NS6_8equal_toIxEEEENSG_9not_fun_tINSD_8identityEEEEENSD_19counting_iterator_tIlEES8_S8_S8_S8_S8_S8_S8_S8_EEEEPS9_S9_NSD_9__find_if7functorIS9_EEEE10hipError_tPvRmT1_T2_T3_mT4_P12ihipStream_tbEUlT_E0_NS1_11comp_targetILNS1_3genE8ELNS1_11target_archE1030ELNS1_3gpuE2ELNS1_3repE0EEENS1_30default_config_static_selectorELNS0_4arch9wavefront6targetE1EEEvS14_
		.amdhsa_group_segment_fixed_size 0
		.amdhsa_private_segment_fixed_size 0
		.amdhsa_kernarg_size 104
		.amdhsa_user_sgpr_count 2
		.amdhsa_user_sgpr_dispatch_ptr 0
		.amdhsa_user_sgpr_queue_ptr 0
		.amdhsa_user_sgpr_kernarg_segment_ptr 1
		.amdhsa_user_sgpr_dispatch_id 0
		.amdhsa_user_sgpr_kernarg_preload_length 0
		.amdhsa_user_sgpr_kernarg_preload_offset 0
		.amdhsa_user_sgpr_private_segment_size 0
		.amdhsa_uses_dynamic_stack 0
		.amdhsa_enable_private_segment 0
		.amdhsa_system_sgpr_workgroup_id_x 1
		.amdhsa_system_sgpr_workgroup_id_y 0
		.amdhsa_system_sgpr_workgroup_id_z 0
		.amdhsa_system_sgpr_workgroup_info 0
		.amdhsa_system_vgpr_workitem_id 0
		.amdhsa_next_free_vgpr 1
		.amdhsa_next_free_sgpr 0
		.amdhsa_accum_offset 4
		.amdhsa_reserve_vcc 0
		.amdhsa_float_round_mode_32 0
		.amdhsa_float_round_mode_16_64 0
		.amdhsa_float_denorm_mode_32 3
		.amdhsa_float_denorm_mode_16_64 3
		.amdhsa_dx10_clamp 1
		.amdhsa_ieee_mode 1
		.amdhsa_fp16_overflow 0
		.amdhsa_tg_split 0
		.amdhsa_exception_fp_ieee_invalid_op 0
		.amdhsa_exception_fp_denorm_src 0
		.amdhsa_exception_fp_ieee_div_zero 0
		.amdhsa_exception_fp_ieee_overflow 0
		.amdhsa_exception_fp_ieee_underflow 0
		.amdhsa_exception_fp_ieee_inexact 0
		.amdhsa_exception_int_div_zero 0
	.end_amdhsa_kernel
	.section	.text._ZN7rocprim17ROCPRIM_400000_NS6detail17trampoline_kernelINS0_14default_configENS1_22reduce_config_selectorIN6thrust23THRUST_200600_302600_NS5tupleIblNS6_9null_typeES8_S8_S8_S8_S8_S8_S8_EEEEZNS1_11reduce_implILb1ES3_NS6_12zip_iteratorINS7_INS6_11hip_rocprim26transform_input_iterator_tIbNSD_35transform_pair_of_input_iterators_tIbNS6_6detail15normal_iteratorINS6_10device_ptrIKxEEEESL_NS6_8equal_toIxEEEENSG_9not_fun_tINSD_8identityEEEEENSD_19counting_iterator_tIlEES8_S8_S8_S8_S8_S8_S8_S8_EEEEPS9_S9_NSD_9__find_if7functorIS9_EEEE10hipError_tPvRmT1_T2_T3_mT4_P12ihipStream_tbEUlT_E0_NS1_11comp_targetILNS1_3genE8ELNS1_11target_archE1030ELNS1_3gpuE2ELNS1_3repE0EEENS1_30default_config_static_selectorELNS0_4arch9wavefront6targetE1EEEvS14_,"axG",@progbits,_ZN7rocprim17ROCPRIM_400000_NS6detail17trampoline_kernelINS0_14default_configENS1_22reduce_config_selectorIN6thrust23THRUST_200600_302600_NS5tupleIblNS6_9null_typeES8_S8_S8_S8_S8_S8_S8_EEEEZNS1_11reduce_implILb1ES3_NS6_12zip_iteratorINS7_INS6_11hip_rocprim26transform_input_iterator_tIbNSD_35transform_pair_of_input_iterators_tIbNS6_6detail15normal_iteratorINS6_10device_ptrIKxEEEESL_NS6_8equal_toIxEEEENSG_9not_fun_tINSD_8identityEEEEENSD_19counting_iterator_tIlEES8_S8_S8_S8_S8_S8_S8_S8_EEEEPS9_S9_NSD_9__find_if7functorIS9_EEEE10hipError_tPvRmT1_T2_T3_mT4_P12ihipStream_tbEUlT_E0_NS1_11comp_targetILNS1_3genE8ELNS1_11target_archE1030ELNS1_3gpuE2ELNS1_3repE0EEENS1_30default_config_static_selectorELNS0_4arch9wavefront6targetE1EEEvS14_,comdat
.Lfunc_end1259:
	.size	_ZN7rocprim17ROCPRIM_400000_NS6detail17trampoline_kernelINS0_14default_configENS1_22reduce_config_selectorIN6thrust23THRUST_200600_302600_NS5tupleIblNS6_9null_typeES8_S8_S8_S8_S8_S8_S8_EEEEZNS1_11reduce_implILb1ES3_NS6_12zip_iteratorINS7_INS6_11hip_rocprim26transform_input_iterator_tIbNSD_35transform_pair_of_input_iterators_tIbNS6_6detail15normal_iteratorINS6_10device_ptrIKxEEEESL_NS6_8equal_toIxEEEENSG_9not_fun_tINSD_8identityEEEEENSD_19counting_iterator_tIlEES8_S8_S8_S8_S8_S8_S8_S8_EEEEPS9_S9_NSD_9__find_if7functorIS9_EEEE10hipError_tPvRmT1_T2_T3_mT4_P12ihipStream_tbEUlT_E0_NS1_11comp_targetILNS1_3genE8ELNS1_11target_archE1030ELNS1_3gpuE2ELNS1_3repE0EEENS1_30default_config_static_selectorELNS0_4arch9wavefront6targetE1EEEvS14_, .Lfunc_end1259-_ZN7rocprim17ROCPRIM_400000_NS6detail17trampoline_kernelINS0_14default_configENS1_22reduce_config_selectorIN6thrust23THRUST_200600_302600_NS5tupleIblNS6_9null_typeES8_S8_S8_S8_S8_S8_S8_EEEEZNS1_11reduce_implILb1ES3_NS6_12zip_iteratorINS7_INS6_11hip_rocprim26transform_input_iterator_tIbNSD_35transform_pair_of_input_iterators_tIbNS6_6detail15normal_iteratorINS6_10device_ptrIKxEEEESL_NS6_8equal_toIxEEEENSG_9not_fun_tINSD_8identityEEEEENSD_19counting_iterator_tIlEES8_S8_S8_S8_S8_S8_S8_S8_EEEEPS9_S9_NSD_9__find_if7functorIS9_EEEE10hipError_tPvRmT1_T2_T3_mT4_P12ihipStream_tbEUlT_E0_NS1_11comp_targetILNS1_3genE8ELNS1_11target_archE1030ELNS1_3gpuE2ELNS1_3repE0EEENS1_30default_config_static_selectorELNS0_4arch9wavefront6targetE1EEEvS14_
                                        ; -- End function
	.set _ZN7rocprim17ROCPRIM_400000_NS6detail17trampoline_kernelINS0_14default_configENS1_22reduce_config_selectorIN6thrust23THRUST_200600_302600_NS5tupleIblNS6_9null_typeES8_S8_S8_S8_S8_S8_S8_EEEEZNS1_11reduce_implILb1ES3_NS6_12zip_iteratorINS7_INS6_11hip_rocprim26transform_input_iterator_tIbNSD_35transform_pair_of_input_iterators_tIbNS6_6detail15normal_iteratorINS6_10device_ptrIKxEEEESL_NS6_8equal_toIxEEEENSG_9not_fun_tINSD_8identityEEEEENSD_19counting_iterator_tIlEES8_S8_S8_S8_S8_S8_S8_S8_EEEEPS9_S9_NSD_9__find_if7functorIS9_EEEE10hipError_tPvRmT1_T2_T3_mT4_P12ihipStream_tbEUlT_E0_NS1_11comp_targetILNS1_3genE8ELNS1_11target_archE1030ELNS1_3gpuE2ELNS1_3repE0EEENS1_30default_config_static_selectorELNS0_4arch9wavefront6targetE1EEEvS14_.num_vgpr, 0
	.set _ZN7rocprim17ROCPRIM_400000_NS6detail17trampoline_kernelINS0_14default_configENS1_22reduce_config_selectorIN6thrust23THRUST_200600_302600_NS5tupleIblNS6_9null_typeES8_S8_S8_S8_S8_S8_S8_EEEEZNS1_11reduce_implILb1ES3_NS6_12zip_iteratorINS7_INS6_11hip_rocprim26transform_input_iterator_tIbNSD_35transform_pair_of_input_iterators_tIbNS6_6detail15normal_iteratorINS6_10device_ptrIKxEEEESL_NS6_8equal_toIxEEEENSG_9not_fun_tINSD_8identityEEEEENSD_19counting_iterator_tIlEES8_S8_S8_S8_S8_S8_S8_S8_EEEEPS9_S9_NSD_9__find_if7functorIS9_EEEE10hipError_tPvRmT1_T2_T3_mT4_P12ihipStream_tbEUlT_E0_NS1_11comp_targetILNS1_3genE8ELNS1_11target_archE1030ELNS1_3gpuE2ELNS1_3repE0EEENS1_30default_config_static_selectorELNS0_4arch9wavefront6targetE1EEEvS14_.num_agpr, 0
	.set _ZN7rocprim17ROCPRIM_400000_NS6detail17trampoline_kernelINS0_14default_configENS1_22reduce_config_selectorIN6thrust23THRUST_200600_302600_NS5tupleIblNS6_9null_typeES8_S8_S8_S8_S8_S8_S8_EEEEZNS1_11reduce_implILb1ES3_NS6_12zip_iteratorINS7_INS6_11hip_rocprim26transform_input_iterator_tIbNSD_35transform_pair_of_input_iterators_tIbNS6_6detail15normal_iteratorINS6_10device_ptrIKxEEEESL_NS6_8equal_toIxEEEENSG_9not_fun_tINSD_8identityEEEEENSD_19counting_iterator_tIlEES8_S8_S8_S8_S8_S8_S8_S8_EEEEPS9_S9_NSD_9__find_if7functorIS9_EEEE10hipError_tPvRmT1_T2_T3_mT4_P12ihipStream_tbEUlT_E0_NS1_11comp_targetILNS1_3genE8ELNS1_11target_archE1030ELNS1_3gpuE2ELNS1_3repE0EEENS1_30default_config_static_selectorELNS0_4arch9wavefront6targetE1EEEvS14_.numbered_sgpr, 0
	.set _ZN7rocprim17ROCPRIM_400000_NS6detail17trampoline_kernelINS0_14default_configENS1_22reduce_config_selectorIN6thrust23THRUST_200600_302600_NS5tupleIblNS6_9null_typeES8_S8_S8_S8_S8_S8_S8_EEEEZNS1_11reduce_implILb1ES3_NS6_12zip_iteratorINS7_INS6_11hip_rocprim26transform_input_iterator_tIbNSD_35transform_pair_of_input_iterators_tIbNS6_6detail15normal_iteratorINS6_10device_ptrIKxEEEESL_NS6_8equal_toIxEEEENSG_9not_fun_tINSD_8identityEEEEENSD_19counting_iterator_tIlEES8_S8_S8_S8_S8_S8_S8_S8_EEEEPS9_S9_NSD_9__find_if7functorIS9_EEEE10hipError_tPvRmT1_T2_T3_mT4_P12ihipStream_tbEUlT_E0_NS1_11comp_targetILNS1_3genE8ELNS1_11target_archE1030ELNS1_3gpuE2ELNS1_3repE0EEENS1_30default_config_static_selectorELNS0_4arch9wavefront6targetE1EEEvS14_.num_named_barrier, 0
	.set _ZN7rocprim17ROCPRIM_400000_NS6detail17trampoline_kernelINS0_14default_configENS1_22reduce_config_selectorIN6thrust23THRUST_200600_302600_NS5tupleIblNS6_9null_typeES8_S8_S8_S8_S8_S8_S8_EEEEZNS1_11reduce_implILb1ES3_NS6_12zip_iteratorINS7_INS6_11hip_rocprim26transform_input_iterator_tIbNSD_35transform_pair_of_input_iterators_tIbNS6_6detail15normal_iteratorINS6_10device_ptrIKxEEEESL_NS6_8equal_toIxEEEENSG_9not_fun_tINSD_8identityEEEEENSD_19counting_iterator_tIlEES8_S8_S8_S8_S8_S8_S8_S8_EEEEPS9_S9_NSD_9__find_if7functorIS9_EEEE10hipError_tPvRmT1_T2_T3_mT4_P12ihipStream_tbEUlT_E0_NS1_11comp_targetILNS1_3genE8ELNS1_11target_archE1030ELNS1_3gpuE2ELNS1_3repE0EEENS1_30default_config_static_selectorELNS0_4arch9wavefront6targetE1EEEvS14_.private_seg_size, 0
	.set _ZN7rocprim17ROCPRIM_400000_NS6detail17trampoline_kernelINS0_14default_configENS1_22reduce_config_selectorIN6thrust23THRUST_200600_302600_NS5tupleIblNS6_9null_typeES8_S8_S8_S8_S8_S8_S8_EEEEZNS1_11reduce_implILb1ES3_NS6_12zip_iteratorINS7_INS6_11hip_rocprim26transform_input_iterator_tIbNSD_35transform_pair_of_input_iterators_tIbNS6_6detail15normal_iteratorINS6_10device_ptrIKxEEEESL_NS6_8equal_toIxEEEENSG_9not_fun_tINSD_8identityEEEEENSD_19counting_iterator_tIlEES8_S8_S8_S8_S8_S8_S8_S8_EEEEPS9_S9_NSD_9__find_if7functorIS9_EEEE10hipError_tPvRmT1_T2_T3_mT4_P12ihipStream_tbEUlT_E0_NS1_11comp_targetILNS1_3genE8ELNS1_11target_archE1030ELNS1_3gpuE2ELNS1_3repE0EEENS1_30default_config_static_selectorELNS0_4arch9wavefront6targetE1EEEvS14_.uses_vcc, 0
	.set _ZN7rocprim17ROCPRIM_400000_NS6detail17trampoline_kernelINS0_14default_configENS1_22reduce_config_selectorIN6thrust23THRUST_200600_302600_NS5tupleIblNS6_9null_typeES8_S8_S8_S8_S8_S8_S8_EEEEZNS1_11reduce_implILb1ES3_NS6_12zip_iteratorINS7_INS6_11hip_rocprim26transform_input_iterator_tIbNSD_35transform_pair_of_input_iterators_tIbNS6_6detail15normal_iteratorINS6_10device_ptrIKxEEEESL_NS6_8equal_toIxEEEENSG_9not_fun_tINSD_8identityEEEEENSD_19counting_iterator_tIlEES8_S8_S8_S8_S8_S8_S8_S8_EEEEPS9_S9_NSD_9__find_if7functorIS9_EEEE10hipError_tPvRmT1_T2_T3_mT4_P12ihipStream_tbEUlT_E0_NS1_11comp_targetILNS1_3genE8ELNS1_11target_archE1030ELNS1_3gpuE2ELNS1_3repE0EEENS1_30default_config_static_selectorELNS0_4arch9wavefront6targetE1EEEvS14_.uses_flat_scratch, 0
	.set _ZN7rocprim17ROCPRIM_400000_NS6detail17trampoline_kernelINS0_14default_configENS1_22reduce_config_selectorIN6thrust23THRUST_200600_302600_NS5tupleIblNS6_9null_typeES8_S8_S8_S8_S8_S8_S8_EEEEZNS1_11reduce_implILb1ES3_NS6_12zip_iteratorINS7_INS6_11hip_rocprim26transform_input_iterator_tIbNSD_35transform_pair_of_input_iterators_tIbNS6_6detail15normal_iteratorINS6_10device_ptrIKxEEEESL_NS6_8equal_toIxEEEENSG_9not_fun_tINSD_8identityEEEEENSD_19counting_iterator_tIlEES8_S8_S8_S8_S8_S8_S8_S8_EEEEPS9_S9_NSD_9__find_if7functorIS9_EEEE10hipError_tPvRmT1_T2_T3_mT4_P12ihipStream_tbEUlT_E0_NS1_11comp_targetILNS1_3genE8ELNS1_11target_archE1030ELNS1_3gpuE2ELNS1_3repE0EEENS1_30default_config_static_selectorELNS0_4arch9wavefront6targetE1EEEvS14_.has_dyn_sized_stack, 0
	.set _ZN7rocprim17ROCPRIM_400000_NS6detail17trampoline_kernelINS0_14default_configENS1_22reduce_config_selectorIN6thrust23THRUST_200600_302600_NS5tupleIblNS6_9null_typeES8_S8_S8_S8_S8_S8_S8_EEEEZNS1_11reduce_implILb1ES3_NS6_12zip_iteratorINS7_INS6_11hip_rocprim26transform_input_iterator_tIbNSD_35transform_pair_of_input_iterators_tIbNS6_6detail15normal_iteratorINS6_10device_ptrIKxEEEESL_NS6_8equal_toIxEEEENSG_9not_fun_tINSD_8identityEEEEENSD_19counting_iterator_tIlEES8_S8_S8_S8_S8_S8_S8_S8_EEEEPS9_S9_NSD_9__find_if7functorIS9_EEEE10hipError_tPvRmT1_T2_T3_mT4_P12ihipStream_tbEUlT_E0_NS1_11comp_targetILNS1_3genE8ELNS1_11target_archE1030ELNS1_3gpuE2ELNS1_3repE0EEENS1_30default_config_static_selectorELNS0_4arch9wavefront6targetE1EEEvS14_.has_recursion, 0
	.set _ZN7rocprim17ROCPRIM_400000_NS6detail17trampoline_kernelINS0_14default_configENS1_22reduce_config_selectorIN6thrust23THRUST_200600_302600_NS5tupleIblNS6_9null_typeES8_S8_S8_S8_S8_S8_S8_EEEEZNS1_11reduce_implILb1ES3_NS6_12zip_iteratorINS7_INS6_11hip_rocprim26transform_input_iterator_tIbNSD_35transform_pair_of_input_iterators_tIbNS6_6detail15normal_iteratorINS6_10device_ptrIKxEEEESL_NS6_8equal_toIxEEEENSG_9not_fun_tINSD_8identityEEEEENSD_19counting_iterator_tIlEES8_S8_S8_S8_S8_S8_S8_S8_EEEEPS9_S9_NSD_9__find_if7functorIS9_EEEE10hipError_tPvRmT1_T2_T3_mT4_P12ihipStream_tbEUlT_E0_NS1_11comp_targetILNS1_3genE8ELNS1_11target_archE1030ELNS1_3gpuE2ELNS1_3repE0EEENS1_30default_config_static_selectorELNS0_4arch9wavefront6targetE1EEEvS14_.has_indirect_call, 0
	.section	.AMDGPU.csdata,"",@progbits
; Kernel info:
; codeLenInByte = 0
; TotalNumSgprs: 6
; NumVgprs: 0
; NumAgprs: 0
; TotalNumVgprs: 0
; ScratchSize: 0
; MemoryBound: 0
; FloatMode: 240
; IeeeMode: 1
; LDSByteSize: 0 bytes/workgroup (compile time only)
; SGPRBlocks: 0
; VGPRBlocks: 0
; NumSGPRsForWavesPerEU: 6
; NumVGPRsForWavesPerEU: 1
; AccumOffset: 4
; Occupancy: 8
; WaveLimiterHint : 0
; COMPUTE_PGM_RSRC2:SCRATCH_EN: 0
; COMPUTE_PGM_RSRC2:USER_SGPR: 2
; COMPUTE_PGM_RSRC2:TRAP_HANDLER: 0
; COMPUTE_PGM_RSRC2:TGID_X_EN: 1
; COMPUTE_PGM_RSRC2:TGID_Y_EN: 0
; COMPUTE_PGM_RSRC2:TGID_Z_EN: 0
; COMPUTE_PGM_RSRC2:TIDIG_COMP_CNT: 0
; COMPUTE_PGM_RSRC3_GFX90A:ACCUM_OFFSET: 0
; COMPUTE_PGM_RSRC3_GFX90A:TG_SPLIT: 0
	.section	.text._ZN7rocprim17ROCPRIM_400000_NS6detail17trampoline_kernelINS0_14default_configENS1_22reduce_config_selectorIN6thrust23THRUST_200600_302600_NS5tupleIblNS6_9null_typeES8_S8_S8_S8_S8_S8_S8_EEEEZNS1_11reduce_implILb1ES3_NS6_12zip_iteratorINS7_INS6_11hip_rocprim26transform_input_iterator_tIbNSD_35transform_pair_of_input_iterators_tIbNS6_6detail15normal_iteratorINS6_10device_ptrIKxEEEESL_NS6_8equal_toIxEEEENSG_9not_fun_tINSD_8identityEEEEENSD_19counting_iterator_tIlEES8_S8_S8_S8_S8_S8_S8_S8_EEEEPS9_S9_NSD_9__find_if7functorIS9_EEEE10hipError_tPvRmT1_T2_T3_mT4_P12ihipStream_tbEUlT_E1_NS1_11comp_targetILNS1_3genE0ELNS1_11target_archE4294967295ELNS1_3gpuE0ELNS1_3repE0EEENS1_30default_config_static_selectorELNS0_4arch9wavefront6targetE1EEEvS14_,"axG",@progbits,_ZN7rocprim17ROCPRIM_400000_NS6detail17trampoline_kernelINS0_14default_configENS1_22reduce_config_selectorIN6thrust23THRUST_200600_302600_NS5tupleIblNS6_9null_typeES8_S8_S8_S8_S8_S8_S8_EEEEZNS1_11reduce_implILb1ES3_NS6_12zip_iteratorINS7_INS6_11hip_rocprim26transform_input_iterator_tIbNSD_35transform_pair_of_input_iterators_tIbNS6_6detail15normal_iteratorINS6_10device_ptrIKxEEEESL_NS6_8equal_toIxEEEENSG_9not_fun_tINSD_8identityEEEEENSD_19counting_iterator_tIlEES8_S8_S8_S8_S8_S8_S8_S8_EEEEPS9_S9_NSD_9__find_if7functorIS9_EEEE10hipError_tPvRmT1_T2_T3_mT4_P12ihipStream_tbEUlT_E1_NS1_11comp_targetILNS1_3genE0ELNS1_11target_archE4294967295ELNS1_3gpuE0ELNS1_3repE0EEENS1_30default_config_static_selectorELNS0_4arch9wavefront6targetE1EEEvS14_,comdat
	.protected	_ZN7rocprim17ROCPRIM_400000_NS6detail17trampoline_kernelINS0_14default_configENS1_22reduce_config_selectorIN6thrust23THRUST_200600_302600_NS5tupleIblNS6_9null_typeES8_S8_S8_S8_S8_S8_S8_EEEEZNS1_11reduce_implILb1ES3_NS6_12zip_iteratorINS7_INS6_11hip_rocprim26transform_input_iterator_tIbNSD_35transform_pair_of_input_iterators_tIbNS6_6detail15normal_iteratorINS6_10device_ptrIKxEEEESL_NS6_8equal_toIxEEEENSG_9not_fun_tINSD_8identityEEEEENSD_19counting_iterator_tIlEES8_S8_S8_S8_S8_S8_S8_S8_EEEEPS9_S9_NSD_9__find_if7functorIS9_EEEE10hipError_tPvRmT1_T2_T3_mT4_P12ihipStream_tbEUlT_E1_NS1_11comp_targetILNS1_3genE0ELNS1_11target_archE4294967295ELNS1_3gpuE0ELNS1_3repE0EEENS1_30default_config_static_selectorELNS0_4arch9wavefront6targetE1EEEvS14_ ; -- Begin function _ZN7rocprim17ROCPRIM_400000_NS6detail17trampoline_kernelINS0_14default_configENS1_22reduce_config_selectorIN6thrust23THRUST_200600_302600_NS5tupleIblNS6_9null_typeES8_S8_S8_S8_S8_S8_S8_EEEEZNS1_11reduce_implILb1ES3_NS6_12zip_iteratorINS7_INS6_11hip_rocprim26transform_input_iterator_tIbNSD_35transform_pair_of_input_iterators_tIbNS6_6detail15normal_iteratorINS6_10device_ptrIKxEEEESL_NS6_8equal_toIxEEEENSG_9not_fun_tINSD_8identityEEEEENSD_19counting_iterator_tIlEES8_S8_S8_S8_S8_S8_S8_S8_EEEEPS9_S9_NSD_9__find_if7functorIS9_EEEE10hipError_tPvRmT1_T2_T3_mT4_P12ihipStream_tbEUlT_E1_NS1_11comp_targetILNS1_3genE0ELNS1_11target_archE4294967295ELNS1_3gpuE0ELNS1_3repE0EEENS1_30default_config_static_selectorELNS0_4arch9wavefront6targetE1EEEvS14_
	.globl	_ZN7rocprim17ROCPRIM_400000_NS6detail17trampoline_kernelINS0_14default_configENS1_22reduce_config_selectorIN6thrust23THRUST_200600_302600_NS5tupleIblNS6_9null_typeES8_S8_S8_S8_S8_S8_S8_EEEEZNS1_11reduce_implILb1ES3_NS6_12zip_iteratorINS7_INS6_11hip_rocprim26transform_input_iterator_tIbNSD_35transform_pair_of_input_iterators_tIbNS6_6detail15normal_iteratorINS6_10device_ptrIKxEEEESL_NS6_8equal_toIxEEEENSG_9not_fun_tINSD_8identityEEEEENSD_19counting_iterator_tIlEES8_S8_S8_S8_S8_S8_S8_S8_EEEEPS9_S9_NSD_9__find_if7functorIS9_EEEE10hipError_tPvRmT1_T2_T3_mT4_P12ihipStream_tbEUlT_E1_NS1_11comp_targetILNS1_3genE0ELNS1_11target_archE4294967295ELNS1_3gpuE0ELNS1_3repE0EEENS1_30default_config_static_selectorELNS0_4arch9wavefront6targetE1EEEvS14_
	.p2align	8
	.type	_ZN7rocprim17ROCPRIM_400000_NS6detail17trampoline_kernelINS0_14default_configENS1_22reduce_config_selectorIN6thrust23THRUST_200600_302600_NS5tupleIblNS6_9null_typeES8_S8_S8_S8_S8_S8_S8_EEEEZNS1_11reduce_implILb1ES3_NS6_12zip_iteratorINS7_INS6_11hip_rocprim26transform_input_iterator_tIbNSD_35transform_pair_of_input_iterators_tIbNS6_6detail15normal_iteratorINS6_10device_ptrIKxEEEESL_NS6_8equal_toIxEEEENSG_9not_fun_tINSD_8identityEEEEENSD_19counting_iterator_tIlEES8_S8_S8_S8_S8_S8_S8_S8_EEEEPS9_S9_NSD_9__find_if7functorIS9_EEEE10hipError_tPvRmT1_T2_T3_mT4_P12ihipStream_tbEUlT_E1_NS1_11comp_targetILNS1_3genE0ELNS1_11target_archE4294967295ELNS1_3gpuE0ELNS1_3repE0EEENS1_30default_config_static_selectorELNS0_4arch9wavefront6targetE1EEEvS14_,@function
_ZN7rocprim17ROCPRIM_400000_NS6detail17trampoline_kernelINS0_14default_configENS1_22reduce_config_selectorIN6thrust23THRUST_200600_302600_NS5tupleIblNS6_9null_typeES8_S8_S8_S8_S8_S8_S8_EEEEZNS1_11reduce_implILb1ES3_NS6_12zip_iteratorINS7_INS6_11hip_rocprim26transform_input_iterator_tIbNSD_35transform_pair_of_input_iterators_tIbNS6_6detail15normal_iteratorINS6_10device_ptrIKxEEEESL_NS6_8equal_toIxEEEENSG_9not_fun_tINSD_8identityEEEEENSD_19counting_iterator_tIlEES8_S8_S8_S8_S8_S8_S8_S8_EEEEPS9_S9_NSD_9__find_if7functorIS9_EEEE10hipError_tPvRmT1_T2_T3_mT4_P12ihipStream_tbEUlT_E1_NS1_11comp_targetILNS1_3genE0ELNS1_11target_archE4294967295ELNS1_3gpuE0ELNS1_3repE0EEENS1_30default_config_static_selectorELNS0_4arch9wavefront6targetE1EEEvS14_: ; @_ZN7rocprim17ROCPRIM_400000_NS6detail17trampoline_kernelINS0_14default_configENS1_22reduce_config_selectorIN6thrust23THRUST_200600_302600_NS5tupleIblNS6_9null_typeES8_S8_S8_S8_S8_S8_S8_EEEEZNS1_11reduce_implILb1ES3_NS6_12zip_iteratorINS7_INS6_11hip_rocprim26transform_input_iterator_tIbNSD_35transform_pair_of_input_iterators_tIbNS6_6detail15normal_iteratorINS6_10device_ptrIKxEEEESL_NS6_8equal_toIxEEEENSG_9not_fun_tINSD_8identityEEEEENSD_19counting_iterator_tIlEES8_S8_S8_S8_S8_S8_S8_S8_EEEEPS9_S9_NSD_9__find_if7functorIS9_EEEE10hipError_tPvRmT1_T2_T3_mT4_P12ihipStream_tbEUlT_E1_NS1_11comp_targetILNS1_3genE0ELNS1_11target_archE4294967295ELNS1_3gpuE0ELNS1_3repE0EEENS1_30default_config_static_selectorELNS0_4arch9wavefront6targetE1EEEvS14_
; %bb.0:
	s_load_dword s38, s[0:1], 0x4
	s_load_dwordx4 s[24:27], s[0:1], 0x8
	s_load_dwordx4 s[20:23], s[0:1], 0x28
	s_load_dword s33, s[0:1], 0x40
	s_load_dwordx2 s[18:19], s[0:1], 0x48
	s_waitcnt lgkmcnt(0)
	s_cmp_lt_i32 s38, 4
	s_cbranch_scc1 .LBB1260_13
; %bb.1:
	s_cmp_gt_i32 s38, 7
	s_cbranch_scc0 .LBB1260_14
; %bb.2:
	s_cmp_eq_u32 s38, 8
	s_mov_b64 s[28:29], 0
	s_cbranch_scc0 .LBB1260_15
; %bb.3:
	s_mov_b32 s3, 0
	s_lshl_b32 s12, s2, 10
	s_mov_b32 s13, s3
	s_lshr_b64 s[4:5], s[22:23], 10
	s_lshl_b64 s[6:7], s[12:13], 3
	s_add_u32 s16, s24, s6
	s_addc_u32 s17, s25, s7
	s_add_u32 s30, s26, s6
	s_addc_u32 s31, s27, s7
	;; [unrolled: 2-line block ×3, first 2 shown]
	s_cmp_lg_u64 s[4:5], s[2:3]
	s_cbranch_scc0 .LBB1260_28
; %bb.4:
	v_mov_b32_e32 v1, 0
	v_lshlrev_b32_e32 v2, 3, v0
	v_mov_b32_e32 v3, v1
	v_lshl_add_u64 v[4:5], s[16:17], 0, v[2:3]
	s_movk_i32 s4, 0x1000
	v_lshl_add_u64 v[6:7], s[30:31], 0, v[2:3]
	global_load_dwordx2 v[8:9], v2, s[16:17]
	global_load_dwordx2 v[10:11], v2, s[16:17] offset:1024
	global_load_dwordx2 v[12:13], v2, s[16:17] offset:2048
	global_load_dwordx2 v[14:15], v2, s[16:17] offset:3072
	global_load_dwordx2 v[16:17], v2, s[30:31]
	global_load_dwordx2 v[18:19], v2, s[30:31] offset:1024
	global_load_dwordx2 v[20:21], v2, s[30:31] offset:2048
	;; [unrolled: 1-line block ×3, first 2 shown]
	v_add_co_u32_e32 v2, vcc, s4, v4
	v_mov_b32_e32 v38, 0x80
	s_nop 0
	v_addc_co_u32_e32 v3, vcc, 0, v5, vcc
	v_add_co_u32_e32 v4, vcc, s4, v6
	v_mov_b32_e32 v40, 0x200
	s_nop 0
	v_addc_co_u32_e32 v5, vcc, 0, v7, vcc
	global_load_dwordx2 v[6:7], v[4:5], off
	global_load_dwordx2 v[24:25], v[4:5], off offset:2048
	global_load_dwordx2 v[26:27], v[4:5], off offset:3072
	global_load_dwordx2 v[28:29], v[2:3], off
	global_load_dwordx2 v[30:31], v[2:3], off offset:2048
	global_load_dwordx2 v[32:33], v[2:3], off offset:3072
	;; [unrolled: 1-line block ×4, first 2 shown]
	v_mov_b32_e32 v5, 0x100
	v_mov_b32_e32 v41, 0x180
	v_lshl_add_u64 v[2:3], s[34:35], 0, v[0:1]
	v_mov_b32_e32 v39, v1
	v_mov_b32_e32 v42, 0x300
	;; [unrolled: 1-line block ×4, first 2 shown]
	v_mbcnt_lo_u32_b32 v4, -1, 0
	v_mbcnt_hi_u32_b32 v4, -1, v4
	s_waitcnt vmcnt(11)
	v_cmp_ne_u64_e64 s[8:9], v[8:9], v[16:17]
	s_waitcnt vmcnt(10)
	v_cmp_ne_u64_e64 s[4:5], v[10:11], v[18:19]
	s_waitcnt vmcnt(9)
	v_cmp_ne_u64_e32 vcc, v[12:13], v[20:21]
	s_waitcnt vmcnt(8)
	v_cmp_ne_u64_e64 s[6:7], v[14:15], v[22:23]
	v_cndmask_b32_e64 v1, v5, v38, s[4:5]
	s_or_b64 s[4:5], s[8:9], s[4:5]
	v_cndmask_b32_e64 v5, v40, v41, s[6:7]
	v_cndmask_b32_e64 v1, v1, 0, s[8:9]
	s_or_b64 vcc, s[4:5], vcc
	v_cndmask_b32_e32 v1, v5, v1, vcc
	s_waitcnt vmcnt(4)
	v_cmp_ne_u64_e64 s[4:5], v[28:29], v[6:7]
	s_or_b64 s[6:7], vcc, s[6:7]
	s_or_b64 s[4:5], s[6:7], s[4:5]
	s_waitcnt vmcnt(3)
	v_cmp_ne_u64_e64 s[8:9], v[30:31], v[24:25]
	s_waitcnt vmcnt(0)
	v_cmp_ne_u64_e32 vcc, v[34:35], v[36:37]
	v_cmp_ne_u64_e64 s[10:11], v[32:33], v[26:27]
	s_nop 0
	v_cndmask_b32_e32 v5, v42, v43, vcc
	v_cndmask_b32_e64 v1, v5, v1, s[4:5]
	s_or_b64 s[4:5], s[4:5], vcc
	s_or_b64 vcc, s[4:5], s[8:9]
	v_cndmask_b32_e32 v38, v44, v1, vcc
	v_lshl_add_u64 v[2:3], v[2:3], 0, v[38:39]
	s_or_b64 s[4:5], vcc, s[10:11]
	v_cndmask_b32_e64 v1, 0, 1, s[4:5]
	v_mov_b32_dpp v6, v2 quad_perm:[1,0,3,2] row_mask:0xf bank_mask:0xf bound_ctrl:1
	v_mov_b32_dpp v7, v3 quad_perm:[1,0,3,2] row_mask:0xf bank_mask:0xf bound_ctrl:1
	;; [unrolled: 1-line block ×3, first 2 shown]
	v_cmp_lt_i64_e32 vcc, v[2:3], v[6:7]
	v_and_b32_e32 v5, 1, v5
	s_and_b64 vcc, s[4:5], vcc
	v_cndmask_b32_e32 v6, v6, v2, vcc
	v_cndmask_b32_e32 v7, v7, v3, vcc
	v_cmp_eq_u32_e32 vcc, 1, v5
	s_nop 1
	v_cndmask_b32_e32 v3, v3, v7, vcc
	v_cndmask_b32_e32 v2, v2, v6, vcc
	v_cndmask_b32_e64 v1, v1, 1, vcc
	v_mov_b32_dpp v7, v3 quad_perm:[2,3,0,1] row_mask:0xf bank_mask:0xf bound_ctrl:1
	v_mov_b32_dpp v6, v2 quad_perm:[2,3,0,1] row_mask:0xf bank_mask:0xf bound_ctrl:1
	v_mov_b32_dpp v5, v1 quad_perm:[2,3,0,1] row_mask:0xf bank_mask:0xf bound_ctrl:1
	v_and_b32_e32 v8, 1, v1
	v_and_b32_e32 v5, 1, v5
	v_cmp_eq_u32_e32 vcc, 1, v8
	v_cmp_lt_i64_e64 s[4:5], v[2:3], v[6:7]
	v_cmp_eq_u32_e64 s[6:7], 1, v5
	s_and_b64 vcc, vcc, s[4:5]
	v_cndmask_b32_e32 v5, v6, v2, vcc
	v_cndmask_b32_e64 v1, v1, 1, s[6:7]
	v_cndmask_b32_e32 v6, v7, v3, vcc
	v_cndmask_b32_e64 v2, v2, v5, s[6:7]
	v_and_b32_e32 v7, 1, v1
	v_cndmask_b32_e64 v3, v3, v6, s[6:7]
	v_mov_b32_dpp v6, v2 row_ror:4 row_mask:0xf bank_mask:0xf bound_ctrl:1
	v_cmp_eq_u32_e32 vcc, 1, v7
	v_mov_b32_dpp v7, v3 row_ror:4 row_mask:0xf bank_mask:0xf bound_ctrl:1
	v_mov_b32_dpp v5, v1 row_ror:4 row_mask:0xf bank_mask:0xf bound_ctrl:1
	v_cmp_lt_i64_e64 s[6:7], v[2:3], v[6:7]
	v_and_b32_e32 v5, 1, v5
	s_and_b64 vcc, vcc, s[6:7]
	v_cmp_eq_u32_e64 s[4:5], 1, v5
	v_cndmask_b32_e32 v5, v6, v2, vcc
	v_cndmask_b32_e32 v6, v7, v3, vcc
	v_cndmask_b32_e64 v1, v1, 1, s[4:5]
	v_cndmask_b32_e64 v3, v3, v6, s[4:5]
	;; [unrolled: 1-line block ×3, first 2 shown]
	v_and_b32_e32 v8, 1, v1
	v_mov_b32_dpp v7, v3 row_ror:8 row_mask:0xf bank_mask:0xf bound_ctrl:1
	v_mov_b32_dpp v6, v2 row_ror:8 row_mask:0xf bank_mask:0xf bound_ctrl:1
	v_mov_b32_dpp v5, v1 row_ror:8 row_mask:0xf bank_mask:0xf bound_ctrl:1
	v_cmp_eq_u32_e32 vcc, 1, v8
	v_cmp_lt_i64_e64 s[4:5], v[2:3], v[6:7]
	v_and_b32_e32 v5, 1, v5
	s_and_b64 vcc, vcc, s[4:5]
	v_cmp_eq_u32_e64 s[6:7], 1, v5
	v_cndmask_b32_e32 v5, v6, v2, vcc
	v_cndmask_b32_e32 v6, v7, v3, vcc
	v_cndmask_b32_e64 v1, v1, 1, s[6:7]
	v_cndmask_b32_e64 v3, v3, v6, s[6:7]
	;; [unrolled: 1-line block ×3, first 2 shown]
	v_and_b32_e32 v8, 1, v1
	v_mov_b32_dpp v7, v3 row_bcast:15 row_mask:0xf bank_mask:0xf bound_ctrl:1
	v_mov_b32_dpp v6, v2 row_bcast:15 row_mask:0xf bank_mask:0xf bound_ctrl:1
	;; [unrolled: 1-line block ×3, first 2 shown]
	v_cmp_eq_u32_e32 vcc, 1, v8
	v_cmp_lt_i64_e64 s[4:5], v[2:3], v[6:7]
	v_and_b32_e32 v5, 1, v5
	s_and_b64 vcc, vcc, s[4:5]
	v_cmp_eq_u32_e64 s[6:7], 1, v5
	v_cndmask_b32_e32 v5, v6, v2, vcc
	v_cndmask_b32_e32 v6, v7, v3, vcc
	v_cndmask_b32_e64 v1, v1, 1, s[6:7]
	v_cndmask_b32_e64 v3, v3, v6, s[6:7]
	;; [unrolled: 1-line block ×3, first 2 shown]
	v_and_b32_e32 v8, 1, v1
	v_mov_b32_dpp v7, v3 row_bcast:31 row_mask:0xf bank_mask:0xf bound_ctrl:1
	v_mov_b32_dpp v6, v2 row_bcast:31 row_mask:0xf bank_mask:0xf bound_ctrl:1
	;; [unrolled: 1-line block ×3, first 2 shown]
	v_cmp_eq_u32_e32 vcc, 1, v8
	v_cmp_lt_i64_e64 s[4:5], v[2:3], v[6:7]
	v_and_b32_e32 v5, 1, v5
	s_and_b64 vcc, vcc, s[4:5]
	v_cmp_eq_u32_e64 s[6:7], 1, v5
	v_cndmask_b32_e32 v5, v6, v2, vcc
	v_cndmask_b32_e32 v6, v7, v3, vcc
	v_cndmask_b32_e64 v3, v3, v6, s[6:7]
	v_lshlrev_b32_e32 v6, 2, v4
	v_cndmask_b32_e64 v1, v1, 1, s[6:7]
	v_cndmask_b32_e64 v2, v2, v5, s[6:7]
	v_or_b32_e32 v5, 0xfc, v6
	ds_bpermute_b32 v1, v5, v1
	ds_bpermute_b32 v2, v5, v2
	;; [unrolled: 1-line block ×3, first 2 shown]
	v_cmp_eq_u32_e32 vcc, 0, v4
	s_and_saveexec_b64 s[4:5], vcc
	s_cbranch_execz .LBB1260_6
; %bb.5:
	v_lshrrev_b32_e32 v5, 2, v0
	v_and_b32_e32 v5, 16, v5
	s_waitcnt lgkmcnt(2)
	ds_write_b8 v5, v1 offset:96
	s_waitcnt lgkmcnt(1)
	ds_write_b64 v5, v[2:3] offset:104
.LBB1260_6:
	s_or_b64 exec, exec, s[4:5]
	v_cmp_gt_u32_e32 vcc, 64, v0
	s_waitcnt lgkmcnt(0)
	s_barrier
	s_and_saveexec_b64 s[4:5], vcc
	s_cbranch_execz .LBB1260_12
; %bb.7:
	v_and_b32_e32 v1, 1, v4
	v_lshlrev_b32_e32 v1, 4, v1
	ds_read_u8 v8, v1 offset:96
	ds_read_b64 v[4:5], v1 offset:104
	v_or_b32_e32 v2, 4, v6
	s_waitcnt lgkmcnt(1)
	v_and_b32_e32 v1, 0xff, v8
	ds_bpermute_b32 v9, v2, v1
	s_waitcnt lgkmcnt(1)
	ds_bpermute_b32 v6, v2, v4
	ds_bpermute_b32 v7, v2, v5
                                        ; implicit-def: $vgpr2_vgpr3
	s_waitcnt lgkmcnt(2)
	v_and_b32_e32 v1, v8, v9
	v_and_b32_e32 v1, 1, v1
	v_cmp_eq_u32_e32 vcc, 1, v1
	s_and_saveexec_b64 s[6:7], vcc
	s_xor_b64 s[6:7], exec, s[6:7]
	s_cbranch_execz .LBB1260_9
; %bb.8:
	s_waitcnt lgkmcnt(0)
	v_cmp_lt_i64_e32 vcc, v[6:7], v[4:5]
                                        ; implicit-def: $vgpr8
                                        ; implicit-def: $vgpr9
	s_nop 1
	v_cndmask_b32_e32 v3, v5, v7, vcc
	v_cndmask_b32_e32 v2, v4, v6, vcc
                                        ; implicit-def: $vgpr6_vgpr7
                                        ; implicit-def: $vgpr4_vgpr5
.LBB1260_9:
	s_or_saveexec_b64 s[6:7], s[6:7]
	v_mov_b32_e32 v1, 1
	s_xor_b64 exec, exec, s[6:7]
	s_cbranch_execz .LBB1260_11
; %bb.10:
	v_and_b32_e32 v1, 1, v8
	v_cmp_eq_u32_e32 vcc, 1, v1
	s_waitcnt lgkmcnt(0)
	s_nop 0
	v_cndmask_b32_e32 v3, v7, v5, vcc
	v_cndmask_b32_e32 v2, v6, v4, vcc
	v_cndmask_b32_e64 v1, v9, 1, vcc
.LBB1260_11:
	s_or_b64 exec, exec, s[6:7]
.LBB1260_12:
	s_or_b64 exec, exec, s[4:5]
	s_branch .LBB1260_145
.LBB1260_13:
	s_mov_b64 s[12:13], 0
                                        ; implicit-def: $vgpr4_vgpr5
                                        ; implicit-def: $vgpr6
                                        ; implicit-def: $vgpr2_vgpr3
	s_cbranch_execnz .LBB1260_219
	s_branch .LBB1260_306
.LBB1260_14:
	s_mov_b64 s[28:29], -1
.LBB1260_15:
	s_mov_b64 s[12:13], 0
                                        ; implicit-def: $vgpr4_vgpr5
                                        ; implicit-def: $vgpr6
                                        ; implicit-def: $vgpr2_vgpr3
	s_and_b64 vcc, exec, s[28:29]
	s_cbranch_vccz .LBB1260_150
.LBB1260_16:
	s_cmp_eq_u32 s38, 4
	s_cbranch_scc0 .LBB1260_27
; %bb.17:
	s_mov_b32 s3, 0
	s_lshl_b32 s30, s2, 9
	s_mov_b32 s31, s3
	s_lshr_b64 s[4:5], s[22:23], 9
	s_lshl_b64 s[6:7], s[30:31], 3
	s_add_u32 s14, s24, s6
	s_addc_u32 s15, s25, s7
	s_add_u32 s16, s26, s6
	s_addc_u32 s17, s27, s7
	;; [unrolled: 2-line block ×3, first 2 shown]
	s_cmp_lg_u64 s[4:5], s[2:3]
	s_cbranch_scc0 .LBB1260_51
; %bb.18:
	v_lshlrev_b32_e32 v1, 3, v0
	global_load_dwordx2 v[2:3], v1, s[16:17] offset:1024
	s_waitcnt lgkmcnt(1)
	global_load_dwordx2 v[8:9], v1, s[16:17] offset:2048
	global_load_dwordx2 v[10:11], v1, s[16:17] offset:3072
	;; [unrolled: 1-line block ×5, first 2 shown]
	global_load_dwordx2 v[18:19], v1, s[14:15]
	global_load_dwordx2 v[20:21], v1, s[16:17]
	v_mov_b32_e32 v1, 0
	s_waitcnt lgkmcnt(0)
	v_mov_b32_e32 v5, 0x100
	v_mov_b32_e32 v7, 0x80
	v_lshl_add_u64 v[22:23], s[28:29], 0, v[0:1]
	v_mov_b32_e32 v25, v1
	v_mov_b32_e32 v24, 0x180
	v_mbcnt_lo_u32_b32 v4, -1, 0
	v_mbcnt_hi_u32_b32 v4, -1, v4
	v_lshlrev_b32_e32 v6, 2, v4
	v_or_b32_e32 v26, 0xfc, v6
	s_waitcnt vmcnt(4)
	v_cmp_ne_u64_e32 vcc, v[12:13], v[8:9]
	s_waitcnt vmcnt(3)
	v_cmp_ne_u64_e64 s[4:5], v[14:15], v[10:11]
	s_waitcnt vmcnt(2)
	v_cmp_ne_u64_e64 s[6:7], v[16:17], v[2:3]
	;; [unrolled: 2-line block ×3, first 2 shown]
	v_cndmask_b32_e64 v1, v5, v7, s[6:7]
	s_or_b64 s[6:7], s[8:9], s[6:7]
	v_cndmask_b32_e64 v1, v1, 0, s[8:9]
	s_or_b64 vcc, s[6:7], vcc
	v_cndmask_b32_e32 v24, v24, v1, vcc
	v_lshl_add_u64 v[2:3], v[22:23], 0, v[24:25]
	s_or_b64 s[4:5], vcc, s[4:5]
	v_cndmask_b32_e64 v1, 0, 1, s[4:5]
	v_mov_b32_dpp v8, v2 quad_perm:[1,0,3,2] row_mask:0xf bank_mask:0xf bound_ctrl:1
	v_mov_b32_dpp v9, v3 quad_perm:[1,0,3,2] row_mask:0xf bank_mask:0xf bound_ctrl:1
	;; [unrolled: 1-line block ×3, first 2 shown]
	v_cmp_lt_i64_e32 vcc, v[2:3], v[8:9]
	v_and_b32_e32 v5, 1, v5
	s_and_b64 vcc, s[4:5], vcc
	v_cndmask_b32_e32 v7, v8, v2, vcc
	v_cndmask_b32_e32 v8, v9, v3, vcc
	v_cmp_eq_u32_e32 vcc, 1, v5
	s_nop 1
	v_cndmask_b32_e32 v3, v3, v8, vcc
	v_cndmask_b32_e32 v2, v2, v7, vcc
	v_cndmask_b32_e64 v1, v1, 1, vcc
	v_mov_b32_dpp v9, v3 quad_perm:[2,3,0,1] row_mask:0xf bank_mask:0xf bound_ctrl:1
	v_mov_b32_dpp v8, v2 quad_perm:[2,3,0,1] row_mask:0xf bank_mask:0xf bound_ctrl:1
	;; [unrolled: 1-line block ×3, first 2 shown]
	v_and_b32_e32 v7, 1, v1
	v_and_b32_e32 v5, 1, v5
	v_cmp_eq_u32_e32 vcc, 1, v7
	v_cmp_lt_i64_e64 s[4:5], v[2:3], v[8:9]
	v_cmp_eq_u32_e64 s[6:7], 1, v5
	s_and_b64 vcc, vcc, s[4:5]
	v_cndmask_b32_e32 v5, v8, v2, vcc
	v_cndmask_b32_e64 v1, v1, 1, s[6:7]
	v_cndmask_b32_e64 v2, v2, v5, s[6:7]
	v_cndmask_b32_e32 v7, v9, v3, vcc
	v_mov_b32_dpp v5, v1 row_ror:4 row_mask:0xf bank_mask:0xf bound_ctrl:1
	v_and_b32_e32 v5, 1, v5
	v_and_b32_e32 v9, 1, v1
	v_cndmask_b32_e64 v3, v3, v7, s[6:7]
	v_cmp_eq_u32_e64 s[4:5], 1, v5
	v_mov_b32_dpp v8, v2 row_ror:4 row_mask:0xf bank_mask:0xf bound_ctrl:1
	v_cmp_eq_u32_e32 vcc, 1, v9
	v_mov_b32_dpp v9, v3 row_ror:4 row_mask:0xf bank_mask:0xf bound_ctrl:1
	v_cndmask_b32_e64 v1, v1, 1, s[4:5]
	v_cmp_lt_i64_e64 s[6:7], v[2:3], v[8:9]
	v_and_b32_e32 v7, 1, v1
	v_mov_b32_dpp v5, v1 row_ror:8 row_mask:0xf bank_mask:0xf bound_ctrl:1
	s_and_b64 vcc, vcc, s[6:7]
	v_and_b32_e32 v5, 1, v5
	v_cndmask_b32_e32 v8, v8, v2, vcc
	v_cmp_eq_u32_e64 s[6:7], 1, v7
	v_cndmask_b32_e32 v7, v9, v3, vcc
	v_cmp_eq_u32_e32 vcc, 1, v5
	v_cndmask_b32_e64 v2, v2, v8, s[4:5]
	v_cndmask_b32_e64 v3, v3, v7, s[4:5]
	v_cndmask_b32_e64 v1, v1, 1, vcc
	v_mov_b32_dpp v8, v2 row_ror:8 row_mask:0xf bank_mask:0xf bound_ctrl:1
	v_mov_b32_dpp v9, v3 row_ror:8 row_mask:0xf bank_mask:0xf bound_ctrl:1
	v_mov_b32_dpp v5, v1 row_bcast:15 row_mask:0xf bank_mask:0xf bound_ctrl:1
	v_and_b32_e32 v5, 1, v5
	v_cmp_lt_i64_e64 s[8:9], v[2:3], v[8:9]
	v_cmp_eq_u32_e64 s[10:11], 1, v5
	s_and_b64 s[6:7], s[6:7], s[8:9]
	v_and_b32_e32 v7, 1, v1
	v_cndmask_b32_e64 v1, v1, 1, s[10:11]
	v_cndmask_b32_e64 v5, v8, v2, s[6:7]
	;; [unrolled: 1-line block ×3, first 2 shown]
	v_and_b32_e32 v8, 1, v1
	v_cndmask_b32_e32 v2, v2, v5, vcc
	v_cndmask_b32_e32 v3, v3, v9, vcc
	v_cmp_eq_u32_e64 s[6:7], 1, v8
	v_mov_b32_dpp v8, v2 row_bcast:15 row_mask:0xf bank_mask:0xf bound_ctrl:1
	v_mov_b32_dpp v9, v3 row_bcast:15 row_mask:0xf bank_mask:0xf bound_ctrl:1
	v_cmp_eq_u32_e64 s[4:5], 1, v7
	v_mov_b32_dpp v7, v1 row_bcast:31 row_mask:0xf bank_mask:0xf bound_ctrl:1
	v_cmp_lt_i64_e64 s[8:9], v[2:3], v[8:9]
	v_and_b32_e32 v5, 1, v7
	s_and_b64 s[4:5], s[4:5], s[8:9]
	v_cmp_eq_u32_e32 vcc, 1, v5
	v_cndmask_b32_e64 v5, v8, v2, s[4:5]
	v_cndmask_b32_e64 v7, v9, v3, s[4:5]
	;; [unrolled: 1-line block ×4, first 2 shown]
	v_cndmask_b32_e64 v1, v1, 1, vcc
	v_mov_b32_dpp v8, v2 row_bcast:31 row_mask:0xf bank_mask:0xf bound_ctrl:1
	v_mov_b32_dpp v9, v3 row_bcast:31 row_mask:0xf bank_mask:0xf bound_ctrl:1
	v_cmp_lt_i64_e64 s[4:5], v[2:3], v[8:9]
	s_and_b64 s[4:5], s[6:7], s[4:5]
	ds_bpermute_b32 v1, v26, v1
	v_cndmask_b32_e64 v5, v8, v2, s[4:5]
	v_cndmask_b32_e64 v7, v9, v3, s[4:5]
	v_cndmask_b32_e32 v2, v2, v5, vcc
	v_cndmask_b32_e32 v3, v3, v7, vcc
	ds_bpermute_b32 v2, v26, v2
	ds_bpermute_b32 v3, v26, v3
	v_cmp_eq_u32_e32 vcc, 0, v4
	s_and_saveexec_b64 s[4:5], vcc
	s_cbranch_execz .LBB1260_20
; %bb.19:
	v_lshrrev_b32_e32 v5, 2, v0
	v_and_b32_e32 v5, 16, v5
	s_waitcnt lgkmcnt(2)
	ds_write_b8 v5, v1 offset:64
	s_waitcnt lgkmcnt(1)
	ds_write_b64 v5, v[2:3] offset:72
.LBB1260_20:
	s_or_b64 exec, exec, s[4:5]
	v_cmp_gt_u32_e32 vcc, 64, v0
	s_waitcnt lgkmcnt(0)
	s_barrier
	s_and_saveexec_b64 s[4:5], vcc
	s_cbranch_execz .LBB1260_26
; %bb.21:
	v_and_b32_e32 v1, 1, v4
	v_lshlrev_b32_e32 v1, 4, v1
	ds_read_u8 v8, v1 offset:64
	ds_read_b64 v[4:5], v1 offset:72
	v_or_b32_e32 v2, 4, v6
	s_waitcnt lgkmcnt(1)
	v_and_b32_e32 v1, 0xff, v8
	ds_bpermute_b32 v9, v2, v1
	s_waitcnt lgkmcnt(1)
	ds_bpermute_b32 v6, v2, v4
	ds_bpermute_b32 v7, v2, v5
                                        ; implicit-def: $vgpr2_vgpr3
	s_waitcnt lgkmcnt(2)
	v_and_b32_e32 v1, v8, v9
	v_and_b32_e32 v1, 1, v1
	v_cmp_eq_u32_e32 vcc, 1, v1
	s_and_saveexec_b64 s[6:7], vcc
	s_xor_b64 s[6:7], exec, s[6:7]
	s_cbranch_execz .LBB1260_23
; %bb.22:
	s_waitcnt lgkmcnt(0)
	v_cmp_lt_i64_e32 vcc, v[6:7], v[4:5]
                                        ; implicit-def: $vgpr8
                                        ; implicit-def: $vgpr9
	s_nop 1
	v_cndmask_b32_e32 v3, v5, v7, vcc
	v_cndmask_b32_e32 v2, v4, v6, vcc
                                        ; implicit-def: $vgpr6_vgpr7
                                        ; implicit-def: $vgpr4_vgpr5
.LBB1260_23:
	s_or_saveexec_b64 s[6:7], s[6:7]
	v_mov_b32_e32 v1, 1
	s_xor_b64 exec, exec, s[6:7]
	s_cbranch_execz .LBB1260_25
; %bb.24:
	v_and_b32_e32 v1, 1, v8
	v_cmp_eq_u32_e32 vcc, 1, v1
	s_waitcnt lgkmcnt(0)
	s_nop 0
	v_cndmask_b32_e32 v3, v7, v5, vcc
	v_cndmask_b32_e32 v2, v6, v4, vcc
	v_cndmask_b32_e64 v1, v9, 1, vcc
.LBB1260_25:
	s_or_b64 exec, exec, s[6:7]
.LBB1260_26:
	s_or_b64 exec, exec, s[4:5]
	s_branch .LBB1260_214
.LBB1260_27:
                                        ; implicit-def: $vgpr4_vgpr5
                                        ; implicit-def: $vgpr6
                                        ; implicit-def: $vgpr2_vgpr3
	s_branch .LBB1260_306
.LBB1260_28:
                                        ; implicit-def: $vgpr2_vgpr3
                                        ; implicit-def: $vgpr1
	s_cbranch_execz .LBB1260_145
; %bb.29:
	s_sub_i32 s39, s22, s12
	v_cmp_gt_u32_e32 vcc, s39, v0
	v_mov_b32_e32 v26, 0
	v_mov_b64_e32 v[16:17], 0
	v_mov_b64_e32 v[2:3], 0
	v_mov_b32_e32 v1, 0
	s_and_saveexec_b64 s[4:5], vcc
	s_cbranch_execz .LBB1260_31
; %bb.30:
	v_lshlrev_b32_e32 v1, 3, v0
	global_load_dwordx2 v[4:5], v1, s[16:17]
	s_waitcnt lgkmcnt(0)
	global_load_dwordx2 v[6:7], v1, s[30:31]
	v_mov_b32_e32 v1, 0
	v_lshl_add_u64 v[2:3], s[34:35], 0, v[0:1]
	s_waitcnt vmcnt(0)
	v_cmp_ne_u64_e32 vcc, v[4:5], v[6:7]
	s_nop 1
	v_cndmask_b32_e64 v1, 0, 1, vcc
.LBB1260_31:
	s_or_b64 exec, exec, s[4:5]
	v_or_b32_e32 v4, 0x80, v0
	v_cmp_gt_u32_e64 s[14:15], s39, v4
	s_and_saveexec_b64 s[4:5], s[14:15]
	s_cbranch_execz .LBB1260_33
; %bb.32:
	v_lshlrev_b32_e32 v5, 3, v0
	s_waitcnt lgkmcnt(0)
	global_load_dwordx2 v[6:7], v5, s[16:17] offset:1024
	global_load_dwordx2 v[8:9], v5, s[30:31] offset:1024
	v_mov_b32_e32 v5, 0
	v_lshl_add_u64 v[16:17], s[34:35], 0, v[4:5]
	s_waitcnt vmcnt(0)
	v_cmp_ne_u64_e32 vcc, v[6:7], v[8:9]
	s_nop 1
	v_cndmask_b32_e64 v26, 0, 1, vcc
.LBB1260_33:
	s_or_b64 exec, exec, s[4:5]
	v_or_b32_e32 v4, 0x100, v0
	v_cmp_gt_u32_e64 s[12:13], s39, v4
	v_mov_b32_e32 v24, 0
	v_mov_b64_e32 v[12:13], 0
	v_mov_b64_e32 v[14:15], 0
	v_mov_b32_e32 v25, 0
	s_and_saveexec_b64 s[4:5], s[12:13]
	s_cbranch_execz .LBB1260_35
; %bb.34:
	v_lshlrev_b32_e32 v5, 3, v0
	s_waitcnt lgkmcnt(0)
	global_load_dwordx2 v[6:7], v5, s[16:17] offset:2048
	global_load_dwordx2 v[8:9], v5, s[30:31] offset:2048
	v_mov_b32_e32 v5, 0
	v_lshl_add_u64 v[14:15], s[34:35], 0, v[4:5]
	s_waitcnt vmcnt(0)
	v_cmp_ne_u64_e32 vcc, v[6:7], v[8:9]
	s_nop 1
	v_cndmask_b32_e64 v25, 0, 1, vcc
.LBB1260_35:
	s_or_b64 exec, exec, s[4:5]
	v_or_b32_e32 v4, 0x180, v0
	v_cmp_gt_u32_e64 s[10:11], s39, v4
	s_and_saveexec_b64 s[4:5], s[10:11]
	s_cbranch_execz .LBB1260_37
; %bb.36:
	v_lshlrev_b32_e32 v5, 3, v0
	s_waitcnt lgkmcnt(0)
	global_load_dwordx2 v[6:7], v5, s[16:17] offset:3072
	global_load_dwordx2 v[8:9], v5, s[30:31] offset:3072
	v_mov_b32_e32 v5, 0
	v_lshl_add_u64 v[12:13], s[34:35], 0, v[4:5]
	s_waitcnt vmcnt(0)
	v_cmp_ne_u64_e32 vcc, v[6:7], v[8:9]
	s_nop 1
	v_cndmask_b32_e64 v24, 0, 1, vcc
.LBB1260_37:
	s_or_b64 exec, exec, s[4:5]
	v_or_b32_e32 v4, 0x200, v0
	v_cmp_gt_u32_e64 s[8:9], s39, v4
	v_mov_b32_e32 v22, 0
	v_mov_b64_e32 v[8:9], 0
	v_mov_b64_e32 v[10:11], 0
	v_mov_b32_e32 v23, 0
	s_and_saveexec_b64 s[4:5], s[8:9]
	s_cbranch_execz .LBB1260_39
; %bb.38:
	v_lshlrev_b32_e32 v5, 3, v4
	s_waitcnt lgkmcnt(0)
	global_load_dwordx2 v[6:7], v5, s[16:17]
	global_load_dwordx2 v[18:19], v5, s[30:31]
	v_mov_b32_e32 v5, 0
	v_lshl_add_u64 v[10:11], s[34:35], 0, v[4:5]
	s_waitcnt vmcnt(0)
	v_cmp_ne_u64_e32 vcc, v[6:7], v[18:19]
	s_nop 1
	v_cndmask_b32_e64 v23, 0, 1, vcc
.LBB1260_39:
	s_or_b64 exec, exec, s[4:5]
	v_or_b32_e32 v4, 0x280, v0
	v_cmp_gt_u32_e64 s[6:7], s39, v4
	s_and_saveexec_b64 s[4:5], s[6:7]
	s_cbranch_execz .LBB1260_41
; %bb.40:
	v_lshlrev_b32_e32 v5, 3, v4
	s_waitcnt lgkmcnt(0)
	global_load_dwordx2 v[6:7], v5, s[16:17]
	global_load_dwordx2 v[18:19], v5, s[30:31]
	v_mov_b32_e32 v5, 0
	v_lshl_add_u64 v[8:9], s[34:35], 0, v[4:5]
	s_waitcnt vmcnt(0)
	v_cmp_ne_u64_e32 vcc, v[6:7], v[18:19]
	s_nop 1
	v_cndmask_b32_e64 v22, 0, 1, vcc
.LBB1260_41:
	s_or_b64 exec, exec, s[4:5]
	v_or_b32_e32 v18, 0x300, v0
	v_cmp_gt_u32_e64 s[4:5], s39, v18
	v_mov_b64_e32 v[4:5], 0
	v_mov_b32_e32 v20, 0
	v_mov_b32_e32 v21, 0
	s_waitcnt lgkmcnt(0)
	v_mov_b64_e32 v[6:7], 0
	s_and_saveexec_b64 s[36:37], s[4:5]
	s_cbranch_execz .LBB1260_43
; %bb.42:
	v_lshlrev_b32_e32 v6, 3, v18
	global_load_dwordx2 v[28:29], v6, s[16:17]
	global_load_dwordx2 v[30:31], v6, s[30:31]
	v_mov_b32_e32 v19, 0
	v_lshl_add_u64 v[6:7], s[34:35], 0, v[18:19]
	s_waitcnt vmcnt(0)
	v_cmp_ne_u64_e32 vcc, v[28:29], v[30:31]
	s_nop 1
	v_cndmask_b32_e64 v21, 0, 1, vcc
.LBB1260_43:
	s_or_b64 exec, exec, s[36:37]
	v_or_b32_e32 v18, 0x380, v0
	v_cmp_gt_u32_e32 vcc, s39, v18
	s_and_saveexec_b64 s[36:37], vcc
	s_cbranch_execnz .LBB1260_62
; %bb.44:
	s_or_b64 exec, exec, s[36:37]
	s_and_saveexec_b64 s[30:31], s[14:15]
	s_cbranch_execnz .LBB1260_63
.LBB1260_45:
	s_or_b64 exec, exec, s[30:31]
	s_and_saveexec_b64 s[16:17], s[12:13]
	s_cbranch_execnz .LBB1260_68
.LBB1260_46:
	s_or_b64 exec, exec, s[16:17]
	s_and_saveexec_b64 s[14:15], s[10:11]
	s_cbranch_execnz .LBB1260_73
.LBB1260_47:
	s_or_b64 exec, exec, s[14:15]
	s_and_saveexec_b64 s[12:13], s[8:9]
	s_cbranch_execnz .LBB1260_78
.LBB1260_48:
	s_or_b64 exec, exec, s[12:13]
	s_and_saveexec_b64 s[10:11], s[6:7]
	s_cbranch_execnz .LBB1260_83
.LBB1260_49:
	s_or_b64 exec, exec, s[10:11]
	s_and_saveexec_b64 s[8:9], s[4:5]
	s_cbranch_execnz .LBB1260_88
.LBB1260_50:
	s_or_b64 exec, exec, s[8:9]
	s_and_saveexec_b64 s[6:7], vcc
	s_cbranch_execnz .LBB1260_93
	s_branch .LBB1260_98
.LBB1260_51:
                                        ; implicit-def: $vgpr2_vgpr3
                                        ; implicit-def: $vgpr1
	s_cbranch_execz .LBB1260_214
; %bb.52:
	s_sub_i32 s30, s22, s30
	v_cmp_gt_u32_e32 vcc, s30, v0
	v_mov_b32_e32 v14, 0
	s_waitcnt lgkmcnt(1)
	v_mov_b64_e32 v[8:9], 0
	v_mov_b64_e32 v[2:3], 0
	v_mov_b32_e32 v1, 0
	s_and_saveexec_b64 s[4:5], vcc
	s_cbranch_execz .LBB1260_54
; %bb.53:
	v_lshlrev_b32_e32 v1, 3, v0
	s_waitcnt lgkmcnt(0)
	global_load_dwordx2 v[4:5], v1, s[14:15]
	global_load_dwordx2 v[6:7], v1, s[16:17]
	v_mov_b32_e32 v1, 0
	v_lshl_add_u64 v[2:3], s[28:29], 0, v[0:1]
	s_waitcnt vmcnt(0)
	v_cmp_ne_u64_e32 vcc, v[4:5], v[6:7]
	s_nop 1
	v_cndmask_b32_e64 v1, 0, 1, vcc
.LBB1260_54:
	s_or_b64 exec, exec, s[4:5]
	v_or_b32_e32 v4, 0x80, v0
	v_cmp_gt_u32_e64 s[6:7], s30, v4
	s_and_saveexec_b64 s[4:5], s[6:7]
	s_cbranch_execz .LBB1260_56
; %bb.55:
	s_waitcnt lgkmcnt(0)
	v_lshlrev_b32_e32 v5, 3, v0
	global_load_dwordx2 v[6:7], v5, s[14:15] offset:1024
	global_load_dwordx2 v[10:11], v5, s[16:17] offset:1024
	v_mov_b32_e32 v5, 0
	v_lshl_add_u64 v[8:9], s[28:29], 0, v[4:5]
	s_waitcnt vmcnt(0)
	v_cmp_ne_u64_e32 vcc, v[6:7], v[10:11]
	s_nop 1
	v_cndmask_b32_e64 v14, 0, 1, vcc
.LBB1260_56:
	s_or_b64 exec, exec, s[4:5]
	v_or_b32_e32 v10, 0x100, v0
	v_cmp_gt_u32_e64 s[4:5], s30, v10
	v_mov_b32_e32 v12, 0
	s_waitcnt lgkmcnt(0)
	v_mov_b64_e32 v[4:5], 0
	v_mov_b64_e32 v[6:7], 0
	v_mov_b32_e32 v13, 0
	s_and_saveexec_b64 s[8:9], s[4:5]
	s_cbranch_execz .LBB1260_58
; %bb.57:
	v_lshlrev_b32_e32 v6, 3, v0
	global_load_dwordx2 v[16:17], v6, s[14:15] offset:2048
	global_load_dwordx2 v[18:19], v6, s[16:17] offset:2048
	v_mov_b32_e32 v11, 0
	v_lshl_add_u64 v[6:7], s[28:29], 0, v[10:11]
	s_waitcnt vmcnt(0)
	v_cmp_ne_u64_e32 vcc, v[16:17], v[18:19]
	s_nop 1
	v_cndmask_b32_e64 v13, 0, 1, vcc
.LBB1260_58:
	s_or_b64 exec, exec, s[8:9]
	v_or_b32_e32 v10, 0x180, v0
	v_cmp_gt_u32_e32 vcc, s30, v10
	s_and_saveexec_b64 s[10:11], vcc
	s_cbranch_execnz .LBB1260_151
; %bb.59:
	s_or_b64 exec, exec, s[10:11]
	s_and_saveexec_b64 s[10:11], s[6:7]
	s_cbranch_execnz .LBB1260_152
.LBB1260_60:
	s_or_b64 exec, exec, s[10:11]
	s_and_saveexec_b64 s[8:9], s[4:5]
	s_cbranch_execnz .LBB1260_157
.LBB1260_61:
	s_or_b64 exec, exec, s[8:9]
	s_and_saveexec_b64 s[6:7], vcc
	s_cbranch_execnz .LBB1260_162
	s_branch .LBB1260_167
.LBB1260_62:
	v_lshlrev_b32_e32 v4, 3, v18
	global_load_dwordx2 v[28:29], v4, s[16:17]
	global_load_dwordx2 v[30:31], v4, s[30:31]
	v_mov_b32_e32 v19, 0
	v_lshl_add_u64 v[4:5], s[34:35], 0, v[18:19]
	s_waitcnt vmcnt(0)
	v_cmp_ne_u64_e64 s[16:17], v[28:29], v[30:31]
	s_nop 1
	v_cndmask_b32_e64 v20, 0, 1, s[16:17]
	s_or_b64 exec, exec, s[36:37]
	s_and_saveexec_b64 s[30:31], s[14:15]
	s_cbranch_execz .LBB1260_45
.LBB1260_63:
	v_and_b32_e32 v1, 1, v1
	v_cmp_eq_u32_e64 s[14:15], 1, v1
	v_and_b32_e32 v1, 1, v26
	v_cmp_eq_u32_e64 s[16:17], 1, v1
	s_and_b64 s[16:17], s[14:15], s[16:17]
	s_xor_b64 s[16:17], s[16:17], -1
                                        ; implicit-def: $vgpr1
	s_and_saveexec_b64 s[34:35], s[16:17]
	s_xor_b64 s[16:17], exec, s[34:35]
; %bb.64:
	v_and_b32_e32 v1, 0xffff, v26
	v_cndmask_b32_e64 v1, v1, 1, s[14:15]
	v_cndmask_b32_e64 v3, v17, v3, s[14:15]
	;; [unrolled: 1-line block ×3, first 2 shown]
                                        ; implicit-def: $vgpr16_vgpr17
; %bb.65:
	s_andn2_saveexec_b64 s[16:17], s[16:17]
; %bb.66:
	v_cmp_lt_i64_e64 s[14:15], v[16:17], v[2:3]
	v_mov_b32_e32 v1, 1
	s_nop 0
	v_cndmask_b32_e64 v3, v3, v17, s[14:15]
	v_cndmask_b32_e64 v2, v2, v16, s[14:15]
; %bb.67:
	s_or_b64 exec, exec, s[16:17]
	s_or_b64 exec, exec, s[30:31]
	s_and_saveexec_b64 s[16:17], s[12:13]
	s_cbranch_execz .LBB1260_46
.LBB1260_68:
	v_and_b32_e32 v1, 1, v1
	v_cmp_eq_u32_e64 s[12:13], 1, v1
	v_and_b32_e32 v1, 1, v25
	v_cmp_eq_u32_e64 s[14:15], 1, v1
	s_and_b64 s[14:15], s[12:13], s[14:15]
	s_xor_b64 s[14:15], s[14:15], -1
                                        ; implicit-def: $vgpr1
	s_and_saveexec_b64 s[30:31], s[14:15]
	s_xor_b64 s[14:15], exec, s[30:31]
; %bb.69:
	v_and_b32_e32 v1, 0xffff, v25
	v_cndmask_b32_e64 v1, v1, 1, s[12:13]
	v_cndmask_b32_e64 v3, v15, v3, s[12:13]
	;; [unrolled: 1-line block ×3, first 2 shown]
                                        ; implicit-def: $vgpr14_vgpr15
; %bb.70:
	s_andn2_saveexec_b64 s[14:15], s[14:15]
; %bb.71:
	v_cmp_lt_i64_e64 s[12:13], v[14:15], v[2:3]
	v_mov_b32_e32 v1, 1
	s_nop 0
	v_cndmask_b32_e64 v3, v3, v15, s[12:13]
	v_cndmask_b32_e64 v2, v2, v14, s[12:13]
; %bb.72:
	s_or_b64 exec, exec, s[14:15]
	s_or_b64 exec, exec, s[16:17]
	s_and_saveexec_b64 s[14:15], s[10:11]
	s_cbranch_execz .LBB1260_47
.LBB1260_73:
	v_and_b32_e32 v1, 1, v1
	v_cmp_eq_u32_e64 s[10:11], 1, v1
	v_and_b32_e32 v1, 1, v24
	v_cmp_eq_u32_e64 s[12:13], 1, v1
	s_and_b64 s[12:13], s[10:11], s[12:13]
	s_xor_b64 s[12:13], s[12:13], -1
                                        ; implicit-def: $vgpr1
	s_and_saveexec_b64 s[16:17], s[12:13]
	s_xor_b64 s[12:13], exec, s[16:17]
; %bb.74:
	v_and_b32_e32 v1, 0xffff, v24
	v_cndmask_b32_e64 v1, v1, 1, s[10:11]
	v_cndmask_b32_e64 v3, v13, v3, s[10:11]
	;; [unrolled: 1-line block ×3, first 2 shown]
                                        ; implicit-def: $vgpr12_vgpr13
; %bb.75:
	s_andn2_saveexec_b64 s[12:13], s[12:13]
; %bb.76:
	v_cmp_lt_i64_e64 s[10:11], v[12:13], v[2:3]
	v_mov_b32_e32 v1, 1
	s_nop 0
	v_cndmask_b32_e64 v3, v3, v13, s[10:11]
	v_cndmask_b32_e64 v2, v2, v12, s[10:11]
; %bb.77:
	s_or_b64 exec, exec, s[12:13]
	s_or_b64 exec, exec, s[14:15]
	s_and_saveexec_b64 s[12:13], s[8:9]
	s_cbranch_execz .LBB1260_48
.LBB1260_78:
	v_and_b32_e32 v1, 1, v1
	v_cmp_eq_u32_e64 s[8:9], 1, v1
	v_and_b32_e32 v1, 1, v23
	v_cmp_eq_u32_e64 s[10:11], 1, v1
	s_and_b64 s[10:11], s[8:9], s[10:11]
	s_xor_b64 s[10:11], s[10:11], -1
                                        ; implicit-def: $vgpr1
	s_and_saveexec_b64 s[14:15], s[10:11]
	s_xor_b64 s[10:11], exec, s[14:15]
; %bb.79:
	v_and_b32_e32 v1, 0xffff, v23
	v_cndmask_b32_e64 v1, v1, 1, s[8:9]
	v_cndmask_b32_e64 v3, v11, v3, s[8:9]
	;; [unrolled: 1-line block ×3, first 2 shown]
                                        ; implicit-def: $vgpr10_vgpr11
; %bb.80:
	s_andn2_saveexec_b64 s[10:11], s[10:11]
; %bb.81:
	v_cmp_lt_i64_e64 s[8:9], v[10:11], v[2:3]
	v_mov_b32_e32 v1, 1
	s_nop 0
	v_cndmask_b32_e64 v3, v3, v11, s[8:9]
	v_cndmask_b32_e64 v2, v2, v10, s[8:9]
; %bb.82:
	s_or_b64 exec, exec, s[10:11]
	s_or_b64 exec, exec, s[12:13]
	s_and_saveexec_b64 s[10:11], s[6:7]
	s_cbranch_execz .LBB1260_49
.LBB1260_83:
	v_and_b32_e32 v1, 1, v1
	v_cmp_eq_u32_e64 s[6:7], 1, v1
	v_and_b32_e32 v1, 1, v22
	v_cmp_eq_u32_e64 s[8:9], 1, v1
	s_and_b64 s[8:9], s[6:7], s[8:9]
	s_xor_b64 s[8:9], s[8:9], -1
                                        ; implicit-def: $vgpr1
	s_and_saveexec_b64 s[12:13], s[8:9]
	s_xor_b64 s[8:9], exec, s[12:13]
; %bb.84:
	v_and_b32_e32 v1, 0xffff, v22
	v_cndmask_b32_e64 v1, v1, 1, s[6:7]
	v_cndmask_b32_e64 v3, v9, v3, s[6:7]
	;; [unrolled: 1-line block ×3, first 2 shown]
                                        ; implicit-def: $vgpr8_vgpr9
; %bb.85:
	s_andn2_saveexec_b64 s[8:9], s[8:9]
; %bb.86:
	v_cmp_lt_i64_e64 s[6:7], v[8:9], v[2:3]
	v_mov_b32_e32 v1, 1
	s_nop 0
	v_cndmask_b32_e64 v3, v3, v9, s[6:7]
	v_cndmask_b32_e64 v2, v2, v8, s[6:7]
; %bb.87:
	s_or_b64 exec, exec, s[8:9]
	s_or_b64 exec, exec, s[10:11]
	s_and_saveexec_b64 s[8:9], s[4:5]
	s_cbranch_execz .LBB1260_50
.LBB1260_88:
	v_and_b32_e32 v1, 1, v1
	v_cmp_eq_u32_e64 s[4:5], 1, v1
	v_and_b32_e32 v1, 1, v21
	v_cmp_eq_u32_e64 s[6:7], 1, v1
	s_and_b64 s[6:7], s[4:5], s[6:7]
	s_xor_b64 s[6:7], s[6:7], -1
                                        ; implicit-def: $vgpr1
	s_and_saveexec_b64 s[10:11], s[6:7]
	s_xor_b64 s[6:7], exec, s[10:11]
; %bb.89:
	v_and_b32_e32 v1, 0xffff, v21
	v_cndmask_b32_e64 v1, v1, 1, s[4:5]
	v_cndmask_b32_e64 v3, v7, v3, s[4:5]
	v_cndmask_b32_e64 v2, v6, v2, s[4:5]
                                        ; implicit-def: $vgpr6_vgpr7
; %bb.90:
	s_andn2_saveexec_b64 s[6:7], s[6:7]
; %bb.91:
	v_cmp_lt_i64_e64 s[4:5], v[6:7], v[2:3]
	v_mov_b32_e32 v1, 1
	s_nop 0
	v_cndmask_b32_e64 v3, v3, v7, s[4:5]
	v_cndmask_b32_e64 v2, v2, v6, s[4:5]
; %bb.92:
	s_or_b64 exec, exec, s[6:7]
	s_or_b64 exec, exec, s[8:9]
	s_and_saveexec_b64 s[6:7], vcc
	s_cbranch_execz .LBB1260_98
.LBB1260_93:
	v_and_b32_e32 v1, 1, v1
	v_cmp_eq_u32_e32 vcc, 1, v1
	v_and_b32_e32 v1, 1, v20
	v_cmp_eq_u32_e64 s[4:5], 1, v1
	s_and_b64 s[4:5], vcc, s[4:5]
	s_xor_b64 s[4:5], s[4:5], -1
                                        ; implicit-def: $vgpr1
	s_and_saveexec_b64 s[8:9], s[4:5]
	s_xor_b64 s[4:5], exec, s[8:9]
; %bb.94:
	v_and_b32_e32 v1, 0xffff, v20
	v_cndmask_b32_e64 v1, v1, 1, vcc
	v_cndmask_b32_e32 v3, v5, v3, vcc
	v_cndmask_b32_e32 v2, v4, v2, vcc
                                        ; implicit-def: $vgpr4_vgpr5
; %bb.95:
	s_andn2_saveexec_b64 s[4:5], s[4:5]
; %bb.96:
	v_cmp_lt_i64_e32 vcc, v[4:5], v[2:3]
	v_mov_b32_e32 v1, 1
	s_nop 0
	v_cndmask_b32_e32 v3, v3, v5, vcc
	v_cndmask_b32_e32 v2, v2, v4, vcc
; %bb.97:
	s_or_b64 exec, exec, s[4:5]
.LBB1260_98:
	s_or_b64 exec, exec, s[6:7]
	v_mbcnt_lo_u32_b32 v4, -1, 0
	v_mbcnt_hi_u32_b32 v6, -1, v4
	v_and_b32_e32 v7, 63, v6
	v_cmp_ne_u32_e32 vcc, 63, v7
	s_min_u32 s8, s39, 0x80
	v_and_b32_e32 v8, 64, v0
	v_addc_co_u32_e32 v4, vcc, 0, v6, vcc
	v_lshlrev_b32_e32 v5, 2, v4
	ds_bpermute_b32 v9, v5, v1
	ds_bpermute_b32 v4, v5, v2
	ds_bpermute_b32 v5, v5, v3
	v_sub_u32_e64 v8, s8, v8 clamp
	v_add_u32_e32 v10, 1, v7
	v_cmp_lt_u32_e32 vcc, v10, v8
	s_and_saveexec_b64 s[4:5], vcc
	s_xor_b64 s[4:5], exec, s[4:5]
	s_cbranch_execz .LBB1260_104
; %bb.99:
	s_waitcnt lgkmcnt(2)
	v_and_b32_e32 v10, v9, v1
	v_cmp_ne_u32_e32 vcc, 0, v10
	s_and_saveexec_b64 s[6:7], vcc
	s_xor_b64 s[6:7], exec, s[6:7]
	s_cbranch_execz .LBB1260_101
; %bb.100:
	s_waitcnt lgkmcnt(0)
	v_cmp_lt_i64_e32 vcc, v[4:5], v[2:3]
                                        ; implicit-def: $vgpr1
                                        ; implicit-def: $vgpr9
	s_nop 1
	v_cndmask_b32_e32 v3, v3, v5, vcc
	v_cndmask_b32_e32 v2, v2, v4, vcc
                                        ; implicit-def: $vgpr4_vgpr5
.LBB1260_101:
	s_or_saveexec_b64 s[6:7], s[6:7]
	v_mov_b32_e32 v10, 1
	s_xor_b64 exec, exec, s[6:7]
	s_cbranch_execz .LBB1260_103
; %bb.102:
	v_and_b32_e32 v1, 1, v1
	v_cmp_eq_u32_e32 vcc, 1, v1
	v_and_b32_e32 v1, 0xff, v9
	s_waitcnt lgkmcnt(0)
	v_cndmask_b32_e32 v3, v5, v3, vcc
	v_cndmask_b32_e32 v2, v4, v2, vcc
	v_cndmask_b32_e64 v10, v1, 1, vcc
.LBB1260_103:
	s_or_b64 exec, exec, s[6:7]
	v_mov_b32_e32 v1, v10
.LBB1260_104:
	s_or_b64 exec, exec, s[4:5]
	v_cmp_gt_u32_e32 vcc, 62, v7
	v_add_u32_e32 v10, 2, v7
	s_waitcnt lgkmcnt(1)
	v_cndmask_b32_e64 v4, 0, 2, vcc
	s_waitcnt lgkmcnt(0)
	v_add_lshl_u32 v5, v4, v6, 2
	ds_bpermute_b32 v9, v5, v1
	ds_bpermute_b32 v4, v5, v2
	ds_bpermute_b32 v5, v5, v3
	v_cmp_lt_u32_e32 vcc, v10, v8
	s_and_saveexec_b64 s[4:5], vcc
	s_cbranch_execz .LBB1260_110
; %bb.105:
	s_waitcnt lgkmcnt(2)
	v_and_b32_e32 v10, v1, v9
	v_and_b32_e32 v10, 1, v10
	v_cmp_eq_u32_e32 vcc, 1, v10
	s_and_saveexec_b64 s[6:7], vcc
	s_xor_b64 s[6:7], exec, s[6:7]
	s_cbranch_execz .LBB1260_107
; %bb.106:
	s_waitcnt lgkmcnt(0)
	v_cmp_lt_i64_e32 vcc, v[4:5], v[2:3]
                                        ; implicit-def: $vgpr1
                                        ; implicit-def: $vgpr9
	s_nop 1
	v_cndmask_b32_e32 v3, v3, v5, vcc
	v_cndmask_b32_e32 v2, v2, v4, vcc
                                        ; implicit-def: $vgpr4_vgpr5
.LBB1260_107:
	s_or_saveexec_b64 s[6:7], s[6:7]
	v_mov_b32_e32 v10, 1
	s_xor_b64 exec, exec, s[6:7]
	s_cbranch_execz .LBB1260_109
; %bb.108:
	v_and_b32_e32 v1, 1, v1
	v_cmp_eq_u32_e32 vcc, 1, v1
	v_and_b32_e32 v1, 0xff, v9
	s_waitcnt lgkmcnt(0)
	v_cndmask_b32_e32 v3, v5, v3, vcc
	v_cndmask_b32_e32 v2, v4, v2, vcc
	v_cndmask_b32_e64 v10, v1, 1, vcc
.LBB1260_109:
	s_or_b64 exec, exec, s[6:7]
	v_mov_b32_e32 v1, v10
.LBB1260_110:
	s_or_b64 exec, exec, s[4:5]
	v_cmp_gt_u32_e32 vcc, 60, v7
	v_add_u32_e32 v10, 4, v7
	s_waitcnt lgkmcnt(1)
	v_cndmask_b32_e64 v4, 0, 4, vcc
	s_waitcnt lgkmcnt(0)
	v_add_lshl_u32 v5, v4, v6, 2
	ds_bpermute_b32 v9, v5, v1
	ds_bpermute_b32 v4, v5, v2
	ds_bpermute_b32 v5, v5, v3
	v_cmp_lt_u32_e32 vcc, v10, v8
	s_and_saveexec_b64 s[4:5], vcc
	s_cbranch_execz .LBB1260_116
; %bb.111:
	s_waitcnt lgkmcnt(2)
	v_and_b32_e32 v10, v1, v9
	v_and_b32_e32 v10, 1, v10
	v_cmp_eq_u32_e32 vcc, 1, v10
	s_and_saveexec_b64 s[6:7], vcc
	s_xor_b64 s[6:7], exec, s[6:7]
	s_cbranch_execz .LBB1260_113
; %bb.112:
	s_waitcnt lgkmcnt(0)
	v_cmp_lt_i64_e32 vcc, v[4:5], v[2:3]
                                        ; implicit-def: $vgpr1
                                        ; implicit-def: $vgpr9
	s_nop 1
	v_cndmask_b32_e32 v3, v3, v5, vcc
	v_cndmask_b32_e32 v2, v2, v4, vcc
                                        ; implicit-def: $vgpr4_vgpr5
.LBB1260_113:
	s_or_saveexec_b64 s[6:7], s[6:7]
	v_mov_b32_e32 v10, 1
	s_xor_b64 exec, exec, s[6:7]
	s_cbranch_execz .LBB1260_115
; %bb.114:
	v_and_b32_e32 v1, 1, v1
	v_cmp_eq_u32_e32 vcc, 1, v1
	v_and_b32_e32 v1, 0xff, v9
	s_waitcnt lgkmcnt(0)
	v_cndmask_b32_e32 v3, v5, v3, vcc
	v_cndmask_b32_e32 v2, v4, v2, vcc
	v_cndmask_b32_e64 v10, v1, 1, vcc
.LBB1260_115:
	s_or_b64 exec, exec, s[6:7]
	v_mov_b32_e32 v1, v10
.LBB1260_116:
	;; [unrolled: 47-line block ×4, first 2 shown]
	s_or_b64 exec, exec, s[4:5]
	s_waitcnt lgkmcnt(2)
	v_lshlrev_b32_e32 v9, 2, v6
	s_waitcnt lgkmcnt(0)
	v_or_b32_e32 v5, 0x80, v9
	ds_bpermute_b32 v10, v5, v1
	ds_bpermute_b32 v4, v5, v2
	;; [unrolled: 1-line block ×3, first 2 shown]
	v_add_u32_e32 v7, 32, v7
	v_cmp_lt_u32_e32 vcc, v7, v8
	v_mov_b32_e32 v7, v1
	s_and_saveexec_b64 s[4:5], vcc
	s_cbranch_execz .LBB1260_134
; %bb.129:
	s_waitcnt lgkmcnt(2)
	v_and_b32_e32 v7, v1, v10
	v_and_b32_e32 v7, 1, v7
	v_cmp_eq_u32_e32 vcc, 1, v7
	s_and_saveexec_b64 s[6:7], vcc
	s_xor_b64 s[6:7], exec, s[6:7]
	s_cbranch_execz .LBB1260_131
; %bb.130:
	s_waitcnt lgkmcnt(0)
	v_cmp_lt_i64_e32 vcc, v[4:5], v[2:3]
                                        ; implicit-def: $vgpr1
                                        ; implicit-def: $vgpr10
	s_nop 1
	v_cndmask_b32_e32 v3, v3, v5, vcc
	v_cndmask_b32_e32 v2, v2, v4, vcc
                                        ; implicit-def: $vgpr4_vgpr5
.LBB1260_131:
	s_or_saveexec_b64 s[6:7], s[6:7]
	v_mov_b32_e32 v7, 1
	s_xor_b64 exec, exec, s[6:7]
	s_cbranch_execz .LBB1260_133
; %bb.132:
	v_and_b32_e32 v1, 1, v1
	v_cmp_eq_u32_e32 vcc, 1, v1
	s_nop 1
	v_cndmask_b32_e64 v7, v10, 1, vcc
	s_waitcnt lgkmcnt(0)
	v_cndmask_b32_e32 v3, v5, v3, vcc
	v_cndmask_b32_e32 v2, v4, v2, vcc
.LBB1260_133:
	s_or_b64 exec, exec, s[6:7]
	v_and_b32_e32 v1, 0xff, v7
.LBB1260_134:
	s_or_b64 exec, exec, s[4:5]
	v_cmp_eq_u32_e32 vcc, 0, v6
	s_and_saveexec_b64 s[4:5], vcc
	s_cbranch_execz .LBB1260_136
; %bb.135:
	s_waitcnt lgkmcnt(1)
	v_lshrrev_b32_e32 v4, 2, v0
	v_and_b32_e32 v4, 16, v4
	ds_write_b8 v4, v7 offset:128
	ds_write_b64 v4, v[2:3] offset:136
.LBB1260_136:
	s_or_b64 exec, exec, s[4:5]
	v_cmp_gt_u32_e32 vcc, 2, v0
	s_waitcnt lgkmcnt(0)
	s_barrier
	s_and_saveexec_b64 s[4:5], vcc
	s_cbranch_execz .LBB1260_144
; %bb.137:
	v_lshlrev_b32_e32 v1, 4, v6
	ds_read_u8 v7, v1 offset:128
	ds_read_b64 v[2:3], v1 offset:136
	v_or_b32_e32 v5, 4, v9
	s_add_i32 s8, s8, 63
	v_and_b32_e32 v6, 1, v6
	s_waitcnt lgkmcnt(1)
	v_and_b32_e32 v1, 0xff, v7
	s_waitcnt lgkmcnt(0)
	ds_bpermute_b32 v4, v5, v2
	ds_bpermute_b32 v8, v5, v1
	;; [unrolled: 1-line block ×3, first 2 shown]
	s_lshr_b32 s6, s8, 6
	v_add_u32_e32 v6, 1, v6
	v_cmp_gt_u32_e32 vcc, s6, v6
	s_and_saveexec_b64 s[6:7], vcc
	s_cbranch_execz .LBB1260_143
; %bb.138:
	s_waitcnt lgkmcnt(1)
	v_and_b32_e32 v1, v1, v8
	v_and_b32_e32 v1, 1, v1
	v_cmp_eq_u32_e32 vcc, 1, v1
	s_and_saveexec_b64 s[8:9], vcc
	s_xor_b64 s[8:9], exec, s[8:9]
	s_cbranch_execz .LBB1260_140
; %bb.139:
	s_waitcnt lgkmcnt(0)
	v_cmp_lt_i64_e32 vcc, v[4:5], v[2:3]
                                        ; implicit-def: $vgpr7
                                        ; implicit-def: $vgpr8
	s_nop 1
	v_cndmask_b32_e32 v3, v3, v5, vcc
	v_cndmask_b32_e32 v2, v2, v4, vcc
                                        ; implicit-def: $vgpr4_vgpr5
.LBB1260_140:
	s_or_saveexec_b64 s[8:9], s[8:9]
	v_mov_b32_e32 v1, 1
	s_xor_b64 exec, exec, s[8:9]
	s_cbranch_execz .LBB1260_142
; %bb.141:
	v_and_b32_e32 v1, 1, v7
	v_cmp_eq_u32_e32 vcc, 1, v1
	s_waitcnt lgkmcnt(0)
	s_nop 0
	v_cndmask_b32_e32 v3, v5, v3, vcc
	v_cndmask_b32_e32 v2, v4, v2, vcc
	v_cndmask_b32_e64 v1, v8, 1, vcc
.LBB1260_142:
	s_or_b64 exec, exec, s[8:9]
.LBB1260_143:
	s_or_b64 exec, exec, s[6:7]
.LBB1260_144:
	s_or_b64 exec, exec, s[4:5]
.LBB1260_145:
	v_cmp_eq_u32_e32 vcc, 0, v0
	s_mov_b64 s[12:13], 0
                                        ; implicit-def: $vgpr4_vgpr5
                                        ; implicit-def: $vgpr6
	s_and_saveexec_b64 s[4:5], vcc
	s_xor_b64 s[8:9], exec, s[4:5]
	s_cbranch_execz .LBB1260_149
; %bb.146:
	s_cmp_eq_u64 s[22:23], 0
	s_waitcnt lgkmcnt(0)
	v_mov_b64_e32 v[4:5], s[18:19]
	v_mov_b32_e32 v6, s33
	s_cbranch_scc1 .LBB1260_148
; %bb.147:
	s_bitcmp1_b32 s33, 0
	v_and_b32_e32 v4, 1, v1
	v_cmp_eq_u32_e32 vcc, 1, v4
	v_cmp_gt_i64_e64 s[4:5], s[18:19], v[2:3]
	s_cselect_b64 s[6:7], -1, 0
	v_cndmask_b32_e64 v6, v1, 1, s[6:7]
	v_mov_b32_e32 v1, s18
	s_and_b64 vcc, vcc, s[4:5]
	v_mov_b32_e32 v4, s19
	v_cndmask_b32_e32 v1, v1, v2, vcc
	v_cndmask_b32_e32 v4, v4, v3, vcc
	v_cndmask_b32_e64 v5, v3, v4, s[6:7]
	v_cndmask_b32_e64 v4, v2, v1, s[6:7]
.LBB1260_148:
	s_mov_b64 s[12:13], exec
.LBB1260_149:
	s_or_b64 exec, exec, s[8:9]
	v_mov_b64_e32 v[2:3], s[2:3]
	s_and_b64 vcc, exec, s[28:29]
	s_cbranch_vccnz .LBB1260_16
.LBB1260_150:
	s_branch .LBB1260_306
.LBB1260_151:
	v_lshlrev_b32_e32 v4, 3, v0
	global_load_dwordx2 v[16:17], v4, s[14:15] offset:3072
	global_load_dwordx2 v[18:19], v4, s[16:17] offset:3072
	v_mov_b32_e32 v11, 0
	v_lshl_add_u64 v[4:5], s[28:29], 0, v[10:11]
	s_waitcnt vmcnt(0)
	v_cmp_ne_u64_e64 s[8:9], v[16:17], v[18:19]
	s_nop 1
	v_cndmask_b32_e64 v12, 0, 1, s[8:9]
	s_or_b64 exec, exec, s[10:11]
	s_and_saveexec_b64 s[10:11], s[6:7]
	s_cbranch_execz .LBB1260_60
.LBB1260_152:
	v_and_b32_e32 v1, 1, v1
	v_cmp_eq_u32_e64 s[6:7], 1, v1
	v_and_b32_e32 v1, 1, v14
	v_cmp_eq_u32_e64 s[8:9], 1, v1
	s_and_b64 s[8:9], s[6:7], s[8:9]
	s_xor_b64 s[8:9], s[8:9], -1
                                        ; implicit-def: $vgpr1
	s_and_saveexec_b64 s[14:15], s[8:9]
	s_xor_b64 s[8:9], exec, s[14:15]
; %bb.153:
	v_and_b32_e32 v1, 0xffff, v14
	v_cndmask_b32_e64 v1, v1, 1, s[6:7]
	v_cndmask_b32_e64 v3, v9, v3, s[6:7]
	;; [unrolled: 1-line block ×3, first 2 shown]
                                        ; implicit-def: $vgpr8_vgpr9
; %bb.154:
	s_andn2_saveexec_b64 s[8:9], s[8:9]
; %bb.155:
	v_cmp_lt_i64_e64 s[6:7], v[8:9], v[2:3]
	v_mov_b32_e32 v1, 1
	s_nop 0
	v_cndmask_b32_e64 v3, v3, v9, s[6:7]
	v_cndmask_b32_e64 v2, v2, v8, s[6:7]
; %bb.156:
	s_or_b64 exec, exec, s[8:9]
	s_or_b64 exec, exec, s[10:11]
	s_and_saveexec_b64 s[8:9], s[4:5]
	s_cbranch_execz .LBB1260_61
.LBB1260_157:
	v_and_b32_e32 v1, 1, v1
	v_cmp_eq_u32_e64 s[4:5], 1, v1
	v_and_b32_e32 v1, 1, v13
	v_cmp_eq_u32_e64 s[6:7], 1, v1
	s_and_b64 s[6:7], s[4:5], s[6:7]
	s_xor_b64 s[6:7], s[6:7], -1
                                        ; implicit-def: $vgpr1
	s_and_saveexec_b64 s[10:11], s[6:7]
	s_xor_b64 s[6:7], exec, s[10:11]
; %bb.158:
	v_and_b32_e32 v1, 0xffff, v13
	v_cndmask_b32_e64 v1, v1, 1, s[4:5]
	v_cndmask_b32_e64 v3, v7, v3, s[4:5]
	;; [unrolled: 1-line block ×3, first 2 shown]
                                        ; implicit-def: $vgpr6_vgpr7
; %bb.159:
	s_andn2_saveexec_b64 s[6:7], s[6:7]
; %bb.160:
	v_cmp_lt_i64_e64 s[4:5], v[6:7], v[2:3]
	v_mov_b32_e32 v1, 1
	s_nop 0
	v_cndmask_b32_e64 v3, v3, v7, s[4:5]
	v_cndmask_b32_e64 v2, v2, v6, s[4:5]
; %bb.161:
	s_or_b64 exec, exec, s[6:7]
	s_or_b64 exec, exec, s[8:9]
	s_and_saveexec_b64 s[6:7], vcc
	s_cbranch_execz .LBB1260_167
.LBB1260_162:
	v_and_b32_e32 v1, 1, v1
	v_cmp_eq_u32_e32 vcc, 1, v1
	v_and_b32_e32 v1, 1, v12
	v_cmp_eq_u32_e64 s[4:5], 1, v1
	s_and_b64 s[4:5], vcc, s[4:5]
	s_xor_b64 s[4:5], s[4:5], -1
                                        ; implicit-def: $vgpr1
	s_and_saveexec_b64 s[8:9], s[4:5]
	s_xor_b64 s[4:5], exec, s[8:9]
; %bb.163:
	v_and_b32_e32 v1, 0xffff, v12
	v_cndmask_b32_e64 v1, v1, 1, vcc
	v_cndmask_b32_e32 v3, v5, v3, vcc
	v_cndmask_b32_e32 v2, v4, v2, vcc
                                        ; implicit-def: $vgpr4_vgpr5
; %bb.164:
	s_andn2_saveexec_b64 s[4:5], s[4:5]
; %bb.165:
	v_cmp_lt_i64_e32 vcc, v[4:5], v[2:3]
	v_mov_b32_e32 v1, 1
	s_nop 0
	v_cndmask_b32_e32 v3, v3, v5, vcc
	v_cndmask_b32_e32 v2, v2, v4, vcc
; %bb.166:
	s_or_b64 exec, exec, s[4:5]
.LBB1260_167:
	s_or_b64 exec, exec, s[6:7]
	v_mbcnt_lo_u32_b32 v4, -1, 0
	v_mbcnt_hi_u32_b32 v6, -1, v4
	v_and_b32_e32 v7, 63, v6
	v_cmp_ne_u32_e32 vcc, 63, v7
	s_min_u32 s8, s30, 0x80
	v_and_b32_e32 v8, 64, v0
	v_addc_co_u32_e32 v4, vcc, 0, v6, vcc
	v_lshlrev_b32_e32 v5, 2, v4
	ds_bpermute_b32 v9, v5, v1
	ds_bpermute_b32 v4, v5, v2
	;; [unrolled: 1-line block ×3, first 2 shown]
	v_sub_u32_e64 v8, s8, v8 clamp
	v_add_u32_e32 v10, 1, v7
	v_cmp_lt_u32_e32 vcc, v10, v8
	s_and_saveexec_b64 s[4:5], vcc
	s_xor_b64 s[4:5], exec, s[4:5]
	s_cbranch_execz .LBB1260_173
; %bb.168:
	s_waitcnt lgkmcnt(2)
	v_and_b32_e32 v10, v9, v1
	v_cmp_ne_u32_e32 vcc, 0, v10
	s_and_saveexec_b64 s[6:7], vcc
	s_xor_b64 s[6:7], exec, s[6:7]
	s_cbranch_execz .LBB1260_170
; %bb.169:
	s_waitcnt lgkmcnt(0)
	v_cmp_lt_i64_e32 vcc, v[4:5], v[2:3]
                                        ; implicit-def: $vgpr1
                                        ; implicit-def: $vgpr9
	s_nop 1
	v_cndmask_b32_e32 v3, v3, v5, vcc
	v_cndmask_b32_e32 v2, v2, v4, vcc
                                        ; implicit-def: $vgpr4_vgpr5
.LBB1260_170:
	s_or_saveexec_b64 s[6:7], s[6:7]
	v_mov_b32_e32 v10, 1
	s_xor_b64 exec, exec, s[6:7]
	s_cbranch_execz .LBB1260_172
; %bb.171:
	v_and_b32_e32 v1, 1, v1
	v_cmp_eq_u32_e32 vcc, 1, v1
	v_and_b32_e32 v1, 0xff, v9
	s_waitcnt lgkmcnt(0)
	v_cndmask_b32_e32 v3, v5, v3, vcc
	v_cndmask_b32_e32 v2, v4, v2, vcc
	v_cndmask_b32_e64 v10, v1, 1, vcc
.LBB1260_172:
	s_or_b64 exec, exec, s[6:7]
	v_mov_b32_e32 v1, v10
.LBB1260_173:
	s_or_b64 exec, exec, s[4:5]
	v_cmp_gt_u32_e32 vcc, 62, v7
	v_add_u32_e32 v10, 2, v7
	s_waitcnt lgkmcnt(1)
	v_cndmask_b32_e64 v4, 0, 2, vcc
	s_waitcnt lgkmcnt(0)
	v_add_lshl_u32 v5, v4, v6, 2
	ds_bpermute_b32 v9, v5, v1
	ds_bpermute_b32 v4, v5, v2
	ds_bpermute_b32 v5, v5, v3
	v_cmp_lt_u32_e32 vcc, v10, v8
	s_and_saveexec_b64 s[4:5], vcc
	s_cbranch_execz .LBB1260_179
; %bb.174:
	s_waitcnt lgkmcnt(2)
	v_and_b32_e32 v10, v1, v9
	v_and_b32_e32 v10, 1, v10
	v_cmp_eq_u32_e32 vcc, 1, v10
	s_and_saveexec_b64 s[6:7], vcc
	s_xor_b64 s[6:7], exec, s[6:7]
	s_cbranch_execz .LBB1260_176
; %bb.175:
	s_waitcnt lgkmcnt(0)
	v_cmp_lt_i64_e32 vcc, v[4:5], v[2:3]
                                        ; implicit-def: $vgpr1
                                        ; implicit-def: $vgpr9
	s_nop 1
	v_cndmask_b32_e32 v3, v3, v5, vcc
	v_cndmask_b32_e32 v2, v2, v4, vcc
                                        ; implicit-def: $vgpr4_vgpr5
.LBB1260_176:
	s_or_saveexec_b64 s[6:7], s[6:7]
	v_mov_b32_e32 v10, 1
	s_xor_b64 exec, exec, s[6:7]
	s_cbranch_execz .LBB1260_178
; %bb.177:
	v_and_b32_e32 v1, 1, v1
	v_cmp_eq_u32_e32 vcc, 1, v1
	v_and_b32_e32 v1, 0xff, v9
	s_waitcnt lgkmcnt(0)
	v_cndmask_b32_e32 v3, v5, v3, vcc
	v_cndmask_b32_e32 v2, v4, v2, vcc
	v_cndmask_b32_e64 v10, v1, 1, vcc
.LBB1260_178:
	s_or_b64 exec, exec, s[6:7]
	v_mov_b32_e32 v1, v10
.LBB1260_179:
	s_or_b64 exec, exec, s[4:5]
	v_cmp_gt_u32_e32 vcc, 60, v7
	v_add_u32_e32 v10, 4, v7
	s_waitcnt lgkmcnt(1)
	v_cndmask_b32_e64 v4, 0, 4, vcc
	s_waitcnt lgkmcnt(0)
	v_add_lshl_u32 v5, v4, v6, 2
	ds_bpermute_b32 v9, v5, v1
	ds_bpermute_b32 v4, v5, v2
	ds_bpermute_b32 v5, v5, v3
	v_cmp_lt_u32_e32 vcc, v10, v8
	s_and_saveexec_b64 s[4:5], vcc
	s_cbranch_execz .LBB1260_185
; %bb.180:
	s_waitcnt lgkmcnt(2)
	v_and_b32_e32 v10, v1, v9
	v_and_b32_e32 v10, 1, v10
	v_cmp_eq_u32_e32 vcc, 1, v10
	s_and_saveexec_b64 s[6:7], vcc
	s_xor_b64 s[6:7], exec, s[6:7]
	s_cbranch_execz .LBB1260_182
; %bb.181:
	s_waitcnt lgkmcnt(0)
	v_cmp_lt_i64_e32 vcc, v[4:5], v[2:3]
                                        ; implicit-def: $vgpr1
                                        ; implicit-def: $vgpr9
	s_nop 1
	v_cndmask_b32_e32 v3, v3, v5, vcc
	v_cndmask_b32_e32 v2, v2, v4, vcc
                                        ; implicit-def: $vgpr4_vgpr5
.LBB1260_182:
	s_or_saveexec_b64 s[6:7], s[6:7]
	v_mov_b32_e32 v10, 1
	s_xor_b64 exec, exec, s[6:7]
	s_cbranch_execz .LBB1260_184
; %bb.183:
	v_and_b32_e32 v1, 1, v1
	v_cmp_eq_u32_e32 vcc, 1, v1
	v_and_b32_e32 v1, 0xff, v9
	s_waitcnt lgkmcnt(0)
	v_cndmask_b32_e32 v3, v5, v3, vcc
	v_cndmask_b32_e32 v2, v4, v2, vcc
	v_cndmask_b32_e64 v10, v1, 1, vcc
.LBB1260_184:
	s_or_b64 exec, exec, s[6:7]
	v_mov_b32_e32 v1, v10
.LBB1260_185:
	;; [unrolled: 47-line block ×4, first 2 shown]
	s_or_b64 exec, exec, s[4:5]
	s_waitcnt lgkmcnt(2)
	v_lshlrev_b32_e32 v9, 2, v6
	s_waitcnt lgkmcnt(0)
	v_or_b32_e32 v5, 0x80, v9
	ds_bpermute_b32 v10, v5, v1
	ds_bpermute_b32 v4, v5, v2
	;; [unrolled: 1-line block ×3, first 2 shown]
	v_add_u32_e32 v7, 32, v7
	v_cmp_lt_u32_e32 vcc, v7, v8
	v_mov_b32_e32 v7, v1
	s_and_saveexec_b64 s[4:5], vcc
	s_cbranch_execz .LBB1260_203
; %bb.198:
	s_waitcnt lgkmcnt(2)
	v_and_b32_e32 v7, v1, v10
	v_and_b32_e32 v7, 1, v7
	v_cmp_eq_u32_e32 vcc, 1, v7
	s_and_saveexec_b64 s[6:7], vcc
	s_xor_b64 s[6:7], exec, s[6:7]
	s_cbranch_execz .LBB1260_200
; %bb.199:
	s_waitcnt lgkmcnt(0)
	v_cmp_lt_i64_e32 vcc, v[4:5], v[2:3]
                                        ; implicit-def: $vgpr1
                                        ; implicit-def: $vgpr10
	s_nop 1
	v_cndmask_b32_e32 v3, v3, v5, vcc
	v_cndmask_b32_e32 v2, v2, v4, vcc
                                        ; implicit-def: $vgpr4_vgpr5
.LBB1260_200:
	s_or_saveexec_b64 s[6:7], s[6:7]
	v_mov_b32_e32 v7, 1
	s_xor_b64 exec, exec, s[6:7]
	s_cbranch_execz .LBB1260_202
; %bb.201:
	v_and_b32_e32 v1, 1, v1
	v_cmp_eq_u32_e32 vcc, 1, v1
	s_nop 1
	v_cndmask_b32_e64 v7, v10, 1, vcc
	s_waitcnt lgkmcnt(0)
	v_cndmask_b32_e32 v3, v5, v3, vcc
	v_cndmask_b32_e32 v2, v4, v2, vcc
.LBB1260_202:
	s_or_b64 exec, exec, s[6:7]
	v_and_b32_e32 v1, 0xff, v7
.LBB1260_203:
	s_or_b64 exec, exec, s[4:5]
	v_cmp_eq_u32_e32 vcc, 0, v6
	s_and_saveexec_b64 s[4:5], vcc
	s_cbranch_execz .LBB1260_205
; %bb.204:
	s_waitcnt lgkmcnt(1)
	v_lshrrev_b32_e32 v4, 2, v0
	v_and_b32_e32 v4, 16, v4
	ds_write_b8 v4, v7 offset:128
	ds_write_b64 v4, v[2:3] offset:136
.LBB1260_205:
	s_or_b64 exec, exec, s[4:5]
	v_cmp_gt_u32_e32 vcc, 2, v0
	s_waitcnt lgkmcnt(0)
	s_barrier
	s_and_saveexec_b64 s[4:5], vcc
	s_cbranch_execz .LBB1260_213
; %bb.206:
	v_lshlrev_b32_e32 v1, 4, v6
	ds_read_u8 v7, v1 offset:128
	ds_read_b64 v[2:3], v1 offset:136
	v_or_b32_e32 v5, 4, v9
	s_add_i32 s8, s8, 63
	v_and_b32_e32 v6, 1, v6
	s_waitcnt lgkmcnt(1)
	v_and_b32_e32 v1, 0xff, v7
	s_waitcnt lgkmcnt(0)
	ds_bpermute_b32 v4, v5, v2
	ds_bpermute_b32 v8, v5, v1
	ds_bpermute_b32 v5, v5, v3
	s_lshr_b32 s6, s8, 6
	v_add_u32_e32 v6, 1, v6
	v_cmp_gt_u32_e32 vcc, s6, v6
	s_and_saveexec_b64 s[6:7], vcc
	s_cbranch_execz .LBB1260_212
; %bb.207:
	s_waitcnt lgkmcnt(1)
	v_and_b32_e32 v1, v1, v8
	v_and_b32_e32 v1, 1, v1
	v_cmp_eq_u32_e32 vcc, 1, v1
	s_and_saveexec_b64 s[8:9], vcc
	s_xor_b64 s[8:9], exec, s[8:9]
	s_cbranch_execz .LBB1260_209
; %bb.208:
	s_waitcnt lgkmcnt(0)
	v_cmp_lt_i64_e32 vcc, v[4:5], v[2:3]
                                        ; implicit-def: $vgpr7
                                        ; implicit-def: $vgpr8
	s_nop 1
	v_cndmask_b32_e32 v3, v3, v5, vcc
	v_cndmask_b32_e32 v2, v2, v4, vcc
                                        ; implicit-def: $vgpr4_vgpr5
.LBB1260_209:
	s_or_saveexec_b64 s[8:9], s[8:9]
	v_mov_b32_e32 v1, 1
	s_xor_b64 exec, exec, s[8:9]
	s_cbranch_execz .LBB1260_211
; %bb.210:
	v_and_b32_e32 v1, 1, v7
	v_cmp_eq_u32_e32 vcc, 1, v1
	s_waitcnt lgkmcnt(0)
	s_nop 0
	v_cndmask_b32_e32 v3, v5, v3, vcc
	v_cndmask_b32_e32 v2, v4, v2, vcc
	v_cndmask_b32_e64 v1, v8, 1, vcc
.LBB1260_211:
	s_or_b64 exec, exec, s[8:9]
.LBB1260_212:
	s_or_b64 exec, exec, s[6:7]
.LBB1260_213:
	s_or_b64 exec, exec, s[4:5]
.LBB1260_214:
	v_cmp_eq_u32_e32 vcc, 0, v0
                                        ; implicit-def: $vgpr4_vgpr5
                                        ; implicit-def: $vgpr6
	s_and_saveexec_b64 s[4:5], vcc
	s_xor_b64 s[8:9], exec, s[4:5]
	s_cbranch_execz .LBB1260_218
; %bb.215:
	s_cmp_eq_u64 s[22:23], 0
	s_waitcnt lgkmcnt(0)
	v_mov_b64_e32 v[4:5], s[18:19]
	v_mov_b32_e32 v6, s33
	s_cbranch_scc1 .LBB1260_217
; %bb.216:
	s_bitcmp1_b32 s33, 0
	v_and_b32_e32 v4, 1, v1
	v_cmp_eq_u32_e32 vcc, 1, v4
	v_cmp_gt_i64_e64 s[4:5], s[18:19], v[2:3]
	s_cselect_b64 s[6:7], -1, 0
	v_cndmask_b32_e64 v6, v1, 1, s[6:7]
	v_mov_b32_e32 v1, s18
	s_and_b64 vcc, vcc, s[4:5]
	v_mov_b32_e32 v4, s19
	v_cndmask_b32_e32 v1, v1, v2, vcc
	v_cndmask_b32_e32 v4, v4, v3, vcc
	v_cndmask_b32_e64 v5, v3, v4, s[6:7]
	v_cndmask_b32_e64 v4, v2, v1, s[6:7]
.LBB1260_217:
	s_or_b64 s[12:13], s[12:13], exec
.LBB1260_218:
	s_or_b64 exec, exec, s[8:9]
	v_mov_b64_e32 v[2:3], s[2:3]
	s_branch .LBB1260_306
.LBB1260_219:
	s_cmp_gt_i32 s38, 1
	s_cbranch_scc0 .LBB1260_231
; %bb.220:
	s_cmp_eq_u32 s38, 2
	s_cbranch_scc0 .LBB1260_232
; %bb.221:
	s_mov_b32 s3, 0
	s_lshl_b32 s30, s2, 8
	s_mov_b32 s31, s3
	s_lshr_b64 s[4:5], s[22:23], 8
	s_lshl_b64 s[6:7], s[30:31], 3
	s_add_u32 s14, s24, s6
	s_addc_u32 s15, s25, s7
	s_add_u32 s16, s26, s6
	s_addc_u32 s17, s27, s7
	;; [unrolled: 2-line block ×3, first 2 shown]
	s_cmp_lg_u64 s[4:5], s[2:3]
	s_cbranch_scc0 .LBB1260_233
; %bb.222:
	v_lshlrev_b32_e32 v1, 3, v0
	global_load_dwordx2 v[2:3], v1, s[16:17]
	s_waitcnt lgkmcnt(0)
	global_load_dwordx2 v[4:5], v1, s[16:17] offset:1024
	global_load_dwordx2 v[8:9], v1, s[14:15] offset:1024
	global_load_dwordx2 v[10:11], v1, s[14:15]
	v_mov_b32_e32 v1, 0
	s_mov_b64 s[4:5], 0x80
	v_lshl_add_u64 v[12:13], s[28:29], 0, v[0:1]
	v_lshl_add_u64 v[14:15], v[12:13], 0, s[4:5]
	v_mbcnt_lo_u32_b32 v6, -1, 0
	v_mbcnt_hi_u32_b32 v1, -1, v6
	v_lshlrev_b32_e32 v6, 2, v1
	v_or_b32_e32 v7, 0xfc, v6
	s_waitcnt vmcnt(1)
	v_cmp_ne_u64_e32 vcc, v[8:9], v[4:5]
	s_waitcnt vmcnt(0)
	v_cmp_ne_u64_e64 s[4:5], v[10:11], v[2:3]
	s_nop 1
	v_cndmask_b32_e64 v3, v15, v13, s[4:5]
	v_cndmask_b32_e64 v2, v14, v12, s[4:5]
	s_or_b64 s[4:5], s[4:5], vcc
	v_cndmask_b32_e64 v8, 0, 1, s[4:5]
	v_mov_b32_dpp v5, v3 quad_perm:[1,0,3,2] row_mask:0xf bank_mask:0xf bound_ctrl:1
	v_mov_b32_dpp v4, v2 quad_perm:[1,0,3,2] row_mask:0xf bank_mask:0xf bound_ctrl:1
	;; [unrolled: 1-line block ×3, first 2 shown]
	v_cmp_lt_i64_e32 vcc, v[2:3], v[4:5]
	v_and_b32_e32 v9, 1, v9
	s_and_b64 vcc, s[4:5], vcc
	v_cndmask_b32_e32 v4, v4, v2, vcc
	v_cndmask_b32_e32 v5, v5, v3, vcc
	v_cmp_eq_u32_e32 vcc, 1, v9
	s_nop 1
	v_cndmask_b32_e32 v3, v3, v5, vcc
	v_cndmask_b32_e32 v2, v2, v4, vcc
	v_cndmask_b32_e64 v8, v8, 1, vcc
	v_mov_b32_dpp v5, v3 quad_perm:[2,3,0,1] row_mask:0xf bank_mask:0xf bound_ctrl:1
	v_mov_b32_dpp v4, v2 quad_perm:[2,3,0,1] row_mask:0xf bank_mask:0xf bound_ctrl:1
	v_and_b32_e32 v10, 1, v8
	v_mov_b32_dpp v9, v8 quad_perm:[2,3,0,1] row_mask:0xf bank_mask:0xf bound_ctrl:1
	v_cmp_eq_u32_e32 vcc, 1, v10
	v_cmp_lt_i64_e64 s[4:5], v[2:3], v[4:5]
	v_and_b32_e32 v9, 1, v9
	s_and_b64 vcc, vcc, s[4:5]
	v_cmp_eq_u32_e64 s[6:7], 1, v9
	v_cndmask_b32_e32 v4, v4, v2, vcc
	v_cndmask_b32_e32 v5, v5, v3, vcc
	v_cndmask_b32_e64 v8, v8, 1, s[6:7]
	v_cndmask_b32_e64 v2, v2, v4, s[6:7]
	;; [unrolled: 1-line block ×3, first 2 shown]
	v_and_b32_e32 v10, 1, v8
	v_mov_b32_dpp v4, v2 row_ror:4 row_mask:0xf bank_mask:0xf bound_ctrl:1
	v_mov_b32_dpp v5, v3 row_ror:4 row_mask:0xf bank_mask:0xf bound_ctrl:1
	;; [unrolled: 1-line block ×3, first 2 shown]
	v_cmp_eq_u32_e32 vcc, 1, v10
	v_cmp_lt_i64_e64 s[6:7], v[2:3], v[4:5]
	v_and_b32_e32 v9, 1, v9
	s_and_b64 vcc, vcc, s[6:7]
	v_cmp_eq_u32_e64 s[4:5], 1, v9
	v_cndmask_b32_e32 v4, v4, v2, vcc
	v_cndmask_b32_e32 v5, v5, v3, vcc
	v_cndmask_b32_e64 v8, v8, 1, s[4:5]
	v_cndmask_b32_e64 v2, v2, v4, s[4:5]
	v_cndmask_b32_e64 v3, v3, v5, s[4:5]
	v_and_b32_e32 v10, 1, v8
	v_mov_b32_dpp v4, v2 row_ror:8 row_mask:0xf bank_mask:0xf bound_ctrl:1
	v_mov_b32_dpp v5, v3 row_ror:8 row_mask:0xf bank_mask:0xf bound_ctrl:1
	;; [unrolled: 1-line block ×3, first 2 shown]
	v_cmp_eq_u32_e64 s[6:7], 1, v10
	v_cmp_lt_i64_e64 s[8:9], v[2:3], v[4:5]
	v_and_b32_e32 v9, 1, v9
	s_and_b64 s[6:7], s[6:7], s[8:9]
	v_cmp_eq_u32_e32 vcc, 1, v9
	v_cndmask_b32_e64 v4, v4, v2, s[6:7]
	v_cndmask_b32_e64 v5, v5, v3, s[6:7]
	v_cndmask_b32_e64 v8, v8, 1, vcc
	v_cndmask_b32_e32 v2, v2, v4, vcc
	v_cndmask_b32_e32 v3, v3, v5, vcc
	v_and_b32_e32 v10, 1, v8
	v_mov_b32_dpp v4, v2 row_bcast:15 row_mask:0xf bank_mask:0xf bound_ctrl:1
	v_mov_b32_dpp v5, v3 row_bcast:15 row_mask:0xf bank_mask:0xf bound_ctrl:1
	;; [unrolled: 1-line block ×3, first 2 shown]
	v_cmp_eq_u32_e64 s[4:5], 1, v10
	v_cmp_lt_i64_e64 s[8:9], v[2:3], v[4:5]
	v_and_b32_e32 v9, 1, v9
	s_and_b64 s[4:5], s[4:5], s[8:9]
	v_cmp_eq_u32_e64 s[10:11], 1, v9
	v_cndmask_b32_e64 v4, v4, v2, s[4:5]
	v_cndmask_b32_e64 v5, v5, v3, s[4:5]
	;; [unrolled: 1-line block ×5, first 2 shown]
	v_and_b32_e32 v10, 1, v8
	v_mov_b32_dpp v4, v2 row_bcast:31 row_mask:0xf bank_mask:0xf bound_ctrl:1
	v_mov_b32_dpp v5, v3 row_bcast:31 row_mask:0xf bank_mask:0xf bound_ctrl:1
	;; [unrolled: 1-line block ×3, first 2 shown]
	v_cmp_eq_u32_e64 s[6:7], 1, v10
	v_cmp_lt_i64_e64 s[4:5], v[2:3], v[4:5]
	v_and_b32_e32 v9, 1, v9
	s_and_b64 s[4:5], s[6:7], s[4:5]
	v_cmp_eq_u32_e32 vcc, 1, v9
	v_cndmask_b32_e64 v4, v4, v2, s[4:5]
	v_cndmask_b32_e64 v5, v5, v3, s[4:5]
	v_cndmask_b32_e64 v8, v8, 1, vcc
	v_cndmask_b32_e32 v2, v2, v4, vcc
	v_cndmask_b32_e32 v3, v3, v5, vcc
	ds_bpermute_b32 v8, v7, v8
	ds_bpermute_b32 v2, v7, v2
	;; [unrolled: 1-line block ×3, first 2 shown]
	v_cmp_eq_u32_e32 vcc, 0, v1
	s_and_saveexec_b64 s[4:5], vcc
	s_cbranch_execz .LBB1260_224
; %bb.223:
	v_lshrrev_b32_e32 v4, 2, v0
	v_and_b32_e32 v4, 16, v4
	s_waitcnt lgkmcnt(2)
	ds_write_b8 v4, v8 offset:32
	s_waitcnt lgkmcnt(1)
	ds_write_b64 v4, v[2:3] offset:40
.LBB1260_224:
	s_or_b64 exec, exec, s[4:5]
	v_cmp_gt_u32_e32 vcc, 64, v0
	s_waitcnt lgkmcnt(0)
	s_barrier
	s_and_saveexec_b64 s[4:5], vcc
	s_cbranch_execz .LBB1260_230
; %bb.225:
	v_and_b32_e32 v1, 1, v1
	v_lshlrev_b32_e32 v2, 4, v1
	ds_read_u8 v1, v2 offset:32
	ds_read_b64 v[4:5], v2 offset:40
	v_or_b32_e32 v3, 4, v6
	s_waitcnt lgkmcnt(1)
	v_and_b32_e32 v2, 0xff, v1
	ds_bpermute_b32 v9, v3, v2
	s_waitcnt lgkmcnt(1)
	ds_bpermute_b32 v6, v3, v4
	ds_bpermute_b32 v7, v3, v5
	s_waitcnt lgkmcnt(2)
	v_and_b32_e32 v2, v1, v9
	v_and_b32_e32 v2, 1, v2
	v_cmp_eq_u32_e32 vcc, 1, v2
                                        ; implicit-def: $vgpr2_vgpr3
	s_and_saveexec_b64 s[6:7], vcc
	s_xor_b64 s[6:7], exec, s[6:7]
	s_cbranch_execz .LBB1260_227
; %bb.226:
	s_waitcnt lgkmcnt(0)
	v_cmp_lt_i64_e32 vcc, v[6:7], v[4:5]
                                        ; implicit-def: $vgpr1
                                        ; implicit-def: $vgpr9
	s_nop 1
	v_cndmask_b32_e32 v3, v5, v7, vcc
	v_cndmask_b32_e32 v2, v4, v6, vcc
                                        ; implicit-def: $vgpr6_vgpr7
                                        ; implicit-def: $vgpr4_vgpr5
.LBB1260_227:
	s_or_saveexec_b64 s[6:7], s[6:7]
	v_mov_b32_e32 v8, 1
	s_xor_b64 exec, exec, s[6:7]
	s_cbranch_execz .LBB1260_229
; %bb.228:
	v_and_b32_e32 v1, 1, v1
	v_cmp_eq_u32_e32 vcc, 1, v1
	s_waitcnt lgkmcnt(0)
	s_nop 0
	v_cndmask_b32_e32 v3, v7, v5, vcc
	v_cndmask_b32_e32 v2, v6, v4, vcc
	v_cndmask_b32_e64 v8, v9, 1, vcc
.LBB1260_229:
	s_or_b64 exec, exec, s[6:7]
.LBB1260_230:
	s_or_b64 exec, exec, s[4:5]
	s_branch .LBB1260_285
.LBB1260_231:
                                        ; implicit-def: $vgpr4_vgpr5
                                        ; implicit-def: $vgpr6
                                        ; implicit-def: $vgpr2_vgpr3
	s_cbranch_execnz .LBB1260_290
	s_branch .LBB1260_306
.LBB1260_232:
                                        ; implicit-def: $vgpr4_vgpr5
                                        ; implicit-def: $vgpr6
                                        ; implicit-def: $vgpr2_vgpr3
	s_branch .LBB1260_306
.LBB1260_233:
                                        ; implicit-def: $vgpr2_vgpr3
                                        ; implicit-def: $vgpr8
	s_cbranch_execz .LBB1260_285
; %bb.234:
	s_sub_i32 s10, s22, s30
	v_cmp_gt_u32_e32 vcc, s10, v0
	s_waitcnt lgkmcnt(0)
	v_mov_b32_e32 v7, 0
	v_mov_b64_e32 v[4:5], 0
	v_mov_b64_e32 v[2:3], 0
	v_mov_b32_e32 v1, 0
	s_and_saveexec_b64 s[4:5], vcc
	s_cbranch_execz .LBB1260_236
; %bb.235:
	v_lshlrev_b32_e32 v1, 3, v0
	global_load_dwordx2 v[8:9], v1, s[14:15]
	global_load_dwordx2 v[10:11], v1, s[16:17]
	v_mov_b32_e32 v1, 0
	v_lshl_add_u64 v[2:3], s[28:29], 0, v[0:1]
	s_waitcnt vmcnt(0)
	v_cmp_ne_u64_e32 vcc, v[8:9], v[10:11]
	s_nop 1
	v_cndmask_b32_e64 v1, 0, 1, vcc
.LBB1260_236:
	s_or_b64 exec, exec, s[4:5]
	v_or_b32_e32 v6, 0x80, v0
	v_cmp_gt_u32_e32 vcc, s10, v6
	s_and_saveexec_b64 s[6:7], vcc
	s_cbranch_execz .LBB1260_238
; %bb.237:
	v_lshlrev_b32_e32 v4, 3, v0
	global_load_dwordx2 v[8:9], v4, s[14:15] offset:1024
	global_load_dwordx2 v[10:11], v4, s[16:17] offset:1024
	v_mov_b32_e32 v7, 0
	v_lshl_add_u64 v[4:5], s[28:29], 0, v[6:7]
	s_waitcnt vmcnt(0)
	v_cmp_ne_u64_e64 s[4:5], v[8:9], v[10:11]
	s_nop 1
	v_cndmask_b32_e64 v7, 0, 1, s[4:5]
.LBB1260_238:
	s_or_b64 exec, exec, s[6:7]
	v_and_b32_e32 v8, 0xffff, v7
	v_and_b32_e32 v7, 1, v7
	;; [unrolled: 1-line block ×3, first 2 shown]
	v_cmp_eq_u32_e64 s[4:5], 1, v7
	v_and_b32_e32 v1, 1, v1
	v_cmp_lt_i64_e64 s[6:7], v[4:5], v[2:3]
	v_cmp_eq_u32_e64 s[8:9], 1, v1
	s_and_b64 s[4:5], s[4:5], s[6:7]
	v_cndmask_b32_e64 v7, v3, v5, s[4:5]
	v_cndmask_b32_e64 v1, v8, 1, s[8:9]
	;; [unrolled: 1-line block ×4, first 2 shown]
	v_cndmask_b32_e32 v8, v6, v1, vcc
	v_mbcnt_lo_u32_b32 v1, -1, 0
	v_mbcnt_hi_u32_b32 v1, -1, v1
	v_cndmask_b32_e64 v5, v5, v7, s[8:9]
	v_and_b32_e32 v6, 63, v1
	v_cndmask_b32_e32 v3, v3, v5, vcc
	v_cndmask_b32_e32 v2, v2, v4, vcc
	v_cmp_ne_u32_e32 vcc, 63, v6
	s_min_u32 s8, s10, 0x80
	v_and_b32_e32 v7, 64, v0
	v_addc_co_u32_e32 v4, vcc, 0, v1, vcc
	v_lshlrev_b32_e32 v5, 2, v4
	ds_bpermute_b32 v9, v5, v8
	ds_bpermute_b32 v4, v5, v2
	;; [unrolled: 1-line block ×3, first 2 shown]
	v_sub_u32_e64 v7, s8, v7 clamp
	v_add_u32_e32 v10, 1, v6
	v_cmp_lt_u32_e32 vcc, v10, v7
	s_and_saveexec_b64 s[4:5], vcc
	s_cbranch_execz .LBB1260_244
; %bb.239:
	s_waitcnt lgkmcnt(2)
	v_and_b32_e32 v10, v9, v8
	v_cmp_ne_u32_e32 vcc, 0, v10
	s_and_saveexec_b64 s[6:7], vcc
	s_xor_b64 s[6:7], exec, s[6:7]
	s_cbranch_execz .LBB1260_241
; %bb.240:
	s_waitcnt lgkmcnt(0)
	v_cmp_lt_i64_e32 vcc, v[4:5], v[2:3]
                                        ; implicit-def: $vgpr8
                                        ; implicit-def: $vgpr9
	s_nop 1
	v_cndmask_b32_e32 v3, v3, v5, vcc
	v_cndmask_b32_e32 v2, v2, v4, vcc
                                        ; implicit-def: $vgpr4_vgpr5
.LBB1260_241:
	s_or_saveexec_b64 s[6:7], s[6:7]
	v_mov_b32_e32 v10, 1
	s_xor_b64 exec, exec, s[6:7]
	s_cbranch_execz .LBB1260_243
; %bb.242:
	v_and_b32_e32 v8, 1, v8
	v_cmp_eq_u32_e32 vcc, 1, v8
	s_waitcnt lgkmcnt(1)
	s_nop 0
	v_cndmask_b32_e32 v2, v4, v2, vcc
	v_and_b32_e32 v4, 0xff, v9
	s_waitcnt lgkmcnt(0)
	v_cndmask_b32_e32 v3, v5, v3, vcc
	v_cndmask_b32_e64 v10, v4, 1, vcc
.LBB1260_243:
	s_or_b64 exec, exec, s[6:7]
	v_mov_b32_e32 v8, v10
.LBB1260_244:
	s_or_b64 exec, exec, s[4:5]
	v_cmp_gt_u32_e32 vcc, 62, v6
	v_add_u32_e32 v10, 2, v6
	s_waitcnt lgkmcnt(1)
	v_cndmask_b32_e64 v4, 0, 2, vcc
	s_waitcnt lgkmcnt(0)
	v_add_lshl_u32 v5, v4, v1, 2
	ds_bpermute_b32 v9, v5, v8
	ds_bpermute_b32 v4, v5, v2
	ds_bpermute_b32 v5, v5, v3
	v_cmp_lt_u32_e32 vcc, v10, v7
	s_and_saveexec_b64 s[4:5], vcc
	s_cbranch_execz .LBB1260_250
; %bb.245:
	s_waitcnt lgkmcnt(2)
	v_and_b32_e32 v10, v8, v9
	v_and_b32_e32 v10, 1, v10
	v_cmp_eq_u32_e32 vcc, 1, v10
	s_and_saveexec_b64 s[6:7], vcc
	s_xor_b64 s[6:7], exec, s[6:7]
	s_cbranch_execz .LBB1260_247
; %bb.246:
	s_waitcnt lgkmcnt(0)
	v_cmp_lt_i64_e32 vcc, v[4:5], v[2:3]
                                        ; implicit-def: $vgpr8
                                        ; implicit-def: $vgpr9
	s_nop 1
	v_cndmask_b32_e32 v3, v3, v5, vcc
	v_cndmask_b32_e32 v2, v2, v4, vcc
                                        ; implicit-def: $vgpr4_vgpr5
.LBB1260_247:
	s_or_saveexec_b64 s[6:7], s[6:7]
	v_mov_b32_e32 v10, 1
	s_xor_b64 exec, exec, s[6:7]
	s_cbranch_execz .LBB1260_249
; %bb.248:
	v_and_b32_e32 v8, 1, v8
	v_cmp_eq_u32_e32 vcc, 1, v8
	s_waitcnt lgkmcnt(1)
	s_nop 0
	v_cndmask_b32_e32 v2, v4, v2, vcc
	v_and_b32_e32 v4, 0xff, v9
	s_waitcnt lgkmcnt(0)
	v_cndmask_b32_e32 v3, v5, v3, vcc
	v_cndmask_b32_e64 v10, v4, 1, vcc
.LBB1260_249:
	s_or_b64 exec, exec, s[6:7]
	v_mov_b32_e32 v8, v10
.LBB1260_250:
	s_or_b64 exec, exec, s[4:5]
	v_cmp_gt_u32_e32 vcc, 60, v6
	v_add_u32_e32 v10, 4, v6
	s_waitcnt lgkmcnt(1)
	v_cndmask_b32_e64 v4, 0, 4, vcc
	s_waitcnt lgkmcnt(0)
	v_add_lshl_u32 v5, v4, v1, 2
	ds_bpermute_b32 v9, v5, v8
	ds_bpermute_b32 v4, v5, v2
	ds_bpermute_b32 v5, v5, v3
	v_cmp_lt_u32_e32 vcc, v10, v7
	s_and_saveexec_b64 s[4:5], vcc
	s_cbranch_execz .LBB1260_256
; %bb.251:
	s_waitcnt lgkmcnt(2)
	v_and_b32_e32 v10, v8, v9
	v_and_b32_e32 v10, 1, v10
	v_cmp_eq_u32_e32 vcc, 1, v10
	s_and_saveexec_b64 s[6:7], vcc
	s_xor_b64 s[6:7], exec, s[6:7]
	s_cbranch_execz .LBB1260_253
; %bb.252:
	s_waitcnt lgkmcnt(0)
	v_cmp_lt_i64_e32 vcc, v[4:5], v[2:3]
                                        ; implicit-def: $vgpr8
                                        ; implicit-def: $vgpr9
	s_nop 1
	v_cndmask_b32_e32 v3, v3, v5, vcc
	v_cndmask_b32_e32 v2, v2, v4, vcc
                                        ; implicit-def: $vgpr4_vgpr5
.LBB1260_253:
	s_or_saveexec_b64 s[6:7], s[6:7]
	v_mov_b32_e32 v10, 1
	s_xor_b64 exec, exec, s[6:7]
	s_cbranch_execz .LBB1260_255
; %bb.254:
	v_and_b32_e32 v8, 1, v8
	v_cmp_eq_u32_e32 vcc, 1, v8
	s_waitcnt lgkmcnt(1)
	s_nop 0
	v_cndmask_b32_e32 v2, v4, v2, vcc
	v_and_b32_e32 v4, 0xff, v9
	s_waitcnt lgkmcnt(0)
	v_cndmask_b32_e32 v3, v5, v3, vcc
	v_cndmask_b32_e64 v10, v4, 1, vcc
.LBB1260_255:
	s_or_b64 exec, exec, s[6:7]
	v_mov_b32_e32 v8, v10
.LBB1260_256:
	s_or_b64 exec, exec, s[4:5]
	v_cmp_gt_u32_e32 vcc, 56, v6
	v_add_u32_e32 v10, 8, v6
	s_waitcnt lgkmcnt(1)
	v_cndmask_b32_e64 v4, 0, 8, vcc
	s_waitcnt lgkmcnt(0)
	v_add_lshl_u32 v5, v4, v1, 2
	ds_bpermute_b32 v9, v5, v8
	ds_bpermute_b32 v4, v5, v2
	ds_bpermute_b32 v5, v5, v3
	v_cmp_lt_u32_e32 vcc, v10, v7
	s_and_saveexec_b64 s[4:5], vcc
	s_cbranch_execz .LBB1260_262
; %bb.257:
	s_waitcnt lgkmcnt(2)
	v_and_b32_e32 v10, v8, v9
	v_and_b32_e32 v10, 1, v10
	v_cmp_eq_u32_e32 vcc, 1, v10
	s_and_saveexec_b64 s[6:7], vcc
	s_xor_b64 s[6:7], exec, s[6:7]
	s_cbranch_execz .LBB1260_259
; %bb.258:
	s_waitcnt lgkmcnt(0)
	v_cmp_lt_i64_e32 vcc, v[4:5], v[2:3]
                                        ; implicit-def: $vgpr8
                                        ; implicit-def: $vgpr9
	s_nop 1
	v_cndmask_b32_e32 v3, v3, v5, vcc
	v_cndmask_b32_e32 v2, v2, v4, vcc
                                        ; implicit-def: $vgpr4_vgpr5
.LBB1260_259:
	s_or_saveexec_b64 s[6:7], s[6:7]
	v_mov_b32_e32 v10, 1
	s_xor_b64 exec, exec, s[6:7]
	s_cbranch_execz .LBB1260_261
; %bb.260:
	v_and_b32_e32 v8, 1, v8
	v_cmp_eq_u32_e32 vcc, 1, v8
	s_waitcnt lgkmcnt(1)
	s_nop 0
	v_cndmask_b32_e32 v2, v4, v2, vcc
	v_and_b32_e32 v4, 0xff, v9
	s_waitcnt lgkmcnt(0)
	v_cndmask_b32_e32 v3, v5, v3, vcc
	v_cndmask_b32_e64 v10, v4, 1, vcc
.LBB1260_261:
	s_or_b64 exec, exec, s[6:7]
	v_mov_b32_e32 v8, v10
.LBB1260_262:
	s_or_b64 exec, exec, s[4:5]
	v_cmp_gt_u32_e32 vcc, 48, v6
	v_add_u32_e32 v10, 16, v6
	s_waitcnt lgkmcnt(1)
	v_cndmask_b32_e64 v4, 0, 16, vcc
	s_waitcnt lgkmcnt(0)
	v_add_lshl_u32 v5, v4, v1, 2
	ds_bpermute_b32 v9, v5, v8
	ds_bpermute_b32 v4, v5, v2
	ds_bpermute_b32 v5, v5, v3
	v_cmp_lt_u32_e32 vcc, v10, v7
	s_and_saveexec_b64 s[4:5], vcc
	s_cbranch_execz .LBB1260_268
; %bb.263:
	s_waitcnt lgkmcnt(2)
	v_and_b32_e32 v10, v8, v9
	v_and_b32_e32 v10, 1, v10
	v_cmp_eq_u32_e32 vcc, 1, v10
	s_and_saveexec_b64 s[6:7], vcc
	s_xor_b64 s[6:7], exec, s[6:7]
	s_cbranch_execz .LBB1260_265
; %bb.264:
	s_waitcnt lgkmcnt(0)
	v_cmp_lt_i64_e32 vcc, v[4:5], v[2:3]
                                        ; implicit-def: $vgpr8
                                        ; implicit-def: $vgpr9
	s_nop 1
	v_cndmask_b32_e32 v3, v3, v5, vcc
	v_cndmask_b32_e32 v2, v2, v4, vcc
                                        ; implicit-def: $vgpr4_vgpr5
.LBB1260_265:
	s_or_saveexec_b64 s[6:7], s[6:7]
	v_mov_b32_e32 v10, 1
	s_xor_b64 exec, exec, s[6:7]
	s_cbranch_execz .LBB1260_267
; %bb.266:
	v_and_b32_e32 v8, 1, v8
	v_cmp_eq_u32_e32 vcc, 1, v8
	s_waitcnt lgkmcnt(1)
	s_nop 0
	v_cndmask_b32_e32 v2, v4, v2, vcc
	v_and_b32_e32 v4, 0xff, v9
	s_waitcnt lgkmcnt(0)
	v_cndmask_b32_e32 v3, v5, v3, vcc
	v_cndmask_b32_e64 v10, v4, 1, vcc
.LBB1260_267:
	s_or_b64 exec, exec, s[6:7]
	v_mov_b32_e32 v8, v10
.LBB1260_268:
	s_or_b64 exec, exec, s[4:5]
	s_waitcnt lgkmcnt(2)
	v_lshlrev_b32_e32 v9, 2, v1
	s_waitcnt lgkmcnt(0)
	v_or_b32_e32 v5, 0x80, v9
	ds_bpermute_b32 v10, v5, v8
	ds_bpermute_b32 v4, v5, v2
	;; [unrolled: 1-line block ×3, first 2 shown]
	v_add_u32_e32 v6, 32, v6
	v_cmp_lt_u32_e32 vcc, v6, v7
	v_mov_b32_e32 v6, v8
	s_and_saveexec_b64 s[4:5], vcc
	s_cbranch_execz .LBB1260_274
; %bb.269:
	s_waitcnt lgkmcnt(2)
	v_and_b32_e32 v6, v8, v10
	v_and_b32_e32 v6, 1, v6
	v_cmp_eq_u32_e32 vcc, 1, v6
	s_and_saveexec_b64 s[6:7], vcc
	s_xor_b64 s[6:7], exec, s[6:7]
	s_cbranch_execz .LBB1260_271
; %bb.270:
	s_waitcnt lgkmcnt(0)
	v_cmp_lt_i64_e32 vcc, v[4:5], v[2:3]
                                        ; implicit-def: $vgpr8
                                        ; implicit-def: $vgpr10
	s_nop 1
	v_cndmask_b32_e32 v3, v3, v5, vcc
	v_cndmask_b32_e32 v2, v2, v4, vcc
                                        ; implicit-def: $vgpr4_vgpr5
.LBB1260_271:
	s_or_saveexec_b64 s[6:7], s[6:7]
	v_mov_b32_e32 v6, 1
	s_xor_b64 exec, exec, s[6:7]
	s_cbranch_execz .LBB1260_273
; %bb.272:
	v_and_b32_e32 v6, 1, v8
	v_cmp_eq_u32_e32 vcc, 1, v6
	s_nop 1
	v_cndmask_b32_e64 v6, v10, 1, vcc
	s_waitcnt lgkmcnt(0)
	v_cndmask_b32_e32 v3, v5, v3, vcc
	v_cndmask_b32_e32 v2, v4, v2, vcc
.LBB1260_273:
	s_or_b64 exec, exec, s[6:7]
	v_and_b32_e32 v8, 0xff, v6
.LBB1260_274:
	s_or_b64 exec, exec, s[4:5]
	v_cmp_eq_u32_e32 vcc, 0, v1
	s_and_saveexec_b64 s[4:5], vcc
	s_cbranch_execz .LBB1260_276
; %bb.275:
	s_waitcnt lgkmcnt(1)
	v_lshrrev_b32_e32 v4, 2, v0
	v_and_b32_e32 v4, 16, v4
	ds_write_b8 v4, v6 offset:128
	ds_write_b64 v4, v[2:3] offset:136
.LBB1260_276:
	s_or_b64 exec, exec, s[4:5]
	v_cmp_gt_u32_e32 vcc, 2, v0
	s_waitcnt lgkmcnt(0)
	s_barrier
	s_and_saveexec_b64 s[4:5], vcc
	s_cbranch_execz .LBB1260_284
; %bb.277:
	v_lshlrev_b32_e32 v2, 4, v1
	ds_read_u8 v6, v2 offset:128
	ds_read_b64 v[2:3], v2 offset:136
	v_or_b32_e32 v5, 4, v9
	s_add_i32 s8, s8, 63
	v_and_b32_e32 v1, 1, v1
	s_waitcnt lgkmcnt(1)
	v_and_b32_e32 v8, 0xff, v6
	s_waitcnt lgkmcnt(0)
	ds_bpermute_b32 v4, v5, v2
	ds_bpermute_b32 v7, v5, v8
	;; [unrolled: 1-line block ×3, first 2 shown]
	s_lshr_b32 s6, s8, 6
	v_add_u32_e32 v1, 1, v1
	v_cmp_gt_u32_e32 vcc, s6, v1
	s_and_saveexec_b64 s[6:7], vcc
	s_cbranch_execz .LBB1260_283
; %bb.278:
	s_waitcnt lgkmcnt(1)
	v_and_b32_e32 v1, v8, v7
	v_and_b32_e32 v1, 1, v1
	v_cmp_eq_u32_e32 vcc, 1, v1
	s_and_saveexec_b64 s[8:9], vcc
	s_xor_b64 s[8:9], exec, s[8:9]
	s_cbranch_execz .LBB1260_280
; %bb.279:
	s_waitcnt lgkmcnt(0)
	v_cmp_lt_i64_e32 vcc, v[4:5], v[2:3]
                                        ; implicit-def: $vgpr6
                                        ; implicit-def: $vgpr7
	s_nop 1
	v_cndmask_b32_e32 v3, v3, v5, vcc
	v_cndmask_b32_e32 v2, v2, v4, vcc
                                        ; implicit-def: $vgpr4_vgpr5
.LBB1260_280:
	s_or_saveexec_b64 s[8:9], s[8:9]
	v_mov_b32_e32 v8, 1
	s_xor_b64 exec, exec, s[8:9]
	s_cbranch_execz .LBB1260_282
; %bb.281:
	v_and_b32_e32 v1, 1, v6
	v_cmp_eq_u32_e32 vcc, 1, v1
	s_waitcnt lgkmcnt(0)
	s_nop 0
	v_cndmask_b32_e32 v3, v5, v3, vcc
	v_cndmask_b32_e32 v2, v4, v2, vcc
	v_cndmask_b32_e64 v8, v7, 1, vcc
.LBB1260_282:
	s_or_b64 exec, exec, s[8:9]
.LBB1260_283:
	s_or_b64 exec, exec, s[6:7]
.LBB1260_284:
	s_or_b64 exec, exec, s[4:5]
.LBB1260_285:
	v_cmp_eq_u32_e32 vcc, 0, v0
                                        ; implicit-def: $vgpr4_vgpr5
                                        ; implicit-def: $vgpr6
	s_and_saveexec_b64 s[4:5], vcc
	s_xor_b64 s[8:9], exec, s[4:5]
	s_cbranch_execz .LBB1260_289
; %bb.286:
	s_cmp_eq_u64 s[22:23], 0
	s_waitcnt lgkmcnt(0)
	v_mov_b64_e32 v[4:5], s[18:19]
	v_mov_b32_e32 v6, s33
	s_cbranch_scc1 .LBB1260_288
; %bb.287:
	v_and_b32_e32 v1, 1, v8
	s_bitcmp1_b32 s33, 0
	v_cmp_eq_u32_e32 vcc, 1, v1
	v_cmp_gt_i64_e64 s[4:5], s[18:19], v[2:3]
	s_cselect_b64 s[6:7], -1, 0
	v_mov_b32_e32 v1, s18
	s_and_b64 vcc, vcc, s[4:5]
	v_mov_b32_e32 v4, s19
	v_cndmask_b32_e32 v1, v1, v2, vcc
	v_cndmask_b32_e32 v4, v4, v3, vcc
	v_cndmask_b32_e64 v6, v8, 1, s[6:7]
	v_cndmask_b32_e64 v5, v3, v4, s[6:7]
	;; [unrolled: 1-line block ×3, first 2 shown]
.LBB1260_288:
	s_or_b64 s[12:13], s[12:13], exec
.LBB1260_289:
	s_or_b64 exec, exec, s[8:9]
	v_mov_b64_e32 v[2:3], s[2:3]
	s_branch .LBB1260_306
.LBB1260_290:
	s_cmp_eq_u32 s38, 1
	s_cbranch_scc0 .LBB1260_305
; %bb.291:
	s_mov_b32 s9, 0
	s_lshl_b32 s8, s2, 7
	s_mov_b32 s3, s9
	s_lshr_b64 s[4:5], s[22:23], 7
	s_cmp_lg_u64 s[4:5], s[2:3]
	s_cbranch_scc0 .LBB1260_309
; %bb.292:
	s_lshl_b64 s[4:5], s[8:9], 3
	s_add_u32 s6, s24, s4
	s_addc_u32 s7, s25, s5
	s_add_u32 s4, s26, s4
	v_lshlrev_b32_e32 v1, 3, v0
	s_addc_u32 s5, s27, s5
	global_load_dwordx2 v[2:3], v1, s[6:7]
	s_waitcnt lgkmcnt(0)
	global_load_dwordx2 v[4:5], v1, s[4:5]
	s_add_u32 s4, s20, s8
	v_mov_b32_e32 v1, 0
	s_addc_u32 s5, s21, 0
	v_lshl_add_u64 v[6:7], s[4:5], 0, v[0:1]
	s_waitcnt vmcnt(0)
	v_cmp_ne_u64_e64 s[4:5], v[2:3], v[4:5]
	v_mov_b32_dpp v8, v6 quad_perm:[1,0,3,2] row_mask:0xf bank_mask:0xf bound_ctrl:1
	v_mov_b32_dpp v9, v7 quad_perm:[1,0,3,2] row_mask:0xf bank_mask:0xf bound_ctrl:1
	v_cndmask_b32_e64 v1, 0, 1, s[4:5]
	v_cmp_lt_i64_e32 vcc, v[6:7], v[8:9]
	s_and_b64 vcc, s[4:5], vcc
	v_mov_b32_dpp v1, v1 quad_perm:[1,0,3,2] row_mask:0xf bank_mask:0xf bound_ctrl:1
	v_and_b32_e32 v1, 1, v1
	v_cndmask_b32_e32 v2, v8, v6, vcc
	v_cndmask_b32_e32 v3, v9, v7, vcc
	v_cmp_eq_u32_e32 vcc, 1, v1
	s_or_b64 s[4:5], vcc, s[4:5]
	v_cndmask_b32_e64 v1, 0, 1, s[4:5]
	v_cndmask_b32_e32 v5, v7, v3, vcc
	v_cndmask_b32_e32 v4, v6, v2, vcc
	v_mov_b32_dpp v1, v1 quad_perm:[2,3,0,1] row_mask:0xf bank_mask:0xf bound_ctrl:1
	v_and_b32_e32 v1, 1, v1
	v_cmp_eq_u32_e32 vcc, 1, v1
	s_and_b64 s[6:7], vcc, s[4:5]
	v_mov_b32_dpp v6, v4 quad_perm:[2,3,0,1] row_mask:0xf bank_mask:0xf bound_ctrl:1
	v_mov_b32_dpp v7, v5 quad_perm:[2,3,0,1] row_mask:0xf bank_mask:0xf bound_ctrl:1
	s_xor_b64 s[6:7], s[6:7], -1
                                        ; implicit-def: $vgpr2_vgpr3
                                        ; implicit-def: $vgpr8
	s_and_saveexec_b64 s[10:11], s[6:7]
	s_xor_b64 s[6:7], exec, s[10:11]
; %bb.293:
	s_or_b64 s[4:5], vcc, s[4:5]
	v_cndmask_b32_e32 v3, v5, v7, vcc
	v_cndmask_b32_e32 v2, v4, v6, vcc
	v_cndmask_b32_e64 v8, 0, 1, s[4:5]
                                        ; implicit-def: $vgpr4_vgpr5
                                        ; implicit-def: $vgpr6_vgpr7
; %bb.294:
	s_andn2_saveexec_b64 s[4:5], s[6:7]
; %bb.295:
	v_cmp_lt_i64_e32 vcc, v[4:5], v[6:7]
	v_mov_b32_e32 v8, 1
	s_nop 0
	v_cndmask_b32_e32 v3, v7, v5, vcc
	v_cndmask_b32_e32 v2, v6, v4, vcc
; %bb.296:
	s_or_b64 exec, exec, s[4:5]
	s_nop 0
	v_mov_b32_dpp v4, v2 row_ror:4 row_mask:0xf bank_mask:0xf bound_ctrl:1
	v_mov_b32_dpp v5, v3 row_ror:4 row_mask:0xf bank_mask:0xf bound_ctrl:1
	v_and_b32_e32 v7, 1, v8
	v_mov_b32_dpp v6, v8 row_ror:4 row_mask:0xf bank_mask:0xf bound_ctrl:1
	v_cmp_eq_u32_e32 vcc, 1, v7
	v_cmp_lt_i64_e64 s[4:5], v[2:3], v[4:5]
	v_and_b32_e32 v6, 1, v6
	s_and_b64 vcc, vcc, s[4:5]
	v_cmp_eq_u32_e64 s[6:7], 1, v6
	v_cndmask_b32_e32 v4, v4, v2, vcc
	v_cndmask_b32_e32 v5, v5, v3, vcc
	v_cndmask_b32_e64 v6, v8, 1, s[6:7]
	v_cndmask_b32_e64 v3, v3, v5, s[6:7]
	;; [unrolled: 1-line block ×3, first 2 shown]
	v_and_b32_e32 v8, 1, v6
	v_mov_b32_dpp v5, v3 row_ror:8 row_mask:0xf bank_mask:0xf bound_ctrl:1
	v_mov_b32_dpp v4, v2 row_ror:8 row_mask:0xf bank_mask:0xf bound_ctrl:1
	;; [unrolled: 1-line block ×3, first 2 shown]
	v_cmp_eq_u32_e32 vcc, 1, v8
	v_cmp_lt_i64_e64 s[4:5], v[2:3], v[4:5]
	v_and_b32_e32 v7, 1, v7
	s_and_b64 vcc, vcc, s[4:5]
	v_cmp_eq_u32_e64 s[6:7], 1, v7
	v_cndmask_b32_e32 v4, v4, v2, vcc
	v_cndmask_b32_e32 v5, v5, v3, vcc
	v_cndmask_b32_e64 v6, v6, 1, s[6:7]
	v_cndmask_b32_e64 v3, v3, v5, s[6:7]
	;; [unrolled: 1-line block ×3, first 2 shown]
	v_and_b32_e32 v8, 1, v6
	v_mov_b32_dpp v5, v3 row_bcast:15 row_mask:0xf bank_mask:0xf bound_ctrl:1
	v_mov_b32_dpp v4, v2 row_bcast:15 row_mask:0xf bank_mask:0xf bound_ctrl:1
	;; [unrolled: 1-line block ×3, first 2 shown]
	v_cmp_eq_u32_e32 vcc, 1, v8
	v_cmp_lt_i64_e64 s[4:5], v[2:3], v[4:5]
	v_and_b32_e32 v7, 1, v7
	s_and_b64 vcc, vcc, s[4:5]
	v_cmp_eq_u32_e64 s[6:7], 1, v7
	v_cndmask_b32_e32 v4, v4, v2, vcc
	v_cndmask_b32_e32 v5, v5, v3, vcc
	v_cndmask_b32_e64 v6, v6, 1, s[6:7]
	v_cndmask_b32_e64 v3, v3, v5, s[6:7]
	;; [unrolled: 1-line block ×3, first 2 shown]
	v_mov_b32_dpp v7, v6 row_bcast:31 row_mask:0xf bank_mask:0xf bound_ctrl:1
	v_mov_b32_dpp v5, v3 row_bcast:31 row_mask:0xf bank_mask:0xf bound_ctrl:1
	;; [unrolled: 1-line block ×3, first 2 shown]
	v_and_b32_e32 v8, 1, v6
	v_mbcnt_lo_u32_b32 v1, -1, 0
	v_and_b32_e32 v7, 1, v7
	v_cmp_eq_u32_e32 vcc, 1, v8
	v_cmp_lt_i64_e64 s[4:5], v[2:3], v[4:5]
	v_mbcnt_hi_u32_b32 v1, -1, v1
	v_cmp_eq_u32_e64 s[6:7], 1, v7
	s_and_b64 vcc, vcc, s[4:5]
	v_cndmask_b32_e32 v4, v4, v2, vcc
	v_cndmask_b32_e64 v7, v6, 1, s[6:7]
	v_cndmask_b32_e32 v5, v5, v3, vcc
	v_lshlrev_b32_e32 v6, 2, v1
	v_cndmask_b32_e64 v3, v3, v5, s[6:7]
	v_cndmask_b32_e64 v2, v2, v4, s[6:7]
	v_or_b32_e32 v4, 0xfc, v6
	ds_bpermute_b32 v8, v4, v7
	ds_bpermute_b32 v2, v4, v2
	;; [unrolled: 1-line block ×3, first 2 shown]
	v_cmp_eq_u32_e32 vcc, 0, v1
	s_and_saveexec_b64 s[4:5], vcc
	s_cbranch_execz .LBB1260_298
; %bb.297:
	v_lshrrev_b32_e32 v4, 2, v0
	v_and_b32_e32 v4, 16, v4
	s_waitcnt lgkmcnt(2)
	ds_write_b8 v4, v8
	s_waitcnt lgkmcnt(1)
	ds_write_b64 v4, v[2:3] offset:8
.LBB1260_298:
	s_or_b64 exec, exec, s[4:5]
	v_cmp_gt_u32_e32 vcc, 64, v0
	s_waitcnt lgkmcnt(0)
	s_barrier
	s_and_saveexec_b64 s[4:5], vcc
	s_cbranch_execz .LBB1260_304
; %bb.299:
	v_and_b32_e32 v1, 1, v1
	v_lshlrev_b32_e32 v2, 4, v1
	ds_read_u8 v1, v2
	ds_read_b64 v[4:5], v2 offset:8
	v_or_b32_e32 v3, 4, v6
	s_waitcnt lgkmcnt(1)
	v_and_b32_e32 v2, 0xff, v1
	ds_bpermute_b32 v9, v3, v2
	s_waitcnt lgkmcnt(1)
	ds_bpermute_b32 v6, v3, v4
	ds_bpermute_b32 v7, v3, v5
	s_waitcnt lgkmcnt(2)
	v_and_b32_e32 v2, v1, v9
	v_and_b32_e32 v2, 1, v2
	v_cmp_eq_u32_e32 vcc, 1, v2
                                        ; implicit-def: $vgpr2_vgpr3
	s_and_saveexec_b64 s[6:7], vcc
	s_xor_b64 s[6:7], exec, s[6:7]
	s_cbranch_execz .LBB1260_301
; %bb.300:
	s_waitcnt lgkmcnt(0)
	v_cmp_lt_i64_e32 vcc, v[6:7], v[4:5]
                                        ; implicit-def: $vgpr1
                                        ; implicit-def: $vgpr9
	s_nop 1
	v_cndmask_b32_e32 v3, v5, v7, vcc
	v_cndmask_b32_e32 v2, v4, v6, vcc
                                        ; implicit-def: $vgpr6_vgpr7
                                        ; implicit-def: $vgpr4_vgpr5
.LBB1260_301:
	s_or_saveexec_b64 s[6:7], s[6:7]
	v_mov_b32_e32 v8, 1
	s_xor_b64 exec, exec, s[6:7]
	s_cbranch_execz .LBB1260_303
; %bb.302:
	v_and_b32_e32 v1, 1, v1
	v_cmp_eq_u32_e32 vcc, 1, v1
	s_waitcnt lgkmcnt(0)
	s_nop 0
	v_cndmask_b32_e32 v3, v7, v5, vcc
	v_cndmask_b32_e32 v2, v6, v4, vcc
	v_cndmask_b32_e64 v8, v9, 1, vcc
.LBB1260_303:
	s_or_b64 exec, exec, s[6:7]
.LBB1260_304:
	s_or_b64 exec, exec, s[4:5]
	s_branch .LBB1260_359
.LBB1260_305:
                                        ; implicit-def: $vgpr4_vgpr5
                                        ; implicit-def: $vgpr6
                                        ; implicit-def: $vgpr2_vgpr3
.LBB1260_306:
	s_and_saveexec_b64 s[2:3], s[12:13]
	s_cbranch_execz .LBB1260_308
.LBB1260_307:
	s_load_dwordx2 s[0:1], s[0:1], 0x38
	v_lshlrev_b64 v[0:1], 4, v[2:3]
	s_waitcnt lgkmcnt(0)
	v_lshl_add_u64 v[0:1], s[0:1], 0, v[0:1]
	global_store_byte v[0:1], v6, off
	global_store_dwordx2 v[0:1], v[4:5], off offset:8
.LBB1260_308:
	s_endpgm
.LBB1260_309:
                                        ; implicit-def: $vgpr2_vgpr3
                                        ; implicit-def: $vgpr8
	s_cbranch_execz .LBB1260_359
; %bb.310:
	s_sub_i32 s6, s22, s8
	v_cmp_gt_u32_e32 vcc, s6, v0
	v_mov_b32_e32 v9, 0
	v_mov_b64_e32 v[2:3], 0
	s_and_saveexec_b64 s[4:5], vcc
	s_cbranch_execz .LBB1260_312
; %bb.311:
	s_lshl_b64 s[10:11], s[8:9], 3
	s_add_u32 s14, s26, s10
	s_addc_u32 s15, s27, s11
	s_add_u32 s10, s24, s10
	s_addc_u32 s11, s25, s11
	v_lshlrev_b32_e32 v1, 3, v0
	s_waitcnt lgkmcnt(0)
	global_load_dwordx2 v[4:5], v1, s[10:11]
	global_load_dwordx2 v[6:7], v1, s[14:15]
	s_add_u32 s8, s20, s8
	v_mov_b32_e32 v1, 0
	s_addc_u32 s9, s21, 0
	v_lshl_add_u64 v[2:3], s[8:9], 0, v[0:1]
	s_waitcnt vmcnt(0)
	v_cmp_ne_u64_e32 vcc, v[4:5], v[6:7]
	s_nop 1
	v_cndmask_b32_e64 v9, 0, 1, vcc
.LBB1260_312:
	s_or_b64 exec, exec, s[4:5]
	v_mbcnt_lo_u32_b32 v1, -1, 0
	v_mbcnt_hi_u32_b32 v1, -1, v1
	s_waitcnt lgkmcnt(1)
	v_and_b32_e32 v6, 63, v1
	v_cmp_ne_u32_e32 vcc, 63, v6
	v_and_b32_e32 v8, 0xffff, v9
	s_min_u32 s8, s6, 0x80
	v_addc_co_u32_e32 v4, vcc, 0, v1, vcc
	s_waitcnt lgkmcnt(0)
	v_lshlrev_b32_e32 v5, 2, v4
	ds_bpermute_b32 v10, v5, v8
	ds_bpermute_b32 v4, v5, v2
	ds_bpermute_b32 v5, v5, v3
	v_and_b32_e32 v7, 64, v0
	v_sub_u32_e64 v7, s8, v7 clamp
	v_add_u32_e32 v11, 1, v6
	v_cmp_lt_u32_e32 vcc, v11, v7
	s_and_saveexec_b64 s[4:5], vcc
	s_cbranch_execz .LBB1260_318
; %bb.313:
	s_waitcnt lgkmcnt(2)
	v_and_b32_e32 v8, v10, v8
	v_and_b32_e32 v8, 1, v8
	v_cmp_eq_u32_e32 vcc, 1, v8
	s_and_saveexec_b64 s[6:7], vcc
	s_xor_b64 s[6:7], exec, s[6:7]
	s_cbranch_execz .LBB1260_315
; %bb.314:
	s_waitcnt lgkmcnt(0)
	v_cmp_lt_i64_e32 vcc, v[4:5], v[2:3]
                                        ; implicit-def: $vgpr9
                                        ; implicit-def: $vgpr10
	s_nop 1
	v_cndmask_b32_e32 v3, v3, v5, vcc
	v_cndmask_b32_e32 v2, v2, v4, vcc
                                        ; implicit-def: $vgpr4_vgpr5
.LBB1260_315:
	s_or_saveexec_b64 s[6:7], s[6:7]
	v_mov_b32_e32 v8, 1
	s_xor_b64 exec, exec, s[6:7]
	s_cbranch_execz .LBB1260_317
; %bb.316:
	v_and_b32_e32 v8, 1, v9
	v_cmp_eq_u32_e32 vcc, 1, v8
	s_waitcnt lgkmcnt(1)
	s_nop 0
	v_cndmask_b32_e32 v2, v4, v2, vcc
	v_and_b32_e32 v4, 0xff, v10
	s_waitcnt lgkmcnt(0)
	v_cndmask_b32_e32 v3, v5, v3, vcc
	v_cndmask_b32_e64 v8, v4, 1, vcc
.LBB1260_317:
	s_or_b64 exec, exec, s[6:7]
.LBB1260_318:
	s_or_b64 exec, exec, s[4:5]
	v_cmp_gt_u32_e32 vcc, 62, v6
	s_waitcnt lgkmcnt(2)
	v_add_u32_e32 v10, 2, v6
	s_waitcnt lgkmcnt(1)
	v_cndmask_b32_e64 v4, 0, 2, vcc
	s_waitcnt lgkmcnt(0)
	v_add_lshl_u32 v5, v4, v1, 2
	ds_bpermute_b32 v9, v5, v8
	ds_bpermute_b32 v4, v5, v2
	ds_bpermute_b32 v5, v5, v3
	v_cmp_lt_u32_e32 vcc, v10, v7
	s_and_saveexec_b64 s[4:5], vcc
	s_cbranch_execz .LBB1260_324
; %bb.319:
	s_waitcnt lgkmcnt(2)
	v_and_b32_e32 v10, v8, v9
	v_and_b32_e32 v10, 1, v10
	v_cmp_eq_u32_e32 vcc, 1, v10
	s_and_saveexec_b64 s[6:7], vcc
	s_xor_b64 s[6:7], exec, s[6:7]
	s_cbranch_execz .LBB1260_321
; %bb.320:
	s_waitcnt lgkmcnt(0)
	v_cmp_lt_i64_e32 vcc, v[4:5], v[2:3]
                                        ; implicit-def: $vgpr8
                                        ; implicit-def: $vgpr9
	s_nop 1
	v_cndmask_b32_e32 v3, v3, v5, vcc
	v_cndmask_b32_e32 v2, v2, v4, vcc
                                        ; implicit-def: $vgpr4_vgpr5
.LBB1260_321:
	s_or_saveexec_b64 s[6:7], s[6:7]
	v_mov_b32_e32 v10, 1
	s_xor_b64 exec, exec, s[6:7]
	s_cbranch_execz .LBB1260_323
; %bb.322:
	v_and_b32_e32 v8, 1, v8
	v_cmp_eq_u32_e32 vcc, 1, v8
	s_waitcnt lgkmcnt(1)
	s_nop 0
	v_cndmask_b32_e32 v2, v4, v2, vcc
	v_and_b32_e32 v4, 0xff, v9
	s_waitcnt lgkmcnt(0)
	v_cndmask_b32_e32 v3, v5, v3, vcc
	v_cndmask_b32_e64 v10, v4, 1, vcc
.LBB1260_323:
	s_or_b64 exec, exec, s[6:7]
	v_mov_b32_e32 v8, v10
.LBB1260_324:
	s_or_b64 exec, exec, s[4:5]
	v_cmp_gt_u32_e32 vcc, 60, v6
	v_add_u32_e32 v10, 4, v6
	s_waitcnt lgkmcnt(1)
	v_cndmask_b32_e64 v4, 0, 4, vcc
	s_waitcnt lgkmcnt(0)
	v_add_lshl_u32 v5, v4, v1, 2
	ds_bpermute_b32 v9, v5, v8
	ds_bpermute_b32 v4, v5, v2
	ds_bpermute_b32 v5, v5, v3
	v_cmp_lt_u32_e32 vcc, v10, v7
	s_and_saveexec_b64 s[4:5], vcc
	s_cbranch_execz .LBB1260_330
; %bb.325:
	s_waitcnt lgkmcnt(2)
	v_and_b32_e32 v10, v8, v9
	v_and_b32_e32 v10, 1, v10
	v_cmp_eq_u32_e32 vcc, 1, v10
	s_and_saveexec_b64 s[6:7], vcc
	s_xor_b64 s[6:7], exec, s[6:7]
	s_cbranch_execz .LBB1260_327
; %bb.326:
	s_waitcnt lgkmcnt(0)
	v_cmp_lt_i64_e32 vcc, v[4:5], v[2:3]
                                        ; implicit-def: $vgpr8
                                        ; implicit-def: $vgpr9
	s_nop 1
	v_cndmask_b32_e32 v3, v3, v5, vcc
	v_cndmask_b32_e32 v2, v2, v4, vcc
                                        ; implicit-def: $vgpr4_vgpr5
.LBB1260_327:
	s_or_saveexec_b64 s[6:7], s[6:7]
	v_mov_b32_e32 v10, 1
	s_xor_b64 exec, exec, s[6:7]
	s_cbranch_execz .LBB1260_329
; %bb.328:
	v_and_b32_e32 v8, 1, v8
	v_cmp_eq_u32_e32 vcc, 1, v8
	s_waitcnt lgkmcnt(1)
	s_nop 0
	v_cndmask_b32_e32 v2, v4, v2, vcc
	v_and_b32_e32 v4, 0xff, v9
	s_waitcnt lgkmcnt(0)
	v_cndmask_b32_e32 v3, v5, v3, vcc
	v_cndmask_b32_e64 v10, v4, 1, vcc
.LBB1260_329:
	s_or_b64 exec, exec, s[6:7]
	v_mov_b32_e32 v8, v10
.LBB1260_330:
	s_or_b64 exec, exec, s[4:5]
	v_cmp_gt_u32_e32 vcc, 56, v6
	;; [unrolled: 49-line block ×3, first 2 shown]
	v_add_u32_e32 v10, 16, v6
	s_waitcnt lgkmcnt(1)
	v_cndmask_b32_e64 v4, 0, 16, vcc
	s_waitcnt lgkmcnt(0)
	v_add_lshl_u32 v5, v4, v1, 2
	ds_bpermute_b32 v9, v5, v8
	ds_bpermute_b32 v4, v5, v2
	;; [unrolled: 1-line block ×3, first 2 shown]
	v_cmp_lt_u32_e32 vcc, v10, v7
	s_and_saveexec_b64 s[4:5], vcc
	s_cbranch_execz .LBB1260_342
; %bb.337:
	s_waitcnt lgkmcnt(2)
	v_and_b32_e32 v10, v8, v9
	v_and_b32_e32 v10, 1, v10
	v_cmp_eq_u32_e32 vcc, 1, v10
	s_and_saveexec_b64 s[6:7], vcc
	s_xor_b64 s[6:7], exec, s[6:7]
	s_cbranch_execz .LBB1260_339
; %bb.338:
	s_waitcnt lgkmcnt(0)
	v_cmp_lt_i64_e32 vcc, v[4:5], v[2:3]
                                        ; implicit-def: $vgpr8
                                        ; implicit-def: $vgpr9
	s_nop 1
	v_cndmask_b32_e32 v3, v3, v5, vcc
	v_cndmask_b32_e32 v2, v2, v4, vcc
                                        ; implicit-def: $vgpr4_vgpr5
.LBB1260_339:
	s_or_saveexec_b64 s[6:7], s[6:7]
	v_mov_b32_e32 v10, 1
	s_xor_b64 exec, exec, s[6:7]
	s_cbranch_execz .LBB1260_341
; %bb.340:
	v_and_b32_e32 v8, 1, v8
	v_cmp_eq_u32_e32 vcc, 1, v8
	s_waitcnt lgkmcnt(1)
	s_nop 0
	v_cndmask_b32_e32 v2, v4, v2, vcc
	v_and_b32_e32 v4, 0xff, v9
	s_waitcnt lgkmcnt(0)
	v_cndmask_b32_e32 v3, v5, v3, vcc
	v_cndmask_b32_e64 v10, v4, 1, vcc
.LBB1260_341:
	s_or_b64 exec, exec, s[6:7]
	v_mov_b32_e32 v8, v10
.LBB1260_342:
	s_or_b64 exec, exec, s[4:5]
	s_waitcnt lgkmcnt(2)
	v_lshlrev_b32_e32 v9, 2, v1
	s_waitcnt lgkmcnt(0)
	v_or_b32_e32 v5, 0x80, v9
	ds_bpermute_b32 v10, v5, v8
	ds_bpermute_b32 v4, v5, v2
	;; [unrolled: 1-line block ×3, first 2 shown]
	v_add_u32_e32 v6, 32, v6
	v_cmp_lt_u32_e32 vcc, v6, v7
	v_mov_b32_e32 v6, v8
	s_and_saveexec_b64 s[4:5], vcc
	s_cbranch_execz .LBB1260_348
; %bb.343:
	s_waitcnt lgkmcnt(2)
	v_and_b32_e32 v6, v8, v10
	v_and_b32_e32 v6, 1, v6
	v_cmp_eq_u32_e32 vcc, 1, v6
	s_and_saveexec_b64 s[6:7], vcc
	s_xor_b64 s[6:7], exec, s[6:7]
	s_cbranch_execz .LBB1260_345
; %bb.344:
	s_waitcnt lgkmcnt(0)
	v_cmp_lt_i64_e32 vcc, v[4:5], v[2:3]
                                        ; implicit-def: $vgpr8
                                        ; implicit-def: $vgpr10
	s_nop 1
	v_cndmask_b32_e32 v3, v3, v5, vcc
	v_cndmask_b32_e32 v2, v2, v4, vcc
                                        ; implicit-def: $vgpr4_vgpr5
.LBB1260_345:
	s_or_saveexec_b64 s[6:7], s[6:7]
	v_mov_b32_e32 v6, 1
	s_xor_b64 exec, exec, s[6:7]
	s_cbranch_execz .LBB1260_347
; %bb.346:
	v_and_b32_e32 v6, 1, v8
	v_cmp_eq_u32_e32 vcc, 1, v6
	s_nop 1
	v_cndmask_b32_e64 v6, v10, 1, vcc
	s_waitcnt lgkmcnt(0)
	v_cndmask_b32_e32 v3, v5, v3, vcc
	v_cndmask_b32_e32 v2, v4, v2, vcc
.LBB1260_347:
	s_or_b64 exec, exec, s[6:7]
	v_and_b32_e32 v8, 0xff, v6
.LBB1260_348:
	s_or_b64 exec, exec, s[4:5]
	v_cmp_eq_u32_e32 vcc, 0, v1
	s_and_saveexec_b64 s[4:5], vcc
	s_cbranch_execz .LBB1260_350
; %bb.349:
	s_waitcnt lgkmcnt(1)
	v_lshrrev_b32_e32 v4, 2, v0
	v_and_b32_e32 v4, 16, v4
	ds_write_b8 v4, v6 offset:128
	ds_write_b64 v4, v[2:3] offset:136
.LBB1260_350:
	s_or_b64 exec, exec, s[4:5]
	v_cmp_gt_u32_e32 vcc, 2, v0
	s_waitcnt lgkmcnt(0)
	s_barrier
	s_and_saveexec_b64 s[4:5], vcc
	s_cbranch_execz .LBB1260_358
; %bb.351:
	v_lshlrev_b32_e32 v2, 4, v1
	ds_read_u8 v6, v2 offset:128
	ds_read_b64 v[2:3], v2 offset:136
	v_or_b32_e32 v5, 4, v9
	s_add_i32 s8, s8, 63
	v_and_b32_e32 v1, 1, v1
	s_waitcnt lgkmcnt(1)
	v_and_b32_e32 v8, 0xff, v6
	s_waitcnt lgkmcnt(0)
	ds_bpermute_b32 v4, v5, v2
	ds_bpermute_b32 v7, v5, v8
	;; [unrolled: 1-line block ×3, first 2 shown]
	s_lshr_b32 s6, s8, 6
	v_add_u32_e32 v1, 1, v1
	v_cmp_gt_u32_e32 vcc, s6, v1
	s_and_saveexec_b64 s[6:7], vcc
	s_cbranch_execz .LBB1260_357
; %bb.352:
	s_waitcnt lgkmcnt(1)
	v_and_b32_e32 v1, v8, v7
	v_and_b32_e32 v1, 1, v1
	v_cmp_eq_u32_e32 vcc, 1, v1
	s_and_saveexec_b64 s[8:9], vcc
	s_xor_b64 s[8:9], exec, s[8:9]
	s_cbranch_execz .LBB1260_354
; %bb.353:
	s_waitcnt lgkmcnt(0)
	v_cmp_lt_i64_e32 vcc, v[4:5], v[2:3]
                                        ; implicit-def: $vgpr6
                                        ; implicit-def: $vgpr7
	s_nop 1
	v_cndmask_b32_e32 v3, v3, v5, vcc
	v_cndmask_b32_e32 v2, v2, v4, vcc
                                        ; implicit-def: $vgpr4_vgpr5
.LBB1260_354:
	s_or_saveexec_b64 s[8:9], s[8:9]
	v_mov_b32_e32 v8, 1
	s_xor_b64 exec, exec, s[8:9]
	s_cbranch_execz .LBB1260_356
; %bb.355:
	v_and_b32_e32 v1, 1, v6
	v_cmp_eq_u32_e32 vcc, 1, v1
	s_waitcnt lgkmcnt(0)
	s_nop 0
	v_cndmask_b32_e32 v3, v5, v3, vcc
	v_cndmask_b32_e32 v2, v4, v2, vcc
	v_cndmask_b32_e64 v8, v7, 1, vcc
.LBB1260_356:
	s_or_b64 exec, exec, s[8:9]
.LBB1260_357:
	s_or_b64 exec, exec, s[6:7]
.LBB1260_358:
	s_or_b64 exec, exec, s[4:5]
.LBB1260_359:
	v_cmp_eq_u32_e32 vcc, 0, v0
                                        ; implicit-def: $vgpr4_vgpr5
                                        ; implicit-def: $vgpr6
	s_and_saveexec_b64 s[8:9], vcc
	s_cbranch_execz .LBB1260_363
; %bb.360:
	s_cmp_eq_u64 s[22:23], 0
	s_waitcnt lgkmcnt(0)
	v_mov_b64_e32 v[4:5], s[18:19]
	v_mov_b32_e32 v6, s33
	s_cbranch_scc1 .LBB1260_362
; %bb.361:
	v_and_b32_e32 v0, 1, v8
	s_bitcmp1_b32 s33, 0
	v_cmp_eq_u32_e32 vcc, 1, v0
	v_cmp_gt_i64_e64 s[4:5], s[18:19], v[2:3]
	s_cselect_b64 s[6:7], -1, 0
	v_mov_b32_e32 v0, s18
	s_and_b64 vcc, vcc, s[4:5]
	v_mov_b32_e32 v1, s19
	v_cndmask_b32_e32 v0, v0, v2, vcc
	v_cndmask_b32_e32 v1, v1, v3, vcc
	v_cndmask_b32_e64 v6, v8, 1, s[6:7]
	v_cndmask_b32_e64 v5, v3, v1, s[6:7]
	;; [unrolled: 1-line block ×3, first 2 shown]
.LBB1260_362:
	s_or_b64 s[12:13], s[12:13], exec
.LBB1260_363:
	s_or_b64 exec, exec, s[8:9]
	v_mov_b64_e32 v[2:3], s[2:3]
	s_and_saveexec_b64 s[2:3], s[12:13]
	s_cbranch_execnz .LBB1260_307
	s_branch .LBB1260_308
	.section	.rodata,"a",@progbits
	.p2align	6, 0x0
	.amdhsa_kernel _ZN7rocprim17ROCPRIM_400000_NS6detail17trampoline_kernelINS0_14default_configENS1_22reduce_config_selectorIN6thrust23THRUST_200600_302600_NS5tupleIblNS6_9null_typeES8_S8_S8_S8_S8_S8_S8_EEEEZNS1_11reduce_implILb1ES3_NS6_12zip_iteratorINS7_INS6_11hip_rocprim26transform_input_iterator_tIbNSD_35transform_pair_of_input_iterators_tIbNS6_6detail15normal_iteratorINS6_10device_ptrIKxEEEESL_NS6_8equal_toIxEEEENSG_9not_fun_tINSD_8identityEEEEENSD_19counting_iterator_tIlEES8_S8_S8_S8_S8_S8_S8_S8_EEEEPS9_S9_NSD_9__find_if7functorIS9_EEEE10hipError_tPvRmT1_T2_T3_mT4_P12ihipStream_tbEUlT_E1_NS1_11comp_targetILNS1_3genE0ELNS1_11target_archE4294967295ELNS1_3gpuE0ELNS1_3repE0EEENS1_30default_config_static_selectorELNS0_4arch9wavefront6targetE1EEEvS14_
		.amdhsa_group_segment_fixed_size 160
		.amdhsa_private_segment_fixed_size 0
		.amdhsa_kernarg_size 88
		.amdhsa_user_sgpr_count 2
		.amdhsa_user_sgpr_dispatch_ptr 0
		.amdhsa_user_sgpr_queue_ptr 0
		.amdhsa_user_sgpr_kernarg_segment_ptr 1
		.amdhsa_user_sgpr_dispatch_id 0
		.amdhsa_user_sgpr_kernarg_preload_length 0
		.amdhsa_user_sgpr_kernarg_preload_offset 0
		.amdhsa_user_sgpr_private_segment_size 0
		.amdhsa_uses_dynamic_stack 0
		.amdhsa_enable_private_segment 0
		.amdhsa_system_sgpr_workgroup_id_x 1
		.amdhsa_system_sgpr_workgroup_id_y 0
		.amdhsa_system_sgpr_workgroup_id_z 0
		.amdhsa_system_sgpr_workgroup_info 0
		.amdhsa_system_vgpr_workitem_id 0
		.amdhsa_next_free_vgpr 45
		.amdhsa_next_free_sgpr 40
		.amdhsa_accum_offset 48
		.amdhsa_reserve_vcc 1
		.amdhsa_float_round_mode_32 0
		.amdhsa_float_round_mode_16_64 0
		.amdhsa_float_denorm_mode_32 3
		.amdhsa_float_denorm_mode_16_64 3
		.amdhsa_dx10_clamp 1
		.amdhsa_ieee_mode 1
		.amdhsa_fp16_overflow 0
		.amdhsa_tg_split 0
		.amdhsa_exception_fp_ieee_invalid_op 0
		.amdhsa_exception_fp_denorm_src 0
		.amdhsa_exception_fp_ieee_div_zero 0
		.amdhsa_exception_fp_ieee_overflow 0
		.amdhsa_exception_fp_ieee_underflow 0
		.amdhsa_exception_fp_ieee_inexact 0
		.amdhsa_exception_int_div_zero 0
	.end_amdhsa_kernel
	.section	.text._ZN7rocprim17ROCPRIM_400000_NS6detail17trampoline_kernelINS0_14default_configENS1_22reduce_config_selectorIN6thrust23THRUST_200600_302600_NS5tupleIblNS6_9null_typeES8_S8_S8_S8_S8_S8_S8_EEEEZNS1_11reduce_implILb1ES3_NS6_12zip_iteratorINS7_INS6_11hip_rocprim26transform_input_iterator_tIbNSD_35transform_pair_of_input_iterators_tIbNS6_6detail15normal_iteratorINS6_10device_ptrIKxEEEESL_NS6_8equal_toIxEEEENSG_9not_fun_tINSD_8identityEEEEENSD_19counting_iterator_tIlEES8_S8_S8_S8_S8_S8_S8_S8_EEEEPS9_S9_NSD_9__find_if7functorIS9_EEEE10hipError_tPvRmT1_T2_T3_mT4_P12ihipStream_tbEUlT_E1_NS1_11comp_targetILNS1_3genE0ELNS1_11target_archE4294967295ELNS1_3gpuE0ELNS1_3repE0EEENS1_30default_config_static_selectorELNS0_4arch9wavefront6targetE1EEEvS14_,"axG",@progbits,_ZN7rocprim17ROCPRIM_400000_NS6detail17trampoline_kernelINS0_14default_configENS1_22reduce_config_selectorIN6thrust23THRUST_200600_302600_NS5tupleIblNS6_9null_typeES8_S8_S8_S8_S8_S8_S8_EEEEZNS1_11reduce_implILb1ES3_NS6_12zip_iteratorINS7_INS6_11hip_rocprim26transform_input_iterator_tIbNSD_35transform_pair_of_input_iterators_tIbNS6_6detail15normal_iteratorINS6_10device_ptrIKxEEEESL_NS6_8equal_toIxEEEENSG_9not_fun_tINSD_8identityEEEEENSD_19counting_iterator_tIlEES8_S8_S8_S8_S8_S8_S8_S8_EEEEPS9_S9_NSD_9__find_if7functorIS9_EEEE10hipError_tPvRmT1_T2_T3_mT4_P12ihipStream_tbEUlT_E1_NS1_11comp_targetILNS1_3genE0ELNS1_11target_archE4294967295ELNS1_3gpuE0ELNS1_3repE0EEENS1_30default_config_static_selectorELNS0_4arch9wavefront6targetE1EEEvS14_,comdat
.Lfunc_end1260:
	.size	_ZN7rocprim17ROCPRIM_400000_NS6detail17trampoline_kernelINS0_14default_configENS1_22reduce_config_selectorIN6thrust23THRUST_200600_302600_NS5tupleIblNS6_9null_typeES8_S8_S8_S8_S8_S8_S8_EEEEZNS1_11reduce_implILb1ES3_NS6_12zip_iteratorINS7_INS6_11hip_rocprim26transform_input_iterator_tIbNSD_35transform_pair_of_input_iterators_tIbNS6_6detail15normal_iteratorINS6_10device_ptrIKxEEEESL_NS6_8equal_toIxEEEENSG_9not_fun_tINSD_8identityEEEEENSD_19counting_iterator_tIlEES8_S8_S8_S8_S8_S8_S8_S8_EEEEPS9_S9_NSD_9__find_if7functorIS9_EEEE10hipError_tPvRmT1_T2_T3_mT4_P12ihipStream_tbEUlT_E1_NS1_11comp_targetILNS1_3genE0ELNS1_11target_archE4294967295ELNS1_3gpuE0ELNS1_3repE0EEENS1_30default_config_static_selectorELNS0_4arch9wavefront6targetE1EEEvS14_, .Lfunc_end1260-_ZN7rocprim17ROCPRIM_400000_NS6detail17trampoline_kernelINS0_14default_configENS1_22reduce_config_selectorIN6thrust23THRUST_200600_302600_NS5tupleIblNS6_9null_typeES8_S8_S8_S8_S8_S8_S8_EEEEZNS1_11reduce_implILb1ES3_NS6_12zip_iteratorINS7_INS6_11hip_rocprim26transform_input_iterator_tIbNSD_35transform_pair_of_input_iterators_tIbNS6_6detail15normal_iteratorINS6_10device_ptrIKxEEEESL_NS6_8equal_toIxEEEENSG_9not_fun_tINSD_8identityEEEEENSD_19counting_iterator_tIlEES8_S8_S8_S8_S8_S8_S8_S8_EEEEPS9_S9_NSD_9__find_if7functorIS9_EEEE10hipError_tPvRmT1_T2_T3_mT4_P12ihipStream_tbEUlT_E1_NS1_11comp_targetILNS1_3genE0ELNS1_11target_archE4294967295ELNS1_3gpuE0ELNS1_3repE0EEENS1_30default_config_static_selectorELNS0_4arch9wavefront6targetE1EEEvS14_
                                        ; -- End function
	.set _ZN7rocprim17ROCPRIM_400000_NS6detail17trampoline_kernelINS0_14default_configENS1_22reduce_config_selectorIN6thrust23THRUST_200600_302600_NS5tupleIblNS6_9null_typeES8_S8_S8_S8_S8_S8_S8_EEEEZNS1_11reduce_implILb1ES3_NS6_12zip_iteratorINS7_INS6_11hip_rocprim26transform_input_iterator_tIbNSD_35transform_pair_of_input_iterators_tIbNS6_6detail15normal_iteratorINS6_10device_ptrIKxEEEESL_NS6_8equal_toIxEEEENSG_9not_fun_tINSD_8identityEEEEENSD_19counting_iterator_tIlEES8_S8_S8_S8_S8_S8_S8_S8_EEEEPS9_S9_NSD_9__find_if7functorIS9_EEEE10hipError_tPvRmT1_T2_T3_mT4_P12ihipStream_tbEUlT_E1_NS1_11comp_targetILNS1_3genE0ELNS1_11target_archE4294967295ELNS1_3gpuE0ELNS1_3repE0EEENS1_30default_config_static_selectorELNS0_4arch9wavefront6targetE1EEEvS14_.num_vgpr, 45
	.set _ZN7rocprim17ROCPRIM_400000_NS6detail17trampoline_kernelINS0_14default_configENS1_22reduce_config_selectorIN6thrust23THRUST_200600_302600_NS5tupleIblNS6_9null_typeES8_S8_S8_S8_S8_S8_S8_EEEEZNS1_11reduce_implILb1ES3_NS6_12zip_iteratorINS7_INS6_11hip_rocprim26transform_input_iterator_tIbNSD_35transform_pair_of_input_iterators_tIbNS6_6detail15normal_iteratorINS6_10device_ptrIKxEEEESL_NS6_8equal_toIxEEEENSG_9not_fun_tINSD_8identityEEEEENSD_19counting_iterator_tIlEES8_S8_S8_S8_S8_S8_S8_S8_EEEEPS9_S9_NSD_9__find_if7functorIS9_EEEE10hipError_tPvRmT1_T2_T3_mT4_P12ihipStream_tbEUlT_E1_NS1_11comp_targetILNS1_3genE0ELNS1_11target_archE4294967295ELNS1_3gpuE0ELNS1_3repE0EEENS1_30default_config_static_selectorELNS0_4arch9wavefront6targetE1EEEvS14_.num_agpr, 0
	.set _ZN7rocprim17ROCPRIM_400000_NS6detail17trampoline_kernelINS0_14default_configENS1_22reduce_config_selectorIN6thrust23THRUST_200600_302600_NS5tupleIblNS6_9null_typeES8_S8_S8_S8_S8_S8_S8_EEEEZNS1_11reduce_implILb1ES3_NS6_12zip_iteratorINS7_INS6_11hip_rocprim26transform_input_iterator_tIbNSD_35transform_pair_of_input_iterators_tIbNS6_6detail15normal_iteratorINS6_10device_ptrIKxEEEESL_NS6_8equal_toIxEEEENSG_9not_fun_tINSD_8identityEEEEENSD_19counting_iterator_tIlEES8_S8_S8_S8_S8_S8_S8_S8_EEEEPS9_S9_NSD_9__find_if7functorIS9_EEEE10hipError_tPvRmT1_T2_T3_mT4_P12ihipStream_tbEUlT_E1_NS1_11comp_targetILNS1_3genE0ELNS1_11target_archE4294967295ELNS1_3gpuE0ELNS1_3repE0EEENS1_30default_config_static_selectorELNS0_4arch9wavefront6targetE1EEEvS14_.numbered_sgpr, 40
	.set _ZN7rocprim17ROCPRIM_400000_NS6detail17trampoline_kernelINS0_14default_configENS1_22reduce_config_selectorIN6thrust23THRUST_200600_302600_NS5tupleIblNS6_9null_typeES8_S8_S8_S8_S8_S8_S8_EEEEZNS1_11reduce_implILb1ES3_NS6_12zip_iteratorINS7_INS6_11hip_rocprim26transform_input_iterator_tIbNSD_35transform_pair_of_input_iterators_tIbNS6_6detail15normal_iteratorINS6_10device_ptrIKxEEEESL_NS6_8equal_toIxEEEENSG_9not_fun_tINSD_8identityEEEEENSD_19counting_iterator_tIlEES8_S8_S8_S8_S8_S8_S8_S8_EEEEPS9_S9_NSD_9__find_if7functorIS9_EEEE10hipError_tPvRmT1_T2_T3_mT4_P12ihipStream_tbEUlT_E1_NS1_11comp_targetILNS1_3genE0ELNS1_11target_archE4294967295ELNS1_3gpuE0ELNS1_3repE0EEENS1_30default_config_static_selectorELNS0_4arch9wavefront6targetE1EEEvS14_.num_named_barrier, 0
	.set _ZN7rocprim17ROCPRIM_400000_NS6detail17trampoline_kernelINS0_14default_configENS1_22reduce_config_selectorIN6thrust23THRUST_200600_302600_NS5tupleIblNS6_9null_typeES8_S8_S8_S8_S8_S8_S8_EEEEZNS1_11reduce_implILb1ES3_NS6_12zip_iteratorINS7_INS6_11hip_rocprim26transform_input_iterator_tIbNSD_35transform_pair_of_input_iterators_tIbNS6_6detail15normal_iteratorINS6_10device_ptrIKxEEEESL_NS6_8equal_toIxEEEENSG_9not_fun_tINSD_8identityEEEEENSD_19counting_iterator_tIlEES8_S8_S8_S8_S8_S8_S8_S8_EEEEPS9_S9_NSD_9__find_if7functorIS9_EEEE10hipError_tPvRmT1_T2_T3_mT4_P12ihipStream_tbEUlT_E1_NS1_11comp_targetILNS1_3genE0ELNS1_11target_archE4294967295ELNS1_3gpuE0ELNS1_3repE0EEENS1_30default_config_static_selectorELNS0_4arch9wavefront6targetE1EEEvS14_.private_seg_size, 0
	.set _ZN7rocprim17ROCPRIM_400000_NS6detail17trampoline_kernelINS0_14default_configENS1_22reduce_config_selectorIN6thrust23THRUST_200600_302600_NS5tupleIblNS6_9null_typeES8_S8_S8_S8_S8_S8_S8_EEEEZNS1_11reduce_implILb1ES3_NS6_12zip_iteratorINS7_INS6_11hip_rocprim26transform_input_iterator_tIbNSD_35transform_pair_of_input_iterators_tIbNS6_6detail15normal_iteratorINS6_10device_ptrIKxEEEESL_NS6_8equal_toIxEEEENSG_9not_fun_tINSD_8identityEEEEENSD_19counting_iterator_tIlEES8_S8_S8_S8_S8_S8_S8_S8_EEEEPS9_S9_NSD_9__find_if7functorIS9_EEEE10hipError_tPvRmT1_T2_T3_mT4_P12ihipStream_tbEUlT_E1_NS1_11comp_targetILNS1_3genE0ELNS1_11target_archE4294967295ELNS1_3gpuE0ELNS1_3repE0EEENS1_30default_config_static_selectorELNS0_4arch9wavefront6targetE1EEEvS14_.uses_vcc, 1
	.set _ZN7rocprim17ROCPRIM_400000_NS6detail17trampoline_kernelINS0_14default_configENS1_22reduce_config_selectorIN6thrust23THRUST_200600_302600_NS5tupleIblNS6_9null_typeES8_S8_S8_S8_S8_S8_S8_EEEEZNS1_11reduce_implILb1ES3_NS6_12zip_iteratorINS7_INS6_11hip_rocprim26transform_input_iterator_tIbNSD_35transform_pair_of_input_iterators_tIbNS6_6detail15normal_iteratorINS6_10device_ptrIKxEEEESL_NS6_8equal_toIxEEEENSG_9not_fun_tINSD_8identityEEEEENSD_19counting_iterator_tIlEES8_S8_S8_S8_S8_S8_S8_S8_EEEEPS9_S9_NSD_9__find_if7functorIS9_EEEE10hipError_tPvRmT1_T2_T3_mT4_P12ihipStream_tbEUlT_E1_NS1_11comp_targetILNS1_3genE0ELNS1_11target_archE4294967295ELNS1_3gpuE0ELNS1_3repE0EEENS1_30default_config_static_selectorELNS0_4arch9wavefront6targetE1EEEvS14_.uses_flat_scratch, 0
	.set _ZN7rocprim17ROCPRIM_400000_NS6detail17trampoline_kernelINS0_14default_configENS1_22reduce_config_selectorIN6thrust23THRUST_200600_302600_NS5tupleIblNS6_9null_typeES8_S8_S8_S8_S8_S8_S8_EEEEZNS1_11reduce_implILb1ES3_NS6_12zip_iteratorINS7_INS6_11hip_rocprim26transform_input_iterator_tIbNSD_35transform_pair_of_input_iterators_tIbNS6_6detail15normal_iteratorINS6_10device_ptrIKxEEEESL_NS6_8equal_toIxEEEENSG_9not_fun_tINSD_8identityEEEEENSD_19counting_iterator_tIlEES8_S8_S8_S8_S8_S8_S8_S8_EEEEPS9_S9_NSD_9__find_if7functorIS9_EEEE10hipError_tPvRmT1_T2_T3_mT4_P12ihipStream_tbEUlT_E1_NS1_11comp_targetILNS1_3genE0ELNS1_11target_archE4294967295ELNS1_3gpuE0ELNS1_3repE0EEENS1_30default_config_static_selectorELNS0_4arch9wavefront6targetE1EEEvS14_.has_dyn_sized_stack, 0
	.set _ZN7rocprim17ROCPRIM_400000_NS6detail17trampoline_kernelINS0_14default_configENS1_22reduce_config_selectorIN6thrust23THRUST_200600_302600_NS5tupleIblNS6_9null_typeES8_S8_S8_S8_S8_S8_S8_EEEEZNS1_11reduce_implILb1ES3_NS6_12zip_iteratorINS7_INS6_11hip_rocprim26transform_input_iterator_tIbNSD_35transform_pair_of_input_iterators_tIbNS6_6detail15normal_iteratorINS6_10device_ptrIKxEEEESL_NS6_8equal_toIxEEEENSG_9not_fun_tINSD_8identityEEEEENSD_19counting_iterator_tIlEES8_S8_S8_S8_S8_S8_S8_S8_EEEEPS9_S9_NSD_9__find_if7functorIS9_EEEE10hipError_tPvRmT1_T2_T3_mT4_P12ihipStream_tbEUlT_E1_NS1_11comp_targetILNS1_3genE0ELNS1_11target_archE4294967295ELNS1_3gpuE0ELNS1_3repE0EEENS1_30default_config_static_selectorELNS0_4arch9wavefront6targetE1EEEvS14_.has_recursion, 0
	.set _ZN7rocprim17ROCPRIM_400000_NS6detail17trampoline_kernelINS0_14default_configENS1_22reduce_config_selectorIN6thrust23THRUST_200600_302600_NS5tupleIblNS6_9null_typeES8_S8_S8_S8_S8_S8_S8_EEEEZNS1_11reduce_implILb1ES3_NS6_12zip_iteratorINS7_INS6_11hip_rocprim26transform_input_iterator_tIbNSD_35transform_pair_of_input_iterators_tIbNS6_6detail15normal_iteratorINS6_10device_ptrIKxEEEESL_NS6_8equal_toIxEEEENSG_9not_fun_tINSD_8identityEEEEENSD_19counting_iterator_tIlEES8_S8_S8_S8_S8_S8_S8_S8_EEEEPS9_S9_NSD_9__find_if7functorIS9_EEEE10hipError_tPvRmT1_T2_T3_mT4_P12ihipStream_tbEUlT_E1_NS1_11comp_targetILNS1_3genE0ELNS1_11target_archE4294967295ELNS1_3gpuE0ELNS1_3repE0EEENS1_30default_config_static_selectorELNS0_4arch9wavefront6targetE1EEEvS14_.has_indirect_call, 0
	.section	.AMDGPU.csdata,"",@progbits
; Kernel info:
; codeLenInByte = 13328
; TotalNumSgprs: 46
; NumVgprs: 45
; NumAgprs: 0
; TotalNumVgprs: 45
; ScratchSize: 0
; MemoryBound: 0
; FloatMode: 240
; IeeeMode: 1
; LDSByteSize: 160 bytes/workgroup (compile time only)
; SGPRBlocks: 5
; VGPRBlocks: 5
; NumSGPRsForWavesPerEU: 46
; NumVGPRsForWavesPerEU: 45
; AccumOffset: 48
; Occupancy: 8
; WaveLimiterHint : 0
; COMPUTE_PGM_RSRC2:SCRATCH_EN: 0
; COMPUTE_PGM_RSRC2:USER_SGPR: 2
; COMPUTE_PGM_RSRC2:TRAP_HANDLER: 0
; COMPUTE_PGM_RSRC2:TGID_X_EN: 1
; COMPUTE_PGM_RSRC2:TGID_Y_EN: 0
; COMPUTE_PGM_RSRC2:TGID_Z_EN: 0
; COMPUTE_PGM_RSRC2:TIDIG_COMP_CNT: 0
; COMPUTE_PGM_RSRC3_GFX90A:ACCUM_OFFSET: 11
; COMPUTE_PGM_RSRC3_GFX90A:TG_SPLIT: 0
	.section	.text._ZN7rocprim17ROCPRIM_400000_NS6detail17trampoline_kernelINS0_14default_configENS1_22reduce_config_selectorIN6thrust23THRUST_200600_302600_NS5tupleIblNS6_9null_typeES8_S8_S8_S8_S8_S8_S8_EEEEZNS1_11reduce_implILb1ES3_NS6_12zip_iteratorINS7_INS6_11hip_rocprim26transform_input_iterator_tIbNSD_35transform_pair_of_input_iterators_tIbNS6_6detail15normal_iteratorINS6_10device_ptrIKxEEEESL_NS6_8equal_toIxEEEENSG_9not_fun_tINSD_8identityEEEEENSD_19counting_iterator_tIlEES8_S8_S8_S8_S8_S8_S8_S8_EEEEPS9_S9_NSD_9__find_if7functorIS9_EEEE10hipError_tPvRmT1_T2_T3_mT4_P12ihipStream_tbEUlT_E1_NS1_11comp_targetILNS1_3genE5ELNS1_11target_archE942ELNS1_3gpuE9ELNS1_3repE0EEENS1_30default_config_static_selectorELNS0_4arch9wavefront6targetE1EEEvS14_,"axG",@progbits,_ZN7rocprim17ROCPRIM_400000_NS6detail17trampoline_kernelINS0_14default_configENS1_22reduce_config_selectorIN6thrust23THRUST_200600_302600_NS5tupleIblNS6_9null_typeES8_S8_S8_S8_S8_S8_S8_EEEEZNS1_11reduce_implILb1ES3_NS6_12zip_iteratorINS7_INS6_11hip_rocprim26transform_input_iterator_tIbNSD_35transform_pair_of_input_iterators_tIbNS6_6detail15normal_iteratorINS6_10device_ptrIKxEEEESL_NS6_8equal_toIxEEEENSG_9not_fun_tINSD_8identityEEEEENSD_19counting_iterator_tIlEES8_S8_S8_S8_S8_S8_S8_S8_EEEEPS9_S9_NSD_9__find_if7functorIS9_EEEE10hipError_tPvRmT1_T2_T3_mT4_P12ihipStream_tbEUlT_E1_NS1_11comp_targetILNS1_3genE5ELNS1_11target_archE942ELNS1_3gpuE9ELNS1_3repE0EEENS1_30default_config_static_selectorELNS0_4arch9wavefront6targetE1EEEvS14_,comdat
	.protected	_ZN7rocprim17ROCPRIM_400000_NS6detail17trampoline_kernelINS0_14default_configENS1_22reduce_config_selectorIN6thrust23THRUST_200600_302600_NS5tupleIblNS6_9null_typeES8_S8_S8_S8_S8_S8_S8_EEEEZNS1_11reduce_implILb1ES3_NS6_12zip_iteratorINS7_INS6_11hip_rocprim26transform_input_iterator_tIbNSD_35transform_pair_of_input_iterators_tIbNS6_6detail15normal_iteratorINS6_10device_ptrIKxEEEESL_NS6_8equal_toIxEEEENSG_9not_fun_tINSD_8identityEEEEENSD_19counting_iterator_tIlEES8_S8_S8_S8_S8_S8_S8_S8_EEEEPS9_S9_NSD_9__find_if7functorIS9_EEEE10hipError_tPvRmT1_T2_T3_mT4_P12ihipStream_tbEUlT_E1_NS1_11comp_targetILNS1_3genE5ELNS1_11target_archE942ELNS1_3gpuE9ELNS1_3repE0EEENS1_30default_config_static_selectorELNS0_4arch9wavefront6targetE1EEEvS14_ ; -- Begin function _ZN7rocprim17ROCPRIM_400000_NS6detail17trampoline_kernelINS0_14default_configENS1_22reduce_config_selectorIN6thrust23THRUST_200600_302600_NS5tupleIblNS6_9null_typeES8_S8_S8_S8_S8_S8_S8_EEEEZNS1_11reduce_implILb1ES3_NS6_12zip_iteratorINS7_INS6_11hip_rocprim26transform_input_iterator_tIbNSD_35transform_pair_of_input_iterators_tIbNS6_6detail15normal_iteratorINS6_10device_ptrIKxEEEESL_NS6_8equal_toIxEEEENSG_9not_fun_tINSD_8identityEEEEENSD_19counting_iterator_tIlEES8_S8_S8_S8_S8_S8_S8_S8_EEEEPS9_S9_NSD_9__find_if7functorIS9_EEEE10hipError_tPvRmT1_T2_T3_mT4_P12ihipStream_tbEUlT_E1_NS1_11comp_targetILNS1_3genE5ELNS1_11target_archE942ELNS1_3gpuE9ELNS1_3repE0EEENS1_30default_config_static_selectorELNS0_4arch9wavefront6targetE1EEEvS14_
	.globl	_ZN7rocprim17ROCPRIM_400000_NS6detail17trampoline_kernelINS0_14default_configENS1_22reduce_config_selectorIN6thrust23THRUST_200600_302600_NS5tupleIblNS6_9null_typeES8_S8_S8_S8_S8_S8_S8_EEEEZNS1_11reduce_implILb1ES3_NS6_12zip_iteratorINS7_INS6_11hip_rocprim26transform_input_iterator_tIbNSD_35transform_pair_of_input_iterators_tIbNS6_6detail15normal_iteratorINS6_10device_ptrIKxEEEESL_NS6_8equal_toIxEEEENSG_9not_fun_tINSD_8identityEEEEENSD_19counting_iterator_tIlEES8_S8_S8_S8_S8_S8_S8_S8_EEEEPS9_S9_NSD_9__find_if7functorIS9_EEEE10hipError_tPvRmT1_T2_T3_mT4_P12ihipStream_tbEUlT_E1_NS1_11comp_targetILNS1_3genE5ELNS1_11target_archE942ELNS1_3gpuE9ELNS1_3repE0EEENS1_30default_config_static_selectorELNS0_4arch9wavefront6targetE1EEEvS14_
	.p2align	8
	.type	_ZN7rocprim17ROCPRIM_400000_NS6detail17trampoline_kernelINS0_14default_configENS1_22reduce_config_selectorIN6thrust23THRUST_200600_302600_NS5tupleIblNS6_9null_typeES8_S8_S8_S8_S8_S8_S8_EEEEZNS1_11reduce_implILb1ES3_NS6_12zip_iteratorINS7_INS6_11hip_rocprim26transform_input_iterator_tIbNSD_35transform_pair_of_input_iterators_tIbNS6_6detail15normal_iteratorINS6_10device_ptrIKxEEEESL_NS6_8equal_toIxEEEENSG_9not_fun_tINSD_8identityEEEEENSD_19counting_iterator_tIlEES8_S8_S8_S8_S8_S8_S8_S8_EEEEPS9_S9_NSD_9__find_if7functorIS9_EEEE10hipError_tPvRmT1_T2_T3_mT4_P12ihipStream_tbEUlT_E1_NS1_11comp_targetILNS1_3genE5ELNS1_11target_archE942ELNS1_3gpuE9ELNS1_3repE0EEENS1_30default_config_static_selectorELNS0_4arch9wavefront6targetE1EEEvS14_,@function
_ZN7rocprim17ROCPRIM_400000_NS6detail17trampoline_kernelINS0_14default_configENS1_22reduce_config_selectorIN6thrust23THRUST_200600_302600_NS5tupleIblNS6_9null_typeES8_S8_S8_S8_S8_S8_S8_EEEEZNS1_11reduce_implILb1ES3_NS6_12zip_iteratorINS7_INS6_11hip_rocprim26transform_input_iterator_tIbNSD_35transform_pair_of_input_iterators_tIbNS6_6detail15normal_iteratorINS6_10device_ptrIKxEEEESL_NS6_8equal_toIxEEEENSG_9not_fun_tINSD_8identityEEEEENSD_19counting_iterator_tIlEES8_S8_S8_S8_S8_S8_S8_S8_EEEEPS9_S9_NSD_9__find_if7functorIS9_EEEE10hipError_tPvRmT1_T2_T3_mT4_P12ihipStream_tbEUlT_E1_NS1_11comp_targetILNS1_3genE5ELNS1_11target_archE942ELNS1_3gpuE9ELNS1_3repE0EEENS1_30default_config_static_selectorELNS0_4arch9wavefront6targetE1EEEvS14_: ; @_ZN7rocprim17ROCPRIM_400000_NS6detail17trampoline_kernelINS0_14default_configENS1_22reduce_config_selectorIN6thrust23THRUST_200600_302600_NS5tupleIblNS6_9null_typeES8_S8_S8_S8_S8_S8_S8_EEEEZNS1_11reduce_implILb1ES3_NS6_12zip_iteratorINS7_INS6_11hip_rocprim26transform_input_iterator_tIbNSD_35transform_pair_of_input_iterators_tIbNS6_6detail15normal_iteratorINS6_10device_ptrIKxEEEESL_NS6_8equal_toIxEEEENSG_9not_fun_tINSD_8identityEEEEENSD_19counting_iterator_tIlEES8_S8_S8_S8_S8_S8_S8_S8_EEEEPS9_S9_NSD_9__find_if7functorIS9_EEEE10hipError_tPvRmT1_T2_T3_mT4_P12ihipStream_tbEUlT_E1_NS1_11comp_targetILNS1_3genE5ELNS1_11target_archE942ELNS1_3gpuE9ELNS1_3repE0EEENS1_30default_config_static_selectorELNS0_4arch9wavefront6targetE1EEEvS14_
; %bb.0:
	.section	.rodata,"a",@progbits
	.p2align	6, 0x0
	.amdhsa_kernel _ZN7rocprim17ROCPRIM_400000_NS6detail17trampoline_kernelINS0_14default_configENS1_22reduce_config_selectorIN6thrust23THRUST_200600_302600_NS5tupleIblNS6_9null_typeES8_S8_S8_S8_S8_S8_S8_EEEEZNS1_11reduce_implILb1ES3_NS6_12zip_iteratorINS7_INS6_11hip_rocprim26transform_input_iterator_tIbNSD_35transform_pair_of_input_iterators_tIbNS6_6detail15normal_iteratorINS6_10device_ptrIKxEEEESL_NS6_8equal_toIxEEEENSG_9not_fun_tINSD_8identityEEEEENSD_19counting_iterator_tIlEES8_S8_S8_S8_S8_S8_S8_S8_EEEEPS9_S9_NSD_9__find_if7functorIS9_EEEE10hipError_tPvRmT1_T2_T3_mT4_P12ihipStream_tbEUlT_E1_NS1_11comp_targetILNS1_3genE5ELNS1_11target_archE942ELNS1_3gpuE9ELNS1_3repE0EEENS1_30default_config_static_selectorELNS0_4arch9wavefront6targetE1EEEvS14_
		.amdhsa_group_segment_fixed_size 0
		.amdhsa_private_segment_fixed_size 0
		.amdhsa_kernarg_size 88
		.amdhsa_user_sgpr_count 2
		.amdhsa_user_sgpr_dispatch_ptr 0
		.amdhsa_user_sgpr_queue_ptr 0
		.amdhsa_user_sgpr_kernarg_segment_ptr 1
		.amdhsa_user_sgpr_dispatch_id 0
		.amdhsa_user_sgpr_kernarg_preload_length 0
		.amdhsa_user_sgpr_kernarg_preload_offset 0
		.amdhsa_user_sgpr_private_segment_size 0
		.amdhsa_uses_dynamic_stack 0
		.amdhsa_enable_private_segment 0
		.amdhsa_system_sgpr_workgroup_id_x 1
		.amdhsa_system_sgpr_workgroup_id_y 0
		.amdhsa_system_sgpr_workgroup_id_z 0
		.amdhsa_system_sgpr_workgroup_info 0
		.amdhsa_system_vgpr_workitem_id 0
		.amdhsa_next_free_vgpr 1
		.amdhsa_next_free_sgpr 0
		.amdhsa_accum_offset 4
		.amdhsa_reserve_vcc 0
		.amdhsa_float_round_mode_32 0
		.amdhsa_float_round_mode_16_64 0
		.amdhsa_float_denorm_mode_32 3
		.amdhsa_float_denorm_mode_16_64 3
		.amdhsa_dx10_clamp 1
		.amdhsa_ieee_mode 1
		.amdhsa_fp16_overflow 0
		.amdhsa_tg_split 0
		.amdhsa_exception_fp_ieee_invalid_op 0
		.amdhsa_exception_fp_denorm_src 0
		.amdhsa_exception_fp_ieee_div_zero 0
		.amdhsa_exception_fp_ieee_overflow 0
		.amdhsa_exception_fp_ieee_underflow 0
		.amdhsa_exception_fp_ieee_inexact 0
		.amdhsa_exception_int_div_zero 0
	.end_amdhsa_kernel
	.section	.text._ZN7rocprim17ROCPRIM_400000_NS6detail17trampoline_kernelINS0_14default_configENS1_22reduce_config_selectorIN6thrust23THRUST_200600_302600_NS5tupleIblNS6_9null_typeES8_S8_S8_S8_S8_S8_S8_EEEEZNS1_11reduce_implILb1ES3_NS6_12zip_iteratorINS7_INS6_11hip_rocprim26transform_input_iterator_tIbNSD_35transform_pair_of_input_iterators_tIbNS6_6detail15normal_iteratorINS6_10device_ptrIKxEEEESL_NS6_8equal_toIxEEEENSG_9not_fun_tINSD_8identityEEEEENSD_19counting_iterator_tIlEES8_S8_S8_S8_S8_S8_S8_S8_EEEEPS9_S9_NSD_9__find_if7functorIS9_EEEE10hipError_tPvRmT1_T2_T3_mT4_P12ihipStream_tbEUlT_E1_NS1_11comp_targetILNS1_3genE5ELNS1_11target_archE942ELNS1_3gpuE9ELNS1_3repE0EEENS1_30default_config_static_selectorELNS0_4arch9wavefront6targetE1EEEvS14_,"axG",@progbits,_ZN7rocprim17ROCPRIM_400000_NS6detail17trampoline_kernelINS0_14default_configENS1_22reduce_config_selectorIN6thrust23THRUST_200600_302600_NS5tupleIblNS6_9null_typeES8_S8_S8_S8_S8_S8_S8_EEEEZNS1_11reduce_implILb1ES3_NS6_12zip_iteratorINS7_INS6_11hip_rocprim26transform_input_iterator_tIbNSD_35transform_pair_of_input_iterators_tIbNS6_6detail15normal_iteratorINS6_10device_ptrIKxEEEESL_NS6_8equal_toIxEEEENSG_9not_fun_tINSD_8identityEEEEENSD_19counting_iterator_tIlEES8_S8_S8_S8_S8_S8_S8_S8_EEEEPS9_S9_NSD_9__find_if7functorIS9_EEEE10hipError_tPvRmT1_T2_T3_mT4_P12ihipStream_tbEUlT_E1_NS1_11comp_targetILNS1_3genE5ELNS1_11target_archE942ELNS1_3gpuE9ELNS1_3repE0EEENS1_30default_config_static_selectorELNS0_4arch9wavefront6targetE1EEEvS14_,comdat
.Lfunc_end1261:
	.size	_ZN7rocprim17ROCPRIM_400000_NS6detail17trampoline_kernelINS0_14default_configENS1_22reduce_config_selectorIN6thrust23THRUST_200600_302600_NS5tupleIblNS6_9null_typeES8_S8_S8_S8_S8_S8_S8_EEEEZNS1_11reduce_implILb1ES3_NS6_12zip_iteratorINS7_INS6_11hip_rocprim26transform_input_iterator_tIbNSD_35transform_pair_of_input_iterators_tIbNS6_6detail15normal_iteratorINS6_10device_ptrIKxEEEESL_NS6_8equal_toIxEEEENSG_9not_fun_tINSD_8identityEEEEENSD_19counting_iterator_tIlEES8_S8_S8_S8_S8_S8_S8_S8_EEEEPS9_S9_NSD_9__find_if7functorIS9_EEEE10hipError_tPvRmT1_T2_T3_mT4_P12ihipStream_tbEUlT_E1_NS1_11comp_targetILNS1_3genE5ELNS1_11target_archE942ELNS1_3gpuE9ELNS1_3repE0EEENS1_30default_config_static_selectorELNS0_4arch9wavefront6targetE1EEEvS14_, .Lfunc_end1261-_ZN7rocprim17ROCPRIM_400000_NS6detail17trampoline_kernelINS0_14default_configENS1_22reduce_config_selectorIN6thrust23THRUST_200600_302600_NS5tupleIblNS6_9null_typeES8_S8_S8_S8_S8_S8_S8_EEEEZNS1_11reduce_implILb1ES3_NS6_12zip_iteratorINS7_INS6_11hip_rocprim26transform_input_iterator_tIbNSD_35transform_pair_of_input_iterators_tIbNS6_6detail15normal_iteratorINS6_10device_ptrIKxEEEESL_NS6_8equal_toIxEEEENSG_9not_fun_tINSD_8identityEEEEENSD_19counting_iterator_tIlEES8_S8_S8_S8_S8_S8_S8_S8_EEEEPS9_S9_NSD_9__find_if7functorIS9_EEEE10hipError_tPvRmT1_T2_T3_mT4_P12ihipStream_tbEUlT_E1_NS1_11comp_targetILNS1_3genE5ELNS1_11target_archE942ELNS1_3gpuE9ELNS1_3repE0EEENS1_30default_config_static_selectorELNS0_4arch9wavefront6targetE1EEEvS14_
                                        ; -- End function
	.set _ZN7rocprim17ROCPRIM_400000_NS6detail17trampoline_kernelINS0_14default_configENS1_22reduce_config_selectorIN6thrust23THRUST_200600_302600_NS5tupleIblNS6_9null_typeES8_S8_S8_S8_S8_S8_S8_EEEEZNS1_11reduce_implILb1ES3_NS6_12zip_iteratorINS7_INS6_11hip_rocprim26transform_input_iterator_tIbNSD_35transform_pair_of_input_iterators_tIbNS6_6detail15normal_iteratorINS6_10device_ptrIKxEEEESL_NS6_8equal_toIxEEEENSG_9not_fun_tINSD_8identityEEEEENSD_19counting_iterator_tIlEES8_S8_S8_S8_S8_S8_S8_S8_EEEEPS9_S9_NSD_9__find_if7functorIS9_EEEE10hipError_tPvRmT1_T2_T3_mT4_P12ihipStream_tbEUlT_E1_NS1_11comp_targetILNS1_3genE5ELNS1_11target_archE942ELNS1_3gpuE9ELNS1_3repE0EEENS1_30default_config_static_selectorELNS0_4arch9wavefront6targetE1EEEvS14_.num_vgpr, 0
	.set _ZN7rocprim17ROCPRIM_400000_NS6detail17trampoline_kernelINS0_14default_configENS1_22reduce_config_selectorIN6thrust23THRUST_200600_302600_NS5tupleIblNS6_9null_typeES8_S8_S8_S8_S8_S8_S8_EEEEZNS1_11reduce_implILb1ES3_NS6_12zip_iteratorINS7_INS6_11hip_rocprim26transform_input_iterator_tIbNSD_35transform_pair_of_input_iterators_tIbNS6_6detail15normal_iteratorINS6_10device_ptrIKxEEEESL_NS6_8equal_toIxEEEENSG_9not_fun_tINSD_8identityEEEEENSD_19counting_iterator_tIlEES8_S8_S8_S8_S8_S8_S8_S8_EEEEPS9_S9_NSD_9__find_if7functorIS9_EEEE10hipError_tPvRmT1_T2_T3_mT4_P12ihipStream_tbEUlT_E1_NS1_11comp_targetILNS1_3genE5ELNS1_11target_archE942ELNS1_3gpuE9ELNS1_3repE0EEENS1_30default_config_static_selectorELNS0_4arch9wavefront6targetE1EEEvS14_.num_agpr, 0
	.set _ZN7rocprim17ROCPRIM_400000_NS6detail17trampoline_kernelINS0_14default_configENS1_22reduce_config_selectorIN6thrust23THRUST_200600_302600_NS5tupleIblNS6_9null_typeES8_S8_S8_S8_S8_S8_S8_EEEEZNS1_11reduce_implILb1ES3_NS6_12zip_iteratorINS7_INS6_11hip_rocprim26transform_input_iterator_tIbNSD_35transform_pair_of_input_iterators_tIbNS6_6detail15normal_iteratorINS6_10device_ptrIKxEEEESL_NS6_8equal_toIxEEEENSG_9not_fun_tINSD_8identityEEEEENSD_19counting_iterator_tIlEES8_S8_S8_S8_S8_S8_S8_S8_EEEEPS9_S9_NSD_9__find_if7functorIS9_EEEE10hipError_tPvRmT1_T2_T3_mT4_P12ihipStream_tbEUlT_E1_NS1_11comp_targetILNS1_3genE5ELNS1_11target_archE942ELNS1_3gpuE9ELNS1_3repE0EEENS1_30default_config_static_selectorELNS0_4arch9wavefront6targetE1EEEvS14_.numbered_sgpr, 0
	.set _ZN7rocprim17ROCPRIM_400000_NS6detail17trampoline_kernelINS0_14default_configENS1_22reduce_config_selectorIN6thrust23THRUST_200600_302600_NS5tupleIblNS6_9null_typeES8_S8_S8_S8_S8_S8_S8_EEEEZNS1_11reduce_implILb1ES3_NS6_12zip_iteratorINS7_INS6_11hip_rocprim26transform_input_iterator_tIbNSD_35transform_pair_of_input_iterators_tIbNS6_6detail15normal_iteratorINS6_10device_ptrIKxEEEESL_NS6_8equal_toIxEEEENSG_9not_fun_tINSD_8identityEEEEENSD_19counting_iterator_tIlEES8_S8_S8_S8_S8_S8_S8_S8_EEEEPS9_S9_NSD_9__find_if7functorIS9_EEEE10hipError_tPvRmT1_T2_T3_mT4_P12ihipStream_tbEUlT_E1_NS1_11comp_targetILNS1_3genE5ELNS1_11target_archE942ELNS1_3gpuE9ELNS1_3repE0EEENS1_30default_config_static_selectorELNS0_4arch9wavefront6targetE1EEEvS14_.num_named_barrier, 0
	.set _ZN7rocprim17ROCPRIM_400000_NS6detail17trampoline_kernelINS0_14default_configENS1_22reduce_config_selectorIN6thrust23THRUST_200600_302600_NS5tupleIblNS6_9null_typeES8_S8_S8_S8_S8_S8_S8_EEEEZNS1_11reduce_implILb1ES3_NS6_12zip_iteratorINS7_INS6_11hip_rocprim26transform_input_iterator_tIbNSD_35transform_pair_of_input_iterators_tIbNS6_6detail15normal_iteratorINS6_10device_ptrIKxEEEESL_NS6_8equal_toIxEEEENSG_9not_fun_tINSD_8identityEEEEENSD_19counting_iterator_tIlEES8_S8_S8_S8_S8_S8_S8_S8_EEEEPS9_S9_NSD_9__find_if7functorIS9_EEEE10hipError_tPvRmT1_T2_T3_mT4_P12ihipStream_tbEUlT_E1_NS1_11comp_targetILNS1_3genE5ELNS1_11target_archE942ELNS1_3gpuE9ELNS1_3repE0EEENS1_30default_config_static_selectorELNS0_4arch9wavefront6targetE1EEEvS14_.private_seg_size, 0
	.set _ZN7rocprim17ROCPRIM_400000_NS6detail17trampoline_kernelINS0_14default_configENS1_22reduce_config_selectorIN6thrust23THRUST_200600_302600_NS5tupleIblNS6_9null_typeES8_S8_S8_S8_S8_S8_S8_EEEEZNS1_11reduce_implILb1ES3_NS6_12zip_iteratorINS7_INS6_11hip_rocprim26transform_input_iterator_tIbNSD_35transform_pair_of_input_iterators_tIbNS6_6detail15normal_iteratorINS6_10device_ptrIKxEEEESL_NS6_8equal_toIxEEEENSG_9not_fun_tINSD_8identityEEEEENSD_19counting_iterator_tIlEES8_S8_S8_S8_S8_S8_S8_S8_EEEEPS9_S9_NSD_9__find_if7functorIS9_EEEE10hipError_tPvRmT1_T2_T3_mT4_P12ihipStream_tbEUlT_E1_NS1_11comp_targetILNS1_3genE5ELNS1_11target_archE942ELNS1_3gpuE9ELNS1_3repE0EEENS1_30default_config_static_selectorELNS0_4arch9wavefront6targetE1EEEvS14_.uses_vcc, 0
	.set _ZN7rocprim17ROCPRIM_400000_NS6detail17trampoline_kernelINS0_14default_configENS1_22reduce_config_selectorIN6thrust23THRUST_200600_302600_NS5tupleIblNS6_9null_typeES8_S8_S8_S8_S8_S8_S8_EEEEZNS1_11reduce_implILb1ES3_NS6_12zip_iteratorINS7_INS6_11hip_rocprim26transform_input_iterator_tIbNSD_35transform_pair_of_input_iterators_tIbNS6_6detail15normal_iteratorINS6_10device_ptrIKxEEEESL_NS6_8equal_toIxEEEENSG_9not_fun_tINSD_8identityEEEEENSD_19counting_iterator_tIlEES8_S8_S8_S8_S8_S8_S8_S8_EEEEPS9_S9_NSD_9__find_if7functorIS9_EEEE10hipError_tPvRmT1_T2_T3_mT4_P12ihipStream_tbEUlT_E1_NS1_11comp_targetILNS1_3genE5ELNS1_11target_archE942ELNS1_3gpuE9ELNS1_3repE0EEENS1_30default_config_static_selectorELNS0_4arch9wavefront6targetE1EEEvS14_.uses_flat_scratch, 0
	.set _ZN7rocprim17ROCPRIM_400000_NS6detail17trampoline_kernelINS0_14default_configENS1_22reduce_config_selectorIN6thrust23THRUST_200600_302600_NS5tupleIblNS6_9null_typeES8_S8_S8_S8_S8_S8_S8_EEEEZNS1_11reduce_implILb1ES3_NS6_12zip_iteratorINS7_INS6_11hip_rocprim26transform_input_iterator_tIbNSD_35transform_pair_of_input_iterators_tIbNS6_6detail15normal_iteratorINS6_10device_ptrIKxEEEESL_NS6_8equal_toIxEEEENSG_9not_fun_tINSD_8identityEEEEENSD_19counting_iterator_tIlEES8_S8_S8_S8_S8_S8_S8_S8_EEEEPS9_S9_NSD_9__find_if7functorIS9_EEEE10hipError_tPvRmT1_T2_T3_mT4_P12ihipStream_tbEUlT_E1_NS1_11comp_targetILNS1_3genE5ELNS1_11target_archE942ELNS1_3gpuE9ELNS1_3repE0EEENS1_30default_config_static_selectorELNS0_4arch9wavefront6targetE1EEEvS14_.has_dyn_sized_stack, 0
	.set _ZN7rocprim17ROCPRIM_400000_NS6detail17trampoline_kernelINS0_14default_configENS1_22reduce_config_selectorIN6thrust23THRUST_200600_302600_NS5tupleIblNS6_9null_typeES8_S8_S8_S8_S8_S8_S8_EEEEZNS1_11reduce_implILb1ES3_NS6_12zip_iteratorINS7_INS6_11hip_rocprim26transform_input_iterator_tIbNSD_35transform_pair_of_input_iterators_tIbNS6_6detail15normal_iteratorINS6_10device_ptrIKxEEEESL_NS6_8equal_toIxEEEENSG_9not_fun_tINSD_8identityEEEEENSD_19counting_iterator_tIlEES8_S8_S8_S8_S8_S8_S8_S8_EEEEPS9_S9_NSD_9__find_if7functorIS9_EEEE10hipError_tPvRmT1_T2_T3_mT4_P12ihipStream_tbEUlT_E1_NS1_11comp_targetILNS1_3genE5ELNS1_11target_archE942ELNS1_3gpuE9ELNS1_3repE0EEENS1_30default_config_static_selectorELNS0_4arch9wavefront6targetE1EEEvS14_.has_recursion, 0
	.set _ZN7rocprim17ROCPRIM_400000_NS6detail17trampoline_kernelINS0_14default_configENS1_22reduce_config_selectorIN6thrust23THRUST_200600_302600_NS5tupleIblNS6_9null_typeES8_S8_S8_S8_S8_S8_S8_EEEEZNS1_11reduce_implILb1ES3_NS6_12zip_iteratorINS7_INS6_11hip_rocprim26transform_input_iterator_tIbNSD_35transform_pair_of_input_iterators_tIbNS6_6detail15normal_iteratorINS6_10device_ptrIKxEEEESL_NS6_8equal_toIxEEEENSG_9not_fun_tINSD_8identityEEEEENSD_19counting_iterator_tIlEES8_S8_S8_S8_S8_S8_S8_S8_EEEEPS9_S9_NSD_9__find_if7functorIS9_EEEE10hipError_tPvRmT1_T2_T3_mT4_P12ihipStream_tbEUlT_E1_NS1_11comp_targetILNS1_3genE5ELNS1_11target_archE942ELNS1_3gpuE9ELNS1_3repE0EEENS1_30default_config_static_selectorELNS0_4arch9wavefront6targetE1EEEvS14_.has_indirect_call, 0
	.section	.AMDGPU.csdata,"",@progbits
; Kernel info:
; codeLenInByte = 0
; TotalNumSgprs: 6
; NumVgprs: 0
; NumAgprs: 0
; TotalNumVgprs: 0
; ScratchSize: 0
; MemoryBound: 0
; FloatMode: 240
; IeeeMode: 1
; LDSByteSize: 0 bytes/workgroup (compile time only)
; SGPRBlocks: 0
; VGPRBlocks: 0
; NumSGPRsForWavesPerEU: 6
; NumVGPRsForWavesPerEU: 1
; AccumOffset: 4
; Occupancy: 8
; WaveLimiterHint : 0
; COMPUTE_PGM_RSRC2:SCRATCH_EN: 0
; COMPUTE_PGM_RSRC2:USER_SGPR: 2
; COMPUTE_PGM_RSRC2:TRAP_HANDLER: 0
; COMPUTE_PGM_RSRC2:TGID_X_EN: 1
; COMPUTE_PGM_RSRC2:TGID_Y_EN: 0
; COMPUTE_PGM_RSRC2:TGID_Z_EN: 0
; COMPUTE_PGM_RSRC2:TIDIG_COMP_CNT: 0
; COMPUTE_PGM_RSRC3_GFX90A:ACCUM_OFFSET: 0
; COMPUTE_PGM_RSRC3_GFX90A:TG_SPLIT: 0
	.section	.text._ZN7rocprim17ROCPRIM_400000_NS6detail17trampoline_kernelINS0_14default_configENS1_22reduce_config_selectorIN6thrust23THRUST_200600_302600_NS5tupleIblNS6_9null_typeES8_S8_S8_S8_S8_S8_S8_EEEEZNS1_11reduce_implILb1ES3_NS6_12zip_iteratorINS7_INS6_11hip_rocprim26transform_input_iterator_tIbNSD_35transform_pair_of_input_iterators_tIbNS6_6detail15normal_iteratorINS6_10device_ptrIKxEEEESL_NS6_8equal_toIxEEEENSG_9not_fun_tINSD_8identityEEEEENSD_19counting_iterator_tIlEES8_S8_S8_S8_S8_S8_S8_S8_EEEEPS9_S9_NSD_9__find_if7functorIS9_EEEE10hipError_tPvRmT1_T2_T3_mT4_P12ihipStream_tbEUlT_E1_NS1_11comp_targetILNS1_3genE4ELNS1_11target_archE910ELNS1_3gpuE8ELNS1_3repE0EEENS1_30default_config_static_selectorELNS0_4arch9wavefront6targetE1EEEvS14_,"axG",@progbits,_ZN7rocprim17ROCPRIM_400000_NS6detail17trampoline_kernelINS0_14default_configENS1_22reduce_config_selectorIN6thrust23THRUST_200600_302600_NS5tupleIblNS6_9null_typeES8_S8_S8_S8_S8_S8_S8_EEEEZNS1_11reduce_implILb1ES3_NS6_12zip_iteratorINS7_INS6_11hip_rocprim26transform_input_iterator_tIbNSD_35transform_pair_of_input_iterators_tIbNS6_6detail15normal_iteratorINS6_10device_ptrIKxEEEESL_NS6_8equal_toIxEEEENSG_9not_fun_tINSD_8identityEEEEENSD_19counting_iterator_tIlEES8_S8_S8_S8_S8_S8_S8_S8_EEEEPS9_S9_NSD_9__find_if7functorIS9_EEEE10hipError_tPvRmT1_T2_T3_mT4_P12ihipStream_tbEUlT_E1_NS1_11comp_targetILNS1_3genE4ELNS1_11target_archE910ELNS1_3gpuE8ELNS1_3repE0EEENS1_30default_config_static_selectorELNS0_4arch9wavefront6targetE1EEEvS14_,comdat
	.protected	_ZN7rocprim17ROCPRIM_400000_NS6detail17trampoline_kernelINS0_14default_configENS1_22reduce_config_selectorIN6thrust23THRUST_200600_302600_NS5tupleIblNS6_9null_typeES8_S8_S8_S8_S8_S8_S8_EEEEZNS1_11reduce_implILb1ES3_NS6_12zip_iteratorINS7_INS6_11hip_rocprim26transform_input_iterator_tIbNSD_35transform_pair_of_input_iterators_tIbNS6_6detail15normal_iteratorINS6_10device_ptrIKxEEEESL_NS6_8equal_toIxEEEENSG_9not_fun_tINSD_8identityEEEEENSD_19counting_iterator_tIlEES8_S8_S8_S8_S8_S8_S8_S8_EEEEPS9_S9_NSD_9__find_if7functorIS9_EEEE10hipError_tPvRmT1_T2_T3_mT4_P12ihipStream_tbEUlT_E1_NS1_11comp_targetILNS1_3genE4ELNS1_11target_archE910ELNS1_3gpuE8ELNS1_3repE0EEENS1_30default_config_static_selectorELNS0_4arch9wavefront6targetE1EEEvS14_ ; -- Begin function _ZN7rocprim17ROCPRIM_400000_NS6detail17trampoline_kernelINS0_14default_configENS1_22reduce_config_selectorIN6thrust23THRUST_200600_302600_NS5tupleIblNS6_9null_typeES8_S8_S8_S8_S8_S8_S8_EEEEZNS1_11reduce_implILb1ES3_NS6_12zip_iteratorINS7_INS6_11hip_rocprim26transform_input_iterator_tIbNSD_35transform_pair_of_input_iterators_tIbNS6_6detail15normal_iteratorINS6_10device_ptrIKxEEEESL_NS6_8equal_toIxEEEENSG_9not_fun_tINSD_8identityEEEEENSD_19counting_iterator_tIlEES8_S8_S8_S8_S8_S8_S8_S8_EEEEPS9_S9_NSD_9__find_if7functorIS9_EEEE10hipError_tPvRmT1_T2_T3_mT4_P12ihipStream_tbEUlT_E1_NS1_11comp_targetILNS1_3genE4ELNS1_11target_archE910ELNS1_3gpuE8ELNS1_3repE0EEENS1_30default_config_static_selectorELNS0_4arch9wavefront6targetE1EEEvS14_
	.globl	_ZN7rocprim17ROCPRIM_400000_NS6detail17trampoline_kernelINS0_14default_configENS1_22reduce_config_selectorIN6thrust23THRUST_200600_302600_NS5tupleIblNS6_9null_typeES8_S8_S8_S8_S8_S8_S8_EEEEZNS1_11reduce_implILb1ES3_NS6_12zip_iteratorINS7_INS6_11hip_rocprim26transform_input_iterator_tIbNSD_35transform_pair_of_input_iterators_tIbNS6_6detail15normal_iteratorINS6_10device_ptrIKxEEEESL_NS6_8equal_toIxEEEENSG_9not_fun_tINSD_8identityEEEEENSD_19counting_iterator_tIlEES8_S8_S8_S8_S8_S8_S8_S8_EEEEPS9_S9_NSD_9__find_if7functorIS9_EEEE10hipError_tPvRmT1_T2_T3_mT4_P12ihipStream_tbEUlT_E1_NS1_11comp_targetILNS1_3genE4ELNS1_11target_archE910ELNS1_3gpuE8ELNS1_3repE0EEENS1_30default_config_static_selectorELNS0_4arch9wavefront6targetE1EEEvS14_
	.p2align	8
	.type	_ZN7rocprim17ROCPRIM_400000_NS6detail17trampoline_kernelINS0_14default_configENS1_22reduce_config_selectorIN6thrust23THRUST_200600_302600_NS5tupleIblNS6_9null_typeES8_S8_S8_S8_S8_S8_S8_EEEEZNS1_11reduce_implILb1ES3_NS6_12zip_iteratorINS7_INS6_11hip_rocprim26transform_input_iterator_tIbNSD_35transform_pair_of_input_iterators_tIbNS6_6detail15normal_iteratorINS6_10device_ptrIKxEEEESL_NS6_8equal_toIxEEEENSG_9not_fun_tINSD_8identityEEEEENSD_19counting_iterator_tIlEES8_S8_S8_S8_S8_S8_S8_S8_EEEEPS9_S9_NSD_9__find_if7functorIS9_EEEE10hipError_tPvRmT1_T2_T3_mT4_P12ihipStream_tbEUlT_E1_NS1_11comp_targetILNS1_3genE4ELNS1_11target_archE910ELNS1_3gpuE8ELNS1_3repE0EEENS1_30default_config_static_selectorELNS0_4arch9wavefront6targetE1EEEvS14_,@function
_ZN7rocprim17ROCPRIM_400000_NS6detail17trampoline_kernelINS0_14default_configENS1_22reduce_config_selectorIN6thrust23THRUST_200600_302600_NS5tupleIblNS6_9null_typeES8_S8_S8_S8_S8_S8_S8_EEEEZNS1_11reduce_implILb1ES3_NS6_12zip_iteratorINS7_INS6_11hip_rocprim26transform_input_iterator_tIbNSD_35transform_pair_of_input_iterators_tIbNS6_6detail15normal_iteratorINS6_10device_ptrIKxEEEESL_NS6_8equal_toIxEEEENSG_9not_fun_tINSD_8identityEEEEENSD_19counting_iterator_tIlEES8_S8_S8_S8_S8_S8_S8_S8_EEEEPS9_S9_NSD_9__find_if7functorIS9_EEEE10hipError_tPvRmT1_T2_T3_mT4_P12ihipStream_tbEUlT_E1_NS1_11comp_targetILNS1_3genE4ELNS1_11target_archE910ELNS1_3gpuE8ELNS1_3repE0EEENS1_30default_config_static_selectorELNS0_4arch9wavefront6targetE1EEEvS14_: ; @_ZN7rocprim17ROCPRIM_400000_NS6detail17trampoline_kernelINS0_14default_configENS1_22reduce_config_selectorIN6thrust23THRUST_200600_302600_NS5tupleIblNS6_9null_typeES8_S8_S8_S8_S8_S8_S8_EEEEZNS1_11reduce_implILb1ES3_NS6_12zip_iteratorINS7_INS6_11hip_rocprim26transform_input_iterator_tIbNSD_35transform_pair_of_input_iterators_tIbNS6_6detail15normal_iteratorINS6_10device_ptrIKxEEEESL_NS6_8equal_toIxEEEENSG_9not_fun_tINSD_8identityEEEEENSD_19counting_iterator_tIlEES8_S8_S8_S8_S8_S8_S8_S8_EEEEPS9_S9_NSD_9__find_if7functorIS9_EEEE10hipError_tPvRmT1_T2_T3_mT4_P12ihipStream_tbEUlT_E1_NS1_11comp_targetILNS1_3genE4ELNS1_11target_archE910ELNS1_3gpuE8ELNS1_3repE0EEENS1_30default_config_static_selectorELNS0_4arch9wavefront6targetE1EEEvS14_
; %bb.0:
	.section	.rodata,"a",@progbits
	.p2align	6, 0x0
	.amdhsa_kernel _ZN7rocprim17ROCPRIM_400000_NS6detail17trampoline_kernelINS0_14default_configENS1_22reduce_config_selectorIN6thrust23THRUST_200600_302600_NS5tupleIblNS6_9null_typeES8_S8_S8_S8_S8_S8_S8_EEEEZNS1_11reduce_implILb1ES3_NS6_12zip_iteratorINS7_INS6_11hip_rocprim26transform_input_iterator_tIbNSD_35transform_pair_of_input_iterators_tIbNS6_6detail15normal_iteratorINS6_10device_ptrIKxEEEESL_NS6_8equal_toIxEEEENSG_9not_fun_tINSD_8identityEEEEENSD_19counting_iterator_tIlEES8_S8_S8_S8_S8_S8_S8_S8_EEEEPS9_S9_NSD_9__find_if7functorIS9_EEEE10hipError_tPvRmT1_T2_T3_mT4_P12ihipStream_tbEUlT_E1_NS1_11comp_targetILNS1_3genE4ELNS1_11target_archE910ELNS1_3gpuE8ELNS1_3repE0EEENS1_30default_config_static_selectorELNS0_4arch9wavefront6targetE1EEEvS14_
		.amdhsa_group_segment_fixed_size 0
		.amdhsa_private_segment_fixed_size 0
		.amdhsa_kernarg_size 88
		.amdhsa_user_sgpr_count 2
		.amdhsa_user_sgpr_dispatch_ptr 0
		.amdhsa_user_sgpr_queue_ptr 0
		.amdhsa_user_sgpr_kernarg_segment_ptr 1
		.amdhsa_user_sgpr_dispatch_id 0
		.amdhsa_user_sgpr_kernarg_preload_length 0
		.amdhsa_user_sgpr_kernarg_preload_offset 0
		.amdhsa_user_sgpr_private_segment_size 0
		.amdhsa_uses_dynamic_stack 0
		.amdhsa_enable_private_segment 0
		.amdhsa_system_sgpr_workgroup_id_x 1
		.amdhsa_system_sgpr_workgroup_id_y 0
		.amdhsa_system_sgpr_workgroup_id_z 0
		.amdhsa_system_sgpr_workgroup_info 0
		.amdhsa_system_vgpr_workitem_id 0
		.amdhsa_next_free_vgpr 1
		.amdhsa_next_free_sgpr 0
		.amdhsa_accum_offset 4
		.amdhsa_reserve_vcc 0
		.amdhsa_float_round_mode_32 0
		.amdhsa_float_round_mode_16_64 0
		.amdhsa_float_denorm_mode_32 3
		.amdhsa_float_denorm_mode_16_64 3
		.amdhsa_dx10_clamp 1
		.amdhsa_ieee_mode 1
		.amdhsa_fp16_overflow 0
		.amdhsa_tg_split 0
		.amdhsa_exception_fp_ieee_invalid_op 0
		.amdhsa_exception_fp_denorm_src 0
		.amdhsa_exception_fp_ieee_div_zero 0
		.amdhsa_exception_fp_ieee_overflow 0
		.amdhsa_exception_fp_ieee_underflow 0
		.amdhsa_exception_fp_ieee_inexact 0
		.amdhsa_exception_int_div_zero 0
	.end_amdhsa_kernel
	.section	.text._ZN7rocprim17ROCPRIM_400000_NS6detail17trampoline_kernelINS0_14default_configENS1_22reduce_config_selectorIN6thrust23THRUST_200600_302600_NS5tupleIblNS6_9null_typeES8_S8_S8_S8_S8_S8_S8_EEEEZNS1_11reduce_implILb1ES3_NS6_12zip_iteratorINS7_INS6_11hip_rocprim26transform_input_iterator_tIbNSD_35transform_pair_of_input_iterators_tIbNS6_6detail15normal_iteratorINS6_10device_ptrIKxEEEESL_NS6_8equal_toIxEEEENSG_9not_fun_tINSD_8identityEEEEENSD_19counting_iterator_tIlEES8_S8_S8_S8_S8_S8_S8_S8_EEEEPS9_S9_NSD_9__find_if7functorIS9_EEEE10hipError_tPvRmT1_T2_T3_mT4_P12ihipStream_tbEUlT_E1_NS1_11comp_targetILNS1_3genE4ELNS1_11target_archE910ELNS1_3gpuE8ELNS1_3repE0EEENS1_30default_config_static_selectorELNS0_4arch9wavefront6targetE1EEEvS14_,"axG",@progbits,_ZN7rocprim17ROCPRIM_400000_NS6detail17trampoline_kernelINS0_14default_configENS1_22reduce_config_selectorIN6thrust23THRUST_200600_302600_NS5tupleIblNS6_9null_typeES8_S8_S8_S8_S8_S8_S8_EEEEZNS1_11reduce_implILb1ES3_NS6_12zip_iteratorINS7_INS6_11hip_rocprim26transform_input_iterator_tIbNSD_35transform_pair_of_input_iterators_tIbNS6_6detail15normal_iteratorINS6_10device_ptrIKxEEEESL_NS6_8equal_toIxEEEENSG_9not_fun_tINSD_8identityEEEEENSD_19counting_iterator_tIlEES8_S8_S8_S8_S8_S8_S8_S8_EEEEPS9_S9_NSD_9__find_if7functorIS9_EEEE10hipError_tPvRmT1_T2_T3_mT4_P12ihipStream_tbEUlT_E1_NS1_11comp_targetILNS1_3genE4ELNS1_11target_archE910ELNS1_3gpuE8ELNS1_3repE0EEENS1_30default_config_static_selectorELNS0_4arch9wavefront6targetE1EEEvS14_,comdat
.Lfunc_end1262:
	.size	_ZN7rocprim17ROCPRIM_400000_NS6detail17trampoline_kernelINS0_14default_configENS1_22reduce_config_selectorIN6thrust23THRUST_200600_302600_NS5tupleIblNS6_9null_typeES8_S8_S8_S8_S8_S8_S8_EEEEZNS1_11reduce_implILb1ES3_NS6_12zip_iteratorINS7_INS6_11hip_rocprim26transform_input_iterator_tIbNSD_35transform_pair_of_input_iterators_tIbNS6_6detail15normal_iteratorINS6_10device_ptrIKxEEEESL_NS6_8equal_toIxEEEENSG_9not_fun_tINSD_8identityEEEEENSD_19counting_iterator_tIlEES8_S8_S8_S8_S8_S8_S8_S8_EEEEPS9_S9_NSD_9__find_if7functorIS9_EEEE10hipError_tPvRmT1_T2_T3_mT4_P12ihipStream_tbEUlT_E1_NS1_11comp_targetILNS1_3genE4ELNS1_11target_archE910ELNS1_3gpuE8ELNS1_3repE0EEENS1_30default_config_static_selectorELNS0_4arch9wavefront6targetE1EEEvS14_, .Lfunc_end1262-_ZN7rocprim17ROCPRIM_400000_NS6detail17trampoline_kernelINS0_14default_configENS1_22reduce_config_selectorIN6thrust23THRUST_200600_302600_NS5tupleIblNS6_9null_typeES8_S8_S8_S8_S8_S8_S8_EEEEZNS1_11reduce_implILb1ES3_NS6_12zip_iteratorINS7_INS6_11hip_rocprim26transform_input_iterator_tIbNSD_35transform_pair_of_input_iterators_tIbNS6_6detail15normal_iteratorINS6_10device_ptrIKxEEEESL_NS6_8equal_toIxEEEENSG_9not_fun_tINSD_8identityEEEEENSD_19counting_iterator_tIlEES8_S8_S8_S8_S8_S8_S8_S8_EEEEPS9_S9_NSD_9__find_if7functorIS9_EEEE10hipError_tPvRmT1_T2_T3_mT4_P12ihipStream_tbEUlT_E1_NS1_11comp_targetILNS1_3genE4ELNS1_11target_archE910ELNS1_3gpuE8ELNS1_3repE0EEENS1_30default_config_static_selectorELNS0_4arch9wavefront6targetE1EEEvS14_
                                        ; -- End function
	.set _ZN7rocprim17ROCPRIM_400000_NS6detail17trampoline_kernelINS0_14default_configENS1_22reduce_config_selectorIN6thrust23THRUST_200600_302600_NS5tupleIblNS6_9null_typeES8_S8_S8_S8_S8_S8_S8_EEEEZNS1_11reduce_implILb1ES3_NS6_12zip_iteratorINS7_INS6_11hip_rocprim26transform_input_iterator_tIbNSD_35transform_pair_of_input_iterators_tIbNS6_6detail15normal_iteratorINS6_10device_ptrIKxEEEESL_NS6_8equal_toIxEEEENSG_9not_fun_tINSD_8identityEEEEENSD_19counting_iterator_tIlEES8_S8_S8_S8_S8_S8_S8_S8_EEEEPS9_S9_NSD_9__find_if7functorIS9_EEEE10hipError_tPvRmT1_T2_T3_mT4_P12ihipStream_tbEUlT_E1_NS1_11comp_targetILNS1_3genE4ELNS1_11target_archE910ELNS1_3gpuE8ELNS1_3repE0EEENS1_30default_config_static_selectorELNS0_4arch9wavefront6targetE1EEEvS14_.num_vgpr, 0
	.set _ZN7rocprim17ROCPRIM_400000_NS6detail17trampoline_kernelINS0_14default_configENS1_22reduce_config_selectorIN6thrust23THRUST_200600_302600_NS5tupleIblNS6_9null_typeES8_S8_S8_S8_S8_S8_S8_EEEEZNS1_11reduce_implILb1ES3_NS6_12zip_iteratorINS7_INS6_11hip_rocprim26transform_input_iterator_tIbNSD_35transform_pair_of_input_iterators_tIbNS6_6detail15normal_iteratorINS6_10device_ptrIKxEEEESL_NS6_8equal_toIxEEEENSG_9not_fun_tINSD_8identityEEEEENSD_19counting_iterator_tIlEES8_S8_S8_S8_S8_S8_S8_S8_EEEEPS9_S9_NSD_9__find_if7functorIS9_EEEE10hipError_tPvRmT1_T2_T3_mT4_P12ihipStream_tbEUlT_E1_NS1_11comp_targetILNS1_3genE4ELNS1_11target_archE910ELNS1_3gpuE8ELNS1_3repE0EEENS1_30default_config_static_selectorELNS0_4arch9wavefront6targetE1EEEvS14_.num_agpr, 0
	.set _ZN7rocprim17ROCPRIM_400000_NS6detail17trampoline_kernelINS0_14default_configENS1_22reduce_config_selectorIN6thrust23THRUST_200600_302600_NS5tupleIblNS6_9null_typeES8_S8_S8_S8_S8_S8_S8_EEEEZNS1_11reduce_implILb1ES3_NS6_12zip_iteratorINS7_INS6_11hip_rocprim26transform_input_iterator_tIbNSD_35transform_pair_of_input_iterators_tIbNS6_6detail15normal_iteratorINS6_10device_ptrIKxEEEESL_NS6_8equal_toIxEEEENSG_9not_fun_tINSD_8identityEEEEENSD_19counting_iterator_tIlEES8_S8_S8_S8_S8_S8_S8_S8_EEEEPS9_S9_NSD_9__find_if7functorIS9_EEEE10hipError_tPvRmT1_T2_T3_mT4_P12ihipStream_tbEUlT_E1_NS1_11comp_targetILNS1_3genE4ELNS1_11target_archE910ELNS1_3gpuE8ELNS1_3repE0EEENS1_30default_config_static_selectorELNS0_4arch9wavefront6targetE1EEEvS14_.numbered_sgpr, 0
	.set _ZN7rocprim17ROCPRIM_400000_NS6detail17trampoline_kernelINS0_14default_configENS1_22reduce_config_selectorIN6thrust23THRUST_200600_302600_NS5tupleIblNS6_9null_typeES8_S8_S8_S8_S8_S8_S8_EEEEZNS1_11reduce_implILb1ES3_NS6_12zip_iteratorINS7_INS6_11hip_rocprim26transform_input_iterator_tIbNSD_35transform_pair_of_input_iterators_tIbNS6_6detail15normal_iteratorINS6_10device_ptrIKxEEEESL_NS6_8equal_toIxEEEENSG_9not_fun_tINSD_8identityEEEEENSD_19counting_iterator_tIlEES8_S8_S8_S8_S8_S8_S8_S8_EEEEPS9_S9_NSD_9__find_if7functorIS9_EEEE10hipError_tPvRmT1_T2_T3_mT4_P12ihipStream_tbEUlT_E1_NS1_11comp_targetILNS1_3genE4ELNS1_11target_archE910ELNS1_3gpuE8ELNS1_3repE0EEENS1_30default_config_static_selectorELNS0_4arch9wavefront6targetE1EEEvS14_.num_named_barrier, 0
	.set _ZN7rocprim17ROCPRIM_400000_NS6detail17trampoline_kernelINS0_14default_configENS1_22reduce_config_selectorIN6thrust23THRUST_200600_302600_NS5tupleIblNS6_9null_typeES8_S8_S8_S8_S8_S8_S8_EEEEZNS1_11reduce_implILb1ES3_NS6_12zip_iteratorINS7_INS6_11hip_rocprim26transform_input_iterator_tIbNSD_35transform_pair_of_input_iterators_tIbNS6_6detail15normal_iteratorINS6_10device_ptrIKxEEEESL_NS6_8equal_toIxEEEENSG_9not_fun_tINSD_8identityEEEEENSD_19counting_iterator_tIlEES8_S8_S8_S8_S8_S8_S8_S8_EEEEPS9_S9_NSD_9__find_if7functorIS9_EEEE10hipError_tPvRmT1_T2_T3_mT4_P12ihipStream_tbEUlT_E1_NS1_11comp_targetILNS1_3genE4ELNS1_11target_archE910ELNS1_3gpuE8ELNS1_3repE0EEENS1_30default_config_static_selectorELNS0_4arch9wavefront6targetE1EEEvS14_.private_seg_size, 0
	.set _ZN7rocprim17ROCPRIM_400000_NS6detail17trampoline_kernelINS0_14default_configENS1_22reduce_config_selectorIN6thrust23THRUST_200600_302600_NS5tupleIblNS6_9null_typeES8_S8_S8_S8_S8_S8_S8_EEEEZNS1_11reduce_implILb1ES3_NS6_12zip_iteratorINS7_INS6_11hip_rocprim26transform_input_iterator_tIbNSD_35transform_pair_of_input_iterators_tIbNS6_6detail15normal_iteratorINS6_10device_ptrIKxEEEESL_NS6_8equal_toIxEEEENSG_9not_fun_tINSD_8identityEEEEENSD_19counting_iterator_tIlEES8_S8_S8_S8_S8_S8_S8_S8_EEEEPS9_S9_NSD_9__find_if7functorIS9_EEEE10hipError_tPvRmT1_T2_T3_mT4_P12ihipStream_tbEUlT_E1_NS1_11comp_targetILNS1_3genE4ELNS1_11target_archE910ELNS1_3gpuE8ELNS1_3repE0EEENS1_30default_config_static_selectorELNS0_4arch9wavefront6targetE1EEEvS14_.uses_vcc, 0
	.set _ZN7rocprim17ROCPRIM_400000_NS6detail17trampoline_kernelINS0_14default_configENS1_22reduce_config_selectorIN6thrust23THRUST_200600_302600_NS5tupleIblNS6_9null_typeES8_S8_S8_S8_S8_S8_S8_EEEEZNS1_11reduce_implILb1ES3_NS6_12zip_iteratorINS7_INS6_11hip_rocprim26transform_input_iterator_tIbNSD_35transform_pair_of_input_iterators_tIbNS6_6detail15normal_iteratorINS6_10device_ptrIKxEEEESL_NS6_8equal_toIxEEEENSG_9not_fun_tINSD_8identityEEEEENSD_19counting_iterator_tIlEES8_S8_S8_S8_S8_S8_S8_S8_EEEEPS9_S9_NSD_9__find_if7functorIS9_EEEE10hipError_tPvRmT1_T2_T3_mT4_P12ihipStream_tbEUlT_E1_NS1_11comp_targetILNS1_3genE4ELNS1_11target_archE910ELNS1_3gpuE8ELNS1_3repE0EEENS1_30default_config_static_selectorELNS0_4arch9wavefront6targetE1EEEvS14_.uses_flat_scratch, 0
	.set _ZN7rocprim17ROCPRIM_400000_NS6detail17trampoline_kernelINS0_14default_configENS1_22reduce_config_selectorIN6thrust23THRUST_200600_302600_NS5tupleIblNS6_9null_typeES8_S8_S8_S8_S8_S8_S8_EEEEZNS1_11reduce_implILb1ES3_NS6_12zip_iteratorINS7_INS6_11hip_rocprim26transform_input_iterator_tIbNSD_35transform_pair_of_input_iterators_tIbNS6_6detail15normal_iteratorINS6_10device_ptrIKxEEEESL_NS6_8equal_toIxEEEENSG_9not_fun_tINSD_8identityEEEEENSD_19counting_iterator_tIlEES8_S8_S8_S8_S8_S8_S8_S8_EEEEPS9_S9_NSD_9__find_if7functorIS9_EEEE10hipError_tPvRmT1_T2_T3_mT4_P12ihipStream_tbEUlT_E1_NS1_11comp_targetILNS1_3genE4ELNS1_11target_archE910ELNS1_3gpuE8ELNS1_3repE0EEENS1_30default_config_static_selectorELNS0_4arch9wavefront6targetE1EEEvS14_.has_dyn_sized_stack, 0
	.set _ZN7rocprim17ROCPRIM_400000_NS6detail17trampoline_kernelINS0_14default_configENS1_22reduce_config_selectorIN6thrust23THRUST_200600_302600_NS5tupleIblNS6_9null_typeES8_S8_S8_S8_S8_S8_S8_EEEEZNS1_11reduce_implILb1ES3_NS6_12zip_iteratorINS7_INS6_11hip_rocprim26transform_input_iterator_tIbNSD_35transform_pair_of_input_iterators_tIbNS6_6detail15normal_iteratorINS6_10device_ptrIKxEEEESL_NS6_8equal_toIxEEEENSG_9not_fun_tINSD_8identityEEEEENSD_19counting_iterator_tIlEES8_S8_S8_S8_S8_S8_S8_S8_EEEEPS9_S9_NSD_9__find_if7functorIS9_EEEE10hipError_tPvRmT1_T2_T3_mT4_P12ihipStream_tbEUlT_E1_NS1_11comp_targetILNS1_3genE4ELNS1_11target_archE910ELNS1_3gpuE8ELNS1_3repE0EEENS1_30default_config_static_selectorELNS0_4arch9wavefront6targetE1EEEvS14_.has_recursion, 0
	.set _ZN7rocprim17ROCPRIM_400000_NS6detail17trampoline_kernelINS0_14default_configENS1_22reduce_config_selectorIN6thrust23THRUST_200600_302600_NS5tupleIblNS6_9null_typeES8_S8_S8_S8_S8_S8_S8_EEEEZNS1_11reduce_implILb1ES3_NS6_12zip_iteratorINS7_INS6_11hip_rocprim26transform_input_iterator_tIbNSD_35transform_pair_of_input_iterators_tIbNS6_6detail15normal_iteratorINS6_10device_ptrIKxEEEESL_NS6_8equal_toIxEEEENSG_9not_fun_tINSD_8identityEEEEENSD_19counting_iterator_tIlEES8_S8_S8_S8_S8_S8_S8_S8_EEEEPS9_S9_NSD_9__find_if7functorIS9_EEEE10hipError_tPvRmT1_T2_T3_mT4_P12ihipStream_tbEUlT_E1_NS1_11comp_targetILNS1_3genE4ELNS1_11target_archE910ELNS1_3gpuE8ELNS1_3repE0EEENS1_30default_config_static_selectorELNS0_4arch9wavefront6targetE1EEEvS14_.has_indirect_call, 0
	.section	.AMDGPU.csdata,"",@progbits
; Kernel info:
; codeLenInByte = 0
; TotalNumSgprs: 6
; NumVgprs: 0
; NumAgprs: 0
; TotalNumVgprs: 0
; ScratchSize: 0
; MemoryBound: 0
; FloatMode: 240
; IeeeMode: 1
; LDSByteSize: 0 bytes/workgroup (compile time only)
; SGPRBlocks: 0
; VGPRBlocks: 0
; NumSGPRsForWavesPerEU: 6
; NumVGPRsForWavesPerEU: 1
; AccumOffset: 4
; Occupancy: 8
; WaveLimiterHint : 0
; COMPUTE_PGM_RSRC2:SCRATCH_EN: 0
; COMPUTE_PGM_RSRC2:USER_SGPR: 2
; COMPUTE_PGM_RSRC2:TRAP_HANDLER: 0
; COMPUTE_PGM_RSRC2:TGID_X_EN: 1
; COMPUTE_PGM_RSRC2:TGID_Y_EN: 0
; COMPUTE_PGM_RSRC2:TGID_Z_EN: 0
; COMPUTE_PGM_RSRC2:TIDIG_COMP_CNT: 0
; COMPUTE_PGM_RSRC3_GFX90A:ACCUM_OFFSET: 0
; COMPUTE_PGM_RSRC3_GFX90A:TG_SPLIT: 0
	.section	.text._ZN7rocprim17ROCPRIM_400000_NS6detail17trampoline_kernelINS0_14default_configENS1_22reduce_config_selectorIN6thrust23THRUST_200600_302600_NS5tupleIblNS6_9null_typeES8_S8_S8_S8_S8_S8_S8_EEEEZNS1_11reduce_implILb1ES3_NS6_12zip_iteratorINS7_INS6_11hip_rocprim26transform_input_iterator_tIbNSD_35transform_pair_of_input_iterators_tIbNS6_6detail15normal_iteratorINS6_10device_ptrIKxEEEESL_NS6_8equal_toIxEEEENSG_9not_fun_tINSD_8identityEEEEENSD_19counting_iterator_tIlEES8_S8_S8_S8_S8_S8_S8_S8_EEEEPS9_S9_NSD_9__find_if7functorIS9_EEEE10hipError_tPvRmT1_T2_T3_mT4_P12ihipStream_tbEUlT_E1_NS1_11comp_targetILNS1_3genE3ELNS1_11target_archE908ELNS1_3gpuE7ELNS1_3repE0EEENS1_30default_config_static_selectorELNS0_4arch9wavefront6targetE1EEEvS14_,"axG",@progbits,_ZN7rocprim17ROCPRIM_400000_NS6detail17trampoline_kernelINS0_14default_configENS1_22reduce_config_selectorIN6thrust23THRUST_200600_302600_NS5tupleIblNS6_9null_typeES8_S8_S8_S8_S8_S8_S8_EEEEZNS1_11reduce_implILb1ES3_NS6_12zip_iteratorINS7_INS6_11hip_rocprim26transform_input_iterator_tIbNSD_35transform_pair_of_input_iterators_tIbNS6_6detail15normal_iteratorINS6_10device_ptrIKxEEEESL_NS6_8equal_toIxEEEENSG_9not_fun_tINSD_8identityEEEEENSD_19counting_iterator_tIlEES8_S8_S8_S8_S8_S8_S8_S8_EEEEPS9_S9_NSD_9__find_if7functorIS9_EEEE10hipError_tPvRmT1_T2_T3_mT4_P12ihipStream_tbEUlT_E1_NS1_11comp_targetILNS1_3genE3ELNS1_11target_archE908ELNS1_3gpuE7ELNS1_3repE0EEENS1_30default_config_static_selectorELNS0_4arch9wavefront6targetE1EEEvS14_,comdat
	.protected	_ZN7rocprim17ROCPRIM_400000_NS6detail17trampoline_kernelINS0_14default_configENS1_22reduce_config_selectorIN6thrust23THRUST_200600_302600_NS5tupleIblNS6_9null_typeES8_S8_S8_S8_S8_S8_S8_EEEEZNS1_11reduce_implILb1ES3_NS6_12zip_iteratorINS7_INS6_11hip_rocprim26transform_input_iterator_tIbNSD_35transform_pair_of_input_iterators_tIbNS6_6detail15normal_iteratorINS6_10device_ptrIKxEEEESL_NS6_8equal_toIxEEEENSG_9not_fun_tINSD_8identityEEEEENSD_19counting_iterator_tIlEES8_S8_S8_S8_S8_S8_S8_S8_EEEEPS9_S9_NSD_9__find_if7functorIS9_EEEE10hipError_tPvRmT1_T2_T3_mT4_P12ihipStream_tbEUlT_E1_NS1_11comp_targetILNS1_3genE3ELNS1_11target_archE908ELNS1_3gpuE7ELNS1_3repE0EEENS1_30default_config_static_selectorELNS0_4arch9wavefront6targetE1EEEvS14_ ; -- Begin function _ZN7rocprim17ROCPRIM_400000_NS6detail17trampoline_kernelINS0_14default_configENS1_22reduce_config_selectorIN6thrust23THRUST_200600_302600_NS5tupleIblNS6_9null_typeES8_S8_S8_S8_S8_S8_S8_EEEEZNS1_11reduce_implILb1ES3_NS6_12zip_iteratorINS7_INS6_11hip_rocprim26transform_input_iterator_tIbNSD_35transform_pair_of_input_iterators_tIbNS6_6detail15normal_iteratorINS6_10device_ptrIKxEEEESL_NS6_8equal_toIxEEEENSG_9not_fun_tINSD_8identityEEEEENSD_19counting_iterator_tIlEES8_S8_S8_S8_S8_S8_S8_S8_EEEEPS9_S9_NSD_9__find_if7functorIS9_EEEE10hipError_tPvRmT1_T2_T3_mT4_P12ihipStream_tbEUlT_E1_NS1_11comp_targetILNS1_3genE3ELNS1_11target_archE908ELNS1_3gpuE7ELNS1_3repE0EEENS1_30default_config_static_selectorELNS0_4arch9wavefront6targetE1EEEvS14_
	.globl	_ZN7rocprim17ROCPRIM_400000_NS6detail17trampoline_kernelINS0_14default_configENS1_22reduce_config_selectorIN6thrust23THRUST_200600_302600_NS5tupleIblNS6_9null_typeES8_S8_S8_S8_S8_S8_S8_EEEEZNS1_11reduce_implILb1ES3_NS6_12zip_iteratorINS7_INS6_11hip_rocprim26transform_input_iterator_tIbNSD_35transform_pair_of_input_iterators_tIbNS6_6detail15normal_iteratorINS6_10device_ptrIKxEEEESL_NS6_8equal_toIxEEEENSG_9not_fun_tINSD_8identityEEEEENSD_19counting_iterator_tIlEES8_S8_S8_S8_S8_S8_S8_S8_EEEEPS9_S9_NSD_9__find_if7functorIS9_EEEE10hipError_tPvRmT1_T2_T3_mT4_P12ihipStream_tbEUlT_E1_NS1_11comp_targetILNS1_3genE3ELNS1_11target_archE908ELNS1_3gpuE7ELNS1_3repE0EEENS1_30default_config_static_selectorELNS0_4arch9wavefront6targetE1EEEvS14_
	.p2align	8
	.type	_ZN7rocprim17ROCPRIM_400000_NS6detail17trampoline_kernelINS0_14default_configENS1_22reduce_config_selectorIN6thrust23THRUST_200600_302600_NS5tupleIblNS6_9null_typeES8_S8_S8_S8_S8_S8_S8_EEEEZNS1_11reduce_implILb1ES3_NS6_12zip_iteratorINS7_INS6_11hip_rocprim26transform_input_iterator_tIbNSD_35transform_pair_of_input_iterators_tIbNS6_6detail15normal_iteratorINS6_10device_ptrIKxEEEESL_NS6_8equal_toIxEEEENSG_9not_fun_tINSD_8identityEEEEENSD_19counting_iterator_tIlEES8_S8_S8_S8_S8_S8_S8_S8_EEEEPS9_S9_NSD_9__find_if7functorIS9_EEEE10hipError_tPvRmT1_T2_T3_mT4_P12ihipStream_tbEUlT_E1_NS1_11comp_targetILNS1_3genE3ELNS1_11target_archE908ELNS1_3gpuE7ELNS1_3repE0EEENS1_30default_config_static_selectorELNS0_4arch9wavefront6targetE1EEEvS14_,@function
_ZN7rocprim17ROCPRIM_400000_NS6detail17trampoline_kernelINS0_14default_configENS1_22reduce_config_selectorIN6thrust23THRUST_200600_302600_NS5tupleIblNS6_9null_typeES8_S8_S8_S8_S8_S8_S8_EEEEZNS1_11reduce_implILb1ES3_NS6_12zip_iteratorINS7_INS6_11hip_rocprim26transform_input_iterator_tIbNSD_35transform_pair_of_input_iterators_tIbNS6_6detail15normal_iteratorINS6_10device_ptrIKxEEEESL_NS6_8equal_toIxEEEENSG_9not_fun_tINSD_8identityEEEEENSD_19counting_iterator_tIlEES8_S8_S8_S8_S8_S8_S8_S8_EEEEPS9_S9_NSD_9__find_if7functorIS9_EEEE10hipError_tPvRmT1_T2_T3_mT4_P12ihipStream_tbEUlT_E1_NS1_11comp_targetILNS1_3genE3ELNS1_11target_archE908ELNS1_3gpuE7ELNS1_3repE0EEENS1_30default_config_static_selectorELNS0_4arch9wavefront6targetE1EEEvS14_: ; @_ZN7rocprim17ROCPRIM_400000_NS6detail17trampoline_kernelINS0_14default_configENS1_22reduce_config_selectorIN6thrust23THRUST_200600_302600_NS5tupleIblNS6_9null_typeES8_S8_S8_S8_S8_S8_S8_EEEEZNS1_11reduce_implILb1ES3_NS6_12zip_iteratorINS7_INS6_11hip_rocprim26transform_input_iterator_tIbNSD_35transform_pair_of_input_iterators_tIbNS6_6detail15normal_iteratorINS6_10device_ptrIKxEEEESL_NS6_8equal_toIxEEEENSG_9not_fun_tINSD_8identityEEEEENSD_19counting_iterator_tIlEES8_S8_S8_S8_S8_S8_S8_S8_EEEEPS9_S9_NSD_9__find_if7functorIS9_EEEE10hipError_tPvRmT1_T2_T3_mT4_P12ihipStream_tbEUlT_E1_NS1_11comp_targetILNS1_3genE3ELNS1_11target_archE908ELNS1_3gpuE7ELNS1_3repE0EEENS1_30default_config_static_selectorELNS0_4arch9wavefront6targetE1EEEvS14_
; %bb.0:
	.section	.rodata,"a",@progbits
	.p2align	6, 0x0
	.amdhsa_kernel _ZN7rocprim17ROCPRIM_400000_NS6detail17trampoline_kernelINS0_14default_configENS1_22reduce_config_selectorIN6thrust23THRUST_200600_302600_NS5tupleIblNS6_9null_typeES8_S8_S8_S8_S8_S8_S8_EEEEZNS1_11reduce_implILb1ES3_NS6_12zip_iteratorINS7_INS6_11hip_rocprim26transform_input_iterator_tIbNSD_35transform_pair_of_input_iterators_tIbNS6_6detail15normal_iteratorINS6_10device_ptrIKxEEEESL_NS6_8equal_toIxEEEENSG_9not_fun_tINSD_8identityEEEEENSD_19counting_iterator_tIlEES8_S8_S8_S8_S8_S8_S8_S8_EEEEPS9_S9_NSD_9__find_if7functorIS9_EEEE10hipError_tPvRmT1_T2_T3_mT4_P12ihipStream_tbEUlT_E1_NS1_11comp_targetILNS1_3genE3ELNS1_11target_archE908ELNS1_3gpuE7ELNS1_3repE0EEENS1_30default_config_static_selectorELNS0_4arch9wavefront6targetE1EEEvS14_
		.amdhsa_group_segment_fixed_size 0
		.amdhsa_private_segment_fixed_size 0
		.amdhsa_kernarg_size 88
		.amdhsa_user_sgpr_count 2
		.amdhsa_user_sgpr_dispatch_ptr 0
		.amdhsa_user_sgpr_queue_ptr 0
		.amdhsa_user_sgpr_kernarg_segment_ptr 1
		.amdhsa_user_sgpr_dispatch_id 0
		.amdhsa_user_sgpr_kernarg_preload_length 0
		.amdhsa_user_sgpr_kernarg_preload_offset 0
		.amdhsa_user_sgpr_private_segment_size 0
		.amdhsa_uses_dynamic_stack 0
		.amdhsa_enable_private_segment 0
		.amdhsa_system_sgpr_workgroup_id_x 1
		.amdhsa_system_sgpr_workgroup_id_y 0
		.amdhsa_system_sgpr_workgroup_id_z 0
		.amdhsa_system_sgpr_workgroup_info 0
		.amdhsa_system_vgpr_workitem_id 0
		.amdhsa_next_free_vgpr 1
		.amdhsa_next_free_sgpr 0
		.amdhsa_accum_offset 4
		.amdhsa_reserve_vcc 0
		.amdhsa_float_round_mode_32 0
		.amdhsa_float_round_mode_16_64 0
		.amdhsa_float_denorm_mode_32 3
		.amdhsa_float_denorm_mode_16_64 3
		.amdhsa_dx10_clamp 1
		.amdhsa_ieee_mode 1
		.amdhsa_fp16_overflow 0
		.amdhsa_tg_split 0
		.amdhsa_exception_fp_ieee_invalid_op 0
		.amdhsa_exception_fp_denorm_src 0
		.amdhsa_exception_fp_ieee_div_zero 0
		.amdhsa_exception_fp_ieee_overflow 0
		.amdhsa_exception_fp_ieee_underflow 0
		.amdhsa_exception_fp_ieee_inexact 0
		.amdhsa_exception_int_div_zero 0
	.end_amdhsa_kernel
	.section	.text._ZN7rocprim17ROCPRIM_400000_NS6detail17trampoline_kernelINS0_14default_configENS1_22reduce_config_selectorIN6thrust23THRUST_200600_302600_NS5tupleIblNS6_9null_typeES8_S8_S8_S8_S8_S8_S8_EEEEZNS1_11reduce_implILb1ES3_NS6_12zip_iteratorINS7_INS6_11hip_rocprim26transform_input_iterator_tIbNSD_35transform_pair_of_input_iterators_tIbNS6_6detail15normal_iteratorINS6_10device_ptrIKxEEEESL_NS6_8equal_toIxEEEENSG_9not_fun_tINSD_8identityEEEEENSD_19counting_iterator_tIlEES8_S8_S8_S8_S8_S8_S8_S8_EEEEPS9_S9_NSD_9__find_if7functorIS9_EEEE10hipError_tPvRmT1_T2_T3_mT4_P12ihipStream_tbEUlT_E1_NS1_11comp_targetILNS1_3genE3ELNS1_11target_archE908ELNS1_3gpuE7ELNS1_3repE0EEENS1_30default_config_static_selectorELNS0_4arch9wavefront6targetE1EEEvS14_,"axG",@progbits,_ZN7rocprim17ROCPRIM_400000_NS6detail17trampoline_kernelINS0_14default_configENS1_22reduce_config_selectorIN6thrust23THRUST_200600_302600_NS5tupleIblNS6_9null_typeES8_S8_S8_S8_S8_S8_S8_EEEEZNS1_11reduce_implILb1ES3_NS6_12zip_iteratorINS7_INS6_11hip_rocprim26transform_input_iterator_tIbNSD_35transform_pair_of_input_iterators_tIbNS6_6detail15normal_iteratorINS6_10device_ptrIKxEEEESL_NS6_8equal_toIxEEEENSG_9not_fun_tINSD_8identityEEEEENSD_19counting_iterator_tIlEES8_S8_S8_S8_S8_S8_S8_S8_EEEEPS9_S9_NSD_9__find_if7functorIS9_EEEE10hipError_tPvRmT1_T2_T3_mT4_P12ihipStream_tbEUlT_E1_NS1_11comp_targetILNS1_3genE3ELNS1_11target_archE908ELNS1_3gpuE7ELNS1_3repE0EEENS1_30default_config_static_selectorELNS0_4arch9wavefront6targetE1EEEvS14_,comdat
.Lfunc_end1263:
	.size	_ZN7rocprim17ROCPRIM_400000_NS6detail17trampoline_kernelINS0_14default_configENS1_22reduce_config_selectorIN6thrust23THRUST_200600_302600_NS5tupleIblNS6_9null_typeES8_S8_S8_S8_S8_S8_S8_EEEEZNS1_11reduce_implILb1ES3_NS6_12zip_iteratorINS7_INS6_11hip_rocprim26transform_input_iterator_tIbNSD_35transform_pair_of_input_iterators_tIbNS6_6detail15normal_iteratorINS6_10device_ptrIKxEEEESL_NS6_8equal_toIxEEEENSG_9not_fun_tINSD_8identityEEEEENSD_19counting_iterator_tIlEES8_S8_S8_S8_S8_S8_S8_S8_EEEEPS9_S9_NSD_9__find_if7functorIS9_EEEE10hipError_tPvRmT1_T2_T3_mT4_P12ihipStream_tbEUlT_E1_NS1_11comp_targetILNS1_3genE3ELNS1_11target_archE908ELNS1_3gpuE7ELNS1_3repE0EEENS1_30default_config_static_selectorELNS0_4arch9wavefront6targetE1EEEvS14_, .Lfunc_end1263-_ZN7rocprim17ROCPRIM_400000_NS6detail17trampoline_kernelINS0_14default_configENS1_22reduce_config_selectorIN6thrust23THRUST_200600_302600_NS5tupleIblNS6_9null_typeES8_S8_S8_S8_S8_S8_S8_EEEEZNS1_11reduce_implILb1ES3_NS6_12zip_iteratorINS7_INS6_11hip_rocprim26transform_input_iterator_tIbNSD_35transform_pair_of_input_iterators_tIbNS6_6detail15normal_iteratorINS6_10device_ptrIKxEEEESL_NS6_8equal_toIxEEEENSG_9not_fun_tINSD_8identityEEEEENSD_19counting_iterator_tIlEES8_S8_S8_S8_S8_S8_S8_S8_EEEEPS9_S9_NSD_9__find_if7functorIS9_EEEE10hipError_tPvRmT1_T2_T3_mT4_P12ihipStream_tbEUlT_E1_NS1_11comp_targetILNS1_3genE3ELNS1_11target_archE908ELNS1_3gpuE7ELNS1_3repE0EEENS1_30default_config_static_selectorELNS0_4arch9wavefront6targetE1EEEvS14_
                                        ; -- End function
	.set _ZN7rocprim17ROCPRIM_400000_NS6detail17trampoline_kernelINS0_14default_configENS1_22reduce_config_selectorIN6thrust23THRUST_200600_302600_NS5tupleIblNS6_9null_typeES8_S8_S8_S8_S8_S8_S8_EEEEZNS1_11reduce_implILb1ES3_NS6_12zip_iteratorINS7_INS6_11hip_rocprim26transform_input_iterator_tIbNSD_35transform_pair_of_input_iterators_tIbNS6_6detail15normal_iteratorINS6_10device_ptrIKxEEEESL_NS6_8equal_toIxEEEENSG_9not_fun_tINSD_8identityEEEEENSD_19counting_iterator_tIlEES8_S8_S8_S8_S8_S8_S8_S8_EEEEPS9_S9_NSD_9__find_if7functorIS9_EEEE10hipError_tPvRmT1_T2_T3_mT4_P12ihipStream_tbEUlT_E1_NS1_11comp_targetILNS1_3genE3ELNS1_11target_archE908ELNS1_3gpuE7ELNS1_3repE0EEENS1_30default_config_static_selectorELNS0_4arch9wavefront6targetE1EEEvS14_.num_vgpr, 0
	.set _ZN7rocprim17ROCPRIM_400000_NS6detail17trampoline_kernelINS0_14default_configENS1_22reduce_config_selectorIN6thrust23THRUST_200600_302600_NS5tupleIblNS6_9null_typeES8_S8_S8_S8_S8_S8_S8_EEEEZNS1_11reduce_implILb1ES3_NS6_12zip_iteratorINS7_INS6_11hip_rocprim26transform_input_iterator_tIbNSD_35transform_pair_of_input_iterators_tIbNS6_6detail15normal_iteratorINS6_10device_ptrIKxEEEESL_NS6_8equal_toIxEEEENSG_9not_fun_tINSD_8identityEEEEENSD_19counting_iterator_tIlEES8_S8_S8_S8_S8_S8_S8_S8_EEEEPS9_S9_NSD_9__find_if7functorIS9_EEEE10hipError_tPvRmT1_T2_T3_mT4_P12ihipStream_tbEUlT_E1_NS1_11comp_targetILNS1_3genE3ELNS1_11target_archE908ELNS1_3gpuE7ELNS1_3repE0EEENS1_30default_config_static_selectorELNS0_4arch9wavefront6targetE1EEEvS14_.num_agpr, 0
	.set _ZN7rocprim17ROCPRIM_400000_NS6detail17trampoline_kernelINS0_14default_configENS1_22reduce_config_selectorIN6thrust23THRUST_200600_302600_NS5tupleIblNS6_9null_typeES8_S8_S8_S8_S8_S8_S8_EEEEZNS1_11reduce_implILb1ES3_NS6_12zip_iteratorINS7_INS6_11hip_rocprim26transform_input_iterator_tIbNSD_35transform_pair_of_input_iterators_tIbNS6_6detail15normal_iteratorINS6_10device_ptrIKxEEEESL_NS6_8equal_toIxEEEENSG_9not_fun_tINSD_8identityEEEEENSD_19counting_iterator_tIlEES8_S8_S8_S8_S8_S8_S8_S8_EEEEPS9_S9_NSD_9__find_if7functorIS9_EEEE10hipError_tPvRmT1_T2_T3_mT4_P12ihipStream_tbEUlT_E1_NS1_11comp_targetILNS1_3genE3ELNS1_11target_archE908ELNS1_3gpuE7ELNS1_3repE0EEENS1_30default_config_static_selectorELNS0_4arch9wavefront6targetE1EEEvS14_.numbered_sgpr, 0
	.set _ZN7rocprim17ROCPRIM_400000_NS6detail17trampoline_kernelINS0_14default_configENS1_22reduce_config_selectorIN6thrust23THRUST_200600_302600_NS5tupleIblNS6_9null_typeES8_S8_S8_S8_S8_S8_S8_EEEEZNS1_11reduce_implILb1ES3_NS6_12zip_iteratorINS7_INS6_11hip_rocprim26transform_input_iterator_tIbNSD_35transform_pair_of_input_iterators_tIbNS6_6detail15normal_iteratorINS6_10device_ptrIKxEEEESL_NS6_8equal_toIxEEEENSG_9not_fun_tINSD_8identityEEEEENSD_19counting_iterator_tIlEES8_S8_S8_S8_S8_S8_S8_S8_EEEEPS9_S9_NSD_9__find_if7functorIS9_EEEE10hipError_tPvRmT1_T2_T3_mT4_P12ihipStream_tbEUlT_E1_NS1_11comp_targetILNS1_3genE3ELNS1_11target_archE908ELNS1_3gpuE7ELNS1_3repE0EEENS1_30default_config_static_selectorELNS0_4arch9wavefront6targetE1EEEvS14_.num_named_barrier, 0
	.set _ZN7rocprim17ROCPRIM_400000_NS6detail17trampoline_kernelINS0_14default_configENS1_22reduce_config_selectorIN6thrust23THRUST_200600_302600_NS5tupleIblNS6_9null_typeES8_S8_S8_S8_S8_S8_S8_EEEEZNS1_11reduce_implILb1ES3_NS6_12zip_iteratorINS7_INS6_11hip_rocprim26transform_input_iterator_tIbNSD_35transform_pair_of_input_iterators_tIbNS6_6detail15normal_iteratorINS6_10device_ptrIKxEEEESL_NS6_8equal_toIxEEEENSG_9not_fun_tINSD_8identityEEEEENSD_19counting_iterator_tIlEES8_S8_S8_S8_S8_S8_S8_S8_EEEEPS9_S9_NSD_9__find_if7functorIS9_EEEE10hipError_tPvRmT1_T2_T3_mT4_P12ihipStream_tbEUlT_E1_NS1_11comp_targetILNS1_3genE3ELNS1_11target_archE908ELNS1_3gpuE7ELNS1_3repE0EEENS1_30default_config_static_selectorELNS0_4arch9wavefront6targetE1EEEvS14_.private_seg_size, 0
	.set _ZN7rocprim17ROCPRIM_400000_NS6detail17trampoline_kernelINS0_14default_configENS1_22reduce_config_selectorIN6thrust23THRUST_200600_302600_NS5tupleIblNS6_9null_typeES8_S8_S8_S8_S8_S8_S8_EEEEZNS1_11reduce_implILb1ES3_NS6_12zip_iteratorINS7_INS6_11hip_rocprim26transform_input_iterator_tIbNSD_35transform_pair_of_input_iterators_tIbNS6_6detail15normal_iteratorINS6_10device_ptrIKxEEEESL_NS6_8equal_toIxEEEENSG_9not_fun_tINSD_8identityEEEEENSD_19counting_iterator_tIlEES8_S8_S8_S8_S8_S8_S8_S8_EEEEPS9_S9_NSD_9__find_if7functorIS9_EEEE10hipError_tPvRmT1_T2_T3_mT4_P12ihipStream_tbEUlT_E1_NS1_11comp_targetILNS1_3genE3ELNS1_11target_archE908ELNS1_3gpuE7ELNS1_3repE0EEENS1_30default_config_static_selectorELNS0_4arch9wavefront6targetE1EEEvS14_.uses_vcc, 0
	.set _ZN7rocprim17ROCPRIM_400000_NS6detail17trampoline_kernelINS0_14default_configENS1_22reduce_config_selectorIN6thrust23THRUST_200600_302600_NS5tupleIblNS6_9null_typeES8_S8_S8_S8_S8_S8_S8_EEEEZNS1_11reduce_implILb1ES3_NS6_12zip_iteratorINS7_INS6_11hip_rocprim26transform_input_iterator_tIbNSD_35transform_pair_of_input_iterators_tIbNS6_6detail15normal_iteratorINS6_10device_ptrIKxEEEESL_NS6_8equal_toIxEEEENSG_9not_fun_tINSD_8identityEEEEENSD_19counting_iterator_tIlEES8_S8_S8_S8_S8_S8_S8_S8_EEEEPS9_S9_NSD_9__find_if7functorIS9_EEEE10hipError_tPvRmT1_T2_T3_mT4_P12ihipStream_tbEUlT_E1_NS1_11comp_targetILNS1_3genE3ELNS1_11target_archE908ELNS1_3gpuE7ELNS1_3repE0EEENS1_30default_config_static_selectorELNS0_4arch9wavefront6targetE1EEEvS14_.uses_flat_scratch, 0
	.set _ZN7rocprim17ROCPRIM_400000_NS6detail17trampoline_kernelINS0_14default_configENS1_22reduce_config_selectorIN6thrust23THRUST_200600_302600_NS5tupleIblNS6_9null_typeES8_S8_S8_S8_S8_S8_S8_EEEEZNS1_11reduce_implILb1ES3_NS6_12zip_iteratorINS7_INS6_11hip_rocprim26transform_input_iterator_tIbNSD_35transform_pair_of_input_iterators_tIbNS6_6detail15normal_iteratorINS6_10device_ptrIKxEEEESL_NS6_8equal_toIxEEEENSG_9not_fun_tINSD_8identityEEEEENSD_19counting_iterator_tIlEES8_S8_S8_S8_S8_S8_S8_S8_EEEEPS9_S9_NSD_9__find_if7functorIS9_EEEE10hipError_tPvRmT1_T2_T3_mT4_P12ihipStream_tbEUlT_E1_NS1_11comp_targetILNS1_3genE3ELNS1_11target_archE908ELNS1_3gpuE7ELNS1_3repE0EEENS1_30default_config_static_selectorELNS0_4arch9wavefront6targetE1EEEvS14_.has_dyn_sized_stack, 0
	.set _ZN7rocprim17ROCPRIM_400000_NS6detail17trampoline_kernelINS0_14default_configENS1_22reduce_config_selectorIN6thrust23THRUST_200600_302600_NS5tupleIblNS6_9null_typeES8_S8_S8_S8_S8_S8_S8_EEEEZNS1_11reduce_implILb1ES3_NS6_12zip_iteratorINS7_INS6_11hip_rocprim26transform_input_iterator_tIbNSD_35transform_pair_of_input_iterators_tIbNS6_6detail15normal_iteratorINS6_10device_ptrIKxEEEESL_NS6_8equal_toIxEEEENSG_9not_fun_tINSD_8identityEEEEENSD_19counting_iterator_tIlEES8_S8_S8_S8_S8_S8_S8_S8_EEEEPS9_S9_NSD_9__find_if7functorIS9_EEEE10hipError_tPvRmT1_T2_T3_mT4_P12ihipStream_tbEUlT_E1_NS1_11comp_targetILNS1_3genE3ELNS1_11target_archE908ELNS1_3gpuE7ELNS1_3repE0EEENS1_30default_config_static_selectorELNS0_4arch9wavefront6targetE1EEEvS14_.has_recursion, 0
	.set _ZN7rocprim17ROCPRIM_400000_NS6detail17trampoline_kernelINS0_14default_configENS1_22reduce_config_selectorIN6thrust23THRUST_200600_302600_NS5tupleIblNS6_9null_typeES8_S8_S8_S8_S8_S8_S8_EEEEZNS1_11reduce_implILb1ES3_NS6_12zip_iteratorINS7_INS6_11hip_rocprim26transform_input_iterator_tIbNSD_35transform_pair_of_input_iterators_tIbNS6_6detail15normal_iteratorINS6_10device_ptrIKxEEEESL_NS6_8equal_toIxEEEENSG_9not_fun_tINSD_8identityEEEEENSD_19counting_iterator_tIlEES8_S8_S8_S8_S8_S8_S8_S8_EEEEPS9_S9_NSD_9__find_if7functorIS9_EEEE10hipError_tPvRmT1_T2_T3_mT4_P12ihipStream_tbEUlT_E1_NS1_11comp_targetILNS1_3genE3ELNS1_11target_archE908ELNS1_3gpuE7ELNS1_3repE0EEENS1_30default_config_static_selectorELNS0_4arch9wavefront6targetE1EEEvS14_.has_indirect_call, 0
	.section	.AMDGPU.csdata,"",@progbits
; Kernel info:
; codeLenInByte = 0
; TotalNumSgprs: 6
; NumVgprs: 0
; NumAgprs: 0
; TotalNumVgprs: 0
; ScratchSize: 0
; MemoryBound: 0
; FloatMode: 240
; IeeeMode: 1
; LDSByteSize: 0 bytes/workgroup (compile time only)
; SGPRBlocks: 0
; VGPRBlocks: 0
; NumSGPRsForWavesPerEU: 6
; NumVGPRsForWavesPerEU: 1
; AccumOffset: 4
; Occupancy: 8
; WaveLimiterHint : 0
; COMPUTE_PGM_RSRC2:SCRATCH_EN: 0
; COMPUTE_PGM_RSRC2:USER_SGPR: 2
; COMPUTE_PGM_RSRC2:TRAP_HANDLER: 0
; COMPUTE_PGM_RSRC2:TGID_X_EN: 1
; COMPUTE_PGM_RSRC2:TGID_Y_EN: 0
; COMPUTE_PGM_RSRC2:TGID_Z_EN: 0
; COMPUTE_PGM_RSRC2:TIDIG_COMP_CNT: 0
; COMPUTE_PGM_RSRC3_GFX90A:ACCUM_OFFSET: 0
; COMPUTE_PGM_RSRC3_GFX90A:TG_SPLIT: 0
	.section	.text._ZN7rocprim17ROCPRIM_400000_NS6detail17trampoline_kernelINS0_14default_configENS1_22reduce_config_selectorIN6thrust23THRUST_200600_302600_NS5tupleIblNS6_9null_typeES8_S8_S8_S8_S8_S8_S8_EEEEZNS1_11reduce_implILb1ES3_NS6_12zip_iteratorINS7_INS6_11hip_rocprim26transform_input_iterator_tIbNSD_35transform_pair_of_input_iterators_tIbNS6_6detail15normal_iteratorINS6_10device_ptrIKxEEEESL_NS6_8equal_toIxEEEENSG_9not_fun_tINSD_8identityEEEEENSD_19counting_iterator_tIlEES8_S8_S8_S8_S8_S8_S8_S8_EEEEPS9_S9_NSD_9__find_if7functorIS9_EEEE10hipError_tPvRmT1_T2_T3_mT4_P12ihipStream_tbEUlT_E1_NS1_11comp_targetILNS1_3genE2ELNS1_11target_archE906ELNS1_3gpuE6ELNS1_3repE0EEENS1_30default_config_static_selectorELNS0_4arch9wavefront6targetE1EEEvS14_,"axG",@progbits,_ZN7rocprim17ROCPRIM_400000_NS6detail17trampoline_kernelINS0_14default_configENS1_22reduce_config_selectorIN6thrust23THRUST_200600_302600_NS5tupleIblNS6_9null_typeES8_S8_S8_S8_S8_S8_S8_EEEEZNS1_11reduce_implILb1ES3_NS6_12zip_iteratorINS7_INS6_11hip_rocprim26transform_input_iterator_tIbNSD_35transform_pair_of_input_iterators_tIbNS6_6detail15normal_iteratorINS6_10device_ptrIKxEEEESL_NS6_8equal_toIxEEEENSG_9not_fun_tINSD_8identityEEEEENSD_19counting_iterator_tIlEES8_S8_S8_S8_S8_S8_S8_S8_EEEEPS9_S9_NSD_9__find_if7functorIS9_EEEE10hipError_tPvRmT1_T2_T3_mT4_P12ihipStream_tbEUlT_E1_NS1_11comp_targetILNS1_3genE2ELNS1_11target_archE906ELNS1_3gpuE6ELNS1_3repE0EEENS1_30default_config_static_selectorELNS0_4arch9wavefront6targetE1EEEvS14_,comdat
	.protected	_ZN7rocprim17ROCPRIM_400000_NS6detail17trampoline_kernelINS0_14default_configENS1_22reduce_config_selectorIN6thrust23THRUST_200600_302600_NS5tupleIblNS6_9null_typeES8_S8_S8_S8_S8_S8_S8_EEEEZNS1_11reduce_implILb1ES3_NS6_12zip_iteratorINS7_INS6_11hip_rocprim26transform_input_iterator_tIbNSD_35transform_pair_of_input_iterators_tIbNS6_6detail15normal_iteratorINS6_10device_ptrIKxEEEESL_NS6_8equal_toIxEEEENSG_9not_fun_tINSD_8identityEEEEENSD_19counting_iterator_tIlEES8_S8_S8_S8_S8_S8_S8_S8_EEEEPS9_S9_NSD_9__find_if7functorIS9_EEEE10hipError_tPvRmT1_T2_T3_mT4_P12ihipStream_tbEUlT_E1_NS1_11comp_targetILNS1_3genE2ELNS1_11target_archE906ELNS1_3gpuE6ELNS1_3repE0EEENS1_30default_config_static_selectorELNS0_4arch9wavefront6targetE1EEEvS14_ ; -- Begin function _ZN7rocprim17ROCPRIM_400000_NS6detail17trampoline_kernelINS0_14default_configENS1_22reduce_config_selectorIN6thrust23THRUST_200600_302600_NS5tupleIblNS6_9null_typeES8_S8_S8_S8_S8_S8_S8_EEEEZNS1_11reduce_implILb1ES3_NS6_12zip_iteratorINS7_INS6_11hip_rocprim26transform_input_iterator_tIbNSD_35transform_pair_of_input_iterators_tIbNS6_6detail15normal_iteratorINS6_10device_ptrIKxEEEESL_NS6_8equal_toIxEEEENSG_9not_fun_tINSD_8identityEEEEENSD_19counting_iterator_tIlEES8_S8_S8_S8_S8_S8_S8_S8_EEEEPS9_S9_NSD_9__find_if7functorIS9_EEEE10hipError_tPvRmT1_T2_T3_mT4_P12ihipStream_tbEUlT_E1_NS1_11comp_targetILNS1_3genE2ELNS1_11target_archE906ELNS1_3gpuE6ELNS1_3repE0EEENS1_30default_config_static_selectorELNS0_4arch9wavefront6targetE1EEEvS14_
	.globl	_ZN7rocprim17ROCPRIM_400000_NS6detail17trampoline_kernelINS0_14default_configENS1_22reduce_config_selectorIN6thrust23THRUST_200600_302600_NS5tupleIblNS6_9null_typeES8_S8_S8_S8_S8_S8_S8_EEEEZNS1_11reduce_implILb1ES3_NS6_12zip_iteratorINS7_INS6_11hip_rocprim26transform_input_iterator_tIbNSD_35transform_pair_of_input_iterators_tIbNS6_6detail15normal_iteratorINS6_10device_ptrIKxEEEESL_NS6_8equal_toIxEEEENSG_9not_fun_tINSD_8identityEEEEENSD_19counting_iterator_tIlEES8_S8_S8_S8_S8_S8_S8_S8_EEEEPS9_S9_NSD_9__find_if7functorIS9_EEEE10hipError_tPvRmT1_T2_T3_mT4_P12ihipStream_tbEUlT_E1_NS1_11comp_targetILNS1_3genE2ELNS1_11target_archE906ELNS1_3gpuE6ELNS1_3repE0EEENS1_30default_config_static_selectorELNS0_4arch9wavefront6targetE1EEEvS14_
	.p2align	8
	.type	_ZN7rocprim17ROCPRIM_400000_NS6detail17trampoline_kernelINS0_14default_configENS1_22reduce_config_selectorIN6thrust23THRUST_200600_302600_NS5tupleIblNS6_9null_typeES8_S8_S8_S8_S8_S8_S8_EEEEZNS1_11reduce_implILb1ES3_NS6_12zip_iteratorINS7_INS6_11hip_rocprim26transform_input_iterator_tIbNSD_35transform_pair_of_input_iterators_tIbNS6_6detail15normal_iteratorINS6_10device_ptrIKxEEEESL_NS6_8equal_toIxEEEENSG_9not_fun_tINSD_8identityEEEEENSD_19counting_iterator_tIlEES8_S8_S8_S8_S8_S8_S8_S8_EEEEPS9_S9_NSD_9__find_if7functorIS9_EEEE10hipError_tPvRmT1_T2_T3_mT4_P12ihipStream_tbEUlT_E1_NS1_11comp_targetILNS1_3genE2ELNS1_11target_archE906ELNS1_3gpuE6ELNS1_3repE0EEENS1_30default_config_static_selectorELNS0_4arch9wavefront6targetE1EEEvS14_,@function
_ZN7rocprim17ROCPRIM_400000_NS6detail17trampoline_kernelINS0_14default_configENS1_22reduce_config_selectorIN6thrust23THRUST_200600_302600_NS5tupleIblNS6_9null_typeES8_S8_S8_S8_S8_S8_S8_EEEEZNS1_11reduce_implILb1ES3_NS6_12zip_iteratorINS7_INS6_11hip_rocprim26transform_input_iterator_tIbNSD_35transform_pair_of_input_iterators_tIbNS6_6detail15normal_iteratorINS6_10device_ptrIKxEEEESL_NS6_8equal_toIxEEEENSG_9not_fun_tINSD_8identityEEEEENSD_19counting_iterator_tIlEES8_S8_S8_S8_S8_S8_S8_S8_EEEEPS9_S9_NSD_9__find_if7functorIS9_EEEE10hipError_tPvRmT1_T2_T3_mT4_P12ihipStream_tbEUlT_E1_NS1_11comp_targetILNS1_3genE2ELNS1_11target_archE906ELNS1_3gpuE6ELNS1_3repE0EEENS1_30default_config_static_selectorELNS0_4arch9wavefront6targetE1EEEvS14_: ; @_ZN7rocprim17ROCPRIM_400000_NS6detail17trampoline_kernelINS0_14default_configENS1_22reduce_config_selectorIN6thrust23THRUST_200600_302600_NS5tupleIblNS6_9null_typeES8_S8_S8_S8_S8_S8_S8_EEEEZNS1_11reduce_implILb1ES3_NS6_12zip_iteratorINS7_INS6_11hip_rocprim26transform_input_iterator_tIbNSD_35transform_pair_of_input_iterators_tIbNS6_6detail15normal_iteratorINS6_10device_ptrIKxEEEESL_NS6_8equal_toIxEEEENSG_9not_fun_tINSD_8identityEEEEENSD_19counting_iterator_tIlEES8_S8_S8_S8_S8_S8_S8_S8_EEEEPS9_S9_NSD_9__find_if7functorIS9_EEEE10hipError_tPvRmT1_T2_T3_mT4_P12ihipStream_tbEUlT_E1_NS1_11comp_targetILNS1_3genE2ELNS1_11target_archE906ELNS1_3gpuE6ELNS1_3repE0EEENS1_30default_config_static_selectorELNS0_4arch9wavefront6targetE1EEEvS14_
; %bb.0:
	.section	.rodata,"a",@progbits
	.p2align	6, 0x0
	.amdhsa_kernel _ZN7rocprim17ROCPRIM_400000_NS6detail17trampoline_kernelINS0_14default_configENS1_22reduce_config_selectorIN6thrust23THRUST_200600_302600_NS5tupleIblNS6_9null_typeES8_S8_S8_S8_S8_S8_S8_EEEEZNS1_11reduce_implILb1ES3_NS6_12zip_iteratorINS7_INS6_11hip_rocprim26transform_input_iterator_tIbNSD_35transform_pair_of_input_iterators_tIbNS6_6detail15normal_iteratorINS6_10device_ptrIKxEEEESL_NS6_8equal_toIxEEEENSG_9not_fun_tINSD_8identityEEEEENSD_19counting_iterator_tIlEES8_S8_S8_S8_S8_S8_S8_S8_EEEEPS9_S9_NSD_9__find_if7functorIS9_EEEE10hipError_tPvRmT1_T2_T3_mT4_P12ihipStream_tbEUlT_E1_NS1_11comp_targetILNS1_3genE2ELNS1_11target_archE906ELNS1_3gpuE6ELNS1_3repE0EEENS1_30default_config_static_selectorELNS0_4arch9wavefront6targetE1EEEvS14_
		.amdhsa_group_segment_fixed_size 0
		.amdhsa_private_segment_fixed_size 0
		.amdhsa_kernarg_size 88
		.amdhsa_user_sgpr_count 2
		.amdhsa_user_sgpr_dispatch_ptr 0
		.amdhsa_user_sgpr_queue_ptr 0
		.amdhsa_user_sgpr_kernarg_segment_ptr 1
		.amdhsa_user_sgpr_dispatch_id 0
		.amdhsa_user_sgpr_kernarg_preload_length 0
		.amdhsa_user_sgpr_kernarg_preload_offset 0
		.amdhsa_user_sgpr_private_segment_size 0
		.amdhsa_uses_dynamic_stack 0
		.amdhsa_enable_private_segment 0
		.amdhsa_system_sgpr_workgroup_id_x 1
		.amdhsa_system_sgpr_workgroup_id_y 0
		.amdhsa_system_sgpr_workgroup_id_z 0
		.amdhsa_system_sgpr_workgroup_info 0
		.amdhsa_system_vgpr_workitem_id 0
		.amdhsa_next_free_vgpr 1
		.amdhsa_next_free_sgpr 0
		.amdhsa_accum_offset 4
		.amdhsa_reserve_vcc 0
		.amdhsa_float_round_mode_32 0
		.amdhsa_float_round_mode_16_64 0
		.amdhsa_float_denorm_mode_32 3
		.amdhsa_float_denorm_mode_16_64 3
		.amdhsa_dx10_clamp 1
		.amdhsa_ieee_mode 1
		.amdhsa_fp16_overflow 0
		.amdhsa_tg_split 0
		.amdhsa_exception_fp_ieee_invalid_op 0
		.amdhsa_exception_fp_denorm_src 0
		.amdhsa_exception_fp_ieee_div_zero 0
		.amdhsa_exception_fp_ieee_overflow 0
		.amdhsa_exception_fp_ieee_underflow 0
		.amdhsa_exception_fp_ieee_inexact 0
		.amdhsa_exception_int_div_zero 0
	.end_amdhsa_kernel
	.section	.text._ZN7rocprim17ROCPRIM_400000_NS6detail17trampoline_kernelINS0_14default_configENS1_22reduce_config_selectorIN6thrust23THRUST_200600_302600_NS5tupleIblNS6_9null_typeES8_S8_S8_S8_S8_S8_S8_EEEEZNS1_11reduce_implILb1ES3_NS6_12zip_iteratorINS7_INS6_11hip_rocprim26transform_input_iterator_tIbNSD_35transform_pair_of_input_iterators_tIbNS6_6detail15normal_iteratorINS6_10device_ptrIKxEEEESL_NS6_8equal_toIxEEEENSG_9not_fun_tINSD_8identityEEEEENSD_19counting_iterator_tIlEES8_S8_S8_S8_S8_S8_S8_S8_EEEEPS9_S9_NSD_9__find_if7functorIS9_EEEE10hipError_tPvRmT1_T2_T3_mT4_P12ihipStream_tbEUlT_E1_NS1_11comp_targetILNS1_3genE2ELNS1_11target_archE906ELNS1_3gpuE6ELNS1_3repE0EEENS1_30default_config_static_selectorELNS0_4arch9wavefront6targetE1EEEvS14_,"axG",@progbits,_ZN7rocprim17ROCPRIM_400000_NS6detail17trampoline_kernelINS0_14default_configENS1_22reduce_config_selectorIN6thrust23THRUST_200600_302600_NS5tupleIblNS6_9null_typeES8_S8_S8_S8_S8_S8_S8_EEEEZNS1_11reduce_implILb1ES3_NS6_12zip_iteratorINS7_INS6_11hip_rocprim26transform_input_iterator_tIbNSD_35transform_pair_of_input_iterators_tIbNS6_6detail15normal_iteratorINS6_10device_ptrIKxEEEESL_NS6_8equal_toIxEEEENSG_9not_fun_tINSD_8identityEEEEENSD_19counting_iterator_tIlEES8_S8_S8_S8_S8_S8_S8_S8_EEEEPS9_S9_NSD_9__find_if7functorIS9_EEEE10hipError_tPvRmT1_T2_T3_mT4_P12ihipStream_tbEUlT_E1_NS1_11comp_targetILNS1_3genE2ELNS1_11target_archE906ELNS1_3gpuE6ELNS1_3repE0EEENS1_30default_config_static_selectorELNS0_4arch9wavefront6targetE1EEEvS14_,comdat
.Lfunc_end1264:
	.size	_ZN7rocprim17ROCPRIM_400000_NS6detail17trampoline_kernelINS0_14default_configENS1_22reduce_config_selectorIN6thrust23THRUST_200600_302600_NS5tupleIblNS6_9null_typeES8_S8_S8_S8_S8_S8_S8_EEEEZNS1_11reduce_implILb1ES3_NS6_12zip_iteratorINS7_INS6_11hip_rocprim26transform_input_iterator_tIbNSD_35transform_pair_of_input_iterators_tIbNS6_6detail15normal_iteratorINS6_10device_ptrIKxEEEESL_NS6_8equal_toIxEEEENSG_9not_fun_tINSD_8identityEEEEENSD_19counting_iterator_tIlEES8_S8_S8_S8_S8_S8_S8_S8_EEEEPS9_S9_NSD_9__find_if7functorIS9_EEEE10hipError_tPvRmT1_T2_T3_mT4_P12ihipStream_tbEUlT_E1_NS1_11comp_targetILNS1_3genE2ELNS1_11target_archE906ELNS1_3gpuE6ELNS1_3repE0EEENS1_30default_config_static_selectorELNS0_4arch9wavefront6targetE1EEEvS14_, .Lfunc_end1264-_ZN7rocprim17ROCPRIM_400000_NS6detail17trampoline_kernelINS0_14default_configENS1_22reduce_config_selectorIN6thrust23THRUST_200600_302600_NS5tupleIblNS6_9null_typeES8_S8_S8_S8_S8_S8_S8_EEEEZNS1_11reduce_implILb1ES3_NS6_12zip_iteratorINS7_INS6_11hip_rocprim26transform_input_iterator_tIbNSD_35transform_pair_of_input_iterators_tIbNS6_6detail15normal_iteratorINS6_10device_ptrIKxEEEESL_NS6_8equal_toIxEEEENSG_9not_fun_tINSD_8identityEEEEENSD_19counting_iterator_tIlEES8_S8_S8_S8_S8_S8_S8_S8_EEEEPS9_S9_NSD_9__find_if7functorIS9_EEEE10hipError_tPvRmT1_T2_T3_mT4_P12ihipStream_tbEUlT_E1_NS1_11comp_targetILNS1_3genE2ELNS1_11target_archE906ELNS1_3gpuE6ELNS1_3repE0EEENS1_30default_config_static_selectorELNS0_4arch9wavefront6targetE1EEEvS14_
                                        ; -- End function
	.set _ZN7rocprim17ROCPRIM_400000_NS6detail17trampoline_kernelINS0_14default_configENS1_22reduce_config_selectorIN6thrust23THRUST_200600_302600_NS5tupleIblNS6_9null_typeES8_S8_S8_S8_S8_S8_S8_EEEEZNS1_11reduce_implILb1ES3_NS6_12zip_iteratorINS7_INS6_11hip_rocprim26transform_input_iterator_tIbNSD_35transform_pair_of_input_iterators_tIbNS6_6detail15normal_iteratorINS6_10device_ptrIKxEEEESL_NS6_8equal_toIxEEEENSG_9not_fun_tINSD_8identityEEEEENSD_19counting_iterator_tIlEES8_S8_S8_S8_S8_S8_S8_S8_EEEEPS9_S9_NSD_9__find_if7functorIS9_EEEE10hipError_tPvRmT1_T2_T3_mT4_P12ihipStream_tbEUlT_E1_NS1_11comp_targetILNS1_3genE2ELNS1_11target_archE906ELNS1_3gpuE6ELNS1_3repE0EEENS1_30default_config_static_selectorELNS0_4arch9wavefront6targetE1EEEvS14_.num_vgpr, 0
	.set _ZN7rocprim17ROCPRIM_400000_NS6detail17trampoline_kernelINS0_14default_configENS1_22reduce_config_selectorIN6thrust23THRUST_200600_302600_NS5tupleIblNS6_9null_typeES8_S8_S8_S8_S8_S8_S8_EEEEZNS1_11reduce_implILb1ES3_NS6_12zip_iteratorINS7_INS6_11hip_rocprim26transform_input_iterator_tIbNSD_35transform_pair_of_input_iterators_tIbNS6_6detail15normal_iteratorINS6_10device_ptrIKxEEEESL_NS6_8equal_toIxEEEENSG_9not_fun_tINSD_8identityEEEEENSD_19counting_iterator_tIlEES8_S8_S8_S8_S8_S8_S8_S8_EEEEPS9_S9_NSD_9__find_if7functorIS9_EEEE10hipError_tPvRmT1_T2_T3_mT4_P12ihipStream_tbEUlT_E1_NS1_11comp_targetILNS1_3genE2ELNS1_11target_archE906ELNS1_3gpuE6ELNS1_3repE0EEENS1_30default_config_static_selectorELNS0_4arch9wavefront6targetE1EEEvS14_.num_agpr, 0
	.set _ZN7rocprim17ROCPRIM_400000_NS6detail17trampoline_kernelINS0_14default_configENS1_22reduce_config_selectorIN6thrust23THRUST_200600_302600_NS5tupleIblNS6_9null_typeES8_S8_S8_S8_S8_S8_S8_EEEEZNS1_11reduce_implILb1ES3_NS6_12zip_iteratorINS7_INS6_11hip_rocprim26transform_input_iterator_tIbNSD_35transform_pair_of_input_iterators_tIbNS6_6detail15normal_iteratorINS6_10device_ptrIKxEEEESL_NS6_8equal_toIxEEEENSG_9not_fun_tINSD_8identityEEEEENSD_19counting_iterator_tIlEES8_S8_S8_S8_S8_S8_S8_S8_EEEEPS9_S9_NSD_9__find_if7functorIS9_EEEE10hipError_tPvRmT1_T2_T3_mT4_P12ihipStream_tbEUlT_E1_NS1_11comp_targetILNS1_3genE2ELNS1_11target_archE906ELNS1_3gpuE6ELNS1_3repE0EEENS1_30default_config_static_selectorELNS0_4arch9wavefront6targetE1EEEvS14_.numbered_sgpr, 0
	.set _ZN7rocprim17ROCPRIM_400000_NS6detail17trampoline_kernelINS0_14default_configENS1_22reduce_config_selectorIN6thrust23THRUST_200600_302600_NS5tupleIblNS6_9null_typeES8_S8_S8_S8_S8_S8_S8_EEEEZNS1_11reduce_implILb1ES3_NS6_12zip_iteratorINS7_INS6_11hip_rocprim26transform_input_iterator_tIbNSD_35transform_pair_of_input_iterators_tIbNS6_6detail15normal_iteratorINS6_10device_ptrIKxEEEESL_NS6_8equal_toIxEEEENSG_9not_fun_tINSD_8identityEEEEENSD_19counting_iterator_tIlEES8_S8_S8_S8_S8_S8_S8_S8_EEEEPS9_S9_NSD_9__find_if7functorIS9_EEEE10hipError_tPvRmT1_T2_T3_mT4_P12ihipStream_tbEUlT_E1_NS1_11comp_targetILNS1_3genE2ELNS1_11target_archE906ELNS1_3gpuE6ELNS1_3repE0EEENS1_30default_config_static_selectorELNS0_4arch9wavefront6targetE1EEEvS14_.num_named_barrier, 0
	.set _ZN7rocprim17ROCPRIM_400000_NS6detail17trampoline_kernelINS0_14default_configENS1_22reduce_config_selectorIN6thrust23THRUST_200600_302600_NS5tupleIblNS6_9null_typeES8_S8_S8_S8_S8_S8_S8_EEEEZNS1_11reduce_implILb1ES3_NS6_12zip_iteratorINS7_INS6_11hip_rocprim26transform_input_iterator_tIbNSD_35transform_pair_of_input_iterators_tIbNS6_6detail15normal_iteratorINS6_10device_ptrIKxEEEESL_NS6_8equal_toIxEEEENSG_9not_fun_tINSD_8identityEEEEENSD_19counting_iterator_tIlEES8_S8_S8_S8_S8_S8_S8_S8_EEEEPS9_S9_NSD_9__find_if7functorIS9_EEEE10hipError_tPvRmT1_T2_T3_mT4_P12ihipStream_tbEUlT_E1_NS1_11comp_targetILNS1_3genE2ELNS1_11target_archE906ELNS1_3gpuE6ELNS1_3repE0EEENS1_30default_config_static_selectorELNS0_4arch9wavefront6targetE1EEEvS14_.private_seg_size, 0
	.set _ZN7rocprim17ROCPRIM_400000_NS6detail17trampoline_kernelINS0_14default_configENS1_22reduce_config_selectorIN6thrust23THRUST_200600_302600_NS5tupleIblNS6_9null_typeES8_S8_S8_S8_S8_S8_S8_EEEEZNS1_11reduce_implILb1ES3_NS6_12zip_iteratorINS7_INS6_11hip_rocprim26transform_input_iterator_tIbNSD_35transform_pair_of_input_iterators_tIbNS6_6detail15normal_iteratorINS6_10device_ptrIKxEEEESL_NS6_8equal_toIxEEEENSG_9not_fun_tINSD_8identityEEEEENSD_19counting_iterator_tIlEES8_S8_S8_S8_S8_S8_S8_S8_EEEEPS9_S9_NSD_9__find_if7functorIS9_EEEE10hipError_tPvRmT1_T2_T3_mT4_P12ihipStream_tbEUlT_E1_NS1_11comp_targetILNS1_3genE2ELNS1_11target_archE906ELNS1_3gpuE6ELNS1_3repE0EEENS1_30default_config_static_selectorELNS0_4arch9wavefront6targetE1EEEvS14_.uses_vcc, 0
	.set _ZN7rocprim17ROCPRIM_400000_NS6detail17trampoline_kernelINS0_14default_configENS1_22reduce_config_selectorIN6thrust23THRUST_200600_302600_NS5tupleIblNS6_9null_typeES8_S8_S8_S8_S8_S8_S8_EEEEZNS1_11reduce_implILb1ES3_NS6_12zip_iteratorINS7_INS6_11hip_rocprim26transform_input_iterator_tIbNSD_35transform_pair_of_input_iterators_tIbNS6_6detail15normal_iteratorINS6_10device_ptrIKxEEEESL_NS6_8equal_toIxEEEENSG_9not_fun_tINSD_8identityEEEEENSD_19counting_iterator_tIlEES8_S8_S8_S8_S8_S8_S8_S8_EEEEPS9_S9_NSD_9__find_if7functorIS9_EEEE10hipError_tPvRmT1_T2_T3_mT4_P12ihipStream_tbEUlT_E1_NS1_11comp_targetILNS1_3genE2ELNS1_11target_archE906ELNS1_3gpuE6ELNS1_3repE0EEENS1_30default_config_static_selectorELNS0_4arch9wavefront6targetE1EEEvS14_.uses_flat_scratch, 0
	.set _ZN7rocprim17ROCPRIM_400000_NS6detail17trampoline_kernelINS0_14default_configENS1_22reduce_config_selectorIN6thrust23THRUST_200600_302600_NS5tupleIblNS6_9null_typeES8_S8_S8_S8_S8_S8_S8_EEEEZNS1_11reduce_implILb1ES3_NS6_12zip_iteratorINS7_INS6_11hip_rocprim26transform_input_iterator_tIbNSD_35transform_pair_of_input_iterators_tIbNS6_6detail15normal_iteratorINS6_10device_ptrIKxEEEESL_NS6_8equal_toIxEEEENSG_9not_fun_tINSD_8identityEEEEENSD_19counting_iterator_tIlEES8_S8_S8_S8_S8_S8_S8_S8_EEEEPS9_S9_NSD_9__find_if7functorIS9_EEEE10hipError_tPvRmT1_T2_T3_mT4_P12ihipStream_tbEUlT_E1_NS1_11comp_targetILNS1_3genE2ELNS1_11target_archE906ELNS1_3gpuE6ELNS1_3repE0EEENS1_30default_config_static_selectorELNS0_4arch9wavefront6targetE1EEEvS14_.has_dyn_sized_stack, 0
	.set _ZN7rocprim17ROCPRIM_400000_NS6detail17trampoline_kernelINS0_14default_configENS1_22reduce_config_selectorIN6thrust23THRUST_200600_302600_NS5tupleIblNS6_9null_typeES8_S8_S8_S8_S8_S8_S8_EEEEZNS1_11reduce_implILb1ES3_NS6_12zip_iteratorINS7_INS6_11hip_rocprim26transform_input_iterator_tIbNSD_35transform_pair_of_input_iterators_tIbNS6_6detail15normal_iteratorINS6_10device_ptrIKxEEEESL_NS6_8equal_toIxEEEENSG_9not_fun_tINSD_8identityEEEEENSD_19counting_iterator_tIlEES8_S8_S8_S8_S8_S8_S8_S8_EEEEPS9_S9_NSD_9__find_if7functorIS9_EEEE10hipError_tPvRmT1_T2_T3_mT4_P12ihipStream_tbEUlT_E1_NS1_11comp_targetILNS1_3genE2ELNS1_11target_archE906ELNS1_3gpuE6ELNS1_3repE0EEENS1_30default_config_static_selectorELNS0_4arch9wavefront6targetE1EEEvS14_.has_recursion, 0
	.set _ZN7rocprim17ROCPRIM_400000_NS6detail17trampoline_kernelINS0_14default_configENS1_22reduce_config_selectorIN6thrust23THRUST_200600_302600_NS5tupleIblNS6_9null_typeES8_S8_S8_S8_S8_S8_S8_EEEEZNS1_11reduce_implILb1ES3_NS6_12zip_iteratorINS7_INS6_11hip_rocprim26transform_input_iterator_tIbNSD_35transform_pair_of_input_iterators_tIbNS6_6detail15normal_iteratorINS6_10device_ptrIKxEEEESL_NS6_8equal_toIxEEEENSG_9not_fun_tINSD_8identityEEEEENSD_19counting_iterator_tIlEES8_S8_S8_S8_S8_S8_S8_S8_EEEEPS9_S9_NSD_9__find_if7functorIS9_EEEE10hipError_tPvRmT1_T2_T3_mT4_P12ihipStream_tbEUlT_E1_NS1_11comp_targetILNS1_3genE2ELNS1_11target_archE906ELNS1_3gpuE6ELNS1_3repE0EEENS1_30default_config_static_selectorELNS0_4arch9wavefront6targetE1EEEvS14_.has_indirect_call, 0
	.section	.AMDGPU.csdata,"",@progbits
; Kernel info:
; codeLenInByte = 0
; TotalNumSgprs: 6
; NumVgprs: 0
; NumAgprs: 0
; TotalNumVgprs: 0
; ScratchSize: 0
; MemoryBound: 0
; FloatMode: 240
; IeeeMode: 1
; LDSByteSize: 0 bytes/workgroup (compile time only)
; SGPRBlocks: 0
; VGPRBlocks: 0
; NumSGPRsForWavesPerEU: 6
; NumVGPRsForWavesPerEU: 1
; AccumOffset: 4
; Occupancy: 8
; WaveLimiterHint : 0
; COMPUTE_PGM_RSRC2:SCRATCH_EN: 0
; COMPUTE_PGM_RSRC2:USER_SGPR: 2
; COMPUTE_PGM_RSRC2:TRAP_HANDLER: 0
; COMPUTE_PGM_RSRC2:TGID_X_EN: 1
; COMPUTE_PGM_RSRC2:TGID_Y_EN: 0
; COMPUTE_PGM_RSRC2:TGID_Z_EN: 0
; COMPUTE_PGM_RSRC2:TIDIG_COMP_CNT: 0
; COMPUTE_PGM_RSRC3_GFX90A:ACCUM_OFFSET: 0
; COMPUTE_PGM_RSRC3_GFX90A:TG_SPLIT: 0
	.section	.text._ZN7rocprim17ROCPRIM_400000_NS6detail17trampoline_kernelINS0_14default_configENS1_22reduce_config_selectorIN6thrust23THRUST_200600_302600_NS5tupleIblNS6_9null_typeES8_S8_S8_S8_S8_S8_S8_EEEEZNS1_11reduce_implILb1ES3_NS6_12zip_iteratorINS7_INS6_11hip_rocprim26transform_input_iterator_tIbNSD_35transform_pair_of_input_iterators_tIbNS6_6detail15normal_iteratorINS6_10device_ptrIKxEEEESL_NS6_8equal_toIxEEEENSG_9not_fun_tINSD_8identityEEEEENSD_19counting_iterator_tIlEES8_S8_S8_S8_S8_S8_S8_S8_EEEEPS9_S9_NSD_9__find_if7functorIS9_EEEE10hipError_tPvRmT1_T2_T3_mT4_P12ihipStream_tbEUlT_E1_NS1_11comp_targetILNS1_3genE10ELNS1_11target_archE1201ELNS1_3gpuE5ELNS1_3repE0EEENS1_30default_config_static_selectorELNS0_4arch9wavefront6targetE1EEEvS14_,"axG",@progbits,_ZN7rocprim17ROCPRIM_400000_NS6detail17trampoline_kernelINS0_14default_configENS1_22reduce_config_selectorIN6thrust23THRUST_200600_302600_NS5tupleIblNS6_9null_typeES8_S8_S8_S8_S8_S8_S8_EEEEZNS1_11reduce_implILb1ES3_NS6_12zip_iteratorINS7_INS6_11hip_rocprim26transform_input_iterator_tIbNSD_35transform_pair_of_input_iterators_tIbNS6_6detail15normal_iteratorINS6_10device_ptrIKxEEEESL_NS6_8equal_toIxEEEENSG_9not_fun_tINSD_8identityEEEEENSD_19counting_iterator_tIlEES8_S8_S8_S8_S8_S8_S8_S8_EEEEPS9_S9_NSD_9__find_if7functorIS9_EEEE10hipError_tPvRmT1_T2_T3_mT4_P12ihipStream_tbEUlT_E1_NS1_11comp_targetILNS1_3genE10ELNS1_11target_archE1201ELNS1_3gpuE5ELNS1_3repE0EEENS1_30default_config_static_selectorELNS0_4arch9wavefront6targetE1EEEvS14_,comdat
	.protected	_ZN7rocprim17ROCPRIM_400000_NS6detail17trampoline_kernelINS0_14default_configENS1_22reduce_config_selectorIN6thrust23THRUST_200600_302600_NS5tupleIblNS6_9null_typeES8_S8_S8_S8_S8_S8_S8_EEEEZNS1_11reduce_implILb1ES3_NS6_12zip_iteratorINS7_INS6_11hip_rocprim26transform_input_iterator_tIbNSD_35transform_pair_of_input_iterators_tIbNS6_6detail15normal_iteratorINS6_10device_ptrIKxEEEESL_NS6_8equal_toIxEEEENSG_9not_fun_tINSD_8identityEEEEENSD_19counting_iterator_tIlEES8_S8_S8_S8_S8_S8_S8_S8_EEEEPS9_S9_NSD_9__find_if7functorIS9_EEEE10hipError_tPvRmT1_T2_T3_mT4_P12ihipStream_tbEUlT_E1_NS1_11comp_targetILNS1_3genE10ELNS1_11target_archE1201ELNS1_3gpuE5ELNS1_3repE0EEENS1_30default_config_static_selectorELNS0_4arch9wavefront6targetE1EEEvS14_ ; -- Begin function _ZN7rocprim17ROCPRIM_400000_NS6detail17trampoline_kernelINS0_14default_configENS1_22reduce_config_selectorIN6thrust23THRUST_200600_302600_NS5tupleIblNS6_9null_typeES8_S8_S8_S8_S8_S8_S8_EEEEZNS1_11reduce_implILb1ES3_NS6_12zip_iteratorINS7_INS6_11hip_rocprim26transform_input_iterator_tIbNSD_35transform_pair_of_input_iterators_tIbNS6_6detail15normal_iteratorINS6_10device_ptrIKxEEEESL_NS6_8equal_toIxEEEENSG_9not_fun_tINSD_8identityEEEEENSD_19counting_iterator_tIlEES8_S8_S8_S8_S8_S8_S8_S8_EEEEPS9_S9_NSD_9__find_if7functorIS9_EEEE10hipError_tPvRmT1_T2_T3_mT4_P12ihipStream_tbEUlT_E1_NS1_11comp_targetILNS1_3genE10ELNS1_11target_archE1201ELNS1_3gpuE5ELNS1_3repE0EEENS1_30default_config_static_selectorELNS0_4arch9wavefront6targetE1EEEvS14_
	.globl	_ZN7rocprim17ROCPRIM_400000_NS6detail17trampoline_kernelINS0_14default_configENS1_22reduce_config_selectorIN6thrust23THRUST_200600_302600_NS5tupleIblNS6_9null_typeES8_S8_S8_S8_S8_S8_S8_EEEEZNS1_11reduce_implILb1ES3_NS6_12zip_iteratorINS7_INS6_11hip_rocprim26transform_input_iterator_tIbNSD_35transform_pair_of_input_iterators_tIbNS6_6detail15normal_iteratorINS6_10device_ptrIKxEEEESL_NS6_8equal_toIxEEEENSG_9not_fun_tINSD_8identityEEEEENSD_19counting_iterator_tIlEES8_S8_S8_S8_S8_S8_S8_S8_EEEEPS9_S9_NSD_9__find_if7functorIS9_EEEE10hipError_tPvRmT1_T2_T3_mT4_P12ihipStream_tbEUlT_E1_NS1_11comp_targetILNS1_3genE10ELNS1_11target_archE1201ELNS1_3gpuE5ELNS1_3repE0EEENS1_30default_config_static_selectorELNS0_4arch9wavefront6targetE1EEEvS14_
	.p2align	8
	.type	_ZN7rocprim17ROCPRIM_400000_NS6detail17trampoline_kernelINS0_14default_configENS1_22reduce_config_selectorIN6thrust23THRUST_200600_302600_NS5tupleIblNS6_9null_typeES8_S8_S8_S8_S8_S8_S8_EEEEZNS1_11reduce_implILb1ES3_NS6_12zip_iteratorINS7_INS6_11hip_rocprim26transform_input_iterator_tIbNSD_35transform_pair_of_input_iterators_tIbNS6_6detail15normal_iteratorINS6_10device_ptrIKxEEEESL_NS6_8equal_toIxEEEENSG_9not_fun_tINSD_8identityEEEEENSD_19counting_iterator_tIlEES8_S8_S8_S8_S8_S8_S8_S8_EEEEPS9_S9_NSD_9__find_if7functorIS9_EEEE10hipError_tPvRmT1_T2_T3_mT4_P12ihipStream_tbEUlT_E1_NS1_11comp_targetILNS1_3genE10ELNS1_11target_archE1201ELNS1_3gpuE5ELNS1_3repE0EEENS1_30default_config_static_selectorELNS0_4arch9wavefront6targetE1EEEvS14_,@function
_ZN7rocprim17ROCPRIM_400000_NS6detail17trampoline_kernelINS0_14default_configENS1_22reduce_config_selectorIN6thrust23THRUST_200600_302600_NS5tupleIblNS6_9null_typeES8_S8_S8_S8_S8_S8_S8_EEEEZNS1_11reduce_implILb1ES3_NS6_12zip_iteratorINS7_INS6_11hip_rocprim26transform_input_iterator_tIbNSD_35transform_pair_of_input_iterators_tIbNS6_6detail15normal_iteratorINS6_10device_ptrIKxEEEESL_NS6_8equal_toIxEEEENSG_9not_fun_tINSD_8identityEEEEENSD_19counting_iterator_tIlEES8_S8_S8_S8_S8_S8_S8_S8_EEEEPS9_S9_NSD_9__find_if7functorIS9_EEEE10hipError_tPvRmT1_T2_T3_mT4_P12ihipStream_tbEUlT_E1_NS1_11comp_targetILNS1_3genE10ELNS1_11target_archE1201ELNS1_3gpuE5ELNS1_3repE0EEENS1_30default_config_static_selectorELNS0_4arch9wavefront6targetE1EEEvS14_: ; @_ZN7rocprim17ROCPRIM_400000_NS6detail17trampoline_kernelINS0_14default_configENS1_22reduce_config_selectorIN6thrust23THRUST_200600_302600_NS5tupleIblNS6_9null_typeES8_S8_S8_S8_S8_S8_S8_EEEEZNS1_11reduce_implILb1ES3_NS6_12zip_iteratorINS7_INS6_11hip_rocprim26transform_input_iterator_tIbNSD_35transform_pair_of_input_iterators_tIbNS6_6detail15normal_iteratorINS6_10device_ptrIKxEEEESL_NS6_8equal_toIxEEEENSG_9not_fun_tINSD_8identityEEEEENSD_19counting_iterator_tIlEES8_S8_S8_S8_S8_S8_S8_S8_EEEEPS9_S9_NSD_9__find_if7functorIS9_EEEE10hipError_tPvRmT1_T2_T3_mT4_P12ihipStream_tbEUlT_E1_NS1_11comp_targetILNS1_3genE10ELNS1_11target_archE1201ELNS1_3gpuE5ELNS1_3repE0EEENS1_30default_config_static_selectorELNS0_4arch9wavefront6targetE1EEEvS14_
; %bb.0:
	.section	.rodata,"a",@progbits
	.p2align	6, 0x0
	.amdhsa_kernel _ZN7rocprim17ROCPRIM_400000_NS6detail17trampoline_kernelINS0_14default_configENS1_22reduce_config_selectorIN6thrust23THRUST_200600_302600_NS5tupleIblNS6_9null_typeES8_S8_S8_S8_S8_S8_S8_EEEEZNS1_11reduce_implILb1ES3_NS6_12zip_iteratorINS7_INS6_11hip_rocprim26transform_input_iterator_tIbNSD_35transform_pair_of_input_iterators_tIbNS6_6detail15normal_iteratorINS6_10device_ptrIKxEEEESL_NS6_8equal_toIxEEEENSG_9not_fun_tINSD_8identityEEEEENSD_19counting_iterator_tIlEES8_S8_S8_S8_S8_S8_S8_S8_EEEEPS9_S9_NSD_9__find_if7functorIS9_EEEE10hipError_tPvRmT1_T2_T3_mT4_P12ihipStream_tbEUlT_E1_NS1_11comp_targetILNS1_3genE10ELNS1_11target_archE1201ELNS1_3gpuE5ELNS1_3repE0EEENS1_30default_config_static_selectorELNS0_4arch9wavefront6targetE1EEEvS14_
		.amdhsa_group_segment_fixed_size 0
		.amdhsa_private_segment_fixed_size 0
		.amdhsa_kernarg_size 88
		.amdhsa_user_sgpr_count 2
		.amdhsa_user_sgpr_dispatch_ptr 0
		.amdhsa_user_sgpr_queue_ptr 0
		.amdhsa_user_sgpr_kernarg_segment_ptr 1
		.amdhsa_user_sgpr_dispatch_id 0
		.amdhsa_user_sgpr_kernarg_preload_length 0
		.amdhsa_user_sgpr_kernarg_preload_offset 0
		.amdhsa_user_sgpr_private_segment_size 0
		.amdhsa_uses_dynamic_stack 0
		.amdhsa_enable_private_segment 0
		.amdhsa_system_sgpr_workgroup_id_x 1
		.amdhsa_system_sgpr_workgroup_id_y 0
		.amdhsa_system_sgpr_workgroup_id_z 0
		.amdhsa_system_sgpr_workgroup_info 0
		.amdhsa_system_vgpr_workitem_id 0
		.amdhsa_next_free_vgpr 1
		.amdhsa_next_free_sgpr 0
		.amdhsa_accum_offset 4
		.amdhsa_reserve_vcc 0
		.amdhsa_float_round_mode_32 0
		.amdhsa_float_round_mode_16_64 0
		.amdhsa_float_denorm_mode_32 3
		.amdhsa_float_denorm_mode_16_64 3
		.amdhsa_dx10_clamp 1
		.amdhsa_ieee_mode 1
		.amdhsa_fp16_overflow 0
		.amdhsa_tg_split 0
		.amdhsa_exception_fp_ieee_invalid_op 0
		.amdhsa_exception_fp_denorm_src 0
		.amdhsa_exception_fp_ieee_div_zero 0
		.amdhsa_exception_fp_ieee_overflow 0
		.amdhsa_exception_fp_ieee_underflow 0
		.amdhsa_exception_fp_ieee_inexact 0
		.amdhsa_exception_int_div_zero 0
	.end_amdhsa_kernel
	.section	.text._ZN7rocprim17ROCPRIM_400000_NS6detail17trampoline_kernelINS0_14default_configENS1_22reduce_config_selectorIN6thrust23THRUST_200600_302600_NS5tupleIblNS6_9null_typeES8_S8_S8_S8_S8_S8_S8_EEEEZNS1_11reduce_implILb1ES3_NS6_12zip_iteratorINS7_INS6_11hip_rocprim26transform_input_iterator_tIbNSD_35transform_pair_of_input_iterators_tIbNS6_6detail15normal_iteratorINS6_10device_ptrIKxEEEESL_NS6_8equal_toIxEEEENSG_9not_fun_tINSD_8identityEEEEENSD_19counting_iterator_tIlEES8_S8_S8_S8_S8_S8_S8_S8_EEEEPS9_S9_NSD_9__find_if7functorIS9_EEEE10hipError_tPvRmT1_T2_T3_mT4_P12ihipStream_tbEUlT_E1_NS1_11comp_targetILNS1_3genE10ELNS1_11target_archE1201ELNS1_3gpuE5ELNS1_3repE0EEENS1_30default_config_static_selectorELNS0_4arch9wavefront6targetE1EEEvS14_,"axG",@progbits,_ZN7rocprim17ROCPRIM_400000_NS6detail17trampoline_kernelINS0_14default_configENS1_22reduce_config_selectorIN6thrust23THRUST_200600_302600_NS5tupleIblNS6_9null_typeES8_S8_S8_S8_S8_S8_S8_EEEEZNS1_11reduce_implILb1ES3_NS6_12zip_iteratorINS7_INS6_11hip_rocprim26transform_input_iterator_tIbNSD_35transform_pair_of_input_iterators_tIbNS6_6detail15normal_iteratorINS6_10device_ptrIKxEEEESL_NS6_8equal_toIxEEEENSG_9not_fun_tINSD_8identityEEEEENSD_19counting_iterator_tIlEES8_S8_S8_S8_S8_S8_S8_S8_EEEEPS9_S9_NSD_9__find_if7functorIS9_EEEE10hipError_tPvRmT1_T2_T3_mT4_P12ihipStream_tbEUlT_E1_NS1_11comp_targetILNS1_3genE10ELNS1_11target_archE1201ELNS1_3gpuE5ELNS1_3repE0EEENS1_30default_config_static_selectorELNS0_4arch9wavefront6targetE1EEEvS14_,comdat
.Lfunc_end1265:
	.size	_ZN7rocprim17ROCPRIM_400000_NS6detail17trampoline_kernelINS0_14default_configENS1_22reduce_config_selectorIN6thrust23THRUST_200600_302600_NS5tupleIblNS6_9null_typeES8_S8_S8_S8_S8_S8_S8_EEEEZNS1_11reduce_implILb1ES3_NS6_12zip_iteratorINS7_INS6_11hip_rocprim26transform_input_iterator_tIbNSD_35transform_pair_of_input_iterators_tIbNS6_6detail15normal_iteratorINS6_10device_ptrIKxEEEESL_NS6_8equal_toIxEEEENSG_9not_fun_tINSD_8identityEEEEENSD_19counting_iterator_tIlEES8_S8_S8_S8_S8_S8_S8_S8_EEEEPS9_S9_NSD_9__find_if7functorIS9_EEEE10hipError_tPvRmT1_T2_T3_mT4_P12ihipStream_tbEUlT_E1_NS1_11comp_targetILNS1_3genE10ELNS1_11target_archE1201ELNS1_3gpuE5ELNS1_3repE0EEENS1_30default_config_static_selectorELNS0_4arch9wavefront6targetE1EEEvS14_, .Lfunc_end1265-_ZN7rocprim17ROCPRIM_400000_NS6detail17trampoline_kernelINS0_14default_configENS1_22reduce_config_selectorIN6thrust23THRUST_200600_302600_NS5tupleIblNS6_9null_typeES8_S8_S8_S8_S8_S8_S8_EEEEZNS1_11reduce_implILb1ES3_NS6_12zip_iteratorINS7_INS6_11hip_rocprim26transform_input_iterator_tIbNSD_35transform_pair_of_input_iterators_tIbNS6_6detail15normal_iteratorINS6_10device_ptrIKxEEEESL_NS6_8equal_toIxEEEENSG_9not_fun_tINSD_8identityEEEEENSD_19counting_iterator_tIlEES8_S8_S8_S8_S8_S8_S8_S8_EEEEPS9_S9_NSD_9__find_if7functorIS9_EEEE10hipError_tPvRmT1_T2_T3_mT4_P12ihipStream_tbEUlT_E1_NS1_11comp_targetILNS1_3genE10ELNS1_11target_archE1201ELNS1_3gpuE5ELNS1_3repE0EEENS1_30default_config_static_selectorELNS0_4arch9wavefront6targetE1EEEvS14_
                                        ; -- End function
	.set _ZN7rocprim17ROCPRIM_400000_NS6detail17trampoline_kernelINS0_14default_configENS1_22reduce_config_selectorIN6thrust23THRUST_200600_302600_NS5tupleIblNS6_9null_typeES8_S8_S8_S8_S8_S8_S8_EEEEZNS1_11reduce_implILb1ES3_NS6_12zip_iteratorINS7_INS6_11hip_rocprim26transform_input_iterator_tIbNSD_35transform_pair_of_input_iterators_tIbNS6_6detail15normal_iteratorINS6_10device_ptrIKxEEEESL_NS6_8equal_toIxEEEENSG_9not_fun_tINSD_8identityEEEEENSD_19counting_iterator_tIlEES8_S8_S8_S8_S8_S8_S8_S8_EEEEPS9_S9_NSD_9__find_if7functorIS9_EEEE10hipError_tPvRmT1_T2_T3_mT4_P12ihipStream_tbEUlT_E1_NS1_11comp_targetILNS1_3genE10ELNS1_11target_archE1201ELNS1_3gpuE5ELNS1_3repE0EEENS1_30default_config_static_selectorELNS0_4arch9wavefront6targetE1EEEvS14_.num_vgpr, 0
	.set _ZN7rocprim17ROCPRIM_400000_NS6detail17trampoline_kernelINS0_14default_configENS1_22reduce_config_selectorIN6thrust23THRUST_200600_302600_NS5tupleIblNS6_9null_typeES8_S8_S8_S8_S8_S8_S8_EEEEZNS1_11reduce_implILb1ES3_NS6_12zip_iteratorINS7_INS6_11hip_rocprim26transform_input_iterator_tIbNSD_35transform_pair_of_input_iterators_tIbNS6_6detail15normal_iteratorINS6_10device_ptrIKxEEEESL_NS6_8equal_toIxEEEENSG_9not_fun_tINSD_8identityEEEEENSD_19counting_iterator_tIlEES8_S8_S8_S8_S8_S8_S8_S8_EEEEPS9_S9_NSD_9__find_if7functorIS9_EEEE10hipError_tPvRmT1_T2_T3_mT4_P12ihipStream_tbEUlT_E1_NS1_11comp_targetILNS1_3genE10ELNS1_11target_archE1201ELNS1_3gpuE5ELNS1_3repE0EEENS1_30default_config_static_selectorELNS0_4arch9wavefront6targetE1EEEvS14_.num_agpr, 0
	.set _ZN7rocprim17ROCPRIM_400000_NS6detail17trampoline_kernelINS0_14default_configENS1_22reduce_config_selectorIN6thrust23THRUST_200600_302600_NS5tupleIblNS6_9null_typeES8_S8_S8_S8_S8_S8_S8_EEEEZNS1_11reduce_implILb1ES3_NS6_12zip_iteratorINS7_INS6_11hip_rocprim26transform_input_iterator_tIbNSD_35transform_pair_of_input_iterators_tIbNS6_6detail15normal_iteratorINS6_10device_ptrIKxEEEESL_NS6_8equal_toIxEEEENSG_9not_fun_tINSD_8identityEEEEENSD_19counting_iterator_tIlEES8_S8_S8_S8_S8_S8_S8_S8_EEEEPS9_S9_NSD_9__find_if7functorIS9_EEEE10hipError_tPvRmT1_T2_T3_mT4_P12ihipStream_tbEUlT_E1_NS1_11comp_targetILNS1_3genE10ELNS1_11target_archE1201ELNS1_3gpuE5ELNS1_3repE0EEENS1_30default_config_static_selectorELNS0_4arch9wavefront6targetE1EEEvS14_.numbered_sgpr, 0
	.set _ZN7rocprim17ROCPRIM_400000_NS6detail17trampoline_kernelINS0_14default_configENS1_22reduce_config_selectorIN6thrust23THRUST_200600_302600_NS5tupleIblNS6_9null_typeES8_S8_S8_S8_S8_S8_S8_EEEEZNS1_11reduce_implILb1ES3_NS6_12zip_iteratorINS7_INS6_11hip_rocprim26transform_input_iterator_tIbNSD_35transform_pair_of_input_iterators_tIbNS6_6detail15normal_iteratorINS6_10device_ptrIKxEEEESL_NS6_8equal_toIxEEEENSG_9not_fun_tINSD_8identityEEEEENSD_19counting_iterator_tIlEES8_S8_S8_S8_S8_S8_S8_S8_EEEEPS9_S9_NSD_9__find_if7functorIS9_EEEE10hipError_tPvRmT1_T2_T3_mT4_P12ihipStream_tbEUlT_E1_NS1_11comp_targetILNS1_3genE10ELNS1_11target_archE1201ELNS1_3gpuE5ELNS1_3repE0EEENS1_30default_config_static_selectorELNS0_4arch9wavefront6targetE1EEEvS14_.num_named_barrier, 0
	.set _ZN7rocprim17ROCPRIM_400000_NS6detail17trampoline_kernelINS0_14default_configENS1_22reduce_config_selectorIN6thrust23THRUST_200600_302600_NS5tupleIblNS6_9null_typeES8_S8_S8_S8_S8_S8_S8_EEEEZNS1_11reduce_implILb1ES3_NS6_12zip_iteratorINS7_INS6_11hip_rocprim26transform_input_iterator_tIbNSD_35transform_pair_of_input_iterators_tIbNS6_6detail15normal_iteratorINS6_10device_ptrIKxEEEESL_NS6_8equal_toIxEEEENSG_9not_fun_tINSD_8identityEEEEENSD_19counting_iterator_tIlEES8_S8_S8_S8_S8_S8_S8_S8_EEEEPS9_S9_NSD_9__find_if7functorIS9_EEEE10hipError_tPvRmT1_T2_T3_mT4_P12ihipStream_tbEUlT_E1_NS1_11comp_targetILNS1_3genE10ELNS1_11target_archE1201ELNS1_3gpuE5ELNS1_3repE0EEENS1_30default_config_static_selectorELNS0_4arch9wavefront6targetE1EEEvS14_.private_seg_size, 0
	.set _ZN7rocprim17ROCPRIM_400000_NS6detail17trampoline_kernelINS0_14default_configENS1_22reduce_config_selectorIN6thrust23THRUST_200600_302600_NS5tupleIblNS6_9null_typeES8_S8_S8_S8_S8_S8_S8_EEEEZNS1_11reduce_implILb1ES3_NS6_12zip_iteratorINS7_INS6_11hip_rocprim26transform_input_iterator_tIbNSD_35transform_pair_of_input_iterators_tIbNS6_6detail15normal_iteratorINS6_10device_ptrIKxEEEESL_NS6_8equal_toIxEEEENSG_9not_fun_tINSD_8identityEEEEENSD_19counting_iterator_tIlEES8_S8_S8_S8_S8_S8_S8_S8_EEEEPS9_S9_NSD_9__find_if7functorIS9_EEEE10hipError_tPvRmT1_T2_T3_mT4_P12ihipStream_tbEUlT_E1_NS1_11comp_targetILNS1_3genE10ELNS1_11target_archE1201ELNS1_3gpuE5ELNS1_3repE0EEENS1_30default_config_static_selectorELNS0_4arch9wavefront6targetE1EEEvS14_.uses_vcc, 0
	.set _ZN7rocprim17ROCPRIM_400000_NS6detail17trampoline_kernelINS0_14default_configENS1_22reduce_config_selectorIN6thrust23THRUST_200600_302600_NS5tupleIblNS6_9null_typeES8_S8_S8_S8_S8_S8_S8_EEEEZNS1_11reduce_implILb1ES3_NS6_12zip_iteratorINS7_INS6_11hip_rocprim26transform_input_iterator_tIbNSD_35transform_pair_of_input_iterators_tIbNS6_6detail15normal_iteratorINS6_10device_ptrIKxEEEESL_NS6_8equal_toIxEEEENSG_9not_fun_tINSD_8identityEEEEENSD_19counting_iterator_tIlEES8_S8_S8_S8_S8_S8_S8_S8_EEEEPS9_S9_NSD_9__find_if7functorIS9_EEEE10hipError_tPvRmT1_T2_T3_mT4_P12ihipStream_tbEUlT_E1_NS1_11comp_targetILNS1_3genE10ELNS1_11target_archE1201ELNS1_3gpuE5ELNS1_3repE0EEENS1_30default_config_static_selectorELNS0_4arch9wavefront6targetE1EEEvS14_.uses_flat_scratch, 0
	.set _ZN7rocprim17ROCPRIM_400000_NS6detail17trampoline_kernelINS0_14default_configENS1_22reduce_config_selectorIN6thrust23THRUST_200600_302600_NS5tupleIblNS6_9null_typeES8_S8_S8_S8_S8_S8_S8_EEEEZNS1_11reduce_implILb1ES3_NS6_12zip_iteratorINS7_INS6_11hip_rocprim26transform_input_iterator_tIbNSD_35transform_pair_of_input_iterators_tIbNS6_6detail15normal_iteratorINS6_10device_ptrIKxEEEESL_NS6_8equal_toIxEEEENSG_9not_fun_tINSD_8identityEEEEENSD_19counting_iterator_tIlEES8_S8_S8_S8_S8_S8_S8_S8_EEEEPS9_S9_NSD_9__find_if7functorIS9_EEEE10hipError_tPvRmT1_T2_T3_mT4_P12ihipStream_tbEUlT_E1_NS1_11comp_targetILNS1_3genE10ELNS1_11target_archE1201ELNS1_3gpuE5ELNS1_3repE0EEENS1_30default_config_static_selectorELNS0_4arch9wavefront6targetE1EEEvS14_.has_dyn_sized_stack, 0
	.set _ZN7rocprim17ROCPRIM_400000_NS6detail17trampoline_kernelINS0_14default_configENS1_22reduce_config_selectorIN6thrust23THRUST_200600_302600_NS5tupleIblNS6_9null_typeES8_S8_S8_S8_S8_S8_S8_EEEEZNS1_11reduce_implILb1ES3_NS6_12zip_iteratorINS7_INS6_11hip_rocprim26transform_input_iterator_tIbNSD_35transform_pair_of_input_iterators_tIbNS6_6detail15normal_iteratorINS6_10device_ptrIKxEEEESL_NS6_8equal_toIxEEEENSG_9not_fun_tINSD_8identityEEEEENSD_19counting_iterator_tIlEES8_S8_S8_S8_S8_S8_S8_S8_EEEEPS9_S9_NSD_9__find_if7functorIS9_EEEE10hipError_tPvRmT1_T2_T3_mT4_P12ihipStream_tbEUlT_E1_NS1_11comp_targetILNS1_3genE10ELNS1_11target_archE1201ELNS1_3gpuE5ELNS1_3repE0EEENS1_30default_config_static_selectorELNS0_4arch9wavefront6targetE1EEEvS14_.has_recursion, 0
	.set _ZN7rocprim17ROCPRIM_400000_NS6detail17trampoline_kernelINS0_14default_configENS1_22reduce_config_selectorIN6thrust23THRUST_200600_302600_NS5tupleIblNS6_9null_typeES8_S8_S8_S8_S8_S8_S8_EEEEZNS1_11reduce_implILb1ES3_NS6_12zip_iteratorINS7_INS6_11hip_rocprim26transform_input_iterator_tIbNSD_35transform_pair_of_input_iterators_tIbNS6_6detail15normal_iteratorINS6_10device_ptrIKxEEEESL_NS6_8equal_toIxEEEENSG_9not_fun_tINSD_8identityEEEEENSD_19counting_iterator_tIlEES8_S8_S8_S8_S8_S8_S8_S8_EEEEPS9_S9_NSD_9__find_if7functorIS9_EEEE10hipError_tPvRmT1_T2_T3_mT4_P12ihipStream_tbEUlT_E1_NS1_11comp_targetILNS1_3genE10ELNS1_11target_archE1201ELNS1_3gpuE5ELNS1_3repE0EEENS1_30default_config_static_selectorELNS0_4arch9wavefront6targetE1EEEvS14_.has_indirect_call, 0
	.section	.AMDGPU.csdata,"",@progbits
; Kernel info:
; codeLenInByte = 0
; TotalNumSgprs: 6
; NumVgprs: 0
; NumAgprs: 0
; TotalNumVgprs: 0
; ScratchSize: 0
; MemoryBound: 0
; FloatMode: 240
; IeeeMode: 1
; LDSByteSize: 0 bytes/workgroup (compile time only)
; SGPRBlocks: 0
; VGPRBlocks: 0
; NumSGPRsForWavesPerEU: 6
; NumVGPRsForWavesPerEU: 1
; AccumOffset: 4
; Occupancy: 8
; WaveLimiterHint : 0
; COMPUTE_PGM_RSRC2:SCRATCH_EN: 0
; COMPUTE_PGM_RSRC2:USER_SGPR: 2
; COMPUTE_PGM_RSRC2:TRAP_HANDLER: 0
; COMPUTE_PGM_RSRC2:TGID_X_EN: 1
; COMPUTE_PGM_RSRC2:TGID_Y_EN: 0
; COMPUTE_PGM_RSRC2:TGID_Z_EN: 0
; COMPUTE_PGM_RSRC2:TIDIG_COMP_CNT: 0
; COMPUTE_PGM_RSRC3_GFX90A:ACCUM_OFFSET: 0
; COMPUTE_PGM_RSRC3_GFX90A:TG_SPLIT: 0
	.section	.text._ZN7rocprim17ROCPRIM_400000_NS6detail17trampoline_kernelINS0_14default_configENS1_22reduce_config_selectorIN6thrust23THRUST_200600_302600_NS5tupleIblNS6_9null_typeES8_S8_S8_S8_S8_S8_S8_EEEEZNS1_11reduce_implILb1ES3_NS6_12zip_iteratorINS7_INS6_11hip_rocprim26transform_input_iterator_tIbNSD_35transform_pair_of_input_iterators_tIbNS6_6detail15normal_iteratorINS6_10device_ptrIKxEEEESL_NS6_8equal_toIxEEEENSG_9not_fun_tINSD_8identityEEEEENSD_19counting_iterator_tIlEES8_S8_S8_S8_S8_S8_S8_S8_EEEEPS9_S9_NSD_9__find_if7functorIS9_EEEE10hipError_tPvRmT1_T2_T3_mT4_P12ihipStream_tbEUlT_E1_NS1_11comp_targetILNS1_3genE10ELNS1_11target_archE1200ELNS1_3gpuE4ELNS1_3repE0EEENS1_30default_config_static_selectorELNS0_4arch9wavefront6targetE1EEEvS14_,"axG",@progbits,_ZN7rocprim17ROCPRIM_400000_NS6detail17trampoline_kernelINS0_14default_configENS1_22reduce_config_selectorIN6thrust23THRUST_200600_302600_NS5tupleIblNS6_9null_typeES8_S8_S8_S8_S8_S8_S8_EEEEZNS1_11reduce_implILb1ES3_NS6_12zip_iteratorINS7_INS6_11hip_rocprim26transform_input_iterator_tIbNSD_35transform_pair_of_input_iterators_tIbNS6_6detail15normal_iteratorINS6_10device_ptrIKxEEEESL_NS6_8equal_toIxEEEENSG_9not_fun_tINSD_8identityEEEEENSD_19counting_iterator_tIlEES8_S8_S8_S8_S8_S8_S8_S8_EEEEPS9_S9_NSD_9__find_if7functorIS9_EEEE10hipError_tPvRmT1_T2_T3_mT4_P12ihipStream_tbEUlT_E1_NS1_11comp_targetILNS1_3genE10ELNS1_11target_archE1200ELNS1_3gpuE4ELNS1_3repE0EEENS1_30default_config_static_selectorELNS0_4arch9wavefront6targetE1EEEvS14_,comdat
	.protected	_ZN7rocprim17ROCPRIM_400000_NS6detail17trampoline_kernelINS0_14default_configENS1_22reduce_config_selectorIN6thrust23THRUST_200600_302600_NS5tupleIblNS6_9null_typeES8_S8_S8_S8_S8_S8_S8_EEEEZNS1_11reduce_implILb1ES3_NS6_12zip_iteratorINS7_INS6_11hip_rocprim26transform_input_iterator_tIbNSD_35transform_pair_of_input_iterators_tIbNS6_6detail15normal_iteratorINS6_10device_ptrIKxEEEESL_NS6_8equal_toIxEEEENSG_9not_fun_tINSD_8identityEEEEENSD_19counting_iterator_tIlEES8_S8_S8_S8_S8_S8_S8_S8_EEEEPS9_S9_NSD_9__find_if7functorIS9_EEEE10hipError_tPvRmT1_T2_T3_mT4_P12ihipStream_tbEUlT_E1_NS1_11comp_targetILNS1_3genE10ELNS1_11target_archE1200ELNS1_3gpuE4ELNS1_3repE0EEENS1_30default_config_static_selectorELNS0_4arch9wavefront6targetE1EEEvS14_ ; -- Begin function _ZN7rocprim17ROCPRIM_400000_NS6detail17trampoline_kernelINS0_14default_configENS1_22reduce_config_selectorIN6thrust23THRUST_200600_302600_NS5tupleIblNS6_9null_typeES8_S8_S8_S8_S8_S8_S8_EEEEZNS1_11reduce_implILb1ES3_NS6_12zip_iteratorINS7_INS6_11hip_rocprim26transform_input_iterator_tIbNSD_35transform_pair_of_input_iterators_tIbNS6_6detail15normal_iteratorINS6_10device_ptrIKxEEEESL_NS6_8equal_toIxEEEENSG_9not_fun_tINSD_8identityEEEEENSD_19counting_iterator_tIlEES8_S8_S8_S8_S8_S8_S8_S8_EEEEPS9_S9_NSD_9__find_if7functorIS9_EEEE10hipError_tPvRmT1_T2_T3_mT4_P12ihipStream_tbEUlT_E1_NS1_11comp_targetILNS1_3genE10ELNS1_11target_archE1200ELNS1_3gpuE4ELNS1_3repE0EEENS1_30default_config_static_selectorELNS0_4arch9wavefront6targetE1EEEvS14_
	.globl	_ZN7rocprim17ROCPRIM_400000_NS6detail17trampoline_kernelINS0_14default_configENS1_22reduce_config_selectorIN6thrust23THRUST_200600_302600_NS5tupleIblNS6_9null_typeES8_S8_S8_S8_S8_S8_S8_EEEEZNS1_11reduce_implILb1ES3_NS6_12zip_iteratorINS7_INS6_11hip_rocprim26transform_input_iterator_tIbNSD_35transform_pair_of_input_iterators_tIbNS6_6detail15normal_iteratorINS6_10device_ptrIKxEEEESL_NS6_8equal_toIxEEEENSG_9not_fun_tINSD_8identityEEEEENSD_19counting_iterator_tIlEES8_S8_S8_S8_S8_S8_S8_S8_EEEEPS9_S9_NSD_9__find_if7functorIS9_EEEE10hipError_tPvRmT1_T2_T3_mT4_P12ihipStream_tbEUlT_E1_NS1_11comp_targetILNS1_3genE10ELNS1_11target_archE1200ELNS1_3gpuE4ELNS1_3repE0EEENS1_30default_config_static_selectorELNS0_4arch9wavefront6targetE1EEEvS14_
	.p2align	8
	.type	_ZN7rocprim17ROCPRIM_400000_NS6detail17trampoline_kernelINS0_14default_configENS1_22reduce_config_selectorIN6thrust23THRUST_200600_302600_NS5tupleIblNS6_9null_typeES8_S8_S8_S8_S8_S8_S8_EEEEZNS1_11reduce_implILb1ES3_NS6_12zip_iteratorINS7_INS6_11hip_rocprim26transform_input_iterator_tIbNSD_35transform_pair_of_input_iterators_tIbNS6_6detail15normal_iteratorINS6_10device_ptrIKxEEEESL_NS6_8equal_toIxEEEENSG_9not_fun_tINSD_8identityEEEEENSD_19counting_iterator_tIlEES8_S8_S8_S8_S8_S8_S8_S8_EEEEPS9_S9_NSD_9__find_if7functorIS9_EEEE10hipError_tPvRmT1_T2_T3_mT4_P12ihipStream_tbEUlT_E1_NS1_11comp_targetILNS1_3genE10ELNS1_11target_archE1200ELNS1_3gpuE4ELNS1_3repE0EEENS1_30default_config_static_selectorELNS0_4arch9wavefront6targetE1EEEvS14_,@function
_ZN7rocprim17ROCPRIM_400000_NS6detail17trampoline_kernelINS0_14default_configENS1_22reduce_config_selectorIN6thrust23THRUST_200600_302600_NS5tupleIblNS6_9null_typeES8_S8_S8_S8_S8_S8_S8_EEEEZNS1_11reduce_implILb1ES3_NS6_12zip_iteratorINS7_INS6_11hip_rocprim26transform_input_iterator_tIbNSD_35transform_pair_of_input_iterators_tIbNS6_6detail15normal_iteratorINS6_10device_ptrIKxEEEESL_NS6_8equal_toIxEEEENSG_9not_fun_tINSD_8identityEEEEENSD_19counting_iterator_tIlEES8_S8_S8_S8_S8_S8_S8_S8_EEEEPS9_S9_NSD_9__find_if7functorIS9_EEEE10hipError_tPvRmT1_T2_T3_mT4_P12ihipStream_tbEUlT_E1_NS1_11comp_targetILNS1_3genE10ELNS1_11target_archE1200ELNS1_3gpuE4ELNS1_3repE0EEENS1_30default_config_static_selectorELNS0_4arch9wavefront6targetE1EEEvS14_: ; @_ZN7rocprim17ROCPRIM_400000_NS6detail17trampoline_kernelINS0_14default_configENS1_22reduce_config_selectorIN6thrust23THRUST_200600_302600_NS5tupleIblNS6_9null_typeES8_S8_S8_S8_S8_S8_S8_EEEEZNS1_11reduce_implILb1ES3_NS6_12zip_iteratorINS7_INS6_11hip_rocprim26transform_input_iterator_tIbNSD_35transform_pair_of_input_iterators_tIbNS6_6detail15normal_iteratorINS6_10device_ptrIKxEEEESL_NS6_8equal_toIxEEEENSG_9not_fun_tINSD_8identityEEEEENSD_19counting_iterator_tIlEES8_S8_S8_S8_S8_S8_S8_S8_EEEEPS9_S9_NSD_9__find_if7functorIS9_EEEE10hipError_tPvRmT1_T2_T3_mT4_P12ihipStream_tbEUlT_E1_NS1_11comp_targetILNS1_3genE10ELNS1_11target_archE1200ELNS1_3gpuE4ELNS1_3repE0EEENS1_30default_config_static_selectorELNS0_4arch9wavefront6targetE1EEEvS14_
; %bb.0:
	.section	.rodata,"a",@progbits
	.p2align	6, 0x0
	.amdhsa_kernel _ZN7rocprim17ROCPRIM_400000_NS6detail17trampoline_kernelINS0_14default_configENS1_22reduce_config_selectorIN6thrust23THRUST_200600_302600_NS5tupleIblNS6_9null_typeES8_S8_S8_S8_S8_S8_S8_EEEEZNS1_11reduce_implILb1ES3_NS6_12zip_iteratorINS7_INS6_11hip_rocprim26transform_input_iterator_tIbNSD_35transform_pair_of_input_iterators_tIbNS6_6detail15normal_iteratorINS6_10device_ptrIKxEEEESL_NS6_8equal_toIxEEEENSG_9not_fun_tINSD_8identityEEEEENSD_19counting_iterator_tIlEES8_S8_S8_S8_S8_S8_S8_S8_EEEEPS9_S9_NSD_9__find_if7functorIS9_EEEE10hipError_tPvRmT1_T2_T3_mT4_P12ihipStream_tbEUlT_E1_NS1_11comp_targetILNS1_3genE10ELNS1_11target_archE1200ELNS1_3gpuE4ELNS1_3repE0EEENS1_30default_config_static_selectorELNS0_4arch9wavefront6targetE1EEEvS14_
		.amdhsa_group_segment_fixed_size 0
		.amdhsa_private_segment_fixed_size 0
		.amdhsa_kernarg_size 88
		.amdhsa_user_sgpr_count 2
		.amdhsa_user_sgpr_dispatch_ptr 0
		.amdhsa_user_sgpr_queue_ptr 0
		.amdhsa_user_sgpr_kernarg_segment_ptr 1
		.amdhsa_user_sgpr_dispatch_id 0
		.amdhsa_user_sgpr_kernarg_preload_length 0
		.amdhsa_user_sgpr_kernarg_preload_offset 0
		.amdhsa_user_sgpr_private_segment_size 0
		.amdhsa_uses_dynamic_stack 0
		.amdhsa_enable_private_segment 0
		.amdhsa_system_sgpr_workgroup_id_x 1
		.amdhsa_system_sgpr_workgroup_id_y 0
		.amdhsa_system_sgpr_workgroup_id_z 0
		.amdhsa_system_sgpr_workgroup_info 0
		.amdhsa_system_vgpr_workitem_id 0
		.amdhsa_next_free_vgpr 1
		.amdhsa_next_free_sgpr 0
		.amdhsa_accum_offset 4
		.amdhsa_reserve_vcc 0
		.amdhsa_float_round_mode_32 0
		.amdhsa_float_round_mode_16_64 0
		.amdhsa_float_denorm_mode_32 3
		.amdhsa_float_denorm_mode_16_64 3
		.amdhsa_dx10_clamp 1
		.amdhsa_ieee_mode 1
		.amdhsa_fp16_overflow 0
		.amdhsa_tg_split 0
		.amdhsa_exception_fp_ieee_invalid_op 0
		.amdhsa_exception_fp_denorm_src 0
		.amdhsa_exception_fp_ieee_div_zero 0
		.amdhsa_exception_fp_ieee_overflow 0
		.amdhsa_exception_fp_ieee_underflow 0
		.amdhsa_exception_fp_ieee_inexact 0
		.amdhsa_exception_int_div_zero 0
	.end_amdhsa_kernel
	.section	.text._ZN7rocprim17ROCPRIM_400000_NS6detail17trampoline_kernelINS0_14default_configENS1_22reduce_config_selectorIN6thrust23THRUST_200600_302600_NS5tupleIblNS6_9null_typeES8_S8_S8_S8_S8_S8_S8_EEEEZNS1_11reduce_implILb1ES3_NS6_12zip_iteratorINS7_INS6_11hip_rocprim26transform_input_iterator_tIbNSD_35transform_pair_of_input_iterators_tIbNS6_6detail15normal_iteratorINS6_10device_ptrIKxEEEESL_NS6_8equal_toIxEEEENSG_9not_fun_tINSD_8identityEEEEENSD_19counting_iterator_tIlEES8_S8_S8_S8_S8_S8_S8_S8_EEEEPS9_S9_NSD_9__find_if7functorIS9_EEEE10hipError_tPvRmT1_T2_T3_mT4_P12ihipStream_tbEUlT_E1_NS1_11comp_targetILNS1_3genE10ELNS1_11target_archE1200ELNS1_3gpuE4ELNS1_3repE0EEENS1_30default_config_static_selectorELNS0_4arch9wavefront6targetE1EEEvS14_,"axG",@progbits,_ZN7rocprim17ROCPRIM_400000_NS6detail17trampoline_kernelINS0_14default_configENS1_22reduce_config_selectorIN6thrust23THRUST_200600_302600_NS5tupleIblNS6_9null_typeES8_S8_S8_S8_S8_S8_S8_EEEEZNS1_11reduce_implILb1ES3_NS6_12zip_iteratorINS7_INS6_11hip_rocprim26transform_input_iterator_tIbNSD_35transform_pair_of_input_iterators_tIbNS6_6detail15normal_iteratorINS6_10device_ptrIKxEEEESL_NS6_8equal_toIxEEEENSG_9not_fun_tINSD_8identityEEEEENSD_19counting_iterator_tIlEES8_S8_S8_S8_S8_S8_S8_S8_EEEEPS9_S9_NSD_9__find_if7functorIS9_EEEE10hipError_tPvRmT1_T2_T3_mT4_P12ihipStream_tbEUlT_E1_NS1_11comp_targetILNS1_3genE10ELNS1_11target_archE1200ELNS1_3gpuE4ELNS1_3repE0EEENS1_30default_config_static_selectorELNS0_4arch9wavefront6targetE1EEEvS14_,comdat
.Lfunc_end1266:
	.size	_ZN7rocprim17ROCPRIM_400000_NS6detail17trampoline_kernelINS0_14default_configENS1_22reduce_config_selectorIN6thrust23THRUST_200600_302600_NS5tupleIblNS6_9null_typeES8_S8_S8_S8_S8_S8_S8_EEEEZNS1_11reduce_implILb1ES3_NS6_12zip_iteratorINS7_INS6_11hip_rocprim26transform_input_iterator_tIbNSD_35transform_pair_of_input_iterators_tIbNS6_6detail15normal_iteratorINS6_10device_ptrIKxEEEESL_NS6_8equal_toIxEEEENSG_9not_fun_tINSD_8identityEEEEENSD_19counting_iterator_tIlEES8_S8_S8_S8_S8_S8_S8_S8_EEEEPS9_S9_NSD_9__find_if7functorIS9_EEEE10hipError_tPvRmT1_T2_T3_mT4_P12ihipStream_tbEUlT_E1_NS1_11comp_targetILNS1_3genE10ELNS1_11target_archE1200ELNS1_3gpuE4ELNS1_3repE0EEENS1_30default_config_static_selectorELNS0_4arch9wavefront6targetE1EEEvS14_, .Lfunc_end1266-_ZN7rocprim17ROCPRIM_400000_NS6detail17trampoline_kernelINS0_14default_configENS1_22reduce_config_selectorIN6thrust23THRUST_200600_302600_NS5tupleIblNS6_9null_typeES8_S8_S8_S8_S8_S8_S8_EEEEZNS1_11reduce_implILb1ES3_NS6_12zip_iteratorINS7_INS6_11hip_rocprim26transform_input_iterator_tIbNSD_35transform_pair_of_input_iterators_tIbNS6_6detail15normal_iteratorINS6_10device_ptrIKxEEEESL_NS6_8equal_toIxEEEENSG_9not_fun_tINSD_8identityEEEEENSD_19counting_iterator_tIlEES8_S8_S8_S8_S8_S8_S8_S8_EEEEPS9_S9_NSD_9__find_if7functorIS9_EEEE10hipError_tPvRmT1_T2_T3_mT4_P12ihipStream_tbEUlT_E1_NS1_11comp_targetILNS1_3genE10ELNS1_11target_archE1200ELNS1_3gpuE4ELNS1_3repE0EEENS1_30default_config_static_selectorELNS0_4arch9wavefront6targetE1EEEvS14_
                                        ; -- End function
	.set _ZN7rocprim17ROCPRIM_400000_NS6detail17trampoline_kernelINS0_14default_configENS1_22reduce_config_selectorIN6thrust23THRUST_200600_302600_NS5tupleIblNS6_9null_typeES8_S8_S8_S8_S8_S8_S8_EEEEZNS1_11reduce_implILb1ES3_NS6_12zip_iteratorINS7_INS6_11hip_rocprim26transform_input_iterator_tIbNSD_35transform_pair_of_input_iterators_tIbNS6_6detail15normal_iteratorINS6_10device_ptrIKxEEEESL_NS6_8equal_toIxEEEENSG_9not_fun_tINSD_8identityEEEEENSD_19counting_iterator_tIlEES8_S8_S8_S8_S8_S8_S8_S8_EEEEPS9_S9_NSD_9__find_if7functorIS9_EEEE10hipError_tPvRmT1_T2_T3_mT4_P12ihipStream_tbEUlT_E1_NS1_11comp_targetILNS1_3genE10ELNS1_11target_archE1200ELNS1_3gpuE4ELNS1_3repE0EEENS1_30default_config_static_selectorELNS0_4arch9wavefront6targetE1EEEvS14_.num_vgpr, 0
	.set _ZN7rocprim17ROCPRIM_400000_NS6detail17trampoline_kernelINS0_14default_configENS1_22reduce_config_selectorIN6thrust23THRUST_200600_302600_NS5tupleIblNS6_9null_typeES8_S8_S8_S8_S8_S8_S8_EEEEZNS1_11reduce_implILb1ES3_NS6_12zip_iteratorINS7_INS6_11hip_rocprim26transform_input_iterator_tIbNSD_35transform_pair_of_input_iterators_tIbNS6_6detail15normal_iteratorINS6_10device_ptrIKxEEEESL_NS6_8equal_toIxEEEENSG_9not_fun_tINSD_8identityEEEEENSD_19counting_iterator_tIlEES8_S8_S8_S8_S8_S8_S8_S8_EEEEPS9_S9_NSD_9__find_if7functorIS9_EEEE10hipError_tPvRmT1_T2_T3_mT4_P12ihipStream_tbEUlT_E1_NS1_11comp_targetILNS1_3genE10ELNS1_11target_archE1200ELNS1_3gpuE4ELNS1_3repE0EEENS1_30default_config_static_selectorELNS0_4arch9wavefront6targetE1EEEvS14_.num_agpr, 0
	.set _ZN7rocprim17ROCPRIM_400000_NS6detail17trampoline_kernelINS0_14default_configENS1_22reduce_config_selectorIN6thrust23THRUST_200600_302600_NS5tupleIblNS6_9null_typeES8_S8_S8_S8_S8_S8_S8_EEEEZNS1_11reduce_implILb1ES3_NS6_12zip_iteratorINS7_INS6_11hip_rocprim26transform_input_iterator_tIbNSD_35transform_pair_of_input_iterators_tIbNS6_6detail15normal_iteratorINS6_10device_ptrIKxEEEESL_NS6_8equal_toIxEEEENSG_9not_fun_tINSD_8identityEEEEENSD_19counting_iterator_tIlEES8_S8_S8_S8_S8_S8_S8_S8_EEEEPS9_S9_NSD_9__find_if7functorIS9_EEEE10hipError_tPvRmT1_T2_T3_mT4_P12ihipStream_tbEUlT_E1_NS1_11comp_targetILNS1_3genE10ELNS1_11target_archE1200ELNS1_3gpuE4ELNS1_3repE0EEENS1_30default_config_static_selectorELNS0_4arch9wavefront6targetE1EEEvS14_.numbered_sgpr, 0
	.set _ZN7rocprim17ROCPRIM_400000_NS6detail17trampoline_kernelINS0_14default_configENS1_22reduce_config_selectorIN6thrust23THRUST_200600_302600_NS5tupleIblNS6_9null_typeES8_S8_S8_S8_S8_S8_S8_EEEEZNS1_11reduce_implILb1ES3_NS6_12zip_iteratorINS7_INS6_11hip_rocprim26transform_input_iterator_tIbNSD_35transform_pair_of_input_iterators_tIbNS6_6detail15normal_iteratorINS6_10device_ptrIKxEEEESL_NS6_8equal_toIxEEEENSG_9not_fun_tINSD_8identityEEEEENSD_19counting_iterator_tIlEES8_S8_S8_S8_S8_S8_S8_S8_EEEEPS9_S9_NSD_9__find_if7functorIS9_EEEE10hipError_tPvRmT1_T2_T3_mT4_P12ihipStream_tbEUlT_E1_NS1_11comp_targetILNS1_3genE10ELNS1_11target_archE1200ELNS1_3gpuE4ELNS1_3repE0EEENS1_30default_config_static_selectorELNS0_4arch9wavefront6targetE1EEEvS14_.num_named_barrier, 0
	.set _ZN7rocprim17ROCPRIM_400000_NS6detail17trampoline_kernelINS0_14default_configENS1_22reduce_config_selectorIN6thrust23THRUST_200600_302600_NS5tupleIblNS6_9null_typeES8_S8_S8_S8_S8_S8_S8_EEEEZNS1_11reduce_implILb1ES3_NS6_12zip_iteratorINS7_INS6_11hip_rocprim26transform_input_iterator_tIbNSD_35transform_pair_of_input_iterators_tIbNS6_6detail15normal_iteratorINS6_10device_ptrIKxEEEESL_NS6_8equal_toIxEEEENSG_9not_fun_tINSD_8identityEEEEENSD_19counting_iterator_tIlEES8_S8_S8_S8_S8_S8_S8_S8_EEEEPS9_S9_NSD_9__find_if7functorIS9_EEEE10hipError_tPvRmT1_T2_T3_mT4_P12ihipStream_tbEUlT_E1_NS1_11comp_targetILNS1_3genE10ELNS1_11target_archE1200ELNS1_3gpuE4ELNS1_3repE0EEENS1_30default_config_static_selectorELNS0_4arch9wavefront6targetE1EEEvS14_.private_seg_size, 0
	.set _ZN7rocprim17ROCPRIM_400000_NS6detail17trampoline_kernelINS0_14default_configENS1_22reduce_config_selectorIN6thrust23THRUST_200600_302600_NS5tupleIblNS6_9null_typeES8_S8_S8_S8_S8_S8_S8_EEEEZNS1_11reduce_implILb1ES3_NS6_12zip_iteratorINS7_INS6_11hip_rocprim26transform_input_iterator_tIbNSD_35transform_pair_of_input_iterators_tIbNS6_6detail15normal_iteratorINS6_10device_ptrIKxEEEESL_NS6_8equal_toIxEEEENSG_9not_fun_tINSD_8identityEEEEENSD_19counting_iterator_tIlEES8_S8_S8_S8_S8_S8_S8_S8_EEEEPS9_S9_NSD_9__find_if7functorIS9_EEEE10hipError_tPvRmT1_T2_T3_mT4_P12ihipStream_tbEUlT_E1_NS1_11comp_targetILNS1_3genE10ELNS1_11target_archE1200ELNS1_3gpuE4ELNS1_3repE0EEENS1_30default_config_static_selectorELNS0_4arch9wavefront6targetE1EEEvS14_.uses_vcc, 0
	.set _ZN7rocprim17ROCPRIM_400000_NS6detail17trampoline_kernelINS0_14default_configENS1_22reduce_config_selectorIN6thrust23THRUST_200600_302600_NS5tupleIblNS6_9null_typeES8_S8_S8_S8_S8_S8_S8_EEEEZNS1_11reduce_implILb1ES3_NS6_12zip_iteratorINS7_INS6_11hip_rocprim26transform_input_iterator_tIbNSD_35transform_pair_of_input_iterators_tIbNS6_6detail15normal_iteratorINS6_10device_ptrIKxEEEESL_NS6_8equal_toIxEEEENSG_9not_fun_tINSD_8identityEEEEENSD_19counting_iterator_tIlEES8_S8_S8_S8_S8_S8_S8_S8_EEEEPS9_S9_NSD_9__find_if7functorIS9_EEEE10hipError_tPvRmT1_T2_T3_mT4_P12ihipStream_tbEUlT_E1_NS1_11comp_targetILNS1_3genE10ELNS1_11target_archE1200ELNS1_3gpuE4ELNS1_3repE0EEENS1_30default_config_static_selectorELNS0_4arch9wavefront6targetE1EEEvS14_.uses_flat_scratch, 0
	.set _ZN7rocprim17ROCPRIM_400000_NS6detail17trampoline_kernelINS0_14default_configENS1_22reduce_config_selectorIN6thrust23THRUST_200600_302600_NS5tupleIblNS6_9null_typeES8_S8_S8_S8_S8_S8_S8_EEEEZNS1_11reduce_implILb1ES3_NS6_12zip_iteratorINS7_INS6_11hip_rocprim26transform_input_iterator_tIbNSD_35transform_pair_of_input_iterators_tIbNS6_6detail15normal_iteratorINS6_10device_ptrIKxEEEESL_NS6_8equal_toIxEEEENSG_9not_fun_tINSD_8identityEEEEENSD_19counting_iterator_tIlEES8_S8_S8_S8_S8_S8_S8_S8_EEEEPS9_S9_NSD_9__find_if7functorIS9_EEEE10hipError_tPvRmT1_T2_T3_mT4_P12ihipStream_tbEUlT_E1_NS1_11comp_targetILNS1_3genE10ELNS1_11target_archE1200ELNS1_3gpuE4ELNS1_3repE0EEENS1_30default_config_static_selectorELNS0_4arch9wavefront6targetE1EEEvS14_.has_dyn_sized_stack, 0
	.set _ZN7rocprim17ROCPRIM_400000_NS6detail17trampoline_kernelINS0_14default_configENS1_22reduce_config_selectorIN6thrust23THRUST_200600_302600_NS5tupleIblNS6_9null_typeES8_S8_S8_S8_S8_S8_S8_EEEEZNS1_11reduce_implILb1ES3_NS6_12zip_iteratorINS7_INS6_11hip_rocprim26transform_input_iterator_tIbNSD_35transform_pair_of_input_iterators_tIbNS6_6detail15normal_iteratorINS6_10device_ptrIKxEEEESL_NS6_8equal_toIxEEEENSG_9not_fun_tINSD_8identityEEEEENSD_19counting_iterator_tIlEES8_S8_S8_S8_S8_S8_S8_S8_EEEEPS9_S9_NSD_9__find_if7functorIS9_EEEE10hipError_tPvRmT1_T2_T3_mT4_P12ihipStream_tbEUlT_E1_NS1_11comp_targetILNS1_3genE10ELNS1_11target_archE1200ELNS1_3gpuE4ELNS1_3repE0EEENS1_30default_config_static_selectorELNS0_4arch9wavefront6targetE1EEEvS14_.has_recursion, 0
	.set _ZN7rocprim17ROCPRIM_400000_NS6detail17trampoline_kernelINS0_14default_configENS1_22reduce_config_selectorIN6thrust23THRUST_200600_302600_NS5tupleIblNS6_9null_typeES8_S8_S8_S8_S8_S8_S8_EEEEZNS1_11reduce_implILb1ES3_NS6_12zip_iteratorINS7_INS6_11hip_rocprim26transform_input_iterator_tIbNSD_35transform_pair_of_input_iterators_tIbNS6_6detail15normal_iteratorINS6_10device_ptrIKxEEEESL_NS6_8equal_toIxEEEENSG_9not_fun_tINSD_8identityEEEEENSD_19counting_iterator_tIlEES8_S8_S8_S8_S8_S8_S8_S8_EEEEPS9_S9_NSD_9__find_if7functorIS9_EEEE10hipError_tPvRmT1_T2_T3_mT4_P12ihipStream_tbEUlT_E1_NS1_11comp_targetILNS1_3genE10ELNS1_11target_archE1200ELNS1_3gpuE4ELNS1_3repE0EEENS1_30default_config_static_selectorELNS0_4arch9wavefront6targetE1EEEvS14_.has_indirect_call, 0
	.section	.AMDGPU.csdata,"",@progbits
; Kernel info:
; codeLenInByte = 0
; TotalNumSgprs: 6
; NumVgprs: 0
; NumAgprs: 0
; TotalNumVgprs: 0
; ScratchSize: 0
; MemoryBound: 0
; FloatMode: 240
; IeeeMode: 1
; LDSByteSize: 0 bytes/workgroup (compile time only)
; SGPRBlocks: 0
; VGPRBlocks: 0
; NumSGPRsForWavesPerEU: 6
; NumVGPRsForWavesPerEU: 1
; AccumOffset: 4
; Occupancy: 8
; WaveLimiterHint : 0
; COMPUTE_PGM_RSRC2:SCRATCH_EN: 0
; COMPUTE_PGM_RSRC2:USER_SGPR: 2
; COMPUTE_PGM_RSRC2:TRAP_HANDLER: 0
; COMPUTE_PGM_RSRC2:TGID_X_EN: 1
; COMPUTE_PGM_RSRC2:TGID_Y_EN: 0
; COMPUTE_PGM_RSRC2:TGID_Z_EN: 0
; COMPUTE_PGM_RSRC2:TIDIG_COMP_CNT: 0
; COMPUTE_PGM_RSRC3_GFX90A:ACCUM_OFFSET: 0
; COMPUTE_PGM_RSRC3_GFX90A:TG_SPLIT: 0
	.section	.text._ZN7rocprim17ROCPRIM_400000_NS6detail17trampoline_kernelINS0_14default_configENS1_22reduce_config_selectorIN6thrust23THRUST_200600_302600_NS5tupleIblNS6_9null_typeES8_S8_S8_S8_S8_S8_S8_EEEEZNS1_11reduce_implILb1ES3_NS6_12zip_iteratorINS7_INS6_11hip_rocprim26transform_input_iterator_tIbNSD_35transform_pair_of_input_iterators_tIbNS6_6detail15normal_iteratorINS6_10device_ptrIKxEEEESL_NS6_8equal_toIxEEEENSG_9not_fun_tINSD_8identityEEEEENSD_19counting_iterator_tIlEES8_S8_S8_S8_S8_S8_S8_S8_EEEEPS9_S9_NSD_9__find_if7functorIS9_EEEE10hipError_tPvRmT1_T2_T3_mT4_P12ihipStream_tbEUlT_E1_NS1_11comp_targetILNS1_3genE9ELNS1_11target_archE1100ELNS1_3gpuE3ELNS1_3repE0EEENS1_30default_config_static_selectorELNS0_4arch9wavefront6targetE1EEEvS14_,"axG",@progbits,_ZN7rocprim17ROCPRIM_400000_NS6detail17trampoline_kernelINS0_14default_configENS1_22reduce_config_selectorIN6thrust23THRUST_200600_302600_NS5tupleIblNS6_9null_typeES8_S8_S8_S8_S8_S8_S8_EEEEZNS1_11reduce_implILb1ES3_NS6_12zip_iteratorINS7_INS6_11hip_rocprim26transform_input_iterator_tIbNSD_35transform_pair_of_input_iterators_tIbNS6_6detail15normal_iteratorINS6_10device_ptrIKxEEEESL_NS6_8equal_toIxEEEENSG_9not_fun_tINSD_8identityEEEEENSD_19counting_iterator_tIlEES8_S8_S8_S8_S8_S8_S8_S8_EEEEPS9_S9_NSD_9__find_if7functorIS9_EEEE10hipError_tPvRmT1_T2_T3_mT4_P12ihipStream_tbEUlT_E1_NS1_11comp_targetILNS1_3genE9ELNS1_11target_archE1100ELNS1_3gpuE3ELNS1_3repE0EEENS1_30default_config_static_selectorELNS0_4arch9wavefront6targetE1EEEvS14_,comdat
	.protected	_ZN7rocprim17ROCPRIM_400000_NS6detail17trampoline_kernelINS0_14default_configENS1_22reduce_config_selectorIN6thrust23THRUST_200600_302600_NS5tupleIblNS6_9null_typeES8_S8_S8_S8_S8_S8_S8_EEEEZNS1_11reduce_implILb1ES3_NS6_12zip_iteratorINS7_INS6_11hip_rocprim26transform_input_iterator_tIbNSD_35transform_pair_of_input_iterators_tIbNS6_6detail15normal_iteratorINS6_10device_ptrIKxEEEESL_NS6_8equal_toIxEEEENSG_9not_fun_tINSD_8identityEEEEENSD_19counting_iterator_tIlEES8_S8_S8_S8_S8_S8_S8_S8_EEEEPS9_S9_NSD_9__find_if7functorIS9_EEEE10hipError_tPvRmT1_T2_T3_mT4_P12ihipStream_tbEUlT_E1_NS1_11comp_targetILNS1_3genE9ELNS1_11target_archE1100ELNS1_3gpuE3ELNS1_3repE0EEENS1_30default_config_static_selectorELNS0_4arch9wavefront6targetE1EEEvS14_ ; -- Begin function _ZN7rocprim17ROCPRIM_400000_NS6detail17trampoline_kernelINS0_14default_configENS1_22reduce_config_selectorIN6thrust23THRUST_200600_302600_NS5tupleIblNS6_9null_typeES8_S8_S8_S8_S8_S8_S8_EEEEZNS1_11reduce_implILb1ES3_NS6_12zip_iteratorINS7_INS6_11hip_rocprim26transform_input_iterator_tIbNSD_35transform_pair_of_input_iterators_tIbNS6_6detail15normal_iteratorINS6_10device_ptrIKxEEEESL_NS6_8equal_toIxEEEENSG_9not_fun_tINSD_8identityEEEEENSD_19counting_iterator_tIlEES8_S8_S8_S8_S8_S8_S8_S8_EEEEPS9_S9_NSD_9__find_if7functorIS9_EEEE10hipError_tPvRmT1_T2_T3_mT4_P12ihipStream_tbEUlT_E1_NS1_11comp_targetILNS1_3genE9ELNS1_11target_archE1100ELNS1_3gpuE3ELNS1_3repE0EEENS1_30default_config_static_selectorELNS0_4arch9wavefront6targetE1EEEvS14_
	.globl	_ZN7rocprim17ROCPRIM_400000_NS6detail17trampoline_kernelINS0_14default_configENS1_22reduce_config_selectorIN6thrust23THRUST_200600_302600_NS5tupleIblNS6_9null_typeES8_S8_S8_S8_S8_S8_S8_EEEEZNS1_11reduce_implILb1ES3_NS6_12zip_iteratorINS7_INS6_11hip_rocprim26transform_input_iterator_tIbNSD_35transform_pair_of_input_iterators_tIbNS6_6detail15normal_iteratorINS6_10device_ptrIKxEEEESL_NS6_8equal_toIxEEEENSG_9not_fun_tINSD_8identityEEEEENSD_19counting_iterator_tIlEES8_S8_S8_S8_S8_S8_S8_S8_EEEEPS9_S9_NSD_9__find_if7functorIS9_EEEE10hipError_tPvRmT1_T2_T3_mT4_P12ihipStream_tbEUlT_E1_NS1_11comp_targetILNS1_3genE9ELNS1_11target_archE1100ELNS1_3gpuE3ELNS1_3repE0EEENS1_30default_config_static_selectorELNS0_4arch9wavefront6targetE1EEEvS14_
	.p2align	8
	.type	_ZN7rocprim17ROCPRIM_400000_NS6detail17trampoline_kernelINS0_14default_configENS1_22reduce_config_selectorIN6thrust23THRUST_200600_302600_NS5tupleIblNS6_9null_typeES8_S8_S8_S8_S8_S8_S8_EEEEZNS1_11reduce_implILb1ES3_NS6_12zip_iteratorINS7_INS6_11hip_rocprim26transform_input_iterator_tIbNSD_35transform_pair_of_input_iterators_tIbNS6_6detail15normal_iteratorINS6_10device_ptrIKxEEEESL_NS6_8equal_toIxEEEENSG_9not_fun_tINSD_8identityEEEEENSD_19counting_iterator_tIlEES8_S8_S8_S8_S8_S8_S8_S8_EEEEPS9_S9_NSD_9__find_if7functorIS9_EEEE10hipError_tPvRmT1_T2_T3_mT4_P12ihipStream_tbEUlT_E1_NS1_11comp_targetILNS1_3genE9ELNS1_11target_archE1100ELNS1_3gpuE3ELNS1_3repE0EEENS1_30default_config_static_selectorELNS0_4arch9wavefront6targetE1EEEvS14_,@function
_ZN7rocprim17ROCPRIM_400000_NS6detail17trampoline_kernelINS0_14default_configENS1_22reduce_config_selectorIN6thrust23THRUST_200600_302600_NS5tupleIblNS6_9null_typeES8_S8_S8_S8_S8_S8_S8_EEEEZNS1_11reduce_implILb1ES3_NS6_12zip_iteratorINS7_INS6_11hip_rocprim26transform_input_iterator_tIbNSD_35transform_pair_of_input_iterators_tIbNS6_6detail15normal_iteratorINS6_10device_ptrIKxEEEESL_NS6_8equal_toIxEEEENSG_9not_fun_tINSD_8identityEEEEENSD_19counting_iterator_tIlEES8_S8_S8_S8_S8_S8_S8_S8_EEEEPS9_S9_NSD_9__find_if7functorIS9_EEEE10hipError_tPvRmT1_T2_T3_mT4_P12ihipStream_tbEUlT_E1_NS1_11comp_targetILNS1_3genE9ELNS1_11target_archE1100ELNS1_3gpuE3ELNS1_3repE0EEENS1_30default_config_static_selectorELNS0_4arch9wavefront6targetE1EEEvS14_: ; @_ZN7rocprim17ROCPRIM_400000_NS6detail17trampoline_kernelINS0_14default_configENS1_22reduce_config_selectorIN6thrust23THRUST_200600_302600_NS5tupleIblNS6_9null_typeES8_S8_S8_S8_S8_S8_S8_EEEEZNS1_11reduce_implILb1ES3_NS6_12zip_iteratorINS7_INS6_11hip_rocprim26transform_input_iterator_tIbNSD_35transform_pair_of_input_iterators_tIbNS6_6detail15normal_iteratorINS6_10device_ptrIKxEEEESL_NS6_8equal_toIxEEEENSG_9not_fun_tINSD_8identityEEEEENSD_19counting_iterator_tIlEES8_S8_S8_S8_S8_S8_S8_S8_EEEEPS9_S9_NSD_9__find_if7functorIS9_EEEE10hipError_tPvRmT1_T2_T3_mT4_P12ihipStream_tbEUlT_E1_NS1_11comp_targetILNS1_3genE9ELNS1_11target_archE1100ELNS1_3gpuE3ELNS1_3repE0EEENS1_30default_config_static_selectorELNS0_4arch9wavefront6targetE1EEEvS14_
; %bb.0:
	.section	.rodata,"a",@progbits
	.p2align	6, 0x0
	.amdhsa_kernel _ZN7rocprim17ROCPRIM_400000_NS6detail17trampoline_kernelINS0_14default_configENS1_22reduce_config_selectorIN6thrust23THRUST_200600_302600_NS5tupleIblNS6_9null_typeES8_S8_S8_S8_S8_S8_S8_EEEEZNS1_11reduce_implILb1ES3_NS6_12zip_iteratorINS7_INS6_11hip_rocprim26transform_input_iterator_tIbNSD_35transform_pair_of_input_iterators_tIbNS6_6detail15normal_iteratorINS6_10device_ptrIKxEEEESL_NS6_8equal_toIxEEEENSG_9not_fun_tINSD_8identityEEEEENSD_19counting_iterator_tIlEES8_S8_S8_S8_S8_S8_S8_S8_EEEEPS9_S9_NSD_9__find_if7functorIS9_EEEE10hipError_tPvRmT1_T2_T3_mT4_P12ihipStream_tbEUlT_E1_NS1_11comp_targetILNS1_3genE9ELNS1_11target_archE1100ELNS1_3gpuE3ELNS1_3repE0EEENS1_30default_config_static_selectorELNS0_4arch9wavefront6targetE1EEEvS14_
		.amdhsa_group_segment_fixed_size 0
		.amdhsa_private_segment_fixed_size 0
		.amdhsa_kernarg_size 88
		.amdhsa_user_sgpr_count 2
		.amdhsa_user_sgpr_dispatch_ptr 0
		.amdhsa_user_sgpr_queue_ptr 0
		.amdhsa_user_sgpr_kernarg_segment_ptr 1
		.amdhsa_user_sgpr_dispatch_id 0
		.amdhsa_user_sgpr_kernarg_preload_length 0
		.amdhsa_user_sgpr_kernarg_preload_offset 0
		.amdhsa_user_sgpr_private_segment_size 0
		.amdhsa_uses_dynamic_stack 0
		.amdhsa_enable_private_segment 0
		.amdhsa_system_sgpr_workgroup_id_x 1
		.amdhsa_system_sgpr_workgroup_id_y 0
		.amdhsa_system_sgpr_workgroup_id_z 0
		.amdhsa_system_sgpr_workgroup_info 0
		.amdhsa_system_vgpr_workitem_id 0
		.amdhsa_next_free_vgpr 1
		.amdhsa_next_free_sgpr 0
		.amdhsa_accum_offset 4
		.amdhsa_reserve_vcc 0
		.amdhsa_float_round_mode_32 0
		.amdhsa_float_round_mode_16_64 0
		.amdhsa_float_denorm_mode_32 3
		.amdhsa_float_denorm_mode_16_64 3
		.amdhsa_dx10_clamp 1
		.amdhsa_ieee_mode 1
		.amdhsa_fp16_overflow 0
		.amdhsa_tg_split 0
		.amdhsa_exception_fp_ieee_invalid_op 0
		.amdhsa_exception_fp_denorm_src 0
		.amdhsa_exception_fp_ieee_div_zero 0
		.amdhsa_exception_fp_ieee_overflow 0
		.amdhsa_exception_fp_ieee_underflow 0
		.amdhsa_exception_fp_ieee_inexact 0
		.amdhsa_exception_int_div_zero 0
	.end_amdhsa_kernel
	.section	.text._ZN7rocprim17ROCPRIM_400000_NS6detail17trampoline_kernelINS0_14default_configENS1_22reduce_config_selectorIN6thrust23THRUST_200600_302600_NS5tupleIblNS6_9null_typeES8_S8_S8_S8_S8_S8_S8_EEEEZNS1_11reduce_implILb1ES3_NS6_12zip_iteratorINS7_INS6_11hip_rocprim26transform_input_iterator_tIbNSD_35transform_pair_of_input_iterators_tIbNS6_6detail15normal_iteratorINS6_10device_ptrIKxEEEESL_NS6_8equal_toIxEEEENSG_9not_fun_tINSD_8identityEEEEENSD_19counting_iterator_tIlEES8_S8_S8_S8_S8_S8_S8_S8_EEEEPS9_S9_NSD_9__find_if7functorIS9_EEEE10hipError_tPvRmT1_T2_T3_mT4_P12ihipStream_tbEUlT_E1_NS1_11comp_targetILNS1_3genE9ELNS1_11target_archE1100ELNS1_3gpuE3ELNS1_3repE0EEENS1_30default_config_static_selectorELNS0_4arch9wavefront6targetE1EEEvS14_,"axG",@progbits,_ZN7rocprim17ROCPRIM_400000_NS6detail17trampoline_kernelINS0_14default_configENS1_22reduce_config_selectorIN6thrust23THRUST_200600_302600_NS5tupleIblNS6_9null_typeES8_S8_S8_S8_S8_S8_S8_EEEEZNS1_11reduce_implILb1ES3_NS6_12zip_iteratorINS7_INS6_11hip_rocprim26transform_input_iterator_tIbNSD_35transform_pair_of_input_iterators_tIbNS6_6detail15normal_iteratorINS6_10device_ptrIKxEEEESL_NS6_8equal_toIxEEEENSG_9not_fun_tINSD_8identityEEEEENSD_19counting_iterator_tIlEES8_S8_S8_S8_S8_S8_S8_S8_EEEEPS9_S9_NSD_9__find_if7functorIS9_EEEE10hipError_tPvRmT1_T2_T3_mT4_P12ihipStream_tbEUlT_E1_NS1_11comp_targetILNS1_3genE9ELNS1_11target_archE1100ELNS1_3gpuE3ELNS1_3repE0EEENS1_30default_config_static_selectorELNS0_4arch9wavefront6targetE1EEEvS14_,comdat
.Lfunc_end1267:
	.size	_ZN7rocprim17ROCPRIM_400000_NS6detail17trampoline_kernelINS0_14default_configENS1_22reduce_config_selectorIN6thrust23THRUST_200600_302600_NS5tupleIblNS6_9null_typeES8_S8_S8_S8_S8_S8_S8_EEEEZNS1_11reduce_implILb1ES3_NS6_12zip_iteratorINS7_INS6_11hip_rocprim26transform_input_iterator_tIbNSD_35transform_pair_of_input_iterators_tIbNS6_6detail15normal_iteratorINS6_10device_ptrIKxEEEESL_NS6_8equal_toIxEEEENSG_9not_fun_tINSD_8identityEEEEENSD_19counting_iterator_tIlEES8_S8_S8_S8_S8_S8_S8_S8_EEEEPS9_S9_NSD_9__find_if7functorIS9_EEEE10hipError_tPvRmT1_T2_T3_mT4_P12ihipStream_tbEUlT_E1_NS1_11comp_targetILNS1_3genE9ELNS1_11target_archE1100ELNS1_3gpuE3ELNS1_3repE0EEENS1_30default_config_static_selectorELNS0_4arch9wavefront6targetE1EEEvS14_, .Lfunc_end1267-_ZN7rocprim17ROCPRIM_400000_NS6detail17trampoline_kernelINS0_14default_configENS1_22reduce_config_selectorIN6thrust23THRUST_200600_302600_NS5tupleIblNS6_9null_typeES8_S8_S8_S8_S8_S8_S8_EEEEZNS1_11reduce_implILb1ES3_NS6_12zip_iteratorINS7_INS6_11hip_rocprim26transform_input_iterator_tIbNSD_35transform_pair_of_input_iterators_tIbNS6_6detail15normal_iteratorINS6_10device_ptrIKxEEEESL_NS6_8equal_toIxEEEENSG_9not_fun_tINSD_8identityEEEEENSD_19counting_iterator_tIlEES8_S8_S8_S8_S8_S8_S8_S8_EEEEPS9_S9_NSD_9__find_if7functorIS9_EEEE10hipError_tPvRmT1_T2_T3_mT4_P12ihipStream_tbEUlT_E1_NS1_11comp_targetILNS1_3genE9ELNS1_11target_archE1100ELNS1_3gpuE3ELNS1_3repE0EEENS1_30default_config_static_selectorELNS0_4arch9wavefront6targetE1EEEvS14_
                                        ; -- End function
	.set _ZN7rocprim17ROCPRIM_400000_NS6detail17trampoline_kernelINS0_14default_configENS1_22reduce_config_selectorIN6thrust23THRUST_200600_302600_NS5tupleIblNS6_9null_typeES8_S8_S8_S8_S8_S8_S8_EEEEZNS1_11reduce_implILb1ES3_NS6_12zip_iteratorINS7_INS6_11hip_rocprim26transform_input_iterator_tIbNSD_35transform_pair_of_input_iterators_tIbNS6_6detail15normal_iteratorINS6_10device_ptrIKxEEEESL_NS6_8equal_toIxEEEENSG_9not_fun_tINSD_8identityEEEEENSD_19counting_iterator_tIlEES8_S8_S8_S8_S8_S8_S8_S8_EEEEPS9_S9_NSD_9__find_if7functorIS9_EEEE10hipError_tPvRmT1_T2_T3_mT4_P12ihipStream_tbEUlT_E1_NS1_11comp_targetILNS1_3genE9ELNS1_11target_archE1100ELNS1_3gpuE3ELNS1_3repE0EEENS1_30default_config_static_selectorELNS0_4arch9wavefront6targetE1EEEvS14_.num_vgpr, 0
	.set _ZN7rocprim17ROCPRIM_400000_NS6detail17trampoline_kernelINS0_14default_configENS1_22reduce_config_selectorIN6thrust23THRUST_200600_302600_NS5tupleIblNS6_9null_typeES8_S8_S8_S8_S8_S8_S8_EEEEZNS1_11reduce_implILb1ES3_NS6_12zip_iteratorINS7_INS6_11hip_rocprim26transform_input_iterator_tIbNSD_35transform_pair_of_input_iterators_tIbNS6_6detail15normal_iteratorINS6_10device_ptrIKxEEEESL_NS6_8equal_toIxEEEENSG_9not_fun_tINSD_8identityEEEEENSD_19counting_iterator_tIlEES8_S8_S8_S8_S8_S8_S8_S8_EEEEPS9_S9_NSD_9__find_if7functorIS9_EEEE10hipError_tPvRmT1_T2_T3_mT4_P12ihipStream_tbEUlT_E1_NS1_11comp_targetILNS1_3genE9ELNS1_11target_archE1100ELNS1_3gpuE3ELNS1_3repE0EEENS1_30default_config_static_selectorELNS0_4arch9wavefront6targetE1EEEvS14_.num_agpr, 0
	.set _ZN7rocprim17ROCPRIM_400000_NS6detail17trampoline_kernelINS0_14default_configENS1_22reduce_config_selectorIN6thrust23THRUST_200600_302600_NS5tupleIblNS6_9null_typeES8_S8_S8_S8_S8_S8_S8_EEEEZNS1_11reduce_implILb1ES3_NS6_12zip_iteratorINS7_INS6_11hip_rocprim26transform_input_iterator_tIbNSD_35transform_pair_of_input_iterators_tIbNS6_6detail15normal_iteratorINS6_10device_ptrIKxEEEESL_NS6_8equal_toIxEEEENSG_9not_fun_tINSD_8identityEEEEENSD_19counting_iterator_tIlEES8_S8_S8_S8_S8_S8_S8_S8_EEEEPS9_S9_NSD_9__find_if7functorIS9_EEEE10hipError_tPvRmT1_T2_T3_mT4_P12ihipStream_tbEUlT_E1_NS1_11comp_targetILNS1_3genE9ELNS1_11target_archE1100ELNS1_3gpuE3ELNS1_3repE0EEENS1_30default_config_static_selectorELNS0_4arch9wavefront6targetE1EEEvS14_.numbered_sgpr, 0
	.set _ZN7rocprim17ROCPRIM_400000_NS6detail17trampoline_kernelINS0_14default_configENS1_22reduce_config_selectorIN6thrust23THRUST_200600_302600_NS5tupleIblNS6_9null_typeES8_S8_S8_S8_S8_S8_S8_EEEEZNS1_11reduce_implILb1ES3_NS6_12zip_iteratorINS7_INS6_11hip_rocprim26transform_input_iterator_tIbNSD_35transform_pair_of_input_iterators_tIbNS6_6detail15normal_iteratorINS6_10device_ptrIKxEEEESL_NS6_8equal_toIxEEEENSG_9not_fun_tINSD_8identityEEEEENSD_19counting_iterator_tIlEES8_S8_S8_S8_S8_S8_S8_S8_EEEEPS9_S9_NSD_9__find_if7functorIS9_EEEE10hipError_tPvRmT1_T2_T3_mT4_P12ihipStream_tbEUlT_E1_NS1_11comp_targetILNS1_3genE9ELNS1_11target_archE1100ELNS1_3gpuE3ELNS1_3repE0EEENS1_30default_config_static_selectorELNS0_4arch9wavefront6targetE1EEEvS14_.num_named_barrier, 0
	.set _ZN7rocprim17ROCPRIM_400000_NS6detail17trampoline_kernelINS0_14default_configENS1_22reduce_config_selectorIN6thrust23THRUST_200600_302600_NS5tupleIblNS6_9null_typeES8_S8_S8_S8_S8_S8_S8_EEEEZNS1_11reduce_implILb1ES3_NS6_12zip_iteratorINS7_INS6_11hip_rocprim26transform_input_iterator_tIbNSD_35transform_pair_of_input_iterators_tIbNS6_6detail15normal_iteratorINS6_10device_ptrIKxEEEESL_NS6_8equal_toIxEEEENSG_9not_fun_tINSD_8identityEEEEENSD_19counting_iterator_tIlEES8_S8_S8_S8_S8_S8_S8_S8_EEEEPS9_S9_NSD_9__find_if7functorIS9_EEEE10hipError_tPvRmT1_T2_T3_mT4_P12ihipStream_tbEUlT_E1_NS1_11comp_targetILNS1_3genE9ELNS1_11target_archE1100ELNS1_3gpuE3ELNS1_3repE0EEENS1_30default_config_static_selectorELNS0_4arch9wavefront6targetE1EEEvS14_.private_seg_size, 0
	.set _ZN7rocprim17ROCPRIM_400000_NS6detail17trampoline_kernelINS0_14default_configENS1_22reduce_config_selectorIN6thrust23THRUST_200600_302600_NS5tupleIblNS6_9null_typeES8_S8_S8_S8_S8_S8_S8_EEEEZNS1_11reduce_implILb1ES3_NS6_12zip_iteratorINS7_INS6_11hip_rocprim26transform_input_iterator_tIbNSD_35transform_pair_of_input_iterators_tIbNS6_6detail15normal_iteratorINS6_10device_ptrIKxEEEESL_NS6_8equal_toIxEEEENSG_9not_fun_tINSD_8identityEEEEENSD_19counting_iterator_tIlEES8_S8_S8_S8_S8_S8_S8_S8_EEEEPS9_S9_NSD_9__find_if7functorIS9_EEEE10hipError_tPvRmT1_T2_T3_mT4_P12ihipStream_tbEUlT_E1_NS1_11comp_targetILNS1_3genE9ELNS1_11target_archE1100ELNS1_3gpuE3ELNS1_3repE0EEENS1_30default_config_static_selectorELNS0_4arch9wavefront6targetE1EEEvS14_.uses_vcc, 0
	.set _ZN7rocprim17ROCPRIM_400000_NS6detail17trampoline_kernelINS0_14default_configENS1_22reduce_config_selectorIN6thrust23THRUST_200600_302600_NS5tupleIblNS6_9null_typeES8_S8_S8_S8_S8_S8_S8_EEEEZNS1_11reduce_implILb1ES3_NS6_12zip_iteratorINS7_INS6_11hip_rocprim26transform_input_iterator_tIbNSD_35transform_pair_of_input_iterators_tIbNS6_6detail15normal_iteratorINS6_10device_ptrIKxEEEESL_NS6_8equal_toIxEEEENSG_9not_fun_tINSD_8identityEEEEENSD_19counting_iterator_tIlEES8_S8_S8_S8_S8_S8_S8_S8_EEEEPS9_S9_NSD_9__find_if7functorIS9_EEEE10hipError_tPvRmT1_T2_T3_mT4_P12ihipStream_tbEUlT_E1_NS1_11comp_targetILNS1_3genE9ELNS1_11target_archE1100ELNS1_3gpuE3ELNS1_3repE0EEENS1_30default_config_static_selectorELNS0_4arch9wavefront6targetE1EEEvS14_.uses_flat_scratch, 0
	.set _ZN7rocprim17ROCPRIM_400000_NS6detail17trampoline_kernelINS0_14default_configENS1_22reduce_config_selectorIN6thrust23THRUST_200600_302600_NS5tupleIblNS6_9null_typeES8_S8_S8_S8_S8_S8_S8_EEEEZNS1_11reduce_implILb1ES3_NS6_12zip_iteratorINS7_INS6_11hip_rocprim26transform_input_iterator_tIbNSD_35transform_pair_of_input_iterators_tIbNS6_6detail15normal_iteratorINS6_10device_ptrIKxEEEESL_NS6_8equal_toIxEEEENSG_9not_fun_tINSD_8identityEEEEENSD_19counting_iterator_tIlEES8_S8_S8_S8_S8_S8_S8_S8_EEEEPS9_S9_NSD_9__find_if7functorIS9_EEEE10hipError_tPvRmT1_T2_T3_mT4_P12ihipStream_tbEUlT_E1_NS1_11comp_targetILNS1_3genE9ELNS1_11target_archE1100ELNS1_3gpuE3ELNS1_3repE0EEENS1_30default_config_static_selectorELNS0_4arch9wavefront6targetE1EEEvS14_.has_dyn_sized_stack, 0
	.set _ZN7rocprim17ROCPRIM_400000_NS6detail17trampoline_kernelINS0_14default_configENS1_22reduce_config_selectorIN6thrust23THRUST_200600_302600_NS5tupleIblNS6_9null_typeES8_S8_S8_S8_S8_S8_S8_EEEEZNS1_11reduce_implILb1ES3_NS6_12zip_iteratorINS7_INS6_11hip_rocprim26transform_input_iterator_tIbNSD_35transform_pair_of_input_iterators_tIbNS6_6detail15normal_iteratorINS6_10device_ptrIKxEEEESL_NS6_8equal_toIxEEEENSG_9not_fun_tINSD_8identityEEEEENSD_19counting_iterator_tIlEES8_S8_S8_S8_S8_S8_S8_S8_EEEEPS9_S9_NSD_9__find_if7functorIS9_EEEE10hipError_tPvRmT1_T2_T3_mT4_P12ihipStream_tbEUlT_E1_NS1_11comp_targetILNS1_3genE9ELNS1_11target_archE1100ELNS1_3gpuE3ELNS1_3repE0EEENS1_30default_config_static_selectorELNS0_4arch9wavefront6targetE1EEEvS14_.has_recursion, 0
	.set _ZN7rocprim17ROCPRIM_400000_NS6detail17trampoline_kernelINS0_14default_configENS1_22reduce_config_selectorIN6thrust23THRUST_200600_302600_NS5tupleIblNS6_9null_typeES8_S8_S8_S8_S8_S8_S8_EEEEZNS1_11reduce_implILb1ES3_NS6_12zip_iteratorINS7_INS6_11hip_rocprim26transform_input_iterator_tIbNSD_35transform_pair_of_input_iterators_tIbNS6_6detail15normal_iteratorINS6_10device_ptrIKxEEEESL_NS6_8equal_toIxEEEENSG_9not_fun_tINSD_8identityEEEEENSD_19counting_iterator_tIlEES8_S8_S8_S8_S8_S8_S8_S8_EEEEPS9_S9_NSD_9__find_if7functorIS9_EEEE10hipError_tPvRmT1_T2_T3_mT4_P12ihipStream_tbEUlT_E1_NS1_11comp_targetILNS1_3genE9ELNS1_11target_archE1100ELNS1_3gpuE3ELNS1_3repE0EEENS1_30default_config_static_selectorELNS0_4arch9wavefront6targetE1EEEvS14_.has_indirect_call, 0
	.section	.AMDGPU.csdata,"",@progbits
; Kernel info:
; codeLenInByte = 0
; TotalNumSgprs: 6
; NumVgprs: 0
; NumAgprs: 0
; TotalNumVgprs: 0
; ScratchSize: 0
; MemoryBound: 0
; FloatMode: 240
; IeeeMode: 1
; LDSByteSize: 0 bytes/workgroup (compile time only)
; SGPRBlocks: 0
; VGPRBlocks: 0
; NumSGPRsForWavesPerEU: 6
; NumVGPRsForWavesPerEU: 1
; AccumOffset: 4
; Occupancy: 8
; WaveLimiterHint : 0
; COMPUTE_PGM_RSRC2:SCRATCH_EN: 0
; COMPUTE_PGM_RSRC2:USER_SGPR: 2
; COMPUTE_PGM_RSRC2:TRAP_HANDLER: 0
; COMPUTE_PGM_RSRC2:TGID_X_EN: 1
; COMPUTE_PGM_RSRC2:TGID_Y_EN: 0
; COMPUTE_PGM_RSRC2:TGID_Z_EN: 0
; COMPUTE_PGM_RSRC2:TIDIG_COMP_CNT: 0
; COMPUTE_PGM_RSRC3_GFX90A:ACCUM_OFFSET: 0
; COMPUTE_PGM_RSRC3_GFX90A:TG_SPLIT: 0
	.section	.text._ZN7rocprim17ROCPRIM_400000_NS6detail17trampoline_kernelINS0_14default_configENS1_22reduce_config_selectorIN6thrust23THRUST_200600_302600_NS5tupleIblNS6_9null_typeES8_S8_S8_S8_S8_S8_S8_EEEEZNS1_11reduce_implILb1ES3_NS6_12zip_iteratorINS7_INS6_11hip_rocprim26transform_input_iterator_tIbNSD_35transform_pair_of_input_iterators_tIbNS6_6detail15normal_iteratorINS6_10device_ptrIKxEEEESL_NS6_8equal_toIxEEEENSG_9not_fun_tINSD_8identityEEEEENSD_19counting_iterator_tIlEES8_S8_S8_S8_S8_S8_S8_S8_EEEEPS9_S9_NSD_9__find_if7functorIS9_EEEE10hipError_tPvRmT1_T2_T3_mT4_P12ihipStream_tbEUlT_E1_NS1_11comp_targetILNS1_3genE8ELNS1_11target_archE1030ELNS1_3gpuE2ELNS1_3repE0EEENS1_30default_config_static_selectorELNS0_4arch9wavefront6targetE1EEEvS14_,"axG",@progbits,_ZN7rocprim17ROCPRIM_400000_NS6detail17trampoline_kernelINS0_14default_configENS1_22reduce_config_selectorIN6thrust23THRUST_200600_302600_NS5tupleIblNS6_9null_typeES8_S8_S8_S8_S8_S8_S8_EEEEZNS1_11reduce_implILb1ES3_NS6_12zip_iteratorINS7_INS6_11hip_rocprim26transform_input_iterator_tIbNSD_35transform_pair_of_input_iterators_tIbNS6_6detail15normal_iteratorINS6_10device_ptrIKxEEEESL_NS6_8equal_toIxEEEENSG_9not_fun_tINSD_8identityEEEEENSD_19counting_iterator_tIlEES8_S8_S8_S8_S8_S8_S8_S8_EEEEPS9_S9_NSD_9__find_if7functorIS9_EEEE10hipError_tPvRmT1_T2_T3_mT4_P12ihipStream_tbEUlT_E1_NS1_11comp_targetILNS1_3genE8ELNS1_11target_archE1030ELNS1_3gpuE2ELNS1_3repE0EEENS1_30default_config_static_selectorELNS0_4arch9wavefront6targetE1EEEvS14_,comdat
	.protected	_ZN7rocprim17ROCPRIM_400000_NS6detail17trampoline_kernelINS0_14default_configENS1_22reduce_config_selectorIN6thrust23THRUST_200600_302600_NS5tupleIblNS6_9null_typeES8_S8_S8_S8_S8_S8_S8_EEEEZNS1_11reduce_implILb1ES3_NS6_12zip_iteratorINS7_INS6_11hip_rocprim26transform_input_iterator_tIbNSD_35transform_pair_of_input_iterators_tIbNS6_6detail15normal_iteratorINS6_10device_ptrIKxEEEESL_NS6_8equal_toIxEEEENSG_9not_fun_tINSD_8identityEEEEENSD_19counting_iterator_tIlEES8_S8_S8_S8_S8_S8_S8_S8_EEEEPS9_S9_NSD_9__find_if7functorIS9_EEEE10hipError_tPvRmT1_T2_T3_mT4_P12ihipStream_tbEUlT_E1_NS1_11comp_targetILNS1_3genE8ELNS1_11target_archE1030ELNS1_3gpuE2ELNS1_3repE0EEENS1_30default_config_static_selectorELNS0_4arch9wavefront6targetE1EEEvS14_ ; -- Begin function _ZN7rocprim17ROCPRIM_400000_NS6detail17trampoline_kernelINS0_14default_configENS1_22reduce_config_selectorIN6thrust23THRUST_200600_302600_NS5tupleIblNS6_9null_typeES8_S8_S8_S8_S8_S8_S8_EEEEZNS1_11reduce_implILb1ES3_NS6_12zip_iteratorINS7_INS6_11hip_rocprim26transform_input_iterator_tIbNSD_35transform_pair_of_input_iterators_tIbNS6_6detail15normal_iteratorINS6_10device_ptrIKxEEEESL_NS6_8equal_toIxEEEENSG_9not_fun_tINSD_8identityEEEEENSD_19counting_iterator_tIlEES8_S8_S8_S8_S8_S8_S8_S8_EEEEPS9_S9_NSD_9__find_if7functorIS9_EEEE10hipError_tPvRmT1_T2_T3_mT4_P12ihipStream_tbEUlT_E1_NS1_11comp_targetILNS1_3genE8ELNS1_11target_archE1030ELNS1_3gpuE2ELNS1_3repE0EEENS1_30default_config_static_selectorELNS0_4arch9wavefront6targetE1EEEvS14_
	.globl	_ZN7rocprim17ROCPRIM_400000_NS6detail17trampoline_kernelINS0_14default_configENS1_22reduce_config_selectorIN6thrust23THRUST_200600_302600_NS5tupleIblNS6_9null_typeES8_S8_S8_S8_S8_S8_S8_EEEEZNS1_11reduce_implILb1ES3_NS6_12zip_iteratorINS7_INS6_11hip_rocprim26transform_input_iterator_tIbNSD_35transform_pair_of_input_iterators_tIbNS6_6detail15normal_iteratorINS6_10device_ptrIKxEEEESL_NS6_8equal_toIxEEEENSG_9not_fun_tINSD_8identityEEEEENSD_19counting_iterator_tIlEES8_S8_S8_S8_S8_S8_S8_S8_EEEEPS9_S9_NSD_9__find_if7functorIS9_EEEE10hipError_tPvRmT1_T2_T3_mT4_P12ihipStream_tbEUlT_E1_NS1_11comp_targetILNS1_3genE8ELNS1_11target_archE1030ELNS1_3gpuE2ELNS1_3repE0EEENS1_30default_config_static_selectorELNS0_4arch9wavefront6targetE1EEEvS14_
	.p2align	8
	.type	_ZN7rocprim17ROCPRIM_400000_NS6detail17trampoline_kernelINS0_14default_configENS1_22reduce_config_selectorIN6thrust23THRUST_200600_302600_NS5tupleIblNS6_9null_typeES8_S8_S8_S8_S8_S8_S8_EEEEZNS1_11reduce_implILb1ES3_NS6_12zip_iteratorINS7_INS6_11hip_rocprim26transform_input_iterator_tIbNSD_35transform_pair_of_input_iterators_tIbNS6_6detail15normal_iteratorINS6_10device_ptrIKxEEEESL_NS6_8equal_toIxEEEENSG_9not_fun_tINSD_8identityEEEEENSD_19counting_iterator_tIlEES8_S8_S8_S8_S8_S8_S8_S8_EEEEPS9_S9_NSD_9__find_if7functorIS9_EEEE10hipError_tPvRmT1_T2_T3_mT4_P12ihipStream_tbEUlT_E1_NS1_11comp_targetILNS1_3genE8ELNS1_11target_archE1030ELNS1_3gpuE2ELNS1_3repE0EEENS1_30default_config_static_selectorELNS0_4arch9wavefront6targetE1EEEvS14_,@function
_ZN7rocprim17ROCPRIM_400000_NS6detail17trampoline_kernelINS0_14default_configENS1_22reduce_config_selectorIN6thrust23THRUST_200600_302600_NS5tupleIblNS6_9null_typeES8_S8_S8_S8_S8_S8_S8_EEEEZNS1_11reduce_implILb1ES3_NS6_12zip_iteratorINS7_INS6_11hip_rocprim26transform_input_iterator_tIbNSD_35transform_pair_of_input_iterators_tIbNS6_6detail15normal_iteratorINS6_10device_ptrIKxEEEESL_NS6_8equal_toIxEEEENSG_9not_fun_tINSD_8identityEEEEENSD_19counting_iterator_tIlEES8_S8_S8_S8_S8_S8_S8_S8_EEEEPS9_S9_NSD_9__find_if7functorIS9_EEEE10hipError_tPvRmT1_T2_T3_mT4_P12ihipStream_tbEUlT_E1_NS1_11comp_targetILNS1_3genE8ELNS1_11target_archE1030ELNS1_3gpuE2ELNS1_3repE0EEENS1_30default_config_static_selectorELNS0_4arch9wavefront6targetE1EEEvS14_: ; @_ZN7rocprim17ROCPRIM_400000_NS6detail17trampoline_kernelINS0_14default_configENS1_22reduce_config_selectorIN6thrust23THRUST_200600_302600_NS5tupleIblNS6_9null_typeES8_S8_S8_S8_S8_S8_S8_EEEEZNS1_11reduce_implILb1ES3_NS6_12zip_iteratorINS7_INS6_11hip_rocprim26transform_input_iterator_tIbNSD_35transform_pair_of_input_iterators_tIbNS6_6detail15normal_iteratorINS6_10device_ptrIKxEEEESL_NS6_8equal_toIxEEEENSG_9not_fun_tINSD_8identityEEEEENSD_19counting_iterator_tIlEES8_S8_S8_S8_S8_S8_S8_S8_EEEEPS9_S9_NSD_9__find_if7functorIS9_EEEE10hipError_tPvRmT1_T2_T3_mT4_P12ihipStream_tbEUlT_E1_NS1_11comp_targetILNS1_3genE8ELNS1_11target_archE1030ELNS1_3gpuE2ELNS1_3repE0EEENS1_30default_config_static_selectorELNS0_4arch9wavefront6targetE1EEEvS14_
; %bb.0:
	.section	.rodata,"a",@progbits
	.p2align	6, 0x0
	.amdhsa_kernel _ZN7rocprim17ROCPRIM_400000_NS6detail17trampoline_kernelINS0_14default_configENS1_22reduce_config_selectorIN6thrust23THRUST_200600_302600_NS5tupleIblNS6_9null_typeES8_S8_S8_S8_S8_S8_S8_EEEEZNS1_11reduce_implILb1ES3_NS6_12zip_iteratorINS7_INS6_11hip_rocprim26transform_input_iterator_tIbNSD_35transform_pair_of_input_iterators_tIbNS6_6detail15normal_iteratorINS6_10device_ptrIKxEEEESL_NS6_8equal_toIxEEEENSG_9not_fun_tINSD_8identityEEEEENSD_19counting_iterator_tIlEES8_S8_S8_S8_S8_S8_S8_S8_EEEEPS9_S9_NSD_9__find_if7functorIS9_EEEE10hipError_tPvRmT1_T2_T3_mT4_P12ihipStream_tbEUlT_E1_NS1_11comp_targetILNS1_3genE8ELNS1_11target_archE1030ELNS1_3gpuE2ELNS1_3repE0EEENS1_30default_config_static_selectorELNS0_4arch9wavefront6targetE1EEEvS14_
		.amdhsa_group_segment_fixed_size 0
		.amdhsa_private_segment_fixed_size 0
		.amdhsa_kernarg_size 88
		.amdhsa_user_sgpr_count 2
		.amdhsa_user_sgpr_dispatch_ptr 0
		.amdhsa_user_sgpr_queue_ptr 0
		.amdhsa_user_sgpr_kernarg_segment_ptr 1
		.amdhsa_user_sgpr_dispatch_id 0
		.amdhsa_user_sgpr_kernarg_preload_length 0
		.amdhsa_user_sgpr_kernarg_preload_offset 0
		.amdhsa_user_sgpr_private_segment_size 0
		.amdhsa_uses_dynamic_stack 0
		.amdhsa_enable_private_segment 0
		.amdhsa_system_sgpr_workgroup_id_x 1
		.amdhsa_system_sgpr_workgroup_id_y 0
		.amdhsa_system_sgpr_workgroup_id_z 0
		.amdhsa_system_sgpr_workgroup_info 0
		.amdhsa_system_vgpr_workitem_id 0
		.amdhsa_next_free_vgpr 1
		.amdhsa_next_free_sgpr 0
		.amdhsa_accum_offset 4
		.amdhsa_reserve_vcc 0
		.amdhsa_float_round_mode_32 0
		.amdhsa_float_round_mode_16_64 0
		.amdhsa_float_denorm_mode_32 3
		.amdhsa_float_denorm_mode_16_64 3
		.amdhsa_dx10_clamp 1
		.amdhsa_ieee_mode 1
		.amdhsa_fp16_overflow 0
		.amdhsa_tg_split 0
		.amdhsa_exception_fp_ieee_invalid_op 0
		.amdhsa_exception_fp_denorm_src 0
		.amdhsa_exception_fp_ieee_div_zero 0
		.amdhsa_exception_fp_ieee_overflow 0
		.amdhsa_exception_fp_ieee_underflow 0
		.amdhsa_exception_fp_ieee_inexact 0
		.amdhsa_exception_int_div_zero 0
	.end_amdhsa_kernel
	.section	.text._ZN7rocprim17ROCPRIM_400000_NS6detail17trampoline_kernelINS0_14default_configENS1_22reduce_config_selectorIN6thrust23THRUST_200600_302600_NS5tupleIblNS6_9null_typeES8_S8_S8_S8_S8_S8_S8_EEEEZNS1_11reduce_implILb1ES3_NS6_12zip_iteratorINS7_INS6_11hip_rocprim26transform_input_iterator_tIbNSD_35transform_pair_of_input_iterators_tIbNS6_6detail15normal_iteratorINS6_10device_ptrIKxEEEESL_NS6_8equal_toIxEEEENSG_9not_fun_tINSD_8identityEEEEENSD_19counting_iterator_tIlEES8_S8_S8_S8_S8_S8_S8_S8_EEEEPS9_S9_NSD_9__find_if7functorIS9_EEEE10hipError_tPvRmT1_T2_T3_mT4_P12ihipStream_tbEUlT_E1_NS1_11comp_targetILNS1_3genE8ELNS1_11target_archE1030ELNS1_3gpuE2ELNS1_3repE0EEENS1_30default_config_static_selectorELNS0_4arch9wavefront6targetE1EEEvS14_,"axG",@progbits,_ZN7rocprim17ROCPRIM_400000_NS6detail17trampoline_kernelINS0_14default_configENS1_22reduce_config_selectorIN6thrust23THRUST_200600_302600_NS5tupleIblNS6_9null_typeES8_S8_S8_S8_S8_S8_S8_EEEEZNS1_11reduce_implILb1ES3_NS6_12zip_iteratorINS7_INS6_11hip_rocprim26transform_input_iterator_tIbNSD_35transform_pair_of_input_iterators_tIbNS6_6detail15normal_iteratorINS6_10device_ptrIKxEEEESL_NS6_8equal_toIxEEEENSG_9not_fun_tINSD_8identityEEEEENSD_19counting_iterator_tIlEES8_S8_S8_S8_S8_S8_S8_S8_EEEEPS9_S9_NSD_9__find_if7functorIS9_EEEE10hipError_tPvRmT1_T2_T3_mT4_P12ihipStream_tbEUlT_E1_NS1_11comp_targetILNS1_3genE8ELNS1_11target_archE1030ELNS1_3gpuE2ELNS1_3repE0EEENS1_30default_config_static_selectorELNS0_4arch9wavefront6targetE1EEEvS14_,comdat
.Lfunc_end1268:
	.size	_ZN7rocprim17ROCPRIM_400000_NS6detail17trampoline_kernelINS0_14default_configENS1_22reduce_config_selectorIN6thrust23THRUST_200600_302600_NS5tupleIblNS6_9null_typeES8_S8_S8_S8_S8_S8_S8_EEEEZNS1_11reduce_implILb1ES3_NS6_12zip_iteratorINS7_INS6_11hip_rocprim26transform_input_iterator_tIbNSD_35transform_pair_of_input_iterators_tIbNS6_6detail15normal_iteratorINS6_10device_ptrIKxEEEESL_NS6_8equal_toIxEEEENSG_9not_fun_tINSD_8identityEEEEENSD_19counting_iterator_tIlEES8_S8_S8_S8_S8_S8_S8_S8_EEEEPS9_S9_NSD_9__find_if7functorIS9_EEEE10hipError_tPvRmT1_T2_T3_mT4_P12ihipStream_tbEUlT_E1_NS1_11comp_targetILNS1_3genE8ELNS1_11target_archE1030ELNS1_3gpuE2ELNS1_3repE0EEENS1_30default_config_static_selectorELNS0_4arch9wavefront6targetE1EEEvS14_, .Lfunc_end1268-_ZN7rocprim17ROCPRIM_400000_NS6detail17trampoline_kernelINS0_14default_configENS1_22reduce_config_selectorIN6thrust23THRUST_200600_302600_NS5tupleIblNS6_9null_typeES8_S8_S8_S8_S8_S8_S8_EEEEZNS1_11reduce_implILb1ES3_NS6_12zip_iteratorINS7_INS6_11hip_rocprim26transform_input_iterator_tIbNSD_35transform_pair_of_input_iterators_tIbNS6_6detail15normal_iteratorINS6_10device_ptrIKxEEEESL_NS6_8equal_toIxEEEENSG_9not_fun_tINSD_8identityEEEEENSD_19counting_iterator_tIlEES8_S8_S8_S8_S8_S8_S8_S8_EEEEPS9_S9_NSD_9__find_if7functorIS9_EEEE10hipError_tPvRmT1_T2_T3_mT4_P12ihipStream_tbEUlT_E1_NS1_11comp_targetILNS1_3genE8ELNS1_11target_archE1030ELNS1_3gpuE2ELNS1_3repE0EEENS1_30default_config_static_selectorELNS0_4arch9wavefront6targetE1EEEvS14_
                                        ; -- End function
	.set _ZN7rocprim17ROCPRIM_400000_NS6detail17trampoline_kernelINS0_14default_configENS1_22reduce_config_selectorIN6thrust23THRUST_200600_302600_NS5tupleIblNS6_9null_typeES8_S8_S8_S8_S8_S8_S8_EEEEZNS1_11reduce_implILb1ES3_NS6_12zip_iteratorINS7_INS6_11hip_rocprim26transform_input_iterator_tIbNSD_35transform_pair_of_input_iterators_tIbNS6_6detail15normal_iteratorINS6_10device_ptrIKxEEEESL_NS6_8equal_toIxEEEENSG_9not_fun_tINSD_8identityEEEEENSD_19counting_iterator_tIlEES8_S8_S8_S8_S8_S8_S8_S8_EEEEPS9_S9_NSD_9__find_if7functorIS9_EEEE10hipError_tPvRmT1_T2_T3_mT4_P12ihipStream_tbEUlT_E1_NS1_11comp_targetILNS1_3genE8ELNS1_11target_archE1030ELNS1_3gpuE2ELNS1_3repE0EEENS1_30default_config_static_selectorELNS0_4arch9wavefront6targetE1EEEvS14_.num_vgpr, 0
	.set _ZN7rocprim17ROCPRIM_400000_NS6detail17trampoline_kernelINS0_14default_configENS1_22reduce_config_selectorIN6thrust23THRUST_200600_302600_NS5tupleIblNS6_9null_typeES8_S8_S8_S8_S8_S8_S8_EEEEZNS1_11reduce_implILb1ES3_NS6_12zip_iteratorINS7_INS6_11hip_rocprim26transform_input_iterator_tIbNSD_35transform_pair_of_input_iterators_tIbNS6_6detail15normal_iteratorINS6_10device_ptrIKxEEEESL_NS6_8equal_toIxEEEENSG_9not_fun_tINSD_8identityEEEEENSD_19counting_iterator_tIlEES8_S8_S8_S8_S8_S8_S8_S8_EEEEPS9_S9_NSD_9__find_if7functorIS9_EEEE10hipError_tPvRmT1_T2_T3_mT4_P12ihipStream_tbEUlT_E1_NS1_11comp_targetILNS1_3genE8ELNS1_11target_archE1030ELNS1_3gpuE2ELNS1_3repE0EEENS1_30default_config_static_selectorELNS0_4arch9wavefront6targetE1EEEvS14_.num_agpr, 0
	.set _ZN7rocprim17ROCPRIM_400000_NS6detail17trampoline_kernelINS0_14default_configENS1_22reduce_config_selectorIN6thrust23THRUST_200600_302600_NS5tupleIblNS6_9null_typeES8_S8_S8_S8_S8_S8_S8_EEEEZNS1_11reduce_implILb1ES3_NS6_12zip_iteratorINS7_INS6_11hip_rocprim26transform_input_iterator_tIbNSD_35transform_pair_of_input_iterators_tIbNS6_6detail15normal_iteratorINS6_10device_ptrIKxEEEESL_NS6_8equal_toIxEEEENSG_9not_fun_tINSD_8identityEEEEENSD_19counting_iterator_tIlEES8_S8_S8_S8_S8_S8_S8_S8_EEEEPS9_S9_NSD_9__find_if7functorIS9_EEEE10hipError_tPvRmT1_T2_T3_mT4_P12ihipStream_tbEUlT_E1_NS1_11comp_targetILNS1_3genE8ELNS1_11target_archE1030ELNS1_3gpuE2ELNS1_3repE0EEENS1_30default_config_static_selectorELNS0_4arch9wavefront6targetE1EEEvS14_.numbered_sgpr, 0
	.set _ZN7rocprim17ROCPRIM_400000_NS6detail17trampoline_kernelINS0_14default_configENS1_22reduce_config_selectorIN6thrust23THRUST_200600_302600_NS5tupleIblNS6_9null_typeES8_S8_S8_S8_S8_S8_S8_EEEEZNS1_11reduce_implILb1ES3_NS6_12zip_iteratorINS7_INS6_11hip_rocprim26transform_input_iterator_tIbNSD_35transform_pair_of_input_iterators_tIbNS6_6detail15normal_iteratorINS6_10device_ptrIKxEEEESL_NS6_8equal_toIxEEEENSG_9not_fun_tINSD_8identityEEEEENSD_19counting_iterator_tIlEES8_S8_S8_S8_S8_S8_S8_S8_EEEEPS9_S9_NSD_9__find_if7functorIS9_EEEE10hipError_tPvRmT1_T2_T3_mT4_P12ihipStream_tbEUlT_E1_NS1_11comp_targetILNS1_3genE8ELNS1_11target_archE1030ELNS1_3gpuE2ELNS1_3repE0EEENS1_30default_config_static_selectorELNS0_4arch9wavefront6targetE1EEEvS14_.num_named_barrier, 0
	.set _ZN7rocprim17ROCPRIM_400000_NS6detail17trampoline_kernelINS0_14default_configENS1_22reduce_config_selectorIN6thrust23THRUST_200600_302600_NS5tupleIblNS6_9null_typeES8_S8_S8_S8_S8_S8_S8_EEEEZNS1_11reduce_implILb1ES3_NS6_12zip_iteratorINS7_INS6_11hip_rocprim26transform_input_iterator_tIbNSD_35transform_pair_of_input_iterators_tIbNS6_6detail15normal_iteratorINS6_10device_ptrIKxEEEESL_NS6_8equal_toIxEEEENSG_9not_fun_tINSD_8identityEEEEENSD_19counting_iterator_tIlEES8_S8_S8_S8_S8_S8_S8_S8_EEEEPS9_S9_NSD_9__find_if7functorIS9_EEEE10hipError_tPvRmT1_T2_T3_mT4_P12ihipStream_tbEUlT_E1_NS1_11comp_targetILNS1_3genE8ELNS1_11target_archE1030ELNS1_3gpuE2ELNS1_3repE0EEENS1_30default_config_static_selectorELNS0_4arch9wavefront6targetE1EEEvS14_.private_seg_size, 0
	.set _ZN7rocprim17ROCPRIM_400000_NS6detail17trampoline_kernelINS0_14default_configENS1_22reduce_config_selectorIN6thrust23THRUST_200600_302600_NS5tupleIblNS6_9null_typeES8_S8_S8_S8_S8_S8_S8_EEEEZNS1_11reduce_implILb1ES3_NS6_12zip_iteratorINS7_INS6_11hip_rocprim26transform_input_iterator_tIbNSD_35transform_pair_of_input_iterators_tIbNS6_6detail15normal_iteratorINS6_10device_ptrIKxEEEESL_NS6_8equal_toIxEEEENSG_9not_fun_tINSD_8identityEEEEENSD_19counting_iterator_tIlEES8_S8_S8_S8_S8_S8_S8_S8_EEEEPS9_S9_NSD_9__find_if7functorIS9_EEEE10hipError_tPvRmT1_T2_T3_mT4_P12ihipStream_tbEUlT_E1_NS1_11comp_targetILNS1_3genE8ELNS1_11target_archE1030ELNS1_3gpuE2ELNS1_3repE0EEENS1_30default_config_static_selectorELNS0_4arch9wavefront6targetE1EEEvS14_.uses_vcc, 0
	.set _ZN7rocprim17ROCPRIM_400000_NS6detail17trampoline_kernelINS0_14default_configENS1_22reduce_config_selectorIN6thrust23THRUST_200600_302600_NS5tupleIblNS6_9null_typeES8_S8_S8_S8_S8_S8_S8_EEEEZNS1_11reduce_implILb1ES3_NS6_12zip_iteratorINS7_INS6_11hip_rocprim26transform_input_iterator_tIbNSD_35transform_pair_of_input_iterators_tIbNS6_6detail15normal_iteratorINS6_10device_ptrIKxEEEESL_NS6_8equal_toIxEEEENSG_9not_fun_tINSD_8identityEEEEENSD_19counting_iterator_tIlEES8_S8_S8_S8_S8_S8_S8_S8_EEEEPS9_S9_NSD_9__find_if7functorIS9_EEEE10hipError_tPvRmT1_T2_T3_mT4_P12ihipStream_tbEUlT_E1_NS1_11comp_targetILNS1_3genE8ELNS1_11target_archE1030ELNS1_3gpuE2ELNS1_3repE0EEENS1_30default_config_static_selectorELNS0_4arch9wavefront6targetE1EEEvS14_.uses_flat_scratch, 0
	.set _ZN7rocprim17ROCPRIM_400000_NS6detail17trampoline_kernelINS0_14default_configENS1_22reduce_config_selectorIN6thrust23THRUST_200600_302600_NS5tupleIblNS6_9null_typeES8_S8_S8_S8_S8_S8_S8_EEEEZNS1_11reduce_implILb1ES3_NS6_12zip_iteratorINS7_INS6_11hip_rocprim26transform_input_iterator_tIbNSD_35transform_pair_of_input_iterators_tIbNS6_6detail15normal_iteratorINS6_10device_ptrIKxEEEESL_NS6_8equal_toIxEEEENSG_9not_fun_tINSD_8identityEEEEENSD_19counting_iterator_tIlEES8_S8_S8_S8_S8_S8_S8_S8_EEEEPS9_S9_NSD_9__find_if7functorIS9_EEEE10hipError_tPvRmT1_T2_T3_mT4_P12ihipStream_tbEUlT_E1_NS1_11comp_targetILNS1_3genE8ELNS1_11target_archE1030ELNS1_3gpuE2ELNS1_3repE0EEENS1_30default_config_static_selectorELNS0_4arch9wavefront6targetE1EEEvS14_.has_dyn_sized_stack, 0
	.set _ZN7rocprim17ROCPRIM_400000_NS6detail17trampoline_kernelINS0_14default_configENS1_22reduce_config_selectorIN6thrust23THRUST_200600_302600_NS5tupleIblNS6_9null_typeES8_S8_S8_S8_S8_S8_S8_EEEEZNS1_11reduce_implILb1ES3_NS6_12zip_iteratorINS7_INS6_11hip_rocprim26transform_input_iterator_tIbNSD_35transform_pair_of_input_iterators_tIbNS6_6detail15normal_iteratorINS6_10device_ptrIKxEEEESL_NS6_8equal_toIxEEEENSG_9not_fun_tINSD_8identityEEEEENSD_19counting_iterator_tIlEES8_S8_S8_S8_S8_S8_S8_S8_EEEEPS9_S9_NSD_9__find_if7functorIS9_EEEE10hipError_tPvRmT1_T2_T3_mT4_P12ihipStream_tbEUlT_E1_NS1_11comp_targetILNS1_3genE8ELNS1_11target_archE1030ELNS1_3gpuE2ELNS1_3repE0EEENS1_30default_config_static_selectorELNS0_4arch9wavefront6targetE1EEEvS14_.has_recursion, 0
	.set _ZN7rocprim17ROCPRIM_400000_NS6detail17trampoline_kernelINS0_14default_configENS1_22reduce_config_selectorIN6thrust23THRUST_200600_302600_NS5tupleIblNS6_9null_typeES8_S8_S8_S8_S8_S8_S8_EEEEZNS1_11reduce_implILb1ES3_NS6_12zip_iteratorINS7_INS6_11hip_rocprim26transform_input_iterator_tIbNSD_35transform_pair_of_input_iterators_tIbNS6_6detail15normal_iteratorINS6_10device_ptrIKxEEEESL_NS6_8equal_toIxEEEENSG_9not_fun_tINSD_8identityEEEEENSD_19counting_iterator_tIlEES8_S8_S8_S8_S8_S8_S8_S8_EEEEPS9_S9_NSD_9__find_if7functorIS9_EEEE10hipError_tPvRmT1_T2_T3_mT4_P12ihipStream_tbEUlT_E1_NS1_11comp_targetILNS1_3genE8ELNS1_11target_archE1030ELNS1_3gpuE2ELNS1_3repE0EEENS1_30default_config_static_selectorELNS0_4arch9wavefront6targetE1EEEvS14_.has_indirect_call, 0
	.section	.AMDGPU.csdata,"",@progbits
; Kernel info:
; codeLenInByte = 0
; TotalNumSgprs: 6
; NumVgprs: 0
; NumAgprs: 0
; TotalNumVgprs: 0
; ScratchSize: 0
; MemoryBound: 0
; FloatMode: 240
; IeeeMode: 1
; LDSByteSize: 0 bytes/workgroup (compile time only)
; SGPRBlocks: 0
; VGPRBlocks: 0
; NumSGPRsForWavesPerEU: 6
; NumVGPRsForWavesPerEU: 1
; AccumOffset: 4
; Occupancy: 8
; WaveLimiterHint : 0
; COMPUTE_PGM_RSRC2:SCRATCH_EN: 0
; COMPUTE_PGM_RSRC2:USER_SGPR: 2
; COMPUTE_PGM_RSRC2:TRAP_HANDLER: 0
; COMPUTE_PGM_RSRC2:TGID_X_EN: 1
; COMPUTE_PGM_RSRC2:TGID_Y_EN: 0
; COMPUTE_PGM_RSRC2:TGID_Z_EN: 0
; COMPUTE_PGM_RSRC2:TIDIG_COMP_CNT: 0
; COMPUTE_PGM_RSRC3_GFX90A:ACCUM_OFFSET: 0
; COMPUTE_PGM_RSRC3_GFX90A:TG_SPLIT: 0
	.section	.text._ZN7rocprim17ROCPRIM_400000_NS6detail17trampoline_kernelINS0_13kernel_configILj256ELj4ELj4294967295EEENS1_37radix_sort_block_sort_config_selectorIiiEEZNS1_21radix_sort_block_sortIS4_Lb0EN6thrust23THRUST_200600_302600_NS6detail15normal_iteratorINS9_10device_ptrIiEEEESE_SE_SE_NS0_19identity_decomposerEEE10hipError_tT1_T2_T3_T4_jRjT5_jjP12ihipStream_tbEUlT_E_NS1_11comp_targetILNS1_3genE0ELNS1_11target_archE4294967295ELNS1_3gpuE0ELNS1_3repE0EEENS1_44radix_sort_block_sort_config_static_selectorELNS0_4arch9wavefront6targetE1EEEvSH_,"axG",@progbits,_ZN7rocprim17ROCPRIM_400000_NS6detail17trampoline_kernelINS0_13kernel_configILj256ELj4ELj4294967295EEENS1_37radix_sort_block_sort_config_selectorIiiEEZNS1_21radix_sort_block_sortIS4_Lb0EN6thrust23THRUST_200600_302600_NS6detail15normal_iteratorINS9_10device_ptrIiEEEESE_SE_SE_NS0_19identity_decomposerEEE10hipError_tT1_T2_T3_T4_jRjT5_jjP12ihipStream_tbEUlT_E_NS1_11comp_targetILNS1_3genE0ELNS1_11target_archE4294967295ELNS1_3gpuE0ELNS1_3repE0EEENS1_44radix_sort_block_sort_config_static_selectorELNS0_4arch9wavefront6targetE1EEEvSH_,comdat
	.protected	_ZN7rocprim17ROCPRIM_400000_NS6detail17trampoline_kernelINS0_13kernel_configILj256ELj4ELj4294967295EEENS1_37radix_sort_block_sort_config_selectorIiiEEZNS1_21radix_sort_block_sortIS4_Lb0EN6thrust23THRUST_200600_302600_NS6detail15normal_iteratorINS9_10device_ptrIiEEEESE_SE_SE_NS0_19identity_decomposerEEE10hipError_tT1_T2_T3_T4_jRjT5_jjP12ihipStream_tbEUlT_E_NS1_11comp_targetILNS1_3genE0ELNS1_11target_archE4294967295ELNS1_3gpuE0ELNS1_3repE0EEENS1_44radix_sort_block_sort_config_static_selectorELNS0_4arch9wavefront6targetE1EEEvSH_ ; -- Begin function _ZN7rocprim17ROCPRIM_400000_NS6detail17trampoline_kernelINS0_13kernel_configILj256ELj4ELj4294967295EEENS1_37radix_sort_block_sort_config_selectorIiiEEZNS1_21radix_sort_block_sortIS4_Lb0EN6thrust23THRUST_200600_302600_NS6detail15normal_iteratorINS9_10device_ptrIiEEEESE_SE_SE_NS0_19identity_decomposerEEE10hipError_tT1_T2_T3_T4_jRjT5_jjP12ihipStream_tbEUlT_E_NS1_11comp_targetILNS1_3genE0ELNS1_11target_archE4294967295ELNS1_3gpuE0ELNS1_3repE0EEENS1_44radix_sort_block_sort_config_static_selectorELNS0_4arch9wavefront6targetE1EEEvSH_
	.globl	_ZN7rocprim17ROCPRIM_400000_NS6detail17trampoline_kernelINS0_13kernel_configILj256ELj4ELj4294967295EEENS1_37radix_sort_block_sort_config_selectorIiiEEZNS1_21radix_sort_block_sortIS4_Lb0EN6thrust23THRUST_200600_302600_NS6detail15normal_iteratorINS9_10device_ptrIiEEEESE_SE_SE_NS0_19identity_decomposerEEE10hipError_tT1_T2_T3_T4_jRjT5_jjP12ihipStream_tbEUlT_E_NS1_11comp_targetILNS1_3genE0ELNS1_11target_archE4294967295ELNS1_3gpuE0ELNS1_3repE0EEENS1_44radix_sort_block_sort_config_static_selectorELNS0_4arch9wavefront6targetE1EEEvSH_
	.p2align	8
	.type	_ZN7rocprim17ROCPRIM_400000_NS6detail17trampoline_kernelINS0_13kernel_configILj256ELj4ELj4294967295EEENS1_37radix_sort_block_sort_config_selectorIiiEEZNS1_21radix_sort_block_sortIS4_Lb0EN6thrust23THRUST_200600_302600_NS6detail15normal_iteratorINS9_10device_ptrIiEEEESE_SE_SE_NS0_19identity_decomposerEEE10hipError_tT1_T2_T3_T4_jRjT5_jjP12ihipStream_tbEUlT_E_NS1_11comp_targetILNS1_3genE0ELNS1_11target_archE4294967295ELNS1_3gpuE0ELNS1_3repE0EEENS1_44radix_sort_block_sort_config_static_selectorELNS0_4arch9wavefront6targetE1EEEvSH_,@function
_ZN7rocprim17ROCPRIM_400000_NS6detail17trampoline_kernelINS0_13kernel_configILj256ELj4ELj4294967295EEENS1_37radix_sort_block_sort_config_selectorIiiEEZNS1_21radix_sort_block_sortIS4_Lb0EN6thrust23THRUST_200600_302600_NS6detail15normal_iteratorINS9_10device_ptrIiEEEESE_SE_SE_NS0_19identity_decomposerEEE10hipError_tT1_T2_T3_T4_jRjT5_jjP12ihipStream_tbEUlT_E_NS1_11comp_targetILNS1_3genE0ELNS1_11target_archE4294967295ELNS1_3gpuE0ELNS1_3repE0EEENS1_44radix_sort_block_sort_config_static_selectorELNS0_4arch9wavefront6targetE1EEEvSH_: ; @_ZN7rocprim17ROCPRIM_400000_NS6detail17trampoline_kernelINS0_13kernel_configILj256ELj4ELj4294967295EEENS1_37radix_sort_block_sort_config_selectorIiiEEZNS1_21radix_sort_block_sortIS4_Lb0EN6thrust23THRUST_200600_302600_NS6detail15normal_iteratorINS9_10device_ptrIiEEEESE_SE_SE_NS0_19identity_decomposerEEE10hipError_tT1_T2_T3_T4_jRjT5_jjP12ihipStream_tbEUlT_E_NS1_11comp_targetILNS1_3genE0ELNS1_11target_archE4294967295ELNS1_3gpuE0ELNS1_3repE0EEENS1_44radix_sort_block_sort_config_static_selectorELNS0_4arch9wavefront6targetE1EEEvSH_
; %bb.0:
	s_load_dword s8, s[0:1], 0x20
	s_load_dwordx8 s[36:43], s[0:1], 0x0
	s_lshl_b32 s4, s2, 10
	s_mov_b32 s5, 0
	v_mbcnt_lo_u32_b32 v1, -1, 0
	s_waitcnt lgkmcnt(0)
	s_lshr_b32 s3, s8, 10
	s_cmp_lg_u32 s2, s3
	v_and_b32_e32 v10, 0x3ff, v0
	s_cselect_b64 s[30:31], -1, 0
	s_lshl_b64 s[28:29], s[4:5], 2
	v_mbcnt_hi_u32_b32 v16, -1, v1
	s_add_u32 s6, s36, s28
	v_and_b32_e32 v1, 63, v16
	v_lshlrev_b32_e32 v8, 2, v10
	s_addc_u32 s7, s37, s29
	v_and_b32_e32 v9, 0x300, v8
	v_mov_b32_e32 v13, 0
	v_lshlrev_b32_e32 v12, 2, v1
	v_lshl_add_u64 v[2:3], s[6:7], 0, v[12:13]
	v_lshlrev_b32_e32 v6, 2, v9
	v_mov_b32_e32 v7, v13
	s_cmp_eq_u32 s2, s3
	v_lshl_add_u64 v[14:15], v[2:3], 0, v[6:7]
	s_cbranch_scc1 .LBB1269_2
; %bb.1:
	s_add_u32 s2, s40, s28
	s_addc_u32 s3, s41, s29
	v_lshl_add_u64 v[18:19], s[2:3], 0, v[12:13]
	global_load_dword v2, v[14:15], off
	global_load_dword v3, v[14:15], off offset:256
	global_load_dword v4, v[14:15], off offset:512
	;; [unrolled: 1-line block ×3, first 2 shown]
	v_lshl_add_u64 v[18:19], v[18:19], 0, v[6:7]
	global_load_dword v30, v[18:19], off
	global_load_dword v31, v[18:19], off offset:256
	global_load_dword v32, v[18:19], off offset:512
	s_mov_b64 s[6:7], -1
	s_load_dwordx2 s[34:35], s[0:1], 0x28
	s_sub_i32 s33, s8, s4
	s_cbranch_execz .LBB1269_3
	s_branch .LBB1269_16
.LBB1269_2:
	s_mov_b64 s[6:7], 0
                                        ; implicit-def: $vgpr2_vgpr3_vgpr4_vgpr5
                                        ; implicit-def: $vgpr30_vgpr31_vgpr32_vgpr33
	s_load_dwordx2 s[34:35], s[0:1], 0x28
	s_sub_i32 s33, s8, s4
.LBB1269_3:
	v_or_b32_e32 v7, v1, v9
	s_waitcnt vmcnt(6)
	v_bfrev_b32_e32 v2, -2
	v_cmp_gt_u32_e32 vcc, s33, v7
	s_waitcnt vmcnt(5)
	v_mov_b32_e32 v3, v2
	s_waitcnt vmcnt(4)
	v_mov_b32_e32 v4, v2
	;; [unrolled: 2-line block ×3, first 2 shown]
	s_and_saveexec_b64 s[2:3], vcc
	s_cbranch_execz .LBB1269_5
; %bb.4:
	global_load_dword v18, v[14:15], off
	v_mov_b32_e32 v19, v2
	v_mov_b32_e32 v20, v2
	;; [unrolled: 1-line block ×3, first 2 shown]
	s_waitcnt vmcnt(0)
	v_mov_b64_e32 v[2:3], v[18:19]
	v_mov_b64_e32 v[4:5], v[20:21]
.LBB1269_5:
	s_or_b64 exec, exec, s[2:3]
	v_or_b32_e32 v9, 64, v7
	v_cmp_gt_u32_e64 s[2:3], s33, v9
	s_and_saveexec_b64 s[4:5], s[2:3]
	s_cbranch_execz .LBB1269_7
; %bb.6:
	global_load_dword v3, v[14:15], off offset:256
.LBB1269_7:
	s_or_b64 exec, exec, s[4:5]
	v_or_b32_e32 v9, 0x80, v7
	v_cmp_gt_u32_e64 s[4:5], s33, v9
	s_and_saveexec_b64 s[6:7], s[4:5]
	s_cbranch_execz .LBB1269_9
; %bb.8:
	global_load_dword v4, v[14:15], off offset:512
.LBB1269_9:
	;; [unrolled: 8-line block ×3, first 2 shown]
	s_or_b64 exec, exec, s[8:9]
	s_add_u32 s8, s40, s28
	s_addc_u32 s9, s41, s29
	v_mov_b32_e32 v13, 0
	v_lshl_add_u64 v[14:15], s[8:9], 0, v[12:13]
	v_mov_b32_e32 v7, v13
	v_lshl_add_u64 v[14:15], v[14:15], 0, v[6:7]
	s_waitcnt vmcnt(2)
	v_mov_b32_e32 v30, v13
	s_waitcnt vmcnt(1)
	v_mov_b32_e32 v31, v13
	;; [unrolled: 2-line block ×3, first 2 shown]
	v_mov_b32_e32 v33, v13
	s_and_saveexec_b64 s[8:9], vcc
	s_cbranch_execnz .LBB1269_55
; %bb.12:
	s_or_b64 exec, exec, s[8:9]
	s_and_saveexec_b64 s[8:9], s[2:3]
	s_cbranch_execnz .LBB1269_56
.LBB1269_13:
	s_or_b64 exec, exec, s[8:9]
	s_and_saveexec_b64 s[2:3], s[4:5]
	s_cbranch_execz .LBB1269_15
.LBB1269_14:
	global_load_dword v32, v[14:15], off offset:512
.LBB1269_15:
	s_or_b64 exec, exec, s[2:3]
.LBB1269_16:
	s_and_saveexec_b64 s[2:3], s[6:7]
	s_cbranch_execz .LBB1269_18
; %bb.17:
	s_add_u32 s4, s40, s28
	s_addc_u32 s5, s41, s29
	v_mov_b32_e32 v13, 0
	v_lshl_add_u64 v[14:15], s[4:5], 0, v[12:13]
	v_mov_b32_e32 v7, v13
	v_lshl_add_u64 v[12:13], v[14:15], 0, v[6:7]
	global_load_dword v33, v[12:13], off offset:768
.LBB1269_18:
	s_or_b64 exec, exec, s[2:3]
	s_load_dword s2, s[0:1], 0x3c
	s_waitcnt lgkmcnt(0)
	s_add_i32 s36, s35, s34
	s_getpc_b64 s[0:1]
	s_add_u32 s0, s0, _ZN7rocprim17ROCPRIM_400000_NS16block_radix_sortIiLj256ELj4EiLj1ELj1ELj0ELNS0_26block_radix_rank_algorithmE1ELNS0_18block_padding_hintE2ELNS0_4arch9wavefront6targetE1EE19radix_bits_per_passE@rel32@lo+4
	s_addc_u32 s1, s1, _ZN7rocprim17ROCPRIM_400000_NS16block_radix_sortIiLj256ELj4EiLj1ELj1ELj0ELNS0_26block_radix_rank_algorithmE1ELNS0_18block_padding_hintE2ELNS0_4arch9wavefront6targetE1EE19radix_bits_per_passE@rel32@hi+12
	s_waitcnt vmcnt(6)
	v_xor_b32_e32 v18, 0x80000000, v2
	s_load_dword s37, s[0:1], 0x0
	s_lshr_b32 s0, s2, 16
	v_bfe_u32 v2, v0, 10, 10
	v_bfe_u32 v0, v0, 20, 10
	s_and_b32 s1, s2, 0xffff
	v_mad_u32_u24 v0, v0, s0, v2
	s_waitcnt vmcnt(5)
	v_xor_b32_e32 v19, 0x80000000, v3
	v_mad_u64_u32 v[2:3], s[0:1], v0, s1, v[10:11]
	v_lshrrev_b32_e32 v0, 4, v2
	v_and_b32_e32 v11, 0xffffffc, v0
	v_and_b32_e32 v0, 15, v16
	v_cmp_eq_u32_e64 s[0:1], 0, v0
	v_cmp_lt_u32_e64 s[2:3], 1, v0
	v_cmp_lt_u32_e64 s[4:5], 3, v0
	;; [unrolled: 1-line block ×3, first 2 shown]
	v_and_b32_e32 v0, 16, v16
	v_cmp_eq_u32_e64 s[8:9], 0, v0
	v_and_b32_e32 v0, 0x3c0, v10
	v_min_u32_e32 v0, 0xc0, v0
	v_or_b32_e32 v0, 63, v0
	v_cmp_eq_u32_e64 s[12:13], v10, v0
	v_subrev_co_u32_e64 v0, s[18:19], 1, v16
	v_and_b32_e32 v2, 64, v16
	v_cmp_lt_i32_e32 vcc, v0, v2
	s_mov_b32 s26, 0
	s_mov_b32 s27, s26
	v_cndmask_b32_e32 v0, v0, v16, vcc
	v_lshlrev_b32_e32 v21, 2, v0
	v_lshrrev_b32_e32 v0, 4, v10
	v_and_b32_e32 v22, 60, v0
	v_and_b32_e32 v0, 3, v16
	s_mov_b32 s40, s26
	s_mov_b32 s41, s26
	s_waitcnt vmcnt(4)
	v_xor_b32_e32 v4, 0x80000000, v4
	s_waitcnt vmcnt(3)
	v_xor_b32_e32 v5, 0x80000000, v5
	v_lshlrev_b32_e32 v9, 2, v8
	v_cmp_lt_u32_e64 s[10:11], 31, v16
	v_cmp_gt_u32_e64 s[14:15], 4, v10
	v_cmp_lt_u32_e64 s[16:17], 63, v10
	v_cmp_eq_u32_e64 s[20:21], 0, v10
	v_mul_i32_i24_e32 v20, -12, v10
	v_cmp_eq_u32_e64 s[22:23], 0, v0
	v_cmp_lt_u32_e64 s[24:25], 1, v0
	v_add_u32_e32 v23, -4, v22
	v_lshl_add_u32 v24, v1, 2, v6
	v_mov_b64_e32 v[12:13], s[26:27]
	v_mov_b64_e32 v[14:15], s[40:41]
	v_mov_b32_e32 v17, 0
	s_branch .LBB1269_20
.LBB1269_19:                            ;   in Loop: Header=BB1269_20 Depth=1
	s_andn2_b64 vcc, exec, s[26:27]
	s_mov_b32 s35, s40
	s_cbranch_vccz .LBB1269_36
.LBB1269_20:                            ; =>This Inner Loop Header: Depth=1
	v_mov_b32_e32 v28, v18
	s_waitcnt lgkmcnt(0)
	s_min_u32 s26, s37, s35
	v_mov_b32_e32 v26, v4
	s_lshl_b32 s40, -1, s26
	v_lshrrev_b32_e32 v4, s34, v28
	v_bitop3_b32 v6, v4, s40, v4 bitop3:0x30
	v_and_b32_e32 v16, 1, v6
	v_mov_b32_e32 v25, v5
	v_lshl_add_u64 v[4:5], v[16:17], 0, -1
	v_cmp_ne_u32_e32 vcc, 0, v16
	v_lshlrev_b32_e32 v7, 4, v6
	s_waitcnt vmcnt(0)
	v_mov_b64_e32 v[0:1], v[30:31]
	v_xor_b32_e32 v5, vcc_hi, v5
	v_xor_b32_e32 v4, vcc_lo, v4
	v_and_b32_e32 v16, exec_hi, v5
	v_and_b32_e32 v18, exec_lo, v4
	v_lshlrev_b32_e32 v5, 30, v6
	v_mov_b32_e32 v4, v17
	v_cmp_gt_i64_e32 vcc, 0, v[4:5]
	v_not_b32_e32 v4, v5
	v_ashrrev_i32_e32 v4, 31, v4
	v_xor_b32_e32 v5, vcc_hi, v4
	v_xor_b32_e32 v4, vcc_lo, v4
	v_and_b32_e32 v16, v16, v5
	v_and_b32_e32 v18, v18, v4
	v_lshlrev_b32_e32 v5, 29, v6
	v_mov_b32_e32 v4, v17
	v_cmp_gt_i64_e32 vcc, 0, v[4:5]
	v_not_b32_e32 v4, v5
	v_ashrrev_i32_e32 v4, 31, v4
	v_xor_b32_e32 v5, vcc_hi, v4
	v_xor_b32_e32 v4, vcc_lo, v4
	v_and_b32_e32 v16, v16, v5
	v_and_b32_e32 v18, v18, v4
	;; [unrolled: 9-line block ×7, first 2 shown]
	v_mbcnt_lo_u32_b32 v6, v4, 0
	v_mbcnt_hi_u32_b32 v18, v5, v6
	v_cmp_eq_u32_e32 vcc, 0, v18
	v_cmp_ne_u64_e64 s[26:27], 0, v[4:5]
	v_mov_b32_e32 v27, v19
	v_mov_b64_e32 v[2:3], v[32:33]
	s_and_b64 s[44:45], s[26:27], vcc
	v_add_u32_e32 v19, v11, v7
	ds_write2_b64 v9, v[12:13], v[14:15] offset0:2 offset1:3
	s_waitcnt lgkmcnt(0)
	s_barrier
	; wave barrier
	s_and_saveexec_b64 s[26:27], s[44:45]
; %bb.21:                               ;   in Loop: Header=BB1269_20 Depth=1
	v_bcnt_u32_b32 v4, v4, 0
	v_bcnt_u32_b32 v4, v5, v4
	ds_write_b32 v19, v4 offset:16
; %bb.22:                               ;   in Loop: Header=BB1269_20 Depth=1
	s_or_b64 exec, exec, s[26:27]
	s_not_b32 s40, s40
	v_lshrrev_b32_e32 v4, s34, v27
	v_and_b32_e32 v6, s40, v4
	v_lshlrev_b32_e32 v4, 4, v6
	v_and_b32_e32 v16, 1, v6
	v_add_u32_e32 v30, v11, v4
	v_lshl_add_u64 v[4:5], v[16:17], 0, -1
	v_cmp_ne_u32_e32 vcc, 0, v16
	; wave barrier
	s_nop 1
	v_xor_b32_e32 v5, vcc_hi, v5
	v_xor_b32_e32 v4, vcc_lo, v4
	v_and_b32_e32 v7, exec_hi, v5
	v_and_b32_e32 v16, exec_lo, v4
	v_lshlrev_b32_e32 v5, 30, v6
	v_mov_b32_e32 v4, v17
	v_cmp_gt_i64_e32 vcc, 0, v[4:5]
	v_not_b32_e32 v4, v5
	v_ashrrev_i32_e32 v4, 31, v4
	v_xor_b32_e32 v5, vcc_hi, v4
	v_xor_b32_e32 v4, vcc_lo, v4
	v_and_b32_e32 v7, v7, v5
	v_and_b32_e32 v16, v16, v4
	v_lshlrev_b32_e32 v5, 29, v6
	v_mov_b32_e32 v4, v17
	v_cmp_gt_i64_e32 vcc, 0, v[4:5]
	v_not_b32_e32 v4, v5
	v_ashrrev_i32_e32 v4, 31, v4
	v_xor_b32_e32 v5, vcc_hi, v4
	v_xor_b32_e32 v4, vcc_lo, v4
	v_and_b32_e32 v7, v7, v5
	v_and_b32_e32 v16, v16, v4
	;; [unrolled: 9-line block ×6, first 2 shown]
	v_lshlrev_b32_e32 v5, 24, v6
	v_mov_b32_e32 v4, v17
	v_cmp_gt_i64_e32 vcc, 0, v[4:5]
	v_not_b32_e32 v4, v5
	v_ashrrev_i32_e32 v4, 31, v4
	v_xor_b32_e32 v5, vcc_hi, v4
	v_xor_b32_e32 v4, vcc_lo, v4
	ds_read_b32 v29, v30 offset:16
	v_and_b32_e32 v4, v16, v4
	v_and_b32_e32 v5, v7, v5
	v_mbcnt_lo_u32_b32 v6, v4, 0
	v_mbcnt_hi_u32_b32 v31, v5, v6
	v_cmp_eq_u32_e32 vcc, 0, v31
	v_cmp_ne_u64_e64 s[26:27], 0, v[4:5]
	s_and_b64 s[44:45], s[26:27], vcc
	; wave barrier
	s_and_saveexec_b64 s[26:27], s[44:45]
	s_cbranch_execz .LBB1269_24
; %bb.23:                               ;   in Loop: Header=BB1269_20 Depth=1
	v_bcnt_u32_b32 v4, v4, 0
	v_bcnt_u32_b32 v4, v5, v4
	s_waitcnt lgkmcnt(0)
	v_add_u32_e32 v4, v29, v4
	ds_write_b32 v30, v4 offset:16
.LBB1269_24:                            ;   in Loop: Header=BB1269_20 Depth=1
	s_or_b64 exec, exec, s[26:27]
	v_lshrrev_b32_e32 v4, s34, v26
	v_and_b32_e32 v6, s40, v4
	v_lshlrev_b32_e32 v4, 4, v6
	v_and_b32_e32 v16, 1, v6
	v_add_u32_e32 v33, v11, v4
	v_lshl_add_u64 v[4:5], v[16:17], 0, -1
	v_cmp_ne_u32_e32 vcc, 0, v16
	; wave barrier
	s_nop 1
	v_xor_b32_e32 v5, vcc_hi, v5
	v_xor_b32_e32 v4, vcc_lo, v4
	v_and_b32_e32 v7, exec_hi, v5
	v_and_b32_e32 v16, exec_lo, v4
	v_lshlrev_b32_e32 v5, 30, v6
	v_mov_b32_e32 v4, v17
	v_cmp_gt_i64_e32 vcc, 0, v[4:5]
	v_not_b32_e32 v4, v5
	v_ashrrev_i32_e32 v4, 31, v4
	v_xor_b32_e32 v5, vcc_hi, v4
	v_xor_b32_e32 v4, vcc_lo, v4
	v_and_b32_e32 v7, v7, v5
	v_and_b32_e32 v16, v16, v4
	v_lshlrev_b32_e32 v5, 29, v6
	v_mov_b32_e32 v4, v17
	v_cmp_gt_i64_e32 vcc, 0, v[4:5]
	v_not_b32_e32 v4, v5
	v_ashrrev_i32_e32 v4, 31, v4
	v_xor_b32_e32 v5, vcc_hi, v4
	v_xor_b32_e32 v4, vcc_lo, v4
	v_and_b32_e32 v7, v7, v5
	v_and_b32_e32 v16, v16, v4
	v_lshlrev_b32_e32 v5, 28, v6
	v_mov_b32_e32 v4, v17
	v_cmp_gt_i64_e32 vcc, 0, v[4:5]
	v_not_b32_e32 v4, v5
	v_ashrrev_i32_e32 v4, 31, v4
	v_xor_b32_e32 v5, vcc_hi, v4
	v_xor_b32_e32 v4, vcc_lo, v4
	v_and_b32_e32 v7, v7, v5
	v_and_b32_e32 v16, v16, v4
	v_lshlrev_b32_e32 v5, 27, v6
	v_mov_b32_e32 v4, v17
	v_cmp_gt_i64_e32 vcc, 0, v[4:5]
	v_not_b32_e32 v4, v5
	v_ashrrev_i32_e32 v4, 31, v4
	v_xor_b32_e32 v5, vcc_hi, v4
	v_xor_b32_e32 v4, vcc_lo, v4
	v_and_b32_e32 v7, v7, v5
	v_and_b32_e32 v16, v16, v4
	v_lshlrev_b32_e32 v5, 26, v6
	v_mov_b32_e32 v4, v17
	v_cmp_gt_i64_e32 vcc, 0, v[4:5]
	v_not_b32_e32 v4, v5
	v_ashrrev_i32_e32 v4, 31, v4
	v_xor_b32_e32 v5, vcc_hi, v4
	v_xor_b32_e32 v4, vcc_lo, v4
	v_and_b32_e32 v7, v7, v5
	v_and_b32_e32 v16, v16, v4
	v_lshlrev_b32_e32 v5, 25, v6
	v_mov_b32_e32 v4, v17
	v_cmp_gt_i64_e32 vcc, 0, v[4:5]
	v_not_b32_e32 v4, v5
	v_ashrrev_i32_e32 v4, 31, v4
	v_xor_b32_e32 v5, vcc_hi, v4
	v_xor_b32_e32 v4, vcc_lo, v4
	v_and_b32_e32 v7, v7, v5
	v_and_b32_e32 v16, v16, v4
	v_lshlrev_b32_e32 v5, 24, v6
	v_mov_b32_e32 v4, v17
	v_cmp_gt_i64_e32 vcc, 0, v[4:5]
	v_not_b32_e32 v4, v5
	v_ashrrev_i32_e32 v4, 31, v4
	v_xor_b32_e32 v5, vcc_hi, v4
	v_xor_b32_e32 v4, vcc_lo, v4
	ds_read_b32 v32, v33 offset:16
	v_and_b32_e32 v4, v16, v4
	v_and_b32_e32 v5, v7, v5
	v_mbcnt_lo_u32_b32 v6, v4, 0
	v_mbcnt_hi_u32_b32 v34, v5, v6
	v_cmp_eq_u32_e32 vcc, 0, v34
	v_cmp_ne_u64_e64 s[26:27], 0, v[4:5]
	s_and_b64 s[44:45], s[26:27], vcc
	; wave barrier
	s_and_saveexec_b64 s[26:27], s[44:45]
	s_cbranch_execz .LBB1269_26
; %bb.25:                               ;   in Loop: Header=BB1269_20 Depth=1
	v_bcnt_u32_b32 v4, v4, 0
	v_bcnt_u32_b32 v4, v5, v4
	s_waitcnt lgkmcnt(0)
	v_add_u32_e32 v4, v32, v4
	ds_write_b32 v33, v4 offset:16
.LBB1269_26:                            ;   in Loop: Header=BB1269_20 Depth=1
	s_or_b64 exec, exec, s[26:27]
	v_lshrrev_b32_e32 v4, s34, v25
	v_and_b32_e32 v6, s40, v4
	v_lshlrev_b32_e32 v4, 4, v6
	v_and_b32_e32 v16, 1, v6
	v_add_u32_e32 v36, v11, v4
	v_lshl_add_u64 v[4:5], v[16:17], 0, -1
	v_cmp_ne_u32_e32 vcc, 0, v16
	; wave barrier
	s_nop 1
	v_xor_b32_e32 v5, vcc_hi, v5
	v_xor_b32_e32 v4, vcc_lo, v4
	v_and_b32_e32 v7, exec_hi, v5
	v_and_b32_e32 v16, exec_lo, v4
	v_lshlrev_b32_e32 v5, 30, v6
	v_mov_b32_e32 v4, v17
	v_cmp_gt_i64_e32 vcc, 0, v[4:5]
	v_not_b32_e32 v4, v5
	v_ashrrev_i32_e32 v4, 31, v4
	v_xor_b32_e32 v5, vcc_hi, v4
	v_xor_b32_e32 v4, vcc_lo, v4
	v_and_b32_e32 v7, v7, v5
	v_and_b32_e32 v16, v16, v4
	v_lshlrev_b32_e32 v5, 29, v6
	v_mov_b32_e32 v4, v17
	v_cmp_gt_i64_e32 vcc, 0, v[4:5]
	v_not_b32_e32 v4, v5
	v_ashrrev_i32_e32 v4, 31, v4
	v_xor_b32_e32 v5, vcc_hi, v4
	v_xor_b32_e32 v4, vcc_lo, v4
	v_and_b32_e32 v7, v7, v5
	v_and_b32_e32 v16, v16, v4
	;; [unrolled: 9-line block ×6, first 2 shown]
	v_lshlrev_b32_e32 v5, 24, v6
	v_mov_b32_e32 v4, v17
	v_cmp_gt_i64_e32 vcc, 0, v[4:5]
	v_not_b32_e32 v4, v5
	v_ashrrev_i32_e32 v4, 31, v4
	v_xor_b32_e32 v5, vcc_hi, v4
	v_xor_b32_e32 v4, vcc_lo, v4
	ds_read_b32 v35, v36 offset:16
	v_and_b32_e32 v4, v16, v4
	v_and_b32_e32 v5, v7, v5
	v_mbcnt_lo_u32_b32 v6, v4, 0
	v_mbcnt_hi_u32_b32 v16, v5, v6
	v_cmp_eq_u32_e32 vcc, 0, v16
	v_cmp_ne_u64_e64 s[26:27], 0, v[4:5]
	s_and_b64 s[40:41], s[26:27], vcc
	; wave barrier
	s_and_saveexec_b64 s[26:27], s[40:41]
	s_cbranch_execz .LBB1269_28
; %bb.27:                               ;   in Loop: Header=BB1269_20 Depth=1
	v_bcnt_u32_b32 v4, v4, 0
	v_bcnt_u32_b32 v4, v5, v4
	s_waitcnt lgkmcnt(0)
	v_add_u32_e32 v4, v35, v4
	ds_write_b32 v36, v4 offset:16
.LBB1269_28:                            ;   in Loop: Header=BB1269_20 Depth=1
	s_or_b64 exec, exec, s[26:27]
	; wave barrier
	s_waitcnt lgkmcnt(0)
	s_barrier
	ds_read2_b64 v[4:7], v9 offset0:2 offset1:3
	s_waitcnt lgkmcnt(0)
	v_add_u32_e32 v37, v5, v4
	v_add3_u32 v7, v37, v6, v7
	s_nop 1
	v_mov_b32_dpp v37, v7 row_shr:1 row_mask:0xf bank_mask:0xf
	v_cndmask_b32_e64 v37, v37, 0, s[0:1]
	v_add_u32_e32 v7, v37, v7
	s_nop 1
	v_mov_b32_dpp v37, v7 row_shr:2 row_mask:0xf bank_mask:0xf
	v_cndmask_b32_e64 v37, 0, v37, s[2:3]
	v_add_u32_e32 v7, v7, v37
	s_nop 1
	v_mov_b32_dpp v37, v7 row_shr:4 row_mask:0xf bank_mask:0xf
	v_cndmask_b32_e64 v37, 0, v37, s[4:5]
	v_add_u32_e32 v7, v7, v37
	s_nop 1
	v_mov_b32_dpp v37, v7 row_shr:8 row_mask:0xf bank_mask:0xf
	v_cndmask_b32_e64 v37, 0, v37, s[6:7]
	v_add_u32_e32 v7, v7, v37
	s_nop 1
	v_mov_b32_dpp v37, v7 row_bcast:15 row_mask:0xf bank_mask:0xf
	v_cndmask_b32_e64 v37, v37, 0, s[8:9]
	v_add_u32_e32 v7, v7, v37
	s_nop 1
	v_mov_b32_dpp v37, v7 row_bcast:31 row_mask:0xf bank_mask:0xf
	v_cndmask_b32_e64 v37, 0, v37, s[10:11]
	v_add_u32_e32 v7, v7, v37
	s_and_saveexec_b64 s[26:27], s[12:13]
; %bb.29:                               ;   in Loop: Header=BB1269_20 Depth=1
	ds_write_b32 v22, v7
; %bb.30:                               ;   in Loop: Header=BB1269_20 Depth=1
	s_or_b64 exec, exec, s[26:27]
	s_waitcnt lgkmcnt(0)
	s_barrier
	s_and_saveexec_b64 s[26:27], s[14:15]
	s_cbranch_execz .LBB1269_32
; %bb.31:                               ;   in Loop: Header=BB1269_20 Depth=1
	v_add_u32_e32 v37, v9, v20
	ds_read_b32 v38, v37
	s_waitcnt lgkmcnt(0)
	s_nop 0
	v_mov_b32_dpp v39, v38 row_shr:1 row_mask:0xf bank_mask:0xf
	v_cndmask_b32_e64 v39, v39, 0, s[22:23]
	v_add_u32_e32 v38, v39, v38
	s_nop 1
	v_mov_b32_dpp v39, v38 row_shr:2 row_mask:0xf bank_mask:0xf
	v_cndmask_b32_e64 v39, 0, v39, s[24:25]
	v_add_u32_e32 v38, v38, v39
	ds_write_b32 v37, v38
.LBB1269_32:                            ;   in Loop: Header=BB1269_20 Depth=1
	s_or_b64 exec, exec, s[26:27]
	v_mov_b32_e32 v37, 0
	s_waitcnt lgkmcnt(0)
	s_barrier
	s_and_saveexec_b64 s[26:27], s[16:17]
; %bb.33:                               ;   in Loop: Header=BB1269_20 Depth=1
	ds_read_b32 v37, v23
; %bb.34:                               ;   in Loop: Header=BB1269_20 Depth=1
	s_or_b64 exec, exec, s[26:27]
	s_waitcnt lgkmcnt(0)
	v_add_u32_e32 v7, v37, v7
	ds_bpermute_b32 v7, v21, v7
	s_add_i32 s34, s34, 8
	s_cmp_ge_u32 s34, s36
	s_mov_b64 s[26:27], -1
	v_readfirstlane_b32 s40, v0
	s_waitcnt lgkmcnt(0)
	v_cndmask_b32_e64 v7, v7, v37, s[18:19]
	v_cndmask_b32_e64 v38, v7, 0, s[20:21]
	v_add_u32_e32 v39, v38, v4
	v_add_u32_e32 v4, v39, v5
	;; [unrolled: 1-line block ×3, first 2 shown]
	ds_write2_b64 v9, v[38:39], v[4:5] offset0:2 offset1:3
	s_waitcnt lgkmcnt(0)
	s_barrier
	ds_read_b32 v4, v19 offset:16
	ds_read_b32 v5, v30 offset:16
	;; [unrolled: 1-line block ×4, first 2 shown]
	v_lshlrev_b32_e32 v6, 2, v18
	s_waitcnt lgkmcnt(3)
	v_lshl_add_u32 v6, v4, 2, v6
	v_lshlrev_b32_e32 v4, 2, v31
	v_lshlrev_b32_e32 v7, 2, v29
	s_waitcnt lgkmcnt(2)
	v_lshlrev_b32_e32 v5, 2, v5
	v_add3_u32 v7, v4, v7, v5
	v_lshlrev_b32_e32 v4, 2, v34
	v_lshlrev_b32_e32 v5, 2, v32
	s_waitcnt lgkmcnt(1)
	v_lshlrev_b32_e32 v18, 2, v19
	v_add3_u32 v29, v4, v5, v18
	;; [unrolled: 5-line block ×3, first 2 shown]
                                        ; implicit-def: $vgpr5
                                        ; implicit-def: $vgpr19
                                        ; implicit-def: $vgpr30_vgpr31_vgpr32_vgpr33
	s_cbranch_scc1 .LBB1269_19
; %bb.35:                               ;   in Loop: Header=BB1269_20 Depth=1
	s_barrier
	ds_write_b32 v6, v28
	ds_write_b32 v7, v27
	ds_write_b32 v29, v26
	ds_write_b32 v16, v25
	s_waitcnt lgkmcnt(0)
	s_barrier
	ds_read2st64_b32 v[18:19], v24 offset1:1
	ds_read2st64_b32 v[4:5], v24 offset0:2 offset1:3
	s_waitcnt lgkmcnt(0)
	s_barrier
	ds_write_b32 v6, v0
	ds_write_b32 v7, v1
	;; [unrolled: 1-line block ×4, first 2 shown]
	s_waitcnt lgkmcnt(0)
	s_barrier
	ds_read2st64_b32 v[30:31], v24 offset1:1
	ds_read2st64_b32 v[32:33], v24 offset0:2 offset1:3
	s_add_i32 s40, s35, -8
	s_mov_b64 s[26:27], 0
	s_waitcnt lgkmcnt(0)
	s_barrier
	s_branch .LBB1269_19
.LBB1269_36:
	v_add_u32_e32 v9, v9, v20
	s_barrier
	ds_write_b32 v6, v28
	ds_write_b32 v7, v27
	;; [unrolled: 1-line block ×4, first 2 shown]
	s_waitcnt lgkmcnt(0)
	s_barrier
	ds_read2st64_b32 v[4:5], v9 offset1:4
	ds_read2st64_b32 v[14:15], v9 offset0:8 offset1:12
	s_waitcnt lgkmcnt(0)
	s_barrier
	ds_write_b32 v6, v0
	ds_write_b32 v7, v1
	;; [unrolled: 1-line block ×4, first 2 shown]
	s_waitcnt lgkmcnt(0)
	s_barrier
	ds_read2st64_b32 v[2:3], v9 offset1:4
	ds_read2st64_b32 v[0:1], v9 offset0:8 offset1:12
	s_add_u32 s0, s38, s28
	s_addc_u32 s1, s39, s29
	v_mov_b32_e32 v9, 0
	v_xor_b32_e32 v12, 0x80000000, v4
	v_xor_b32_e32 v11, 0x80000000, v5
	;; [unrolled: 1-line block ×4, first 2 shown]
	s_andn2_b64 vcc, exec, s[30:31]
	v_lshl_add_u64 v[4:5], s[0:1], 0, v[8:9]
	s_cbranch_vccnz .LBB1269_38
; %bb.37:
	s_add_u32 s0, s42, s28
	s_addc_u32 s1, s43, s29
	global_store_dword v[4:5], v12, off
	global_store_dword v[4:5], v11, off offset:1024
	global_store_dword v[4:5], v7, off offset:2048
	;; [unrolled: 1-line block ×3, first 2 shown]
	s_waitcnt lgkmcnt(1)
	global_store_dword v8, v2, s[0:1]
	global_store_dword v8, v3, s[0:1] offset:1024
	s_waitcnt lgkmcnt(0)
	global_store_dword v8, v0, s[0:1] offset:2048
	s_mov_b64 s[4:5], -1
	s_cbranch_execz .LBB1269_39
	s_branch .LBB1269_52
.LBB1269_38:
	s_mov_b64 s[4:5], 0
.LBB1269_39:
	v_cmp_gt_u32_e32 vcc, s33, v10
	s_and_saveexec_b64 s[0:1], vcc
	s_cbranch_execz .LBB1269_41
; %bb.40:
	global_store_dword v[4:5], v12, off
.LBB1269_41:
	s_or_b64 exec, exec, s[0:1]
	v_add_u32_e32 v9, 0x100, v10
	v_cmp_gt_u32_e64 s[0:1], s33, v9
	s_and_saveexec_b64 s[2:3], s[0:1]
	s_cbranch_execz .LBB1269_43
; %bb.42:
	global_store_dword v[4:5], v11, off offset:1024
.LBB1269_43:
	s_or_b64 exec, exec, s[2:3]
	v_add_u32_e32 v9, 0x200, v10
	v_cmp_gt_u32_e64 s[2:3], s33, v9
	s_and_saveexec_b64 s[4:5], s[2:3]
	s_cbranch_execz .LBB1269_45
; %bb.44:
	global_store_dword v[4:5], v7, off offset:2048
.LBB1269_45:
	;; [unrolled: 8-line block ×3, first 2 shown]
	s_or_b64 exec, exec, s[6:7]
	s_add_u32 s6, s42, s28
	s_addc_u32 s7, s43, s29
	v_mov_b32_e32 v9, 0
	v_lshl_add_u64 v[4:5], s[6:7], 0, v[8:9]
	s_and_saveexec_b64 s[6:7], vcc
	s_cbranch_execnz .LBB1269_57
; %bb.48:
	s_or_b64 exec, exec, s[6:7]
	s_and_saveexec_b64 s[6:7], s[0:1]
	s_cbranch_execnz .LBB1269_58
.LBB1269_49:
	s_or_b64 exec, exec, s[6:7]
	s_and_saveexec_b64 s[0:1], s[2:3]
	s_cbranch_execz .LBB1269_51
.LBB1269_50:
	s_waitcnt lgkmcnt(0)
	global_store_dword v[4:5], v0, off offset:2048
.LBB1269_51:
	s_or_b64 exec, exec, s[0:1]
.LBB1269_52:
	s_and_saveexec_b64 s[0:1], s[4:5]
	s_cbranch_execnz .LBB1269_54
; %bb.53:
	s_endpgm
.LBB1269_54:
	s_add_u32 s0, s42, s28
	s_addc_u32 s1, s43, s29
	s_waitcnt lgkmcnt(0)
	global_store_dword v8, v1, s[0:1] offset:3072
	s_endpgm
.LBB1269_55:
	global_load_dword v30, v[14:15], off
	v_mov_b32_e32 v31, v13
	v_mov_b32_e32 v32, v13
	;; [unrolled: 1-line block ×3, first 2 shown]
	s_or_b64 exec, exec, s[8:9]
	s_and_saveexec_b64 s[8:9], s[2:3]
	s_cbranch_execz .LBB1269_13
.LBB1269_56:
	global_load_dword v31, v[14:15], off offset:256
	s_or_b64 exec, exec, s[8:9]
	s_and_saveexec_b64 s[2:3], s[4:5]
	s_cbranch_execnz .LBB1269_14
	s_branch .LBB1269_15
.LBB1269_57:
	s_waitcnt lgkmcnt(1)
	global_store_dword v[4:5], v2, off
	s_or_b64 exec, exec, s[6:7]
	s_and_saveexec_b64 s[6:7], s[0:1]
	s_cbranch_execz .LBB1269_49
.LBB1269_58:
	s_waitcnt lgkmcnt(1)
	global_store_dword v[4:5], v3, off offset:1024
	s_or_b64 exec, exec, s[6:7]
	s_and_saveexec_b64 s[0:1], s[2:3]
	s_cbranch_execnz .LBB1269_50
	s_branch .LBB1269_51
	.section	.rodata,"a",@progbits
	.p2align	6, 0x0
	.amdhsa_kernel _ZN7rocprim17ROCPRIM_400000_NS6detail17trampoline_kernelINS0_13kernel_configILj256ELj4ELj4294967295EEENS1_37radix_sort_block_sort_config_selectorIiiEEZNS1_21radix_sort_block_sortIS4_Lb0EN6thrust23THRUST_200600_302600_NS6detail15normal_iteratorINS9_10device_ptrIiEEEESE_SE_SE_NS0_19identity_decomposerEEE10hipError_tT1_T2_T3_T4_jRjT5_jjP12ihipStream_tbEUlT_E_NS1_11comp_targetILNS1_3genE0ELNS1_11target_archE4294967295ELNS1_3gpuE0ELNS1_3repE0EEENS1_44radix_sort_block_sort_config_static_selectorELNS0_4arch9wavefront6targetE1EEEvSH_
		.amdhsa_group_segment_fixed_size 4112
		.amdhsa_private_segment_fixed_size 0
		.amdhsa_kernarg_size 304
		.amdhsa_user_sgpr_count 2
		.amdhsa_user_sgpr_dispatch_ptr 0
		.amdhsa_user_sgpr_queue_ptr 0
		.amdhsa_user_sgpr_kernarg_segment_ptr 1
		.amdhsa_user_sgpr_dispatch_id 0
		.amdhsa_user_sgpr_kernarg_preload_length 0
		.amdhsa_user_sgpr_kernarg_preload_offset 0
		.amdhsa_user_sgpr_private_segment_size 0
		.amdhsa_uses_dynamic_stack 0
		.amdhsa_enable_private_segment 0
		.amdhsa_system_sgpr_workgroup_id_x 1
		.amdhsa_system_sgpr_workgroup_id_y 0
		.amdhsa_system_sgpr_workgroup_id_z 0
		.amdhsa_system_sgpr_workgroup_info 0
		.amdhsa_system_vgpr_workitem_id 2
		.amdhsa_next_free_vgpr 40
		.amdhsa_next_free_sgpr 46
		.amdhsa_accum_offset 40
		.amdhsa_reserve_vcc 1
		.amdhsa_float_round_mode_32 0
		.amdhsa_float_round_mode_16_64 0
		.amdhsa_float_denorm_mode_32 3
		.amdhsa_float_denorm_mode_16_64 3
		.amdhsa_dx10_clamp 1
		.amdhsa_ieee_mode 1
		.amdhsa_fp16_overflow 0
		.amdhsa_tg_split 0
		.amdhsa_exception_fp_ieee_invalid_op 0
		.amdhsa_exception_fp_denorm_src 0
		.amdhsa_exception_fp_ieee_div_zero 0
		.amdhsa_exception_fp_ieee_overflow 0
		.amdhsa_exception_fp_ieee_underflow 0
		.amdhsa_exception_fp_ieee_inexact 0
		.amdhsa_exception_int_div_zero 0
	.end_amdhsa_kernel
	.section	.text._ZN7rocprim17ROCPRIM_400000_NS6detail17trampoline_kernelINS0_13kernel_configILj256ELj4ELj4294967295EEENS1_37radix_sort_block_sort_config_selectorIiiEEZNS1_21radix_sort_block_sortIS4_Lb0EN6thrust23THRUST_200600_302600_NS6detail15normal_iteratorINS9_10device_ptrIiEEEESE_SE_SE_NS0_19identity_decomposerEEE10hipError_tT1_T2_T3_T4_jRjT5_jjP12ihipStream_tbEUlT_E_NS1_11comp_targetILNS1_3genE0ELNS1_11target_archE4294967295ELNS1_3gpuE0ELNS1_3repE0EEENS1_44radix_sort_block_sort_config_static_selectorELNS0_4arch9wavefront6targetE1EEEvSH_,"axG",@progbits,_ZN7rocprim17ROCPRIM_400000_NS6detail17trampoline_kernelINS0_13kernel_configILj256ELj4ELj4294967295EEENS1_37radix_sort_block_sort_config_selectorIiiEEZNS1_21radix_sort_block_sortIS4_Lb0EN6thrust23THRUST_200600_302600_NS6detail15normal_iteratorINS9_10device_ptrIiEEEESE_SE_SE_NS0_19identity_decomposerEEE10hipError_tT1_T2_T3_T4_jRjT5_jjP12ihipStream_tbEUlT_E_NS1_11comp_targetILNS1_3genE0ELNS1_11target_archE4294967295ELNS1_3gpuE0ELNS1_3repE0EEENS1_44radix_sort_block_sort_config_static_selectorELNS0_4arch9wavefront6targetE1EEEvSH_,comdat
.Lfunc_end1269:
	.size	_ZN7rocprim17ROCPRIM_400000_NS6detail17trampoline_kernelINS0_13kernel_configILj256ELj4ELj4294967295EEENS1_37radix_sort_block_sort_config_selectorIiiEEZNS1_21radix_sort_block_sortIS4_Lb0EN6thrust23THRUST_200600_302600_NS6detail15normal_iteratorINS9_10device_ptrIiEEEESE_SE_SE_NS0_19identity_decomposerEEE10hipError_tT1_T2_T3_T4_jRjT5_jjP12ihipStream_tbEUlT_E_NS1_11comp_targetILNS1_3genE0ELNS1_11target_archE4294967295ELNS1_3gpuE0ELNS1_3repE0EEENS1_44radix_sort_block_sort_config_static_selectorELNS0_4arch9wavefront6targetE1EEEvSH_, .Lfunc_end1269-_ZN7rocprim17ROCPRIM_400000_NS6detail17trampoline_kernelINS0_13kernel_configILj256ELj4ELj4294967295EEENS1_37radix_sort_block_sort_config_selectorIiiEEZNS1_21radix_sort_block_sortIS4_Lb0EN6thrust23THRUST_200600_302600_NS6detail15normal_iteratorINS9_10device_ptrIiEEEESE_SE_SE_NS0_19identity_decomposerEEE10hipError_tT1_T2_T3_T4_jRjT5_jjP12ihipStream_tbEUlT_E_NS1_11comp_targetILNS1_3genE0ELNS1_11target_archE4294967295ELNS1_3gpuE0ELNS1_3repE0EEENS1_44radix_sort_block_sort_config_static_selectorELNS0_4arch9wavefront6targetE1EEEvSH_
                                        ; -- End function
	.set _ZN7rocprim17ROCPRIM_400000_NS6detail17trampoline_kernelINS0_13kernel_configILj256ELj4ELj4294967295EEENS1_37radix_sort_block_sort_config_selectorIiiEEZNS1_21radix_sort_block_sortIS4_Lb0EN6thrust23THRUST_200600_302600_NS6detail15normal_iteratorINS9_10device_ptrIiEEEESE_SE_SE_NS0_19identity_decomposerEEE10hipError_tT1_T2_T3_T4_jRjT5_jjP12ihipStream_tbEUlT_E_NS1_11comp_targetILNS1_3genE0ELNS1_11target_archE4294967295ELNS1_3gpuE0ELNS1_3repE0EEENS1_44radix_sort_block_sort_config_static_selectorELNS0_4arch9wavefront6targetE1EEEvSH_.num_vgpr, 40
	.set _ZN7rocprim17ROCPRIM_400000_NS6detail17trampoline_kernelINS0_13kernel_configILj256ELj4ELj4294967295EEENS1_37radix_sort_block_sort_config_selectorIiiEEZNS1_21radix_sort_block_sortIS4_Lb0EN6thrust23THRUST_200600_302600_NS6detail15normal_iteratorINS9_10device_ptrIiEEEESE_SE_SE_NS0_19identity_decomposerEEE10hipError_tT1_T2_T3_T4_jRjT5_jjP12ihipStream_tbEUlT_E_NS1_11comp_targetILNS1_3genE0ELNS1_11target_archE4294967295ELNS1_3gpuE0ELNS1_3repE0EEENS1_44radix_sort_block_sort_config_static_selectorELNS0_4arch9wavefront6targetE1EEEvSH_.num_agpr, 0
	.set _ZN7rocprim17ROCPRIM_400000_NS6detail17trampoline_kernelINS0_13kernel_configILj256ELj4ELj4294967295EEENS1_37radix_sort_block_sort_config_selectorIiiEEZNS1_21radix_sort_block_sortIS4_Lb0EN6thrust23THRUST_200600_302600_NS6detail15normal_iteratorINS9_10device_ptrIiEEEESE_SE_SE_NS0_19identity_decomposerEEE10hipError_tT1_T2_T3_T4_jRjT5_jjP12ihipStream_tbEUlT_E_NS1_11comp_targetILNS1_3genE0ELNS1_11target_archE4294967295ELNS1_3gpuE0ELNS1_3repE0EEENS1_44radix_sort_block_sort_config_static_selectorELNS0_4arch9wavefront6targetE1EEEvSH_.numbered_sgpr, 46
	.set _ZN7rocprim17ROCPRIM_400000_NS6detail17trampoline_kernelINS0_13kernel_configILj256ELj4ELj4294967295EEENS1_37radix_sort_block_sort_config_selectorIiiEEZNS1_21radix_sort_block_sortIS4_Lb0EN6thrust23THRUST_200600_302600_NS6detail15normal_iteratorINS9_10device_ptrIiEEEESE_SE_SE_NS0_19identity_decomposerEEE10hipError_tT1_T2_T3_T4_jRjT5_jjP12ihipStream_tbEUlT_E_NS1_11comp_targetILNS1_3genE0ELNS1_11target_archE4294967295ELNS1_3gpuE0ELNS1_3repE0EEENS1_44radix_sort_block_sort_config_static_selectorELNS0_4arch9wavefront6targetE1EEEvSH_.num_named_barrier, 0
	.set _ZN7rocprim17ROCPRIM_400000_NS6detail17trampoline_kernelINS0_13kernel_configILj256ELj4ELj4294967295EEENS1_37radix_sort_block_sort_config_selectorIiiEEZNS1_21radix_sort_block_sortIS4_Lb0EN6thrust23THRUST_200600_302600_NS6detail15normal_iteratorINS9_10device_ptrIiEEEESE_SE_SE_NS0_19identity_decomposerEEE10hipError_tT1_T2_T3_T4_jRjT5_jjP12ihipStream_tbEUlT_E_NS1_11comp_targetILNS1_3genE0ELNS1_11target_archE4294967295ELNS1_3gpuE0ELNS1_3repE0EEENS1_44radix_sort_block_sort_config_static_selectorELNS0_4arch9wavefront6targetE1EEEvSH_.private_seg_size, 0
	.set _ZN7rocprim17ROCPRIM_400000_NS6detail17trampoline_kernelINS0_13kernel_configILj256ELj4ELj4294967295EEENS1_37radix_sort_block_sort_config_selectorIiiEEZNS1_21radix_sort_block_sortIS4_Lb0EN6thrust23THRUST_200600_302600_NS6detail15normal_iteratorINS9_10device_ptrIiEEEESE_SE_SE_NS0_19identity_decomposerEEE10hipError_tT1_T2_T3_T4_jRjT5_jjP12ihipStream_tbEUlT_E_NS1_11comp_targetILNS1_3genE0ELNS1_11target_archE4294967295ELNS1_3gpuE0ELNS1_3repE0EEENS1_44radix_sort_block_sort_config_static_selectorELNS0_4arch9wavefront6targetE1EEEvSH_.uses_vcc, 1
	.set _ZN7rocprim17ROCPRIM_400000_NS6detail17trampoline_kernelINS0_13kernel_configILj256ELj4ELj4294967295EEENS1_37radix_sort_block_sort_config_selectorIiiEEZNS1_21radix_sort_block_sortIS4_Lb0EN6thrust23THRUST_200600_302600_NS6detail15normal_iteratorINS9_10device_ptrIiEEEESE_SE_SE_NS0_19identity_decomposerEEE10hipError_tT1_T2_T3_T4_jRjT5_jjP12ihipStream_tbEUlT_E_NS1_11comp_targetILNS1_3genE0ELNS1_11target_archE4294967295ELNS1_3gpuE0ELNS1_3repE0EEENS1_44radix_sort_block_sort_config_static_selectorELNS0_4arch9wavefront6targetE1EEEvSH_.uses_flat_scratch, 0
	.set _ZN7rocprim17ROCPRIM_400000_NS6detail17trampoline_kernelINS0_13kernel_configILj256ELj4ELj4294967295EEENS1_37radix_sort_block_sort_config_selectorIiiEEZNS1_21radix_sort_block_sortIS4_Lb0EN6thrust23THRUST_200600_302600_NS6detail15normal_iteratorINS9_10device_ptrIiEEEESE_SE_SE_NS0_19identity_decomposerEEE10hipError_tT1_T2_T3_T4_jRjT5_jjP12ihipStream_tbEUlT_E_NS1_11comp_targetILNS1_3genE0ELNS1_11target_archE4294967295ELNS1_3gpuE0ELNS1_3repE0EEENS1_44radix_sort_block_sort_config_static_selectorELNS0_4arch9wavefront6targetE1EEEvSH_.has_dyn_sized_stack, 0
	.set _ZN7rocprim17ROCPRIM_400000_NS6detail17trampoline_kernelINS0_13kernel_configILj256ELj4ELj4294967295EEENS1_37radix_sort_block_sort_config_selectorIiiEEZNS1_21radix_sort_block_sortIS4_Lb0EN6thrust23THRUST_200600_302600_NS6detail15normal_iteratorINS9_10device_ptrIiEEEESE_SE_SE_NS0_19identity_decomposerEEE10hipError_tT1_T2_T3_T4_jRjT5_jjP12ihipStream_tbEUlT_E_NS1_11comp_targetILNS1_3genE0ELNS1_11target_archE4294967295ELNS1_3gpuE0ELNS1_3repE0EEENS1_44radix_sort_block_sort_config_static_selectorELNS0_4arch9wavefront6targetE1EEEvSH_.has_recursion, 0
	.set _ZN7rocprim17ROCPRIM_400000_NS6detail17trampoline_kernelINS0_13kernel_configILj256ELj4ELj4294967295EEENS1_37radix_sort_block_sort_config_selectorIiiEEZNS1_21radix_sort_block_sortIS4_Lb0EN6thrust23THRUST_200600_302600_NS6detail15normal_iteratorINS9_10device_ptrIiEEEESE_SE_SE_NS0_19identity_decomposerEEE10hipError_tT1_T2_T3_T4_jRjT5_jjP12ihipStream_tbEUlT_E_NS1_11comp_targetILNS1_3genE0ELNS1_11target_archE4294967295ELNS1_3gpuE0ELNS1_3repE0EEENS1_44radix_sort_block_sort_config_static_selectorELNS0_4arch9wavefront6targetE1EEEvSH_.has_indirect_call, 0
	.section	.AMDGPU.csdata,"",@progbits
; Kernel info:
; codeLenInByte = 3840
; TotalNumSgprs: 52
; NumVgprs: 40
; NumAgprs: 0
; TotalNumVgprs: 40
; ScratchSize: 0
; MemoryBound: 0
; FloatMode: 240
; IeeeMode: 1
; LDSByteSize: 4112 bytes/workgroup (compile time only)
; SGPRBlocks: 6
; VGPRBlocks: 4
; NumSGPRsForWavesPerEU: 52
; NumVGPRsForWavesPerEU: 40
; AccumOffset: 40
; Occupancy: 8
; WaveLimiterHint : 1
; COMPUTE_PGM_RSRC2:SCRATCH_EN: 0
; COMPUTE_PGM_RSRC2:USER_SGPR: 2
; COMPUTE_PGM_RSRC2:TRAP_HANDLER: 0
; COMPUTE_PGM_RSRC2:TGID_X_EN: 1
; COMPUTE_PGM_RSRC2:TGID_Y_EN: 0
; COMPUTE_PGM_RSRC2:TGID_Z_EN: 0
; COMPUTE_PGM_RSRC2:TIDIG_COMP_CNT: 2
; COMPUTE_PGM_RSRC3_GFX90A:ACCUM_OFFSET: 9
; COMPUTE_PGM_RSRC3_GFX90A:TG_SPLIT: 0
	.section	.text._ZN7rocprim17ROCPRIM_400000_NS6detail17trampoline_kernelINS0_13kernel_configILj256ELj4ELj4294967295EEENS1_37radix_sort_block_sort_config_selectorIiiEEZNS1_21radix_sort_block_sortIS4_Lb0EN6thrust23THRUST_200600_302600_NS6detail15normal_iteratorINS9_10device_ptrIiEEEESE_SE_SE_NS0_19identity_decomposerEEE10hipError_tT1_T2_T3_T4_jRjT5_jjP12ihipStream_tbEUlT_E_NS1_11comp_targetILNS1_3genE5ELNS1_11target_archE942ELNS1_3gpuE9ELNS1_3repE0EEENS1_44radix_sort_block_sort_config_static_selectorELNS0_4arch9wavefront6targetE1EEEvSH_,"axG",@progbits,_ZN7rocprim17ROCPRIM_400000_NS6detail17trampoline_kernelINS0_13kernel_configILj256ELj4ELj4294967295EEENS1_37radix_sort_block_sort_config_selectorIiiEEZNS1_21radix_sort_block_sortIS4_Lb0EN6thrust23THRUST_200600_302600_NS6detail15normal_iteratorINS9_10device_ptrIiEEEESE_SE_SE_NS0_19identity_decomposerEEE10hipError_tT1_T2_T3_T4_jRjT5_jjP12ihipStream_tbEUlT_E_NS1_11comp_targetILNS1_3genE5ELNS1_11target_archE942ELNS1_3gpuE9ELNS1_3repE0EEENS1_44radix_sort_block_sort_config_static_selectorELNS0_4arch9wavefront6targetE1EEEvSH_,comdat
	.protected	_ZN7rocprim17ROCPRIM_400000_NS6detail17trampoline_kernelINS0_13kernel_configILj256ELj4ELj4294967295EEENS1_37radix_sort_block_sort_config_selectorIiiEEZNS1_21radix_sort_block_sortIS4_Lb0EN6thrust23THRUST_200600_302600_NS6detail15normal_iteratorINS9_10device_ptrIiEEEESE_SE_SE_NS0_19identity_decomposerEEE10hipError_tT1_T2_T3_T4_jRjT5_jjP12ihipStream_tbEUlT_E_NS1_11comp_targetILNS1_3genE5ELNS1_11target_archE942ELNS1_3gpuE9ELNS1_3repE0EEENS1_44radix_sort_block_sort_config_static_selectorELNS0_4arch9wavefront6targetE1EEEvSH_ ; -- Begin function _ZN7rocprim17ROCPRIM_400000_NS6detail17trampoline_kernelINS0_13kernel_configILj256ELj4ELj4294967295EEENS1_37radix_sort_block_sort_config_selectorIiiEEZNS1_21radix_sort_block_sortIS4_Lb0EN6thrust23THRUST_200600_302600_NS6detail15normal_iteratorINS9_10device_ptrIiEEEESE_SE_SE_NS0_19identity_decomposerEEE10hipError_tT1_T2_T3_T4_jRjT5_jjP12ihipStream_tbEUlT_E_NS1_11comp_targetILNS1_3genE5ELNS1_11target_archE942ELNS1_3gpuE9ELNS1_3repE0EEENS1_44radix_sort_block_sort_config_static_selectorELNS0_4arch9wavefront6targetE1EEEvSH_
	.globl	_ZN7rocprim17ROCPRIM_400000_NS6detail17trampoline_kernelINS0_13kernel_configILj256ELj4ELj4294967295EEENS1_37radix_sort_block_sort_config_selectorIiiEEZNS1_21radix_sort_block_sortIS4_Lb0EN6thrust23THRUST_200600_302600_NS6detail15normal_iteratorINS9_10device_ptrIiEEEESE_SE_SE_NS0_19identity_decomposerEEE10hipError_tT1_T2_T3_T4_jRjT5_jjP12ihipStream_tbEUlT_E_NS1_11comp_targetILNS1_3genE5ELNS1_11target_archE942ELNS1_3gpuE9ELNS1_3repE0EEENS1_44radix_sort_block_sort_config_static_selectorELNS0_4arch9wavefront6targetE1EEEvSH_
	.p2align	8
	.type	_ZN7rocprim17ROCPRIM_400000_NS6detail17trampoline_kernelINS0_13kernel_configILj256ELj4ELj4294967295EEENS1_37radix_sort_block_sort_config_selectorIiiEEZNS1_21radix_sort_block_sortIS4_Lb0EN6thrust23THRUST_200600_302600_NS6detail15normal_iteratorINS9_10device_ptrIiEEEESE_SE_SE_NS0_19identity_decomposerEEE10hipError_tT1_T2_T3_T4_jRjT5_jjP12ihipStream_tbEUlT_E_NS1_11comp_targetILNS1_3genE5ELNS1_11target_archE942ELNS1_3gpuE9ELNS1_3repE0EEENS1_44radix_sort_block_sort_config_static_selectorELNS0_4arch9wavefront6targetE1EEEvSH_,@function
_ZN7rocprim17ROCPRIM_400000_NS6detail17trampoline_kernelINS0_13kernel_configILj256ELj4ELj4294967295EEENS1_37radix_sort_block_sort_config_selectorIiiEEZNS1_21radix_sort_block_sortIS4_Lb0EN6thrust23THRUST_200600_302600_NS6detail15normal_iteratorINS9_10device_ptrIiEEEESE_SE_SE_NS0_19identity_decomposerEEE10hipError_tT1_T2_T3_T4_jRjT5_jjP12ihipStream_tbEUlT_E_NS1_11comp_targetILNS1_3genE5ELNS1_11target_archE942ELNS1_3gpuE9ELNS1_3repE0EEENS1_44radix_sort_block_sort_config_static_selectorELNS0_4arch9wavefront6targetE1EEEvSH_: ; @_ZN7rocprim17ROCPRIM_400000_NS6detail17trampoline_kernelINS0_13kernel_configILj256ELj4ELj4294967295EEENS1_37radix_sort_block_sort_config_selectorIiiEEZNS1_21radix_sort_block_sortIS4_Lb0EN6thrust23THRUST_200600_302600_NS6detail15normal_iteratorINS9_10device_ptrIiEEEESE_SE_SE_NS0_19identity_decomposerEEE10hipError_tT1_T2_T3_T4_jRjT5_jjP12ihipStream_tbEUlT_E_NS1_11comp_targetILNS1_3genE5ELNS1_11target_archE942ELNS1_3gpuE9ELNS1_3repE0EEENS1_44radix_sort_block_sort_config_static_selectorELNS0_4arch9wavefront6targetE1EEEvSH_
; %bb.0:
	.section	.rodata,"a",@progbits
	.p2align	6, 0x0
	.amdhsa_kernel _ZN7rocprim17ROCPRIM_400000_NS6detail17trampoline_kernelINS0_13kernel_configILj256ELj4ELj4294967295EEENS1_37radix_sort_block_sort_config_selectorIiiEEZNS1_21radix_sort_block_sortIS4_Lb0EN6thrust23THRUST_200600_302600_NS6detail15normal_iteratorINS9_10device_ptrIiEEEESE_SE_SE_NS0_19identity_decomposerEEE10hipError_tT1_T2_T3_T4_jRjT5_jjP12ihipStream_tbEUlT_E_NS1_11comp_targetILNS1_3genE5ELNS1_11target_archE942ELNS1_3gpuE9ELNS1_3repE0EEENS1_44radix_sort_block_sort_config_static_selectorELNS0_4arch9wavefront6targetE1EEEvSH_
		.amdhsa_group_segment_fixed_size 0
		.amdhsa_private_segment_fixed_size 0
		.amdhsa_kernarg_size 48
		.amdhsa_user_sgpr_count 2
		.amdhsa_user_sgpr_dispatch_ptr 0
		.amdhsa_user_sgpr_queue_ptr 0
		.amdhsa_user_sgpr_kernarg_segment_ptr 1
		.amdhsa_user_sgpr_dispatch_id 0
		.amdhsa_user_sgpr_kernarg_preload_length 0
		.amdhsa_user_sgpr_kernarg_preload_offset 0
		.amdhsa_user_sgpr_private_segment_size 0
		.amdhsa_uses_dynamic_stack 0
		.amdhsa_enable_private_segment 0
		.amdhsa_system_sgpr_workgroup_id_x 1
		.amdhsa_system_sgpr_workgroup_id_y 0
		.amdhsa_system_sgpr_workgroup_id_z 0
		.amdhsa_system_sgpr_workgroup_info 0
		.amdhsa_system_vgpr_workitem_id 0
		.amdhsa_next_free_vgpr 1
		.amdhsa_next_free_sgpr 0
		.amdhsa_accum_offset 4
		.amdhsa_reserve_vcc 0
		.amdhsa_float_round_mode_32 0
		.amdhsa_float_round_mode_16_64 0
		.amdhsa_float_denorm_mode_32 3
		.amdhsa_float_denorm_mode_16_64 3
		.amdhsa_dx10_clamp 1
		.amdhsa_ieee_mode 1
		.amdhsa_fp16_overflow 0
		.amdhsa_tg_split 0
		.amdhsa_exception_fp_ieee_invalid_op 0
		.amdhsa_exception_fp_denorm_src 0
		.amdhsa_exception_fp_ieee_div_zero 0
		.amdhsa_exception_fp_ieee_overflow 0
		.amdhsa_exception_fp_ieee_underflow 0
		.amdhsa_exception_fp_ieee_inexact 0
		.amdhsa_exception_int_div_zero 0
	.end_amdhsa_kernel
	.section	.text._ZN7rocprim17ROCPRIM_400000_NS6detail17trampoline_kernelINS0_13kernel_configILj256ELj4ELj4294967295EEENS1_37radix_sort_block_sort_config_selectorIiiEEZNS1_21radix_sort_block_sortIS4_Lb0EN6thrust23THRUST_200600_302600_NS6detail15normal_iteratorINS9_10device_ptrIiEEEESE_SE_SE_NS0_19identity_decomposerEEE10hipError_tT1_T2_T3_T4_jRjT5_jjP12ihipStream_tbEUlT_E_NS1_11comp_targetILNS1_3genE5ELNS1_11target_archE942ELNS1_3gpuE9ELNS1_3repE0EEENS1_44radix_sort_block_sort_config_static_selectorELNS0_4arch9wavefront6targetE1EEEvSH_,"axG",@progbits,_ZN7rocprim17ROCPRIM_400000_NS6detail17trampoline_kernelINS0_13kernel_configILj256ELj4ELj4294967295EEENS1_37radix_sort_block_sort_config_selectorIiiEEZNS1_21radix_sort_block_sortIS4_Lb0EN6thrust23THRUST_200600_302600_NS6detail15normal_iteratorINS9_10device_ptrIiEEEESE_SE_SE_NS0_19identity_decomposerEEE10hipError_tT1_T2_T3_T4_jRjT5_jjP12ihipStream_tbEUlT_E_NS1_11comp_targetILNS1_3genE5ELNS1_11target_archE942ELNS1_3gpuE9ELNS1_3repE0EEENS1_44radix_sort_block_sort_config_static_selectorELNS0_4arch9wavefront6targetE1EEEvSH_,comdat
.Lfunc_end1270:
	.size	_ZN7rocprim17ROCPRIM_400000_NS6detail17trampoline_kernelINS0_13kernel_configILj256ELj4ELj4294967295EEENS1_37radix_sort_block_sort_config_selectorIiiEEZNS1_21radix_sort_block_sortIS4_Lb0EN6thrust23THRUST_200600_302600_NS6detail15normal_iteratorINS9_10device_ptrIiEEEESE_SE_SE_NS0_19identity_decomposerEEE10hipError_tT1_T2_T3_T4_jRjT5_jjP12ihipStream_tbEUlT_E_NS1_11comp_targetILNS1_3genE5ELNS1_11target_archE942ELNS1_3gpuE9ELNS1_3repE0EEENS1_44radix_sort_block_sort_config_static_selectorELNS0_4arch9wavefront6targetE1EEEvSH_, .Lfunc_end1270-_ZN7rocprim17ROCPRIM_400000_NS6detail17trampoline_kernelINS0_13kernel_configILj256ELj4ELj4294967295EEENS1_37radix_sort_block_sort_config_selectorIiiEEZNS1_21radix_sort_block_sortIS4_Lb0EN6thrust23THRUST_200600_302600_NS6detail15normal_iteratorINS9_10device_ptrIiEEEESE_SE_SE_NS0_19identity_decomposerEEE10hipError_tT1_T2_T3_T4_jRjT5_jjP12ihipStream_tbEUlT_E_NS1_11comp_targetILNS1_3genE5ELNS1_11target_archE942ELNS1_3gpuE9ELNS1_3repE0EEENS1_44radix_sort_block_sort_config_static_selectorELNS0_4arch9wavefront6targetE1EEEvSH_
                                        ; -- End function
	.set _ZN7rocprim17ROCPRIM_400000_NS6detail17trampoline_kernelINS0_13kernel_configILj256ELj4ELj4294967295EEENS1_37radix_sort_block_sort_config_selectorIiiEEZNS1_21radix_sort_block_sortIS4_Lb0EN6thrust23THRUST_200600_302600_NS6detail15normal_iteratorINS9_10device_ptrIiEEEESE_SE_SE_NS0_19identity_decomposerEEE10hipError_tT1_T2_T3_T4_jRjT5_jjP12ihipStream_tbEUlT_E_NS1_11comp_targetILNS1_3genE5ELNS1_11target_archE942ELNS1_3gpuE9ELNS1_3repE0EEENS1_44radix_sort_block_sort_config_static_selectorELNS0_4arch9wavefront6targetE1EEEvSH_.num_vgpr, 0
	.set _ZN7rocprim17ROCPRIM_400000_NS6detail17trampoline_kernelINS0_13kernel_configILj256ELj4ELj4294967295EEENS1_37radix_sort_block_sort_config_selectorIiiEEZNS1_21radix_sort_block_sortIS4_Lb0EN6thrust23THRUST_200600_302600_NS6detail15normal_iteratorINS9_10device_ptrIiEEEESE_SE_SE_NS0_19identity_decomposerEEE10hipError_tT1_T2_T3_T4_jRjT5_jjP12ihipStream_tbEUlT_E_NS1_11comp_targetILNS1_3genE5ELNS1_11target_archE942ELNS1_3gpuE9ELNS1_3repE0EEENS1_44radix_sort_block_sort_config_static_selectorELNS0_4arch9wavefront6targetE1EEEvSH_.num_agpr, 0
	.set _ZN7rocprim17ROCPRIM_400000_NS6detail17trampoline_kernelINS0_13kernel_configILj256ELj4ELj4294967295EEENS1_37radix_sort_block_sort_config_selectorIiiEEZNS1_21radix_sort_block_sortIS4_Lb0EN6thrust23THRUST_200600_302600_NS6detail15normal_iteratorINS9_10device_ptrIiEEEESE_SE_SE_NS0_19identity_decomposerEEE10hipError_tT1_T2_T3_T4_jRjT5_jjP12ihipStream_tbEUlT_E_NS1_11comp_targetILNS1_3genE5ELNS1_11target_archE942ELNS1_3gpuE9ELNS1_3repE0EEENS1_44radix_sort_block_sort_config_static_selectorELNS0_4arch9wavefront6targetE1EEEvSH_.numbered_sgpr, 0
	.set _ZN7rocprim17ROCPRIM_400000_NS6detail17trampoline_kernelINS0_13kernel_configILj256ELj4ELj4294967295EEENS1_37radix_sort_block_sort_config_selectorIiiEEZNS1_21radix_sort_block_sortIS4_Lb0EN6thrust23THRUST_200600_302600_NS6detail15normal_iteratorINS9_10device_ptrIiEEEESE_SE_SE_NS0_19identity_decomposerEEE10hipError_tT1_T2_T3_T4_jRjT5_jjP12ihipStream_tbEUlT_E_NS1_11comp_targetILNS1_3genE5ELNS1_11target_archE942ELNS1_3gpuE9ELNS1_3repE0EEENS1_44radix_sort_block_sort_config_static_selectorELNS0_4arch9wavefront6targetE1EEEvSH_.num_named_barrier, 0
	.set _ZN7rocprim17ROCPRIM_400000_NS6detail17trampoline_kernelINS0_13kernel_configILj256ELj4ELj4294967295EEENS1_37radix_sort_block_sort_config_selectorIiiEEZNS1_21radix_sort_block_sortIS4_Lb0EN6thrust23THRUST_200600_302600_NS6detail15normal_iteratorINS9_10device_ptrIiEEEESE_SE_SE_NS0_19identity_decomposerEEE10hipError_tT1_T2_T3_T4_jRjT5_jjP12ihipStream_tbEUlT_E_NS1_11comp_targetILNS1_3genE5ELNS1_11target_archE942ELNS1_3gpuE9ELNS1_3repE0EEENS1_44radix_sort_block_sort_config_static_selectorELNS0_4arch9wavefront6targetE1EEEvSH_.private_seg_size, 0
	.set _ZN7rocprim17ROCPRIM_400000_NS6detail17trampoline_kernelINS0_13kernel_configILj256ELj4ELj4294967295EEENS1_37radix_sort_block_sort_config_selectorIiiEEZNS1_21radix_sort_block_sortIS4_Lb0EN6thrust23THRUST_200600_302600_NS6detail15normal_iteratorINS9_10device_ptrIiEEEESE_SE_SE_NS0_19identity_decomposerEEE10hipError_tT1_T2_T3_T4_jRjT5_jjP12ihipStream_tbEUlT_E_NS1_11comp_targetILNS1_3genE5ELNS1_11target_archE942ELNS1_3gpuE9ELNS1_3repE0EEENS1_44radix_sort_block_sort_config_static_selectorELNS0_4arch9wavefront6targetE1EEEvSH_.uses_vcc, 0
	.set _ZN7rocprim17ROCPRIM_400000_NS6detail17trampoline_kernelINS0_13kernel_configILj256ELj4ELj4294967295EEENS1_37radix_sort_block_sort_config_selectorIiiEEZNS1_21radix_sort_block_sortIS4_Lb0EN6thrust23THRUST_200600_302600_NS6detail15normal_iteratorINS9_10device_ptrIiEEEESE_SE_SE_NS0_19identity_decomposerEEE10hipError_tT1_T2_T3_T4_jRjT5_jjP12ihipStream_tbEUlT_E_NS1_11comp_targetILNS1_3genE5ELNS1_11target_archE942ELNS1_3gpuE9ELNS1_3repE0EEENS1_44radix_sort_block_sort_config_static_selectorELNS0_4arch9wavefront6targetE1EEEvSH_.uses_flat_scratch, 0
	.set _ZN7rocprim17ROCPRIM_400000_NS6detail17trampoline_kernelINS0_13kernel_configILj256ELj4ELj4294967295EEENS1_37radix_sort_block_sort_config_selectorIiiEEZNS1_21radix_sort_block_sortIS4_Lb0EN6thrust23THRUST_200600_302600_NS6detail15normal_iteratorINS9_10device_ptrIiEEEESE_SE_SE_NS0_19identity_decomposerEEE10hipError_tT1_T2_T3_T4_jRjT5_jjP12ihipStream_tbEUlT_E_NS1_11comp_targetILNS1_3genE5ELNS1_11target_archE942ELNS1_3gpuE9ELNS1_3repE0EEENS1_44radix_sort_block_sort_config_static_selectorELNS0_4arch9wavefront6targetE1EEEvSH_.has_dyn_sized_stack, 0
	.set _ZN7rocprim17ROCPRIM_400000_NS6detail17trampoline_kernelINS0_13kernel_configILj256ELj4ELj4294967295EEENS1_37radix_sort_block_sort_config_selectorIiiEEZNS1_21radix_sort_block_sortIS4_Lb0EN6thrust23THRUST_200600_302600_NS6detail15normal_iteratorINS9_10device_ptrIiEEEESE_SE_SE_NS0_19identity_decomposerEEE10hipError_tT1_T2_T3_T4_jRjT5_jjP12ihipStream_tbEUlT_E_NS1_11comp_targetILNS1_3genE5ELNS1_11target_archE942ELNS1_3gpuE9ELNS1_3repE0EEENS1_44radix_sort_block_sort_config_static_selectorELNS0_4arch9wavefront6targetE1EEEvSH_.has_recursion, 0
	.set _ZN7rocprim17ROCPRIM_400000_NS6detail17trampoline_kernelINS0_13kernel_configILj256ELj4ELj4294967295EEENS1_37radix_sort_block_sort_config_selectorIiiEEZNS1_21radix_sort_block_sortIS4_Lb0EN6thrust23THRUST_200600_302600_NS6detail15normal_iteratorINS9_10device_ptrIiEEEESE_SE_SE_NS0_19identity_decomposerEEE10hipError_tT1_T2_T3_T4_jRjT5_jjP12ihipStream_tbEUlT_E_NS1_11comp_targetILNS1_3genE5ELNS1_11target_archE942ELNS1_3gpuE9ELNS1_3repE0EEENS1_44radix_sort_block_sort_config_static_selectorELNS0_4arch9wavefront6targetE1EEEvSH_.has_indirect_call, 0
	.section	.AMDGPU.csdata,"",@progbits
; Kernel info:
; codeLenInByte = 0
; TotalNumSgprs: 6
; NumVgprs: 0
; NumAgprs: 0
; TotalNumVgprs: 0
; ScratchSize: 0
; MemoryBound: 0
; FloatMode: 240
; IeeeMode: 1
; LDSByteSize: 0 bytes/workgroup (compile time only)
; SGPRBlocks: 0
; VGPRBlocks: 0
; NumSGPRsForWavesPerEU: 6
; NumVGPRsForWavesPerEU: 1
; AccumOffset: 4
; Occupancy: 8
; WaveLimiterHint : 0
; COMPUTE_PGM_RSRC2:SCRATCH_EN: 0
; COMPUTE_PGM_RSRC2:USER_SGPR: 2
; COMPUTE_PGM_RSRC2:TRAP_HANDLER: 0
; COMPUTE_PGM_RSRC2:TGID_X_EN: 1
; COMPUTE_PGM_RSRC2:TGID_Y_EN: 0
; COMPUTE_PGM_RSRC2:TGID_Z_EN: 0
; COMPUTE_PGM_RSRC2:TIDIG_COMP_CNT: 0
; COMPUTE_PGM_RSRC3_GFX90A:ACCUM_OFFSET: 0
; COMPUTE_PGM_RSRC3_GFX90A:TG_SPLIT: 0
	.section	.text._ZN7rocprim17ROCPRIM_400000_NS6detail17trampoline_kernelINS0_13kernel_configILj256ELj4ELj4294967295EEENS1_37radix_sort_block_sort_config_selectorIiiEEZNS1_21radix_sort_block_sortIS4_Lb0EN6thrust23THRUST_200600_302600_NS6detail15normal_iteratorINS9_10device_ptrIiEEEESE_SE_SE_NS0_19identity_decomposerEEE10hipError_tT1_T2_T3_T4_jRjT5_jjP12ihipStream_tbEUlT_E_NS1_11comp_targetILNS1_3genE4ELNS1_11target_archE910ELNS1_3gpuE8ELNS1_3repE0EEENS1_44radix_sort_block_sort_config_static_selectorELNS0_4arch9wavefront6targetE1EEEvSH_,"axG",@progbits,_ZN7rocprim17ROCPRIM_400000_NS6detail17trampoline_kernelINS0_13kernel_configILj256ELj4ELj4294967295EEENS1_37radix_sort_block_sort_config_selectorIiiEEZNS1_21radix_sort_block_sortIS4_Lb0EN6thrust23THRUST_200600_302600_NS6detail15normal_iteratorINS9_10device_ptrIiEEEESE_SE_SE_NS0_19identity_decomposerEEE10hipError_tT1_T2_T3_T4_jRjT5_jjP12ihipStream_tbEUlT_E_NS1_11comp_targetILNS1_3genE4ELNS1_11target_archE910ELNS1_3gpuE8ELNS1_3repE0EEENS1_44radix_sort_block_sort_config_static_selectorELNS0_4arch9wavefront6targetE1EEEvSH_,comdat
	.protected	_ZN7rocprim17ROCPRIM_400000_NS6detail17trampoline_kernelINS0_13kernel_configILj256ELj4ELj4294967295EEENS1_37radix_sort_block_sort_config_selectorIiiEEZNS1_21radix_sort_block_sortIS4_Lb0EN6thrust23THRUST_200600_302600_NS6detail15normal_iteratorINS9_10device_ptrIiEEEESE_SE_SE_NS0_19identity_decomposerEEE10hipError_tT1_T2_T3_T4_jRjT5_jjP12ihipStream_tbEUlT_E_NS1_11comp_targetILNS1_3genE4ELNS1_11target_archE910ELNS1_3gpuE8ELNS1_3repE0EEENS1_44radix_sort_block_sort_config_static_selectorELNS0_4arch9wavefront6targetE1EEEvSH_ ; -- Begin function _ZN7rocprim17ROCPRIM_400000_NS6detail17trampoline_kernelINS0_13kernel_configILj256ELj4ELj4294967295EEENS1_37radix_sort_block_sort_config_selectorIiiEEZNS1_21radix_sort_block_sortIS4_Lb0EN6thrust23THRUST_200600_302600_NS6detail15normal_iteratorINS9_10device_ptrIiEEEESE_SE_SE_NS0_19identity_decomposerEEE10hipError_tT1_T2_T3_T4_jRjT5_jjP12ihipStream_tbEUlT_E_NS1_11comp_targetILNS1_3genE4ELNS1_11target_archE910ELNS1_3gpuE8ELNS1_3repE0EEENS1_44radix_sort_block_sort_config_static_selectorELNS0_4arch9wavefront6targetE1EEEvSH_
	.globl	_ZN7rocprim17ROCPRIM_400000_NS6detail17trampoline_kernelINS0_13kernel_configILj256ELj4ELj4294967295EEENS1_37radix_sort_block_sort_config_selectorIiiEEZNS1_21radix_sort_block_sortIS4_Lb0EN6thrust23THRUST_200600_302600_NS6detail15normal_iteratorINS9_10device_ptrIiEEEESE_SE_SE_NS0_19identity_decomposerEEE10hipError_tT1_T2_T3_T4_jRjT5_jjP12ihipStream_tbEUlT_E_NS1_11comp_targetILNS1_3genE4ELNS1_11target_archE910ELNS1_3gpuE8ELNS1_3repE0EEENS1_44radix_sort_block_sort_config_static_selectorELNS0_4arch9wavefront6targetE1EEEvSH_
	.p2align	8
	.type	_ZN7rocprim17ROCPRIM_400000_NS6detail17trampoline_kernelINS0_13kernel_configILj256ELj4ELj4294967295EEENS1_37radix_sort_block_sort_config_selectorIiiEEZNS1_21radix_sort_block_sortIS4_Lb0EN6thrust23THRUST_200600_302600_NS6detail15normal_iteratorINS9_10device_ptrIiEEEESE_SE_SE_NS0_19identity_decomposerEEE10hipError_tT1_T2_T3_T4_jRjT5_jjP12ihipStream_tbEUlT_E_NS1_11comp_targetILNS1_3genE4ELNS1_11target_archE910ELNS1_3gpuE8ELNS1_3repE0EEENS1_44radix_sort_block_sort_config_static_selectorELNS0_4arch9wavefront6targetE1EEEvSH_,@function
_ZN7rocprim17ROCPRIM_400000_NS6detail17trampoline_kernelINS0_13kernel_configILj256ELj4ELj4294967295EEENS1_37radix_sort_block_sort_config_selectorIiiEEZNS1_21radix_sort_block_sortIS4_Lb0EN6thrust23THRUST_200600_302600_NS6detail15normal_iteratorINS9_10device_ptrIiEEEESE_SE_SE_NS0_19identity_decomposerEEE10hipError_tT1_T2_T3_T4_jRjT5_jjP12ihipStream_tbEUlT_E_NS1_11comp_targetILNS1_3genE4ELNS1_11target_archE910ELNS1_3gpuE8ELNS1_3repE0EEENS1_44radix_sort_block_sort_config_static_selectorELNS0_4arch9wavefront6targetE1EEEvSH_: ; @_ZN7rocprim17ROCPRIM_400000_NS6detail17trampoline_kernelINS0_13kernel_configILj256ELj4ELj4294967295EEENS1_37radix_sort_block_sort_config_selectorIiiEEZNS1_21radix_sort_block_sortIS4_Lb0EN6thrust23THRUST_200600_302600_NS6detail15normal_iteratorINS9_10device_ptrIiEEEESE_SE_SE_NS0_19identity_decomposerEEE10hipError_tT1_T2_T3_T4_jRjT5_jjP12ihipStream_tbEUlT_E_NS1_11comp_targetILNS1_3genE4ELNS1_11target_archE910ELNS1_3gpuE8ELNS1_3repE0EEENS1_44radix_sort_block_sort_config_static_selectorELNS0_4arch9wavefront6targetE1EEEvSH_
; %bb.0:
	.section	.rodata,"a",@progbits
	.p2align	6, 0x0
	.amdhsa_kernel _ZN7rocprim17ROCPRIM_400000_NS6detail17trampoline_kernelINS0_13kernel_configILj256ELj4ELj4294967295EEENS1_37radix_sort_block_sort_config_selectorIiiEEZNS1_21radix_sort_block_sortIS4_Lb0EN6thrust23THRUST_200600_302600_NS6detail15normal_iteratorINS9_10device_ptrIiEEEESE_SE_SE_NS0_19identity_decomposerEEE10hipError_tT1_T2_T3_T4_jRjT5_jjP12ihipStream_tbEUlT_E_NS1_11comp_targetILNS1_3genE4ELNS1_11target_archE910ELNS1_3gpuE8ELNS1_3repE0EEENS1_44radix_sort_block_sort_config_static_selectorELNS0_4arch9wavefront6targetE1EEEvSH_
		.amdhsa_group_segment_fixed_size 0
		.amdhsa_private_segment_fixed_size 0
		.amdhsa_kernarg_size 48
		.amdhsa_user_sgpr_count 2
		.amdhsa_user_sgpr_dispatch_ptr 0
		.amdhsa_user_sgpr_queue_ptr 0
		.amdhsa_user_sgpr_kernarg_segment_ptr 1
		.amdhsa_user_sgpr_dispatch_id 0
		.amdhsa_user_sgpr_kernarg_preload_length 0
		.amdhsa_user_sgpr_kernarg_preload_offset 0
		.amdhsa_user_sgpr_private_segment_size 0
		.amdhsa_uses_dynamic_stack 0
		.amdhsa_enable_private_segment 0
		.amdhsa_system_sgpr_workgroup_id_x 1
		.amdhsa_system_sgpr_workgroup_id_y 0
		.amdhsa_system_sgpr_workgroup_id_z 0
		.amdhsa_system_sgpr_workgroup_info 0
		.amdhsa_system_vgpr_workitem_id 0
		.amdhsa_next_free_vgpr 1
		.amdhsa_next_free_sgpr 0
		.amdhsa_accum_offset 4
		.amdhsa_reserve_vcc 0
		.amdhsa_float_round_mode_32 0
		.amdhsa_float_round_mode_16_64 0
		.amdhsa_float_denorm_mode_32 3
		.amdhsa_float_denorm_mode_16_64 3
		.amdhsa_dx10_clamp 1
		.amdhsa_ieee_mode 1
		.amdhsa_fp16_overflow 0
		.amdhsa_tg_split 0
		.amdhsa_exception_fp_ieee_invalid_op 0
		.amdhsa_exception_fp_denorm_src 0
		.amdhsa_exception_fp_ieee_div_zero 0
		.amdhsa_exception_fp_ieee_overflow 0
		.amdhsa_exception_fp_ieee_underflow 0
		.amdhsa_exception_fp_ieee_inexact 0
		.amdhsa_exception_int_div_zero 0
	.end_amdhsa_kernel
	.section	.text._ZN7rocprim17ROCPRIM_400000_NS6detail17trampoline_kernelINS0_13kernel_configILj256ELj4ELj4294967295EEENS1_37radix_sort_block_sort_config_selectorIiiEEZNS1_21radix_sort_block_sortIS4_Lb0EN6thrust23THRUST_200600_302600_NS6detail15normal_iteratorINS9_10device_ptrIiEEEESE_SE_SE_NS0_19identity_decomposerEEE10hipError_tT1_T2_T3_T4_jRjT5_jjP12ihipStream_tbEUlT_E_NS1_11comp_targetILNS1_3genE4ELNS1_11target_archE910ELNS1_3gpuE8ELNS1_3repE0EEENS1_44radix_sort_block_sort_config_static_selectorELNS0_4arch9wavefront6targetE1EEEvSH_,"axG",@progbits,_ZN7rocprim17ROCPRIM_400000_NS6detail17trampoline_kernelINS0_13kernel_configILj256ELj4ELj4294967295EEENS1_37radix_sort_block_sort_config_selectorIiiEEZNS1_21radix_sort_block_sortIS4_Lb0EN6thrust23THRUST_200600_302600_NS6detail15normal_iteratorINS9_10device_ptrIiEEEESE_SE_SE_NS0_19identity_decomposerEEE10hipError_tT1_T2_T3_T4_jRjT5_jjP12ihipStream_tbEUlT_E_NS1_11comp_targetILNS1_3genE4ELNS1_11target_archE910ELNS1_3gpuE8ELNS1_3repE0EEENS1_44radix_sort_block_sort_config_static_selectorELNS0_4arch9wavefront6targetE1EEEvSH_,comdat
.Lfunc_end1271:
	.size	_ZN7rocprim17ROCPRIM_400000_NS6detail17trampoline_kernelINS0_13kernel_configILj256ELj4ELj4294967295EEENS1_37radix_sort_block_sort_config_selectorIiiEEZNS1_21radix_sort_block_sortIS4_Lb0EN6thrust23THRUST_200600_302600_NS6detail15normal_iteratorINS9_10device_ptrIiEEEESE_SE_SE_NS0_19identity_decomposerEEE10hipError_tT1_T2_T3_T4_jRjT5_jjP12ihipStream_tbEUlT_E_NS1_11comp_targetILNS1_3genE4ELNS1_11target_archE910ELNS1_3gpuE8ELNS1_3repE0EEENS1_44radix_sort_block_sort_config_static_selectorELNS0_4arch9wavefront6targetE1EEEvSH_, .Lfunc_end1271-_ZN7rocprim17ROCPRIM_400000_NS6detail17trampoline_kernelINS0_13kernel_configILj256ELj4ELj4294967295EEENS1_37radix_sort_block_sort_config_selectorIiiEEZNS1_21radix_sort_block_sortIS4_Lb0EN6thrust23THRUST_200600_302600_NS6detail15normal_iteratorINS9_10device_ptrIiEEEESE_SE_SE_NS0_19identity_decomposerEEE10hipError_tT1_T2_T3_T4_jRjT5_jjP12ihipStream_tbEUlT_E_NS1_11comp_targetILNS1_3genE4ELNS1_11target_archE910ELNS1_3gpuE8ELNS1_3repE0EEENS1_44radix_sort_block_sort_config_static_selectorELNS0_4arch9wavefront6targetE1EEEvSH_
                                        ; -- End function
	.set _ZN7rocprim17ROCPRIM_400000_NS6detail17trampoline_kernelINS0_13kernel_configILj256ELj4ELj4294967295EEENS1_37radix_sort_block_sort_config_selectorIiiEEZNS1_21radix_sort_block_sortIS4_Lb0EN6thrust23THRUST_200600_302600_NS6detail15normal_iteratorINS9_10device_ptrIiEEEESE_SE_SE_NS0_19identity_decomposerEEE10hipError_tT1_T2_T3_T4_jRjT5_jjP12ihipStream_tbEUlT_E_NS1_11comp_targetILNS1_3genE4ELNS1_11target_archE910ELNS1_3gpuE8ELNS1_3repE0EEENS1_44radix_sort_block_sort_config_static_selectorELNS0_4arch9wavefront6targetE1EEEvSH_.num_vgpr, 0
	.set _ZN7rocprim17ROCPRIM_400000_NS6detail17trampoline_kernelINS0_13kernel_configILj256ELj4ELj4294967295EEENS1_37radix_sort_block_sort_config_selectorIiiEEZNS1_21radix_sort_block_sortIS4_Lb0EN6thrust23THRUST_200600_302600_NS6detail15normal_iteratorINS9_10device_ptrIiEEEESE_SE_SE_NS0_19identity_decomposerEEE10hipError_tT1_T2_T3_T4_jRjT5_jjP12ihipStream_tbEUlT_E_NS1_11comp_targetILNS1_3genE4ELNS1_11target_archE910ELNS1_3gpuE8ELNS1_3repE0EEENS1_44radix_sort_block_sort_config_static_selectorELNS0_4arch9wavefront6targetE1EEEvSH_.num_agpr, 0
	.set _ZN7rocprim17ROCPRIM_400000_NS6detail17trampoline_kernelINS0_13kernel_configILj256ELj4ELj4294967295EEENS1_37radix_sort_block_sort_config_selectorIiiEEZNS1_21radix_sort_block_sortIS4_Lb0EN6thrust23THRUST_200600_302600_NS6detail15normal_iteratorINS9_10device_ptrIiEEEESE_SE_SE_NS0_19identity_decomposerEEE10hipError_tT1_T2_T3_T4_jRjT5_jjP12ihipStream_tbEUlT_E_NS1_11comp_targetILNS1_3genE4ELNS1_11target_archE910ELNS1_3gpuE8ELNS1_3repE0EEENS1_44radix_sort_block_sort_config_static_selectorELNS0_4arch9wavefront6targetE1EEEvSH_.numbered_sgpr, 0
	.set _ZN7rocprim17ROCPRIM_400000_NS6detail17trampoline_kernelINS0_13kernel_configILj256ELj4ELj4294967295EEENS1_37radix_sort_block_sort_config_selectorIiiEEZNS1_21radix_sort_block_sortIS4_Lb0EN6thrust23THRUST_200600_302600_NS6detail15normal_iteratorINS9_10device_ptrIiEEEESE_SE_SE_NS0_19identity_decomposerEEE10hipError_tT1_T2_T3_T4_jRjT5_jjP12ihipStream_tbEUlT_E_NS1_11comp_targetILNS1_3genE4ELNS1_11target_archE910ELNS1_3gpuE8ELNS1_3repE0EEENS1_44radix_sort_block_sort_config_static_selectorELNS0_4arch9wavefront6targetE1EEEvSH_.num_named_barrier, 0
	.set _ZN7rocprim17ROCPRIM_400000_NS6detail17trampoline_kernelINS0_13kernel_configILj256ELj4ELj4294967295EEENS1_37radix_sort_block_sort_config_selectorIiiEEZNS1_21radix_sort_block_sortIS4_Lb0EN6thrust23THRUST_200600_302600_NS6detail15normal_iteratorINS9_10device_ptrIiEEEESE_SE_SE_NS0_19identity_decomposerEEE10hipError_tT1_T2_T3_T4_jRjT5_jjP12ihipStream_tbEUlT_E_NS1_11comp_targetILNS1_3genE4ELNS1_11target_archE910ELNS1_3gpuE8ELNS1_3repE0EEENS1_44radix_sort_block_sort_config_static_selectorELNS0_4arch9wavefront6targetE1EEEvSH_.private_seg_size, 0
	.set _ZN7rocprim17ROCPRIM_400000_NS6detail17trampoline_kernelINS0_13kernel_configILj256ELj4ELj4294967295EEENS1_37radix_sort_block_sort_config_selectorIiiEEZNS1_21radix_sort_block_sortIS4_Lb0EN6thrust23THRUST_200600_302600_NS6detail15normal_iteratorINS9_10device_ptrIiEEEESE_SE_SE_NS0_19identity_decomposerEEE10hipError_tT1_T2_T3_T4_jRjT5_jjP12ihipStream_tbEUlT_E_NS1_11comp_targetILNS1_3genE4ELNS1_11target_archE910ELNS1_3gpuE8ELNS1_3repE0EEENS1_44radix_sort_block_sort_config_static_selectorELNS0_4arch9wavefront6targetE1EEEvSH_.uses_vcc, 0
	.set _ZN7rocprim17ROCPRIM_400000_NS6detail17trampoline_kernelINS0_13kernel_configILj256ELj4ELj4294967295EEENS1_37radix_sort_block_sort_config_selectorIiiEEZNS1_21radix_sort_block_sortIS4_Lb0EN6thrust23THRUST_200600_302600_NS6detail15normal_iteratorINS9_10device_ptrIiEEEESE_SE_SE_NS0_19identity_decomposerEEE10hipError_tT1_T2_T3_T4_jRjT5_jjP12ihipStream_tbEUlT_E_NS1_11comp_targetILNS1_3genE4ELNS1_11target_archE910ELNS1_3gpuE8ELNS1_3repE0EEENS1_44radix_sort_block_sort_config_static_selectorELNS0_4arch9wavefront6targetE1EEEvSH_.uses_flat_scratch, 0
	.set _ZN7rocprim17ROCPRIM_400000_NS6detail17trampoline_kernelINS0_13kernel_configILj256ELj4ELj4294967295EEENS1_37radix_sort_block_sort_config_selectorIiiEEZNS1_21radix_sort_block_sortIS4_Lb0EN6thrust23THRUST_200600_302600_NS6detail15normal_iteratorINS9_10device_ptrIiEEEESE_SE_SE_NS0_19identity_decomposerEEE10hipError_tT1_T2_T3_T4_jRjT5_jjP12ihipStream_tbEUlT_E_NS1_11comp_targetILNS1_3genE4ELNS1_11target_archE910ELNS1_3gpuE8ELNS1_3repE0EEENS1_44radix_sort_block_sort_config_static_selectorELNS0_4arch9wavefront6targetE1EEEvSH_.has_dyn_sized_stack, 0
	.set _ZN7rocprim17ROCPRIM_400000_NS6detail17trampoline_kernelINS0_13kernel_configILj256ELj4ELj4294967295EEENS1_37radix_sort_block_sort_config_selectorIiiEEZNS1_21radix_sort_block_sortIS4_Lb0EN6thrust23THRUST_200600_302600_NS6detail15normal_iteratorINS9_10device_ptrIiEEEESE_SE_SE_NS0_19identity_decomposerEEE10hipError_tT1_T2_T3_T4_jRjT5_jjP12ihipStream_tbEUlT_E_NS1_11comp_targetILNS1_3genE4ELNS1_11target_archE910ELNS1_3gpuE8ELNS1_3repE0EEENS1_44radix_sort_block_sort_config_static_selectorELNS0_4arch9wavefront6targetE1EEEvSH_.has_recursion, 0
	.set _ZN7rocprim17ROCPRIM_400000_NS6detail17trampoline_kernelINS0_13kernel_configILj256ELj4ELj4294967295EEENS1_37radix_sort_block_sort_config_selectorIiiEEZNS1_21radix_sort_block_sortIS4_Lb0EN6thrust23THRUST_200600_302600_NS6detail15normal_iteratorINS9_10device_ptrIiEEEESE_SE_SE_NS0_19identity_decomposerEEE10hipError_tT1_T2_T3_T4_jRjT5_jjP12ihipStream_tbEUlT_E_NS1_11comp_targetILNS1_3genE4ELNS1_11target_archE910ELNS1_3gpuE8ELNS1_3repE0EEENS1_44radix_sort_block_sort_config_static_selectorELNS0_4arch9wavefront6targetE1EEEvSH_.has_indirect_call, 0
	.section	.AMDGPU.csdata,"",@progbits
; Kernel info:
; codeLenInByte = 0
; TotalNumSgprs: 6
; NumVgprs: 0
; NumAgprs: 0
; TotalNumVgprs: 0
; ScratchSize: 0
; MemoryBound: 0
; FloatMode: 240
; IeeeMode: 1
; LDSByteSize: 0 bytes/workgroup (compile time only)
; SGPRBlocks: 0
; VGPRBlocks: 0
; NumSGPRsForWavesPerEU: 6
; NumVGPRsForWavesPerEU: 1
; AccumOffset: 4
; Occupancy: 8
; WaveLimiterHint : 0
; COMPUTE_PGM_RSRC2:SCRATCH_EN: 0
; COMPUTE_PGM_RSRC2:USER_SGPR: 2
; COMPUTE_PGM_RSRC2:TRAP_HANDLER: 0
; COMPUTE_PGM_RSRC2:TGID_X_EN: 1
; COMPUTE_PGM_RSRC2:TGID_Y_EN: 0
; COMPUTE_PGM_RSRC2:TGID_Z_EN: 0
; COMPUTE_PGM_RSRC2:TIDIG_COMP_CNT: 0
; COMPUTE_PGM_RSRC3_GFX90A:ACCUM_OFFSET: 0
; COMPUTE_PGM_RSRC3_GFX90A:TG_SPLIT: 0
	.section	.text._ZN7rocprim17ROCPRIM_400000_NS6detail17trampoline_kernelINS0_13kernel_configILj256ELj4ELj4294967295EEENS1_37radix_sort_block_sort_config_selectorIiiEEZNS1_21radix_sort_block_sortIS4_Lb0EN6thrust23THRUST_200600_302600_NS6detail15normal_iteratorINS9_10device_ptrIiEEEESE_SE_SE_NS0_19identity_decomposerEEE10hipError_tT1_T2_T3_T4_jRjT5_jjP12ihipStream_tbEUlT_E_NS1_11comp_targetILNS1_3genE3ELNS1_11target_archE908ELNS1_3gpuE7ELNS1_3repE0EEENS1_44radix_sort_block_sort_config_static_selectorELNS0_4arch9wavefront6targetE1EEEvSH_,"axG",@progbits,_ZN7rocprim17ROCPRIM_400000_NS6detail17trampoline_kernelINS0_13kernel_configILj256ELj4ELj4294967295EEENS1_37radix_sort_block_sort_config_selectorIiiEEZNS1_21radix_sort_block_sortIS4_Lb0EN6thrust23THRUST_200600_302600_NS6detail15normal_iteratorINS9_10device_ptrIiEEEESE_SE_SE_NS0_19identity_decomposerEEE10hipError_tT1_T2_T3_T4_jRjT5_jjP12ihipStream_tbEUlT_E_NS1_11comp_targetILNS1_3genE3ELNS1_11target_archE908ELNS1_3gpuE7ELNS1_3repE0EEENS1_44radix_sort_block_sort_config_static_selectorELNS0_4arch9wavefront6targetE1EEEvSH_,comdat
	.protected	_ZN7rocprim17ROCPRIM_400000_NS6detail17trampoline_kernelINS0_13kernel_configILj256ELj4ELj4294967295EEENS1_37radix_sort_block_sort_config_selectorIiiEEZNS1_21radix_sort_block_sortIS4_Lb0EN6thrust23THRUST_200600_302600_NS6detail15normal_iteratorINS9_10device_ptrIiEEEESE_SE_SE_NS0_19identity_decomposerEEE10hipError_tT1_T2_T3_T4_jRjT5_jjP12ihipStream_tbEUlT_E_NS1_11comp_targetILNS1_3genE3ELNS1_11target_archE908ELNS1_3gpuE7ELNS1_3repE0EEENS1_44radix_sort_block_sort_config_static_selectorELNS0_4arch9wavefront6targetE1EEEvSH_ ; -- Begin function _ZN7rocprim17ROCPRIM_400000_NS6detail17trampoline_kernelINS0_13kernel_configILj256ELj4ELj4294967295EEENS1_37radix_sort_block_sort_config_selectorIiiEEZNS1_21radix_sort_block_sortIS4_Lb0EN6thrust23THRUST_200600_302600_NS6detail15normal_iteratorINS9_10device_ptrIiEEEESE_SE_SE_NS0_19identity_decomposerEEE10hipError_tT1_T2_T3_T4_jRjT5_jjP12ihipStream_tbEUlT_E_NS1_11comp_targetILNS1_3genE3ELNS1_11target_archE908ELNS1_3gpuE7ELNS1_3repE0EEENS1_44radix_sort_block_sort_config_static_selectorELNS0_4arch9wavefront6targetE1EEEvSH_
	.globl	_ZN7rocprim17ROCPRIM_400000_NS6detail17trampoline_kernelINS0_13kernel_configILj256ELj4ELj4294967295EEENS1_37radix_sort_block_sort_config_selectorIiiEEZNS1_21radix_sort_block_sortIS4_Lb0EN6thrust23THRUST_200600_302600_NS6detail15normal_iteratorINS9_10device_ptrIiEEEESE_SE_SE_NS0_19identity_decomposerEEE10hipError_tT1_T2_T3_T4_jRjT5_jjP12ihipStream_tbEUlT_E_NS1_11comp_targetILNS1_3genE3ELNS1_11target_archE908ELNS1_3gpuE7ELNS1_3repE0EEENS1_44radix_sort_block_sort_config_static_selectorELNS0_4arch9wavefront6targetE1EEEvSH_
	.p2align	8
	.type	_ZN7rocprim17ROCPRIM_400000_NS6detail17trampoline_kernelINS0_13kernel_configILj256ELj4ELj4294967295EEENS1_37radix_sort_block_sort_config_selectorIiiEEZNS1_21radix_sort_block_sortIS4_Lb0EN6thrust23THRUST_200600_302600_NS6detail15normal_iteratorINS9_10device_ptrIiEEEESE_SE_SE_NS0_19identity_decomposerEEE10hipError_tT1_T2_T3_T4_jRjT5_jjP12ihipStream_tbEUlT_E_NS1_11comp_targetILNS1_3genE3ELNS1_11target_archE908ELNS1_3gpuE7ELNS1_3repE0EEENS1_44radix_sort_block_sort_config_static_selectorELNS0_4arch9wavefront6targetE1EEEvSH_,@function
_ZN7rocprim17ROCPRIM_400000_NS6detail17trampoline_kernelINS0_13kernel_configILj256ELj4ELj4294967295EEENS1_37radix_sort_block_sort_config_selectorIiiEEZNS1_21radix_sort_block_sortIS4_Lb0EN6thrust23THRUST_200600_302600_NS6detail15normal_iteratorINS9_10device_ptrIiEEEESE_SE_SE_NS0_19identity_decomposerEEE10hipError_tT1_T2_T3_T4_jRjT5_jjP12ihipStream_tbEUlT_E_NS1_11comp_targetILNS1_3genE3ELNS1_11target_archE908ELNS1_3gpuE7ELNS1_3repE0EEENS1_44radix_sort_block_sort_config_static_selectorELNS0_4arch9wavefront6targetE1EEEvSH_: ; @_ZN7rocprim17ROCPRIM_400000_NS6detail17trampoline_kernelINS0_13kernel_configILj256ELj4ELj4294967295EEENS1_37radix_sort_block_sort_config_selectorIiiEEZNS1_21radix_sort_block_sortIS4_Lb0EN6thrust23THRUST_200600_302600_NS6detail15normal_iteratorINS9_10device_ptrIiEEEESE_SE_SE_NS0_19identity_decomposerEEE10hipError_tT1_T2_T3_T4_jRjT5_jjP12ihipStream_tbEUlT_E_NS1_11comp_targetILNS1_3genE3ELNS1_11target_archE908ELNS1_3gpuE7ELNS1_3repE0EEENS1_44radix_sort_block_sort_config_static_selectorELNS0_4arch9wavefront6targetE1EEEvSH_
; %bb.0:
	.section	.rodata,"a",@progbits
	.p2align	6, 0x0
	.amdhsa_kernel _ZN7rocprim17ROCPRIM_400000_NS6detail17trampoline_kernelINS0_13kernel_configILj256ELj4ELj4294967295EEENS1_37radix_sort_block_sort_config_selectorIiiEEZNS1_21radix_sort_block_sortIS4_Lb0EN6thrust23THRUST_200600_302600_NS6detail15normal_iteratorINS9_10device_ptrIiEEEESE_SE_SE_NS0_19identity_decomposerEEE10hipError_tT1_T2_T3_T4_jRjT5_jjP12ihipStream_tbEUlT_E_NS1_11comp_targetILNS1_3genE3ELNS1_11target_archE908ELNS1_3gpuE7ELNS1_3repE0EEENS1_44radix_sort_block_sort_config_static_selectorELNS0_4arch9wavefront6targetE1EEEvSH_
		.amdhsa_group_segment_fixed_size 0
		.amdhsa_private_segment_fixed_size 0
		.amdhsa_kernarg_size 48
		.amdhsa_user_sgpr_count 2
		.amdhsa_user_sgpr_dispatch_ptr 0
		.amdhsa_user_sgpr_queue_ptr 0
		.amdhsa_user_sgpr_kernarg_segment_ptr 1
		.amdhsa_user_sgpr_dispatch_id 0
		.amdhsa_user_sgpr_kernarg_preload_length 0
		.amdhsa_user_sgpr_kernarg_preload_offset 0
		.amdhsa_user_sgpr_private_segment_size 0
		.amdhsa_uses_dynamic_stack 0
		.amdhsa_enable_private_segment 0
		.amdhsa_system_sgpr_workgroup_id_x 1
		.amdhsa_system_sgpr_workgroup_id_y 0
		.amdhsa_system_sgpr_workgroup_id_z 0
		.amdhsa_system_sgpr_workgroup_info 0
		.amdhsa_system_vgpr_workitem_id 0
		.amdhsa_next_free_vgpr 1
		.amdhsa_next_free_sgpr 0
		.amdhsa_accum_offset 4
		.amdhsa_reserve_vcc 0
		.amdhsa_float_round_mode_32 0
		.amdhsa_float_round_mode_16_64 0
		.amdhsa_float_denorm_mode_32 3
		.amdhsa_float_denorm_mode_16_64 3
		.amdhsa_dx10_clamp 1
		.amdhsa_ieee_mode 1
		.amdhsa_fp16_overflow 0
		.amdhsa_tg_split 0
		.amdhsa_exception_fp_ieee_invalid_op 0
		.amdhsa_exception_fp_denorm_src 0
		.amdhsa_exception_fp_ieee_div_zero 0
		.amdhsa_exception_fp_ieee_overflow 0
		.amdhsa_exception_fp_ieee_underflow 0
		.amdhsa_exception_fp_ieee_inexact 0
		.amdhsa_exception_int_div_zero 0
	.end_amdhsa_kernel
	.section	.text._ZN7rocprim17ROCPRIM_400000_NS6detail17trampoline_kernelINS0_13kernel_configILj256ELj4ELj4294967295EEENS1_37radix_sort_block_sort_config_selectorIiiEEZNS1_21radix_sort_block_sortIS4_Lb0EN6thrust23THRUST_200600_302600_NS6detail15normal_iteratorINS9_10device_ptrIiEEEESE_SE_SE_NS0_19identity_decomposerEEE10hipError_tT1_T2_T3_T4_jRjT5_jjP12ihipStream_tbEUlT_E_NS1_11comp_targetILNS1_3genE3ELNS1_11target_archE908ELNS1_3gpuE7ELNS1_3repE0EEENS1_44radix_sort_block_sort_config_static_selectorELNS0_4arch9wavefront6targetE1EEEvSH_,"axG",@progbits,_ZN7rocprim17ROCPRIM_400000_NS6detail17trampoline_kernelINS0_13kernel_configILj256ELj4ELj4294967295EEENS1_37radix_sort_block_sort_config_selectorIiiEEZNS1_21radix_sort_block_sortIS4_Lb0EN6thrust23THRUST_200600_302600_NS6detail15normal_iteratorINS9_10device_ptrIiEEEESE_SE_SE_NS0_19identity_decomposerEEE10hipError_tT1_T2_T3_T4_jRjT5_jjP12ihipStream_tbEUlT_E_NS1_11comp_targetILNS1_3genE3ELNS1_11target_archE908ELNS1_3gpuE7ELNS1_3repE0EEENS1_44radix_sort_block_sort_config_static_selectorELNS0_4arch9wavefront6targetE1EEEvSH_,comdat
.Lfunc_end1272:
	.size	_ZN7rocprim17ROCPRIM_400000_NS6detail17trampoline_kernelINS0_13kernel_configILj256ELj4ELj4294967295EEENS1_37radix_sort_block_sort_config_selectorIiiEEZNS1_21radix_sort_block_sortIS4_Lb0EN6thrust23THRUST_200600_302600_NS6detail15normal_iteratorINS9_10device_ptrIiEEEESE_SE_SE_NS0_19identity_decomposerEEE10hipError_tT1_T2_T3_T4_jRjT5_jjP12ihipStream_tbEUlT_E_NS1_11comp_targetILNS1_3genE3ELNS1_11target_archE908ELNS1_3gpuE7ELNS1_3repE0EEENS1_44radix_sort_block_sort_config_static_selectorELNS0_4arch9wavefront6targetE1EEEvSH_, .Lfunc_end1272-_ZN7rocprim17ROCPRIM_400000_NS6detail17trampoline_kernelINS0_13kernel_configILj256ELj4ELj4294967295EEENS1_37radix_sort_block_sort_config_selectorIiiEEZNS1_21radix_sort_block_sortIS4_Lb0EN6thrust23THRUST_200600_302600_NS6detail15normal_iteratorINS9_10device_ptrIiEEEESE_SE_SE_NS0_19identity_decomposerEEE10hipError_tT1_T2_T3_T4_jRjT5_jjP12ihipStream_tbEUlT_E_NS1_11comp_targetILNS1_3genE3ELNS1_11target_archE908ELNS1_3gpuE7ELNS1_3repE0EEENS1_44radix_sort_block_sort_config_static_selectorELNS0_4arch9wavefront6targetE1EEEvSH_
                                        ; -- End function
	.set _ZN7rocprim17ROCPRIM_400000_NS6detail17trampoline_kernelINS0_13kernel_configILj256ELj4ELj4294967295EEENS1_37radix_sort_block_sort_config_selectorIiiEEZNS1_21radix_sort_block_sortIS4_Lb0EN6thrust23THRUST_200600_302600_NS6detail15normal_iteratorINS9_10device_ptrIiEEEESE_SE_SE_NS0_19identity_decomposerEEE10hipError_tT1_T2_T3_T4_jRjT5_jjP12ihipStream_tbEUlT_E_NS1_11comp_targetILNS1_3genE3ELNS1_11target_archE908ELNS1_3gpuE7ELNS1_3repE0EEENS1_44radix_sort_block_sort_config_static_selectorELNS0_4arch9wavefront6targetE1EEEvSH_.num_vgpr, 0
	.set _ZN7rocprim17ROCPRIM_400000_NS6detail17trampoline_kernelINS0_13kernel_configILj256ELj4ELj4294967295EEENS1_37radix_sort_block_sort_config_selectorIiiEEZNS1_21radix_sort_block_sortIS4_Lb0EN6thrust23THRUST_200600_302600_NS6detail15normal_iteratorINS9_10device_ptrIiEEEESE_SE_SE_NS0_19identity_decomposerEEE10hipError_tT1_T2_T3_T4_jRjT5_jjP12ihipStream_tbEUlT_E_NS1_11comp_targetILNS1_3genE3ELNS1_11target_archE908ELNS1_3gpuE7ELNS1_3repE0EEENS1_44radix_sort_block_sort_config_static_selectorELNS0_4arch9wavefront6targetE1EEEvSH_.num_agpr, 0
	.set _ZN7rocprim17ROCPRIM_400000_NS6detail17trampoline_kernelINS0_13kernel_configILj256ELj4ELj4294967295EEENS1_37radix_sort_block_sort_config_selectorIiiEEZNS1_21radix_sort_block_sortIS4_Lb0EN6thrust23THRUST_200600_302600_NS6detail15normal_iteratorINS9_10device_ptrIiEEEESE_SE_SE_NS0_19identity_decomposerEEE10hipError_tT1_T2_T3_T4_jRjT5_jjP12ihipStream_tbEUlT_E_NS1_11comp_targetILNS1_3genE3ELNS1_11target_archE908ELNS1_3gpuE7ELNS1_3repE0EEENS1_44radix_sort_block_sort_config_static_selectorELNS0_4arch9wavefront6targetE1EEEvSH_.numbered_sgpr, 0
	.set _ZN7rocprim17ROCPRIM_400000_NS6detail17trampoline_kernelINS0_13kernel_configILj256ELj4ELj4294967295EEENS1_37radix_sort_block_sort_config_selectorIiiEEZNS1_21radix_sort_block_sortIS4_Lb0EN6thrust23THRUST_200600_302600_NS6detail15normal_iteratorINS9_10device_ptrIiEEEESE_SE_SE_NS0_19identity_decomposerEEE10hipError_tT1_T2_T3_T4_jRjT5_jjP12ihipStream_tbEUlT_E_NS1_11comp_targetILNS1_3genE3ELNS1_11target_archE908ELNS1_3gpuE7ELNS1_3repE0EEENS1_44radix_sort_block_sort_config_static_selectorELNS0_4arch9wavefront6targetE1EEEvSH_.num_named_barrier, 0
	.set _ZN7rocprim17ROCPRIM_400000_NS6detail17trampoline_kernelINS0_13kernel_configILj256ELj4ELj4294967295EEENS1_37radix_sort_block_sort_config_selectorIiiEEZNS1_21radix_sort_block_sortIS4_Lb0EN6thrust23THRUST_200600_302600_NS6detail15normal_iteratorINS9_10device_ptrIiEEEESE_SE_SE_NS0_19identity_decomposerEEE10hipError_tT1_T2_T3_T4_jRjT5_jjP12ihipStream_tbEUlT_E_NS1_11comp_targetILNS1_3genE3ELNS1_11target_archE908ELNS1_3gpuE7ELNS1_3repE0EEENS1_44radix_sort_block_sort_config_static_selectorELNS0_4arch9wavefront6targetE1EEEvSH_.private_seg_size, 0
	.set _ZN7rocprim17ROCPRIM_400000_NS6detail17trampoline_kernelINS0_13kernel_configILj256ELj4ELj4294967295EEENS1_37radix_sort_block_sort_config_selectorIiiEEZNS1_21radix_sort_block_sortIS4_Lb0EN6thrust23THRUST_200600_302600_NS6detail15normal_iteratorINS9_10device_ptrIiEEEESE_SE_SE_NS0_19identity_decomposerEEE10hipError_tT1_T2_T3_T4_jRjT5_jjP12ihipStream_tbEUlT_E_NS1_11comp_targetILNS1_3genE3ELNS1_11target_archE908ELNS1_3gpuE7ELNS1_3repE0EEENS1_44radix_sort_block_sort_config_static_selectorELNS0_4arch9wavefront6targetE1EEEvSH_.uses_vcc, 0
	.set _ZN7rocprim17ROCPRIM_400000_NS6detail17trampoline_kernelINS0_13kernel_configILj256ELj4ELj4294967295EEENS1_37radix_sort_block_sort_config_selectorIiiEEZNS1_21radix_sort_block_sortIS4_Lb0EN6thrust23THRUST_200600_302600_NS6detail15normal_iteratorINS9_10device_ptrIiEEEESE_SE_SE_NS0_19identity_decomposerEEE10hipError_tT1_T2_T3_T4_jRjT5_jjP12ihipStream_tbEUlT_E_NS1_11comp_targetILNS1_3genE3ELNS1_11target_archE908ELNS1_3gpuE7ELNS1_3repE0EEENS1_44radix_sort_block_sort_config_static_selectorELNS0_4arch9wavefront6targetE1EEEvSH_.uses_flat_scratch, 0
	.set _ZN7rocprim17ROCPRIM_400000_NS6detail17trampoline_kernelINS0_13kernel_configILj256ELj4ELj4294967295EEENS1_37radix_sort_block_sort_config_selectorIiiEEZNS1_21radix_sort_block_sortIS4_Lb0EN6thrust23THRUST_200600_302600_NS6detail15normal_iteratorINS9_10device_ptrIiEEEESE_SE_SE_NS0_19identity_decomposerEEE10hipError_tT1_T2_T3_T4_jRjT5_jjP12ihipStream_tbEUlT_E_NS1_11comp_targetILNS1_3genE3ELNS1_11target_archE908ELNS1_3gpuE7ELNS1_3repE0EEENS1_44radix_sort_block_sort_config_static_selectorELNS0_4arch9wavefront6targetE1EEEvSH_.has_dyn_sized_stack, 0
	.set _ZN7rocprim17ROCPRIM_400000_NS6detail17trampoline_kernelINS0_13kernel_configILj256ELj4ELj4294967295EEENS1_37radix_sort_block_sort_config_selectorIiiEEZNS1_21radix_sort_block_sortIS4_Lb0EN6thrust23THRUST_200600_302600_NS6detail15normal_iteratorINS9_10device_ptrIiEEEESE_SE_SE_NS0_19identity_decomposerEEE10hipError_tT1_T2_T3_T4_jRjT5_jjP12ihipStream_tbEUlT_E_NS1_11comp_targetILNS1_3genE3ELNS1_11target_archE908ELNS1_3gpuE7ELNS1_3repE0EEENS1_44radix_sort_block_sort_config_static_selectorELNS0_4arch9wavefront6targetE1EEEvSH_.has_recursion, 0
	.set _ZN7rocprim17ROCPRIM_400000_NS6detail17trampoline_kernelINS0_13kernel_configILj256ELj4ELj4294967295EEENS1_37radix_sort_block_sort_config_selectorIiiEEZNS1_21radix_sort_block_sortIS4_Lb0EN6thrust23THRUST_200600_302600_NS6detail15normal_iteratorINS9_10device_ptrIiEEEESE_SE_SE_NS0_19identity_decomposerEEE10hipError_tT1_T2_T3_T4_jRjT5_jjP12ihipStream_tbEUlT_E_NS1_11comp_targetILNS1_3genE3ELNS1_11target_archE908ELNS1_3gpuE7ELNS1_3repE0EEENS1_44radix_sort_block_sort_config_static_selectorELNS0_4arch9wavefront6targetE1EEEvSH_.has_indirect_call, 0
	.section	.AMDGPU.csdata,"",@progbits
; Kernel info:
; codeLenInByte = 0
; TotalNumSgprs: 6
; NumVgprs: 0
; NumAgprs: 0
; TotalNumVgprs: 0
; ScratchSize: 0
; MemoryBound: 0
; FloatMode: 240
; IeeeMode: 1
; LDSByteSize: 0 bytes/workgroup (compile time only)
; SGPRBlocks: 0
; VGPRBlocks: 0
; NumSGPRsForWavesPerEU: 6
; NumVGPRsForWavesPerEU: 1
; AccumOffset: 4
; Occupancy: 8
; WaveLimiterHint : 0
; COMPUTE_PGM_RSRC2:SCRATCH_EN: 0
; COMPUTE_PGM_RSRC2:USER_SGPR: 2
; COMPUTE_PGM_RSRC2:TRAP_HANDLER: 0
; COMPUTE_PGM_RSRC2:TGID_X_EN: 1
; COMPUTE_PGM_RSRC2:TGID_Y_EN: 0
; COMPUTE_PGM_RSRC2:TGID_Z_EN: 0
; COMPUTE_PGM_RSRC2:TIDIG_COMP_CNT: 0
; COMPUTE_PGM_RSRC3_GFX90A:ACCUM_OFFSET: 0
; COMPUTE_PGM_RSRC3_GFX90A:TG_SPLIT: 0
	.section	.text._ZN7rocprim17ROCPRIM_400000_NS6detail17trampoline_kernelINS0_13kernel_configILj256ELj4ELj4294967295EEENS1_37radix_sort_block_sort_config_selectorIiiEEZNS1_21radix_sort_block_sortIS4_Lb0EN6thrust23THRUST_200600_302600_NS6detail15normal_iteratorINS9_10device_ptrIiEEEESE_SE_SE_NS0_19identity_decomposerEEE10hipError_tT1_T2_T3_T4_jRjT5_jjP12ihipStream_tbEUlT_E_NS1_11comp_targetILNS1_3genE2ELNS1_11target_archE906ELNS1_3gpuE6ELNS1_3repE0EEENS1_44radix_sort_block_sort_config_static_selectorELNS0_4arch9wavefront6targetE1EEEvSH_,"axG",@progbits,_ZN7rocprim17ROCPRIM_400000_NS6detail17trampoline_kernelINS0_13kernel_configILj256ELj4ELj4294967295EEENS1_37radix_sort_block_sort_config_selectorIiiEEZNS1_21radix_sort_block_sortIS4_Lb0EN6thrust23THRUST_200600_302600_NS6detail15normal_iteratorINS9_10device_ptrIiEEEESE_SE_SE_NS0_19identity_decomposerEEE10hipError_tT1_T2_T3_T4_jRjT5_jjP12ihipStream_tbEUlT_E_NS1_11comp_targetILNS1_3genE2ELNS1_11target_archE906ELNS1_3gpuE6ELNS1_3repE0EEENS1_44radix_sort_block_sort_config_static_selectorELNS0_4arch9wavefront6targetE1EEEvSH_,comdat
	.protected	_ZN7rocprim17ROCPRIM_400000_NS6detail17trampoline_kernelINS0_13kernel_configILj256ELj4ELj4294967295EEENS1_37radix_sort_block_sort_config_selectorIiiEEZNS1_21radix_sort_block_sortIS4_Lb0EN6thrust23THRUST_200600_302600_NS6detail15normal_iteratorINS9_10device_ptrIiEEEESE_SE_SE_NS0_19identity_decomposerEEE10hipError_tT1_T2_T3_T4_jRjT5_jjP12ihipStream_tbEUlT_E_NS1_11comp_targetILNS1_3genE2ELNS1_11target_archE906ELNS1_3gpuE6ELNS1_3repE0EEENS1_44radix_sort_block_sort_config_static_selectorELNS0_4arch9wavefront6targetE1EEEvSH_ ; -- Begin function _ZN7rocprim17ROCPRIM_400000_NS6detail17trampoline_kernelINS0_13kernel_configILj256ELj4ELj4294967295EEENS1_37radix_sort_block_sort_config_selectorIiiEEZNS1_21radix_sort_block_sortIS4_Lb0EN6thrust23THRUST_200600_302600_NS6detail15normal_iteratorINS9_10device_ptrIiEEEESE_SE_SE_NS0_19identity_decomposerEEE10hipError_tT1_T2_T3_T4_jRjT5_jjP12ihipStream_tbEUlT_E_NS1_11comp_targetILNS1_3genE2ELNS1_11target_archE906ELNS1_3gpuE6ELNS1_3repE0EEENS1_44radix_sort_block_sort_config_static_selectorELNS0_4arch9wavefront6targetE1EEEvSH_
	.globl	_ZN7rocprim17ROCPRIM_400000_NS6detail17trampoline_kernelINS0_13kernel_configILj256ELj4ELj4294967295EEENS1_37radix_sort_block_sort_config_selectorIiiEEZNS1_21radix_sort_block_sortIS4_Lb0EN6thrust23THRUST_200600_302600_NS6detail15normal_iteratorINS9_10device_ptrIiEEEESE_SE_SE_NS0_19identity_decomposerEEE10hipError_tT1_T2_T3_T4_jRjT5_jjP12ihipStream_tbEUlT_E_NS1_11comp_targetILNS1_3genE2ELNS1_11target_archE906ELNS1_3gpuE6ELNS1_3repE0EEENS1_44radix_sort_block_sort_config_static_selectorELNS0_4arch9wavefront6targetE1EEEvSH_
	.p2align	8
	.type	_ZN7rocprim17ROCPRIM_400000_NS6detail17trampoline_kernelINS0_13kernel_configILj256ELj4ELj4294967295EEENS1_37radix_sort_block_sort_config_selectorIiiEEZNS1_21radix_sort_block_sortIS4_Lb0EN6thrust23THRUST_200600_302600_NS6detail15normal_iteratorINS9_10device_ptrIiEEEESE_SE_SE_NS0_19identity_decomposerEEE10hipError_tT1_T2_T3_T4_jRjT5_jjP12ihipStream_tbEUlT_E_NS1_11comp_targetILNS1_3genE2ELNS1_11target_archE906ELNS1_3gpuE6ELNS1_3repE0EEENS1_44radix_sort_block_sort_config_static_selectorELNS0_4arch9wavefront6targetE1EEEvSH_,@function
_ZN7rocprim17ROCPRIM_400000_NS6detail17trampoline_kernelINS0_13kernel_configILj256ELj4ELj4294967295EEENS1_37radix_sort_block_sort_config_selectorIiiEEZNS1_21radix_sort_block_sortIS4_Lb0EN6thrust23THRUST_200600_302600_NS6detail15normal_iteratorINS9_10device_ptrIiEEEESE_SE_SE_NS0_19identity_decomposerEEE10hipError_tT1_T2_T3_T4_jRjT5_jjP12ihipStream_tbEUlT_E_NS1_11comp_targetILNS1_3genE2ELNS1_11target_archE906ELNS1_3gpuE6ELNS1_3repE0EEENS1_44radix_sort_block_sort_config_static_selectorELNS0_4arch9wavefront6targetE1EEEvSH_: ; @_ZN7rocprim17ROCPRIM_400000_NS6detail17trampoline_kernelINS0_13kernel_configILj256ELj4ELj4294967295EEENS1_37radix_sort_block_sort_config_selectorIiiEEZNS1_21radix_sort_block_sortIS4_Lb0EN6thrust23THRUST_200600_302600_NS6detail15normal_iteratorINS9_10device_ptrIiEEEESE_SE_SE_NS0_19identity_decomposerEEE10hipError_tT1_T2_T3_T4_jRjT5_jjP12ihipStream_tbEUlT_E_NS1_11comp_targetILNS1_3genE2ELNS1_11target_archE906ELNS1_3gpuE6ELNS1_3repE0EEENS1_44radix_sort_block_sort_config_static_selectorELNS0_4arch9wavefront6targetE1EEEvSH_
; %bb.0:
	.section	.rodata,"a",@progbits
	.p2align	6, 0x0
	.amdhsa_kernel _ZN7rocprim17ROCPRIM_400000_NS6detail17trampoline_kernelINS0_13kernel_configILj256ELj4ELj4294967295EEENS1_37radix_sort_block_sort_config_selectorIiiEEZNS1_21radix_sort_block_sortIS4_Lb0EN6thrust23THRUST_200600_302600_NS6detail15normal_iteratorINS9_10device_ptrIiEEEESE_SE_SE_NS0_19identity_decomposerEEE10hipError_tT1_T2_T3_T4_jRjT5_jjP12ihipStream_tbEUlT_E_NS1_11comp_targetILNS1_3genE2ELNS1_11target_archE906ELNS1_3gpuE6ELNS1_3repE0EEENS1_44radix_sort_block_sort_config_static_selectorELNS0_4arch9wavefront6targetE1EEEvSH_
		.amdhsa_group_segment_fixed_size 0
		.amdhsa_private_segment_fixed_size 0
		.amdhsa_kernarg_size 48
		.amdhsa_user_sgpr_count 2
		.amdhsa_user_sgpr_dispatch_ptr 0
		.amdhsa_user_sgpr_queue_ptr 0
		.amdhsa_user_sgpr_kernarg_segment_ptr 1
		.amdhsa_user_sgpr_dispatch_id 0
		.amdhsa_user_sgpr_kernarg_preload_length 0
		.amdhsa_user_sgpr_kernarg_preload_offset 0
		.amdhsa_user_sgpr_private_segment_size 0
		.amdhsa_uses_dynamic_stack 0
		.amdhsa_enable_private_segment 0
		.amdhsa_system_sgpr_workgroup_id_x 1
		.amdhsa_system_sgpr_workgroup_id_y 0
		.amdhsa_system_sgpr_workgroup_id_z 0
		.amdhsa_system_sgpr_workgroup_info 0
		.amdhsa_system_vgpr_workitem_id 0
		.amdhsa_next_free_vgpr 1
		.amdhsa_next_free_sgpr 0
		.amdhsa_accum_offset 4
		.amdhsa_reserve_vcc 0
		.amdhsa_float_round_mode_32 0
		.amdhsa_float_round_mode_16_64 0
		.amdhsa_float_denorm_mode_32 3
		.amdhsa_float_denorm_mode_16_64 3
		.amdhsa_dx10_clamp 1
		.amdhsa_ieee_mode 1
		.amdhsa_fp16_overflow 0
		.amdhsa_tg_split 0
		.amdhsa_exception_fp_ieee_invalid_op 0
		.amdhsa_exception_fp_denorm_src 0
		.amdhsa_exception_fp_ieee_div_zero 0
		.amdhsa_exception_fp_ieee_overflow 0
		.amdhsa_exception_fp_ieee_underflow 0
		.amdhsa_exception_fp_ieee_inexact 0
		.amdhsa_exception_int_div_zero 0
	.end_amdhsa_kernel
	.section	.text._ZN7rocprim17ROCPRIM_400000_NS6detail17trampoline_kernelINS0_13kernel_configILj256ELj4ELj4294967295EEENS1_37radix_sort_block_sort_config_selectorIiiEEZNS1_21radix_sort_block_sortIS4_Lb0EN6thrust23THRUST_200600_302600_NS6detail15normal_iteratorINS9_10device_ptrIiEEEESE_SE_SE_NS0_19identity_decomposerEEE10hipError_tT1_T2_T3_T4_jRjT5_jjP12ihipStream_tbEUlT_E_NS1_11comp_targetILNS1_3genE2ELNS1_11target_archE906ELNS1_3gpuE6ELNS1_3repE0EEENS1_44radix_sort_block_sort_config_static_selectorELNS0_4arch9wavefront6targetE1EEEvSH_,"axG",@progbits,_ZN7rocprim17ROCPRIM_400000_NS6detail17trampoline_kernelINS0_13kernel_configILj256ELj4ELj4294967295EEENS1_37radix_sort_block_sort_config_selectorIiiEEZNS1_21radix_sort_block_sortIS4_Lb0EN6thrust23THRUST_200600_302600_NS6detail15normal_iteratorINS9_10device_ptrIiEEEESE_SE_SE_NS0_19identity_decomposerEEE10hipError_tT1_T2_T3_T4_jRjT5_jjP12ihipStream_tbEUlT_E_NS1_11comp_targetILNS1_3genE2ELNS1_11target_archE906ELNS1_3gpuE6ELNS1_3repE0EEENS1_44radix_sort_block_sort_config_static_selectorELNS0_4arch9wavefront6targetE1EEEvSH_,comdat
.Lfunc_end1273:
	.size	_ZN7rocprim17ROCPRIM_400000_NS6detail17trampoline_kernelINS0_13kernel_configILj256ELj4ELj4294967295EEENS1_37radix_sort_block_sort_config_selectorIiiEEZNS1_21radix_sort_block_sortIS4_Lb0EN6thrust23THRUST_200600_302600_NS6detail15normal_iteratorINS9_10device_ptrIiEEEESE_SE_SE_NS0_19identity_decomposerEEE10hipError_tT1_T2_T3_T4_jRjT5_jjP12ihipStream_tbEUlT_E_NS1_11comp_targetILNS1_3genE2ELNS1_11target_archE906ELNS1_3gpuE6ELNS1_3repE0EEENS1_44radix_sort_block_sort_config_static_selectorELNS0_4arch9wavefront6targetE1EEEvSH_, .Lfunc_end1273-_ZN7rocprim17ROCPRIM_400000_NS6detail17trampoline_kernelINS0_13kernel_configILj256ELj4ELj4294967295EEENS1_37radix_sort_block_sort_config_selectorIiiEEZNS1_21radix_sort_block_sortIS4_Lb0EN6thrust23THRUST_200600_302600_NS6detail15normal_iteratorINS9_10device_ptrIiEEEESE_SE_SE_NS0_19identity_decomposerEEE10hipError_tT1_T2_T3_T4_jRjT5_jjP12ihipStream_tbEUlT_E_NS1_11comp_targetILNS1_3genE2ELNS1_11target_archE906ELNS1_3gpuE6ELNS1_3repE0EEENS1_44radix_sort_block_sort_config_static_selectorELNS0_4arch9wavefront6targetE1EEEvSH_
                                        ; -- End function
	.set _ZN7rocprim17ROCPRIM_400000_NS6detail17trampoline_kernelINS0_13kernel_configILj256ELj4ELj4294967295EEENS1_37radix_sort_block_sort_config_selectorIiiEEZNS1_21radix_sort_block_sortIS4_Lb0EN6thrust23THRUST_200600_302600_NS6detail15normal_iteratorINS9_10device_ptrIiEEEESE_SE_SE_NS0_19identity_decomposerEEE10hipError_tT1_T2_T3_T4_jRjT5_jjP12ihipStream_tbEUlT_E_NS1_11comp_targetILNS1_3genE2ELNS1_11target_archE906ELNS1_3gpuE6ELNS1_3repE0EEENS1_44radix_sort_block_sort_config_static_selectorELNS0_4arch9wavefront6targetE1EEEvSH_.num_vgpr, 0
	.set _ZN7rocprim17ROCPRIM_400000_NS6detail17trampoline_kernelINS0_13kernel_configILj256ELj4ELj4294967295EEENS1_37radix_sort_block_sort_config_selectorIiiEEZNS1_21radix_sort_block_sortIS4_Lb0EN6thrust23THRUST_200600_302600_NS6detail15normal_iteratorINS9_10device_ptrIiEEEESE_SE_SE_NS0_19identity_decomposerEEE10hipError_tT1_T2_T3_T4_jRjT5_jjP12ihipStream_tbEUlT_E_NS1_11comp_targetILNS1_3genE2ELNS1_11target_archE906ELNS1_3gpuE6ELNS1_3repE0EEENS1_44radix_sort_block_sort_config_static_selectorELNS0_4arch9wavefront6targetE1EEEvSH_.num_agpr, 0
	.set _ZN7rocprim17ROCPRIM_400000_NS6detail17trampoline_kernelINS0_13kernel_configILj256ELj4ELj4294967295EEENS1_37radix_sort_block_sort_config_selectorIiiEEZNS1_21radix_sort_block_sortIS4_Lb0EN6thrust23THRUST_200600_302600_NS6detail15normal_iteratorINS9_10device_ptrIiEEEESE_SE_SE_NS0_19identity_decomposerEEE10hipError_tT1_T2_T3_T4_jRjT5_jjP12ihipStream_tbEUlT_E_NS1_11comp_targetILNS1_3genE2ELNS1_11target_archE906ELNS1_3gpuE6ELNS1_3repE0EEENS1_44radix_sort_block_sort_config_static_selectorELNS0_4arch9wavefront6targetE1EEEvSH_.numbered_sgpr, 0
	.set _ZN7rocprim17ROCPRIM_400000_NS6detail17trampoline_kernelINS0_13kernel_configILj256ELj4ELj4294967295EEENS1_37radix_sort_block_sort_config_selectorIiiEEZNS1_21radix_sort_block_sortIS4_Lb0EN6thrust23THRUST_200600_302600_NS6detail15normal_iteratorINS9_10device_ptrIiEEEESE_SE_SE_NS0_19identity_decomposerEEE10hipError_tT1_T2_T3_T4_jRjT5_jjP12ihipStream_tbEUlT_E_NS1_11comp_targetILNS1_3genE2ELNS1_11target_archE906ELNS1_3gpuE6ELNS1_3repE0EEENS1_44radix_sort_block_sort_config_static_selectorELNS0_4arch9wavefront6targetE1EEEvSH_.num_named_barrier, 0
	.set _ZN7rocprim17ROCPRIM_400000_NS6detail17trampoline_kernelINS0_13kernel_configILj256ELj4ELj4294967295EEENS1_37radix_sort_block_sort_config_selectorIiiEEZNS1_21radix_sort_block_sortIS4_Lb0EN6thrust23THRUST_200600_302600_NS6detail15normal_iteratorINS9_10device_ptrIiEEEESE_SE_SE_NS0_19identity_decomposerEEE10hipError_tT1_T2_T3_T4_jRjT5_jjP12ihipStream_tbEUlT_E_NS1_11comp_targetILNS1_3genE2ELNS1_11target_archE906ELNS1_3gpuE6ELNS1_3repE0EEENS1_44radix_sort_block_sort_config_static_selectorELNS0_4arch9wavefront6targetE1EEEvSH_.private_seg_size, 0
	.set _ZN7rocprim17ROCPRIM_400000_NS6detail17trampoline_kernelINS0_13kernel_configILj256ELj4ELj4294967295EEENS1_37radix_sort_block_sort_config_selectorIiiEEZNS1_21radix_sort_block_sortIS4_Lb0EN6thrust23THRUST_200600_302600_NS6detail15normal_iteratorINS9_10device_ptrIiEEEESE_SE_SE_NS0_19identity_decomposerEEE10hipError_tT1_T2_T3_T4_jRjT5_jjP12ihipStream_tbEUlT_E_NS1_11comp_targetILNS1_3genE2ELNS1_11target_archE906ELNS1_3gpuE6ELNS1_3repE0EEENS1_44radix_sort_block_sort_config_static_selectorELNS0_4arch9wavefront6targetE1EEEvSH_.uses_vcc, 0
	.set _ZN7rocprim17ROCPRIM_400000_NS6detail17trampoline_kernelINS0_13kernel_configILj256ELj4ELj4294967295EEENS1_37radix_sort_block_sort_config_selectorIiiEEZNS1_21radix_sort_block_sortIS4_Lb0EN6thrust23THRUST_200600_302600_NS6detail15normal_iteratorINS9_10device_ptrIiEEEESE_SE_SE_NS0_19identity_decomposerEEE10hipError_tT1_T2_T3_T4_jRjT5_jjP12ihipStream_tbEUlT_E_NS1_11comp_targetILNS1_3genE2ELNS1_11target_archE906ELNS1_3gpuE6ELNS1_3repE0EEENS1_44radix_sort_block_sort_config_static_selectorELNS0_4arch9wavefront6targetE1EEEvSH_.uses_flat_scratch, 0
	.set _ZN7rocprim17ROCPRIM_400000_NS6detail17trampoline_kernelINS0_13kernel_configILj256ELj4ELj4294967295EEENS1_37radix_sort_block_sort_config_selectorIiiEEZNS1_21radix_sort_block_sortIS4_Lb0EN6thrust23THRUST_200600_302600_NS6detail15normal_iteratorINS9_10device_ptrIiEEEESE_SE_SE_NS0_19identity_decomposerEEE10hipError_tT1_T2_T3_T4_jRjT5_jjP12ihipStream_tbEUlT_E_NS1_11comp_targetILNS1_3genE2ELNS1_11target_archE906ELNS1_3gpuE6ELNS1_3repE0EEENS1_44radix_sort_block_sort_config_static_selectorELNS0_4arch9wavefront6targetE1EEEvSH_.has_dyn_sized_stack, 0
	.set _ZN7rocprim17ROCPRIM_400000_NS6detail17trampoline_kernelINS0_13kernel_configILj256ELj4ELj4294967295EEENS1_37radix_sort_block_sort_config_selectorIiiEEZNS1_21radix_sort_block_sortIS4_Lb0EN6thrust23THRUST_200600_302600_NS6detail15normal_iteratorINS9_10device_ptrIiEEEESE_SE_SE_NS0_19identity_decomposerEEE10hipError_tT1_T2_T3_T4_jRjT5_jjP12ihipStream_tbEUlT_E_NS1_11comp_targetILNS1_3genE2ELNS1_11target_archE906ELNS1_3gpuE6ELNS1_3repE0EEENS1_44radix_sort_block_sort_config_static_selectorELNS0_4arch9wavefront6targetE1EEEvSH_.has_recursion, 0
	.set _ZN7rocprim17ROCPRIM_400000_NS6detail17trampoline_kernelINS0_13kernel_configILj256ELj4ELj4294967295EEENS1_37radix_sort_block_sort_config_selectorIiiEEZNS1_21radix_sort_block_sortIS4_Lb0EN6thrust23THRUST_200600_302600_NS6detail15normal_iteratorINS9_10device_ptrIiEEEESE_SE_SE_NS0_19identity_decomposerEEE10hipError_tT1_T2_T3_T4_jRjT5_jjP12ihipStream_tbEUlT_E_NS1_11comp_targetILNS1_3genE2ELNS1_11target_archE906ELNS1_3gpuE6ELNS1_3repE0EEENS1_44radix_sort_block_sort_config_static_selectorELNS0_4arch9wavefront6targetE1EEEvSH_.has_indirect_call, 0
	.section	.AMDGPU.csdata,"",@progbits
; Kernel info:
; codeLenInByte = 0
; TotalNumSgprs: 6
; NumVgprs: 0
; NumAgprs: 0
; TotalNumVgprs: 0
; ScratchSize: 0
; MemoryBound: 0
; FloatMode: 240
; IeeeMode: 1
; LDSByteSize: 0 bytes/workgroup (compile time only)
; SGPRBlocks: 0
; VGPRBlocks: 0
; NumSGPRsForWavesPerEU: 6
; NumVGPRsForWavesPerEU: 1
; AccumOffset: 4
; Occupancy: 8
; WaveLimiterHint : 0
; COMPUTE_PGM_RSRC2:SCRATCH_EN: 0
; COMPUTE_PGM_RSRC2:USER_SGPR: 2
; COMPUTE_PGM_RSRC2:TRAP_HANDLER: 0
; COMPUTE_PGM_RSRC2:TGID_X_EN: 1
; COMPUTE_PGM_RSRC2:TGID_Y_EN: 0
; COMPUTE_PGM_RSRC2:TGID_Z_EN: 0
; COMPUTE_PGM_RSRC2:TIDIG_COMP_CNT: 0
; COMPUTE_PGM_RSRC3_GFX90A:ACCUM_OFFSET: 0
; COMPUTE_PGM_RSRC3_GFX90A:TG_SPLIT: 0
	.section	.text._ZN7rocprim17ROCPRIM_400000_NS6detail17trampoline_kernelINS0_13kernel_configILj256ELj4ELj4294967295EEENS1_37radix_sort_block_sort_config_selectorIiiEEZNS1_21radix_sort_block_sortIS4_Lb0EN6thrust23THRUST_200600_302600_NS6detail15normal_iteratorINS9_10device_ptrIiEEEESE_SE_SE_NS0_19identity_decomposerEEE10hipError_tT1_T2_T3_T4_jRjT5_jjP12ihipStream_tbEUlT_E_NS1_11comp_targetILNS1_3genE10ELNS1_11target_archE1201ELNS1_3gpuE5ELNS1_3repE0EEENS1_44radix_sort_block_sort_config_static_selectorELNS0_4arch9wavefront6targetE1EEEvSH_,"axG",@progbits,_ZN7rocprim17ROCPRIM_400000_NS6detail17trampoline_kernelINS0_13kernel_configILj256ELj4ELj4294967295EEENS1_37radix_sort_block_sort_config_selectorIiiEEZNS1_21radix_sort_block_sortIS4_Lb0EN6thrust23THRUST_200600_302600_NS6detail15normal_iteratorINS9_10device_ptrIiEEEESE_SE_SE_NS0_19identity_decomposerEEE10hipError_tT1_T2_T3_T4_jRjT5_jjP12ihipStream_tbEUlT_E_NS1_11comp_targetILNS1_3genE10ELNS1_11target_archE1201ELNS1_3gpuE5ELNS1_3repE0EEENS1_44radix_sort_block_sort_config_static_selectorELNS0_4arch9wavefront6targetE1EEEvSH_,comdat
	.protected	_ZN7rocprim17ROCPRIM_400000_NS6detail17trampoline_kernelINS0_13kernel_configILj256ELj4ELj4294967295EEENS1_37radix_sort_block_sort_config_selectorIiiEEZNS1_21radix_sort_block_sortIS4_Lb0EN6thrust23THRUST_200600_302600_NS6detail15normal_iteratorINS9_10device_ptrIiEEEESE_SE_SE_NS0_19identity_decomposerEEE10hipError_tT1_T2_T3_T4_jRjT5_jjP12ihipStream_tbEUlT_E_NS1_11comp_targetILNS1_3genE10ELNS1_11target_archE1201ELNS1_3gpuE5ELNS1_3repE0EEENS1_44radix_sort_block_sort_config_static_selectorELNS0_4arch9wavefront6targetE1EEEvSH_ ; -- Begin function _ZN7rocprim17ROCPRIM_400000_NS6detail17trampoline_kernelINS0_13kernel_configILj256ELj4ELj4294967295EEENS1_37radix_sort_block_sort_config_selectorIiiEEZNS1_21radix_sort_block_sortIS4_Lb0EN6thrust23THRUST_200600_302600_NS6detail15normal_iteratorINS9_10device_ptrIiEEEESE_SE_SE_NS0_19identity_decomposerEEE10hipError_tT1_T2_T3_T4_jRjT5_jjP12ihipStream_tbEUlT_E_NS1_11comp_targetILNS1_3genE10ELNS1_11target_archE1201ELNS1_3gpuE5ELNS1_3repE0EEENS1_44radix_sort_block_sort_config_static_selectorELNS0_4arch9wavefront6targetE1EEEvSH_
	.globl	_ZN7rocprim17ROCPRIM_400000_NS6detail17trampoline_kernelINS0_13kernel_configILj256ELj4ELj4294967295EEENS1_37radix_sort_block_sort_config_selectorIiiEEZNS1_21radix_sort_block_sortIS4_Lb0EN6thrust23THRUST_200600_302600_NS6detail15normal_iteratorINS9_10device_ptrIiEEEESE_SE_SE_NS0_19identity_decomposerEEE10hipError_tT1_T2_T3_T4_jRjT5_jjP12ihipStream_tbEUlT_E_NS1_11comp_targetILNS1_3genE10ELNS1_11target_archE1201ELNS1_3gpuE5ELNS1_3repE0EEENS1_44radix_sort_block_sort_config_static_selectorELNS0_4arch9wavefront6targetE1EEEvSH_
	.p2align	8
	.type	_ZN7rocprim17ROCPRIM_400000_NS6detail17trampoline_kernelINS0_13kernel_configILj256ELj4ELj4294967295EEENS1_37radix_sort_block_sort_config_selectorIiiEEZNS1_21radix_sort_block_sortIS4_Lb0EN6thrust23THRUST_200600_302600_NS6detail15normal_iteratorINS9_10device_ptrIiEEEESE_SE_SE_NS0_19identity_decomposerEEE10hipError_tT1_T2_T3_T4_jRjT5_jjP12ihipStream_tbEUlT_E_NS1_11comp_targetILNS1_3genE10ELNS1_11target_archE1201ELNS1_3gpuE5ELNS1_3repE0EEENS1_44radix_sort_block_sort_config_static_selectorELNS0_4arch9wavefront6targetE1EEEvSH_,@function
_ZN7rocprim17ROCPRIM_400000_NS6detail17trampoline_kernelINS0_13kernel_configILj256ELj4ELj4294967295EEENS1_37radix_sort_block_sort_config_selectorIiiEEZNS1_21radix_sort_block_sortIS4_Lb0EN6thrust23THRUST_200600_302600_NS6detail15normal_iteratorINS9_10device_ptrIiEEEESE_SE_SE_NS0_19identity_decomposerEEE10hipError_tT1_T2_T3_T4_jRjT5_jjP12ihipStream_tbEUlT_E_NS1_11comp_targetILNS1_3genE10ELNS1_11target_archE1201ELNS1_3gpuE5ELNS1_3repE0EEENS1_44radix_sort_block_sort_config_static_selectorELNS0_4arch9wavefront6targetE1EEEvSH_: ; @_ZN7rocprim17ROCPRIM_400000_NS6detail17trampoline_kernelINS0_13kernel_configILj256ELj4ELj4294967295EEENS1_37radix_sort_block_sort_config_selectorIiiEEZNS1_21radix_sort_block_sortIS4_Lb0EN6thrust23THRUST_200600_302600_NS6detail15normal_iteratorINS9_10device_ptrIiEEEESE_SE_SE_NS0_19identity_decomposerEEE10hipError_tT1_T2_T3_T4_jRjT5_jjP12ihipStream_tbEUlT_E_NS1_11comp_targetILNS1_3genE10ELNS1_11target_archE1201ELNS1_3gpuE5ELNS1_3repE0EEENS1_44radix_sort_block_sort_config_static_selectorELNS0_4arch9wavefront6targetE1EEEvSH_
; %bb.0:
	.section	.rodata,"a",@progbits
	.p2align	6, 0x0
	.amdhsa_kernel _ZN7rocprim17ROCPRIM_400000_NS6detail17trampoline_kernelINS0_13kernel_configILj256ELj4ELj4294967295EEENS1_37radix_sort_block_sort_config_selectorIiiEEZNS1_21radix_sort_block_sortIS4_Lb0EN6thrust23THRUST_200600_302600_NS6detail15normal_iteratorINS9_10device_ptrIiEEEESE_SE_SE_NS0_19identity_decomposerEEE10hipError_tT1_T2_T3_T4_jRjT5_jjP12ihipStream_tbEUlT_E_NS1_11comp_targetILNS1_3genE10ELNS1_11target_archE1201ELNS1_3gpuE5ELNS1_3repE0EEENS1_44radix_sort_block_sort_config_static_selectorELNS0_4arch9wavefront6targetE1EEEvSH_
		.amdhsa_group_segment_fixed_size 0
		.amdhsa_private_segment_fixed_size 0
		.amdhsa_kernarg_size 48
		.amdhsa_user_sgpr_count 2
		.amdhsa_user_sgpr_dispatch_ptr 0
		.amdhsa_user_sgpr_queue_ptr 0
		.amdhsa_user_sgpr_kernarg_segment_ptr 1
		.amdhsa_user_sgpr_dispatch_id 0
		.amdhsa_user_sgpr_kernarg_preload_length 0
		.amdhsa_user_sgpr_kernarg_preload_offset 0
		.amdhsa_user_sgpr_private_segment_size 0
		.amdhsa_uses_dynamic_stack 0
		.amdhsa_enable_private_segment 0
		.amdhsa_system_sgpr_workgroup_id_x 1
		.amdhsa_system_sgpr_workgroup_id_y 0
		.amdhsa_system_sgpr_workgroup_id_z 0
		.amdhsa_system_sgpr_workgroup_info 0
		.amdhsa_system_vgpr_workitem_id 0
		.amdhsa_next_free_vgpr 1
		.amdhsa_next_free_sgpr 0
		.amdhsa_accum_offset 4
		.amdhsa_reserve_vcc 0
		.amdhsa_float_round_mode_32 0
		.amdhsa_float_round_mode_16_64 0
		.amdhsa_float_denorm_mode_32 3
		.amdhsa_float_denorm_mode_16_64 3
		.amdhsa_dx10_clamp 1
		.amdhsa_ieee_mode 1
		.amdhsa_fp16_overflow 0
		.amdhsa_tg_split 0
		.amdhsa_exception_fp_ieee_invalid_op 0
		.amdhsa_exception_fp_denorm_src 0
		.amdhsa_exception_fp_ieee_div_zero 0
		.amdhsa_exception_fp_ieee_overflow 0
		.amdhsa_exception_fp_ieee_underflow 0
		.amdhsa_exception_fp_ieee_inexact 0
		.amdhsa_exception_int_div_zero 0
	.end_amdhsa_kernel
	.section	.text._ZN7rocprim17ROCPRIM_400000_NS6detail17trampoline_kernelINS0_13kernel_configILj256ELj4ELj4294967295EEENS1_37radix_sort_block_sort_config_selectorIiiEEZNS1_21radix_sort_block_sortIS4_Lb0EN6thrust23THRUST_200600_302600_NS6detail15normal_iteratorINS9_10device_ptrIiEEEESE_SE_SE_NS0_19identity_decomposerEEE10hipError_tT1_T2_T3_T4_jRjT5_jjP12ihipStream_tbEUlT_E_NS1_11comp_targetILNS1_3genE10ELNS1_11target_archE1201ELNS1_3gpuE5ELNS1_3repE0EEENS1_44radix_sort_block_sort_config_static_selectorELNS0_4arch9wavefront6targetE1EEEvSH_,"axG",@progbits,_ZN7rocprim17ROCPRIM_400000_NS6detail17trampoline_kernelINS0_13kernel_configILj256ELj4ELj4294967295EEENS1_37radix_sort_block_sort_config_selectorIiiEEZNS1_21radix_sort_block_sortIS4_Lb0EN6thrust23THRUST_200600_302600_NS6detail15normal_iteratorINS9_10device_ptrIiEEEESE_SE_SE_NS0_19identity_decomposerEEE10hipError_tT1_T2_T3_T4_jRjT5_jjP12ihipStream_tbEUlT_E_NS1_11comp_targetILNS1_3genE10ELNS1_11target_archE1201ELNS1_3gpuE5ELNS1_3repE0EEENS1_44radix_sort_block_sort_config_static_selectorELNS0_4arch9wavefront6targetE1EEEvSH_,comdat
.Lfunc_end1274:
	.size	_ZN7rocprim17ROCPRIM_400000_NS6detail17trampoline_kernelINS0_13kernel_configILj256ELj4ELj4294967295EEENS1_37radix_sort_block_sort_config_selectorIiiEEZNS1_21radix_sort_block_sortIS4_Lb0EN6thrust23THRUST_200600_302600_NS6detail15normal_iteratorINS9_10device_ptrIiEEEESE_SE_SE_NS0_19identity_decomposerEEE10hipError_tT1_T2_T3_T4_jRjT5_jjP12ihipStream_tbEUlT_E_NS1_11comp_targetILNS1_3genE10ELNS1_11target_archE1201ELNS1_3gpuE5ELNS1_3repE0EEENS1_44radix_sort_block_sort_config_static_selectorELNS0_4arch9wavefront6targetE1EEEvSH_, .Lfunc_end1274-_ZN7rocprim17ROCPRIM_400000_NS6detail17trampoline_kernelINS0_13kernel_configILj256ELj4ELj4294967295EEENS1_37radix_sort_block_sort_config_selectorIiiEEZNS1_21radix_sort_block_sortIS4_Lb0EN6thrust23THRUST_200600_302600_NS6detail15normal_iteratorINS9_10device_ptrIiEEEESE_SE_SE_NS0_19identity_decomposerEEE10hipError_tT1_T2_T3_T4_jRjT5_jjP12ihipStream_tbEUlT_E_NS1_11comp_targetILNS1_3genE10ELNS1_11target_archE1201ELNS1_3gpuE5ELNS1_3repE0EEENS1_44radix_sort_block_sort_config_static_selectorELNS0_4arch9wavefront6targetE1EEEvSH_
                                        ; -- End function
	.set _ZN7rocprim17ROCPRIM_400000_NS6detail17trampoline_kernelINS0_13kernel_configILj256ELj4ELj4294967295EEENS1_37radix_sort_block_sort_config_selectorIiiEEZNS1_21radix_sort_block_sortIS4_Lb0EN6thrust23THRUST_200600_302600_NS6detail15normal_iteratorINS9_10device_ptrIiEEEESE_SE_SE_NS0_19identity_decomposerEEE10hipError_tT1_T2_T3_T4_jRjT5_jjP12ihipStream_tbEUlT_E_NS1_11comp_targetILNS1_3genE10ELNS1_11target_archE1201ELNS1_3gpuE5ELNS1_3repE0EEENS1_44radix_sort_block_sort_config_static_selectorELNS0_4arch9wavefront6targetE1EEEvSH_.num_vgpr, 0
	.set _ZN7rocprim17ROCPRIM_400000_NS6detail17trampoline_kernelINS0_13kernel_configILj256ELj4ELj4294967295EEENS1_37radix_sort_block_sort_config_selectorIiiEEZNS1_21radix_sort_block_sortIS4_Lb0EN6thrust23THRUST_200600_302600_NS6detail15normal_iteratorINS9_10device_ptrIiEEEESE_SE_SE_NS0_19identity_decomposerEEE10hipError_tT1_T2_T3_T4_jRjT5_jjP12ihipStream_tbEUlT_E_NS1_11comp_targetILNS1_3genE10ELNS1_11target_archE1201ELNS1_3gpuE5ELNS1_3repE0EEENS1_44radix_sort_block_sort_config_static_selectorELNS0_4arch9wavefront6targetE1EEEvSH_.num_agpr, 0
	.set _ZN7rocprim17ROCPRIM_400000_NS6detail17trampoline_kernelINS0_13kernel_configILj256ELj4ELj4294967295EEENS1_37radix_sort_block_sort_config_selectorIiiEEZNS1_21radix_sort_block_sortIS4_Lb0EN6thrust23THRUST_200600_302600_NS6detail15normal_iteratorINS9_10device_ptrIiEEEESE_SE_SE_NS0_19identity_decomposerEEE10hipError_tT1_T2_T3_T4_jRjT5_jjP12ihipStream_tbEUlT_E_NS1_11comp_targetILNS1_3genE10ELNS1_11target_archE1201ELNS1_3gpuE5ELNS1_3repE0EEENS1_44radix_sort_block_sort_config_static_selectorELNS0_4arch9wavefront6targetE1EEEvSH_.numbered_sgpr, 0
	.set _ZN7rocprim17ROCPRIM_400000_NS6detail17trampoline_kernelINS0_13kernel_configILj256ELj4ELj4294967295EEENS1_37radix_sort_block_sort_config_selectorIiiEEZNS1_21radix_sort_block_sortIS4_Lb0EN6thrust23THRUST_200600_302600_NS6detail15normal_iteratorINS9_10device_ptrIiEEEESE_SE_SE_NS0_19identity_decomposerEEE10hipError_tT1_T2_T3_T4_jRjT5_jjP12ihipStream_tbEUlT_E_NS1_11comp_targetILNS1_3genE10ELNS1_11target_archE1201ELNS1_3gpuE5ELNS1_3repE0EEENS1_44radix_sort_block_sort_config_static_selectorELNS0_4arch9wavefront6targetE1EEEvSH_.num_named_barrier, 0
	.set _ZN7rocprim17ROCPRIM_400000_NS6detail17trampoline_kernelINS0_13kernel_configILj256ELj4ELj4294967295EEENS1_37radix_sort_block_sort_config_selectorIiiEEZNS1_21radix_sort_block_sortIS4_Lb0EN6thrust23THRUST_200600_302600_NS6detail15normal_iteratorINS9_10device_ptrIiEEEESE_SE_SE_NS0_19identity_decomposerEEE10hipError_tT1_T2_T3_T4_jRjT5_jjP12ihipStream_tbEUlT_E_NS1_11comp_targetILNS1_3genE10ELNS1_11target_archE1201ELNS1_3gpuE5ELNS1_3repE0EEENS1_44radix_sort_block_sort_config_static_selectorELNS0_4arch9wavefront6targetE1EEEvSH_.private_seg_size, 0
	.set _ZN7rocprim17ROCPRIM_400000_NS6detail17trampoline_kernelINS0_13kernel_configILj256ELj4ELj4294967295EEENS1_37radix_sort_block_sort_config_selectorIiiEEZNS1_21radix_sort_block_sortIS4_Lb0EN6thrust23THRUST_200600_302600_NS6detail15normal_iteratorINS9_10device_ptrIiEEEESE_SE_SE_NS0_19identity_decomposerEEE10hipError_tT1_T2_T3_T4_jRjT5_jjP12ihipStream_tbEUlT_E_NS1_11comp_targetILNS1_3genE10ELNS1_11target_archE1201ELNS1_3gpuE5ELNS1_3repE0EEENS1_44radix_sort_block_sort_config_static_selectorELNS0_4arch9wavefront6targetE1EEEvSH_.uses_vcc, 0
	.set _ZN7rocprim17ROCPRIM_400000_NS6detail17trampoline_kernelINS0_13kernel_configILj256ELj4ELj4294967295EEENS1_37radix_sort_block_sort_config_selectorIiiEEZNS1_21radix_sort_block_sortIS4_Lb0EN6thrust23THRUST_200600_302600_NS6detail15normal_iteratorINS9_10device_ptrIiEEEESE_SE_SE_NS0_19identity_decomposerEEE10hipError_tT1_T2_T3_T4_jRjT5_jjP12ihipStream_tbEUlT_E_NS1_11comp_targetILNS1_3genE10ELNS1_11target_archE1201ELNS1_3gpuE5ELNS1_3repE0EEENS1_44radix_sort_block_sort_config_static_selectorELNS0_4arch9wavefront6targetE1EEEvSH_.uses_flat_scratch, 0
	.set _ZN7rocprim17ROCPRIM_400000_NS6detail17trampoline_kernelINS0_13kernel_configILj256ELj4ELj4294967295EEENS1_37radix_sort_block_sort_config_selectorIiiEEZNS1_21radix_sort_block_sortIS4_Lb0EN6thrust23THRUST_200600_302600_NS6detail15normal_iteratorINS9_10device_ptrIiEEEESE_SE_SE_NS0_19identity_decomposerEEE10hipError_tT1_T2_T3_T4_jRjT5_jjP12ihipStream_tbEUlT_E_NS1_11comp_targetILNS1_3genE10ELNS1_11target_archE1201ELNS1_3gpuE5ELNS1_3repE0EEENS1_44radix_sort_block_sort_config_static_selectorELNS0_4arch9wavefront6targetE1EEEvSH_.has_dyn_sized_stack, 0
	.set _ZN7rocprim17ROCPRIM_400000_NS6detail17trampoline_kernelINS0_13kernel_configILj256ELj4ELj4294967295EEENS1_37radix_sort_block_sort_config_selectorIiiEEZNS1_21radix_sort_block_sortIS4_Lb0EN6thrust23THRUST_200600_302600_NS6detail15normal_iteratorINS9_10device_ptrIiEEEESE_SE_SE_NS0_19identity_decomposerEEE10hipError_tT1_T2_T3_T4_jRjT5_jjP12ihipStream_tbEUlT_E_NS1_11comp_targetILNS1_3genE10ELNS1_11target_archE1201ELNS1_3gpuE5ELNS1_3repE0EEENS1_44radix_sort_block_sort_config_static_selectorELNS0_4arch9wavefront6targetE1EEEvSH_.has_recursion, 0
	.set _ZN7rocprim17ROCPRIM_400000_NS6detail17trampoline_kernelINS0_13kernel_configILj256ELj4ELj4294967295EEENS1_37radix_sort_block_sort_config_selectorIiiEEZNS1_21radix_sort_block_sortIS4_Lb0EN6thrust23THRUST_200600_302600_NS6detail15normal_iteratorINS9_10device_ptrIiEEEESE_SE_SE_NS0_19identity_decomposerEEE10hipError_tT1_T2_T3_T4_jRjT5_jjP12ihipStream_tbEUlT_E_NS1_11comp_targetILNS1_3genE10ELNS1_11target_archE1201ELNS1_3gpuE5ELNS1_3repE0EEENS1_44radix_sort_block_sort_config_static_selectorELNS0_4arch9wavefront6targetE1EEEvSH_.has_indirect_call, 0
	.section	.AMDGPU.csdata,"",@progbits
; Kernel info:
; codeLenInByte = 0
; TotalNumSgprs: 6
; NumVgprs: 0
; NumAgprs: 0
; TotalNumVgprs: 0
; ScratchSize: 0
; MemoryBound: 0
; FloatMode: 240
; IeeeMode: 1
; LDSByteSize: 0 bytes/workgroup (compile time only)
; SGPRBlocks: 0
; VGPRBlocks: 0
; NumSGPRsForWavesPerEU: 6
; NumVGPRsForWavesPerEU: 1
; AccumOffset: 4
; Occupancy: 8
; WaveLimiterHint : 0
; COMPUTE_PGM_RSRC2:SCRATCH_EN: 0
; COMPUTE_PGM_RSRC2:USER_SGPR: 2
; COMPUTE_PGM_RSRC2:TRAP_HANDLER: 0
; COMPUTE_PGM_RSRC2:TGID_X_EN: 1
; COMPUTE_PGM_RSRC2:TGID_Y_EN: 0
; COMPUTE_PGM_RSRC2:TGID_Z_EN: 0
; COMPUTE_PGM_RSRC2:TIDIG_COMP_CNT: 0
; COMPUTE_PGM_RSRC3_GFX90A:ACCUM_OFFSET: 0
; COMPUTE_PGM_RSRC3_GFX90A:TG_SPLIT: 0
	.section	.text._ZN7rocprim17ROCPRIM_400000_NS6detail17trampoline_kernelINS0_13kernel_configILj256ELj4ELj4294967295EEENS1_37radix_sort_block_sort_config_selectorIiiEEZNS1_21radix_sort_block_sortIS4_Lb0EN6thrust23THRUST_200600_302600_NS6detail15normal_iteratorINS9_10device_ptrIiEEEESE_SE_SE_NS0_19identity_decomposerEEE10hipError_tT1_T2_T3_T4_jRjT5_jjP12ihipStream_tbEUlT_E_NS1_11comp_targetILNS1_3genE10ELNS1_11target_archE1200ELNS1_3gpuE4ELNS1_3repE0EEENS1_44radix_sort_block_sort_config_static_selectorELNS0_4arch9wavefront6targetE1EEEvSH_,"axG",@progbits,_ZN7rocprim17ROCPRIM_400000_NS6detail17trampoline_kernelINS0_13kernel_configILj256ELj4ELj4294967295EEENS1_37radix_sort_block_sort_config_selectorIiiEEZNS1_21radix_sort_block_sortIS4_Lb0EN6thrust23THRUST_200600_302600_NS6detail15normal_iteratorINS9_10device_ptrIiEEEESE_SE_SE_NS0_19identity_decomposerEEE10hipError_tT1_T2_T3_T4_jRjT5_jjP12ihipStream_tbEUlT_E_NS1_11comp_targetILNS1_3genE10ELNS1_11target_archE1200ELNS1_3gpuE4ELNS1_3repE0EEENS1_44radix_sort_block_sort_config_static_selectorELNS0_4arch9wavefront6targetE1EEEvSH_,comdat
	.protected	_ZN7rocprim17ROCPRIM_400000_NS6detail17trampoline_kernelINS0_13kernel_configILj256ELj4ELj4294967295EEENS1_37radix_sort_block_sort_config_selectorIiiEEZNS1_21radix_sort_block_sortIS4_Lb0EN6thrust23THRUST_200600_302600_NS6detail15normal_iteratorINS9_10device_ptrIiEEEESE_SE_SE_NS0_19identity_decomposerEEE10hipError_tT1_T2_T3_T4_jRjT5_jjP12ihipStream_tbEUlT_E_NS1_11comp_targetILNS1_3genE10ELNS1_11target_archE1200ELNS1_3gpuE4ELNS1_3repE0EEENS1_44radix_sort_block_sort_config_static_selectorELNS0_4arch9wavefront6targetE1EEEvSH_ ; -- Begin function _ZN7rocprim17ROCPRIM_400000_NS6detail17trampoline_kernelINS0_13kernel_configILj256ELj4ELj4294967295EEENS1_37radix_sort_block_sort_config_selectorIiiEEZNS1_21radix_sort_block_sortIS4_Lb0EN6thrust23THRUST_200600_302600_NS6detail15normal_iteratorINS9_10device_ptrIiEEEESE_SE_SE_NS0_19identity_decomposerEEE10hipError_tT1_T2_T3_T4_jRjT5_jjP12ihipStream_tbEUlT_E_NS1_11comp_targetILNS1_3genE10ELNS1_11target_archE1200ELNS1_3gpuE4ELNS1_3repE0EEENS1_44radix_sort_block_sort_config_static_selectorELNS0_4arch9wavefront6targetE1EEEvSH_
	.globl	_ZN7rocprim17ROCPRIM_400000_NS6detail17trampoline_kernelINS0_13kernel_configILj256ELj4ELj4294967295EEENS1_37radix_sort_block_sort_config_selectorIiiEEZNS1_21radix_sort_block_sortIS4_Lb0EN6thrust23THRUST_200600_302600_NS6detail15normal_iteratorINS9_10device_ptrIiEEEESE_SE_SE_NS0_19identity_decomposerEEE10hipError_tT1_T2_T3_T4_jRjT5_jjP12ihipStream_tbEUlT_E_NS1_11comp_targetILNS1_3genE10ELNS1_11target_archE1200ELNS1_3gpuE4ELNS1_3repE0EEENS1_44radix_sort_block_sort_config_static_selectorELNS0_4arch9wavefront6targetE1EEEvSH_
	.p2align	8
	.type	_ZN7rocprim17ROCPRIM_400000_NS6detail17trampoline_kernelINS0_13kernel_configILj256ELj4ELj4294967295EEENS1_37radix_sort_block_sort_config_selectorIiiEEZNS1_21radix_sort_block_sortIS4_Lb0EN6thrust23THRUST_200600_302600_NS6detail15normal_iteratorINS9_10device_ptrIiEEEESE_SE_SE_NS0_19identity_decomposerEEE10hipError_tT1_T2_T3_T4_jRjT5_jjP12ihipStream_tbEUlT_E_NS1_11comp_targetILNS1_3genE10ELNS1_11target_archE1200ELNS1_3gpuE4ELNS1_3repE0EEENS1_44radix_sort_block_sort_config_static_selectorELNS0_4arch9wavefront6targetE1EEEvSH_,@function
_ZN7rocprim17ROCPRIM_400000_NS6detail17trampoline_kernelINS0_13kernel_configILj256ELj4ELj4294967295EEENS1_37radix_sort_block_sort_config_selectorIiiEEZNS1_21radix_sort_block_sortIS4_Lb0EN6thrust23THRUST_200600_302600_NS6detail15normal_iteratorINS9_10device_ptrIiEEEESE_SE_SE_NS0_19identity_decomposerEEE10hipError_tT1_T2_T3_T4_jRjT5_jjP12ihipStream_tbEUlT_E_NS1_11comp_targetILNS1_3genE10ELNS1_11target_archE1200ELNS1_3gpuE4ELNS1_3repE0EEENS1_44radix_sort_block_sort_config_static_selectorELNS0_4arch9wavefront6targetE1EEEvSH_: ; @_ZN7rocprim17ROCPRIM_400000_NS6detail17trampoline_kernelINS0_13kernel_configILj256ELj4ELj4294967295EEENS1_37radix_sort_block_sort_config_selectorIiiEEZNS1_21radix_sort_block_sortIS4_Lb0EN6thrust23THRUST_200600_302600_NS6detail15normal_iteratorINS9_10device_ptrIiEEEESE_SE_SE_NS0_19identity_decomposerEEE10hipError_tT1_T2_T3_T4_jRjT5_jjP12ihipStream_tbEUlT_E_NS1_11comp_targetILNS1_3genE10ELNS1_11target_archE1200ELNS1_3gpuE4ELNS1_3repE0EEENS1_44radix_sort_block_sort_config_static_selectorELNS0_4arch9wavefront6targetE1EEEvSH_
; %bb.0:
	.section	.rodata,"a",@progbits
	.p2align	6, 0x0
	.amdhsa_kernel _ZN7rocprim17ROCPRIM_400000_NS6detail17trampoline_kernelINS0_13kernel_configILj256ELj4ELj4294967295EEENS1_37radix_sort_block_sort_config_selectorIiiEEZNS1_21radix_sort_block_sortIS4_Lb0EN6thrust23THRUST_200600_302600_NS6detail15normal_iteratorINS9_10device_ptrIiEEEESE_SE_SE_NS0_19identity_decomposerEEE10hipError_tT1_T2_T3_T4_jRjT5_jjP12ihipStream_tbEUlT_E_NS1_11comp_targetILNS1_3genE10ELNS1_11target_archE1200ELNS1_3gpuE4ELNS1_3repE0EEENS1_44radix_sort_block_sort_config_static_selectorELNS0_4arch9wavefront6targetE1EEEvSH_
		.amdhsa_group_segment_fixed_size 0
		.amdhsa_private_segment_fixed_size 0
		.amdhsa_kernarg_size 48
		.amdhsa_user_sgpr_count 2
		.amdhsa_user_sgpr_dispatch_ptr 0
		.amdhsa_user_sgpr_queue_ptr 0
		.amdhsa_user_sgpr_kernarg_segment_ptr 1
		.amdhsa_user_sgpr_dispatch_id 0
		.amdhsa_user_sgpr_kernarg_preload_length 0
		.amdhsa_user_sgpr_kernarg_preload_offset 0
		.amdhsa_user_sgpr_private_segment_size 0
		.amdhsa_uses_dynamic_stack 0
		.amdhsa_enable_private_segment 0
		.amdhsa_system_sgpr_workgroup_id_x 1
		.amdhsa_system_sgpr_workgroup_id_y 0
		.amdhsa_system_sgpr_workgroup_id_z 0
		.amdhsa_system_sgpr_workgroup_info 0
		.amdhsa_system_vgpr_workitem_id 0
		.amdhsa_next_free_vgpr 1
		.amdhsa_next_free_sgpr 0
		.amdhsa_accum_offset 4
		.amdhsa_reserve_vcc 0
		.amdhsa_float_round_mode_32 0
		.amdhsa_float_round_mode_16_64 0
		.amdhsa_float_denorm_mode_32 3
		.amdhsa_float_denorm_mode_16_64 3
		.amdhsa_dx10_clamp 1
		.amdhsa_ieee_mode 1
		.amdhsa_fp16_overflow 0
		.amdhsa_tg_split 0
		.amdhsa_exception_fp_ieee_invalid_op 0
		.amdhsa_exception_fp_denorm_src 0
		.amdhsa_exception_fp_ieee_div_zero 0
		.amdhsa_exception_fp_ieee_overflow 0
		.amdhsa_exception_fp_ieee_underflow 0
		.amdhsa_exception_fp_ieee_inexact 0
		.amdhsa_exception_int_div_zero 0
	.end_amdhsa_kernel
	.section	.text._ZN7rocprim17ROCPRIM_400000_NS6detail17trampoline_kernelINS0_13kernel_configILj256ELj4ELj4294967295EEENS1_37radix_sort_block_sort_config_selectorIiiEEZNS1_21radix_sort_block_sortIS4_Lb0EN6thrust23THRUST_200600_302600_NS6detail15normal_iteratorINS9_10device_ptrIiEEEESE_SE_SE_NS0_19identity_decomposerEEE10hipError_tT1_T2_T3_T4_jRjT5_jjP12ihipStream_tbEUlT_E_NS1_11comp_targetILNS1_3genE10ELNS1_11target_archE1200ELNS1_3gpuE4ELNS1_3repE0EEENS1_44radix_sort_block_sort_config_static_selectorELNS0_4arch9wavefront6targetE1EEEvSH_,"axG",@progbits,_ZN7rocprim17ROCPRIM_400000_NS6detail17trampoline_kernelINS0_13kernel_configILj256ELj4ELj4294967295EEENS1_37radix_sort_block_sort_config_selectorIiiEEZNS1_21radix_sort_block_sortIS4_Lb0EN6thrust23THRUST_200600_302600_NS6detail15normal_iteratorINS9_10device_ptrIiEEEESE_SE_SE_NS0_19identity_decomposerEEE10hipError_tT1_T2_T3_T4_jRjT5_jjP12ihipStream_tbEUlT_E_NS1_11comp_targetILNS1_3genE10ELNS1_11target_archE1200ELNS1_3gpuE4ELNS1_3repE0EEENS1_44radix_sort_block_sort_config_static_selectorELNS0_4arch9wavefront6targetE1EEEvSH_,comdat
.Lfunc_end1275:
	.size	_ZN7rocprim17ROCPRIM_400000_NS6detail17trampoline_kernelINS0_13kernel_configILj256ELj4ELj4294967295EEENS1_37radix_sort_block_sort_config_selectorIiiEEZNS1_21radix_sort_block_sortIS4_Lb0EN6thrust23THRUST_200600_302600_NS6detail15normal_iteratorINS9_10device_ptrIiEEEESE_SE_SE_NS0_19identity_decomposerEEE10hipError_tT1_T2_T3_T4_jRjT5_jjP12ihipStream_tbEUlT_E_NS1_11comp_targetILNS1_3genE10ELNS1_11target_archE1200ELNS1_3gpuE4ELNS1_3repE0EEENS1_44radix_sort_block_sort_config_static_selectorELNS0_4arch9wavefront6targetE1EEEvSH_, .Lfunc_end1275-_ZN7rocprim17ROCPRIM_400000_NS6detail17trampoline_kernelINS0_13kernel_configILj256ELj4ELj4294967295EEENS1_37radix_sort_block_sort_config_selectorIiiEEZNS1_21radix_sort_block_sortIS4_Lb0EN6thrust23THRUST_200600_302600_NS6detail15normal_iteratorINS9_10device_ptrIiEEEESE_SE_SE_NS0_19identity_decomposerEEE10hipError_tT1_T2_T3_T4_jRjT5_jjP12ihipStream_tbEUlT_E_NS1_11comp_targetILNS1_3genE10ELNS1_11target_archE1200ELNS1_3gpuE4ELNS1_3repE0EEENS1_44radix_sort_block_sort_config_static_selectorELNS0_4arch9wavefront6targetE1EEEvSH_
                                        ; -- End function
	.set _ZN7rocprim17ROCPRIM_400000_NS6detail17trampoline_kernelINS0_13kernel_configILj256ELj4ELj4294967295EEENS1_37radix_sort_block_sort_config_selectorIiiEEZNS1_21radix_sort_block_sortIS4_Lb0EN6thrust23THRUST_200600_302600_NS6detail15normal_iteratorINS9_10device_ptrIiEEEESE_SE_SE_NS0_19identity_decomposerEEE10hipError_tT1_T2_T3_T4_jRjT5_jjP12ihipStream_tbEUlT_E_NS1_11comp_targetILNS1_3genE10ELNS1_11target_archE1200ELNS1_3gpuE4ELNS1_3repE0EEENS1_44radix_sort_block_sort_config_static_selectorELNS0_4arch9wavefront6targetE1EEEvSH_.num_vgpr, 0
	.set _ZN7rocprim17ROCPRIM_400000_NS6detail17trampoline_kernelINS0_13kernel_configILj256ELj4ELj4294967295EEENS1_37radix_sort_block_sort_config_selectorIiiEEZNS1_21radix_sort_block_sortIS4_Lb0EN6thrust23THRUST_200600_302600_NS6detail15normal_iteratorINS9_10device_ptrIiEEEESE_SE_SE_NS0_19identity_decomposerEEE10hipError_tT1_T2_T3_T4_jRjT5_jjP12ihipStream_tbEUlT_E_NS1_11comp_targetILNS1_3genE10ELNS1_11target_archE1200ELNS1_3gpuE4ELNS1_3repE0EEENS1_44radix_sort_block_sort_config_static_selectorELNS0_4arch9wavefront6targetE1EEEvSH_.num_agpr, 0
	.set _ZN7rocprim17ROCPRIM_400000_NS6detail17trampoline_kernelINS0_13kernel_configILj256ELj4ELj4294967295EEENS1_37radix_sort_block_sort_config_selectorIiiEEZNS1_21radix_sort_block_sortIS4_Lb0EN6thrust23THRUST_200600_302600_NS6detail15normal_iteratorINS9_10device_ptrIiEEEESE_SE_SE_NS0_19identity_decomposerEEE10hipError_tT1_T2_T3_T4_jRjT5_jjP12ihipStream_tbEUlT_E_NS1_11comp_targetILNS1_3genE10ELNS1_11target_archE1200ELNS1_3gpuE4ELNS1_3repE0EEENS1_44radix_sort_block_sort_config_static_selectorELNS0_4arch9wavefront6targetE1EEEvSH_.numbered_sgpr, 0
	.set _ZN7rocprim17ROCPRIM_400000_NS6detail17trampoline_kernelINS0_13kernel_configILj256ELj4ELj4294967295EEENS1_37radix_sort_block_sort_config_selectorIiiEEZNS1_21radix_sort_block_sortIS4_Lb0EN6thrust23THRUST_200600_302600_NS6detail15normal_iteratorINS9_10device_ptrIiEEEESE_SE_SE_NS0_19identity_decomposerEEE10hipError_tT1_T2_T3_T4_jRjT5_jjP12ihipStream_tbEUlT_E_NS1_11comp_targetILNS1_3genE10ELNS1_11target_archE1200ELNS1_3gpuE4ELNS1_3repE0EEENS1_44radix_sort_block_sort_config_static_selectorELNS0_4arch9wavefront6targetE1EEEvSH_.num_named_barrier, 0
	.set _ZN7rocprim17ROCPRIM_400000_NS6detail17trampoline_kernelINS0_13kernel_configILj256ELj4ELj4294967295EEENS1_37radix_sort_block_sort_config_selectorIiiEEZNS1_21radix_sort_block_sortIS4_Lb0EN6thrust23THRUST_200600_302600_NS6detail15normal_iteratorINS9_10device_ptrIiEEEESE_SE_SE_NS0_19identity_decomposerEEE10hipError_tT1_T2_T3_T4_jRjT5_jjP12ihipStream_tbEUlT_E_NS1_11comp_targetILNS1_3genE10ELNS1_11target_archE1200ELNS1_3gpuE4ELNS1_3repE0EEENS1_44radix_sort_block_sort_config_static_selectorELNS0_4arch9wavefront6targetE1EEEvSH_.private_seg_size, 0
	.set _ZN7rocprim17ROCPRIM_400000_NS6detail17trampoline_kernelINS0_13kernel_configILj256ELj4ELj4294967295EEENS1_37radix_sort_block_sort_config_selectorIiiEEZNS1_21radix_sort_block_sortIS4_Lb0EN6thrust23THRUST_200600_302600_NS6detail15normal_iteratorINS9_10device_ptrIiEEEESE_SE_SE_NS0_19identity_decomposerEEE10hipError_tT1_T2_T3_T4_jRjT5_jjP12ihipStream_tbEUlT_E_NS1_11comp_targetILNS1_3genE10ELNS1_11target_archE1200ELNS1_3gpuE4ELNS1_3repE0EEENS1_44radix_sort_block_sort_config_static_selectorELNS0_4arch9wavefront6targetE1EEEvSH_.uses_vcc, 0
	.set _ZN7rocprim17ROCPRIM_400000_NS6detail17trampoline_kernelINS0_13kernel_configILj256ELj4ELj4294967295EEENS1_37radix_sort_block_sort_config_selectorIiiEEZNS1_21radix_sort_block_sortIS4_Lb0EN6thrust23THRUST_200600_302600_NS6detail15normal_iteratorINS9_10device_ptrIiEEEESE_SE_SE_NS0_19identity_decomposerEEE10hipError_tT1_T2_T3_T4_jRjT5_jjP12ihipStream_tbEUlT_E_NS1_11comp_targetILNS1_3genE10ELNS1_11target_archE1200ELNS1_3gpuE4ELNS1_3repE0EEENS1_44radix_sort_block_sort_config_static_selectorELNS0_4arch9wavefront6targetE1EEEvSH_.uses_flat_scratch, 0
	.set _ZN7rocprim17ROCPRIM_400000_NS6detail17trampoline_kernelINS0_13kernel_configILj256ELj4ELj4294967295EEENS1_37radix_sort_block_sort_config_selectorIiiEEZNS1_21radix_sort_block_sortIS4_Lb0EN6thrust23THRUST_200600_302600_NS6detail15normal_iteratorINS9_10device_ptrIiEEEESE_SE_SE_NS0_19identity_decomposerEEE10hipError_tT1_T2_T3_T4_jRjT5_jjP12ihipStream_tbEUlT_E_NS1_11comp_targetILNS1_3genE10ELNS1_11target_archE1200ELNS1_3gpuE4ELNS1_3repE0EEENS1_44radix_sort_block_sort_config_static_selectorELNS0_4arch9wavefront6targetE1EEEvSH_.has_dyn_sized_stack, 0
	.set _ZN7rocprim17ROCPRIM_400000_NS6detail17trampoline_kernelINS0_13kernel_configILj256ELj4ELj4294967295EEENS1_37radix_sort_block_sort_config_selectorIiiEEZNS1_21radix_sort_block_sortIS4_Lb0EN6thrust23THRUST_200600_302600_NS6detail15normal_iteratorINS9_10device_ptrIiEEEESE_SE_SE_NS0_19identity_decomposerEEE10hipError_tT1_T2_T3_T4_jRjT5_jjP12ihipStream_tbEUlT_E_NS1_11comp_targetILNS1_3genE10ELNS1_11target_archE1200ELNS1_3gpuE4ELNS1_3repE0EEENS1_44radix_sort_block_sort_config_static_selectorELNS0_4arch9wavefront6targetE1EEEvSH_.has_recursion, 0
	.set _ZN7rocprim17ROCPRIM_400000_NS6detail17trampoline_kernelINS0_13kernel_configILj256ELj4ELj4294967295EEENS1_37radix_sort_block_sort_config_selectorIiiEEZNS1_21radix_sort_block_sortIS4_Lb0EN6thrust23THRUST_200600_302600_NS6detail15normal_iteratorINS9_10device_ptrIiEEEESE_SE_SE_NS0_19identity_decomposerEEE10hipError_tT1_T2_T3_T4_jRjT5_jjP12ihipStream_tbEUlT_E_NS1_11comp_targetILNS1_3genE10ELNS1_11target_archE1200ELNS1_3gpuE4ELNS1_3repE0EEENS1_44radix_sort_block_sort_config_static_selectorELNS0_4arch9wavefront6targetE1EEEvSH_.has_indirect_call, 0
	.section	.AMDGPU.csdata,"",@progbits
; Kernel info:
; codeLenInByte = 0
; TotalNumSgprs: 6
; NumVgprs: 0
; NumAgprs: 0
; TotalNumVgprs: 0
; ScratchSize: 0
; MemoryBound: 0
; FloatMode: 240
; IeeeMode: 1
; LDSByteSize: 0 bytes/workgroup (compile time only)
; SGPRBlocks: 0
; VGPRBlocks: 0
; NumSGPRsForWavesPerEU: 6
; NumVGPRsForWavesPerEU: 1
; AccumOffset: 4
; Occupancy: 8
; WaveLimiterHint : 0
; COMPUTE_PGM_RSRC2:SCRATCH_EN: 0
; COMPUTE_PGM_RSRC2:USER_SGPR: 2
; COMPUTE_PGM_RSRC2:TRAP_HANDLER: 0
; COMPUTE_PGM_RSRC2:TGID_X_EN: 1
; COMPUTE_PGM_RSRC2:TGID_Y_EN: 0
; COMPUTE_PGM_RSRC2:TGID_Z_EN: 0
; COMPUTE_PGM_RSRC2:TIDIG_COMP_CNT: 0
; COMPUTE_PGM_RSRC3_GFX90A:ACCUM_OFFSET: 0
; COMPUTE_PGM_RSRC3_GFX90A:TG_SPLIT: 0
	.section	.text._ZN7rocprim17ROCPRIM_400000_NS6detail17trampoline_kernelINS0_13kernel_configILj256ELj4ELj4294967295EEENS1_37radix_sort_block_sort_config_selectorIiiEEZNS1_21radix_sort_block_sortIS4_Lb0EN6thrust23THRUST_200600_302600_NS6detail15normal_iteratorINS9_10device_ptrIiEEEESE_SE_SE_NS0_19identity_decomposerEEE10hipError_tT1_T2_T3_T4_jRjT5_jjP12ihipStream_tbEUlT_E_NS1_11comp_targetILNS1_3genE9ELNS1_11target_archE1100ELNS1_3gpuE3ELNS1_3repE0EEENS1_44radix_sort_block_sort_config_static_selectorELNS0_4arch9wavefront6targetE1EEEvSH_,"axG",@progbits,_ZN7rocprim17ROCPRIM_400000_NS6detail17trampoline_kernelINS0_13kernel_configILj256ELj4ELj4294967295EEENS1_37radix_sort_block_sort_config_selectorIiiEEZNS1_21radix_sort_block_sortIS4_Lb0EN6thrust23THRUST_200600_302600_NS6detail15normal_iteratorINS9_10device_ptrIiEEEESE_SE_SE_NS0_19identity_decomposerEEE10hipError_tT1_T2_T3_T4_jRjT5_jjP12ihipStream_tbEUlT_E_NS1_11comp_targetILNS1_3genE9ELNS1_11target_archE1100ELNS1_3gpuE3ELNS1_3repE0EEENS1_44radix_sort_block_sort_config_static_selectorELNS0_4arch9wavefront6targetE1EEEvSH_,comdat
	.protected	_ZN7rocprim17ROCPRIM_400000_NS6detail17trampoline_kernelINS0_13kernel_configILj256ELj4ELj4294967295EEENS1_37radix_sort_block_sort_config_selectorIiiEEZNS1_21radix_sort_block_sortIS4_Lb0EN6thrust23THRUST_200600_302600_NS6detail15normal_iteratorINS9_10device_ptrIiEEEESE_SE_SE_NS0_19identity_decomposerEEE10hipError_tT1_T2_T3_T4_jRjT5_jjP12ihipStream_tbEUlT_E_NS1_11comp_targetILNS1_3genE9ELNS1_11target_archE1100ELNS1_3gpuE3ELNS1_3repE0EEENS1_44radix_sort_block_sort_config_static_selectorELNS0_4arch9wavefront6targetE1EEEvSH_ ; -- Begin function _ZN7rocprim17ROCPRIM_400000_NS6detail17trampoline_kernelINS0_13kernel_configILj256ELj4ELj4294967295EEENS1_37radix_sort_block_sort_config_selectorIiiEEZNS1_21radix_sort_block_sortIS4_Lb0EN6thrust23THRUST_200600_302600_NS6detail15normal_iteratorINS9_10device_ptrIiEEEESE_SE_SE_NS0_19identity_decomposerEEE10hipError_tT1_T2_T3_T4_jRjT5_jjP12ihipStream_tbEUlT_E_NS1_11comp_targetILNS1_3genE9ELNS1_11target_archE1100ELNS1_3gpuE3ELNS1_3repE0EEENS1_44radix_sort_block_sort_config_static_selectorELNS0_4arch9wavefront6targetE1EEEvSH_
	.globl	_ZN7rocprim17ROCPRIM_400000_NS6detail17trampoline_kernelINS0_13kernel_configILj256ELj4ELj4294967295EEENS1_37radix_sort_block_sort_config_selectorIiiEEZNS1_21radix_sort_block_sortIS4_Lb0EN6thrust23THRUST_200600_302600_NS6detail15normal_iteratorINS9_10device_ptrIiEEEESE_SE_SE_NS0_19identity_decomposerEEE10hipError_tT1_T2_T3_T4_jRjT5_jjP12ihipStream_tbEUlT_E_NS1_11comp_targetILNS1_3genE9ELNS1_11target_archE1100ELNS1_3gpuE3ELNS1_3repE0EEENS1_44radix_sort_block_sort_config_static_selectorELNS0_4arch9wavefront6targetE1EEEvSH_
	.p2align	8
	.type	_ZN7rocprim17ROCPRIM_400000_NS6detail17trampoline_kernelINS0_13kernel_configILj256ELj4ELj4294967295EEENS1_37radix_sort_block_sort_config_selectorIiiEEZNS1_21radix_sort_block_sortIS4_Lb0EN6thrust23THRUST_200600_302600_NS6detail15normal_iteratorINS9_10device_ptrIiEEEESE_SE_SE_NS0_19identity_decomposerEEE10hipError_tT1_T2_T3_T4_jRjT5_jjP12ihipStream_tbEUlT_E_NS1_11comp_targetILNS1_3genE9ELNS1_11target_archE1100ELNS1_3gpuE3ELNS1_3repE0EEENS1_44radix_sort_block_sort_config_static_selectorELNS0_4arch9wavefront6targetE1EEEvSH_,@function
_ZN7rocprim17ROCPRIM_400000_NS6detail17trampoline_kernelINS0_13kernel_configILj256ELj4ELj4294967295EEENS1_37radix_sort_block_sort_config_selectorIiiEEZNS1_21radix_sort_block_sortIS4_Lb0EN6thrust23THRUST_200600_302600_NS6detail15normal_iteratorINS9_10device_ptrIiEEEESE_SE_SE_NS0_19identity_decomposerEEE10hipError_tT1_T2_T3_T4_jRjT5_jjP12ihipStream_tbEUlT_E_NS1_11comp_targetILNS1_3genE9ELNS1_11target_archE1100ELNS1_3gpuE3ELNS1_3repE0EEENS1_44radix_sort_block_sort_config_static_selectorELNS0_4arch9wavefront6targetE1EEEvSH_: ; @_ZN7rocprim17ROCPRIM_400000_NS6detail17trampoline_kernelINS0_13kernel_configILj256ELj4ELj4294967295EEENS1_37radix_sort_block_sort_config_selectorIiiEEZNS1_21radix_sort_block_sortIS4_Lb0EN6thrust23THRUST_200600_302600_NS6detail15normal_iteratorINS9_10device_ptrIiEEEESE_SE_SE_NS0_19identity_decomposerEEE10hipError_tT1_T2_T3_T4_jRjT5_jjP12ihipStream_tbEUlT_E_NS1_11comp_targetILNS1_3genE9ELNS1_11target_archE1100ELNS1_3gpuE3ELNS1_3repE0EEENS1_44radix_sort_block_sort_config_static_selectorELNS0_4arch9wavefront6targetE1EEEvSH_
; %bb.0:
	.section	.rodata,"a",@progbits
	.p2align	6, 0x0
	.amdhsa_kernel _ZN7rocprim17ROCPRIM_400000_NS6detail17trampoline_kernelINS0_13kernel_configILj256ELj4ELj4294967295EEENS1_37radix_sort_block_sort_config_selectorIiiEEZNS1_21radix_sort_block_sortIS4_Lb0EN6thrust23THRUST_200600_302600_NS6detail15normal_iteratorINS9_10device_ptrIiEEEESE_SE_SE_NS0_19identity_decomposerEEE10hipError_tT1_T2_T3_T4_jRjT5_jjP12ihipStream_tbEUlT_E_NS1_11comp_targetILNS1_3genE9ELNS1_11target_archE1100ELNS1_3gpuE3ELNS1_3repE0EEENS1_44radix_sort_block_sort_config_static_selectorELNS0_4arch9wavefront6targetE1EEEvSH_
		.amdhsa_group_segment_fixed_size 0
		.amdhsa_private_segment_fixed_size 0
		.amdhsa_kernarg_size 48
		.amdhsa_user_sgpr_count 2
		.amdhsa_user_sgpr_dispatch_ptr 0
		.amdhsa_user_sgpr_queue_ptr 0
		.amdhsa_user_sgpr_kernarg_segment_ptr 1
		.amdhsa_user_sgpr_dispatch_id 0
		.amdhsa_user_sgpr_kernarg_preload_length 0
		.amdhsa_user_sgpr_kernarg_preload_offset 0
		.amdhsa_user_sgpr_private_segment_size 0
		.amdhsa_uses_dynamic_stack 0
		.amdhsa_enable_private_segment 0
		.amdhsa_system_sgpr_workgroup_id_x 1
		.amdhsa_system_sgpr_workgroup_id_y 0
		.amdhsa_system_sgpr_workgroup_id_z 0
		.amdhsa_system_sgpr_workgroup_info 0
		.amdhsa_system_vgpr_workitem_id 0
		.amdhsa_next_free_vgpr 1
		.amdhsa_next_free_sgpr 0
		.amdhsa_accum_offset 4
		.amdhsa_reserve_vcc 0
		.amdhsa_float_round_mode_32 0
		.amdhsa_float_round_mode_16_64 0
		.amdhsa_float_denorm_mode_32 3
		.amdhsa_float_denorm_mode_16_64 3
		.amdhsa_dx10_clamp 1
		.amdhsa_ieee_mode 1
		.amdhsa_fp16_overflow 0
		.amdhsa_tg_split 0
		.amdhsa_exception_fp_ieee_invalid_op 0
		.amdhsa_exception_fp_denorm_src 0
		.amdhsa_exception_fp_ieee_div_zero 0
		.amdhsa_exception_fp_ieee_overflow 0
		.amdhsa_exception_fp_ieee_underflow 0
		.amdhsa_exception_fp_ieee_inexact 0
		.amdhsa_exception_int_div_zero 0
	.end_amdhsa_kernel
	.section	.text._ZN7rocprim17ROCPRIM_400000_NS6detail17trampoline_kernelINS0_13kernel_configILj256ELj4ELj4294967295EEENS1_37radix_sort_block_sort_config_selectorIiiEEZNS1_21radix_sort_block_sortIS4_Lb0EN6thrust23THRUST_200600_302600_NS6detail15normal_iteratorINS9_10device_ptrIiEEEESE_SE_SE_NS0_19identity_decomposerEEE10hipError_tT1_T2_T3_T4_jRjT5_jjP12ihipStream_tbEUlT_E_NS1_11comp_targetILNS1_3genE9ELNS1_11target_archE1100ELNS1_3gpuE3ELNS1_3repE0EEENS1_44radix_sort_block_sort_config_static_selectorELNS0_4arch9wavefront6targetE1EEEvSH_,"axG",@progbits,_ZN7rocprim17ROCPRIM_400000_NS6detail17trampoline_kernelINS0_13kernel_configILj256ELj4ELj4294967295EEENS1_37radix_sort_block_sort_config_selectorIiiEEZNS1_21radix_sort_block_sortIS4_Lb0EN6thrust23THRUST_200600_302600_NS6detail15normal_iteratorINS9_10device_ptrIiEEEESE_SE_SE_NS0_19identity_decomposerEEE10hipError_tT1_T2_T3_T4_jRjT5_jjP12ihipStream_tbEUlT_E_NS1_11comp_targetILNS1_3genE9ELNS1_11target_archE1100ELNS1_3gpuE3ELNS1_3repE0EEENS1_44radix_sort_block_sort_config_static_selectorELNS0_4arch9wavefront6targetE1EEEvSH_,comdat
.Lfunc_end1276:
	.size	_ZN7rocprim17ROCPRIM_400000_NS6detail17trampoline_kernelINS0_13kernel_configILj256ELj4ELj4294967295EEENS1_37radix_sort_block_sort_config_selectorIiiEEZNS1_21radix_sort_block_sortIS4_Lb0EN6thrust23THRUST_200600_302600_NS6detail15normal_iteratorINS9_10device_ptrIiEEEESE_SE_SE_NS0_19identity_decomposerEEE10hipError_tT1_T2_T3_T4_jRjT5_jjP12ihipStream_tbEUlT_E_NS1_11comp_targetILNS1_3genE9ELNS1_11target_archE1100ELNS1_3gpuE3ELNS1_3repE0EEENS1_44radix_sort_block_sort_config_static_selectorELNS0_4arch9wavefront6targetE1EEEvSH_, .Lfunc_end1276-_ZN7rocprim17ROCPRIM_400000_NS6detail17trampoline_kernelINS0_13kernel_configILj256ELj4ELj4294967295EEENS1_37radix_sort_block_sort_config_selectorIiiEEZNS1_21radix_sort_block_sortIS4_Lb0EN6thrust23THRUST_200600_302600_NS6detail15normal_iteratorINS9_10device_ptrIiEEEESE_SE_SE_NS0_19identity_decomposerEEE10hipError_tT1_T2_T3_T4_jRjT5_jjP12ihipStream_tbEUlT_E_NS1_11comp_targetILNS1_3genE9ELNS1_11target_archE1100ELNS1_3gpuE3ELNS1_3repE0EEENS1_44radix_sort_block_sort_config_static_selectorELNS0_4arch9wavefront6targetE1EEEvSH_
                                        ; -- End function
	.set _ZN7rocprim17ROCPRIM_400000_NS6detail17trampoline_kernelINS0_13kernel_configILj256ELj4ELj4294967295EEENS1_37radix_sort_block_sort_config_selectorIiiEEZNS1_21radix_sort_block_sortIS4_Lb0EN6thrust23THRUST_200600_302600_NS6detail15normal_iteratorINS9_10device_ptrIiEEEESE_SE_SE_NS0_19identity_decomposerEEE10hipError_tT1_T2_T3_T4_jRjT5_jjP12ihipStream_tbEUlT_E_NS1_11comp_targetILNS1_3genE9ELNS1_11target_archE1100ELNS1_3gpuE3ELNS1_3repE0EEENS1_44radix_sort_block_sort_config_static_selectorELNS0_4arch9wavefront6targetE1EEEvSH_.num_vgpr, 0
	.set _ZN7rocprim17ROCPRIM_400000_NS6detail17trampoline_kernelINS0_13kernel_configILj256ELj4ELj4294967295EEENS1_37radix_sort_block_sort_config_selectorIiiEEZNS1_21radix_sort_block_sortIS4_Lb0EN6thrust23THRUST_200600_302600_NS6detail15normal_iteratorINS9_10device_ptrIiEEEESE_SE_SE_NS0_19identity_decomposerEEE10hipError_tT1_T2_T3_T4_jRjT5_jjP12ihipStream_tbEUlT_E_NS1_11comp_targetILNS1_3genE9ELNS1_11target_archE1100ELNS1_3gpuE3ELNS1_3repE0EEENS1_44radix_sort_block_sort_config_static_selectorELNS0_4arch9wavefront6targetE1EEEvSH_.num_agpr, 0
	.set _ZN7rocprim17ROCPRIM_400000_NS6detail17trampoline_kernelINS0_13kernel_configILj256ELj4ELj4294967295EEENS1_37radix_sort_block_sort_config_selectorIiiEEZNS1_21radix_sort_block_sortIS4_Lb0EN6thrust23THRUST_200600_302600_NS6detail15normal_iteratorINS9_10device_ptrIiEEEESE_SE_SE_NS0_19identity_decomposerEEE10hipError_tT1_T2_T3_T4_jRjT5_jjP12ihipStream_tbEUlT_E_NS1_11comp_targetILNS1_3genE9ELNS1_11target_archE1100ELNS1_3gpuE3ELNS1_3repE0EEENS1_44radix_sort_block_sort_config_static_selectorELNS0_4arch9wavefront6targetE1EEEvSH_.numbered_sgpr, 0
	.set _ZN7rocprim17ROCPRIM_400000_NS6detail17trampoline_kernelINS0_13kernel_configILj256ELj4ELj4294967295EEENS1_37radix_sort_block_sort_config_selectorIiiEEZNS1_21radix_sort_block_sortIS4_Lb0EN6thrust23THRUST_200600_302600_NS6detail15normal_iteratorINS9_10device_ptrIiEEEESE_SE_SE_NS0_19identity_decomposerEEE10hipError_tT1_T2_T3_T4_jRjT5_jjP12ihipStream_tbEUlT_E_NS1_11comp_targetILNS1_3genE9ELNS1_11target_archE1100ELNS1_3gpuE3ELNS1_3repE0EEENS1_44radix_sort_block_sort_config_static_selectorELNS0_4arch9wavefront6targetE1EEEvSH_.num_named_barrier, 0
	.set _ZN7rocprim17ROCPRIM_400000_NS6detail17trampoline_kernelINS0_13kernel_configILj256ELj4ELj4294967295EEENS1_37radix_sort_block_sort_config_selectorIiiEEZNS1_21radix_sort_block_sortIS4_Lb0EN6thrust23THRUST_200600_302600_NS6detail15normal_iteratorINS9_10device_ptrIiEEEESE_SE_SE_NS0_19identity_decomposerEEE10hipError_tT1_T2_T3_T4_jRjT5_jjP12ihipStream_tbEUlT_E_NS1_11comp_targetILNS1_3genE9ELNS1_11target_archE1100ELNS1_3gpuE3ELNS1_3repE0EEENS1_44radix_sort_block_sort_config_static_selectorELNS0_4arch9wavefront6targetE1EEEvSH_.private_seg_size, 0
	.set _ZN7rocprim17ROCPRIM_400000_NS6detail17trampoline_kernelINS0_13kernel_configILj256ELj4ELj4294967295EEENS1_37radix_sort_block_sort_config_selectorIiiEEZNS1_21radix_sort_block_sortIS4_Lb0EN6thrust23THRUST_200600_302600_NS6detail15normal_iteratorINS9_10device_ptrIiEEEESE_SE_SE_NS0_19identity_decomposerEEE10hipError_tT1_T2_T3_T4_jRjT5_jjP12ihipStream_tbEUlT_E_NS1_11comp_targetILNS1_3genE9ELNS1_11target_archE1100ELNS1_3gpuE3ELNS1_3repE0EEENS1_44radix_sort_block_sort_config_static_selectorELNS0_4arch9wavefront6targetE1EEEvSH_.uses_vcc, 0
	.set _ZN7rocprim17ROCPRIM_400000_NS6detail17trampoline_kernelINS0_13kernel_configILj256ELj4ELj4294967295EEENS1_37radix_sort_block_sort_config_selectorIiiEEZNS1_21radix_sort_block_sortIS4_Lb0EN6thrust23THRUST_200600_302600_NS6detail15normal_iteratorINS9_10device_ptrIiEEEESE_SE_SE_NS0_19identity_decomposerEEE10hipError_tT1_T2_T3_T4_jRjT5_jjP12ihipStream_tbEUlT_E_NS1_11comp_targetILNS1_3genE9ELNS1_11target_archE1100ELNS1_3gpuE3ELNS1_3repE0EEENS1_44radix_sort_block_sort_config_static_selectorELNS0_4arch9wavefront6targetE1EEEvSH_.uses_flat_scratch, 0
	.set _ZN7rocprim17ROCPRIM_400000_NS6detail17trampoline_kernelINS0_13kernel_configILj256ELj4ELj4294967295EEENS1_37radix_sort_block_sort_config_selectorIiiEEZNS1_21radix_sort_block_sortIS4_Lb0EN6thrust23THRUST_200600_302600_NS6detail15normal_iteratorINS9_10device_ptrIiEEEESE_SE_SE_NS0_19identity_decomposerEEE10hipError_tT1_T2_T3_T4_jRjT5_jjP12ihipStream_tbEUlT_E_NS1_11comp_targetILNS1_3genE9ELNS1_11target_archE1100ELNS1_3gpuE3ELNS1_3repE0EEENS1_44radix_sort_block_sort_config_static_selectorELNS0_4arch9wavefront6targetE1EEEvSH_.has_dyn_sized_stack, 0
	.set _ZN7rocprim17ROCPRIM_400000_NS6detail17trampoline_kernelINS0_13kernel_configILj256ELj4ELj4294967295EEENS1_37radix_sort_block_sort_config_selectorIiiEEZNS1_21radix_sort_block_sortIS4_Lb0EN6thrust23THRUST_200600_302600_NS6detail15normal_iteratorINS9_10device_ptrIiEEEESE_SE_SE_NS0_19identity_decomposerEEE10hipError_tT1_T2_T3_T4_jRjT5_jjP12ihipStream_tbEUlT_E_NS1_11comp_targetILNS1_3genE9ELNS1_11target_archE1100ELNS1_3gpuE3ELNS1_3repE0EEENS1_44radix_sort_block_sort_config_static_selectorELNS0_4arch9wavefront6targetE1EEEvSH_.has_recursion, 0
	.set _ZN7rocprim17ROCPRIM_400000_NS6detail17trampoline_kernelINS0_13kernel_configILj256ELj4ELj4294967295EEENS1_37radix_sort_block_sort_config_selectorIiiEEZNS1_21radix_sort_block_sortIS4_Lb0EN6thrust23THRUST_200600_302600_NS6detail15normal_iteratorINS9_10device_ptrIiEEEESE_SE_SE_NS0_19identity_decomposerEEE10hipError_tT1_T2_T3_T4_jRjT5_jjP12ihipStream_tbEUlT_E_NS1_11comp_targetILNS1_3genE9ELNS1_11target_archE1100ELNS1_3gpuE3ELNS1_3repE0EEENS1_44radix_sort_block_sort_config_static_selectorELNS0_4arch9wavefront6targetE1EEEvSH_.has_indirect_call, 0
	.section	.AMDGPU.csdata,"",@progbits
; Kernel info:
; codeLenInByte = 0
; TotalNumSgprs: 6
; NumVgprs: 0
; NumAgprs: 0
; TotalNumVgprs: 0
; ScratchSize: 0
; MemoryBound: 0
; FloatMode: 240
; IeeeMode: 1
; LDSByteSize: 0 bytes/workgroup (compile time only)
; SGPRBlocks: 0
; VGPRBlocks: 0
; NumSGPRsForWavesPerEU: 6
; NumVGPRsForWavesPerEU: 1
; AccumOffset: 4
; Occupancy: 8
; WaveLimiterHint : 0
; COMPUTE_PGM_RSRC2:SCRATCH_EN: 0
; COMPUTE_PGM_RSRC2:USER_SGPR: 2
; COMPUTE_PGM_RSRC2:TRAP_HANDLER: 0
; COMPUTE_PGM_RSRC2:TGID_X_EN: 1
; COMPUTE_PGM_RSRC2:TGID_Y_EN: 0
; COMPUTE_PGM_RSRC2:TGID_Z_EN: 0
; COMPUTE_PGM_RSRC2:TIDIG_COMP_CNT: 0
; COMPUTE_PGM_RSRC3_GFX90A:ACCUM_OFFSET: 0
; COMPUTE_PGM_RSRC3_GFX90A:TG_SPLIT: 0
	.section	.text._ZN7rocprim17ROCPRIM_400000_NS6detail17trampoline_kernelINS0_13kernel_configILj256ELj4ELj4294967295EEENS1_37radix_sort_block_sort_config_selectorIiiEEZNS1_21radix_sort_block_sortIS4_Lb0EN6thrust23THRUST_200600_302600_NS6detail15normal_iteratorINS9_10device_ptrIiEEEESE_SE_SE_NS0_19identity_decomposerEEE10hipError_tT1_T2_T3_T4_jRjT5_jjP12ihipStream_tbEUlT_E_NS1_11comp_targetILNS1_3genE8ELNS1_11target_archE1030ELNS1_3gpuE2ELNS1_3repE0EEENS1_44radix_sort_block_sort_config_static_selectorELNS0_4arch9wavefront6targetE1EEEvSH_,"axG",@progbits,_ZN7rocprim17ROCPRIM_400000_NS6detail17trampoline_kernelINS0_13kernel_configILj256ELj4ELj4294967295EEENS1_37radix_sort_block_sort_config_selectorIiiEEZNS1_21radix_sort_block_sortIS4_Lb0EN6thrust23THRUST_200600_302600_NS6detail15normal_iteratorINS9_10device_ptrIiEEEESE_SE_SE_NS0_19identity_decomposerEEE10hipError_tT1_T2_T3_T4_jRjT5_jjP12ihipStream_tbEUlT_E_NS1_11comp_targetILNS1_3genE8ELNS1_11target_archE1030ELNS1_3gpuE2ELNS1_3repE0EEENS1_44radix_sort_block_sort_config_static_selectorELNS0_4arch9wavefront6targetE1EEEvSH_,comdat
	.protected	_ZN7rocprim17ROCPRIM_400000_NS6detail17trampoline_kernelINS0_13kernel_configILj256ELj4ELj4294967295EEENS1_37radix_sort_block_sort_config_selectorIiiEEZNS1_21radix_sort_block_sortIS4_Lb0EN6thrust23THRUST_200600_302600_NS6detail15normal_iteratorINS9_10device_ptrIiEEEESE_SE_SE_NS0_19identity_decomposerEEE10hipError_tT1_T2_T3_T4_jRjT5_jjP12ihipStream_tbEUlT_E_NS1_11comp_targetILNS1_3genE8ELNS1_11target_archE1030ELNS1_3gpuE2ELNS1_3repE0EEENS1_44radix_sort_block_sort_config_static_selectorELNS0_4arch9wavefront6targetE1EEEvSH_ ; -- Begin function _ZN7rocprim17ROCPRIM_400000_NS6detail17trampoline_kernelINS0_13kernel_configILj256ELj4ELj4294967295EEENS1_37radix_sort_block_sort_config_selectorIiiEEZNS1_21radix_sort_block_sortIS4_Lb0EN6thrust23THRUST_200600_302600_NS6detail15normal_iteratorINS9_10device_ptrIiEEEESE_SE_SE_NS0_19identity_decomposerEEE10hipError_tT1_T2_T3_T4_jRjT5_jjP12ihipStream_tbEUlT_E_NS1_11comp_targetILNS1_3genE8ELNS1_11target_archE1030ELNS1_3gpuE2ELNS1_3repE0EEENS1_44radix_sort_block_sort_config_static_selectorELNS0_4arch9wavefront6targetE1EEEvSH_
	.globl	_ZN7rocprim17ROCPRIM_400000_NS6detail17trampoline_kernelINS0_13kernel_configILj256ELj4ELj4294967295EEENS1_37radix_sort_block_sort_config_selectorIiiEEZNS1_21radix_sort_block_sortIS4_Lb0EN6thrust23THRUST_200600_302600_NS6detail15normal_iteratorINS9_10device_ptrIiEEEESE_SE_SE_NS0_19identity_decomposerEEE10hipError_tT1_T2_T3_T4_jRjT5_jjP12ihipStream_tbEUlT_E_NS1_11comp_targetILNS1_3genE8ELNS1_11target_archE1030ELNS1_3gpuE2ELNS1_3repE0EEENS1_44radix_sort_block_sort_config_static_selectorELNS0_4arch9wavefront6targetE1EEEvSH_
	.p2align	8
	.type	_ZN7rocprim17ROCPRIM_400000_NS6detail17trampoline_kernelINS0_13kernel_configILj256ELj4ELj4294967295EEENS1_37radix_sort_block_sort_config_selectorIiiEEZNS1_21radix_sort_block_sortIS4_Lb0EN6thrust23THRUST_200600_302600_NS6detail15normal_iteratorINS9_10device_ptrIiEEEESE_SE_SE_NS0_19identity_decomposerEEE10hipError_tT1_T2_T3_T4_jRjT5_jjP12ihipStream_tbEUlT_E_NS1_11comp_targetILNS1_3genE8ELNS1_11target_archE1030ELNS1_3gpuE2ELNS1_3repE0EEENS1_44radix_sort_block_sort_config_static_selectorELNS0_4arch9wavefront6targetE1EEEvSH_,@function
_ZN7rocprim17ROCPRIM_400000_NS6detail17trampoline_kernelINS0_13kernel_configILj256ELj4ELj4294967295EEENS1_37radix_sort_block_sort_config_selectorIiiEEZNS1_21radix_sort_block_sortIS4_Lb0EN6thrust23THRUST_200600_302600_NS6detail15normal_iteratorINS9_10device_ptrIiEEEESE_SE_SE_NS0_19identity_decomposerEEE10hipError_tT1_T2_T3_T4_jRjT5_jjP12ihipStream_tbEUlT_E_NS1_11comp_targetILNS1_3genE8ELNS1_11target_archE1030ELNS1_3gpuE2ELNS1_3repE0EEENS1_44radix_sort_block_sort_config_static_selectorELNS0_4arch9wavefront6targetE1EEEvSH_: ; @_ZN7rocprim17ROCPRIM_400000_NS6detail17trampoline_kernelINS0_13kernel_configILj256ELj4ELj4294967295EEENS1_37radix_sort_block_sort_config_selectorIiiEEZNS1_21radix_sort_block_sortIS4_Lb0EN6thrust23THRUST_200600_302600_NS6detail15normal_iteratorINS9_10device_ptrIiEEEESE_SE_SE_NS0_19identity_decomposerEEE10hipError_tT1_T2_T3_T4_jRjT5_jjP12ihipStream_tbEUlT_E_NS1_11comp_targetILNS1_3genE8ELNS1_11target_archE1030ELNS1_3gpuE2ELNS1_3repE0EEENS1_44radix_sort_block_sort_config_static_selectorELNS0_4arch9wavefront6targetE1EEEvSH_
; %bb.0:
	.section	.rodata,"a",@progbits
	.p2align	6, 0x0
	.amdhsa_kernel _ZN7rocprim17ROCPRIM_400000_NS6detail17trampoline_kernelINS0_13kernel_configILj256ELj4ELj4294967295EEENS1_37radix_sort_block_sort_config_selectorIiiEEZNS1_21radix_sort_block_sortIS4_Lb0EN6thrust23THRUST_200600_302600_NS6detail15normal_iteratorINS9_10device_ptrIiEEEESE_SE_SE_NS0_19identity_decomposerEEE10hipError_tT1_T2_T3_T4_jRjT5_jjP12ihipStream_tbEUlT_E_NS1_11comp_targetILNS1_3genE8ELNS1_11target_archE1030ELNS1_3gpuE2ELNS1_3repE0EEENS1_44radix_sort_block_sort_config_static_selectorELNS0_4arch9wavefront6targetE1EEEvSH_
		.amdhsa_group_segment_fixed_size 0
		.amdhsa_private_segment_fixed_size 0
		.amdhsa_kernarg_size 48
		.amdhsa_user_sgpr_count 2
		.amdhsa_user_sgpr_dispatch_ptr 0
		.amdhsa_user_sgpr_queue_ptr 0
		.amdhsa_user_sgpr_kernarg_segment_ptr 1
		.amdhsa_user_sgpr_dispatch_id 0
		.amdhsa_user_sgpr_kernarg_preload_length 0
		.amdhsa_user_sgpr_kernarg_preload_offset 0
		.amdhsa_user_sgpr_private_segment_size 0
		.amdhsa_uses_dynamic_stack 0
		.amdhsa_enable_private_segment 0
		.amdhsa_system_sgpr_workgroup_id_x 1
		.amdhsa_system_sgpr_workgroup_id_y 0
		.amdhsa_system_sgpr_workgroup_id_z 0
		.amdhsa_system_sgpr_workgroup_info 0
		.amdhsa_system_vgpr_workitem_id 0
		.amdhsa_next_free_vgpr 1
		.amdhsa_next_free_sgpr 0
		.amdhsa_accum_offset 4
		.amdhsa_reserve_vcc 0
		.amdhsa_float_round_mode_32 0
		.amdhsa_float_round_mode_16_64 0
		.amdhsa_float_denorm_mode_32 3
		.amdhsa_float_denorm_mode_16_64 3
		.amdhsa_dx10_clamp 1
		.amdhsa_ieee_mode 1
		.amdhsa_fp16_overflow 0
		.amdhsa_tg_split 0
		.amdhsa_exception_fp_ieee_invalid_op 0
		.amdhsa_exception_fp_denorm_src 0
		.amdhsa_exception_fp_ieee_div_zero 0
		.amdhsa_exception_fp_ieee_overflow 0
		.amdhsa_exception_fp_ieee_underflow 0
		.amdhsa_exception_fp_ieee_inexact 0
		.amdhsa_exception_int_div_zero 0
	.end_amdhsa_kernel
	.section	.text._ZN7rocprim17ROCPRIM_400000_NS6detail17trampoline_kernelINS0_13kernel_configILj256ELj4ELj4294967295EEENS1_37radix_sort_block_sort_config_selectorIiiEEZNS1_21radix_sort_block_sortIS4_Lb0EN6thrust23THRUST_200600_302600_NS6detail15normal_iteratorINS9_10device_ptrIiEEEESE_SE_SE_NS0_19identity_decomposerEEE10hipError_tT1_T2_T3_T4_jRjT5_jjP12ihipStream_tbEUlT_E_NS1_11comp_targetILNS1_3genE8ELNS1_11target_archE1030ELNS1_3gpuE2ELNS1_3repE0EEENS1_44radix_sort_block_sort_config_static_selectorELNS0_4arch9wavefront6targetE1EEEvSH_,"axG",@progbits,_ZN7rocprim17ROCPRIM_400000_NS6detail17trampoline_kernelINS0_13kernel_configILj256ELj4ELj4294967295EEENS1_37radix_sort_block_sort_config_selectorIiiEEZNS1_21radix_sort_block_sortIS4_Lb0EN6thrust23THRUST_200600_302600_NS6detail15normal_iteratorINS9_10device_ptrIiEEEESE_SE_SE_NS0_19identity_decomposerEEE10hipError_tT1_T2_T3_T4_jRjT5_jjP12ihipStream_tbEUlT_E_NS1_11comp_targetILNS1_3genE8ELNS1_11target_archE1030ELNS1_3gpuE2ELNS1_3repE0EEENS1_44radix_sort_block_sort_config_static_selectorELNS0_4arch9wavefront6targetE1EEEvSH_,comdat
.Lfunc_end1277:
	.size	_ZN7rocprim17ROCPRIM_400000_NS6detail17trampoline_kernelINS0_13kernel_configILj256ELj4ELj4294967295EEENS1_37radix_sort_block_sort_config_selectorIiiEEZNS1_21radix_sort_block_sortIS4_Lb0EN6thrust23THRUST_200600_302600_NS6detail15normal_iteratorINS9_10device_ptrIiEEEESE_SE_SE_NS0_19identity_decomposerEEE10hipError_tT1_T2_T3_T4_jRjT5_jjP12ihipStream_tbEUlT_E_NS1_11comp_targetILNS1_3genE8ELNS1_11target_archE1030ELNS1_3gpuE2ELNS1_3repE0EEENS1_44radix_sort_block_sort_config_static_selectorELNS0_4arch9wavefront6targetE1EEEvSH_, .Lfunc_end1277-_ZN7rocprim17ROCPRIM_400000_NS6detail17trampoline_kernelINS0_13kernel_configILj256ELj4ELj4294967295EEENS1_37radix_sort_block_sort_config_selectorIiiEEZNS1_21radix_sort_block_sortIS4_Lb0EN6thrust23THRUST_200600_302600_NS6detail15normal_iteratorINS9_10device_ptrIiEEEESE_SE_SE_NS0_19identity_decomposerEEE10hipError_tT1_T2_T3_T4_jRjT5_jjP12ihipStream_tbEUlT_E_NS1_11comp_targetILNS1_3genE8ELNS1_11target_archE1030ELNS1_3gpuE2ELNS1_3repE0EEENS1_44radix_sort_block_sort_config_static_selectorELNS0_4arch9wavefront6targetE1EEEvSH_
                                        ; -- End function
	.set _ZN7rocprim17ROCPRIM_400000_NS6detail17trampoline_kernelINS0_13kernel_configILj256ELj4ELj4294967295EEENS1_37radix_sort_block_sort_config_selectorIiiEEZNS1_21radix_sort_block_sortIS4_Lb0EN6thrust23THRUST_200600_302600_NS6detail15normal_iteratorINS9_10device_ptrIiEEEESE_SE_SE_NS0_19identity_decomposerEEE10hipError_tT1_T2_T3_T4_jRjT5_jjP12ihipStream_tbEUlT_E_NS1_11comp_targetILNS1_3genE8ELNS1_11target_archE1030ELNS1_3gpuE2ELNS1_3repE0EEENS1_44radix_sort_block_sort_config_static_selectorELNS0_4arch9wavefront6targetE1EEEvSH_.num_vgpr, 0
	.set _ZN7rocprim17ROCPRIM_400000_NS6detail17trampoline_kernelINS0_13kernel_configILj256ELj4ELj4294967295EEENS1_37radix_sort_block_sort_config_selectorIiiEEZNS1_21radix_sort_block_sortIS4_Lb0EN6thrust23THRUST_200600_302600_NS6detail15normal_iteratorINS9_10device_ptrIiEEEESE_SE_SE_NS0_19identity_decomposerEEE10hipError_tT1_T2_T3_T4_jRjT5_jjP12ihipStream_tbEUlT_E_NS1_11comp_targetILNS1_3genE8ELNS1_11target_archE1030ELNS1_3gpuE2ELNS1_3repE0EEENS1_44radix_sort_block_sort_config_static_selectorELNS0_4arch9wavefront6targetE1EEEvSH_.num_agpr, 0
	.set _ZN7rocprim17ROCPRIM_400000_NS6detail17trampoline_kernelINS0_13kernel_configILj256ELj4ELj4294967295EEENS1_37radix_sort_block_sort_config_selectorIiiEEZNS1_21radix_sort_block_sortIS4_Lb0EN6thrust23THRUST_200600_302600_NS6detail15normal_iteratorINS9_10device_ptrIiEEEESE_SE_SE_NS0_19identity_decomposerEEE10hipError_tT1_T2_T3_T4_jRjT5_jjP12ihipStream_tbEUlT_E_NS1_11comp_targetILNS1_3genE8ELNS1_11target_archE1030ELNS1_3gpuE2ELNS1_3repE0EEENS1_44radix_sort_block_sort_config_static_selectorELNS0_4arch9wavefront6targetE1EEEvSH_.numbered_sgpr, 0
	.set _ZN7rocprim17ROCPRIM_400000_NS6detail17trampoline_kernelINS0_13kernel_configILj256ELj4ELj4294967295EEENS1_37radix_sort_block_sort_config_selectorIiiEEZNS1_21radix_sort_block_sortIS4_Lb0EN6thrust23THRUST_200600_302600_NS6detail15normal_iteratorINS9_10device_ptrIiEEEESE_SE_SE_NS0_19identity_decomposerEEE10hipError_tT1_T2_T3_T4_jRjT5_jjP12ihipStream_tbEUlT_E_NS1_11comp_targetILNS1_3genE8ELNS1_11target_archE1030ELNS1_3gpuE2ELNS1_3repE0EEENS1_44radix_sort_block_sort_config_static_selectorELNS0_4arch9wavefront6targetE1EEEvSH_.num_named_barrier, 0
	.set _ZN7rocprim17ROCPRIM_400000_NS6detail17trampoline_kernelINS0_13kernel_configILj256ELj4ELj4294967295EEENS1_37radix_sort_block_sort_config_selectorIiiEEZNS1_21radix_sort_block_sortIS4_Lb0EN6thrust23THRUST_200600_302600_NS6detail15normal_iteratorINS9_10device_ptrIiEEEESE_SE_SE_NS0_19identity_decomposerEEE10hipError_tT1_T2_T3_T4_jRjT5_jjP12ihipStream_tbEUlT_E_NS1_11comp_targetILNS1_3genE8ELNS1_11target_archE1030ELNS1_3gpuE2ELNS1_3repE0EEENS1_44radix_sort_block_sort_config_static_selectorELNS0_4arch9wavefront6targetE1EEEvSH_.private_seg_size, 0
	.set _ZN7rocprim17ROCPRIM_400000_NS6detail17trampoline_kernelINS0_13kernel_configILj256ELj4ELj4294967295EEENS1_37radix_sort_block_sort_config_selectorIiiEEZNS1_21radix_sort_block_sortIS4_Lb0EN6thrust23THRUST_200600_302600_NS6detail15normal_iteratorINS9_10device_ptrIiEEEESE_SE_SE_NS0_19identity_decomposerEEE10hipError_tT1_T2_T3_T4_jRjT5_jjP12ihipStream_tbEUlT_E_NS1_11comp_targetILNS1_3genE8ELNS1_11target_archE1030ELNS1_3gpuE2ELNS1_3repE0EEENS1_44radix_sort_block_sort_config_static_selectorELNS0_4arch9wavefront6targetE1EEEvSH_.uses_vcc, 0
	.set _ZN7rocprim17ROCPRIM_400000_NS6detail17trampoline_kernelINS0_13kernel_configILj256ELj4ELj4294967295EEENS1_37radix_sort_block_sort_config_selectorIiiEEZNS1_21radix_sort_block_sortIS4_Lb0EN6thrust23THRUST_200600_302600_NS6detail15normal_iteratorINS9_10device_ptrIiEEEESE_SE_SE_NS0_19identity_decomposerEEE10hipError_tT1_T2_T3_T4_jRjT5_jjP12ihipStream_tbEUlT_E_NS1_11comp_targetILNS1_3genE8ELNS1_11target_archE1030ELNS1_3gpuE2ELNS1_3repE0EEENS1_44radix_sort_block_sort_config_static_selectorELNS0_4arch9wavefront6targetE1EEEvSH_.uses_flat_scratch, 0
	.set _ZN7rocprim17ROCPRIM_400000_NS6detail17trampoline_kernelINS0_13kernel_configILj256ELj4ELj4294967295EEENS1_37radix_sort_block_sort_config_selectorIiiEEZNS1_21radix_sort_block_sortIS4_Lb0EN6thrust23THRUST_200600_302600_NS6detail15normal_iteratorINS9_10device_ptrIiEEEESE_SE_SE_NS0_19identity_decomposerEEE10hipError_tT1_T2_T3_T4_jRjT5_jjP12ihipStream_tbEUlT_E_NS1_11comp_targetILNS1_3genE8ELNS1_11target_archE1030ELNS1_3gpuE2ELNS1_3repE0EEENS1_44radix_sort_block_sort_config_static_selectorELNS0_4arch9wavefront6targetE1EEEvSH_.has_dyn_sized_stack, 0
	.set _ZN7rocprim17ROCPRIM_400000_NS6detail17trampoline_kernelINS0_13kernel_configILj256ELj4ELj4294967295EEENS1_37radix_sort_block_sort_config_selectorIiiEEZNS1_21radix_sort_block_sortIS4_Lb0EN6thrust23THRUST_200600_302600_NS6detail15normal_iteratorINS9_10device_ptrIiEEEESE_SE_SE_NS0_19identity_decomposerEEE10hipError_tT1_T2_T3_T4_jRjT5_jjP12ihipStream_tbEUlT_E_NS1_11comp_targetILNS1_3genE8ELNS1_11target_archE1030ELNS1_3gpuE2ELNS1_3repE0EEENS1_44radix_sort_block_sort_config_static_selectorELNS0_4arch9wavefront6targetE1EEEvSH_.has_recursion, 0
	.set _ZN7rocprim17ROCPRIM_400000_NS6detail17trampoline_kernelINS0_13kernel_configILj256ELj4ELj4294967295EEENS1_37radix_sort_block_sort_config_selectorIiiEEZNS1_21radix_sort_block_sortIS4_Lb0EN6thrust23THRUST_200600_302600_NS6detail15normal_iteratorINS9_10device_ptrIiEEEESE_SE_SE_NS0_19identity_decomposerEEE10hipError_tT1_T2_T3_T4_jRjT5_jjP12ihipStream_tbEUlT_E_NS1_11comp_targetILNS1_3genE8ELNS1_11target_archE1030ELNS1_3gpuE2ELNS1_3repE0EEENS1_44radix_sort_block_sort_config_static_selectorELNS0_4arch9wavefront6targetE1EEEvSH_.has_indirect_call, 0
	.section	.AMDGPU.csdata,"",@progbits
; Kernel info:
; codeLenInByte = 0
; TotalNumSgprs: 6
; NumVgprs: 0
; NumAgprs: 0
; TotalNumVgprs: 0
; ScratchSize: 0
; MemoryBound: 0
; FloatMode: 240
; IeeeMode: 1
; LDSByteSize: 0 bytes/workgroup (compile time only)
; SGPRBlocks: 0
; VGPRBlocks: 0
; NumSGPRsForWavesPerEU: 6
; NumVGPRsForWavesPerEU: 1
; AccumOffset: 4
; Occupancy: 8
; WaveLimiterHint : 0
; COMPUTE_PGM_RSRC2:SCRATCH_EN: 0
; COMPUTE_PGM_RSRC2:USER_SGPR: 2
; COMPUTE_PGM_RSRC2:TRAP_HANDLER: 0
; COMPUTE_PGM_RSRC2:TGID_X_EN: 1
; COMPUTE_PGM_RSRC2:TGID_Y_EN: 0
; COMPUTE_PGM_RSRC2:TGID_Z_EN: 0
; COMPUTE_PGM_RSRC2:TIDIG_COMP_CNT: 0
; COMPUTE_PGM_RSRC3_GFX90A:ACCUM_OFFSET: 0
; COMPUTE_PGM_RSRC3_GFX90A:TG_SPLIT: 0
	.section	.text._ZN7rocprim17ROCPRIM_400000_NS6detail44device_merge_sort_compile_time_verifier_archINS1_11comp_targetILNS1_3genE0ELNS1_11target_archE4294967295ELNS1_3gpuE0ELNS1_3repE0EEES8_NS1_28merge_sort_block_sort_configILj256ELj4ELNS0_20block_sort_algorithmE0EEENS0_14default_configENS1_37merge_sort_block_sort_config_selectorIiiEENS1_38merge_sort_block_merge_config_selectorIiiEEEEvv,"axG",@progbits,_ZN7rocprim17ROCPRIM_400000_NS6detail44device_merge_sort_compile_time_verifier_archINS1_11comp_targetILNS1_3genE0ELNS1_11target_archE4294967295ELNS1_3gpuE0ELNS1_3repE0EEES8_NS1_28merge_sort_block_sort_configILj256ELj4ELNS0_20block_sort_algorithmE0EEENS0_14default_configENS1_37merge_sort_block_sort_config_selectorIiiEENS1_38merge_sort_block_merge_config_selectorIiiEEEEvv,comdat
	.protected	_ZN7rocprim17ROCPRIM_400000_NS6detail44device_merge_sort_compile_time_verifier_archINS1_11comp_targetILNS1_3genE0ELNS1_11target_archE4294967295ELNS1_3gpuE0ELNS1_3repE0EEES8_NS1_28merge_sort_block_sort_configILj256ELj4ELNS0_20block_sort_algorithmE0EEENS0_14default_configENS1_37merge_sort_block_sort_config_selectorIiiEENS1_38merge_sort_block_merge_config_selectorIiiEEEEvv ; -- Begin function _ZN7rocprim17ROCPRIM_400000_NS6detail44device_merge_sort_compile_time_verifier_archINS1_11comp_targetILNS1_3genE0ELNS1_11target_archE4294967295ELNS1_3gpuE0ELNS1_3repE0EEES8_NS1_28merge_sort_block_sort_configILj256ELj4ELNS0_20block_sort_algorithmE0EEENS0_14default_configENS1_37merge_sort_block_sort_config_selectorIiiEENS1_38merge_sort_block_merge_config_selectorIiiEEEEvv
	.globl	_ZN7rocprim17ROCPRIM_400000_NS6detail44device_merge_sort_compile_time_verifier_archINS1_11comp_targetILNS1_3genE0ELNS1_11target_archE4294967295ELNS1_3gpuE0ELNS1_3repE0EEES8_NS1_28merge_sort_block_sort_configILj256ELj4ELNS0_20block_sort_algorithmE0EEENS0_14default_configENS1_37merge_sort_block_sort_config_selectorIiiEENS1_38merge_sort_block_merge_config_selectorIiiEEEEvv
	.p2align	8
	.type	_ZN7rocprim17ROCPRIM_400000_NS6detail44device_merge_sort_compile_time_verifier_archINS1_11comp_targetILNS1_3genE0ELNS1_11target_archE4294967295ELNS1_3gpuE0ELNS1_3repE0EEES8_NS1_28merge_sort_block_sort_configILj256ELj4ELNS0_20block_sort_algorithmE0EEENS0_14default_configENS1_37merge_sort_block_sort_config_selectorIiiEENS1_38merge_sort_block_merge_config_selectorIiiEEEEvv,@function
_ZN7rocprim17ROCPRIM_400000_NS6detail44device_merge_sort_compile_time_verifier_archINS1_11comp_targetILNS1_3genE0ELNS1_11target_archE4294967295ELNS1_3gpuE0ELNS1_3repE0EEES8_NS1_28merge_sort_block_sort_configILj256ELj4ELNS0_20block_sort_algorithmE0EEENS0_14default_configENS1_37merge_sort_block_sort_config_selectorIiiEENS1_38merge_sort_block_merge_config_selectorIiiEEEEvv: ; @_ZN7rocprim17ROCPRIM_400000_NS6detail44device_merge_sort_compile_time_verifier_archINS1_11comp_targetILNS1_3genE0ELNS1_11target_archE4294967295ELNS1_3gpuE0ELNS1_3repE0EEES8_NS1_28merge_sort_block_sort_configILj256ELj4ELNS0_20block_sort_algorithmE0EEENS0_14default_configENS1_37merge_sort_block_sort_config_selectorIiiEENS1_38merge_sort_block_merge_config_selectorIiiEEEEvv
; %bb.0:
	s_endpgm
	.section	.rodata,"a",@progbits
	.p2align	6, 0x0
	.amdhsa_kernel _ZN7rocprim17ROCPRIM_400000_NS6detail44device_merge_sort_compile_time_verifier_archINS1_11comp_targetILNS1_3genE0ELNS1_11target_archE4294967295ELNS1_3gpuE0ELNS1_3repE0EEES8_NS1_28merge_sort_block_sort_configILj256ELj4ELNS0_20block_sort_algorithmE0EEENS0_14default_configENS1_37merge_sort_block_sort_config_selectorIiiEENS1_38merge_sort_block_merge_config_selectorIiiEEEEvv
		.amdhsa_group_segment_fixed_size 0
		.amdhsa_private_segment_fixed_size 0
		.amdhsa_kernarg_size 0
		.amdhsa_user_sgpr_count 0
		.amdhsa_user_sgpr_dispatch_ptr 0
		.amdhsa_user_sgpr_queue_ptr 0
		.amdhsa_user_sgpr_kernarg_segment_ptr 0
		.amdhsa_user_sgpr_dispatch_id 0
		.amdhsa_user_sgpr_kernarg_preload_length 0
		.amdhsa_user_sgpr_kernarg_preload_offset 0
		.amdhsa_user_sgpr_private_segment_size 0
		.amdhsa_uses_dynamic_stack 0
		.amdhsa_enable_private_segment 0
		.amdhsa_system_sgpr_workgroup_id_x 1
		.amdhsa_system_sgpr_workgroup_id_y 0
		.amdhsa_system_sgpr_workgroup_id_z 0
		.amdhsa_system_sgpr_workgroup_info 0
		.amdhsa_system_vgpr_workitem_id 0
		.amdhsa_next_free_vgpr 1
		.amdhsa_next_free_sgpr 0
		.amdhsa_accum_offset 4
		.amdhsa_reserve_vcc 0
		.amdhsa_float_round_mode_32 0
		.amdhsa_float_round_mode_16_64 0
		.amdhsa_float_denorm_mode_32 3
		.amdhsa_float_denorm_mode_16_64 3
		.amdhsa_dx10_clamp 1
		.amdhsa_ieee_mode 1
		.amdhsa_fp16_overflow 0
		.amdhsa_tg_split 0
		.amdhsa_exception_fp_ieee_invalid_op 0
		.amdhsa_exception_fp_denorm_src 0
		.amdhsa_exception_fp_ieee_div_zero 0
		.amdhsa_exception_fp_ieee_overflow 0
		.amdhsa_exception_fp_ieee_underflow 0
		.amdhsa_exception_fp_ieee_inexact 0
		.amdhsa_exception_int_div_zero 0
	.end_amdhsa_kernel
	.section	.text._ZN7rocprim17ROCPRIM_400000_NS6detail44device_merge_sort_compile_time_verifier_archINS1_11comp_targetILNS1_3genE0ELNS1_11target_archE4294967295ELNS1_3gpuE0ELNS1_3repE0EEES8_NS1_28merge_sort_block_sort_configILj256ELj4ELNS0_20block_sort_algorithmE0EEENS0_14default_configENS1_37merge_sort_block_sort_config_selectorIiiEENS1_38merge_sort_block_merge_config_selectorIiiEEEEvv,"axG",@progbits,_ZN7rocprim17ROCPRIM_400000_NS6detail44device_merge_sort_compile_time_verifier_archINS1_11comp_targetILNS1_3genE0ELNS1_11target_archE4294967295ELNS1_3gpuE0ELNS1_3repE0EEES8_NS1_28merge_sort_block_sort_configILj256ELj4ELNS0_20block_sort_algorithmE0EEENS0_14default_configENS1_37merge_sort_block_sort_config_selectorIiiEENS1_38merge_sort_block_merge_config_selectorIiiEEEEvv,comdat
.Lfunc_end1278:
	.size	_ZN7rocprim17ROCPRIM_400000_NS6detail44device_merge_sort_compile_time_verifier_archINS1_11comp_targetILNS1_3genE0ELNS1_11target_archE4294967295ELNS1_3gpuE0ELNS1_3repE0EEES8_NS1_28merge_sort_block_sort_configILj256ELj4ELNS0_20block_sort_algorithmE0EEENS0_14default_configENS1_37merge_sort_block_sort_config_selectorIiiEENS1_38merge_sort_block_merge_config_selectorIiiEEEEvv, .Lfunc_end1278-_ZN7rocprim17ROCPRIM_400000_NS6detail44device_merge_sort_compile_time_verifier_archINS1_11comp_targetILNS1_3genE0ELNS1_11target_archE4294967295ELNS1_3gpuE0ELNS1_3repE0EEES8_NS1_28merge_sort_block_sort_configILj256ELj4ELNS0_20block_sort_algorithmE0EEENS0_14default_configENS1_37merge_sort_block_sort_config_selectorIiiEENS1_38merge_sort_block_merge_config_selectorIiiEEEEvv
                                        ; -- End function
	.set _ZN7rocprim17ROCPRIM_400000_NS6detail44device_merge_sort_compile_time_verifier_archINS1_11comp_targetILNS1_3genE0ELNS1_11target_archE4294967295ELNS1_3gpuE0ELNS1_3repE0EEES8_NS1_28merge_sort_block_sort_configILj256ELj4ELNS0_20block_sort_algorithmE0EEENS0_14default_configENS1_37merge_sort_block_sort_config_selectorIiiEENS1_38merge_sort_block_merge_config_selectorIiiEEEEvv.num_vgpr, 0
	.set _ZN7rocprim17ROCPRIM_400000_NS6detail44device_merge_sort_compile_time_verifier_archINS1_11comp_targetILNS1_3genE0ELNS1_11target_archE4294967295ELNS1_3gpuE0ELNS1_3repE0EEES8_NS1_28merge_sort_block_sort_configILj256ELj4ELNS0_20block_sort_algorithmE0EEENS0_14default_configENS1_37merge_sort_block_sort_config_selectorIiiEENS1_38merge_sort_block_merge_config_selectorIiiEEEEvv.num_agpr, 0
	.set _ZN7rocprim17ROCPRIM_400000_NS6detail44device_merge_sort_compile_time_verifier_archINS1_11comp_targetILNS1_3genE0ELNS1_11target_archE4294967295ELNS1_3gpuE0ELNS1_3repE0EEES8_NS1_28merge_sort_block_sort_configILj256ELj4ELNS0_20block_sort_algorithmE0EEENS0_14default_configENS1_37merge_sort_block_sort_config_selectorIiiEENS1_38merge_sort_block_merge_config_selectorIiiEEEEvv.numbered_sgpr, 0
	.set _ZN7rocprim17ROCPRIM_400000_NS6detail44device_merge_sort_compile_time_verifier_archINS1_11comp_targetILNS1_3genE0ELNS1_11target_archE4294967295ELNS1_3gpuE0ELNS1_3repE0EEES8_NS1_28merge_sort_block_sort_configILj256ELj4ELNS0_20block_sort_algorithmE0EEENS0_14default_configENS1_37merge_sort_block_sort_config_selectorIiiEENS1_38merge_sort_block_merge_config_selectorIiiEEEEvv.num_named_barrier, 0
	.set _ZN7rocprim17ROCPRIM_400000_NS6detail44device_merge_sort_compile_time_verifier_archINS1_11comp_targetILNS1_3genE0ELNS1_11target_archE4294967295ELNS1_3gpuE0ELNS1_3repE0EEES8_NS1_28merge_sort_block_sort_configILj256ELj4ELNS0_20block_sort_algorithmE0EEENS0_14default_configENS1_37merge_sort_block_sort_config_selectorIiiEENS1_38merge_sort_block_merge_config_selectorIiiEEEEvv.private_seg_size, 0
	.set _ZN7rocprim17ROCPRIM_400000_NS6detail44device_merge_sort_compile_time_verifier_archINS1_11comp_targetILNS1_3genE0ELNS1_11target_archE4294967295ELNS1_3gpuE0ELNS1_3repE0EEES8_NS1_28merge_sort_block_sort_configILj256ELj4ELNS0_20block_sort_algorithmE0EEENS0_14default_configENS1_37merge_sort_block_sort_config_selectorIiiEENS1_38merge_sort_block_merge_config_selectorIiiEEEEvv.uses_vcc, 0
	.set _ZN7rocprim17ROCPRIM_400000_NS6detail44device_merge_sort_compile_time_verifier_archINS1_11comp_targetILNS1_3genE0ELNS1_11target_archE4294967295ELNS1_3gpuE0ELNS1_3repE0EEES8_NS1_28merge_sort_block_sort_configILj256ELj4ELNS0_20block_sort_algorithmE0EEENS0_14default_configENS1_37merge_sort_block_sort_config_selectorIiiEENS1_38merge_sort_block_merge_config_selectorIiiEEEEvv.uses_flat_scratch, 0
	.set _ZN7rocprim17ROCPRIM_400000_NS6detail44device_merge_sort_compile_time_verifier_archINS1_11comp_targetILNS1_3genE0ELNS1_11target_archE4294967295ELNS1_3gpuE0ELNS1_3repE0EEES8_NS1_28merge_sort_block_sort_configILj256ELj4ELNS0_20block_sort_algorithmE0EEENS0_14default_configENS1_37merge_sort_block_sort_config_selectorIiiEENS1_38merge_sort_block_merge_config_selectorIiiEEEEvv.has_dyn_sized_stack, 0
	.set _ZN7rocprim17ROCPRIM_400000_NS6detail44device_merge_sort_compile_time_verifier_archINS1_11comp_targetILNS1_3genE0ELNS1_11target_archE4294967295ELNS1_3gpuE0ELNS1_3repE0EEES8_NS1_28merge_sort_block_sort_configILj256ELj4ELNS0_20block_sort_algorithmE0EEENS0_14default_configENS1_37merge_sort_block_sort_config_selectorIiiEENS1_38merge_sort_block_merge_config_selectorIiiEEEEvv.has_recursion, 0
	.set _ZN7rocprim17ROCPRIM_400000_NS6detail44device_merge_sort_compile_time_verifier_archINS1_11comp_targetILNS1_3genE0ELNS1_11target_archE4294967295ELNS1_3gpuE0ELNS1_3repE0EEES8_NS1_28merge_sort_block_sort_configILj256ELj4ELNS0_20block_sort_algorithmE0EEENS0_14default_configENS1_37merge_sort_block_sort_config_selectorIiiEENS1_38merge_sort_block_merge_config_selectorIiiEEEEvv.has_indirect_call, 0
	.section	.AMDGPU.csdata,"",@progbits
; Kernel info:
; codeLenInByte = 4
; TotalNumSgprs: 6
; NumVgprs: 0
; NumAgprs: 0
; TotalNumVgprs: 0
; ScratchSize: 0
; MemoryBound: 0
; FloatMode: 240
; IeeeMode: 1
; LDSByteSize: 0 bytes/workgroup (compile time only)
; SGPRBlocks: 0
; VGPRBlocks: 0
; NumSGPRsForWavesPerEU: 6
; NumVGPRsForWavesPerEU: 1
; AccumOffset: 4
; Occupancy: 8
; WaveLimiterHint : 0
; COMPUTE_PGM_RSRC2:SCRATCH_EN: 0
; COMPUTE_PGM_RSRC2:USER_SGPR: 0
; COMPUTE_PGM_RSRC2:TRAP_HANDLER: 0
; COMPUTE_PGM_RSRC2:TGID_X_EN: 1
; COMPUTE_PGM_RSRC2:TGID_Y_EN: 0
; COMPUTE_PGM_RSRC2:TGID_Z_EN: 0
; COMPUTE_PGM_RSRC2:TIDIG_COMP_CNT: 0
; COMPUTE_PGM_RSRC3_GFX90A:ACCUM_OFFSET: 0
; COMPUTE_PGM_RSRC3_GFX90A:TG_SPLIT: 0
	.section	.text._ZN7rocprim17ROCPRIM_400000_NS6detail44device_merge_sort_compile_time_verifier_archINS1_11comp_targetILNS1_3genE5ELNS1_11target_archE942ELNS1_3gpuE9ELNS1_3repE0EEES8_NS1_28merge_sort_block_sort_configILj256ELj4ELNS0_20block_sort_algorithmE0EEENS0_14default_configENS1_37merge_sort_block_sort_config_selectorIiiEENS1_38merge_sort_block_merge_config_selectorIiiEEEEvv,"axG",@progbits,_ZN7rocprim17ROCPRIM_400000_NS6detail44device_merge_sort_compile_time_verifier_archINS1_11comp_targetILNS1_3genE5ELNS1_11target_archE942ELNS1_3gpuE9ELNS1_3repE0EEES8_NS1_28merge_sort_block_sort_configILj256ELj4ELNS0_20block_sort_algorithmE0EEENS0_14default_configENS1_37merge_sort_block_sort_config_selectorIiiEENS1_38merge_sort_block_merge_config_selectorIiiEEEEvv,comdat
	.protected	_ZN7rocprim17ROCPRIM_400000_NS6detail44device_merge_sort_compile_time_verifier_archINS1_11comp_targetILNS1_3genE5ELNS1_11target_archE942ELNS1_3gpuE9ELNS1_3repE0EEES8_NS1_28merge_sort_block_sort_configILj256ELj4ELNS0_20block_sort_algorithmE0EEENS0_14default_configENS1_37merge_sort_block_sort_config_selectorIiiEENS1_38merge_sort_block_merge_config_selectorIiiEEEEvv ; -- Begin function _ZN7rocprim17ROCPRIM_400000_NS6detail44device_merge_sort_compile_time_verifier_archINS1_11comp_targetILNS1_3genE5ELNS1_11target_archE942ELNS1_3gpuE9ELNS1_3repE0EEES8_NS1_28merge_sort_block_sort_configILj256ELj4ELNS0_20block_sort_algorithmE0EEENS0_14default_configENS1_37merge_sort_block_sort_config_selectorIiiEENS1_38merge_sort_block_merge_config_selectorIiiEEEEvv
	.globl	_ZN7rocprim17ROCPRIM_400000_NS6detail44device_merge_sort_compile_time_verifier_archINS1_11comp_targetILNS1_3genE5ELNS1_11target_archE942ELNS1_3gpuE9ELNS1_3repE0EEES8_NS1_28merge_sort_block_sort_configILj256ELj4ELNS0_20block_sort_algorithmE0EEENS0_14default_configENS1_37merge_sort_block_sort_config_selectorIiiEENS1_38merge_sort_block_merge_config_selectorIiiEEEEvv
	.p2align	8
	.type	_ZN7rocprim17ROCPRIM_400000_NS6detail44device_merge_sort_compile_time_verifier_archINS1_11comp_targetILNS1_3genE5ELNS1_11target_archE942ELNS1_3gpuE9ELNS1_3repE0EEES8_NS1_28merge_sort_block_sort_configILj256ELj4ELNS0_20block_sort_algorithmE0EEENS0_14default_configENS1_37merge_sort_block_sort_config_selectorIiiEENS1_38merge_sort_block_merge_config_selectorIiiEEEEvv,@function
_ZN7rocprim17ROCPRIM_400000_NS6detail44device_merge_sort_compile_time_verifier_archINS1_11comp_targetILNS1_3genE5ELNS1_11target_archE942ELNS1_3gpuE9ELNS1_3repE0EEES8_NS1_28merge_sort_block_sort_configILj256ELj4ELNS0_20block_sort_algorithmE0EEENS0_14default_configENS1_37merge_sort_block_sort_config_selectorIiiEENS1_38merge_sort_block_merge_config_selectorIiiEEEEvv: ; @_ZN7rocprim17ROCPRIM_400000_NS6detail44device_merge_sort_compile_time_verifier_archINS1_11comp_targetILNS1_3genE5ELNS1_11target_archE942ELNS1_3gpuE9ELNS1_3repE0EEES8_NS1_28merge_sort_block_sort_configILj256ELj4ELNS0_20block_sort_algorithmE0EEENS0_14default_configENS1_37merge_sort_block_sort_config_selectorIiiEENS1_38merge_sort_block_merge_config_selectorIiiEEEEvv
; %bb.0:
	s_endpgm
	.section	.rodata,"a",@progbits
	.p2align	6, 0x0
	.amdhsa_kernel _ZN7rocprim17ROCPRIM_400000_NS6detail44device_merge_sort_compile_time_verifier_archINS1_11comp_targetILNS1_3genE5ELNS1_11target_archE942ELNS1_3gpuE9ELNS1_3repE0EEES8_NS1_28merge_sort_block_sort_configILj256ELj4ELNS0_20block_sort_algorithmE0EEENS0_14default_configENS1_37merge_sort_block_sort_config_selectorIiiEENS1_38merge_sort_block_merge_config_selectorIiiEEEEvv
		.amdhsa_group_segment_fixed_size 0
		.amdhsa_private_segment_fixed_size 0
		.amdhsa_kernarg_size 0
		.amdhsa_user_sgpr_count 0
		.amdhsa_user_sgpr_dispatch_ptr 0
		.amdhsa_user_sgpr_queue_ptr 0
		.amdhsa_user_sgpr_kernarg_segment_ptr 0
		.amdhsa_user_sgpr_dispatch_id 0
		.amdhsa_user_sgpr_kernarg_preload_length 0
		.amdhsa_user_sgpr_kernarg_preload_offset 0
		.amdhsa_user_sgpr_private_segment_size 0
		.amdhsa_uses_dynamic_stack 0
		.amdhsa_enable_private_segment 0
		.amdhsa_system_sgpr_workgroup_id_x 1
		.amdhsa_system_sgpr_workgroup_id_y 0
		.amdhsa_system_sgpr_workgroup_id_z 0
		.amdhsa_system_sgpr_workgroup_info 0
		.amdhsa_system_vgpr_workitem_id 0
		.amdhsa_next_free_vgpr 1
		.amdhsa_next_free_sgpr 0
		.amdhsa_accum_offset 4
		.amdhsa_reserve_vcc 0
		.amdhsa_float_round_mode_32 0
		.amdhsa_float_round_mode_16_64 0
		.amdhsa_float_denorm_mode_32 3
		.amdhsa_float_denorm_mode_16_64 3
		.amdhsa_dx10_clamp 1
		.amdhsa_ieee_mode 1
		.amdhsa_fp16_overflow 0
		.amdhsa_tg_split 0
		.amdhsa_exception_fp_ieee_invalid_op 0
		.amdhsa_exception_fp_denorm_src 0
		.amdhsa_exception_fp_ieee_div_zero 0
		.amdhsa_exception_fp_ieee_overflow 0
		.amdhsa_exception_fp_ieee_underflow 0
		.amdhsa_exception_fp_ieee_inexact 0
		.amdhsa_exception_int_div_zero 0
	.end_amdhsa_kernel
	.section	.text._ZN7rocprim17ROCPRIM_400000_NS6detail44device_merge_sort_compile_time_verifier_archINS1_11comp_targetILNS1_3genE5ELNS1_11target_archE942ELNS1_3gpuE9ELNS1_3repE0EEES8_NS1_28merge_sort_block_sort_configILj256ELj4ELNS0_20block_sort_algorithmE0EEENS0_14default_configENS1_37merge_sort_block_sort_config_selectorIiiEENS1_38merge_sort_block_merge_config_selectorIiiEEEEvv,"axG",@progbits,_ZN7rocprim17ROCPRIM_400000_NS6detail44device_merge_sort_compile_time_verifier_archINS1_11comp_targetILNS1_3genE5ELNS1_11target_archE942ELNS1_3gpuE9ELNS1_3repE0EEES8_NS1_28merge_sort_block_sort_configILj256ELj4ELNS0_20block_sort_algorithmE0EEENS0_14default_configENS1_37merge_sort_block_sort_config_selectorIiiEENS1_38merge_sort_block_merge_config_selectorIiiEEEEvv,comdat
.Lfunc_end1279:
	.size	_ZN7rocprim17ROCPRIM_400000_NS6detail44device_merge_sort_compile_time_verifier_archINS1_11comp_targetILNS1_3genE5ELNS1_11target_archE942ELNS1_3gpuE9ELNS1_3repE0EEES8_NS1_28merge_sort_block_sort_configILj256ELj4ELNS0_20block_sort_algorithmE0EEENS0_14default_configENS1_37merge_sort_block_sort_config_selectorIiiEENS1_38merge_sort_block_merge_config_selectorIiiEEEEvv, .Lfunc_end1279-_ZN7rocprim17ROCPRIM_400000_NS6detail44device_merge_sort_compile_time_verifier_archINS1_11comp_targetILNS1_3genE5ELNS1_11target_archE942ELNS1_3gpuE9ELNS1_3repE0EEES8_NS1_28merge_sort_block_sort_configILj256ELj4ELNS0_20block_sort_algorithmE0EEENS0_14default_configENS1_37merge_sort_block_sort_config_selectorIiiEENS1_38merge_sort_block_merge_config_selectorIiiEEEEvv
                                        ; -- End function
	.set _ZN7rocprim17ROCPRIM_400000_NS6detail44device_merge_sort_compile_time_verifier_archINS1_11comp_targetILNS1_3genE5ELNS1_11target_archE942ELNS1_3gpuE9ELNS1_3repE0EEES8_NS1_28merge_sort_block_sort_configILj256ELj4ELNS0_20block_sort_algorithmE0EEENS0_14default_configENS1_37merge_sort_block_sort_config_selectorIiiEENS1_38merge_sort_block_merge_config_selectorIiiEEEEvv.num_vgpr, 0
	.set _ZN7rocprim17ROCPRIM_400000_NS6detail44device_merge_sort_compile_time_verifier_archINS1_11comp_targetILNS1_3genE5ELNS1_11target_archE942ELNS1_3gpuE9ELNS1_3repE0EEES8_NS1_28merge_sort_block_sort_configILj256ELj4ELNS0_20block_sort_algorithmE0EEENS0_14default_configENS1_37merge_sort_block_sort_config_selectorIiiEENS1_38merge_sort_block_merge_config_selectorIiiEEEEvv.num_agpr, 0
	.set _ZN7rocprim17ROCPRIM_400000_NS6detail44device_merge_sort_compile_time_verifier_archINS1_11comp_targetILNS1_3genE5ELNS1_11target_archE942ELNS1_3gpuE9ELNS1_3repE0EEES8_NS1_28merge_sort_block_sort_configILj256ELj4ELNS0_20block_sort_algorithmE0EEENS0_14default_configENS1_37merge_sort_block_sort_config_selectorIiiEENS1_38merge_sort_block_merge_config_selectorIiiEEEEvv.numbered_sgpr, 0
	.set _ZN7rocprim17ROCPRIM_400000_NS6detail44device_merge_sort_compile_time_verifier_archINS1_11comp_targetILNS1_3genE5ELNS1_11target_archE942ELNS1_3gpuE9ELNS1_3repE0EEES8_NS1_28merge_sort_block_sort_configILj256ELj4ELNS0_20block_sort_algorithmE0EEENS0_14default_configENS1_37merge_sort_block_sort_config_selectorIiiEENS1_38merge_sort_block_merge_config_selectorIiiEEEEvv.num_named_barrier, 0
	.set _ZN7rocprim17ROCPRIM_400000_NS6detail44device_merge_sort_compile_time_verifier_archINS1_11comp_targetILNS1_3genE5ELNS1_11target_archE942ELNS1_3gpuE9ELNS1_3repE0EEES8_NS1_28merge_sort_block_sort_configILj256ELj4ELNS0_20block_sort_algorithmE0EEENS0_14default_configENS1_37merge_sort_block_sort_config_selectorIiiEENS1_38merge_sort_block_merge_config_selectorIiiEEEEvv.private_seg_size, 0
	.set _ZN7rocprim17ROCPRIM_400000_NS6detail44device_merge_sort_compile_time_verifier_archINS1_11comp_targetILNS1_3genE5ELNS1_11target_archE942ELNS1_3gpuE9ELNS1_3repE0EEES8_NS1_28merge_sort_block_sort_configILj256ELj4ELNS0_20block_sort_algorithmE0EEENS0_14default_configENS1_37merge_sort_block_sort_config_selectorIiiEENS1_38merge_sort_block_merge_config_selectorIiiEEEEvv.uses_vcc, 0
	.set _ZN7rocprim17ROCPRIM_400000_NS6detail44device_merge_sort_compile_time_verifier_archINS1_11comp_targetILNS1_3genE5ELNS1_11target_archE942ELNS1_3gpuE9ELNS1_3repE0EEES8_NS1_28merge_sort_block_sort_configILj256ELj4ELNS0_20block_sort_algorithmE0EEENS0_14default_configENS1_37merge_sort_block_sort_config_selectorIiiEENS1_38merge_sort_block_merge_config_selectorIiiEEEEvv.uses_flat_scratch, 0
	.set _ZN7rocprim17ROCPRIM_400000_NS6detail44device_merge_sort_compile_time_verifier_archINS1_11comp_targetILNS1_3genE5ELNS1_11target_archE942ELNS1_3gpuE9ELNS1_3repE0EEES8_NS1_28merge_sort_block_sort_configILj256ELj4ELNS0_20block_sort_algorithmE0EEENS0_14default_configENS1_37merge_sort_block_sort_config_selectorIiiEENS1_38merge_sort_block_merge_config_selectorIiiEEEEvv.has_dyn_sized_stack, 0
	.set _ZN7rocprim17ROCPRIM_400000_NS6detail44device_merge_sort_compile_time_verifier_archINS1_11comp_targetILNS1_3genE5ELNS1_11target_archE942ELNS1_3gpuE9ELNS1_3repE0EEES8_NS1_28merge_sort_block_sort_configILj256ELj4ELNS0_20block_sort_algorithmE0EEENS0_14default_configENS1_37merge_sort_block_sort_config_selectorIiiEENS1_38merge_sort_block_merge_config_selectorIiiEEEEvv.has_recursion, 0
	.set _ZN7rocprim17ROCPRIM_400000_NS6detail44device_merge_sort_compile_time_verifier_archINS1_11comp_targetILNS1_3genE5ELNS1_11target_archE942ELNS1_3gpuE9ELNS1_3repE0EEES8_NS1_28merge_sort_block_sort_configILj256ELj4ELNS0_20block_sort_algorithmE0EEENS0_14default_configENS1_37merge_sort_block_sort_config_selectorIiiEENS1_38merge_sort_block_merge_config_selectorIiiEEEEvv.has_indirect_call, 0
	.section	.AMDGPU.csdata,"",@progbits
; Kernel info:
; codeLenInByte = 4
; TotalNumSgprs: 6
; NumVgprs: 0
; NumAgprs: 0
; TotalNumVgprs: 0
; ScratchSize: 0
; MemoryBound: 0
; FloatMode: 240
; IeeeMode: 1
; LDSByteSize: 0 bytes/workgroup (compile time only)
; SGPRBlocks: 0
; VGPRBlocks: 0
; NumSGPRsForWavesPerEU: 6
; NumVGPRsForWavesPerEU: 1
; AccumOffset: 4
; Occupancy: 8
; WaveLimiterHint : 0
; COMPUTE_PGM_RSRC2:SCRATCH_EN: 0
; COMPUTE_PGM_RSRC2:USER_SGPR: 0
; COMPUTE_PGM_RSRC2:TRAP_HANDLER: 0
; COMPUTE_PGM_RSRC2:TGID_X_EN: 1
; COMPUTE_PGM_RSRC2:TGID_Y_EN: 0
; COMPUTE_PGM_RSRC2:TGID_Z_EN: 0
; COMPUTE_PGM_RSRC2:TIDIG_COMP_CNT: 0
; COMPUTE_PGM_RSRC3_GFX90A:ACCUM_OFFSET: 0
; COMPUTE_PGM_RSRC3_GFX90A:TG_SPLIT: 0
	.section	.text._ZN7rocprim17ROCPRIM_400000_NS6detail44device_merge_sort_compile_time_verifier_archINS1_11comp_targetILNS1_3genE4ELNS1_11target_archE910ELNS1_3gpuE8ELNS1_3repE0EEES8_NS1_28merge_sort_block_sort_configILj256ELj4ELNS0_20block_sort_algorithmE0EEENS0_14default_configENS1_37merge_sort_block_sort_config_selectorIiiEENS1_38merge_sort_block_merge_config_selectorIiiEEEEvv,"axG",@progbits,_ZN7rocprim17ROCPRIM_400000_NS6detail44device_merge_sort_compile_time_verifier_archINS1_11comp_targetILNS1_3genE4ELNS1_11target_archE910ELNS1_3gpuE8ELNS1_3repE0EEES8_NS1_28merge_sort_block_sort_configILj256ELj4ELNS0_20block_sort_algorithmE0EEENS0_14default_configENS1_37merge_sort_block_sort_config_selectorIiiEENS1_38merge_sort_block_merge_config_selectorIiiEEEEvv,comdat
	.protected	_ZN7rocprim17ROCPRIM_400000_NS6detail44device_merge_sort_compile_time_verifier_archINS1_11comp_targetILNS1_3genE4ELNS1_11target_archE910ELNS1_3gpuE8ELNS1_3repE0EEES8_NS1_28merge_sort_block_sort_configILj256ELj4ELNS0_20block_sort_algorithmE0EEENS0_14default_configENS1_37merge_sort_block_sort_config_selectorIiiEENS1_38merge_sort_block_merge_config_selectorIiiEEEEvv ; -- Begin function _ZN7rocprim17ROCPRIM_400000_NS6detail44device_merge_sort_compile_time_verifier_archINS1_11comp_targetILNS1_3genE4ELNS1_11target_archE910ELNS1_3gpuE8ELNS1_3repE0EEES8_NS1_28merge_sort_block_sort_configILj256ELj4ELNS0_20block_sort_algorithmE0EEENS0_14default_configENS1_37merge_sort_block_sort_config_selectorIiiEENS1_38merge_sort_block_merge_config_selectorIiiEEEEvv
	.globl	_ZN7rocprim17ROCPRIM_400000_NS6detail44device_merge_sort_compile_time_verifier_archINS1_11comp_targetILNS1_3genE4ELNS1_11target_archE910ELNS1_3gpuE8ELNS1_3repE0EEES8_NS1_28merge_sort_block_sort_configILj256ELj4ELNS0_20block_sort_algorithmE0EEENS0_14default_configENS1_37merge_sort_block_sort_config_selectorIiiEENS1_38merge_sort_block_merge_config_selectorIiiEEEEvv
	.p2align	8
	.type	_ZN7rocprim17ROCPRIM_400000_NS6detail44device_merge_sort_compile_time_verifier_archINS1_11comp_targetILNS1_3genE4ELNS1_11target_archE910ELNS1_3gpuE8ELNS1_3repE0EEES8_NS1_28merge_sort_block_sort_configILj256ELj4ELNS0_20block_sort_algorithmE0EEENS0_14default_configENS1_37merge_sort_block_sort_config_selectorIiiEENS1_38merge_sort_block_merge_config_selectorIiiEEEEvv,@function
_ZN7rocprim17ROCPRIM_400000_NS6detail44device_merge_sort_compile_time_verifier_archINS1_11comp_targetILNS1_3genE4ELNS1_11target_archE910ELNS1_3gpuE8ELNS1_3repE0EEES8_NS1_28merge_sort_block_sort_configILj256ELj4ELNS0_20block_sort_algorithmE0EEENS0_14default_configENS1_37merge_sort_block_sort_config_selectorIiiEENS1_38merge_sort_block_merge_config_selectorIiiEEEEvv: ; @_ZN7rocprim17ROCPRIM_400000_NS6detail44device_merge_sort_compile_time_verifier_archINS1_11comp_targetILNS1_3genE4ELNS1_11target_archE910ELNS1_3gpuE8ELNS1_3repE0EEES8_NS1_28merge_sort_block_sort_configILj256ELj4ELNS0_20block_sort_algorithmE0EEENS0_14default_configENS1_37merge_sort_block_sort_config_selectorIiiEENS1_38merge_sort_block_merge_config_selectorIiiEEEEvv
; %bb.0:
	s_endpgm
	.section	.rodata,"a",@progbits
	.p2align	6, 0x0
	.amdhsa_kernel _ZN7rocprim17ROCPRIM_400000_NS6detail44device_merge_sort_compile_time_verifier_archINS1_11comp_targetILNS1_3genE4ELNS1_11target_archE910ELNS1_3gpuE8ELNS1_3repE0EEES8_NS1_28merge_sort_block_sort_configILj256ELj4ELNS0_20block_sort_algorithmE0EEENS0_14default_configENS1_37merge_sort_block_sort_config_selectorIiiEENS1_38merge_sort_block_merge_config_selectorIiiEEEEvv
		.amdhsa_group_segment_fixed_size 0
		.amdhsa_private_segment_fixed_size 0
		.amdhsa_kernarg_size 0
		.amdhsa_user_sgpr_count 0
		.amdhsa_user_sgpr_dispatch_ptr 0
		.amdhsa_user_sgpr_queue_ptr 0
		.amdhsa_user_sgpr_kernarg_segment_ptr 0
		.amdhsa_user_sgpr_dispatch_id 0
		.amdhsa_user_sgpr_kernarg_preload_length 0
		.amdhsa_user_sgpr_kernarg_preload_offset 0
		.amdhsa_user_sgpr_private_segment_size 0
		.amdhsa_uses_dynamic_stack 0
		.amdhsa_enable_private_segment 0
		.amdhsa_system_sgpr_workgroup_id_x 1
		.amdhsa_system_sgpr_workgroup_id_y 0
		.amdhsa_system_sgpr_workgroup_id_z 0
		.amdhsa_system_sgpr_workgroup_info 0
		.amdhsa_system_vgpr_workitem_id 0
		.amdhsa_next_free_vgpr 1
		.amdhsa_next_free_sgpr 0
		.amdhsa_accum_offset 4
		.amdhsa_reserve_vcc 0
		.amdhsa_float_round_mode_32 0
		.amdhsa_float_round_mode_16_64 0
		.amdhsa_float_denorm_mode_32 3
		.amdhsa_float_denorm_mode_16_64 3
		.amdhsa_dx10_clamp 1
		.amdhsa_ieee_mode 1
		.amdhsa_fp16_overflow 0
		.amdhsa_tg_split 0
		.amdhsa_exception_fp_ieee_invalid_op 0
		.amdhsa_exception_fp_denorm_src 0
		.amdhsa_exception_fp_ieee_div_zero 0
		.amdhsa_exception_fp_ieee_overflow 0
		.amdhsa_exception_fp_ieee_underflow 0
		.amdhsa_exception_fp_ieee_inexact 0
		.amdhsa_exception_int_div_zero 0
	.end_amdhsa_kernel
	.section	.text._ZN7rocprim17ROCPRIM_400000_NS6detail44device_merge_sort_compile_time_verifier_archINS1_11comp_targetILNS1_3genE4ELNS1_11target_archE910ELNS1_3gpuE8ELNS1_3repE0EEES8_NS1_28merge_sort_block_sort_configILj256ELj4ELNS0_20block_sort_algorithmE0EEENS0_14default_configENS1_37merge_sort_block_sort_config_selectorIiiEENS1_38merge_sort_block_merge_config_selectorIiiEEEEvv,"axG",@progbits,_ZN7rocprim17ROCPRIM_400000_NS6detail44device_merge_sort_compile_time_verifier_archINS1_11comp_targetILNS1_3genE4ELNS1_11target_archE910ELNS1_3gpuE8ELNS1_3repE0EEES8_NS1_28merge_sort_block_sort_configILj256ELj4ELNS0_20block_sort_algorithmE0EEENS0_14default_configENS1_37merge_sort_block_sort_config_selectorIiiEENS1_38merge_sort_block_merge_config_selectorIiiEEEEvv,comdat
.Lfunc_end1280:
	.size	_ZN7rocprim17ROCPRIM_400000_NS6detail44device_merge_sort_compile_time_verifier_archINS1_11comp_targetILNS1_3genE4ELNS1_11target_archE910ELNS1_3gpuE8ELNS1_3repE0EEES8_NS1_28merge_sort_block_sort_configILj256ELj4ELNS0_20block_sort_algorithmE0EEENS0_14default_configENS1_37merge_sort_block_sort_config_selectorIiiEENS1_38merge_sort_block_merge_config_selectorIiiEEEEvv, .Lfunc_end1280-_ZN7rocprim17ROCPRIM_400000_NS6detail44device_merge_sort_compile_time_verifier_archINS1_11comp_targetILNS1_3genE4ELNS1_11target_archE910ELNS1_3gpuE8ELNS1_3repE0EEES8_NS1_28merge_sort_block_sort_configILj256ELj4ELNS0_20block_sort_algorithmE0EEENS0_14default_configENS1_37merge_sort_block_sort_config_selectorIiiEENS1_38merge_sort_block_merge_config_selectorIiiEEEEvv
                                        ; -- End function
	.set _ZN7rocprim17ROCPRIM_400000_NS6detail44device_merge_sort_compile_time_verifier_archINS1_11comp_targetILNS1_3genE4ELNS1_11target_archE910ELNS1_3gpuE8ELNS1_3repE0EEES8_NS1_28merge_sort_block_sort_configILj256ELj4ELNS0_20block_sort_algorithmE0EEENS0_14default_configENS1_37merge_sort_block_sort_config_selectorIiiEENS1_38merge_sort_block_merge_config_selectorIiiEEEEvv.num_vgpr, 0
	.set _ZN7rocprim17ROCPRIM_400000_NS6detail44device_merge_sort_compile_time_verifier_archINS1_11comp_targetILNS1_3genE4ELNS1_11target_archE910ELNS1_3gpuE8ELNS1_3repE0EEES8_NS1_28merge_sort_block_sort_configILj256ELj4ELNS0_20block_sort_algorithmE0EEENS0_14default_configENS1_37merge_sort_block_sort_config_selectorIiiEENS1_38merge_sort_block_merge_config_selectorIiiEEEEvv.num_agpr, 0
	.set _ZN7rocprim17ROCPRIM_400000_NS6detail44device_merge_sort_compile_time_verifier_archINS1_11comp_targetILNS1_3genE4ELNS1_11target_archE910ELNS1_3gpuE8ELNS1_3repE0EEES8_NS1_28merge_sort_block_sort_configILj256ELj4ELNS0_20block_sort_algorithmE0EEENS0_14default_configENS1_37merge_sort_block_sort_config_selectorIiiEENS1_38merge_sort_block_merge_config_selectorIiiEEEEvv.numbered_sgpr, 0
	.set _ZN7rocprim17ROCPRIM_400000_NS6detail44device_merge_sort_compile_time_verifier_archINS1_11comp_targetILNS1_3genE4ELNS1_11target_archE910ELNS1_3gpuE8ELNS1_3repE0EEES8_NS1_28merge_sort_block_sort_configILj256ELj4ELNS0_20block_sort_algorithmE0EEENS0_14default_configENS1_37merge_sort_block_sort_config_selectorIiiEENS1_38merge_sort_block_merge_config_selectorIiiEEEEvv.num_named_barrier, 0
	.set _ZN7rocprim17ROCPRIM_400000_NS6detail44device_merge_sort_compile_time_verifier_archINS1_11comp_targetILNS1_3genE4ELNS1_11target_archE910ELNS1_3gpuE8ELNS1_3repE0EEES8_NS1_28merge_sort_block_sort_configILj256ELj4ELNS0_20block_sort_algorithmE0EEENS0_14default_configENS1_37merge_sort_block_sort_config_selectorIiiEENS1_38merge_sort_block_merge_config_selectorIiiEEEEvv.private_seg_size, 0
	.set _ZN7rocprim17ROCPRIM_400000_NS6detail44device_merge_sort_compile_time_verifier_archINS1_11comp_targetILNS1_3genE4ELNS1_11target_archE910ELNS1_3gpuE8ELNS1_3repE0EEES8_NS1_28merge_sort_block_sort_configILj256ELj4ELNS0_20block_sort_algorithmE0EEENS0_14default_configENS1_37merge_sort_block_sort_config_selectorIiiEENS1_38merge_sort_block_merge_config_selectorIiiEEEEvv.uses_vcc, 0
	.set _ZN7rocprim17ROCPRIM_400000_NS6detail44device_merge_sort_compile_time_verifier_archINS1_11comp_targetILNS1_3genE4ELNS1_11target_archE910ELNS1_3gpuE8ELNS1_3repE0EEES8_NS1_28merge_sort_block_sort_configILj256ELj4ELNS0_20block_sort_algorithmE0EEENS0_14default_configENS1_37merge_sort_block_sort_config_selectorIiiEENS1_38merge_sort_block_merge_config_selectorIiiEEEEvv.uses_flat_scratch, 0
	.set _ZN7rocprim17ROCPRIM_400000_NS6detail44device_merge_sort_compile_time_verifier_archINS1_11comp_targetILNS1_3genE4ELNS1_11target_archE910ELNS1_3gpuE8ELNS1_3repE0EEES8_NS1_28merge_sort_block_sort_configILj256ELj4ELNS0_20block_sort_algorithmE0EEENS0_14default_configENS1_37merge_sort_block_sort_config_selectorIiiEENS1_38merge_sort_block_merge_config_selectorIiiEEEEvv.has_dyn_sized_stack, 0
	.set _ZN7rocprim17ROCPRIM_400000_NS6detail44device_merge_sort_compile_time_verifier_archINS1_11comp_targetILNS1_3genE4ELNS1_11target_archE910ELNS1_3gpuE8ELNS1_3repE0EEES8_NS1_28merge_sort_block_sort_configILj256ELj4ELNS0_20block_sort_algorithmE0EEENS0_14default_configENS1_37merge_sort_block_sort_config_selectorIiiEENS1_38merge_sort_block_merge_config_selectorIiiEEEEvv.has_recursion, 0
	.set _ZN7rocprim17ROCPRIM_400000_NS6detail44device_merge_sort_compile_time_verifier_archINS1_11comp_targetILNS1_3genE4ELNS1_11target_archE910ELNS1_3gpuE8ELNS1_3repE0EEES8_NS1_28merge_sort_block_sort_configILj256ELj4ELNS0_20block_sort_algorithmE0EEENS0_14default_configENS1_37merge_sort_block_sort_config_selectorIiiEENS1_38merge_sort_block_merge_config_selectorIiiEEEEvv.has_indirect_call, 0
	.section	.AMDGPU.csdata,"",@progbits
; Kernel info:
; codeLenInByte = 4
; TotalNumSgprs: 6
; NumVgprs: 0
; NumAgprs: 0
; TotalNumVgprs: 0
; ScratchSize: 0
; MemoryBound: 0
; FloatMode: 240
; IeeeMode: 1
; LDSByteSize: 0 bytes/workgroup (compile time only)
; SGPRBlocks: 0
; VGPRBlocks: 0
; NumSGPRsForWavesPerEU: 6
; NumVGPRsForWavesPerEU: 1
; AccumOffset: 4
; Occupancy: 8
; WaveLimiterHint : 0
; COMPUTE_PGM_RSRC2:SCRATCH_EN: 0
; COMPUTE_PGM_RSRC2:USER_SGPR: 0
; COMPUTE_PGM_RSRC2:TRAP_HANDLER: 0
; COMPUTE_PGM_RSRC2:TGID_X_EN: 1
; COMPUTE_PGM_RSRC2:TGID_Y_EN: 0
; COMPUTE_PGM_RSRC2:TGID_Z_EN: 0
; COMPUTE_PGM_RSRC2:TIDIG_COMP_CNT: 0
; COMPUTE_PGM_RSRC3_GFX90A:ACCUM_OFFSET: 0
; COMPUTE_PGM_RSRC3_GFX90A:TG_SPLIT: 0
	.section	.text._ZN7rocprim17ROCPRIM_400000_NS6detail44device_merge_sort_compile_time_verifier_archINS1_11comp_targetILNS1_3genE3ELNS1_11target_archE908ELNS1_3gpuE7ELNS1_3repE0EEES8_NS1_28merge_sort_block_sort_configILj256ELj4ELNS0_20block_sort_algorithmE0EEENS0_14default_configENS1_37merge_sort_block_sort_config_selectorIiiEENS1_38merge_sort_block_merge_config_selectorIiiEEEEvv,"axG",@progbits,_ZN7rocprim17ROCPRIM_400000_NS6detail44device_merge_sort_compile_time_verifier_archINS1_11comp_targetILNS1_3genE3ELNS1_11target_archE908ELNS1_3gpuE7ELNS1_3repE0EEES8_NS1_28merge_sort_block_sort_configILj256ELj4ELNS0_20block_sort_algorithmE0EEENS0_14default_configENS1_37merge_sort_block_sort_config_selectorIiiEENS1_38merge_sort_block_merge_config_selectorIiiEEEEvv,comdat
	.protected	_ZN7rocprim17ROCPRIM_400000_NS6detail44device_merge_sort_compile_time_verifier_archINS1_11comp_targetILNS1_3genE3ELNS1_11target_archE908ELNS1_3gpuE7ELNS1_3repE0EEES8_NS1_28merge_sort_block_sort_configILj256ELj4ELNS0_20block_sort_algorithmE0EEENS0_14default_configENS1_37merge_sort_block_sort_config_selectorIiiEENS1_38merge_sort_block_merge_config_selectorIiiEEEEvv ; -- Begin function _ZN7rocprim17ROCPRIM_400000_NS6detail44device_merge_sort_compile_time_verifier_archINS1_11comp_targetILNS1_3genE3ELNS1_11target_archE908ELNS1_3gpuE7ELNS1_3repE0EEES8_NS1_28merge_sort_block_sort_configILj256ELj4ELNS0_20block_sort_algorithmE0EEENS0_14default_configENS1_37merge_sort_block_sort_config_selectorIiiEENS1_38merge_sort_block_merge_config_selectorIiiEEEEvv
	.globl	_ZN7rocprim17ROCPRIM_400000_NS6detail44device_merge_sort_compile_time_verifier_archINS1_11comp_targetILNS1_3genE3ELNS1_11target_archE908ELNS1_3gpuE7ELNS1_3repE0EEES8_NS1_28merge_sort_block_sort_configILj256ELj4ELNS0_20block_sort_algorithmE0EEENS0_14default_configENS1_37merge_sort_block_sort_config_selectorIiiEENS1_38merge_sort_block_merge_config_selectorIiiEEEEvv
	.p2align	8
	.type	_ZN7rocprim17ROCPRIM_400000_NS6detail44device_merge_sort_compile_time_verifier_archINS1_11comp_targetILNS1_3genE3ELNS1_11target_archE908ELNS1_3gpuE7ELNS1_3repE0EEES8_NS1_28merge_sort_block_sort_configILj256ELj4ELNS0_20block_sort_algorithmE0EEENS0_14default_configENS1_37merge_sort_block_sort_config_selectorIiiEENS1_38merge_sort_block_merge_config_selectorIiiEEEEvv,@function
_ZN7rocprim17ROCPRIM_400000_NS6detail44device_merge_sort_compile_time_verifier_archINS1_11comp_targetILNS1_3genE3ELNS1_11target_archE908ELNS1_3gpuE7ELNS1_3repE0EEES8_NS1_28merge_sort_block_sort_configILj256ELj4ELNS0_20block_sort_algorithmE0EEENS0_14default_configENS1_37merge_sort_block_sort_config_selectorIiiEENS1_38merge_sort_block_merge_config_selectorIiiEEEEvv: ; @_ZN7rocprim17ROCPRIM_400000_NS6detail44device_merge_sort_compile_time_verifier_archINS1_11comp_targetILNS1_3genE3ELNS1_11target_archE908ELNS1_3gpuE7ELNS1_3repE0EEES8_NS1_28merge_sort_block_sort_configILj256ELj4ELNS0_20block_sort_algorithmE0EEENS0_14default_configENS1_37merge_sort_block_sort_config_selectorIiiEENS1_38merge_sort_block_merge_config_selectorIiiEEEEvv
; %bb.0:
	s_endpgm
	.section	.rodata,"a",@progbits
	.p2align	6, 0x0
	.amdhsa_kernel _ZN7rocprim17ROCPRIM_400000_NS6detail44device_merge_sort_compile_time_verifier_archINS1_11comp_targetILNS1_3genE3ELNS1_11target_archE908ELNS1_3gpuE7ELNS1_3repE0EEES8_NS1_28merge_sort_block_sort_configILj256ELj4ELNS0_20block_sort_algorithmE0EEENS0_14default_configENS1_37merge_sort_block_sort_config_selectorIiiEENS1_38merge_sort_block_merge_config_selectorIiiEEEEvv
		.amdhsa_group_segment_fixed_size 0
		.amdhsa_private_segment_fixed_size 0
		.amdhsa_kernarg_size 0
		.amdhsa_user_sgpr_count 0
		.amdhsa_user_sgpr_dispatch_ptr 0
		.amdhsa_user_sgpr_queue_ptr 0
		.amdhsa_user_sgpr_kernarg_segment_ptr 0
		.amdhsa_user_sgpr_dispatch_id 0
		.amdhsa_user_sgpr_kernarg_preload_length 0
		.amdhsa_user_sgpr_kernarg_preload_offset 0
		.amdhsa_user_sgpr_private_segment_size 0
		.amdhsa_uses_dynamic_stack 0
		.amdhsa_enable_private_segment 0
		.amdhsa_system_sgpr_workgroup_id_x 1
		.amdhsa_system_sgpr_workgroup_id_y 0
		.amdhsa_system_sgpr_workgroup_id_z 0
		.amdhsa_system_sgpr_workgroup_info 0
		.amdhsa_system_vgpr_workitem_id 0
		.amdhsa_next_free_vgpr 1
		.amdhsa_next_free_sgpr 0
		.amdhsa_accum_offset 4
		.amdhsa_reserve_vcc 0
		.amdhsa_float_round_mode_32 0
		.amdhsa_float_round_mode_16_64 0
		.amdhsa_float_denorm_mode_32 3
		.amdhsa_float_denorm_mode_16_64 3
		.amdhsa_dx10_clamp 1
		.amdhsa_ieee_mode 1
		.amdhsa_fp16_overflow 0
		.amdhsa_tg_split 0
		.amdhsa_exception_fp_ieee_invalid_op 0
		.amdhsa_exception_fp_denorm_src 0
		.amdhsa_exception_fp_ieee_div_zero 0
		.amdhsa_exception_fp_ieee_overflow 0
		.amdhsa_exception_fp_ieee_underflow 0
		.amdhsa_exception_fp_ieee_inexact 0
		.amdhsa_exception_int_div_zero 0
	.end_amdhsa_kernel
	.section	.text._ZN7rocprim17ROCPRIM_400000_NS6detail44device_merge_sort_compile_time_verifier_archINS1_11comp_targetILNS1_3genE3ELNS1_11target_archE908ELNS1_3gpuE7ELNS1_3repE0EEES8_NS1_28merge_sort_block_sort_configILj256ELj4ELNS0_20block_sort_algorithmE0EEENS0_14default_configENS1_37merge_sort_block_sort_config_selectorIiiEENS1_38merge_sort_block_merge_config_selectorIiiEEEEvv,"axG",@progbits,_ZN7rocprim17ROCPRIM_400000_NS6detail44device_merge_sort_compile_time_verifier_archINS1_11comp_targetILNS1_3genE3ELNS1_11target_archE908ELNS1_3gpuE7ELNS1_3repE0EEES8_NS1_28merge_sort_block_sort_configILj256ELj4ELNS0_20block_sort_algorithmE0EEENS0_14default_configENS1_37merge_sort_block_sort_config_selectorIiiEENS1_38merge_sort_block_merge_config_selectorIiiEEEEvv,comdat
.Lfunc_end1281:
	.size	_ZN7rocprim17ROCPRIM_400000_NS6detail44device_merge_sort_compile_time_verifier_archINS1_11comp_targetILNS1_3genE3ELNS1_11target_archE908ELNS1_3gpuE7ELNS1_3repE0EEES8_NS1_28merge_sort_block_sort_configILj256ELj4ELNS0_20block_sort_algorithmE0EEENS0_14default_configENS1_37merge_sort_block_sort_config_selectorIiiEENS1_38merge_sort_block_merge_config_selectorIiiEEEEvv, .Lfunc_end1281-_ZN7rocprim17ROCPRIM_400000_NS6detail44device_merge_sort_compile_time_verifier_archINS1_11comp_targetILNS1_3genE3ELNS1_11target_archE908ELNS1_3gpuE7ELNS1_3repE0EEES8_NS1_28merge_sort_block_sort_configILj256ELj4ELNS0_20block_sort_algorithmE0EEENS0_14default_configENS1_37merge_sort_block_sort_config_selectorIiiEENS1_38merge_sort_block_merge_config_selectorIiiEEEEvv
                                        ; -- End function
	.set _ZN7rocprim17ROCPRIM_400000_NS6detail44device_merge_sort_compile_time_verifier_archINS1_11comp_targetILNS1_3genE3ELNS1_11target_archE908ELNS1_3gpuE7ELNS1_3repE0EEES8_NS1_28merge_sort_block_sort_configILj256ELj4ELNS0_20block_sort_algorithmE0EEENS0_14default_configENS1_37merge_sort_block_sort_config_selectorIiiEENS1_38merge_sort_block_merge_config_selectorIiiEEEEvv.num_vgpr, 0
	.set _ZN7rocprim17ROCPRIM_400000_NS6detail44device_merge_sort_compile_time_verifier_archINS1_11comp_targetILNS1_3genE3ELNS1_11target_archE908ELNS1_3gpuE7ELNS1_3repE0EEES8_NS1_28merge_sort_block_sort_configILj256ELj4ELNS0_20block_sort_algorithmE0EEENS0_14default_configENS1_37merge_sort_block_sort_config_selectorIiiEENS1_38merge_sort_block_merge_config_selectorIiiEEEEvv.num_agpr, 0
	.set _ZN7rocprim17ROCPRIM_400000_NS6detail44device_merge_sort_compile_time_verifier_archINS1_11comp_targetILNS1_3genE3ELNS1_11target_archE908ELNS1_3gpuE7ELNS1_3repE0EEES8_NS1_28merge_sort_block_sort_configILj256ELj4ELNS0_20block_sort_algorithmE0EEENS0_14default_configENS1_37merge_sort_block_sort_config_selectorIiiEENS1_38merge_sort_block_merge_config_selectorIiiEEEEvv.numbered_sgpr, 0
	.set _ZN7rocprim17ROCPRIM_400000_NS6detail44device_merge_sort_compile_time_verifier_archINS1_11comp_targetILNS1_3genE3ELNS1_11target_archE908ELNS1_3gpuE7ELNS1_3repE0EEES8_NS1_28merge_sort_block_sort_configILj256ELj4ELNS0_20block_sort_algorithmE0EEENS0_14default_configENS1_37merge_sort_block_sort_config_selectorIiiEENS1_38merge_sort_block_merge_config_selectorIiiEEEEvv.num_named_barrier, 0
	.set _ZN7rocprim17ROCPRIM_400000_NS6detail44device_merge_sort_compile_time_verifier_archINS1_11comp_targetILNS1_3genE3ELNS1_11target_archE908ELNS1_3gpuE7ELNS1_3repE0EEES8_NS1_28merge_sort_block_sort_configILj256ELj4ELNS0_20block_sort_algorithmE0EEENS0_14default_configENS1_37merge_sort_block_sort_config_selectorIiiEENS1_38merge_sort_block_merge_config_selectorIiiEEEEvv.private_seg_size, 0
	.set _ZN7rocprim17ROCPRIM_400000_NS6detail44device_merge_sort_compile_time_verifier_archINS1_11comp_targetILNS1_3genE3ELNS1_11target_archE908ELNS1_3gpuE7ELNS1_3repE0EEES8_NS1_28merge_sort_block_sort_configILj256ELj4ELNS0_20block_sort_algorithmE0EEENS0_14default_configENS1_37merge_sort_block_sort_config_selectorIiiEENS1_38merge_sort_block_merge_config_selectorIiiEEEEvv.uses_vcc, 0
	.set _ZN7rocprim17ROCPRIM_400000_NS6detail44device_merge_sort_compile_time_verifier_archINS1_11comp_targetILNS1_3genE3ELNS1_11target_archE908ELNS1_3gpuE7ELNS1_3repE0EEES8_NS1_28merge_sort_block_sort_configILj256ELj4ELNS0_20block_sort_algorithmE0EEENS0_14default_configENS1_37merge_sort_block_sort_config_selectorIiiEENS1_38merge_sort_block_merge_config_selectorIiiEEEEvv.uses_flat_scratch, 0
	.set _ZN7rocprim17ROCPRIM_400000_NS6detail44device_merge_sort_compile_time_verifier_archINS1_11comp_targetILNS1_3genE3ELNS1_11target_archE908ELNS1_3gpuE7ELNS1_3repE0EEES8_NS1_28merge_sort_block_sort_configILj256ELj4ELNS0_20block_sort_algorithmE0EEENS0_14default_configENS1_37merge_sort_block_sort_config_selectorIiiEENS1_38merge_sort_block_merge_config_selectorIiiEEEEvv.has_dyn_sized_stack, 0
	.set _ZN7rocprim17ROCPRIM_400000_NS6detail44device_merge_sort_compile_time_verifier_archINS1_11comp_targetILNS1_3genE3ELNS1_11target_archE908ELNS1_3gpuE7ELNS1_3repE0EEES8_NS1_28merge_sort_block_sort_configILj256ELj4ELNS0_20block_sort_algorithmE0EEENS0_14default_configENS1_37merge_sort_block_sort_config_selectorIiiEENS1_38merge_sort_block_merge_config_selectorIiiEEEEvv.has_recursion, 0
	.set _ZN7rocprim17ROCPRIM_400000_NS6detail44device_merge_sort_compile_time_verifier_archINS1_11comp_targetILNS1_3genE3ELNS1_11target_archE908ELNS1_3gpuE7ELNS1_3repE0EEES8_NS1_28merge_sort_block_sort_configILj256ELj4ELNS0_20block_sort_algorithmE0EEENS0_14default_configENS1_37merge_sort_block_sort_config_selectorIiiEENS1_38merge_sort_block_merge_config_selectorIiiEEEEvv.has_indirect_call, 0
	.section	.AMDGPU.csdata,"",@progbits
; Kernel info:
; codeLenInByte = 4
; TotalNumSgprs: 6
; NumVgprs: 0
; NumAgprs: 0
; TotalNumVgprs: 0
; ScratchSize: 0
; MemoryBound: 0
; FloatMode: 240
; IeeeMode: 1
; LDSByteSize: 0 bytes/workgroup (compile time only)
; SGPRBlocks: 0
; VGPRBlocks: 0
; NumSGPRsForWavesPerEU: 6
; NumVGPRsForWavesPerEU: 1
; AccumOffset: 4
; Occupancy: 8
; WaveLimiterHint : 0
; COMPUTE_PGM_RSRC2:SCRATCH_EN: 0
; COMPUTE_PGM_RSRC2:USER_SGPR: 0
; COMPUTE_PGM_RSRC2:TRAP_HANDLER: 0
; COMPUTE_PGM_RSRC2:TGID_X_EN: 1
; COMPUTE_PGM_RSRC2:TGID_Y_EN: 0
; COMPUTE_PGM_RSRC2:TGID_Z_EN: 0
; COMPUTE_PGM_RSRC2:TIDIG_COMP_CNT: 0
; COMPUTE_PGM_RSRC3_GFX90A:ACCUM_OFFSET: 0
; COMPUTE_PGM_RSRC3_GFX90A:TG_SPLIT: 0
	.section	.text._ZN7rocprim17ROCPRIM_400000_NS6detail44device_merge_sort_compile_time_verifier_archINS1_11comp_targetILNS1_3genE2ELNS1_11target_archE906ELNS1_3gpuE6ELNS1_3repE0EEES8_NS1_28merge_sort_block_sort_configILj256ELj4ELNS0_20block_sort_algorithmE0EEENS0_14default_configENS1_37merge_sort_block_sort_config_selectorIiiEENS1_38merge_sort_block_merge_config_selectorIiiEEEEvv,"axG",@progbits,_ZN7rocprim17ROCPRIM_400000_NS6detail44device_merge_sort_compile_time_verifier_archINS1_11comp_targetILNS1_3genE2ELNS1_11target_archE906ELNS1_3gpuE6ELNS1_3repE0EEES8_NS1_28merge_sort_block_sort_configILj256ELj4ELNS0_20block_sort_algorithmE0EEENS0_14default_configENS1_37merge_sort_block_sort_config_selectorIiiEENS1_38merge_sort_block_merge_config_selectorIiiEEEEvv,comdat
	.protected	_ZN7rocprim17ROCPRIM_400000_NS6detail44device_merge_sort_compile_time_verifier_archINS1_11comp_targetILNS1_3genE2ELNS1_11target_archE906ELNS1_3gpuE6ELNS1_3repE0EEES8_NS1_28merge_sort_block_sort_configILj256ELj4ELNS0_20block_sort_algorithmE0EEENS0_14default_configENS1_37merge_sort_block_sort_config_selectorIiiEENS1_38merge_sort_block_merge_config_selectorIiiEEEEvv ; -- Begin function _ZN7rocprim17ROCPRIM_400000_NS6detail44device_merge_sort_compile_time_verifier_archINS1_11comp_targetILNS1_3genE2ELNS1_11target_archE906ELNS1_3gpuE6ELNS1_3repE0EEES8_NS1_28merge_sort_block_sort_configILj256ELj4ELNS0_20block_sort_algorithmE0EEENS0_14default_configENS1_37merge_sort_block_sort_config_selectorIiiEENS1_38merge_sort_block_merge_config_selectorIiiEEEEvv
	.globl	_ZN7rocprim17ROCPRIM_400000_NS6detail44device_merge_sort_compile_time_verifier_archINS1_11comp_targetILNS1_3genE2ELNS1_11target_archE906ELNS1_3gpuE6ELNS1_3repE0EEES8_NS1_28merge_sort_block_sort_configILj256ELj4ELNS0_20block_sort_algorithmE0EEENS0_14default_configENS1_37merge_sort_block_sort_config_selectorIiiEENS1_38merge_sort_block_merge_config_selectorIiiEEEEvv
	.p2align	8
	.type	_ZN7rocprim17ROCPRIM_400000_NS6detail44device_merge_sort_compile_time_verifier_archINS1_11comp_targetILNS1_3genE2ELNS1_11target_archE906ELNS1_3gpuE6ELNS1_3repE0EEES8_NS1_28merge_sort_block_sort_configILj256ELj4ELNS0_20block_sort_algorithmE0EEENS0_14default_configENS1_37merge_sort_block_sort_config_selectorIiiEENS1_38merge_sort_block_merge_config_selectorIiiEEEEvv,@function
_ZN7rocprim17ROCPRIM_400000_NS6detail44device_merge_sort_compile_time_verifier_archINS1_11comp_targetILNS1_3genE2ELNS1_11target_archE906ELNS1_3gpuE6ELNS1_3repE0EEES8_NS1_28merge_sort_block_sort_configILj256ELj4ELNS0_20block_sort_algorithmE0EEENS0_14default_configENS1_37merge_sort_block_sort_config_selectorIiiEENS1_38merge_sort_block_merge_config_selectorIiiEEEEvv: ; @_ZN7rocprim17ROCPRIM_400000_NS6detail44device_merge_sort_compile_time_verifier_archINS1_11comp_targetILNS1_3genE2ELNS1_11target_archE906ELNS1_3gpuE6ELNS1_3repE0EEES8_NS1_28merge_sort_block_sort_configILj256ELj4ELNS0_20block_sort_algorithmE0EEENS0_14default_configENS1_37merge_sort_block_sort_config_selectorIiiEENS1_38merge_sort_block_merge_config_selectorIiiEEEEvv
; %bb.0:
	s_endpgm
	.section	.rodata,"a",@progbits
	.p2align	6, 0x0
	.amdhsa_kernel _ZN7rocprim17ROCPRIM_400000_NS6detail44device_merge_sort_compile_time_verifier_archINS1_11comp_targetILNS1_3genE2ELNS1_11target_archE906ELNS1_3gpuE6ELNS1_3repE0EEES8_NS1_28merge_sort_block_sort_configILj256ELj4ELNS0_20block_sort_algorithmE0EEENS0_14default_configENS1_37merge_sort_block_sort_config_selectorIiiEENS1_38merge_sort_block_merge_config_selectorIiiEEEEvv
		.amdhsa_group_segment_fixed_size 0
		.amdhsa_private_segment_fixed_size 0
		.amdhsa_kernarg_size 0
		.amdhsa_user_sgpr_count 0
		.amdhsa_user_sgpr_dispatch_ptr 0
		.amdhsa_user_sgpr_queue_ptr 0
		.amdhsa_user_sgpr_kernarg_segment_ptr 0
		.amdhsa_user_sgpr_dispatch_id 0
		.amdhsa_user_sgpr_kernarg_preload_length 0
		.amdhsa_user_sgpr_kernarg_preload_offset 0
		.amdhsa_user_sgpr_private_segment_size 0
		.amdhsa_uses_dynamic_stack 0
		.amdhsa_enable_private_segment 0
		.amdhsa_system_sgpr_workgroup_id_x 1
		.amdhsa_system_sgpr_workgroup_id_y 0
		.amdhsa_system_sgpr_workgroup_id_z 0
		.amdhsa_system_sgpr_workgroup_info 0
		.amdhsa_system_vgpr_workitem_id 0
		.amdhsa_next_free_vgpr 1
		.amdhsa_next_free_sgpr 0
		.amdhsa_accum_offset 4
		.amdhsa_reserve_vcc 0
		.amdhsa_float_round_mode_32 0
		.amdhsa_float_round_mode_16_64 0
		.amdhsa_float_denorm_mode_32 3
		.amdhsa_float_denorm_mode_16_64 3
		.amdhsa_dx10_clamp 1
		.amdhsa_ieee_mode 1
		.amdhsa_fp16_overflow 0
		.amdhsa_tg_split 0
		.amdhsa_exception_fp_ieee_invalid_op 0
		.amdhsa_exception_fp_denorm_src 0
		.amdhsa_exception_fp_ieee_div_zero 0
		.amdhsa_exception_fp_ieee_overflow 0
		.amdhsa_exception_fp_ieee_underflow 0
		.amdhsa_exception_fp_ieee_inexact 0
		.amdhsa_exception_int_div_zero 0
	.end_amdhsa_kernel
	.section	.text._ZN7rocprim17ROCPRIM_400000_NS6detail44device_merge_sort_compile_time_verifier_archINS1_11comp_targetILNS1_3genE2ELNS1_11target_archE906ELNS1_3gpuE6ELNS1_3repE0EEES8_NS1_28merge_sort_block_sort_configILj256ELj4ELNS0_20block_sort_algorithmE0EEENS0_14default_configENS1_37merge_sort_block_sort_config_selectorIiiEENS1_38merge_sort_block_merge_config_selectorIiiEEEEvv,"axG",@progbits,_ZN7rocprim17ROCPRIM_400000_NS6detail44device_merge_sort_compile_time_verifier_archINS1_11comp_targetILNS1_3genE2ELNS1_11target_archE906ELNS1_3gpuE6ELNS1_3repE0EEES8_NS1_28merge_sort_block_sort_configILj256ELj4ELNS0_20block_sort_algorithmE0EEENS0_14default_configENS1_37merge_sort_block_sort_config_selectorIiiEENS1_38merge_sort_block_merge_config_selectorIiiEEEEvv,comdat
.Lfunc_end1282:
	.size	_ZN7rocprim17ROCPRIM_400000_NS6detail44device_merge_sort_compile_time_verifier_archINS1_11comp_targetILNS1_3genE2ELNS1_11target_archE906ELNS1_3gpuE6ELNS1_3repE0EEES8_NS1_28merge_sort_block_sort_configILj256ELj4ELNS0_20block_sort_algorithmE0EEENS0_14default_configENS1_37merge_sort_block_sort_config_selectorIiiEENS1_38merge_sort_block_merge_config_selectorIiiEEEEvv, .Lfunc_end1282-_ZN7rocprim17ROCPRIM_400000_NS6detail44device_merge_sort_compile_time_verifier_archINS1_11comp_targetILNS1_3genE2ELNS1_11target_archE906ELNS1_3gpuE6ELNS1_3repE0EEES8_NS1_28merge_sort_block_sort_configILj256ELj4ELNS0_20block_sort_algorithmE0EEENS0_14default_configENS1_37merge_sort_block_sort_config_selectorIiiEENS1_38merge_sort_block_merge_config_selectorIiiEEEEvv
                                        ; -- End function
	.set _ZN7rocprim17ROCPRIM_400000_NS6detail44device_merge_sort_compile_time_verifier_archINS1_11comp_targetILNS1_3genE2ELNS1_11target_archE906ELNS1_3gpuE6ELNS1_3repE0EEES8_NS1_28merge_sort_block_sort_configILj256ELj4ELNS0_20block_sort_algorithmE0EEENS0_14default_configENS1_37merge_sort_block_sort_config_selectorIiiEENS1_38merge_sort_block_merge_config_selectorIiiEEEEvv.num_vgpr, 0
	.set _ZN7rocprim17ROCPRIM_400000_NS6detail44device_merge_sort_compile_time_verifier_archINS1_11comp_targetILNS1_3genE2ELNS1_11target_archE906ELNS1_3gpuE6ELNS1_3repE0EEES8_NS1_28merge_sort_block_sort_configILj256ELj4ELNS0_20block_sort_algorithmE0EEENS0_14default_configENS1_37merge_sort_block_sort_config_selectorIiiEENS1_38merge_sort_block_merge_config_selectorIiiEEEEvv.num_agpr, 0
	.set _ZN7rocprim17ROCPRIM_400000_NS6detail44device_merge_sort_compile_time_verifier_archINS1_11comp_targetILNS1_3genE2ELNS1_11target_archE906ELNS1_3gpuE6ELNS1_3repE0EEES8_NS1_28merge_sort_block_sort_configILj256ELj4ELNS0_20block_sort_algorithmE0EEENS0_14default_configENS1_37merge_sort_block_sort_config_selectorIiiEENS1_38merge_sort_block_merge_config_selectorIiiEEEEvv.numbered_sgpr, 0
	.set _ZN7rocprim17ROCPRIM_400000_NS6detail44device_merge_sort_compile_time_verifier_archINS1_11comp_targetILNS1_3genE2ELNS1_11target_archE906ELNS1_3gpuE6ELNS1_3repE0EEES8_NS1_28merge_sort_block_sort_configILj256ELj4ELNS0_20block_sort_algorithmE0EEENS0_14default_configENS1_37merge_sort_block_sort_config_selectorIiiEENS1_38merge_sort_block_merge_config_selectorIiiEEEEvv.num_named_barrier, 0
	.set _ZN7rocprim17ROCPRIM_400000_NS6detail44device_merge_sort_compile_time_verifier_archINS1_11comp_targetILNS1_3genE2ELNS1_11target_archE906ELNS1_3gpuE6ELNS1_3repE0EEES8_NS1_28merge_sort_block_sort_configILj256ELj4ELNS0_20block_sort_algorithmE0EEENS0_14default_configENS1_37merge_sort_block_sort_config_selectorIiiEENS1_38merge_sort_block_merge_config_selectorIiiEEEEvv.private_seg_size, 0
	.set _ZN7rocprim17ROCPRIM_400000_NS6detail44device_merge_sort_compile_time_verifier_archINS1_11comp_targetILNS1_3genE2ELNS1_11target_archE906ELNS1_3gpuE6ELNS1_3repE0EEES8_NS1_28merge_sort_block_sort_configILj256ELj4ELNS0_20block_sort_algorithmE0EEENS0_14default_configENS1_37merge_sort_block_sort_config_selectorIiiEENS1_38merge_sort_block_merge_config_selectorIiiEEEEvv.uses_vcc, 0
	.set _ZN7rocprim17ROCPRIM_400000_NS6detail44device_merge_sort_compile_time_verifier_archINS1_11comp_targetILNS1_3genE2ELNS1_11target_archE906ELNS1_3gpuE6ELNS1_3repE0EEES8_NS1_28merge_sort_block_sort_configILj256ELj4ELNS0_20block_sort_algorithmE0EEENS0_14default_configENS1_37merge_sort_block_sort_config_selectorIiiEENS1_38merge_sort_block_merge_config_selectorIiiEEEEvv.uses_flat_scratch, 0
	.set _ZN7rocprim17ROCPRIM_400000_NS6detail44device_merge_sort_compile_time_verifier_archINS1_11comp_targetILNS1_3genE2ELNS1_11target_archE906ELNS1_3gpuE6ELNS1_3repE0EEES8_NS1_28merge_sort_block_sort_configILj256ELj4ELNS0_20block_sort_algorithmE0EEENS0_14default_configENS1_37merge_sort_block_sort_config_selectorIiiEENS1_38merge_sort_block_merge_config_selectorIiiEEEEvv.has_dyn_sized_stack, 0
	.set _ZN7rocprim17ROCPRIM_400000_NS6detail44device_merge_sort_compile_time_verifier_archINS1_11comp_targetILNS1_3genE2ELNS1_11target_archE906ELNS1_3gpuE6ELNS1_3repE0EEES8_NS1_28merge_sort_block_sort_configILj256ELj4ELNS0_20block_sort_algorithmE0EEENS0_14default_configENS1_37merge_sort_block_sort_config_selectorIiiEENS1_38merge_sort_block_merge_config_selectorIiiEEEEvv.has_recursion, 0
	.set _ZN7rocprim17ROCPRIM_400000_NS6detail44device_merge_sort_compile_time_verifier_archINS1_11comp_targetILNS1_3genE2ELNS1_11target_archE906ELNS1_3gpuE6ELNS1_3repE0EEES8_NS1_28merge_sort_block_sort_configILj256ELj4ELNS0_20block_sort_algorithmE0EEENS0_14default_configENS1_37merge_sort_block_sort_config_selectorIiiEENS1_38merge_sort_block_merge_config_selectorIiiEEEEvv.has_indirect_call, 0
	.section	.AMDGPU.csdata,"",@progbits
; Kernel info:
; codeLenInByte = 4
; TotalNumSgprs: 6
; NumVgprs: 0
; NumAgprs: 0
; TotalNumVgprs: 0
; ScratchSize: 0
; MemoryBound: 0
; FloatMode: 240
; IeeeMode: 1
; LDSByteSize: 0 bytes/workgroup (compile time only)
; SGPRBlocks: 0
; VGPRBlocks: 0
; NumSGPRsForWavesPerEU: 6
; NumVGPRsForWavesPerEU: 1
; AccumOffset: 4
; Occupancy: 8
; WaveLimiterHint : 0
; COMPUTE_PGM_RSRC2:SCRATCH_EN: 0
; COMPUTE_PGM_RSRC2:USER_SGPR: 0
; COMPUTE_PGM_RSRC2:TRAP_HANDLER: 0
; COMPUTE_PGM_RSRC2:TGID_X_EN: 1
; COMPUTE_PGM_RSRC2:TGID_Y_EN: 0
; COMPUTE_PGM_RSRC2:TGID_Z_EN: 0
; COMPUTE_PGM_RSRC2:TIDIG_COMP_CNT: 0
; COMPUTE_PGM_RSRC3_GFX90A:ACCUM_OFFSET: 0
; COMPUTE_PGM_RSRC3_GFX90A:TG_SPLIT: 0
	.section	.text._ZN7rocprim17ROCPRIM_400000_NS6detail44device_merge_sort_compile_time_verifier_archINS1_11comp_targetILNS1_3genE10ELNS1_11target_archE1201ELNS1_3gpuE5ELNS1_3repE0EEES8_NS1_28merge_sort_block_sort_configILj256ELj4ELNS0_20block_sort_algorithmE0EEENS0_14default_configENS1_37merge_sort_block_sort_config_selectorIiiEENS1_38merge_sort_block_merge_config_selectorIiiEEEEvv,"axG",@progbits,_ZN7rocprim17ROCPRIM_400000_NS6detail44device_merge_sort_compile_time_verifier_archINS1_11comp_targetILNS1_3genE10ELNS1_11target_archE1201ELNS1_3gpuE5ELNS1_3repE0EEES8_NS1_28merge_sort_block_sort_configILj256ELj4ELNS0_20block_sort_algorithmE0EEENS0_14default_configENS1_37merge_sort_block_sort_config_selectorIiiEENS1_38merge_sort_block_merge_config_selectorIiiEEEEvv,comdat
	.protected	_ZN7rocprim17ROCPRIM_400000_NS6detail44device_merge_sort_compile_time_verifier_archINS1_11comp_targetILNS1_3genE10ELNS1_11target_archE1201ELNS1_3gpuE5ELNS1_3repE0EEES8_NS1_28merge_sort_block_sort_configILj256ELj4ELNS0_20block_sort_algorithmE0EEENS0_14default_configENS1_37merge_sort_block_sort_config_selectorIiiEENS1_38merge_sort_block_merge_config_selectorIiiEEEEvv ; -- Begin function _ZN7rocprim17ROCPRIM_400000_NS6detail44device_merge_sort_compile_time_verifier_archINS1_11comp_targetILNS1_3genE10ELNS1_11target_archE1201ELNS1_3gpuE5ELNS1_3repE0EEES8_NS1_28merge_sort_block_sort_configILj256ELj4ELNS0_20block_sort_algorithmE0EEENS0_14default_configENS1_37merge_sort_block_sort_config_selectorIiiEENS1_38merge_sort_block_merge_config_selectorIiiEEEEvv
	.globl	_ZN7rocprim17ROCPRIM_400000_NS6detail44device_merge_sort_compile_time_verifier_archINS1_11comp_targetILNS1_3genE10ELNS1_11target_archE1201ELNS1_3gpuE5ELNS1_3repE0EEES8_NS1_28merge_sort_block_sort_configILj256ELj4ELNS0_20block_sort_algorithmE0EEENS0_14default_configENS1_37merge_sort_block_sort_config_selectorIiiEENS1_38merge_sort_block_merge_config_selectorIiiEEEEvv
	.p2align	8
	.type	_ZN7rocprim17ROCPRIM_400000_NS6detail44device_merge_sort_compile_time_verifier_archINS1_11comp_targetILNS1_3genE10ELNS1_11target_archE1201ELNS1_3gpuE5ELNS1_3repE0EEES8_NS1_28merge_sort_block_sort_configILj256ELj4ELNS0_20block_sort_algorithmE0EEENS0_14default_configENS1_37merge_sort_block_sort_config_selectorIiiEENS1_38merge_sort_block_merge_config_selectorIiiEEEEvv,@function
_ZN7rocprim17ROCPRIM_400000_NS6detail44device_merge_sort_compile_time_verifier_archINS1_11comp_targetILNS1_3genE10ELNS1_11target_archE1201ELNS1_3gpuE5ELNS1_3repE0EEES8_NS1_28merge_sort_block_sort_configILj256ELj4ELNS0_20block_sort_algorithmE0EEENS0_14default_configENS1_37merge_sort_block_sort_config_selectorIiiEENS1_38merge_sort_block_merge_config_selectorIiiEEEEvv: ; @_ZN7rocprim17ROCPRIM_400000_NS6detail44device_merge_sort_compile_time_verifier_archINS1_11comp_targetILNS1_3genE10ELNS1_11target_archE1201ELNS1_3gpuE5ELNS1_3repE0EEES8_NS1_28merge_sort_block_sort_configILj256ELj4ELNS0_20block_sort_algorithmE0EEENS0_14default_configENS1_37merge_sort_block_sort_config_selectorIiiEENS1_38merge_sort_block_merge_config_selectorIiiEEEEvv
; %bb.0:
	s_endpgm
	.section	.rodata,"a",@progbits
	.p2align	6, 0x0
	.amdhsa_kernel _ZN7rocprim17ROCPRIM_400000_NS6detail44device_merge_sort_compile_time_verifier_archINS1_11comp_targetILNS1_3genE10ELNS1_11target_archE1201ELNS1_3gpuE5ELNS1_3repE0EEES8_NS1_28merge_sort_block_sort_configILj256ELj4ELNS0_20block_sort_algorithmE0EEENS0_14default_configENS1_37merge_sort_block_sort_config_selectorIiiEENS1_38merge_sort_block_merge_config_selectorIiiEEEEvv
		.amdhsa_group_segment_fixed_size 0
		.amdhsa_private_segment_fixed_size 0
		.amdhsa_kernarg_size 0
		.amdhsa_user_sgpr_count 0
		.amdhsa_user_sgpr_dispatch_ptr 0
		.amdhsa_user_sgpr_queue_ptr 0
		.amdhsa_user_sgpr_kernarg_segment_ptr 0
		.amdhsa_user_sgpr_dispatch_id 0
		.amdhsa_user_sgpr_kernarg_preload_length 0
		.amdhsa_user_sgpr_kernarg_preload_offset 0
		.amdhsa_user_sgpr_private_segment_size 0
		.amdhsa_uses_dynamic_stack 0
		.amdhsa_enable_private_segment 0
		.amdhsa_system_sgpr_workgroup_id_x 1
		.amdhsa_system_sgpr_workgroup_id_y 0
		.amdhsa_system_sgpr_workgroup_id_z 0
		.amdhsa_system_sgpr_workgroup_info 0
		.amdhsa_system_vgpr_workitem_id 0
		.amdhsa_next_free_vgpr 1
		.amdhsa_next_free_sgpr 0
		.amdhsa_accum_offset 4
		.amdhsa_reserve_vcc 0
		.amdhsa_float_round_mode_32 0
		.amdhsa_float_round_mode_16_64 0
		.amdhsa_float_denorm_mode_32 3
		.amdhsa_float_denorm_mode_16_64 3
		.amdhsa_dx10_clamp 1
		.amdhsa_ieee_mode 1
		.amdhsa_fp16_overflow 0
		.amdhsa_tg_split 0
		.amdhsa_exception_fp_ieee_invalid_op 0
		.amdhsa_exception_fp_denorm_src 0
		.amdhsa_exception_fp_ieee_div_zero 0
		.amdhsa_exception_fp_ieee_overflow 0
		.amdhsa_exception_fp_ieee_underflow 0
		.amdhsa_exception_fp_ieee_inexact 0
		.amdhsa_exception_int_div_zero 0
	.end_amdhsa_kernel
	.section	.text._ZN7rocprim17ROCPRIM_400000_NS6detail44device_merge_sort_compile_time_verifier_archINS1_11comp_targetILNS1_3genE10ELNS1_11target_archE1201ELNS1_3gpuE5ELNS1_3repE0EEES8_NS1_28merge_sort_block_sort_configILj256ELj4ELNS0_20block_sort_algorithmE0EEENS0_14default_configENS1_37merge_sort_block_sort_config_selectorIiiEENS1_38merge_sort_block_merge_config_selectorIiiEEEEvv,"axG",@progbits,_ZN7rocprim17ROCPRIM_400000_NS6detail44device_merge_sort_compile_time_verifier_archINS1_11comp_targetILNS1_3genE10ELNS1_11target_archE1201ELNS1_3gpuE5ELNS1_3repE0EEES8_NS1_28merge_sort_block_sort_configILj256ELj4ELNS0_20block_sort_algorithmE0EEENS0_14default_configENS1_37merge_sort_block_sort_config_selectorIiiEENS1_38merge_sort_block_merge_config_selectorIiiEEEEvv,comdat
.Lfunc_end1283:
	.size	_ZN7rocprim17ROCPRIM_400000_NS6detail44device_merge_sort_compile_time_verifier_archINS1_11comp_targetILNS1_3genE10ELNS1_11target_archE1201ELNS1_3gpuE5ELNS1_3repE0EEES8_NS1_28merge_sort_block_sort_configILj256ELj4ELNS0_20block_sort_algorithmE0EEENS0_14default_configENS1_37merge_sort_block_sort_config_selectorIiiEENS1_38merge_sort_block_merge_config_selectorIiiEEEEvv, .Lfunc_end1283-_ZN7rocprim17ROCPRIM_400000_NS6detail44device_merge_sort_compile_time_verifier_archINS1_11comp_targetILNS1_3genE10ELNS1_11target_archE1201ELNS1_3gpuE5ELNS1_3repE0EEES8_NS1_28merge_sort_block_sort_configILj256ELj4ELNS0_20block_sort_algorithmE0EEENS0_14default_configENS1_37merge_sort_block_sort_config_selectorIiiEENS1_38merge_sort_block_merge_config_selectorIiiEEEEvv
                                        ; -- End function
	.set _ZN7rocprim17ROCPRIM_400000_NS6detail44device_merge_sort_compile_time_verifier_archINS1_11comp_targetILNS1_3genE10ELNS1_11target_archE1201ELNS1_3gpuE5ELNS1_3repE0EEES8_NS1_28merge_sort_block_sort_configILj256ELj4ELNS0_20block_sort_algorithmE0EEENS0_14default_configENS1_37merge_sort_block_sort_config_selectorIiiEENS1_38merge_sort_block_merge_config_selectorIiiEEEEvv.num_vgpr, 0
	.set _ZN7rocprim17ROCPRIM_400000_NS6detail44device_merge_sort_compile_time_verifier_archINS1_11comp_targetILNS1_3genE10ELNS1_11target_archE1201ELNS1_3gpuE5ELNS1_3repE0EEES8_NS1_28merge_sort_block_sort_configILj256ELj4ELNS0_20block_sort_algorithmE0EEENS0_14default_configENS1_37merge_sort_block_sort_config_selectorIiiEENS1_38merge_sort_block_merge_config_selectorIiiEEEEvv.num_agpr, 0
	.set _ZN7rocprim17ROCPRIM_400000_NS6detail44device_merge_sort_compile_time_verifier_archINS1_11comp_targetILNS1_3genE10ELNS1_11target_archE1201ELNS1_3gpuE5ELNS1_3repE0EEES8_NS1_28merge_sort_block_sort_configILj256ELj4ELNS0_20block_sort_algorithmE0EEENS0_14default_configENS1_37merge_sort_block_sort_config_selectorIiiEENS1_38merge_sort_block_merge_config_selectorIiiEEEEvv.numbered_sgpr, 0
	.set _ZN7rocprim17ROCPRIM_400000_NS6detail44device_merge_sort_compile_time_verifier_archINS1_11comp_targetILNS1_3genE10ELNS1_11target_archE1201ELNS1_3gpuE5ELNS1_3repE0EEES8_NS1_28merge_sort_block_sort_configILj256ELj4ELNS0_20block_sort_algorithmE0EEENS0_14default_configENS1_37merge_sort_block_sort_config_selectorIiiEENS1_38merge_sort_block_merge_config_selectorIiiEEEEvv.num_named_barrier, 0
	.set _ZN7rocprim17ROCPRIM_400000_NS6detail44device_merge_sort_compile_time_verifier_archINS1_11comp_targetILNS1_3genE10ELNS1_11target_archE1201ELNS1_3gpuE5ELNS1_3repE0EEES8_NS1_28merge_sort_block_sort_configILj256ELj4ELNS0_20block_sort_algorithmE0EEENS0_14default_configENS1_37merge_sort_block_sort_config_selectorIiiEENS1_38merge_sort_block_merge_config_selectorIiiEEEEvv.private_seg_size, 0
	.set _ZN7rocprim17ROCPRIM_400000_NS6detail44device_merge_sort_compile_time_verifier_archINS1_11comp_targetILNS1_3genE10ELNS1_11target_archE1201ELNS1_3gpuE5ELNS1_3repE0EEES8_NS1_28merge_sort_block_sort_configILj256ELj4ELNS0_20block_sort_algorithmE0EEENS0_14default_configENS1_37merge_sort_block_sort_config_selectorIiiEENS1_38merge_sort_block_merge_config_selectorIiiEEEEvv.uses_vcc, 0
	.set _ZN7rocprim17ROCPRIM_400000_NS6detail44device_merge_sort_compile_time_verifier_archINS1_11comp_targetILNS1_3genE10ELNS1_11target_archE1201ELNS1_3gpuE5ELNS1_3repE0EEES8_NS1_28merge_sort_block_sort_configILj256ELj4ELNS0_20block_sort_algorithmE0EEENS0_14default_configENS1_37merge_sort_block_sort_config_selectorIiiEENS1_38merge_sort_block_merge_config_selectorIiiEEEEvv.uses_flat_scratch, 0
	.set _ZN7rocprim17ROCPRIM_400000_NS6detail44device_merge_sort_compile_time_verifier_archINS1_11comp_targetILNS1_3genE10ELNS1_11target_archE1201ELNS1_3gpuE5ELNS1_3repE0EEES8_NS1_28merge_sort_block_sort_configILj256ELj4ELNS0_20block_sort_algorithmE0EEENS0_14default_configENS1_37merge_sort_block_sort_config_selectorIiiEENS1_38merge_sort_block_merge_config_selectorIiiEEEEvv.has_dyn_sized_stack, 0
	.set _ZN7rocprim17ROCPRIM_400000_NS6detail44device_merge_sort_compile_time_verifier_archINS1_11comp_targetILNS1_3genE10ELNS1_11target_archE1201ELNS1_3gpuE5ELNS1_3repE0EEES8_NS1_28merge_sort_block_sort_configILj256ELj4ELNS0_20block_sort_algorithmE0EEENS0_14default_configENS1_37merge_sort_block_sort_config_selectorIiiEENS1_38merge_sort_block_merge_config_selectorIiiEEEEvv.has_recursion, 0
	.set _ZN7rocprim17ROCPRIM_400000_NS6detail44device_merge_sort_compile_time_verifier_archINS1_11comp_targetILNS1_3genE10ELNS1_11target_archE1201ELNS1_3gpuE5ELNS1_3repE0EEES8_NS1_28merge_sort_block_sort_configILj256ELj4ELNS0_20block_sort_algorithmE0EEENS0_14default_configENS1_37merge_sort_block_sort_config_selectorIiiEENS1_38merge_sort_block_merge_config_selectorIiiEEEEvv.has_indirect_call, 0
	.section	.AMDGPU.csdata,"",@progbits
; Kernel info:
; codeLenInByte = 4
; TotalNumSgprs: 6
; NumVgprs: 0
; NumAgprs: 0
; TotalNumVgprs: 0
; ScratchSize: 0
; MemoryBound: 0
; FloatMode: 240
; IeeeMode: 1
; LDSByteSize: 0 bytes/workgroup (compile time only)
; SGPRBlocks: 0
; VGPRBlocks: 0
; NumSGPRsForWavesPerEU: 6
; NumVGPRsForWavesPerEU: 1
; AccumOffset: 4
; Occupancy: 8
; WaveLimiterHint : 0
; COMPUTE_PGM_RSRC2:SCRATCH_EN: 0
; COMPUTE_PGM_RSRC2:USER_SGPR: 0
; COMPUTE_PGM_RSRC2:TRAP_HANDLER: 0
; COMPUTE_PGM_RSRC2:TGID_X_EN: 1
; COMPUTE_PGM_RSRC2:TGID_Y_EN: 0
; COMPUTE_PGM_RSRC2:TGID_Z_EN: 0
; COMPUTE_PGM_RSRC2:TIDIG_COMP_CNT: 0
; COMPUTE_PGM_RSRC3_GFX90A:ACCUM_OFFSET: 0
; COMPUTE_PGM_RSRC3_GFX90A:TG_SPLIT: 0
	.section	.text._ZN7rocprim17ROCPRIM_400000_NS6detail44device_merge_sort_compile_time_verifier_archINS1_11comp_targetILNS1_3genE10ELNS1_11target_archE1200ELNS1_3gpuE4ELNS1_3repE0EEENS3_ILS4_10ELS5_1201ELS6_5ELS7_0EEENS1_28merge_sort_block_sort_configILj256ELj4ELNS0_20block_sort_algorithmE0EEENS0_14default_configENS1_37merge_sort_block_sort_config_selectorIiiEENS1_38merge_sort_block_merge_config_selectorIiiEEEEvv,"axG",@progbits,_ZN7rocprim17ROCPRIM_400000_NS6detail44device_merge_sort_compile_time_verifier_archINS1_11comp_targetILNS1_3genE10ELNS1_11target_archE1200ELNS1_3gpuE4ELNS1_3repE0EEENS3_ILS4_10ELS5_1201ELS6_5ELS7_0EEENS1_28merge_sort_block_sort_configILj256ELj4ELNS0_20block_sort_algorithmE0EEENS0_14default_configENS1_37merge_sort_block_sort_config_selectorIiiEENS1_38merge_sort_block_merge_config_selectorIiiEEEEvv,comdat
	.protected	_ZN7rocprim17ROCPRIM_400000_NS6detail44device_merge_sort_compile_time_verifier_archINS1_11comp_targetILNS1_3genE10ELNS1_11target_archE1200ELNS1_3gpuE4ELNS1_3repE0EEENS3_ILS4_10ELS5_1201ELS6_5ELS7_0EEENS1_28merge_sort_block_sort_configILj256ELj4ELNS0_20block_sort_algorithmE0EEENS0_14default_configENS1_37merge_sort_block_sort_config_selectorIiiEENS1_38merge_sort_block_merge_config_selectorIiiEEEEvv ; -- Begin function _ZN7rocprim17ROCPRIM_400000_NS6detail44device_merge_sort_compile_time_verifier_archINS1_11comp_targetILNS1_3genE10ELNS1_11target_archE1200ELNS1_3gpuE4ELNS1_3repE0EEENS3_ILS4_10ELS5_1201ELS6_5ELS7_0EEENS1_28merge_sort_block_sort_configILj256ELj4ELNS0_20block_sort_algorithmE0EEENS0_14default_configENS1_37merge_sort_block_sort_config_selectorIiiEENS1_38merge_sort_block_merge_config_selectorIiiEEEEvv
	.globl	_ZN7rocprim17ROCPRIM_400000_NS6detail44device_merge_sort_compile_time_verifier_archINS1_11comp_targetILNS1_3genE10ELNS1_11target_archE1200ELNS1_3gpuE4ELNS1_3repE0EEENS3_ILS4_10ELS5_1201ELS6_5ELS7_0EEENS1_28merge_sort_block_sort_configILj256ELj4ELNS0_20block_sort_algorithmE0EEENS0_14default_configENS1_37merge_sort_block_sort_config_selectorIiiEENS1_38merge_sort_block_merge_config_selectorIiiEEEEvv
	.p2align	8
	.type	_ZN7rocprim17ROCPRIM_400000_NS6detail44device_merge_sort_compile_time_verifier_archINS1_11comp_targetILNS1_3genE10ELNS1_11target_archE1200ELNS1_3gpuE4ELNS1_3repE0EEENS3_ILS4_10ELS5_1201ELS6_5ELS7_0EEENS1_28merge_sort_block_sort_configILj256ELj4ELNS0_20block_sort_algorithmE0EEENS0_14default_configENS1_37merge_sort_block_sort_config_selectorIiiEENS1_38merge_sort_block_merge_config_selectorIiiEEEEvv,@function
_ZN7rocprim17ROCPRIM_400000_NS6detail44device_merge_sort_compile_time_verifier_archINS1_11comp_targetILNS1_3genE10ELNS1_11target_archE1200ELNS1_3gpuE4ELNS1_3repE0EEENS3_ILS4_10ELS5_1201ELS6_5ELS7_0EEENS1_28merge_sort_block_sort_configILj256ELj4ELNS0_20block_sort_algorithmE0EEENS0_14default_configENS1_37merge_sort_block_sort_config_selectorIiiEENS1_38merge_sort_block_merge_config_selectorIiiEEEEvv: ; @_ZN7rocprim17ROCPRIM_400000_NS6detail44device_merge_sort_compile_time_verifier_archINS1_11comp_targetILNS1_3genE10ELNS1_11target_archE1200ELNS1_3gpuE4ELNS1_3repE0EEENS3_ILS4_10ELS5_1201ELS6_5ELS7_0EEENS1_28merge_sort_block_sort_configILj256ELj4ELNS0_20block_sort_algorithmE0EEENS0_14default_configENS1_37merge_sort_block_sort_config_selectorIiiEENS1_38merge_sort_block_merge_config_selectorIiiEEEEvv
; %bb.0:
	s_endpgm
	.section	.rodata,"a",@progbits
	.p2align	6, 0x0
	.amdhsa_kernel _ZN7rocprim17ROCPRIM_400000_NS6detail44device_merge_sort_compile_time_verifier_archINS1_11comp_targetILNS1_3genE10ELNS1_11target_archE1200ELNS1_3gpuE4ELNS1_3repE0EEENS3_ILS4_10ELS5_1201ELS6_5ELS7_0EEENS1_28merge_sort_block_sort_configILj256ELj4ELNS0_20block_sort_algorithmE0EEENS0_14default_configENS1_37merge_sort_block_sort_config_selectorIiiEENS1_38merge_sort_block_merge_config_selectorIiiEEEEvv
		.amdhsa_group_segment_fixed_size 0
		.amdhsa_private_segment_fixed_size 0
		.amdhsa_kernarg_size 0
		.amdhsa_user_sgpr_count 0
		.amdhsa_user_sgpr_dispatch_ptr 0
		.amdhsa_user_sgpr_queue_ptr 0
		.amdhsa_user_sgpr_kernarg_segment_ptr 0
		.amdhsa_user_sgpr_dispatch_id 0
		.amdhsa_user_sgpr_kernarg_preload_length 0
		.amdhsa_user_sgpr_kernarg_preload_offset 0
		.amdhsa_user_sgpr_private_segment_size 0
		.amdhsa_uses_dynamic_stack 0
		.amdhsa_enable_private_segment 0
		.amdhsa_system_sgpr_workgroup_id_x 1
		.amdhsa_system_sgpr_workgroup_id_y 0
		.amdhsa_system_sgpr_workgroup_id_z 0
		.amdhsa_system_sgpr_workgroup_info 0
		.amdhsa_system_vgpr_workitem_id 0
		.amdhsa_next_free_vgpr 1
		.amdhsa_next_free_sgpr 0
		.amdhsa_accum_offset 4
		.amdhsa_reserve_vcc 0
		.amdhsa_float_round_mode_32 0
		.amdhsa_float_round_mode_16_64 0
		.amdhsa_float_denorm_mode_32 3
		.amdhsa_float_denorm_mode_16_64 3
		.amdhsa_dx10_clamp 1
		.amdhsa_ieee_mode 1
		.amdhsa_fp16_overflow 0
		.amdhsa_tg_split 0
		.amdhsa_exception_fp_ieee_invalid_op 0
		.amdhsa_exception_fp_denorm_src 0
		.amdhsa_exception_fp_ieee_div_zero 0
		.amdhsa_exception_fp_ieee_overflow 0
		.amdhsa_exception_fp_ieee_underflow 0
		.amdhsa_exception_fp_ieee_inexact 0
		.amdhsa_exception_int_div_zero 0
	.end_amdhsa_kernel
	.section	.text._ZN7rocprim17ROCPRIM_400000_NS6detail44device_merge_sort_compile_time_verifier_archINS1_11comp_targetILNS1_3genE10ELNS1_11target_archE1200ELNS1_3gpuE4ELNS1_3repE0EEENS3_ILS4_10ELS5_1201ELS6_5ELS7_0EEENS1_28merge_sort_block_sort_configILj256ELj4ELNS0_20block_sort_algorithmE0EEENS0_14default_configENS1_37merge_sort_block_sort_config_selectorIiiEENS1_38merge_sort_block_merge_config_selectorIiiEEEEvv,"axG",@progbits,_ZN7rocprim17ROCPRIM_400000_NS6detail44device_merge_sort_compile_time_verifier_archINS1_11comp_targetILNS1_3genE10ELNS1_11target_archE1200ELNS1_3gpuE4ELNS1_3repE0EEENS3_ILS4_10ELS5_1201ELS6_5ELS7_0EEENS1_28merge_sort_block_sort_configILj256ELj4ELNS0_20block_sort_algorithmE0EEENS0_14default_configENS1_37merge_sort_block_sort_config_selectorIiiEENS1_38merge_sort_block_merge_config_selectorIiiEEEEvv,comdat
.Lfunc_end1284:
	.size	_ZN7rocprim17ROCPRIM_400000_NS6detail44device_merge_sort_compile_time_verifier_archINS1_11comp_targetILNS1_3genE10ELNS1_11target_archE1200ELNS1_3gpuE4ELNS1_3repE0EEENS3_ILS4_10ELS5_1201ELS6_5ELS7_0EEENS1_28merge_sort_block_sort_configILj256ELj4ELNS0_20block_sort_algorithmE0EEENS0_14default_configENS1_37merge_sort_block_sort_config_selectorIiiEENS1_38merge_sort_block_merge_config_selectorIiiEEEEvv, .Lfunc_end1284-_ZN7rocprim17ROCPRIM_400000_NS6detail44device_merge_sort_compile_time_verifier_archINS1_11comp_targetILNS1_3genE10ELNS1_11target_archE1200ELNS1_3gpuE4ELNS1_3repE0EEENS3_ILS4_10ELS5_1201ELS6_5ELS7_0EEENS1_28merge_sort_block_sort_configILj256ELj4ELNS0_20block_sort_algorithmE0EEENS0_14default_configENS1_37merge_sort_block_sort_config_selectorIiiEENS1_38merge_sort_block_merge_config_selectorIiiEEEEvv
                                        ; -- End function
	.set _ZN7rocprim17ROCPRIM_400000_NS6detail44device_merge_sort_compile_time_verifier_archINS1_11comp_targetILNS1_3genE10ELNS1_11target_archE1200ELNS1_3gpuE4ELNS1_3repE0EEENS3_ILS4_10ELS5_1201ELS6_5ELS7_0EEENS1_28merge_sort_block_sort_configILj256ELj4ELNS0_20block_sort_algorithmE0EEENS0_14default_configENS1_37merge_sort_block_sort_config_selectorIiiEENS1_38merge_sort_block_merge_config_selectorIiiEEEEvv.num_vgpr, 0
	.set _ZN7rocprim17ROCPRIM_400000_NS6detail44device_merge_sort_compile_time_verifier_archINS1_11comp_targetILNS1_3genE10ELNS1_11target_archE1200ELNS1_3gpuE4ELNS1_3repE0EEENS3_ILS4_10ELS5_1201ELS6_5ELS7_0EEENS1_28merge_sort_block_sort_configILj256ELj4ELNS0_20block_sort_algorithmE0EEENS0_14default_configENS1_37merge_sort_block_sort_config_selectorIiiEENS1_38merge_sort_block_merge_config_selectorIiiEEEEvv.num_agpr, 0
	.set _ZN7rocprim17ROCPRIM_400000_NS6detail44device_merge_sort_compile_time_verifier_archINS1_11comp_targetILNS1_3genE10ELNS1_11target_archE1200ELNS1_3gpuE4ELNS1_3repE0EEENS3_ILS4_10ELS5_1201ELS6_5ELS7_0EEENS1_28merge_sort_block_sort_configILj256ELj4ELNS0_20block_sort_algorithmE0EEENS0_14default_configENS1_37merge_sort_block_sort_config_selectorIiiEENS1_38merge_sort_block_merge_config_selectorIiiEEEEvv.numbered_sgpr, 0
	.set _ZN7rocprim17ROCPRIM_400000_NS6detail44device_merge_sort_compile_time_verifier_archINS1_11comp_targetILNS1_3genE10ELNS1_11target_archE1200ELNS1_3gpuE4ELNS1_3repE0EEENS3_ILS4_10ELS5_1201ELS6_5ELS7_0EEENS1_28merge_sort_block_sort_configILj256ELj4ELNS0_20block_sort_algorithmE0EEENS0_14default_configENS1_37merge_sort_block_sort_config_selectorIiiEENS1_38merge_sort_block_merge_config_selectorIiiEEEEvv.num_named_barrier, 0
	.set _ZN7rocprim17ROCPRIM_400000_NS6detail44device_merge_sort_compile_time_verifier_archINS1_11comp_targetILNS1_3genE10ELNS1_11target_archE1200ELNS1_3gpuE4ELNS1_3repE0EEENS3_ILS4_10ELS5_1201ELS6_5ELS7_0EEENS1_28merge_sort_block_sort_configILj256ELj4ELNS0_20block_sort_algorithmE0EEENS0_14default_configENS1_37merge_sort_block_sort_config_selectorIiiEENS1_38merge_sort_block_merge_config_selectorIiiEEEEvv.private_seg_size, 0
	.set _ZN7rocprim17ROCPRIM_400000_NS6detail44device_merge_sort_compile_time_verifier_archINS1_11comp_targetILNS1_3genE10ELNS1_11target_archE1200ELNS1_3gpuE4ELNS1_3repE0EEENS3_ILS4_10ELS5_1201ELS6_5ELS7_0EEENS1_28merge_sort_block_sort_configILj256ELj4ELNS0_20block_sort_algorithmE0EEENS0_14default_configENS1_37merge_sort_block_sort_config_selectorIiiEENS1_38merge_sort_block_merge_config_selectorIiiEEEEvv.uses_vcc, 0
	.set _ZN7rocprim17ROCPRIM_400000_NS6detail44device_merge_sort_compile_time_verifier_archINS1_11comp_targetILNS1_3genE10ELNS1_11target_archE1200ELNS1_3gpuE4ELNS1_3repE0EEENS3_ILS4_10ELS5_1201ELS6_5ELS7_0EEENS1_28merge_sort_block_sort_configILj256ELj4ELNS0_20block_sort_algorithmE0EEENS0_14default_configENS1_37merge_sort_block_sort_config_selectorIiiEENS1_38merge_sort_block_merge_config_selectorIiiEEEEvv.uses_flat_scratch, 0
	.set _ZN7rocprim17ROCPRIM_400000_NS6detail44device_merge_sort_compile_time_verifier_archINS1_11comp_targetILNS1_3genE10ELNS1_11target_archE1200ELNS1_3gpuE4ELNS1_3repE0EEENS3_ILS4_10ELS5_1201ELS6_5ELS7_0EEENS1_28merge_sort_block_sort_configILj256ELj4ELNS0_20block_sort_algorithmE0EEENS0_14default_configENS1_37merge_sort_block_sort_config_selectorIiiEENS1_38merge_sort_block_merge_config_selectorIiiEEEEvv.has_dyn_sized_stack, 0
	.set _ZN7rocprim17ROCPRIM_400000_NS6detail44device_merge_sort_compile_time_verifier_archINS1_11comp_targetILNS1_3genE10ELNS1_11target_archE1200ELNS1_3gpuE4ELNS1_3repE0EEENS3_ILS4_10ELS5_1201ELS6_5ELS7_0EEENS1_28merge_sort_block_sort_configILj256ELj4ELNS0_20block_sort_algorithmE0EEENS0_14default_configENS1_37merge_sort_block_sort_config_selectorIiiEENS1_38merge_sort_block_merge_config_selectorIiiEEEEvv.has_recursion, 0
	.set _ZN7rocprim17ROCPRIM_400000_NS6detail44device_merge_sort_compile_time_verifier_archINS1_11comp_targetILNS1_3genE10ELNS1_11target_archE1200ELNS1_3gpuE4ELNS1_3repE0EEENS3_ILS4_10ELS5_1201ELS6_5ELS7_0EEENS1_28merge_sort_block_sort_configILj256ELj4ELNS0_20block_sort_algorithmE0EEENS0_14default_configENS1_37merge_sort_block_sort_config_selectorIiiEENS1_38merge_sort_block_merge_config_selectorIiiEEEEvv.has_indirect_call, 0
	.section	.AMDGPU.csdata,"",@progbits
; Kernel info:
; codeLenInByte = 4
; TotalNumSgprs: 6
; NumVgprs: 0
; NumAgprs: 0
; TotalNumVgprs: 0
; ScratchSize: 0
; MemoryBound: 0
; FloatMode: 240
; IeeeMode: 1
; LDSByteSize: 0 bytes/workgroup (compile time only)
; SGPRBlocks: 0
; VGPRBlocks: 0
; NumSGPRsForWavesPerEU: 6
; NumVGPRsForWavesPerEU: 1
; AccumOffset: 4
; Occupancy: 8
; WaveLimiterHint : 0
; COMPUTE_PGM_RSRC2:SCRATCH_EN: 0
; COMPUTE_PGM_RSRC2:USER_SGPR: 0
; COMPUTE_PGM_RSRC2:TRAP_HANDLER: 0
; COMPUTE_PGM_RSRC2:TGID_X_EN: 1
; COMPUTE_PGM_RSRC2:TGID_Y_EN: 0
; COMPUTE_PGM_RSRC2:TGID_Z_EN: 0
; COMPUTE_PGM_RSRC2:TIDIG_COMP_CNT: 0
; COMPUTE_PGM_RSRC3_GFX90A:ACCUM_OFFSET: 0
; COMPUTE_PGM_RSRC3_GFX90A:TG_SPLIT: 0
	.section	.text._ZN7rocprim17ROCPRIM_400000_NS6detail44device_merge_sort_compile_time_verifier_archINS1_11comp_targetILNS1_3genE9ELNS1_11target_archE1100ELNS1_3gpuE3ELNS1_3repE0EEES8_NS1_28merge_sort_block_sort_configILj256ELj4ELNS0_20block_sort_algorithmE0EEENS0_14default_configENS1_37merge_sort_block_sort_config_selectorIiiEENS1_38merge_sort_block_merge_config_selectorIiiEEEEvv,"axG",@progbits,_ZN7rocprim17ROCPRIM_400000_NS6detail44device_merge_sort_compile_time_verifier_archINS1_11comp_targetILNS1_3genE9ELNS1_11target_archE1100ELNS1_3gpuE3ELNS1_3repE0EEES8_NS1_28merge_sort_block_sort_configILj256ELj4ELNS0_20block_sort_algorithmE0EEENS0_14default_configENS1_37merge_sort_block_sort_config_selectorIiiEENS1_38merge_sort_block_merge_config_selectorIiiEEEEvv,comdat
	.protected	_ZN7rocprim17ROCPRIM_400000_NS6detail44device_merge_sort_compile_time_verifier_archINS1_11comp_targetILNS1_3genE9ELNS1_11target_archE1100ELNS1_3gpuE3ELNS1_3repE0EEES8_NS1_28merge_sort_block_sort_configILj256ELj4ELNS0_20block_sort_algorithmE0EEENS0_14default_configENS1_37merge_sort_block_sort_config_selectorIiiEENS1_38merge_sort_block_merge_config_selectorIiiEEEEvv ; -- Begin function _ZN7rocprim17ROCPRIM_400000_NS6detail44device_merge_sort_compile_time_verifier_archINS1_11comp_targetILNS1_3genE9ELNS1_11target_archE1100ELNS1_3gpuE3ELNS1_3repE0EEES8_NS1_28merge_sort_block_sort_configILj256ELj4ELNS0_20block_sort_algorithmE0EEENS0_14default_configENS1_37merge_sort_block_sort_config_selectorIiiEENS1_38merge_sort_block_merge_config_selectorIiiEEEEvv
	.globl	_ZN7rocprim17ROCPRIM_400000_NS6detail44device_merge_sort_compile_time_verifier_archINS1_11comp_targetILNS1_3genE9ELNS1_11target_archE1100ELNS1_3gpuE3ELNS1_3repE0EEES8_NS1_28merge_sort_block_sort_configILj256ELj4ELNS0_20block_sort_algorithmE0EEENS0_14default_configENS1_37merge_sort_block_sort_config_selectorIiiEENS1_38merge_sort_block_merge_config_selectorIiiEEEEvv
	.p2align	8
	.type	_ZN7rocprim17ROCPRIM_400000_NS6detail44device_merge_sort_compile_time_verifier_archINS1_11comp_targetILNS1_3genE9ELNS1_11target_archE1100ELNS1_3gpuE3ELNS1_3repE0EEES8_NS1_28merge_sort_block_sort_configILj256ELj4ELNS0_20block_sort_algorithmE0EEENS0_14default_configENS1_37merge_sort_block_sort_config_selectorIiiEENS1_38merge_sort_block_merge_config_selectorIiiEEEEvv,@function
_ZN7rocprim17ROCPRIM_400000_NS6detail44device_merge_sort_compile_time_verifier_archINS1_11comp_targetILNS1_3genE9ELNS1_11target_archE1100ELNS1_3gpuE3ELNS1_3repE0EEES8_NS1_28merge_sort_block_sort_configILj256ELj4ELNS0_20block_sort_algorithmE0EEENS0_14default_configENS1_37merge_sort_block_sort_config_selectorIiiEENS1_38merge_sort_block_merge_config_selectorIiiEEEEvv: ; @_ZN7rocprim17ROCPRIM_400000_NS6detail44device_merge_sort_compile_time_verifier_archINS1_11comp_targetILNS1_3genE9ELNS1_11target_archE1100ELNS1_3gpuE3ELNS1_3repE0EEES8_NS1_28merge_sort_block_sort_configILj256ELj4ELNS0_20block_sort_algorithmE0EEENS0_14default_configENS1_37merge_sort_block_sort_config_selectorIiiEENS1_38merge_sort_block_merge_config_selectorIiiEEEEvv
; %bb.0:
	s_endpgm
	.section	.rodata,"a",@progbits
	.p2align	6, 0x0
	.amdhsa_kernel _ZN7rocprim17ROCPRIM_400000_NS6detail44device_merge_sort_compile_time_verifier_archINS1_11comp_targetILNS1_3genE9ELNS1_11target_archE1100ELNS1_3gpuE3ELNS1_3repE0EEES8_NS1_28merge_sort_block_sort_configILj256ELj4ELNS0_20block_sort_algorithmE0EEENS0_14default_configENS1_37merge_sort_block_sort_config_selectorIiiEENS1_38merge_sort_block_merge_config_selectorIiiEEEEvv
		.amdhsa_group_segment_fixed_size 0
		.amdhsa_private_segment_fixed_size 0
		.amdhsa_kernarg_size 0
		.amdhsa_user_sgpr_count 0
		.amdhsa_user_sgpr_dispatch_ptr 0
		.amdhsa_user_sgpr_queue_ptr 0
		.amdhsa_user_sgpr_kernarg_segment_ptr 0
		.amdhsa_user_sgpr_dispatch_id 0
		.amdhsa_user_sgpr_kernarg_preload_length 0
		.amdhsa_user_sgpr_kernarg_preload_offset 0
		.amdhsa_user_sgpr_private_segment_size 0
		.amdhsa_uses_dynamic_stack 0
		.amdhsa_enable_private_segment 0
		.amdhsa_system_sgpr_workgroup_id_x 1
		.amdhsa_system_sgpr_workgroup_id_y 0
		.amdhsa_system_sgpr_workgroup_id_z 0
		.amdhsa_system_sgpr_workgroup_info 0
		.amdhsa_system_vgpr_workitem_id 0
		.amdhsa_next_free_vgpr 1
		.amdhsa_next_free_sgpr 0
		.amdhsa_accum_offset 4
		.amdhsa_reserve_vcc 0
		.amdhsa_float_round_mode_32 0
		.amdhsa_float_round_mode_16_64 0
		.amdhsa_float_denorm_mode_32 3
		.amdhsa_float_denorm_mode_16_64 3
		.amdhsa_dx10_clamp 1
		.amdhsa_ieee_mode 1
		.amdhsa_fp16_overflow 0
		.amdhsa_tg_split 0
		.amdhsa_exception_fp_ieee_invalid_op 0
		.amdhsa_exception_fp_denorm_src 0
		.amdhsa_exception_fp_ieee_div_zero 0
		.amdhsa_exception_fp_ieee_overflow 0
		.amdhsa_exception_fp_ieee_underflow 0
		.amdhsa_exception_fp_ieee_inexact 0
		.amdhsa_exception_int_div_zero 0
	.end_amdhsa_kernel
	.section	.text._ZN7rocprim17ROCPRIM_400000_NS6detail44device_merge_sort_compile_time_verifier_archINS1_11comp_targetILNS1_3genE9ELNS1_11target_archE1100ELNS1_3gpuE3ELNS1_3repE0EEES8_NS1_28merge_sort_block_sort_configILj256ELj4ELNS0_20block_sort_algorithmE0EEENS0_14default_configENS1_37merge_sort_block_sort_config_selectorIiiEENS1_38merge_sort_block_merge_config_selectorIiiEEEEvv,"axG",@progbits,_ZN7rocprim17ROCPRIM_400000_NS6detail44device_merge_sort_compile_time_verifier_archINS1_11comp_targetILNS1_3genE9ELNS1_11target_archE1100ELNS1_3gpuE3ELNS1_3repE0EEES8_NS1_28merge_sort_block_sort_configILj256ELj4ELNS0_20block_sort_algorithmE0EEENS0_14default_configENS1_37merge_sort_block_sort_config_selectorIiiEENS1_38merge_sort_block_merge_config_selectorIiiEEEEvv,comdat
.Lfunc_end1285:
	.size	_ZN7rocprim17ROCPRIM_400000_NS6detail44device_merge_sort_compile_time_verifier_archINS1_11comp_targetILNS1_3genE9ELNS1_11target_archE1100ELNS1_3gpuE3ELNS1_3repE0EEES8_NS1_28merge_sort_block_sort_configILj256ELj4ELNS0_20block_sort_algorithmE0EEENS0_14default_configENS1_37merge_sort_block_sort_config_selectorIiiEENS1_38merge_sort_block_merge_config_selectorIiiEEEEvv, .Lfunc_end1285-_ZN7rocprim17ROCPRIM_400000_NS6detail44device_merge_sort_compile_time_verifier_archINS1_11comp_targetILNS1_3genE9ELNS1_11target_archE1100ELNS1_3gpuE3ELNS1_3repE0EEES8_NS1_28merge_sort_block_sort_configILj256ELj4ELNS0_20block_sort_algorithmE0EEENS0_14default_configENS1_37merge_sort_block_sort_config_selectorIiiEENS1_38merge_sort_block_merge_config_selectorIiiEEEEvv
                                        ; -- End function
	.set _ZN7rocprim17ROCPRIM_400000_NS6detail44device_merge_sort_compile_time_verifier_archINS1_11comp_targetILNS1_3genE9ELNS1_11target_archE1100ELNS1_3gpuE3ELNS1_3repE0EEES8_NS1_28merge_sort_block_sort_configILj256ELj4ELNS0_20block_sort_algorithmE0EEENS0_14default_configENS1_37merge_sort_block_sort_config_selectorIiiEENS1_38merge_sort_block_merge_config_selectorIiiEEEEvv.num_vgpr, 0
	.set _ZN7rocprim17ROCPRIM_400000_NS6detail44device_merge_sort_compile_time_verifier_archINS1_11comp_targetILNS1_3genE9ELNS1_11target_archE1100ELNS1_3gpuE3ELNS1_3repE0EEES8_NS1_28merge_sort_block_sort_configILj256ELj4ELNS0_20block_sort_algorithmE0EEENS0_14default_configENS1_37merge_sort_block_sort_config_selectorIiiEENS1_38merge_sort_block_merge_config_selectorIiiEEEEvv.num_agpr, 0
	.set _ZN7rocprim17ROCPRIM_400000_NS6detail44device_merge_sort_compile_time_verifier_archINS1_11comp_targetILNS1_3genE9ELNS1_11target_archE1100ELNS1_3gpuE3ELNS1_3repE0EEES8_NS1_28merge_sort_block_sort_configILj256ELj4ELNS0_20block_sort_algorithmE0EEENS0_14default_configENS1_37merge_sort_block_sort_config_selectorIiiEENS1_38merge_sort_block_merge_config_selectorIiiEEEEvv.numbered_sgpr, 0
	.set _ZN7rocprim17ROCPRIM_400000_NS6detail44device_merge_sort_compile_time_verifier_archINS1_11comp_targetILNS1_3genE9ELNS1_11target_archE1100ELNS1_3gpuE3ELNS1_3repE0EEES8_NS1_28merge_sort_block_sort_configILj256ELj4ELNS0_20block_sort_algorithmE0EEENS0_14default_configENS1_37merge_sort_block_sort_config_selectorIiiEENS1_38merge_sort_block_merge_config_selectorIiiEEEEvv.num_named_barrier, 0
	.set _ZN7rocprim17ROCPRIM_400000_NS6detail44device_merge_sort_compile_time_verifier_archINS1_11comp_targetILNS1_3genE9ELNS1_11target_archE1100ELNS1_3gpuE3ELNS1_3repE0EEES8_NS1_28merge_sort_block_sort_configILj256ELj4ELNS0_20block_sort_algorithmE0EEENS0_14default_configENS1_37merge_sort_block_sort_config_selectorIiiEENS1_38merge_sort_block_merge_config_selectorIiiEEEEvv.private_seg_size, 0
	.set _ZN7rocprim17ROCPRIM_400000_NS6detail44device_merge_sort_compile_time_verifier_archINS1_11comp_targetILNS1_3genE9ELNS1_11target_archE1100ELNS1_3gpuE3ELNS1_3repE0EEES8_NS1_28merge_sort_block_sort_configILj256ELj4ELNS0_20block_sort_algorithmE0EEENS0_14default_configENS1_37merge_sort_block_sort_config_selectorIiiEENS1_38merge_sort_block_merge_config_selectorIiiEEEEvv.uses_vcc, 0
	.set _ZN7rocprim17ROCPRIM_400000_NS6detail44device_merge_sort_compile_time_verifier_archINS1_11comp_targetILNS1_3genE9ELNS1_11target_archE1100ELNS1_3gpuE3ELNS1_3repE0EEES8_NS1_28merge_sort_block_sort_configILj256ELj4ELNS0_20block_sort_algorithmE0EEENS0_14default_configENS1_37merge_sort_block_sort_config_selectorIiiEENS1_38merge_sort_block_merge_config_selectorIiiEEEEvv.uses_flat_scratch, 0
	.set _ZN7rocprim17ROCPRIM_400000_NS6detail44device_merge_sort_compile_time_verifier_archINS1_11comp_targetILNS1_3genE9ELNS1_11target_archE1100ELNS1_3gpuE3ELNS1_3repE0EEES8_NS1_28merge_sort_block_sort_configILj256ELj4ELNS0_20block_sort_algorithmE0EEENS0_14default_configENS1_37merge_sort_block_sort_config_selectorIiiEENS1_38merge_sort_block_merge_config_selectorIiiEEEEvv.has_dyn_sized_stack, 0
	.set _ZN7rocprim17ROCPRIM_400000_NS6detail44device_merge_sort_compile_time_verifier_archINS1_11comp_targetILNS1_3genE9ELNS1_11target_archE1100ELNS1_3gpuE3ELNS1_3repE0EEES8_NS1_28merge_sort_block_sort_configILj256ELj4ELNS0_20block_sort_algorithmE0EEENS0_14default_configENS1_37merge_sort_block_sort_config_selectorIiiEENS1_38merge_sort_block_merge_config_selectorIiiEEEEvv.has_recursion, 0
	.set _ZN7rocprim17ROCPRIM_400000_NS6detail44device_merge_sort_compile_time_verifier_archINS1_11comp_targetILNS1_3genE9ELNS1_11target_archE1100ELNS1_3gpuE3ELNS1_3repE0EEES8_NS1_28merge_sort_block_sort_configILj256ELj4ELNS0_20block_sort_algorithmE0EEENS0_14default_configENS1_37merge_sort_block_sort_config_selectorIiiEENS1_38merge_sort_block_merge_config_selectorIiiEEEEvv.has_indirect_call, 0
	.section	.AMDGPU.csdata,"",@progbits
; Kernel info:
; codeLenInByte = 4
; TotalNumSgprs: 6
; NumVgprs: 0
; NumAgprs: 0
; TotalNumVgprs: 0
; ScratchSize: 0
; MemoryBound: 0
; FloatMode: 240
; IeeeMode: 1
; LDSByteSize: 0 bytes/workgroup (compile time only)
; SGPRBlocks: 0
; VGPRBlocks: 0
; NumSGPRsForWavesPerEU: 6
; NumVGPRsForWavesPerEU: 1
; AccumOffset: 4
; Occupancy: 8
; WaveLimiterHint : 0
; COMPUTE_PGM_RSRC2:SCRATCH_EN: 0
; COMPUTE_PGM_RSRC2:USER_SGPR: 0
; COMPUTE_PGM_RSRC2:TRAP_HANDLER: 0
; COMPUTE_PGM_RSRC2:TGID_X_EN: 1
; COMPUTE_PGM_RSRC2:TGID_Y_EN: 0
; COMPUTE_PGM_RSRC2:TGID_Z_EN: 0
; COMPUTE_PGM_RSRC2:TIDIG_COMP_CNT: 0
; COMPUTE_PGM_RSRC3_GFX90A:ACCUM_OFFSET: 0
; COMPUTE_PGM_RSRC3_GFX90A:TG_SPLIT: 0
	.section	.text._ZN7rocprim17ROCPRIM_400000_NS6detail44device_merge_sort_compile_time_verifier_archINS1_11comp_targetILNS1_3genE8ELNS1_11target_archE1030ELNS1_3gpuE2ELNS1_3repE0EEES8_NS1_28merge_sort_block_sort_configILj256ELj4ELNS0_20block_sort_algorithmE0EEENS0_14default_configENS1_37merge_sort_block_sort_config_selectorIiiEENS1_38merge_sort_block_merge_config_selectorIiiEEEEvv,"axG",@progbits,_ZN7rocprim17ROCPRIM_400000_NS6detail44device_merge_sort_compile_time_verifier_archINS1_11comp_targetILNS1_3genE8ELNS1_11target_archE1030ELNS1_3gpuE2ELNS1_3repE0EEES8_NS1_28merge_sort_block_sort_configILj256ELj4ELNS0_20block_sort_algorithmE0EEENS0_14default_configENS1_37merge_sort_block_sort_config_selectorIiiEENS1_38merge_sort_block_merge_config_selectorIiiEEEEvv,comdat
	.protected	_ZN7rocprim17ROCPRIM_400000_NS6detail44device_merge_sort_compile_time_verifier_archINS1_11comp_targetILNS1_3genE8ELNS1_11target_archE1030ELNS1_3gpuE2ELNS1_3repE0EEES8_NS1_28merge_sort_block_sort_configILj256ELj4ELNS0_20block_sort_algorithmE0EEENS0_14default_configENS1_37merge_sort_block_sort_config_selectorIiiEENS1_38merge_sort_block_merge_config_selectorIiiEEEEvv ; -- Begin function _ZN7rocprim17ROCPRIM_400000_NS6detail44device_merge_sort_compile_time_verifier_archINS1_11comp_targetILNS1_3genE8ELNS1_11target_archE1030ELNS1_3gpuE2ELNS1_3repE0EEES8_NS1_28merge_sort_block_sort_configILj256ELj4ELNS0_20block_sort_algorithmE0EEENS0_14default_configENS1_37merge_sort_block_sort_config_selectorIiiEENS1_38merge_sort_block_merge_config_selectorIiiEEEEvv
	.globl	_ZN7rocprim17ROCPRIM_400000_NS6detail44device_merge_sort_compile_time_verifier_archINS1_11comp_targetILNS1_3genE8ELNS1_11target_archE1030ELNS1_3gpuE2ELNS1_3repE0EEES8_NS1_28merge_sort_block_sort_configILj256ELj4ELNS0_20block_sort_algorithmE0EEENS0_14default_configENS1_37merge_sort_block_sort_config_selectorIiiEENS1_38merge_sort_block_merge_config_selectorIiiEEEEvv
	.p2align	8
	.type	_ZN7rocprim17ROCPRIM_400000_NS6detail44device_merge_sort_compile_time_verifier_archINS1_11comp_targetILNS1_3genE8ELNS1_11target_archE1030ELNS1_3gpuE2ELNS1_3repE0EEES8_NS1_28merge_sort_block_sort_configILj256ELj4ELNS0_20block_sort_algorithmE0EEENS0_14default_configENS1_37merge_sort_block_sort_config_selectorIiiEENS1_38merge_sort_block_merge_config_selectorIiiEEEEvv,@function
_ZN7rocprim17ROCPRIM_400000_NS6detail44device_merge_sort_compile_time_verifier_archINS1_11comp_targetILNS1_3genE8ELNS1_11target_archE1030ELNS1_3gpuE2ELNS1_3repE0EEES8_NS1_28merge_sort_block_sort_configILj256ELj4ELNS0_20block_sort_algorithmE0EEENS0_14default_configENS1_37merge_sort_block_sort_config_selectorIiiEENS1_38merge_sort_block_merge_config_selectorIiiEEEEvv: ; @_ZN7rocprim17ROCPRIM_400000_NS6detail44device_merge_sort_compile_time_verifier_archINS1_11comp_targetILNS1_3genE8ELNS1_11target_archE1030ELNS1_3gpuE2ELNS1_3repE0EEES8_NS1_28merge_sort_block_sort_configILj256ELj4ELNS0_20block_sort_algorithmE0EEENS0_14default_configENS1_37merge_sort_block_sort_config_selectorIiiEENS1_38merge_sort_block_merge_config_selectorIiiEEEEvv
; %bb.0:
	s_endpgm
	.section	.rodata,"a",@progbits
	.p2align	6, 0x0
	.amdhsa_kernel _ZN7rocprim17ROCPRIM_400000_NS6detail44device_merge_sort_compile_time_verifier_archINS1_11comp_targetILNS1_3genE8ELNS1_11target_archE1030ELNS1_3gpuE2ELNS1_3repE0EEES8_NS1_28merge_sort_block_sort_configILj256ELj4ELNS0_20block_sort_algorithmE0EEENS0_14default_configENS1_37merge_sort_block_sort_config_selectorIiiEENS1_38merge_sort_block_merge_config_selectorIiiEEEEvv
		.amdhsa_group_segment_fixed_size 0
		.amdhsa_private_segment_fixed_size 0
		.amdhsa_kernarg_size 0
		.amdhsa_user_sgpr_count 0
		.amdhsa_user_sgpr_dispatch_ptr 0
		.amdhsa_user_sgpr_queue_ptr 0
		.amdhsa_user_sgpr_kernarg_segment_ptr 0
		.amdhsa_user_sgpr_dispatch_id 0
		.amdhsa_user_sgpr_kernarg_preload_length 0
		.amdhsa_user_sgpr_kernarg_preload_offset 0
		.amdhsa_user_sgpr_private_segment_size 0
		.amdhsa_uses_dynamic_stack 0
		.amdhsa_enable_private_segment 0
		.amdhsa_system_sgpr_workgroup_id_x 1
		.amdhsa_system_sgpr_workgroup_id_y 0
		.amdhsa_system_sgpr_workgroup_id_z 0
		.amdhsa_system_sgpr_workgroup_info 0
		.amdhsa_system_vgpr_workitem_id 0
		.amdhsa_next_free_vgpr 1
		.amdhsa_next_free_sgpr 0
		.amdhsa_accum_offset 4
		.amdhsa_reserve_vcc 0
		.amdhsa_float_round_mode_32 0
		.amdhsa_float_round_mode_16_64 0
		.amdhsa_float_denorm_mode_32 3
		.amdhsa_float_denorm_mode_16_64 3
		.amdhsa_dx10_clamp 1
		.amdhsa_ieee_mode 1
		.amdhsa_fp16_overflow 0
		.amdhsa_tg_split 0
		.amdhsa_exception_fp_ieee_invalid_op 0
		.amdhsa_exception_fp_denorm_src 0
		.amdhsa_exception_fp_ieee_div_zero 0
		.amdhsa_exception_fp_ieee_overflow 0
		.amdhsa_exception_fp_ieee_underflow 0
		.amdhsa_exception_fp_ieee_inexact 0
		.amdhsa_exception_int_div_zero 0
	.end_amdhsa_kernel
	.section	.text._ZN7rocprim17ROCPRIM_400000_NS6detail44device_merge_sort_compile_time_verifier_archINS1_11comp_targetILNS1_3genE8ELNS1_11target_archE1030ELNS1_3gpuE2ELNS1_3repE0EEES8_NS1_28merge_sort_block_sort_configILj256ELj4ELNS0_20block_sort_algorithmE0EEENS0_14default_configENS1_37merge_sort_block_sort_config_selectorIiiEENS1_38merge_sort_block_merge_config_selectorIiiEEEEvv,"axG",@progbits,_ZN7rocprim17ROCPRIM_400000_NS6detail44device_merge_sort_compile_time_verifier_archINS1_11comp_targetILNS1_3genE8ELNS1_11target_archE1030ELNS1_3gpuE2ELNS1_3repE0EEES8_NS1_28merge_sort_block_sort_configILj256ELj4ELNS0_20block_sort_algorithmE0EEENS0_14default_configENS1_37merge_sort_block_sort_config_selectorIiiEENS1_38merge_sort_block_merge_config_selectorIiiEEEEvv,comdat
.Lfunc_end1286:
	.size	_ZN7rocprim17ROCPRIM_400000_NS6detail44device_merge_sort_compile_time_verifier_archINS1_11comp_targetILNS1_3genE8ELNS1_11target_archE1030ELNS1_3gpuE2ELNS1_3repE0EEES8_NS1_28merge_sort_block_sort_configILj256ELj4ELNS0_20block_sort_algorithmE0EEENS0_14default_configENS1_37merge_sort_block_sort_config_selectorIiiEENS1_38merge_sort_block_merge_config_selectorIiiEEEEvv, .Lfunc_end1286-_ZN7rocprim17ROCPRIM_400000_NS6detail44device_merge_sort_compile_time_verifier_archINS1_11comp_targetILNS1_3genE8ELNS1_11target_archE1030ELNS1_3gpuE2ELNS1_3repE0EEES8_NS1_28merge_sort_block_sort_configILj256ELj4ELNS0_20block_sort_algorithmE0EEENS0_14default_configENS1_37merge_sort_block_sort_config_selectorIiiEENS1_38merge_sort_block_merge_config_selectorIiiEEEEvv
                                        ; -- End function
	.set _ZN7rocprim17ROCPRIM_400000_NS6detail44device_merge_sort_compile_time_verifier_archINS1_11comp_targetILNS1_3genE8ELNS1_11target_archE1030ELNS1_3gpuE2ELNS1_3repE0EEES8_NS1_28merge_sort_block_sort_configILj256ELj4ELNS0_20block_sort_algorithmE0EEENS0_14default_configENS1_37merge_sort_block_sort_config_selectorIiiEENS1_38merge_sort_block_merge_config_selectorIiiEEEEvv.num_vgpr, 0
	.set _ZN7rocprim17ROCPRIM_400000_NS6detail44device_merge_sort_compile_time_verifier_archINS1_11comp_targetILNS1_3genE8ELNS1_11target_archE1030ELNS1_3gpuE2ELNS1_3repE0EEES8_NS1_28merge_sort_block_sort_configILj256ELj4ELNS0_20block_sort_algorithmE0EEENS0_14default_configENS1_37merge_sort_block_sort_config_selectorIiiEENS1_38merge_sort_block_merge_config_selectorIiiEEEEvv.num_agpr, 0
	.set _ZN7rocprim17ROCPRIM_400000_NS6detail44device_merge_sort_compile_time_verifier_archINS1_11comp_targetILNS1_3genE8ELNS1_11target_archE1030ELNS1_3gpuE2ELNS1_3repE0EEES8_NS1_28merge_sort_block_sort_configILj256ELj4ELNS0_20block_sort_algorithmE0EEENS0_14default_configENS1_37merge_sort_block_sort_config_selectorIiiEENS1_38merge_sort_block_merge_config_selectorIiiEEEEvv.numbered_sgpr, 0
	.set _ZN7rocprim17ROCPRIM_400000_NS6detail44device_merge_sort_compile_time_verifier_archINS1_11comp_targetILNS1_3genE8ELNS1_11target_archE1030ELNS1_3gpuE2ELNS1_3repE0EEES8_NS1_28merge_sort_block_sort_configILj256ELj4ELNS0_20block_sort_algorithmE0EEENS0_14default_configENS1_37merge_sort_block_sort_config_selectorIiiEENS1_38merge_sort_block_merge_config_selectorIiiEEEEvv.num_named_barrier, 0
	.set _ZN7rocprim17ROCPRIM_400000_NS6detail44device_merge_sort_compile_time_verifier_archINS1_11comp_targetILNS1_3genE8ELNS1_11target_archE1030ELNS1_3gpuE2ELNS1_3repE0EEES8_NS1_28merge_sort_block_sort_configILj256ELj4ELNS0_20block_sort_algorithmE0EEENS0_14default_configENS1_37merge_sort_block_sort_config_selectorIiiEENS1_38merge_sort_block_merge_config_selectorIiiEEEEvv.private_seg_size, 0
	.set _ZN7rocprim17ROCPRIM_400000_NS6detail44device_merge_sort_compile_time_verifier_archINS1_11comp_targetILNS1_3genE8ELNS1_11target_archE1030ELNS1_3gpuE2ELNS1_3repE0EEES8_NS1_28merge_sort_block_sort_configILj256ELj4ELNS0_20block_sort_algorithmE0EEENS0_14default_configENS1_37merge_sort_block_sort_config_selectorIiiEENS1_38merge_sort_block_merge_config_selectorIiiEEEEvv.uses_vcc, 0
	.set _ZN7rocprim17ROCPRIM_400000_NS6detail44device_merge_sort_compile_time_verifier_archINS1_11comp_targetILNS1_3genE8ELNS1_11target_archE1030ELNS1_3gpuE2ELNS1_3repE0EEES8_NS1_28merge_sort_block_sort_configILj256ELj4ELNS0_20block_sort_algorithmE0EEENS0_14default_configENS1_37merge_sort_block_sort_config_selectorIiiEENS1_38merge_sort_block_merge_config_selectorIiiEEEEvv.uses_flat_scratch, 0
	.set _ZN7rocprim17ROCPRIM_400000_NS6detail44device_merge_sort_compile_time_verifier_archINS1_11comp_targetILNS1_3genE8ELNS1_11target_archE1030ELNS1_3gpuE2ELNS1_3repE0EEES8_NS1_28merge_sort_block_sort_configILj256ELj4ELNS0_20block_sort_algorithmE0EEENS0_14default_configENS1_37merge_sort_block_sort_config_selectorIiiEENS1_38merge_sort_block_merge_config_selectorIiiEEEEvv.has_dyn_sized_stack, 0
	.set _ZN7rocprim17ROCPRIM_400000_NS6detail44device_merge_sort_compile_time_verifier_archINS1_11comp_targetILNS1_3genE8ELNS1_11target_archE1030ELNS1_3gpuE2ELNS1_3repE0EEES8_NS1_28merge_sort_block_sort_configILj256ELj4ELNS0_20block_sort_algorithmE0EEENS0_14default_configENS1_37merge_sort_block_sort_config_selectorIiiEENS1_38merge_sort_block_merge_config_selectorIiiEEEEvv.has_recursion, 0
	.set _ZN7rocprim17ROCPRIM_400000_NS6detail44device_merge_sort_compile_time_verifier_archINS1_11comp_targetILNS1_3genE8ELNS1_11target_archE1030ELNS1_3gpuE2ELNS1_3repE0EEES8_NS1_28merge_sort_block_sort_configILj256ELj4ELNS0_20block_sort_algorithmE0EEENS0_14default_configENS1_37merge_sort_block_sort_config_selectorIiiEENS1_38merge_sort_block_merge_config_selectorIiiEEEEvv.has_indirect_call, 0
	.section	.AMDGPU.csdata,"",@progbits
; Kernel info:
; codeLenInByte = 4
; TotalNumSgprs: 6
; NumVgprs: 0
; NumAgprs: 0
; TotalNumVgprs: 0
; ScratchSize: 0
; MemoryBound: 0
; FloatMode: 240
; IeeeMode: 1
; LDSByteSize: 0 bytes/workgroup (compile time only)
; SGPRBlocks: 0
; VGPRBlocks: 0
; NumSGPRsForWavesPerEU: 6
; NumVGPRsForWavesPerEU: 1
; AccumOffset: 4
; Occupancy: 8
; WaveLimiterHint : 0
; COMPUTE_PGM_RSRC2:SCRATCH_EN: 0
; COMPUTE_PGM_RSRC2:USER_SGPR: 0
; COMPUTE_PGM_RSRC2:TRAP_HANDLER: 0
; COMPUTE_PGM_RSRC2:TGID_X_EN: 1
; COMPUTE_PGM_RSRC2:TGID_Y_EN: 0
; COMPUTE_PGM_RSRC2:TGID_Z_EN: 0
; COMPUTE_PGM_RSRC2:TIDIG_COMP_CNT: 0
; COMPUTE_PGM_RSRC3_GFX90A:ACCUM_OFFSET: 0
; COMPUTE_PGM_RSRC3_GFX90A:TG_SPLIT: 0
	.section	.text._ZN7rocprim17ROCPRIM_400000_NS6detail17trampoline_kernelINS0_14default_configENS1_38merge_sort_block_merge_config_selectorIiiEEZZNS1_27merge_sort_block_merge_implIS3_N6thrust23THRUST_200600_302600_NS6detail15normal_iteratorINS8_10device_ptrIiEEEESD_jNS1_19radix_merge_compareILb0ELb0EiNS0_19identity_decomposerEEEEE10hipError_tT0_T1_T2_jT3_P12ihipStream_tbPNSt15iterator_traitsISI_E10value_typeEPNSO_ISJ_E10value_typeEPSK_NS1_7vsmem_tEENKUlT_SI_SJ_SK_E_clIPiSD_S10_SD_EESH_SX_SI_SJ_SK_EUlSX_E_NS1_11comp_targetILNS1_3genE0ELNS1_11target_archE4294967295ELNS1_3gpuE0ELNS1_3repE0EEENS1_48merge_mergepath_partition_config_static_selectorELNS0_4arch9wavefront6targetE1EEEvSJ_,"axG",@progbits,_ZN7rocprim17ROCPRIM_400000_NS6detail17trampoline_kernelINS0_14default_configENS1_38merge_sort_block_merge_config_selectorIiiEEZZNS1_27merge_sort_block_merge_implIS3_N6thrust23THRUST_200600_302600_NS6detail15normal_iteratorINS8_10device_ptrIiEEEESD_jNS1_19radix_merge_compareILb0ELb0EiNS0_19identity_decomposerEEEEE10hipError_tT0_T1_T2_jT3_P12ihipStream_tbPNSt15iterator_traitsISI_E10value_typeEPNSO_ISJ_E10value_typeEPSK_NS1_7vsmem_tEENKUlT_SI_SJ_SK_E_clIPiSD_S10_SD_EESH_SX_SI_SJ_SK_EUlSX_E_NS1_11comp_targetILNS1_3genE0ELNS1_11target_archE4294967295ELNS1_3gpuE0ELNS1_3repE0EEENS1_48merge_mergepath_partition_config_static_selectorELNS0_4arch9wavefront6targetE1EEEvSJ_,comdat
	.protected	_ZN7rocprim17ROCPRIM_400000_NS6detail17trampoline_kernelINS0_14default_configENS1_38merge_sort_block_merge_config_selectorIiiEEZZNS1_27merge_sort_block_merge_implIS3_N6thrust23THRUST_200600_302600_NS6detail15normal_iteratorINS8_10device_ptrIiEEEESD_jNS1_19radix_merge_compareILb0ELb0EiNS0_19identity_decomposerEEEEE10hipError_tT0_T1_T2_jT3_P12ihipStream_tbPNSt15iterator_traitsISI_E10value_typeEPNSO_ISJ_E10value_typeEPSK_NS1_7vsmem_tEENKUlT_SI_SJ_SK_E_clIPiSD_S10_SD_EESH_SX_SI_SJ_SK_EUlSX_E_NS1_11comp_targetILNS1_3genE0ELNS1_11target_archE4294967295ELNS1_3gpuE0ELNS1_3repE0EEENS1_48merge_mergepath_partition_config_static_selectorELNS0_4arch9wavefront6targetE1EEEvSJ_ ; -- Begin function _ZN7rocprim17ROCPRIM_400000_NS6detail17trampoline_kernelINS0_14default_configENS1_38merge_sort_block_merge_config_selectorIiiEEZZNS1_27merge_sort_block_merge_implIS3_N6thrust23THRUST_200600_302600_NS6detail15normal_iteratorINS8_10device_ptrIiEEEESD_jNS1_19radix_merge_compareILb0ELb0EiNS0_19identity_decomposerEEEEE10hipError_tT0_T1_T2_jT3_P12ihipStream_tbPNSt15iterator_traitsISI_E10value_typeEPNSO_ISJ_E10value_typeEPSK_NS1_7vsmem_tEENKUlT_SI_SJ_SK_E_clIPiSD_S10_SD_EESH_SX_SI_SJ_SK_EUlSX_E_NS1_11comp_targetILNS1_3genE0ELNS1_11target_archE4294967295ELNS1_3gpuE0ELNS1_3repE0EEENS1_48merge_mergepath_partition_config_static_selectorELNS0_4arch9wavefront6targetE1EEEvSJ_
	.globl	_ZN7rocprim17ROCPRIM_400000_NS6detail17trampoline_kernelINS0_14default_configENS1_38merge_sort_block_merge_config_selectorIiiEEZZNS1_27merge_sort_block_merge_implIS3_N6thrust23THRUST_200600_302600_NS6detail15normal_iteratorINS8_10device_ptrIiEEEESD_jNS1_19radix_merge_compareILb0ELb0EiNS0_19identity_decomposerEEEEE10hipError_tT0_T1_T2_jT3_P12ihipStream_tbPNSt15iterator_traitsISI_E10value_typeEPNSO_ISJ_E10value_typeEPSK_NS1_7vsmem_tEENKUlT_SI_SJ_SK_E_clIPiSD_S10_SD_EESH_SX_SI_SJ_SK_EUlSX_E_NS1_11comp_targetILNS1_3genE0ELNS1_11target_archE4294967295ELNS1_3gpuE0ELNS1_3repE0EEENS1_48merge_mergepath_partition_config_static_selectorELNS0_4arch9wavefront6targetE1EEEvSJ_
	.p2align	8
	.type	_ZN7rocprim17ROCPRIM_400000_NS6detail17trampoline_kernelINS0_14default_configENS1_38merge_sort_block_merge_config_selectorIiiEEZZNS1_27merge_sort_block_merge_implIS3_N6thrust23THRUST_200600_302600_NS6detail15normal_iteratorINS8_10device_ptrIiEEEESD_jNS1_19radix_merge_compareILb0ELb0EiNS0_19identity_decomposerEEEEE10hipError_tT0_T1_T2_jT3_P12ihipStream_tbPNSt15iterator_traitsISI_E10value_typeEPNSO_ISJ_E10value_typeEPSK_NS1_7vsmem_tEENKUlT_SI_SJ_SK_E_clIPiSD_S10_SD_EESH_SX_SI_SJ_SK_EUlSX_E_NS1_11comp_targetILNS1_3genE0ELNS1_11target_archE4294967295ELNS1_3gpuE0ELNS1_3repE0EEENS1_48merge_mergepath_partition_config_static_selectorELNS0_4arch9wavefront6targetE1EEEvSJ_,@function
_ZN7rocprim17ROCPRIM_400000_NS6detail17trampoline_kernelINS0_14default_configENS1_38merge_sort_block_merge_config_selectorIiiEEZZNS1_27merge_sort_block_merge_implIS3_N6thrust23THRUST_200600_302600_NS6detail15normal_iteratorINS8_10device_ptrIiEEEESD_jNS1_19radix_merge_compareILb0ELb0EiNS0_19identity_decomposerEEEEE10hipError_tT0_T1_T2_jT3_P12ihipStream_tbPNSt15iterator_traitsISI_E10value_typeEPNSO_ISJ_E10value_typeEPSK_NS1_7vsmem_tEENKUlT_SI_SJ_SK_E_clIPiSD_S10_SD_EESH_SX_SI_SJ_SK_EUlSX_E_NS1_11comp_targetILNS1_3genE0ELNS1_11target_archE4294967295ELNS1_3gpuE0ELNS1_3repE0EEENS1_48merge_mergepath_partition_config_static_selectorELNS0_4arch9wavefront6targetE1EEEvSJ_: ; @_ZN7rocprim17ROCPRIM_400000_NS6detail17trampoline_kernelINS0_14default_configENS1_38merge_sort_block_merge_config_selectorIiiEEZZNS1_27merge_sort_block_merge_implIS3_N6thrust23THRUST_200600_302600_NS6detail15normal_iteratorINS8_10device_ptrIiEEEESD_jNS1_19radix_merge_compareILb0ELb0EiNS0_19identity_decomposerEEEEE10hipError_tT0_T1_T2_jT3_P12ihipStream_tbPNSt15iterator_traitsISI_E10value_typeEPNSO_ISJ_E10value_typeEPSK_NS1_7vsmem_tEENKUlT_SI_SJ_SK_E_clIPiSD_S10_SD_EESH_SX_SI_SJ_SK_EUlSX_E_NS1_11comp_targetILNS1_3genE0ELNS1_11target_archE4294967295ELNS1_3gpuE0ELNS1_3repE0EEENS1_48merge_mergepath_partition_config_static_selectorELNS0_4arch9wavefront6targetE1EEEvSJ_
; %bb.0:
	s_load_dword s3, s[0:1], 0x0
	v_lshl_or_b32 v0, s2, 7, v0
	s_waitcnt lgkmcnt(0)
	v_cmp_gt_u32_e32 vcc, s3, v0
	s_and_saveexec_b64 s[2:3], vcc
	s_cbranch_execz .LBB1287_6
; %bb.1:
	s_load_dwordx2 s[4:5], s[0:1], 0x4
	s_load_dwordx2 s[2:3], s[0:1], 0x20
	s_waitcnt lgkmcnt(0)
	s_lshr_b32 s6, s4, 9
	s_and_b32 s6, s6, 0x7ffffe
	s_add_i32 s7, s6, -1
	s_sub_i32 s6, 0, s6
	v_and_b32_e32 v1, s6, v0
	v_lshlrev_b32_e32 v1, 10, v1
	v_min_u32_e32 v2, s5, v1
	v_add_u32_e32 v1, s4, v1
	v_min_u32_e32 v4, s5, v1
	v_add_u32_e32 v1, s4, v4
	v_and_b32_e32 v3, s7, v0
	v_min_u32_e32 v1, s5, v1
	v_sub_u32_e32 v5, v1, v2
	v_lshlrev_b32_e32 v3, 10, v3
	v_min_u32_e32 v10, v5, v3
	v_sub_u32_e32 v3, v4, v2
	v_sub_u32_e32 v1, v1, v4
	v_sub_u32_e64 v1, v10, v1 clamp
	v_min_u32_e32 v11, v10, v3
	v_cmp_lt_u32_e32 vcc, v1, v11
	s_and_saveexec_b64 s[4:5], vcc
	s_cbranch_execz .LBB1287_5
; %bb.2:
	s_load_dwordx2 s[0:1], s[0:1], 0x10
	v_mov_b32_e32 v5, 0
	v_mov_b32_e32 v3, v5
	s_waitcnt lgkmcnt(0)
	v_lshl_add_u64 v[6:7], v[2:3], 2, s[0:1]
	v_lshl_add_u64 v[8:9], v[4:5], 2, s[0:1]
	s_mov_b64 s[0:1], 0
.LBB1287_3:                             ; =>This Inner Loop Header: Depth=1
	v_add_u32_e32 v3, v11, v1
	v_lshrrev_b32_e32 v4, 1, v3
	v_mov_b32_e32 v13, v5
	v_xad_u32 v12, v4, -1, v10
	v_lshl_add_u64 v[14:15], v[4:5], 2, v[6:7]
	v_lshl_add_u64 v[12:13], v[12:13], 2, v[8:9]
	global_load_dword v3, v[14:15], off
	global_load_dword v16, v[12:13], off
	v_add_u32_e32 v12, 1, v4
	s_waitcnt vmcnt(0)
	v_cmp_gt_i32_e32 vcc, v3, v16
	s_nop 1
	v_cndmask_b32_e32 v11, v11, v4, vcc
	v_cndmask_b32_e32 v1, v12, v1, vcc
	v_cmp_ge_u32_e32 vcc, v1, v11
	s_or_b64 s[0:1], vcc, s[0:1]
	s_andn2_b64 exec, exec, s[0:1]
	s_cbranch_execnz .LBB1287_3
; %bb.4:
	s_or_b64 exec, exec, s[0:1]
.LBB1287_5:
	s_or_b64 exec, exec, s[4:5]
	v_add_u32_e32 v2, v1, v2
	v_mov_b32_e32 v1, 0
	v_lshl_add_u64 v[0:1], v[0:1], 2, s[2:3]
	global_store_dword v[0:1], v2, off
.LBB1287_6:
	s_endpgm
	.section	.rodata,"a",@progbits
	.p2align	6, 0x0
	.amdhsa_kernel _ZN7rocprim17ROCPRIM_400000_NS6detail17trampoline_kernelINS0_14default_configENS1_38merge_sort_block_merge_config_selectorIiiEEZZNS1_27merge_sort_block_merge_implIS3_N6thrust23THRUST_200600_302600_NS6detail15normal_iteratorINS8_10device_ptrIiEEEESD_jNS1_19radix_merge_compareILb0ELb0EiNS0_19identity_decomposerEEEEE10hipError_tT0_T1_T2_jT3_P12ihipStream_tbPNSt15iterator_traitsISI_E10value_typeEPNSO_ISJ_E10value_typeEPSK_NS1_7vsmem_tEENKUlT_SI_SJ_SK_E_clIPiSD_S10_SD_EESH_SX_SI_SJ_SK_EUlSX_E_NS1_11comp_targetILNS1_3genE0ELNS1_11target_archE4294967295ELNS1_3gpuE0ELNS1_3repE0EEENS1_48merge_mergepath_partition_config_static_selectorELNS0_4arch9wavefront6targetE1EEEvSJ_
		.amdhsa_group_segment_fixed_size 0
		.amdhsa_private_segment_fixed_size 0
		.amdhsa_kernarg_size 40
		.amdhsa_user_sgpr_count 2
		.amdhsa_user_sgpr_dispatch_ptr 0
		.amdhsa_user_sgpr_queue_ptr 0
		.amdhsa_user_sgpr_kernarg_segment_ptr 1
		.amdhsa_user_sgpr_dispatch_id 0
		.amdhsa_user_sgpr_kernarg_preload_length 0
		.amdhsa_user_sgpr_kernarg_preload_offset 0
		.amdhsa_user_sgpr_private_segment_size 0
		.amdhsa_uses_dynamic_stack 0
		.amdhsa_enable_private_segment 0
		.amdhsa_system_sgpr_workgroup_id_x 1
		.amdhsa_system_sgpr_workgroup_id_y 0
		.amdhsa_system_sgpr_workgroup_id_z 0
		.amdhsa_system_sgpr_workgroup_info 0
		.amdhsa_system_vgpr_workitem_id 0
		.amdhsa_next_free_vgpr 17
		.amdhsa_next_free_sgpr 8
		.amdhsa_accum_offset 20
		.amdhsa_reserve_vcc 1
		.amdhsa_float_round_mode_32 0
		.amdhsa_float_round_mode_16_64 0
		.amdhsa_float_denorm_mode_32 3
		.amdhsa_float_denorm_mode_16_64 3
		.amdhsa_dx10_clamp 1
		.amdhsa_ieee_mode 1
		.amdhsa_fp16_overflow 0
		.amdhsa_tg_split 0
		.amdhsa_exception_fp_ieee_invalid_op 0
		.amdhsa_exception_fp_denorm_src 0
		.amdhsa_exception_fp_ieee_div_zero 0
		.amdhsa_exception_fp_ieee_overflow 0
		.amdhsa_exception_fp_ieee_underflow 0
		.amdhsa_exception_fp_ieee_inexact 0
		.amdhsa_exception_int_div_zero 0
	.end_amdhsa_kernel
	.section	.text._ZN7rocprim17ROCPRIM_400000_NS6detail17trampoline_kernelINS0_14default_configENS1_38merge_sort_block_merge_config_selectorIiiEEZZNS1_27merge_sort_block_merge_implIS3_N6thrust23THRUST_200600_302600_NS6detail15normal_iteratorINS8_10device_ptrIiEEEESD_jNS1_19radix_merge_compareILb0ELb0EiNS0_19identity_decomposerEEEEE10hipError_tT0_T1_T2_jT3_P12ihipStream_tbPNSt15iterator_traitsISI_E10value_typeEPNSO_ISJ_E10value_typeEPSK_NS1_7vsmem_tEENKUlT_SI_SJ_SK_E_clIPiSD_S10_SD_EESH_SX_SI_SJ_SK_EUlSX_E_NS1_11comp_targetILNS1_3genE0ELNS1_11target_archE4294967295ELNS1_3gpuE0ELNS1_3repE0EEENS1_48merge_mergepath_partition_config_static_selectorELNS0_4arch9wavefront6targetE1EEEvSJ_,"axG",@progbits,_ZN7rocprim17ROCPRIM_400000_NS6detail17trampoline_kernelINS0_14default_configENS1_38merge_sort_block_merge_config_selectorIiiEEZZNS1_27merge_sort_block_merge_implIS3_N6thrust23THRUST_200600_302600_NS6detail15normal_iteratorINS8_10device_ptrIiEEEESD_jNS1_19radix_merge_compareILb0ELb0EiNS0_19identity_decomposerEEEEE10hipError_tT0_T1_T2_jT3_P12ihipStream_tbPNSt15iterator_traitsISI_E10value_typeEPNSO_ISJ_E10value_typeEPSK_NS1_7vsmem_tEENKUlT_SI_SJ_SK_E_clIPiSD_S10_SD_EESH_SX_SI_SJ_SK_EUlSX_E_NS1_11comp_targetILNS1_3genE0ELNS1_11target_archE4294967295ELNS1_3gpuE0ELNS1_3repE0EEENS1_48merge_mergepath_partition_config_static_selectorELNS0_4arch9wavefront6targetE1EEEvSJ_,comdat
.Lfunc_end1287:
	.size	_ZN7rocprim17ROCPRIM_400000_NS6detail17trampoline_kernelINS0_14default_configENS1_38merge_sort_block_merge_config_selectorIiiEEZZNS1_27merge_sort_block_merge_implIS3_N6thrust23THRUST_200600_302600_NS6detail15normal_iteratorINS8_10device_ptrIiEEEESD_jNS1_19radix_merge_compareILb0ELb0EiNS0_19identity_decomposerEEEEE10hipError_tT0_T1_T2_jT3_P12ihipStream_tbPNSt15iterator_traitsISI_E10value_typeEPNSO_ISJ_E10value_typeEPSK_NS1_7vsmem_tEENKUlT_SI_SJ_SK_E_clIPiSD_S10_SD_EESH_SX_SI_SJ_SK_EUlSX_E_NS1_11comp_targetILNS1_3genE0ELNS1_11target_archE4294967295ELNS1_3gpuE0ELNS1_3repE0EEENS1_48merge_mergepath_partition_config_static_selectorELNS0_4arch9wavefront6targetE1EEEvSJ_, .Lfunc_end1287-_ZN7rocprim17ROCPRIM_400000_NS6detail17trampoline_kernelINS0_14default_configENS1_38merge_sort_block_merge_config_selectorIiiEEZZNS1_27merge_sort_block_merge_implIS3_N6thrust23THRUST_200600_302600_NS6detail15normal_iteratorINS8_10device_ptrIiEEEESD_jNS1_19radix_merge_compareILb0ELb0EiNS0_19identity_decomposerEEEEE10hipError_tT0_T1_T2_jT3_P12ihipStream_tbPNSt15iterator_traitsISI_E10value_typeEPNSO_ISJ_E10value_typeEPSK_NS1_7vsmem_tEENKUlT_SI_SJ_SK_E_clIPiSD_S10_SD_EESH_SX_SI_SJ_SK_EUlSX_E_NS1_11comp_targetILNS1_3genE0ELNS1_11target_archE4294967295ELNS1_3gpuE0ELNS1_3repE0EEENS1_48merge_mergepath_partition_config_static_selectorELNS0_4arch9wavefront6targetE1EEEvSJ_
                                        ; -- End function
	.set _ZN7rocprim17ROCPRIM_400000_NS6detail17trampoline_kernelINS0_14default_configENS1_38merge_sort_block_merge_config_selectorIiiEEZZNS1_27merge_sort_block_merge_implIS3_N6thrust23THRUST_200600_302600_NS6detail15normal_iteratorINS8_10device_ptrIiEEEESD_jNS1_19radix_merge_compareILb0ELb0EiNS0_19identity_decomposerEEEEE10hipError_tT0_T1_T2_jT3_P12ihipStream_tbPNSt15iterator_traitsISI_E10value_typeEPNSO_ISJ_E10value_typeEPSK_NS1_7vsmem_tEENKUlT_SI_SJ_SK_E_clIPiSD_S10_SD_EESH_SX_SI_SJ_SK_EUlSX_E_NS1_11comp_targetILNS1_3genE0ELNS1_11target_archE4294967295ELNS1_3gpuE0ELNS1_3repE0EEENS1_48merge_mergepath_partition_config_static_selectorELNS0_4arch9wavefront6targetE1EEEvSJ_.num_vgpr, 17
	.set _ZN7rocprim17ROCPRIM_400000_NS6detail17trampoline_kernelINS0_14default_configENS1_38merge_sort_block_merge_config_selectorIiiEEZZNS1_27merge_sort_block_merge_implIS3_N6thrust23THRUST_200600_302600_NS6detail15normal_iteratorINS8_10device_ptrIiEEEESD_jNS1_19radix_merge_compareILb0ELb0EiNS0_19identity_decomposerEEEEE10hipError_tT0_T1_T2_jT3_P12ihipStream_tbPNSt15iterator_traitsISI_E10value_typeEPNSO_ISJ_E10value_typeEPSK_NS1_7vsmem_tEENKUlT_SI_SJ_SK_E_clIPiSD_S10_SD_EESH_SX_SI_SJ_SK_EUlSX_E_NS1_11comp_targetILNS1_3genE0ELNS1_11target_archE4294967295ELNS1_3gpuE0ELNS1_3repE0EEENS1_48merge_mergepath_partition_config_static_selectorELNS0_4arch9wavefront6targetE1EEEvSJ_.num_agpr, 0
	.set _ZN7rocprim17ROCPRIM_400000_NS6detail17trampoline_kernelINS0_14default_configENS1_38merge_sort_block_merge_config_selectorIiiEEZZNS1_27merge_sort_block_merge_implIS3_N6thrust23THRUST_200600_302600_NS6detail15normal_iteratorINS8_10device_ptrIiEEEESD_jNS1_19radix_merge_compareILb0ELb0EiNS0_19identity_decomposerEEEEE10hipError_tT0_T1_T2_jT3_P12ihipStream_tbPNSt15iterator_traitsISI_E10value_typeEPNSO_ISJ_E10value_typeEPSK_NS1_7vsmem_tEENKUlT_SI_SJ_SK_E_clIPiSD_S10_SD_EESH_SX_SI_SJ_SK_EUlSX_E_NS1_11comp_targetILNS1_3genE0ELNS1_11target_archE4294967295ELNS1_3gpuE0ELNS1_3repE0EEENS1_48merge_mergepath_partition_config_static_selectorELNS0_4arch9wavefront6targetE1EEEvSJ_.numbered_sgpr, 8
	.set _ZN7rocprim17ROCPRIM_400000_NS6detail17trampoline_kernelINS0_14default_configENS1_38merge_sort_block_merge_config_selectorIiiEEZZNS1_27merge_sort_block_merge_implIS3_N6thrust23THRUST_200600_302600_NS6detail15normal_iteratorINS8_10device_ptrIiEEEESD_jNS1_19radix_merge_compareILb0ELb0EiNS0_19identity_decomposerEEEEE10hipError_tT0_T1_T2_jT3_P12ihipStream_tbPNSt15iterator_traitsISI_E10value_typeEPNSO_ISJ_E10value_typeEPSK_NS1_7vsmem_tEENKUlT_SI_SJ_SK_E_clIPiSD_S10_SD_EESH_SX_SI_SJ_SK_EUlSX_E_NS1_11comp_targetILNS1_3genE0ELNS1_11target_archE4294967295ELNS1_3gpuE0ELNS1_3repE0EEENS1_48merge_mergepath_partition_config_static_selectorELNS0_4arch9wavefront6targetE1EEEvSJ_.num_named_barrier, 0
	.set _ZN7rocprim17ROCPRIM_400000_NS6detail17trampoline_kernelINS0_14default_configENS1_38merge_sort_block_merge_config_selectorIiiEEZZNS1_27merge_sort_block_merge_implIS3_N6thrust23THRUST_200600_302600_NS6detail15normal_iteratorINS8_10device_ptrIiEEEESD_jNS1_19radix_merge_compareILb0ELb0EiNS0_19identity_decomposerEEEEE10hipError_tT0_T1_T2_jT3_P12ihipStream_tbPNSt15iterator_traitsISI_E10value_typeEPNSO_ISJ_E10value_typeEPSK_NS1_7vsmem_tEENKUlT_SI_SJ_SK_E_clIPiSD_S10_SD_EESH_SX_SI_SJ_SK_EUlSX_E_NS1_11comp_targetILNS1_3genE0ELNS1_11target_archE4294967295ELNS1_3gpuE0ELNS1_3repE0EEENS1_48merge_mergepath_partition_config_static_selectorELNS0_4arch9wavefront6targetE1EEEvSJ_.private_seg_size, 0
	.set _ZN7rocprim17ROCPRIM_400000_NS6detail17trampoline_kernelINS0_14default_configENS1_38merge_sort_block_merge_config_selectorIiiEEZZNS1_27merge_sort_block_merge_implIS3_N6thrust23THRUST_200600_302600_NS6detail15normal_iteratorINS8_10device_ptrIiEEEESD_jNS1_19radix_merge_compareILb0ELb0EiNS0_19identity_decomposerEEEEE10hipError_tT0_T1_T2_jT3_P12ihipStream_tbPNSt15iterator_traitsISI_E10value_typeEPNSO_ISJ_E10value_typeEPSK_NS1_7vsmem_tEENKUlT_SI_SJ_SK_E_clIPiSD_S10_SD_EESH_SX_SI_SJ_SK_EUlSX_E_NS1_11comp_targetILNS1_3genE0ELNS1_11target_archE4294967295ELNS1_3gpuE0ELNS1_3repE0EEENS1_48merge_mergepath_partition_config_static_selectorELNS0_4arch9wavefront6targetE1EEEvSJ_.uses_vcc, 1
	.set _ZN7rocprim17ROCPRIM_400000_NS6detail17trampoline_kernelINS0_14default_configENS1_38merge_sort_block_merge_config_selectorIiiEEZZNS1_27merge_sort_block_merge_implIS3_N6thrust23THRUST_200600_302600_NS6detail15normal_iteratorINS8_10device_ptrIiEEEESD_jNS1_19radix_merge_compareILb0ELb0EiNS0_19identity_decomposerEEEEE10hipError_tT0_T1_T2_jT3_P12ihipStream_tbPNSt15iterator_traitsISI_E10value_typeEPNSO_ISJ_E10value_typeEPSK_NS1_7vsmem_tEENKUlT_SI_SJ_SK_E_clIPiSD_S10_SD_EESH_SX_SI_SJ_SK_EUlSX_E_NS1_11comp_targetILNS1_3genE0ELNS1_11target_archE4294967295ELNS1_3gpuE0ELNS1_3repE0EEENS1_48merge_mergepath_partition_config_static_selectorELNS0_4arch9wavefront6targetE1EEEvSJ_.uses_flat_scratch, 0
	.set _ZN7rocprim17ROCPRIM_400000_NS6detail17trampoline_kernelINS0_14default_configENS1_38merge_sort_block_merge_config_selectorIiiEEZZNS1_27merge_sort_block_merge_implIS3_N6thrust23THRUST_200600_302600_NS6detail15normal_iteratorINS8_10device_ptrIiEEEESD_jNS1_19radix_merge_compareILb0ELb0EiNS0_19identity_decomposerEEEEE10hipError_tT0_T1_T2_jT3_P12ihipStream_tbPNSt15iterator_traitsISI_E10value_typeEPNSO_ISJ_E10value_typeEPSK_NS1_7vsmem_tEENKUlT_SI_SJ_SK_E_clIPiSD_S10_SD_EESH_SX_SI_SJ_SK_EUlSX_E_NS1_11comp_targetILNS1_3genE0ELNS1_11target_archE4294967295ELNS1_3gpuE0ELNS1_3repE0EEENS1_48merge_mergepath_partition_config_static_selectorELNS0_4arch9wavefront6targetE1EEEvSJ_.has_dyn_sized_stack, 0
	.set _ZN7rocprim17ROCPRIM_400000_NS6detail17trampoline_kernelINS0_14default_configENS1_38merge_sort_block_merge_config_selectorIiiEEZZNS1_27merge_sort_block_merge_implIS3_N6thrust23THRUST_200600_302600_NS6detail15normal_iteratorINS8_10device_ptrIiEEEESD_jNS1_19radix_merge_compareILb0ELb0EiNS0_19identity_decomposerEEEEE10hipError_tT0_T1_T2_jT3_P12ihipStream_tbPNSt15iterator_traitsISI_E10value_typeEPNSO_ISJ_E10value_typeEPSK_NS1_7vsmem_tEENKUlT_SI_SJ_SK_E_clIPiSD_S10_SD_EESH_SX_SI_SJ_SK_EUlSX_E_NS1_11comp_targetILNS1_3genE0ELNS1_11target_archE4294967295ELNS1_3gpuE0ELNS1_3repE0EEENS1_48merge_mergepath_partition_config_static_selectorELNS0_4arch9wavefront6targetE1EEEvSJ_.has_recursion, 0
	.set _ZN7rocprim17ROCPRIM_400000_NS6detail17trampoline_kernelINS0_14default_configENS1_38merge_sort_block_merge_config_selectorIiiEEZZNS1_27merge_sort_block_merge_implIS3_N6thrust23THRUST_200600_302600_NS6detail15normal_iteratorINS8_10device_ptrIiEEEESD_jNS1_19radix_merge_compareILb0ELb0EiNS0_19identity_decomposerEEEEE10hipError_tT0_T1_T2_jT3_P12ihipStream_tbPNSt15iterator_traitsISI_E10value_typeEPNSO_ISJ_E10value_typeEPSK_NS1_7vsmem_tEENKUlT_SI_SJ_SK_E_clIPiSD_S10_SD_EESH_SX_SI_SJ_SK_EUlSX_E_NS1_11comp_targetILNS1_3genE0ELNS1_11target_archE4294967295ELNS1_3gpuE0ELNS1_3repE0EEENS1_48merge_mergepath_partition_config_static_selectorELNS0_4arch9wavefront6targetE1EEEvSJ_.has_indirect_call, 0
	.section	.AMDGPU.csdata,"",@progbits
; Kernel info:
; codeLenInByte = 316
; TotalNumSgprs: 14
; NumVgprs: 17
; NumAgprs: 0
; TotalNumVgprs: 17
; ScratchSize: 0
; MemoryBound: 0
; FloatMode: 240
; IeeeMode: 1
; LDSByteSize: 0 bytes/workgroup (compile time only)
; SGPRBlocks: 1
; VGPRBlocks: 2
; NumSGPRsForWavesPerEU: 14
; NumVGPRsForWavesPerEU: 17
; AccumOffset: 20
; Occupancy: 8
; WaveLimiterHint : 0
; COMPUTE_PGM_RSRC2:SCRATCH_EN: 0
; COMPUTE_PGM_RSRC2:USER_SGPR: 2
; COMPUTE_PGM_RSRC2:TRAP_HANDLER: 0
; COMPUTE_PGM_RSRC2:TGID_X_EN: 1
; COMPUTE_PGM_RSRC2:TGID_Y_EN: 0
; COMPUTE_PGM_RSRC2:TGID_Z_EN: 0
; COMPUTE_PGM_RSRC2:TIDIG_COMP_CNT: 0
; COMPUTE_PGM_RSRC3_GFX90A:ACCUM_OFFSET: 4
; COMPUTE_PGM_RSRC3_GFX90A:TG_SPLIT: 0
	.section	.text._ZN7rocprim17ROCPRIM_400000_NS6detail17trampoline_kernelINS0_14default_configENS1_38merge_sort_block_merge_config_selectorIiiEEZZNS1_27merge_sort_block_merge_implIS3_N6thrust23THRUST_200600_302600_NS6detail15normal_iteratorINS8_10device_ptrIiEEEESD_jNS1_19radix_merge_compareILb0ELb0EiNS0_19identity_decomposerEEEEE10hipError_tT0_T1_T2_jT3_P12ihipStream_tbPNSt15iterator_traitsISI_E10value_typeEPNSO_ISJ_E10value_typeEPSK_NS1_7vsmem_tEENKUlT_SI_SJ_SK_E_clIPiSD_S10_SD_EESH_SX_SI_SJ_SK_EUlSX_E_NS1_11comp_targetILNS1_3genE10ELNS1_11target_archE1201ELNS1_3gpuE5ELNS1_3repE0EEENS1_48merge_mergepath_partition_config_static_selectorELNS0_4arch9wavefront6targetE1EEEvSJ_,"axG",@progbits,_ZN7rocprim17ROCPRIM_400000_NS6detail17trampoline_kernelINS0_14default_configENS1_38merge_sort_block_merge_config_selectorIiiEEZZNS1_27merge_sort_block_merge_implIS3_N6thrust23THRUST_200600_302600_NS6detail15normal_iteratorINS8_10device_ptrIiEEEESD_jNS1_19radix_merge_compareILb0ELb0EiNS0_19identity_decomposerEEEEE10hipError_tT0_T1_T2_jT3_P12ihipStream_tbPNSt15iterator_traitsISI_E10value_typeEPNSO_ISJ_E10value_typeEPSK_NS1_7vsmem_tEENKUlT_SI_SJ_SK_E_clIPiSD_S10_SD_EESH_SX_SI_SJ_SK_EUlSX_E_NS1_11comp_targetILNS1_3genE10ELNS1_11target_archE1201ELNS1_3gpuE5ELNS1_3repE0EEENS1_48merge_mergepath_partition_config_static_selectorELNS0_4arch9wavefront6targetE1EEEvSJ_,comdat
	.protected	_ZN7rocprim17ROCPRIM_400000_NS6detail17trampoline_kernelINS0_14default_configENS1_38merge_sort_block_merge_config_selectorIiiEEZZNS1_27merge_sort_block_merge_implIS3_N6thrust23THRUST_200600_302600_NS6detail15normal_iteratorINS8_10device_ptrIiEEEESD_jNS1_19radix_merge_compareILb0ELb0EiNS0_19identity_decomposerEEEEE10hipError_tT0_T1_T2_jT3_P12ihipStream_tbPNSt15iterator_traitsISI_E10value_typeEPNSO_ISJ_E10value_typeEPSK_NS1_7vsmem_tEENKUlT_SI_SJ_SK_E_clIPiSD_S10_SD_EESH_SX_SI_SJ_SK_EUlSX_E_NS1_11comp_targetILNS1_3genE10ELNS1_11target_archE1201ELNS1_3gpuE5ELNS1_3repE0EEENS1_48merge_mergepath_partition_config_static_selectorELNS0_4arch9wavefront6targetE1EEEvSJ_ ; -- Begin function _ZN7rocprim17ROCPRIM_400000_NS6detail17trampoline_kernelINS0_14default_configENS1_38merge_sort_block_merge_config_selectorIiiEEZZNS1_27merge_sort_block_merge_implIS3_N6thrust23THRUST_200600_302600_NS6detail15normal_iteratorINS8_10device_ptrIiEEEESD_jNS1_19radix_merge_compareILb0ELb0EiNS0_19identity_decomposerEEEEE10hipError_tT0_T1_T2_jT3_P12ihipStream_tbPNSt15iterator_traitsISI_E10value_typeEPNSO_ISJ_E10value_typeEPSK_NS1_7vsmem_tEENKUlT_SI_SJ_SK_E_clIPiSD_S10_SD_EESH_SX_SI_SJ_SK_EUlSX_E_NS1_11comp_targetILNS1_3genE10ELNS1_11target_archE1201ELNS1_3gpuE5ELNS1_3repE0EEENS1_48merge_mergepath_partition_config_static_selectorELNS0_4arch9wavefront6targetE1EEEvSJ_
	.globl	_ZN7rocprim17ROCPRIM_400000_NS6detail17trampoline_kernelINS0_14default_configENS1_38merge_sort_block_merge_config_selectorIiiEEZZNS1_27merge_sort_block_merge_implIS3_N6thrust23THRUST_200600_302600_NS6detail15normal_iteratorINS8_10device_ptrIiEEEESD_jNS1_19radix_merge_compareILb0ELb0EiNS0_19identity_decomposerEEEEE10hipError_tT0_T1_T2_jT3_P12ihipStream_tbPNSt15iterator_traitsISI_E10value_typeEPNSO_ISJ_E10value_typeEPSK_NS1_7vsmem_tEENKUlT_SI_SJ_SK_E_clIPiSD_S10_SD_EESH_SX_SI_SJ_SK_EUlSX_E_NS1_11comp_targetILNS1_3genE10ELNS1_11target_archE1201ELNS1_3gpuE5ELNS1_3repE0EEENS1_48merge_mergepath_partition_config_static_selectorELNS0_4arch9wavefront6targetE1EEEvSJ_
	.p2align	8
	.type	_ZN7rocprim17ROCPRIM_400000_NS6detail17trampoline_kernelINS0_14default_configENS1_38merge_sort_block_merge_config_selectorIiiEEZZNS1_27merge_sort_block_merge_implIS3_N6thrust23THRUST_200600_302600_NS6detail15normal_iteratorINS8_10device_ptrIiEEEESD_jNS1_19radix_merge_compareILb0ELb0EiNS0_19identity_decomposerEEEEE10hipError_tT0_T1_T2_jT3_P12ihipStream_tbPNSt15iterator_traitsISI_E10value_typeEPNSO_ISJ_E10value_typeEPSK_NS1_7vsmem_tEENKUlT_SI_SJ_SK_E_clIPiSD_S10_SD_EESH_SX_SI_SJ_SK_EUlSX_E_NS1_11comp_targetILNS1_3genE10ELNS1_11target_archE1201ELNS1_3gpuE5ELNS1_3repE0EEENS1_48merge_mergepath_partition_config_static_selectorELNS0_4arch9wavefront6targetE1EEEvSJ_,@function
_ZN7rocprim17ROCPRIM_400000_NS6detail17trampoline_kernelINS0_14default_configENS1_38merge_sort_block_merge_config_selectorIiiEEZZNS1_27merge_sort_block_merge_implIS3_N6thrust23THRUST_200600_302600_NS6detail15normal_iteratorINS8_10device_ptrIiEEEESD_jNS1_19radix_merge_compareILb0ELb0EiNS0_19identity_decomposerEEEEE10hipError_tT0_T1_T2_jT3_P12ihipStream_tbPNSt15iterator_traitsISI_E10value_typeEPNSO_ISJ_E10value_typeEPSK_NS1_7vsmem_tEENKUlT_SI_SJ_SK_E_clIPiSD_S10_SD_EESH_SX_SI_SJ_SK_EUlSX_E_NS1_11comp_targetILNS1_3genE10ELNS1_11target_archE1201ELNS1_3gpuE5ELNS1_3repE0EEENS1_48merge_mergepath_partition_config_static_selectorELNS0_4arch9wavefront6targetE1EEEvSJ_: ; @_ZN7rocprim17ROCPRIM_400000_NS6detail17trampoline_kernelINS0_14default_configENS1_38merge_sort_block_merge_config_selectorIiiEEZZNS1_27merge_sort_block_merge_implIS3_N6thrust23THRUST_200600_302600_NS6detail15normal_iteratorINS8_10device_ptrIiEEEESD_jNS1_19radix_merge_compareILb0ELb0EiNS0_19identity_decomposerEEEEE10hipError_tT0_T1_T2_jT3_P12ihipStream_tbPNSt15iterator_traitsISI_E10value_typeEPNSO_ISJ_E10value_typeEPSK_NS1_7vsmem_tEENKUlT_SI_SJ_SK_E_clIPiSD_S10_SD_EESH_SX_SI_SJ_SK_EUlSX_E_NS1_11comp_targetILNS1_3genE10ELNS1_11target_archE1201ELNS1_3gpuE5ELNS1_3repE0EEENS1_48merge_mergepath_partition_config_static_selectorELNS0_4arch9wavefront6targetE1EEEvSJ_
; %bb.0:
	.section	.rodata,"a",@progbits
	.p2align	6, 0x0
	.amdhsa_kernel _ZN7rocprim17ROCPRIM_400000_NS6detail17trampoline_kernelINS0_14default_configENS1_38merge_sort_block_merge_config_selectorIiiEEZZNS1_27merge_sort_block_merge_implIS3_N6thrust23THRUST_200600_302600_NS6detail15normal_iteratorINS8_10device_ptrIiEEEESD_jNS1_19radix_merge_compareILb0ELb0EiNS0_19identity_decomposerEEEEE10hipError_tT0_T1_T2_jT3_P12ihipStream_tbPNSt15iterator_traitsISI_E10value_typeEPNSO_ISJ_E10value_typeEPSK_NS1_7vsmem_tEENKUlT_SI_SJ_SK_E_clIPiSD_S10_SD_EESH_SX_SI_SJ_SK_EUlSX_E_NS1_11comp_targetILNS1_3genE10ELNS1_11target_archE1201ELNS1_3gpuE5ELNS1_3repE0EEENS1_48merge_mergepath_partition_config_static_selectorELNS0_4arch9wavefront6targetE1EEEvSJ_
		.amdhsa_group_segment_fixed_size 0
		.amdhsa_private_segment_fixed_size 0
		.amdhsa_kernarg_size 40
		.amdhsa_user_sgpr_count 2
		.amdhsa_user_sgpr_dispatch_ptr 0
		.amdhsa_user_sgpr_queue_ptr 0
		.amdhsa_user_sgpr_kernarg_segment_ptr 1
		.amdhsa_user_sgpr_dispatch_id 0
		.amdhsa_user_sgpr_kernarg_preload_length 0
		.amdhsa_user_sgpr_kernarg_preload_offset 0
		.amdhsa_user_sgpr_private_segment_size 0
		.amdhsa_uses_dynamic_stack 0
		.amdhsa_enable_private_segment 0
		.amdhsa_system_sgpr_workgroup_id_x 1
		.amdhsa_system_sgpr_workgroup_id_y 0
		.amdhsa_system_sgpr_workgroup_id_z 0
		.amdhsa_system_sgpr_workgroup_info 0
		.amdhsa_system_vgpr_workitem_id 0
		.amdhsa_next_free_vgpr 1
		.amdhsa_next_free_sgpr 0
		.amdhsa_accum_offset 4
		.amdhsa_reserve_vcc 0
		.amdhsa_float_round_mode_32 0
		.amdhsa_float_round_mode_16_64 0
		.amdhsa_float_denorm_mode_32 3
		.amdhsa_float_denorm_mode_16_64 3
		.amdhsa_dx10_clamp 1
		.amdhsa_ieee_mode 1
		.amdhsa_fp16_overflow 0
		.amdhsa_tg_split 0
		.amdhsa_exception_fp_ieee_invalid_op 0
		.amdhsa_exception_fp_denorm_src 0
		.amdhsa_exception_fp_ieee_div_zero 0
		.amdhsa_exception_fp_ieee_overflow 0
		.amdhsa_exception_fp_ieee_underflow 0
		.amdhsa_exception_fp_ieee_inexact 0
		.amdhsa_exception_int_div_zero 0
	.end_amdhsa_kernel
	.section	.text._ZN7rocprim17ROCPRIM_400000_NS6detail17trampoline_kernelINS0_14default_configENS1_38merge_sort_block_merge_config_selectorIiiEEZZNS1_27merge_sort_block_merge_implIS3_N6thrust23THRUST_200600_302600_NS6detail15normal_iteratorINS8_10device_ptrIiEEEESD_jNS1_19radix_merge_compareILb0ELb0EiNS0_19identity_decomposerEEEEE10hipError_tT0_T1_T2_jT3_P12ihipStream_tbPNSt15iterator_traitsISI_E10value_typeEPNSO_ISJ_E10value_typeEPSK_NS1_7vsmem_tEENKUlT_SI_SJ_SK_E_clIPiSD_S10_SD_EESH_SX_SI_SJ_SK_EUlSX_E_NS1_11comp_targetILNS1_3genE10ELNS1_11target_archE1201ELNS1_3gpuE5ELNS1_3repE0EEENS1_48merge_mergepath_partition_config_static_selectorELNS0_4arch9wavefront6targetE1EEEvSJ_,"axG",@progbits,_ZN7rocprim17ROCPRIM_400000_NS6detail17trampoline_kernelINS0_14default_configENS1_38merge_sort_block_merge_config_selectorIiiEEZZNS1_27merge_sort_block_merge_implIS3_N6thrust23THRUST_200600_302600_NS6detail15normal_iteratorINS8_10device_ptrIiEEEESD_jNS1_19radix_merge_compareILb0ELb0EiNS0_19identity_decomposerEEEEE10hipError_tT0_T1_T2_jT3_P12ihipStream_tbPNSt15iterator_traitsISI_E10value_typeEPNSO_ISJ_E10value_typeEPSK_NS1_7vsmem_tEENKUlT_SI_SJ_SK_E_clIPiSD_S10_SD_EESH_SX_SI_SJ_SK_EUlSX_E_NS1_11comp_targetILNS1_3genE10ELNS1_11target_archE1201ELNS1_3gpuE5ELNS1_3repE0EEENS1_48merge_mergepath_partition_config_static_selectorELNS0_4arch9wavefront6targetE1EEEvSJ_,comdat
.Lfunc_end1288:
	.size	_ZN7rocprim17ROCPRIM_400000_NS6detail17trampoline_kernelINS0_14default_configENS1_38merge_sort_block_merge_config_selectorIiiEEZZNS1_27merge_sort_block_merge_implIS3_N6thrust23THRUST_200600_302600_NS6detail15normal_iteratorINS8_10device_ptrIiEEEESD_jNS1_19radix_merge_compareILb0ELb0EiNS0_19identity_decomposerEEEEE10hipError_tT0_T1_T2_jT3_P12ihipStream_tbPNSt15iterator_traitsISI_E10value_typeEPNSO_ISJ_E10value_typeEPSK_NS1_7vsmem_tEENKUlT_SI_SJ_SK_E_clIPiSD_S10_SD_EESH_SX_SI_SJ_SK_EUlSX_E_NS1_11comp_targetILNS1_3genE10ELNS1_11target_archE1201ELNS1_3gpuE5ELNS1_3repE0EEENS1_48merge_mergepath_partition_config_static_selectorELNS0_4arch9wavefront6targetE1EEEvSJ_, .Lfunc_end1288-_ZN7rocprim17ROCPRIM_400000_NS6detail17trampoline_kernelINS0_14default_configENS1_38merge_sort_block_merge_config_selectorIiiEEZZNS1_27merge_sort_block_merge_implIS3_N6thrust23THRUST_200600_302600_NS6detail15normal_iteratorINS8_10device_ptrIiEEEESD_jNS1_19radix_merge_compareILb0ELb0EiNS0_19identity_decomposerEEEEE10hipError_tT0_T1_T2_jT3_P12ihipStream_tbPNSt15iterator_traitsISI_E10value_typeEPNSO_ISJ_E10value_typeEPSK_NS1_7vsmem_tEENKUlT_SI_SJ_SK_E_clIPiSD_S10_SD_EESH_SX_SI_SJ_SK_EUlSX_E_NS1_11comp_targetILNS1_3genE10ELNS1_11target_archE1201ELNS1_3gpuE5ELNS1_3repE0EEENS1_48merge_mergepath_partition_config_static_selectorELNS0_4arch9wavefront6targetE1EEEvSJ_
                                        ; -- End function
	.set _ZN7rocprim17ROCPRIM_400000_NS6detail17trampoline_kernelINS0_14default_configENS1_38merge_sort_block_merge_config_selectorIiiEEZZNS1_27merge_sort_block_merge_implIS3_N6thrust23THRUST_200600_302600_NS6detail15normal_iteratorINS8_10device_ptrIiEEEESD_jNS1_19radix_merge_compareILb0ELb0EiNS0_19identity_decomposerEEEEE10hipError_tT0_T1_T2_jT3_P12ihipStream_tbPNSt15iterator_traitsISI_E10value_typeEPNSO_ISJ_E10value_typeEPSK_NS1_7vsmem_tEENKUlT_SI_SJ_SK_E_clIPiSD_S10_SD_EESH_SX_SI_SJ_SK_EUlSX_E_NS1_11comp_targetILNS1_3genE10ELNS1_11target_archE1201ELNS1_3gpuE5ELNS1_3repE0EEENS1_48merge_mergepath_partition_config_static_selectorELNS0_4arch9wavefront6targetE1EEEvSJ_.num_vgpr, 0
	.set _ZN7rocprim17ROCPRIM_400000_NS6detail17trampoline_kernelINS0_14default_configENS1_38merge_sort_block_merge_config_selectorIiiEEZZNS1_27merge_sort_block_merge_implIS3_N6thrust23THRUST_200600_302600_NS6detail15normal_iteratorINS8_10device_ptrIiEEEESD_jNS1_19radix_merge_compareILb0ELb0EiNS0_19identity_decomposerEEEEE10hipError_tT0_T1_T2_jT3_P12ihipStream_tbPNSt15iterator_traitsISI_E10value_typeEPNSO_ISJ_E10value_typeEPSK_NS1_7vsmem_tEENKUlT_SI_SJ_SK_E_clIPiSD_S10_SD_EESH_SX_SI_SJ_SK_EUlSX_E_NS1_11comp_targetILNS1_3genE10ELNS1_11target_archE1201ELNS1_3gpuE5ELNS1_3repE0EEENS1_48merge_mergepath_partition_config_static_selectorELNS0_4arch9wavefront6targetE1EEEvSJ_.num_agpr, 0
	.set _ZN7rocprim17ROCPRIM_400000_NS6detail17trampoline_kernelINS0_14default_configENS1_38merge_sort_block_merge_config_selectorIiiEEZZNS1_27merge_sort_block_merge_implIS3_N6thrust23THRUST_200600_302600_NS6detail15normal_iteratorINS8_10device_ptrIiEEEESD_jNS1_19radix_merge_compareILb0ELb0EiNS0_19identity_decomposerEEEEE10hipError_tT0_T1_T2_jT3_P12ihipStream_tbPNSt15iterator_traitsISI_E10value_typeEPNSO_ISJ_E10value_typeEPSK_NS1_7vsmem_tEENKUlT_SI_SJ_SK_E_clIPiSD_S10_SD_EESH_SX_SI_SJ_SK_EUlSX_E_NS1_11comp_targetILNS1_3genE10ELNS1_11target_archE1201ELNS1_3gpuE5ELNS1_3repE0EEENS1_48merge_mergepath_partition_config_static_selectorELNS0_4arch9wavefront6targetE1EEEvSJ_.numbered_sgpr, 0
	.set _ZN7rocprim17ROCPRIM_400000_NS6detail17trampoline_kernelINS0_14default_configENS1_38merge_sort_block_merge_config_selectorIiiEEZZNS1_27merge_sort_block_merge_implIS3_N6thrust23THRUST_200600_302600_NS6detail15normal_iteratorINS8_10device_ptrIiEEEESD_jNS1_19radix_merge_compareILb0ELb0EiNS0_19identity_decomposerEEEEE10hipError_tT0_T1_T2_jT3_P12ihipStream_tbPNSt15iterator_traitsISI_E10value_typeEPNSO_ISJ_E10value_typeEPSK_NS1_7vsmem_tEENKUlT_SI_SJ_SK_E_clIPiSD_S10_SD_EESH_SX_SI_SJ_SK_EUlSX_E_NS1_11comp_targetILNS1_3genE10ELNS1_11target_archE1201ELNS1_3gpuE5ELNS1_3repE0EEENS1_48merge_mergepath_partition_config_static_selectorELNS0_4arch9wavefront6targetE1EEEvSJ_.num_named_barrier, 0
	.set _ZN7rocprim17ROCPRIM_400000_NS6detail17trampoline_kernelINS0_14default_configENS1_38merge_sort_block_merge_config_selectorIiiEEZZNS1_27merge_sort_block_merge_implIS3_N6thrust23THRUST_200600_302600_NS6detail15normal_iteratorINS8_10device_ptrIiEEEESD_jNS1_19radix_merge_compareILb0ELb0EiNS0_19identity_decomposerEEEEE10hipError_tT0_T1_T2_jT3_P12ihipStream_tbPNSt15iterator_traitsISI_E10value_typeEPNSO_ISJ_E10value_typeEPSK_NS1_7vsmem_tEENKUlT_SI_SJ_SK_E_clIPiSD_S10_SD_EESH_SX_SI_SJ_SK_EUlSX_E_NS1_11comp_targetILNS1_3genE10ELNS1_11target_archE1201ELNS1_3gpuE5ELNS1_3repE0EEENS1_48merge_mergepath_partition_config_static_selectorELNS0_4arch9wavefront6targetE1EEEvSJ_.private_seg_size, 0
	.set _ZN7rocprim17ROCPRIM_400000_NS6detail17trampoline_kernelINS0_14default_configENS1_38merge_sort_block_merge_config_selectorIiiEEZZNS1_27merge_sort_block_merge_implIS3_N6thrust23THRUST_200600_302600_NS6detail15normal_iteratorINS8_10device_ptrIiEEEESD_jNS1_19radix_merge_compareILb0ELb0EiNS0_19identity_decomposerEEEEE10hipError_tT0_T1_T2_jT3_P12ihipStream_tbPNSt15iterator_traitsISI_E10value_typeEPNSO_ISJ_E10value_typeEPSK_NS1_7vsmem_tEENKUlT_SI_SJ_SK_E_clIPiSD_S10_SD_EESH_SX_SI_SJ_SK_EUlSX_E_NS1_11comp_targetILNS1_3genE10ELNS1_11target_archE1201ELNS1_3gpuE5ELNS1_3repE0EEENS1_48merge_mergepath_partition_config_static_selectorELNS0_4arch9wavefront6targetE1EEEvSJ_.uses_vcc, 0
	.set _ZN7rocprim17ROCPRIM_400000_NS6detail17trampoline_kernelINS0_14default_configENS1_38merge_sort_block_merge_config_selectorIiiEEZZNS1_27merge_sort_block_merge_implIS3_N6thrust23THRUST_200600_302600_NS6detail15normal_iteratorINS8_10device_ptrIiEEEESD_jNS1_19radix_merge_compareILb0ELb0EiNS0_19identity_decomposerEEEEE10hipError_tT0_T1_T2_jT3_P12ihipStream_tbPNSt15iterator_traitsISI_E10value_typeEPNSO_ISJ_E10value_typeEPSK_NS1_7vsmem_tEENKUlT_SI_SJ_SK_E_clIPiSD_S10_SD_EESH_SX_SI_SJ_SK_EUlSX_E_NS1_11comp_targetILNS1_3genE10ELNS1_11target_archE1201ELNS1_3gpuE5ELNS1_3repE0EEENS1_48merge_mergepath_partition_config_static_selectorELNS0_4arch9wavefront6targetE1EEEvSJ_.uses_flat_scratch, 0
	.set _ZN7rocprim17ROCPRIM_400000_NS6detail17trampoline_kernelINS0_14default_configENS1_38merge_sort_block_merge_config_selectorIiiEEZZNS1_27merge_sort_block_merge_implIS3_N6thrust23THRUST_200600_302600_NS6detail15normal_iteratorINS8_10device_ptrIiEEEESD_jNS1_19radix_merge_compareILb0ELb0EiNS0_19identity_decomposerEEEEE10hipError_tT0_T1_T2_jT3_P12ihipStream_tbPNSt15iterator_traitsISI_E10value_typeEPNSO_ISJ_E10value_typeEPSK_NS1_7vsmem_tEENKUlT_SI_SJ_SK_E_clIPiSD_S10_SD_EESH_SX_SI_SJ_SK_EUlSX_E_NS1_11comp_targetILNS1_3genE10ELNS1_11target_archE1201ELNS1_3gpuE5ELNS1_3repE0EEENS1_48merge_mergepath_partition_config_static_selectorELNS0_4arch9wavefront6targetE1EEEvSJ_.has_dyn_sized_stack, 0
	.set _ZN7rocprim17ROCPRIM_400000_NS6detail17trampoline_kernelINS0_14default_configENS1_38merge_sort_block_merge_config_selectorIiiEEZZNS1_27merge_sort_block_merge_implIS3_N6thrust23THRUST_200600_302600_NS6detail15normal_iteratorINS8_10device_ptrIiEEEESD_jNS1_19radix_merge_compareILb0ELb0EiNS0_19identity_decomposerEEEEE10hipError_tT0_T1_T2_jT3_P12ihipStream_tbPNSt15iterator_traitsISI_E10value_typeEPNSO_ISJ_E10value_typeEPSK_NS1_7vsmem_tEENKUlT_SI_SJ_SK_E_clIPiSD_S10_SD_EESH_SX_SI_SJ_SK_EUlSX_E_NS1_11comp_targetILNS1_3genE10ELNS1_11target_archE1201ELNS1_3gpuE5ELNS1_3repE0EEENS1_48merge_mergepath_partition_config_static_selectorELNS0_4arch9wavefront6targetE1EEEvSJ_.has_recursion, 0
	.set _ZN7rocprim17ROCPRIM_400000_NS6detail17trampoline_kernelINS0_14default_configENS1_38merge_sort_block_merge_config_selectorIiiEEZZNS1_27merge_sort_block_merge_implIS3_N6thrust23THRUST_200600_302600_NS6detail15normal_iteratorINS8_10device_ptrIiEEEESD_jNS1_19radix_merge_compareILb0ELb0EiNS0_19identity_decomposerEEEEE10hipError_tT0_T1_T2_jT3_P12ihipStream_tbPNSt15iterator_traitsISI_E10value_typeEPNSO_ISJ_E10value_typeEPSK_NS1_7vsmem_tEENKUlT_SI_SJ_SK_E_clIPiSD_S10_SD_EESH_SX_SI_SJ_SK_EUlSX_E_NS1_11comp_targetILNS1_3genE10ELNS1_11target_archE1201ELNS1_3gpuE5ELNS1_3repE0EEENS1_48merge_mergepath_partition_config_static_selectorELNS0_4arch9wavefront6targetE1EEEvSJ_.has_indirect_call, 0
	.section	.AMDGPU.csdata,"",@progbits
; Kernel info:
; codeLenInByte = 0
; TotalNumSgprs: 6
; NumVgprs: 0
; NumAgprs: 0
; TotalNumVgprs: 0
; ScratchSize: 0
; MemoryBound: 0
; FloatMode: 240
; IeeeMode: 1
; LDSByteSize: 0 bytes/workgroup (compile time only)
; SGPRBlocks: 0
; VGPRBlocks: 0
; NumSGPRsForWavesPerEU: 6
; NumVGPRsForWavesPerEU: 1
; AccumOffset: 4
; Occupancy: 8
; WaveLimiterHint : 0
; COMPUTE_PGM_RSRC2:SCRATCH_EN: 0
; COMPUTE_PGM_RSRC2:USER_SGPR: 2
; COMPUTE_PGM_RSRC2:TRAP_HANDLER: 0
; COMPUTE_PGM_RSRC2:TGID_X_EN: 1
; COMPUTE_PGM_RSRC2:TGID_Y_EN: 0
; COMPUTE_PGM_RSRC2:TGID_Z_EN: 0
; COMPUTE_PGM_RSRC2:TIDIG_COMP_CNT: 0
; COMPUTE_PGM_RSRC3_GFX90A:ACCUM_OFFSET: 0
; COMPUTE_PGM_RSRC3_GFX90A:TG_SPLIT: 0
	.section	.text._ZN7rocprim17ROCPRIM_400000_NS6detail17trampoline_kernelINS0_14default_configENS1_38merge_sort_block_merge_config_selectorIiiEEZZNS1_27merge_sort_block_merge_implIS3_N6thrust23THRUST_200600_302600_NS6detail15normal_iteratorINS8_10device_ptrIiEEEESD_jNS1_19radix_merge_compareILb0ELb0EiNS0_19identity_decomposerEEEEE10hipError_tT0_T1_T2_jT3_P12ihipStream_tbPNSt15iterator_traitsISI_E10value_typeEPNSO_ISJ_E10value_typeEPSK_NS1_7vsmem_tEENKUlT_SI_SJ_SK_E_clIPiSD_S10_SD_EESH_SX_SI_SJ_SK_EUlSX_E_NS1_11comp_targetILNS1_3genE5ELNS1_11target_archE942ELNS1_3gpuE9ELNS1_3repE0EEENS1_48merge_mergepath_partition_config_static_selectorELNS0_4arch9wavefront6targetE1EEEvSJ_,"axG",@progbits,_ZN7rocprim17ROCPRIM_400000_NS6detail17trampoline_kernelINS0_14default_configENS1_38merge_sort_block_merge_config_selectorIiiEEZZNS1_27merge_sort_block_merge_implIS3_N6thrust23THRUST_200600_302600_NS6detail15normal_iteratorINS8_10device_ptrIiEEEESD_jNS1_19radix_merge_compareILb0ELb0EiNS0_19identity_decomposerEEEEE10hipError_tT0_T1_T2_jT3_P12ihipStream_tbPNSt15iterator_traitsISI_E10value_typeEPNSO_ISJ_E10value_typeEPSK_NS1_7vsmem_tEENKUlT_SI_SJ_SK_E_clIPiSD_S10_SD_EESH_SX_SI_SJ_SK_EUlSX_E_NS1_11comp_targetILNS1_3genE5ELNS1_11target_archE942ELNS1_3gpuE9ELNS1_3repE0EEENS1_48merge_mergepath_partition_config_static_selectorELNS0_4arch9wavefront6targetE1EEEvSJ_,comdat
	.protected	_ZN7rocprim17ROCPRIM_400000_NS6detail17trampoline_kernelINS0_14default_configENS1_38merge_sort_block_merge_config_selectorIiiEEZZNS1_27merge_sort_block_merge_implIS3_N6thrust23THRUST_200600_302600_NS6detail15normal_iteratorINS8_10device_ptrIiEEEESD_jNS1_19radix_merge_compareILb0ELb0EiNS0_19identity_decomposerEEEEE10hipError_tT0_T1_T2_jT3_P12ihipStream_tbPNSt15iterator_traitsISI_E10value_typeEPNSO_ISJ_E10value_typeEPSK_NS1_7vsmem_tEENKUlT_SI_SJ_SK_E_clIPiSD_S10_SD_EESH_SX_SI_SJ_SK_EUlSX_E_NS1_11comp_targetILNS1_3genE5ELNS1_11target_archE942ELNS1_3gpuE9ELNS1_3repE0EEENS1_48merge_mergepath_partition_config_static_selectorELNS0_4arch9wavefront6targetE1EEEvSJ_ ; -- Begin function _ZN7rocprim17ROCPRIM_400000_NS6detail17trampoline_kernelINS0_14default_configENS1_38merge_sort_block_merge_config_selectorIiiEEZZNS1_27merge_sort_block_merge_implIS3_N6thrust23THRUST_200600_302600_NS6detail15normal_iteratorINS8_10device_ptrIiEEEESD_jNS1_19radix_merge_compareILb0ELb0EiNS0_19identity_decomposerEEEEE10hipError_tT0_T1_T2_jT3_P12ihipStream_tbPNSt15iterator_traitsISI_E10value_typeEPNSO_ISJ_E10value_typeEPSK_NS1_7vsmem_tEENKUlT_SI_SJ_SK_E_clIPiSD_S10_SD_EESH_SX_SI_SJ_SK_EUlSX_E_NS1_11comp_targetILNS1_3genE5ELNS1_11target_archE942ELNS1_3gpuE9ELNS1_3repE0EEENS1_48merge_mergepath_partition_config_static_selectorELNS0_4arch9wavefront6targetE1EEEvSJ_
	.globl	_ZN7rocprim17ROCPRIM_400000_NS6detail17trampoline_kernelINS0_14default_configENS1_38merge_sort_block_merge_config_selectorIiiEEZZNS1_27merge_sort_block_merge_implIS3_N6thrust23THRUST_200600_302600_NS6detail15normal_iteratorINS8_10device_ptrIiEEEESD_jNS1_19radix_merge_compareILb0ELb0EiNS0_19identity_decomposerEEEEE10hipError_tT0_T1_T2_jT3_P12ihipStream_tbPNSt15iterator_traitsISI_E10value_typeEPNSO_ISJ_E10value_typeEPSK_NS1_7vsmem_tEENKUlT_SI_SJ_SK_E_clIPiSD_S10_SD_EESH_SX_SI_SJ_SK_EUlSX_E_NS1_11comp_targetILNS1_3genE5ELNS1_11target_archE942ELNS1_3gpuE9ELNS1_3repE0EEENS1_48merge_mergepath_partition_config_static_selectorELNS0_4arch9wavefront6targetE1EEEvSJ_
	.p2align	8
	.type	_ZN7rocprim17ROCPRIM_400000_NS6detail17trampoline_kernelINS0_14default_configENS1_38merge_sort_block_merge_config_selectorIiiEEZZNS1_27merge_sort_block_merge_implIS3_N6thrust23THRUST_200600_302600_NS6detail15normal_iteratorINS8_10device_ptrIiEEEESD_jNS1_19radix_merge_compareILb0ELb0EiNS0_19identity_decomposerEEEEE10hipError_tT0_T1_T2_jT3_P12ihipStream_tbPNSt15iterator_traitsISI_E10value_typeEPNSO_ISJ_E10value_typeEPSK_NS1_7vsmem_tEENKUlT_SI_SJ_SK_E_clIPiSD_S10_SD_EESH_SX_SI_SJ_SK_EUlSX_E_NS1_11comp_targetILNS1_3genE5ELNS1_11target_archE942ELNS1_3gpuE9ELNS1_3repE0EEENS1_48merge_mergepath_partition_config_static_selectorELNS0_4arch9wavefront6targetE1EEEvSJ_,@function
_ZN7rocprim17ROCPRIM_400000_NS6detail17trampoline_kernelINS0_14default_configENS1_38merge_sort_block_merge_config_selectorIiiEEZZNS1_27merge_sort_block_merge_implIS3_N6thrust23THRUST_200600_302600_NS6detail15normal_iteratorINS8_10device_ptrIiEEEESD_jNS1_19radix_merge_compareILb0ELb0EiNS0_19identity_decomposerEEEEE10hipError_tT0_T1_T2_jT3_P12ihipStream_tbPNSt15iterator_traitsISI_E10value_typeEPNSO_ISJ_E10value_typeEPSK_NS1_7vsmem_tEENKUlT_SI_SJ_SK_E_clIPiSD_S10_SD_EESH_SX_SI_SJ_SK_EUlSX_E_NS1_11comp_targetILNS1_3genE5ELNS1_11target_archE942ELNS1_3gpuE9ELNS1_3repE0EEENS1_48merge_mergepath_partition_config_static_selectorELNS0_4arch9wavefront6targetE1EEEvSJ_: ; @_ZN7rocprim17ROCPRIM_400000_NS6detail17trampoline_kernelINS0_14default_configENS1_38merge_sort_block_merge_config_selectorIiiEEZZNS1_27merge_sort_block_merge_implIS3_N6thrust23THRUST_200600_302600_NS6detail15normal_iteratorINS8_10device_ptrIiEEEESD_jNS1_19radix_merge_compareILb0ELb0EiNS0_19identity_decomposerEEEEE10hipError_tT0_T1_T2_jT3_P12ihipStream_tbPNSt15iterator_traitsISI_E10value_typeEPNSO_ISJ_E10value_typeEPSK_NS1_7vsmem_tEENKUlT_SI_SJ_SK_E_clIPiSD_S10_SD_EESH_SX_SI_SJ_SK_EUlSX_E_NS1_11comp_targetILNS1_3genE5ELNS1_11target_archE942ELNS1_3gpuE9ELNS1_3repE0EEENS1_48merge_mergepath_partition_config_static_selectorELNS0_4arch9wavefront6targetE1EEEvSJ_
; %bb.0:
	.section	.rodata,"a",@progbits
	.p2align	6, 0x0
	.amdhsa_kernel _ZN7rocprim17ROCPRIM_400000_NS6detail17trampoline_kernelINS0_14default_configENS1_38merge_sort_block_merge_config_selectorIiiEEZZNS1_27merge_sort_block_merge_implIS3_N6thrust23THRUST_200600_302600_NS6detail15normal_iteratorINS8_10device_ptrIiEEEESD_jNS1_19radix_merge_compareILb0ELb0EiNS0_19identity_decomposerEEEEE10hipError_tT0_T1_T2_jT3_P12ihipStream_tbPNSt15iterator_traitsISI_E10value_typeEPNSO_ISJ_E10value_typeEPSK_NS1_7vsmem_tEENKUlT_SI_SJ_SK_E_clIPiSD_S10_SD_EESH_SX_SI_SJ_SK_EUlSX_E_NS1_11comp_targetILNS1_3genE5ELNS1_11target_archE942ELNS1_3gpuE9ELNS1_3repE0EEENS1_48merge_mergepath_partition_config_static_selectorELNS0_4arch9wavefront6targetE1EEEvSJ_
		.amdhsa_group_segment_fixed_size 0
		.amdhsa_private_segment_fixed_size 0
		.amdhsa_kernarg_size 40
		.amdhsa_user_sgpr_count 2
		.amdhsa_user_sgpr_dispatch_ptr 0
		.amdhsa_user_sgpr_queue_ptr 0
		.amdhsa_user_sgpr_kernarg_segment_ptr 1
		.amdhsa_user_sgpr_dispatch_id 0
		.amdhsa_user_sgpr_kernarg_preload_length 0
		.amdhsa_user_sgpr_kernarg_preload_offset 0
		.amdhsa_user_sgpr_private_segment_size 0
		.amdhsa_uses_dynamic_stack 0
		.amdhsa_enable_private_segment 0
		.amdhsa_system_sgpr_workgroup_id_x 1
		.amdhsa_system_sgpr_workgroup_id_y 0
		.amdhsa_system_sgpr_workgroup_id_z 0
		.amdhsa_system_sgpr_workgroup_info 0
		.amdhsa_system_vgpr_workitem_id 0
		.amdhsa_next_free_vgpr 1
		.amdhsa_next_free_sgpr 0
		.amdhsa_accum_offset 4
		.amdhsa_reserve_vcc 0
		.amdhsa_float_round_mode_32 0
		.amdhsa_float_round_mode_16_64 0
		.amdhsa_float_denorm_mode_32 3
		.amdhsa_float_denorm_mode_16_64 3
		.amdhsa_dx10_clamp 1
		.amdhsa_ieee_mode 1
		.amdhsa_fp16_overflow 0
		.amdhsa_tg_split 0
		.amdhsa_exception_fp_ieee_invalid_op 0
		.amdhsa_exception_fp_denorm_src 0
		.amdhsa_exception_fp_ieee_div_zero 0
		.amdhsa_exception_fp_ieee_overflow 0
		.amdhsa_exception_fp_ieee_underflow 0
		.amdhsa_exception_fp_ieee_inexact 0
		.amdhsa_exception_int_div_zero 0
	.end_amdhsa_kernel
	.section	.text._ZN7rocprim17ROCPRIM_400000_NS6detail17trampoline_kernelINS0_14default_configENS1_38merge_sort_block_merge_config_selectorIiiEEZZNS1_27merge_sort_block_merge_implIS3_N6thrust23THRUST_200600_302600_NS6detail15normal_iteratorINS8_10device_ptrIiEEEESD_jNS1_19radix_merge_compareILb0ELb0EiNS0_19identity_decomposerEEEEE10hipError_tT0_T1_T2_jT3_P12ihipStream_tbPNSt15iterator_traitsISI_E10value_typeEPNSO_ISJ_E10value_typeEPSK_NS1_7vsmem_tEENKUlT_SI_SJ_SK_E_clIPiSD_S10_SD_EESH_SX_SI_SJ_SK_EUlSX_E_NS1_11comp_targetILNS1_3genE5ELNS1_11target_archE942ELNS1_3gpuE9ELNS1_3repE0EEENS1_48merge_mergepath_partition_config_static_selectorELNS0_4arch9wavefront6targetE1EEEvSJ_,"axG",@progbits,_ZN7rocprim17ROCPRIM_400000_NS6detail17trampoline_kernelINS0_14default_configENS1_38merge_sort_block_merge_config_selectorIiiEEZZNS1_27merge_sort_block_merge_implIS3_N6thrust23THRUST_200600_302600_NS6detail15normal_iteratorINS8_10device_ptrIiEEEESD_jNS1_19radix_merge_compareILb0ELb0EiNS0_19identity_decomposerEEEEE10hipError_tT0_T1_T2_jT3_P12ihipStream_tbPNSt15iterator_traitsISI_E10value_typeEPNSO_ISJ_E10value_typeEPSK_NS1_7vsmem_tEENKUlT_SI_SJ_SK_E_clIPiSD_S10_SD_EESH_SX_SI_SJ_SK_EUlSX_E_NS1_11comp_targetILNS1_3genE5ELNS1_11target_archE942ELNS1_3gpuE9ELNS1_3repE0EEENS1_48merge_mergepath_partition_config_static_selectorELNS0_4arch9wavefront6targetE1EEEvSJ_,comdat
.Lfunc_end1289:
	.size	_ZN7rocprim17ROCPRIM_400000_NS6detail17trampoline_kernelINS0_14default_configENS1_38merge_sort_block_merge_config_selectorIiiEEZZNS1_27merge_sort_block_merge_implIS3_N6thrust23THRUST_200600_302600_NS6detail15normal_iteratorINS8_10device_ptrIiEEEESD_jNS1_19radix_merge_compareILb0ELb0EiNS0_19identity_decomposerEEEEE10hipError_tT0_T1_T2_jT3_P12ihipStream_tbPNSt15iterator_traitsISI_E10value_typeEPNSO_ISJ_E10value_typeEPSK_NS1_7vsmem_tEENKUlT_SI_SJ_SK_E_clIPiSD_S10_SD_EESH_SX_SI_SJ_SK_EUlSX_E_NS1_11comp_targetILNS1_3genE5ELNS1_11target_archE942ELNS1_3gpuE9ELNS1_3repE0EEENS1_48merge_mergepath_partition_config_static_selectorELNS0_4arch9wavefront6targetE1EEEvSJ_, .Lfunc_end1289-_ZN7rocprim17ROCPRIM_400000_NS6detail17trampoline_kernelINS0_14default_configENS1_38merge_sort_block_merge_config_selectorIiiEEZZNS1_27merge_sort_block_merge_implIS3_N6thrust23THRUST_200600_302600_NS6detail15normal_iteratorINS8_10device_ptrIiEEEESD_jNS1_19radix_merge_compareILb0ELb0EiNS0_19identity_decomposerEEEEE10hipError_tT0_T1_T2_jT3_P12ihipStream_tbPNSt15iterator_traitsISI_E10value_typeEPNSO_ISJ_E10value_typeEPSK_NS1_7vsmem_tEENKUlT_SI_SJ_SK_E_clIPiSD_S10_SD_EESH_SX_SI_SJ_SK_EUlSX_E_NS1_11comp_targetILNS1_3genE5ELNS1_11target_archE942ELNS1_3gpuE9ELNS1_3repE0EEENS1_48merge_mergepath_partition_config_static_selectorELNS0_4arch9wavefront6targetE1EEEvSJ_
                                        ; -- End function
	.set _ZN7rocprim17ROCPRIM_400000_NS6detail17trampoline_kernelINS0_14default_configENS1_38merge_sort_block_merge_config_selectorIiiEEZZNS1_27merge_sort_block_merge_implIS3_N6thrust23THRUST_200600_302600_NS6detail15normal_iteratorINS8_10device_ptrIiEEEESD_jNS1_19radix_merge_compareILb0ELb0EiNS0_19identity_decomposerEEEEE10hipError_tT0_T1_T2_jT3_P12ihipStream_tbPNSt15iterator_traitsISI_E10value_typeEPNSO_ISJ_E10value_typeEPSK_NS1_7vsmem_tEENKUlT_SI_SJ_SK_E_clIPiSD_S10_SD_EESH_SX_SI_SJ_SK_EUlSX_E_NS1_11comp_targetILNS1_3genE5ELNS1_11target_archE942ELNS1_3gpuE9ELNS1_3repE0EEENS1_48merge_mergepath_partition_config_static_selectorELNS0_4arch9wavefront6targetE1EEEvSJ_.num_vgpr, 0
	.set _ZN7rocprim17ROCPRIM_400000_NS6detail17trampoline_kernelINS0_14default_configENS1_38merge_sort_block_merge_config_selectorIiiEEZZNS1_27merge_sort_block_merge_implIS3_N6thrust23THRUST_200600_302600_NS6detail15normal_iteratorINS8_10device_ptrIiEEEESD_jNS1_19radix_merge_compareILb0ELb0EiNS0_19identity_decomposerEEEEE10hipError_tT0_T1_T2_jT3_P12ihipStream_tbPNSt15iterator_traitsISI_E10value_typeEPNSO_ISJ_E10value_typeEPSK_NS1_7vsmem_tEENKUlT_SI_SJ_SK_E_clIPiSD_S10_SD_EESH_SX_SI_SJ_SK_EUlSX_E_NS1_11comp_targetILNS1_3genE5ELNS1_11target_archE942ELNS1_3gpuE9ELNS1_3repE0EEENS1_48merge_mergepath_partition_config_static_selectorELNS0_4arch9wavefront6targetE1EEEvSJ_.num_agpr, 0
	.set _ZN7rocprim17ROCPRIM_400000_NS6detail17trampoline_kernelINS0_14default_configENS1_38merge_sort_block_merge_config_selectorIiiEEZZNS1_27merge_sort_block_merge_implIS3_N6thrust23THRUST_200600_302600_NS6detail15normal_iteratorINS8_10device_ptrIiEEEESD_jNS1_19radix_merge_compareILb0ELb0EiNS0_19identity_decomposerEEEEE10hipError_tT0_T1_T2_jT3_P12ihipStream_tbPNSt15iterator_traitsISI_E10value_typeEPNSO_ISJ_E10value_typeEPSK_NS1_7vsmem_tEENKUlT_SI_SJ_SK_E_clIPiSD_S10_SD_EESH_SX_SI_SJ_SK_EUlSX_E_NS1_11comp_targetILNS1_3genE5ELNS1_11target_archE942ELNS1_3gpuE9ELNS1_3repE0EEENS1_48merge_mergepath_partition_config_static_selectorELNS0_4arch9wavefront6targetE1EEEvSJ_.numbered_sgpr, 0
	.set _ZN7rocprim17ROCPRIM_400000_NS6detail17trampoline_kernelINS0_14default_configENS1_38merge_sort_block_merge_config_selectorIiiEEZZNS1_27merge_sort_block_merge_implIS3_N6thrust23THRUST_200600_302600_NS6detail15normal_iteratorINS8_10device_ptrIiEEEESD_jNS1_19radix_merge_compareILb0ELb0EiNS0_19identity_decomposerEEEEE10hipError_tT0_T1_T2_jT3_P12ihipStream_tbPNSt15iterator_traitsISI_E10value_typeEPNSO_ISJ_E10value_typeEPSK_NS1_7vsmem_tEENKUlT_SI_SJ_SK_E_clIPiSD_S10_SD_EESH_SX_SI_SJ_SK_EUlSX_E_NS1_11comp_targetILNS1_3genE5ELNS1_11target_archE942ELNS1_3gpuE9ELNS1_3repE0EEENS1_48merge_mergepath_partition_config_static_selectorELNS0_4arch9wavefront6targetE1EEEvSJ_.num_named_barrier, 0
	.set _ZN7rocprim17ROCPRIM_400000_NS6detail17trampoline_kernelINS0_14default_configENS1_38merge_sort_block_merge_config_selectorIiiEEZZNS1_27merge_sort_block_merge_implIS3_N6thrust23THRUST_200600_302600_NS6detail15normal_iteratorINS8_10device_ptrIiEEEESD_jNS1_19radix_merge_compareILb0ELb0EiNS0_19identity_decomposerEEEEE10hipError_tT0_T1_T2_jT3_P12ihipStream_tbPNSt15iterator_traitsISI_E10value_typeEPNSO_ISJ_E10value_typeEPSK_NS1_7vsmem_tEENKUlT_SI_SJ_SK_E_clIPiSD_S10_SD_EESH_SX_SI_SJ_SK_EUlSX_E_NS1_11comp_targetILNS1_3genE5ELNS1_11target_archE942ELNS1_3gpuE9ELNS1_3repE0EEENS1_48merge_mergepath_partition_config_static_selectorELNS0_4arch9wavefront6targetE1EEEvSJ_.private_seg_size, 0
	.set _ZN7rocprim17ROCPRIM_400000_NS6detail17trampoline_kernelINS0_14default_configENS1_38merge_sort_block_merge_config_selectorIiiEEZZNS1_27merge_sort_block_merge_implIS3_N6thrust23THRUST_200600_302600_NS6detail15normal_iteratorINS8_10device_ptrIiEEEESD_jNS1_19radix_merge_compareILb0ELb0EiNS0_19identity_decomposerEEEEE10hipError_tT0_T1_T2_jT3_P12ihipStream_tbPNSt15iterator_traitsISI_E10value_typeEPNSO_ISJ_E10value_typeEPSK_NS1_7vsmem_tEENKUlT_SI_SJ_SK_E_clIPiSD_S10_SD_EESH_SX_SI_SJ_SK_EUlSX_E_NS1_11comp_targetILNS1_3genE5ELNS1_11target_archE942ELNS1_3gpuE9ELNS1_3repE0EEENS1_48merge_mergepath_partition_config_static_selectorELNS0_4arch9wavefront6targetE1EEEvSJ_.uses_vcc, 0
	.set _ZN7rocprim17ROCPRIM_400000_NS6detail17trampoline_kernelINS0_14default_configENS1_38merge_sort_block_merge_config_selectorIiiEEZZNS1_27merge_sort_block_merge_implIS3_N6thrust23THRUST_200600_302600_NS6detail15normal_iteratorINS8_10device_ptrIiEEEESD_jNS1_19radix_merge_compareILb0ELb0EiNS0_19identity_decomposerEEEEE10hipError_tT0_T1_T2_jT3_P12ihipStream_tbPNSt15iterator_traitsISI_E10value_typeEPNSO_ISJ_E10value_typeEPSK_NS1_7vsmem_tEENKUlT_SI_SJ_SK_E_clIPiSD_S10_SD_EESH_SX_SI_SJ_SK_EUlSX_E_NS1_11comp_targetILNS1_3genE5ELNS1_11target_archE942ELNS1_3gpuE9ELNS1_3repE0EEENS1_48merge_mergepath_partition_config_static_selectorELNS0_4arch9wavefront6targetE1EEEvSJ_.uses_flat_scratch, 0
	.set _ZN7rocprim17ROCPRIM_400000_NS6detail17trampoline_kernelINS0_14default_configENS1_38merge_sort_block_merge_config_selectorIiiEEZZNS1_27merge_sort_block_merge_implIS3_N6thrust23THRUST_200600_302600_NS6detail15normal_iteratorINS8_10device_ptrIiEEEESD_jNS1_19radix_merge_compareILb0ELb0EiNS0_19identity_decomposerEEEEE10hipError_tT0_T1_T2_jT3_P12ihipStream_tbPNSt15iterator_traitsISI_E10value_typeEPNSO_ISJ_E10value_typeEPSK_NS1_7vsmem_tEENKUlT_SI_SJ_SK_E_clIPiSD_S10_SD_EESH_SX_SI_SJ_SK_EUlSX_E_NS1_11comp_targetILNS1_3genE5ELNS1_11target_archE942ELNS1_3gpuE9ELNS1_3repE0EEENS1_48merge_mergepath_partition_config_static_selectorELNS0_4arch9wavefront6targetE1EEEvSJ_.has_dyn_sized_stack, 0
	.set _ZN7rocprim17ROCPRIM_400000_NS6detail17trampoline_kernelINS0_14default_configENS1_38merge_sort_block_merge_config_selectorIiiEEZZNS1_27merge_sort_block_merge_implIS3_N6thrust23THRUST_200600_302600_NS6detail15normal_iteratorINS8_10device_ptrIiEEEESD_jNS1_19radix_merge_compareILb0ELb0EiNS0_19identity_decomposerEEEEE10hipError_tT0_T1_T2_jT3_P12ihipStream_tbPNSt15iterator_traitsISI_E10value_typeEPNSO_ISJ_E10value_typeEPSK_NS1_7vsmem_tEENKUlT_SI_SJ_SK_E_clIPiSD_S10_SD_EESH_SX_SI_SJ_SK_EUlSX_E_NS1_11comp_targetILNS1_3genE5ELNS1_11target_archE942ELNS1_3gpuE9ELNS1_3repE0EEENS1_48merge_mergepath_partition_config_static_selectorELNS0_4arch9wavefront6targetE1EEEvSJ_.has_recursion, 0
	.set _ZN7rocprim17ROCPRIM_400000_NS6detail17trampoline_kernelINS0_14default_configENS1_38merge_sort_block_merge_config_selectorIiiEEZZNS1_27merge_sort_block_merge_implIS3_N6thrust23THRUST_200600_302600_NS6detail15normal_iteratorINS8_10device_ptrIiEEEESD_jNS1_19radix_merge_compareILb0ELb0EiNS0_19identity_decomposerEEEEE10hipError_tT0_T1_T2_jT3_P12ihipStream_tbPNSt15iterator_traitsISI_E10value_typeEPNSO_ISJ_E10value_typeEPSK_NS1_7vsmem_tEENKUlT_SI_SJ_SK_E_clIPiSD_S10_SD_EESH_SX_SI_SJ_SK_EUlSX_E_NS1_11comp_targetILNS1_3genE5ELNS1_11target_archE942ELNS1_3gpuE9ELNS1_3repE0EEENS1_48merge_mergepath_partition_config_static_selectorELNS0_4arch9wavefront6targetE1EEEvSJ_.has_indirect_call, 0
	.section	.AMDGPU.csdata,"",@progbits
; Kernel info:
; codeLenInByte = 0
; TotalNumSgprs: 6
; NumVgprs: 0
; NumAgprs: 0
; TotalNumVgprs: 0
; ScratchSize: 0
; MemoryBound: 0
; FloatMode: 240
; IeeeMode: 1
; LDSByteSize: 0 bytes/workgroup (compile time only)
; SGPRBlocks: 0
; VGPRBlocks: 0
; NumSGPRsForWavesPerEU: 6
; NumVGPRsForWavesPerEU: 1
; AccumOffset: 4
; Occupancy: 8
; WaveLimiterHint : 0
; COMPUTE_PGM_RSRC2:SCRATCH_EN: 0
; COMPUTE_PGM_RSRC2:USER_SGPR: 2
; COMPUTE_PGM_RSRC2:TRAP_HANDLER: 0
; COMPUTE_PGM_RSRC2:TGID_X_EN: 1
; COMPUTE_PGM_RSRC2:TGID_Y_EN: 0
; COMPUTE_PGM_RSRC2:TGID_Z_EN: 0
; COMPUTE_PGM_RSRC2:TIDIG_COMP_CNT: 0
; COMPUTE_PGM_RSRC3_GFX90A:ACCUM_OFFSET: 0
; COMPUTE_PGM_RSRC3_GFX90A:TG_SPLIT: 0
	.section	.text._ZN7rocprim17ROCPRIM_400000_NS6detail17trampoline_kernelINS0_14default_configENS1_38merge_sort_block_merge_config_selectorIiiEEZZNS1_27merge_sort_block_merge_implIS3_N6thrust23THRUST_200600_302600_NS6detail15normal_iteratorINS8_10device_ptrIiEEEESD_jNS1_19radix_merge_compareILb0ELb0EiNS0_19identity_decomposerEEEEE10hipError_tT0_T1_T2_jT3_P12ihipStream_tbPNSt15iterator_traitsISI_E10value_typeEPNSO_ISJ_E10value_typeEPSK_NS1_7vsmem_tEENKUlT_SI_SJ_SK_E_clIPiSD_S10_SD_EESH_SX_SI_SJ_SK_EUlSX_E_NS1_11comp_targetILNS1_3genE4ELNS1_11target_archE910ELNS1_3gpuE8ELNS1_3repE0EEENS1_48merge_mergepath_partition_config_static_selectorELNS0_4arch9wavefront6targetE1EEEvSJ_,"axG",@progbits,_ZN7rocprim17ROCPRIM_400000_NS6detail17trampoline_kernelINS0_14default_configENS1_38merge_sort_block_merge_config_selectorIiiEEZZNS1_27merge_sort_block_merge_implIS3_N6thrust23THRUST_200600_302600_NS6detail15normal_iteratorINS8_10device_ptrIiEEEESD_jNS1_19radix_merge_compareILb0ELb0EiNS0_19identity_decomposerEEEEE10hipError_tT0_T1_T2_jT3_P12ihipStream_tbPNSt15iterator_traitsISI_E10value_typeEPNSO_ISJ_E10value_typeEPSK_NS1_7vsmem_tEENKUlT_SI_SJ_SK_E_clIPiSD_S10_SD_EESH_SX_SI_SJ_SK_EUlSX_E_NS1_11comp_targetILNS1_3genE4ELNS1_11target_archE910ELNS1_3gpuE8ELNS1_3repE0EEENS1_48merge_mergepath_partition_config_static_selectorELNS0_4arch9wavefront6targetE1EEEvSJ_,comdat
	.protected	_ZN7rocprim17ROCPRIM_400000_NS6detail17trampoline_kernelINS0_14default_configENS1_38merge_sort_block_merge_config_selectorIiiEEZZNS1_27merge_sort_block_merge_implIS3_N6thrust23THRUST_200600_302600_NS6detail15normal_iteratorINS8_10device_ptrIiEEEESD_jNS1_19radix_merge_compareILb0ELb0EiNS0_19identity_decomposerEEEEE10hipError_tT0_T1_T2_jT3_P12ihipStream_tbPNSt15iterator_traitsISI_E10value_typeEPNSO_ISJ_E10value_typeEPSK_NS1_7vsmem_tEENKUlT_SI_SJ_SK_E_clIPiSD_S10_SD_EESH_SX_SI_SJ_SK_EUlSX_E_NS1_11comp_targetILNS1_3genE4ELNS1_11target_archE910ELNS1_3gpuE8ELNS1_3repE0EEENS1_48merge_mergepath_partition_config_static_selectorELNS0_4arch9wavefront6targetE1EEEvSJ_ ; -- Begin function _ZN7rocprim17ROCPRIM_400000_NS6detail17trampoline_kernelINS0_14default_configENS1_38merge_sort_block_merge_config_selectorIiiEEZZNS1_27merge_sort_block_merge_implIS3_N6thrust23THRUST_200600_302600_NS6detail15normal_iteratorINS8_10device_ptrIiEEEESD_jNS1_19radix_merge_compareILb0ELb0EiNS0_19identity_decomposerEEEEE10hipError_tT0_T1_T2_jT3_P12ihipStream_tbPNSt15iterator_traitsISI_E10value_typeEPNSO_ISJ_E10value_typeEPSK_NS1_7vsmem_tEENKUlT_SI_SJ_SK_E_clIPiSD_S10_SD_EESH_SX_SI_SJ_SK_EUlSX_E_NS1_11comp_targetILNS1_3genE4ELNS1_11target_archE910ELNS1_3gpuE8ELNS1_3repE0EEENS1_48merge_mergepath_partition_config_static_selectorELNS0_4arch9wavefront6targetE1EEEvSJ_
	.globl	_ZN7rocprim17ROCPRIM_400000_NS6detail17trampoline_kernelINS0_14default_configENS1_38merge_sort_block_merge_config_selectorIiiEEZZNS1_27merge_sort_block_merge_implIS3_N6thrust23THRUST_200600_302600_NS6detail15normal_iteratorINS8_10device_ptrIiEEEESD_jNS1_19radix_merge_compareILb0ELb0EiNS0_19identity_decomposerEEEEE10hipError_tT0_T1_T2_jT3_P12ihipStream_tbPNSt15iterator_traitsISI_E10value_typeEPNSO_ISJ_E10value_typeEPSK_NS1_7vsmem_tEENKUlT_SI_SJ_SK_E_clIPiSD_S10_SD_EESH_SX_SI_SJ_SK_EUlSX_E_NS1_11comp_targetILNS1_3genE4ELNS1_11target_archE910ELNS1_3gpuE8ELNS1_3repE0EEENS1_48merge_mergepath_partition_config_static_selectorELNS0_4arch9wavefront6targetE1EEEvSJ_
	.p2align	8
	.type	_ZN7rocprim17ROCPRIM_400000_NS6detail17trampoline_kernelINS0_14default_configENS1_38merge_sort_block_merge_config_selectorIiiEEZZNS1_27merge_sort_block_merge_implIS3_N6thrust23THRUST_200600_302600_NS6detail15normal_iteratorINS8_10device_ptrIiEEEESD_jNS1_19radix_merge_compareILb0ELb0EiNS0_19identity_decomposerEEEEE10hipError_tT0_T1_T2_jT3_P12ihipStream_tbPNSt15iterator_traitsISI_E10value_typeEPNSO_ISJ_E10value_typeEPSK_NS1_7vsmem_tEENKUlT_SI_SJ_SK_E_clIPiSD_S10_SD_EESH_SX_SI_SJ_SK_EUlSX_E_NS1_11comp_targetILNS1_3genE4ELNS1_11target_archE910ELNS1_3gpuE8ELNS1_3repE0EEENS1_48merge_mergepath_partition_config_static_selectorELNS0_4arch9wavefront6targetE1EEEvSJ_,@function
_ZN7rocprim17ROCPRIM_400000_NS6detail17trampoline_kernelINS0_14default_configENS1_38merge_sort_block_merge_config_selectorIiiEEZZNS1_27merge_sort_block_merge_implIS3_N6thrust23THRUST_200600_302600_NS6detail15normal_iteratorINS8_10device_ptrIiEEEESD_jNS1_19radix_merge_compareILb0ELb0EiNS0_19identity_decomposerEEEEE10hipError_tT0_T1_T2_jT3_P12ihipStream_tbPNSt15iterator_traitsISI_E10value_typeEPNSO_ISJ_E10value_typeEPSK_NS1_7vsmem_tEENKUlT_SI_SJ_SK_E_clIPiSD_S10_SD_EESH_SX_SI_SJ_SK_EUlSX_E_NS1_11comp_targetILNS1_3genE4ELNS1_11target_archE910ELNS1_3gpuE8ELNS1_3repE0EEENS1_48merge_mergepath_partition_config_static_selectorELNS0_4arch9wavefront6targetE1EEEvSJ_: ; @_ZN7rocprim17ROCPRIM_400000_NS6detail17trampoline_kernelINS0_14default_configENS1_38merge_sort_block_merge_config_selectorIiiEEZZNS1_27merge_sort_block_merge_implIS3_N6thrust23THRUST_200600_302600_NS6detail15normal_iteratorINS8_10device_ptrIiEEEESD_jNS1_19radix_merge_compareILb0ELb0EiNS0_19identity_decomposerEEEEE10hipError_tT0_T1_T2_jT3_P12ihipStream_tbPNSt15iterator_traitsISI_E10value_typeEPNSO_ISJ_E10value_typeEPSK_NS1_7vsmem_tEENKUlT_SI_SJ_SK_E_clIPiSD_S10_SD_EESH_SX_SI_SJ_SK_EUlSX_E_NS1_11comp_targetILNS1_3genE4ELNS1_11target_archE910ELNS1_3gpuE8ELNS1_3repE0EEENS1_48merge_mergepath_partition_config_static_selectorELNS0_4arch9wavefront6targetE1EEEvSJ_
; %bb.0:
	.section	.rodata,"a",@progbits
	.p2align	6, 0x0
	.amdhsa_kernel _ZN7rocprim17ROCPRIM_400000_NS6detail17trampoline_kernelINS0_14default_configENS1_38merge_sort_block_merge_config_selectorIiiEEZZNS1_27merge_sort_block_merge_implIS3_N6thrust23THRUST_200600_302600_NS6detail15normal_iteratorINS8_10device_ptrIiEEEESD_jNS1_19radix_merge_compareILb0ELb0EiNS0_19identity_decomposerEEEEE10hipError_tT0_T1_T2_jT3_P12ihipStream_tbPNSt15iterator_traitsISI_E10value_typeEPNSO_ISJ_E10value_typeEPSK_NS1_7vsmem_tEENKUlT_SI_SJ_SK_E_clIPiSD_S10_SD_EESH_SX_SI_SJ_SK_EUlSX_E_NS1_11comp_targetILNS1_3genE4ELNS1_11target_archE910ELNS1_3gpuE8ELNS1_3repE0EEENS1_48merge_mergepath_partition_config_static_selectorELNS0_4arch9wavefront6targetE1EEEvSJ_
		.amdhsa_group_segment_fixed_size 0
		.amdhsa_private_segment_fixed_size 0
		.amdhsa_kernarg_size 40
		.amdhsa_user_sgpr_count 2
		.amdhsa_user_sgpr_dispatch_ptr 0
		.amdhsa_user_sgpr_queue_ptr 0
		.amdhsa_user_sgpr_kernarg_segment_ptr 1
		.amdhsa_user_sgpr_dispatch_id 0
		.amdhsa_user_sgpr_kernarg_preload_length 0
		.amdhsa_user_sgpr_kernarg_preload_offset 0
		.amdhsa_user_sgpr_private_segment_size 0
		.amdhsa_uses_dynamic_stack 0
		.amdhsa_enable_private_segment 0
		.amdhsa_system_sgpr_workgroup_id_x 1
		.amdhsa_system_sgpr_workgroup_id_y 0
		.amdhsa_system_sgpr_workgroup_id_z 0
		.amdhsa_system_sgpr_workgroup_info 0
		.amdhsa_system_vgpr_workitem_id 0
		.amdhsa_next_free_vgpr 1
		.amdhsa_next_free_sgpr 0
		.amdhsa_accum_offset 4
		.amdhsa_reserve_vcc 0
		.amdhsa_float_round_mode_32 0
		.amdhsa_float_round_mode_16_64 0
		.amdhsa_float_denorm_mode_32 3
		.amdhsa_float_denorm_mode_16_64 3
		.amdhsa_dx10_clamp 1
		.amdhsa_ieee_mode 1
		.amdhsa_fp16_overflow 0
		.amdhsa_tg_split 0
		.amdhsa_exception_fp_ieee_invalid_op 0
		.amdhsa_exception_fp_denorm_src 0
		.amdhsa_exception_fp_ieee_div_zero 0
		.amdhsa_exception_fp_ieee_overflow 0
		.amdhsa_exception_fp_ieee_underflow 0
		.amdhsa_exception_fp_ieee_inexact 0
		.amdhsa_exception_int_div_zero 0
	.end_amdhsa_kernel
	.section	.text._ZN7rocprim17ROCPRIM_400000_NS6detail17trampoline_kernelINS0_14default_configENS1_38merge_sort_block_merge_config_selectorIiiEEZZNS1_27merge_sort_block_merge_implIS3_N6thrust23THRUST_200600_302600_NS6detail15normal_iteratorINS8_10device_ptrIiEEEESD_jNS1_19radix_merge_compareILb0ELb0EiNS0_19identity_decomposerEEEEE10hipError_tT0_T1_T2_jT3_P12ihipStream_tbPNSt15iterator_traitsISI_E10value_typeEPNSO_ISJ_E10value_typeEPSK_NS1_7vsmem_tEENKUlT_SI_SJ_SK_E_clIPiSD_S10_SD_EESH_SX_SI_SJ_SK_EUlSX_E_NS1_11comp_targetILNS1_3genE4ELNS1_11target_archE910ELNS1_3gpuE8ELNS1_3repE0EEENS1_48merge_mergepath_partition_config_static_selectorELNS0_4arch9wavefront6targetE1EEEvSJ_,"axG",@progbits,_ZN7rocprim17ROCPRIM_400000_NS6detail17trampoline_kernelINS0_14default_configENS1_38merge_sort_block_merge_config_selectorIiiEEZZNS1_27merge_sort_block_merge_implIS3_N6thrust23THRUST_200600_302600_NS6detail15normal_iteratorINS8_10device_ptrIiEEEESD_jNS1_19radix_merge_compareILb0ELb0EiNS0_19identity_decomposerEEEEE10hipError_tT0_T1_T2_jT3_P12ihipStream_tbPNSt15iterator_traitsISI_E10value_typeEPNSO_ISJ_E10value_typeEPSK_NS1_7vsmem_tEENKUlT_SI_SJ_SK_E_clIPiSD_S10_SD_EESH_SX_SI_SJ_SK_EUlSX_E_NS1_11comp_targetILNS1_3genE4ELNS1_11target_archE910ELNS1_3gpuE8ELNS1_3repE0EEENS1_48merge_mergepath_partition_config_static_selectorELNS0_4arch9wavefront6targetE1EEEvSJ_,comdat
.Lfunc_end1290:
	.size	_ZN7rocprim17ROCPRIM_400000_NS6detail17trampoline_kernelINS0_14default_configENS1_38merge_sort_block_merge_config_selectorIiiEEZZNS1_27merge_sort_block_merge_implIS3_N6thrust23THRUST_200600_302600_NS6detail15normal_iteratorINS8_10device_ptrIiEEEESD_jNS1_19radix_merge_compareILb0ELb0EiNS0_19identity_decomposerEEEEE10hipError_tT0_T1_T2_jT3_P12ihipStream_tbPNSt15iterator_traitsISI_E10value_typeEPNSO_ISJ_E10value_typeEPSK_NS1_7vsmem_tEENKUlT_SI_SJ_SK_E_clIPiSD_S10_SD_EESH_SX_SI_SJ_SK_EUlSX_E_NS1_11comp_targetILNS1_3genE4ELNS1_11target_archE910ELNS1_3gpuE8ELNS1_3repE0EEENS1_48merge_mergepath_partition_config_static_selectorELNS0_4arch9wavefront6targetE1EEEvSJ_, .Lfunc_end1290-_ZN7rocprim17ROCPRIM_400000_NS6detail17trampoline_kernelINS0_14default_configENS1_38merge_sort_block_merge_config_selectorIiiEEZZNS1_27merge_sort_block_merge_implIS3_N6thrust23THRUST_200600_302600_NS6detail15normal_iteratorINS8_10device_ptrIiEEEESD_jNS1_19radix_merge_compareILb0ELb0EiNS0_19identity_decomposerEEEEE10hipError_tT0_T1_T2_jT3_P12ihipStream_tbPNSt15iterator_traitsISI_E10value_typeEPNSO_ISJ_E10value_typeEPSK_NS1_7vsmem_tEENKUlT_SI_SJ_SK_E_clIPiSD_S10_SD_EESH_SX_SI_SJ_SK_EUlSX_E_NS1_11comp_targetILNS1_3genE4ELNS1_11target_archE910ELNS1_3gpuE8ELNS1_3repE0EEENS1_48merge_mergepath_partition_config_static_selectorELNS0_4arch9wavefront6targetE1EEEvSJ_
                                        ; -- End function
	.set _ZN7rocprim17ROCPRIM_400000_NS6detail17trampoline_kernelINS0_14default_configENS1_38merge_sort_block_merge_config_selectorIiiEEZZNS1_27merge_sort_block_merge_implIS3_N6thrust23THRUST_200600_302600_NS6detail15normal_iteratorINS8_10device_ptrIiEEEESD_jNS1_19radix_merge_compareILb0ELb0EiNS0_19identity_decomposerEEEEE10hipError_tT0_T1_T2_jT3_P12ihipStream_tbPNSt15iterator_traitsISI_E10value_typeEPNSO_ISJ_E10value_typeEPSK_NS1_7vsmem_tEENKUlT_SI_SJ_SK_E_clIPiSD_S10_SD_EESH_SX_SI_SJ_SK_EUlSX_E_NS1_11comp_targetILNS1_3genE4ELNS1_11target_archE910ELNS1_3gpuE8ELNS1_3repE0EEENS1_48merge_mergepath_partition_config_static_selectorELNS0_4arch9wavefront6targetE1EEEvSJ_.num_vgpr, 0
	.set _ZN7rocprim17ROCPRIM_400000_NS6detail17trampoline_kernelINS0_14default_configENS1_38merge_sort_block_merge_config_selectorIiiEEZZNS1_27merge_sort_block_merge_implIS3_N6thrust23THRUST_200600_302600_NS6detail15normal_iteratorINS8_10device_ptrIiEEEESD_jNS1_19radix_merge_compareILb0ELb0EiNS0_19identity_decomposerEEEEE10hipError_tT0_T1_T2_jT3_P12ihipStream_tbPNSt15iterator_traitsISI_E10value_typeEPNSO_ISJ_E10value_typeEPSK_NS1_7vsmem_tEENKUlT_SI_SJ_SK_E_clIPiSD_S10_SD_EESH_SX_SI_SJ_SK_EUlSX_E_NS1_11comp_targetILNS1_3genE4ELNS1_11target_archE910ELNS1_3gpuE8ELNS1_3repE0EEENS1_48merge_mergepath_partition_config_static_selectorELNS0_4arch9wavefront6targetE1EEEvSJ_.num_agpr, 0
	.set _ZN7rocprim17ROCPRIM_400000_NS6detail17trampoline_kernelINS0_14default_configENS1_38merge_sort_block_merge_config_selectorIiiEEZZNS1_27merge_sort_block_merge_implIS3_N6thrust23THRUST_200600_302600_NS6detail15normal_iteratorINS8_10device_ptrIiEEEESD_jNS1_19radix_merge_compareILb0ELb0EiNS0_19identity_decomposerEEEEE10hipError_tT0_T1_T2_jT3_P12ihipStream_tbPNSt15iterator_traitsISI_E10value_typeEPNSO_ISJ_E10value_typeEPSK_NS1_7vsmem_tEENKUlT_SI_SJ_SK_E_clIPiSD_S10_SD_EESH_SX_SI_SJ_SK_EUlSX_E_NS1_11comp_targetILNS1_3genE4ELNS1_11target_archE910ELNS1_3gpuE8ELNS1_3repE0EEENS1_48merge_mergepath_partition_config_static_selectorELNS0_4arch9wavefront6targetE1EEEvSJ_.numbered_sgpr, 0
	.set _ZN7rocprim17ROCPRIM_400000_NS6detail17trampoline_kernelINS0_14default_configENS1_38merge_sort_block_merge_config_selectorIiiEEZZNS1_27merge_sort_block_merge_implIS3_N6thrust23THRUST_200600_302600_NS6detail15normal_iteratorINS8_10device_ptrIiEEEESD_jNS1_19radix_merge_compareILb0ELb0EiNS0_19identity_decomposerEEEEE10hipError_tT0_T1_T2_jT3_P12ihipStream_tbPNSt15iterator_traitsISI_E10value_typeEPNSO_ISJ_E10value_typeEPSK_NS1_7vsmem_tEENKUlT_SI_SJ_SK_E_clIPiSD_S10_SD_EESH_SX_SI_SJ_SK_EUlSX_E_NS1_11comp_targetILNS1_3genE4ELNS1_11target_archE910ELNS1_3gpuE8ELNS1_3repE0EEENS1_48merge_mergepath_partition_config_static_selectorELNS0_4arch9wavefront6targetE1EEEvSJ_.num_named_barrier, 0
	.set _ZN7rocprim17ROCPRIM_400000_NS6detail17trampoline_kernelINS0_14default_configENS1_38merge_sort_block_merge_config_selectorIiiEEZZNS1_27merge_sort_block_merge_implIS3_N6thrust23THRUST_200600_302600_NS6detail15normal_iteratorINS8_10device_ptrIiEEEESD_jNS1_19radix_merge_compareILb0ELb0EiNS0_19identity_decomposerEEEEE10hipError_tT0_T1_T2_jT3_P12ihipStream_tbPNSt15iterator_traitsISI_E10value_typeEPNSO_ISJ_E10value_typeEPSK_NS1_7vsmem_tEENKUlT_SI_SJ_SK_E_clIPiSD_S10_SD_EESH_SX_SI_SJ_SK_EUlSX_E_NS1_11comp_targetILNS1_3genE4ELNS1_11target_archE910ELNS1_3gpuE8ELNS1_3repE0EEENS1_48merge_mergepath_partition_config_static_selectorELNS0_4arch9wavefront6targetE1EEEvSJ_.private_seg_size, 0
	.set _ZN7rocprim17ROCPRIM_400000_NS6detail17trampoline_kernelINS0_14default_configENS1_38merge_sort_block_merge_config_selectorIiiEEZZNS1_27merge_sort_block_merge_implIS3_N6thrust23THRUST_200600_302600_NS6detail15normal_iteratorINS8_10device_ptrIiEEEESD_jNS1_19radix_merge_compareILb0ELb0EiNS0_19identity_decomposerEEEEE10hipError_tT0_T1_T2_jT3_P12ihipStream_tbPNSt15iterator_traitsISI_E10value_typeEPNSO_ISJ_E10value_typeEPSK_NS1_7vsmem_tEENKUlT_SI_SJ_SK_E_clIPiSD_S10_SD_EESH_SX_SI_SJ_SK_EUlSX_E_NS1_11comp_targetILNS1_3genE4ELNS1_11target_archE910ELNS1_3gpuE8ELNS1_3repE0EEENS1_48merge_mergepath_partition_config_static_selectorELNS0_4arch9wavefront6targetE1EEEvSJ_.uses_vcc, 0
	.set _ZN7rocprim17ROCPRIM_400000_NS6detail17trampoline_kernelINS0_14default_configENS1_38merge_sort_block_merge_config_selectorIiiEEZZNS1_27merge_sort_block_merge_implIS3_N6thrust23THRUST_200600_302600_NS6detail15normal_iteratorINS8_10device_ptrIiEEEESD_jNS1_19radix_merge_compareILb0ELb0EiNS0_19identity_decomposerEEEEE10hipError_tT0_T1_T2_jT3_P12ihipStream_tbPNSt15iterator_traitsISI_E10value_typeEPNSO_ISJ_E10value_typeEPSK_NS1_7vsmem_tEENKUlT_SI_SJ_SK_E_clIPiSD_S10_SD_EESH_SX_SI_SJ_SK_EUlSX_E_NS1_11comp_targetILNS1_3genE4ELNS1_11target_archE910ELNS1_3gpuE8ELNS1_3repE0EEENS1_48merge_mergepath_partition_config_static_selectorELNS0_4arch9wavefront6targetE1EEEvSJ_.uses_flat_scratch, 0
	.set _ZN7rocprim17ROCPRIM_400000_NS6detail17trampoline_kernelINS0_14default_configENS1_38merge_sort_block_merge_config_selectorIiiEEZZNS1_27merge_sort_block_merge_implIS3_N6thrust23THRUST_200600_302600_NS6detail15normal_iteratorINS8_10device_ptrIiEEEESD_jNS1_19radix_merge_compareILb0ELb0EiNS0_19identity_decomposerEEEEE10hipError_tT0_T1_T2_jT3_P12ihipStream_tbPNSt15iterator_traitsISI_E10value_typeEPNSO_ISJ_E10value_typeEPSK_NS1_7vsmem_tEENKUlT_SI_SJ_SK_E_clIPiSD_S10_SD_EESH_SX_SI_SJ_SK_EUlSX_E_NS1_11comp_targetILNS1_3genE4ELNS1_11target_archE910ELNS1_3gpuE8ELNS1_3repE0EEENS1_48merge_mergepath_partition_config_static_selectorELNS0_4arch9wavefront6targetE1EEEvSJ_.has_dyn_sized_stack, 0
	.set _ZN7rocprim17ROCPRIM_400000_NS6detail17trampoline_kernelINS0_14default_configENS1_38merge_sort_block_merge_config_selectorIiiEEZZNS1_27merge_sort_block_merge_implIS3_N6thrust23THRUST_200600_302600_NS6detail15normal_iteratorINS8_10device_ptrIiEEEESD_jNS1_19radix_merge_compareILb0ELb0EiNS0_19identity_decomposerEEEEE10hipError_tT0_T1_T2_jT3_P12ihipStream_tbPNSt15iterator_traitsISI_E10value_typeEPNSO_ISJ_E10value_typeEPSK_NS1_7vsmem_tEENKUlT_SI_SJ_SK_E_clIPiSD_S10_SD_EESH_SX_SI_SJ_SK_EUlSX_E_NS1_11comp_targetILNS1_3genE4ELNS1_11target_archE910ELNS1_3gpuE8ELNS1_3repE0EEENS1_48merge_mergepath_partition_config_static_selectorELNS0_4arch9wavefront6targetE1EEEvSJ_.has_recursion, 0
	.set _ZN7rocprim17ROCPRIM_400000_NS6detail17trampoline_kernelINS0_14default_configENS1_38merge_sort_block_merge_config_selectorIiiEEZZNS1_27merge_sort_block_merge_implIS3_N6thrust23THRUST_200600_302600_NS6detail15normal_iteratorINS8_10device_ptrIiEEEESD_jNS1_19radix_merge_compareILb0ELb0EiNS0_19identity_decomposerEEEEE10hipError_tT0_T1_T2_jT3_P12ihipStream_tbPNSt15iterator_traitsISI_E10value_typeEPNSO_ISJ_E10value_typeEPSK_NS1_7vsmem_tEENKUlT_SI_SJ_SK_E_clIPiSD_S10_SD_EESH_SX_SI_SJ_SK_EUlSX_E_NS1_11comp_targetILNS1_3genE4ELNS1_11target_archE910ELNS1_3gpuE8ELNS1_3repE0EEENS1_48merge_mergepath_partition_config_static_selectorELNS0_4arch9wavefront6targetE1EEEvSJ_.has_indirect_call, 0
	.section	.AMDGPU.csdata,"",@progbits
; Kernel info:
; codeLenInByte = 0
; TotalNumSgprs: 6
; NumVgprs: 0
; NumAgprs: 0
; TotalNumVgprs: 0
; ScratchSize: 0
; MemoryBound: 0
; FloatMode: 240
; IeeeMode: 1
; LDSByteSize: 0 bytes/workgroup (compile time only)
; SGPRBlocks: 0
; VGPRBlocks: 0
; NumSGPRsForWavesPerEU: 6
; NumVGPRsForWavesPerEU: 1
; AccumOffset: 4
; Occupancy: 8
; WaveLimiterHint : 0
; COMPUTE_PGM_RSRC2:SCRATCH_EN: 0
; COMPUTE_PGM_RSRC2:USER_SGPR: 2
; COMPUTE_PGM_RSRC2:TRAP_HANDLER: 0
; COMPUTE_PGM_RSRC2:TGID_X_EN: 1
; COMPUTE_PGM_RSRC2:TGID_Y_EN: 0
; COMPUTE_PGM_RSRC2:TGID_Z_EN: 0
; COMPUTE_PGM_RSRC2:TIDIG_COMP_CNT: 0
; COMPUTE_PGM_RSRC3_GFX90A:ACCUM_OFFSET: 0
; COMPUTE_PGM_RSRC3_GFX90A:TG_SPLIT: 0
	.section	.text._ZN7rocprim17ROCPRIM_400000_NS6detail17trampoline_kernelINS0_14default_configENS1_38merge_sort_block_merge_config_selectorIiiEEZZNS1_27merge_sort_block_merge_implIS3_N6thrust23THRUST_200600_302600_NS6detail15normal_iteratorINS8_10device_ptrIiEEEESD_jNS1_19radix_merge_compareILb0ELb0EiNS0_19identity_decomposerEEEEE10hipError_tT0_T1_T2_jT3_P12ihipStream_tbPNSt15iterator_traitsISI_E10value_typeEPNSO_ISJ_E10value_typeEPSK_NS1_7vsmem_tEENKUlT_SI_SJ_SK_E_clIPiSD_S10_SD_EESH_SX_SI_SJ_SK_EUlSX_E_NS1_11comp_targetILNS1_3genE3ELNS1_11target_archE908ELNS1_3gpuE7ELNS1_3repE0EEENS1_48merge_mergepath_partition_config_static_selectorELNS0_4arch9wavefront6targetE1EEEvSJ_,"axG",@progbits,_ZN7rocprim17ROCPRIM_400000_NS6detail17trampoline_kernelINS0_14default_configENS1_38merge_sort_block_merge_config_selectorIiiEEZZNS1_27merge_sort_block_merge_implIS3_N6thrust23THRUST_200600_302600_NS6detail15normal_iteratorINS8_10device_ptrIiEEEESD_jNS1_19radix_merge_compareILb0ELb0EiNS0_19identity_decomposerEEEEE10hipError_tT0_T1_T2_jT3_P12ihipStream_tbPNSt15iterator_traitsISI_E10value_typeEPNSO_ISJ_E10value_typeEPSK_NS1_7vsmem_tEENKUlT_SI_SJ_SK_E_clIPiSD_S10_SD_EESH_SX_SI_SJ_SK_EUlSX_E_NS1_11comp_targetILNS1_3genE3ELNS1_11target_archE908ELNS1_3gpuE7ELNS1_3repE0EEENS1_48merge_mergepath_partition_config_static_selectorELNS0_4arch9wavefront6targetE1EEEvSJ_,comdat
	.protected	_ZN7rocprim17ROCPRIM_400000_NS6detail17trampoline_kernelINS0_14default_configENS1_38merge_sort_block_merge_config_selectorIiiEEZZNS1_27merge_sort_block_merge_implIS3_N6thrust23THRUST_200600_302600_NS6detail15normal_iteratorINS8_10device_ptrIiEEEESD_jNS1_19radix_merge_compareILb0ELb0EiNS0_19identity_decomposerEEEEE10hipError_tT0_T1_T2_jT3_P12ihipStream_tbPNSt15iterator_traitsISI_E10value_typeEPNSO_ISJ_E10value_typeEPSK_NS1_7vsmem_tEENKUlT_SI_SJ_SK_E_clIPiSD_S10_SD_EESH_SX_SI_SJ_SK_EUlSX_E_NS1_11comp_targetILNS1_3genE3ELNS1_11target_archE908ELNS1_3gpuE7ELNS1_3repE0EEENS1_48merge_mergepath_partition_config_static_selectorELNS0_4arch9wavefront6targetE1EEEvSJ_ ; -- Begin function _ZN7rocprim17ROCPRIM_400000_NS6detail17trampoline_kernelINS0_14default_configENS1_38merge_sort_block_merge_config_selectorIiiEEZZNS1_27merge_sort_block_merge_implIS3_N6thrust23THRUST_200600_302600_NS6detail15normal_iteratorINS8_10device_ptrIiEEEESD_jNS1_19radix_merge_compareILb0ELb0EiNS0_19identity_decomposerEEEEE10hipError_tT0_T1_T2_jT3_P12ihipStream_tbPNSt15iterator_traitsISI_E10value_typeEPNSO_ISJ_E10value_typeEPSK_NS1_7vsmem_tEENKUlT_SI_SJ_SK_E_clIPiSD_S10_SD_EESH_SX_SI_SJ_SK_EUlSX_E_NS1_11comp_targetILNS1_3genE3ELNS1_11target_archE908ELNS1_3gpuE7ELNS1_3repE0EEENS1_48merge_mergepath_partition_config_static_selectorELNS0_4arch9wavefront6targetE1EEEvSJ_
	.globl	_ZN7rocprim17ROCPRIM_400000_NS6detail17trampoline_kernelINS0_14default_configENS1_38merge_sort_block_merge_config_selectorIiiEEZZNS1_27merge_sort_block_merge_implIS3_N6thrust23THRUST_200600_302600_NS6detail15normal_iteratorINS8_10device_ptrIiEEEESD_jNS1_19radix_merge_compareILb0ELb0EiNS0_19identity_decomposerEEEEE10hipError_tT0_T1_T2_jT3_P12ihipStream_tbPNSt15iterator_traitsISI_E10value_typeEPNSO_ISJ_E10value_typeEPSK_NS1_7vsmem_tEENKUlT_SI_SJ_SK_E_clIPiSD_S10_SD_EESH_SX_SI_SJ_SK_EUlSX_E_NS1_11comp_targetILNS1_3genE3ELNS1_11target_archE908ELNS1_3gpuE7ELNS1_3repE0EEENS1_48merge_mergepath_partition_config_static_selectorELNS0_4arch9wavefront6targetE1EEEvSJ_
	.p2align	8
	.type	_ZN7rocprim17ROCPRIM_400000_NS6detail17trampoline_kernelINS0_14default_configENS1_38merge_sort_block_merge_config_selectorIiiEEZZNS1_27merge_sort_block_merge_implIS3_N6thrust23THRUST_200600_302600_NS6detail15normal_iteratorINS8_10device_ptrIiEEEESD_jNS1_19radix_merge_compareILb0ELb0EiNS0_19identity_decomposerEEEEE10hipError_tT0_T1_T2_jT3_P12ihipStream_tbPNSt15iterator_traitsISI_E10value_typeEPNSO_ISJ_E10value_typeEPSK_NS1_7vsmem_tEENKUlT_SI_SJ_SK_E_clIPiSD_S10_SD_EESH_SX_SI_SJ_SK_EUlSX_E_NS1_11comp_targetILNS1_3genE3ELNS1_11target_archE908ELNS1_3gpuE7ELNS1_3repE0EEENS1_48merge_mergepath_partition_config_static_selectorELNS0_4arch9wavefront6targetE1EEEvSJ_,@function
_ZN7rocprim17ROCPRIM_400000_NS6detail17trampoline_kernelINS0_14default_configENS1_38merge_sort_block_merge_config_selectorIiiEEZZNS1_27merge_sort_block_merge_implIS3_N6thrust23THRUST_200600_302600_NS6detail15normal_iteratorINS8_10device_ptrIiEEEESD_jNS1_19radix_merge_compareILb0ELb0EiNS0_19identity_decomposerEEEEE10hipError_tT0_T1_T2_jT3_P12ihipStream_tbPNSt15iterator_traitsISI_E10value_typeEPNSO_ISJ_E10value_typeEPSK_NS1_7vsmem_tEENKUlT_SI_SJ_SK_E_clIPiSD_S10_SD_EESH_SX_SI_SJ_SK_EUlSX_E_NS1_11comp_targetILNS1_3genE3ELNS1_11target_archE908ELNS1_3gpuE7ELNS1_3repE0EEENS1_48merge_mergepath_partition_config_static_selectorELNS0_4arch9wavefront6targetE1EEEvSJ_: ; @_ZN7rocprim17ROCPRIM_400000_NS6detail17trampoline_kernelINS0_14default_configENS1_38merge_sort_block_merge_config_selectorIiiEEZZNS1_27merge_sort_block_merge_implIS3_N6thrust23THRUST_200600_302600_NS6detail15normal_iteratorINS8_10device_ptrIiEEEESD_jNS1_19radix_merge_compareILb0ELb0EiNS0_19identity_decomposerEEEEE10hipError_tT0_T1_T2_jT3_P12ihipStream_tbPNSt15iterator_traitsISI_E10value_typeEPNSO_ISJ_E10value_typeEPSK_NS1_7vsmem_tEENKUlT_SI_SJ_SK_E_clIPiSD_S10_SD_EESH_SX_SI_SJ_SK_EUlSX_E_NS1_11comp_targetILNS1_3genE3ELNS1_11target_archE908ELNS1_3gpuE7ELNS1_3repE0EEENS1_48merge_mergepath_partition_config_static_selectorELNS0_4arch9wavefront6targetE1EEEvSJ_
; %bb.0:
	.section	.rodata,"a",@progbits
	.p2align	6, 0x0
	.amdhsa_kernel _ZN7rocprim17ROCPRIM_400000_NS6detail17trampoline_kernelINS0_14default_configENS1_38merge_sort_block_merge_config_selectorIiiEEZZNS1_27merge_sort_block_merge_implIS3_N6thrust23THRUST_200600_302600_NS6detail15normal_iteratorINS8_10device_ptrIiEEEESD_jNS1_19radix_merge_compareILb0ELb0EiNS0_19identity_decomposerEEEEE10hipError_tT0_T1_T2_jT3_P12ihipStream_tbPNSt15iterator_traitsISI_E10value_typeEPNSO_ISJ_E10value_typeEPSK_NS1_7vsmem_tEENKUlT_SI_SJ_SK_E_clIPiSD_S10_SD_EESH_SX_SI_SJ_SK_EUlSX_E_NS1_11comp_targetILNS1_3genE3ELNS1_11target_archE908ELNS1_3gpuE7ELNS1_3repE0EEENS1_48merge_mergepath_partition_config_static_selectorELNS0_4arch9wavefront6targetE1EEEvSJ_
		.amdhsa_group_segment_fixed_size 0
		.amdhsa_private_segment_fixed_size 0
		.amdhsa_kernarg_size 40
		.amdhsa_user_sgpr_count 2
		.amdhsa_user_sgpr_dispatch_ptr 0
		.amdhsa_user_sgpr_queue_ptr 0
		.amdhsa_user_sgpr_kernarg_segment_ptr 1
		.amdhsa_user_sgpr_dispatch_id 0
		.amdhsa_user_sgpr_kernarg_preload_length 0
		.amdhsa_user_sgpr_kernarg_preload_offset 0
		.amdhsa_user_sgpr_private_segment_size 0
		.amdhsa_uses_dynamic_stack 0
		.amdhsa_enable_private_segment 0
		.amdhsa_system_sgpr_workgroup_id_x 1
		.amdhsa_system_sgpr_workgroup_id_y 0
		.amdhsa_system_sgpr_workgroup_id_z 0
		.amdhsa_system_sgpr_workgroup_info 0
		.amdhsa_system_vgpr_workitem_id 0
		.amdhsa_next_free_vgpr 1
		.amdhsa_next_free_sgpr 0
		.amdhsa_accum_offset 4
		.amdhsa_reserve_vcc 0
		.amdhsa_float_round_mode_32 0
		.amdhsa_float_round_mode_16_64 0
		.amdhsa_float_denorm_mode_32 3
		.amdhsa_float_denorm_mode_16_64 3
		.amdhsa_dx10_clamp 1
		.amdhsa_ieee_mode 1
		.amdhsa_fp16_overflow 0
		.amdhsa_tg_split 0
		.amdhsa_exception_fp_ieee_invalid_op 0
		.amdhsa_exception_fp_denorm_src 0
		.amdhsa_exception_fp_ieee_div_zero 0
		.amdhsa_exception_fp_ieee_overflow 0
		.amdhsa_exception_fp_ieee_underflow 0
		.amdhsa_exception_fp_ieee_inexact 0
		.amdhsa_exception_int_div_zero 0
	.end_amdhsa_kernel
	.section	.text._ZN7rocprim17ROCPRIM_400000_NS6detail17trampoline_kernelINS0_14default_configENS1_38merge_sort_block_merge_config_selectorIiiEEZZNS1_27merge_sort_block_merge_implIS3_N6thrust23THRUST_200600_302600_NS6detail15normal_iteratorINS8_10device_ptrIiEEEESD_jNS1_19radix_merge_compareILb0ELb0EiNS0_19identity_decomposerEEEEE10hipError_tT0_T1_T2_jT3_P12ihipStream_tbPNSt15iterator_traitsISI_E10value_typeEPNSO_ISJ_E10value_typeEPSK_NS1_7vsmem_tEENKUlT_SI_SJ_SK_E_clIPiSD_S10_SD_EESH_SX_SI_SJ_SK_EUlSX_E_NS1_11comp_targetILNS1_3genE3ELNS1_11target_archE908ELNS1_3gpuE7ELNS1_3repE0EEENS1_48merge_mergepath_partition_config_static_selectorELNS0_4arch9wavefront6targetE1EEEvSJ_,"axG",@progbits,_ZN7rocprim17ROCPRIM_400000_NS6detail17trampoline_kernelINS0_14default_configENS1_38merge_sort_block_merge_config_selectorIiiEEZZNS1_27merge_sort_block_merge_implIS3_N6thrust23THRUST_200600_302600_NS6detail15normal_iteratorINS8_10device_ptrIiEEEESD_jNS1_19radix_merge_compareILb0ELb0EiNS0_19identity_decomposerEEEEE10hipError_tT0_T1_T2_jT3_P12ihipStream_tbPNSt15iterator_traitsISI_E10value_typeEPNSO_ISJ_E10value_typeEPSK_NS1_7vsmem_tEENKUlT_SI_SJ_SK_E_clIPiSD_S10_SD_EESH_SX_SI_SJ_SK_EUlSX_E_NS1_11comp_targetILNS1_3genE3ELNS1_11target_archE908ELNS1_3gpuE7ELNS1_3repE0EEENS1_48merge_mergepath_partition_config_static_selectorELNS0_4arch9wavefront6targetE1EEEvSJ_,comdat
.Lfunc_end1291:
	.size	_ZN7rocprim17ROCPRIM_400000_NS6detail17trampoline_kernelINS0_14default_configENS1_38merge_sort_block_merge_config_selectorIiiEEZZNS1_27merge_sort_block_merge_implIS3_N6thrust23THRUST_200600_302600_NS6detail15normal_iteratorINS8_10device_ptrIiEEEESD_jNS1_19radix_merge_compareILb0ELb0EiNS0_19identity_decomposerEEEEE10hipError_tT0_T1_T2_jT3_P12ihipStream_tbPNSt15iterator_traitsISI_E10value_typeEPNSO_ISJ_E10value_typeEPSK_NS1_7vsmem_tEENKUlT_SI_SJ_SK_E_clIPiSD_S10_SD_EESH_SX_SI_SJ_SK_EUlSX_E_NS1_11comp_targetILNS1_3genE3ELNS1_11target_archE908ELNS1_3gpuE7ELNS1_3repE0EEENS1_48merge_mergepath_partition_config_static_selectorELNS0_4arch9wavefront6targetE1EEEvSJ_, .Lfunc_end1291-_ZN7rocprim17ROCPRIM_400000_NS6detail17trampoline_kernelINS0_14default_configENS1_38merge_sort_block_merge_config_selectorIiiEEZZNS1_27merge_sort_block_merge_implIS3_N6thrust23THRUST_200600_302600_NS6detail15normal_iteratorINS8_10device_ptrIiEEEESD_jNS1_19radix_merge_compareILb0ELb0EiNS0_19identity_decomposerEEEEE10hipError_tT0_T1_T2_jT3_P12ihipStream_tbPNSt15iterator_traitsISI_E10value_typeEPNSO_ISJ_E10value_typeEPSK_NS1_7vsmem_tEENKUlT_SI_SJ_SK_E_clIPiSD_S10_SD_EESH_SX_SI_SJ_SK_EUlSX_E_NS1_11comp_targetILNS1_3genE3ELNS1_11target_archE908ELNS1_3gpuE7ELNS1_3repE0EEENS1_48merge_mergepath_partition_config_static_selectorELNS0_4arch9wavefront6targetE1EEEvSJ_
                                        ; -- End function
	.set _ZN7rocprim17ROCPRIM_400000_NS6detail17trampoline_kernelINS0_14default_configENS1_38merge_sort_block_merge_config_selectorIiiEEZZNS1_27merge_sort_block_merge_implIS3_N6thrust23THRUST_200600_302600_NS6detail15normal_iteratorINS8_10device_ptrIiEEEESD_jNS1_19radix_merge_compareILb0ELb0EiNS0_19identity_decomposerEEEEE10hipError_tT0_T1_T2_jT3_P12ihipStream_tbPNSt15iterator_traitsISI_E10value_typeEPNSO_ISJ_E10value_typeEPSK_NS1_7vsmem_tEENKUlT_SI_SJ_SK_E_clIPiSD_S10_SD_EESH_SX_SI_SJ_SK_EUlSX_E_NS1_11comp_targetILNS1_3genE3ELNS1_11target_archE908ELNS1_3gpuE7ELNS1_3repE0EEENS1_48merge_mergepath_partition_config_static_selectorELNS0_4arch9wavefront6targetE1EEEvSJ_.num_vgpr, 0
	.set _ZN7rocprim17ROCPRIM_400000_NS6detail17trampoline_kernelINS0_14default_configENS1_38merge_sort_block_merge_config_selectorIiiEEZZNS1_27merge_sort_block_merge_implIS3_N6thrust23THRUST_200600_302600_NS6detail15normal_iteratorINS8_10device_ptrIiEEEESD_jNS1_19radix_merge_compareILb0ELb0EiNS0_19identity_decomposerEEEEE10hipError_tT0_T1_T2_jT3_P12ihipStream_tbPNSt15iterator_traitsISI_E10value_typeEPNSO_ISJ_E10value_typeEPSK_NS1_7vsmem_tEENKUlT_SI_SJ_SK_E_clIPiSD_S10_SD_EESH_SX_SI_SJ_SK_EUlSX_E_NS1_11comp_targetILNS1_3genE3ELNS1_11target_archE908ELNS1_3gpuE7ELNS1_3repE0EEENS1_48merge_mergepath_partition_config_static_selectorELNS0_4arch9wavefront6targetE1EEEvSJ_.num_agpr, 0
	.set _ZN7rocprim17ROCPRIM_400000_NS6detail17trampoline_kernelINS0_14default_configENS1_38merge_sort_block_merge_config_selectorIiiEEZZNS1_27merge_sort_block_merge_implIS3_N6thrust23THRUST_200600_302600_NS6detail15normal_iteratorINS8_10device_ptrIiEEEESD_jNS1_19radix_merge_compareILb0ELb0EiNS0_19identity_decomposerEEEEE10hipError_tT0_T1_T2_jT3_P12ihipStream_tbPNSt15iterator_traitsISI_E10value_typeEPNSO_ISJ_E10value_typeEPSK_NS1_7vsmem_tEENKUlT_SI_SJ_SK_E_clIPiSD_S10_SD_EESH_SX_SI_SJ_SK_EUlSX_E_NS1_11comp_targetILNS1_3genE3ELNS1_11target_archE908ELNS1_3gpuE7ELNS1_3repE0EEENS1_48merge_mergepath_partition_config_static_selectorELNS0_4arch9wavefront6targetE1EEEvSJ_.numbered_sgpr, 0
	.set _ZN7rocprim17ROCPRIM_400000_NS6detail17trampoline_kernelINS0_14default_configENS1_38merge_sort_block_merge_config_selectorIiiEEZZNS1_27merge_sort_block_merge_implIS3_N6thrust23THRUST_200600_302600_NS6detail15normal_iteratorINS8_10device_ptrIiEEEESD_jNS1_19radix_merge_compareILb0ELb0EiNS0_19identity_decomposerEEEEE10hipError_tT0_T1_T2_jT3_P12ihipStream_tbPNSt15iterator_traitsISI_E10value_typeEPNSO_ISJ_E10value_typeEPSK_NS1_7vsmem_tEENKUlT_SI_SJ_SK_E_clIPiSD_S10_SD_EESH_SX_SI_SJ_SK_EUlSX_E_NS1_11comp_targetILNS1_3genE3ELNS1_11target_archE908ELNS1_3gpuE7ELNS1_3repE0EEENS1_48merge_mergepath_partition_config_static_selectorELNS0_4arch9wavefront6targetE1EEEvSJ_.num_named_barrier, 0
	.set _ZN7rocprim17ROCPRIM_400000_NS6detail17trampoline_kernelINS0_14default_configENS1_38merge_sort_block_merge_config_selectorIiiEEZZNS1_27merge_sort_block_merge_implIS3_N6thrust23THRUST_200600_302600_NS6detail15normal_iteratorINS8_10device_ptrIiEEEESD_jNS1_19radix_merge_compareILb0ELb0EiNS0_19identity_decomposerEEEEE10hipError_tT0_T1_T2_jT3_P12ihipStream_tbPNSt15iterator_traitsISI_E10value_typeEPNSO_ISJ_E10value_typeEPSK_NS1_7vsmem_tEENKUlT_SI_SJ_SK_E_clIPiSD_S10_SD_EESH_SX_SI_SJ_SK_EUlSX_E_NS1_11comp_targetILNS1_3genE3ELNS1_11target_archE908ELNS1_3gpuE7ELNS1_3repE0EEENS1_48merge_mergepath_partition_config_static_selectorELNS0_4arch9wavefront6targetE1EEEvSJ_.private_seg_size, 0
	.set _ZN7rocprim17ROCPRIM_400000_NS6detail17trampoline_kernelINS0_14default_configENS1_38merge_sort_block_merge_config_selectorIiiEEZZNS1_27merge_sort_block_merge_implIS3_N6thrust23THRUST_200600_302600_NS6detail15normal_iteratorINS8_10device_ptrIiEEEESD_jNS1_19radix_merge_compareILb0ELb0EiNS0_19identity_decomposerEEEEE10hipError_tT0_T1_T2_jT3_P12ihipStream_tbPNSt15iterator_traitsISI_E10value_typeEPNSO_ISJ_E10value_typeEPSK_NS1_7vsmem_tEENKUlT_SI_SJ_SK_E_clIPiSD_S10_SD_EESH_SX_SI_SJ_SK_EUlSX_E_NS1_11comp_targetILNS1_3genE3ELNS1_11target_archE908ELNS1_3gpuE7ELNS1_3repE0EEENS1_48merge_mergepath_partition_config_static_selectorELNS0_4arch9wavefront6targetE1EEEvSJ_.uses_vcc, 0
	.set _ZN7rocprim17ROCPRIM_400000_NS6detail17trampoline_kernelINS0_14default_configENS1_38merge_sort_block_merge_config_selectorIiiEEZZNS1_27merge_sort_block_merge_implIS3_N6thrust23THRUST_200600_302600_NS6detail15normal_iteratorINS8_10device_ptrIiEEEESD_jNS1_19radix_merge_compareILb0ELb0EiNS0_19identity_decomposerEEEEE10hipError_tT0_T1_T2_jT3_P12ihipStream_tbPNSt15iterator_traitsISI_E10value_typeEPNSO_ISJ_E10value_typeEPSK_NS1_7vsmem_tEENKUlT_SI_SJ_SK_E_clIPiSD_S10_SD_EESH_SX_SI_SJ_SK_EUlSX_E_NS1_11comp_targetILNS1_3genE3ELNS1_11target_archE908ELNS1_3gpuE7ELNS1_3repE0EEENS1_48merge_mergepath_partition_config_static_selectorELNS0_4arch9wavefront6targetE1EEEvSJ_.uses_flat_scratch, 0
	.set _ZN7rocprim17ROCPRIM_400000_NS6detail17trampoline_kernelINS0_14default_configENS1_38merge_sort_block_merge_config_selectorIiiEEZZNS1_27merge_sort_block_merge_implIS3_N6thrust23THRUST_200600_302600_NS6detail15normal_iteratorINS8_10device_ptrIiEEEESD_jNS1_19radix_merge_compareILb0ELb0EiNS0_19identity_decomposerEEEEE10hipError_tT0_T1_T2_jT3_P12ihipStream_tbPNSt15iterator_traitsISI_E10value_typeEPNSO_ISJ_E10value_typeEPSK_NS1_7vsmem_tEENKUlT_SI_SJ_SK_E_clIPiSD_S10_SD_EESH_SX_SI_SJ_SK_EUlSX_E_NS1_11comp_targetILNS1_3genE3ELNS1_11target_archE908ELNS1_3gpuE7ELNS1_3repE0EEENS1_48merge_mergepath_partition_config_static_selectorELNS0_4arch9wavefront6targetE1EEEvSJ_.has_dyn_sized_stack, 0
	.set _ZN7rocprim17ROCPRIM_400000_NS6detail17trampoline_kernelINS0_14default_configENS1_38merge_sort_block_merge_config_selectorIiiEEZZNS1_27merge_sort_block_merge_implIS3_N6thrust23THRUST_200600_302600_NS6detail15normal_iteratorINS8_10device_ptrIiEEEESD_jNS1_19radix_merge_compareILb0ELb0EiNS0_19identity_decomposerEEEEE10hipError_tT0_T1_T2_jT3_P12ihipStream_tbPNSt15iterator_traitsISI_E10value_typeEPNSO_ISJ_E10value_typeEPSK_NS1_7vsmem_tEENKUlT_SI_SJ_SK_E_clIPiSD_S10_SD_EESH_SX_SI_SJ_SK_EUlSX_E_NS1_11comp_targetILNS1_3genE3ELNS1_11target_archE908ELNS1_3gpuE7ELNS1_3repE0EEENS1_48merge_mergepath_partition_config_static_selectorELNS0_4arch9wavefront6targetE1EEEvSJ_.has_recursion, 0
	.set _ZN7rocprim17ROCPRIM_400000_NS6detail17trampoline_kernelINS0_14default_configENS1_38merge_sort_block_merge_config_selectorIiiEEZZNS1_27merge_sort_block_merge_implIS3_N6thrust23THRUST_200600_302600_NS6detail15normal_iteratorINS8_10device_ptrIiEEEESD_jNS1_19radix_merge_compareILb0ELb0EiNS0_19identity_decomposerEEEEE10hipError_tT0_T1_T2_jT3_P12ihipStream_tbPNSt15iterator_traitsISI_E10value_typeEPNSO_ISJ_E10value_typeEPSK_NS1_7vsmem_tEENKUlT_SI_SJ_SK_E_clIPiSD_S10_SD_EESH_SX_SI_SJ_SK_EUlSX_E_NS1_11comp_targetILNS1_3genE3ELNS1_11target_archE908ELNS1_3gpuE7ELNS1_3repE0EEENS1_48merge_mergepath_partition_config_static_selectorELNS0_4arch9wavefront6targetE1EEEvSJ_.has_indirect_call, 0
	.section	.AMDGPU.csdata,"",@progbits
; Kernel info:
; codeLenInByte = 0
; TotalNumSgprs: 6
; NumVgprs: 0
; NumAgprs: 0
; TotalNumVgprs: 0
; ScratchSize: 0
; MemoryBound: 0
; FloatMode: 240
; IeeeMode: 1
; LDSByteSize: 0 bytes/workgroup (compile time only)
; SGPRBlocks: 0
; VGPRBlocks: 0
; NumSGPRsForWavesPerEU: 6
; NumVGPRsForWavesPerEU: 1
; AccumOffset: 4
; Occupancy: 8
; WaveLimiterHint : 0
; COMPUTE_PGM_RSRC2:SCRATCH_EN: 0
; COMPUTE_PGM_RSRC2:USER_SGPR: 2
; COMPUTE_PGM_RSRC2:TRAP_HANDLER: 0
; COMPUTE_PGM_RSRC2:TGID_X_EN: 1
; COMPUTE_PGM_RSRC2:TGID_Y_EN: 0
; COMPUTE_PGM_RSRC2:TGID_Z_EN: 0
; COMPUTE_PGM_RSRC2:TIDIG_COMP_CNT: 0
; COMPUTE_PGM_RSRC3_GFX90A:ACCUM_OFFSET: 0
; COMPUTE_PGM_RSRC3_GFX90A:TG_SPLIT: 0
	.section	.text._ZN7rocprim17ROCPRIM_400000_NS6detail17trampoline_kernelINS0_14default_configENS1_38merge_sort_block_merge_config_selectorIiiEEZZNS1_27merge_sort_block_merge_implIS3_N6thrust23THRUST_200600_302600_NS6detail15normal_iteratorINS8_10device_ptrIiEEEESD_jNS1_19radix_merge_compareILb0ELb0EiNS0_19identity_decomposerEEEEE10hipError_tT0_T1_T2_jT3_P12ihipStream_tbPNSt15iterator_traitsISI_E10value_typeEPNSO_ISJ_E10value_typeEPSK_NS1_7vsmem_tEENKUlT_SI_SJ_SK_E_clIPiSD_S10_SD_EESH_SX_SI_SJ_SK_EUlSX_E_NS1_11comp_targetILNS1_3genE2ELNS1_11target_archE906ELNS1_3gpuE6ELNS1_3repE0EEENS1_48merge_mergepath_partition_config_static_selectorELNS0_4arch9wavefront6targetE1EEEvSJ_,"axG",@progbits,_ZN7rocprim17ROCPRIM_400000_NS6detail17trampoline_kernelINS0_14default_configENS1_38merge_sort_block_merge_config_selectorIiiEEZZNS1_27merge_sort_block_merge_implIS3_N6thrust23THRUST_200600_302600_NS6detail15normal_iteratorINS8_10device_ptrIiEEEESD_jNS1_19radix_merge_compareILb0ELb0EiNS0_19identity_decomposerEEEEE10hipError_tT0_T1_T2_jT3_P12ihipStream_tbPNSt15iterator_traitsISI_E10value_typeEPNSO_ISJ_E10value_typeEPSK_NS1_7vsmem_tEENKUlT_SI_SJ_SK_E_clIPiSD_S10_SD_EESH_SX_SI_SJ_SK_EUlSX_E_NS1_11comp_targetILNS1_3genE2ELNS1_11target_archE906ELNS1_3gpuE6ELNS1_3repE0EEENS1_48merge_mergepath_partition_config_static_selectorELNS0_4arch9wavefront6targetE1EEEvSJ_,comdat
	.protected	_ZN7rocprim17ROCPRIM_400000_NS6detail17trampoline_kernelINS0_14default_configENS1_38merge_sort_block_merge_config_selectorIiiEEZZNS1_27merge_sort_block_merge_implIS3_N6thrust23THRUST_200600_302600_NS6detail15normal_iteratorINS8_10device_ptrIiEEEESD_jNS1_19radix_merge_compareILb0ELb0EiNS0_19identity_decomposerEEEEE10hipError_tT0_T1_T2_jT3_P12ihipStream_tbPNSt15iterator_traitsISI_E10value_typeEPNSO_ISJ_E10value_typeEPSK_NS1_7vsmem_tEENKUlT_SI_SJ_SK_E_clIPiSD_S10_SD_EESH_SX_SI_SJ_SK_EUlSX_E_NS1_11comp_targetILNS1_3genE2ELNS1_11target_archE906ELNS1_3gpuE6ELNS1_3repE0EEENS1_48merge_mergepath_partition_config_static_selectorELNS0_4arch9wavefront6targetE1EEEvSJ_ ; -- Begin function _ZN7rocprim17ROCPRIM_400000_NS6detail17trampoline_kernelINS0_14default_configENS1_38merge_sort_block_merge_config_selectorIiiEEZZNS1_27merge_sort_block_merge_implIS3_N6thrust23THRUST_200600_302600_NS6detail15normal_iteratorINS8_10device_ptrIiEEEESD_jNS1_19radix_merge_compareILb0ELb0EiNS0_19identity_decomposerEEEEE10hipError_tT0_T1_T2_jT3_P12ihipStream_tbPNSt15iterator_traitsISI_E10value_typeEPNSO_ISJ_E10value_typeEPSK_NS1_7vsmem_tEENKUlT_SI_SJ_SK_E_clIPiSD_S10_SD_EESH_SX_SI_SJ_SK_EUlSX_E_NS1_11comp_targetILNS1_3genE2ELNS1_11target_archE906ELNS1_3gpuE6ELNS1_3repE0EEENS1_48merge_mergepath_partition_config_static_selectorELNS0_4arch9wavefront6targetE1EEEvSJ_
	.globl	_ZN7rocprim17ROCPRIM_400000_NS6detail17trampoline_kernelINS0_14default_configENS1_38merge_sort_block_merge_config_selectorIiiEEZZNS1_27merge_sort_block_merge_implIS3_N6thrust23THRUST_200600_302600_NS6detail15normal_iteratorINS8_10device_ptrIiEEEESD_jNS1_19radix_merge_compareILb0ELb0EiNS0_19identity_decomposerEEEEE10hipError_tT0_T1_T2_jT3_P12ihipStream_tbPNSt15iterator_traitsISI_E10value_typeEPNSO_ISJ_E10value_typeEPSK_NS1_7vsmem_tEENKUlT_SI_SJ_SK_E_clIPiSD_S10_SD_EESH_SX_SI_SJ_SK_EUlSX_E_NS1_11comp_targetILNS1_3genE2ELNS1_11target_archE906ELNS1_3gpuE6ELNS1_3repE0EEENS1_48merge_mergepath_partition_config_static_selectorELNS0_4arch9wavefront6targetE1EEEvSJ_
	.p2align	8
	.type	_ZN7rocprim17ROCPRIM_400000_NS6detail17trampoline_kernelINS0_14default_configENS1_38merge_sort_block_merge_config_selectorIiiEEZZNS1_27merge_sort_block_merge_implIS3_N6thrust23THRUST_200600_302600_NS6detail15normal_iteratorINS8_10device_ptrIiEEEESD_jNS1_19radix_merge_compareILb0ELb0EiNS0_19identity_decomposerEEEEE10hipError_tT0_T1_T2_jT3_P12ihipStream_tbPNSt15iterator_traitsISI_E10value_typeEPNSO_ISJ_E10value_typeEPSK_NS1_7vsmem_tEENKUlT_SI_SJ_SK_E_clIPiSD_S10_SD_EESH_SX_SI_SJ_SK_EUlSX_E_NS1_11comp_targetILNS1_3genE2ELNS1_11target_archE906ELNS1_3gpuE6ELNS1_3repE0EEENS1_48merge_mergepath_partition_config_static_selectorELNS0_4arch9wavefront6targetE1EEEvSJ_,@function
_ZN7rocprim17ROCPRIM_400000_NS6detail17trampoline_kernelINS0_14default_configENS1_38merge_sort_block_merge_config_selectorIiiEEZZNS1_27merge_sort_block_merge_implIS3_N6thrust23THRUST_200600_302600_NS6detail15normal_iteratorINS8_10device_ptrIiEEEESD_jNS1_19radix_merge_compareILb0ELb0EiNS0_19identity_decomposerEEEEE10hipError_tT0_T1_T2_jT3_P12ihipStream_tbPNSt15iterator_traitsISI_E10value_typeEPNSO_ISJ_E10value_typeEPSK_NS1_7vsmem_tEENKUlT_SI_SJ_SK_E_clIPiSD_S10_SD_EESH_SX_SI_SJ_SK_EUlSX_E_NS1_11comp_targetILNS1_3genE2ELNS1_11target_archE906ELNS1_3gpuE6ELNS1_3repE0EEENS1_48merge_mergepath_partition_config_static_selectorELNS0_4arch9wavefront6targetE1EEEvSJ_: ; @_ZN7rocprim17ROCPRIM_400000_NS6detail17trampoline_kernelINS0_14default_configENS1_38merge_sort_block_merge_config_selectorIiiEEZZNS1_27merge_sort_block_merge_implIS3_N6thrust23THRUST_200600_302600_NS6detail15normal_iteratorINS8_10device_ptrIiEEEESD_jNS1_19radix_merge_compareILb0ELb0EiNS0_19identity_decomposerEEEEE10hipError_tT0_T1_T2_jT3_P12ihipStream_tbPNSt15iterator_traitsISI_E10value_typeEPNSO_ISJ_E10value_typeEPSK_NS1_7vsmem_tEENKUlT_SI_SJ_SK_E_clIPiSD_S10_SD_EESH_SX_SI_SJ_SK_EUlSX_E_NS1_11comp_targetILNS1_3genE2ELNS1_11target_archE906ELNS1_3gpuE6ELNS1_3repE0EEENS1_48merge_mergepath_partition_config_static_selectorELNS0_4arch9wavefront6targetE1EEEvSJ_
; %bb.0:
	.section	.rodata,"a",@progbits
	.p2align	6, 0x0
	.amdhsa_kernel _ZN7rocprim17ROCPRIM_400000_NS6detail17trampoline_kernelINS0_14default_configENS1_38merge_sort_block_merge_config_selectorIiiEEZZNS1_27merge_sort_block_merge_implIS3_N6thrust23THRUST_200600_302600_NS6detail15normal_iteratorINS8_10device_ptrIiEEEESD_jNS1_19radix_merge_compareILb0ELb0EiNS0_19identity_decomposerEEEEE10hipError_tT0_T1_T2_jT3_P12ihipStream_tbPNSt15iterator_traitsISI_E10value_typeEPNSO_ISJ_E10value_typeEPSK_NS1_7vsmem_tEENKUlT_SI_SJ_SK_E_clIPiSD_S10_SD_EESH_SX_SI_SJ_SK_EUlSX_E_NS1_11comp_targetILNS1_3genE2ELNS1_11target_archE906ELNS1_3gpuE6ELNS1_3repE0EEENS1_48merge_mergepath_partition_config_static_selectorELNS0_4arch9wavefront6targetE1EEEvSJ_
		.amdhsa_group_segment_fixed_size 0
		.amdhsa_private_segment_fixed_size 0
		.amdhsa_kernarg_size 40
		.amdhsa_user_sgpr_count 2
		.amdhsa_user_sgpr_dispatch_ptr 0
		.amdhsa_user_sgpr_queue_ptr 0
		.amdhsa_user_sgpr_kernarg_segment_ptr 1
		.amdhsa_user_sgpr_dispatch_id 0
		.amdhsa_user_sgpr_kernarg_preload_length 0
		.amdhsa_user_sgpr_kernarg_preload_offset 0
		.amdhsa_user_sgpr_private_segment_size 0
		.amdhsa_uses_dynamic_stack 0
		.amdhsa_enable_private_segment 0
		.amdhsa_system_sgpr_workgroup_id_x 1
		.amdhsa_system_sgpr_workgroup_id_y 0
		.amdhsa_system_sgpr_workgroup_id_z 0
		.amdhsa_system_sgpr_workgroup_info 0
		.amdhsa_system_vgpr_workitem_id 0
		.amdhsa_next_free_vgpr 1
		.amdhsa_next_free_sgpr 0
		.amdhsa_accum_offset 4
		.amdhsa_reserve_vcc 0
		.amdhsa_float_round_mode_32 0
		.amdhsa_float_round_mode_16_64 0
		.amdhsa_float_denorm_mode_32 3
		.amdhsa_float_denorm_mode_16_64 3
		.amdhsa_dx10_clamp 1
		.amdhsa_ieee_mode 1
		.amdhsa_fp16_overflow 0
		.amdhsa_tg_split 0
		.amdhsa_exception_fp_ieee_invalid_op 0
		.amdhsa_exception_fp_denorm_src 0
		.amdhsa_exception_fp_ieee_div_zero 0
		.amdhsa_exception_fp_ieee_overflow 0
		.amdhsa_exception_fp_ieee_underflow 0
		.amdhsa_exception_fp_ieee_inexact 0
		.amdhsa_exception_int_div_zero 0
	.end_amdhsa_kernel
	.section	.text._ZN7rocprim17ROCPRIM_400000_NS6detail17trampoline_kernelINS0_14default_configENS1_38merge_sort_block_merge_config_selectorIiiEEZZNS1_27merge_sort_block_merge_implIS3_N6thrust23THRUST_200600_302600_NS6detail15normal_iteratorINS8_10device_ptrIiEEEESD_jNS1_19radix_merge_compareILb0ELb0EiNS0_19identity_decomposerEEEEE10hipError_tT0_T1_T2_jT3_P12ihipStream_tbPNSt15iterator_traitsISI_E10value_typeEPNSO_ISJ_E10value_typeEPSK_NS1_7vsmem_tEENKUlT_SI_SJ_SK_E_clIPiSD_S10_SD_EESH_SX_SI_SJ_SK_EUlSX_E_NS1_11comp_targetILNS1_3genE2ELNS1_11target_archE906ELNS1_3gpuE6ELNS1_3repE0EEENS1_48merge_mergepath_partition_config_static_selectorELNS0_4arch9wavefront6targetE1EEEvSJ_,"axG",@progbits,_ZN7rocprim17ROCPRIM_400000_NS6detail17trampoline_kernelINS0_14default_configENS1_38merge_sort_block_merge_config_selectorIiiEEZZNS1_27merge_sort_block_merge_implIS3_N6thrust23THRUST_200600_302600_NS6detail15normal_iteratorINS8_10device_ptrIiEEEESD_jNS1_19radix_merge_compareILb0ELb0EiNS0_19identity_decomposerEEEEE10hipError_tT0_T1_T2_jT3_P12ihipStream_tbPNSt15iterator_traitsISI_E10value_typeEPNSO_ISJ_E10value_typeEPSK_NS1_7vsmem_tEENKUlT_SI_SJ_SK_E_clIPiSD_S10_SD_EESH_SX_SI_SJ_SK_EUlSX_E_NS1_11comp_targetILNS1_3genE2ELNS1_11target_archE906ELNS1_3gpuE6ELNS1_3repE0EEENS1_48merge_mergepath_partition_config_static_selectorELNS0_4arch9wavefront6targetE1EEEvSJ_,comdat
.Lfunc_end1292:
	.size	_ZN7rocprim17ROCPRIM_400000_NS6detail17trampoline_kernelINS0_14default_configENS1_38merge_sort_block_merge_config_selectorIiiEEZZNS1_27merge_sort_block_merge_implIS3_N6thrust23THRUST_200600_302600_NS6detail15normal_iteratorINS8_10device_ptrIiEEEESD_jNS1_19radix_merge_compareILb0ELb0EiNS0_19identity_decomposerEEEEE10hipError_tT0_T1_T2_jT3_P12ihipStream_tbPNSt15iterator_traitsISI_E10value_typeEPNSO_ISJ_E10value_typeEPSK_NS1_7vsmem_tEENKUlT_SI_SJ_SK_E_clIPiSD_S10_SD_EESH_SX_SI_SJ_SK_EUlSX_E_NS1_11comp_targetILNS1_3genE2ELNS1_11target_archE906ELNS1_3gpuE6ELNS1_3repE0EEENS1_48merge_mergepath_partition_config_static_selectorELNS0_4arch9wavefront6targetE1EEEvSJ_, .Lfunc_end1292-_ZN7rocprim17ROCPRIM_400000_NS6detail17trampoline_kernelINS0_14default_configENS1_38merge_sort_block_merge_config_selectorIiiEEZZNS1_27merge_sort_block_merge_implIS3_N6thrust23THRUST_200600_302600_NS6detail15normal_iteratorINS8_10device_ptrIiEEEESD_jNS1_19radix_merge_compareILb0ELb0EiNS0_19identity_decomposerEEEEE10hipError_tT0_T1_T2_jT3_P12ihipStream_tbPNSt15iterator_traitsISI_E10value_typeEPNSO_ISJ_E10value_typeEPSK_NS1_7vsmem_tEENKUlT_SI_SJ_SK_E_clIPiSD_S10_SD_EESH_SX_SI_SJ_SK_EUlSX_E_NS1_11comp_targetILNS1_3genE2ELNS1_11target_archE906ELNS1_3gpuE6ELNS1_3repE0EEENS1_48merge_mergepath_partition_config_static_selectorELNS0_4arch9wavefront6targetE1EEEvSJ_
                                        ; -- End function
	.set _ZN7rocprim17ROCPRIM_400000_NS6detail17trampoline_kernelINS0_14default_configENS1_38merge_sort_block_merge_config_selectorIiiEEZZNS1_27merge_sort_block_merge_implIS3_N6thrust23THRUST_200600_302600_NS6detail15normal_iteratorINS8_10device_ptrIiEEEESD_jNS1_19radix_merge_compareILb0ELb0EiNS0_19identity_decomposerEEEEE10hipError_tT0_T1_T2_jT3_P12ihipStream_tbPNSt15iterator_traitsISI_E10value_typeEPNSO_ISJ_E10value_typeEPSK_NS1_7vsmem_tEENKUlT_SI_SJ_SK_E_clIPiSD_S10_SD_EESH_SX_SI_SJ_SK_EUlSX_E_NS1_11comp_targetILNS1_3genE2ELNS1_11target_archE906ELNS1_3gpuE6ELNS1_3repE0EEENS1_48merge_mergepath_partition_config_static_selectorELNS0_4arch9wavefront6targetE1EEEvSJ_.num_vgpr, 0
	.set _ZN7rocprim17ROCPRIM_400000_NS6detail17trampoline_kernelINS0_14default_configENS1_38merge_sort_block_merge_config_selectorIiiEEZZNS1_27merge_sort_block_merge_implIS3_N6thrust23THRUST_200600_302600_NS6detail15normal_iteratorINS8_10device_ptrIiEEEESD_jNS1_19radix_merge_compareILb0ELb0EiNS0_19identity_decomposerEEEEE10hipError_tT0_T1_T2_jT3_P12ihipStream_tbPNSt15iterator_traitsISI_E10value_typeEPNSO_ISJ_E10value_typeEPSK_NS1_7vsmem_tEENKUlT_SI_SJ_SK_E_clIPiSD_S10_SD_EESH_SX_SI_SJ_SK_EUlSX_E_NS1_11comp_targetILNS1_3genE2ELNS1_11target_archE906ELNS1_3gpuE6ELNS1_3repE0EEENS1_48merge_mergepath_partition_config_static_selectorELNS0_4arch9wavefront6targetE1EEEvSJ_.num_agpr, 0
	.set _ZN7rocprim17ROCPRIM_400000_NS6detail17trampoline_kernelINS0_14default_configENS1_38merge_sort_block_merge_config_selectorIiiEEZZNS1_27merge_sort_block_merge_implIS3_N6thrust23THRUST_200600_302600_NS6detail15normal_iteratorINS8_10device_ptrIiEEEESD_jNS1_19radix_merge_compareILb0ELb0EiNS0_19identity_decomposerEEEEE10hipError_tT0_T1_T2_jT3_P12ihipStream_tbPNSt15iterator_traitsISI_E10value_typeEPNSO_ISJ_E10value_typeEPSK_NS1_7vsmem_tEENKUlT_SI_SJ_SK_E_clIPiSD_S10_SD_EESH_SX_SI_SJ_SK_EUlSX_E_NS1_11comp_targetILNS1_3genE2ELNS1_11target_archE906ELNS1_3gpuE6ELNS1_3repE0EEENS1_48merge_mergepath_partition_config_static_selectorELNS0_4arch9wavefront6targetE1EEEvSJ_.numbered_sgpr, 0
	.set _ZN7rocprim17ROCPRIM_400000_NS6detail17trampoline_kernelINS0_14default_configENS1_38merge_sort_block_merge_config_selectorIiiEEZZNS1_27merge_sort_block_merge_implIS3_N6thrust23THRUST_200600_302600_NS6detail15normal_iteratorINS8_10device_ptrIiEEEESD_jNS1_19radix_merge_compareILb0ELb0EiNS0_19identity_decomposerEEEEE10hipError_tT0_T1_T2_jT3_P12ihipStream_tbPNSt15iterator_traitsISI_E10value_typeEPNSO_ISJ_E10value_typeEPSK_NS1_7vsmem_tEENKUlT_SI_SJ_SK_E_clIPiSD_S10_SD_EESH_SX_SI_SJ_SK_EUlSX_E_NS1_11comp_targetILNS1_3genE2ELNS1_11target_archE906ELNS1_3gpuE6ELNS1_3repE0EEENS1_48merge_mergepath_partition_config_static_selectorELNS0_4arch9wavefront6targetE1EEEvSJ_.num_named_barrier, 0
	.set _ZN7rocprim17ROCPRIM_400000_NS6detail17trampoline_kernelINS0_14default_configENS1_38merge_sort_block_merge_config_selectorIiiEEZZNS1_27merge_sort_block_merge_implIS3_N6thrust23THRUST_200600_302600_NS6detail15normal_iteratorINS8_10device_ptrIiEEEESD_jNS1_19radix_merge_compareILb0ELb0EiNS0_19identity_decomposerEEEEE10hipError_tT0_T1_T2_jT3_P12ihipStream_tbPNSt15iterator_traitsISI_E10value_typeEPNSO_ISJ_E10value_typeEPSK_NS1_7vsmem_tEENKUlT_SI_SJ_SK_E_clIPiSD_S10_SD_EESH_SX_SI_SJ_SK_EUlSX_E_NS1_11comp_targetILNS1_3genE2ELNS1_11target_archE906ELNS1_3gpuE6ELNS1_3repE0EEENS1_48merge_mergepath_partition_config_static_selectorELNS0_4arch9wavefront6targetE1EEEvSJ_.private_seg_size, 0
	.set _ZN7rocprim17ROCPRIM_400000_NS6detail17trampoline_kernelINS0_14default_configENS1_38merge_sort_block_merge_config_selectorIiiEEZZNS1_27merge_sort_block_merge_implIS3_N6thrust23THRUST_200600_302600_NS6detail15normal_iteratorINS8_10device_ptrIiEEEESD_jNS1_19radix_merge_compareILb0ELb0EiNS0_19identity_decomposerEEEEE10hipError_tT0_T1_T2_jT3_P12ihipStream_tbPNSt15iterator_traitsISI_E10value_typeEPNSO_ISJ_E10value_typeEPSK_NS1_7vsmem_tEENKUlT_SI_SJ_SK_E_clIPiSD_S10_SD_EESH_SX_SI_SJ_SK_EUlSX_E_NS1_11comp_targetILNS1_3genE2ELNS1_11target_archE906ELNS1_3gpuE6ELNS1_3repE0EEENS1_48merge_mergepath_partition_config_static_selectorELNS0_4arch9wavefront6targetE1EEEvSJ_.uses_vcc, 0
	.set _ZN7rocprim17ROCPRIM_400000_NS6detail17trampoline_kernelINS0_14default_configENS1_38merge_sort_block_merge_config_selectorIiiEEZZNS1_27merge_sort_block_merge_implIS3_N6thrust23THRUST_200600_302600_NS6detail15normal_iteratorINS8_10device_ptrIiEEEESD_jNS1_19radix_merge_compareILb0ELb0EiNS0_19identity_decomposerEEEEE10hipError_tT0_T1_T2_jT3_P12ihipStream_tbPNSt15iterator_traitsISI_E10value_typeEPNSO_ISJ_E10value_typeEPSK_NS1_7vsmem_tEENKUlT_SI_SJ_SK_E_clIPiSD_S10_SD_EESH_SX_SI_SJ_SK_EUlSX_E_NS1_11comp_targetILNS1_3genE2ELNS1_11target_archE906ELNS1_3gpuE6ELNS1_3repE0EEENS1_48merge_mergepath_partition_config_static_selectorELNS0_4arch9wavefront6targetE1EEEvSJ_.uses_flat_scratch, 0
	.set _ZN7rocprim17ROCPRIM_400000_NS6detail17trampoline_kernelINS0_14default_configENS1_38merge_sort_block_merge_config_selectorIiiEEZZNS1_27merge_sort_block_merge_implIS3_N6thrust23THRUST_200600_302600_NS6detail15normal_iteratorINS8_10device_ptrIiEEEESD_jNS1_19radix_merge_compareILb0ELb0EiNS0_19identity_decomposerEEEEE10hipError_tT0_T1_T2_jT3_P12ihipStream_tbPNSt15iterator_traitsISI_E10value_typeEPNSO_ISJ_E10value_typeEPSK_NS1_7vsmem_tEENKUlT_SI_SJ_SK_E_clIPiSD_S10_SD_EESH_SX_SI_SJ_SK_EUlSX_E_NS1_11comp_targetILNS1_3genE2ELNS1_11target_archE906ELNS1_3gpuE6ELNS1_3repE0EEENS1_48merge_mergepath_partition_config_static_selectorELNS0_4arch9wavefront6targetE1EEEvSJ_.has_dyn_sized_stack, 0
	.set _ZN7rocprim17ROCPRIM_400000_NS6detail17trampoline_kernelINS0_14default_configENS1_38merge_sort_block_merge_config_selectorIiiEEZZNS1_27merge_sort_block_merge_implIS3_N6thrust23THRUST_200600_302600_NS6detail15normal_iteratorINS8_10device_ptrIiEEEESD_jNS1_19radix_merge_compareILb0ELb0EiNS0_19identity_decomposerEEEEE10hipError_tT0_T1_T2_jT3_P12ihipStream_tbPNSt15iterator_traitsISI_E10value_typeEPNSO_ISJ_E10value_typeEPSK_NS1_7vsmem_tEENKUlT_SI_SJ_SK_E_clIPiSD_S10_SD_EESH_SX_SI_SJ_SK_EUlSX_E_NS1_11comp_targetILNS1_3genE2ELNS1_11target_archE906ELNS1_3gpuE6ELNS1_3repE0EEENS1_48merge_mergepath_partition_config_static_selectorELNS0_4arch9wavefront6targetE1EEEvSJ_.has_recursion, 0
	.set _ZN7rocprim17ROCPRIM_400000_NS6detail17trampoline_kernelINS0_14default_configENS1_38merge_sort_block_merge_config_selectorIiiEEZZNS1_27merge_sort_block_merge_implIS3_N6thrust23THRUST_200600_302600_NS6detail15normal_iteratorINS8_10device_ptrIiEEEESD_jNS1_19radix_merge_compareILb0ELb0EiNS0_19identity_decomposerEEEEE10hipError_tT0_T1_T2_jT3_P12ihipStream_tbPNSt15iterator_traitsISI_E10value_typeEPNSO_ISJ_E10value_typeEPSK_NS1_7vsmem_tEENKUlT_SI_SJ_SK_E_clIPiSD_S10_SD_EESH_SX_SI_SJ_SK_EUlSX_E_NS1_11comp_targetILNS1_3genE2ELNS1_11target_archE906ELNS1_3gpuE6ELNS1_3repE0EEENS1_48merge_mergepath_partition_config_static_selectorELNS0_4arch9wavefront6targetE1EEEvSJ_.has_indirect_call, 0
	.section	.AMDGPU.csdata,"",@progbits
; Kernel info:
; codeLenInByte = 0
; TotalNumSgprs: 6
; NumVgprs: 0
; NumAgprs: 0
; TotalNumVgprs: 0
; ScratchSize: 0
; MemoryBound: 0
; FloatMode: 240
; IeeeMode: 1
; LDSByteSize: 0 bytes/workgroup (compile time only)
; SGPRBlocks: 0
; VGPRBlocks: 0
; NumSGPRsForWavesPerEU: 6
; NumVGPRsForWavesPerEU: 1
; AccumOffset: 4
; Occupancy: 8
; WaveLimiterHint : 0
; COMPUTE_PGM_RSRC2:SCRATCH_EN: 0
; COMPUTE_PGM_RSRC2:USER_SGPR: 2
; COMPUTE_PGM_RSRC2:TRAP_HANDLER: 0
; COMPUTE_PGM_RSRC2:TGID_X_EN: 1
; COMPUTE_PGM_RSRC2:TGID_Y_EN: 0
; COMPUTE_PGM_RSRC2:TGID_Z_EN: 0
; COMPUTE_PGM_RSRC2:TIDIG_COMP_CNT: 0
; COMPUTE_PGM_RSRC3_GFX90A:ACCUM_OFFSET: 0
; COMPUTE_PGM_RSRC3_GFX90A:TG_SPLIT: 0
	.section	.text._ZN7rocprim17ROCPRIM_400000_NS6detail17trampoline_kernelINS0_14default_configENS1_38merge_sort_block_merge_config_selectorIiiEEZZNS1_27merge_sort_block_merge_implIS3_N6thrust23THRUST_200600_302600_NS6detail15normal_iteratorINS8_10device_ptrIiEEEESD_jNS1_19radix_merge_compareILb0ELb0EiNS0_19identity_decomposerEEEEE10hipError_tT0_T1_T2_jT3_P12ihipStream_tbPNSt15iterator_traitsISI_E10value_typeEPNSO_ISJ_E10value_typeEPSK_NS1_7vsmem_tEENKUlT_SI_SJ_SK_E_clIPiSD_S10_SD_EESH_SX_SI_SJ_SK_EUlSX_E_NS1_11comp_targetILNS1_3genE9ELNS1_11target_archE1100ELNS1_3gpuE3ELNS1_3repE0EEENS1_48merge_mergepath_partition_config_static_selectorELNS0_4arch9wavefront6targetE1EEEvSJ_,"axG",@progbits,_ZN7rocprim17ROCPRIM_400000_NS6detail17trampoline_kernelINS0_14default_configENS1_38merge_sort_block_merge_config_selectorIiiEEZZNS1_27merge_sort_block_merge_implIS3_N6thrust23THRUST_200600_302600_NS6detail15normal_iteratorINS8_10device_ptrIiEEEESD_jNS1_19radix_merge_compareILb0ELb0EiNS0_19identity_decomposerEEEEE10hipError_tT0_T1_T2_jT3_P12ihipStream_tbPNSt15iterator_traitsISI_E10value_typeEPNSO_ISJ_E10value_typeEPSK_NS1_7vsmem_tEENKUlT_SI_SJ_SK_E_clIPiSD_S10_SD_EESH_SX_SI_SJ_SK_EUlSX_E_NS1_11comp_targetILNS1_3genE9ELNS1_11target_archE1100ELNS1_3gpuE3ELNS1_3repE0EEENS1_48merge_mergepath_partition_config_static_selectorELNS0_4arch9wavefront6targetE1EEEvSJ_,comdat
	.protected	_ZN7rocprim17ROCPRIM_400000_NS6detail17trampoline_kernelINS0_14default_configENS1_38merge_sort_block_merge_config_selectorIiiEEZZNS1_27merge_sort_block_merge_implIS3_N6thrust23THRUST_200600_302600_NS6detail15normal_iteratorINS8_10device_ptrIiEEEESD_jNS1_19radix_merge_compareILb0ELb0EiNS0_19identity_decomposerEEEEE10hipError_tT0_T1_T2_jT3_P12ihipStream_tbPNSt15iterator_traitsISI_E10value_typeEPNSO_ISJ_E10value_typeEPSK_NS1_7vsmem_tEENKUlT_SI_SJ_SK_E_clIPiSD_S10_SD_EESH_SX_SI_SJ_SK_EUlSX_E_NS1_11comp_targetILNS1_3genE9ELNS1_11target_archE1100ELNS1_3gpuE3ELNS1_3repE0EEENS1_48merge_mergepath_partition_config_static_selectorELNS0_4arch9wavefront6targetE1EEEvSJ_ ; -- Begin function _ZN7rocprim17ROCPRIM_400000_NS6detail17trampoline_kernelINS0_14default_configENS1_38merge_sort_block_merge_config_selectorIiiEEZZNS1_27merge_sort_block_merge_implIS3_N6thrust23THRUST_200600_302600_NS6detail15normal_iteratorINS8_10device_ptrIiEEEESD_jNS1_19radix_merge_compareILb0ELb0EiNS0_19identity_decomposerEEEEE10hipError_tT0_T1_T2_jT3_P12ihipStream_tbPNSt15iterator_traitsISI_E10value_typeEPNSO_ISJ_E10value_typeEPSK_NS1_7vsmem_tEENKUlT_SI_SJ_SK_E_clIPiSD_S10_SD_EESH_SX_SI_SJ_SK_EUlSX_E_NS1_11comp_targetILNS1_3genE9ELNS1_11target_archE1100ELNS1_3gpuE3ELNS1_3repE0EEENS1_48merge_mergepath_partition_config_static_selectorELNS0_4arch9wavefront6targetE1EEEvSJ_
	.globl	_ZN7rocprim17ROCPRIM_400000_NS6detail17trampoline_kernelINS0_14default_configENS1_38merge_sort_block_merge_config_selectorIiiEEZZNS1_27merge_sort_block_merge_implIS3_N6thrust23THRUST_200600_302600_NS6detail15normal_iteratorINS8_10device_ptrIiEEEESD_jNS1_19radix_merge_compareILb0ELb0EiNS0_19identity_decomposerEEEEE10hipError_tT0_T1_T2_jT3_P12ihipStream_tbPNSt15iterator_traitsISI_E10value_typeEPNSO_ISJ_E10value_typeEPSK_NS1_7vsmem_tEENKUlT_SI_SJ_SK_E_clIPiSD_S10_SD_EESH_SX_SI_SJ_SK_EUlSX_E_NS1_11comp_targetILNS1_3genE9ELNS1_11target_archE1100ELNS1_3gpuE3ELNS1_3repE0EEENS1_48merge_mergepath_partition_config_static_selectorELNS0_4arch9wavefront6targetE1EEEvSJ_
	.p2align	8
	.type	_ZN7rocprim17ROCPRIM_400000_NS6detail17trampoline_kernelINS0_14default_configENS1_38merge_sort_block_merge_config_selectorIiiEEZZNS1_27merge_sort_block_merge_implIS3_N6thrust23THRUST_200600_302600_NS6detail15normal_iteratorINS8_10device_ptrIiEEEESD_jNS1_19radix_merge_compareILb0ELb0EiNS0_19identity_decomposerEEEEE10hipError_tT0_T1_T2_jT3_P12ihipStream_tbPNSt15iterator_traitsISI_E10value_typeEPNSO_ISJ_E10value_typeEPSK_NS1_7vsmem_tEENKUlT_SI_SJ_SK_E_clIPiSD_S10_SD_EESH_SX_SI_SJ_SK_EUlSX_E_NS1_11comp_targetILNS1_3genE9ELNS1_11target_archE1100ELNS1_3gpuE3ELNS1_3repE0EEENS1_48merge_mergepath_partition_config_static_selectorELNS0_4arch9wavefront6targetE1EEEvSJ_,@function
_ZN7rocprim17ROCPRIM_400000_NS6detail17trampoline_kernelINS0_14default_configENS1_38merge_sort_block_merge_config_selectorIiiEEZZNS1_27merge_sort_block_merge_implIS3_N6thrust23THRUST_200600_302600_NS6detail15normal_iteratorINS8_10device_ptrIiEEEESD_jNS1_19radix_merge_compareILb0ELb0EiNS0_19identity_decomposerEEEEE10hipError_tT0_T1_T2_jT3_P12ihipStream_tbPNSt15iterator_traitsISI_E10value_typeEPNSO_ISJ_E10value_typeEPSK_NS1_7vsmem_tEENKUlT_SI_SJ_SK_E_clIPiSD_S10_SD_EESH_SX_SI_SJ_SK_EUlSX_E_NS1_11comp_targetILNS1_3genE9ELNS1_11target_archE1100ELNS1_3gpuE3ELNS1_3repE0EEENS1_48merge_mergepath_partition_config_static_selectorELNS0_4arch9wavefront6targetE1EEEvSJ_: ; @_ZN7rocprim17ROCPRIM_400000_NS6detail17trampoline_kernelINS0_14default_configENS1_38merge_sort_block_merge_config_selectorIiiEEZZNS1_27merge_sort_block_merge_implIS3_N6thrust23THRUST_200600_302600_NS6detail15normal_iteratorINS8_10device_ptrIiEEEESD_jNS1_19radix_merge_compareILb0ELb0EiNS0_19identity_decomposerEEEEE10hipError_tT0_T1_T2_jT3_P12ihipStream_tbPNSt15iterator_traitsISI_E10value_typeEPNSO_ISJ_E10value_typeEPSK_NS1_7vsmem_tEENKUlT_SI_SJ_SK_E_clIPiSD_S10_SD_EESH_SX_SI_SJ_SK_EUlSX_E_NS1_11comp_targetILNS1_3genE9ELNS1_11target_archE1100ELNS1_3gpuE3ELNS1_3repE0EEENS1_48merge_mergepath_partition_config_static_selectorELNS0_4arch9wavefront6targetE1EEEvSJ_
; %bb.0:
	.section	.rodata,"a",@progbits
	.p2align	6, 0x0
	.amdhsa_kernel _ZN7rocprim17ROCPRIM_400000_NS6detail17trampoline_kernelINS0_14default_configENS1_38merge_sort_block_merge_config_selectorIiiEEZZNS1_27merge_sort_block_merge_implIS3_N6thrust23THRUST_200600_302600_NS6detail15normal_iteratorINS8_10device_ptrIiEEEESD_jNS1_19radix_merge_compareILb0ELb0EiNS0_19identity_decomposerEEEEE10hipError_tT0_T1_T2_jT3_P12ihipStream_tbPNSt15iterator_traitsISI_E10value_typeEPNSO_ISJ_E10value_typeEPSK_NS1_7vsmem_tEENKUlT_SI_SJ_SK_E_clIPiSD_S10_SD_EESH_SX_SI_SJ_SK_EUlSX_E_NS1_11comp_targetILNS1_3genE9ELNS1_11target_archE1100ELNS1_3gpuE3ELNS1_3repE0EEENS1_48merge_mergepath_partition_config_static_selectorELNS0_4arch9wavefront6targetE1EEEvSJ_
		.amdhsa_group_segment_fixed_size 0
		.amdhsa_private_segment_fixed_size 0
		.amdhsa_kernarg_size 40
		.amdhsa_user_sgpr_count 2
		.amdhsa_user_sgpr_dispatch_ptr 0
		.amdhsa_user_sgpr_queue_ptr 0
		.amdhsa_user_sgpr_kernarg_segment_ptr 1
		.amdhsa_user_sgpr_dispatch_id 0
		.amdhsa_user_sgpr_kernarg_preload_length 0
		.amdhsa_user_sgpr_kernarg_preload_offset 0
		.amdhsa_user_sgpr_private_segment_size 0
		.amdhsa_uses_dynamic_stack 0
		.amdhsa_enable_private_segment 0
		.amdhsa_system_sgpr_workgroup_id_x 1
		.amdhsa_system_sgpr_workgroup_id_y 0
		.amdhsa_system_sgpr_workgroup_id_z 0
		.amdhsa_system_sgpr_workgroup_info 0
		.amdhsa_system_vgpr_workitem_id 0
		.amdhsa_next_free_vgpr 1
		.amdhsa_next_free_sgpr 0
		.amdhsa_accum_offset 4
		.amdhsa_reserve_vcc 0
		.amdhsa_float_round_mode_32 0
		.amdhsa_float_round_mode_16_64 0
		.amdhsa_float_denorm_mode_32 3
		.amdhsa_float_denorm_mode_16_64 3
		.amdhsa_dx10_clamp 1
		.amdhsa_ieee_mode 1
		.amdhsa_fp16_overflow 0
		.amdhsa_tg_split 0
		.amdhsa_exception_fp_ieee_invalid_op 0
		.amdhsa_exception_fp_denorm_src 0
		.amdhsa_exception_fp_ieee_div_zero 0
		.amdhsa_exception_fp_ieee_overflow 0
		.amdhsa_exception_fp_ieee_underflow 0
		.amdhsa_exception_fp_ieee_inexact 0
		.amdhsa_exception_int_div_zero 0
	.end_amdhsa_kernel
	.section	.text._ZN7rocprim17ROCPRIM_400000_NS6detail17trampoline_kernelINS0_14default_configENS1_38merge_sort_block_merge_config_selectorIiiEEZZNS1_27merge_sort_block_merge_implIS3_N6thrust23THRUST_200600_302600_NS6detail15normal_iteratorINS8_10device_ptrIiEEEESD_jNS1_19radix_merge_compareILb0ELb0EiNS0_19identity_decomposerEEEEE10hipError_tT0_T1_T2_jT3_P12ihipStream_tbPNSt15iterator_traitsISI_E10value_typeEPNSO_ISJ_E10value_typeEPSK_NS1_7vsmem_tEENKUlT_SI_SJ_SK_E_clIPiSD_S10_SD_EESH_SX_SI_SJ_SK_EUlSX_E_NS1_11comp_targetILNS1_3genE9ELNS1_11target_archE1100ELNS1_3gpuE3ELNS1_3repE0EEENS1_48merge_mergepath_partition_config_static_selectorELNS0_4arch9wavefront6targetE1EEEvSJ_,"axG",@progbits,_ZN7rocprim17ROCPRIM_400000_NS6detail17trampoline_kernelINS0_14default_configENS1_38merge_sort_block_merge_config_selectorIiiEEZZNS1_27merge_sort_block_merge_implIS3_N6thrust23THRUST_200600_302600_NS6detail15normal_iteratorINS8_10device_ptrIiEEEESD_jNS1_19radix_merge_compareILb0ELb0EiNS0_19identity_decomposerEEEEE10hipError_tT0_T1_T2_jT3_P12ihipStream_tbPNSt15iterator_traitsISI_E10value_typeEPNSO_ISJ_E10value_typeEPSK_NS1_7vsmem_tEENKUlT_SI_SJ_SK_E_clIPiSD_S10_SD_EESH_SX_SI_SJ_SK_EUlSX_E_NS1_11comp_targetILNS1_3genE9ELNS1_11target_archE1100ELNS1_3gpuE3ELNS1_3repE0EEENS1_48merge_mergepath_partition_config_static_selectorELNS0_4arch9wavefront6targetE1EEEvSJ_,comdat
.Lfunc_end1293:
	.size	_ZN7rocprim17ROCPRIM_400000_NS6detail17trampoline_kernelINS0_14default_configENS1_38merge_sort_block_merge_config_selectorIiiEEZZNS1_27merge_sort_block_merge_implIS3_N6thrust23THRUST_200600_302600_NS6detail15normal_iteratorINS8_10device_ptrIiEEEESD_jNS1_19radix_merge_compareILb0ELb0EiNS0_19identity_decomposerEEEEE10hipError_tT0_T1_T2_jT3_P12ihipStream_tbPNSt15iterator_traitsISI_E10value_typeEPNSO_ISJ_E10value_typeEPSK_NS1_7vsmem_tEENKUlT_SI_SJ_SK_E_clIPiSD_S10_SD_EESH_SX_SI_SJ_SK_EUlSX_E_NS1_11comp_targetILNS1_3genE9ELNS1_11target_archE1100ELNS1_3gpuE3ELNS1_3repE0EEENS1_48merge_mergepath_partition_config_static_selectorELNS0_4arch9wavefront6targetE1EEEvSJ_, .Lfunc_end1293-_ZN7rocprim17ROCPRIM_400000_NS6detail17trampoline_kernelINS0_14default_configENS1_38merge_sort_block_merge_config_selectorIiiEEZZNS1_27merge_sort_block_merge_implIS3_N6thrust23THRUST_200600_302600_NS6detail15normal_iteratorINS8_10device_ptrIiEEEESD_jNS1_19radix_merge_compareILb0ELb0EiNS0_19identity_decomposerEEEEE10hipError_tT0_T1_T2_jT3_P12ihipStream_tbPNSt15iterator_traitsISI_E10value_typeEPNSO_ISJ_E10value_typeEPSK_NS1_7vsmem_tEENKUlT_SI_SJ_SK_E_clIPiSD_S10_SD_EESH_SX_SI_SJ_SK_EUlSX_E_NS1_11comp_targetILNS1_3genE9ELNS1_11target_archE1100ELNS1_3gpuE3ELNS1_3repE0EEENS1_48merge_mergepath_partition_config_static_selectorELNS0_4arch9wavefront6targetE1EEEvSJ_
                                        ; -- End function
	.set _ZN7rocprim17ROCPRIM_400000_NS6detail17trampoline_kernelINS0_14default_configENS1_38merge_sort_block_merge_config_selectorIiiEEZZNS1_27merge_sort_block_merge_implIS3_N6thrust23THRUST_200600_302600_NS6detail15normal_iteratorINS8_10device_ptrIiEEEESD_jNS1_19radix_merge_compareILb0ELb0EiNS0_19identity_decomposerEEEEE10hipError_tT0_T1_T2_jT3_P12ihipStream_tbPNSt15iterator_traitsISI_E10value_typeEPNSO_ISJ_E10value_typeEPSK_NS1_7vsmem_tEENKUlT_SI_SJ_SK_E_clIPiSD_S10_SD_EESH_SX_SI_SJ_SK_EUlSX_E_NS1_11comp_targetILNS1_3genE9ELNS1_11target_archE1100ELNS1_3gpuE3ELNS1_3repE0EEENS1_48merge_mergepath_partition_config_static_selectorELNS0_4arch9wavefront6targetE1EEEvSJ_.num_vgpr, 0
	.set _ZN7rocprim17ROCPRIM_400000_NS6detail17trampoline_kernelINS0_14default_configENS1_38merge_sort_block_merge_config_selectorIiiEEZZNS1_27merge_sort_block_merge_implIS3_N6thrust23THRUST_200600_302600_NS6detail15normal_iteratorINS8_10device_ptrIiEEEESD_jNS1_19radix_merge_compareILb0ELb0EiNS0_19identity_decomposerEEEEE10hipError_tT0_T1_T2_jT3_P12ihipStream_tbPNSt15iterator_traitsISI_E10value_typeEPNSO_ISJ_E10value_typeEPSK_NS1_7vsmem_tEENKUlT_SI_SJ_SK_E_clIPiSD_S10_SD_EESH_SX_SI_SJ_SK_EUlSX_E_NS1_11comp_targetILNS1_3genE9ELNS1_11target_archE1100ELNS1_3gpuE3ELNS1_3repE0EEENS1_48merge_mergepath_partition_config_static_selectorELNS0_4arch9wavefront6targetE1EEEvSJ_.num_agpr, 0
	.set _ZN7rocprim17ROCPRIM_400000_NS6detail17trampoline_kernelINS0_14default_configENS1_38merge_sort_block_merge_config_selectorIiiEEZZNS1_27merge_sort_block_merge_implIS3_N6thrust23THRUST_200600_302600_NS6detail15normal_iteratorINS8_10device_ptrIiEEEESD_jNS1_19radix_merge_compareILb0ELb0EiNS0_19identity_decomposerEEEEE10hipError_tT0_T1_T2_jT3_P12ihipStream_tbPNSt15iterator_traitsISI_E10value_typeEPNSO_ISJ_E10value_typeEPSK_NS1_7vsmem_tEENKUlT_SI_SJ_SK_E_clIPiSD_S10_SD_EESH_SX_SI_SJ_SK_EUlSX_E_NS1_11comp_targetILNS1_3genE9ELNS1_11target_archE1100ELNS1_3gpuE3ELNS1_3repE0EEENS1_48merge_mergepath_partition_config_static_selectorELNS0_4arch9wavefront6targetE1EEEvSJ_.numbered_sgpr, 0
	.set _ZN7rocprim17ROCPRIM_400000_NS6detail17trampoline_kernelINS0_14default_configENS1_38merge_sort_block_merge_config_selectorIiiEEZZNS1_27merge_sort_block_merge_implIS3_N6thrust23THRUST_200600_302600_NS6detail15normal_iteratorINS8_10device_ptrIiEEEESD_jNS1_19radix_merge_compareILb0ELb0EiNS0_19identity_decomposerEEEEE10hipError_tT0_T1_T2_jT3_P12ihipStream_tbPNSt15iterator_traitsISI_E10value_typeEPNSO_ISJ_E10value_typeEPSK_NS1_7vsmem_tEENKUlT_SI_SJ_SK_E_clIPiSD_S10_SD_EESH_SX_SI_SJ_SK_EUlSX_E_NS1_11comp_targetILNS1_3genE9ELNS1_11target_archE1100ELNS1_3gpuE3ELNS1_3repE0EEENS1_48merge_mergepath_partition_config_static_selectorELNS0_4arch9wavefront6targetE1EEEvSJ_.num_named_barrier, 0
	.set _ZN7rocprim17ROCPRIM_400000_NS6detail17trampoline_kernelINS0_14default_configENS1_38merge_sort_block_merge_config_selectorIiiEEZZNS1_27merge_sort_block_merge_implIS3_N6thrust23THRUST_200600_302600_NS6detail15normal_iteratorINS8_10device_ptrIiEEEESD_jNS1_19radix_merge_compareILb0ELb0EiNS0_19identity_decomposerEEEEE10hipError_tT0_T1_T2_jT3_P12ihipStream_tbPNSt15iterator_traitsISI_E10value_typeEPNSO_ISJ_E10value_typeEPSK_NS1_7vsmem_tEENKUlT_SI_SJ_SK_E_clIPiSD_S10_SD_EESH_SX_SI_SJ_SK_EUlSX_E_NS1_11comp_targetILNS1_3genE9ELNS1_11target_archE1100ELNS1_3gpuE3ELNS1_3repE0EEENS1_48merge_mergepath_partition_config_static_selectorELNS0_4arch9wavefront6targetE1EEEvSJ_.private_seg_size, 0
	.set _ZN7rocprim17ROCPRIM_400000_NS6detail17trampoline_kernelINS0_14default_configENS1_38merge_sort_block_merge_config_selectorIiiEEZZNS1_27merge_sort_block_merge_implIS3_N6thrust23THRUST_200600_302600_NS6detail15normal_iteratorINS8_10device_ptrIiEEEESD_jNS1_19radix_merge_compareILb0ELb0EiNS0_19identity_decomposerEEEEE10hipError_tT0_T1_T2_jT3_P12ihipStream_tbPNSt15iterator_traitsISI_E10value_typeEPNSO_ISJ_E10value_typeEPSK_NS1_7vsmem_tEENKUlT_SI_SJ_SK_E_clIPiSD_S10_SD_EESH_SX_SI_SJ_SK_EUlSX_E_NS1_11comp_targetILNS1_3genE9ELNS1_11target_archE1100ELNS1_3gpuE3ELNS1_3repE0EEENS1_48merge_mergepath_partition_config_static_selectorELNS0_4arch9wavefront6targetE1EEEvSJ_.uses_vcc, 0
	.set _ZN7rocprim17ROCPRIM_400000_NS6detail17trampoline_kernelINS0_14default_configENS1_38merge_sort_block_merge_config_selectorIiiEEZZNS1_27merge_sort_block_merge_implIS3_N6thrust23THRUST_200600_302600_NS6detail15normal_iteratorINS8_10device_ptrIiEEEESD_jNS1_19radix_merge_compareILb0ELb0EiNS0_19identity_decomposerEEEEE10hipError_tT0_T1_T2_jT3_P12ihipStream_tbPNSt15iterator_traitsISI_E10value_typeEPNSO_ISJ_E10value_typeEPSK_NS1_7vsmem_tEENKUlT_SI_SJ_SK_E_clIPiSD_S10_SD_EESH_SX_SI_SJ_SK_EUlSX_E_NS1_11comp_targetILNS1_3genE9ELNS1_11target_archE1100ELNS1_3gpuE3ELNS1_3repE0EEENS1_48merge_mergepath_partition_config_static_selectorELNS0_4arch9wavefront6targetE1EEEvSJ_.uses_flat_scratch, 0
	.set _ZN7rocprim17ROCPRIM_400000_NS6detail17trampoline_kernelINS0_14default_configENS1_38merge_sort_block_merge_config_selectorIiiEEZZNS1_27merge_sort_block_merge_implIS3_N6thrust23THRUST_200600_302600_NS6detail15normal_iteratorINS8_10device_ptrIiEEEESD_jNS1_19radix_merge_compareILb0ELb0EiNS0_19identity_decomposerEEEEE10hipError_tT0_T1_T2_jT3_P12ihipStream_tbPNSt15iterator_traitsISI_E10value_typeEPNSO_ISJ_E10value_typeEPSK_NS1_7vsmem_tEENKUlT_SI_SJ_SK_E_clIPiSD_S10_SD_EESH_SX_SI_SJ_SK_EUlSX_E_NS1_11comp_targetILNS1_3genE9ELNS1_11target_archE1100ELNS1_3gpuE3ELNS1_3repE0EEENS1_48merge_mergepath_partition_config_static_selectorELNS0_4arch9wavefront6targetE1EEEvSJ_.has_dyn_sized_stack, 0
	.set _ZN7rocprim17ROCPRIM_400000_NS6detail17trampoline_kernelINS0_14default_configENS1_38merge_sort_block_merge_config_selectorIiiEEZZNS1_27merge_sort_block_merge_implIS3_N6thrust23THRUST_200600_302600_NS6detail15normal_iteratorINS8_10device_ptrIiEEEESD_jNS1_19radix_merge_compareILb0ELb0EiNS0_19identity_decomposerEEEEE10hipError_tT0_T1_T2_jT3_P12ihipStream_tbPNSt15iterator_traitsISI_E10value_typeEPNSO_ISJ_E10value_typeEPSK_NS1_7vsmem_tEENKUlT_SI_SJ_SK_E_clIPiSD_S10_SD_EESH_SX_SI_SJ_SK_EUlSX_E_NS1_11comp_targetILNS1_3genE9ELNS1_11target_archE1100ELNS1_3gpuE3ELNS1_3repE0EEENS1_48merge_mergepath_partition_config_static_selectorELNS0_4arch9wavefront6targetE1EEEvSJ_.has_recursion, 0
	.set _ZN7rocprim17ROCPRIM_400000_NS6detail17trampoline_kernelINS0_14default_configENS1_38merge_sort_block_merge_config_selectorIiiEEZZNS1_27merge_sort_block_merge_implIS3_N6thrust23THRUST_200600_302600_NS6detail15normal_iteratorINS8_10device_ptrIiEEEESD_jNS1_19radix_merge_compareILb0ELb0EiNS0_19identity_decomposerEEEEE10hipError_tT0_T1_T2_jT3_P12ihipStream_tbPNSt15iterator_traitsISI_E10value_typeEPNSO_ISJ_E10value_typeEPSK_NS1_7vsmem_tEENKUlT_SI_SJ_SK_E_clIPiSD_S10_SD_EESH_SX_SI_SJ_SK_EUlSX_E_NS1_11comp_targetILNS1_3genE9ELNS1_11target_archE1100ELNS1_3gpuE3ELNS1_3repE0EEENS1_48merge_mergepath_partition_config_static_selectorELNS0_4arch9wavefront6targetE1EEEvSJ_.has_indirect_call, 0
	.section	.AMDGPU.csdata,"",@progbits
; Kernel info:
; codeLenInByte = 0
; TotalNumSgprs: 6
; NumVgprs: 0
; NumAgprs: 0
; TotalNumVgprs: 0
; ScratchSize: 0
; MemoryBound: 0
; FloatMode: 240
; IeeeMode: 1
; LDSByteSize: 0 bytes/workgroup (compile time only)
; SGPRBlocks: 0
; VGPRBlocks: 0
; NumSGPRsForWavesPerEU: 6
; NumVGPRsForWavesPerEU: 1
; AccumOffset: 4
; Occupancy: 8
; WaveLimiterHint : 0
; COMPUTE_PGM_RSRC2:SCRATCH_EN: 0
; COMPUTE_PGM_RSRC2:USER_SGPR: 2
; COMPUTE_PGM_RSRC2:TRAP_HANDLER: 0
; COMPUTE_PGM_RSRC2:TGID_X_EN: 1
; COMPUTE_PGM_RSRC2:TGID_Y_EN: 0
; COMPUTE_PGM_RSRC2:TGID_Z_EN: 0
; COMPUTE_PGM_RSRC2:TIDIG_COMP_CNT: 0
; COMPUTE_PGM_RSRC3_GFX90A:ACCUM_OFFSET: 0
; COMPUTE_PGM_RSRC3_GFX90A:TG_SPLIT: 0
	.section	.text._ZN7rocprim17ROCPRIM_400000_NS6detail17trampoline_kernelINS0_14default_configENS1_38merge_sort_block_merge_config_selectorIiiEEZZNS1_27merge_sort_block_merge_implIS3_N6thrust23THRUST_200600_302600_NS6detail15normal_iteratorINS8_10device_ptrIiEEEESD_jNS1_19radix_merge_compareILb0ELb0EiNS0_19identity_decomposerEEEEE10hipError_tT0_T1_T2_jT3_P12ihipStream_tbPNSt15iterator_traitsISI_E10value_typeEPNSO_ISJ_E10value_typeEPSK_NS1_7vsmem_tEENKUlT_SI_SJ_SK_E_clIPiSD_S10_SD_EESH_SX_SI_SJ_SK_EUlSX_E_NS1_11comp_targetILNS1_3genE8ELNS1_11target_archE1030ELNS1_3gpuE2ELNS1_3repE0EEENS1_48merge_mergepath_partition_config_static_selectorELNS0_4arch9wavefront6targetE1EEEvSJ_,"axG",@progbits,_ZN7rocprim17ROCPRIM_400000_NS6detail17trampoline_kernelINS0_14default_configENS1_38merge_sort_block_merge_config_selectorIiiEEZZNS1_27merge_sort_block_merge_implIS3_N6thrust23THRUST_200600_302600_NS6detail15normal_iteratorINS8_10device_ptrIiEEEESD_jNS1_19radix_merge_compareILb0ELb0EiNS0_19identity_decomposerEEEEE10hipError_tT0_T1_T2_jT3_P12ihipStream_tbPNSt15iterator_traitsISI_E10value_typeEPNSO_ISJ_E10value_typeEPSK_NS1_7vsmem_tEENKUlT_SI_SJ_SK_E_clIPiSD_S10_SD_EESH_SX_SI_SJ_SK_EUlSX_E_NS1_11comp_targetILNS1_3genE8ELNS1_11target_archE1030ELNS1_3gpuE2ELNS1_3repE0EEENS1_48merge_mergepath_partition_config_static_selectorELNS0_4arch9wavefront6targetE1EEEvSJ_,comdat
	.protected	_ZN7rocprim17ROCPRIM_400000_NS6detail17trampoline_kernelINS0_14default_configENS1_38merge_sort_block_merge_config_selectorIiiEEZZNS1_27merge_sort_block_merge_implIS3_N6thrust23THRUST_200600_302600_NS6detail15normal_iteratorINS8_10device_ptrIiEEEESD_jNS1_19radix_merge_compareILb0ELb0EiNS0_19identity_decomposerEEEEE10hipError_tT0_T1_T2_jT3_P12ihipStream_tbPNSt15iterator_traitsISI_E10value_typeEPNSO_ISJ_E10value_typeEPSK_NS1_7vsmem_tEENKUlT_SI_SJ_SK_E_clIPiSD_S10_SD_EESH_SX_SI_SJ_SK_EUlSX_E_NS1_11comp_targetILNS1_3genE8ELNS1_11target_archE1030ELNS1_3gpuE2ELNS1_3repE0EEENS1_48merge_mergepath_partition_config_static_selectorELNS0_4arch9wavefront6targetE1EEEvSJ_ ; -- Begin function _ZN7rocprim17ROCPRIM_400000_NS6detail17trampoline_kernelINS0_14default_configENS1_38merge_sort_block_merge_config_selectorIiiEEZZNS1_27merge_sort_block_merge_implIS3_N6thrust23THRUST_200600_302600_NS6detail15normal_iteratorINS8_10device_ptrIiEEEESD_jNS1_19radix_merge_compareILb0ELb0EiNS0_19identity_decomposerEEEEE10hipError_tT0_T1_T2_jT3_P12ihipStream_tbPNSt15iterator_traitsISI_E10value_typeEPNSO_ISJ_E10value_typeEPSK_NS1_7vsmem_tEENKUlT_SI_SJ_SK_E_clIPiSD_S10_SD_EESH_SX_SI_SJ_SK_EUlSX_E_NS1_11comp_targetILNS1_3genE8ELNS1_11target_archE1030ELNS1_3gpuE2ELNS1_3repE0EEENS1_48merge_mergepath_partition_config_static_selectorELNS0_4arch9wavefront6targetE1EEEvSJ_
	.globl	_ZN7rocprim17ROCPRIM_400000_NS6detail17trampoline_kernelINS0_14default_configENS1_38merge_sort_block_merge_config_selectorIiiEEZZNS1_27merge_sort_block_merge_implIS3_N6thrust23THRUST_200600_302600_NS6detail15normal_iteratorINS8_10device_ptrIiEEEESD_jNS1_19radix_merge_compareILb0ELb0EiNS0_19identity_decomposerEEEEE10hipError_tT0_T1_T2_jT3_P12ihipStream_tbPNSt15iterator_traitsISI_E10value_typeEPNSO_ISJ_E10value_typeEPSK_NS1_7vsmem_tEENKUlT_SI_SJ_SK_E_clIPiSD_S10_SD_EESH_SX_SI_SJ_SK_EUlSX_E_NS1_11comp_targetILNS1_3genE8ELNS1_11target_archE1030ELNS1_3gpuE2ELNS1_3repE0EEENS1_48merge_mergepath_partition_config_static_selectorELNS0_4arch9wavefront6targetE1EEEvSJ_
	.p2align	8
	.type	_ZN7rocprim17ROCPRIM_400000_NS6detail17trampoline_kernelINS0_14default_configENS1_38merge_sort_block_merge_config_selectorIiiEEZZNS1_27merge_sort_block_merge_implIS3_N6thrust23THRUST_200600_302600_NS6detail15normal_iteratorINS8_10device_ptrIiEEEESD_jNS1_19radix_merge_compareILb0ELb0EiNS0_19identity_decomposerEEEEE10hipError_tT0_T1_T2_jT3_P12ihipStream_tbPNSt15iterator_traitsISI_E10value_typeEPNSO_ISJ_E10value_typeEPSK_NS1_7vsmem_tEENKUlT_SI_SJ_SK_E_clIPiSD_S10_SD_EESH_SX_SI_SJ_SK_EUlSX_E_NS1_11comp_targetILNS1_3genE8ELNS1_11target_archE1030ELNS1_3gpuE2ELNS1_3repE0EEENS1_48merge_mergepath_partition_config_static_selectorELNS0_4arch9wavefront6targetE1EEEvSJ_,@function
_ZN7rocprim17ROCPRIM_400000_NS6detail17trampoline_kernelINS0_14default_configENS1_38merge_sort_block_merge_config_selectorIiiEEZZNS1_27merge_sort_block_merge_implIS3_N6thrust23THRUST_200600_302600_NS6detail15normal_iteratorINS8_10device_ptrIiEEEESD_jNS1_19radix_merge_compareILb0ELb0EiNS0_19identity_decomposerEEEEE10hipError_tT0_T1_T2_jT3_P12ihipStream_tbPNSt15iterator_traitsISI_E10value_typeEPNSO_ISJ_E10value_typeEPSK_NS1_7vsmem_tEENKUlT_SI_SJ_SK_E_clIPiSD_S10_SD_EESH_SX_SI_SJ_SK_EUlSX_E_NS1_11comp_targetILNS1_3genE8ELNS1_11target_archE1030ELNS1_3gpuE2ELNS1_3repE0EEENS1_48merge_mergepath_partition_config_static_selectorELNS0_4arch9wavefront6targetE1EEEvSJ_: ; @_ZN7rocprim17ROCPRIM_400000_NS6detail17trampoline_kernelINS0_14default_configENS1_38merge_sort_block_merge_config_selectorIiiEEZZNS1_27merge_sort_block_merge_implIS3_N6thrust23THRUST_200600_302600_NS6detail15normal_iteratorINS8_10device_ptrIiEEEESD_jNS1_19radix_merge_compareILb0ELb0EiNS0_19identity_decomposerEEEEE10hipError_tT0_T1_T2_jT3_P12ihipStream_tbPNSt15iterator_traitsISI_E10value_typeEPNSO_ISJ_E10value_typeEPSK_NS1_7vsmem_tEENKUlT_SI_SJ_SK_E_clIPiSD_S10_SD_EESH_SX_SI_SJ_SK_EUlSX_E_NS1_11comp_targetILNS1_3genE8ELNS1_11target_archE1030ELNS1_3gpuE2ELNS1_3repE0EEENS1_48merge_mergepath_partition_config_static_selectorELNS0_4arch9wavefront6targetE1EEEvSJ_
; %bb.0:
	.section	.rodata,"a",@progbits
	.p2align	6, 0x0
	.amdhsa_kernel _ZN7rocprim17ROCPRIM_400000_NS6detail17trampoline_kernelINS0_14default_configENS1_38merge_sort_block_merge_config_selectorIiiEEZZNS1_27merge_sort_block_merge_implIS3_N6thrust23THRUST_200600_302600_NS6detail15normal_iteratorINS8_10device_ptrIiEEEESD_jNS1_19radix_merge_compareILb0ELb0EiNS0_19identity_decomposerEEEEE10hipError_tT0_T1_T2_jT3_P12ihipStream_tbPNSt15iterator_traitsISI_E10value_typeEPNSO_ISJ_E10value_typeEPSK_NS1_7vsmem_tEENKUlT_SI_SJ_SK_E_clIPiSD_S10_SD_EESH_SX_SI_SJ_SK_EUlSX_E_NS1_11comp_targetILNS1_3genE8ELNS1_11target_archE1030ELNS1_3gpuE2ELNS1_3repE0EEENS1_48merge_mergepath_partition_config_static_selectorELNS0_4arch9wavefront6targetE1EEEvSJ_
		.amdhsa_group_segment_fixed_size 0
		.amdhsa_private_segment_fixed_size 0
		.amdhsa_kernarg_size 40
		.amdhsa_user_sgpr_count 2
		.amdhsa_user_sgpr_dispatch_ptr 0
		.amdhsa_user_sgpr_queue_ptr 0
		.amdhsa_user_sgpr_kernarg_segment_ptr 1
		.amdhsa_user_sgpr_dispatch_id 0
		.amdhsa_user_sgpr_kernarg_preload_length 0
		.amdhsa_user_sgpr_kernarg_preload_offset 0
		.amdhsa_user_sgpr_private_segment_size 0
		.amdhsa_uses_dynamic_stack 0
		.amdhsa_enable_private_segment 0
		.amdhsa_system_sgpr_workgroup_id_x 1
		.amdhsa_system_sgpr_workgroup_id_y 0
		.amdhsa_system_sgpr_workgroup_id_z 0
		.amdhsa_system_sgpr_workgroup_info 0
		.amdhsa_system_vgpr_workitem_id 0
		.amdhsa_next_free_vgpr 1
		.amdhsa_next_free_sgpr 0
		.amdhsa_accum_offset 4
		.amdhsa_reserve_vcc 0
		.amdhsa_float_round_mode_32 0
		.amdhsa_float_round_mode_16_64 0
		.amdhsa_float_denorm_mode_32 3
		.amdhsa_float_denorm_mode_16_64 3
		.amdhsa_dx10_clamp 1
		.amdhsa_ieee_mode 1
		.amdhsa_fp16_overflow 0
		.amdhsa_tg_split 0
		.amdhsa_exception_fp_ieee_invalid_op 0
		.amdhsa_exception_fp_denorm_src 0
		.amdhsa_exception_fp_ieee_div_zero 0
		.amdhsa_exception_fp_ieee_overflow 0
		.amdhsa_exception_fp_ieee_underflow 0
		.amdhsa_exception_fp_ieee_inexact 0
		.amdhsa_exception_int_div_zero 0
	.end_amdhsa_kernel
	.section	.text._ZN7rocprim17ROCPRIM_400000_NS6detail17trampoline_kernelINS0_14default_configENS1_38merge_sort_block_merge_config_selectorIiiEEZZNS1_27merge_sort_block_merge_implIS3_N6thrust23THRUST_200600_302600_NS6detail15normal_iteratorINS8_10device_ptrIiEEEESD_jNS1_19radix_merge_compareILb0ELb0EiNS0_19identity_decomposerEEEEE10hipError_tT0_T1_T2_jT3_P12ihipStream_tbPNSt15iterator_traitsISI_E10value_typeEPNSO_ISJ_E10value_typeEPSK_NS1_7vsmem_tEENKUlT_SI_SJ_SK_E_clIPiSD_S10_SD_EESH_SX_SI_SJ_SK_EUlSX_E_NS1_11comp_targetILNS1_3genE8ELNS1_11target_archE1030ELNS1_3gpuE2ELNS1_3repE0EEENS1_48merge_mergepath_partition_config_static_selectorELNS0_4arch9wavefront6targetE1EEEvSJ_,"axG",@progbits,_ZN7rocprim17ROCPRIM_400000_NS6detail17trampoline_kernelINS0_14default_configENS1_38merge_sort_block_merge_config_selectorIiiEEZZNS1_27merge_sort_block_merge_implIS3_N6thrust23THRUST_200600_302600_NS6detail15normal_iteratorINS8_10device_ptrIiEEEESD_jNS1_19radix_merge_compareILb0ELb0EiNS0_19identity_decomposerEEEEE10hipError_tT0_T1_T2_jT3_P12ihipStream_tbPNSt15iterator_traitsISI_E10value_typeEPNSO_ISJ_E10value_typeEPSK_NS1_7vsmem_tEENKUlT_SI_SJ_SK_E_clIPiSD_S10_SD_EESH_SX_SI_SJ_SK_EUlSX_E_NS1_11comp_targetILNS1_3genE8ELNS1_11target_archE1030ELNS1_3gpuE2ELNS1_3repE0EEENS1_48merge_mergepath_partition_config_static_selectorELNS0_4arch9wavefront6targetE1EEEvSJ_,comdat
.Lfunc_end1294:
	.size	_ZN7rocprim17ROCPRIM_400000_NS6detail17trampoline_kernelINS0_14default_configENS1_38merge_sort_block_merge_config_selectorIiiEEZZNS1_27merge_sort_block_merge_implIS3_N6thrust23THRUST_200600_302600_NS6detail15normal_iteratorINS8_10device_ptrIiEEEESD_jNS1_19radix_merge_compareILb0ELb0EiNS0_19identity_decomposerEEEEE10hipError_tT0_T1_T2_jT3_P12ihipStream_tbPNSt15iterator_traitsISI_E10value_typeEPNSO_ISJ_E10value_typeEPSK_NS1_7vsmem_tEENKUlT_SI_SJ_SK_E_clIPiSD_S10_SD_EESH_SX_SI_SJ_SK_EUlSX_E_NS1_11comp_targetILNS1_3genE8ELNS1_11target_archE1030ELNS1_3gpuE2ELNS1_3repE0EEENS1_48merge_mergepath_partition_config_static_selectorELNS0_4arch9wavefront6targetE1EEEvSJ_, .Lfunc_end1294-_ZN7rocprim17ROCPRIM_400000_NS6detail17trampoline_kernelINS0_14default_configENS1_38merge_sort_block_merge_config_selectorIiiEEZZNS1_27merge_sort_block_merge_implIS3_N6thrust23THRUST_200600_302600_NS6detail15normal_iteratorINS8_10device_ptrIiEEEESD_jNS1_19radix_merge_compareILb0ELb0EiNS0_19identity_decomposerEEEEE10hipError_tT0_T1_T2_jT3_P12ihipStream_tbPNSt15iterator_traitsISI_E10value_typeEPNSO_ISJ_E10value_typeEPSK_NS1_7vsmem_tEENKUlT_SI_SJ_SK_E_clIPiSD_S10_SD_EESH_SX_SI_SJ_SK_EUlSX_E_NS1_11comp_targetILNS1_3genE8ELNS1_11target_archE1030ELNS1_3gpuE2ELNS1_3repE0EEENS1_48merge_mergepath_partition_config_static_selectorELNS0_4arch9wavefront6targetE1EEEvSJ_
                                        ; -- End function
	.set _ZN7rocprim17ROCPRIM_400000_NS6detail17trampoline_kernelINS0_14default_configENS1_38merge_sort_block_merge_config_selectorIiiEEZZNS1_27merge_sort_block_merge_implIS3_N6thrust23THRUST_200600_302600_NS6detail15normal_iteratorINS8_10device_ptrIiEEEESD_jNS1_19radix_merge_compareILb0ELb0EiNS0_19identity_decomposerEEEEE10hipError_tT0_T1_T2_jT3_P12ihipStream_tbPNSt15iterator_traitsISI_E10value_typeEPNSO_ISJ_E10value_typeEPSK_NS1_7vsmem_tEENKUlT_SI_SJ_SK_E_clIPiSD_S10_SD_EESH_SX_SI_SJ_SK_EUlSX_E_NS1_11comp_targetILNS1_3genE8ELNS1_11target_archE1030ELNS1_3gpuE2ELNS1_3repE0EEENS1_48merge_mergepath_partition_config_static_selectorELNS0_4arch9wavefront6targetE1EEEvSJ_.num_vgpr, 0
	.set _ZN7rocprim17ROCPRIM_400000_NS6detail17trampoline_kernelINS0_14default_configENS1_38merge_sort_block_merge_config_selectorIiiEEZZNS1_27merge_sort_block_merge_implIS3_N6thrust23THRUST_200600_302600_NS6detail15normal_iteratorINS8_10device_ptrIiEEEESD_jNS1_19radix_merge_compareILb0ELb0EiNS0_19identity_decomposerEEEEE10hipError_tT0_T1_T2_jT3_P12ihipStream_tbPNSt15iterator_traitsISI_E10value_typeEPNSO_ISJ_E10value_typeEPSK_NS1_7vsmem_tEENKUlT_SI_SJ_SK_E_clIPiSD_S10_SD_EESH_SX_SI_SJ_SK_EUlSX_E_NS1_11comp_targetILNS1_3genE8ELNS1_11target_archE1030ELNS1_3gpuE2ELNS1_3repE0EEENS1_48merge_mergepath_partition_config_static_selectorELNS0_4arch9wavefront6targetE1EEEvSJ_.num_agpr, 0
	.set _ZN7rocprim17ROCPRIM_400000_NS6detail17trampoline_kernelINS0_14default_configENS1_38merge_sort_block_merge_config_selectorIiiEEZZNS1_27merge_sort_block_merge_implIS3_N6thrust23THRUST_200600_302600_NS6detail15normal_iteratorINS8_10device_ptrIiEEEESD_jNS1_19radix_merge_compareILb0ELb0EiNS0_19identity_decomposerEEEEE10hipError_tT0_T1_T2_jT3_P12ihipStream_tbPNSt15iterator_traitsISI_E10value_typeEPNSO_ISJ_E10value_typeEPSK_NS1_7vsmem_tEENKUlT_SI_SJ_SK_E_clIPiSD_S10_SD_EESH_SX_SI_SJ_SK_EUlSX_E_NS1_11comp_targetILNS1_3genE8ELNS1_11target_archE1030ELNS1_3gpuE2ELNS1_3repE0EEENS1_48merge_mergepath_partition_config_static_selectorELNS0_4arch9wavefront6targetE1EEEvSJ_.numbered_sgpr, 0
	.set _ZN7rocprim17ROCPRIM_400000_NS6detail17trampoline_kernelINS0_14default_configENS1_38merge_sort_block_merge_config_selectorIiiEEZZNS1_27merge_sort_block_merge_implIS3_N6thrust23THRUST_200600_302600_NS6detail15normal_iteratorINS8_10device_ptrIiEEEESD_jNS1_19radix_merge_compareILb0ELb0EiNS0_19identity_decomposerEEEEE10hipError_tT0_T1_T2_jT3_P12ihipStream_tbPNSt15iterator_traitsISI_E10value_typeEPNSO_ISJ_E10value_typeEPSK_NS1_7vsmem_tEENKUlT_SI_SJ_SK_E_clIPiSD_S10_SD_EESH_SX_SI_SJ_SK_EUlSX_E_NS1_11comp_targetILNS1_3genE8ELNS1_11target_archE1030ELNS1_3gpuE2ELNS1_3repE0EEENS1_48merge_mergepath_partition_config_static_selectorELNS0_4arch9wavefront6targetE1EEEvSJ_.num_named_barrier, 0
	.set _ZN7rocprim17ROCPRIM_400000_NS6detail17trampoline_kernelINS0_14default_configENS1_38merge_sort_block_merge_config_selectorIiiEEZZNS1_27merge_sort_block_merge_implIS3_N6thrust23THRUST_200600_302600_NS6detail15normal_iteratorINS8_10device_ptrIiEEEESD_jNS1_19radix_merge_compareILb0ELb0EiNS0_19identity_decomposerEEEEE10hipError_tT0_T1_T2_jT3_P12ihipStream_tbPNSt15iterator_traitsISI_E10value_typeEPNSO_ISJ_E10value_typeEPSK_NS1_7vsmem_tEENKUlT_SI_SJ_SK_E_clIPiSD_S10_SD_EESH_SX_SI_SJ_SK_EUlSX_E_NS1_11comp_targetILNS1_3genE8ELNS1_11target_archE1030ELNS1_3gpuE2ELNS1_3repE0EEENS1_48merge_mergepath_partition_config_static_selectorELNS0_4arch9wavefront6targetE1EEEvSJ_.private_seg_size, 0
	.set _ZN7rocprim17ROCPRIM_400000_NS6detail17trampoline_kernelINS0_14default_configENS1_38merge_sort_block_merge_config_selectorIiiEEZZNS1_27merge_sort_block_merge_implIS3_N6thrust23THRUST_200600_302600_NS6detail15normal_iteratorINS8_10device_ptrIiEEEESD_jNS1_19radix_merge_compareILb0ELb0EiNS0_19identity_decomposerEEEEE10hipError_tT0_T1_T2_jT3_P12ihipStream_tbPNSt15iterator_traitsISI_E10value_typeEPNSO_ISJ_E10value_typeEPSK_NS1_7vsmem_tEENKUlT_SI_SJ_SK_E_clIPiSD_S10_SD_EESH_SX_SI_SJ_SK_EUlSX_E_NS1_11comp_targetILNS1_3genE8ELNS1_11target_archE1030ELNS1_3gpuE2ELNS1_3repE0EEENS1_48merge_mergepath_partition_config_static_selectorELNS0_4arch9wavefront6targetE1EEEvSJ_.uses_vcc, 0
	.set _ZN7rocprim17ROCPRIM_400000_NS6detail17trampoline_kernelINS0_14default_configENS1_38merge_sort_block_merge_config_selectorIiiEEZZNS1_27merge_sort_block_merge_implIS3_N6thrust23THRUST_200600_302600_NS6detail15normal_iteratorINS8_10device_ptrIiEEEESD_jNS1_19radix_merge_compareILb0ELb0EiNS0_19identity_decomposerEEEEE10hipError_tT0_T1_T2_jT3_P12ihipStream_tbPNSt15iterator_traitsISI_E10value_typeEPNSO_ISJ_E10value_typeEPSK_NS1_7vsmem_tEENKUlT_SI_SJ_SK_E_clIPiSD_S10_SD_EESH_SX_SI_SJ_SK_EUlSX_E_NS1_11comp_targetILNS1_3genE8ELNS1_11target_archE1030ELNS1_3gpuE2ELNS1_3repE0EEENS1_48merge_mergepath_partition_config_static_selectorELNS0_4arch9wavefront6targetE1EEEvSJ_.uses_flat_scratch, 0
	.set _ZN7rocprim17ROCPRIM_400000_NS6detail17trampoline_kernelINS0_14default_configENS1_38merge_sort_block_merge_config_selectorIiiEEZZNS1_27merge_sort_block_merge_implIS3_N6thrust23THRUST_200600_302600_NS6detail15normal_iteratorINS8_10device_ptrIiEEEESD_jNS1_19radix_merge_compareILb0ELb0EiNS0_19identity_decomposerEEEEE10hipError_tT0_T1_T2_jT3_P12ihipStream_tbPNSt15iterator_traitsISI_E10value_typeEPNSO_ISJ_E10value_typeEPSK_NS1_7vsmem_tEENKUlT_SI_SJ_SK_E_clIPiSD_S10_SD_EESH_SX_SI_SJ_SK_EUlSX_E_NS1_11comp_targetILNS1_3genE8ELNS1_11target_archE1030ELNS1_3gpuE2ELNS1_3repE0EEENS1_48merge_mergepath_partition_config_static_selectorELNS0_4arch9wavefront6targetE1EEEvSJ_.has_dyn_sized_stack, 0
	.set _ZN7rocprim17ROCPRIM_400000_NS6detail17trampoline_kernelINS0_14default_configENS1_38merge_sort_block_merge_config_selectorIiiEEZZNS1_27merge_sort_block_merge_implIS3_N6thrust23THRUST_200600_302600_NS6detail15normal_iteratorINS8_10device_ptrIiEEEESD_jNS1_19radix_merge_compareILb0ELb0EiNS0_19identity_decomposerEEEEE10hipError_tT0_T1_T2_jT3_P12ihipStream_tbPNSt15iterator_traitsISI_E10value_typeEPNSO_ISJ_E10value_typeEPSK_NS1_7vsmem_tEENKUlT_SI_SJ_SK_E_clIPiSD_S10_SD_EESH_SX_SI_SJ_SK_EUlSX_E_NS1_11comp_targetILNS1_3genE8ELNS1_11target_archE1030ELNS1_3gpuE2ELNS1_3repE0EEENS1_48merge_mergepath_partition_config_static_selectorELNS0_4arch9wavefront6targetE1EEEvSJ_.has_recursion, 0
	.set _ZN7rocprim17ROCPRIM_400000_NS6detail17trampoline_kernelINS0_14default_configENS1_38merge_sort_block_merge_config_selectorIiiEEZZNS1_27merge_sort_block_merge_implIS3_N6thrust23THRUST_200600_302600_NS6detail15normal_iteratorINS8_10device_ptrIiEEEESD_jNS1_19radix_merge_compareILb0ELb0EiNS0_19identity_decomposerEEEEE10hipError_tT0_T1_T2_jT3_P12ihipStream_tbPNSt15iterator_traitsISI_E10value_typeEPNSO_ISJ_E10value_typeEPSK_NS1_7vsmem_tEENKUlT_SI_SJ_SK_E_clIPiSD_S10_SD_EESH_SX_SI_SJ_SK_EUlSX_E_NS1_11comp_targetILNS1_3genE8ELNS1_11target_archE1030ELNS1_3gpuE2ELNS1_3repE0EEENS1_48merge_mergepath_partition_config_static_selectorELNS0_4arch9wavefront6targetE1EEEvSJ_.has_indirect_call, 0
	.section	.AMDGPU.csdata,"",@progbits
; Kernel info:
; codeLenInByte = 0
; TotalNumSgprs: 6
; NumVgprs: 0
; NumAgprs: 0
; TotalNumVgprs: 0
; ScratchSize: 0
; MemoryBound: 0
; FloatMode: 240
; IeeeMode: 1
; LDSByteSize: 0 bytes/workgroup (compile time only)
; SGPRBlocks: 0
; VGPRBlocks: 0
; NumSGPRsForWavesPerEU: 6
; NumVGPRsForWavesPerEU: 1
; AccumOffset: 4
; Occupancy: 8
; WaveLimiterHint : 0
; COMPUTE_PGM_RSRC2:SCRATCH_EN: 0
; COMPUTE_PGM_RSRC2:USER_SGPR: 2
; COMPUTE_PGM_RSRC2:TRAP_HANDLER: 0
; COMPUTE_PGM_RSRC2:TGID_X_EN: 1
; COMPUTE_PGM_RSRC2:TGID_Y_EN: 0
; COMPUTE_PGM_RSRC2:TGID_Z_EN: 0
; COMPUTE_PGM_RSRC2:TIDIG_COMP_CNT: 0
; COMPUTE_PGM_RSRC3_GFX90A:ACCUM_OFFSET: 0
; COMPUTE_PGM_RSRC3_GFX90A:TG_SPLIT: 0
	.section	.text._ZN7rocprim17ROCPRIM_400000_NS6detail17trampoline_kernelINS0_14default_configENS1_38merge_sort_block_merge_config_selectorIiiEEZZNS1_27merge_sort_block_merge_implIS3_N6thrust23THRUST_200600_302600_NS6detail15normal_iteratorINS8_10device_ptrIiEEEESD_jNS1_19radix_merge_compareILb0ELb0EiNS0_19identity_decomposerEEEEE10hipError_tT0_T1_T2_jT3_P12ihipStream_tbPNSt15iterator_traitsISI_E10value_typeEPNSO_ISJ_E10value_typeEPSK_NS1_7vsmem_tEENKUlT_SI_SJ_SK_E_clIPiSD_S10_SD_EESH_SX_SI_SJ_SK_EUlSX_E0_NS1_11comp_targetILNS1_3genE0ELNS1_11target_archE4294967295ELNS1_3gpuE0ELNS1_3repE0EEENS1_38merge_mergepath_config_static_selectorELNS0_4arch9wavefront6targetE1EEEvSJ_,"axG",@progbits,_ZN7rocprim17ROCPRIM_400000_NS6detail17trampoline_kernelINS0_14default_configENS1_38merge_sort_block_merge_config_selectorIiiEEZZNS1_27merge_sort_block_merge_implIS3_N6thrust23THRUST_200600_302600_NS6detail15normal_iteratorINS8_10device_ptrIiEEEESD_jNS1_19radix_merge_compareILb0ELb0EiNS0_19identity_decomposerEEEEE10hipError_tT0_T1_T2_jT3_P12ihipStream_tbPNSt15iterator_traitsISI_E10value_typeEPNSO_ISJ_E10value_typeEPSK_NS1_7vsmem_tEENKUlT_SI_SJ_SK_E_clIPiSD_S10_SD_EESH_SX_SI_SJ_SK_EUlSX_E0_NS1_11comp_targetILNS1_3genE0ELNS1_11target_archE4294967295ELNS1_3gpuE0ELNS1_3repE0EEENS1_38merge_mergepath_config_static_selectorELNS0_4arch9wavefront6targetE1EEEvSJ_,comdat
	.protected	_ZN7rocprim17ROCPRIM_400000_NS6detail17trampoline_kernelINS0_14default_configENS1_38merge_sort_block_merge_config_selectorIiiEEZZNS1_27merge_sort_block_merge_implIS3_N6thrust23THRUST_200600_302600_NS6detail15normal_iteratorINS8_10device_ptrIiEEEESD_jNS1_19radix_merge_compareILb0ELb0EiNS0_19identity_decomposerEEEEE10hipError_tT0_T1_T2_jT3_P12ihipStream_tbPNSt15iterator_traitsISI_E10value_typeEPNSO_ISJ_E10value_typeEPSK_NS1_7vsmem_tEENKUlT_SI_SJ_SK_E_clIPiSD_S10_SD_EESH_SX_SI_SJ_SK_EUlSX_E0_NS1_11comp_targetILNS1_3genE0ELNS1_11target_archE4294967295ELNS1_3gpuE0ELNS1_3repE0EEENS1_38merge_mergepath_config_static_selectorELNS0_4arch9wavefront6targetE1EEEvSJ_ ; -- Begin function _ZN7rocprim17ROCPRIM_400000_NS6detail17trampoline_kernelINS0_14default_configENS1_38merge_sort_block_merge_config_selectorIiiEEZZNS1_27merge_sort_block_merge_implIS3_N6thrust23THRUST_200600_302600_NS6detail15normal_iteratorINS8_10device_ptrIiEEEESD_jNS1_19radix_merge_compareILb0ELb0EiNS0_19identity_decomposerEEEEE10hipError_tT0_T1_T2_jT3_P12ihipStream_tbPNSt15iterator_traitsISI_E10value_typeEPNSO_ISJ_E10value_typeEPSK_NS1_7vsmem_tEENKUlT_SI_SJ_SK_E_clIPiSD_S10_SD_EESH_SX_SI_SJ_SK_EUlSX_E0_NS1_11comp_targetILNS1_3genE0ELNS1_11target_archE4294967295ELNS1_3gpuE0ELNS1_3repE0EEENS1_38merge_mergepath_config_static_selectorELNS0_4arch9wavefront6targetE1EEEvSJ_
	.globl	_ZN7rocprim17ROCPRIM_400000_NS6detail17trampoline_kernelINS0_14default_configENS1_38merge_sort_block_merge_config_selectorIiiEEZZNS1_27merge_sort_block_merge_implIS3_N6thrust23THRUST_200600_302600_NS6detail15normal_iteratorINS8_10device_ptrIiEEEESD_jNS1_19radix_merge_compareILb0ELb0EiNS0_19identity_decomposerEEEEE10hipError_tT0_T1_T2_jT3_P12ihipStream_tbPNSt15iterator_traitsISI_E10value_typeEPNSO_ISJ_E10value_typeEPSK_NS1_7vsmem_tEENKUlT_SI_SJ_SK_E_clIPiSD_S10_SD_EESH_SX_SI_SJ_SK_EUlSX_E0_NS1_11comp_targetILNS1_3genE0ELNS1_11target_archE4294967295ELNS1_3gpuE0ELNS1_3repE0EEENS1_38merge_mergepath_config_static_selectorELNS0_4arch9wavefront6targetE1EEEvSJ_
	.p2align	8
	.type	_ZN7rocprim17ROCPRIM_400000_NS6detail17trampoline_kernelINS0_14default_configENS1_38merge_sort_block_merge_config_selectorIiiEEZZNS1_27merge_sort_block_merge_implIS3_N6thrust23THRUST_200600_302600_NS6detail15normal_iteratorINS8_10device_ptrIiEEEESD_jNS1_19radix_merge_compareILb0ELb0EiNS0_19identity_decomposerEEEEE10hipError_tT0_T1_T2_jT3_P12ihipStream_tbPNSt15iterator_traitsISI_E10value_typeEPNSO_ISJ_E10value_typeEPSK_NS1_7vsmem_tEENKUlT_SI_SJ_SK_E_clIPiSD_S10_SD_EESH_SX_SI_SJ_SK_EUlSX_E0_NS1_11comp_targetILNS1_3genE0ELNS1_11target_archE4294967295ELNS1_3gpuE0ELNS1_3repE0EEENS1_38merge_mergepath_config_static_selectorELNS0_4arch9wavefront6targetE1EEEvSJ_,@function
_ZN7rocprim17ROCPRIM_400000_NS6detail17trampoline_kernelINS0_14default_configENS1_38merge_sort_block_merge_config_selectorIiiEEZZNS1_27merge_sort_block_merge_implIS3_N6thrust23THRUST_200600_302600_NS6detail15normal_iteratorINS8_10device_ptrIiEEEESD_jNS1_19radix_merge_compareILb0ELb0EiNS0_19identity_decomposerEEEEE10hipError_tT0_T1_T2_jT3_P12ihipStream_tbPNSt15iterator_traitsISI_E10value_typeEPNSO_ISJ_E10value_typeEPSK_NS1_7vsmem_tEENKUlT_SI_SJ_SK_E_clIPiSD_S10_SD_EESH_SX_SI_SJ_SK_EUlSX_E0_NS1_11comp_targetILNS1_3genE0ELNS1_11target_archE4294967295ELNS1_3gpuE0ELNS1_3repE0EEENS1_38merge_mergepath_config_static_selectorELNS0_4arch9wavefront6targetE1EEEvSJ_: ; @_ZN7rocprim17ROCPRIM_400000_NS6detail17trampoline_kernelINS0_14default_configENS1_38merge_sort_block_merge_config_selectorIiiEEZZNS1_27merge_sort_block_merge_implIS3_N6thrust23THRUST_200600_302600_NS6detail15normal_iteratorINS8_10device_ptrIiEEEESD_jNS1_19radix_merge_compareILb0ELb0EiNS0_19identity_decomposerEEEEE10hipError_tT0_T1_T2_jT3_P12ihipStream_tbPNSt15iterator_traitsISI_E10value_typeEPNSO_ISJ_E10value_typeEPSK_NS1_7vsmem_tEENKUlT_SI_SJ_SK_E_clIPiSD_S10_SD_EESH_SX_SI_SJ_SK_EUlSX_E0_NS1_11comp_targetILNS1_3genE0ELNS1_11target_archE4294967295ELNS1_3gpuE0ELNS1_3repE0EEENS1_38merge_mergepath_config_static_selectorELNS0_4arch9wavefront6targetE1EEEvSJ_
; %bb.0:
	s_load_dwordx2 s[28:29], s[0:1], 0x40
	s_load_dword s5, s[0:1], 0x30
	s_add_u32 s24, s0, 64
	s_addc_u32 s25, s1, 0
	s_waitcnt lgkmcnt(0)
	s_mul_i32 s4, s29, s4
	s_add_i32 s3, s4, s3
	s_mul_i32 s3, s3, s28
	s_add_i32 s26, s3, s2
	s_cmp_ge_u32 s26, s5
	s_cbranch_scc1 .LBB1295_46
; %bb.1:
	s_load_dwordx8 s[8:15], s[0:1], 0x10
	s_load_dwordx2 s[20:21], s[0:1], 0x8
	s_load_dwordx2 s[4:5], s[0:1], 0x38
	s_mov_b32 s27, 0
	s_mov_b32 s23, s27
	s_waitcnt lgkmcnt(0)
	s_lshr_b32 s29, s14, 10
	s_cmp_lg_u32 s26, s29
	s_cselect_b64 s[18:19], -1, 0
	s_lshl_b64 s[0:1], s[26:27], 2
	s_add_u32 s0, s4, s0
	s_addc_u32 s1, s5, s1
	s_load_dwordx2 s[4:5], s[0:1], 0x0
	s_lshr_b32 s0, s15, 9
	s_and_b32 s0, s0, 0x7ffffe
	s_sub_i32 s0, 0, s0
	s_and_b32 s1, s26, s0
	s_lshl_b32 s3, s1, 10
	s_lshl_b32 s16, s26, 10
	;; [unrolled: 1-line block ×3, first 2 shown]
	s_sub_i32 s6, s16, s3
	s_add_i32 s1, s1, s15
	s_add_i32 s6, s1, s6
	s_waitcnt lgkmcnt(0)
	s_sub_i32 s7, s6, s4
	s_sub_i32 s6, s6, s5
	s_sub_i32 s1, s1, s3
	s_min_u32 s22, s14, s7
	s_addk_i32 s6, 0x400
	s_or_b32 s0, s26, s0
	s_min_u32 s3, s14, s1
	s_add_i32 s1, s1, s15
	s_cmp_eq_u32 s0, -1
	s_cselect_b32 s0, s1, s6
	s_cselect_b32 s1, s3, s5
	s_mov_b32 s5, s27
	s_min_u32 s17, s0, s14
	s_sub_i32 s15, s1, s4
	s_lshl_b64 s[0:1], s[4:5], 2
	s_add_u32 s6, s20, s0
	s_addc_u32 s7, s21, s1
	s_lshl_b64 s[4:5], s[22:23], 2
	s_add_u32 s20, s20, s4
	s_addc_u32 s21, s21, s5
	s_cmp_lt_u32 s2, s28
	v_mov_b32_e32 v11, 0
	s_cselect_b32 s2, 12, 18
	global_load_dword v1, v11, s[24:25] offset:14
	s_add_u32 s2, s24, s2
	s_addc_u32 s3, s25, 0
	global_load_ushort v2, v11, s[2:3]
	s_cmp_eq_u32 s26, s29
	v_lshlrev_b32_e32 v10, 2, v0
	s_waitcnt vmcnt(1)
	v_lshrrev_b32_e32 v3, 16, v1
	v_and_b32_e32 v1, 0xffff, v1
	v_mul_lo_u32 v1, v1, v3
	s_waitcnt vmcnt(0)
	v_mul_lo_u32 v1, v1, v2
	v_add_u32_e32 v14, v1, v0
	v_add_u32_e32 v12, v14, v1
	s_cbranch_scc1 .LBB1295_3
; %bb.2:
	v_subrev_co_u32_e32 v4, vcc, s15, v0
	v_mov_b32_e32 v5, v11
	v_lshl_add_u64 v[2:3], s[6:7], 0, v[10:11]
	v_lshl_add_u64 v[4:5], v[4:5], 2, s[20:21]
	v_cndmask_b32_e32 v3, v5, v3, vcc
	v_cndmask_b32_e32 v2, v4, v2, vcc
	global_load_dword v2, v[2:3], off
	v_mov_b32_e32 v15, v11
	v_subrev_co_u32_e32 v6, vcc, s15, v14
	v_mov_b32_e32 v7, v11
	v_lshl_add_u64 v[4:5], v[14:15], 2, s[6:7]
	v_lshl_add_u64 v[6:7], v[6:7], 2, s[20:21]
	v_cndmask_b32_e32 v5, v7, v5, vcc
	v_cndmask_b32_e32 v4, v6, v4, vcc
	v_mov_b32_e32 v13, v11
	v_subrev_co_u32_e32 v6, vcc, s15, v12
	v_mov_b32_e32 v7, v11
	global_load_dword v3, v[4:5], off
	v_lshl_add_u64 v[4:5], v[12:13], 2, s[6:7]
	v_lshl_add_u64 v[6:7], v[6:7], 2, s[20:21]
	v_cndmask_b32_e32 v5, v7, v5, vcc
	v_cndmask_b32_e32 v4, v6, v4, vcc
	global_load_dword v4, v[4:5], off
	v_add_u32_e32 v6, v12, v1
	s_mov_b64 s[2:3], -1
	s_sub_i32 s17, s17, s22
	s_cbranch_execz .LBB1295_4
	s_branch .LBB1295_9
.LBB1295_3:
	s_mov_b64 s[2:3], 0
                                        ; implicit-def: $vgpr6
                                        ; implicit-def: $vgpr2_vgpr3_vgpr4_vgpr5
	s_sub_i32 s17, s17, s22
.LBB1295_4:
	s_add_i32 s22, s17, s15
	s_waitcnt vmcnt(2)
	v_mov_b32_e32 v2, 0
	v_cmp_gt_u32_e32 vcc, s22, v0
	s_waitcnt vmcnt(1)
	v_mov_b32_e32 v3, v2
	s_waitcnt vmcnt(0)
	v_mov_b32_e32 v4, v2
	v_mov_b32_e32 v5, v2
	s_and_saveexec_b64 s[2:3], vcc
	s_cbranch_execnz .LBB1295_47
; %bb.5:
	s_or_b64 exec, exec, s[2:3]
	v_cmp_gt_u32_e32 vcc, s22, v14
	s_and_saveexec_b64 s[2:3], vcc
	s_cbranch_execnz .LBB1295_48
.LBB1295_6:
	s_or_b64 exec, exec, s[2:3]
	v_cmp_gt_u32_e32 vcc, s22, v12
	s_and_saveexec_b64 s[2:3], vcc
	s_cbranch_execz .LBB1295_8
.LBB1295_7:
	v_mov_b32_e32 v13, 0
	v_subrev_co_u32_e32 v8, vcc, s15, v12
	v_mov_b32_e32 v9, v13
	v_lshl_add_u64 v[6:7], v[12:13], 2, s[6:7]
	v_lshl_add_u64 v[8:9], v[8:9], 2, s[20:21]
	v_cndmask_b32_e32 v7, v9, v7, vcc
	v_cndmask_b32_e32 v6, v8, v6, vcc
	global_load_dword v4, v[6:7], off
.LBB1295_8:
	s_or_b64 exec, exec, s[2:3]
	v_add_u32_e32 v6, v12, v1
	v_cmp_gt_u32_e64 s[2:3], s22, v6
.LBB1295_9:
	s_and_saveexec_b64 s[22:23], s[2:3]
	s_cbranch_execz .LBB1295_11
; %bb.10:
	v_mov_b32_e32 v7, 0
	v_lshl_add_u64 v[8:9], v[6:7], 2, s[6:7]
	v_subrev_co_u32_e32 v6, vcc, s15, v6
	v_lshl_add_u64 v[6:7], v[6:7], 2, s[20:21]
	s_nop 0
	v_cndmask_b32_e32 v7, v7, v9, vcc
	v_cndmask_b32_e32 v6, v6, v8, vcc
	global_load_dword v5, v[6:7], off
.LBB1295_11:
	s_or_b64 exec, exec, s[22:23]
	s_add_u32 s0, s10, s0
	s_addc_u32 s1, s11, s1
	s_add_u32 s2, s10, s4
	v_mov_b32_e32 v11, 0
	s_addc_u32 s3, s11, s5
	s_andn2_b64 vcc, exec, s[18:19]
	s_waitcnt vmcnt(0)
	ds_write2st64_b32 v10, v2, v3 offset1:4
	ds_write2st64_b32 v10, v4, v5 offset0:8 offset1:12
	s_cbranch_vccnz .LBB1295_13
; %bb.12:
	v_subrev_co_u32_e32 v8, vcc, s15, v0
	v_mov_b32_e32 v9, v11
	v_lshl_add_u64 v[6:7], s[0:1], 0, v[10:11]
	v_lshl_add_u64 v[8:9], v[8:9], 2, s[2:3]
	v_cndmask_b32_e32 v7, v9, v7, vcc
	v_cndmask_b32_e32 v6, v8, v6, vcc
	v_mov_b32_e32 v15, v11
	v_subrev_co_u32_e32 v16, vcc, s15, v14
	v_mov_b32_e32 v17, v11
	v_lshl_add_u64 v[8:9], v[14:15], 2, s[0:1]
	v_lshl_add_u64 v[16:17], v[16:17], 2, s[2:3]
	v_cndmask_b32_e32 v9, v17, v9, vcc
	v_cndmask_b32_e32 v8, v16, v8, vcc
	v_mov_b32_e32 v13, v11
	v_subrev_co_u32_e32 v16, vcc, s15, v12
	v_mov_b32_e32 v17, v11
	global_load_dword v6, v[6:7], off
	v_lshl_add_u64 v[16:17], v[16:17], 2, s[2:3]
	global_load_dword v7, v[8:9], off
	v_lshl_add_u64 v[8:9], v[12:13], 2, s[0:1]
	v_cndmask_b32_e32 v9, v17, v9, vcc
	v_cndmask_b32_e32 v8, v16, v8, vcc
	v_add_u32_e32 v16, v12, v1
	v_mov_b32_e32 v17, v11
	v_lshl_add_u64 v[18:19], v[16:17], 2, s[0:1]
	v_subrev_co_u32_e32 v16, vcc, s15, v16
	v_lshl_add_u64 v[16:17], v[16:17], 2, s[2:3]
	s_nop 0
	v_cndmask_b32_e32 v17, v17, v19, vcc
	v_cndmask_b32_e32 v16, v16, v18, vcc
	global_load_dword v8, v[8:9], off
	s_add_i32 s20, s17, s15
	global_load_dword v9, v[16:17], off
	s_cbranch_execz .LBB1295_14
	s_branch .LBB1295_21
.LBB1295_13:
                                        ; implicit-def: $vgpr6_vgpr7_vgpr8_vgpr9
                                        ; implicit-def: $sgpr20
.LBB1295_14:
	s_add_i32 s20, s17, s15
	s_waitcnt vmcnt(3)
	v_mov_b32_e32 v6, 0
	v_cmp_gt_u32_e32 vcc, s20, v0
	s_waitcnt vmcnt(2)
	v_mov_b32_e32 v7, v6
	s_waitcnt vmcnt(1)
	v_mov_b32_e32 v8, v6
	;; [unrolled: 2-line block ×3, first 2 shown]
	s_and_saveexec_b64 s[4:5], vcc
	s_cbranch_execnz .LBB1295_49
; %bb.15:
	s_or_b64 exec, exec, s[4:5]
	v_cmp_gt_u32_e32 vcc, s20, v14
	s_and_saveexec_b64 s[4:5], vcc
	s_cbranch_execnz .LBB1295_50
.LBB1295_16:
	s_or_b64 exec, exec, s[4:5]
	v_cmp_gt_u32_e32 vcc, s20, v12
	s_and_saveexec_b64 s[4:5], vcc
	s_cbranch_execz .LBB1295_18
.LBB1295_17:
	v_mov_b32_e32 v13, 0
	v_subrev_co_u32_e32 v16, vcc, s15, v12
	v_mov_b32_e32 v17, v13
	v_lshl_add_u64 v[14:15], v[12:13], 2, s[0:1]
	v_lshl_add_u64 v[16:17], v[16:17], 2, s[2:3]
	v_cndmask_b32_e32 v15, v17, v15, vcc
	v_cndmask_b32_e32 v14, v16, v14, vcc
	global_load_dword v8, v[14:15], off
.LBB1295_18:
	s_or_b64 exec, exec, s[4:5]
	v_add_u32_e32 v12, v12, v1
	v_cmp_gt_u32_e32 vcc, s20, v12
	s_and_saveexec_b64 s[4:5], vcc
	s_cbranch_execz .LBB1295_20
; %bb.19:
	v_mov_b32_e32 v13, 0
	v_lshl_add_u64 v[14:15], v[12:13], 2, s[0:1]
	v_subrev_co_u32_e32 v12, vcc, s15, v12
	v_lshl_add_u64 v[12:13], v[12:13], 2, s[2:3]
	s_nop 0
	v_cndmask_b32_e32 v13, v13, v15, vcc
	v_cndmask_b32_e32 v12, v12, v14, vcc
	global_load_dword v9, v[12:13], off
.LBB1295_20:
	s_or_b64 exec, exec, s[4:5]
.LBB1295_21:
	v_min_u32_e32 v11, s20, v10
	v_sub_u32_e64 v1, v11, s17 clamp
	v_min_u32_e32 v12, s15, v11
	v_cmp_lt_u32_e32 vcc, v1, v12
	s_waitcnt lgkmcnt(0)
	s_barrier
	s_and_saveexec_b64 s[0:1], vcc
	s_cbranch_execz .LBB1295_25
; %bb.22:
	v_lshlrev_b32_e32 v13, 2, v11
	v_lshl_add_u32 v13, s15, 2, v13
	s_mov_b64 s[2:3], 0
.LBB1295_23:                            ; =>This Inner Loop Header: Depth=1
	v_add_u32_e32 v14, v12, v1
	v_lshrrev_b32_e32 v14, 1, v14
	v_not_b32_e32 v15, v14
	v_lshlrev_b32_e32 v16, 2, v14
	v_lshl_add_u32 v15, v15, 2, v13
	ds_read_b32 v16, v16
	ds_read_b32 v15, v15
	v_add_u32_e32 v17, 1, v14
	s_waitcnt lgkmcnt(0)
	v_cmp_gt_i32_e32 vcc, v16, v15
	s_nop 1
	v_cndmask_b32_e32 v12, v12, v14, vcc
	v_cndmask_b32_e32 v1, v17, v1, vcc
	v_cmp_ge_u32_e32 vcc, v1, v12
	s_or_b64 s[2:3], vcc, s[2:3]
	s_andn2_b64 exec, exec, s[2:3]
	s_cbranch_execnz .LBB1295_23
; %bb.24:
	s_or_b64 exec, exec, s[2:3]
.LBB1295_25:
	s_or_b64 exec, exec, s[0:1]
	v_sub_u32_e32 v11, v11, v1
	v_add_u32_e32 v14, s15, v11
	v_cmp_ge_u32_e32 vcc, s15, v1
	v_cmp_ge_u32_e64 s[0:1], s20, v14
	s_or_b64 s[0:1], vcc, s[0:1]
	v_mov_b32_e32 v15, 0
	v_mov_b32_e32 v13, 0
	;; [unrolled: 1-line block ×4, first 2 shown]
	s_and_saveexec_b64 s[10:11], s[0:1]
	s_cbranch_execz .LBB1295_31
; %bb.26:
	v_cmp_gt_u32_e32 vcc, s15, v1
                                        ; implicit-def: $vgpr2
	s_and_saveexec_b64 s[0:1], vcc
; %bb.27:
	v_lshlrev_b32_e32 v2, 2, v1
	ds_read_b32 v2, v2
; %bb.28:
	s_or_b64 exec, exec, s[0:1]
	v_cmp_le_u32_e64 s[0:1], s20, v14
	v_cmp_gt_u32_e64 s[2:3], s20, v14
                                        ; implicit-def: $vgpr3
	s_and_saveexec_b64 s[4:5], s[2:3]
; %bb.29:
	v_lshlrev_b32_e32 v3, 2, v14
	ds_read_b32 v3, v3
; %bb.30:
	s_or_b64 exec, exec, s[4:5]
	s_waitcnt lgkmcnt(0)
	v_cmp_le_i32_e64 s[2:3], v2, v3
	s_and_b64 s[2:3], vcc, s[2:3]
	s_or_b64 vcc, s[0:1], s[2:3]
	v_mov_b32_e32 v4, s20
	v_mov_b32_e32 v5, s15
	v_cndmask_b32_e32 v11, v14, v1, vcc
	v_cndmask_b32_e32 v12, v4, v5, vcc
	v_add_u32_e32 v13, 1, v11
	v_add_u32_e32 v12, -1, v12
	v_min_u32_e32 v12, v13, v12
	v_lshlrev_b32_e32 v12, 2, v12
	ds_read_b32 v12, v12
	v_cndmask_b32_e32 v1, v1, v13, vcc
	v_cndmask_b32_e32 v14, v13, v14, vcc
	v_cmp_gt_u32_e64 s[2:3], s15, v1
	v_cmp_le_u32_e64 s[0:1], s20, v14
	s_waitcnt lgkmcnt(0)
	v_cndmask_b32_e32 v15, v12, v3, vcc
	v_cndmask_b32_e32 v16, v2, v12, vcc
	v_cmp_le_i32_e64 s[4:5], v16, v15
	s_and_b64 s[2:3], s[2:3], s[4:5]
	s_or_b64 s[0:1], s[0:1], s[2:3]
	v_cndmask_b32_e64 v12, v14, v1, s[0:1]
	v_cndmask_b32_e64 v13, v4, v5, s[0:1]
	v_add_u32_e32 v17, 1, v12
	v_add_u32_e32 v13, -1, v13
	v_min_u32_e32 v13, v17, v13
	v_lshlrev_b32_e32 v13, 2, v13
	ds_read_b32 v13, v13
	v_cndmask_b32_e64 v1, v1, v17, s[0:1]
	v_cndmask_b32_e64 v14, v17, v14, s[0:1]
	v_cmp_gt_u32_e64 s[4:5], s15, v1
	v_cmp_le_u32_e64 s[2:3], s20, v14
	s_waitcnt lgkmcnt(0)
	v_cndmask_b32_e64 v18, v13, v15, s[0:1]
	v_cndmask_b32_e64 v19, v16, v13, s[0:1]
	v_cmp_le_i32_e64 s[6:7], v19, v18
	s_and_b64 s[4:5], s[4:5], s[6:7]
	s_or_b64 s[2:3], s[2:3], s[4:5]
	v_cndmask_b32_e64 v13, v14, v1, s[2:3]
	v_cndmask_b32_e64 v4, v4, v5, s[2:3]
	v_add_u32_e32 v5, 1, v13
	v_add_u32_e32 v4, -1, v4
	v_min_u32_e32 v4, v5, v4
	v_lshlrev_b32_e32 v4, 2, v4
	ds_read_b32 v17, v4
	v_cndmask_b32_e32 v2, v3, v2, vcc
	v_cndmask_b32_e64 v3, v15, v16, s[0:1]
	v_cndmask_b32_e64 v1, v1, v5, s[2:3]
	;; [unrolled: 1-line block ×3, first 2 shown]
	s_waitcnt lgkmcnt(0)
	v_cndmask_b32_e64 v16, v17, v18, s[2:3]
	v_cndmask_b32_e64 v17, v19, v17, s[2:3]
	;; [unrolled: 1-line block ×3, first 2 shown]
	v_cmp_gt_u32_e64 s[0:1], s15, v1
	v_cmp_le_i32_e64 s[2:3], v17, v16
	v_cmp_le_u32_e32 vcc, s20, v14
	s_and_b64 s[0:1], s[0:1], s[2:3]
	s_or_b64 vcc, vcc, s[0:1]
	v_cndmask_b32_e32 v15, v14, v1, vcc
	v_cndmask_b32_e32 v5, v16, v17, vcc
.LBB1295_31:
	s_or_b64 exec, exec, s[10:11]
	s_barrier
	s_waitcnt vmcnt(0)
	ds_write2st64_b32 v10, v6, v7 offset1:4
	ds_write2st64_b32 v10, v8, v9 offset0:8 offset1:12
	v_lshlrev_b32_e32 v1, 2, v11
	v_lshrrev_b32_e32 v11, 3, v0
	v_lshlrev_b32_e32 v9, 2, v10
	v_lshlrev_b32_e32 v6, 2, v12
	;; [unrolled: 1-line block ×4, first 2 shown]
	v_lshl_add_u32 v9, v11, 2, v9
	s_waitcnt lgkmcnt(0)
	s_barrier
	ds_read_b32 v1, v1
	ds_read_b32 v6, v6
	;; [unrolled: 1-line block ×4, first 2 shown]
	s_waitcnt lgkmcnt(0)
	s_barrier
	s_barrier
	ds_write2_b32 v9, v2, v3 offset1:1
	ds_write2_b32 v9, v4, v5 offset0:2 offset1:3
	v_and_b32_e32 v2, 28, v11
	v_or_b32_e32 v16, 0x100, v0
	v_add_u32_e32 v4, v2, v10
	v_lshrrev_b32_e32 v2, 3, v16
	v_and_b32_e32 v2, 60, v2
	v_or_b32_e32 v15, 0x200, v0
	s_mov_b32 s17, 0
	v_add_u32_e32 v5, v2, v10
	v_lshrrev_b32_e32 v2, 3, v15
	s_lshl_b64 s[4:5], s[16:17], 2
	v_and_b32_e32 v2, 0x5c, v2
	v_or_b32_e32 v14, 0x300, v0
	s_add_u32 s0, s8, s4
	v_add_u32_e32 v12, v2, v10
	v_lshrrev_b32_e32 v2, 3, v14
	s_addc_u32 s1, s9, s5
	v_and_b32_e32 v2, 0x7c, v2
	v_mov_b32_e32 v11, 0
	v_add_u32_e32 v13, v2, v10
	v_lshl_add_u64 v[2:3], s[0:1], 0, v[10:11]
	s_and_b64 vcc, exec, s[18:19]
	s_waitcnt lgkmcnt(0)
	s_cbranch_vccz .LBB1295_33
; %bb.32:
	s_barrier
	ds_read_b32 v11, v4
	ds_read_b32 v17, v5 offset:1024
	ds_read_b32 v18, v12 offset:2048
	;; [unrolled: 1-line block ×3, first 2 shown]
	s_add_u32 s0, s12, s4
	s_addc_u32 s1, s13, s5
	s_waitcnt lgkmcnt(3)
	global_store_dword v[2:3], v11, off
	s_waitcnt lgkmcnt(2)
	global_store_dword v[2:3], v17, off offset:1024
	s_waitcnt lgkmcnt(1)
	global_store_dword v[2:3], v18, off offset:2048
	;; [unrolled: 2-line block ×3, first 2 shown]
	s_barrier
	ds_write2_b32 v9, v1, v6 offset1:1
	ds_write2_b32 v9, v7, v8 offset0:2 offset1:3
	s_waitcnt lgkmcnt(0)
	s_barrier
	ds_read_b32 v11, v4
	ds_read_b32 v18, v5 offset:1024
	ds_read_b32 v19, v12 offset:2048
	;; [unrolled: 1-line block ×3, first 2 shown]
	s_waitcnt lgkmcnt(3)
	global_store_dword v10, v11, s[0:1]
	s_waitcnt lgkmcnt(2)
	global_store_dword v10, v18, s[0:1] offset:1024
	s_waitcnt lgkmcnt(1)
	global_store_dword v10, v19, s[0:1] offset:2048
	s_mov_b64 s[6:7], -1
	s_cbranch_execz .LBB1295_34
	s_branch .LBB1295_44
.LBB1295_33:
	s_mov_b64 s[6:7], 0
                                        ; implicit-def: $vgpr17
.LBB1295_34:
	s_barrier
	s_waitcnt lgkmcnt(0)
	ds_read_b32 v18, v5 offset:1024
	ds_read_b32 v17, v12 offset:2048
	;; [unrolled: 1-line block ×3, first 2 shown]
	s_sub_i32 s8, s14, s16
	v_cmp_gt_u32_e32 vcc, s8, v0
	s_and_saveexec_b64 s[0:1], vcc
	s_cbranch_execnz .LBB1295_51
; %bb.35:
	s_or_b64 exec, exec, s[0:1]
	v_cmp_gt_u32_e64 s[0:1], s8, v16
	s_and_saveexec_b64 s[2:3], s[0:1]
	s_cbranch_execnz .LBB1295_52
.LBB1295_36:
	s_or_b64 exec, exec, s[2:3]
	v_cmp_gt_u32_e64 s[2:3], s8, v15
	s_and_saveexec_b64 s[6:7], s[2:3]
	s_cbranch_execnz .LBB1295_53
.LBB1295_37:
	s_or_b64 exec, exec, s[6:7]
	v_cmp_gt_u32_e64 s[6:7], s8, v14
	s_and_saveexec_b64 s[8:9], s[6:7]
	s_cbranch_execz .LBB1295_39
.LBB1295_38:
	s_waitcnt lgkmcnt(0)
	global_store_dword v[2:3], v11, off offset:3072
.LBB1295_39:
	s_or_b64 exec, exec, s[8:9]
	s_waitcnt lgkmcnt(0)
	s_barrier
	ds_write2_b32 v9, v1, v6 offset1:1
	ds_write2_b32 v9, v7, v8 offset0:2 offset1:3
	s_waitcnt lgkmcnt(0)
	s_barrier
	ds_read_b32 v3, v5 offset:1024
	ds_read_b32 v2, v12 offset:2048
	ds_read_b32 v17, v13 offset:3072
	s_add_u32 s8, s12, s4
	s_addc_u32 s9, s13, s5
	v_mov_b32_e32 v11, 0
	v_lshl_add_u64 v[0:1], s[8:9], 0, v[10:11]
	s_and_saveexec_b64 s[8:9], vcc
	s_cbranch_execnz .LBB1295_54
; %bb.40:
	s_or_b64 exec, exec, s[8:9]
	s_and_saveexec_b64 s[8:9], s[0:1]
	s_cbranch_execnz .LBB1295_55
.LBB1295_41:
	s_or_b64 exec, exec, s[8:9]
	s_and_saveexec_b64 s[0:1], s[2:3]
	s_cbranch_execz .LBB1295_43
.LBB1295_42:
	s_waitcnt lgkmcnt(1)
	global_store_dword v[0:1], v2, off offset:2048
.LBB1295_43:
	s_or_b64 exec, exec, s[0:1]
.LBB1295_44:
	s_and_saveexec_b64 s[0:1], s[6:7]
	s_cbranch_execz .LBB1295_46
; %bb.45:
	s_add_u32 s0, s12, s4
	s_addc_u32 s1, s13, s5
	s_waitcnt lgkmcnt(0)
	global_store_dword v10, v17, s[0:1] offset:3072
.LBB1295_46:
	s_endpgm
.LBB1295_47:
	v_mov_b32_e32 v11, v2
	v_subrev_co_u32_e32 v6, vcc, s15, v0
	v_mov_b32_e32 v7, v2
	v_lshl_add_u64 v[4:5], s[6:7], 0, v[10:11]
	v_lshl_add_u64 v[6:7], v[6:7], 2, s[20:21]
	v_cndmask_b32_e32 v5, v7, v5, vcc
	v_cndmask_b32_e32 v4, v6, v4, vcc
	global_load_dword v4, v[4:5], off
	v_mov_b32_e32 v5, v2
	v_mov_b32_e32 v6, v2
	;; [unrolled: 1-line block ×3, first 2 shown]
	s_waitcnt vmcnt(0)
	v_mov_b64_e32 v[2:3], v[4:5]
	v_mov_b64_e32 v[4:5], v[6:7]
	s_or_b64 exec, exec, s[2:3]
	v_cmp_gt_u32_e32 vcc, s22, v14
	s_and_saveexec_b64 s[2:3], vcc
	s_cbranch_execz .LBB1295_6
.LBB1295_48:
	v_mov_b32_e32 v15, 0
	v_subrev_co_u32_e32 v8, vcc, s15, v14
	v_mov_b32_e32 v9, v15
	v_lshl_add_u64 v[6:7], v[14:15], 2, s[6:7]
	v_lshl_add_u64 v[8:9], v[8:9], 2, s[20:21]
	v_cndmask_b32_e32 v7, v9, v7, vcc
	v_cndmask_b32_e32 v6, v8, v6, vcc
	global_load_dword v3, v[6:7], off
	s_or_b64 exec, exec, s[2:3]
	v_cmp_gt_u32_e32 vcc, s22, v12
	s_and_saveexec_b64 s[2:3], vcc
	s_cbranch_execnz .LBB1295_7
	s_branch .LBB1295_8
.LBB1295_49:
	v_mov_b32_e32 v11, v6
	v_subrev_co_u32_e32 v16, vcc, s15, v0
	v_mov_b32_e32 v17, v6
	v_lshl_add_u64 v[8:9], s[0:1], 0, v[10:11]
	v_lshl_add_u64 v[16:17], v[16:17], 2, s[2:3]
	v_cndmask_b32_e32 v9, v17, v9, vcc
	v_cndmask_b32_e32 v8, v16, v8, vcc
	global_load_dword v16, v[8:9], off
	v_mov_b32_e32 v17, v6
	v_mov_b32_e32 v18, v6
	;; [unrolled: 1-line block ×3, first 2 shown]
	s_waitcnt vmcnt(0)
	v_mov_b64_e32 v[6:7], v[16:17]
	v_mov_b64_e32 v[8:9], v[18:19]
	s_or_b64 exec, exec, s[4:5]
	v_cmp_gt_u32_e32 vcc, s20, v14
	s_and_saveexec_b64 s[4:5], vcc
	s_cbranch_execz .LBB1295_16
.LBB1295_50:
	v_mov_b32_e32 v15, 0
	v_lshl_add_u64 v[16:17], v[14:15], 2, s[0:1]
	v_subrev_co_u32_e32 v14, vcc, s15, v14
	v_lshl_add_u64 v[14:15], v[14:15], 2, s[2:3]
	s_nop 0
	v_cndmask_b32_e32 v15, v15, v17, vcc
	v_cndmask_b32_e32 v14, v14, v16, vcc
	global_load_dword v7, v[14:15], off
	s_or_b64 exec, exec, s[4:5]
	v_cmp_gt_u32_e32 vcc, s20, v12
	s_and_saveexec_b64 s[4:5], vcc
	s_cbranch_execnz .LBB1295_17
	s_branch .LBB1295_18
.LBB1295_51:
	ds_read_b32 v0, v4
	s_waitcnt lgkmcnt(0)
	global_store_dword v[2:3], v0, off
	s_or_b64 exec, exec, s[0:1]
	v_cmp_gt_u32_e64 s[0:1], s8, v16
	s_and_saveexec_b64 s[2:3], s[0:1]
	s_cbranch_execz .LBB1295_36
.LBB1295_52:
	s_waitcnt lgkmcnt(2)
	global_store_dword v[2:3], v18, off offset:1024
	s_or_b64 exec, exec, s[2:3]
	v_cmp_gt_u32_e64 s[2:3], s8, v15
	s_and_saveexec_b64 s[6:7], s[2:3]
	s_cbranch_execz .LBB1295_37
.LBB1295_53:
	s_waitcnt lgkmcnt(1)
	global_store_dword v[2:3], v17, off offset:2048
	s_or_b64 exec, exec, s[6:7]
	v_cmp_gt_u32_e64 s[6:7], s8, v14
	s_and_saveexec_b64 s[8:9], s[6:7]
	s_cbranch_execnz .LBB1295_38
	s_branch .LBB1295_39
.LBB1295_54:
	ds_read_b32 v4, v4
	s_waitcnt lgkmcnt(0)
	global_store_dword v[0:1], v4, off
	s_or_b64 exec, exec, s[8:9]
	s_and_saveexec_b64 s[8:9], s[0:1]
	s_cbranch_execz .LBB1295_41
.LBB1295_55:
	s_waitcnt lgkmcnt(2)
	global_store_dword v[0:1], v3, off offset:1024
	s_or_b64 exec, exec, s[8:9]
	s_and_saveexec_b64 s[0:1], s[2:3]
	s_cbranch_execnz .LBB1295_42
	s_branch .LBB1295_43
	.section	.rodata,"a",@progbits
	.p2align	6, 0x0
	.amdhsa_kernel _ZN7rocprim17ROCPRIM_400000_NS6detail17trampoline_kernelINS0_14default_configENS1_38merge_sort_block_merge_config_selectorIiiEEZZNS1_27merge_sort_block_merge_implIS3_N6thrust23THRUST_200600_302600_NS6detail15normal_iteratorINS8_10device_ptrIiEEEESD_jNS1_19radix_merge_compareILb0ELb0EiNS0_19identity_decomposerEEEEE10hipError_tT0_T1_T2_jT3_P12ihipStream_tbPNSt15iterator_traitsISI_E10value_typeEPNSO_ISJ_E10value_typeEPSK_NS1_7vsmem_tEENKUlT_SI_SJ_SK_E_clIPiSD_S10_SD_EESH_SX_SI_SJ_SK_EUlSX_E0_NS1_11comp_targetILNS1_3genE0ELNS1_11target_archE4294967295ELNS1_3gpuE0ELNS1_3repE0EEENS1_38merge_mergepath_config_static_selectorELNS0_4arch9wavefront6targetE1EEEvSJ_
		.amdhsa_group_segment_fixed_size 4224
		.amdhsa_private_segment_fixed_size 0
		.amdhsa_kernarg_size 320
		.amdhsa_user_sgpr_count 2
		.amdhsa_user_sgpr_dispatch_ptr 0
		.amdhsa_user_sgpr_queue_ptr 0
		.amdhsa_user_sgpr_kernarg_segment_ptr 1
		.amdhsa_user_sgpr_dispatch_id 0
		.amdhsa_user_sgpr_kernarg_preload_length 0
		.amdhsa_user_sgpr_kernarg_preload_offset 0
		.amdhsa_user_sgpr_private_segment_size 0
		.amdhsa_uses_dynamic_stack 0
		.amdhsa_enable_private_segment 0
		.amdhsa_system_sgpr_workgroup_id_x 1
		.amdhsa_system_sgpr_workgroup_id_y 1
		.amdhsa_system_sgpr_workgroup_id_z 1
		.amdhsa_system_sgpr_workgroup_info 0
		.amdhsa_system_vgpr_workitem_id 0
		.amdhsa_next_free_vgpr 20
		.amdhsa_next_free_sgpr 30
		.amdhsa_accum_offset 20
		.amdhsa_reserve_vcc 1
		.amdhsa_float_round_mode_32 0
		.amdhsa_float_round_mode_16_64 0
		.amdhsa_float_denorm_mode_32 3
		.amdhsa_float_denorm_mode_16_64 3
		.amdhsa_dx10_clamp 1
		.amdhsa_ieee_mode 1
		.amdhsa_fp16_overflow 0
		.amdhsa_tg_split 0
		.amdhsa_exception_fp_ieee_invalid_op 0
		.amdhsa_exception_fp_denorm_src 0
		.amdhsa_exception_fp_ieee_div_zero 0
		.amdhsa_exception_fp_ieee_overflow 0
		.amdhsa_exception_fp_ieee_underflow 0
		.amdhsa_exception_fp_ieee_inexact 0
		.amdhsa_exception_int_div_zero 0
	.end_amdhsa_kernel
	.section	.text._ZN7rocprim17ROCPRIM_400000_NS6detail17trampoline_kernelINS0_14default_configENS1_38merge_sort_block_merge_config_selectorIiiEEZZNS1_27merge_sort_block_merge_implIS3_N6thrust23THRUST_200600_302600_NS6detail15normal_iteratorINS8_10device_ptrIiEEEESD_jNS1_19radix_merge_compareILb0ELb0EiNS0_19identity_decomposerEEEEE10hipError_tT0_T1_T2_jT3_P12ihipStream_tbPNSt15iterator_traitsISI_E10value_typeEPNSO_ISJ_E10value_typeEPSK_NS1_7vsmem_tEENKUlT_SI_SJ_SK_E_clIPiSD_S10_SD_EESH_SX_SI_SJ_SK_EUlSX_E0_NS1_11comp_targetILNS1_3genE0ELNS1_11target_archE4294967295ELNS1_3gpuE0ELNS1_3repE0EEENS1_38merge_mergepath_config_static_selectorELNS0_4arch9wavefront6targetE1EEEvSJ_,"axG",@progbits,_ZN7rocprim17ROCPRIM_400000_NS6detail17trampoline_kernelINS0_14default_configENS1_38merge_sort_block_merge_config_selectorIiiEEZZNS1_27merge_sort_block_merge_implIS3_N6thrust23THRUST_200600_302600_NS6detail15normal_iteratorINS8_10device_ptrIiEEEESD_jNS1_19radix_merge_compareILb0ELb0EiNS0_19identity_decomposerEEEEE10hipError_tT0_T1_T2_jT3_P12ihipStream_tbPNSt15iterator_traitsISI_E10value_typeEPNSO_ISJ_E10value_typeEPSK_NS1_7vsmem_tEENKUlT_SI_SJ_SK_E_clIPiSD_S10_SD_EESH_SX_SI_SJ_SK_EUlSX_E0_NS1_11comp_targetILNS1_3genE0ELNS1_11target_archE4294967295ELNS1_3gpuE0ELNS1_3repE0EEENS1_38merge_mergepath_config_static_selectorELNS0_4arch9wavefront6targetE1EEEvSJ_,comdat
.Lfunc_end1295:
	.size	_ZN7rocprim17ROCPRIM_400000_NS6detail17trampoline_kernelINS0_14default_configENS1_38merge_sort_block_merge_config_selectorIiiEEZZNS1_27merge_sort_block_merge_implIS3_N6thrust23THRUST_200600_302600_NS6detail15normal_iteratorINS8_10device_ptrIiEEEESD_jNS1_19radix_merge_compareILb0ELb0EiNS0_19identity_decomposerEEEEE10hipError_tT0_T1_T2_jT3_P12ihipStream_tbPNSt15iterator_traitsISI_E10value_typeEPNSO_ISJ_E10value_typeEPSK_NS1_7vsmem_tEENKUlT_SI_SJ_SK_E_clIPiSD_S10_SD_EESH_SX_SI_SJ_SK_EUlSX_E0_NS1_11comp_targetILNS1_3genE0ELNS1_11target_archE4294967295ELNS1_3gpuE0ELNS1_3repE0EEENS1_38merge_mergepath_config_static_selectorELNS0_4arch9wavefront6targetE1EEEvSJ_, .Lfunc_end1295-_ZN7rocprim17ROCPRIM_400000_NS6detail17trampoline_kernelINS0_14default_configENS1_38merge_sort_block_merge_config_selectorIiiEEZZNS1_27merge_sort_block_merge_implIS3_N6thrust23THRUST_200600_302600_NS6detail15normal_iteratorINS8_10device_ptrIiEEEESD_jNS1_19radix_merge_compareILb0ELb0EiNS0_19identity_decomposerEEEEE10hipError_tT0_T1_T2_jT3_P12ihipStream_tbPNSt15iterator_traitsISI_E10value_typeEPNSO_ISJ_E10value_typeEPSK_NS1_7vsmem_tEENKUlT_SI_SJ_SK_E_clIPiSD_S10_SD_EESH_SX_SI_SJ_SK_EUlSX_E0_NS1_11comp_targetILNS1_3genE0ELNS1_11target_archE4294967295ELNS1_3gpuE0ELNS1_3repE0EEENS1_38merge_mergepath_config_static_selectorELNS0_4arch9wavefront6targetE1EEEvSJ_
                                        ; -- End function
	.set _ZN7rocprim17ROCPRIM_400000_NS6detail17trampoline_kernelINS0_14default_configENS1_38merge_sort_block_merge_config_selectorIiiEEZZNS1_27merge_sort_block_merge_implIS3_N6thrust23THRUST_200600_302600_NS6detail15normal_iteratorINS8_10device_ptrIiEEEESD_jNS1_19radix_merge_compareILb0ELb0EiNS0_19identity_decomposerEEEEE10hipError_tT0_T1_T2_jT3_P12ihipStream_tbPNSt15iterator_traitsISI_E10value_typeEPNSO_ISJ_E10value_typeEPSK_NS1_7vsmem_tEENKUlT_SI_SJ_SK_E_clIPiSD_S10_SD_EESH_SX_SI_SJ_SK_EUlSX_E0_NS1_11comp_targetILNS1_3genE0ELNS1_11target_archE4294967295ELNS1_3gpuE0ELNS1_3repE0EEENS1_38merge_mergepath_config_static_selectorELNS0_4arch9wavefront6targetE1EEEvSJ_.num_vgpr, 20
	.set _ZN7rocprim17ROCPRIM_400000_NS6detail17trampoline_kernelINS0_14default_configENS1_38merge_sort_block_merge_config_selectorIiiEEZZNS1_27merge_sort_block_merge_implIS3_N6thrust23THRUST_200600_302600_NS6detail15normal_iteratorINS8_10device_ptrIiEEEESD_jNS1_19radix_merge_compareILb0ELb0EiNS0_19identity_decomposerEEEEE10hipError_tT0_T1_T2_jT3_P12ihipStream_tbPNSt15iterator_traitsISI_E10value_typeEPNSO_ISJ_E10value_typeEPSK_NS1_7vsmem_tEENKUlT_SI_SJ_SK_E_clIPiSD_S10_SD_EESH_SX_SI_SJ_SK_EUlSX_E0_NS1_11comp_targetILNS1_3genE0ELNS1_11target_archE4294967295ELNS1_3gpuE0ELNS1_3repE0EEENS1_38merge_mergepath_config_static_selectorELNS0_4arch9wavefront6targetE1EEEvSJ_.num_agpr, 0
	.set _ZN7rocprim17ROCPRIM_400000_NS6detail17trampoline_kernelINS0_14default_configENS1_38merge_sort_block_merge_config_selectorIiiEEZZNS1_27merge_sort_block_merge_implIS3_N6thrust23THRUST_200600_302600_NS6detail15normal_iteratorINS8_10device_ptrIiEEEESD_jNS1_19radix_merge_compareILb0ELb0EiNS0_19identity_decomposerEEEEE10hipError_tT0_T1_T2_jT3_P12ihipStream_tbPNSt15iterator_traitsISI_E10value_typeEPNSO_ISJ_E10value_typeEPSK_NS1_7vsmem_tEENKUlT_SI_SJ_SK_E_clIPiSD_S10_SD_EESH_SX_SI_SJ_SK_EUlSX_E0_NS1_11comp_targetILNS1_3genE0ELNS1_11target_archE4294967295ELNS1_3gpuE0ELNS1_3repE0EEENS1_38merge_mergepath_config_static_selectorELNS0_4arch9wavefront6targetE1EEEvSJ_.numbered_sgpr, 30
	.set _ZN7rocprim17ROCPRIM_400000_NS6detail17trampoline_kernelINS0_14default_configENS1_38merge_sort_block_merge_config_selectorIiiEEZZNS1_27merge_sort_block_merge_implIS3_N6thrust23THRUST_200600_302600_NS6detail15normal_iteratorINS8_10device_ptrIiEEEESD_jNS1_19radix_merge_compareILb0ELb0EiNS0_19identity_decomposerEEEEE10hipError_tT0_T1_T2_jT3_P12ihipStream_tbPNSt15iterator_traitsISI_E10value_typeEPNSO_ISJ_E10value_typeEPSK_NS1_7vsmem_tEENKUlT_SI_SJ_SK_E_clIPiSD_S10_SD_EESH_SX_SI_SJ_SK_EUlSX_E0_NS1_11comp_targetILNS1_3genE0ELNS1_11target_archE4294967295ELNS1_3gpuE0ELNS1_3repE0EEENS1_38merge_mergepath_config_static_selectorELNS0_4arch9wavefront6targetE1EEEvSJ_.num_named_barrier, 0
	.set _ZN7rocprim17ROCPRIM_400000_NS6detail17trampoline_kernelINS0_14default_configENS1_38merge_sort_block_merge_config_selectorIiiEEZZNS1_27merge_sort_block_merge_implIS3_N6thrust23THRUST_200600_302600_NS6detail15normal_iteratorINS8_10device_ptrIiEEEESD_jNS1_19radix_merge_compareILb0ELb0EiNS0_19identity_decomposerEEEEE10hipError_tT0_T1_T2_jT3_P12ihipStream_tbPNSt15iterator_traitsISI_E10value_typeEPNSO_ISJ_E10value_typeEPSK_NS1_7vsmem_tEENKUlT_SI_SJ_SK_E_clIPiSD_S10_SD_EESH_SX_SI_SJ_SK_EUlSX_E0_NS1_11comp_targetILNS1_3genE0ELNS1_11target_archE4294967295ELNS1_3gpuE0ELNS1_3repE0EEENS1_38merge_mergepath_config_static_selectorELNS0_4arch9wavefront6targetE1EEEvSJ_.private_seg_size, 0
	.set _ZN7rocprim17ROCPRIM_400000_NS6detail17trampoline_kernelINS0_14default_configENS1_38merge_sort_block_merge_config_selectorIiiEEZZNS1_27merge_sort_block_merge_implIS3_N6thrust23THRUST_200600_302600_NS6detail15normal_iteratorINS8_10device_ptrIiEEEESD_jNS1_19radix_merge_compareILb0ELb0EiNS0_19identity_decomposerEEEEE10hipError_tT0_T1_T2_jT3_P12ihipStream_tbPNSt15iterator_traitsISI_E10value_typeEPNSO_ISJ_E10value_typeEPSK_NS1_7vsmem_tEENKUlT_SI_SJ_SK_E_clIPiSD_S10_SD_EESH_SX_SI_SJ_SK_EUlSX_E0_NS1_11comp_targetILNS1_3genE0ELNS1_11target_archE4294967295ELNS1_3gpuE0ELNS1_3repE0EEENS1_38merge_mergepath_config_static_selectorELNS0_4arch9wavefront6targetE1EEEvSJ_.uses_vcc, 1
	.set _ZN7rocprim17ROCPRIM_400000_NS6detail17trampoline_kernelINS0_14default_configENS1_38merge_sort_block_merge_config_selectorIiiEEZZNS1_27merge_sort_block_merge_implIS3_N6thrust23THRUST_200600_302600_NS6detail15normal_iteratorINS8_10device_ptrIiEEEESD_jNS1_19radix_merge_compareILb0ELb0EiNS0_19identity_decomposerEEEEE10hipError_tT0_T1_T2_jT3_P12ihipStream_tbPNSt15iterator_traitsISI_E10value_typeEPNSO_ISJ_E10value_typeEPSK_NS1_7vsmem_tEENKUlT_SI_SJ_SK_E_clIPiSD_S10_SD_EESH_SX_SI_SJ_SK_EUlSX_E0_NS1_11comp_targetILNS1_3genE0ELNS1_11target_archE4294967295ELNS1_3gpuE0ELNS1_3repE0EEENS1_38merge_mergepath_config_static_selectorELNS0_4arch9wavefront6targetE1EEEvSJ_.uses_flat_scratch, 0
	.set _ZN7rocprim17ROCPRIM_400000_NS6detail17trampoline_kernelINS0_14default_configENS1_38merge_sort_block_merge_config_selectorIiiEEZZNS1_27merge_sort_block_merge_implIS3_N6thrust23THRUST_200600_302600_NS6detail15normal_iteratorINS8_10device_ptrIiEEEESD_jNS1_19radix_merge_compareILb0ELb0EiNS0_19identity_decomposerEEEEE10hipError_tT0_T1_T2_jT3_P12ihipStream_tbPNSt15iterator_traitsISI_E10value_typeEPNSO_ISJ_E10value_typeEPSK_NS1_7vsmem_tEENKUlT_SI_SJ_SK_E_clIPiSD_S10_SD_EESH_SX_SI_SJ_SK_EUlSX_E0_NS1_11comp_targetILNS1_3genE0ELNS1_11target_archE4294967295ELNS1_3gpuE0ELNS1_3repE0EEENS1_38merge_mergepath_config_static_selectorELNS0_4arch9wavefront6targetE1EEEvSJ_.has_dyn_sized_stack, 0
	.set _ZN7rocprim17ROCPRIM_400000_NS6detail17trampoline_kernelINS0_14default_configENS1_38merge_sort_block_merge_config_selectorIiiEEZZNS1_27merge_sort_block_merge_implIS3_N6thrust23THRUST_200600_302600_NS6detail15normal_iteratorINS8_10device_ptrIiEEEESD_jNS1_19radix_merge_compareILb0ELb0EiNS0_19identity_decomposerEEEEE10hipError_tT0_T1_T2_jT3_P12ihipStream_tbPNSt15iterator_traitsISI_E10value_typeEPNSO_ISJ_E10value_typeEPSK_NS1_7vsmem_tEENKUlT_SI_SJ_SK_E_clIPiSD_S10_SD_EESH_SX_SI_SJ_SK_EUlSX_E0_NS1_11comp_targetILNS1_3genE0ELNS1_11target_archE4294967295ELNS1_3gpuE0ELNS1_3repE0EEENS1_38merge_mergepath_config_static_selectorELNS0_4arch9wavefront6targetE1EEEvSJ_.has_recursion, 0
	.set _ZN7rocprim17ROCPRIM_400000_NS6detail17trampoline_kernelINS0_14default_configENS1_38merge_sort_block_merge_config_selectorIiiEEZZNS1_27merge_sort_block_merge_implIS3_N6thrust23THRUST_200600_302600_NS6detail15normal_iteratorINS8_10device_ptrIiEEEESD_jNS1_19radix_merge_compareILb0ELb0EiNS0_19identity_decomposerEEEEE10hipError_tT0_T1_T2_jT3_P12ihipStream_tbPNSt15iterator_traitsISI_E10value_typeEPNSO_ISJ_E10value_typeEPSK_NS1_7vsmem_tEENKUlT_SI_SJ_SK_E_clIPiSD_S10_SD_EESH_SX_SI_SJ_SK_EUlSX_E0_NS1_11comp_targetILNS1_3genE0ELNS1_11target_archE4294967295ELNS1_3gpuE0ELNS1_3repE0EEENS1_38merge_mergepath_config_static_selectorELNS0_4arch9wavefront6targetE1EEEvSJ_.has_indirect_call, 0
	.section	.AMDGPU.csdata,"",@progbits
; Kernel info:
; codeLenInByte = 2908
; TotalNumSgprs: 36
; NumVgprs: 20
; NumAgprs: 0
; TotalNumVgprs: 20
; ScratchSize: 0
; MemoryBound: 0
; FloatMode: 240
; IeeeMode: 1
; LDSByteSize: 4224 bytes/workgroup (compile time only)
; SGPRBlocks: 4
; VGPRBlocks: 2
; NumSGPRsForWavesPerEU: 36
; NumVGPRsForWavesPerEU: 20
; AccumOffset: 20
; Occupancy: 8
; WaveLimiterHint : 1
; COMPUTE_PGM_RSRC2:SCRATCH_EN: 0
; COMPUTE_PGM_RSRC2:USER_SGPR: 2
; COMPUTE_PGM_RSRC2:TRAP_HANDLER: 0
; COMPUTE_PGM_RSRC2:TGID_X_EN: 1
; COMPUTE_PGM_RSRC2:TGID_Y_EN: 1
; COMPUTE_PGM_RSRC2:TGID_Z_EN: 1
; COMPUTE_PGM_RSRC2:TIDIG_COMP_CNT: 0
; COMPUTE_PGM_RSRC3_GFX90A:ACCUM_OFFSET: 4
; COMPUTE_PGM_RSRC3_GFX90A:TG_SPLIT: 0
	.section	.text._ZN7rocprim17ROCPRIM_400000_NS6detail17trampoline_kernelINS0_14default_configENS1_38merge_sort_block_merge_config_selectorIiiEEZZNS1_27merge_sort_block_merge_implIS3_N6thrust23THRUST_200600_302600_NS6detail15normal_iteratorINS8_10device_ptrIiEEEESD_jNS1_19radix_merge_compareILb0ELb0EiNS0_19identity_decomposerEEEEE10hipError_tT0_T1_T2_jT3_P12ihipStream_tbPNSt15iterator_traitsISI_E10value_typeEPNSO_ISJ_E10value_typeEPSK_NS1_7vsmem_tEENKUlT_SI_SJ_SK_E_clIPiSD_S10_SD_EESH_SX_SI_SJ_SK_EUlSX_E0_NS1_11comp_targetILNS1_3genE10ELNS1_11target_archE1201ELNS1_3gpuE5ELNS1_3repE0EEENS1_38merge_mergepath_config_static_selectorELNS0_4arch9wavefront6targetE1EEEvSJ_,"axG",@progbits,_ZN7rocprim17ROCPRIM_400000_NS6detail17trampoline_kernelINS0_14default_configENS1_38merge_sort_block_merge_config_selectorIiiEEZZNS1_27merge_sort_block_merge_implIS3_N6thrust23THRUST_200600_302600_NS6detail15normal_iteratorINS8_10device_ptrIiEEEESD_jNS1_19radix_merge_compareILb0ELb0EiNS0_19identity_decomposerEEEEE10hipError_tT0_T1_T2_jT3_P12ihipStream_tbPNSt15iterator_traitsISI_E10value_typeEPNSO_ISJ_E10value_typeEPSK_NS1_7vsmem_tEENKUlT_SI_SJ_SK_E_clIPiSD_S10_SD_EESH_SX_SI_SJ_SK_EUlSX_E0_NS1_11comp_targetILNS1_3genE10ELNS1_11target_archE1201ELNS1_3gpuE5ELNS1_3repE0EEENS1_38merge_mergepath_config_static_selectorELNS0_4arch9wavefront6targetE1EEEvSJ_,comdat
	.protected	_ZN7rocprim17ROCPRIM_400000_NS6detail17trampoline_kernelINS0_14default_configENS1_38merge_sort_block_merge_config_selectorIiiEEZZNS1_27merge_sort_block_merge_implIS3_N6thrust23THRUST_200600_302600_NS6detail15normal_iteratorINS8_10device_ptrIiEEEESD_jNS1_19radix_merge_compareILb0ELb0EiNS0_19identity_decomposerEEEEE10hipError_tT0_T1_T2_jT3_P12ihipStream_tbPNSt15iterator_traitsISI_E10value_typeEPNSO_ISJ_E10value_typeEPSK_NS1_7vsmem_tEENKUlT_SI_SJ_SK_E_clIPiSD_S10_SD_EESH_SX_SI_SJ_SK_EUlSX_E0_NS1_11comp_targetILNS1_3genE10ELNS1_11target_archE1201ELNS1_3gpuE5ELNS1_3repE0EEENS1_38merge_mergepath_config_static_selectorELNS0_4arch9wavefront6targetE1EEEvSJ_ ; -- Begin function _ZN7rocprim17ROCPRIM_400000_NS6detail17trampoline_kernelINS0_14default_configENS1_38merge_sort_block_merge_config_selectorIiiEEZZNS1_27merge_sort_block_merge_implIS3_N6thrust23THRUST_200600_302600_NS6detail15normal_iteratorINS8_10device_ptrIiEEEESD_jNS1_19radix_merge_compareILb0ELb0EiNS0_19identity_decomposerEEEEE10hipError_tT0_T1_T2_jT3_P12ihipStream_tbPNSt15iterator_traitsISI_E10value_typeEPNSO_ISJ_E10value_typeEPSK_NS1_7vsmem_tEENKUlT_SI_SJ_SK_E_clIPiSD_S10_SD_EESH_SX_SI_SJ_SK_EUlSX_E0_NS1_11comp_targetILNS1_3genE10ELNS1_11target_archE1201ELNS1_3gpuE5ELNS1_3repE0EEENS1_38merge_mergepath_config_static_selectorELNS0_4arch9wavefront6targetE1EEEvSJ_
	.globl	_ZN7rocprim17ROCPRIM_400000_NS6detail17trampoline_kernelINS0_14default_configENS1_38merge_sort_block_merge_config_selectorIiiEEZZNS1_27merge_sort_block_merge_implIS3_N6thrust23THRUST_200600_302600_NS6detail15normal_iteratorINS8_10device_ptrIiEEEESD_jNS1_19radix_merge_compareILb0ELb0EiNS0_19identity_decomposerEEEEE10hipError_tT0_T1_T2_jT3_P12ihipStream_tbPNSt15iterator_traitsISI_E10value_typeEPNSO_ISJ_E10value_typeEPSK_NS1_7vsmem_tEENKUlT_SI_SJ_SK_E_clIPiSD_S10_SD_EESH_SX_SI_SJ_SK_EUlSX_E0_NS1_11comp_targetILNS1_3genE10ELNS1_11target_archE1201ELNS1_3gpuE5ELNS1_3repE0EEENS1_38merge_mergepath_config_static_selectorELNS0_4arch9wavefront6targetE1EEEvSJ_
	.p2align	8
	.type	_ZN7rocprim17ROCPRIM_400000_NS6detail17trampoline_kernelINS0_14default_configENS1_38merge_sort_block_merge_config_selectorIiiEEZZNS1_27merge_sort_block_merge_implIS3_N6thrust23THRUST_200600_302600_NS6detail15normal_iteratorINS8_10device_ptrIiEEEESD_jNS1_19radix_merge_compareILb0ELb0EiNS0_19identity_decomposerEEEEE10hipError_tT0_T1_T2_jT3_P12ihipStream_tbPNSt15iterator_traitsISI_E10value_typeEPNSO_ISJ_E10value_typeEPSK_NS1_7vsmem_tEENKUlT_SI_SJ_SK_E_clIPiSD_S10_SD_EESH_SX_SI_SJ_SK_EUlSX_E0_NS1_11comp_targetILNS1_3genE10ELNS1_11target_archE1201ELNS1_3gpuE5ELNS1_3repE0EEENS1_38merge_mergepath_config_static_selectorELNS0_4arch9wavefront6targetE1EEEvSJ_,@function
_ZN7rocprim17ROCPRIM_400000_NS6detail17trampoline_kernelINS0_14default_configENS1_38merge_sort_block_merge_config_selectorIiiEEZZNS1_27merge_sort_block_merge_implIS3_N6thrust23THRUST_200600_302600_NS6detail15normal_iteratorINS8_10device_ptrIiEEEESD_jNS1_19radix_merge_compareILb0ELb0EiNS0_19identity_decomposerEEEEE10hipError_tT0_T1_T2_jT3_P12ihipStream_tbPNSt15iterator_traitsISI_E10value_typeEPNSO_ISJ_E10value_typeEPSK_NS1_7vsmem_tEENKUlT_SI_SJ_SK_E_clIPiSD_S10_SD_EESH_SX_SI_SJ_SK_EUlSX_E0_NS1_11comp_targetILNS1_3genE10ELNS1_11target_archE1201ELNS1_3gpuE5ELNS1_3repE0EEENS1_38merge_mergepath_config_static_selectorELNS0_4arch9wavefront6targetE1EEEvSJ_: ; @_ZN7rocprim17ROCPRIM_400000_NS6detail17trampoline_kernelINS0_14default_configENS1_38merge_sort_block_merge_config_selectorIiiEEZZNS1_27merge_sort_block_merge_implIS3_N6thrust23THRUST_200600_302600_NS6detail15normal_iteratorINS8_10device_ptrIiEEEESD_jNS1_19radix_merge_compareILb0ELb0EiNS0_19identity_decomposerEEEEE10hipError_tT0_T1_T2_jT3_P12ihipStream_tbPNSt15iterator_traitsISI_E10value_typeEPNSO_ISJ_E10value_typeEPSK_NS1_7vsmem_tEENKUlT_SI_SJ_SK_E_clIPiSD_S10_SD_EESH_SX_SI_SJ_SK_EUlSX_E0_NS1_11comp_targetILNS1_3genE10ELNS1_11target_archE1201ELNS1_3gpuE5ELNS1_3repE0EEENS1_38merge_mergepath_config_static_selectorELNS0_4arch9wavefront6targetE1EEEvSJ_
; %bb.0:
	.section	.rodata,"a",@progbits
	.p2align	6, 0x0
	.amdhsa_kernel _ZN7rocprim17ROCPRIM_400000_NS6detail17trampoline_kernelINS0_14default_configENS1_38merge_sort_block_merge_config_selectorIiiEEZZNS1_27merge_sort_block_merge_implIS3_N6thrust23THRUST_200600_302600_NS6detail15normal_iteratorINS8_10device_ptrIiEEEESD_jNS1_19radix_merge_compareILb0ELb0EiNS0_19identity_decomposerEEEEE10hipError_tT0_T1_T2_jT3_P12ihipStream_tbPNSt15iterator_traitsISI_E10value_typeEPNSO_ISJ_E10value_typeEPSK_NS1_7vsmem_tEENKUlT_SI_SJ_SK_E_clIPiSD_S10_SD_EESH_SX_SI_SJ_SK_EUlSX_E0_NS1_11comp_targetILNS1_3genE10ELNS1_11target_archE1201ELNS1_3gpuE5ELNS1_3repE0EEENS1_38merge_mergepath_config_static_selectorELNS0_4arch9wavefront6targetE1EEEvSJ_
		.amdhsa_group_segment_fixed_size 0
		.amdhsa_private_segment_fixed_size 0
		.amdhsa_kernarg_size 64
		.amdhsa_user_sgpr_count 2
		.amdhsa_user_sgpr_dispatch_ptr 0
		.amdhsa_user_sgpr_queue_ptr 0
		.amdhsa_user_sgpr_kernarg_segment_ptr 1
		.amdhsa_user_sgpr_dispatch_id 0
		.amdhsa_user_sgpr_kernarg_preload_length 0
		.amdhsa_user_sgpr_kernarg_preload_offset 0
		.amdhsa_user_sgpr_private_segment_size 0
		.amdhsa_uses_dynamic_stack 0
		.amdhsa_enable_private_segment 0
		.amdhsa_system_sgpr_workgroup_id_x 1
		.amdhsa_system_sgpr_workgroup_id_y 0
		.amdhsa_system_sgpr_workgroup_id_z 0
		.amdhsa_system_sgpr_workgroup_info 0
		.amdhsa_system_vgpr_workitem_id 0
		.amdhsa_next_free_vgpr 1
		.amdhsa_next_free_sgpr 0
		.amdhsa_accum_offset 4
		.amdhsa_reserve_vcc 0
		.amdhsa_float_round_mode_32 0
		.amdhsa_float_round_mode_16_64 0
		.amdhsa_float_denorm_mode_32 3
		.amdhsa_float_denorm_mode_16_64 3
		.amdhsa_dx10_clamp 1
		.amdhsa_ieee_mode 1
		.amdhsa_fp16_overflow 0
		.amdhsa_tg_split 0
		.amdhsa_exception_fp_ieee_invalid_op 0
		.amdhsa_exception_fp_denorm_src 0
		.amdhsa_exception_fp_ieee_div_zero 0
		.amdhsa_exception_fp_ieee_overflow 0
		.amdhsa_exception_fp_ieee_underflow 0
		.amdhsa_exception_fp_ieee_inexact 0
		.amdhsa_exception_int_div_zero 0
	.end_amdhsa_kernel
	.section	.text._ZN7rocprim17ROCPRIM_400000_NS6detail17trampoline_kernelINS0_14default_configENS1_38merge_sort_block_merge_config_selectorIiiEEZZNS1_27merge_sort_block_merge_implIS3_N6thrust23THRUST_200600_302600_NS6detail15normal_iteratorINS8_10device_ptrIiEEEESD_jNS1_19radix_merge_compareILb0ELb0EiNS0_19identity_decomposerEEEEE10hipError_tT0_T1_T2_jT3_P12ihipStream_tbPNSt15iterator_traitsISI_E10value_typeEPNSO_ISJ_E10value_typeEPSK_NS1_7vsmem_tEENKUlT_SI_SJ_SK_E_clIPiSD_S10_SD_EESH_SX_SI_SJ_SK_EUlSX_E0_NS1_11comp_targetILNS1_3genE10ELNS1_11target_archE1201ELNS1_3gpuE5ELNS1_3repE0EEENS1_38merge_mergepath_config_static_selectorELNS0_4arch9wavefront6targetE1EEEvSJ_,"axG",@progbits,_ZN7rocprim17ROCPRIM_400000_NS6detail17trampoline_kernelINS0_14default_configENS1_38merge_sort_block_merge_config_selectorIiiEEZZNS1_27merge_sort_block_merge_implIS3_N6thrust23THRUST_200600_302600_NS6detail15normal_iteratorINS8_10device_ptrIiEEEESD_jNS1_19radix_merge_compareILb0ELb0EiNS0_19identity_decomposerEEEEE10hipError_tT0_T1_T2_jT3_P12ihipStream_tbPNSt15iterator_traitsISI_E10value_typeEPNSO_ISJ_E10value_typeEPSK_NS1_7vsmem_tEENKUlT_SI_SJ_SK_E_clIPiSD_S10_SD_EESH_SX_SI_SJ_SK_EUlSX_E0_NS1_11comp_targetILNS1_3genE10ELNS1_11target_archE1201ELNS1_3gpuE5ELNS1_3repE0EEENS1_38merge_mergepath_config_static_selectorELNS0_4arch9wavefront6targetE1EEEvSJ_,comdat
.Lfunc_end1296:
	.size	_ZN7rocprim17ROCPRIM_400000_NS6detail17trampoline_kernelINS0_14default_configENS1_38merge_sort_block_merge_config_selectorIiiEEZZNS1_27merge_sort_block_merge_implIS3_N6thrust23THRUST_200600_302600_NS6detail15normal_iteratorINS8_10device_ptrIiEEEESD_jNS1_19radix_merge_compareILb0ELb0EiNS0_19identity_decomposerEEEEE10hipError_tT0_T1_T2_jT3_P12ihipStream_tbPNSt15iterator_traitsISI_E10value_typeEPNSO_ISJ_E10value_typeEPSK_NS1_7vsmem_tEENKUlT_SI_SJ_SK_E_clIPiSD_S10_SD_EESH_SX_SI_SJ_SK_EUlSX_E0_NS1_11comp_targetILNS1_3genE10ELNS1_11target_archE1201ELNS1_3gpuE5ELNS1_3repE0EEENS1_38merge_mergepath_config_static_selectorELNS0_4arch9wavefront6targetE1EEEvSJ_, .Lfunc_end1296-_ZN7rocprim17ROCPRIM_400000_NS6detail17trampoline_kernelINS0_14default_configENS1_38merge_sort_block_merge_config_selectorIiiEEZZNS1_27merge_sort_block_merge_implIS3_N6thrust23THRUST_200600_302600_NS6detail15normal_iteratorINS8_10device_ptrIiEEEESD_jNS1_19radix_merge_compareILb0ELb0EiNS0_19identity_decomposerEEEEE10hipError_tT0_T1_T2_jT3_P12ihipStream_tbPNSt15iterator_traitsISI_E10value_typeEPNSO_ISJ_E10value_typeEPSK_NS1_7vsmem_tEENKUlT_SI_SJ_SK_E_clIPiSD_S10_SD_EESH_SX_SI_SJ_SK_EUlSX_E0_NS1_11comp_targetILNS1_3genE10ELNS1_11target_archE1201ELNS1_3gpuE5ELNS1_3repE0EEENS1_38merge_mergepath_config_static_selectorELNS0_4arch9wavefront6targetE1EEEvSJ_
                                        ; -- End function
	.set _ZN7rocprim17ROCPRIM_400000_NS6detail17trampoline_kernelINS0_14default_configENS1_38merge_sort_block_merge_config_selectorIiiEEZZNS1_27merge_sort_block_merge_implIS3_N6thrust23THRUST_200600_302600_NS6detail15normal_iteratorINS8_10device_ptrIiEEEESD_jNS1_19radix_merge_compareILb0ELb0EiNS0_19identity_decomposerEEEEE10hipError_tT0_T1_T2_jT3_P12ihipStream_tbPNSt15iterator_traitsISI_E10value_typeEPNSO_ISJ_E10value_typeEPSK_NS1_7vsmem_tEENKUlT_SI_SJ_SK_E_clIPiSD_S10_SD_EESH_SX_SI_SJ_SK_EUlSX_E0_NS1_11comp_targetILNS1_3genE10ELNS1_11target_archE1201ELNS1_3gpuE5ELNS1_3repE0EEENS1_38merge_mergepath_config_static_selectorELNS0_4arch9wavefront6targetE1EEEvSJ_.num_vgpr, 0
	.set _ZN7rocprim17ROCPRIM_400000_NS6detail17trampoline_kernelINS0_14default_configENS1_38merge_sort_block_merge_config_selectorIiiEEZZNS1_27merge_sort_block_merge_implIS3_N6thrust23THRUST_200600_302600_NS6detail15normal_iteratorINS8_10device_ptrIiEEEESD_jNS1_19radix_merge_compareILb0ELb0EiNS0_19identity_decomposerEEEEE10hipError_tT0_T1_T2_jT3_P12ihipStream_tbPNSt15iterator_traitsISI_E10value_typeEPNSO_ISJ_E10value_typeEPSK_NS1_7vsmem_tEENKUlT_SI_SJ_SK_E_clIPiSD_S10_SD_EESH_SX_SI_SJ_SK_EUlSX_E0_NS1_11comp_targetILNS1_3genE10ELNS1_11target_archE1201ELNS1_3gpuE5ELNS1_3repE0EEENS1_38merge_mergepath_config_static_selectorELNS0_4arch9wavefront6targetE1EEEvSJ_.num_agpr, 0
	.set _ZN7rocprim17ROCPRIM_400000_NS6detail17trampoline_kernelINS0_14default_configENS1_38merge_sort_block_merge_config_selectorIiiEEZZNS1_27merge_sort_block_merge_implIS3_N6thrust23THRUST_200600_302600_NS6detail15normal_iteratorINS8_10device_ptrIiEEEESD_jNS1_19radix_merge_compareILb0ELb0EiNS0_19identity_decomposerEEEEE10hipError_tT0_T1_T2_jT3_P12ihipStream_tbPNSt15iterator_traitsISI_E10value_typeEPNSO_ISJ_E10value_typeEPSK_NS1_7vsmem_tEENKUlT_SI_SJ_SK_E_clIPiSD_S10_SD_EESH_SX_SI_SJ_SK_EUlSX_E0_NS1_11comp_targetILNS1_3genE10ELNS1_11target_archE1201ELNS1_3gpuE5ELNS1_3repE0EEENS1_38merge_mergepath_config_static_selectorELNS0_4arch9wavefront6targetE1EEEvSJ_.numbered_sgpr, 0
	.set _ZN7rocprim17ROCPRIM_400000_NS6detail17trampoline_kernelINS0_14default_configENS1_38merge_sort_block_merge_config_selectorIiiEEZZNS1_27merge_sort_block_merge_implIS3_N6thrust23THRUST_200600_302600_NS6detail15normal_iteratorINS8_10device_ptrIiEEEESD_jNS1_19radix_merge_compareILb0ELb0EiNS0_19identity_decomposerEEEEE10hipError_tT0_T1_T2_jT3_P12ihipStream_tbPNSt15iterator_traitsISI_E10value_typeEPNSO_ISJ_E10value_typeEPSK_NS1_7vsmem_tEENKUlT_SI_SJ_SK_E_clIPiSD_S10_SD_EESH_SX_SI_SJ_SK_EUlSX_E0_NS1_11comp_targetILNS1_3genE10ELNS1_11target_archE1201ELNS1_3gpuE5ELNS1_3repE0EEENS1_38merge_mergepath_config_static_selectorELNS0_4arch9wavefront6targetE1EEEvSJ_.num_named_barrier, 0
	.set _ZN7rocprim17ROCPRIM_400000_NS6detail17trampoline_kernelINS0_14default_configENS1_38merge_sort_block_merge_config_selectorIiiEEZZNS1_27merge_sort_block_merge_implIS3_N6thrust23THRUST_200600_302600_NS6detail15normal_iteratorINS8_10device_ptrIiEEEESD_jNS1_19radix_merge_compareILb0ELb0EiNS0_19identity_decomposerEEEEE10hipError_tT0_T1_T2_jT3_P12ihipStream_tbPNSt15iterator_traitsISI_E10value_typeEPNSO_ISJ_E10value_typeEPSK_NS1_7vsmem_tEENKUlT_SI_SJ_SK_E_clIPiSD_S10_SD_EESH_SX_SI_SJ_SK_EUlSX_E0_NS1_11comp_targetILNS1_3genE10ELNS1_11target_archE1201ELNS1_3gpuE5ELNS1_3repE0EEENS1_38merge_mergepath_config_static_selectorELNS0_4arch9wavefront6targetE1EEEvSJ_.private_seg_size, 0
	.set _ZN7rocprim17ROCPRIM_400000_NS6detail17trampoline_kernelINS0_14default_configENS1_38merge_sort_block_merge_config_selectorIiiEEZZNS1_27merge_sort_block_merge_implIS3_N6thrust23THRUST_200600_302600_NS6detail15normal_iteratorINS8_10device_ptrIiEEEESD_jNS1_19radix_merge_compareILb0ELb0EiNS0_19identity_decomposerEEEEE10hipError_tT0_T1_T2_jT3_P12ihipStream_tbPNSt15iterator_traitsISI_E10value_typeEPNSO_ISJ_E10value_typeEPSK_NS1_7vsmem_tEENKUlT_SI_SJ_SK_E_clIPiSD_S10_SD_EESH_SX_SI_SJ_SK_EUlSX_E0_NS1_11comp_targetILNS1_3genE10ELNS1_11target_archE1201ELNS1_3gpuE5ELNS1_3repE0EEENS1_38merge_mergepath_config_static_selectorELNS0_4arch9wavefront6targetE1EEEvSJ_.uses_vcc, 0
	.set _ZN7rocprim17ROCPRIM_400000_NS6detail17trampoline_kernelINS0_14default_configENS1_38merge_sort_block_merge_config_selectorIiiEEZZNS1_27merge_sort_block_merge_implIS3_N6thrust23THRUST_200600_302600_NS6detail15normal_iteratorINS8_10device_ptrIiEEEESD_jNS1_19radix_merge_compareILb0ELb0EiNS0_19identity_decomposerEEEEE10hipError_tT0_T1_T2_jT3_P12ihipStream_tbPNSt15iterator_traitsISI_E10value_typeEPNSO_ISJ_E10value_typeEPSK_NS1_7vsmem_tEENKUlT_SI_SJ_SK_E_clIPiSD_S10_SD_EESH_SX_SI_SJ_SK_EUlSX_E0_NS1_11comp_targetILNS1_3genE10ELNS1_11target_archE1201ELNS1_3gpuE5ELNS1_3repE0EEENS1_38merge_mergepath_config_static_selectorELNS0_4arch9wavefront6targetE1EEEvSJ_.uses_flat_scratch, 0
	.set _ZN7rocprim17ROCPRIM_400000_NS6detail17trampoline_kernelINS0_14default_configENS1_38merge_sort_block_merge_config_selectorIiiEEZZNS1_27merge_sort_block_merge_implIS3_N6thrust23THRUST_200600_302600_NS6detail15normal_iteratorINS8_10device_ptrIiEEEESD_jNS1_19radix_merge_compareILb0ELb0EiNS0_19identity_decomposerEEEEE10hipError_tT0_T1_T2_jT3_P12ihipStream_tbPNSt15iterator_traitsISI_E10value_typeEPNSO_ISJ_E10value_typeEPSK_NS1_7vsmem_tEENKUlT_SI_SJ_SK_E_clIPiSD_S10_SD_EESH_SX_SI_SJ_SK_EUlSX_E0_NS1_11comp_targetILNS1_3genE10ELNS1_11target_archE1201ELNS1_3gpuE5ELNS1_3repE0EEENS1_38merge_mergepath_config_static_selectorELNS0_4arch9wavefront6targetE1EEEvSJ_.has_dyn_sized_stack, 0
	.set _ZN7rocprim17ROCPRIM_400000_NS6detail17trampoline_kernelINS0_14default_configENS1_38merge_sort_block_merge_config_selectorIiiEEZZNS1_27merge_sort_block_merge_implIS3_N6thrust23THRUST_200600_302600_NS6detail15normal_iteratorINS8_10device_ptrIiEEEESD_jNS1_19radix_merge_compareILb0ELb0EiNS0_19identity_decomposerEEEEE10hipError_tT0_T1_T2_jT3_P12ihipStream_tbPNSt15iterator_traitsISI_E10value_typeEPNSO_ISJ_E10value_typeEPSK_NS1_7vsmem_tEENKUlT_SI_SJ_SK_E_clIPiSD_S10_SD_EESH_SX_SI_SJ_SK_EUlSX_E0_NS1_11comp_targetILNS1_3genE10ELNS1_11target_archE1201ELNS1_3gpuE5ELNS1_3repE0EEENS1_38merge_mergepath_config_static_selectorELNS0_4arch9wavefront6targetE1EEEvSJ_.has_recursion, 0
	.set _ZN7rocprim17ROCPRIM_400000_NS6detail17trampoline_kernelINS0_14default_configENS1_38merge_sort_block_merge_config_selectorIiiEEZZNS1_27merge_sort_block_merge_implIS3_N6thrust23THRUST_200600_302600_NS6detail15normal_iteratorINS8_10device_ptrIiEEEESD_jNS1_19radix_merge_compareILb0ELb0EiNS0_19identity_decomposerEEEEE10hipError_tT0_T1_T2_jT3_P12ihipStream_tbPNSt15iterator_traitsISI_E10value_typeEPNSO_ISJ_E10value_typeEPSK_NS1_7vsmem_tEENKUlT_SI_SJ_SK_E_clIPiSD_S10_SD_EESH_SX_SI_SJ_SK_EUlSX_E0_NS1_11comp_targetILNS1_3genE10ELNS1_11target_archE1201ELNS1_3gpuE5ELNS1_3repE0EEENS1_38merge_mergepath_config_static_selectorELNS0_4arch9wavefront6targetE1EEEvSJ_.has_indirect_call, 0
	.section	.AMDGPU.csdata,"",@progbits
; Kernel info:
; codeLenInByte = 0
; TotalNumSgprs: 6
; NumVgprs: 0
; NumAgprs: 0
; TotalNumVgprs: 0
; ScratchSize: 0
; MemoryBound: 0
; FloatMode: 240
; IeeeMode: 1
; LDSByteSize: 0 bytes/workgroup (compile time only)
; SGPRBlocks: 0
; VGPRBlocks: 0
; NumSGPRsForWavesPerEU: 6
; NumVGPRsForWavesPerEU: 1
; AccumOffset: 4
; Occupancy: 8
; WaveLimiterHint : 0
; COMPUTE_PGM_RSRC2:SCRATCH_EN: 0
; COMPUTE_PGM_RSRC2:USER_SGPR: 2
; COMPUTE_PGM_RSRC2:TRAP_HANDLER: 0
; COMPUTE_PGM_RSRC2:TGID_X_EN: 1
; COMPUTE_PGM_RSRC2:TGID_Y_EN: 0
; COMPUTE_PGM_RSRC2:TGID_Z_EN: 0
; COMPUTE_PGM_RSRC2:TIDIG_COMP_CNT: 0
; COMPUTE_PGM_RSRC3_GFX90A:ACCUM_OFFSET: 0
; COMPUTE_PGM_RSRC3_GFX90A:TG_SPLIT: 0
	.section	.text._ZN7rocprim17ROCPRIM_400000_NS6detail17trampoline_kernelINS0_14default_configENS1_38merge_sort_block_merge_config_selectorIiiEEZZNS1_27merge_sort_block_merge_implIS3_N6thrust23THRUST_200600_302600_NS6detail15normal_iteratorINS8_10device_ptrIiEEEESD_jNS1_19radix_merge_compareILb0ELb0EiNS0_19identity_decomposerEEEEE10hipError_tT0_T1_T2_jT3_P12ihipStream_tbPNSt15iterator_traitsISI_E10value_typeEPNSO_ISJ_E10value_typeEPSK_NS1_7vsmem_tEENKUlT_SI_SJ_SK_E_clIPiSD_S10_SD_EESH_SX_SI_SJ_SK_EUlSX_E0_NS1_11comp_targetILNS1_3genE5ELNS1_11target_archE942ELNS1_3gpuE9ELNS1_3repE0EEENS1_38merge_mergepath_config_static_selectorELNS0_4arch9wavefront6targetE1EEEvSJ_,"axG",@progbits,_ZN7rocprim17ROCPRIM_400000_NS6detail17trampoline_kernelINS0_14default_configENS1_38merge_sort_block_merge_config_selectorIiiEEZZNS1_27merge_sort_block_merge_implIS3_N6thrust23THRUST_200600_302600_NS6detail15normal_iteratorINS8_10device_ptrIiEEEESD_jNS1_19radix_merge_compareILb0ELb0EiNS0_19identity_decomposerEEEEE10hipError_tT0_T1_T2_jT3_P12ihipStream_tbPNSt15iterator_traitsISI_E10value_typeEPNSO_ISJ_E10value_typeEPSK_NS1_7vsmem_tEENKUlT_SI_SJ_SK_E_clIPiSD_S10_SD_EESH_SX_SI_SJ_SK_EUlSX_E0_NS1_11comp_targetILNS1_3genE5ELNS1_11target_archE942ELNS1_3gpuE9ELNS1_3repE0EEENS1_38merge_mergepath_config_static_selectorELNS0_4arch9wavefront6targetE1EEEvSJ_,comdat
	.protected	_ZN7rocprim17ROCPRIM_400000_NS6detail17trampoline_kernelINS0_14default_configENS1_38merge_sort_block_merge_config_selectorIiiEEZZNS1_27merge_sort_block_merge_implIS3_N6thrust23THRUST_200600_302600_NS6detail15normal_iteratorINS8_10device_ptrIiEEEESD_jNS1_19radix_merge_compareILb0ELb0EiNS0_19identity_decomposerEEEEE10hipError_tT0_T1_T2_jT3_P12ihipStream_tbPNSt15iterator_traitsISI_E10value_typeEPNSO_ISJ_E10value_typeEPSK_NS1_7vsmem_tEENKUlT_SI_SJ_SK_E_clIPiSD_S10_SD_EESH_SX_SI_SJ_SK_EUlSX_E0_NS1_11comp_targetILNS1_3genE5ELNS1_11target_archE942ELNS1_3gpuE9ELNS1_3repE0EEENS1_38merge_mergepath_config_static_selectorELNS0_4arch9wavefront6targetE1EEEvSJ_ ; -- Begin function _ZN7rocprim17ROCPRIM_400000_NS6detail17trampoline_kernelINS0_14default_configENS1_38merge_sort_block_merge_config_selectorIiiEEZZNS1_27merge_sort_block_merge_implIS3_N6thrust23THRUST_200600_302600_NS6detail15normal_iteratorINS8_10device_ptrIiEEEESD_jNS1_19radix_merge_compareILb0ELb0EiNS0_19identity_decomposerEEEEE10hipError_tT0_T1_T2_jT3_P12ihipStream_tbPNSt15iterator_traitsISI_E10value_typeEPNSO_ISJ_E10value_typeEPSK_NS1_7vsmem_tEENKUlT_SI_SJ_SK_E_clIPiSD_S10_SD_EESH_SX_SI_SJ_SK_EUlSX_E0_NS1_11comp_targetILNS1_3genE5ELNS1_11target_archE942ELNS1_3gpuE9ELNS1_3repE0EEENS1_38merge_mergepath_config_static_selectorELNS0_4arch9wavefront6targetE1EEEvSJ_
	.globl	_ZN7rocprim17ROCPRIM_400000_NS6detail17trampoline_kernelINS0_14default_configENS1_38merge_sort_block_merge_config_selectorIiiEEZZNS1_27merge_sort_block_merge_implIS3_N6thrust23THRUST_200600_302600_NS6detail15normal_iteratorINS8_10device_ptrIiEEEESD_jNS1_19radix_merge_compareILb0ELb0EiNS0_19identity_decomposerEEEEE10hipError_tT0_T1_T2_jT3_P12ihipStream_tbPNSt15iterator_traitsISI_E10value_typeEPNSO_ISJ_E10value_typeEPSK_NS1_7vsmem_tEENKUlT_SI_SJ_SK_E_clIPiSD_S10_SD_EESH_SX_SI_SJ_SK_EUlSX_E0_NS1_11comp_targetILNS1_3genE5ELNS1_11target_archE942ELNS1_3gpuE9ELNS1_3repE0EEENS1_38merge_mergepath_config_static_selectorELNS0_4arch9wavefront6targetE1EEEvSJ_
	.p2align	8
	.type	_ZN7rocprim17ROCPRIM_400000_NS6detail17trampoline_kernelINS0_14default_configENS1_38merge_sort_block_merge_config_selectorIiiEEZZNS1_27merge_sort_block_merge_implIS3_N6thrust23THRUST_200600_302600_NS6detail15normal_iteratorINS8_10device_ptrIiEEEESD_jNS1_19radix_merge_compareILb0ELb0EiNS0_19identity_decomposerEEEEE10hipError_tT0_T1_T2_jT3_P12ihipStream_tbPNSt15iterator_traitsISI_E10value_typeEPNSO_ISJ_E10value_typeEPSK_NS1_7vsmem_tEENKUlT_SI_SJ_SK_E_clIPiSD_S10_SD_EESH_SX_SI_SJ_SK_EUlSX_E0_NS1_11comp_targetILNS1_3genE5ELNS1_11target_archE942ELNS1_3gpuE9ELNS1_3repE0EEENS1_38merge_mergepath_config_static_selectorELNS0_4arch9wavefront6targetE1EEEvSJ_,@function
_ZN7rocprim17ROCPRIM_400000_NS6detail17trampoline_kernelINS0_14default_configENS1_38merge_sort_block_merge_config_selectorIiiEEZZNS1_27merge_sort_block_merge_implIS3_N6thrust23THRUST_200600_302600_NS6detail15normal_iteratorINS8_10device_ptrIiEEEESD_jNS1_19radix_merge_compareILb0ELb0EiNS0_19identity_decomposerEEEEE10hipError_tT0_T1_T2_jT3_P12ihipStream_tbPNSt15iterator_traitsISI_E10value_typeEPNSO_ISJ_E10value_typeEPSK_NS1_7vsmem_tEENKUlT_SI_SJ_SK_E_clIPiSD_S10_SD_EESH_SX_SI_SJ_SK_EUlSX_E0_NS1_11comp_targetILNS1_3genE5ELNS1_11target_archE942ELNS1_3gpuE9ELNS1_3repE0EEENS1_38merge_mergepath_config_static_selectorELNS0_4arch9wavefront6targetE1EEEvSJ_: ; @_ZN7rocprim17ROCPRIM_400000_NS6detail17trampoline_kernelINS0_14default_configENS1_38merge_sort_block_merge_config_selectorIiiEEZZNS1_27merge_sort_block_merge_implIS3_N6thrust23THRUST_200600_302600_NS6detail15normal_iteratorINS8_10device_ptrIiEEEESD_jNS1_19radix_merge_compareILb0ELb0EiNS0_19identity_decomposerEEEEE10hipError_tT0_T1_T2_jT3_P12ihipStream_tbPNSt15iterator_traitsISI_E10value_typeEPNSO_ISJ_E10value_typeEPSK_NS1_7vsmem_tEENKUlT_SI_SJ_SK_E_clIPiSD_S10_SD_EESH_SX_SI_SJ_SK_EUlSX_E0_NS1_11comp_targetILNS1_3genE5ELNS1_11target_archE942ELNS1_3gpuE9ELNS1_3repE0EEENS1_38merge_mergepath_config_static_selectorELNS0_4arch9wavefront6targetE1EEEvSJ_
; %bb.0:
	.section	.rodata,"a",@progbits
	.p2align	6, 0x0
	.amdhsa_kernel _ZN7rocprim17ROCPRIM_400000_NS6detail17trampoline_kernelINS0_14default_configENS1_38merge_sort_block_merge_config_selectorIiiEEZZNS1_27merge_sort_block_merge_implIS3_N6thrust23THRUST_200600_302600_NS6detail15normal_iteratorINS8_10device_ptrIiEEEESD_jNS1_19radix_merge_compareILb0ELb0EiNS0_19identity_decomposerEEEEE10hipError_tT0_T1_T2_jT3_P12ihipStream_tbPNSt15iterator_traitsISI_E10value_typeEPNSO_ISJ_E10value_typeEPSK_NS1_7vsmem_tEENKUlT_SI_SJ_SK_E_clIPiSD_S10_SD_EESH_SX_SI_SJ_SK_EUlSX_E0_NS1_11comp_targetILNS1_3genE5ELNS1_11target_archE942ELNS1_3gpuE9ELNS1_3repE0EEENS1_38merge_mergepath_config_static_selectorELNS0_4arch9wavefront6targetE1EEEvSJ_
		.amdhsa_group_segment_fixed_size 0
		.amdhsa_private_segment_fixed_size 0
		.amdhsa_kernarg_size 64
		.amdhsa_user_sgpr_count 2
		.amdhsa_user_sgpr_dispatch_ptr 0
		.amdhsa_user_sgpr_queue_ptr 0
		.amdhsa_user_sgpr_kernarg_segment_ptr 1
		.amdhsa_user_sgpr_dispatch_id 0
		.amdhsa_user_sgpr_kernarg_preload_length 0
		.amdhsa_user_sgpr_kernarg_preload_offset 0
		.amdhsa_user_sgpr_private_segment_size 0
		.amdhsa_uses_dynamic_stack 0
		.amdhsa_enable_private_segment 0
		.amdhsa_system_sgpr_workgroup_id_x 1
		.amdhsa_system_sgpr_workgroup_id_y 0
		.amdhsa_system_sgpr_workgroup_id_z 0
		.amdhsa_system_sgpr_workgroup_info 0
		.amdhsa_system_vgpr_workitem_id 0
		.amdhsa_next_free_vgpr 1
		.amdhsa_next_free_sgpr 0
		.amdhsa_accum_offset 4
		.amdhsa_reserve_vcc 0
		.amdhsa_float_round_mode_32 0
		.amdhsa_float_round_mode_16_64 0
		.amdhsa_float_denorm_mode_32 3
		.amdhsa_float_denorm_mode_16_64 3
		.amdhsa_dx10_clamp 1
		.amdhsa_ieee_mode 1
		.amdhsa_fp16_overflow 0
		.amdhsa_tg_split 0
		.amdhsa_exception_fp_ieee_invalid_op 0
		.amdhsa_exception_fp_denorm_src 0
		.amdhsa_exception_fp_ieee_div_zero 0
		.amdhsa_exception_fp_ieee_overflow 0
		.amdhsa_exception_fp_ieee_underflow 0
		.amdhsa_exception_fp_ieee_inexact 0
		.amdhsa_exception_int_div_zero 0
	.end_amdhsa_kernel
	.section	.text._ZN7rocprim17ROCPRIM_400000_NS6detail17trampoline_kernelINS0_14default_configENS1_38merge_sort_block_merge_config_selectorIiiEEZZNS1_27merge_sort_block_merge_implIS3_N6thrust23THRUST_200600_302600_NS6detail15normal_iteratorINS8_10device_ptrIiEEEESD_jNS1_19radix_merge_compareILb0ELb0EiNS0_19identity_decomposerEEEEE10hipError_tT0_T1_T2_jT3_P12ihipStream_tbPNSt15iterator_traitsISI_E10value_typeEPNSO_ISJ_E10value_typeEPSK_NS1_7vsmem_tEENKUlT_SI_SJ_SK_E_clIPiSD_S10_SD_EESH_SX_SI_SJ_SK_EUlSX_E0_NS1_11comp_targetILNS1_3genE5ELNS1_11target_archE942ELNS1_3gpuE9ELNS1_3repE0EEENS1_38merge_mergepath_config_static_selectorELNS0_4arch9wavefront6targetE1EEEvSJ_,"axG",@progbits,_ZN7rocprim17ROCPRIM_400000_NS6detail17trampoline_kernelINS0_14default_configENS1_38merge_sort_block_merge_config_selectorIiiEEZZNS1_27merge_sort_block_merge_implIS3_N6thrust23THRUST_200600_302600_NS6detail15normal_iteratorINS8_10device_ptrIiEEEESD_jNS1_19radix_merge_compareILb0ELb0EiNS0_19identity_decomposerEEEEE10hipError_tT0_T1_T2_jT3_P12ihipStream_tbPNSt15iterator_traitsISI_E10value_typeEPNSO_ISJ_E10value_typeEPSK_NS1_7vsmem_tEENKUlT_SI_SJ_SK_E_clIPiSD_S10_SD_EESH_SX_SI_SJ_SK_EUlSX_E0_NS1_11comp_targetILNS1_3genE5ELNS1_11target_archE942ELNS1_3gpuE9ELNS1_3repE0EEENS1_38merge_mergepath_config_static_selectorELNS0_4arch9wavefront6targetE1EEEvSJ_,comdat
.Lfunc_end1297:
	.size	_ZN7rocprim17ROCPRIM_400000_NS6detail17trampoline_kernelINS0_14default_configENS1_38merge_sort_block_merge_config_selectorIiiEEZZNS1_27merge_sort_block_merge_implIS3_N6thrust23THRUST_200600_302600_NS6detail15normal_iteratorINS8_10device_ptrIiEEEESD_jNS1_19radix_merge_compareILb0ELb0EiNS0_19identity_decomposerEEEEE10hipError_tT0_T1_T2_jT3_P12ihipStream_tbPNSt15iterator_traitsISI_E10value_typeEPNSO_ISJ_E10value_typeEPSK_NS1_7vsmem_tEENKUlT_SI_SJ_SK_E_clIPiSD_S10_SD_EESH_SX_SI_SJ_SK_EUlSX_E0_NS1_11comp_targetILNS1_3genE5ELNS1_11target_archE942ELNS1_3gpuE9ELNS1_3repE0EEENS1_38merge_mergepath_config_static_selectorELNS0_4arch9wavefront6targetE1EEEvSJ_, .Lfunc_end1297-_ZN7rocprim17ROCPRIM_400000_NS6detail17trampoline_kernelINS0_14default_configENS1_38merge_sort_block_merge_config_selectorIiiEEZZNS1_27merge_sort_block_merge_implIS3_N6thrust23THRUST_200600_302600_NS6detail15normal_iteratorINS8_10device_ptrIiEEEESD_jNS1_19radix_merge_compareILb0ELb0EiNS0_19identity_decomposerEEEEE10hipError_tT0_T1_T2_jT3_P12ihipStream_tbPNSt15iterator_traitsISI_E10value_typeEPNSO_ISJ_E10value_typeEPSK_NS1_7vsmem_tEENKUlT_SI_SJ_SK_E_clIPiSD_S10_SD_EESH_SX_SI_SJ_SK_EUlSX_E0_NS1_11comp_targetILNS1_3genE5ELNS1_11target_archE942ELNS1_3gpuE9ELNS1_3repE0EEENS1_38merge_mergepath_config_static_selectorELNS0_4arch9wavefront6targetE1EEEvSJ_
                                        ; -- End function
	.set _ZN7rocprim17ROCPRIM_400000_NS6detail17trampoline_kernelINS0_14default_configENS1_38merge_sort_block_merge_config_selectorIiiEEZZNS1_27merge_sort_block_merge_implIS3_N6thrust23THRUST_200600_302600_NS6detail15normal_iteratorINS8_10device_ptrIiEEEESD_jNS1_19radix_merge_compareILb0ELb0EiNS0_19identity_decomposerEEEEE10hipError_tT0_T1_T2_jT3_P12ihipStream_tbPNSt15iterator_traitsISI_E10value_typeEPNSO_ISJ_E10value_typeEPSK_NS1_7vsmem_tEENKUlT_SI_SJ_SK_E_clIPiSD_S10_SD_EESH_SX_SI_SJ_SK_EUlSX_E0_NS1_11comp_targetILNS1_3genE5ELNS1_11target_archE942ELNS1_3gpuE9ELNS1_3repE0EEENS1_38merge_mergepath_config_static_selectorELNS0_4arch9wavefront6targetE1EEEvSJ_.num_vgpr, 0
	.set _ZN7rocprim17ROCPRIM_400000_NS6detail17trampoline_kernelINS0_14default_configENS1_38merge_sort_block_merge_config_selectorIiiEEZZNS1_27merge_sort_block_merge_implIS3_N6thrust23THRUST_200600_302600_NS6detail15normal_iteratorINS8_10device_ptrIiEEEESD_jNS1_19radix_merge_compareILb0ELb0EiNS0_19identity_decomposerEEEEE10hipError_tT0_T1_T2_jT3_P12ihipStream_tbPNSt15iterator_traitsISI_E10value_typeEPNSO_ISJ_E10value_typeEPSK_NS1_7vsmem_tEENKUlT_SI_SJ_SK_E_clIPiSD_S10_SD_EESH_SX_SI_SJ_SK_EUlSX_E0_NS1_11comp_targetILNS1_3genE5ELNS1_11target_archE942ELNS1_3gpuE9ELNS1_3repE0EEENS1_38merge_mergepath_config_static_selectorELNS0_4arch9wavefront6targetE1EEEvSJ_.num_agpr, 0
	.set _ZN7rocprim17ROCPRIM_400000_NS6detail17trampoline_kernelINS0_14default_configENS1_38merge_sort_block_merge_config_selectorIiiEEZZNS1_27merge_sort_block_merge_implIS3_N6thrust23THRUST_200600_302600_NS6detail15normal_iteratorINS8_10device_ptrIiEEEESD_jNS1_19radix_merge_compareILb0ELb0EiNS0_19identity_decomposerEEEEE10hipError_tT0_T1_T2_jT3_P12ihipStream_tbPNSt15iterator_traitsISI_E10value_typeEPNSO_ISJ_E10value_typeEPSK_NS1_7vsmem_tEENKUlT_SI_SJ_SK_E_clIPiSD_S10_SD_EESH_SX_SI_SJ_SK_EUlSX_E0_NS1_11comp_targetILNS1_3genE5ELNS1_11target_archE942ELNS1_3gpuE9ELNS1_3repE0EEENS1_38merge_mergepath_config_static_selectorELNS0_4arch9wavefront6targetE1EEEvSJ_.numbered_sgpr, 0
	.set _ZN7rocprim17ROCPRIM_400000_NS6detail17trampoline_kernelINS0_14default_configENS1_38merge_sort_block_merge_config_selectorIiiEEZZNS1_27merge_sort_block_merge_implIS3_N6thrust23THRUST_200600_302600_NS6detail15normal_iteratorINS8_10device_ptrIiEEEESD_jNS1_19radix_merge_compareILb0ELb0EiNS0_19identity_decomposerEEEEE10hipError_tT0_T1_T2_jT3_P12ihipStream_tbPNSt15iterator_traitsISI_E10value_typeEPNSO_ISJ_E10value_typeEPSK_NS1_7vsmem_tEENKUlT_SI_SJ_SK_E_clIPiSD_S10_SD_EESH_SX_SI_SJ_SK_EUlSX_E0_NS1_11comp_targetILNS1_3genE5ELNS1_11target_archE942ELNS1_3gpuE9ELNS1_3repE0EEENS1_38merge_mergepath_config_static_selectorELNS0_4arch9wavefront6targetE1EEEvSJ_.num_named_barrier, 0
	.set _ZN7rocprim17ROCPRIM_400000_NS6detail17trampoline_kernelINS0_14default_configENS1_38merge_sort_block_merge_config_selectorIiiEEZZNS1_27merge_sort_block_merge_implIS3_N6thrust23THRUST_200600_302600_NS6detail15normal_iteratorINS8_10device_ptrIiEEEESD_jNS1_19radix_merge_compareILb0ELb0EiNS0_19identity_decomposerEEEEE10hipError_tT0_T1_T2_jT3_P12ihipStream_tbPNSt15iterator_traitsISI_E10value_typeEPNSO_ISJ_E10value_typeEPSK_NS1_7vsmem_tEENKUlT_SI_SJ_SK_E_clIPiSD_S10_SD_EESH_SX_SI_SJ_SK_EUlSX_E0_NS1_11comp_targetILNS1_3genE5ELNS1_11target_archE942ELNS1_3gpuE9ELNS1_3repE0EEENS1_38merge_mergepath_config_static_selectorELNS0_4arch9wavefront6targetE1EEEvSJ_.private_seg_size, 0
	.set _ZN7rocprim17ROCPRIM_400000_NS6detail17trampoline_kernelINS0_14default_configENS1_38merge_sort_block_merge_config_selectorIiiEEZZNS1_27merge_sort_block_merge_implIS3_N6thrust23THRUST_200600_302600_NS6detail15normal_iteratorINS8_10device_ptrIiEEEESD_jNS1_19radix_merge_compareILb0ELb0EiNS0_19identity_decomposerEEEEE10hipError_tT0_T1_T2_jT3_P12ihipStream_tbPNSt15iterator_traitsISI_E10value_typeEPNSO_ISJ_E10value_typeEPSK_NS1_7vsmem_tEENKUlT_SI_SJ_SK_E_clIPiSD_S10_SD_EESH_SX_SI_SJ_SK_EUlSX_E0_NS1_11comp_targetILNS1_3genE5ELNS1_11target_archE942ELNS1_3gpuE9ELNS1_3repE0EEENS1_38merge_mergepath_config_static_selectorELNS0_4arch9wavefront6targetE1EEEvSJ_.uses_vcc, 0
	.set _ZN7rocprim17ROCPRIM_400000_NS6detail17trampoline_kernelINS0_14default_configENS1_38merge_sort_block_merge_config_selectorIiiEEZZNS1_27merge_sort_block_merge_implIS3_N6thrust23THRUST_200600_302600_NS6detail15normal_iteratorINS8_10device_ptrIiEEEESD_jNS1_19radix_merge_compareILb0ELb0EiNS0_19identity_decomposerEEEEE10hipError_tT0_T1_T2_jT3_P12ihipStream_tbPNSt15iterator_traitsISI_E10value_typeEPNSO_ISJ_E10value_typeEPSK_NS1_7vsmem_tEENKUlT_SI_SJ_SK_E_clIPiSD_S10_SD_EESH_SX_SI_SJ_SK_EUlSX_E0_NS1_11comp_targetILNS1_3genE5ELNS1_11target_archE942ELNS1_3gpuE9ELNS1_3repE0EEENS1_38merge_mergepath_config_static_selectorELNS0_4arch9wavefront6targetE1EEEvSJ_.uses_flat_scratch, 0
	.set _ZN7rocprim17ROCPRIM_400000_NS6detail17trampoline_kernelINS0_14default_configENS1_38merge_sort_block_merge_config_selectorIiiEEZZNS1_27merge_sort_block_merge_implIS3_N6thrust23THRUST_200600_302600_NS6detail15normal_iteratorINS8_10device_ptrIiEEEESD_jNS1_19radix_merge_compareILb0ELb0EiNS0_19identity_decomposerEEEEE10hipError_tT0_T1_T2_jT3_P12ihipStream_tbPNSt15iterator_traitsISI_E10value_typeEPNSO_ISJ_E10value_typeEPSK_NS1_7vsmem_tEENKUlT_SI_SJ_SK_E_clIPiSD_S10_SD_EESH_SX_SI_SJ_SK_EUlSX_E0_NS1_11comp_targetILNS1_3genE5ELNS1_11target_archE942ELNS1_3gpuE9ELNS1_3repE0EEENS1_38merge_mergepath_config_static_selectorELNS0_4arch9wavefront6targetE1EEEvSJ_.has_dyn_sized_stack, 0
	.set _ZN7rocprim17ROCPRIM_400000_NS6detail17trampoline_kernelINS0_14default_configENS1_38merge_sort_block_merge_config_selectorIiiEEZZNS1_27merge_sort_block_merge_implIS3_N6thrust23THRUST_200600_302600_NS6detail15normal_iteratorINS8_10device_ptrIiEEEESD_jNS1_19radix_merge_compareILb0ELb0EiNS0_19identity_decomposerEEEEE10hipError_tT0_T1_T2_jT3_P12ihipStream_tbPNSt15iterator_traitsISI_E10value_typeEPNSO_ISJ_E10value_typeEPSK_NS1_7vsmem_tEENKUlT_SI_SJ_SK_E_clIPiSD_S10_SD_EESH_SX_SI_SJ_SK_EUlSX_E0_NS1_11comp_targetILNS1_3genE5ELNS1_11target_archE942ELNS1_3gpuE9ELNS1_3repE0EEENS1_38merge_mergepath_config_static_selectorELNS0_4arch9wavefront6targetE1EEEvSJ_.has_recursion, 0
	.set _ZN7rocprim17ROCPRIM_400000_NS6detail17trampoline_kernelINS0_14default_configENS1_38merge_sort_block_merge_config_selectorIiiEEZZNS1_27merge_sort_block_merge_implIS3_N6thrust23THRUST_200600_302600_NS6detail15normal_iteratorINS8_10device_ptrIiEEEESD_jNS1_19radix_merge_compareILb0ELb0EiNS0_19identity_decomposerEEEEE10hipError_tT0_T1_T2_jT3_P12ihipStream_tbPNSt15iterator_traitsISI_E10value_typeEPNSO_ISJ_E10value_typeEPSK_NS1_7vsmem_tEENKUlT_SI_SJ_SK_E_clIPiSD_S10_SD_EESH_SX_SI_SJ_SK_EUlSX_E0_NS1_11comp_targetILNS1_3genE5ELNS1_11target_archE942ELNS1_3gpuE9ELNS1_3repE0EEENS1_38merge_mergepath_config_static_selectorELNS0_4arch9wavefront6targetE1EEEvSJ_.has_indirect_call, 0
	.section	.AMDGPU.csdata,"",@progbits
; Kernel info:
; codeLenInByte = 0
; TotalNumSgprs: 6
; NumVgprs: 0
; NumAgprs: 0
; TotalNumVgprs: 0
; ScratchSize: 0
; MemoryBound: 0
; FloatMode: 240
; IeeeMode: 1
; LDSByteSize: 0 bytes/workgroup (compile time only)
; SGPRBlocks: 0
; VGPRBlocks: 0
; NumSGPRsForWavesPerEU: 6
; NumVGPRsForWavesPerEU: 1
; AccumOffset: 4
; Occupancy: 8
; WaveLimiterHint : 0
; COMPUTE_PGM_RSRC2:SCRATCH_EN: 0
; COMPUTE_PGM_RSRC2:USER_SGPR: 2
; COMPUTE_PGM_RSRC2:TRAP_HANDLER: 0
; COMPUTE_PGM_RSRC2:TGID_X_EN: 1
; COMPUTE_PGM_RSRC2:TGID_Y_EN: 0
; COMPUTE_PGM_RSRC2:TGID_Z_EN: 0
; COMPUTE_PGM_RSRC2:TIDIG_COMP_CNT: 0
; COMPUTE_PGM_RSRC3_GFX90A:ACCUM_OFFSET: 0
; COMPUTE_PGM_RSRC3_GFX90A:TG_SPLIT: 0
	.section	.text._ZN7rocprim17ROCPRIM_400000_NS6detail17trampoline_kernelINS0_14default_configENS1_38merge_sort_block_merge_config_selectorIiiEEZZNS1_27merge_sort_block_merge_implIS3_N6thrust23THRUST_200600_302600_NS6detail15normal_iteratorINS8_10device_ptrIiEEEESD_jNS1_19radix_merge_compareILb0ELb0EiNS0_19identity_decomposerEEEEE10hipError_tT0_T1_T2_jT3_P12ihipStream_tbPNSt15iterator_traitsISI_E10value_typeEPNSO_ISJ_E10value_typeEPSK_NS1_7vsmem_tEENKUlT_SI_SJ_SK_E_clIPiSD_S10_SD_EESH_SX_SI_SJ_SK_EUlSX_E0_NS1_11comp_targetILNS1_3genE4ELNS1_11target_archE910ELNS1_3gpuE8ELNS1_3repE0EEENS1_38merge_mergepath_config_static_selectorELNS0_4arch9wavefront6targetE1EEEvSJ_,"axG",@progbits,_ZN7rocprim17ROCPRIM_400000_NS6detail17trampoline_kernelINS0_14default_configENS1_38merge_sort_block_merge_config_selectorIiiEEZZNS1_27merge_sort_block_merge_implIS3_N6thrust23THRUST_200600_302600_NS6detail15normal_iteratorINS8_10device_ptrIiEEEESD_jNS1_19radix_merge_compareILb0ELb0EiNS0_19identity_decomposerEEEEE10hipError_tT0_T1_T2_jT3_P12ihipStream_tbPNSt15iterator_traitsISI_E10value_typeEPNSO_ISJ_E10value_typeEPSK_NS1_7vsmem_tEENKUlT_SI_SJ_SK_E_clIPiSD_S10_SD_EESH_SX_SI_SJ_SK_EUlSX_E0_NS1_11comp_targetILNS1_3genE4ELNS1_11target_archE910ELNS1_3gpuE8ELNS1_3repE0EEENS1_38merge_mergepath_config_static_selectorELNS0_4arch9wavefront6targetE1EEEvSJ_,comdat
	.protected	_ZN7rocprim17ROCPRIM_400000_NS6detail17trampoline_kernelINS0_14default_configENS1_38merge_sort_block_merge_config_selectorIiiEEZZNS1_27merge_sort_block_merge_implIS3_N6thrust23THRUST_200600_302600_NS6detail15normal_iteratorINS8_10device_ptrIiEEEESD_jNS1_19radix_merge_compareILb0ELb0EiNS0_19identity_decomposerEEEEE10hipError_tT0_T1_T2_jT3_P12ihipStream_tbPNSt15iterator_traitsISI_E10value_typeEPNSO_ISJ_E10value_typeEPSK_NS1_7vsmem_tEENKUlT_SI_SJ_SK_E_clIPiSD_S10_SD_EESH_SX_SI_SJ_SK_EUlSX_E0_NS1_11comp_targetILNS1_3genE4ELNS1_11target_archE910ELNS1_3gpuE8ELNS1_3repE0EEENS1_38merge_mergepath_config_static_selectorELNS0_4arch9wavefront6targetE1EEEvSJ_ ; -- Begin function _ZN7rocprim17ROCPRIM_400000_NS6detail17trampoline_kernelINS0_14default_configENS1_38merge_sort_block_merge_config_selectorIiiEEZZNS1_27merge_sort_block_merge_implIS3_N6thrust23THRUST_200600_302600_NS6detail15normal_iteratorINS8_10device_ptrIiEEEESD_jNS1_19radix_merge_compareILb0ELb0EiNS0_19identity_decomposerEEEEE10hipError_tT0_T1_T2_jT3_P12ihipStream_tbPNSt15iterator_traitsISI_E10value_typeEPNSO_ISJ_E10value_typeEPSK_NS1_7vsmem_tEENKUlT_SI_SJ_SK_E_clIPiSD_S10_SD_EESH_SX_SI_SJ_SK_EUlSX_E0_NS1_11comp_targetILNS1_3genE4ELNS1_11target_archE910ELNS1_3gpuE8ELNS1_3repE0EEENS1_38merge_mergepath_config_static_selectorELNS0_4arch9wavefront6targetE1EEEvSJ_
	.globl	_ZN7rocprim17ROCPRIM_400000_NS6detail17trampoline_kernelINS0_14default_configENS1_38merge_sort_block_merge_config_selectorIiiEEZZNS1_27merge_sort_block_merge_implIS3_N6thrust23THRUST_200600_302600_NS6detail15normal_iteratorINS8_10device_ptrIiEEEESD_jNS1_19radix_merge_compareILb0ELb0EiNS0_19identity_decomposerEEEEE10hipError_tT0_T1_T2_jT3_P12ihipStream_tbPNSt15iterator_traitsISI_E10value_typeEPNSO_ISJ_E10value_typeEPSK_NS1_7vsmem_tEENKUlT_SI_SJ_SK_E_clIPiSD_S10_SD_EESH_SX_SI_SJ_SK_EUlSX_E0_NS1_11comp_targetILNS1_3genE4ELNS1_11target_archE910ELNS1_3gpuE8ELNS1_3repE0EEENS1_38merge_mergepath_config_static_selectorELNS0_4arch9wavefront6targetE1EEEvSJ_
	.p2align	8
	.type	_ZN7rocprim17ROCPRIM_400000_NS6detail17trampoline_kernelINS0_14default_configENS1_38merge_sort_block_merge_config_selectorIiiEEZZNS1_27merge_sort_block_merge_implIS3_N6thrust23THRUST_200600_302600_NS6detail15normal_iteratorINS8_10device_ptrIiEEEESD_jNS1_19radix_merge_compareILb0ELb0EiNS0_19identity_decomposerEEEEE10hipError_tT0_T1_T2_jT3_P12ihipStream_tbPNSt15iterator_traitsISI_E10value_typeEPNSO_ISJ_E10value_typeEPSK_NS1_7vsmem_tEENKUlT_SI_SJ_SK_E_clIPiSD_S10_SD_EESH_SX_SI_SJ_SK_EUlSX_E0_NS1_11comp_targetILNS1_3genE4ELNS1_11target_archE910ELNS1_3gpuE8ELNS1_3repE0EEENS1_38merge_mergepath_config_static_selectorELNS0_4arch9wavefront6targetE1EEEvSJ_,@function
_ZN7rocprim17ROCPRIM_400000_NS6detail17trampoline_kernelINS0_14default_configENS1_38merge_sort_block_merge_config_selectorIiiEEZZNS1_27merge_sort_block_merge_implIS3_N6thrust23THRUST_200600_302600_NS6detail15normal_iteratorINS8_10device_ptrIiEEEESD_jNS1_19radix_merge_compareILb0ELb0EiNS0_19identity_decomposerEEEEE10hipError_tT0_T1_T2_jT3_P12ihipStream_tbPNSt15iterator_traitsISI_E10value_typeEPNSO_ISJ_E10value_typeEPSK_NS1_7vsmem_tEENKUlT_SI_SJ_SK_E_clIPiSD_S10_SD_EESH_SX_SI_SJ_SK_EUlSX_E0_NS1_11comp_targetILNS1_3genE4ELNS1_11target_archE910ELNS1_3gpuE8ELNS1_3repE0EEENS1_38merge_mergepath_config_static_selectorELNS0_4arch9wavefront6targetE1EEEvSJ_: ; @_ZN7rocprim17ROCPRIM_400000_NS6detail17trampoline_kernelINS0_14default_configENS1_38merge_sort_block_merge_config_selectorIiiEEZZNS1_27merge_sort_block_merge_implIS3_N6thrust23THRUST_200600_302600_NS6detail15normal_iteratorINS8_10device_ptrIiEEEESD_jNS1_19radix_merge_compareILb0ELb0EiNS0_19identity_decomposerEEEEE10hipError_tT0_T1_T2_jT3_P12ihipStream_tbPNSt15iterator_traitsISI_E10value_typeEPNSO_ISJ_E10value_typeEPSK_NS1_7vsmem_tEENKUlT_SI_SJ_SK_E_clIPiSD_S10_SD_EESH_SX_SI_SJ_SK_EUlSX_E0_NS1_11comp_targetILNS1_3genE4ELNS1_11target_archE910ELNS1_3gpuE8ELNS1_3repE0EEENS1_38merge_mergepath_config_static_selectorELNS0_4arch9wavefront6targetE1EEEvSJ_
; %bb.0:
	.section	.rodata,"a",@progbits
	.p2align	6, 0x0
	.amdhsa_kernel _ZN7rocprim17ROCPRIM_400000_NS6detail17trampoline_kernelINS0_14default_configENS1_38merge_sort_block_merge_config_selectorIiiEEZZNS1_27merge_sort_block_merge_implIS3_N6thrust23THRUST_200600_302600_NS6detail15normal_iteratorINS8_10device_ptrIiEEEESD_jNS1_19radix_merge_compareILb0ELb0EiNS0_19identity_decomposerEEEEE10hipError_tT0_T1_T2_jT3_P12ihipStream_tbPNSt15iterator_traitsISI_E10value_typeEPNSO_ISJ_E10value_typeEPSK_NS1_7vsmem_tEENKUlT_SI_SJ_SK_E_clIPiSD_S10_SD_EESH_SX_SI_SJ_SK_EUlSX_E0_NS1_11comp_targetILNS1_3genE4ELNS1_11target_archE910ELNS1_3gpuE8ELNS1_3repE0EEENS1_38merge_mergepath_config_static_selectorELNS0_4arch9wavefront6targetE1EEEvSJ_
		.amdhsa_group_segment_fixed_size 0
		.amdhsa_private_segment_fixed_size 0
		.amdhsa_kernarg_size 64
		.amdhsa_user_sgpr_count 2
		.amdhsa_user_sgpr_dispatch_ptr 0
		.amdhsa_user_sgpr_queue_ptr 0
		.amdhsa_user_sgpr_kernarg_segment_ptr 1
		.amdhsa_user_sgpr_dispatch_id 0
		.amdhsa_user_sgpr_kernarg_preload_length 0
		.amdhsa_user_sgpr_kernarg_preload_offset 0
		.amdhsa_user_sgpr_private_segment_size 0
		.amdhsa_uses_dynamic_stack 0
		.amdhsa_enable_private_segment 0
		.amdhsa_system_sgpr_workgroup_id_x 1
		.amdhsa_system_sgpr_workgroup_id_y 0
		.amdhsa_system_sgpr_workgroup_id_z 0
		.amdhsa_system_sgpr_workgroup_info 0
		.amdhsa_system_vgpr_workitem_id 0
		.amdhsa_next_free_vgpr 1
		.amdhsa_next_free_sgpr 0
		.amdhsa_accum_offset 4
		.amdhsa_reserve_vcc 0
		.amdhsa_float_round_mode_32 0
		.amdhsa_float_round_mode_16_64 0
		.amdhsa_float_denorm_mode_32 3
		.amdhsa_float_denorm_mode_16_64 3
		.amdhsa_dx10_clamp 1
		.amdhsa_ieee_mode 1
		.amdhsa_fp16_overflow 0
		.amdhsa_tg_split 0
		.amdhsa_exception_fp_ieee_invalid_op 0
		.amdhsa_exception_fp_denorm_src 0
		.amdhsa_exception_fp_ieee_div_zero 0
		.amdhsa_exception_fp_ieee_overflow 0
		.amdhsa_exception_fp_ieee_underflow 0
		.amdhsa_exception_fp_ieee_inexact 0
		.amdhsa_exception_int_div_zero 0
	.end_amdhsa_kernel
	.section	.text._ZN7rocprim17ROCPRIM_400000_NS6detail17trampoline_kernelINS0_14default_configENS1_38merge_sort_block_merge_config_selectorIiiEEZZNS1_27merge_sort_block_merge_implIS3_N6thrust23THRUST_200600_302600_NS6detail15normal_iteratorINS8_10device_ptrIiEEEESD_jNS1_19radix_merge_compareILb0ELb0EiNS0_19identity_decomposerEEEEE10hipError_tT0_T1_T2_jT3_P12ihipStream_tbPNSt15iterator_traitsISI_E10value_typeEPNSO_ISJ_E10value_typeEPSK_NS1_7vsmem_tEENKUlT_SI_SJ_SK_E_clIPiSD_S10_SD_EESH_SX_SI_SJ_SK_EUlSX_E0_NS1_11comp_targetILNS1_3genE4ELNS1_11target_archE910ELNS1_3gpuE8ELNS1_3repE0EEENS1_38merge_mergepath_config_static_selectorELNS0_4arch9wavefront6targetE1EEEvSJ_,"axG",@progbits,_ZN7rocprim17ROCPRIM_400000_NS6detail17trampoline_kernelINS0_14default_configENS1_38merge_sort_block_merge_config_selectorIiiEEZZNS1_27merge_sort_block_merge_implIS3_N6thrust23THRUST_200600_302600_NS6detail15normal_iteratorINS8_10device_ptrIiEEEESD_jNS1_19radix_merge_compareILb0ELb0EiNS0_19identity_decomposerEEEEE10hipError_tT0_T1_T2_jT3_P12ihipStream_tbPNSt15iterator_traitsISI_E10value_typeEPNSO_ISJ_E10value_typeEPSK_NS1_7vsmem_tEENKUlT_SI_SJ_SK_E_clIPiSD_S10_SD_EESH_SX_SI_SJ_SK_EUlSX_E0_NS1_11comp_targetILNS1_3genE4ELNS1_11target_archE910ELNS1_3gpuE8ELNS1_3repE0EEENS1_38merge_mergepath_config_static_selectorELNS0_4arch9wavefront6targetE1EEEvSJ_,comdat
.Lfunc_end1298:
	.size	_ZN7rocprim17ROCPRIM_400000_NS6detail17trampoline_kernelINS0_14default_configENS1_38merge_sort_block_merge_config_selectorIiiEEZZNS1_27merge_sort_block_merge_implIS3_N6thrust23THRUST_200600_302600_NS6detail15normal_iteratorINS8_10device_ptrIiEEEESD_jNS1_19radix_merge_compareILb0ELb0EiNS0_19identity_decomposerEEEEE10hipError_tT0_T1_T2_jT3_P12ihipStream_tbPNSt15iterator_traitsISI_E10value_typeEPNSO_ISJ_E10value_typeEPSK_NS1_7vsmem_tEENKUlT_SI_SJ_SK_E_clIPiSD_S10_SD_EESH_SX_SI_SJ_SK_EUlSX_E0_NS1_11comp_targetILNS1_3genE4ELNS1_11target_archE910ELNS1_3gpuE8ELNS1_3repE0EEENS1_38merge_mergepath_config_static_selectorELNS0_4arch9wavefront6targetE1EEEvSJ_, .Lfunc_end1298-_ZN7rocprim17ROCPRIM_400000_NS6detail17trampoline_kernelINS0_14default_configENS1_38merge_sort_block_merge_config_selectorIiiEEZZNS1_27merge_sort_block_merge_implIS3_N6thrust23THRUST_200600_302600_NS6detail15normal_iteratorINS8_10device_ptrIiEEEESD_jNS1_19radix_merge_compareILb0ELb0EiNS0_19identity_decomposerEEEEE10hipError_tT0_T1_T2_jT3_P12ihipStream_tbPNSt15iterator_traitsISI_E10value_typeEPNSO_ISJ_E10value_typeEPSK_NS1_7vsmem_tEENKUlT_SI_SJ_SK_E_clIPiSD_S10_SD_EESH_SX_SI_SJ_SK_EUlSX_E0_NS1_11comp_targetILNS1_3genE4ELNS1_11target_archE910ELNS1_3gpuE8ELNS1_3repE0EEENS1_38merge_mergepath_config_static_selectorELNS0_4arch9wavefront6targetE1EEEvSJ_
                                        ; -- End function
	.set _ZN7rocprim17ROCPRIM_400000_NS6detail17trampoline_kernelINS0_14default_configENS1_38merge_sort_block_merge_config_selectorIiiEEZZNS1_27merge_sort_block_merge_implIS3_N6thrust23THRUST_200600_302600_NS6detail15normal_iteratorINS8_10device_ptrIiEEEESD_jNS1_19radix_merge_compareILb0ELb0EiNS0_19identity_decomposerEEEEE10hipError_tT0_T1_T2_jT3_P12ihipStream_tbPNSt15iterator_traitsISI_E10value_typeEPNSO_ISJ_E10value_typeEPSK_NS1_7vsmem_tEENKUlT_SI_SJ_SK_E_clIPiSD_S10_SD_EESH_SX_SI_SJ_SK_EUlSX_E0_NS1_11comp_targetILNS1_3genE4ELNS1_11target_archE910ELNS1_3gpuE8ELNS1_3repE0EEENS1_38merge_mergepath_config_static_selectorELNS0_4arch9wavefront6targetE1EEEvSJ_.num_vgpr, 0
	.set _ZN7rocprim17ROCPRIM_400000_NS6detail17trampoline_kernelINS0_14default_configENS1_38merge_sort_block_merge_config_selectorIiiEEZZNS1_27merge_sort_block_merge_implIS3_N6thrust23THRUST_200600_302600_NS6detail15normal_iteratorINS8_10device_ptrIiEEEESD_jNS1_19radix_merge_compareILb0ELb0EiNS0_19identity_decomposerEEEEE10hipError_tT0_T1_T2_jT3_P12ihipStream_tbPNSt15iterator_traitsISI_E10value_typeEPNSO_ISJ_E10value_typeEPSK_NS1_7vsmem_tEENKUlT_SI_SJ_SK_E_clIPiSD_S10_SD_EESH_SX_SI_SJ_SK_EUlSX_E0_NS1_11comp_targetILNS1_3genE4ELNS1_11target_archE910ELNS1_3gpuE8ELNS1_3repE0EEENS1_38merge_mergepath_config_static_selectorELNS0_4arch9wavefront6targetE1EEEvSJ_.num_agpr, 0
	.set _ZN7rocprim17ROCPRIM_400000_NS6detail17trampoline_kernelINS0_14default_configENS1_38merge_sort_block_merge_config_selectorIiiEEZZNS1_27merge_sort_block_merge_implIS3_N6thrust23THRUST_200600_302600_NS6detail15normal_iteratorINS8_10device_ptrIiEEEESD_jNS1_19radix_merge_compareILb0ELb0EiNS0_19identity_decomposerEEEEE10hipError_tT0_T1_T2_jT3_P12ihipStream_tbPNSt15iterator_traitsISI_E10value_typeEPNSO_ISJ_E10value_typeEPSK_NS1_7vsmem_tEENKUlT_SI_SJ_SK_E_clIPiSD_S10_SD_EESH_SX_SI_SJ_SK_EUlSX_E0_NS1_11comp_targetILNS1_3genE4ELNS1_11target_archE910ELNS1_3gpuE8ELNS1_3repE0EEENS1_38merge_mergepath_config_static_selectorELNS0_4arch9wavefront6targetE1EEEvSJ_.numbered_sgpr, 0
	.set _ZN7rocprim17ROCPRIM_400000_NS6detail17trampoline_kernelINS0_14default_configENS1_38merge_sort_block_merge_config_selectorIiiEEZZNS1_27merge_sort_block_merge_implIS3_N6thrust23THRUST_200600_302600_NS6detail15normal_iteratorINS8_10device_ptrIiEEEESD_jNS1_19radix_merge_compareILb0ELb0EiNS0_19identity_decomposerEEEEE10hipError_tT0_T1_T2_jT3_P12ihipStream_tbPNSt15iterator_traitsISI_E10value_typeEPNSO_ISJ_E10value_typeEPSK_NS1_7vsmem_tEENKUlT_SI_SJ_SK_E_clIPiSD_S10_SD_EESH_SX_SI_SJ_SK_EUlSX_E0_NS1_11comp_targetILNS1_3genE4ELNS1_11target_archE910ELNS1_3gpuE8ELNS1_3repE0EEENS1_38merge_mergepath_config_static_selectorELNS0_4arch9wavefront6targetE1EEEvSJ_.num_named_barrier, 0
	.set _ZN7rocprim17ROCPRIM_400000_NS6detail17trampoline_kernelINS0_14default_configENS1_38merge_sort_block_merge_config_selectorIiiEEZZNS1_27merge_sort_block_merge_implIS3_N6thrust23THRUST_200600_302600_NS6detail15normal_iteratorINS8_10device_ptrIiEEEESD_jNS1_19radix_merge_compareILb0ELb0EiNS0_19identity_decomposerEEEEE10hipError_tT0_T1_T2_jT3_P12ihipStream_tbPNSt15iterator_traitsISI_E10value_typeEPNSO_ISJ_E10value_typeEPSK_NS1_7vsmem_tEENKUlT_SI_SJ_SK_E_clIPiSD_S10_SD_EESH_SX_SI_SJ_SK_EUlSX_E0_NS1_11comp_targetILNS1_3genE4ELNS1_11target_archE910ELNS1_3gpuE8ELNS1_3repE0EEENS1_38merge_mergepath_config_static_selectorELNS0_4arch9wavefront6targetE1EEEvSJ_.private_seg_size, 0
	.set _ZN7rocprim17ROCPRIM_400000_NS6detail17trampoline_kernelINS0_14default_configENS1_38merge_sort_block_merge_config_selectorIiiEEZZNS1_27merge_sort_block_merge_implIS3_N6thrust23THRUST_200600_302600_NS6detail15normal_iteratorINS8_10device_ptrIiEEEESD_jNS1_19radix_merge_compareILb0ELb0EiNS0_19identity_decomposerEEEEE10hipError_tT0_T1_T2_jT3_P12ihipStream_tbPNSt15iterator_traitsISI_E10value_typeEPNSO_ISJ_E10value_typeEPSK_NS1_7vsmem_tEENKUlT_SI_SJ_SK_E_clIPiSD_S10_SD_EESH_SX_SI_SJ_SK_EUlSX_E0_NS1_11comp_targetILNS1_3genE4ELNS1_11target_archE910ELNS1_3gpuE8ELNS1_3repE0EEENS1_38merge_mergepath_config_static_selectorELNS0_4arch9wavefront6targetE1EEEvSJ_.uses_vcc, 0
	.set _ZN7rocprim17ROCPRIM_400000_NS6detail17trampoline_kernelINS0_14default_configENS1_38merge_sort_block_merge_config_selectorIiiEEZZNS1_27merge_sort_block_merge_implIS3_N6thrust23THRUST_200600_302600_NS6detail15normal_iteratorINS8_10device_ptrIiEEEESD_jNS1_19radix_merge_compareILb0ELb0EiNS0_19identity_decomposerEEEEE10hipError_tT0_T1_T2_jT3_P12ihipStream_tbPNSt15iterator_traitsISI_E10value_typeEPNSO_ISJ_E10value_typeEPSK_NS1_7vsmem_tEENKUlT_SI_SJ_SK_E_clIPiSD_S10_SD_EESH_SX_SI_SJ_SK_EUlSX_E0_NS1_11comp_targetILNS1_3genE4ELNS1_11target_archE910ELNS1_3gpuE8ELNS1_3repE0EEENS1_38merge_mergepath_config_static_selectorELNS0_4arch9wavefront6targetE1EEEvSJ_.uses_flat_scratch, 0
	.set _ZN7rocprim17ROCPRIM_400000_NS6detail17trampoline_kernelINS0_14default_configENS1_38merge_sort_block_merge_config_selectorIiiEEZZNS1_27merge_sort_block_merge_implIS3_N6thrust23THRUST_200600_302600_NS6detail15normal_iteratorINS8_10device_ptrIiEEEESD_jNS1_19radix_merge_compareILb0ELb0EiNS0_19identity_decomposerEEEEE10hipError_tT0_T1_T2_jT3_P12ihipStream_tbPNSt15iterator_traitsISI_E10value_typeEPNSO_ISJ_E10value_typeEPSK_NS1_7vsmem_tEENKUlT_SI_SJ_SK_E_clIPiSD_S10_SD_EESH_SX_SI_SJ_SK_EUlSX_E0_NS1_11comp_targetILNS1_3genE4ELNS1_11target_archE910ELNS1_3gpuE8ELNS1_3repE0EEENS1_38merge_mergepath_config_static_selectorELNS0_4arch9wavefront6targetE1EEEvSJ_.has_dyn_sized_stack, 0
	.set _ZN7rocprim17ROCPRIM_400000_NS6detail17trampoline_kernelINS0_14default_configENS1_38merge_sort_block_merge_config_selectorIiiEEZZNS1_27merge_sort_block_merge_implIS3_N6thrust23THRUST_200600_302600_NS6detail15normal_iteratorINS8_10device_ptrIiEEEESD_jNS1_19radix_merge_compareILb0ELb0EiNS0_19identity_decomposerEEEEE10hipError_tT0_T1_T2_jT3_P12ihipStream_tbPNSt15iterator_traitsISI_E10value_typeEPNSO_ISJ_E10value_typeEPSK_NS1_7vsmem_tEENKUlT_SI_SJ_SK_E_clIPiSD_S10_SD_EESH_SX_SI_SJ_SK_EUlSX_E0_NS1_11comp_targetILNS1_3genE4ELNS1_11target_archE910ELNS1_3gpuE8ELNS1_3repE0EEENS1_38merge_mergepath_config_static_selectorELNS0_4arch9wavefront6targetE1EEEvSJ_.has_recursion, 0
	.set _ZN7rocprim17ROCPRIM_400000_NS6detail17trampoline_kernelINS0_14default_configENS1_38merge_sort_block_merge_config_selectorIiiEEZZNS1_27merge_sort_block_merge_implIS3_N6thrust23THRUST_200600_302600_NS6detail15normal_iteratorINS8_10device_ptrIiEEEESD_jNS1_19radix_merge_compareILb0ELb0EiNS0_19identity_decomposerEEEEE10hipError_tT0_T1_T2_jT3_P12ihipStream_tbPNSt15iterator_traitsISI_E10value_typeEPNSO_ISJ_E10value_typeEPSK_NS1_7vsmem_tEENKUlT_SI_SJ_SK_E_clIPiSD_S10_SD_EESH_SX_SI_SJ_SK_EUlSX_E0_NS1_11comp_targetILNS1_3genE4ELNS1_11target_archE910ELNS1_3gpuE8ELNS1_3repE0EEENS1_38merge_mergepath_config_static_selectorELNS0_4arch9wavefront6targetE1EEEvSJ_.has_indirect_call, 0
	.section	.AMDGPU.csdata,"",@progbits
; Kernel info:
; codeLenInByte = 0
; TotalNumSgprs: 6
; NumVgprs: 0
; NumAgprs: 0
; TotalNumVgprs: 0
; ScratchSize: 0
; MemoryBound: 0
; FloatMode: 240
; IeeeMode: 1
; LDSByteSize: 0 bytes/workgroup (compile time only)
; SGPRBlocks: 0
; VGPRBlocks: 0
; NumSGPRsForWavesPerEU: 6
; NumVGPRsForWavesPerEU: 1
; AccumOffset: 4
; Occupancy: 8
; WaveLimiterHint : 0
; COMPUTE_PGM_RSRC2:SCRATCH_EN: 0
; COMPUTE_PGM_RSRC2:USER_SGPR: 2
; COMPUTE_PGM_RSRC2:TRAP_HANDLER: 0
; COMPUTE_PGM_RSRC2:TGID_X_EN: 1
; COMPUTE_PGM_RSRC2:TGID_Y_EN: 0
; COMPUTE_PGM_RSRC2:TGID_Z_EN: 0
; COMPUTE_PGM_RSRC2:TIDIG_COMP_CNT: 0
; COMPUTE_PGM_RSRC3_GFX90A:ACCUM_OFFSET: 0
; COMPUTE_PGM_RSRC3_GFX90A:TG_SPLIT: 0
	.section	.text._ZN7rocprim17ROCPRIM_400000_NS6detail17trampoline_kernelINS0_14default_configENS1_38merge_sort_block_merge_config_selectorIiiEEZZNS1_27merge_sort_block_merge_implIS3_N6thrust23THRUST_200600_302600_NS6detail15normal_iteratorINS8_10device_ptrIiEEEESD_jNS1_19radix_merge_compareILb0ELb0EiNS0_19identity_decomposerEEEEE10hipError_tT0_T1_T2_jT3_P12ihipStream_tbPNSt15iterator_traitsISI_E10value_typeEPNSO_ISJ_E10value_typeEPSK_NS1_7vsmem_tEENKUlT_SI_SJ_SK_E_clIPiSD_S10_SD_EESH_SX_SI_SJ_SK_EUlSX_E0_NS1_11comp_targetILNS1_3genE3ELNS1_11target_archE908ELNS1_3gpuE7ELNS1_3repE0EEENS1_38merge_mergepath_config_static_selectorELNS0_4arch9wavefront6targetE1EEEvSJ_,"axG",@progbits,_ZN7rocprim17ROCPRIM_400000_NS6detail17trampoline_kernelINS0_14default_configENS1_38merge_sort_block_merge_config_selectorIiiEEZZNS1_27merge_sort_block_merge_implIS3_N6thrust23THRUST_200600_302600_NS6detail15normal_iteratorINS8_10device_ptrIiEEEESD_jNS1_19radix_merge_compareILb0ELb0EiNS0_19identity_decomposerEEEEE10hipError_tT0_T1_T2_jT3_P12ihipStream_tbPNSt15iterator_traitsISI_E10value_typeEPNSO_ISJ_E10value_typeEPSK_NS1_7vsmem_tEENKUlT_SI_SJ_SK_E_clIPiSD_S10_SD_EESH_SX_SI_SJ_SK_EUlSX_E0_NS1_11comp_targetILNS1_3genE3ELNS1_11target_archE908ELNS1_3gpuE7ELNS1_3repE0EEENS1_38merge_mergepath_config_static_selectorELNS0_4arch9wavefront6targetE1EEEvSJ_,comdat
	.protected	_ZN7rocprim17ROCPRIM_400000_NS6detail17trampoline_kernelINS0_14default_configENS1_38merge_sort_block_merge_config_selectorIiiEEZZNS1_27merge_sort_block_merge_implIS3_N6thrust23THRUST_200600_302600_NS6detail15normal_iteratorINS8_10device_ptrIiEEEESD_jNS1_19radix_merge_compareILb0ELb0EiNS0_19identity_decomposerEEEEE10hipError_tT0_T1_T2_jT3_P12ihipStream_tbPNSt15iterator_traitsISI_E10value_typeEPNSO_ISJ_E10value_typeEPSK_NS1_7vsmem_tEENKUlT_SI_SJ_SK_E_clIPiSD_S10_SD_EESH_SX_SI_SJ_SK_EUlSX_E0_NS1_11comp_targetILNS1_3genE3ELNS1_11target_archE908ELNS1_3gpuE7ELNS1_3repE0EEENS1_38merge_mergepath_config_static_selectorELNS0_4arch9wavefront6targetE1EEEvSJ_ ; -- Begin function _ZN7rocprim17ROCPRIM_400000_NS6detail17trampoline_kernelINS0_14default_configENS1_38merge_sort_block_merge_config_selectorIiiEEZZNS1_27merge_sort_block_merge_implIS3_N6thrust23THRUST_200600_302600_NS6detail15normal_iteratorINS8_10device_ptrIiEEEESD_jNS1_19radix_merge_compareILb0ELb0EiNS0_19identity_decomposerEEEEE10hipError_tT0_T1_T2_jT3_P12ihipStream_tbPNSt15iterator_traitsISI_E10value_typeEPNSO_ISJ_E10value_typeEPSK_NS1_7vsmem_tEENKUlT_SI_SJ_SK_E_clIPiSD_S10_SD_EESH_SX_SI_SJ_SK_EUlSX_E0_NS1_11comp_targetILNS1_3genE3ELNS1_11target_archE908ELNS1_3gpuE7ELNS1_3repE0EEENS1_38merge_mergepath_config_static_selectorELNS0_4arch9wavefront6targetE1EEEvSJ_
	.globl	_ZN7rocprim17ROCPRIM_400000_NS6detail17trampoline_kernelINS0_14default_configENS1_38merge_sort_block_merge_config_selectorIiiEEZZNS1_27merge_sort_block_merge_implIS3_N6thrust23THRUST_200600_302600_NS6detail15normal_iteratorINS8_10device_ptrIiEEEESD_jNS1_19radix_merge_compareILb0ELb0EiNS0_19identity_decomposerEEEEE10hipError_tT0_T1_T2_jT3_P12ihipStream_tbPNSt15iterator_traitsISI_E10value_typeEPNSO_ISJ_E10value_typeEPSK_NS1_7vsmem_tEENKUlT_SI_SJ_SK_E_clIPiSD_S10_SD_EESH_SX_SI_SJ_SK_EUlSX_E0_NS1_11comp_targetILNS1_3genE3ELNS1_11target_archE908ELNS1_3gpuE7ELNS1_3repE0EEENS1_38merge_mergepath_config_static_selectorELNS0_4arch9wavefront6targetE1EEEvSJ_
	.p2align	8
	.type	_ZN7rocprim17ROCPRIM_400000_NS6detail17trampoline_kernelINS0_14default_configENS1_38merge_sort_block_merge_config_selectorIiiEEZZNS1_27merge_sort_block_merge_implIS3_N6thrust23THRUST_200600_302600_NS6detail15normal_iteratorINS8_10device_ptrIiEEEESD_jNS1_19radix_merge_compareILb0ELb0EiNS0_19identity_decomposerEEEEE10hipError_tT0_T1_T2_jT3_P12ihipStream_tbPNSt15iterator_traitsISI_E10value_typeEPNSO_ISJ_E10value_typeEPSK_NS1_7vsmem_tEENKUlT_SI_SJ_SK_E_clIPiSD_S10_SD_EESH_SX_SI_SJ_SK_EUlSX_E0_NS1_11comp_targetILNS1_3genE3ELNS1_11target_archE908ELNS1_3gpuE7ELNS1_3repE0EEENS1_38merge_mergepath_config_static_selectorELNS0_4arch9wavefront6targetE1EEEvSJ_,@function
_ZN7rocprim17ROCPRIM_400000_NS6detail17trampoline_kernelINS0_14default_configENS1_38merge_sort_block_merge_config_selectorIiiEEZZNS1_27merge_sort_block_merge_implIS3_N6thrust23THRUST_200600_302600_NS6detail15normal_iteratorINS8_10device_ptrIiEEEESD_jNS1_19radix_merge_compareILb0ELb0EiNS0_19identity_decomposerEEEEE10hipError_tT0_T1_T2_jT3_P12ihipStream_tbPNSt15iterator_traitsISI_E10value_typeEPNSO_ISJ_E10value_typeEPSK_NS1_7vsmem_tEENKUlT_SI_SJ_SK_E_clIPiSD_S10_SD_EESH_SX_SI_SJ_SK_EUlSX_E0_NS1_11comp_targetILNS1_3genE3ELNS1_11target_archE908ELNS1_3gpuE7ELNS1_3repE0EEENS1_38merge_mergepath_config_static_selectorELNS0_4arch9wavefront6targetE1EEEvSJ_: ; @_ZN7rocprim17ROCPRIM_400000_NS6detail17trampoline_kernelINS0_14default_configENS1_38merge_sort_block_merge_config_selectorIiiEEZZNS1_27merge_sort_block_merge_implIS3_N6thrust23THRUST_200600_302600_NS6detail15normal_iteratorINS8_10device_ptrIiEEEESD_jNS1_19radix_merge_compareILb0ELb0EiNS0_19identity_decomposerEEEEE10hipError_tT0_T1_T2_jT3_P12ihipStream_tbPNSt15iterator_traitsISI_E10value_typeEPNSO_ISJ_E10value_typeEPSK_NS1_7vsmem_tEENKUlT_SI_SJ_SK_E_clIPiSD_S10_SD_EESH_SX_SI_SJ_SK_EUlSX_E0_NS1_11comp_targetILNS1_3genE3ELNS1_11target_archE908ELNS1_3gpuE7ELNS1_3repE0EEENS1_38merge_mergepath_config_static_selectorELNS0_4arch9wavefront6targetE1EEEvSJ_
; %bb.0:
	.section	.rodata,"a",@progbits
	.p2align	6, 0x0
	.amdhsa_kernel _ZN7rocprim17ROCPRIM_400000_NS6detail17trampoline_kernelINS0_14default_configENS1_38merge_sort_block_merge_config_selectorIiiEEZZNS1_27merge_sort_block_merge_implIS3_N6thrust23THRUST_200600_302600_NS6detail15normal_iteratorINS8_10device_ptrIiEEEESD_jNS1_19radix_merge_compareILb0ELb0EiNS0_19identity_decomposerEEEEE10hipError_tT0_T1_T2_jT3_P12ihipStream_tbPNSt15iterator_traitsISI_E10value_typeEPNSO_ISJ_E10value_typeEPSK_NS1_7vsmem_tEENKUlT_SI_SJ_SK_E_clIPiSD_S10_SD_EESH_SX_SI_SJ_SK_EUlSX_E0_NS1_11comp_targetILNS1_3genE3ELNS1_11target_archE908ELNS1_3gpuE7ELNS1_3repE0EEENS1_38merge_mergepath_config_static_selectorELNS0_4arch9wavefront6targetE1EEEvSJ_
		.amdhsa_group_segment_fixed_size 0
		.amdhsa_private_segment_fixed_size 0
		.amdhsa_kernarg_size 64
		.amdhsa_user_sgpr_count 2
		.amdhsa_user_sgpr_dispatch_ptr 0
		.amdhsa_user_sgpr_queue_ptr 0
		.amdhsa_user_sgpr_kernarg_segment_ptr 1
		.amdhsa_user_sgpr_dispatch_id 0
		.amdhsa_user_sgpr_kernarg_preload_length 0
		.amdhsa_user_sgpr_kernarg_preload_offset 0
		.amdhsa_user_sgpr_private_segment_size 0
		.amdhsa_uses_dynamic_stack 0
		.amdhsa_enable_private_segment 0
		.amdhsa_system_sgpr_workgroup_id_x 1
		.amdhsa_system_sgpr_workgroup_id_y 0
		.amdhsa_system_sgpr_workgroup_id_z 0
		.amdhsa_system_sgpr_workgroup_info 0
		.amdhsa_system_vgpr_workitem_id 0
		.amdhsa_next_free_vgpr 1
		.amdhsa_next_free_sgpr 0
		.amdhsa_accum_offset 4
		.amdhsa_reserve_vcc 0
		.amdhsa_float_round_mode_32 0
		.amdhsa_float_round_mode_16_64 0
		.amdhsa_float_denorm_mode_32 3
		.amdhsa_float_denorm_mode_16_64 3
		.amdhsa_dx10_clamp 1
		.amdhsa_ieee_mode 1
		.amdhsa_fp16_overflow 0
		.amdhsa_tg_split 0
		.amdhsa_exception_fp_ieee_invalid_op 0
		.amdhsa_exception_fp_denorm_src 0
		.amdhsa_exception_fp_ieee_div_zero 0
		.amdhsa_exception_fp_ieee_overflow 0
		.amdhsa_exception_fp_ieee_underflow 0
		.amdhsa_exception_fp_ieee_inexact 0
		.amdhsa_exception_int_div_zero 0
	.end_amdhsa_kernel
	.section	.text._ZN7rocprim17ROCPRIM_400000_NS6detail17trampoline_kernelINS0_14default_configENS1_38merge_sort_block_merge_config_selectorIiiEEZZNS1_27merge_sort_block_merge_implIS3_N6thrust23THRUST_200600_302600_NS6detail15normal_iteratorINS8_10device_ptrIiEEEESD_jNS1_19radix_merge_compareILb0ELb0EiNS0_19identity_decomposerEEEEE10hipError_tT0_T1_T2_jT3_P12ihipStream_tbPNSt15iterator_traitsISI_E10value_typeEPNSO_ISJ_E10value_typeEPSK_NS1_7vsmem_tEENKUlT_SI_SJ_SK_E_clIPiSD_S10_SD_EESH_SX_SI_SJ_SK_EUlSX_E0_NS1_11comp_targetILNS1_3genE3ELNS1_11target_archE908ELNS1_3gpuE7ELNS1_3repE0EEENS1_38merge_mergepath_config_static_selectorELNS0_4arch9wavefront6targetE1EEEvSJ_,"axG",@progbits,_ZN7rocprim17ROCPRIM_400000_NS6detail17trampoline_kernelINS0_14default_configENS1_38merge_sort_block_merge_config_selectorIiiEEZZNS1_27merge_sort_block_merge_implIS3_N6thrust23THRUST_200600_302600_NS6detail15normal_iteratorINS8_10device_ptrIiEEEESD_jNS1_19radix_merge_compareILb0ELb0EiNS0_19identity_decomposerEEEEE10hipError_tT0_T1_T2_jT3_P12ihipStream_tbPNSt15iterator_traitsISI_E10value_typeEPNSO_ISJ_E10value_typeEPSK_NS1_7vsmem_tEENKUlT_SI_SJ_SK_E_clIPiSD_S10_SD_EESH_SX_SI_SJ_SK_EUlSX_E0_NS1_11comp_targetILNS1_3genE3ELNS1_11target_archE908ELNS1_3gpuE7ELNS1_3repE0EEENS1_38merge_mergepath_config_static_selectorELNS0_4arch9wavefront6targetE1EEEvSJ_,comdat
.Lfunc_end1299:
	.size	_ZN7rocprim17ROCPRIM_400000_NS6detail17trampoline_kernelINS0_14default_configENS1_38merge_sort_block_merge_config_selectorIiiEEZZNS1_27merge_sort_block_merge_implIS3_N6thrust23THRUST_200600_302600_NS6detail15normal_iteratorINS8_10device_ptrIiEEEESD_jNS1_19radix_merge_compareILb0ELb0EiNS0_19identity_decomposerEEEEE10hipError_tT0_T1_T2_jT3_P12ihipStream_tbPNSt15iterator_traitsISI_E10value_typeEPNSO_ISJ_E10value_typeEPSK_NS1_7vsmem_tEENKUlT_SI_SJ_SK_E_clIPiSD_S10_SD_EESH_SX_SI_SJ_SK_EUlSX_E0_NS1_11comp_targetILNS1_3genE3ELNS1_11target_archE908ELNS1_3gpuE7ELNS1_3repE0EEENS1_38merge_mergepath_config_static_selectorELNS0_4arch9wavefront6targetE1EEEvSJ_, .Lfunc_end1299-_ZN7rocprim17ROCPRIM_400000_NS6detail17trampoline_kernelINS0_14default_configENS1_38merge_sort_block_merge_config_selectorIiiEEZZNS1_27merge_sort_block_merge_implIS3_N6thrust23THRUST_200600_302600_NS6detail15normal_iteratorINS8_10device_ptrIiEEEESD_jNS1_19radix_merge_compareILb0ELb0EiNS0_19identity_decomposerEEEEE10hipError_tT0_T1_T2_jT3_P12ihipStream_tbPNSt15iterator_traitsISI_E10value_typeEPNSO_ISJ_E10value_typeEPSK_NS1_7vsmem_tEENKUlT_SI_SJ_SK_E_clIPiSD_S10_SD_EESH_SX_SI_SJ_SK_EUlSX_E0_NS1_11comp_targetILNS1_3genE3ELNS1_11target_archE908ELNS1_3gpuE7ELNS1_3repE0EEENS1_38merge_mergepath_config_static_selectorELNS0_4arch9wavefront6targetE1EEEvSJ_
                                        ; -- End function
	.set _ZN7rocprim17ROCPRIM_400000_NS6detail17trampoline_kernelINS0_14default_configENS1_38merge_sort_block_merge_config_selectorIiiEEZZNS1_27merge_sort_block_merge_implIS3_N6thrust23THRUST_200600_302600_NS6detail15normal_iteratorINS8_10device_ptrIiEEEESD_jNS1_19radix_merge_compareILb0ELb0EiNS0_19identity_decomposerEEEEE10hipError_tT0_T1_T2_jT3_P12ihipStream_tbPNSt15iterator_traitsISI_E10value_typeEPNSO_ISJ_E10value_typeEPSK_NS1_7vsmem_tEENKUlT_SI_SJ_SK_E_clIPiSD_S10_SD_EESH_SX_SI_SJ_SK_EUlSX_E0_NS1_11comp_targetILNS1_3genE3ELNS1_11target_archE908ELNS1_3gpuE7ELNS1_3repE0EEENS1_38merge_mergepath_config_static_selectorELNS0_4arch9wavefront6targetE1EEEvSJ_.num_vgpr, 0
	.set _ZN7rocprim17ROCPRIM_400000_NS6detail17trampoline_kernelINS0_14default_configENS1_38merge_sort_block_merge_config_selectorIiiEEZZNS1_27merge_sort_block_merge_implIS3_N6thrust23THRUST_200600_302600_NS6detail15normal_iteratorINS8_10device_ptrIiEEEESD_jNS1_19radix_merge_compareILb0ELb0EiNS0_19identity_decomposerEEEEE10hipError_tT0_T1_T2_jT3_P12ihipStream_tbPNSt15iterator_traitsISI_E10value_typeEPNSO_ISJ_E10value_typeEPSK_NS1_7vsmem_tEENKUlT_SI_SJ_SK_E_clIPiSD_S10_SD_EESH_SX_SI_SJ_SK_EUlSX_E0_NS1_11comp_targetILNS1_3genE3ELNS1_11target_archE908ELNS1_3gpuE7ELNS1_3repE0EEENS1_38merge_mergepath_config_static_selectorELNS0_4arch9wavefront6targetE1EEEvSJ_.num_agpr, 0
	.set _ZN7rocprim17ROCPRIM_400000_NS6detail17trampoline_kernelINS0_14default_configENS1_38merge_sort_block_merge_config_selectorIiiEEZZNS1_27merge_sort_block_merge_implIS3_N6thrust23THRUST_200600_302600_NS6detail15normal_iteratorINS8_10device_ptrIiEEEESD_jNS1_19radix_merge_compareILb0ELb0EiNS0_19identity_decomposerEEEEE10hipError_tT0_T1_T2_jT3_P12ihipStream_tbPNSt15iterator_traitsISI_E10value_typeEPNSO_ISJ_E10value_typeEPSK_NS1_7vsmem_tEENKUlT_SI_SJ_SK_E_clIPiSD_S10_SD_EESH_SX_SI_SJ_SK_EUlSX_E0_NS1_11comp_targetILNS1_3genE3ELNS1_11target_archE908ELNS1_3gpuE7ELNS1_3repE0EEENS1_38merge_mergepath_config_static_selectorELNS0_4arch9wavefront6targetE1EEEvSJ_.numbered_sgpr, 0
	.set _ZN7rocprim17ROCPRIM_400000_NS6detail17trampoline_kernelINS0_14default_configENS1_38merge_sort_block_merge_config_selectorIiiEEZZNS1_27merge_sort_block_merge_implIS3_N6thrust23THRUST_200600_302600_NS6detail15normal_iteratorINS8_10device_ptrIiEEEESD_jNS1_19radix_merge_compareILb0ELb0EiNS0_19identity_decomposerEEEEE10hipError_tT0_T1_T2_jT3_P12ihipStream_tbPNSt15iterator_traitsISI_E10value_typeEPNSO_ISJ_E10value_typeEPSK_NS1_7vsmem_tEENKUlT_SI_SJ_SK_E_clIPiSD_S10_SD_EESH_SX_SI_SJ_SK_EUlSX_E0_NS1_11comp_targetILNS1_3genE3ELNS1_11target_archE908ELNS1_3gpuE7ELNS1_3repE0EEENS1_38merge_mergepath_config_static_selectorELNS0_4arch9wavefront6targetE1EEEvSJ_.num_named_barrier, 0
	.set _ZN7rocprim17ROCPRIM_400000_NS6detail17trampoline_kernelINS0_14default_configENS1_38merge_sort_block_merge_config_selectorIiiEEZZNS1_27merge_sort_block_merge_implIS3_N6thrust23THRUST_200600_302600_NS6detail15normal_iteratorINS8_10device_ptrIiEEEESD_jNS1_19radix_merge_compareILb0ELb0EiNS0_19identity_decomposerEEEEE10hipError_tT0_T1_T2_jT3_P12ihipStream_tbPNSt15iterator_traitsISI_E10value_typeEPNSO_ISJ_E10value_typeEPSK_NS1_7vsmem_tEENKUlT_SI_SJ_SK_E_clIPiSD_S10_SD_EESH_SX_SI_SJ_SK_EUlSX_E0_NS1_11comp_targetILNS1_3genE3ELNS1_11target_archE908ELNS1_3gpuE7ELNS1_3repE0EEENS1_38merge_mergepath_config_static_selectorELNS0_4arch9wavefront6targetE1EEEvSJ_.private_seg_size, 0
	.set _ZN7rocprim17ROCPRIM_400000_NS6detail17trampoline_kernelINS0_14default_configENS1_38merge_sort_block_merge_config_selectorIiiEEZZNS1_27merge_sort_block_merge_implIS3_N6thrust23THRUST_200600_302600_NS6detail15normal_iteratorINS8_10device_ptrIiEEEESD_jNS1_19radix_merge_compareILb0ELb0EiNS0_19identity_decomposerEEEEE10hipError_tT0_T1_T2_jT3_P12ihipStream_tbPNSt15iterator_traitsISI_E10value_typeEPNSO_ISJ_E10value_typeEPSK_NS1_7vsmem_tEENKUlT_SI_SJ_SK_E_clIPiSD_S10_SD_EESH_SX_SI_SJ_SK_EUlSX_E0_NS1_11comp_targetILNS1_3genE3ELNS1_11target_archE908ELNS1_3gpuE7ELNS1_3repE0EEENS1_38merge_mergepath_config_static_selectorELNS0_4arch9wavefront6targetE1EEEvSJ_.uses_vcc, 0
	.set _ZN7rocprim17ROCPRIM_400000_NS6detail17trampoline_kernelINS0_14default_configENS1_38merge_sort_block_merge_config_selectorIiiEEZZNS1_27merge_sort_block_merge_implIS3_N6thrust23THRUST_200600_302600_NS6detail15normal_iteratorINS8_10device_ptrIiEEEESD_jNS1_19radix_merge_compareILb0ELb0EiNS0_19identity_decomposerEEEEE10hipError_tT0_T1_T2_jT3_P12ihipStream_tbPNSt15iterator_traitsISI_E10value_typeEPNSO_ISJ_E10value_typeEPSK_NS1_7vsmem_tEENKUlT_SI_SJ_SK_E_clIPiSD_S10_SD_EESH_SX_SI_SJ_SK_EUlSX_E0_NS1_11comp_targetILNS1_3genE3ELNS1_11target_archE908ELNS1_3gpuE7ELNS1_3repE0EEENS1_38merge_mergepath_config_static_selectorELNS0_4arch9wavefront6targetE1EEEvSJ_.uses_flat_scratch, 0
	.set _ZN7rocprim17ROCPRIM_400000_NS6detail17trampoline_kernelINS0_14default_configENS1_38merge_sort_block_merge_config_selectorIiiEEZZNS1_27merge_sort_block_merge_implIS3_N6thrust23THRUST_200600_302600_NS6detail15normal_iteratorINS8_10device_ptrIiEEEESD_jNS1_19radix_merge_compareILb0ELb0EiNS0_19identity_decomposerEEEEE10hipError_tT0_T1_T2_jT3_P12ihipStream_tbPNSt15iterator_traitsISI_E10value_typeEPNSO_ISJ_E10value_typeEPSK_NS1_7vsmem_tEENKUlT_SI_SJ_SK_E_clIPiSD_S10_SD_EESH_SX_SI_SJ_SK_EUlSX_E0_NS1_11comp_targetILNS1_3genE3ELNS1_11target_archE908ELNS1_3gpuE7ELNS1_3repE0EEENS1_38merge_mergepath_config_static_selectorELNS0_4arch9wavefront6targetE1EEEvSJ_.has_dyn_sized_stack, 0
	.set _ZN7rocprim17ROCPRIM_400000_NS6detail17trampoline_kernelINS0_14default_configENS1_38merge_sort_block_merge_config_selectorIiiEEZZNS1_27merge_sort_block_merge_implIS3_N6thrust23THRUST_200600_302600_NS6detail15normal_iteratorINS8_10device_ptrIiEEEESD_jNS1_19radix_merge_compareILb0ELb0EiNS0_19identity_decomposerEEEEE10hipError_tT0_T1_T2_jT3_P12ihipStream_tbPNSt15iterator_traitsISI_E10value_typeEPNSO_ISJ_E10value_typeEPSK_NS1_7vsmem_tEENKUlT_SI_SJ_SK_E_clIPiSD_S10_SD_EESH_SX_SI_SJ_SK_EUlSX_E0_NS1_11comp_targetILNS1_3genE3ELNS1_11target_archE908ELNS1_3gpuE7ELNS1_3repE0EEENS1_38merge_mergepath_config_static_selectorELNS0_4arch9wavefront6targetE1EEEvSJ_.has_recursion, 0
	.set _ZN7rocprim17ROCPRIM_400000_NS6detail17trampoline_kernelINS0_14default_configENS1_38merge_sort_block_merge_config_selectorIiiEEZZNS1_27merge_sort_block_merge_implIS3_N6thrust23THRUST_200600_302600_NS6detail15normal_iteratorINS8_10device_ptrIiEEEESD_jNS1_19radix_merge_compareILb0ELb0EiNS0_19identity_decomposerEEEEE10hipError_tT0_T1_T2_jT3_P12ihipStream_tbPNSt15iterator_traitsISI_E10value_typeEPNSO_ISJ_E10value_typeEPSK_NS1_7vsmem_tEENKUlT_SI_SJ_SK_E_clIPiSD_S10_SD_EESH_SX_SI_SJ_SK_EUlSX_E0_NS1_11comp_targetILNS1_3genE3ELNS1_11target_archE908ELNS1_3gpuE7ELNS1_3repE0EEENS1_38merge_mergepath_config_static_selectorELNS0_4arch9wavefront6targetE1EEEvSJ_.has_indirect_call, 0
	.section	.AMDGPU.csdata,"",@progbits
; Kernel info:
; codeLenInByte = 0
; TotalNumSgprs: 6
; NumVgprs: 0
; NumAgprs: 0
; TotalNumVgprs: 0
; ScratchSize: 0
; MemoryBound: 0
; FloatMode: 240
; IeeeMode: 1
; LDSByteSize: 0 bytes/workgroup (compile time only)
; SGPRBlocks: 0
; VGPRBlocks: 0
; NumSGPRsForWavesPerEU: 6
; NumVGPRsForWavesPerEU: 1
; AccumOffset: 4
; Occupancy: 8
; WaveLimiterHint : 0
; COMPUTE_PGM_RSRC2:SCRATCH_EN: 0
; COMPUTE_PGM_RSRC2:USER_SGPR: 2
; COMPUTE_PGM_RSRC2:TRAP_HANDLER: 0
; COMPUTE_PGM_RSRC2:TGID_X_EN: 1
; COMPUTE_PGM_RSRC2:TGID_Y_EN: 0
; COMPUTE_PGM_RSRC2:TGID_Z_EN: 0
; COMPUTE_PGM_RSRC2:TIDIG_COMP_CNT: 0
; COMPUTE_PGM_RSRC3_GFX90A:ACCUM_OFFSET: 0
; COMPUTE_PGM_RSRC3_GFX90A:TG_SPLIT: 0
	.section	.text._ZN7rocprim17ROCPRIM_400000_NS6detail17trampoline_kernelINS0_14default_configENS1_38merge_sort_block_merge_config_selectorIiiEEZZNS1_27merge_sort_block_merge_implIS3_N6thrust23THRUST_200600_302600_NS6detail15normal_iteratorINS8_10device_ptrIiEEEESD_jNS1_19radix_merge_compareILb0ELb0EiNS0_19identity_decomposerEEEEE10hipError_tT0_T1_T2_jT3_P12ihipStream_tbPNSt15iterator_traitsISI_E10value_typeEPNSO_ISJ_E10value_typeEPSK_NS1_7vsmem_tEENKUlT_SI_SJ_SK_E_clIPiSD_S10_SD_EESH_SX_SI_SJ_SK_EUlSX_E0_NS1_11comp_targetILNS1_3genE2ELNS1_11target_archE906ELNS1_3gpuE6ELNS1_3repE0EEENS1_38merge_mergepath_config_static_selectorELNS0_4arch9wavefront6targetE1EEEvSJ_,"axG",@progbits,_ZN7rocprim17ROCPRIM_400000_NS6detail17trampoline_kernelINS0_14default_configENS1_38merge_sort_block_merge_config_selectorIiiEEZZNS1_27merge_sort_block_merge_implIS3_N6thrust23THRUST_200600_302600_NS6detail15normal_iteratorINS8_10device_ptrIiEEEESD_jNS1_19radix_merge_compareILb0ELb0EiNS0_19identity_decomposerEEEEE10hipError_tT0_T1_T2_jT3_P12ihipStream_tbPNSt15iterator_traitsISI_E10value_typeEPNSO_ISJ_E10value_typeEPSK_NS1_7vsmem_tEENKUlT_SI_SJ_SK_E_clIPiSD_S10_SD_EESH_SX_SI_SJ_SK_EUlSX_E0_NS1_11comp_targetILNS1_3genE2ELNS1_11target_archE906ELNS1_3gpuE6ELNS1_3repE0EEENS1_38merge_mergepath_config_static_selectorELNS0_4arch9wavefront6targetE1EEEvSJ_,comdat
	.protected	_ZN7rocprim17ROCPRIM_400000_NS6detail17trampoline_kernelINS0_14default_configENS1_38merge_sort_block_merge_config_selectorIiiEEZZNS1_27merge_sort_block_merge_implIS3_N6thrust23THRUST_200600_302600_NS6detail15normal_iteratorINS8_10device_ptrIiEEEESD_jNS1_19radix_merge_compareILb0ELb0EiNS0_19identity_decomposerEEEEE10hipError_tT0_T1_T2_jT3_P12ihipStream_tbPNSt15iterator_traitsISI_E10value_typeEPNSO_ISJ_E10value_typeEPSK_NS1_7vsmem_tEENKUlT_SI_SJ_SK_E_clIPiSD_S10_SD_EESH_SX_SI_SJ_SK_EUlSX_E0_NS1_11comp_targetILNS1_3genE2ELNS1_11target_archE906ELNS1_3gpuE6ELNS1_3repE0EEENS1_38merge_mergepath_config_static_selectorELNS0_4arch9wavefront6targetE1EEEvSJ_ ; -- Begin function _ZN7rocprim17ROCPRIM_400000_NS6detail17trampoline_kernelINS0_14default_configENS1_38merge_sort_block_merge_config_selectorIiiEEZZNS1_27merge_sort_block_merge_implIS3_N6thrust23THRUST_200600_302600_NS6detail15normal_iteratorINS8_10device_ptrIiEEEESD_jNS1_19radix_merge_compareILb0ELb0EiNS0_19identity_decomposerEEEEE10hipError_tT0_T1_T2_jT3_P12ihipStream_tbPNSt15iterator_traitsISI_E10value_typeEPNSO_ISJ_E10value_typeEPSK_NS1_7vsmem_tEENKUlT_SI_SJ_SK_E_clIPiSD_S10_SD_EESH_SX_SI_SJ_SK_EUlSX_E0_NS1_11comp_targetILNS1_3genE2ELNS1_11target_archE906ELNS1_3gpuE6ELNS1_3repE0EEENS1_38merge_mergepath_config_static_selectorELNS0_4arch9wavefront6targetE1EEEvSJ_
	.globl	_ZN7rocprim17ROCPRIM_400000_NS6detail17trampoline_kernelINS0_14default_configENS1_38merge_sort_block_merge_config_selectorIiiEEZZNS1_27merge_sort_block_merge_implIS3_N6thrust23THRUST_200600_302600_NS6detail15normal_iteratorINS8_10device_ptrIiEEEESD_jNS1_19radix_merge_compareILb0ELb0EiNS0_19identity_decomposerEEEEE10hipError_tT0_T1_T2_jT3_P12ihipStream_tbPNSt15iterator_traitsISI_E10value_typeEPNSO_ISJ_E10value_typeEPSK_NS1_7vsmem_tEENKUlT_SI_SJ_SK_E_clIPiSD_S10_SD_EESH_SX_SI_SJ_SK_EUlSX_E0_NS1_11comp_targetILNS1_3genE2ELNS1_11target_archE906ELNS1_3gpuE6ELNS1_3repE0EEENS1_38merge_mergepath_config_static_selectorELNS0_4arch9wavefront6targetE1EEEvSJ_
	.p2align	8
	.type	_ZN7rocprim17ROCPRIM_400000_NS6detail17trampoline_kernelINS0_14default_configENS1_38merge_sort_block_merge_config_selectorIiiEEZZNS1_27merge_sort_block_merge_implIS3_N6thrust23THRUST_200600_302600_NS6detail15normal_iteratorINS8_10device_ptrIiEEEESD_jNS1_19radix_merge_compareILb0ELb0EiNS0_19identity_decomposerEEEEE10hipError_tT0_T1_T2_jT3_P12ihipStream_tbPNSt15iterator_traitsISI_E10value_typeEPNSO_ISJ_E10value_typeEPSK_NS1_7vsmem_tEENKUlT_SI_SJ_SK_E_clIPiSD_S10_SD_EESH_SX_SI_SJ_SK_EUlSX_E0_NS1_11comp_targetILNS1_3genE2ELNS1_11target_archE906ELNS1_3gpuE6ELNS1_3repE0EEENS1_38merge_mergepath_config_static_selectorELNS0_4arch9wavefront6targetE1EEEvSJ_,@function
_ZN7rocprim17ROCPRIM_400000_NS6detail17trampoline_kernelINS0_14default_configENS1_38merge_sort_block_merge_config_selectorIiiEEZZNS1_27merge_sort_block_merge_implIS3_N6thrust23THRUST_200600_302600_NS6detail15normal_iteratorINS8_10device_ptrIiEEEESD_jNS1_19radix_merge_compareILb0ELb0EiNS0_19identity_decomposerEEEEE10hipError_tT0_T1_T2_jT3_P12ihipStream_tbPNSt15iterator_traitsISI_E10value_typeEPNSO_ISJ_E10value_typeEPSK_NS1_7vsmem_tEENKUlT_SI_SJ_SK_E_clIPiSD_S10_SD_EESH_SX_SI_SJ_SK_EUlSX_E0_NS1_11comp_targetILNS1_3genE2ELNS1_11target_archE906ELNS1_3gpuE6ELNS1_3repE0EEENS1_38merge_mergepath_config_static_selectorELNS0_4arch9wavefront6targetE1EEEvSJ_: ; @_ZN7rocprim17ROCPRIM_400000_NS6detail17trampoline_kernelINS0_14default_configENS1_38merge_sort_block_merge_config_selectorIiiEEZZNS1_27merge_sort_block_merge_implIS3_N6thrust23THRUST_200600_302600_NS6detail15normal_iteratorINS8_10device_ptrIiEEEESD_jNS1_19radix_merge_compareILb0ELb0EiNS0_19identity_decomposerEEEEE10hipError_tT0_T1_T2_jT3_P12ihipStream_tbPNSt15iterator_traitsISI_E10value_typeEPNSO_ISJ_E10value_typeEPSK_NS1_7vsmem_tEENKUlT_SI_SJ_SK_E_clIPiSD_S10_SD_EESH_SX_SI_SJ_SK_EUlSX_E0_NS1_11comp_targetILNS1_3genE2ELNS1_11target_archE906ELNS1_3gpuE6ELNS1_3repE0EEENS1_38merge_mergepath_config_static_selectorELNS0_4arch9wavefront6targetE1EEEvSJ_
; %bb.0:
	.section	.rodata,"a",@progbits
	.p2align	6, 0x0
	.amdhsa_kernel _ZN7rocprim17ROCPRIM_400000_NS6detail17trampoline_kernelINS0_14default_configENS1_38merge_sort_block_merge_config_selectorIiiEEZZNS1_27merge_sort_block_merge_implIS3_N6thrust23THRUST_200600_302600_NS6detail15normal_iteratorINS8_10device_ptrIiEEEESD_jNS1_19radix_merge_compareILb0ELb0EiNS0_19identity_decomposerEEEEE10hipError_tT0_T1_T2_jT3_P12ihipStream_tbPNSt15iterator_traitsISI_E10value_typeEPNSO_ISJ_E10value_typeEPSK_NS1_7vsmem_tEENKUlT_SI_SJ_SK_E_clIPiSD_S10_SD_EESH_SX_SI_SJ_SK_EUlSX_E0_NS1_11comp_targetILNS1_3genE2ELNS1_11target_archE906ELNS1_3gpuE6ELNS1_3repE0EEENS1_38merge_mergepath_config_static_selectorELNS0_4arch9wavefront6targetE1EEEvSJ_
		.amdhsa_group_segment_fixed_size 0
		.amdhsa_private_segment_fixed_size 0
		.amdhsa_kernarg_size 64
		.amdhsa_user_sgpr_count 2
		.amdhsa_user_sgpr_dispatch_ptr 0
		.amdhsa_user_sgpr_queue_ptr 0
		.amdhsa_user_sgpr_kernarg_segment_ptr 1
		.amdhsa_user_sgpr_dispatch_id 0
		.amdhsa_user_sgpr_kernarg_preload_length 0
		.amdhsa_user_sgpr_kernarg_preload_offset 0
		.amdhsa_user_sgpr_private_segment_size 0
		.amdhsa_uses_dynamic_stack 0
		.amdhsa_enable_private_segment 0
		.amdhsa_system_sgpr_workgroup_id_x 1
		.amdhsa_system_sgpr_workgroup_id_y 0
		.amdhsa_system_sgpr_workgroup_id_z 0
		.amdhsa_system_sgpr_workgroup_info 0
		.amdhsa_system_vgpr_workitem_id 0
		.amdhsa_next_free_vgpr 1
		.amdhsa_next_free_sgpr 0
		.amdhsa_accum_offset 4
		.amdhsa_reserve_vcc 0
		.amdhsa_float_round_mode_32 0
		.amdhsa_float_round_mode_16_64 0
		.amdhsa_float_denorm_mode_32 3
		.amdhsa_float_denorm_mode_16_64 3
		.amdhsa_dx10_clamp 1
		.amdhsa_ieee_mode 1
		.amdhsa_fp16_overflow 0
		.amdhsa_tg_split 0
		.amdhsa_exception_fp_ieee_invalid_op 0
		.amdhsa_exception_fp_denorm_src 0
		.amdhsa_exception_fp_ieee_div_zero 0
		.amdhsa_exception_fp_ieee_overflow 0
		.amdhsa_exception_fp_ieee_underflow 0
		.amdhsa_exception_fp_ieee_inexact 0
		.amdhsa_exception_int_div_zero 0
	.end_amdhsa_kernel
	.section	.text._ZN7rocprim17ROCPRIM_400000_NS6detail17trampoline_kernelINS0_14default_configENS1_38merge_sort_block_merge_config_selectorIiiEEZZNS1_27merge_sort_block_merge_implIS3_N6thrust23THRUST_200600_302600_NS6detail15normal_iteratorINS8_10device_ptrIiEEEESD_jNS1_19radix_merge_compareILb0ELb0EiNS0_19identity_decomposerEEEEE10hipError_tT0_T1_T2_jT3_P12ihipStream_tbPNSt15iterator_traitsISI_E10value_typeEPNSO_ISJ_E10value_typeEPSK_NS1_7vsmem_tEENKUlT_SI_SJ_SK_E_clIPiSD_S10_SD_EESH_SX_SI_SJ_SK_EUlSX_E0_NS1_11comp_targetILNS1_3genE2ELNS1_11target_archE906ELNS1_3gpuE6ELNS1_3repE0EEENS1_38merge_mergepath_config_static_selectorELNS0_4arch9wavefront6targetE1EEEvSJ_,"axG",@progbits,_ZN7rocprim17ROCPRIM_400000_NS6detail17trampoline_kernelINS0_14default_configENS1_38merge_sort_block_merge_config_selectorIiiEEZZNS1_27merge_sort_block_merge_implIS3_N6thrust23THRUST_200600_302600_NS6detail15normal_iteratorINS8_10device_ptrIiEEEESD_jNS1_19radix_merge_compareILb0ELb0EiNS0_19identity_decomposerEEEEE10hipError_tT0_T1_T2_jT3_P12ihipStream_tbPNSt15iterator_traitsISI_E10value_typeEPNSO_ISJ_E10value_typeEPSK_NS1_7vsmem_tEENKUlT_SI_SJ_SK_E_clIPiSD_S10_SD_EESH_SX_SI_SJ_SK_EUlSX_E0_NS1_11comp_targetILNS1_3genE2ELNS1_11target_archE906ELNS1_3gpuE6ELNS1_3repE0EEENS1_38merge_mergepath_config_static_selectorELNS0_4arch9wavefront6targetE1EEEvSJ_,comdat
.Lfunc_end1300:
	.size	_ZN7rocprim17ROCPRIM_400000_NS6detail17trampoline_kernelINS0_14default_configENS1_38merge_sort_block_merge_config_selectorIiiEEZZNS1_27merge_sort_block_merge_implIS3_N6thrust23THRUST_200600_302600_NS6detail15normal_iteratorINS8_10device_ptrIiEEEESD_jNS1_19radix_merge_compareILb0ELb0EiNS0_19identity_decomposerEEEEE10hipError_tT0_T1_T2_jT3_P12ihipStream_tbPNSt15iterator_traitsISI_E10value_typeEPNSO_ISJ_E10value_typeEPSK_NS1_7vsmem_tEENKUlT_SI_SJ_SK_E_clIPiSD_S10_SD_EESH_SX_SI_SJ_SK_EUlSX_E0_NS1_11comp_targetILNS1_3genE2ELNS1_11target_archE906ELNS1_3gpuE6ELNS1_3repE0EEENS1_38merge_mergepath_config_static_selectorELNS0_4arch9wavefront6targetE1EEEvSJ_, .Lfunc_end1300-_ZN7rocprim17ROCPRIM_400000_NS6detail17trampoline_kernelINS0_14default_configENS1_38merge_sort_block_merge_config_selectorIiiEEZZNS1_27merge_sort_block_merge_implIS3_N6thrust23THRUST_200600_302600_NS6detail15normal_iteratorINS8_10device_ptrIiEEEESD_jNS1_19radix_merge_compareILb0ELb0EiNS0_19identity_decomposerEEEEE10hipError_tT0_T1_T2_jT3_P12ihipStream_tbPNSt15iterator_traitsISI_E10value_typeEPNSO_ISJ_E10value_typeEPSK_NS1_7vsmem_tEENKUlT_SI_SJ_SK_E_clIPiSD_S10_SD_EESH_SX_SI_SJ_SK_EUlSX_E0_NS1_11comp_targetILNS1_3genE2ELNS1_11target_archE906ELNS1_3gpuE6ELNS1_3repE0EEENS1_38merge_mergepath_config_static_selectorELNS0_4arch9wavefront6targetE1EEEvSJ_
                                        ; -- End function
	.set _ZN7rocprim17ROCPRIM_400000_NS6detail17trampoline_kernelINS0_14default_configENS1_38merge_sort_block_merge_config_selectorIiiEEZZNS1_27merge_sort_block_merge_implIS3_N6thrust23THRUST_200600_302600_NS6detail15normal_iteratorINS8_10device_ptrIiEEEESD_jNS1_19radix_merge_compareILb0ELb0EiNS0_19identity_decomposerEEEEE10hipError_tT0_T1_T2_jT3_P12ihipStream_tbPNSt15iterator_traitsISI_E10value_typeEPNSO_ISJ_E10value_typeEPSK_NS1_7vsmem_tEENKUlT_SI_SJ_SK_E_clIPiSD_S10_SD_EESH_SX_SI_SJ_SK_EUlSX_E0_NS1_11comp_targetILNS1_3genE2ELNS1_11target_archE906ELNS1_3gpuE6ELNS1_3repE0EEENS1_38merge_mergepath_config_static_selectorELNS0_4arch9wavefront6targetE1EEEvSJ_.num_vgpr, 0
	.set _ZN7rocprim17ROCPRIM_400000_NS6detail17trampoline_kernelINS0_14default_configENS1_38merge_sort_block_merge_config_selectorIiiEEZZNS1_27merge_sort_block_merge_implIS3_N6thrust23THRUST_200600_302600_NS6detail15normal_iteratorINS8_10device_ptrIiEEEESD_jNS1_19radix_merge_compareILb0ELb0EiNS0_19identity_decomposerEEEEE10hipError_tT0_T1_T2_jT3_P12ihipStream_tbPNSt15iterator_traitsISI_E10value_typeEPNSO_ISJ_E10value_typeEPSK_NS1_7vsmem_tEENKUlT_SI_SJ_SK_E_clIPiSD_S10_SD_EESH_SX_SI_SJ_SK_EUlSX_E0_NS1_11comp_targetILNS1_3genE2ELNS1_11target_archE906ELNS1_3gpuE6ELNS1_3repE0EEENS1_38merge_mergepath_config_static_selectorELNS0_4arch9wavefront6targetE1EEEvSJ_.num_agpr, 0
	.set _ZN7rocprim17ROCPRIM_400000_NS6detail17trampoline_kernelINS0_14default_configENS1_38merge_sort_block_merge_config_selectorIiiEEZZNS1_27merge_sort_block_merge_implIS3_N6thrust23THRUST_200600_302600_NS6detail15normal_iteratorINS8_10device_ptrIiEEEESD_jNS1_19radix_merge_compareILb0ELb0EiNS0_19identity_decomposerEEEEE10hipError_tT0_T1_T2_jT3_P12ihipStream_tbPNSt15iterator_traitsISI_E10value_typeEPNSO_ISJ_E10value_typeEPSK_NS1_7vsmem_tEENKUlT_SI_SJ_SK_E_clIPiSD_S10_SD_EESH_SX_SI_SJ_SK_EUlSX_E0_NS1_11comp_targetILNS1_3genE2ELNS1_11target_archE906ELNS1_3gpuE6ELNS1_3repE0EEENS1_38merge_mergepath_config_static_selectorELNS0_4arch9wavefront6targetE1EEEvSJ_.numbered_sgpr, 0
	.set _ZN7rocprim17ROCPRIM_400000_NS6detail17trampoline_kernelINS0_14default_configENS1_38merge_sort_block_merge_config_selectorIiiEEZZNS1_27merge_sort_block_merge_implIS3_N6thrust23THRUST_200600_302600_NS6detail15normal_iteratorINS8_10device_ptrIiEEEESD_jNS1_19radix_merge_compareILb0ELb0EiNS0_19identity_decomposerEEEEE10hipError_tT0_T1_T2_jT3_P12ihipStream_tbPNSt15iterator_traitsISI_E10value_typeEPNSO_ISJ_E10value_typeEPSK_NS1_7vsmem_tEENKUlT_SI_SJ_SK_E_clIPiSD_S10_SD_EESH_SX_SI_SJ_SK_EUlSX_E0_NS1_11comp_targetILNS1_3genE2ELNS1_11target_archE906ELNS1_3gpuE6ELNS1_3repE0EEENS1_38merge_mergepath_config_static_selectorELNS0_4arch9wavefront6targetE1EEEvSJ_.num_named_barrier, 0
	.set _ZN7rocprim17ROCPRIM_400000_NS6detail17trampoline_kernelINS0_14default_configENS1_38merge_sort_block_merge_config_selectorIiiEEZZNS1_27merge_sort_block_merge_implIS3_N6thrust23THRUST_200600_302600_NS6detail15normal_iteratorINS8_10device_ptrIiEEEESD_jNS1_19radix_merge_compareILb0ELb0EiNS0_19identity_decomposerEEEEE10hipError_tT0_T1_T2_jT3_P12ihipStream_tbPNSt15iterator_traitsISI_E10value_typeEPNSO_ISJ_E10value_typeEPSK_NS1_7vsmem_tEENKUlT_SI_SJ_SK_E_clIPiSD_S10_SD_EESH_SX_SI_SJ_SK_EUlSX_E0_NS1_11comp_targetILNS1_3genE2ELNS1_11target_archE906ELNS1_3gpuE6ELNS1_3repE0EEENS1_38merge_mergepath_config_static_selectorELNS0_4arch9wavefront6targetE1EEEvSJ_.private_seg_size, 0
	.set _ZN7rocprim17ROCPRIM_400000_NS6detail17trampoline_kernelINS0_14default_configENS1_38merge_sort_block_merge_config_selectorIiiEEZZNS1_27merge_sort_block_merge_implIS3_N6thrust23THRUST_200600_302600_NS6detail15normal_iteratorINS8_10device_ptrIiEEEESD_jNS1_19radix_merge_compareILb0ELb0EiNS0_19identity_decomposerEEEEE10hipError_tT0_T1_T2_jT3_P12ihipStream_tbPNSt15iterator_traitsISI_E10value_typeEPNSO_ISJ_E10value_typeEPSK_NS1_7vsmem_tEENKUlT_SI_SJ_SK_E_clIPiSD_S10_SD_EESH_SX_SI_SJ_SK_EUlSX_E0_NS1_11comp_targetILNS1_3genE2ELNS1_11target_archE906ELNS1_3gpuE6ELNS1_3repE0EEENS1_38merge_mergepath_config_static_selectorELNS0_4arch9wavefront6targetE1EEEvSJ_.uses_vcc, 0
	.set _ZN7rocprim17ROCPRIM_400000_NS6detail17trampoline_kernelINS0_14default_configENS1_38merge_sort_block_merge_config_selectorIiiEEZZNS1_27merge_sort_block_merge_implIS3_N6thrust23THRUST_200600_302600_NS6detail15normal_iteratorINS8_10device_ptrIiEEEESD_jNS1_19radix_merge_compareILb0ELb0EiNS0_19identity_decomposerEEEEE10hipError_tT0_T1_T2_jT3_P12ihipStream_tbPNSt15iterator_traitsISI_E10value_typeEPNSO_ISJ_E10value_typeEPSK_NS1_7vsmem_tEENKUlT_SI_SJ_SK_E_clIPiSD_S10_SD_EESH_SX_SI_SJ_SK_EUlSX_E0_NS1_11comp_targetILNS1_3genE2ELNS1_11target_archE906ELNS1_3gpuE6ELNS1_3repE0EEENS1_38merge_mergepath_config_static_selectorELNS0_4arch9wavefront6targetE1EEEvSJ_.uses_flat_scratch, 0
	.set _ZN7rocprim17ROCPRIM_400000_NS6detail17trampoline_kernelINS0_14default_configENS1_38merge_sort_block_merge_config_selectorIiiEEZZNS1_27merge_sort_block_merge_implIS3_N6thrust23THRUST_200600_302600_NS6detail15normal_iteratorINS8_10device_ptrIiEEEESD_jNS1_19radix_merge_compareILb0ELb0EiNS0_19identity_decomposerEEEEE10hipError_tT0_T1_T2_jT3_P12ihipStream_tbPNSt15iterator_traitsISI_E10value_typeEPNSO_ISJ_E10value_typeEPSK_NS1_7vsmem_tEENKUlT_SI_SJ_SK_E_clIPiSD_S10_SD_EESH_SX_SI_SJ_SK_EUlSX_E0_NS1_11comp_targetILNS1_3genE2ELNS1_11target_archE906ELNS1_3gpuE6ELNS1_3repE0EEENS1_38merge_mergepath_config_static_selectorELNS0_4arch9wavefront6targetE1EEEvSJ_.has_dyn_sized_stack, 0
	.set _ZN7rocprim17ROCPRIM_400000_NS6detail17trampoline_kernelINS0_14default_configENS1_38merge_sort_block_merge_config_selectorIiiEEZZNS1_27merge_sort_block_merge_implIS3_N6thrust23THRUST_200600_302600_NS6detail15normal_iteratorINS8_10device_ptrIiEEEESD_jNS1_19radix_merge_compareILb0ELb0EiNS0_19identity_decomposerEEEEE10hipError_tT0_T1_T2_jT3_P12ihipStream_tbPNSt15iterator_traitsISI_E10value_typeEPNSO_ISJ_E10value_typeEPSK_NS1_7vsmem_tEENKUlT_SI_SJ_SK_E_clIPiSD_S10_SD_EESH_SX_SI_SJ_SK_EUlSX_E0_NS1_11comp_targetILNS1_3genE2ELNS1_11target_archE906ELNS1_3gpuE6ELNS1_3repE0EEENS1_38merge_mergepath_config_static_selectorELNS0_4arch9wavefront6targetE1EEEvSJ_.has_recursion, 0
	.set _ZN7rocprim17ROCPRIM_400000_NS6detail17trampoline_kernelINS0_14default_configENS1_38merge_sort_block_merge_config_selectorIiiEEZZNS1_27merge_sort_block_merge_implIS3_N6thrust23THRUST_200600_302600_NS6detail15normal_iteratorINS8_10device_ptrIiEEEESD_jNS1_19radix_merge_compareILb0ELb0EiNS0_19identity_decomposerEEEEE10hipError_tT0_T1_T2_jT3_P12ihipStream_tbPNSt15iterator_traitsISI_E10value_typeEPNSO_ISJ_E10value_typeEPSK_NS1_7vsmem_tEENKUlT_SI_SJ_SK_E_clIPiSD_S10_SD_EESH_SX_SI_SJ_SK_EUlSX_E0_NS1_11comp_targetILNS1_3genE2ELNS1_11target_archE906ELNS1_3gpuE6ELNS1_3repE0EEENS1_38merge_mergepath_config_static_selectorELNS0_4arch9wavefront6targetE1EEEvSJ_.has_indirect_call, 0
	.section	.AMDGPU.csdata,"",@progbits
; Kernel info:
; codeLenInByte = 0
; TotalNumSgprs: 6
; NumVgprs: 0
; NumAgprs: 0
; TotalNumVgprs: 0
; ScratchSize: 0
; MemoryBound: 0
; FloatMode: 240
; IeeeMode: 1
; LDSByteSize: 0 bytes/workgroup (compile time only)
; SGPRBlocks: 0
; VGPRBlocks: 0
; NumSGPRsForWavesPerEU: 6
; NumVGPRsForWavesPerEU: 1
; AccumOffset: 4
; Occupancy: 8
; WaveLimiterHint : 0
; COMPUTE_PGM_RSRC2:SCRATCH_EN: 0
; COMPUTE_PGM_RSRC2:USER_SGPR: 2
; COMPUTE_PGM_RSRC2:TRAP_HANDLER: 0
; COMPUTE_PGM_RSRC2:TGID_X_EN: 1
; COMPUTE_PGM_RSRC2:TGID_Y_EN: 0
; COMPUTE_PGM_RSRC2:TGID_Z_EN: 0
; COMPUTE_PGM_RSRC2:TIDIG_COMP_CNT: 0
; COMPUTE_PGM_RSRC3_GFX90A:ACCUM_OFFSET: 0
; COMPUTE_PGM_RSRC3_GFX90A:TG_SPLIT: 0
	.section	.text._ZN7rocprim17ROCPRIM_400000_NS6detail17trampoline_kernelINS0_14default_configENS1_38merge_sort_block_merge_config_selectorIiiEEZZNS1_27merge_sort_block_merge_implIS3_N6thrust23THRUST_200600_302600_NS6detail15normal_iteratorINS8_10device_ptrIiEEEESD_jNS1_19radix_merge_compareILb0ELb0EiNS0_19identity_decomposerEEEEE10hipError_tT0_T1_T2_jT3_P12ihipStream_tbPNSt15iterator_traitsISI_E10value_typeEPNSO_ISJ_E10value_typeEPSK_NS1_7vsmem_tEENKUlT_SI_SJ_SK_E_clIPiSD_S10_SD_EESH_SX_SI_SJ_SK_EUlSX_E0_NS1_11comp_targetILNS1_3genE9ELNS1_11target_archE1100ELNS1_3gpuE3ELNS1_3repE0EEENS1_38merge_mergepath_config_static_selectorELNS0_4arch9wavefront6targetE1EEEvSJ_,"axG",@progbits,_ZN7rocprim17ROCPRIM_400000_NS6detail17trampoline_kernelINS0_14default_configENS1_38merge_sort_block_merge_config_selectorIiiEEZZNS1_27merge_sort_block_merge_implIS3_N6thrust23THRUST_200600_302600_NS6detail15normal_iteratorINS8_10device_ptrIiEEEESD_jNS1_19radix_merge_compareILb0ELb0EiNS0_19identity_decomposerEEEEE10hipError_tT0_T1_T2_jT3_P12ihipStream_tbPNSt15iterator_traitsISI_E10value_typeEPNSO_ISJ_E10value_typeEPSK_NS1_7vsmem_tEENKUlT_SI_SJ_SK_E_clIPiSD_S10_SD_EESH_SX_SI_SJ_SK_EUlSX_E0_NS1_11comp_targetILNS1_3genE9ELNS1_11target_archE1100ELNS1_3gpuE3ELNS1_3repE0EEENS1_38merge_mergepath_config_static_selectorELNS0_4arch9wavefront6targetE1EEEvSJ_,comdat
	.protected	_ZN7rocprim17ROCPRIM_400000_NS6detail17trampoline_kernelINS0_14default_configENS1_38merge_sort_block_merge_config_selectorIiiEEZZNS1_27merge_sort_block_merge_implIS3_N6thrust23THRUST_200600_302600_NS6detail15normal_iteratorINS8_10device_ptrIiEEEESD_jNS1_19radix_merge_compareILb0ELb0EiNS0_19identity_decomposerEEEEE10hipError_tT0_T1_T2_jT3_P12ihipStream_tbPNSt15iterator_traitsISI_E10value_typeEPNSO_ISJ_E10value_typeEPSK_NS1_7vsmem_tEENKUlT_SI_SJ_SK_E_clIPiSD_S10_SD_EESH_SX_SI_SJ_SK_EUlSX_E0_NS1_11comp_targetILNS1_3genE9ELNS1_11target_archE1100ELNS1_3gpuE3ELNS1_3repE0EEENS1_38merge_mergepath_config_static_selectorELNS0_4arch9wavefront6targetE1EEEvSJ_ ; -- Begin function _ZN7rocprim17ROCPRIM_400000_NS6detail17trampoline_kernelINS0_14default_configENS1_38merge_sort_block_merge_config_selectorIiiEEZZNS1_27merge_sort_block_merge_implIS3_N6thrust23THRUST_200600_302600_NS6detail15normal_iteratorINS8_10device_ptrIiEEEESD_jNS1_19radix_merge_compareILb0ELb0EiNS0_19identity_decomposerEEEEE10hipError_tT0_T1_T2_jT3_P12ihipStream_tbPNSt15iterator_traitsISI_E10value_typeEPNSO_ISJ_E10value_typeEPSK_NS1_7vsmem_tEENKUlT_SI_SJ_SK_E_clIPiSD_S10_SD_EESH_SX_SI_SJ_SK_EUlSX_E0_NS1_11comp_targetILNS1_3genE9ELNS1_11target_archE1100ELNS1_3gpuE3ELNS1_3repE0EEENS1_38merge_mergepath_config_static_selectorELNS0_4arch9wavefront6targetE1EEEvSJ_
	.globl	_ZN7rocprim17ROCPRIM_400000_NS6detail17trampoline_kernelINS0_14default_configENS1_38merge_sort_block_merge_config_selectorIiiEEZZNS1_27merge_sort_block_merge_implIS3_N6thrust23THRUST_200600_302600_NS6detail15normal_iteratorINS8_10device_ptrIiEEEESD_jNS1_19radix_merge_compareILb0ELb0EiNS0_19identity_decomposerEEEEE10hipError_tT0_T1_T2_jT3_P12ihipStream_tbPNSt15iterator_traitsISI_E10value_typeEPNSO_ISJ_E10value_typeEPSK_NS1_7vsmem_tEENKUlT_SI_SJ_SK_E_clIPiSD_S10_SD_EESH_SX_SI_SJ_SK_EUlSX_E0_NS1_11comp_targetILNS1_3genE9ELNS1_11target_archE1100ELNS1_3gpuE3ELNS1_3repE0EEENS1_38merge_mergepath_config_static_selectorELNS0_4arch9wavefront6targetE1EEEvSJ_
	.p2align	8
	.type	_ZN7rocprim17ROCPRIM_400000_NS6detail17trampoline_kernelINS0_14default_configENS1_38merge_sort_block_merge_config_selectorIiiEEZZNS1_27merge_sort_block_merge_implIS3_N6thrust23THRUST_200600_302600_NS6detail15normal_iteratorINS8_10device_ptrIiEEEESD_jNS1_19radix_merge_compareILb0ELb0EiNS0_19identity_decomposerEEEEE10hipError_tT0_T1_T2_jT3_P12ihipStream_tbPNSt15iterator_traitsISI_E10value_typeEPNSO_ISJ_E10value_typeEPSK_NS1_7vsmem_tEENKUlT_SI_SJ_SK_E_clIPiSD_S10_SD_EESH_SX_SI_SJ_SK_EUlSX_E0_NS1_11comp_targetILNS1_3genE9ELNS1_11target_archE1100ELNS1_3gpuE3ELNS1_3repE0EEENS1_38merge_mergepath_config_static_selectorELNS0_4arch9wavefront6targetE1EEEvSJ_,@function
_ZN7rocprim17ROCPRIM_400000_NS6detail17trampoline_kernelINS0_14default_configENS1_38merge_sort_block_merge_config_selectorIiiEEZZNS1_27merge_sort_block_merge_implIS3_N6thrust23THRUST_200600_302600_NS6detail15normal_iteratorINS8_10device_ptrIiEEEESD_jNS1_19radix_merge_compareILb0ELb0EiNS0_19identity_decomposerEEEEE10hipError_tT0_T1_T2_jT3_P12ihipStream_tbPNSt15iterator_traitsISI_E10value_typeEPNSO_ISJ_E10value_typeEPSK_NS1_7vsmem_tEENKUlT_SI_SJ_SK_E_clIPiSD_S10_SD_EESH_SX_SI_SJ_SK_EUlSX_E0_NS1_11comp_targetILNS1_3genE9ELNS1_11target_archE1100ELNS1_3gpuE3ELNS1_3repE0EEENS1_38merge_mergepath_config_static_selectorELNS0_4arch9wavefront6targetE1EEEvSJ_: ; @_ZN7rocprim17ROCPRIM_400000_NS6detail17trampoline_kernelINS0_14default_configENS1_38merge_sort_block_merge_config_selectorIiiEEZZNS1_27merge_sort_block_merge_implIS3_N6thrust23THRUST_200600_302600_NS6detail15normal_iteratorINS8_10device_ptrIiEEEESD_jNS1_19radix_merge_compareILb0ELb0EiNS0_19identity_decomposerEEEEE10hipError_tT0_T1_T2_jT3_P12ihipStream_tbPNSt15iterator_traitsISI_E10value_typeEPNSO_ISJ_E10value_typeEPSK_NS1_7vsmem_tEENKUlT_SI_SJ_SK_E_clIPiSD_S10_SD_EESH_SX_SI_SJ_SK_EUlSX_E0_NS1_11comp_targetILNS1_3genE9ELNS1_11target_archE1100ELNS1_3gpuE3ELNS1_3repE0EEENS1_38merge_mergepath_config_static_selectorELNS0_4arch9wavefront6targetE1EEEvSJ_
; %bb.0:
	.section	.rodata,"a",@progbits
	.p2align	6, 0x0
	.amdhsa_kernel _ZN7rocprim17ROCPRIM_400000_NS6detail17trampoline_kernelINS0_14default_configENS1_38merge_sort_block_merge_config_selectorIiiEEZZNS1_27merge_sort_block_merge_implIS3_N6thrust23THRUST_200600_302600_NS6detail15normal_iteratorINS8_10device_ptrIiEEEESD_jNS1_19radix_merge_compareILb0ELb0EiNS0_19identity_decomposerEEEEE10hipError_tT0_T1_T2_jT3_P12ihipStream_tbPNSt15iterator_traitsISI_E10value_typeEPNSO_ISJ_E10value_typeEPSK_NS1_7vsmem_tEENKUlT_SI_SJ_SK_E_clIPiSD_S10_SD_EESH_SX_SI_SJ_SK_EUlSX_E0_NS1_11comp_targetILNS1_3genE9ELNS1_11target_archE1100ELNS1_3gpuE3ELNS1_3repE0EEENS1_38merge_mergepath_config_static_selectorELNS0_4arch9wavefront6targetE1EEEvSJ_
		.amdhsa_group_segment_fixed_size 0
		.amdhsa_private_segment_fixed_size 0
		.amdhsa_kernarg_size 64
		.amdhsa_user_sgpr_count 2
		.amdhsa_user_sgpr_dispatch_ptr 0
		.amdhsa_user_sgpr_queue_ptr 0
		.amdhsa_user_sgpr_kernarg_segment_ptr 1
		.amdhsa_user_sgpr_dispatch_id 0
		.amdhsa_user_sgpr_kernarg_preload_length 0
		.amdhsa_user_sgpr_kernarg_preload_offset 0
		.amdhsa_user_sgpr_private_segment_size 0
		.amdhsa_uses_dynamic_stack 0
		.amdhsa_enable_private_segment 0
		.amdhsa_system_sgpr_workgroup_id_x 1
		.amdhsa_system_sgpr_workgroup_id_y 0
		.amdhsa_system_sgpr_workgroup_id_z 0
		.amdhsa_system_sgpr_workgroup_info 0
		.amdhsa_system_vgpr_workitem_id 0
		.amdhsa_next_free_vgpr 1
		.amdhsa_next_free_sgpr 0
		.amdhsa_accum_offset 4
		.amdhsa_reserve_vcc 0
		.amdhsa_float_round_mode_32 0
		.amdhsa_float_round_mode_16_64 0
		.amdhsa_float_denorm_mode_32 3
		.amdhsa_float_denorm_mode_16_64 3
		.amdhsa_dx10_clamp 1
		.amdhsa_ieee_mode 1
		.amdhsa_fp16_overflow 0
		.amdhsa_tg_split 0
		.amdhsa_exception_fp_ieee_invalid_op 0
		.amdhsa_exception_fp_denorm_src 0
		.amdhsa_exception_fp_ieee_div_zero 0
		.amdhsa_exception_fp_ieee_overflow 0
		.amdhsa_exception_fp_ieee_underflow 0
		.amdhsa_exception_fp_ieee_inexact 0
		.amdhsa_exception_int_div_zero 0
	.end_amdhsa_kernel
	.section	.text._ZN7rocprim17ROCPRIM_400000_NS6detail17trampoline_kernelINS0_14default_configENS1_38merge_sort_block_merge_config_selectorIiiEEZZNS1_27merge_sort_block_merge_implIS3_N6thrust23THRUST_200600_302600_NS6detail15normal_iteratorINS8_10device_ptrIiEEEESD_jNS1_19radix_merge_compareILb0ELb0EiNS0_19identity_decomposerEEEEE10hipError_tT0_T1_T2_jT3_P12ihipStream_tbPNSt15iterator_traitsISI_E10value_typeEPNSO_ISJ_E10value_typeEPSK_NS1_7vsmem_tEENKUlT_SI_SJ_SK_E_clIPiSD_S10_SD_EESH_SX_SI_SJ_SK_EUlSX_E0_NS1_11comp_targetILNS1_3genE9ELNS1_11target_archE1100ELNS1_3gpuE3ELNS1_3repE0EEENS1_38merge_mergepath_config_static_selectorELNS0_4arch9wavefront6targetE1EEEvSJ_,"axG",@progbits,_ZN7rocprim17ROCPRIM_400000_NS6detail17trampoline_kernelINS0_14default_configENS1_38merge_sort_block_merge_config_selectorIiiEEZZNS1_27merge_sort_block_merge_implIS3_N6thrust23THRUST_200600_302600_NS6detail15normal_iteratorINS8_10device_ptrIiEEEESD_jNS1_19radix_merge_compareILb0ELb0EiNS0_19identity_decomposerEEEEE10hipError_tT0_T1_T2_jT3_P12ihipStream_tbPNSt15iterator_traitsISI_E10value_typeEPNSO_ISJ_E10value_typeEPSK_NS1_7vsmem_tEENKUlT_SI_SJ_SK_E_clIPiSD_S10_SD_EESH_SX_SI_SJ_SK_EUlSX_E0_NS1_11comp_targetILNS1_3genE9ELNS1_11target_archE1100ELNS1_3gpuE3ELNS1_3repE0EEENS1_38merge_mergepath_config_static_selectorELNS0_4arch9wavefront6targetE1EEEvSJ_,comdat
.Lfunc_end1301:
	.size	_ZN7rocprim17ROCPRIM_400000_NS6detail17trampoline_kernelINS0_14default_configENS1_38merge_sort_block_merge_config_selectorIiiEEZZNS1_27merge_sort_block_merge_implIS3_N6thrust23THRUST_200600_302600_NS6detail15normal_iteratorINS8_10device_ptrIiEEEESD_jNS1_19radix_merge_compareILb0ELb0EiNS0_19identity_decomposerEEEEE10hipError_tT0_T1_T2_jT3_P12ihipStream_tbPNSt15iterator_traitsISI_E10value_typeEPNSO_ISJ_E10value_typeEPSK_NS1_7vsmem_tEENKUlT_SI_SJ_SK_E_clIPiSD_S10_SD_EESH_SX_SI_SJ_SK_EUlSX_E0_NS1_11comp_targetILNS1_3genE9ELNS1_11target_archE1100ELNS1_3gpuE3ELNS1_3repE0EEENS1_38merge_mergepath_config_static_selectorELNS0_4arch9wavefront6targetE1EEEvSJ_, .Lfunc_end1301-_ZN7rocprim17ROCPRIM_400000_NS6detail17trampoline_kernelINS0_14default_configENS1_38merge_sort_block_merge_config_selectorIiiEEZZNS1_27merge_sort_block_merge_implIS3_N6thrust23THRUST_200600_302600_NS6detail15normal_iteratorINS8_10device_ptrIiEEEESD_jNS1_19radix_merge_compareILb0ELb0EiNS0_19identity_decomposerEEEEE10hipError_tT0_T1_T2_jT3_P12ihipStream_tbPNSt15iterator_traitsISI_E10value_typeEPNSO_ISJ_E10value_typeEPSK_NS1_7vsmem_tEENKUlT_SI_SJ_SK_E_clIPiSD_S10_SD_EESH_SX_SI_SJ_SK_EUlSX_E0_NS1_11comp_targetILNS1_3genE9ELNS1_11target_archE1100ELNS1_3gpuE3ELNS1_3repE0EEENS1_38merge_mergepath_config_static_selectorELNS0_4arch9wavefront6targetE1EEEvSJ_
                                        ; -- End function
	.set _ZN7rocprim17ROCPRIM_400000_NS6detail17trampoline_kernelINS0_14default_configENS1_38merge_sort_block_merge_config_selectorIiiEEZZNS1_27merge_sort_block_merge_implIS3_N6thrust23THRUST_200600_302600_NS6detail15normal_iteratorINS8_10device_ptrIiEEEESD_jNS1_19radix_merge_compareILb0ELb0EiNS0_19identity_decomposerEEEEE10hipError_tT0_T1_T2_jT3_P12ihipStream_tbPNSt15iterator_traitsISI_E10value_typeEPNSO_ISJ_E10value_typeEPSK_NS1_7vsmem_tEENKUlT_SI_SJ_SK_E_clIPiSD_S10_SD_EESH_SX_SI_SJ_SK_EUlSX_E0_NS1_11comp_targetILNS1_3genE9ELNS1_11target_archE1100ELNS1_3gpuE3ELNS1_3repE0EEENS1_38merge_mergepath_config_static_selectorELNS0_4arch9wavefront6targetE1EEEvSJ_.num_vgpr, 0
	.set _ZN7rocprim17ROCPRIM_400000_NS6detail17trampoline_kernelINS0_14default_configENS1_38merge_sort_block_merge_config_selectorIiiEEZZNS1_27merge_sort_block_merge_implIS3_N6thrust23THRUST_200600_302600_NS6detail15normal_iteratorINS8_10device_ptrIiEEEESD_jNS1_19radix_merge_compareILb0ELb0EiNS0_19identity_decomposerEEEEE10hipError_tT0_T1_T2_jT3_P12ihipStream_tbPNSt15iterator_traitsISI_E10value_typeEPNSO_ISJ_E10value_typeEPSK_NS1_7vsmem_tEENKUlT_SI_SJ_SK_E_clIPiSD_S10_SD_EESH_SX_SI_SJ_SK_EUlSX_E0_NS1_11comp_targetILNS1_3genE9ELNS1_11target_archE1100ELNS1_3gpuE3ELNS1_3repE0EEENS1_38merge_mergepath_config_static_selectorELNS0_4arch9wavefront6targetE1EEEvSJ_.num_agpr, 0
	.set _ZN7rocprim17ROCPRIM_400000_NS6detail17trampoline_kernelINS0_14default_configENS1_38merge_sort_block_merge_config_selectorIiiEEZZNS1_27merge_sort_block_merge_implIS3_N6thrust23THRUST_200600_302600_NS6detail15normal_iteratorINS8_10device_ptrIiEEEESD_jNS1_19radix_merge_compareILb0ELb0EiNS0_19identity_decomposerEEEEE10hipError_tT0_T1_T2_jT3_P12ihipStream_tbPNSt15iterator_traitsISI_E10value_typeEPNSO_ISJ_E10value_typeEPSK_NS1_7vsmem_tEENKUlT_SI_SJ_SK_E_clIPiSD_S10_SD_EESH_SX_SI_SJ_SK_EUlSX_E0_NS1_11comp_targetILNS1_3genE9ELNS1_11target_archE1100ELNS1_3gpuE3ELNS1_3repE0EEENS1_38merge_mergepath_config_static_selectorELNS0_4arch9wavefront6targetE1EEEvSJ_.numbered_sgpr, 0
	.set _ZN7rocprim17ROCPRIM_400000_NS6detail17trampoline_kernelINS0_14default_configENS1_38merge_sort_block_merge_config_selectorIiiEEZZNS1_27merge_sort_block_merge_implIS3_N6thrust23THRUST_200600_302600_NS6detail15normal_iteratorINS8_10device_ptrIiEEEESD_jNS1_19radix_merge_compareILb0ELb0EiNS0_19identity_decomposerEEEEE10hipError_tT0_T1_T2_jT3_P12ihipStream_tbPNSt15iterator_traitsISI_E10value_typeEPNSO_ISJ_E10value_typeEPSK_NS1_7vsmem_tEENKUlT_SI_SJ_SK_E_clIPiSD_S10_SD_EESH_SX_SI_SJ_SK_EUlSX_E0_NS1_11comp_targetILNS1_3genE9ELNS1_11target_archE1100ELNS1_3gpuE3ELNS1_3repE0EEENS1_38merge_mergepath_config_static_selectorELNS0_4arch9wavefront6targetE1EEEvSJ_.num_named_barrier, 0
	.set _ZN7rocprim17ROCPRIM_400000_NS6detail17trampoline_kernelINS0_14default_configENS1_38merge_sort_block_merge_config_selectorIiiEEZZNS1_27merge_sort_block_merge_implIS3_N6thrust23THRUST_200600_302600_NS6detail15normal_iteratorINS8_10device_ptrIiEEEESD_jNS1_19radix_merge_compareILb0ELb0EiNS0_19identity_decomposerEEEEE10hipError_tT0_T1_T2_jT3_P12ihipStream_tbPNSt15iterator_traitsISI_E10value_typeEPNSO_ISJ_E10value_typeEPSK_NS1_7vsmem_tEENKUlT_SI_SJ_SK_E_clIPiSD_S10_SD_EESH_SX_SI_SJ_SK_EUlSX_E0_NS1_11comp_targetILNS1_3genE9ELNS1_11target_archE1100ELNS1_3gpuE3ELNS1_3repE0EEENS1_38merge_mergepath_config_static_selectorELNS0_4arch9wavefront6targetE1EEEvSJ_.private_seg_size, 0
	.set _ZN7rocprim17ROCPRIM_400000_NS6detail17trampoline_kernelINS0_14default_configENS1_38merge_sort_block_merge_config_selectorIiiEEZZNS1_27merge_sort_block_merge_implIS3_N6thrust23THRUST_200600_302600_NS6detail15normal_iteratorINS8_10device_ptrIiEEEESD_jNS1_19radix_merge_compareILb0ELb0EiNS0_19identity_decomposerEEEEE10hipError_tT0_T1_T2_jT3_P12ihipStream_tbPNSt15iterator_traitsISI_E10value_typeEPNSO_ISJ_E10value_typeEPSK_NS1_7vsmem_tEENKUlT_SI_SJ_SK_E_clIPiSD_S10_SD_EESH_SX_SI_SJ_SK_EUlSX_E0_NS1_11comp_targetILNS1_3genE9ELNS1_11target_archE1100ELNS1_3gpuE3ELNS1_3repE0EEENS1_38merge_mergepath_config_static_selectorELNS0_4arch9wavefront6targetE1EEEvSJ_.uses_vcc, 0
	.set _ZN7rocprim17ROCPRIM_400000_NS6detail17trampoline_kernelINS0_14default_configENS1_38merge_sort_block_merge_config_selectorIiiEEZZNS1_27merge_sort_block_merge_implIS3_N6thrust23THRUST_200600_302600_NS6detail15normal_iteratorINS8_10device_ptrIiEEEESD_jNS1_19radix_merge_compareILb0ELb0EiNS0_19identity_decomposerEEEEE10hipError_tT0_T1_T2_jT3_P12ihipStream_tbPNSt15iterator_traitsISI_E10value_typeEPNSO_ISJ_E10value_typeEPSK_NS1_7vsmem_tEENKUlT_SI_SJ_SK_E_clIPiSD_S10_SD_EESH_SX_SI_SJ_SK_EUlSX_E0_NS1_11comp_targetILNS1_3genE9ELNS1_11target_archE1100ELNS1_3gpuE3ELNS1_3repE0EEENS1_38merge_mergepath_config_static_selectorELNS0_4arch9wavefront6targetE1EEEvSJ_.uses_flat_scratch, 0
	.set _ZN7rocprim17ROCPRIM_400000_NS6detail17trampoline_kernelINS0_14default_configENS1_38merge_sort_block_merge_config_selectorIiiEEZZNS1_27merge_sort_block_merge_implIS3_N6thrust23THRUST_200600_302600_NS6detail15normal_iteratorINS8_10device_ptrIiEEEESD_jNS1_19radix_merge_compareILb0ELb0EiNS0_19identity_decomposerEEEEE10hipError_tT0_T1_T2_jT3_P12ihipStream_tbPNSt15iterator_traitsISI_E10value_typeEPNSO_ISJ_E10value_typeEPSK_NS1_7vsmem_tEENKUlT_SI_SJ_SK_E_clIPiSD_S10_SD_EESH_SX_SI_SJ_SK_EUlSX_E0_NS1_11comp_targetILNS1_3genE9ELNS1_11target_archE1100ELNS1_3gpuE3ELNS1_3repE0EEENS1_38merge_mergepath_config_static_selectorELNS0_4arch9wavefront6targetE1EEEvSJ_.has_dyn_sized_stack, 0
	.set _ZN7rocprim17ROCPRIM_400000_NS6detail17trampoline_kernelINS0_14default_configENS1_38merge_sort_block_merge_config_selectorIiiEEZZNS1_27merge_sort_block_merge_implIS3_N6thrust23THRUST_200600_302600_NS6detail15normal_iteratorINS8_10device_ptrIiEEEESD_jNS1_19radix_merge_compareILb0ELb0EiNS0_19identity_decomposerEEEEE10hipError_tT0_T1_T2_jT3_P12ihipStream_tbPNSt15iterator_traitsISI_E10value_typeEPNSO_ISJ_E10value_typeEPSK_NS1_7vsmem_tEENKUlT_SI_SJ_SK_E_clIPiSD_S10_SD_EESH_SX_SI_SJ_SK_EUlSX_E0_NS1_11comp_targetILNS1_3genE9ELNS1_11target_archE1100ELNS1_3gpuE3ELNS1_3repE0EEENS1_38merge_mergepath_config_static_selectorELNS0_4arch9wavefront6targetE1EEEvSJ_.has_recursion, 0
	.set _ZN7rocprim17ROCPRIM_400000_NS6detail17trampoline_kernelINS0_14default_configENS1_38merge_sort_block_merge_config_selectorIiiEEZZNS1_27merge_sort_block_merge_implIS3_N6thrust23THRUST_200600_302600_NS6detail15normal_iteratorINS8_10device_ptrIiEEEESD_jNS1_19radix_merge_compareILb0ELb0EiNS0_19identity_decomposerEEEEE10hipError_tT0_T1_T2_jT3_P12ihipStream_tbPNSt15iterator_traitsISI_E10value_typeEPNSO_ISJ_E10value_typeEPSK_NS1_7vsmem_tEENKUlT_SI_SJ_SK_E_clIPiSD_S10_SD_EESH_SX_SI_SJ_SK_EUlSX_E0_NS1_11comp_targetILNS1_3genE9ELNS1_11target_archE1100ELNS1_3gpuE3ELNS1_3repE0EEENS1_38merge_mergepath_config_static_selectorELNS0_4arch9wavefront6targetE1EEEvSJ_.has_indirect_call, 0
	.section	.AMDGPU.csdata,"",@progbits
; Kernel info:
; codeLenInByte = 0
; TotalNumSgprs: 6
; NumVgprs: 0
; NumAgprs: 0
; TotalNumVgprs: 0
; ScratchSize: 0
; MemoryBound: 0
; FloatMode: 240
; IeeeMode: 1
; LDSByteSize: 0 bytes/workgroup (compile time only)
; SGPRBlocks: 0
; VGPRBlocks: 0
; NumSGPRsForWavesPerEU: 6
; NumVGPRsForWavesPerEU: 1
; AccumOffset: 4
; Occupancy: 8
; WaveLimiterHint : 0
; COMPUTE_PGM_RSRC2:SCRATCH_EN: 0
; COMPUTE_PGM_RSRC2:USER_SGPR: 2
; COMPUTE_PGM_RSRC2:TRAP_HANDLER: 0
; COMPUTE_PGM_RSRC2:TGID_X_EN: 1
; COMPUTE_PGM_RSRC2:TGID_Y_EN: 0
; COMPUTE_PGM_RSRC2:TGID_Z_EN: 0
; COMPUTE_PGM_RSRC2:TIDIG_COMP_CNT: 0
; COMPUTE_PGM_RSRC3_GFX90A:ACCUM_OFFSET: 0
; COMPUTE_PGM_RSRC3_GFX90A:TG_SPLIT: 0
	.section	.text._ZN7rocprim17ROCPRIM_400000_NS6detail17trampoline_kernelINS0_14default_configENS1_38merge_sort_block_merge_config_selectorIiiEEZZNS1_27merge_sort_block_merge_implIS3_N6thrust23THRUST_200600_302600_NS6detail15normal_iteratorINS8_10device_ptrIiEEEESD_jNS1_19radix_merge_compareILb0ELb0EiNS0_19identity_decomposerEEEEE10hipError_tT0_T1_T2_jT3_P12ihipStream_tbPNSt15iterator_traitsISI_E10value_typeEPNSO_ISJ_E10value_typeEPSK_NS1_7vsmem_tEENKUlT_SI_SJ_SK_E_clIPiSD_S10_SD_EESH_SX_SI_SJ_SK_EUlSX_E0_NS1_11comp_targetILNS1_3genE8ELNS1_11target_archE1030ELNS1_3gpuE2ELNS1_3repE0EEENS1_38merge_mergepath_config_static_selectorELNS0_4arch9wavefront6targetE1EEEvSJ_,"axG",@progbits,_ZN7rocprim17ROCPRIM_400000_NS6detail17trampoline_kernelINS0_14default_configENS1_38merge_sort_block_merge_config_selectorIiiEEZZNS1_27merge_sort_block_merge_implIS3_N6thrust23THRUST_200600_302600_NS6detail15normal_iteratorINS8_10device_ptrIiEEEESD_jNS1_19radix_merge_compareILb0ELb0EiNS0_19identity_decomposerEEEEE10hipError_tT0_T1_T2_jT3_P12ihipStream_tbPNSt15iterator_traitsISI_E10value_typeEPNSO_ISJ_E10value_typeEPSK_NS1_7vsmem_tEENKUlT_SI_SJ_SK_E_clIPiSD_S10_SD_EESH_SX_SI_SJ_SK_EUlSX_E0_NS1_11comp_targetILNS1_3genE8ELNS1_11target_archE1030ELNS1_3gpuE2ELNS1_3repE0EEENS1_38merge_mergepath_config_static_selectorELNS0_4arch9wavefront6targetE1EEEvSJ_,comdat
	.protected	_ZN7rocprim17ROCPRIM_400000_NS6detail17trampoline_kernelINS0_14default_configENS1_38merge_sort_block_merge_config_selectorIiiEEZZNS1_27merge_sort_block_merge_implIS3_N6thrust23THRUST_200600_302600_NS6detail15normal_iteratorINS8_10device_ptrIiEEEESD_jNS1_19radix_merge_compareILb0ELb0EiNS0_19identity_decomposerEEEEE10hipError_tT0_T1_T2_jT3_P12ihipStream_tbPNSt15iterator_traitsISI_E10value_typeEPNSO_ISJ_E10value_typeEPSK_NS1_7vsmem_tEENKUlT_SI_SJ_SK_E_clIPiSD_S10_SD_EESH_SX_SI_SJ_SK_EUlSX_E0_NS1_11comp_targetILNS1_3genE8ELNS1_11target_archE1030ELNS1_3gpuE2ELNS1_3repE0EEENS1_38merge_mergepath_config_static_selectorELNS0_4arch9wavefront6targetE1EEEvSJ_ ; -- Begin function _ZN7rocprim17ROCPRIM_400000_NS6detail17trampoline_kernelINS0_14default_configENS1_38merge_sort_block_merge_config_selectorIiiEEZZNS1_27merge_sort_block_merge_implIS3_N6thrust23THRUST_200600_302600_NS6detail15normal_iteratorINS8_10device_ptrIiEEEESD_jNS1_19radix_merge_compareILb0ELb0EiNS0_19identity_decomposerEEEEE10hipError_tT0_T1_T2_jT3_P12ihipStream_tbPNSt15iterator_traitsISI_E10value_typeEPNSO_ISJ_E10value_typeEPSK_NS1_7vsmem_tEENKUlT_SI_SJ_SK_E_clIPiSD_S10_SD_EESH_SX_SI_SJ_SK_EUlSX_E0_NS1_11comp_targetILNS1_3genE8ELNS1_11target_archE1030ELNS1_3gpuE2ELNS1_3repE0EEENS1_38merge_mergepath_config_static_selectorELNS0_4arch9wavefront6targetE1EEEvSJ_
	.globl	_ZN7rocprim17ROCPRIM_400000_NS6detail17trampoline_kernelINS0_14default_configENS1_38merge_sort_block_merge_config_selectorIiiEEZZNS1_27merge_sort_block_merge_implIS3_N6thrust23THRUST_200600_302600_NS6detail15normal_iteratorINS8_10device_ptrIiEEEESD_jNS1_19radix_merge_compareILb0ELb0EiNS0_19identity_decomposerEEEEE10hipError_tT0_T1_T2_jT3_P12ihipStream_tbPNSt15iterator_traitsISI_E10value_typeEPNSO_ISJ_E10value_typeEPSK_NS1_7vsmem_tEENKUlT_SI_SJ_SK_E_clIPiSD_S10_SD_EESH_SX_SI_SJ_SK_EUlSX_E0_NS1_11comp_targetILNS1_3genE8ELNS1_11target_archE1030ELNS1_3gpuE2ELNS1_3repE0EEENS1_38merge_mergepath_config_static_selectorELNS0_4arch9wavefront6targetE1EEEvSJ_
	.p2align	8
	.type	_ZN7rocprim17ROCPRIM_400000_NS6detail17trampoline_kernelINS0_14default_configENS1_38merge_sort_block_merge_config_selectorIiiEEZZNS1_27merge_sort_block_merge_implIS3_N6thrust23THRUST_200600_302600_NS6detail15normal_iteratorINS8_10device_ptrIiEEEESD_jNS1_19radix_merge_compareILb0ELb0EiNS0_19identity_decomposerEEEEE10hipError_tT0_T1_T2_jT3_P12ihipStream_tbPNSt15iterator_traitsISI_E10value_typeEPNSO_ISJ_E10value_typeEPSK_NS1_7vsmem_tEENKUlT_SI_SJ_SK_E_clIPiSD_S10_SD_EESH_SX_SI_SJ_SK_EUlSX_E0_NS1_11comp_targetILNS1_3genE8ELNS1_11target_archE1030ELNS1_3gpuE2ELNS1_3repE0EEENS1_38merge_mergepath_config_static_selectorELNS0_4arch9wavefront6targetE1EEEvSJ_,@function
_ZN7rocprim17ROCPRIM_400000_NS6detail17trampoline_kernelINS0_14default_configENS1_38merge_sort_block_merge_config_selectorIiiEEZZNS1_27merge_sort_block_merge_implIS3_N6thrust23THRUST_200600_302600_NS6detail15normal_iteratorINS8_10device_ptrIiEEEESD_jNS1_19radix_merge_compareILb0ELb0EiNS0_19identity_decomposerEEEEE10hipError_tT0_T1_T2_jT3_P12ihipStream_tbPNSt15iterator_traitsISI_E10value_typeEPNSO_ISJ_E10value_typeEPSK_NS1_7vsmem_tEENKUlT_SI_SJ_SK_E_clIPiSD_S10_SD_EESH_SX_SI_SJ_SK_EUlSX_E0_NS1_11comp_targetILNS1_3genE8ELNS1_11target_archE1030ELNS1_3gpuE2ELNS1_3repE0EEENS1_38merge_mergepath_config_static_selectorELNS0_4arch9wavefront6targetE1EEEvSJ_: ; @_ZN7rocprim17ROCPRIM_400000_NS6detail17trampoline_kernelINS0_14default_configENS1_38merge_sort_block_merge_config_selectorIiiEEZZNS1_27merge_sort_block_merge_implIS3_N6thrust23THRUST_200600_302600_NS6detail15normal_iteratorINS8_10device_ptrIiEEEESD_jNS1_19radix_merge_compareILb0ELb0EiNS0_19identity_decomposerEEEEE10hipError_tT0_T1_T2_jT3_P12ihipStream_tbPNSt15iterator_traitsISI_E10value_typeEPNSO_ISJ_E10value_typeEPSK_NS1_7vsmem_tEENKUlT_SI_SJ_SK_E_clIPiSD_S10_SD_EESH_SX_SI_SJ_SK_EUlSX_E0_NS1_11comp_targetILNS1_3genE8ELNS1_11target_archE1030ELNS1_3gpuE2ELNS1_3repE0EEENS1_38merge_mergepath_config_static_selectorELNS0_4arch9wavefront6targetE1EEEvSJ_
; %bb.0:
	.section	.rodata,"a",@progbits
	.p2align	6, 0x0
	.amdhsa_kernel _ZN7rocprim17ROCPRIM_400000_NS6detail17trampoline_kernelINS0_14default_configENS1_38merge_sort_block_merge_config_selectorIiiEEZZNS1_27merge_sort_block_merge_implIS3_N6thrust23THRUST_200600_302600_NS6detail15normal_iteratorINS8_10device_ptrIiEEEESD_jNS1_19radix_merge_compareILb0ELb0EiNS0_19identity_decomposerEEEEE10hipError_tT0_T1_T2_jT3_P12ihipStream_tbPNSt15iterator_traitsISI_E10value_typeEPNSO_ISJ_E10value_typeEPSK_NS1_7vsmem_tEENKUlT_SI_SJ_SK_E_clIPiSD_S10_SD_EESH_SX_SI_SJ_SK_EUlSX_E0_NS1_11comp_targetILNS1_3genE8ELNS1_11target_archE1030ELNS1_3gpuE2ELNS1_3repE0EEENS1_38merge_mergepath_config_static_selectorELNS0_4arch9wavefront6targetE1EEEvSJ_
		.amdhsa_group_segment_fixed_size 0
		.amdhsa_private_segment_fixed_size 0
		.amdhsa_kernarg_size 64
		.amdhsa_user_sgpr_count 2
		.amdhsa_user_sgpr_dispatch_ptr 0
		.amdhsa_user_sgpr_queue_ptr 0
		.amdhsa_user_sgpr_kernarg_segment_ptr 1
		.amdhsa_user_sgpr_dispatch_id 0
		.amdhsa_user_sgpr_kernarg_preload_length 0
		.amdhsa_user_sgpr_kernarg_preload_offset 0
		.amdhsa_user_sgpr_private_segment_size 0
		.amdhsa_uses_dynamic_stack 0
		.amdhsa_enable_private_segment 0
		.amdhsa_system_sgpr_workgroup_id_x 1
		.amdhsa_system_sgpr_workgroup_id_y 0
		.amdhsa_system_sgpr_workgroup_id_z 0
		.amdhsa_system_sgpr_workgroup_info 0
		.amdhsa_system_vgpr_workitem_id 0
		.amdhsa_next_free_vgpr 1
		.amdhsa_next_free_sgpr 0
		.amdhsa_accum_offset 4
		.amdhsa_reserve_vcc 0
		.amdhsa_float_round_mode_32 0
		.amdhsa_float_round_mode_16_64 0
		.amdhsa_float_denorm_mode_32 3
		.amdhsa_float_denorm_mode_16_64 3
		.amdhsa_dx10_clamp 1
		.amdhsa_ieee_mode 1
		.amdhsa_fp16_overflow 0
		.amdhsa_tg_split 0
		.amdhsa_exception_fp_ieee_invalid_op 0
		.amdhsa_exception_fp_denorm_src 0
		.amdhsa_exception_fp_ieee_div_zero 0
		.amdhsa_exception_fp_ieee_overflow 0
		.amdhsa_exception_fp_ieee_underflow 0
		.amdhsa_exception_fp_ieee_inexact 0
		.amdhsa_exception_int_div_zero 0
	.end_amdhsa_kernel
	.section	.text._ZN7rocprim17ROCPRIM_400000_NS6detail17trampoline_kernelINS0_14default_configENS1_38merge_sort_block_merge_config_selectorIiiEEZZNS1_27merge_sort_block_merge_implIS3_N6thrust23THRUST_200600_302600_NS6detail15normal_iteratorINS8_10device_ptrIiEEEESD_jNS1_19radix_merge_compareILb0ELb0EiNS0_19identity_decomposerEEEEE10hipError_tT0_T1_T2_jT3_P12ihipStream_tbPNSt15iterator_traitsISI_E10value_typeEPNSO_ISJ_E10value_typeEPSK_NS1_7vsmem_tEENKUlT_SI_SJ_SK_E_clIPiSD_S10_SD_EESH_SX_SI_SJ_SK_EUlSX_E0_NS1_11comp_targetILNS1_3genE8ELNS1_11target_archE1030ELNS1_3gpuE2ELNS1_3repE0EEENS1_38merge_mergepath_config_static_selectorELNS0_4arch9wavefront6targetE1EEEvSJ_,"axG",@progbits,_ZN7rocprim17ROCPRIM_400000_NS6detail17trampoline_kernelINS0_14default_configENS1_38merge_sort_block_merge_config_selectorIiiEEZZNS1_27merge_sort_block_merge_implIS3_N6thrust23THRUST_200600_302600_NS6detail15normal_iteratorINS8_10device_ptrIiEEEESD_jNS1_19radix_merge_compareILb0ELb0EiNS0_19identity_decomposerEEEEE10hipError_tT0_T1_T2_jT3_P12ihipStream_tbPNSt15iterator_traitsISI_E10value_typeEPNSO_ISJ_E10value_typeEPSK_NS1_7vsmem_tEENKUlT_SI_SJ_SK_E_clIPiSD_S10_SD_EESH_SX_SI_SJ_SK_EUlSX_E0_NS1_11comp_targetILNS1_3genE8ELNS1_11target_archE1030ELNS1_3gpuE2ELNS1_3repE0EEENS1_38merge_mergepath_config_static_selectorELNS0_4arch9wavefront6targetE1EEEvSJ_,comdat
.Lfunc_end1302:
	.size	_ZN7rocprim17ROCPRIM_400000_NS6detail17trampoline_kernelINS0_14default_configENS1_38merge_sort_block_merge_config_selectorIiiEEZZNS1_27merge_sort_block_merge_implIS3_N6thrust23THRUST_200600_302600_NS6detail15normal_iteratorINS8_10device_ptrIiEEEESD_jNS1_19radix_merge_compareILb0ELb0EiNS0_19identity_decomposerEEEEE10hipError_tT0_T1_T2_jT3_P12ihipStream_tbPNSt15iterator_traitsISI_E10value_typeEPNSO_ISJ_E10value_typeEPSK_NS1_7vsmem_tEENKUlT_SI_SJ_SK_E_clIPiSD_S10_SD_EESH_SX_SI_SJ_SK_EUlSX_E0_NS1_11comp_targetILNS1_3genE8ELNS1_11target_archE1030ELNS1_3gpuE2ELNS1_3repE0EEENS1_38merge_mergepath_config_static_selectorELNS0_4arch9wavefront6targetE1EEEvSJ_, .Lfunc_end1302-_ZN7rocprim17ROCPRIM_400000_NS6detail17trampoline_kernelINS0_14default_configENS1_38merge_sort_block_merge_config_selectorIiiEEZZNS1_27merge_sort_block_merge_implIS3_N6thrust23THRUST_200600_302600_NS6detail15normal_iteratorINS8_10device_ptrIiEEEESD_jNS1_19radix_merge_compareILb0ELb0EiNS0_19identity_decomposerEEEEE10hipError_tT0_T1_T2_jT3_P12ihipStream_tbPNSt15iterator_traitsISI_E10value_typeEPNSO_ISJ_E10value_typeEPSK_NS1_7vsmem_tEENKUlT_SI_SJ_SK_E_clIPiSD_S10_SD_EESH_SX_SI_SJ_SK_EUlSX_E0_NS1_11comp_targetILNS1_3genE8ELNS1_11target_archE1030ELNS1_3gpuE2ELNS1_3repE0EEENS1_38merge_mergepath_config_static_selectorELNS0_4arch9wavefront6targetE1EEEvSJ_
                                        ; -- End function
	.set _ZN7rocprim17ROCPRIM_400000_NS6detail17trampoline_kernelINS0_14default_configENS1_38merge_sort_block_merge_config_selectorIiiEEZZNS1_27merge_sort_block_merge_implIS3_N6thrust23THRUST_200600_302600_NS6detail15normal_iteratorINS8_10device_ptrIiEEEESD_jNS1_19radix_merge_compareILb0ELb0EiNS0_19identity_decomposerEEEEE10hipError_tT0_T1_T2_jT3_P12ihipStream_tbPNSt15iterator_traitsISI_E10value_typeEPNSO_ISJ_E10value_typeEPSK_NS1_7vsmem_tEENKUlT_SI_SJ_SK_E_clIPiSD_S10_SD_EESH_SX_SI_SJ_SK_EUlSX_E0_NS1_11comp_targetILNS1_3genE8ELNS1_11target_archE1030ELNS1_3gpuE2ELNS1_3repE0EEENS1_38merge_mergepath_config_static_selectorELNS0_4arch9wavefront6targetE1EEEvSJ_.num_vgpr, 0
	.set _ZN7rocprim17ROCPRIM_400000_NS6detail17trampoline_kernelINS0_14default_configENS1_38merge_sort_block_merge_config_selectorIiiEEZZNS1_27merge_sort_block_merge_implIS3_N6thrust23THRUST_200600_302600_NS6detail15normal_iteratorINS8_10device_ptrIiEEEESD_jNS1_19radix_merge_compareILb0ELb0EiNS0_19identity_decomposerEEEEE10hipError_tT0_T1_T2_jT3_P12ihipStream_tbPNSt15iterator_traitsISI_E10value_typeEPNSO_ISJ_E10value_typeEPSK_NS1_7vsmem_tEENKUlT_SI_SJ_SK_E_clIPiSD_S10_SD_EESH_SX_SI_SJ_SK_EUlSX_E0_NS1_11comp_targetILNS1_3genE8ELNS1_11target_archE1030ELNS1_3gpuE2ELNS1_3repE0EEENS1_38merge_mergepath_config_static_selectorELNS0_4arch9wavefront6targetE1EEEvSJ_.num_agpr, 0
	.set _ZN7rocprim17ROCPRIM_400000_NS6detail17trampoline_kernelINS0_14default_configENS1_38merge_sort_block_merge_config_selectorIiiEEZZNS1_27merge_sort_block_merge_implIS3_N6thrust23THRUST_200600_302600_NS6detail15normal_iteratorINS8_10device_ptrIiEEEESD_jNS1_19radix_merge_compareILb0ELb0EiNS0_19identity_decomposerEEEEE10hipError_tT0_T1_T2_jT3_P12ihipStream_tbPNSt15iterator_traitsISI_E10value_typeEPNSO_ISJ_E10value_typeEPSK_NS1_7vsmem_tEENKUlT_SI_SJ_SK_E_clIPiSD_S10_SD_EESH_SX_SI_SJ_SK_EUlSX_E0_NS1_11comp_targetILNS1_3genE8ELNS1_11target_archE1030ELNS1_3gpuE2ELNS1_3repE0EEENS1_38merge_mergepath_config_static_selectorELNS0_4arch9wavefront6targetE1EEEvSJ_.numbered_sgpr, 0
	.set _ZN7rocprim17ROCPRIM_400000_NS6detail17trampoline_kernelINS0_14default_configENS1_38merge_sort_block_merge_config_selectorIiiEEZZNS1_27merge_sort_block_merge_implIS3_N6thrust23THRUST_200600_302600_NS6detail15normal_iteratorINS8_10device_ptrIiEEEESD_jNS1_19radix_merge_compareILb0ELb0EiNS0_19identity_decomposerEEEEE10hipError_tT0_T1_T2_jT3_P12ihipStream_tbPNSt15iterator_traitsISI_E10value_typeEPNSO_ISJ_E10value_typeEPSK_NS1_7vsmem_tEENKUlT_SI_SJ_SK_E_clIPiSD_S10_SD_EESH_SX_SI_SJ_SK_EUlSX_E0_NS1_11comp_targetILNS1_3genE8ELNS1_11target_archE1030ELNS1_3gpuE2ELNS1_3repE0EEENS1_38merge_mergepath_config_static_selectorELNS0_4arch9wavefront6targetE1EEEvSJ_.num_named_barrier, 0
	.set _ZN7rocprim17ROCPRIM_400000_NS6detail17trampoline_kernelINS0_14default_configENS1_38merge_sort_block_merge_config_selectorIiiEEZZNS1_27merge_sort_block_merge_implIS3_N6thrust23THRUST_200600_302600_NS6detail15normal_iteratorINS8_10device_ptrIiEEEESD_jNS1_19radix_merge_compareILb0ELb0EiNS0_19identity_decomposerEEEEE10hipError_tT0_T1_T2_jT3_P12ihipStream_tbPNSt15iterator_traitsISI_E10value_typeEPNSO_ISJ_E10value_typeEPSK_NS1_7vsmem_tEENKUlT_SI_SJ_SK_E_clIPiSD_S10_SD_EESH_SX_SI_SJ_SK_EUlSX_E0_NS1_11comp_targetILNS1_3genE8ELNS1_11target_archE1030ELNS1_3gpuE2ELNS1_3repE0EEENS1_38merge_mergepath_config_static_selectorELNS0_4arch9wavefront6targetE1EEEvSJ_.private_seg_size, 0
	.set _ZN7rocprim17ROCPRIM_400000_NS6detail17trampoline_kernelINS0_14default_configENS1_38merge_sort_block_merge_config_selectorIiiEEZZNS1_27merge_sort_block_merge_implIS3_N6thrust23THRUST_200600_302600_NS6detail15normal_iteratorINS8_10device_ptrIiEEEESD_jNS1_19radix_merge_compareILb0ELb0EiNS0_19identity_decomposerEEEEE10hipError_tT0_T1_T2_jT3_P12ihipStream_tbPNSt15iterator_traitsISI_E10value_typeEPNSO_ISJ_E10value_typeEPSK_NS1_7vsmem_tEENKUlT_SI_SJ_SK_E_clIPiSD_S10_SD_EESH_SX_SI_SJ_SK_EUlSX_E0_NS1_11comp_targetILNS1_3genE8ELNS1_11target_archE1030ELNS1_3gpuE2ELNS1_3repE0EEENS1_38merge_mergepath_config_static_selectorELNS0_4arch9wavefront6targetE1EEEvSJ_.uses_vcc, 0
	.set _ZN7rocprim17ROCPRIM_400000_NS6detail17trampoline_kernelINS0_14default_configENS1_38merge_sort_block_merge_config_selectorIiiEEZZNS1_27merge_sort_block_merge_implIS3_N6thrust23THRUST_200600_302600_NS6detail15normal_iteratorINS8_10device_ptrIiEEEESD_jNS1_19radix_merge_compareILb0ELb0EiNS0_19identity_decomposerEEEEE10hipError_tT0_T1_T2_jT3_P12ihipStream_tbPNSt15iterator_traitsISI_E10value_typeEPNSO_ISJ_E10value_typeEPSK_NS1_7vsmem_tEENKUlT_SI_SJ_SK_E_clIPiSD_S10_SD_EESH_SX_SI_SJ_SK_EUlSX_E0_NS1_11comp_targetILNS1_3genE8ELNS1_11target_archE1030ELNS1_3gpuE2ELNS1_3repE0EEENS1_38merge_mergepath_config_static_selectorELNS0_4arch9wavefront6targetE1EEEvSJ_.uses_flat_scratch, 0
	.set _ZN7rocprim17ROCPRIM_400000_NS6detail17trampoline_kernelINS0_14default_configENS1_38merge_sort_block_merge_config_selectorIiiEEZZNS1_27merge_sort_block_merge_implIS3_N6thrust23THRUST_200600_302600_NS6detail15normal_iteratorINS8_10device_ptrIiEEEESD_jNS1_19radix_merge_compareILb0ELb0EiNS0_19identity_decomposerEEEEE10hipError_tT0_T1_T2_jT3_P12ihipStream_tbPNSt15iterator_traitsISI_E10value_typeEPNSO_ISJ_E10value_typeEPSK_NS1_7vsmem_tEENKUlT_SI_SJ_SK_E_clIPiSD_S10_SD_EESH_SX_SI_SJ_SK_EUlSX_E0_NS1_11comp_targetILNS1_3genE8ELNS1_11target_archE1030ELNS1_3gpuE2ELNS1_3repE0EEENS1_38merge_mergepath_config_static_selectorELNS0_4arch9wavefront6targetE1EEEvSJ_.has_dyn_sized_stack, 0
	.set _ZN7rocprim17ROCPRIM_400000_NS6detail17trampoline_kernelINS0_14default_configENS1_38merge_sort_block_merge_config_selectorIiiEEZZNS1_27merge_sort_block_merge_implIS3_N6thrust23THRUST_200600_302600_NS6detail15normal_iteratorINS8_10device_ptrIiEEEESD_jNS1_19radix_merge_compareILb0ELb0EiNS0_19identity_decomposerEEEEE10hipError_tT0_T1_T2_jT3_P12ihipStream_tbPNSt15iterator_traitsISI_E10value_typeEPNSO_ISJ_E10value_typeEPSK_NS1_7vsmem_tEENKUlT_SI_SJ_SK_E_clIPiSD_S10_SD_EESH_SX_SI_SJ_SK_EUlSX_E0_NS1_11comp_targetILNS1_3genE8ELNS1_11target_archE1030ELNS1_3gpuE2ELNS1_3repE0EEENS1_38merge_mergepath_config_static_selectorELNS0_4arch9wavefront6targetE1EEEvSJ_.has_recursion, 0
	.set _ZN7rocprim17ROCPRIM_400000_NS6detail17trampoline_kernelINS0_14default_configENS1_38merge_sort_block_merge_config_selectorIiiEEZZNS1_27merge_sort_block_merge_implIS3_N6thrust23THRUST_200600_302600_NS6detail15normal_iteratorINS8_10device_ptrIiEEEESD_jNS1_19radix_merge_compareILb0ELb0EiNS0_19identity_decomposerEEEEE10hipError_tT0_T1_T2_jT3_P12ihipStream_tbPNSt15iterator_traitsISI_E10value_typeEPNSO_ISJ_E10value_typeEPSK_NS1_7vsmem_tEENKUlT_SI_SJ_SK_E_clIPiSD_S10_SD_EESH_SX_SI_SJ_SK_EUlSX_E0_NS1_11comp_targetILNS1_3genE8ELNS1_11target_archE1030ELNS1_3gpuE2ELNS1_3repE0EEENS1_38merge_mergepath_config_static_selectorELNS0_4arch9wavefront6targetE1EEEvSJ_.has_indirect_call, 0
	.section	.AMDGPU.csdata,"",@progbits
; Kernel info:
; codeLenInByte = 0
; TotalNumSgprs: 6
; NumVgprs: 0
; NumAgprs: 0
; TotalNumVgprs: 0
; ScratchSize: 0
; MemoryBound: 0
; FloatMode: 240
; IeeeMode: 1
; LDSByteSize: 0 bytes/workgroup (compile time only)
; SGPRBlocks: 0
; VGPRBlocks: 0
; NumSGPRsForWavesPerEU: 6
; NumVGPRsForWavesPerEU: 1
; AccumOffset: 4
; Occupancy: 8
; WaveLimiterHint : 0
; COMPUTE_PGM_RSRC2:SCRATCH_EN: 0
; COMPUTE_PGM_RSRC2:USER_SGPR: 2
; COMPUTE_PGM_RSRC2:TRAP_HANDLER: 0
; COMPUTE_PGM_RSRC2:TGID_X_EN: 1
; COMPUTE_PGM_RSRC2:TGID_Y_EN: 0
; COMPUTE_PGM_RSRC2:TGID_Z_EN: 0
; COMPUTE_PGM_RSRC2:TIDIG_COMP_CNT: 0
; COMPUTE_PGM_RSRC3_GFX90A:ACCUM_OFFSET: 0
; COMPUTE_PGM_RSRC3_GFX90A:TG_SPLIT: 0
	.section	.text._ZN7rocprim17ROCPRIM_400000_NS6detail17trampoline_kernelINS0_14default_configENS1_38merge_sort_block_merge_config_selectorIiiEEZZNS1_27merge_sort_block_merge_implIS3_N6thrust23THRUST_200600_302600_NS6detail15normal_iteratorINS8_10device_ptrIiEEEESD_jNS1_19radix_merge_compareILb0ELb0EiNS0_19identity_decomposerEEEEE10hipError_tT0_T1_T2_jT3_P12ihipStream_tbPNSt15iterator_traitsISI_E10value_typeEPNSO_ISJ_E10value_typeEPSK_NS1_7vsmem_tEENKUlT_SI_SJ_SK_E_clIPiSD_S10_SD_EESH_SX_SI_SJ_SK_EUlSX_E1_NS1_11comp_targetILNS1_3genE0ELNS1_11target_archE4294967295ELNS1_3gpuE0ELNS1_3repE0EEENS1_36merge_oddeven_config_static_selectorELNS0_4arch9wavefront6targetE1EEEvSJ_,"axG",@progbits,_ZN7rocprim17ROCPRIM_400000_NS6detail17trampoline_kernelINS0_14default_configENS1_38merge_sort_block_merge_config_selectorIiiEEZZNS1_27merge_sort_block_merge_implIS3_N6thrust23THRUST_200600_302600_NS6detail15normal_iteratorINS8_10device_ptrIiEEEESD_jNS1_19radix_merge_compareILb0ELb0EiNS0_19identity_decomposerEEEEE10hipError_tT0_T1_T2_jT3_P12ihipStream_tbPNSt15iterator_traitsISI_E10value_typeEPNSO_ISJ_E10value_typeEPSK_NS1_7vsmem_tEENKUlT_SI_SJ_SK_E_clIPiSD_S10_SD_EESH_SX_SI_SJ_SK_EUlSX_E1_NS1_11comp_targetILNS1_3genE0ELNS1_11target_archE4294967295ELNS1_3gpuE0ELNS1_3repE0EEENS1_36merge_oddeven_config_static_selectorELNS0_4arch9wavefront6targetE1EEEvSJ_,comdat
	.protected	_ZN7rocprim17ROCPRIM_400000_NS6detail17trampoline_kernelINS0_14default_configENS1_38merge_sort_block_merge_config_selectorIiiEEZZNS1_27merge_sort_block_merge_implIS3_N6thrust23THRUST_200600_302600_NS6detail15normal_iteratorINS8_10device_ptrIiEEEESD_jNS1_19radix_merge_compareILb0ELb0EiNS0_19identity_decomposerEEEEE10hipError_tT0_T1_T2_jT3_P12ihipStream_tbPNSt15iterator_traitsISI_E10value_typeEPNSO_ISJ_E10value_typeEPSK_NS1_7vsmem_tEENKUlT_SI_SJ_SK_E_clIPiSD_S10_SD_EESH_SX_SI_SJ_SK_EUlSX_E1_NS1_11comp_targetILNS1_3genE0ELNS1_11target_archE4294967295ELNS1_3gpuE0ELNS1_3repE0EEENS1_36merge_oddeven_config_static_selectorELNS0_4arch9wavefront6targetE1EEEvSJ_ ; -- Begin function _ZN7rocprim17ROCPRIM_400000_NS6detail17trampoline_kernelINS0_14default_configENS1_38merge_sort_block_merge_config_selectorIiiEEZZNS1_27merge_sort_block_merge_implIS3_N6thrust23THRUST_200600_302600_NS6detail15normal_iteratorINS8_10device_ptrIiEEEESD_jNS1_19radix_merge_compareILb0ELb0EiNS0_19identity_decomposerEEEEE10hipError_tT0_T1_T2_jT3_P12ihipStream_tbPNSt15iterator_traitsISI_E10value_typeEPNSO_ISJ_E10value_typeEPSK_NS1_7vsmem_tEENKUlT_SI_SJ_SK_E_clIPiSD_S10_SD_EESH_SX_SI_SJ_SK_EUlSX_E1_NS1_11comp_targetILNS1_3genE0ELNS1_11target_archE4294967295ELNS1_3gpuE0ELNS1_3repE0EEENS1_36merge_oddeven_config_static_selectorELNS0_4arch9wavefront6targetE1EEEvSJ_
	.globl	_ZN7rocprim17ROCPRIM_400000_NS6detail17trampoline_kernelINS0_14default_configENS1_38merge_sort_block_merge_config_selectorIiiEEZZNS1_27merge_sort_block_merge_implIS3_N6thrust23THRUST_200600_302600_NS6detail15normal_iteratorINS8_10device_ptrIiEEEESD_jNS1_19radix_merge_compareILb0ELb0EiNS0_19identity_decomposerEEEEE10hipError_tT0_T1_T2_jT3_P12ihipStream_tbPNSt15iterator_traitsISI_E10value_typeEPNSO_ISJ_E10value_typeEPSK_NS1_7vsmem_tEENKUlT_SI_SJ_SK_E_clIPiSD_S10_SD_EESH_SX_SI_SJ_SK_EUlSX_E1_NS1_11comp_targetILNS1_3genE0ELNS1_11target_archE4294967295ELNS1_3gpuE0ELNS1_3repE0EEENS1_36merge_oddeven_config_static_selectorELNS0_4arch9wavefront6targetE1EEEvSJ_
	.p2align	8
	.type	_ZN7rocprim17ROCPRIM_400000_NS6detail17trampoline_kernelINS0_14default_configENS1_38merge_sort_block_merge_config_selectorIiiEEZZNS1_27merge_sort_block_merge_implIS3_N6thrust23THRUST_200600_302600_NS6detail15normal_iteratorINS8_10device_ptrIiEEEESD_jNS1_19radix_merge_compareILb0ELb0EiNS0_19identity_decomposerEEEEE10hipError_tT0_T1_T2_jT3_P12ihipStream_tbPNSt15iterator_traitsISI_E10value_typeEPNSO_ISJ_E10value_typeEPSK_NS1_7vsmem_tEENKUlT_SI_SJ_SK_E_clIPiSD_S10_SD_EESH_SX_SI_SJ_SK_EUlSX_E1_NS1_11comp_targetILNS1_3genE0ELNS1_11target_archE4294967295ELNS1_3gpuE0ELNS1_3repE0EEENS1_36merge_oddeven_config_static_selectorELNS0_4arch9wavefront6targetE1EEEvSJ_,@function
_ZN7rocprim17ROCPRIM_400000_NS6detail17trampoline_kernelINS0_14default_configENS1_38merge_sort_block_merge_config_selectorIiiEEZZNS1_27merge_sort_block_merge_implIS3_N6thrust23THRUST_200600_302600_NS6detail15normal_iteratorINS8_10device_ptrIiEEEESD_jNS1_19radix_merge_compareILb0ELb0EiNS0_19identity_decomposerEEEEE10hipError_tT0_T1_T2_jT3_P12ihipStream_tbPNSt15iterator_traitsISI_E10value_typeEPNSO_ISJ_E10value_typeEPSK_NS1_7vsmem_tEENKUlT_SI_SJ_SK_E_clIPiSD_S10_SD_EESH_SX_SI_SJ_SK_EUlSX_E1_NS1_11comp_targetILNS1_3genE0ELNS1_11target_archE4294967295ELNS1_3gpuE0ELNS1_3repE0EEENS1_36merge_oddeven_config_static_selectorELNS0_4arch9wavefront6targetE1EEEvSJ_: ; @_ZN7rocprim17ROCPRIM_400000_NS6detail17trampoline_kernelINS0_14default_configENS1_38merge_sort_block_merge_config_selectorIiiEEZZNS1_27merge_sort_block_merge_implIS3_N6thrust23THRUST_200600_302600_NS6detail15normal_iteratorINS8_10device_ptrIiEEEESD_jNS1_19radix_merge_compareILb0ELb0EiNS0_19identity_decomposerEEEEE10hipError_tT0_T1_T2_jT3_P12ihipStream_tbPNSt15iterator_traitsISI_E10value_typeEPNSO_ISJ_E10value_typeEPSK_NS1_7vsmem_tEENKUlT_SI_SJ_SK_E_clIPiSD_S10_SD_EESH_SX_SI_SJ_SK_EUlSX_E1_NS1_11comp_targetILNS1_3genE0ELNS1_11target_archE4294967295ELNS1_3gpuE0ELNS1_3repE0EEENS1_36merge_oddeven_config_static_selectorELNS0_4arch9wavefront6targetE1EEEvSJ_
; %bb.0:
	s_load_dword s18, s[0:1], 0x20
	s_waitcnt lgkmcnt(0)
	s_lshr_b32 s3, s18, 8
	s_cmp_eq_u32 s2, s3
	s_cselect_b64 s[6:7], -1, 0
	s_cmp_lg_u32 s2, s3
	s_cselect_b64 s[8:9], -1, 0
	s_lshl_b32 s16, s2, 8
	s_sub_i32 s3, s18, s16
	v_cmp_gt_u32_e64 s[4:5], s3, v0
	s_or_b64 s[8:9], s[8:9], s[4:5]
	s_and_saveexec_b64 s[10:11], s[8:9]
	s_cbranch_execz .LBB1303_24
; %bb.1:
	s_load_dwordx8 s[8:15], s[0:1], 0x0
	s_mov_b32 s17, 0
	s_lshl_b64 s[20:21], s[16:17], 2
	v_lshlrev_b32_e32 v1, 2, v0
	s_load_dword s17, s[0:1], 0x24
	s_waitcnt lgkmcnt(0)
	s_add_u32 s22, s8, s20
	s_addc_u32 s23, s9, s21
	s_add_u32 s12, s12, s20
	s_addc_u32 s13, s13, s21
	global_load_dword v2, v1, s[12:13]
	global_load_dword v3, v1, s[22:23]
	s_lshr_b32 s0, s17, 8
	s_sub_i32 s1, 0, s0
	s_and_b32 s1, s2, s1
	s_and_b32 s0, s1, s0
	s_lshl_b32 s19, s1, 8
	s_sub_i32 s12, 0, s17
	s_cmp_eq_u32 s0, 0
	s_cselect_b64 s[0:1], -1, 0
	s_and_b64 s[2:3], s[0:1], exec
	s_cselect_b32 s12, s17, s12
	s_add_i32 s12, s12, s19
	s_mov_b64 s[2:3], -1
	s_cmp_gt_u32 s18, s12
	v_add_u32_e32 v0, s16, v0
	s_cbranch_scc1 .LBB1303_9
; %bb.2:
	s_and_b64 vcc, exec, s[6:7]
	s_cbranch_vccz .LBB1303_6
; %bb.3:
	v_cmp_gt_u32_e32 vcc, s18, v0
	s_and_saveexec_b64 s[2:3], vcc
	s_cbranch_execz .LBB1303_5
; %bb.4:
	v_mov_b32_e32 v1, 0
	v_lshlrev_b64 v[4:5], 2, v[0:1]
	v_lshl_add_u64 v[6:7], s[10:11], 0, v[4:5]
	v_lshl_add_u64 v[4:5], s[14:15], 0, v[4:5]
	s_waitcnt vmcnt(0)
	global_store_dword v[6:7], v3, off
	global_store_dword v[4:5], v2, off
.LBB1303_5:
	s_or_b64 exec, exec, s[2:3]
	s_mov_b64 s[2:3], 0
.LBB1303_6:
	s_andn2_b64 vcc, exec, s[2:3]
	s_cbranch_vccnz .LBB1303_8
; %bb.7:
	v_mov_b32_e32 v1, 0
	v_lshlrev_b64 v[4:5], 2, v[0:1]
	v_lshl_add_u64 v[6:7], s[10:11], 0, v[4:5]
	v_lshl_add_u64 v[4:5], s[14:15], 0, v[4:5]
	s_waitcnt vmcnt(0)
	global_store_dword v[6:7], v3, off
	global_store_dword v[4:5], v2, off
.LBB1303_8:
	s_mov_b64 s[2:3], 0
.LBB1303_9:
	s_andn2_b64 vcc, exec, s[2:3]
	s_cbranch_vccnz .LBB1303_24
; %bb.10:
	s_min_u32 s13, s12, s18
	s_add_i32 s2, s13, s17
	s_min_u32 s16, s2, s18
	s_min_u32 s2, s19, s13
	s_add_i32 s19, s19, s13
	v_subrev_u32_e32 v0, s19, v0
	v_add_u32_e32 v4, s2, v0
	s_andn2_b64 vcc, exec, s[6:7]
	s_mov_b64 s[2:3], -1
	s_cbranch_vccnz .LBB1303_18
; %bb.11:
	s_and_saveexec_b64 s[2:3], s[4:5]
	s_cbranch_execz .LBB1303_17
; %bb.12:
	s_cmp_ge_u32 s12, s16
	v_mov_b32_e32 v5, s13
	s_cbranch_scc1 .LBB1303_16
; %bb.13:
	s_mov_b64 s[4:5], 0
	v_mov_b32_e32 v6, s16
	v_mov_b32_e32 v5, s13
	;; [unrolled: 1-line block ×3, first 2 shown]
.LBB1303_14:                            ; =>This Inner Loop Header: Depth=1
	v_add_u32_e32 v0, v5, v6
	v_lshrrev_b32_e32 v0, 1, v0
	v_lshl_add_u64 v[8:9], v[0:1], 2, s[8:9]
	global_load_dword v7, v[8:9], off
	v_add_u32_e32 v8, 1, v0
	s_waitcnt vmcnt(0)
	v_cmp_gt_i32_e32 vcc, v3, v7
	s_nop 1
	v_cndmask_b32_e64 v9, 0, 1, vcc
	v_cmp_le_i32_e32 vcc, v7, v3
	s_nop 1
	v_cndmask_b32_e64 v7, 0, 1, vcc
	v_cndmask_b32_e64 v7, v7, v9, s[0:1]
	v_and_b32_e32 v7, 1, v7
	v_cmp_eq_u32_e32 vcc, 1, v7
	s_nop 1
	v_cndmask_b32_e32 v6, v0, v6, vcc
	v_cndmask_b32_e32 v5, v5, v8, vcc
	v_cmp_ge_u32_e32 vcc, v5, v6
	s_or_b64 s[4:5], vcc, s[4:5]
	s_andn2_b64 exec, exec, s[4:5]
	s_cbranch_execnz .LBB1303_14
; %bb.15:
	s_or_b64 exec, exec, s[4:5]
.LBB1303_16:
	v_add_u32_e32 v0, v5, v4
	v_mov_b32_e32 v1, 0
	v_lshlrev_b64 v[0:1], 2, v[0:1]
	v_lshl_add_u64 v[6:7], s[10:11], 0, v[0:1]
	v_lshl_add_u64 v[0:1], s[14:15], 0, v[0:1]
	s_waitcnt vmcnt(0)
	global_store_dword v[6:7], v3, off
	global_store_dword v[0:1], v2, off
.LBB1303_17:
	s_or_b64 exec, exec, s[2:3]
	s_mov_b64 s[2:3], 0
.LBB1303_18:
	s_andn2_b64 vcc, exec, s[2:3]
	s_cbranch_vccnz .LBB1303_24
; %bb.19:
	s_cmp_ge_u32 s12, s16
	v_mov_b32_e32 v5, s13
	s_cbranch_scc1 .LBB1303_23
; %bb.20:
	s_mov_b64 s[2:3], 0
	v_mov_b32_e32 v6, s16
	v_mov_b32_e32 v5, s13
	;; [unrolled: 1-line block ×3, first 2 shown]
.LBB1303_21:                            ; =>This Inner Loop Header: Depth=1
	v_add_u32_e32 v0, v5, v6
	v_lshrrev_b32_e32 v0, 1, v0
	v_lshl_add_u64 v[8:9], v[0:1], 2, s[8:9]
	global_load_dword v7, v[8:9], off
	v_add_u32_e32 v8, 1, v0
	s_waitcnt vmcnt(0)
	v_cmp_gt_i32_e32 vcc, v3, v7
	s_nop 1
	v_cndmask_b32_e64 v9, 0, 1, vcc
	v_cmp_le_i32_e32 vcc, v7, v3
	s_nop 1
	v_cndmask_b32_e64 v7, 0, 1, vcc
	v_cndmask_b32_e64 v7, v7, v9, s[0:1]
	v_and_b32_e32 v7, 1, v7
	v_cmp_eq_u32_e32 vcc, 1, v7
	s_nop 1
	v_cndmask_b32_e32 v6, v0, v6, vcc
	v_cndmask_b32_e32 v5, v5, v8, vcc
	v_cmp_ge_u32_e32 vcc, v5, v6
	s_or_b64 s[2:3], vcc, s[2:3]
	s_andn2_b64 exec, exec, s[2:3]
	s_cbranch_execnz .LBB1303_21
; %bb.22:
	s_or_b64 exec, exec, s[2:3]
.LBB1303_23:
	v_add_u32_e32 v0, v5, v4
	v_mov_b32_e32 v1, 0
	v_lshlrev_b64 v[0:1], 2, v[0:1]
	v_lshl_add_u64 v[4:5], s[10:11], 0, v[0:1]
	v_lshl_add_u64 v[0:1], s[14:15], 0, v[0:1]
	s_waitcnt vmcnt(0)
	global_store_dword v[4:5], v3, off
	global_store_dword v[0:1], v2, off
.LBB1303_24:
	s_endpgm
	.section	.rodata,"a",@progbits
	.p2align	6, 0x0
	.amdhsa_kernel _ZN7rocprim17ROCPRIM_400000_NS6detail17trampoline_kernelINS0_14default_configENS1_38merge_sort_block_merge_config_selectorIiiEEZZNS1_27merge_sort_block_merge_implIS3_N6thrust23THRUST_200600_302600_NS6detail15normal_iteratorINS8_10device_ptrIiEEEESD_jNS1_19radix_merge_compareILb0ELb0EiNS0_19identity_decomposerEEEEE10hipError_tT0_T1_T2_jT3_P12ihipStream_tbPNSt15iterator_traitsISI_E10value_typeEPNSO_ISJ_E10value_typeEPSK_NS1_7vsmem_tEENKUlT_SI_SJ_SK_E_clIPiSD_S10_SD_EESH_SX_SI_SJ_SK_EUlSX_E1_NS1_11comp_targetILNS1_3genE0ELNS1_11target_archE4294967295ELNS1_3gpuE0ELNS1_3repE0EEENS1_36merge_oddeven_config_static_selectorELNS0_4arch9wavefront6targetE1EEEvSJ_
		.amdhsa_group_segment_fixed_size 0
		.amdhsa_private_segment_fixed_size 0
		.amdhsa_kernarg_size 48
		.amdhsa_user_sgpr_count 2
		.amdhsa_user_sgpr_dispatch_ptr 0
		.amdhsa_user_sgpr_queue_ptr 0
		.amdhsa_user_sgpr_kernarg_segment_ptr 1
		.amdhsa_user_sgpr_dispatch_id 0
		.amdhsa_user_sgpr_kernarg_preload_length 0
		.amdhsa_user_sgpr_kernarg_preload_offset 0
		.amdhsa_user_sgpr_private_segment_size 0
		.amdhsa_uses_dynamic_stack 0
		.amdhsa_enable_private_segment 0
		.amdhsa_system_sgpr_workgroup_id_x 1
		.amdhsa_system_sgpr_workgroup_id_y 0
		.amdhsa_system_sgpr_workgroup_id_z 0
		.amdhsa_system_sgpr_workgroup_info 0
		.amdhsa_system_vgpr_workitem_id 0
		.amdhsa_next_free_vgpr 10
		.amdhsa_next_free_sgpr 24
		.amdhsa_accum_offset 12
		.amdhsa_reserve_vcc 1
		.amdhsa_float_round_mode_32 0
		.amdhsa_float_round_mode_16_64 0
		.amdhsa_float_denorm_mode_32 3
		.amdhsa_float_denorm_mode_16_64 3
		.amdhsa_dx10_clamp 1
		.amdhsa_ieee_mode 1
		.amdhsa_fp16_overflow 0
		.amdhsa_tg_split 0
		.amdhsa_exception_fp_ieee_invalid_op 0
		.amdhsa_exception_fp_denorm_src 0
		.amdhsa_exception_fp_ieee_div_zero 0
		.amdhsa_exception_fp_ieee_overflow 0
		.amdhsa_exception_fp_ieee_underflow 0
		.amdhsa_exception_fp_ieee_inexact 0
		.amdhsa_exception_int_div_zero 0
	.end_amdhsa_kernel
	.section	.text._ZN7rocprim17ROCPRIM_400000_NS6detail17trampoline_kernelINS0_14default_configENS1_38merge_sort_block_merge_config_selectorIiiEEZZNS1_27merge_sort_block_merge_implIS3_N6thrust23THRUST_200600_302600_NS6detail15normal_iteratorINS8_10device_ptrIiEEEESD_jNS1_19radix_merge_compareILb0ELb0EiNS0_19identity_decomposerEEEEE10hipError_tT0_T1_T2_jT3_P12ihipStream_tbPNSt15iterator_traitsISI_E10value_typeEPNSO_ISJ_E10value_typeEPSK_NS1_7vsmem_tEENKUlT_SI_SJ_SK_E_clIPiSD_S10_SD_EESH_SX_SI_SJ_SK_EUlSX_E1_NS1_11comp_targetILNS1_3genE0ELNS1_11target_archE4294967295ELNS1_3gpuE0ELNS1_3repE0EEENS1_36merge_oddeven_config_static_selectorELNS0_4arch9wavefront6targetE1EEEvSJ_,"axG",@progbits,_ZN7rocprim17ROCPRIM_400000_NS6detail17trampoline_kernelINS0_14default_configENS1_38merge_sort_block_merge_config_selectorIiiEEZZNS1_27merge_sort_block_merge_implIS3_N6thrust23THRUST_200600_302600_NS6detail15normal_iteratorINS8_10device_ptrIiEEEESD_jNS1_19radix_merge_compareILb0ELb0EiNS0_19identity_decomposerEEEEE10hipError_tT0_T1_T2_jT3_P12ihipStream_tbPNSt15iterator_traitsISI_E10value_typeEPNSO_ISJ_E10value_typeEPSK_NS1_7vsmem_tEENKUlT_SI_SJ_SK_E_clIPiSD_S10_SD_EESH_SX_SI_SJ_SK_EUlSX_E1_NS1_11comp_targetILNS1_3genE0ELNS1_11target_archE4294967295ELNS1_3gpuE0ELNS1_3repE0EEENS1_36merge_oddeven_config_static_selectorELNS0_4arch9wavefront6targetE1EEEvSJ_,comdat
.Lfunc_end1303:
	.size	_ZN7rocprim17ROCPRIM_400000_NS6detail17trampoline_kernelINS0_14default_configENS1_38merge_sort_block_merge_config_selectorIiiEEZZNS1_27merge_sort_block_merge_implIS3_N6thrust23THRUST_200600_302600_NS6detail15normal_iteratorINS8_10device_ptrIiEEEESD_jNS1_19radix_merge_compareILb0ELb0EiNS0_19identity_decomposerEEEEE10hipError_tT0_T1_T2_jT3_P12ihipStream_tbPNSt15iterator_traitsISI_E10value_typeEPNSO_ISJ_E10value_typeEPSK_NS1_7vsmem_tEENKUlT_SI_SJ_SK_E_clIPiSD_S10_SD_EESH_SX_SI_SJ_SK_EUlSX_E1_NS1_11comp_targetILNS1_3genE0ELNS1_11target_archE4294967295ELNS1_3gpuE0ELNS1_3repE0EEENS1_36merge_oddeven_config_static_selectorELNS0_4arch9wavefront6targetE1EEEvSJ_, .Lfunc_end1303-_ZN7rocprim17ROCPRIM_400000_NS6detail17trampoline_kernelINS0_14default_configENS1_38merge_sort_block_merge_config_selectorIiiEEZZNS1_27merge_sort_block_merge_implIS3_N6thrust23THRUST_200600_302600_NS6detail15normal_iteratorINS8_10device_ptrIiEEEESD_jNS1_19radix_merge_compareILb0ELb0EiNS0_19identity_decomposerEEEEE10hipError_tT0_T1_T2_jT3_P12ihipStream_tbPNSt15iterator_traitsISI_E10value_typeEPNSO_ISJ_E10value_typeEPSK_NS1_7vsmem_tEENKUlT_SI_SJ_SK_E_clIPiSD_S10_SD_EESH_SX_SI_SJ_SK_EUlSX_E1_NS1_11comp_targetILNS1_3genE0ELNS1_11target_archE4294967295ELNS1_3gpuE0ELNS1_3repE0EEENS1_36merge_oddeven_config_static_selectorELNS0_4arch9wavefront6targetE1EEEvSJ_
                                        ; -- End function
	.set _ZN7rocprim17ROCPRIM_400000_NS6detail17trampoline_kernelINS0_14default_configENS1_38merge_sort_block_merge_config_selectorIiiEEZZNS1_27merge_sort_block_merge_implIS3_N6thrust23THRUST_200600_302600_NS6detail15normal_iteratorINS8_10device_ptrIiEEEESD_jNS1_19radix_merge_compareILb0ELb0EiNS0_19identity_decomposerEEEEE10hipError_tT0_T1_T2_jT3_P12ihipStream_tbPNSt15iterator_traitsISI_E10value_typeEPNSO_ISJ_E10value_typeEPSK_NS1_7vsmem_tEENKUlT_SI_SJ_SK_E_clIPiSD_S10_SD_EESH_SX_SI_SJ_SK_EUlSX_E1_NS1_11comp_targetILNS1_3genE0ELNS1_11target_archE4294967295ELNS1_3gpuE0ELNS1_3repE0EEENS1_36merge_oddeven_config_static_selectorELNS0_4arch9wavefront6targetE1EEEvSJ_.num_vgpr, 10
	.set _ZN7rocprim17ROCPRIM_400000_NS6detail17trampoline_kernelINS0_14default_configENS1_38merge_sort_block_merge_config_selectorIiiEEZZNS1_27merge_sort_block_merge_implIS3_N6thrust23THRUST_200600_302600_NS6detail15normal_iteratorINS8_10device_ptrIiEEEESD_jNS1_19radix_merge_compareILb0ELb0EiNS0_19identity_decomposerEEEEE10hipError_tT0_T1_T2_jT3_P12ihipStream_tbPNSt15iterator_traitsISI_E10value_typeEPNSO_ISJ_E10value_typeEPSK_NS1_7vsmem_tEENKUlT_SI_SJ_SK_E_clIPiSD_S10_SD_EESH_SX_SI_SJ_SK_EUlSX_E1_NS1_11comp_targetILNS1_3genE0ELNS1_11target_archE4294967295ELNS1_3gpuE0ELNS1_3repE0EEENS1_36merge_oddeven_config_static_selectorELNS0_4arch9wavefront6targetE1EEEvSJ_.num_agpr, 0
	.set _ZN7rocprim17ROCPRIM_400000_NS6detail17trampoline_kernelINS0_14default_configENS1_38merge_sort_block_merge_config_selectorIiiEEZZNS1_27merge_sort_block_merge_implIS3_N6thrust23THRUST_200600_302600_NS6detail15normal_iteratorINS8_10device_ptrIiEEEESD_jNS1_19radix_merge_compareILb0ELb0EiNS0_19identity_decomposerEEEEE10hipError_tT0_T1_T2_jT3_P12ihipStream_tbPNSt15iterator_traitsISI_E10value_typeEPNSO_ISJ_E10value_typeEPSK_NS1_7vsmem_tEENKUlT_SI_SJ_SK_E_clIPiSD_S10_SD_EESH_SX_SI_SJ_SK_EUlSX_E1_NS1_11comp_targetILNS1_3genE0ELNS1_11target_archE4294967295ELNS1_3gpuE0ELNS1_3repE0EEENS1_36merge_oddeven_config_static_selectorELNS0_4arch9wavefront6targetE1EEEvSJ_.numbered_sgpr, 24
	.set _ZN7rocprim17ROCPRIM_400000_NS6detail17trampoline_kernelINS0_14default_configENS1_38merge_sort_block_merge_config_selectorIiiEEZZNS1_27merge_sort_block_merge_implIS3_N6thrust23THRUST_200600_302600_NS6detail15normal_iteratorINS8_10device_ptrIiEEEESD_jNS1_19radix_merge_compareILb0ELb0EiNS0_19identity_decomposerEEEEE10hipError_tT0_T1_T2_jT3_P12ihipStream_tbPNSt15iterator_traitsISI_E10value_typeEPNSO_ISJ_E10value_typeEPSK_NS1_7vsmem_tEENKUlT_SI_SJ_SK_E_clIPiSD_S10_SD_EESH_SX_SI_SJ_SK_EUlSX_E1_NS1_11comp_targetILNS1_3genE0ELNS1_11target_archE4294967295ELNS1_3gpuE0ELNS1_3repE0EEENS1_36merge_oddeven_config_static_selectorELNS0_4arch9wavefront6targetE1EEEvSJ_.num_named_barrier, 0
	.set _ZN7rocprim17ROCPRIM_400000_NS6detail17trampoline_kernelINS0_14default_configENS1_38merge_sort_block_merge_config_selectorIiiEEZZNS1_27merge_sort_block_merge_implIS3_N6thrust23THRUST_200600_302600_NS6detail15normal_iteratorINS8_10device_ptrIiEEEESD_jNS1_19radix_merge_compareILb0ELb0EiNS0_19identity_decomposerEEEEE10hipError_tT0_T1_T2_jT3_P12ihipStream_tbPNSt15iterator_traitsISI_E10value_typeEPNSO_ISJ_E10value_typeEPSK_NS1_7vsmem_tEENKUlT_SI_SJ_SK_E_clIPiSD_S10_SD_EESH_SX_SI_SJ_SK_EUlSX_E1_NS1_11comp_targetILNS1_3genE0ELNS1_11target_archE4294967295ELNS1_3gpuE0ELNS1_3repE0EEENS1_36merge_oddeven_config_static_selectorELNS0_4arch9wavefront6targetE1EEEvSJ_.private_seg_size, 0
	.set _ZN7rocprim17ROCPRIM_400000_NS6detail17trampoline_kernelINS0_14default_configENS1_38merge_sort_block_merge_config_selectorIiiEEZZNS1_27merge_sort_block_merge_implIS3_N6thrust23THRUST_200600_302600_NS6detail15normal_iteratorINS8_10device_ptrIiEEEESD_jNS1_19radix_merge_compareILb0ELb0EiNS0_19identity_decomposerEEEEE10hipError_tT0_T1_T2_jT3_P12ihipStream_tbPNSt15iterator_traitsISI_E10value_typeEPNSO_ISJ_E10value_typeEPSK_NS1_7vsmem_tEENKUlT_SI_SJ_SK_E_clIPiSD_S10_SD_EESH_SX_SI_SJ_SK_EUlSX_E1_NS1_11comp_targetILNS1_3genE0ELNS1_11target_archE4294967295ELNS1_3gpuE0ELNS1_3repE0EEENS1_36merge_oddeven_config_static_selectorELNS0_4arch9wavefront6targetE1EEEvSJ_.uses_vcc, 1
	.set _ZN7rocprim17ROCPRIM_400000_NS6detail17trampoline_kernelINS0_14default_configENS1_38merge_sort_block_merge_config_selectorIiiEEZZNS1_27merge_sort_block_merge_implIS3_N6thrust23THRUST_200600_302600_NS6detail15normal_iteratorINS8_10device_ptrIiEEEESD_jNS1_19radix_merge_compareILb0ELb0EiNS0_19identity_decomposerEEEEE10hipError_tT0_T1_T2_jT3_P12ihipStream_tbPNSt15iterator_traitsISI_E10value_typeEPNSO_ISJ_E10value_typeEPSK_NS1_7vsmem_tEENKUlT_SI_SJ_SK_E_clIPiSD_S10_SD_EESH_SX_SI_SJ_SK_EUlSX_E1_NS1_11comp_targetILNS1_3genE0ELNS1_11target_archE4294967295ELNS1_3gpuE0ELNS1_3repE0EEENS1_36merge_oddeven_config_static_selectorELNS0_4arch9wavefront6targetE1EEEvSJ_.uses_flat_scratch, 0
	.set _ZN7rocprim17ROCPRIM_400000_NS6detail17trampoline_kernelINS0_14default_configENS1_38merge_sort_block_merge_config_selectorIiiEEZZNS1_27merge_sort_block_merge_implIS3_N6thrust23THRUST_200600_302600_NS6detail15normal_iteratorINS8_10device_ptrIiEEEESD_jNS1_19radix_merge_compareILb0ELb0EiNS0_19identity_decomposerEEEEE10hipError_tT0_T1_T2_jT3_P12ihipStream_tbPNSt15iterator_traitsISI_E10value_typeEPNSO_ISJ_E10value_typeEPSK_NS1_7vsmem_tEENKUlT_SI_SJ_SK_E_clIPiSD_S10_SD_EESH_SX_SI_SJ_SK_EUlSX_E1_NS1_11comp_targetILNS1_3genE0ELNS1_11target_archE4294967295ELNS1_3gpuE0ELNS1_3repE0EEENS1_36merge_oddeven_config_static_selectorELNS0_4arch9wavefront6targetE1EEEvSJ_.has_dyn_sized_stack, 0
	.set _ZN7rocprim17ROCPRIM_400000_NS6detail17trampoline_kernelINS0_14default_configENS1_38merge_sort_block_merge_config_selectorIiiEEZZNS1_27merge_sort_block_merge_implIS3_N6thrust23THRUST_200600_302600_NS6detail15normal_iteratorINS8_10device_ptrIiEEEESD_jNS1_19radix_merge_compareILb0ELb0EiNS0_19identity_decomposerEEEEE10hipError_tT0_T1_T2_jT3_P12ihipStream_tbPNSt15iterator_traitsISI_E10value_typeEPNSO_ISJ_E10value_typeEPSK_NS1_7vsmem_tEENKUlT_SI_SJ_SK_E_clIPiSD_S10_SD_EESH_SX_SI_SJ_SK_EUlSX_E1_NS1_11comp_targetILNS1_3genE0ELNS1_11target_archE4294967295ELNS1_3gpuE0ELNS1_3repE0EEENS1_36merge_oddeven_config_static_selectorELNS0_4arch9wavefront6targetE1EEEvSJ_.has_recursion, 0
	.set _ZN7rocprim17ROCPRIM_400000_NS6detail17trampoline_kernelINS0_14default_configENS1_38merge_sort_block_merge_config_selectorIiiEEZZNS1_27merge_sort_block_merge_implIS3_N6thrust23THRUST_200600_302600_NS6detail15normal_iteratorINS8_10device_ptrIiEEEESD_jNS1_19radix_merge_compareILb0ELb0EiNS0_19identity_decomposerEEEEE10hipError_tT0_T1_T2_jT3_P12ihipStream_tbPNSt15iterator_traitsISI_E10value_typeEPNSO_ISJ_E10value_typeEPSK_NS1_7vsmem_tEENKUlT_SI_SJ_SK_E_clIPiSD_S10_SD_EESH_SX_SI_SJ_SK_EUlSX_E1_NS1_11comp_targetILNS1_3genE0ELNS1_11target_archE4294967295ELNS1_3gpuE0ELNS1_3repE0EEENS1_36merge_oddeven_config_static_selectorELNS0_4arch9wavefront6targetE1EEEvSJ_.has_indirect_call, 0
	.section	.AMDGPU.csdata,"",@progbits
; Kernel info:
; codeLenInByte = 780
; TotalNumSgprs: 30
; NumVgprs: 10
; NumAgprs: 0
; TotalNumVgprs: 10
; ScratchSize: 0
; MemoryBound: 0
; FloatMode: 240
; IeeeMode: 1
; LDSByteSize: 0 bytes/workgroup (compile time only)
; SGPRBlocks: 3
; VGPRBlocks: 1
; NumSGPRsForWavesPerEU: 30
; NumVGPRsForWavesPerEU: 10
; AccumOffset: 12
; Occupancy: 8
; WaveLimiterHint : 0
; COMPUTE_PGM_RSRC2:SCRATCH_EN: 0
; COMPUTE_PGM_RSRC2:USER_SGPR: 2
; COMPUTE_PGM_RSRC2:TRAP_HANDLER: 0
; COMPUTE_PGM_RSRC2:TGID_X_EN: 1
; COMPUTE_PGM_RSRC2:TGID_Y_EN: 0
; COMPUTE_PGM_RSRC2:TGID_Z_EN: 0
; COMPUTE_PGM_RSRC2:TIDIG_COMP_CNT: 0
; COMPUTE_PGM_RSRC3_GFX90A:ACCUM_OFFSET: 2
; COMPUTE_PGM_RSRC3_GFX90A:TG_SPLIT: 0
	.section	.text._ZN7rocprim17ROCPRIM_400000_NS6detail17trampoline_kernelINS0_14default_configENS1_38merge_sort_block_merge_config_selectorIiiEEZZNS1_27merge_sort_block_merge_implIS3_N6thrust23THRUST_200600_302600_NS6detail15normal_iteratorINS8_10device_ptrIiEEEESD_jNS1_19radix_merge_compareILb0ELb0EiNS0_19identity_decomposerEEEEE10hipError_tT0_T1_T2_jT3_P12ihipStream_tbPNSt15iterator_traitsISI_E10value_typeEPNSO_ISJ_E10value_typeEPSK_NS1_7vsmem_tEENKUlT_SI_SJ_SK_E_clIPiSD_S10_SD_EESH_SX_SI_SJ_SK_EUlSX_E1_NS1_11comp_targetILNS1_3genE10ELNS1_11target_archE1201ELNS1_3gpuE5ELNS1_3repE0EEENS1_36merge_oddeven_config_static_selectorELNS0_4arch9wavefront6targetE1EEEvSJ_,"axG",@progbits,_ZN7rocprim17ROCPRIM_400000_NS6detail17trampoline_kernelINS0_14default_configENS1_38merge_sort_block_merge_config_selectorIiiEEZZNS1_27merge_sort_block_merge_implIS3_N6thrust23THRUST_200600_302600_NS6detail15normal_iteratorINS8_10device_ptrIiEEEESD_jNS1_19radix_merge_compareILb0ELb0EiNS0_19identity_decomposerEEEEE10hipError_tT0_T1_T2_jT3_P12ihipStream_tbPNSt15iterator_traitsISI_E10value_typeEPNSO_ISJ_E10value_typeEPSK_NS1_7vsmem_tEENKUlT_SI_SJ_SK_E_clIPiSD_S10_SD_EESH_SX_SI_SJ_SK_EUlSX_E1_NS1_11comp_targetILNS1_3genE10ELNS1_11target_archE1201ELNS1_3gpuE5ELNS1_3repE0EEENS1_36merge_oddeven_config_static_selectorELNS0_4arch9wavefront6targetE1EEEvSJ_,comdat
	.protected	_ZN7rocprim17ROCPRIM_400000_NS6detail17trampoline_kernelINS0_14default_configENS1_38merge_sort_block_merge_config_selectorIiiEEZZNS1_27merge_sort_block_merge_implIS3_N6thrust23THRUST_200600_302600_NS6detail15normal_iteratorINS8_10device_ptrIiEEEESD_jNS1_19radix_merge_compareILb0ELb0EiNS0_19identity_decomposerEEEEE10hipError_tT0_T1_T2_jT3_P12ihipStream_tbPNSt15iterator_traitsISI_E10value_typeEPNSO_ISJ_E10value_typeEPSK_NS1_7vsmem_tEENKUlT_SI_SJ_SK_E_clIPiSD_S10_SD_EESH_SX_SI_SJ_SK_EUlSX_E1_NS1_11comp_targetILNS1_3genE10ELNS1_11target_archE1201ELNS1_3gpuE5ELNS1_3repE0EEENS1_36merge_oddeven_config_static_selectorELNS0_4arch9wavefront6targetE1EEEvSJ_ ; -- Begin function _ZN7rocprim17ROCPRIM_400000_NS6detail17trampoline_kernelINS0_14default_configENS1_38merge_sort_block_merge_config_selectorIiiEEZZNS1_27merge_sort_block_merge_implIS3_N6thrust23THRUST_200600_302600_NS6detail15normal_iteratorINS8_10device_ptrIiEEEESD_jNS1_19radix_merge_compareILb0ELb0EiNS0_19identity_decomposerEEEEE10hipError_tT0_T1_T2_jT3_P12ihipStream_tbPNSt15iterator_traitsISI_E10value_typeEPNSO_ISJ_E10value_typeEPSK_NS1_7vsmem_tEENKUlT_SI_SJ_SK_E_clIPiSD_S10_SD_EESH_SX_SI_SJ_SK_EUlSX_E1_NS1_11comp_targetILNS1_3genE10ELNS1_11target_archE1201ELNS1_3gpuE5ELNS1_3repE0EEENS1_36merge_oddeven_config_static_selectorELNS0_4arch9wavefront6targetE1EEEvSJ_
	.globl	_ZN7rocprim17ROCPRIM_400000_NS6detail17trampoline_kernelINS0_14default_configENS1_38merge_sort_block_merge_config_selectorIiiEEZZNS1_27merge_sort_block_merge_implIS3_N6thrust23THRUST_200600_302600_NS6detail15normal_iteratorINS8_10device_ptrIiEEEESD_jNS1_19radix_merge_compareILb0ELb0EiNS0_19identity_decomposerEEEEE10hipError_tT0_T1_T2_jT3_P12ihipStream_tbPNSt15iterator_traitsISI_E10value_typeEPNSO_ISJ_E10value_typeEPSK_NS1_7vsmem_tEENKUlT_SI_SJ_SK_E_clIPiSD_S10_SD_EESH_SX_SI_SJ_SK_EUlSX_E1_NS1_11comp_targetILNS1_3genE10ELNS1_11target_archE1201ELNS1_3gpuE5ELNS1_3repE0EEENS1_36merge_oddeven_config_static_selectorELNS0_4arch9wavefront6targetE1EEEvSJ_
	.p2align	8
	.type	_ZN7rocprim17ROCPRIM_400000_NS6detail17trampoline_kernelINS0_14default_configENS1_38merge_sort_block_merge_config_selectorIiiEEZZNS1_27merge_sort_block_merge_implIS3_N6thrust23THRUST_200600_302600_NS6detail15normal_iteratorINS8_10device_ptrIiEEEESD_jNS1_19radix_merge_compareILb0ELb0EiNS0_19identity_decomposerEEEEE10hipError_tT0_T1_T2_jT3_P12ihipStream_tbPNSt15iterator_traitsISI_E10value_typeEPNSO_ISJ_E10value_typeEPSK_NS1_7vsmem_tEENKUlT_SI_SJ_SK_E_clIPiSD_S10_SD_EESH_SX_SI_SJ_SK_EUlSX_E1_NS1_11comp_targetILNS1_3genE10ELNS1_11target_archE1201ELNS1_3gpuE5ELNS1_3repE0EEENS1_36merge_oddeven_config_static_selectorELNS0_4arch9wavefront6targetE1EEEvSJ_,@function
_ZN7rocprim17ROCPRIM_400000_NS6detail17trampoline_kernelINS0_14default_configENS1_38merge_sort_block_merge_config_selectorIiiEEZZNS1_27merge_sort_block_merge_implIS3_N6thrust23THRUST_200600_302600_NS6detail15normal_iteratorINS8_10device_ptrIiEEEESD_jNS1_19radix_merge_compareILb0ELb0EiNS0_19identity_decomposerEEEEE10hipError_tT0_T1_T2_jT3_P12ihipStream_tbPNSt15iterator_traitsISI_E10value_typeEPNSO_ISJ_E10value_typeEPSK_NS1_7vsmem_tEENKUlT_SI_SJ_SK_E_clIPiSD_S10_SD_EESH_SX_SI_SJ_SK_EUlSX_E1_NS1_11comp_targetILNS1_3genE10ELNS1_11target_archE1201ELNS1_3gpuE5ELNS1_3repE0EEENS1_36merge_oddeven_config_static_selectorELNS0_4arch9wavefront6targetE1EEEvSJ_: ; @_ZN7rocprim17ROCPRIM_400000_NS6detail17trampoline_kernelINS0_14default_configENS1_38merge_sort_block_merge_config_selectorIiiEEZZNS1_27merge_sort_block_merge_implIS3_N6thrust23THRUST_200600_302600_NS6detail15normal_iteratorINS8_10device_ptrIiEEEESD_jNS1_19radix_merge_compareILb0ELb0EiNS0_19identity_decomposerEEEEE10hipError_tT0_T1_T2_jT3_P12ihipStream_tbPNSt15iterator_traitsISI_E10value_typeEPNSO_ISJ_E10value_typeEPSK_NS1_7vsmem_tEENKUlT_SI_SJ_SK_E_clIPiSD_S10_SD_EESH_SX_SI_SJ_SK_EUlSX_E1_NS1_11comp_targetILNS1_3genE10ELNS1_11target_archE1201ELNS1_3gpuE5ELNS1_3repE0EEENS1_36merge_oddeven_config_static_selectorELNS0_4arch9wavefront6targetE1EEEvSJ_
; %bb.0:
	.section	.rodata,"a",@progbits
	.p2align	6, 0x0
	.amdhsa_kernel _ZN7rocprim17ROCPRIM_400000_NS6detail17trampoline_kernelINS0_14default_configENS1_38merge_sort_block_merge_config_selectorIiiEEZZNS1_27merge_sort_block_merge_implIS3_N6thrust23THRUST_200600_302600_NS6detail15normal_iteratorINS8_10device_ptrIiEEEESD_jNS1_19radix_merge_compareILb0ELb0EiNS0_19identity_decomposerEEEEE10hipError_tT0_T1_T2_jT3_P12ihipStream_tbPNSt15iterator_traitsISI_E10value_typeEPNSO_ISJ_E10value_typeEPSK_NS1_7vsmem_tEENKUlT_SI_SJ_SK_E_clIPiSD_S10_SD_EESH_SX_SI_SJ_SK_EUlSX_E1_NS1_11comp_targetILNS1_3genE10ELNS1_11target_archE1201ELNS1_3gpuE5ELNS1_3repE0EEENS1_36merge_oddeven_config_static_selectorELNS0_4arch9wavefront6targetE1EEEvSJ_
		.amdhsa_group_segment_fixed_size 0
		.amdhsa_private_segment_fixed_size 0
		.amdhsa_kernarg_size 48
		.amdhsa_user_sgpr_count 2
		.amdhsa_user_sgpr_dispatch_ptr 0
		.amdhsa_user_sgpr_queue_ptr 0
		.amdhsa_user_sgpr_kernarg_segment_ptr 1
		.amdhsa_user_sgpr_dispatch_id 0
		.amdhsa_user_sgpr_kernarg_preload_length 0
		.amdhsa_user_sgpr_kernarg_preload_offset 0
		.amdhsa_user_sgpr_private_segment_size 0
		.amdhsa_uses_dynamic_stack 0
		.amdhsa_enable_private_segment 0
		.amdhsa_system_sgpr_workgroup_id_x 1
		.amdhsa_system_sgpr_workgroup_id_y 0
		.amdhsa_system_sgpr_workgroup_id_z 0
		.amdhsa_system_sgpr_workgroup_info 0
		.amdhsa_system_vgpr_workitem_id 0
		.amdhsa_next_free_vgpr 1
		.amdhsa_next_free_sgpr 0
		.amdhsa_accum_offset 4
		.amdhsa_reserve_vcc 0
		.amdhsa_float_round_mode_32 0
		.amdhsa_float_round_mode_16_64 0
		.amdhsa_float_denorm_mode_32 3
		.amdhsa_float_denorm_mode_16_64 3
		.amdhsa_dx10_clamp 1
		.amdhsa_ieee_mode 1
		.amdhsa_fp16_overflow 0
		.amdhsa_tg_split 0
		.amdhsa_exception_fp_ieee_invalid_op 0
		.amdhsa_exception_fp_denorm_src 0
		.amdhsa_exception_fp_ieee_div_zero 0
		.amdhsa_exception_fp_ieee_overflow 0
		.amdhsa_exception_fp_ieee_underflow 0
		.amdhsa_exception_fp_ieee_inexact 0
		.amdhsa_exception_int_div_zero 0
	.end_amdhsa_kernel
	.section	.text._ZN7rocprim17ROCPRIM_400000_NS6detail17trampoline_kernelINS0_14default_configENS1_38merge_sort_block_merge_config_selectorIiiEEZZNS1_27merge_sort_block_merge_implIS3_N6thrust23THRUST_200600_302600_NS6detail15normal_iteratorINS8_10device_ptrIiEEEESD_jNS1_19radix_merge_compareILb0ELb0EiNS0_19identity_decomposerEEEEE10hipError_tT0_T1_T2_jT3_P12ihipStream_tbPNSt15iterator_traitsISI_E10value_typeEPNSO_ISJ_E10value_typeEPSK_NS1_7vsmem_tEENKUlT_SI_SJ_SK_E_clIPiSD_S10_SD_EESH_SX_SI_SJ_SK_EUlSX_E1_NS1_11comp_targetILNS1_3genE10ELNS1_11target_archE1201ELNS1_3gpuE5ELNS1_3repE0EEENS1_36merge_oddeven_config_static_selectorELNS0_4arch9wavefront6targetE1EEEvSJ_,"axG",@progbits,_ZN7rocprim17ROCPRIM_400000_NS6detail17trampoline_kernelINS0_14default_configENS1_38merge_sort_block_merge_config_selectorIiiEEZZNS1_27merge_sort_block_merge_implIS3_N6thrust23THRUST_200600_302600_NS6detail15normal_iteratorINS8_10device_ptrIiEEEESD_jNS1_19radix_merge_compareILb0ELb0EiNS0_19identity_decomposerEEEEE10hipError_tT0_T1_T2_jT3_P12ihipStream_tbPNSt15iterator_traitsISI_E10value_typeEPNSO_ISJ_E10value_typeEPSK_NS1_7vsmem_tEENKUlT_SI_SJ_SK_E_clIPiSD_S10_SD_EESH_SX_SI_SJ_SK_EUlSX_E1_NS1_11comp_targetILNS1_3genE10ELNS1_11target_archE1201ELNS1_3gpuE5ELNS1_3repE0EEENS1_36merge_oddeven_config_static_selectorELNS0_4arch9wavefront6targetE1EEEvSJ_,comdat
.Lfunc_end1304:
	.size	_ZN7rocprim17ROCPRIM_400000_NS6detail17trampoline_kernelINS0_14default_configENS1_38merge_sort_block_merge_config_selectorIiiEEZZNS1_27merge_sort_block_merge_implIS3_N6thrust23THRUST_200600_302600_NS6detail15normal_iteratorINS8_10device_ptrIiEEEESD_jNS1_19radix_merge_compareILb0ELb0EiNS0_19identity_decomposerEEEEE10hipError_tT0_T1_T2_jT3_P12ihipStream_tbPNSt15iterator_traitsISI_E10value_typeEPNSO_ISJ_E10value_typeEPSK_NS1_7vsmem_tEENKUlT_SI_SJ_SK_E_clIPiSD_S10_SD_EESH_SX_SI_SJ_SK_EUlSX_E1_NS1_11comp_targetILNS1_3genE10ELNS1_11target_archE1201ELNS1_3gpuE5ELNS1_3repE0EEENS1_36merge_oddeven_config_static_selectorELNS0_4arch9wavefront6targetE1EEEvSJ_, .Lfunc_end1304-_ZN7rocprim17ROCPRIM_400000_NS6detail17trampoline_kernelINS0_14default_configENS1_38merge_sort_block_merge_config_selectorIiiEEZZNS1_27merge_sort_block_merge_implIS3_N6thrust23THRUST_200600_302600_NS6detail15normal_iteratorINS8_10device_ptrIiEEEESD_jNS1_19radix_merge_compareILb0ELb0EiNS0_19identity_decomposerEEEEE10hipError_tT0_T1_T2_jT3_P12ihipStream_tbPNSt15iterator_traitsISI_E10value_typeEPNSO_ISJ_E10value_typeEPSK_NS1_7vsmem_tEENKUlT_SI_SJ_SK_E_clIPiSD_S10_SD_EESH_SX_SI_SJ_SK_EUlSX_E1_NS1_11comp_targetILNS1_3genE10ELNS1_11target_archE1201ELNS1_3gpuE5ELNS1_3repE0EEENS1_36merge_oddeven_config_static_selectorELNS0_4arch9wavefront6targetE1EEEvSJ_
                                        ; -- End function
	.set _ZN7rocprim17ROCPRIM_400000_NS6detail17trampoline_kernelINS0_14default_configENS1_38merge_sort_block_merge_config_selectorIiiEEZZNS1_27merge_sort_block_merge_implIS3_N6thrust23THRUST_200600_302600_NS6detail15normal_iteratorINS8_10device_ptrIiEEEESD_jNS1_19radix_merge_compareILb0ELb0EiNS0_19identity_decomposerEEEEE10hipError_tT0_T1_T2_jT3_P12ihipStream_tbPNSt15iterator_traitsISI_E10value_typeEPNSO_ISJ_E10value_typeEPSK_NS1_7vsmem_tEENKUlT_SI_SJ_SK_E_clIPiSD_S10_SD_EESH_SX_SI_SJ_SK_EUlSX_E1_NS1_11comp_targetILNS1_3genE10ELNS1_11target_archE1201ELNS1_3gpuE5ELNS1_3repE0EEENS1_36merge_oddeven_config_static_selectorELNS0_4arch9wavefront6targetE1EEEvSJ_.num_vgpr, 0
	.set _ZN7rocprim17ROCPRIM_400000_NS6detail17trampoline_kernelINS0_14default_configENS1_38merge_sort_block_merge_config_selectorIiiEEZZNS1_27merge_sort_block_merge_implIS3_N6thrust23THRUST_200600_302600_NS6detail15normal_iteratorINS8_10device_ptrIiEEEESD_jNS1_19radix_merge_compareILb0ELb0EiNS0_19identity_decomposerEEEEE10hipError_tT0_T1_T2_jT3_P12ihipStream_tbPNSt15iterator_traitsISI_E10value_typeEPNSO_ISJ_E10value_typeEPSK_NS1_7vsmem_tEENKUlT_SI_SJ_SK_E_clIPiSD_S10_SD_EESH_SX_SI_SJ_SK_EUlSX_E1_NS1_11comp_targetILNS1_3genE10ELNS1_11target_archE1201ELNS1_3gpuE5ELNS1_3repE0EEENS1_36merge_oddeven_config_static_selectorELNS0_4arch9wavefront6targetE1EEEvSJ_.num_agpr, 0
	.set _ZN7rocprim17ROCPRIM_400000_NS6detail17trampoline_kernelINS0_14default_configENS1_38merge_sort_block_merge_config_selectorIiiEEZZNS1_27merge_sort_block_merge_implIS3_N6thrust23THRUST_200600_302600_NS6detail15normal_iteratorINS8_10device_ptrIiEEEESD_jNS1_19radix_merge_compareILb0ELb0EiNS0_19identity_decomposerEEEEE10hipError_tT0_T1_T2_jT3_P12ihipStream_tbPNSt15iterator_traitsISI_E10value_typeEPNSO_ISJ_E10value_typeEPSK_NS1_7vsmem_tEENKUlT_SI_SJ_SK_E_clIPiSD_S10_SD_EESH_SX_SI_SJ_SK_EUlSX_E1_NS1_11comp_targetILNS1_3genE10ELNS1_11target_archE1201ELNS1_3gpuE5ELNS1_3repE0EEENS1_36merge_oddeven_config_static_selectorELNS0_4arch9wavefront6targetE1EEEvSJ_.numbered_sgpr, 0
	.set _ZN7rocprim17ROCPRIM_400000_NS6detail17trampoline_kernelINS0_14default_configENS1_38merge_sort_block_merge_config_selectorIiiEEZZNS1_27merge_sort_block_merge_implIS3_N6thrust23THRUST_200600_302600_NS6detail15normal_iteratorINS8_10device_ptrIiEEEESD_jNS1_19radix_merge_compareILb0ELb0EiNS0_19identity_decomposerEEEEE10hipError_tT0_T1_T2_jT3_P12ihipStream_tbPNSt15iterator_traitsISI_E10value_typeEPNSO_ISJ_E10value_typeEPSK_NS1_7vsmem_tEENKUlT_SI_SJ_SK_E_clIPiSD_S10_SD_EESH_SX_SI_SJ_SK_EUlSX_E1_NS1_11comp_targetILNS1_3genE10ELNS1_11target_archE1201ELNS1_3gpuE5ELNS1_3repE0EEENS1_36merge_oddeven_config_static_selectorELNS0_4arch9wavefront6targetE1EEEvSJ_.num_named_barrier, 0
	.set _ZN7rocprim17ROCPRIM_400000_NS6detail17trampoline_kernelINS0_14default_configENS1_38merge_sort_block_merge_config_selectorIiiEEZZNS1_27merge_sort_block_merge_implIS3_N6thrust23THRUST_200600_302600_NS6detail15normal_iteratorINS8_10device_ptrIiEEEESD_jNS1_19radix_merge_compareILb0ELb0EiNS0_19identity_decomposerEEEEE10hipError_tT0_T1_T2_jT3_P12ihipStream_tbPNSt15iterator_traitsISI_E10value_typeEPNSO_ISJ_E10value_typeEPSK_NS1_7vsmem_tEENKUlT_SI_SJ_SK_E_clIPiSD_S10_SD_EESH_SX_SI_SJ_SK_EUlSX_E1_NS1_11comp_targetILNS1_3genE10ELNS1_11target_archE1201ELNS1_3gpuE5ELNS1_3repE0EEENS1_36merge_oddeven_config_static_selectorELNS0_4arch9wavefront6targetE1EEEvSJ_.private_seg_size, 0
	.set _ZN7rocprim17ROCPRIM_400000_NS6detail17trampoline_kernelINS0_14default_configENS1_38merge_sort_block_merge_config_selectorIiiEEZZNS1_27merge_sort_block_merge_implIS3_N6thrust23THRUST_200600_302600_NS6detail15normal_iteratorINS8_10device_ptrIiEEEESD_jNS1_19radix_merge_compareILb0ELb0EiNS0_19identity_decomposerEEEEE10hipError_tT0_T1_T2_jT3_P12ihipStream_tbPNSt15iterator_traitsISI_E10value_typeEPNSO_ISJ_E10value_typeEPSK_NS1_7vsmem_tEENKUlT_SI_SJ_SK_E_clIPiSD_S10_SD_EESH_SX_SI_SJ_SK_EUlSX_E1_NS1_11comp_targetILNS1_3genE10ELNS1_11target_archE1201ELNS1_3gpuE5ELNS1_3repE0EEENS1_36merge_oddeven_config_static_selectorELNS0_4arch9wavefront6targetE1EEEvSJ_.uses_vcc, 0
	.set _ZN7rocprim17ROCPRIM_400000_NS6detail17trampoline_kernelINS0_14default_configENS1_38merge_sort_block_merge_config_selectorIiiEEZZNS1_27merge_sort_block_merge_implIS3_N6thrust23THRUST_200600_302600_NS6detail15normal_iteratorINS8_10device_ptrIiEEEESD_jNS1_19radix_merge_compareILb0ELb0EiNS0_19identity_decomposerEEEEE10hipError_tT0_T1_T2_jT3_P12ihipStream_tbPNSt15iterator_traitsISI_E10value_typeEPNSO_ISJ_E10value_typeEPSK_NS1_7vsmem_tEENKUlT_SI_SJ_SK_E_clIPiSD_S10_SD_EESH_SX_SI_SJ_SK_EUlSX_E1_NS1_11comp_targetILNS1_3genE10ELNS1_11target_archE1201ELNS1_3gpuE5ELNS1_3repE0EEENS1_36merge_oddeven_config_static_selectorELNS0_4arch9wavefront6targetE1EEEvSJ_.uses_flat_scratch, 0
	.set _ZN7rocprim17ROCPRIM_400000_NS6detail17trampoline_kernelINS0_14default_configENS1_38merge_sort_block_merge_config_selectorIiiEEZZNS1_27merge_sort_block_merge_implIS3_N6thrust23THRUST_200600_302600_NS6detail15normal_iteratorINS8_10device_ptrIiEEEESD_jNS1_19radix_merge_compareILb0ELb0EiNS0_19identity_decomposerEEEEE10hipError_tT0_T1_T2_jT3_P12ihipStream_tbPNSt15iterator_traitsISI_E10value_typeEPNSO_ISJ_E10value_typeEPSK_NS1_7vsmem_tEENKUlT_SI_SJ_SK_E_clIPiSD_S10_SD_EESH_SX_SI_SJ_SK_EUlSX_E1_NS1_11comp_targetILNS1_3genE10ELNS1_11target_archE1201ELNS1_3gpuE5ELNS1_3repE0EEENS1_36merge_oddeven_config_static_selectorELNS0_4arch9wavefront6targetE1EEEvSJ_.has_dyn_sized_stack, 0
	.set _ZN7rocprim17ROCPRIM_400000_NS6detail17trampoline_kernelINS0_14default_configENS1_38merge_sort_block_merge_config_selectorIiiEEZZNS1_27merge_sort_block_merge_implIS3_N6thrust23THRUST_200600_302600_NS6detail15normal_iteratorINS8_10device_ptrIiEEEESD_jNS1_19radix_merge_compareILb0ELb0EiNS0_19identity_decomposerEEEEE10hipError_tT0_T1_T2_jT3_P12ihipStream_tbPNSt15iterator_traitsISI_E10value_typeEPNSO_ISJ_E10value_typeEPSK_NS1_7vsmem_tEENKUlT_SI_SJ_SK_E_clIPiSD_S10_SD_EESH_SX_SI_SJ_SK_EUlSX_E1_NS1_11comp_targetILNS1_3genE10ELNS1_11target_archE1201ELNS1_3gpuE5ELNS1_3repE0EEENS1_36merge_oddeven_config_static_selectorELNS0_4arch9wavefront6targetE1EEEvSJ_.has_recursion, 0
	.set _ZN7rocprim17ROCPRIM_400000_NS6detail17trampoline_kernelINS0_14default_configENS1_38merge_sort_block_merge_config_selectorIiiEEZZNS1_27merge_sort_block_merge_implIS3_N6thrust23THRUST_200600_302600_NS6detail15normal_iteratorINS8_10device_ptrIiEEEESD_jNS1_19radix_merge_compareILb0ELb0EiNS0_19identity_decomposerEEEEE10hipError_tT0_T1_T2_jT3_P12ihipStream_tbPNSt15iterator_traitsISI_E10value_typeEPNSO_ISJ_E10value_typeEPSK_NS1_7vsmem_tEENKUlT_SI_SJ_SK_E_clIPiSD_S10_SD_EESH_SX_SI_SJ_SK_EUlSX_E1_NS1_11comp_targetILNS1_3genE10ELNS1_11target_archE1201ELNS1_3gpuE5ELNS1_3repE0EEENS1_36merge_oddeven_config_static_selectorELNS0_4arch9wavefront6targetE1EEEvSJ_.has_indirect_call, 0
	.section	.AMDGPU.csdata,"",@progbits
; Kernel info:
; codeLenInByte = 0
; TotalNumSgprs: 6
; NumVgprs: 0
; NumAgprs: 0
; TotalNumVgprs: 0
; ScratchSize: 0
; MemoryBound: 0
; FloatMode: 240
; IeeeMode: 1
; LDSByteSize: 0 bytes/workgroup (compile time only)
; SGPRBlocks: 0
; VGPRBlocks: 0
; NumSGPRsForWavesPerEU: 6
; NumVGPRsForWavesPerEU: 1
; AccumOffset: 4
; Occupancy: 8
; WaveLimiterHint : 0
; COMPUTE_PGM_RSRC2:SCRATCH_EN: 0
; COMPUTE_PGM_RSRC2:USER_SGPR: 2
; COMPUTE_PGM_RSRC2:TRAP_HANDLER: 0
; COMPUTE_PGM_RSRC2:TGID_X_EN: 1
; COMPUTE_PGM_RSRC2:TGID_Y_EN: 0
; COMPUTE_PGM_RSRC2:TGID_Z_EN: 0
; COMPUTE_PGM_RSRC2:TIDIG_COMP_CNT: 0
; COMPUTE_PGM_RSRC3_GFX90A:ACCUM_OFFSET: 0
; COMPUTE_PGM_RSRC3_GFX90A:TG_SPLIT: 0
	.section	.text._ZN7rocprim17ROCPRIM_400000_NS6detail17trampoline_kernelINS0_14default_configENS1_38merge_sort_block_merge_config_selectorIiiEEZZNS1_27merge_sort_block_merge_implIS3_N6thrust23THRUST_200600_302600_NS6detail15normal_iteratorINS8_10device_ptrIiEEEESD_jNS1_19radix_merge_compareILb0ELb0EiNS0_19identity_decomposerEEEEE10hipError_tT0_T1_T2_jT3_P12ihipStream_tbPNSt15iterator_traitsISI_E10value_typeEPNSO_ISJ_E10value_typeEPSK_NS1_7vsmem_tEENKUlT_SI_SJ_SK_E_clIPiSD_S10_SD_EESH_SX_SI_SJ_SK_EUlSX_E1_NS1_11comp_targetILNS1_3genE5ELNS1_11target_archE942ELNS1_3gpuE9ELNS1_3repE0EEENS1_36merge_oddeven_config_static_selectorELNS0_4arch9wavefront6targetE1EEEvSJ_,"axG",@progbits,_ZN7rocprim17ROCPRIM_400000_NS6detail17trampoline_kernelINS0_14default_configENS1_38merge_sort_block_merge_config_selectorIiiEEZZNS1_27merge_sort_block_merge_implIS3_N6thrust23THRUST_200600_302600_NS6detail15normal_iteratorINS8_10device_ptrIiEEEESD_jNS1_19radix_merge_compareILb0ELb0EiNS0_19identity_decomposerEEEEE10hipError_tT0_T1_T2_jT3_P12ihipStream_tbPNSt15iterator_traitsISI_E10value_typeEPNSO_ISJ_E10value_typeEPSK_NS1_7vsmem_tEENKUlT_SI_SJ_SK_E_clIPiSD_S10_SD_EESH_SX_SI_SJ_SK_EUlSX_E1_NS1_11comp_targetILNS1_3genE5ELNS1_11target_archE942ELNS1_3gpuE9ELNS1_3repE0EEENS1_36merge_oddeven_config_static_selectorELNS0_4arch9wavefront6targetE1EEEvSJ_,comdat
	.protected	_ZN7rocprim17ROCPRIM_400000_NS6detail17trampoline_kernelINS0_14default_configENS1_38merge_sort_block_merge_config_selectorIiiEEZZNS1_27merge_sort_block_merge_implIS3_N6thrust23THRUST_200600_302600_NS6detail15normal_iteratorINS8_10device_ptrIiEEEESD_jNS1_19radix_merge_compareILb0ELb0EiNS0_19identity_decomposerEEEEE10hipError_tT0_T1_T2_jT3_P12ihipStream_tbPNSt15iterator_traitsISI_E10value_typeEPNSO_ISJ_E10value_typeEPSK_NS1_7vsmem_tEENKUlT_SI_SJ_SK_E_clIPiSD_S10_SD_EESH_SX_SI_SJ_SK_EUlSX_E1_NS1_11comp_targetILNS1_3genE5ELNS1_11target_archE942ELNS1_3gpuE9ELNS1_3repE0EEENS1_36merge_oddeven_config_static_selectorELNS0_4arch9wavefront6targetE1EEEvSJ_ ; -- Begin function _ZN7rocprim17ROCPRIM_400000_NS6detail17trampoline_kernelINS0_14default_configENS1_38merge_sort_block_merge_config_selectorIiiEEZZNS1_27merge_sort_block_merge_implIS3_N6thrust23THRUST_200600_302600_NS6detail15normal_iteratorINS8_10device_ptrIiEEEESD_jNS1_19radix_merge_compareILb0ELb0EiNS0_19identity_decomposerEEEEE10hipError_tT0_T1_T2_jT3_P12ihipStream_tbPNSt15iterator_traitsISI_E10value_typeEPNSO_ISJ_E10value_typeEPSK_NS1_7vsmem_tEENKUlT_SI_SJ_SK_E_clIPiSD_S10_SD_EESH_SX_SI_SJ_SK_EUlSX_E1_NS1_11comp_targetILNS1_3genE5ELNS1_11target_archE942ELNS1_3gpuE9ELNS1_3repE0EEENS1_36merge_oddeven_config_static_selectorELNS0_4arch9wavefront6targetE1EEEvSJ_
	.globl	_ZN7rocprim17ROCPRIM_400000_NS6detail17trampoline_kernelINS0_14default_configENS1_38merge_sort_block_merge_config_selectorIiiEEZZNS1_27merge_sort_block_merge_implIS3_N6thrust23THRUST_200600_302600_NS6detail15normal_iteratorINS8_10device_ptrIiEEEESD_jNS1_19radix_merge_compareILb0ELb0EiNS0_19identity_decomposerEEEEE10hipError_tT0_T1_T2_jT3_P12ihipStream_tbPNSt15iterator_traitsISI_E10value_typeEPNSO_ISJ_E10value_typeEPSK_NS1_7vsmem_tEENKUlT_SI_SJ_SK_E_clIPiSD_S10_SD_EESH_SX_SI_SJ_SK_EUlSX_E1_NS1_11comp_targetILNS1_3genE5ELNS1_11target_archE942ELNS1_3gpuE9ELNS1_3repE0EEENS1_36merge_oddeven_config_static_selectorELNS0_4arch9wavefront6targetE1EEEvSJ_
	.p2align	8
	.type	_ZN7rocprim17ROCPRIM_400000_NS6detail17trampoline_kernelINS0_14default_configENS1_38merge_sort_block_merge_config_selectorIiiEEZZNS1_27merge_sort_block_merge_implIS3_N6thrust23THRUST_200600_302600_NS6detail15normal_iteratorINS8_10device_ptrIiEEEESD_jNS1_19radix_merge_compareILb0ELb0EiNS0_19identity_decomposerEEEEE10hipError_tT0_T1_T2_jT3_P12ihipStream_tbPNSt15iterator_traitsISI_E10value_typeEPNSO_ISJ_E10value_typeEPSK_NS1_7vsmem_tEENKUlT_SI_SJ_SK_E_clIPiSD_S10_SD_EESH_SX_SI_SJ_SK_EUlSX_E1_NS1_11comp_targetILNS1_3genE5ELNS1_11target_archE942ELNS1_3gpuE9ELNS1_3repE0EEENS1_36merge_oddeven_config_static_selectorELNS0_4arch9wavefront6targetE1EEEvSJ_,@function
_ZN7rocprim17ROCPRIM_400000_NS6detail17trampoline_kernelINS0_14default_configENS1_38merge_sort_block_merge_config_selectorIiiEEZZNS1_27merge_sort_block_merge_implIS3_N6thrust23THRUST_200600_302600_NS6detail15normal_iteratorINS8_10device_ptrIiEEEESD_jNS1_19radix_merge_compareILb0ELb0EiNS0_19identity_decomposerEEEEE10hipError_tT0_T1_T2_jT3_P12ihipStream_tbPNSt15iterator_traitsISI_E10value_typeEPNSO_ISJ_E10value_typeEPSK_NS1_7vsmem_tEENKUlT_SI_SJ_SK_E_clIPiSD_S10_SD_EESH_SX_SI_SJ_SK_EUlSX_E1_NS1_11comp_targetILNS1_3genE5ELNS1_11target_archE942ELNS1_3gpuE9ELNS1_3repE0EEENS1_36merge_oddeven_config_static_selectorELNS0_4arch9wavefront6targetE1EEEvSJ_: ; @_ZN7rocprim17ROCPRIM_400000_NS6detail17trampoline_kernelINS0_14default_configENS1_38merge_sort_block_merge_config_selectorIiiEEZZNS1_27merge_sort_block_merge_implIS3_N6thrust23THRUST_200600_302600_NS6detail15normal_iteratorINS8_10device_ptrIiEEEESD_jNS1_19radix_merge_compareILb0ELb0EiNS0_19identity_decomposerEEEEE10hipError_tT0_T1_T2_jT3_P12ihipStream_tbPNSt15iterator_traitsISI_E10value_typeEPNSO_ISJ_E10value_typeEPSK_NS1_7vsmem_tEENKUlT_SI_SJ_SK_E_clIPiSD_S10_SD_EESH_SX_SI_SJ_SK_EUlSX_E1_NS1_11comp_targetILNS1_3genE5ELNS1_11target_archE942ELNS1_3gpuE9ELNS1_3repE0EEENS1_36merge_oddeven_config_static_selectorELNS0_4arch9wavefront6targetE1EEEvSJ_
; %bb.0:
	.section	.rodata,"a",@progbits
	.p2align	6, 0x0
	.amdhsa_kernel _ZN7rocprim17ROCPRIM_400000_NS6detail17trampoline_kernelINS0_14default_configENS1_38merge_sort_block_merge_config_selectorIiiEEZZNS1_27merge_sort_block_merge_implIS3_N6thrust23THRUST_200600_302600_NS6detail15normal_iteratorINS8_10device_ptrIiEEEESD_jNS1_19radix_merge_compareILb0ELb0EiNS0_19identity_decomposerEEEEE10hipError_tT0_T1_T2_jT3_P12ihipStream_tbPNSt15iterator_traitsISI_E10value_typeEPNSO_ISJ_E10value_typeEPSK_NS1_7vsmem_tEENKUlT_SI_SJ_SK_E_clIPiSD_S10_SD_EESH_SX_SI_SJ_SK_EUlSX_E1_NS1_11comp_targetILNS1_3genE5ELNS1_11target_archE942ELNS1_3gpuE9ELNS1_3repE0EEENS1_36merge_oddeven_config_static_selectorELNS0_4arch9wavefront6targetE1EEEvSJ_
		.amdhsa_group_segment_fixed_size 0
		.amdhsa_private_segment_fixed_size 0
		.amdhsa_kernarg_size 48
		.amdhsa_user_sgpr_count 2
		.amdhsa_user_sgpr_dispatch_ptr 0
		.amdhsa_user_sgpr_queue_ptr 0
		.amdhsa_user_sgpr_kernarg_segment_ptr 1
		.amdhsa_user_sgpr_dispatch_id 0
		.amdhsa_user_sgpr_kernarg_preload_length 0
		.amdhsa_user_sgpr_kernarg_preload_offset 0
		.amdhsa_user_sgpr_private_segment_size 0
		.amdhsa_uses_dynamic_stack 0
		.amdhsa_enable_private_segment 0
		.amdhsa_system_sgpr_workgroup_id_x 1
		.amdhsa_system_sgpr_workgroup_id_y 0
		.amdhsa_system_sgpr_workgroup_id_z 0
		.amdhsa_system_sgpr_workgroup_info 0
		.amdhsa_system_vgpr_workitem_id 0
		.amdhsa_next_free_vgpr 1
		.amdhsa_next_free_sgpr 0
		.amdhsa_accum_offset 4
		.amdhsa_reserve_vcc 0
		.amdhsa_float_round_mode_32 0
		.amdhsa_float_round_mode_16_64 0
		.amdhsa_float_denorm_mode_32 3
		.amdhsa_float_denorm_mode_16_64 3
		.amdhsa_dx10_clamp 1
		.amdhsa_ieee_mode 1
		.amdhsa_fp16_overflow 0
		.amdhsa_tg_split 0
		.amdhsa_exception_fp_ieee_invalid_op 0
		.amdhsa_exception_fp_denorm_src 0
		.amdhsa_exception_fp_ieee_div_zero 0
		.amdhsa_exception_fp_ieee_overflow 0
		.amdhsa_exception_fp_ieee_underflow 0
		.amdhsa_exception_fp_ieee_inexact 0
		.amdhsa_exception_int_div_zero 0
	.end_amdhsa_kernel
	.section	.text._ZN7rocprim17ROCPRIM_400000_NS6detail17trampoline_kernelINS0_14default_configENS1_38merge_sort_block_merge_config_selectorIiiEEZZNS1_27merge_sort_block_merge_implIS3_N6thrust23THRUST_200600_302600_NS6detail15normal_iteratorINS8_10device_ptrIiEEEESD_jNS1_19radix_merge_compareILb0ELb0EiNS0_19identity_decomposerEEEEE10hipError_tT0_T1_T2_jT3_P12ihipStream_tbPNSt15iterator_traitsISI_E10value_typeEPNSO_ISJ_E10value_typeEPSK_NS1_7vsmem_tEENKUlT_SI_SJ_SK_E_clIPiSD_S10_SD_EESH_SX_SI_SJ_SK_EUlSX_E1_NS1_11comp_targetILNS1_3genE5ELNS1_11target_archE942ELNS1_3gpuE9ELNS1_3repE0EEENS1_36merge_oddeven_config_static_selectorELNS0_4arch9wavefront6targetE1EEEvSJ_,"axG",@progbits,_ZN7rocprim17ROCPRIM_400000_NS6detail17trampoline_kernelINS0_14default_configENS1_38merge_sort_block_merge_config_selectorIiiEEZZNS1_27merge_sort_block_merge_implIS3_N6thrust23THRUST_200600_302600_NS6detail15normal_iteratorINS8_10device_ptrIiEEEESD_jNS1_19radix_merge_compareILb0ELb0EiNS0_19identity_decomposerEEEEE10hipError_tT0_T1_T2_jT3_P12ihipStream_tbPNSt15iterator_traitsISI_E10value_typeEPNSO_ISJ_E10value_typeEPSK_NS1_7vsmem_tEENKUlT_SI_SJ_SK_E_clIPiSD_S10_SD_EESH_SX_SI_SJ_SK_EUlSX_E1_NS1_11comp_targetILNS1_3genE5ELNS1_11target_archE942ELNS1_3gpuE9ELNS1_3repE0EEENS1_36merge_oddeven_config_static_selectorELNS0_4arch9wavefront6targetE1EEEvSJ_,comdat
.Lfunc_end1305:
	.size	_ZN7rocprim17ROCPRIM_400000_NS6detail17trampoline_kernelINS0_14default_configENS1_38merge_sort_block_merge_config_selectorIiiEEZZNS1_27merge_sort_block_merge_implIS3_N6thrust23THRUST_200600_302600_NS6detail15normal_iteratorINS8_10device_ptrIiEEEESD_jNS1_19radix_merge_compareILb0ELb0EiNS0_19identity_decomposerEEEEE10hipError_tT0_T1_T2_jT3_P12ihipStream_tbPNSt15iterator_traitsISI_E10value_typeEPNSO_ISJ_E10value_typeEPSK_NS1_7vsmem_tEENKUlT_SI_SJ_SK_E_clIPiSD_S10_SD_EESH_SX_SI_SJ_SK_EUlSX_E1_NS1_11comp_targetILNS1_3genE5ELNS1_11target_archE942ELNS1_3gpuE9ELNS1_3repE0EEENS1_36merge_oddeven_config_static_selectorELNS0_4arch9wavefront6targetE1EEEvSJ_, .Lfunc_end1305-_ZN7rocprim17ROCPRIM_400000_NS6detail17trampoline_kernelINS0_14default_configENS1_38merge_sort_block_merge_config_selectorIiiEEZZNS1_27merge_sort_block_merge_implIS3_N6thrust23THRUST_200600_302600_NS6detail15normal_iteratorINS8_10device_ptrIiEEEESD_jNS1_19radix_merge_compareILb0ELb0EiNS0_19identity_decomposerEEEEE10hipError_tT0_T1_T2_jT3_P12ihipStream_tbPNSt15iterator_traitsISI_E10value_typeEPNSO_ISJ_E10value_typeEPSK_NS1_7vsmem_tEENKUlT_SI_SJ_SK_E_clIPiSD_S10_SD_EESH_SX_SI_SJ_SK_EUlSX_E1_NS1_11comp_targetILNS1_3genE5ELNS1_11target_archE942ELNS1_3gpuE9ELNS1_3repE0EEENS1_36merge_oddeven_config_static_selectorELNS0_4arch9wavefront6targetE1EEEvSJ_
                                        ; -- End function
	.set _ZN7rocprim17ROCPRIM_400000_NS6detail17trampoline_kernelINS0_14default_configENS1_38merge_sort_block_merge_config_selectorIiiEEZZNS1_27merge_sort_block_merge_implIS3_N6thrust23THRUST_200600_302600_NS6detail15normal_iteratorINS8_10device_ptrIiEEEESD_jNS1_19radix_merge_compareILb0ELb0EiNS0_19identity_decomposerEEEEE10hipError_tT0_T1_T2_jT3_P12ihipStream_tbPNSt15iterator_traitsISI_E10value_typeEPNSO_ISJ_E10value_typeEPSK_NS1_7vsmem_tEENKUlT_SI_SJ_SK_E_clIPiSD_S10_SD_EESH_SX_SI_SJ_SK_EUlSX_E1_NS1_11comp_targetILNS1_3genE5ELNS1_11target_archE942ELNS1_3gpuE9ELNS1_3repE0EEENS1_36merge_oddeven_config_static_selectorELNS0_4arch9wavefront6targetE1EEEvSJ_.num_vgpr, 0
	.set _ZN7rocprim17ROCPRIM_400000_NS6detail17trampoline_kernelINS0_14default_configENS1_38merge_sort_block_merge_config_selectorIiiEEZZNS1_27merge_sort_block_merge_implIS3_N6thrust23THRUST_200600_302600_NS6detail15normal_iteratorINS8_10device_ptrIiEEEESD_jNS1_19radix_merge_compareILb0ELb0EiNS0_19identity_decomposerEEEEE10hipError_tT0_T1_T2_jT3_P12ihipStream_tbPNSt15iterator_traitsISI_E10value_typeEPNSO_ISJ_E10value_typeEPSK_NS1_7vsmem_tEENKUlT_SI_SJ_SK_E_clIPiSD_S10_SD_EESH_SX_SI_SJ_SK_EUlSX_E1_NS1_11comp_targetILNS1_3genE5ELNS1_11target_archE942ELNS1_3gpuE9ELNS1_3repE0EEENS1_36merge_oddeven_config_static_selectorELNS0_4arch9wavefront6targetE1EEEvSJ_.num_agpr, 0
	.set _ZN7rocprim17ROCPRIM_400000_NS6detail17trampoline_kernelINS0_14default_configENS1_38merge_sort_block_merge_config_selectorIiiEEZZNS1_27merge_sort_block_merge_implIS3_N6thrust23THRUST_200600_302600_NS6detail15normal_iteratorINS8_10device_ptrIiEEEESD_jNS1_19radix_merge_compareILb0ELb0EiNS0_19identity_decomposerEEEEE10hipError_tT0_T1_T2_jT3_P12ihipStream_tbPNSt15iterator_traitsISI_E10value_typeEPNSO_ISJ_E10value_typeEPSK_NS1_7vsmem_tEENKUlT_SI_SJ_SK_E_clIPiSD_S10_SD_EESH_SX_SI_SJ_SK_EUlSX_E1_NS1_11comp_targetILNS1_3genE5ELNS1_11target_archE942ELNS1_3gpuE9ELNS1_3repE0EEENS1_36merge_oddeven_config_static_selectorELNS0_4arch9wavefront6targetE1EEEvSJ_.numbered_sgpr, 0
	.set _ZN7rocprim17ROCPRIM_400000_NS6detail17trampoline_kernelINS0_14default_configENS1_38merge_sort_block_merge_config_selectorIiiEEZZNS1_27merge_sort_block_merge_implIS3_N6thrust23THRUST_200600_302600_NS6detail15normal_iteratorINS8_10device_ptrIiEEEESD_jNS1_19radix_merge_compareILb0ELb0EiNS0_19identity_decomposerEEEEE10hipError_tT0_T1_T2_jT3_P12ihipStream_tbPNSt15iterator_traitsISI_E10value_typeEPNSO_ISJ_E10value_typeEPSK_NS1_7vsmem_tEENKUlT_SI_SJ_SK_E_clIPiSD_S10_SD_EESH_SX_SI_SJ_SK_EUlSX_E1_NS1_11comp_targetILNS1_3genE5ELNS1_11target_archE942ELNS1_3gpuE9ELNS1_3repE0EEENS1_36merge_oddeven_config_static_selectorELNS0_4arch9wavefront6targetE1EEEvSJ_.num_named_barrier, 0
	.set _ZN7rocprim17ROCPRIM_400000_NS6detail17trampoline_kernelINS0_14default_configENS1_38merge_sort_block_merge_config_selectorIiiEEZZNS1_27merge_sort_block_merge_implIS3_N6thrust23THRUST_200600_302600_NS6detail15normal_iteratorINS8_10device_ptrIiEEEESD_jNS1_19radix_merge_compareILb0ELb0EiNS0_19identity_decomposerEEEEE10hipError_tT0_T1_T2_jT3_P12ihipStream_tbPNSt15iterator_traitsISI_E10value_typeEPNSO_ISJ_E10value_typeEPSK_NS1_7vsmem_tEENKUlT_SI_SJ_SK_E_clIPiSD_S10_SD_EESH_SX_SI_SJ_SK_EUlSX_E1_NS1_11comp_targetILNS1_3genE5ELNS1_11target_archE942ELNS1_3gpuE9ELNS1_3repE0EEENS1_36merge_oddeven_config_static_selectorELNS0_4arch9wavefront6targetE1EEEvSJ_.private_seg_size, 0
	.set _ZN7rocprim17ROCPRIM_400000_NS6detail17trampoline_kernelINS0_14default_configENS1_38merge_sort_block_merge_config_selectorIiiEEZZNS1_27merge_sort_block_merge_implIS3_N6thrust23THRUST_200600_302600_NS6detail15normal_iteratorINS8_10device_ptrIiEEEESD_jNS1_19radix_merge_compareILb0ELb0EiNS0_19identity_decomposerEEEEE10hipError_tT0_T1_T2_jT3_P12ihipStream_tbPNSt15iterator_traitsISI_E10value_typeEPNSO_ISJ_E10value_typeEPSK_NS1_7vsmem_tEENKUlT_SI_SJ_SK_E_clIPiSD_S10_SD_EESH_SX_SI_SJ_SK_EUlSX_E1_NS1_11comp_targetILNS1_3genE5ELNS1_11target_archE942ELNS1_3gpuE9ELNS1_3repE0EEENS1_36merge_oddeven_config_static_selectorELNS0_4arch9wavefront6targetE1EEEvSJ_.uses_vcc, 0
	.set _ZN7rocprim17ROCPRIM_400000_NS6detail17trampoline_kernelINS0_14default_configENS1_38merge_sort_block_merge_config_selectorIiiEEZZNS1_27merge_sort_block_merge_implIS3_N6thrust23THRUST_200600_302600_NS6detail15normal_iteratorINS8_10device_ptrIiEEEESD_jNS1_19radix_merge_compareILb0ELb0EiNS0_19identity_decomposerEEEEE10hipError_tT0_T1_T2_jT3_P12ihipStream_tbPNSt15iterator_traitsISI_E10value_typeEPNSO_ISJ_E10value_typeEPSK_NS1_7vsmem_tEENKUlT_SI_SJ_SK_E_clIPiSD_S10_SD_EESH_SX_SI_SJ_SK_EUlSX_E1_NS1_11comp_targetILNS1_3genE5ELNS1_11target_archE942ELNS1_3gpuE9ELNS1_3repE0EEENS1_36merge_oddeven_config_static_selectorELNS0_4arch9wavefront6targetE1EEEvSJ_.uses_flat_scratch, 0
	.set _ZN7rocprim17ROCPRIM_400000_NS6detail17trampoline_kernelINS0_14default_configENS1_38merge_sort_block_merge_config_selectorIiiEEZZNS1_27merge_sort_block_merge_implIS3_N6thrust23THRUST_200600_302600_NS6detail15normal_iteratorINS8_10device_ptrIiEEEESD_jNS1_19radix_merge_compareILb0ELb0EiNS0_19identity_decomposerEEEEE10hipError_tT0_T1_T2_jT3_P12ihipStream_tbPNSt15iterator_traitsISI_E10value_typeEPNSO_ISJ_E10value_typeEPSK_NS1_7vsmem_tEENKUlT_SI_SJ_SK_E_clIPiSD_S10_SD_EESH_SX_SI_SJ_SK_EUlSX_E1_NS1_11comp_targetILNS1_3genE5ELNS1_11target_archE942ELNS1_3gpuE9ELNS1_3repE0EEENS1_36merge_oddeven_config_static_selectorELNS0_4arch9wavefront6targetE1EEEvSJ_.has_dyn_sized_stack, 0
	.set _ZN7rocprim17ROCPRIM_400000_NS6detail17trampoline_kernelINS0_14default_configENS1_38merge_sort_block_merge_config_selectorIiiEEZZNS1_27merge_sort_block_merge_implIS3_N6thrust23THRUST_200600_302600_NS6detail15normal_iteratorINS8_10device_ptrIiEEEESD_jNS1_19radix_merge_compareILb0ELb0EiNS0_19identity_decomposerEEEEE10hipError_tT0_T1_T2_jT3_P12ihipStream_tbPNSt15iterator_traitsISI_E10value_typeEPNSO_ISJ_E10value_typeEPSK_NS1_7vsmem_tEENKUlT_SI_SJ_SK_E_clIPiSD_S10_SD_EESH_SX_SI_SJ_SK_EUlSX_E1_NS1_11comp_targetILNS1_3genE5ELNS1_11target_archE942ELNS1_3gpuE9ELNS1_3repE0EEENS1_36merge_oddeven_config_static_selectorELNS0_4arch9wavefront6targetE1EEEvSJ_.has_recursion, 0
	.set _ZN7rocprim17ROCPRIM_400000_NS6detail17trampoline_kernelINS0_14default_configENS1_38merge_sort_block_merge_config_selectorIiiEEZZNS1_27merge_sort_block_merge_implIS3_N6thrust23THRUST_200600_302600_NS6detail15normal_iteratorINS8_10device_ptrIiEEEESD_jNS1_19radix_merge_compareILb0ELb0EiNS0_19identity_decomposerEEEEE10hipError_tT0_T1_T2_jT3_P12ihipStream_tbPNSt15iterator_traitsISI_E10value_typeEPNSO_ISJ_E10value_typeEPSK_NS1_7vsmem_tEENKUlT_SI_SJ_SK_E_clIPiSD_S10_SD_EESH_SX_SI_SJ_SK_EUlSX_E1_NS1_11comp_targetILNS1_3genE5ELNS1_11target_archE942ELNS1_3gpuE9ELNS1_3repE0EEENS1_36merge_oddeven_config_static_selectorELNS0_4arch9wavefront6targetE1EEEvSJ_.has_indirect_call, 0
	.section	.AMDGPU.csdata,"",@progbits
; Kernel info:
; codeLenInByte = 0
; TotalNumSgprs: 6
; NumVgprs: 0
; NumAgprs: 0
; TotalNumVgprs: 0
; ScratchSize: 0
; MemoryBound: 0
; FloatMode: 240
; IeeeMode: 1
; LDSByteSize: 0 bytes/workgroup (compile time only)
; SGPRBlocks: 0
; VGPRBlocks: 0
; NumSGPRsForWavesPerEU: 6
; NumVGPRsForWavesPerEU: 1
; AccumOffset: 4
; Occupancy: 8
; WaveLimiterHint : 0
; COMPUTE_PGM_RSRC2:SCRATCH_EN: 0
; COMPUTE_PGM_RSRC2:USER_SGPR: 2
; COMPUTE_PGM_RSRC2:TRAP_HANDLER: 0
; COMPUTE_PGM_RSRC2:TGID_X_EN: 1
; COMPUTE_PGM_RSRC2:TGID_Y_EN: 0
; COMPUTE_PGM_RSRC2:TGID_Z_EN: 0
; COMPUTE_PGM_RSRC2:TIDIG_COMP_CNT: 0
; COMPUTE_PGM_RSRC3_GFX90A:ACCUM_OFFSET: 0
; COMPUTE_PGM_RSRC3_GFX90A:TG_SPLIT: 0
	.section	.text._ZN7rocprim17ROCPRIM_400000_NS6detail17trampoline_kernelINS0_14default_configENS1_38merge_sort_block_merge_config_selectorIiiEEZZNS1_27merge_sort_block_merge_implIS3_N6thrust23THRUST_200600_302600_NS6detail15normal_iteratorINS8_10device_ptrIiEEEESD_jNS1_19radix_merge_compareILb0ELb0EiNS0_19identity_decomposerEEEEE10hipError_tT0_T1_T2_jT3_P12ihipStream_tbPNSt15iterator_traitsISI_E10value_typeEPNSO_ISJ_E10value_typeEPSK_NS1_7vsmem_tEENKUlT_SI_SJ_SK_E_clIPiSD_S10_SD_EESH_SX_SI_SJ_SK_EUlSX_E1_NS1_11comp_targetILNS1_3genE4ELNS1_11target_archE910ELNS1_3gpuE8ELNS1_3repE0EEENS1_36merge_oddeven_config_static_selectorELNS0_4arch9wavefront6targetE1EEEvSJ_,"axG",@progbits,_ZN7rocprim17ROCPRIM_400000_NS6detail17trampoline_kernelINS0_14default_configENS1_38merge_sort_block_merge_config_selectorIiiEEZZNS1_27merge_sort_block_merge_implIS3_N6thrust23THRUST_200600_302600_NS6detail15normal_iteratorINS8_10device_ptrIiEEEESD_jNS1_19radix_merge_compareILb0ELb0EiNS0_19identity_decomposerEEEEE10hipError_tT0_T1_T2_jT3_P12ihipStream_tbPNSt15iterator_traitsISI_E10value_typeEPNSO_ISJ_E10value_typeEPSK_NS1_7vsmem_tEENKUlT_SI_SJ_SK_E_clIPiSD_S10_SD_EESH_SX_SI_SJ_SK_EUlSX_E1_NS1_11comp_targetILNS1_3genE4ELNS1_11target_archE910ELNS1_3gpuE8ELNS1_3repE0EEENS1_36merge_oddeven_config_static_selectorELNS0_4arch9wavefront6targetE1EEEvSJ_,comdat
	.protected	_ZN7rocprim17ROCPRIM_400000_NS6detail17trampoline_kernelINS0_14default_configENS1_38merge_sort_block_merge_config_selectorIiiEEZZNS1_27merge_sort_block_merge_implIS3_N6thrust23THRUST_200600_302600_NS6detail15normal_iteratorINS8_10device_ptrIiEEEESD_jNS1_19radix_merge_compareILb0ELb0EiNS0_19identity_decomposerEEEEE10hipError_tT0_T1_T2_jT3_P12ihipStream_tbPNSt15iterator_traitsISI_E10value_typeEPNSO_ISJ_E10value_typeEPSK_NS1_7vsmem_tEENKUlT_SI_SJ_SK_E_clIPiSD_S10_SD_EESH_SX_SI_SJ_SK_EUlSX_E1_NS1_11comp_targetILNS1_3genE4ELNS1_11target_archE910ELNS1_3gpuE8ELNS1_3repE0EEENS1_36merge_oddeven_config_static_selectorELNS0_4arch9wavefront6targetE1EEEvSJ_ ; -- Begin function _ZN7rocprim17ROCPRIM_400000_NS6detail17trampoline_kernelINS0_14default_configENS1_38merge_sort_block_merge_config_selectorIiiEEZZNS1_27merge_sort_block_merge_implIS3_N6thrust23THRUST_200600_302600_NS6detail15normal_iteratorINS8_10device_ptrIiEEEESD_jNS1_19radix_merge_compareILb0ELb0EiNS0_19identity_decomposerEEEEE10hipError_tT0_T1_T2_jT3_P12ihipStream_tbPNSt15iterator_traitsISI_E10value_typeEPNSO_ISJ_E10value_typeEPSK_NS1_7vsmem_tEENKUlT_SI_SJ_SK_E_clIPiSD_S10_SD_EESH_SX_SI_SJ_SK_EUlSX_E1_NS1_11comp_targetILNS1_3genE4ELNS1_11target_archE910ELNS1_3gpuE8ELNS1_3repE0EEENS1_36merge_oddeven_config_static_selectorELNS0_4arch9wavefront6targetE1EEEvSJ_
	.globl	_ZN7rocprim17ROCPRIM_400000_NS6detail17trampoline_kernelINS0_14default_configENS1_38merge_sort_block_merge_config_selectorIiiEEZZNS1_27merge_sort_block_merge_implIS3_N6thrust23THRUST_200600_302600_NS6detail15normal_iteratorINS8_10device_ptrIiEEEESD_jNS1_19radix_merge_compareILb0ELb0EiNS0_19identity_decomposerEEEEE10hipError_tT0_T1_T2_jT3_P12ihipStream_tbPNSt15iterator_traitsISI_E10value_typeEPNSO_ISJ_E10value_typeEPSK_NS1_7vsmem_tEENKUlT_SI_SJ_SK_E_clIPiSD_S10_SD_EESH_SX_SI_SJ_SK_EUlSX_E1_NS1_11comp_targetILNS1_3genE4ELNS1_11target_archE910ELNS1_3gpuE8ELNS1_3repE0EEENS1_36merge_oddeven_config_static_selectorELNS0_4arch9wavefront6targetE1EEEvSJ_
	.p2align	8
	.type	_ZN7rocprim17ROCPRIM_400000_NS6detail17trampoline_kernelINS0_14default_configENS1_38merge_sort_block_merge_config_selectorIiiEEZZNS1_27merge_sort_block_merge_implIS3_N6thrust23THRUST_200600_302600_NS6detail15normal_iteratorINS8_10device_ptrIiEEEESD_jNS1_19radix_merge_compareILb0ELb0EiNS0_19identity_decomposerEEEEE10hipError_tT0_T1_T2_jT3_P12ihipStream_tbPNSt15iterator_traitsISI_E10value_typeEPNSO_ISJ_E10value_typeEPSK_NS1_7vsmem_tEENKUlT_SI_SJ_SK_E_clIPiSD_S10_SD_EESH_SX_SI_SJ_SK_EUlSX_E1_NS1_11comp_targetILNS1_3genE4ELNS1_11target_archE910ELNS1_3gpuE8ELNS1_3repE0EEENS1_36merge_oddeven_config_static_selectorELNS0_4arch9wavefront6targetE1EEEvSJ_,@function
_ZN7rocprim17ROCPRIM_400000_NS6detail17trampoline_kernelINS0_14default_configENS1_38merge_sort_block_merge_config_selectorIiiEEZZNS1_27merge_sort_block_merge_implIS3_N6thrust23THRUST_200600_302600_NS6detail15normal_iteratorINS8_10device_ptrIiEEEESD_jNS1_19radix_merge_compareILb0ELb0EiNS0_19identity_decomposerEEEEE10hipError_tT0_T1_T2_jT3_P12ihipStream_tbPNSt15iterator_traitsISI_E10value_typeEPNSO_ISJ_E10value_typeEPSK_NS1_7vsmem_tEENKUlT_SI_SJ_SK_E_clIPiSD_S10_SD_EESH_SX_SI_SJ_SK_EUlSX_E1_NS1_11comp_targetILNS1_3genE4ELNS1_11target_archE910ELNS1_3gpuE8ELNS1_3repE0EEENS1_36merge_oddeven_config_static_selectorELNS0_4arch9wavefront6targetE1EEEvSJ_: ; @_ZN7rocprim17ROCPRIM_400000_NS6detail17trampoline_kernelINS0_14default_configENS1_38merge_sort_block_merge_config_selectorIiiEEZZNS1_27merge_sort_block_merge_implIS3_N6thrust23THRUST_200600_302600_NS6detail15normal_iteratorINS8_10device_ptrIiEEEESD_jNS1_19radix_merge_compareILb0ELb0EiNS0_19identity_decomposerEEEEE10hipError_tT0_T1_T2_jT3_P12ihipStream_tbPNSt15iterator_traitsISI_E10value_typeEPNSO_ISJ_E10value_typeEPSK_NS1_7vsmem_tEENKUlT_SI_SJ_SK_E_clIPiSD_S10_SD_EESH_SX_SI_SJ_SK_EUlSX_E1_NS1_11comp_targetILNS1_3genE4ELNS1_11target_archE910ELNS1_3gpuE8ELNS1_3repE0EEENS1_36merge_oddeven_config_static_selectorELNS0_4arch9wavefront6targetE1EEEvSJ_
; %bb.0:
	.section	.rodata,"a",@progbits
	.p2align	6, 0x0
	.amdhsa_kernel _ZN7rocprim17ROCPRIM_400000_NS6detail17trampoline_kernelINS0_14default_configENS1_38merge_sort_block_merge_config_selectorIiiEEZZNS1_27merge_sort_block_merge_implIS3_N6thrust23THRUST_200600_302600_NS6detail15normal_iteratorINS8_10device_ptrIiEEEESD_jNS1_19radix_merge_compareILb0ELb0EiNS0_19identity_decomposerEEEEE10hipError_tT0_T1_T2_jT3_P12ihipStream_tbPNSt15iterator_traitsISI_E10value_typeEPNSO_ISJ_E10value_typeEPSK_NS1_7vsmem_tEENKUlT_SI_SJ_SK_E_clIPiSD_S10_SD_EESH_SX_SI_SJ_SK_EUlSX_E1_NS1_11comp_targetILNS1_3genE4ELNS1_11target_archE910ELNS1_3gpuE8ELNS1_3repE0EEENS1_36merge_oddeven_config_static_selectorELNS0_4arch9wavefront6targetE1EEEvSJ_
		.amdhsa_group_segment_fixed_size 0
		.amdhsa_private_segment_fixed_size 0
		.amdhsa_kernarg_size 48
		.amdhsa_user_sgpr_count 2
		.amdhsa_user_sgpr_dispatch_ptr 0
		.amdhsa_user_sgpr_queue_ptr 0
		.amdhsa_user_sgpr_kernarg_segment_ptr 1
		.amdhsa_user_sgpr_dispatch_id 0
		.amdhsa_user_sgpr_kernarg_preload_length 0
		.amdhsa_user_sgpr_kernarg_preload_offset 0
		.amdhsa_user_sgpr_private_segment_size 0
		.amdhsa_uses_dynamic_stack 0
		.amdhsa_enable_private_segment 0
		.amdhsa_system_sgpr_workgroup_id_x 1
		.amdhsa_system_sgpr_workgroup_id_y 0
		.amdhsa_system_sgpr_workgroup_id_z 0
		.amdhsa_system_sgpr_workgroup_info 0
		.amdhsa_system_vgpr_workitem_id 0
		.amdhsa_next_free_vgpr 1
		.amdhsa_next_free_sgpr 0
		.amdhsa_accum_offset 4
		.amdhsa_reserve_vcc 0
		.amdhsa_float_round_mode_32 0
		.amdhsa_float_round_mode_16_64 0
		.amdhsa_float_denorm_mode_32 3
		.amdhsa_float_denorm_mode_16_64 3
		.amdhsa_dx10_clamp 1
		.amdhsa_ieee_mode 1
		.amdhsa_fp16_overflow 0
		.amdhsa_tg_split 0
		.amdhsa_exception_fp_ieee_invalid_op 0
		.amdhsa_exception_fp_denorm_src 0
		.amdhsa_exception_fp_ieee_div_zero 0
		.amdhsa_exception_fp_ieee_overflow 0
		.amdhsa_exception_fp_ieee_underflow 0
		.amdhsa_exception_fp_ieee_inexact 0
		.amdhsa_exception_int_div_zero 0
	.end_amdhsa_kernel
	.section	.text._ZN7rocprim17ROCPRIM_400000_NS6detail17trampoline_kernelINS0_14default_configENS1_38merge_sort_block_merge_config_selectorIiiEEZZNS1_27merge_sort_block_merge_implIS3_N6thrust23THRUST_200600_302600_NS6detail15normal_iteratorINS8_10device_ptrIiEEEESD_jNS1_19radix_merge_compareILb0ELb0EiNS0_19identity_decomposerEEEEE10hipError_tT0_T1_T2_jT3_P12ihipStream_tbPNSt15iterator_traitsISI_E10value_typeEPNSO_ISJ_E10value_typeEPSK_NS1_7vsmem_tEENKUlT_SI_SJ_SK_E_clIPiSD_S10_SD_EESH_SX_SI_SJ_SK_EUlSX_E1_NS1_11comp_targetILNS1_3genE4ELNS1_11target_archE910ELNS1_3gpuE8ELNS1_3repE0EEENS1_36merge_oddeven_config_static_selectorELNS0_4arch9wavefront6targetE1EEEvSJ_,"axG",@progbits,_ZN7rocprim17ROCPRIM_400000_NS6detail17trampoline_kernelINS0_14default_configENS1_38merge_sort_block_merge_config_selectorIiiEEZZNS1_27merge_sort_block_merge_implIS3_N6thrust23THRUST_200600_302600_NS6detail15normal_iteratorINS8_10device_ptrIiEEEESD_jNS1_19radix_merge_compareILb0ELb0EiNS0_19identity_decomposerEEEEE10hipError_tT0_T1_T2_jT3_P12ihipStream_tbPNSt15iterator_traitsISI_E10value_typeEPNSO_ISJ_E10value_typeEPSK_NS1_7vsmem_tEENKUlT_SI_SJ_SK_E_clIPiSD_S10_SD_EESH_SX_SI_SJ_SK_EUlSX_E1_NS1_11comp_targetILNS1_3genE4ELNS1_11target_archE910ELNS1_3gpuE8ELNS1_3repE0EEENS1_36merge_oddeven_config_static_selectorELNS0_4arch9wavefront6targetE1EEEvSJ_,comdat
.Lfunc_end1306:
	.size	_ZN7rocprim17ROCPRIM_400000_NS6detail17trampoline_kernelINS0_14default_configENS1_38merge_sort_block_merge_config_selectorIiiEEZZNS1_27merge_sort_block_merge_implIS3_N6thrust23THRUST_200600_302600_NS6detail15normal_iteratorINS8_10device_ptrIiEEEESD_jNS1_19radix_merge_compareILb0ELb0EiNS0_19identity_decomposerEEEEE10hipError_tT0_T1_T2_jT3_P12ihipStream_tbPNSt15iterator_traitsISI_E10value_typeEPNSO_ISJ_E10value_typeEPSK_NS1_7vsmem_tEENKUlT_SI_SJ_SK_E_clIPiSD_S10_SD_EESH_SX_SI_SJ_SK_EUlSX_E1_NS1_11comp_targetILNS1_3genE4ELNS1_11target_archE910ELNS1_3gpuE8ELNS1_3repE0EEENS1_36merge_oddeven_config_static_selectorELNS0_4arch9wavefront6targetE1EEEvSJ_, .Lfunc_end1306-_ZN7rocprim17ROCPRIM_400000_NS6detail17trampoline_kernelINS0_14default_configENS1_38merge_sort_block_merge_config_selectorIiiEEZZNS1_27merge_sort_block_merge_implIS3_N6thrust23THRUST_200600_302600_NS6detail15normal_iteratorINS8_10device_ptrIiEEEESD_jNS1_19radix_merge_compareILb0ELb0EiNS0_19identity_decomposerEEEEE10hipError_tT0_T1_T2_jT3_P12ihipStream_tbPNSt15iterator_traitsISI_E10value_typeEPNSO_ISJ_E10value_typeEPSK_NS1_7vsmem_tEENKUlT_SI_SJ_SK_E_clIPiSD_S10_SD_EESH_SX_SI_SJ_SK_EUlSX_E1_NS1_11comp_targetILNS1_3genE4ELNS1_11target_archE910ELNS1_3gpuE8ELNS1_3repE0EEENS1_36merge_oddeven_config_static_selectorELNS0_4arch9wavefront6targetE1EEEvSJ_
                                        ; -- End function
	.set _ZN7rocprim17ROCPRIM_400000_NS6detail17trampoline_kernelINS0_14default_configENS1_38merge_sort_block_merge_config_selectorIiiEEZZNS1_27merge_sort_block_merge_implIS3_N6thrust23THRUST_200600_302600_NS6detail15normal_iteratorINS8_10device_ptrIiEEEESD_jNS1_19radix_merge_compareILb0ELb0EiNS0_19identity_decomposerEEEEE10hipError_tT0_T1_T2_jT3_P12ihipStream_tbPNSt15iterator_traitsISI_E10value_typeEPNSO_ISJ_E10value_typeEPSK_NS1_7vsmem_tEENKUlT_SI_SJ_SK_E_clIPiSD_S10_SD_EESH_SX_SI_SJ_SK_EUlSX_E1_NS1_11comp_targetILNS1_3genE4ELNS1_11target_archE910ELNS1_3gpuE8ELNS1_3repE0EEENS1_36merge_oddeven_config_static_selectorELNS0_4arch9wavefront6targetE1EEEvSJ_.num_vgpr, 0
	.set _ZN7rocprim17ROCPRIM_400000_NS6detail17trampoline_kernelINS0_14default_configENS1_38merge_sort_block_merge_config_selectorIiiEEZZNS1_27merge_sort_block_merge_implIS3_N6thrust23THRUST_200600_302600_NS6detail15normal_iteratorINS8_10device_ptrIiEEEESD_jNS1_19radix_merge_compareILb0ELb0EiNS0_19identity_decomposerEEEEE10hipError_tT0_T1_T2_jT3_P12ihipStream_tbPNSt15iterator_traitsISI_E10value_typeEPNSO_ISJ_E10value_typeEPSK_NS1_7vsmem_tEENKUlT_SI_SJ_SK_E_clIPiSD_S10_SD_EESH_SX_SI_SJ_SK_EUlSX_E1_NS1_11comp_targetILNS1_3genE4ELNS1_11target_archE910ELNS1_3gpuE8ELNS1_3repE0EEENS1_36merge_oddeven_config_static_selectorELNS0_4arch9wavefront6targetE1EEEvSJ_.num_agpr, 0
	.set _ZN7rocprim17ROCPRIM_400000_NS6detail17trampoline_kernelINS0_14default_configENS1_38merge_sort_block_merge_config_selectorIiiEEZZNS1_27merge_sort_block_merge_implIS3_N6thrust23THRUST_200600_302600_NS6detail15normal_iteratorINS8_10device_ptrIiEEEESD_jNS1_19radix_merge_compareILb0ELb0EiNS0_19identity_decomposerEEEEE10hipError_tT0_T1_T2_jT3_P12ihipStream_tbPNSt15iterator_traitsISI_E10value_typeEPNSO_ISJ_E10value_typeEPSK_NS1_7vsmem_tEENKUlT_SI_SJ_SK_E_clIPiSD_S10_SD_EESH_SX_SI_SJ_SK_EUlSX_E1_NS1_11comp_targetILNS1_3genE4ELNS1_11target_archE910ELNS1_3gpuE8ELNS1_3repE0EEENS1_36merge_oddeven_config_static_selectorELNS0_4arch9wavefront6targetE1EEEvSJ_.numbered_sgpr, 0
	.set _ZN7rocprim17ROCPRIM_400000_NS6detail17trampoline_kernelINS0_14default_configENS1_38merge_sort_block_merge_config_selectorIiiEEZZNS1_27merge_sort_block_merge_implIS3_N6thrust23THRUST_200600_302600_NS6detail15normal_iteratorINS8_10device_ptrIiEEEESD_jNS1_19radix_merge_compareILb0ELb0EiNS0_19identity_decomposerEEEEE10hipError_tT0_T1_T2_jT3_P12ihipStream_tbPNSt15iterator_traitsISI_E10value_typeEPNSO_ISJ_E10value_typeEPSK_NS1_7vsmem_tEENKUlT_SI_SJ_SK_E_clIPiSD_S10_SD_EESH_SX_SI_SJ_SK_EUlSX_E1_NS1_11comp_targetILNS1_3genE4ELNS1_11target_archE910ELNS1_3gpuE8ELNS1_3repE0EEENS1_36merge_oddeven_config_static_selectorELNS0_4arch9wavefront6targetE1EEEvSJ_.num_named_barrier, 0
	.set _ZN7rocprim17ROCPRIM_400000_NS6detail17trampoline_kernelINS0_14default_configENS1_38merge_sort_block_merge_config_selectorIiiEEZZNS1_27merge_sort_block_merge_implIS3_N6thrust23THRUST_200600_302600_NS6detail15normal_iteratorINS8_10device_ptrIiEEEESD_jNS1_19radix_merge_compareILb0ELb0EiNS0_19identity_decomposerEEEEE10hipError_tT0_T1_T2_jT3_P12ihipStream_tbPNSt15iterator_traitsISI_E10value_typeEPNSO_ISJ_E10value_typeEPSK_NS1_7vsmem_tEENKUlT_SI_SJ_SK_E_clIPiSD_S10_SD_EESH_SX_SI_SJ_SK_EUlSX_E1_NS1_11comp_targetILNS1_3genE4ELNS1_11target_archE910ELNS1_3gpuE8ELNS1_3repE0EEENS1_36merge_oddeven_config_static_selectorELNS0_4arch9wavefront6targetE1EEEvSJ_.private_seg_size, 0
	.set _ZN7rocprim17ROCPRIM_400000_NS6detail17trampoline_kernelINS0_14default_configENS1_38merge_sort_block_merge_config_selectorIiiEEZZNS1_27merge_sort_block_merge_implIS3_N6thrust23THRUST_200600_302600_NS6detail15normal_iteratorINS8_10device_ptrIiEEEESD_jNS1_19radix_merge_compareILb0ELb0EiNS0_19identity_decomposerEEEEE10hipError_tT0_T1_T2_jT3_P12ihipStream_tbPNSt15iterator_traitsISI_E10value_typeEPNSO_ISJ_E10value_typeEPSK_NS1_7vsmem_tEENKUlT_SI_SJ_SK_E_clIPiSD_S10_SD_EESH_SX_SI_SJ_SK_EUlSX_E1_NS1_11comp_targetILNS1_3genE4ELNS1_11target_archE910ELNS1_3gpuE8ELNS1_3repE0EEENS1_36merge_oddeven_config_static_selectorELNS0_4arch9wavefront6targetE1EEEvSJ_.uses_vcc, 0
	.set _ZN7rocprim17ROCPRIM_400000_NS6detail17trampoline_kernelINS0_14default_configENS1_38merge_sort_block_merge_config_selectorIiiEEZZNS1_27merge_sort_block_merge_implIS3_N6thrust23THRUST_200600_302600_NS6detail15normal_iteratorINS8_10device_ptrIiEEEESD_jNS1_19radix_merge_compareILb0ELb0EiNS0_19identity_decomposerEEEEE10hipError_tT0_T1_T2_jT3_P12ihipStream_tbPNSt15iterator_traitsISI_E10value_typeEPNSO_ISJ_E10value_typeEPSK_NS1_7vsmem_tEENKUlT_SI_SJ_SK_E_clIPiSD_S10_SD_EESH_SX_SI_SJ_SK_EUlSX_E1_NS1_11comp_targetILNS1_3genE4ELNS1_11target_archE910ELNS1_3gpuE8ELNS1_3repE0EEENS1_36merge_oddeven_config_static_selectorELNS0_4arch9wavefront6targetE1EEEvSJ_.uses_flat_scratch, 0
	.set _ZN7rocprim17ROCPRIM_400000_NS6detail17trampoline_kernelINS0_14default_configENS1_38merge_sort_block_merge_config_selectorIiiEEZZNS1_27merge_sort_block_merge_implIS3_N6thrust23THRUST_200600_302600_NS6detail15normal_iteratorINS8_10device_ptrIiEEEESD_jNS1_19radix_merge_compareILb0ELb0EiNS0_19identity_decomposerEEEEE10hipError_tT0_T1_T2_jT3_P12ihipStream_tbPNSt15iterator_traitsISI_E10value_typeEPNSO_ISJ_E10value_typeEPSK_NS1_7vsmem_tEENKUlT_SI_SJ_SK_E_clIPiSD_S10_SD_EESH_SX_SI_SJ_SK_EUlSX_E1_NS1_11comp_targetILNS1_3genE4ELNS1_11target_archE910ELNS1_3gpuE8ELNS1_3repE0EEENS1_36merge_oddeven_config_static_selectorELNS0_4arch9wavefront6targetE1EEEvSJ_.has_dyn_sized_stack, 0
	.set _ZN7rocprim17ROCPRIM_400000_NS6detail17trampoline_kernelINS0_14default_configENS1_38merge_sort_block_merge_config_selectorIiiEEZZNS1_27merge_sort_block_merge_implIS3_N6thrust23THRUST_200600_302600_NS6detail15normal_iteratorINS8_10device_ptrIiEEEESD_jNS1_19radix_merge_compareILb0ELb0EiNS0_19identity_decomposerEEEEE10hipError_tT0_T1_T2_jT3_P12ihipStream_tbPNSt15iterator_traitsISI_E10value_typeEPNSO_ISJ_E10value_typeEPSK_NS1_7vsmem_tEENKUlT_SI_SJ_SK_E_clIPiSD_S10_SD_EESH_SX_SI_SJ_SK_EUlSX_E1_NS1_11comp_targetILNS1_3genE4ELNS1_11target_archE910ELNS1_3gpuE8ELNS1_3repE0EEENS1_36merge_oddeven_config_static_selectorELNS0_4arch9wavefront6targetE1EEEvSJ_.has_recursion, 0
	.set _ZN7rocprim17ROCPRIM_400000_NS6detail17trampoline_kernelINS0_14default_configENS1_38merge_sort_block_merge_config_selectorIiiEEZZNS1_27merge_sort_block_merge_implIS3_N6thrust23THRUST_200600_302600_NS6detail15normal_iteratorINS8_10device_ptrIiEEEESD_jNS1_19radix_merge_compareILb0ELb0EiNS0_19identity_decomposerEEEEE10hipError_tT0_T1_T2_jT3_P12ihipStream_tbPNSt15iterator_traitsISI_E10value_typeEPNSO_ISJ_E10value_typeEPSK_NS1_7vsmem_tEENKUlT_SI_SJ_SK_E_clIPiSD_S10_SD_EESH_SX_SI_SJ_SK_EUlSX_E1_NS1_11comp_targetILNS1_3genE4ELNS1_11target_archE910ELNS1_3gpuE8ELNS1_3repE0EEENS1_36merge_oddeven_config_static_selectorELNS0_4arch9wavefront6targetE1EEEvSJ_.has_indirect_call, 0
	.section	.AMDGPU.csdata,"",@progbits
; Kernel info:
; codeLenInByte = 0
; TotalNumSgprs: 6
; NumVgprs: 0
; NumAgprs: 0
; TotalNumVgprs: 0
; ScratchSize: 0
; MemoryBound: 0
; FloatMode: 240
; IeeeMode: 1
; LDSByteSize: 0 bytes/workgroup (compile time only)
; SGPRBlocks: 0
; VGPRBlocks: 0
; NumSGPRsForWavesPerEU: 6
; NumVGPRsForWavesPerEU: 1
; AccumOffset: 4
; Occupancy: 8
; WaveLimiterHint : 0
; COMPUTE_PGM_RSRC2:SCRATCH_EN: 0
; COMPUTE_PGM_RSRC2:USER_SGPR: 2
; COMPUTE_PGM_RSRC2:TRAP_HANDLER: 0
; COMPUTE_PGM_RSRC2:TGID_X_EN: 1
; COMPUTE_PGM_RSRC2:TGID_Y_EN: 0
; COMPUTE_PGM_RSRC2:TGID_Z_EN: 0
; COMPUTE_PGM_RSRC2:TIDIG_COMP_CNT: 0
; COMPUTE_PGM_RSRC3_GFX90A:ACCUM_OFFSET: 0
; COMPUTE_PGM_RSRC3_GFX90A:TG_SPLIT: 0
	.section	.text._ZN7rocprim17ROCPRIM_400000_NS6detail17trampoline_kernelINS0_14default_configENS1_38merge_sort_block_merge_config_selectorIiiEEZZNS1_27merge_sort_block_merge_implIS3_N6thrust23THRUST_200600_302600_NS6detail15normal_iteratorINS8_10device_ptrIiEEEESD_jNS1_19radix_merge_compareILb0ELb0EiNS0_19identity_decomposerEEEEE10hipError_tT0_T1_T2_jT3_P12ihipStream_tbPNSt15iterator_traitsISI_E10value_typeEPNSO_ISJ_E10value_typeEPSK_NS1_7vsmem_tEENKUlT_SI_SJ_SK_E_clIPiSD_S10_SD_EESH_SX_SI_SJ_SK_EUlSX_E1_NS1_11comp_targetILNS1_3genE3ELNS1_11target_archE908ELNS1_3gpuE7ELNS1_3repE0EEENS1_36merge_oddeven_config_static_selectorELNS0_4arch9wavefront6targetE1EEEvSJ_,"axG",@progbits,_ZN7rocprim17ROCPRIM_400000_NS6detail17trampoline_kernelINS0_14default_configENS1_38merge_sort_block_merge_config_selectorIiiEEZZNS1_27merge_sort_block_merge_implIS3_N6thrust23THRUST_200600_302600_NS6detail15normal_iteratorINS8_10device_ptrIiEEEESD_jNS1_19radix_merge_compareILb0ELb0EiNS0_19identity_decomposerEEEEE10hipError_tT0_T1_T2_jT3_P12ihipStream_tbPNSt15iterator_traitsISI_E10value_typeEPNSO_ISJ_E10value_typeEPSK_NS1_7vsmem_tEENKUlT_SI_SJ_SK_E_clIPiSD_S10_SD_EESH_SX_SI_SJ_SK_EUlSX_E1_NS1_11comp_targetILNS1_3genE3ELNS1_11target_archE908ELNS1_3gpuE7ELNS1_3repE0EEENS1_36merge_oddeven_config_static_selectorELNS0_4arch9wavefront6targetE1EEEvSJ_,comdat
	.protected	_ZN7rocprim17ROCPRIM_400000_NS6detail17trampoline_kernelINS0_14default_configENS1_38merge_sort_block_merge_config_selectorIiiEEZZNS1_27merge_sort_block_merge_implIS3_N6thrust23THRUST_200600_302600_NS6detail15normal_iteratorINS8_10device_ptrIiEEEESD_jNS1_19radix_merge_compareILb0ELb0EiNS0_19identity_decomposerEEEEE10hipError_tT0_T1_T2_jT3_P12ihipStream_tbPNSt15iterator_traitsISI_E10value_typeEPNSO_ISJ_E10value_typeEPSK_NS1_7vsmem_tEENKUlT_SI_SJ_SK_E_clIPiSD_S10_SD_EESH_SX_SI_SJ_SK_EUlSX_E1_NS1_11comp_targetILNS1_3genE3ELNS1_11target_archE908ELNS1_3gpuE7ELNS1_3repE0EEENS1_36merge_oddeven_config_static_selectorELNS0_4arch9wavefront6targetE1EEEvSJ_ ; -- Begin function _ZN7rocprim17ROCPRIM_400000_NS6detail17trampoline_kernelINS0_14default_configENS1_38merge_sort_block_merge_config_selectorIiiEEZZNS1_27merge_sort_block_merge_implIS3_N6thrust23THRUST_200600_302600_NS6detail15normal_iteratorINS8_10device_ptrIiEEEESD_jNS1_19radix_merge_compareILb0ELb0EiNS0_19identity_decomposerEEEEE10hipError_tT0_T1_T2_jT3_P12ihipStream_tbPNSt15iterator_traitsISI_E10value_typeEPNSO_ISJ_E10value_typeEPSK_NS1_7vsmem_tEENKUlT_SI_SJ_SK_E_clIPiSD_S10_SD_EESH_SX_SI_SJ_SK_EUlSX_E1_NS1_11comp_targetILNS1_3genE3ELNS1_11target_archE908ELNS1_3gpuE7ELNS1_3repE0EEENS1_36merge_oddeven_config_static_selectorELNS0_4arch9wavefront6targetE1EEEvSJ_
	.globl	_ZN7rocprim17ROCPRIM_400000_NS6detail17trampoline_kernelINS0_14default_configENS1_38merge_sort_block_merge_config_selectorIiiEEZZNS1_27merge_sort_block_merge_implIS3_N6thrust23THRUST_200600_302600_NS6detail15normal_iteratorINS8_10device_ptrIiEEEESD_jNS1_19radix_merge_compareILb0ELb0EiNS0_19identity_decomposerEEEEE10hipError_tT0_T1_T2_jT3_P12ihipStream_tbPNSt15iterator_traitsISI_E10value_typeEPNSO_ISJ_E10value_typeEPSK_NS1_7vsmem_tEENKUlT_SI_SJ_SK_E_clIPiSD_S10_SD_EESH_SX_SI_SJ_SK_EUlSX_E1_NS1_11comp_targetILNS1_3genE3ELNS1_11target_archE908ELNS1_3gpuE7ELNS1_3repE0EEENS1_36merge_oddeven_config_static_selectorELNS0_4arch9wavefront6targetE1EEEvSJ_
	.p2align	8
	.type	_ZN7rocprim17ROCPRIM_400000_NS6detail17trampoline_kernelINS0_14default_configENS1_38merge_sort_block_merge_config_selectorIiiEEZZNS1_27merge_sort_block_merge_implIS3_N6thrust23THRUST_200600_302600_NS6detail15normal_iteratorINS8_10device_ptrIiEEEESD_jNS1_19radix_merge_compareILb0ELb0EiNS0_19identity_decomposerEEEEE10hipError_tT0_T1_T2_jT3_P12ihipStream_tbPNSt15iterator_traitsISI_E10value_typeEPNSO_ISJ_E10value_typeEPSK_NS1_7vsmem_tEENKUlT_SI_SJ_SK_E_clIPiSD_S10_SD_EESH_SX_SI_SJ_SK_EUlSX_E1_NS1_11comp_targetILNS1_3genE3ELNS1_11target_archE908ELNS1_3gpuE7ELNS1_3repE0EEENS1_36merge_oddeven_config_static_selectorELNS0_4arch9wavefront6targetE1EEEvSJ_,@function
_ZN7rocprim17ROCPRIM_400000_NS6detail17trampoline_kernelINS0_14default_configENS1_38merge_sort_block_merge_config_selectorIiiEEZZNS1_27merge_sort_block_merge_implIS3_N6thrust23THRUST_200600_302600_NS6detail15normal_iteratorINS8_10device_ptrIiEEEESD_jNS1_19radix_merge_compareILb0ELb0EiNS0_19identity_decomposerEEEEE10hipError_tT0_T1_T2_jT3_P12ihipStream_tbPNSt15iterator_traitsISI_E10value_typeEPNSO_ISJ_E10value_typeEPSK_NS1_7vsmem_tEENKUlT_SI_SJ_SK_E_clIPiSD_S10_SD_EESH_SX_SI_SJ_SK_EUlSX_E1_NS1_11comp_targetILNS1_3genE3ELNS1_11target_archE908ELNS1_3gpuE7ELNS1_3repE0EEENS1_36merge_oddeven_config_static_selectorELNS0_4arch9wavefront6targetE1EEEvSJ_: ; @_ZN7rocprim17ROCPRIM_400000_NS6detail17trampoline_kernelINS0_14default_configENS1_38merge_sort_block_merge_config_selectorIiiEEZZNS1_27merge_sort_block_merge_implIS3_N6thrust23THRUST_200600_302600_NS6detail15normal_iteratorINS8_10device_ptrIiEEEESD_jNS1_19radix_merge_compareILb0ELb0EiNS0_19identity_decomposerEEEEE10hipError_tT0_T1_T2_jT3_P12ihipStream_tbPNSt15iterator_traitsISI_E10value_typeEPNSO_ISJ_E10value_typeEPSK_NS1_7vsmem_tEENKUlT_SI_SJ_SK_E_clIPiSD_S10_SD_EESH_SX_SI_SJ_SK_EUlSX_E1_NS1_11comp_targetILNS1_3genE3ELNS1_11target_archE908ELNS1_3gpuE7ELNS1_3repE0EEENS1_36merge_oddeven_config_static_selectorELNS0_4arch9wavefront6targetE1EEEvSJ_
; %bb.0:
	.section	.rodata,"a",@progbits
	.p2align	6, 0x0
	.amdhsa_kernel _ZN7rocprim17ROCPRIM_400000_NS6detail17trampoline_kernelINS0_14default_configENS1_38merge_sort_block_merge_config_selectorIiiEEZZNS1_27merge_sort_block_merge_implIS3_N6thrust23THRUST_200600_302600_NS6detail15normal_iteratorINS8_10device_ptrIiEEEESD_jNS1_19radix_merge_compareILb0ELb0EiNS0_19identity_decomposerEEEEE10hipError_tT0_T1_T2_jT3_P12ihipStream_tbPNSt15iterator_traitsISI_E10value_typeEPNSO_ISJ_E10value_typeEPSK_NS1_7vsmem_tEENKUlT_SI_SJ_SK_E_clIPiSD_S10_SD_EESH_SX_SI_SJ_SK_EUlSX_E1_NS1_11comp_targetILNS1_3genE3ELNS1_11target_archE908ELNS1_3gpuE7ELNS1_3repE0EEENS1_36merge_oddeven_config_static_selectorELNS0_4arch9wavefront6targetE1EEEvSJ_
		.amdhsa_group_segment_fixed_size 0
		.amdhsa_private_segment_fixed_size 0
		.amdhsa_kernarg_size 48
		.amdhsa_user_sgpr_count 2
		.amdhsa_user_sgpr_dispatch_ptr 0
		.amdhsa_user_sgpr_queue_ptr 0
		.amdhsa_user_sgpr_kernarg_segment_ptr 1
		.amdhsa_user_sgpr_dispatch_id 0
		.amdhsa_user_sgpr_kernarg_preload_length 0
		.amdhsa_user_sgpr_kernarg_preload_offset 0
		.amdhsa_user_sgpr_private_segment_size 0
		.amdhsa_uses_dynamic_stack 0
		.amdhsa_enable_private_segment 0
		.amdhsa_system_sgpr_workgroup_id_x 1
		.amdhsa_system_sgpr_workgroup_id_y 0
		.amdhsa_system_sgpr_workgroup_id_z 0
		.amdhsa_system_sgpr_workgroup_info 0
		.amdhsa_system_vgpr_workitem_id 0
		.amdhsa_next_free_vgpr 1
		.amdhsa_next_free_sgpr 0
		.amdhsa_accum_offset 4
		.amdhsa_reserve_vcc 0
		.amdhsa_float_round_mode_32 0
		.amdhsa_float_round_mode_16_64 0
		.amdhsa_float_denorm_mode_32 3
		.amdhsa_float_denorm_mode_16_64 3
		.amdhsa_dx10_clamp 1
		.amdhsa_ieee_mode 1
		.amdhsa_fp16_overflow 0
		.amdhsa_tg_split 0
		.amdhsa_exception_fp_ieee_invalid_op 0
		.amdhsa_exception_fp_denorm_src 0
		.amdhsa_exception_fp_ieee_div_zero 0
		.amdhsa_exception_fp_ieee_overflow 0
		.amdhsa_exception_fp_ieee_underflow 0
		.amdhsa_exception_fp_ieee_inexact 0
		.amdhsa_exception_int_div_zero 0
	.end_amdhsa_kernel
	.section	.text._ZN7rocprim17ROCPRIM_400000_NS6detail17trampoline_kernelINS0_14default_configENS1_38merge_sort_block_merge_config_selectorIiiEEZZNS1_27merge_sort_block_merge_implIS3_N6thrust23THRUST_200600_302600_NS6detail15normal_iteratorINS8_10device_ptrIiEEEESD_jNS1_19radix_merge_compareILb0ELb0EiNS0_19identity_decomposerEEEEE10hipError_tT0_T1_T2_jT3_P12ihipStream_tbPNSt15iterator_traitsISI_E10value_typeEPNSO_ISJ_E10value_typeEPSK_NS1_7vsmem_tEENKUlT_SI_SJ_SK_E_clIPiSD_S10_SD_EESH_SX_SI_SJ_SK_EUlSX_E1_NS1_11comp_targetILNS1_3genE3ELNS1_11target_archE908ELNS1_3gpuE7ELNS1_3repE0EEENS1_36merge_oddeven_config_static_selectorELNS0_4arch9wavefront6targetE1EEEvSJ_,"axG",@progbits,_ZN7rocprim17ROCPRIM_400000_NS6detail17trampoline_kernelINS0_14default_configENS1_38merge_sort_block_merge_config_selectorIiiEEZZNS1_27merge_sort_block_merge_implIS3_N6thrust23THRUST_200600_302600_NS6detail15normal_iteratorINS8_10device_ptrIiEEEESD_jNS1_19radix_merge_compareILb0ELb0EiNS0_19identity_decomposerEEEEE10hipError_tT0_T1_T2_jT3_P12ihipStream_tbPNSt15iterator_traitsISI_E10value_typeEPNSO_ISJ_E10value_typeEPSK_NS1_7vsmem_tEENKUlT_SI_SJ_SK_E_clIPiSD_S10_SD_EESH_SX_SI_SJ_SK_EUlSX_E1_NS1_11comp_targetILNS1_3genE3ELNS1_11target_archE908ELNS1_3gpuE7ELNS1_3repE0EEENS1_36merge_oddeven_config_static_selectorELNS0_4arch9wavefront6targetE1EEEvSJ_,comdat
.Lfunc_end1307:
	.size	_ZN7rocprim17ROCPRIM_400000_NS6detail17trampoline_kernelINS0_14default_configENS1_38merge_sort_block_merge_config_selectorIiiEEZZNS1_27merge_sort_block_merge_implIS3_N6thrust23THRUST_200600_302600_NS6detail15normal_iteratorINS8_10device_ptrIiEEEESD_jNS1_19radix_merge_compareILb0ELb0EiNS0_19identity_decomposerEEEEE10hipError_tT0_T1_T2_jT3_P12ihipStream_tbPNSt15iterator_traitsISI_E10value_typeEPNSO_ISJ_E10value_typeEPSK_NS1_7vsmem_tEENKUlT_SI_SJ_SK_E_clIPiSD_S10_SD_EESH_SX_SI_SJ_SK_EUlSX_E1_NS1_11comp_targetILNS1_3genE3ELNS1_11target_archE908ELNS1_3gpuE7ELNS1_3repE0EEENS1_36merge_oddeven_config_static_selectorELNS0_4arch9wavefront6targetE1EEEvSJ_, .Lfunc_end1307-_ZN7rocprim17ROCPRIM_400000_NS6detail17trampoline_kernelINS0_14default_configENS1_38merge_sort_block_merge_config_selectorIiiEEZZNS1_27merge_sort_block_merge_implIS3_N6thrust23THRUST_200600_302600_NS6detail15normal_iteratorINS8_10device_ptrIiEEEESD_jNS1_19radix_merge_compareILb0ELb0EiNS0_19identity_decomposerEEEEE10hipError_tT0_T1_T2_jT3_P12ihipStream_tbPNSt15iterator_traitsISI_E10value_typeEPNSO_ISJ_E10value_typeEPSK_NS1_7vsmem_tEENKUlT_SI_SJ_SK_E_clIPiSD_S10_SD_EESH_SX_SI_SJ_SK_EUlSX_E1_NS1_11comp_targetILNS1_3genE3ELNS1_11target_archE908ELNS1_3gpuE7ELNS1_3repE0EEENS1_36merge_oddeven_config_static_selectorELNS0_4arch9wavefront6targetE1EEEvSJ_
                                        ; -- End function
	.set _ZN7rocprim17ROCPRIM_400000_NS6detail17trampoline_kernelINS0_14default_configENS1_38merge_sort_block_merge_config_selectorIiiEEZZNS1_27merge_sort_block_merge_implIS3_N6thrust23THRUST_200600_302600_NS6detail15normal_iteratorINS8_10device_ptrIiEEEESD_jNS1_19radix_merge_compareILb0ELb0EiNS0_19identity_decomposerEEEEE10hipError_tT0_T1_T2_jT3_P12ihipStream_tbPNSt15iterator_traitsISI_E10value_typeEPNSO_ISJ_E10value_typeEPSK_NS1_7vsmem_tEENKUlT_SI_SJ_SK_E_clIPiSD_S10_SD_EESH_SX_SI_SJ_SK_EUlSX_E1_NS1_11comp_targetILNS1_3genE3ELNS1_11target_archE908ELNS1_3gpuE7ELNS1_3repE0EEENS1_36merge_oddeven_config_static_selectorELNS0_4arch9wavefront6targetE1EEEvSJ_.num_vgpr, 0
	.set _ZN7rocprim17ROCPRIM_400000_NS6detail17trampoline_kernelINS0_14default_configENS1_38merge_sort_block_merge_config_selectorIiiEEZZNS1_27merge_sort_block_merge_implIS3_N6thrust23THRUST_200600_302600_NS6detail15normal_iteratorINS8_10device_ptrIiEEEESD_jNS1_19radix_merge_compareILb0ELb0EiNS0_19identity_decomposerEEEEE10hipError_tT0_T1_T2_jT3_P12ihipStream_tbPNSt15iterator_traitsISI_E10value_typeEPNSO_ISJ_E10value_typeEPSK_NS1_7vsmem_tEENKUlT_SI_SJ_SK_E_clIPiSD_S10_SD_EESH_SX_SI_SJ_SK_EUlSX_E1_NS1_11comp_targetILNS1_3genE3ELNS1_11target_archE908ELNS1_3gpuE7ELNS1_3repE0EEENS1_36merge_oddeven_config_static_selectorELNS0_4arch9wavefront6targetE1EEEvSJ_.num_agpr, 0
	.set _ZN7rocprim17ROCPRIM_400000_NS6detail17trampoline_kernelINS0_14default_configENS1_38merge_sort_block_merge_config_selectorIiiEEZZNS1_27merge_sort_block_merge_implIS3_N6thrust23THRUST_200600_302600_NS6detail15normal_iteratorINS8_10device_ptrIiEEEESD_jNS1_19radix_merge_compareILb0ELb0EiNS0_19identity_decomposerEEEEE10hipError_tT0_T1_T2_jT3_P12ihipStream_tbPNSt15iterator_traitsISI_E10value_typeEPNSO_ISJ_E10value_typeEPSK_NS1_7vsmem_tEENKUlT_SI_SJ_SK_E_clIPiSD_S10_SD_EESH_SX_SI_SJ_SK_EUlSX_E1_NS1_11comp_targetILNS1_3genE3ELNS1_11target_archE908ELNS1_3gpuE7ELNS1_3repE0EEENS1_36merge_oddeven_config_static_selectorELNS0_4arch9wavefront6targetE1EEEvSJ_.numbered_sgpr, 0
	.set _ZN7rocprim17ROCPRIM_400000_NS6detail17trampoline_kernelINS0_14default_configENS1_38merge_sort_block_merge_config_selectorIiiEEZZNS1_27merge_sort_block_merge_implIS3_N6thrust23THRUST_200600_302600_NS6detail15normal_iteratorINS8_10device_ptrIiEEEESD_jNS1_19radix_merge_compareILb0ELb0EiNS0_19identity_decomposerEEEEE10hipError_tT0_T1_T2_jT3_P12ihipStream_tbPNSt15iterator_traitsISI_E10value_typeEPNSO_ISJ_E10value_typeEPSK_NS1_7vsmem_tEENKUlT_SI_SJ_SK_E_clIPiSD_S10_SD_EESH_SX_SI_SJ_SK_EUlSX_E1_NS1_11comp_targetILNS1_3genE3ELNS1_11target_archE908ELNS1_3gpuE7ELNS1_3repE0EEENS1_36merge_oddeven_config_static_selectorELNS0_4arch9wavefront6targetE1EEEvSJ_.num_named_barrier, 0
	.set _ZN7rocprim17ROCPRIM_400000_NS6detail17trampoline_kernelINS0_14default_configENS1_38merge_sort_block_merge_config_selectorIiiEEZZNS1_27merge_sort_block_merge_implIS3_N6thrust23THRUST_200600_302600_NS6detail15normal_iteratorINS8_10device_ptrIiEEEESD_jNS1_19radix_merge_compareILb0ELb0EiNS0_19identity_decomposerEEEEE10hipError_tT0_T1_T2_jT3_P12ihipStream_tbPNSt15iterator_traitsISI_E10value_typeEPNSO_ISJ_E10value_typeEPSK_NS1_7vsmem_tEENKUlT_SI_SJ_SK_E_clIPiSD_S10_SD_EESH_SX_SI_SJ_SK_EUlSX_E1_NS1_11comp_targetILNS1_3genE3ELNS1_11target_archE908ELNS1_3gpuE7ELNS1_3repE0EEENS1_36merge_oddeven_config_static_selectorELNS0_4arch9wavefront6targetE1EEEvSJ_.private_seg_size, 0
	.set _ZN7rocprim17ROCPRIM_400000_NS6detail17trampoline_kernelINS0_14default_configENS1_38merge_sort_block_merge_config_selectorIiiEEZZNS1_27merge_sort_block_merge_implIS3_N6thrust23THRUST_200600_302600_NS6detail15normal_iteratorINS8_10device_ptrIiEEEESD_jNS1_19radix_merge_compareILb0ELb0EiNS0_19identity_decomposerEEEEE10hipError_tT0_T1_T2_jT3_P12ihipStream_tbPNSt15iterator_traitsISI_E10value_typeEPNSO_ISJ_E10value_typeEPSK_NS1_7vsmem_tEENKUlT_SI_SJ_SK_E_clIPiSD_S10_SD_EESH_SX_SI_SJ_SK_EUlSX_E1_NS1_11comp_targetILNS1_3genE3ELNS1_11target_archE908ELNS1_3gpuE7ELNS1_3repE0EEENS1_36merge_oddeven_config_static_selectorELNS0_4arch9wavefront6targetE1EEEvSJ_.uses_vcc, 0
	.set _ZN7rocprim17ROCPRIM_400000_NS6detail17trampoline_kernelINS0_14default_configENS1_38merge_sort_block_merge_config_selectorIiiEEZZNS1_27merge_sort_block_merge_implIS3_N6thrust23THRUST_200600_302600_NS6detail15normal_iteratorINS8_10device_ptrIiEEEESD_jNS1_19radix_merge_compareILb0ELb0EiNS0_19identity_decomposerEEEEE10hipError_tT0_T1_T2_jT3_P12ihipStream_tbPNSt15iterator_traitsISI_E10value_typeEPNSO_ISJ_E10value_typeEPSK_NS1_7vsmem_tEENKUlT_SI_SJ_SK_E_clIPiSD_S10_SD_EESH_SX_SI_SJ_SK_EUlSX_E1_NS1_11comp_targetILNS1_3genE3ELNS1_11target_archE908ELNS1_3gpuE7ELNS1_3repE0EEENS1_36merge_oddeven_config_static_selectorELNS0_4arch9wavefront6targetE1EEEvSJ_.uses_flat_scratch, 0
	.set _ZN7rocprim17ROCPRIM_400000_NS6detail17trampoline_kernelINS0_14default_configENS1_38merge_sort_block_merge_config_selectorIiiEEZZNS1_27merge_sort_block_merge_implIS3_N6thrust23THRUST_200600_302600_NS6detail15normal_iteratorINS8_10device_ptrIiEEEESD_jNS1_19radix_merge_compareILb0ELb0EiNS0_19identity_decomposerEEEEE10hipError_tT0_T1_T2_jT3_P12ihipStream_tbPNSt15iterator_traitsISI_E10value_typeEPNSO_ISJ_E10value_typeEPSK_NS1_7vsmem_tEENKUlT_SI_SJ_SK_E_clIPiSD_S10_SD_EESH_SX_SI_SJ_SK_EUlSX_E1_NS1_11comp_targetILNS1_3genE3ELNS1_11target_archE908ELNS1_3gpuE7ELNS1_3repE0EEENS1_36merge_oddeven_config_static_selectorELNS0_4arch9wavefront6targetE1EEEvSJ_.has_dyn_sized_stack, 0
	.set _ZN7rocprim17ROCPRIM_400000_NS6detail17trampoline_kernelINS0_14default_configENS1_38merge_sort_block_merge_config_selectorIiiEEZZNS1_27merge_sort_block_merge_implIS3_N6thrust23THRUST_200600_302600_NS6detail15normal_iteratorINS8_10device_ptrIiEEEESD_jNS1_19radix_merge_compareILb0ELb0EiNS0_19identity_decomposerEEEEE10hipError_tT0_T1_T2_jT3_P12ihipStream_tbPNSt15iterator_traitsISI_E10value_typeEPNSO_ISJ_E10value_typeEPSK_NS1_7vsmem_tEENKUlT_SI_SJ_SK_E_clIPiSD_S10_SD_EESH_SX_SI_SJ_SK_EUlSX_E1_NS1_11comp_targetILNS1_3genE3ELNS1_11target_archE908ELNS1_3gpuE7ELNS1_3repE0EEENS1_36merge_oddeven_config_static_selectorELNS0_4arch9wavefront6targetE1EEEvSJ_.has_recursion, 0
	.set _ZN7rocprim17ROCPRIM_400000_NS6detail17trampoline_kernelINS0_14default_configENS1_38merge_sort_block_merge_config_selectorIiiEEZZNS1_27merge_sort_block_merge_implIS3_N6thrust23THRUST_200600_302600_NS6detail15normal_iteratorINS8_10device_ptrIiEEEESD_jNS1_19radix_merge_compareILb0ELb0EiNS0_19identity_decomposerEEEEE10hipError_tT0_T1_T2_jT3_P12ihipStream_tbPNSt15iterator_traitsISI_E10value_typeEPNSO_ISJ_E10value_typeEPSK_NS1_7vsmem_tEENKUlT_SI_SJ_SK_E_clIPiSD_S10_SD_EESH_SX_SI_SJ_SK_EUlSX_E1_NS1_11comp_targetILNS1_3genE3ELNS1_11target_archE908ELNS1_3gpuE7ELNS1_3repE0EEENS1_36merge_oddeven_config_static_selectorELNS0_4arch9wavefront6targetE1EEEvSJ_.has_indirect_call, 0
	.section	.AMDGPU.csdata,"",@progbits
; Kernel info:
; codeLenInByte = 0
; TotalNumSgprs: 6
; NumVgprs: 0
; NumAgprs: 0
; TotalNumVgprs: 0
; ScratchSize: 0
; MemoryBound: 0
; FloatMode: 240
; IeeeMode: 1
; LDSByteSize: 0 bytes/workgroup (compile time only)
; SGPRBlocks: 0
; VGPRBlocks: 0
; NumSGPRsForWavesPerEU: 6
; NumVGPRsForWavesPerEU: 1
; AccumOffset: 4
; Occupancy: 8
; WaveLimiterHint : 0
; COMPUTE_PGM_RSRC2:SCRATCH_EN: 0
; COMPUTE_PGM_RSRC2:USER_SGPR: 2
; COMPUTE_PGM_RSRC2:TRAP_HANDLER: 0
; COMPUTE_PGM_RSRC2:TGID_X_EN: 1
; COMPUTE_PGM_RSRC2:TGID_Y_EN: 0
; COMPUTE_PGM_RSRC2:TGID_Z_EN: 0
; COMPUTE_PGM_RSRC2:TIDIG_COMP_CNT: 0
; COMPUTE_PGM_RSRC3_GFX90A:ACCUM_OFFSET: 0
; COMPUTE_PGM_RSRC3_GFX90A:TG_SPLIT: 0
	.section	.text._ZN7rocprim17ROCPRIM_400000_NS6detail17trampoline_kernelINS0_14default_configENS1_38merge_sort_block_merge_config_selectorIiiEEZZNS1_27merge_sort_block_merge_implIS3_N6thrust23THRUST_200600_302600_NS6detail15normal_iteratorINS8_10device_ptrIiEEEESD_jNS1_19radix_merge_compareILb0ELb0EiNS0_19identity_decomposerEEEEE10hipError_tT0_T1_T2_jT3_P12ihipStream_tbPNSt15iterator_traitsISI_E10value_typeEPNSO_ISJ_E10value_typeEPSK_NS1_7vsmem_tEENKUlT_SI_SJ_SK_E_clIPiSD_S10_SD_EESH_SX_SI_SJ_SK_EUlSX_E1_NS1_11comp_targetILNS1_3genE2ELNS1_11target_archE906ELNS1_3gpuE6ELNS1_3repE0EEENS1_36merge_oddeven_config_static_selectorELNS0_4arch9wavefront6targetE1EEEvSJ_,"axG",@progbits,_ZN7rocprim17ROCPRIM_400000_NS6detail17trampoline_kernelINS0_14default_configENS1_38merge_sort_block_merge_config_selectorIiiEEZZNS1_27merge_sort_block_merge_implIS3_N6thrust23THRUST_200600_302600_NS6detail15normal_iteratorINS8_10device_ptrIiEEEESD_jNS1_19radix_merge_compareILb0ELb0EiNS0_19identity_decomposerEEEEE10hipError_tT0_T1_T2_jT3_P12ihipStream_tbPNSt15iterator_traitsISI_E10value_typeEPNSO_ISJ_E10value_typeEPSK_NS1_7vsmem_tEENKUlT_SI_SJ_SK_E_clIPiSD_S10_SD_EESH_SX_SI_SJ_SK_EUlSX_E1_NS1_11comp_targetILNS1_3genE2ELNS1_11target_archE906ELNS1_3gpuE6ELNS1_3repE0EEENS1_36merge_oddeven_config_static_selectorELNS0_4arch9wavefront6targetE1EEEvSJ_,comdat
	.protected	_ZN7rocprim17ROCPRIM_400000_NS6detail17trampoline_kernelINS0_14default_configENS1_38merge_sort_block_merge_config_selectorIiiEEZZNS1_27merge_sort_block_merge_implIS3_N6thrust23THRUST_200600_302600_NS6detail15normal_iteratorINS8_10device_ptrIiEEEESD_jNS1_19radix_merge_compareILb0ELb0EiNS0_19identity_decomposerEEEEE10hipError_tT0_T1_T2_jT3_P12ihipStream_tbPNSt15iterator_traitsISI_E10value_typeEPNSO_ISJ_E10value_typeEPSK_NS1_7vsmem_tEENKUlT_SI_SJ_SK_E_clIPiSD_S10_SD_EESH_SX_SI_SJ_SK_EUlSX_E1_NS1_11comp_targetILNS1_3genE2ELNS1_11target_archE906ELNS1_3gpuE6ELNS1_3repE0EEENS1_36merge_oddeven_config_static_selectorELNS0_4arch9wavefront6targetE1EEEvSJ_ ; -- Begin function _ZN7rocprim17ROCPRIM_400000_NS6detail17trampoline_kernelINS0_14default_configENS1_38merge_sort_block_merge_config_selectorIiiEEZZNS1_27merge_sort_block_merge_implIS3_N6thrust23THRUST_200600_302600_NS6detail15normal_iteratorINS8_10device_ptrIiEEEESD_jNS1_19radix_merge_compareILb0ELb0EiNS0_19identity_decomposerEEEEE10hipError_tT0_T1_T2_jT3_P12ihipStream_tbPNSt15iterator_traitsISI_E10value_typeEPNSO_ISJ_E10value_typeEPSK_NS1_7vsmem_tEENKUlT_SI_SJ_SK_E_clIPiSD_S10_SD_EESH_SX_SI_SJ_SK_EUlSX_E1_NS1_11comp_targetILNS1_3genE2ELNS1_11target_archE906ELNS1_3gpuE6ELNS1_3repE0EEENS1_36merge_oddeven_config_static_selectorELNS0_4arch9wavefront6targetE1EEEvSJ_
	.globl	_ZN7rocprim17ROCPRIM_400000_NS6detail17trampoline_kernelINS0_14default_configENS1_38merge_sort_block_merge_config_selectorIiiEEZZNS1_27merge_sort_block_merge_implIS3_N6thrust23THRUST_200600_302600_NS6detail15normal_iteratorINS8_10device_ptrIiEEEESD_jNS1_19radix_merge_compareILb0ELb0EiNS0_19identity_decomposerEEEEE10hipError_tT0_T1_T2_jT3_P12ihipStream_tbPNSt15iterator_traitsISI_E10value_typeEPNSO_ISJ_E10value_typeEPSK_NS1_7vsmem_tEENKUlT_SI_SJ_SK_E_clIPiSD_S10_SD_EESH_SX_SI_SJ_SK_EUlSX_E1_NS1_11comp_targetILNS1_3genE2ELNS1_11target_archE906ELNS1_3gpuE6ELNS1_3repE0EEENS1_36merge_oddeven_config_static_selectorELNS0_4arch9wavefront6targetE1EEEvSJ_
	.p2align	8
	.type	_ZN7rocprim17ROCPRIM_400000_NS6detail17trampoline_kernelINS0_14default_configENS1_38merge_sort_block_merge_config_selectorIiiEEZZNS1_27merge_sort_block_merge_implIS3_N6thrust23THRUST_200600_302600_NS6detail15normal_iteratorINS8_10device_ptrIiEEEESD_jNS1_19radix_merge_compareILb0ELb0EiNS0_19identity_decomposerEEEEE10hipError_tT0_T1_T2_jT3_P12ihipStream_tbPNSt15iterator_traitsISI_E10value_typeEPNSO_ISJ_E10value_typeEPSK_NS1_7vsmem_tEENKUlT_SI_SJ_SK_E_clIPiSD_S10_SD_EESH_SX_SI_SJ_SK_EUlSX_E1_NS1_11comp_targetILNS1_3genE2ELNS1_11target_archE906ELNS1_3gpuE6ELNS1_3repE0EEENS1_36merge_oddeven_config_static_selectorELNS0_4arch9wavefront6targetE1EEEvSJ_,@function
_ZN7rocprim17ROCPRIM_400000_NS6detail17trampoline_kernelINS0_14default_configENS1_38merge_sort_block_merge_config_selectorIiiEEZZNS1_27merge_sort_block_merge_implIS3_N6thrust23THRUST_200600_302600_NS6detail15normal_iteratorINS8_10device_ptrIiEEEESD_jNS1_19radix_merge_compareILb0ELb0EiNS0_19identity_decomposerEEEEE10hipError_tT0_T1_T2_jT3_P12ihipStream_tbPNSt15iterator_traitsISI_E10value_typeEPNSO_ISJ_E10value_typeEPSK_NS1_7vsmem_tEENKUlT_SI_SJ_SK_E_clIPiSD_S10_SD_EESH_SX_SI_SJ_SK_EUlSX_E1_NS1_11comp_targetILNS1_3genE2ELNS1_11target_archE906ELNS1_3gpuE6ELNS1_3repE0EEENS1_36merge_oddeven_config_static_selectorELNS0_4arch9wavefront6targetE1EEEvSJ_: ; @_ZN7rocprim17ROCPRIM_400000_NS6detail17trampoline_kernelINS0_14default_configENS1_38merge_sort_block_merge_config_selectorIiiEEZZNS1_27merge_sort_block_merge_implIS3_N6thrust23THRUST_200600_302600_NS6detail15normal_iteratorINS8_10device_ptrIiEEEESD_jNS1_19radix_merge_compareILb0ELb0EiNS0_19identity_decomposerEEEEE10hipError_tT0_T1_T2_jT3_P12ihipStream_tbPNSt15iterator_traitsISI_E10value_typeEPNSO_ISJ_E10value_typeEPSK_NS1_7vsmem_tEENKUlT_SI_SJ_SK_E_clIPiSD_S10_SD_EESH_SX_SI_SJ_SK_EUlSX_E1_NS1_11comp_targetILNS1_3genE2ELNS1_11target_archE906ELNS1_3gpuE6ELNS1_3repE0EEENS1_36merge_oddeven_config_static_selectorELNS0_4arch9wavefront6targetE1EEEvSJ_
; %bb.0:
	.section	.rodata,"a",@progbits
	.p2align	6, 0x0
	.amdhsa_kernel _ZN7rocprim17ROCPRIM_400000_NS6detail17trampoline_kernelINS0_14default_configENS1_38merge_sort_block_merge_config_selectorIiiEEZZNS1_27merge_sort_block_merge_implIS3_N6thrust23THRUST_200600_302600_NS6detail15normal_iteratorINS8_10device_ptrIiEEEESD_jNS1_19radix_merge_compareILb0ELb0EiNS0_19identity_decomposerEEEEE10hipError_tT0_T1_T2_jT3_P12ihipStream_tbPNSt15iterator_traitsISI_E10value_typeEPNSO_ISJ_E10value_typeEPSK_NS1_7vsmem_tEENKUlT_SI_SJ_SK_E_clIPiSD_S10_SD_EESH_SX_SI_SJ_SK_EUlSX_E1_NS1_11comp_targetILNS1_3genE2ELNS1_11target_archE906ELNS1_3gpuE6ELNS1_3repE0EEENS1_36merge_oddeven_config_static_selectorELNS0_4arch9wavefront6targetE1EEEvSJ_
		.amdhsa_group_segment_fixed_size 0
		.amdhsa_private_segment_fixed_size 0
		.amdhsa_kernarg_size 48
		.amdhsa_user_sgpr_count 2
		.amdhsa_user_sgpr_dispatch_ptr 0
		.amdhsa_user_sgpr_queue_ptr 0
		.amdhsa_user_sgpr_kernarg_segment_ptr 1
		.amdhsa_user_sgpr_dispatch_id 0
		.amdhsa_user_sgpr_kernarg_preload_length 0
		.amdhsa_user_sgpr_kernarg_preload_offset 0
		.amdhsa_user_sgpr_private_segment_size 0
		.amdhsa_uses_dynamic_stack 0
		.amdhsa_enable_private_segment 0
		.amdhsa_system_sgpr_workgroup_id_x 1
		.amdhsa_system_sgpr_workgroup_id_y 0
		.amdhsa_system_sgpr_workgroup_id_z 0
		.amdhsa_system_sgpr_workgroup_info 0
		.amdhsa_system_vgpr_workitem_id 0
		.amdhsa_next_free_vgpr 1
		.amdhsa_next_free_sgpr 0
		.amdhsa_accum_offset 4
		.amdhsa_reserve_vcc 0
		.amdhsa_float_round_mode_32 0
		.amdhsa_float_round_mode_16_64 0
		.amdhsa_float_denorm_mode_32 3
		.amdhsa_float_denorm_mode_16_64 3
		.amdhsa_dx10_clamp 1
		.amdhsa_ieee_mode 1
		.amdhsa_fp16_overflow 0
		.amdhsa_tg_split 0
		.amdhsa_exception_fp_ieee_invalid_op 0
		.amdhsa_exception_fp_denorm_src 0
		.amdhsa_exception_fp_ieee_div_zero 0
		.amdhsa_exception_fp_ieee_overflow 0
		.amdhsa_exception_fp_ieee_underflow 0
		.amdhsa_exception_fp_ieee_inexact 0
		.amdhsa_exception_int_div_zero 0
	.end_amdhsa_kernel
	.section	.text._ZN7rocprim17ROCPRIM_400000_NS6detail17trampoline_kernelINS0_14default_configENS1_38merge_sort_block_merge_config_selectorIiiEEZZNS1_27merge_sort_block_merge_implIS3_N6thrust23THRUST_200600_302600_NS6detail15normal_iteratorINS8_10device_ptrIiEEEESD_jNS1_19radix_merge_compareILb0ELb0EiNS0_19identity_decomposerEEEEE10hipError_tT0_T1_T2_jT3_P12ihipStream_tbPNSt15iterator_traitsISI_E10value_typeEPNSO_ISJ_E10value_typeEPSK_NS1_7vsmem_tEENKUlT_SI_SJ_SK_E_clIPiSD_S10_SD_EESH_SX_SI_SJ_SK_EUlSX_E1_NS1_11comp_targetILNS1_3genE2ELNS1_11target_archE906ELNS1_3gpuE6ELNS1_3repE0EEENS1_36merge_oddeven_config_static_selectorELNS0_4arch9wavefront6targetE1EEEvSJ_,"axG",@progbits,_ZN7rocprim17ROCPRIM_400000_NS6detail17trampoline_kernelINS0_14default_configENS1_38merge_sort_block_merge_config_selectorIiiEEZZNS1_27merge_sort_block_merge_implIS3_N6thrust23THRUST_200600_302600_NS6detail15normal_iteratorINS8_10device_ptrIiEEEESD_jNS1_19radix_merge_compareILb0ELb0EiNS0_19identity_decomposerEEEEE10hipError_tT0_T1_T2_jT3_P12ihipStream_tbPNSt15iterator_traitsISI_E10value_typeEPNSO_ISJ_E10value_typeEPSK_NS1_7vsmem_tEENKUlT_SI_SJ_SK_E_clIPiSD_S10_SD_EESH_SX_SI_SJ_SK_EUlSX_E1_NS1_11comp_targetILNS1_3genE2ELNS1_11target_archE906ELNS1_3gpuE6ELNS1_3repE0EEENS1_36merge_oddeven_config_static_selectorELNS0_4arch9wavefront6targetE1EEEvSJ_,comdat
.Lfunc_end1308:
	.size	_ZN7rocprim17ROCPRIM_400000_NS6detail17trampoline_kernelINS0_14default_configENS1_38merge_sort_block_merge_config_selectorIiiEEZZNS1_27merge_sort_block_merge_implIS3_N6thrust23THRUST_200600_302600_NS6detail15normal_iteratorINS8_10device_ptrIiEEEESD_jNS1_19radix_merge_compareILb0ELb0EiNS0_19identity_decomposerEEEEE10hipError_tT0_T1_T2_jT3_P12ihipStream_tbPNSt15iterator_traitsISI_E10value_typeEPNSO_ISJ_E10value_typeEPSK_NS1_7vsmem_tEENKUlT_SI_SJ_SK_E_clIPiSD_S10_SD_EESH_SX_SI_SJ_SK_EUlSX_E1_NS1_11comp_targetILNS1_3genE2ELNS1_11target_archE906ELNS1_3gpuE6ELNS1_3repE0EEENS1_36merge_oddeven_config_static_selectorELNS0_4arch9wavefront6targetE1EEEvSJ_, .Lfunc_end1308-_ZN7rocprim17ROCPRIM_400000_NS6detail17trampoline_kernelINS0_14default_configENS1_38merge_sort_block_merge_config_selectorIiiEEZZNS1_27merge_sort_block_merge_implIS3_N6thrust23THRUST_200600_302600_NS6detail15normal_iteratorINS8_10device_ptrIiEEEESD_jNS1_19radix_merge_compareILb0ELb0EiNS0_19identity_decomposerEEEEE10hipError_tT0_T1_T2_jT3_P12ihipStream_tbPNSt15iterator_traitsISI_E10value_typeEPNSO_ISJ_E10value_typeEPSK_NS1_7vsmem_tEENKUlT_SI_SJ_SK_E_clIPiSD_S10_SD_EESH_SX_SI_SJ_SK_EUlSX_E1_NS1_11comp_targetILNS1_3genE2ELNS1_11target_archE906ELNS1_3gpuE6ELNS1_3repE0EEENS1_36merge_oddeven_config_static_selectorELNS0_4arch9wavefront6targetE1EEEvSJ_
                                        ; -- End function
	.set _ZN7rocprim17ROCPRIM_400000_NS6detail17trampoline_kernelINS0_14default_configENS1_38merge_sort_block_merge_config_selectorIiiEEZZNS1_27merge_sort_block_merge_implIS3_N6thrust23THRUST_200600_302600_NS6detail15normal_iteratorINS8_10device_ptrIiEEEESD_jNS1_19radix_merge_compareILb0ELb0EiNS0_19identity_decomposerEEEEE10hipError_tT0_T1_T2_jT3_P12ihipStream_tbPNSt15iterator_traitsISI_E10value_typeEPNSO_ISJ_E10value_typeEPSK_NS1_7vsmem_tEENKUlT_SI_SJ_SK_E_clIPiSD_S10_SD_EESH_SX_SI_SJ_SK_EUlSX_E1_NS1_11comp_targetILNS1_3genE2ELNS1_11target_archE906ELNS1_3gpuE6ELNS1_3repE0EEENS1_36merge_oddeven_config_static_selectorELNS0_4arch9wavefront6targetE1EEEvSJ_.num_vgpr, 0
	.set _ZN7rocprim17ROCPRIM_400000_NS6detail17trampoline_kernelINS0_14default_configENS1_38merge_sort_block_merge_config_selectorIiiEEZZNS1_27merge_sort_block_merge_implIS3_N6thrust23THRUST_200600_302600_NS6detail15normal_iteratorINS8_10device_ptrIiEEEESD_jNS1_19radix_merge_compareILb0ELb0EiNS0_19identity_decomposerEEEEE10hipError_tT0_T1_T2_jT3_P12ihipStream_tbPNSt15iterator_traitsISI_E10value_typeEPNSO_ISJ_E10value_typeEPSK_NS1_7vsmem_tEENKUlT_SI_SJ_SK_E_clIPiSD_S10_SD_EESH_SX_SI_SJ_SK_EUlSX_E1_NS1_11comp_targetILNS1_3genE2ELNS1_11target_archE906ELNS1_3gpuE6ELNS1_3repE0EEENS1_36merge_oddeven_config_static_selectorELNS0_4arch9wavefront6targetE1EEEvSJ_.num_agpr, 0
	.set _ZN7rocprim17ROCPRIM_400000_NS6detail17trampoline_kernelINS0_14default_configENS1_38merge_sort_block_merge_config_selectorIiiEEZZNS1_27merge_sort_block_merge_implIS3_N6thrust23THRUST_200600_302600_NS6detail15normal_iteratorINS8_10device_ptrIiEEEESD_jNS1_19radix_merge_compareILb0ELb0EiNS0_19identity_decomposerEEEEE10hipError_tT0_T1_T2_jT3_P12ihipStream_tbPNSt15iterator_traitsISI_E10value_typeEPNSO_ISJ_E10value_typeEPSK_NS1_7vsmem_tEENKUlT_SI_SJ_SK_E_clIPiSD_S10_SD_EESH_SX_SI_SJ_SK_EUlSX_E1_NS1_11comp_targetILNS1_3genE2ELNS1_11target_archE906ELNS1_3gpuE6ELNS1_3repE0EEENS1_36merge_oddeven_config_static_selectorELNS0_4arch9wavefront6targetE1EEEvSJ_.numbered_sgpr, 0
	.set _ZN7rocprim17ROCPRIM_400000_NS6detail17trampoline_kernelINS0_14default_configENS1_38merge_sort_block_merge_config_selectorIiiEEZZNS1_27merge_sort_block_merge_implIS3_N6thrust23THRUST_200600_302600_NS6detail15normal_iteratorINS8_10device_ptrIiEEEESD_jNS1_19radix_merge_compareILb0ELb0EiNS0_19identity_decomposerEEEEE10hipError_tT0_T1_T2_jT3_P12ihipStream_tbPNSt15iterator_traitsISI_E10value_typeEPNSO_ISJ_E10value_typeEPSK_NS1_7vsmem_tEENKUlT_SI_SJ_SK_E_clIPiSD_S10_SD_EESH_SX_SI_SJ_SK_EUlSX_E1_NS1_11comp_targetILNS1_3genE2ELNS1_11target_archE906ELNS1_3gpuE6ELNS1_3repE0EEENS1_36merge_oddeven_config_static_selectorELNS0_4arch9wavefront6targetE1EEEvSJ_.num_named_barrier, 0
	.set _ZN7rocprim17ROCPRIM_400000_NS6detail17trampoline_kernelINS0_14default_configENS1_38merge_sort_block_merge_config_selectorIiiEEZZNS1_27merge_sort_block_merge_implIS3_N6thrust23THRUST_200600_302600_NS6detail15normal_iteratorINS8_10device_ptrIiEEEESD_jNS1_19radix_merge_compareILb0ELb0EiNS0_19identity_decomposerEEEEE10hipError_tT0_T1_T2_jT3_P12ihipStream_tbPNSt15iterator_traitsISI_E10value_typeEPNSO_ISJ_E10value_typeEPSK_NS1_7vsmem_tEENKUlT_SI_SJ_SK_E_clIPiSD_S10_SD_EESH_SX_SI_SJ_SK_EUlSX_E1_NS1_11comp_targetILNS1_3genE2ELNS1_11target_archE906ELNS1_3gpuE6ELNS1_3repE0EEENS1_36merge_oddeven_config_static_selectorELNS0_4arch9wavefront6targetE1EEEvSJ_.private_seg_size, 0
	.set _ZN7rocprim17ROCPRIM_400000_NS6detail17trampoline_kernelINS0_14default_configENS1_38merge_sort_block_merge_config_selectorIiiEEZZNS1_27merge_sort_block_merge_implIS3_N6thrust23THRUST_200600_302600_NS6detail15normal_iteratorINS8_10device_ptrIiEEEESD_jNS1_19radix_merge_compareILb0ELb0EiNS0_19identity_decomposerEEEEE10hipError_tT0_T1_T2_jT3_P12ihipStream_tbPNSt15iterator_traitsISI_E10value_typeEPNSO_ISJ_E10value_typeEPSK_NS1_7vsmem_tEENKUlT_SI_SJ_SK_E_clIPiSD_S10_SD_EESH_SX_SI_SJ_SK_EUlSX_E1_NS1_11comp_targetILNS1_3genE2ELNS1_11target_archE906ELNS1_3gpuE6ELNS1_3repE0EEENS1_36merge_oddeven_config_static_selectorELNS0_4arch9wavefront6targetE1EEEvSJ_.uses_vcc, 0
	.set _ZN7rocprim17ROCPRIM_400000_NS6detail17trampoline_kernelINS0_14default_configENS1_38merge_sort_block_merge_config_selectorIiiEEZZNS1_27merge_sort_block_merge_implIS3_N6thrust23THRUST_200600_302600_NS6detail15normal_iteratorINS8_10device_ptrIiEEEESD_jNS1_19radix_merge_compareILb0ELb0EiNS0_19identity_decomposerEEEEE10hipError_tT0_T1_T2_jT3_P12ihipStream_tbPNSt15iterator_traitsISI_E10value_typeEPNSO_ISJ_E10value_typeEPSK_NS1_7vsmem_tEENKUlT_SI_SJ_SK_E_clIPiSD_S10_SD_EESH_SX_SI_SJ_SK_EUlSX_E1_NS1_11comp_targetILNS1_3genE2ELNS1_11target_archE906ELNS1_3gpuE6ELNS1_3repE0EEENS1_36merge_oddeven_config_static_selectorELNS0_4arch9wavefront6targetE1EEEvSJ_.uses_flat_scratch, 0
	.set _ZN7rocprim17ROCPRIM_400000_NS6detail17trampoline_kernelINS0_14default_configENS1_38merge_sort_block_merge_config_selectorIiiEEZZNS1_27merge_sort_block_merge_implIS3_N6thrust23THRUST_200600_302600_NS6detail15normal_iteratorINS8_10device_ptrIiEEEESD_jNS1_19radix_merge_compareILb0ELb0EiNS0_19identity_decomposerEEEEE10hipError_tT0_T1_T2_jT3_P12ihipStream_tbPNSt15iterator_traitsISI_E10value_typeEPNSO_ISJ_E10value_typeEPSK_NS1_7vsmem_tEENKUlT_SI_SJ_SK_E_clIPiSD_S10_SD_EESH_SX_SI_SJ_SK_EUlSX_E1_NS1_11comp_targetILNS1_3genE2ELNS1_11target_archE906ELNS1_3gpuE6ELNS1_3repE0EEENS1_36merge_oddeven_config_static_selectorELNS0_4arch9wavefront6targetE1EEEvSJ_.has_dyn_sized_stack, 0
	.set _ZN7rocprim17ROCPRIM_400000_NS6detail17trampoline_kernelINS0_14default_configENS1_38merge_sort_block_merge_config_selectorIiiEEZZNS1_27merge_sort_block_merge_implIS3_N6thrust23THRUST_200600_302600_NS6detail15normal_iteratorINS8_10device_ptrIiEEEESD_jNS1_19radix_merge_compareILb0ELb0EiNS0_19identity_decomposerEEEEE10hipError_tT0_T1_T2_jT3_P12ihipStream_tbPNSt15iterator_traitsISI_E10value_typeEPNSO_ISJ_E10value_typeEPSK_NS1_7vsmem_tEENKUlT_SI_SJ_SK_E_clIPiSD_S10_SD_EESH_SX_SI_SJ_SK_EUlSX_E1_NS1_11comp_targetILNS1_3genE2ELNS1_11target_archE906ELNS1_3gpuE6ELNS1_3repE0EEENS1_36merge_oddeven_config_static_selectorELNS0_4arch9wavefront6targetE1EEEvSJ_.has_recursion, 0
	.set _ZN7rocprim17ROCPRIM_400000_NS6detail17trampoline_kernelINS0_14default_configENS1_38merge_sort_block_merge_config_selectorIiiEEZZNS1_27merge_sort_block_merge_implIS3_N6thrust23THRUST_200600_302600_NS6detail15normal_iteratorINS8_10device_ptrIiEEEESD_jNS1_19radix_merge_compareILb0ELb0EiNS0_19identity_decomposerEEEEE10hipError_tT0_T1_T2_jT3_P12ihipStream_tbPNSt15iterator_traitsISI_E10value_typeEPNSO_ISJ_E10value_typeEPSK_NS1_7vsmem_tEENKUlT_SI_SJ_SK_E_clIPiSD_S10_SD_EESH_SX_SI_SJ_SK_EUlSX_E1_NS1_11comp_targetILNS1_3genE2ELNS1_11target_archE906ELNS1_3gpuE6ELNS1_3repE0EEENS1_36merge_oddeven_config_static_selectorELNS0_4arch9wavefront6targetE1EEEvSJ_.has_indirect_call, 0
	.section	.AMDGPU.csdata,"",@progbits
; Kernel info:
; codeLenInByte = 0
; TotalNumSgprs: 6
; NumVgprs: 0
; NumAgprs: 0
; TotalNumVgprs: 0
; ScratchSize: 0
; MemoryBound: 0
; FloatMode: 240
; IeeeMode: 1
; LDSByteSize: 0 bytes/workgroup (compile time only)
; SGPRBlocks: 0
; VGPRBlocks: 0
; NumSGPRsForWavesPerEU: 6
; NumVGPRsForWavesPerEU: 1
; AccumOffset: 4
; Occupancy: 8
; WaveLimiterHint : 0
; COMPUTE_PGM_RSRC2:SCRATCH_EN: 0
; COMPUTE_PGM_RSRC2:USER_SGPR: 2
; COMPUTE_PGM_RSRC2:TRAP_HANDLER: 0
; COMPUTE_PGM_RSRC2:TGID_X_EN: 1
; COMPUTE_PGM_RSRC2:TGID_Y_EN: 0
; COMPUTE_PGM_RSRC2:TGID_Z_EN: 0
; COMPUTE_PGM_RSRC2:TIDIG_COMP_CNT: 0
; COMPUTE_PGM_RSRC3_GFX90A:ACCUM_OFFSET: 0
; COMPUTE_PGM_RSRC3_GFX90A:TG_SPLIT: 0
	.section	.text._ZN7rocprim17ROCPRIM_400000_NS6detail17trampoline_kernelINS0_14default_configENS1_38merge_sort_block_merge_config_selectorIiiEEZZNS1_27merge_sort_block_merge_implIS3_N6thrust23THRUST_200600_302600_NS6detail15normal_iteratorINS8_10device_ptrIiEEEESD_jNS1_19radix_merge_compareILb0ELb0EiNS0_19identity_decomposerEEEEE10hipError_tT0_T1_T2_jT3_P12ihipStream_tbPNSt15iterator_traitsISI_E10value_typeEPNSO_ISJ_E10value_typeEPSK_NS1_7vsmem_tEENKUlT_SI_SJ_SK_E_clIPiSD_S10_SD_EESH_SX_SI_SJ_SK_EUlSX_E1_NS1_11comp_targetILNS1_3genE9ELNS1_11target_archE1100ELNS1_3gpuE3ELNS1_3repE0EEENS1_36merge_oddeven_config_static_selectorELNS0_4arch9wavefront6targetE1EEEvSJ_,"axG",@progbits,_ZN7rocprim17ROCPRIM_400000_NS6detail17trampoline_kernelINS0_14default_configENS1_38merge_sort_block_merge_config_selectorIiiEEZZNS1_27merge_sort_block_merge_implIS3_N6thrust23THRUST_200600_302600_NS6detail15normal_iteratorINS8_10device_ptrIiEEEESD_jNS1_19radix_merge_compareILb0ELb0EiNS0_19identity_decomposerEEEEE10hipError_tT0_T1_T2_jT3_P12ihipStream_tbPNSt15iterator_traitsISI_E10value_typeEPNSO_ISJ_E10value_typeEPSK_NS1_7vsmem_tEENKUlT_SI_SJ_SK_E_clIPiSD_S10_SD_EESH_SX_SI_SJ_SK_EUlSX_E1_NS1_11comp_targetILNS1_3genE9ELNS1_11target_archE1100ELNS1_3gpuE3ELNS1_3repE0EEENS1_36merge_oddeven_config_static_selectorELNS0_4arch9wavefront6targetE1EEEvSJ_,comdat
	.protected	_ZN7rocprim17ROCPRIM_400000_NS6detail17trampoline_kernelINS0_14default_configENS1_38merge_sort_block_merge_config_selectorIiiEEZZNS1_27merge_sort_block_merge_implIS3_N6thrust23THRUST_200600_302600_NS6detail15normal_iteratorINS8_10device_ptrIiEEEESD_jNS1_19radix_merge_compareILb0ELb0EiNS0_19identity_decomposerEEEEE10hipError_tT0_T1_T2_jT3_P12ihipStream_tbPNSt15iterator_traitsISI_E10value_typeEPNSO_ISJ_E10value_typeEPSK_NS1_7vsmem_tEENKUlT_SI_SJ_SK_E_clIPiSD_S10_SD_EESH_SX_SI_SJ_SK_EUlSX_E1_NS1_11comp_targetILNS1_3genE9ELNS1_11target_archE1100ELNS1_3gpuE3ELNS1_3repE0EEENS1_36merge_oddeven_config_static_selectorELNS0_4arch9wavefront6targetE1EEEvSJ_ ; -- Begin function _ZN7rocprim17ROCPRIM_400000_NS6detail17trampoline_kernelINS0_14default_configENS1_38merge_sort_block_merge_config_selectorIiiEEZZNS1_27merge_sort_block_merge_implIS3_N6thrust23THRUST_200600_302600_NS6detail15normal_iteratorINS8_10device_ptrIiEEEESD_jNS1_19radix_merge_compareILb0ELb0EiNS0_19identity_decomposerEEEEE10hipError_tT0_T1_T2_jT3_P12ihipStream_tbPNSt15iterator_traitsISI_E10value_typeEPNSO_ISJ_E10value_typeEPSK_NS1_7vsmem_tEENKUlT_SI_SJ_SK_E_clIPiSD_S10_SD_EESH_SX_SI_SJ_SK_EUlSX_E1_NS1_11comp_targetILNS1_3genE9ELNS1_11target_archE1100ELNS1_3gpuE3ELNS1_3repE0EEENS1_36merge_oddeven_config_static_selectorELNS0_4arch9wavefront6targetE1EEEvSJ_
	.globl	_ZN7rocprim17ROCPRIM_400000_NS6detail17trampoline_kernelINS0_14default_configENS1_38merge_sort_block_merge_config_selectorIiiEEZZNS1_27merge_sort_block_merge_implIS3_N6thrust23THRUST_200600_302600_NS6detail15normal_iteratorINS8_10device_ptrIiEEEESD_jNS1_19radix_merge_compareILb0ELb0EiNS0_19identity_decomposerEEEEE10hipError_tT0_T1_T2_jT3_P12ihipStream_tbPNSt15iterator_traitsISI_E10value_typeEPNSO_ISJ_E10value_typeEPSK_NS1_7vsmem_tEENKUlT_SI_SJ_SK_E_clIPiSD_S10_SD_EESH_SX_SI_SJ_SK_EUlSX_E1_NS1_11comp_targetILNS1_3genE9ELNS1_11target_archE1100ELNS1_3gpuE3ELNS1_3repE0EEENS1_36merge_oddeven_config_static_selectorELNS0_4arch9wavefront6targetE1EEEvSJ_
	.p2align	8
	.type	_ZN7rocprim17ROCPRIM_400000_NS6detail17trampoline_kernelINS0_14default_configENS1_38merge_sort_block_merge_config_selectorIiiEEZZNS1_27merge_sort_block_merge_implIS3_N6thrust23THRUST_200600_302600_NS6detail15normal_iteratorINS8_10device_ptrIiEEEESD_jNS1_19radix_merge_compareILb0ELb0EiNS0_19identity_decomposerEEEEE10hipError_tT0_T1_T2_jT3_P12ihipStream_tbPNSt15iterator_traitsISI_E10value_typeEPNSO_ISJ_E10value_typeEPSK_NS1_7vsmem_tEENKUlT_SI_SJ_SK_E_clIPiSD_S10_SD_EESH_SX_SI_SJ_SK_EUlSX_E1_NS1_11comp_targetILNS1_3genE9ELNS1_11target_archE1100ELNS1_3gpuE3ELNS1_3repE0EEENS1_36merge_oddeven_config_static_selectorELNS0_4arch9wavefront6targetE1EEEvSJ_,@function
_ZN7rocprim17ROCPRIM_400000_NS6detail17trampoline_kernelINS0_14default_configENS1_38merge_sort_block_merge_config_selectorIiiEEZZNS1_27merge_sort_block_merge_implIS3_N6thrust23THRUST_200600_302600_NS6detail15normal_iteratorINS8_10device_ptrIiEEEESD_jNS1_19radix_merge_compareILb0ELb0EiNS0_19identity_decomposerEEEEE10hipError_tT0_T1_T2_jT3_P12ihipStream_tbPNSt15iterator_traitsISI_E10value_typeEPNSO_ISJ_E10value_typeEPSK_NS1_7vsmem_tEENKUlT_SI_SJ_SK_E_clIPiSD_S10_SD_EESH_SX_SI_SJ_SK_EUlSX_E1_NS1_11comp_targetILNS1_3genE9ELNS1_11target_archE1100ELNS1_3gpuE3ELNS1_3repE0EEENS1_36merge_oddeven_config_static_selectorELNS0_4arch9wavefront6targetE1EEEvSJ_: ; @_ZN7rocprim17ROCPRIM_400000_NS6detail17trampoline_kernelINS0_14default_configENS1_38merge_sort_block_merge_config_selectorIiiEEZZNS1_27merge_sort_block_merge_implIS3_N6thrust23THRUST_200600_302600_NS6detail15normal_iteratorINS8_10device_ptrIiEEEESD_jNS1_19radix_merge_compareILb0ELb0EiNS0_19identity_decomposerEEEEE10hipError_tT0_T1_T2_jT3_P12ihipStream_tbPNSt15iterator_traitsISI_E10value_typeEPNSO_ISJ_E10value_typeEPSK_NS1_7vsmem_tEENKUlT_SI_SJ_SK_E_clIPiSD_S10_SD_EESH_SX_SI_SJ_SK_EUlSX_E1_NS1_11comp_targetILNS1_3genE9ELNS1_11target_archE1100ELNS1_3gpuE3ELNS1_3repE0EEENS1_36merge_oddeven_config_static_selectorELNS0_4arch9wavefront6targetE1EEEvSJ_
; %bb.0:
	.section	.rodata,"a",@progbits
	.p2align	6, 0x0
	.amdhsa_kernel _ZN7rocprim17ROCPRIM_400000_NS6detail17trampoline_kernelINS0_14default_configENS1_38merge_sort_block_merge_config_selectorIiiEEZZNS1_27merge_sort_block_merge_implIS3_N6thrust23THRUST_200600_302600_NS6detail15normal_iteratorINS8_10device_ptrIiEEEESD_jNS1_19radix_merge_compareILb0ELb0EiNS0_19identity_decomposerEEEEE10hipError_tT0_T1_T2_jT3_P12ihipStream_tbPNSt15iterator_traitsISI_E10value_typeEPNSO_ISJ_E10value_typeEPSK_NS1_7vsmem_tEENKUlT_SI_SJ_SK_E_clIPiSD_S10_SD_EESH_SX_SI_SJ_SK_EUlSX_E1_NS1_11comp_targetILNS1_3genE9ELNS1_11target_archE1100ELNS1_3gpuE3ELNS1_3repE0EEENS1_36merge_oddeven_config_static_selectorELNS0_4arch9wavefront6targetE1EEEvSJ_
		.amdhsa_group_segment_fixed_size 0
		.amdhsa_private_segment_fixed_size 0
		.amdhsa_kernarg_size 48
		.amdhsa_user_sgpr_count 2
		.amdhsa_user_sgpr_dispatch_ptr 0
		.amdhsa_user_sgpr_queue_ptr 0
		.amdhsa_user_sgpr_kernarg_segment_ptr 1
		.amdhsa_user_sgpr_dispatch_id 0
		.amdhsa_user_sgpr_kernarg_preload_length 0
		.amdhsa_user_sgpr_kernarg_preload_offset 0
		.amdhsa_user_sgpr_private_segment_size 0
		.amdhsa_uses_dynamic_stack 0
		.amdhsa_enable_private_segment 0
		.amdhsa_system_sgpr_workgroup_id_x 1
		.amdhsa_system_sgpr_workgroup_id_y 0
		.amdhsa_system_sgpr_workgroup_id_z 0
		.amdhsa_system_sgpr_workgroup_info 0
		.amdhsa_system_vgpr_workitem_id 0
		.amdhsa_next_free_vgpr 1
		.amdhsa_next_free_sgpr 0
		.amdhsa_accum_offset 4
		.amdhsa_reserve_vcc 0
		.amdhsa_float_round_mode_32 0
		.amdhsa_float_round_mode_16_64 0
		.amdhsa_float_denorm_mode_32 3
		.amdhsa_float_denorm_mode_16_64 3
		.amdhsa_dx10_clamp 1
		.amdhsa_ieee_mode 1
		.amdhsa_fp16_overflow 0
		.amdhsa_tg_split 0
		.amdhsa_exception_fp_ieee_invalid_op 0
		.amdhsa_exception_fp_denorm_src 0
		.amdhsa_exception_fp_ieee_div_zero 0
		.amdhsa_exception_fp_ieee_overflow 0
		.amdhsa_exception_fp_ieee_underflow 0
		.amdhsa_exception_fp_ieee_inexact 0
		.amdhsa_exception_int_div_zero 0
	.end_amdhsa_kernel
	.section	.text._ZN7rocprim17ROCPRIM_400000_NS6detail17trampoline_kernelINS0_14default_configENS1_38merge_sort_block_merge_config_selectorIiiEEZZNS1_27merge_sort_block_merge_implIS3_N6thrust23THRUST_200600_302600_NS6detail15normal_iteratorINS8_10device_ptrIiEEEESD_jNS1_19radix_merge_compareILb0ELb0EiNS0_19identity_decomposerEEEEE10hipError_tT0_T1_T2_jT3_P12ihipStream_tbPNSt15iterator_traitsISI_E10value_typeEPNSO_ISJ_E10value_typeEPSK_NS1_7vsmem_tEENKUlT_SI_SJ_SK_E_clIPiSD_S10_SD_EESH_SX_SI_SJ_SK_EUlSX_E1_NS1_11comp_targetILNS1_3genE9ELNS1_11target_archE1100ELNS1_3gpuE3ELNS1_3repE0EEENS1_36merge_oddeven_config_static_selectorELNS0_4arch9wavefront6targetE1EEEvSJ_,"axG",@progbits,_ZN7rocprim17ROCPRIM_400000_NS6detail17trampoline_kernelINS0_14default_configENS1_38merge_sort_block_merge_config_selectorIiiEEZZNS1_27merge_sort_block_merge_implIS3_N6thrust23THRUST_200600_302600_NS6detail15normal_iteratorINS8_10device_ptrIiEEEESD_jNS1_19radix_merge_compareILb0ELb0EiNS0_19identity_decomposerEEEEE10hipError_tT0_T1_T2_jT3_P12ihipStream_tbPNSt15iterator_traitsISI_E10value_typeEPNSO_ISJ_E10value_typeEPSK_NS1_7vsmem_tEENKUlT_SI_SJ_SK_E_clIPiSD_S10_SD_EESH_SX_SI_SJ_SK_EUlSX_E1_NS1_11comp_targetILNS1_3genE9ELNS1_11target_archE1100ELNS1_3gpuE3ELNS1_3repE0EEENS1_36merge_oddeven_config_static_selectorELNS0_4arch9wavefront6targetE1EEEvSJ_,comdat
.Lfunc_end1309:
	.size	_ZN7rocprim17ROCPRIM_400000_NS6detail17trampoline_kernelINS0_14default_configENS1_38merge_sort_block_merge_config_selectorIiiEEZZNS1_27merge_sort_block_merge_implIS3_N6thrust23THRUST_200600_302600_NS6detail15normal_iteratorINS8_10device_ptrIiEEEESD_jNS1_19radix_merge_compareILb0ELb0EiNS0_19identity_decomposerEEEEE10hipError_tT0_T1_T2_jT3_P12ihipStream_tbPNSt15iterator_traitsISI_E10value_typeEPNSO_ISJ_E10value_typeEPSK_NS1_7vsmem_tEENKUlT_SI_SJ_SK_E_clIPiSD_S10_SD_EESH_SX_SI_SJ_SK_EUlSX_E1_NS1_11comp_targetILNS1_3genE9ELNS1_11target_archE1100ELNS1_3gpuE3ELNS1_3repE0EEENS1_36merge_oddeven_config_static_selectorELNS0_4arch9wavefront6targetE1EEEvSJ_, .Lfunc_end1309-_ZN7rocprim17ROCPRIM_400000_NS6detail17trampoline_kernelINS0_14default_configENS1_38merge_sort_block_merge_config_selectorIiiEEZZNS1_27merge_sort_block_merge_implIS3_N6thrust23THRUST_200600_302600_NS6detail15normal_iteratorINS8_10device_ptrIiEEEESD_jNS1_19radix_merge_compareILb0ELb0EiNS0_19identity_decomposerEEEEE10hipError_tT0_T1_T2_jT3_P12ihipStream_tbPNSt15iterator_traitsISI_E10value_typeEPNSO_ISJ_E10value_typeEPSK_NS1_7vsmem_tEENKUlT_SI_SJ_SK_E_clIPiSD_S10_SD_EESH_SX_SI_SJ_SK_EUlSX_E1_NS1_11comp_targetILNS1_3genE9ELNS1_11target_archE1100ELNS1_3gpuE3ELNS1_3repE0EEENS1_36merge_oddeven_config_static_selectorELNS0_4arch9wavefront6targetE1EEEvSJ_
                                        ; -- End function
	.set _ZN7rocprim17ROCPRIM_400000_NS6detail17trampoline_kernelINS0_14default_configENS1_38merge_sort_block_merge_config_selectorIiiEEZZNS1_27merge_sort_block_merge_implIS3_N6thrust23THRUST_200600_302600_NS6detail15normal_iteratorINS8_10device_ptrIiEEEESD_jNS1_19radix_merge_compareILb0ELb0EiNS0_19identity_decomposerEEEEE10hipError_tT0_T1_T2_jT3_P12ihipStream_tbPNSt15iterator_traitsISI_E10value_typeEPNSO_ISJ_E10value_typeEPSK_NS1_7vsmem_tEENKUlT_SI_SJ_SK_E_clIPiSD_S10_SD_EESH_SX_SI_SJ_SK_EUlSX_E1_NS1_11comp_targetILNS1_3genE9ELNS1_11target_archE1100ELNS1_3gpuE3ELNS1_3repE0EEENS1_36merge_oddeven_config_static_selectorELNS0_4arch9wavefront6targetE1EEEvSJ_.num_vgpr, 0
	.set _ZN7rocprim17ROCPRIM_400000_NS6detail17trampoline_kernelINS0_14default_configENS1_38merge_sort_block_merge_config_selectorIiiEEZZNS1_27merge_sort_block_merge_implIS3_N6thrust23THRUST_200600_302600_NS6detail15normal_iteratorINS8_10device_ptrIiEEEESD_jNS1_19radix_merge_compareILb0ELb0EiNS0_19identity_decomposerEEEEE10hipError_tT0_T1_T2_jT3_P12ihipStream_tbPNSt15iterator_traitsISI_E10value_typeEPNSO_ISJ_E10value_typeEPSK_NS1_7vsmem_tEENKUlT_SI_SJ_SK_E_clIPiSD_S10_SD_EESH_SX_SI_SJ_SK_EUlSX_E1_NS1_11comp_targetILNS1_3genE9ELNS1_11target_archE1100ELNS1_3gpuE3ELNS1_3repE0EEENS1_36merge_oddeven_config_static_selectorELNS0_4arch9wavefront6targetE1EEEvSJ_.num_agpr, 0
	.set _ZN7rocprim17ROCPRIM_400000_NS6detail17trampoline_kernelINS0_14default_configENS1_38merge_sort_block_merge_config_selectorIiiEEZZNS1_27merge_sort_block_merge_implIS3_N6thrust23THRUST_200600_302600_NS6detail15normal_iteratorINS8_10device_ptrIiEEEESD_jNS1_19radix_merge_compareILb0ELb0EiNS0_19identity_decomposerEEEEE10hipError_tT0_T1_T2_jT3_P12ihipStream_tbPNSt15iterator_traitsISI_E10value_typeEPNSO_ISJ_E10value_typeEPSK_NS1_7vsmem_tEENKUlT_SI_SJ_SK_E_clIPiSD_S10_SD_EESH_SX_SI_SJ_SK_EUlSX_E1_NS1_11comp_targetILNS1_3genE9ELNS1_11target_archE1100ELNS1_3gpuE3ELNS1_3repE0EEENS1_36merge_oddeven_config_static_selectorELNS0_4arch9wavefront6targetE1EEEvSJ_.numbered_sgpr, 0
	.set _ZN7rocprim17ROCPRIM_400000_NS6detail17trampoline_kernelINS0_14default_configENS1_38merge_sort_block_merge_config_selectorIiiEEZZNS1_27merge_sort_block_merge_implIS3_N6thrust23THRUST_200600_302600_NS6detail15normal_iteratorINS8_10device_ptrIiEEEESD_jNS1_19radix_merge_compareILb0ELb0EiNS0_19identity_decomposerEEEEE10hipError_tT0_T1_T2_jT3_P12ihipStream_tbPNSt15iterator_traitsISI_E10value_typeEPNSO_ISJ_E10value_typeEPSK_NS1_7vsmem_tEENKUlT_SI_SJ_SK_E_clIPiSD_S10_SD_EESH_SX_SI_SJ_SK_EUlSX_E1_NS1_11comp_targetILNS1_3genE9ELNS1_11target_archE1100ELNS1_3gpuE3ELNS1_3repE0EEENS1_36merge_oddeven_config_static_selectorELNS0_4arch9wavefront6targetE1EEEvSJ_.num_named_barrier, 0
	.set _ZN7rocprim17ROCPRIM_400000_NS6detail17trampoline_kernelINS0_14default_configENS1_38merge_sort_block_merge_config_selectorIiiEEZZNS1_27merge_sort_block_merge_implIS3_N6thrust23THRUST_200600_302600_NS6detail15normal_iteratorINS8_10device_ptrIiEEEESD_jNS1_19radix_merge_compareILb0ELb0EiNS0_19identity_decomposerEEEEE10hipError_tT0_T1_T2_jT3_P12ihipStream_tbPNSt15iterator_traitsISI_E10value_typeEPNSO_ISJ_E10value_typeEPSK_NS1_7vsmem_tEENKUlT_SI_SJ_SK_E_clIPiSD_S10_SD_EESH_SX_SI_SJ_SK_EUlSX_E1_NS1_11comp_targetILNS1_3genE9ELNS1_11target_archE1100ELNS1_3gpuE3ELNS1_3repE0EEENS1_36merge_oddeven_config_static_selectorELNS0_4arch9wavefront6targetE1EEEvSJ_.private_seg_size, 0
	.set _ZN7rocprim17ROCPRIM_400000_NS6detail17trampoline_kernelINS0_14default_configENS1_38merge_sort_block_merge_config_selectorIiiEEZZNS1_27merge_sort_block_merge_implIS3_N6thrust23THRUST_200600_302600_NS6detail15normal_iteratorINS8_10device_ptrIiEEEESD_jNS1_19radix_merge_compareILb0ELb0EiNS0_19identity_decomposerEEEEE10hipError_tT0_T1_T2_jT3_P12ihipStream_tbPNSt15iterator_traitsISI_E10value_typeEPNSO_ISJ_E10value_typeEPSK_NS1_7vsmem_tEENKUlT_SI_SJ_SK_E_clIPiSD_S10_SD_EESH_SX_SI_SJ_SK_EUlSX_E1_NS1_11comp_targetILNS1_3genE9ELNS1_11target_archE1100ELNS1_3gpuE3ELNS1_3repE0EEENS1_36merge_oddeven_config_static_selectorELNS0_4arch9wavefront6targetE1EEEvSJ_.uses_vcc, 0
	.set _ZN7rocprim17ROCPRIM_400000_NS6detail17trampoline_kernelINS0_14default_configENS1_38merge_sort_block_merge_config_selectorIiiEEZZNS1_27merge_sort_block_merge_implIS3_N6thrust23THRUST_200600_302600_NS6detail15normal_iteratorINS8_10device_ptrIiEEEESD_jNS1_19radix_merge_compareILb0ELb0EiNS0_19identity_decomposerEEEEE10hipError_tT0_T1_T2_jT3_P12ihipStream_tbPNSt15iterator_traitsISI_E10value_typeEPNSO_ISJ_E10value_typeEPSK_NS1_7vsmem_tEENKUlT_SI_SJ_SK_E_clIPiSD_S10_SD_EESH_SX_SI_SJ_SK_EUlSX_E1_NS1_11comp_targetILNS1_3genE9ELNS1_11target_archE1100ELNS1_3gpuE3ELNS1_3repE0EEENS1_36merge_oddeven_config_static_selectorELNS0_4arch9wavefront6targetE1EEEvSJ_.uses_flat_scratch, 0
	.set _ZN7rocprim17ROCPRIM_400000_NS6detail17trampoline_kernelINS0_14default_configENS1_38merge_sort_block_merge_config_selectorIiiEEZZNS1_27merge_sort_block_merge_implIS3_N6thrust23THRUST_200600_302600_NS6detail15normal_iteratorINS8_10device_ptrIiEEEESD_jNS1_19radix_merge_compareILb0ELb0EiNS0_19identity_decomposerEEEEE10hipError_tT0_T1_T2_jT3_P12ihipStream_tbPNSt15iterator_traitsISI_E10value_typeEPNSO_ISJ_E10value_typeEPSK_NS1_7vsmem_tEENKUlT_SI_SJ_SK_E_clIPiSD_S10_SD_EESH_SX_SI_SJ_SK_EUlSX_E1_NS1_11comp_targetILNS1_3genE9ELNS1_11target_archE1100ELNS1_3gpuE3ELNS1_3repE0EEENS1_36merge_oddeven_config_static_selectorELNS0_4arch9wavefront6targetE1EEEvSJ_.has_dyn_sized_stack, 0
	.set _ZN7rocprim17ROCPRIM_400000_NS6detail17trampoline_kernelINS0_14default_configENS1_38merge_sort_block_merge_config_selectorIiiEEZZNS1_27merge_sort_block_merge_implIS3_N6thrust23THRUST_200600_302600_NS6detail15normal_iteratorINS8_10device_ptrIiEEEESD_jNS1_19radix_merge_compareILb0ELb0EiNS0_19identity_decomposerEEEEE10hipError_tT0_T1_T2_jT3_P12ihipStream_tbPNSt15iterator_traitsISI_E10value_typeEPNSO_ISJ_E10value_typeEPSK_NS1_7vsmem_tEENKUlT_SI_SJ_SK_E_clIPiSD_S10_SD_EESH_SX_SI_SJ_SK_EUlSX_E1_NS1_11comp_targetILNS1_3genE9ELNS1_11target_archE1100ELNS1_3gpuE3ELNS1_3repE0EEENS1_36merge_oddeven_config_static_selectorELNS0_4arch9wavefront6targetE1EEEvSJ_.has_recursion, 0
	.set _ZN7rocprim17ROCPRIM_400000_NS6detail17trampoline_kernelINS0_14default_configENS1_38merge_sort_block_merge_config_selectorIiiEEZZNS1_27merge_sort_block_merge_implIS3_N6thrust23THRUST_200600_302600_NS6detail15normal_iteratorINS8_10device_ptrIiEEEESD_jNS1_19radix_merge_compareILb0ELb0EiNS0_19identity_decomposerEEEEE10hipError_tT0_T1_T2_jT3_P12ihipStream_tbPNSt15iterator_traitsISI_E10value_typeEPNSO_ISJ_E10value_typeEPSK_NS1_7vsmem_tEENKUlT_SI_SJ_SK_E_clIPiSD_S10_SD_EESH_SX_SI_SJ_SK_EUlSX_E1_NS1_11comp_targetILNS1_3genE9ELNS1_11target_archE1100ELNS1_3gpuE3ELNS1_3repE0EEENS1_36merge_oddeven_config_static_selectorELNS0_4arch9wavefront6targetE1EEEvSJ_.has_indirect_call, 0
	.section	.AMDGPU.csdata,"",@progbits
; Kernel info:
; codeLenInByte = 0
; TotalNumSgprs: 6
; NumVgprs: 0
; NumAgprs: 0
; TotalNumVgprs: 0
; ScratchSize: 0
; MemoryBound: 0
; FloatMode: 240
; IeeeMode: 1
; LDSByteSize: 0 bytes/workgroup (compile time only)
; SGPRBlocks: 0
; VGPRBlocks: 0
; NumSGPRsForWavesPerEU: 6
; NumVGPRsForWavesPerEU: 1
; AccumOffset: 4
; Occupancy: 8
; WaveLimiterHint : 0
; COMPUTE_PGM_RSRC2:SCRATCH_EN: 0
; COMPUTE_PGM_RSRC2:USER_SGPR: 2
; COMPUTE_PGM_RSRC2:TRAP_HANDLER: 0
; COMPUTE_PGM_RSRC2:TGID_X_EN: 1
; COMPUTE_PGM_RSRC2:TGID_Y_EN: 0
; COMPUTE_PGM_RSRC2:TGID_Z_EN: 0
; COMPUTE_PGM_RSRC2:TIDIG_COMP_CNT: 0
; COMPUTE_PGM_RSRC3_GFX90A:ACCUM_OFFSET: 0
; COMPUTE_PGM_RSRC3_GFX90A:TG_SPLIT: 0
	.section	.text._ZN7rocprim17ROCPRIM_400000_NS6detail17trampoline_kernelINS0_14default_configENS1_38merge_sort_block_merge_config_selectorIiiEEZZNS1_27merge_sort_block_merge_implIS3_N6thrust23THRUST_200600_302600_NS6detail15normal_iteratorINS8_10device_ptrIiEEEESD_jNS1_19radix_merge_compareILb0ELb0EiNS0_19identity_decomposerEEEEE10hipError_tT0_T1_T2_jT3_P12ihipStream_tbPNSt15iterator_traitsISI_E10value_typeEPNSO_ISJ_E10value_typeEPSK_NS1_7vsmem_tEENKUlT_SI_SJ_SK_E_clIPiSD_S10_SD_EESH_SX_SI_SJ_SK_EUlSX_E1_NS1_11comp_targetILNS1_3genE8ELNS1_11target_archE1030ELNS1_3gpuE2ELNS1_3repE0EEENS1_36merge_oddeven_config_static_selectorELNS0_4arch9wavefront6targetE1EEEvSJ_,"axG",@progbits,_ZN7rocprim17ROCPRIM_400000_NS6detail17trampoline_kernelINS0_14default_configENS1_38merge_sort_block_merge_config_selectorIiiEEZZNS1_27merge_sort_block_merge_implIS3_N6thrust23THRUST_200600_302600_NS6detail15normal_iteratorINS8_10device_ptrIiEEEESD_jNS1_19radix_merge_compareILb0ELb0EiNS0_19identity_decomposerEEEEE10hipError_tT0_T1_T2_jT3_P12ihipStream_tbPNSt15iterator_traitsISI_E10value_typeEPNSO_ISJ_E10value_typeEPSK_NS1_7vsmem_tEENKUlT_SI_SJ_SK_E_clIPiSD_S10_SD_EESH_SX_SI_SJ_SK_EUlSX_E1_NS1_11comp_targetILNS1_3genE8ELNS1_11target_archE1030ELNS1_3gpuE2ELNS1_3repE0EEENS1_36merge_oddeven_config_static_selectorELNS0_4arch9wavefront6targetE1EEEvSJ_,comdat
	.protected	_ZN7rocprim17ROCPRIM_400000_NS6detail17trampoline_kernelINS0_14default_configENS1_38merge_sort_block_merge_config_selectorIiiEEZZNS1_27merge_sort_block_merge_implIS3_N6thrust23THRUST_200600_302600_NS6detail15normal_iteratorINS8_10device_ptrIiEEEESD_jNS1_19radix_merge_compareILb0ELb0EiNS0_19identity_decomposerEEEEE10hipError_tT0_T1_T2_jT3_P12ihipStream_tbPNSt15iterator_traitsISI_E10value_typeEPNSO_ISJ_E10value_typeEPSK_NS1_7vsmem_tEENKUlT_SI_SJ_SK_E_clIPiSD_S10_SD_EESH_SX_SI_SJ_SK_EUlSX_E1_NS1_11comp_targetILNS1_3genE8ELNS1_11target_archE1030ELNS1_3gpuE2ELNS1_3repE0EEENS1_36merge_oddeven_config_static_selectorELNS0_4arch9wavefront6targetE1EEEvSJ_ ; -- Begin function _ZN7rocprim17ROCPRIM_400000_NS6detail17trampoline_kernelINS0_14default_configENS1_38merge_sort_block_merge_config_selectorIiiEEZZNS1_27merge_sort_block_merge_implIS3_N6thrust23THRUST_200600_302600_NS6detail15normal_iteratorINS8_10device_ptrIiEEEESD_jNS1_19radix_merge_compareILb0ELb0EiNS0_19identity_decomposerEEEEE10hipError_tT0_T1_T2_jT3_P12ihipStream_tbPNSt15iterator_traitsISI_E10value_typeEPNSO_ISJ_E10value_typeEPSK_NS1_7vsmem_tEENKUlT_SI_SJ_SK_E_clIPiSD_S10_SD_EESH_SX_SI_SJ_SK_EUlSX_E1_NS1_11comp_targetILNS1_3genE8ELNS1_11target_archE1030ELNS1_3gpuE2ELNS1_3repE0EEENS1_36merge_oddeven_config_static_selectorELNS0_4arch9wavefront6targetE1EEEvSJ_
	.globl	_ZN7rocprim17ROCPRIM_400000_NS6detail17trampoline_kernelINS0_14default_configENS1_38merge_sort_block_merge_config_selectorIiiEEZZNS1_27merge_sort_block_merge_implIS3_N6thrust23THRUST_200600_302600_NS6detail15normal_iteratorINS8_10device_ptrIiEEEESD_jNS1_19radix_merge_compareILb0ELb0EiNS0_19identity_decomposerEEEEE10hipError_tT0_T1_T2_jT3_P12ihipStream_tbPNSt15iterator_traitsISI_E10value_typeEPNSO_ISJ_E10value_typeEPSK_NS1_7vsmem_tEENKUlT_SI_SJ_SK_E_clIPiSD_S10_SD_EESH_SX_SI_SJ_SK_EUlSX_E1_NS1_11comp_targetILNS1_3genE8ELNS1_11target_archE1030ELNS1_3gpuE2ELNS1_3repE0EEENS1_36merge_oddeven_config_static_selectorELNS0_4arch9wavefront6targetE1EEEvSJ_
	.p2align	8
	.type	_ZN7rocprim17ROCPRIM_400000_NS6detail17trampoline_kernelINS0_14default_configENS1_38merge_sort_block_merge_config_selectorIiiEEZZNS1_27merge_sort_block_merge_implIS3_N6thrust23THRUST_200600_302600_NS6detail15normal_iteratorINS8_10device_ptrIiEEEESD_jNS1_19radix_merge_compareILb0ELb0EiNS0_19identity_decomposerEEEEE10hipError_tT0_T1_T2_jT3_P12ihipStream_tbPNSt15iterator_traitsISI_E10value_typeEPNSO_ISJ_E10value_typeEPSK_NS1_7vsmem_tEENKUlT_SI_SJ_SK_E_clIPiSD_S10_SD_EESH_SX_SI_SJ_SK_EUlSX_E1_NS1_11comp_targetILNS1_3genE8ELNS1_11target_archE1030ELNS1_3gpuE2ELNS1_3repE0EEENS1_36merge_oddeven_config_static_selectorELNS0_4arch9wavefront6targetE1EEEvSJ_,@function
_ZN7rocprim17ROCPRIM_400000_NS6detail17trampoline_kernelINS0_14default_configENS1_38merge_sort_block_merge_config_selectorIiiEEZZNS1_27merge_sort_block_merge_implIS3_N6thrust23THRUST_200600_302600_NS6detail15normal_iteratorINS8_10device_ptrIiEEEESD_jNS1_19radix_merge_compareILb0ELb0EiNS0_19identity_decomposerEEEEE10hipError_tT0_T1_T2_jT3_P12ihipStream_tbPNSt15iterator_traitsISI_E10value_typeEPNSO_ISJ_E10value_typeEPSK_NS1_7vsmem_tEENKUlT_SI_SJ_SK_E_clIPiSD_S10_SD_EESH_SX_SI_SJ_SK_EUlSX_E1_NS1_11comp_targetILNS1_3genE8ELNS1_11target_archE1030ELNS1_3gpuE2ELNS1_3repE0EEENS1_36merge_oddeven_config_static_selectorELNS0_4arch9wavefront6targetE1EEEvSJ_: ; @_ZN7rocprim17ROCPRIM_400000_NS6detail17trampoline_kernelINS0_14default_configENS1_38merge_sort_block_merge_config_selectorIiiEEZZNS1_27merge_sort_block_merge_implIS3_N6thrust23THRUST_200600_302600_NS6detail15normal_iteratorINS8_10device_ptrIiEEEESD_jNS1_19radix_merge_compareILb0ELb0EiNS0_19identity_decomposerEEEEE10hipError_tT0_T1_T2_jT3_P12ihipStream_tbPNSt15iterator_traitsISI_E10value_typeEPNSO_ISJ_E10value_typeEPSK_NS1_7vsmem_tEENKUlT_SI_SJ_SK_E_clIPiSD_S10_SD_EESH_SX_SI_SJ_SK_EUlSX_E1_NS1_11comp_targetILNS1_3genE8ELNS1_11target_archE1030ELNS1_3gpuE2ELNS1_3repE0EEENS1_36merge_oddeven_config_static_selectorELNS0_4arch9wavefront6targetE1EEEvSJ_
; %bb.0:
	.section	.rodata,"a",@progbits
	.p2align	6, 0x0
	.amdhsa_kernel _ZN7rocprim17ROCPRIM_400000_NS6detail17trampoline_kernelINS0_14default_configENS1_38merge_sort_block_merge_config_selectorIiiEEZZNS1_27merge_sort_block_merge_implIS3_N6thrust23THRUST_200600_302600_NS6detail15normal_iteratorINS8_10device_ptrIiEEEESD_jNS1_19radix_merge_compareILb0ELb0EiNS0_19identity_decomposerEEEEE10hipError_tT0_T1_T2_jT3_P12ihipStream_tbPNSt15iterator_traitsISI_E10value_typeEPNSO_ISJ_E10value_typeEPSK_NS1_7vsmem_tEENKUlT_SI_SJ_SK_E_clIPiSD_S10_SD_EESH_SX_SI_SJ_SK_EUlSX_E1_NS1_11comp_targetILNS1_3genE8ELNS1_11target_archE1030ELNS1_3gpuE2ELNS1_3repE0EEENS1_36merge_oddeven_config_static_selectorELNS0_4arch9wavefront6targetE1EEEvSJ_
		.amdhsa_group_segment_fixed_size 0
		.amdhsa_private_segment_fixed_size 0
		.amdhsa_kernarg_size 48
		.amdhsa_user_sgpr_count 2
		.amdhsa_user_sgpr_dispatch_ptr 0
		.amdhsa_user_sgpr_queue_ptr 0
		.amdhsa_user_sgpr_kernarg_segment_ptr 1
		.amdhsa_user_sgpr_dispatch_id 0
		.amdhsa_user_sgpr_kernarg_preload_length 0
		.amdhsa_user_sgpr_kernarg_preload_offset 0
		.amdhsa_user_sgpr_private_segment_size 0
		.amdhsa_uses_dynamic_stack 0
		.amdhsa_enable_private_segment 0
		.amdhsa_system_sgpr_workgroup_id_x 1
		.amdhsa_system_sgpr_workgroup_id_y 0
		.amdhsa_system_sgpr_workgroup_id_z 0
		.amdhsa_system_sgpr_workgroup_info 0
		.amdhsa_system_vgpr_workitem_id 0
		.amdhsa_next_free_vgpr 1
		.amdhsa_next_free_sgpr 0
		.amdhsa_accum_offset 4
		.amdhsa_reserve_vcc 0
		.amdhsa_float_round_mode_32 0
		.amdhsa_float_round_mode_16_64 0
		.amdhsa_float_denorm_mode_32 3
		.amdhsa_float_denorm_mode_16_64 3
		.amdhsa_dx10_clamp 1
		.amdhsa_ieee_mode 1
		.amdhsa_fp16_overflow 0
		.amdhsa_tg_split 0
		.amdhsa_exception_fp_ieee_invalid_op 0
		.amdhsa_exception_fp_denorm_src 0
		.amdhsa_exception_fp_ieee_div_zero 0
		.amdhsa_exception_fp_ieee_overflow 0
		.amdhsa_exception_fp_ieee_underflow 0
		.amdhsa_exception_fp_ieee_inexact 0
		.amdhsa_exception_int_div_zero 0
	.end_amdhsa_kernel
	.section	.text._ZN7rocprim17ROCPRIM_400000_NS6detail17trampoline_kernelINS0_14default_configENS1_38merge_sort_block_merge_config_selectorIiiEEZZNS1_27merge_sort_block_merge_implIS3_N6thrust23THRUST_200600_302600_NS6detail15normal_iteratorINS8_10device_ptrIiEEEESD_jNS1_19radix_merge_compareILb0ELb0EiNS0_19identity_decomposerEEEEE10hipError_tT0_T1_T2_jT3_P12ihipStream_tbPNSt15iterator_traitsISI_E10value_typeEPNSO_ISJ_E10value_typeEPSK_NS1_7vsmem_tEENKUlT_SI_SJ_SK_E_clIPiSD_S10_SD_EESH_SX_SI_SJ_SK_EUlSX_E1_NS1_11comp_targetILNS1_3genE8ELNS1_11target_archE1030ELNS1_3gpuE2ELNS1_3repE0EEENS1_36merge_oddeven_config_static_selectorELNS0_4arch9wavefront6targetE1EEEvSJ_,"axG",@progbits,_ZN7rocprim17ROCPRIM_400000_NS6detail17trampoline_kernelINS0_14default_configENS1_38merge_sort_block_merge_config_selectorIiiEEZZNS1_27merge_sort_block_merge_implIS3_N6thrust23THRUST_200600_302600_NS6detail15normal_iteratorINS8_10device_ptrIiEEEESD_jNS1_19radix_merge_compareILb0ELb0EiNS0_19identity_decomposerEEEEE10hipError_tT0_T1_T2_jT3_P12ihipStream_tbPNSt15iterator_traitsISI_E10value_typeEPNSO_ISJ_E10value_typeEPSK_NS1_7vsmem_tEENKUlT_SI_SJ_SK_E_clIPiSD_S10_SD_EESH_SX_SI_SJ_SK_EUlSX_E1_NS1_11comp_targetILNS1_3genE8ELNS1_11target_archE1030ELNS1_3gpuE2ELNS1_3repE0EEENS1_36merge_oddeven_config_static_selectorELNS0_4arch9wavefront6targetE1EEEvSJ_,comdat
.Lfunc_end1310:
	.size	_ZN7rocprim17ROCPRIM_400000_NS6detail17trampoline_kernelINS0_14default_configENS1_38merge_sort_block_merge_config_selectorIiiEEZZNS1_27merge_sort_block_merge_implIS3_N6thrust23THRUST_200600_302600_NS6detail15normal_iteratorINS8_10device_ptrIiEEEESD_jNS1_19radix_merge_compareILb0ELb0EiNS0_19identity_decomposerEEEEE10hipError_tT0_T1_T2_jT3_P12ihipStream_tbPNSt15iterator_traitsISI_E10value_typeEPNSO_ISJ_E10value_typeEPSK_NS1_7vsmem_tEENKUlT_SI_SJ_SK_E_clIPiSD_S10_SD_EESH_SX_SI_SJ_SK_EUlSX_E1_NS1_11comp_targetILNS1_3genE8ELNS1_11target_archE1030ELNS1_3gpuE2ELNS1_3repE0EEENS1_36merge_oddeven_config_static_selectorELNS0_4arch9wavefront6targetE1EEEvSJ_, .Lfunc_end1310-_ZN7rocprim17ROCPRIM_400000_NS6detail17trampoline_kernelINS0_14default_configENS1_38merge_sort_block_merge_config_selectorIiiEEZZNS1_27merge_sort_block_merge_implIS3_N6thrust23THRUST_200600_302600_NS6detail15normal_iteratorINS8_10device_ptrIiEEEESD_jNS1_19radix_merge_compareILb0ELb0EiNS0_19identity_decomposerEEEEE10hipError_tT0_T1_T2_jT3_P12ihipStream_tbPNSt15iterator_traitsISI_E10value_typeEPNSO_ISJ_E10value_typeEPSK_NS1_7vsmem_tEENKUlT_SI_SJ_SK_E_clIPiSD_S10_SD_EESH_SX_SI_SJ_SK_EUlSX_E1_NS1_11comp_targetILNS1_3genE8ELNS1_11target_archE1030ELNS1_3gpuE2ELNS1_3repE0EEENS1_36merge_oddeven_config_static_selectorELNS0_4arch9wavefront6targetE1EEEvSJ_
                                        ; -- End function
	.set _ZN7rocprim17ROCPRIM_400000_NS6detail17trampoline_kernelINS0_14default_configENS1_38merge_sort_block_merge_config_selectorIiiEEZZNS1_27merge_sort_block_merge_implIS3_N6thrust23THRUST_200600_302600_NS6detail15normal_iteratorINS8_10device_ptrIiEEEESD_jNS1_19radix_merge_compareILb0ELb0EiNS0_19identity_decomposerEEEEE10hipError_tT0_T1_T2_jT3_P12ihipStream_tbPNSt15iterator_traitsISI_E10value_typeEPNSO_ISJ_E10value_typeEPSK_NS1_7vsmem_tEENKUlT_SI_SJ_SK_E_clIPiSD_S10_SD_EESH_SX_SI_SJ_SK_EUlSX_E1_NS1_11comp_targetILNS1_3genE8ELNS1_11target_archE1030ELNS1_3gpuE2ELNS1_3repE0EEENS1_36merge_oddeven_config_static_selectorELNS0_4arch9wavefront6targetE1EEEvSJ_.num_vgpr, 0
	.set _ZN7rocprim17ROCPRIM_400000_NS6detail17trampoline_kernelINS0_14default_configENS1_38merge_sort_block_merge_config_selectorIiiEEZZNS1_27merge_sort_block_merge_implIS3_N6thrust23THRUST_200600_302600_NS6detail15normal_iteratorINS8_10device_ptrIiEEEESD_jNS1_19radix_merge_compareILb0ELb0EiNS0_19identity_decomposerEEEEE10hipError_tT0_T1_T2_jT3_P12ihipStream_tbPNSt15iterator_traitsISI_E10value_typeEPNSO_ISJ_E10value_typeEPSK_NS1_7vsmem_tEENKUlT_SI_SJ_SK_E_clIPiSD_S10_SD_EESH_SX_SI_SJ_SK_EUlSX_E1_NS1_11comp_targetILNS1_3genE8ELNS1_11target_archE1030ELNS1_3gpuE2ELNS1_3repE0EEENS1_36merge_oddeven_config_static_selectorELNS0_4arch9wavefront6targetE1EEEvSJ_.num_agpr, 0
	.set _ZN7rocprim17ROCPRIM_400000_NS6detail17trampoline_kernelINS0_14default_configENS1_38merge_sort_block_merge_config_selectorIiiEEZZNS1_27merge_sort_block_merge_implIS3_N6thrust23THRUST_200600_302600_NS6detail15normal_iteratorINS8_10device_ptrIiEEEESD_jNS1_19radix_merge_compareILb0ELb0EiNS0_19identity_decomposerEEEEE10hipError_tT0_T1_T2_jT3_P12ihipStream_tbPNSt15iterator_traitsISI_E10value_typeEPNSO_ISJ_E10value_typeEPSK_NS1_7vsmem_tEENKUlT_SI_SJ_SK_E_clIPiSD_S10_SD_EESH_SX_SI_SJ_SK_EUlSX_E1_NS1_11comp_targetILNS1_3genE8ELNS1_11target_archE1030ELNS1_3gpuE2ELNS1_3repE0EEENS1_36merge_oddeven_config_static_selectorELNS0_4arch9wavefront6targetE1EEEvSJ_.numbered_sgpr, 0
	.set _ZN7rocprim17ROCPRIM_400000_NS6detail17trampoline_kernelINS0_14default_configENS1_38merge_sort_block_merge_config_selectorIiiEEZZNS1_27merge_sort_block_merge_implIS3_N6thrust23THRUST_200600_302600_NS6detail15normal_iteratorINS8_10device_ptrIiEEEESD_jNS1_19radix_merge_compareILb0ELb0EiNS0_19identity_decomposerEEEEE10hipError_tT0_T1_T2_jT3_P12ihipStream_tbPNSt15iterator_traitsISI_E10value_typeEPNSO_ISJ_E10value_typeEPSK_NS1_7vsmem_tEENKUlT_SI_SJ_SK_E_clIPiSD_S10_SD_EESH_SX_SI_SJ_SK_EUlSX_E1_NS1_11comp_targetILNS1_3genE8ELNS1_11target_archE1030ELNS1_3gpuE2ELNS1_3repE0EEENS1_36merge_oddeven_config_static_selectorELNS0_4arch9wavefront6targetE1EEEvSJ_.num_named_barrier, 0
	.set _ZN7rocprim17ROCPRIM_400000_NS6detail17trampoline_kernelINS0_14default_configENS1_38merge_sort_block_merge_config_selectorIiiEEZZNS1_27merge_sort_block_merge_implIS3_N6thrust23THRUST_200600_302600_NS6detail15normal_iteratorINS8_10device_ptrIiEEEESD_jNS1_19radix_merge_compareILb0ELb0EiNS0_19identity_decomposerEEEEE10hipError_tT0_T1_T2_jT3_P12ihipStream_tbPNSt15iterator_traitsISI_E10value_typeEPNSO_ISJ_E10value_typeEPSK_NS1_7vsmem_tEENKUlT_SI_SJ_SK_E_clIPiSD_S10_SD_EESH_SX_SI_SJ_SK_EUlSX_E1_NS1_11comp_targetILNS1_3genE8ELNS1_11target_archE1030ELNS1_3gpuE2ELNS1_3repE0EEENS1_36merge_oddeven_config_static_selectorELNS0_4arch9wavefront6targetE1EEEvSJ_.private_seg_size, 0
	.set _ZN7rocprim17ROCPRIM_400000_NS6detail17trampoline_kernelINS0_14default_configENS1_38merge_sort_block_merge_config_selectorIiiEEZZNS1_27merge_sort_block_merge_implIS3_N6thrust23THRUST_200600_302600_NS6detail15normal_iteratorINS8_10device_ptrIiEEEESD_jNS1_19radix_merge_compareILb0ELb0EiNS0_19identity_decomposerEEEEE10hipError_tT0_T1_T2_jT3_P12ihipStream_tbPNSt15iterator_traitsISI_E10value_typeEPNSO_ISJ_E10value_typeEPSK_NS1_7vsmem_tEENKUlT_SI_SJ_SK_E_clIPiSD_S10_SD_EESH_SX_SI_SJ_SK_EUlSX_E1_NS1_11comp_targetILNS1_3genE8ELNS1_11target_archE1030ELNS1_3gpuE2ELNS1_3repE0EEENS1_36merge_oddeven_config_static_selectorELNS0_4arch9wavefront6targetE1EEEvSJ_.uses_vcc, 0
	.set _ZN7rocprim17ROCPRIM_400000_NS6detail17trampoline_kernelINS0_14default_configENS1_38merge_sort_block_merge_config_selectorIiiEEZZNS1_27merge_sort_block_merge_implIS3_N6thrust23THRUST_200600_302600_NS6detail15normal_iteratorINS8_10device_ptrIiEEEESD_jNS1_19radix_merge_compareILb0ELb0EiNS0_19identity_decomposerEEEEE10hipError_tT0_T1_T2_jT3_P12ihipStream_tbPNSt15iterator_traitsISI_E10value_typeEPNSO_ISJ_E10value_typeEPSK_NS1_7vsmem_tEENKUlT_SI_SJ_SK_E_clIPiSD_S10_SD_EESH_SX_SI_SJ_SK_EUlSX_E1_NS1_11comp_targetILNS1_3genE8ELNS1_11target_archE1030ELNS1_3gpuE2ELNS1_3repE0EEENS1_36merge_oddeven_config_static_selectorELNS0_4arch9wavefront6targetE1EEEvSJ_.uses_flat_scratch, 0
	.set _ZN7rocprim17ROCPRIM_400000_NS6detail17trampoline_kernelINS0_14default_configENS1_38merge_sort_block_merge_config_selectorIiiEEZZNS1_27merge_sort_block_merge_implIS3_N6thrust23THRUST_200600_302600_NS6detail15normal_iteratorINS8_10device_ptrIiEEEESD_jNS1_19radix_merge_compareILb0ELb0EiNS0_19identity_decomposerEEEEE10hipError_tT0_T1_T2_jT3_P12ihipStream_tbPNSt15iterator_traitsISI_E10value_typeEPNSO_ISJ_E10value_typeEPSK_NS1_7vsmem_tEENKUlT_SI_SJ_SK_E_clIPiSD_S10_SD_EESH_SX_SI_SJ_SK_EUlSX_E1_NS1_11comp_targetILNS1_3genE8ELNS1_11target_archE1030ELNS1_3gpuE2ELNS1_3repE0EEENS1_36merge_oddeven_config_static_selectorELNS0_4arch9wavefront6targetE1EEEvSJ_.has_dyn_sized_stack, 0
	.set _ZN7rocprim17ROCPRIM_400000_NS6detail17trampoline_kernelINS0_14default_configENS1_38merge_sort_block_merge_config_selectorIiiEEZZNS1_27merge_sort_block_merge_implIS3_N6thrust23THRUST_200600_302600_NS6detail15normal_iteratorINS8_10device_ptrIiEEEESD_jNS1_19radix_merge_compareILb0ELb0EiNS0_19identity_decomposerEEEEE10hipError_tT0_T1_T2_jT3_P12ihipStream_tbPNSt15iterator_traitsISI_E10value_typeEPNSO_ISJ_E10value_typeEPSK_NS1_7vsmem_tEENKUlT_SI_SJ_SK_E_clIPiSD_S10_SD_EESH_SX_SI_SJ_SK_EUlSX_E1_NS1_11comp_targetILNS1_3genE8ELNS1_11target_archE1030ELNS1_3gpuE2ELNS1_3repE0EEENS1_36merge_oddeven_config_static_selectorELNS0_4arch9wavefront6targetE1EEEvSJ_.has_recursion, 0
	.set _ZN7rocprim17ROCPRIM_400000_NS6detail17trampoline_kernelINS0_14default_configENS1_38merge_sort_block_merge_config_selectorIiiEEZZNS1_27merge_sort_block_merge_implIS3_N6thrust23THRUST_200600_302600_NS6detail15normal_iteratorINS8_10device_ptrIiEEEESD_jNS1_19radix_merge_compareILb0ELb0EiNS0_19identity_decomposerEEEEE10hipError_tT0_T1_T2_jT3_P12ihipStream_tbPNSt15iterator_traitsISI_E10value_typeEPNSO_ISJ_E10value_typeEPSK_NS1_7vsmem_tEENKUlT_SI_SJ_SK_E_clIPiSD_S10_SD_EESH_SX_SI_SJ_SK_EUlSX_E1_NS1_11comp_targetILNS1_3genE8ELNS1_11target_archE1030ELNS1_3gpuE2ELNS1_3repE0EEENS1_36merge_oddeven_config_static_selectorELNS0_4arch9wavefront6targetE1EEEvSJ_.has_indirect_call, 0
	.section	.AMDGPU.csdata,"",@progbits
; Kernel info:
; codeLenInByte = 0
; TotalNumSgprs: 6
; NumVgprs: 0
; NumAgprs: 0
; TotalNumVgprs: 0
; ScratchSize: 0
; MemoryBound: 0
; FloatMode: 240
; IeeeMode: 1
; LDSByteSize: 0 bytes/workgroup (compile time only)
; SGPRBlocks: 0
; VGPRBlocks: 0
; NumSGPRsForWavesPerEU: 6
; NumVGPRsForWavesPerEU: 1
; AccumOffset: 4
; Occupancy: 8
; WaveLimiterHint : 0
; COMPUTE_PGM_RSRC2:SCRATCH_EN: 0
; COMPUTE_PGM_RSRC2:USER_SGPR: 2
; COMPUTE_PGM_RSRC2:TRAP_HANDLER: 0
; COMPUTE_PGM_RSRC2:TGID_X_EN: 1
; COMPUTE_PGM_RSRC2:TGID_Y_EN: 0
; COMPUTE_PGM_RSRC2:TGID_Z_EN: 0
; COMPUTE_PGM_RSRC2:TIDIG_COMP_CNT: 0
; COMPUTE_PGM_RSRC3_GFX90A:ACCUM_OFFSET: 0
; COMPUTE_PGM_RSRC3_GFX90A:TG_SPLIT: 0
	.section	.text._ZN7rocprim17ROCPRIM_400000_NS6detail17trampoline_kernelINS0_14default_configENS1_38merge_sort_block_merge_config_selectorIiiEEZZNS1_27merge_sort_block_merge_implIS3_N6thrust23THRUST_200600_302600_NS6detail15normal_iteratorINS8_10device_ptrIiEEEESD_jNS1_19radix_merge_compareILb0ELb0EiNS0_19identity_decomposerEEEEE10hipError_tT0_T1_T2_jT3_P12ihipStream_tbPNSt15iterator_traitsISI_E10value_typeEPNSO_ISJ_E10value_typeEPSK_NS1_7vsmem_tEENKUlT_SI_SJ_SK_E_clISD_PiSD_S10_EESH_SX_SI_SJ_SK_EUlSX_E_NS1_11comp_targetILNS1_3genE0ELNS1_11target_archE4294967295ELNS1_3gpuE0ELNS1_3repE0EEENS1_48merge_mergepath_partition_config_static_selectorELNS0_4arch9wavefront6targetE1EEEvSJ_,"axG",@progbits,_ZN7rocprim17ROCPRIM_400000_NS6detail17trampoline_kernelINS0_14default_configENS1_38merge_sort_block_merge_config_selectorIiiEEZZNS1_27merge_sort_block_merge_implIS3_N6thrust23THRUST_200600_302600_NS6detail15normal_iteratorINS8_10device_ptrIiEEEESD_jNS1_19radix_merge_compareILb0ELb0EiNS0_19identity_decomposerEEEEE10hipError_tT0_T1_T2_jT3_P12ihipStream_tbPNSt15iterator_traitsISI_E10value_typeEPNSO_ISJ_E10value_typeEPSK_NS1_7vsmem_tEENKUlT_SI_SJ_SK_E_clISD_PiSD_S10_EESH_SX_SI_SJ_SK_EUlSX_E_NS1_11comp_targetILNS1_3genE0ELNS1_11target_archE4294967295ELNS1_3gpuE0ELNS1_3repE0EEENS1_48merge_mergepath_partition_config_static_selectorELNS0_4arch9wavefront6targetE1EEEvSJ_,comdat
	.protected	_ZN7rocprim17ROCPRIM_400000_NS6detail17trampoline_kernelINS0_14default_configENS1_38merge_sort_block_merge_config_selectorIiiEEZZNS1_27merge_sort_block_merge_implIS3_N6thrust23THRUST_200600_302600_NS6detail15normal_iteratorINS8_10device_ptrIiEEEESD_jNS1_19radix_merge_compareILb0ELb0EiNS0_19identity_decomposerEEEEE10hipError_tT0_T1_T2_jT3_P12ihipStream_tbPNSt15iterator_traitsISI_E10value_typeEPNSO_ISJ_E10value_typeEPSK_NS1_7vsmem_tEENKUlT_SI_SJ_SK_E_clISD_PiSD_S10_EESH_SX_SI_SJ_SK_EUlSX_E_NS1_11comp_targetILNS1_3genE0ELNS1_11target_archE4294967295ELNS1_3gpuE0ELNS1_3repE0EEENS1_48merge_mergepath_partition_config_static_selectorELNS0_4arch9wavefront6targetE1EEEvSJ_ ; -- Begin function _ZN7rocprim17ROCPRIM_400000_NS6detail17trampoline_kernelINS0_14default_configENS1_38merge_sort_block_merge_config_selectorIiiEEZZNS1_27merge_sort_block_merge_implIS3_N6thrust23THRUST_200600_302600_NS6detail15normal_iteratorINS8_10device_ptrIiEEEESD_jNS1_19radix_merge_compareILb0ELb0EiNS0_19identity_decomposerEEEEE10hipError_tT0_T1_T2_jT3_P12ihipStream_tbPNSt15iterator_traitsISI_E10value_typeEPNSO_ISJ_E10value_typeEPSK_NS1_7vsmem_tEENKUlT_SI_SJ_SK_E_clISD_PiSD_S10_EESH_SX_SI_SJ_SK_EUlSX_E_NS1_11comp_targetILNS1_3genE0ELNS1_11target_archE4294967295ELNS1_3gpuE0ELNS1_3repE0EEENS1_48merge_mergepath_partition_config_static_selectorELNS0_4arch9wavefront6targetE1EEEvSJ_
	.globl	_ZN7rocprim17ROCPRIM_400000_NS6detail17trampoline_kernelINS0_14default_configENS1_38merge_sort_block_merge_config_selectorIiiEEZZNS1_27merge_sort_block_merge_implIS3_N6thrust23THRUST_200600_302600_NS6detail15normal_iteratorINS8_10device_ptrIiEEEESD_jNS1_19radix_merge_compareILb0ELb0EiNS0_19identity_decomposerEEEEE10hipError_tT0_T1_T2_jT3_P12ihipStream_tbPNSt15iterator_traitsISI_E10value_typeEPNSO_ISJ_E10value_typeEPSK_NS1_7vsmem_tEENKUlT_SI_SJ_SK_E_clISD_PiSD_S10_EESH_SX_SI_SJ_SK_EUlSX_E_NS1_11comp_targetILNS1_3genE0ELNS1_11target_archE4294967295ELNS1_3gpuE0ELNS1_3repE0EEENS1_48merge_mergepath_partition_config_static_selectorELNS0_4arch9wavefront6targetE1EEEvSJ_
	.p2align	8
	.type	_ZN7rocprim17ROCPRIM_400000_NS6detail17trampoline_kernelINS0_14default_configENS1_38merge_sort_block_merge_config_selectorIiiEEZZNS1_27merge_sort_block_merge_implIS3_N6thrust23THRUST_200600_302600_NS6detail15normal_iteratorINS8_10device_ptrIiEEEESD_jNS1_19radix_merge_compareILb0ELb0EiNS0_19identity_decomposerEEEEE10hipError_tT0_T1_T2_jT3_P12ihipStream_tbPNSt15iterator_traitsISI_E10value_typeEPNSO_ISJ_E10value_typeEPSK_NS1_7vsmem_tEENKUlT_SI_SJ_SK_E_clISD_PiSD_S10_EESH_SX_SI_SJ_SK_EUlSX_E_NS1_11comp_targetILNS1_3genE0ELNS1_11target_archE4294967295ELNS1_3gpuE0ELNS1_3repE0EEENS1_48merge_mergepath_partition_config_static_selectorELNS0_4arch9wavefront6targetE1EEEvSJ_,@function
_ZN7rocprim17ROCPRIM_400000_NS6detail17trampoline_kernelINS0_14default_configENS1_38merge_sort_block_merge_config_selectorIiiEEZZNS1_27merge_sort_block_merge_implIS3_N6thrust23THRUST_200600_302600_NS6detail15normal_iteratorINS8_10device_ptrIiEEEESD_jNS1_19radix_merge_compareILb0ELb0EiNS0_19identity_decomposerEEEEE10hipError_tT0_T1_T2_jT3_P12ihipStream_tbPNSt15iterator_traitsISI_E10value_typeEPNSO_ISJ_E10value_typeEPSK_NS1_7vsmem_tEENKUlT_SI_SJ_SK_E_clISD_PiSD_S10_EESH_SX_SI_SJ_SK_EUlSX_E_NS1_11comp_targetILNS1_3genE0ELNS1_11target_archE4294967295ELNS1_3gpuE0ELNS1_3repE0EEENS1_48merge_mergepath_partition_config_static_selectorELNS0_4arch9wavefront6targetE1EEEvSJ_: ; @_ZN7rocprim17ROCPRIM_400000_NS6detail17trampoline_kernelINS0_14default_configENS1_38merge_sort_block_merge_config_selectorIiiEEZZNS1_27merge_sort_block_merge_implIS3_N6thrust23THRUST_200600_302600_NS6detail15normal_iteratorINS8_10device_ptrIiEEEESD_jNS1_19radix_merge_compareILb0ELb0EiNS0_19identity_decomposerEEEEE10hipError_tT0_T1_T2_jT3_P12ihipStream_tbPNSt15iterator_traitsISI_E10value_typeEPNSO_ISJ_E10value_typeEPSK_NS1_7vsmem_tEENKUlT_SI_SJ_SK_E_clISD_PiSD_S10_EESH_SX_SI_SJ_SK_EUlSX_E_NS1_11comp_targetILNS1_3genE0ELNS1_11target_archE4294967295ELNS1_3gpuE0ELNS1_3repE0EEENS1_48merge_mergepath_partition_config_static_selectorELNS0_4arch9wavefront6targetE1EEEvSJ_
; %bb.0:
	s_load_dword s3, s[0:1], 0x0
	v_lshl_or_b32 v0, s2, 7, v0
	s_waitcnt lgkmcnt(0)
	v_cmp_gt_u32_e32 vcc, s3, v0
	s_and_saveexec_b64 s[2:3], vcc
	s_cbranch_execz .LBB1311_6
; %bb.1:
	s_load_dwordx2 s[4:5], s[0:1], 0x4
	s_load_dwordx2 s[2:3], s[0:1], 0x20
	s_waitcnt lgkmcnt(0)
	s_lshr_b32 s6, s4, 9
	s_and_b32 s6, s6, 0x7ffffe
	s_add_i32 s7, s6, -1
	s_sub_i32 s6, 0, s6
	v_and_b32_e32 v1, s6, v0
	v_lshlrev_b32_e32 v1, 10, v1
	v_min_u32_e32 v2, s5, v1
	v_add_u32_e32 v1, s4, v1
	v_min_u32_e32 v4, s5, v1
	v_add_u32_e32 v1, s4, v4
	v_and_b32_e32 v3, s7, v0
	v_min_u32_e32 v1, s5, v1
	v_sub_u32_e32 v5, v1, v2
	v_lshlrev_b32_e32 v3, 10, v3
	v_min_u32_e32 v10, v5, v3
	v_sub_u32_e32 v3, v4, v2
	v_sub_u32_e32 v1, v1, v4
	v_sub_u32_e64 v1, v10, v1 clamp
	v_min_u32_e32 v11, v10, v3
	v_cmp_lt_u32_e32 vcc, v1, v11
	s_and_saveexec_b64 s[4:5], vcc
	s_cbranch_execz .LBB1311_5
; %bb.2:
	s_load_dwordx2 s[0:1], s[0:1], 0x10
	v_mov_b32_e32 v5, 0
	v_mov_b32_e32 v3, v5
	s_waitcnt lgkmcnt(0)
	v_lshl_add_u64 v[6:7], v[2:3], 2, s[0:1]
	v_lshl_add_u64 v[8:9], v[4:5], 2, s[0:1]
	s_mov_b64 s[0:1], 0
.LBB1311_3:                             ; =>This Inner Loop Header: Depth=1
	v_add_u32_e32 v3, v11, v1
	v_lshrrev_b32_e32 v4, 1, v3
	v_mov_b32_e32 v13, v5
	v_xad_u32 v12, v4, -1, v10
	v_lshl_add_u64 v[14:15], v[4:5], 2, v[6:7]
	v_lshl_add_u64 v[12:13], v[12:13], 2, v[8:9]
	flat_load_dword v3, v[14:15]
	flat_load_dword v16, v[12:13]
	v_add_u32_e32 v12, 1, v4
	s_waitcnt vmcnt(0) lgkmcnt(0)
	v_cmp_gt_i32_e32 vcc, v3, v16
	s_nop 1
	v_cndmask_b32_e32 v11, v11, v4, vcc
	v_cndmask_b32_e32 v1, v12, v1, vcc
	v_cmp_ge_u32_e32 vcc, v1, v11
	s_or_b64 s[0:1], vcc, s[0:1]
	s_andn2_b64 exec, exec, s[0:1]
	s_cbranch_execnz .LBB1311_3
; %bb.4:
	s_or_b64 exec, exec, s[0:1]
.LBB1311_5:
	s_or_b64 exec, exec, s[4:5]
	v_add_u32_e32 v2, v1, v2
	v_mov_b32_e32 v1, 0
	v_lshl_add_u64 v[0:1], v[0:1], 2, s[2:3]
	global_store_dword v[0:1], v2, off
.LBB1311_6:
	s_endpgm
	.section	.rodata,"a",@progbits
	.p2align	6, 0x0
	.amdhsa_kernel _ZN7rocprim17ROCPRIM_400000_NS6detail17trampoline_kernelINS0_14default_configENS1_38merge_sort_block_merge_config_selectorIiiEEZZNS1_27merge_sort_block_merge_implIS3_N6thrust23THRUST_200600_302600_NS6detail15normal_iteratorINS8_10device_ptrIiEEEESD_jNS1_19radix_merge_compareILb0ELb0EiNS0_19identity_decomposerEEEEE10hipError_tT0_T1_T2_jT3_P12ihipStream_tbPNSt15iterator_traitsISI_E10value_typeEPNSO_ISJ_E10value_typeEPSK_NS1_7vsmem_tEENKUlT_SI_SJ_SK_E_clISD_PiSD_S10_EESH_SX_SI_SJ_SK_EUlSX_E_NS1_11comp_targetILNS1_3genE0ELNS1_11target_archE4294967295ELNS1_3gpuE0ELNS1_3repE0EEENS1_48merge_mergepath_partition_config_static_selectorELNS0_4arch9wavefront6targetE1EEEvSJ_
		.amdhsa_group_segment_fixed_size 0
		.amdhsa_private_segment_fixed_size 0
		.amdhsa_kernarg_size 40
		.amdhsa_user_sgpr_count 2
		.amdhsa_user_sgpr_dispatch_ptr 0
		.amdhsa_user_sgpr_queue_ptr 0
		.amdhsa_user_sgpr_kernarg_segment_ptr 1
		.amdhsa_user_sgpr_dispatch_id 0
		.amdhsa_user_sgpr_kernarg_preload_length 0
		.amdhsa_user_sgpr_kernarg_preload_offset 0
		.amdhsa_user_sgpr_private_segment_size 0
		.amdhsa_uses_dynamic_stack 0
		.amdhsa_enable_private_segment 0
		.amdhsa_system_sgpr_workgroup_id_x 1
		.amdhsa_system_sgpr_workgroup_id_y 0
		.amdhsa_system_sgpr_workgroup_id_z 0
		.amdhsa_system_sgpr_workgroup_info 0
		.amdhsa_system_vgpr_workitem_id 0
		.amdhsa_next_free_vgpr 17
		.amdhsa_next_free_sgpr 8
		.amdhsa_accum_offset 20
		.amdhsa_reserve_vcc 1
		.amdhsa_float_round_mode_32 0
		.amdhsa_float_round_mode_16_64 0
		.amdhsa_float_denorm_mode_32 3
		.amdhsa_float_denorm_mode_16_64 3
		.amdhsa_dx10_clamp 1
		.amdhsa_ieee_mode 1
		.amdhsa_fp16_overflow 0
		.amdhsa_tg_split 0
		.amdhsa_exception_fp_ieee_invalid_op 0
		.amdhsa_exception_fp_denorm_src 0
		.amdhsa_exception_fp_ieee_div_zero 0
		.amdhsa_exception_fp_ieee_overflow 0
		.amdhsa_exception_fp_ieee_underflow 0
		.amdhsa_exception_fp_ieee_inexact 0
		.amdhsa_exception_int_div_zero 0
	.end_amdhsa_kernel
	.section	.text._ZN7rocprim17ROCPRIM_400000_NS6detail17trampoline_kernelINS0_14default_configENS1_38merge_sort_block_merge_config_selectorIiiEEZZNS1_27merge_sort_block_merge_implIS3_N6thrust23THRUST_200600_302600_NS6detail15normal_iteratorINS8_10device_ptrIiEEEESD_jNS1_19radix_merge_compareILb0ELb0EiNS0_19identity_decomposerEEEEE10hipError_tT0_T1_T2_jT3_P12ihipStream_tbPNSt15iterator_traitsISI_E10value_typeEPNSO_ISJ_E10value_typeEPSK_NS1_7vsmem_tEENKUlT_SI_SJ_SK_E_clISD_PiSD_S10_EESH_SX_SI_SJ_SK_EUlSX_E_NS1_11comp_targetILNS1_3genE0ELNS1_11target_archE4294967295ELNS1_3gpuE0ELNS1_3repE0EEENS1_48merge_mergepath_partition_config_static_selectorELNS0_4arch9wavefront6targetE1EEEvSJ_,"axG",@progbits,_ZN7rocprim17ROCPRIM_400000_NS6detail17trampoline_kernelINS0_14default_configENS1_38merge_sort_block_merge_config_selectorIiiEEZZNS1_27merge_sort_block_merge_implIS3_N6thrust23THRUST_200600_302600_NS6detail15normal_iteratorINS8_10device_ptrIiEEEESD_jNS1_19radix_merge_compareILb0ELb0EiNS0_19identity_decomposerEEEEE10hipError_tT0_T1_T2_jT3_P12ihipStream_tbPNSt15iterator_traitsISI_E10value_typeEPNSO_ISJ_E10value_typeEPSK_NS1_7vsmem_tEENKUlT_SI_SJ_SK_E_clISD_PiSD_S10_EESH_SX_SI_SJ_SK_EUlSX_E_NS1_11comp_targetILNS1_3genE0ELNS1_11target_archE4294967295ELNS1_3gpuE0ELNS1_3repE0EEENS1_48merge_mergepath_partition_config_static_selectorELNS0_4arch9wavefront6targetE1EEEvSJ_,comdat
.Lfunc_end1311:
	.size	_ZN7rocprim17ROCPRIM_400000_NS6detail17trampoline_kernelINS0_14default_configENS1_38merge_sort_block_merge_config_selectorIiiEEZZNS1_27merge_sort_block_merge_implIS3_N6thrust23THRUST_200600_302600_NS6detail15normal_iteratorINS8_10device_ptrIiEEEESD_jNS1_19radix_merge_compareILb0ELb0EiNS0_19identity_decomposerEEEEE10hipError_tT0_T1_T2_jT3_P12ihipStream_tbPNSt15iterator_traitsISI_E10value_typeEPNSO_ISJ_E10value_typeEPSK_NS1_7vsmem_tEENKUlT_SI_SJ_SK_E_clISD_PiSD_S10_EESH_SX_SI_SJ_SK_EUlSX_E_NS1_11comp_targetILNS1_3genE0ELNS1_11target_archE4294967295ELNS1_3gpuE0ELNS1_3repE0EEENS1_48merge_mergepath_partition_config_static_selectorELNS0_4arch9wavefront6targetE1EEEvSJ_, .Lfunc_end1311-_ZN7rocprim17ROCPRIM_400000_NS6detail17trampoline_kernelINS0_14default_configENS1_38merge_sort_block_merge_config_selectorIiiEEZZNS1_27merge_sort_block_merge_implIS3_N6thrust23THRUST_200600_302600_NS6detail15normal_iteratorINS8_10device_ptrIiEEEESD_jNS1_19radix_merge_compareILb0ELb0EiNS0_19identity_decomposerEEEEE10hipError_tT0_T1_T2_jT3_P12ihipStream_tbPNSt15iterator_traitsISI_E10value_typeEPNSO_ISJ_E10value_typeEPSK_NS1_7vsmem_tEENKUlT_SI_SJ_SK_E_clISD_PiSD_S10_EESH_SX_SI_SJ_SK_EUlSX_E_NS1_11comp_targetILNS1_3genE0ELNS1_11target_archE4294967295ELNS1_3gpuE0ELNS1_3repE0EEENS1_48merge_mergepath_partition_config_static_selectorELNS0_4arch9wavefront6targetE1EEEvSJ_
                                        ; -- End function
	.set _ZN7rocprim17ROCPRIM_400000_NS6detail17trampoline_kernelINS0_14default_configENS1_38merge_sort_block_merge_config_selectorIiiEEZZNS1_27merge_sort_block_merge_implIS3_N6thrust23THRUST_200600_302600_NS6detail15normal_iteratorINS8_10device_ptrIiEEEESD_jNS1_19radix_merge_compareILb0ELb0EiNS0_19identity_decomposerEEEEE10hipError_tT0_T1_T2_jT3_P12ihipStream_tbPNSt15iterator_traitsISI_E10value_typeEPNSO_ISJ_E10value_typeEPSK_NS1_7vsmem_tEENKUlT_SI_SJ_SK_E_clISD_PiSD_S10_EESH_SX_SI_SJ_SK_EUlSX_E_NS1_11comp_targetILNS1_3genE0ELNS1_11target_archE4294967295ELNS1_3gpuE0ELNS1_3repE0EEENS1_48merge_mergepath_partition_config_static_selectorELNS0_4arch9wavefront6targetE1EEEvSJ_.num_vgpr, 17
	.set _ZN7rocprim17ROCPRIM_400000_NS6detail17trampoline_kernelINS0_14default_configENS1_38merge_sort_block_merge_config_selectorIiiEEZZNS1_27merge_sort_block_merge_implIS3_N6thrust23THRUST_200600_302600_NS6detail15normal_iteratorINS8_10device_ptrIiEEEESD_jNS1_19radix_merge_compareILb0ELb0EiNS0_19identity_decomposerEEEEE10hipError_tT0_T1_T2_jT3_P12ihipStream_tbPNSt15iterator_traitsISI_E10value_typeEPNSO_ISJ_E10value_typeEPSK_NS1_7vsmem_tEENKUlT_SI_SJ_SK_E_clISD_PiSD_S10_EESH_SX_SI_SJ_SK_EUlSX_E_NS1_11comp_targetILNS1_3genE0ELNS1_11target_archE4294967295ELNS1_3gpuE0ELNS1_3repE0EEENS1_48merge_mergepath_partition_config_static_selectorELNS0_4arch9wavefront6targetE1EEEvSJ_.num_agpr, 0
	.set _ZN7rocprim17ROCPRIM_400000_NS6detail17trampoline_kernelINS0_14default_configENS1_38merge_sort_block_merge_config_selectorIiiEEZZNS1_27merge_sort_block_merge_implIS3_N6thrust23THRUST_200600_302600_NS6detail15normal_iteratorINS8_10device_ptrIiEEEESD_jNS1_19radix_merge_compareILb0ELb0EiNS0_19identity_decomposerEEEEE10hipError_tT0_T1_T2_jT3_P12ihipStream_tbPNSt15iterator_traitsISI_E10value_typeEPNSO_ISJ_E10value_typeEPSK_NS1_7vsmem_tEENKUlT_SI_SJ_SK_E_clISD_PiSD_S10_EESH_SX_SI_SJ_SK_EUlSX_E_NS1_11comp_targetILNS1_3genE0ELNS1_11target_archE4294967295ELNS1_3gpuE0ELNS1_3repE0EEENS1_48merge_mergepath_partition_config_static_selectorELNS0_4arch9wavefront6targetE1EEEvSJ_.numbered_sgpr, 8
	.set _ZN7rocprim17ROCPRIM_400000_NS6detail17trampoline_kernelINS0_14default_configENS1_38merge_sort_block_merge_config_selectorIiiEEZZNS1_27merge_sort_block_merge_implIS3_N6thrust23THRUST_200600_302600_NS6detail15normal_iteratorINS8_10device_ptrIiEEEESD_jNS1_19radix_merge_compareILb0ELb0EiNS0_19identity_decomposerEEEEE10hipError_tT0_T1_T2_jT3_P12ihipStream_tbPNSt15iterator_traitsISI_E10value_typeEPNSO_ISJ_E10value_typeEPSK_NS1_7vsmem_tEENKUlT_SI_SJ_SK_E_clISD_PiSD_S10_EESH_SX_SI_SJ_SK_EUlSX_E_NS1_11comp_targetILNS1_3genE0ELNS1_11target_archE4294967295ELNS1_3gpuE0ELNS1_3repE0EEENS1_48merge_mergepath_partition_config_static_selectorELNS0_4arch9wavefront6targetE1EEEvSJ_.num_named_barrier, 0
	.set _ZN7rocprim17ROCPRIM_400000_NS6detail17trampoline_kernelINS0_14default_configENS1_38merge_sort_block_merge_config_selectorIiiEEZZNS1_27merge_sort_block_merge_implIS3_N6thrust23THRUST_200600_302600_NS6detail15normal_iteratorINS8_10device_ptrIiEEEESD_jNS1_19radix_merge_compareILb0ELb0EiNS0_19identity_decomposerEEEEE10hipError_tT0_T1_T2_jT3_P12ihipStream_tbPNSt15iterator_traitsISI_E10value_typeEPNSO_ISJ_E10value_typeEPSK_NS1_7vsmem_tEENKUlT_SI_SJ_SK_E_clISD_PiSD_S10_EESH_SX_SI_SJ_SK_EUlSX_E_NS1_11comp_targetILNS1_3genE0ELNS1_11target_archE4294967295ELNS1_3gpuE0ELNS1_3repE0EEENS1_48merge_mergepath_partition_config_static_selectorELNS0_4arch9wavefront6targetE1EEEvSJ_.private_seg_size, 0
	.set _ZN7rocprim17ROCPRIM_400000_NS6detail17trampoline_kernelINS0_14default_configENS1_38merge_sort_block_merge_config_selectorIiiEEZZNS1_27merge_sort_block_merge_implIS3_N6thrust23THRUST_200600_302600_NS6detail15normal_iteratorINS8_10device_ptrIiEEEESD_jNS1_19radix_merge_compareILb0ELb0EiNS0_19identity_decomposerEEEEE10hipError_tT0_T1_T2_jT3_P12ihipStream_tbPNSt15iterator_traitsISI_E10value_typeEPNSO_ISJ_E10value_typeEPSK_NS1_7vsmem_tEENKUlT_SI_SJ_SK_E_clISD_PiSD_S10_EESH_SX_SI_SJ_SK_EUlSX_E_NS1_11comp_targetILNS1_3genE0ELNS1_11target_archE4294967295ELNS1_3gpuE0ELNS1_3repE0EEENS1_48merge_mergepath_partition_config_static_selectorELNS0_4arch9wavefront6targetE1EEEvSJ_.uses_vcc, 1
	.set _ZN7rocprim17ROCPRIM_400000_NS6detail17trampoline_kernelINS0_14default_configENS1_38merge_sort_block_merge_config_selectorIiiEEZZNS1_27merge_sort_block_merge_implIS3_N6thrust23THRUST_200600_302600_NS6detail15normal_iteratorINS8_10device_ptrIiEEEESD_jNS1_19radix_merge_compareILb0ELb0EiNS0_19identity_decomposerEEEEE10hipError_tT0_T1_T2_jT3_P12ihipStream_tbPNSt15iterator_traitsISI_E10value_typeEPNSO_ISJ_E10value_typeEPSK_NS1_7vsmem_tEENKUlT_SI_SJ_SK_E_clISD_PiSD_S10_EESH_SX_SI_SJ_SK_EUlSX_E_NS1_11comp_targetILNS1_3genE0ELNS1_11target_archE4294967295ELNS1_3gpuE0ELNS1_3repE0EEENS1_48merge_mergepath_partition_config_static_selectorELNS0_4arch9wavefront6targetE1EEEvSJ_.uses_flat_scratch, 0
	.set _ZN7rocprim17ROCPRIM_400000_NS6detail17trampoline_kernelINS0_14default_configENS1_38merge_sort_block_merge_config_selectorIiiEEZZNS1_27merge_sort_block_merge_implIS3_N6thrust23THRUST_200600_302600_NS6detail15normal_iteratorINS8_10device_ptrIiEEEESD_jNS1_19radix_merge_compareILb0ELb0EiNS0_19identity_decomposerEEEEE10hipError_tT0_T1_T2_jT3_P12ihipStream_tbPNSt15iterator_traitsISI_E10value_typeEPNSO_ISJ_E10value_typeEPSK_NS1_7vsmem_tEENKUlT_SI_SJ_SK_E_clISD_PiSD_S10_EESH_SX_SI_SJ_SK_EUlSX_E_NS1_11comp_targetILNS1_3genE0ELNS1_11target_archE4294967295ELNS1_3gpuE0ELNS1_3repE0EEENS1_48merge_mergepath_partition_config_static_selectorELNS0_4arch9wavefront6targetE1EEEvSJ_.has_dyn_sized_stack, 0
	.set _ZN7rocprim17ROCPRIM_400000_NS6detail17trampoline_kernelINS0_14default_configENS1_38merge_sort_block_merge_config_selectorIiiEEZZNS1_27merge_sort_block_merge_implIS3_N6thrust23THRUST_200600_302600_NS6detail15normal_iteratorINS8_10device_ptrIiEEEESD_jNS1_19radix_merge_compareILb0ELb0EiNS0_19identity_decomposerEEEEE10hipError_tT0_T1_T2_jT3_P12ihipStream_tbPNSt15iterator_traitsISI_E10value_typeEPNSO_ISJ_E10value_typeEPSK_NS1_7vsmem_tEENKUlT_SI_SJ_SK_E_clISD_PiSD_S10_EESH_SX_SI_SJ_SK_EUlSX_E_NS1_11comp_targetILNS1_3genE0ELNS1_11target_archE4294967295ELNS1_3gpuE0ELNS1_3repE0EEENS1_48merge_mergepath_partition_config_static_selectorELNS0_4arch9wavefront6targetE1EEEvSJ_.has_recursion, 0
	.set _ZN7rocprim17ROCPRIM_400000_NS6detail17trampoline_kernelINS0_14default_configENS1_38merge_sort_block_merge_config_selectorIiiEEZZNS1_27merge_sort_block_merge_implIS3_N6thrust23THRUST_200600_302600_NS6detail15normal_iteratorINS8_10device_ptrIiEEEESD_jNS1_19radix_merge_compareILb0ELb0EiNS0_19identity_decomposerEEEEE10hipError_tT0_T1_T2_jT3_P12ihipStream_tbPNSt15iterator_traitsISI_E10value_typeEPNSO_ISJ_E10value_typeEPSK_NS1_7vsmem_tEENKUlT_SI_SJ_SK_E_clISD_PiSD_S10_EESH_SX_SI_SJ_SK_EUlSX_E_NS1_11comp_targetILNS1_3genE0ELNS1_11target_archE4294967295ELNS1_3gpuE0ELNS1_3repE0EEENS1_48merge_mergepath_partition_config_static_selectorELNS0_4arch9wavefront6targetE1EEEvSJ_.has_indirect_call, 0
	.section	.AMDGPU.csdata,"",@progbits
; Kernel info:
; codeLenInByte = 316
; TotalNumSgprs: 14
; NumVgprs: 17
; NumAgprs: 0
; TotalNumVgprs: 17
; ScratchSize: 0
; MemoryBound: 0
; FloatMode: 240
; IeeeMode: 1
; LDSByteSize: 0 bytes/workgroup (compile time only)
; SGPRBlocks: 1
; VGPRBlocks: 2
; NumSGPRsForWavesPerEU: 14
; NumVGPRsForWavesPerEU: 17
; AccumOffset: 20
; Occupancy: 8
; WaveLimiterHint : 0
; COMPUTE_PGM_RSRC2:SCRATCH_EN: 0
; COMPUTE_PGM_RSRC2:USER_SGPR: 2
; COMPUTE_PGM_RSRC2:TRAP_HANDLER: 0
; COMPUTE_PGM_RSRC2:TGID_X_EN: 1
; COMPUTE_PGM_RSRC2:TGID_Y_EN: 0
; COMPUTE_PGM_RSRC2:TGID_Z_EN: 0
; COMPUTE_PGM_RSRC2:TIDIG_COMP_CNT: 0
; COMPUTE_PGM_RSRC3_GFX90A:ACCUM_OFFSET: 4
; COMPUTE_PGM_RSRC3_GFX90A:TG_SPLIT: 0
	.section	.text._ZN7rocprim17ROCPRIM_400000_NS6detail17trampoline_kernelINS0_14default_configENS1_38merge_sort_block_merge_config_selectorIiiEEZZNS1_27merge_sort_block_merge_implIS3_N6thrust23THRUST_200600_302600_NS6detail15normal_iteratorINS8_10device_ptrIiEEEESD_jNS1_19radix_merge_compareILb0ELb0EiNS0_19identity_decomposerEEEEE10hipError_tT0_T1_T2_jT3_P12ihipStream_tbPNSt15iterator_traitsISI_E10value_typeEPNSO_ISJ_E10value_typeEPSK_NS1_7vsmem_tEENKUlT_SI_SJ_SK_E_clISD_PiSD_S10_EESH_SX_SI_SJ_SK_EUlSX_E_NS1_11comp_targetILNS1_3genE10ELNS1_11target_archE1201ELNS1_3gpuE5ELNS1_3repE0EEENS1_48merge_mergepath_partition_config_static_selectorELNS0_4arch9wavefront6targetE1EEEvSJ_,"axG",@progbits,_ZN7rocprim17ROCPRIM_400000_NS6detail17trampoline_kernelINS0_14default_configENS1_38merge_sort_block_merge_config_selectorIiiEEZZNS1_27merge_sort_block_merge_implIS3_N6thrust23THRUST_200600_302600_NS6detail15normal_iteratorINS8_10device_ptrIiEEEESD_jNS1_19radix_merge_compareILb0ELb0EiNS0_19identity_decomposerEEEEE10hipError_tT0_T1_T2_jT3_P12ihipStream_tbPNSt15iterator_traitsISI_E10value_typeEPNSO_ISJ_E10value_typeEPSK_NS1_7vsmem_tEENKUlT_SI_SJ_SK_E_clISD_PiSD_S10_EESH_SX_SI_SJ_SK_EUlSX_E_NS1_11comp_targetILNS1_3genE10ELNS1_11target_archE1201ELNS1_3gpuE5ELNS1_3repE0EEENS1_48merge_mergepath_partition_config_static_selectorELNS0_4arch9wavefront6targetE1EEEvSJ_,comdat
	.protected	_ZN7rocprim17ROCPRIM_400000_NS6detail17trampoline_kernelINS0_14default_configENS1_38merge_sort_block_merge_config_selectorIiiEEZZNS1_27merge_sort_block_merge_implIS3_N6thrust23THRUST_200600_302600_NS6detail15normal_iteratorINS8_10device_ptrIiEEEESD_jNS1_19radix_merge_compareILb0ELb0EiNS0_19identity_decomposerEEEEE10hipError_tT0_T1_T2_jT3_P12ihipStream_tbPNSt15iterator_traitsISI_E10value_typeEPNSO_ISJ_E10value_typeEPSK_NS1_7vsmem_tEENKUlT_SI_SJ_SK_E_clISD_PiSD_S10_EESH_SX_SI_SJ_SK_EUlSX_E_NS1_11comp_targetILNS1_3genE10ELNS1_11target_archE1201ELNS1_3gpuE5ELNS1_3repE0EEENS1_48merge_mergepath_partition_config_static_selectorELNS0_4arch9wavefront6targetE1EEEvSJ_ ; -- Begin function _ZN7rocprim17ROCPRIM_400000_NS6detail17trampoline_kernelINS0_14default_configENS1_38merge_sort_block_merge_config_selectorIiiEEZZNS1_27merge_sort_block_merge_implIS3_N6thrust23THRUST_200600_302600_NS6detail15normal_iteratorINS8_10device_ptrIiEEEESD_jNS1_19radix_merge_compareILb0ELb0EiNS0_19identity_decomposerEEEEE10hipError_tT0_T1_T2_jT3_P12ihipStream_tbPNSt15iterator_traitsISI_E10value_typeEPNSO_ISJ_E10value_typeEPSK_NS1_7vsmem_tEENKUlT_SI_SJ_SK_E_clISD_PiSD_S10_EESH_SX_SI_SJ_SK_EUlSX_E_NS1_11comp_targetILNS1_3genE10ELNS1_11target_archE1201ELNS1_3gpuE5ELNS1_3repE0EEENS1_48merge_mergepath_partition_config_static_selectorELNS0_4arch9wavefront6targetE1EEEvSJ_
	.globl	_ZN7rocprim17ROCPRIM_400000_NS6detail17trampoline_kernelINS0_14default_configENS1_38merge_sort_block_merge_config_selectorIiiEEZZNS1_27merge_sort_block_merge_implIS3_N6thrust23THRUST_200600_302600_NS6detail15normal_iteratorINS8_10device_ptrIiEEEESD_jNS1_19radix_merge_compareILb0ELb0EiNS0_19identity_decomposerEEEEE10hipError_tT0_T1_T2_jT3_P12ihipStream_tbPNSt15iterator_traitsISI_E10value_typeEPNSO_ISJ_E10value_typeEPSK_NS1_7vsmem_tEENKUlT_SI_SJ_SK_E_clISD_PiSD_S10_EESH_SX_SI_SJ_SK_EUlSX_E_NS1_11comp_targetILNS1_3genE10ELNS1_11target_archE1201ELNS1_3gpuE5ELNS1_3repE0EEENS1_48merge_mergepath_partition_config_static_selectorELNS0_4arch9wavefront6targetE1EEEvSJ_
	.p2align	8
	.type	_ZN7rocprim17ROCPRIM_400000_NS6detail17trampoline_kernelINS0_14default_configENS1_38merge_sort_block_merge_config_selectorIiiEEZZNS1_27merge_sort_block_merge_implIS3_N6thrust23THRUST_200600_302600_NS6detail15normal_iteratorINS8_10device_ptrIiEEEESD_jNS1_19radix_merge_compareILb0ELb0EiNS0_19identity_decomposerEEEEE10hipError_tT0_T1_T2_jT3_P12ihipStream_tbPNSt15iterator_traitsISI_E10value_typeEPNSO_ISJ_E10value_typeEPSK_NS1_7vsmem_tEENKUlT_SI_SJ_SK_E_clISD_PiSD_S10_EESH_SX_SI_SJ_SK_EUlSX_E_NS1_11comp_targetILNS1_3genE10ELNS1_11target_archE1201ELNS1_3gpuE5ELNS1_3repE0EEENS1_48merge_mergepath_partition_config_static_selectorELNS0_4arch9wavefront6targetE1EEEvSJ_,@function
_ZN7rocprim17ROCPRIM_400000_NS6detail17trampoline_kernelINS0_14default_configENS1_38merge_sort_block_merge_config_selectorIiiEEZZNS1_27merge_sort_block_merge_implIS3_N6thrust23THRUST_200600_302600_NS6detail15normal_iteratorINS8_10device_ptrIiEEEESD_jNS1_19radix_merge_compareILb0ELb0EiNS0_19identity_decomposerEEEEE10hipError_tT0_T1_T2_jT3_P12ihipStream_tbPNSt15iterator_traitsISI_E10value_typeEPNSO_ISJ_E10value_typeEPSK_NS1_7vsmem_tEENKUlT_SI_SJ_SK_E_clISD_PiSD_S10_EESH_SX_SI_SJ_SK_EUlSX_E_NS1_11comp_targetILNS1_3genE10ELNS1_11target_archE1201ELNS1_3gpuE5ELNS1_3repE0EEENS1_48merge_mergepath_partition_config_static_selectorELNS0_4arch9wavefront6targetE1EEEvSJ_: ; @_ZN7rocprim17ROCPRIM_400000_NS6detail17trampoline_kernelINS0_14default_configENS1_38merge_sort_block_merge_config_selectorIiiEEZZNS1_27merge_sort_block_merge_implIS3_N6thrust23THRUST_200600_302600_NS6detail15normal_iteratorINS8_10device_ptrIiEEEESD_jNS1_19radix_merge_compareILb0ELb0EiNS0_19identity_decomposerEEEEE10hipError_tT0_T1_T2_jT3_P12ihipStream_tbPNSt15iterator_traitsISI_E10value_typeEPNSO_ISJ_E10value_typeEPSK_NS1_7vsmem_tEENKUlT_SI_SJ_SK_E_clISD_PiSD_S10_EESH_SX_SI_SJ_SK_EUlSX_E_NS1_11comp_targetILNS1_3genE10ELNS1_11target_archE1201ELNS1_3gpuE5ELNS1_3repE0EEENS1_48merge_mergepath_partition_config_static_selectorELNS0_4arch9wavefront6targetE1EEEvSJ_
; %bb.0:
	.section	.rodata,"a",@progbits
	.p2align	6, 0x0
	.amdhsa_kernel _ZN7rocprim17ROCPRIM_400000_NS6detail17trampoline_kernelINS0_14default_configENS1_38merge_sort_block_merge_config_selectorIiiEEZZNS1_27merge_sort_block_merge_implIS3_N6thrust23THRUST_200600_302600_NS6detail15normal_iteratorINS8_10device_ptrIiEEEESD_jNS1_19radix_merge_compareILb0ELb0EiNS0_19identity_decomposerEEEEE10hipError_tT0_T1_T2_jT3_P12ihipStream_tbPNSt15iterator_traitsISI_E10value_typeEPNSO_ISJ_E10value_typeEPSK_NS1_7vsmem_tEENKUlT_SI_SJ_SK_E_clISD_PiSD_S10_EESH_SX_SI_SJ_SK_EUlSX_E_NS1_11comp_targetILNS1_3genE10ELNS1_11target_archE1201ELNS1_3gpuE5ELNS1_3repE0EEENS1_48merge_mergepath_partition_config_static_selectorELNS0_4arch9wavefront6targetE1EEEvSJ_
		.amdhsa_group_segment_fixed_size 0
		.amdhsa_private_segment_fixed_size 0
		.amdhsa_kernarg_size 40
		.amdhsa_user_sgpr_count 2
		.amdhsa_user_sgpr_dispatch_ptr 0
		.amdhsa_user_sgpr_queue_ptr 0
		.amdhsa_user_sgpr_kernarg_segment_ptr 1
		.amdhsa_user_sgpr_dispatch_id 0
		.amdhsa_user_sgpr_kernarg_preload_length 0
		.amdhsa_user_sgpr_kernarg_preload_offset 0
		.amdhsa_user_sgpr_private_segment_size 0
		.amdhsa_uses_dynamic_stack 0
		.amdhsa_enable_private_segment 0
		.amdhsa_system_sgpr_workgroup_id_x 1
		.amdhsa_system_sgpr_workgroup_id_y 0
		.amdhsa_system_sgpr_workgroup_id_z 0
		.amdhsa_system_sgpr_workgroup_info 0
		.amdhsa_system_vgpr_workitem_id 0
		.amdhsa_next_free_vgpr 1
		.amdhsa_next_free_sgpr 0
		.amdhsa_accum_offset 4
		.amdhsa_reserve_vcc 0
		.amdhsa_float_round_mode_32 0
		.amdhsa_float_round_mode_16_64 0
		.amdhsa_float_denorm_mode_32 3
		.amdhsa_float_denorm_mode_16_64 3
		.amdhsa_dx10_clamp 1
		.amdhsa_ieee_mode 1
		.amdhsa_fp16_overflow 0
		.amdhsa_tg_split 0
		.amdhsa_exception_fp_ieee_invalid_op 0
		.amdhsa_exception_fp_denorm_src 0
		.amdhsa_exception_fp_ieee_div_zero 0
		.amdhsa_exception_fp_ieee_overflow 0
		.amdhsa_exception_fp_ieee_underflow 0
		.amdhsa_exception_fp_ieee_inexact 0
		.amdhsa_exception_int_div_zero 0
	.end_amdhsa_kernel
	.section	.text._ZN7rocprim17ROCPRIM_400000_NS6detail17trampoline_kernelINS0_14default_configENS1_38merge_sort_block_merge_config_selectorIiiEEZZNS1_27merge_sort_block_merge_implIS3_N6thrust23THRUST_200600_302600_NS6detail15normal_iteratorINS8_10device_ptrIiEEEESD_jNS1_19radix_merge_compareILb0ELb0EiNS0_19identity_decomposerEEEEE10hipError_tT0_T1_T2_jT3_P12ihipStream_tbPNSt15iterator_traitsISI_E10value_typeEPNSO_ISJ_E10value_typeEPSK_NS1_7vsmem_tEENKUlT_SI_SJ_SK_E_clISD_PiSD_S10_EESH_SX_SI_SJ_SK_EUlSX_E_NS1_11comp_targetILNS1_3genE10ELNS1_11target_archE1201ELNS1_3gpuE5ELNS1_3repE0EEENS1_48merge_mergepath_partition_config_static_selectorELNS0_4arch9wavefront6targetE1EEEvSJ_,"axG",@progbits,_ZN7rocprim17ROCPRIM_400000_NS6detail17trampoline_kernelINS0_14default_configENS1_38merge_sort_block_merge_config_selectorIiiEEZZNS1_27merge_sort_block_merge_implIS3_N6thrust23THRUST_200600_302600_NS6detail15normal_iteratorINS8_10device_ptrIiEEEESD_jNS1_19radix_merge_compareILb0ELb0EiNS0_19identity_decomposerEEEEE10hipError_tT0_T1_T2_jT3_P12ihipStream_tbPNSt15iterator_traitsISI_E10value_typeEPNSO_ISJ_E10value_typeEPSK_NS1_7vsmem_tEENKUlT_SI_SJ_SK_E_clISD_PiSD_S10_EESH_SX_SI_SJ_SK_EUlSX_E_NS1_11comp_targetILNS1_3genE10ELNS1_11target_archE1201ELNS1_3gpuE5ELNS1_3repE0EEENS1_48merge_mergepath_partition_config_static_selectorELNS0_4arch9wavefront6targetE1EEEvSJ_,comdat
.Lfunc_end1312:
	.size	_ZN7rocprim17ROCPRIM_400000_NS6detail17trampoline_kernelINS0_14default_configENS1_38merge_sort_block_merge_config_selectorIiiEEZZNS1_27merge_sort_block_merge_implIS3_N6thrust23THRUST_200600_302600_NS6detail15normal_iteratorINS8_10device_ptrIiEEEESD_jNS1_19radix_merge_compareILb0ELb0EiNS0_19identity_decomposerEEEEE10hipError_tT0_T1_T2_jT3_P12ihipStream_tbPNSt15iterator_traitsISI_E10value_typeEPNSO_ISJ_E10value_typeEPSK_NS1_7vsmem_tEENKUlT_SI_SJ_SK_E_clISD_PiSD_S10_EESH_SX_SI_SJ_SK_EUlSX_E_NS1_11comp_targetILNS1_3genE10ELNS1_11target_archE1201ELNS1_3gpuE5ELNS1_3repE0EEENS1_48merge_mergepath_partition_config_static_selectorELNS0_4arch9wavefront6targetE1EEEvSJ_, .Lfunc_end1312-_ZN7rocprim17ROCPRIM_400000_NS6detail17trampoline_kernelINS0_14default_configENS1_38merge_sort_block_merge_config_selectorIiiEEZZNS1_27merge_sort_block_merge_implIS3_N6thrust23THRUST_200600_302600_NS6detail15normal_iteratorINS8_10device_ptrIiEEEESD_jNS1_19radix_merge_compareILb0ELb0EiNS0_19identity_decomposerEEEEE10hipError_tT0_T1_T2_jT3_P12ihipStream_tbPNSt15iterator_traitsISI_E10value_typeEPNSO_ISJ_E10value_typeEPSK_NS1_7vsmem_tEENKUlT_SI_SJ_SK_E_clISD_PiSD_S10_EESH_SX_SI_SJ_SK_EUlSX_E_NS1_11comp_targetILNS1_3genE10ELNS1_11target_archE1201ELNS1_3gpuE5ELNS1_3repE0EEENS1_48merge_mergepath_partition_config_static_selectorELNS0_4arch9wavefront6targetE1EEEvSJ_
                                        ; -- End function
	.set _ZN7rocprim17ROCPRIM_400000_NS6detail17trampoline_kernelINS0_14default_configENS1_38merge_sort_block_merge_config_selectorIiiEEZZNS1_27merge_sort_block_merge_implIS3_N6thrust23THRUST_200600_302600_NS6detail15normal_iteratorINS8_10device_ptrIiEEEESD_jNS1_19radix_merge_compareILb0ELb0EiNS0_19identity_decomposerEEEEE10hipError_tT0_T1_T2_jT3_P12ihipStream_tbPNSt15iterator_traitsISI_E10value_typeEPNSO_ISJ_E10value_typeEPSK_NS1_7vsmem_tEENKUlT_SI_SJ_SK_E_clISD_PiSD_S10_EESH_SX_SI_SJ_SK_EUlSX_E_NS1_11comp_targetILNS1_3genE10ELNS1_11target_archE1201ELNS1_3gpuE5ELNS1_3repE0EEENS1_48merge_mergepath_partition_config_static_selectorELNS0_4arch9wavefront6targetE1EEEvSJ_.num_vgpr, 0
	.set _ZN7rocprim17ROCPRIM_400000_NS6detail17trampoline_kernelINS0_14default_configENS1_38merge_sort_block_merge_config_selectorIiiEEZZNS1_27merge_sort_block_merge_implIS3_N6thrust23THRUST_200600_302600_NS6detail15normal_iteratorINS8_10device_ptrIiEEEESD_jNS1_19radix_merge_compareILb0ELb0EiNS0_19identity_decomposerEEEEE10hipError_tT0_T1_T2_jT3_P12ihipStream_tbPNSt15iterator_traitsISI_E10value_typeEPNSO_ISJ_E10value_typeEPSK_NS1_7vsmem_tEENKUlT_SI_SJ_SK_E_clISD_PiSD_S10_EESH_SX_SI_SJ_SK_EUlSX_E_NS1_11comp_targetILNS1_3genE10ELNS1_11target_archE1201ELNS1_3gpuE5ELNS1_3repE0EEENS1_48merge_mergepath_partition_config_static_selectorELNS0_4arch9wavefront6targetE1EEEvSJ_.num_agpr, 0
	.set _ZN7rocprim17ROCPRIM_400000_NS6detail17trampoline_kernelINS0_14default_configENS1_38merge_sort_block_merge_config_selectorIiiEEZZNS1_27merge_sort_block_merge_implIS3_N6thrust23THRUST_200600_302600_NS6detail15normal_iteratorINS8_10device_ptrIiEEEESD_jNS1_19radix_merge_compareILb0ELb0EiNS0_19identity_decomposerEEEEE10hipError_tT0_T1_T2_jT3_P12ihipStream_tbPNSt15iterator_traitsISI_E10value_typeEPNSO_ISJ_E10value_typeEPSK_NS1_7vsmem_tEENKUlT_SI_SJ_SK_E_clISD_PiSD_S10_EESH_SX_SI_SJ_SK_EUlSX_E_NS1_11comp_targetILNS1_3genE10ELNS1_11target_archE1201ELNS1_3gpuE5ELNS1_3repE0EEENS1_48merge_mergepath_partition_config_static_selectorELNS0_4arch9wavefront6targetE1EEEvSJ_.numbered_sgpr, 0
	.set _ZN7rocprim17ROCPRIM_400000_NS6detail17trampoline_kernelINS0_14default_configENS1_38merge_sort_block_merge_config_selectorIiiEEZZNS1_27merge_sort_block_merge_implIS3_N6thrust23THRUST_200600_302600_NS6detail15normal_iteratorINS8_10device_ptrIiEEEESD_jNS1_19radix_merge_compareILb0ELb0EiNS0_19identity_decomposerEEEEE10hipError_tT0_T1_T2_jT3_P12ihipStream_tbPNSt15iterator_traitsISI_E10value_typeEPNSO_ISJ_E10value_typeEPSK_NS1_7vsmem_tEENKUlT_SI_SJ_SK_E_clISD_PiSD_S10_EESH_SX_SI_SJ_SK_EUlSX_E_NS1_11comp_targetILNS1_3genE10ELNS1_11target_archE1201ELNS1_3gpuE5ELNS1_3repE0EEENS1_48merge_mergepath_partition_config_static_selectorELNS0_4arch9wavefront6targetE1EEEvSJ_.num_named_barrier, 0
	.set _ZN7rocprim17ROCPRIM_400000_NS6detail17trampoline_kernelINS0_14default_configENS1_38merge_sort_block_merge_config_selectorIiiEEZZNS1_27merge_sort_block_merge_implIS3_N6thrust23THRUST_200600_302600_NS6detail15normal_iteratorINS8_10device_ptrIiEEEESD_jNS1_19radix_merge_compareILb0ELb0EiNS0_19identity_decomposerEEEEE10hipError_tT0_T1_T2_jT3_P12ihipStream_tbPNSt15iterator_traitsISI_E10value_typeEPNSO_ISJ_E10value_typeEPSK_NS1_7vsmem_tEENKUlT_SI_SJ_SK_E_clISD_PiSD_S10_EESH_SX_SI_SJ_SK_EUlSX_E_NS1_11comp_targetILNS1_3genE10ELNS1_11target_archE1201ELNS1_3gpuE5ELNS1_3repE0EEENS1_48merge_mergepath_partition_config_static_selectorELNS0_4arch9wavefront6targetE1EEEvSJ_.private_seg_size, 0
	.set _ZN7rocprim17ROCPRIM_400000_NS6detail17trampoline_kernelINS0_14default_configENS1_38merge_sort_block_merge_config_selectorIiiEEZZNS1_27merge_sort_block_merge_implIS3_N6thrust23THRUST_200600_302600_NS6detail15normal_iteratorINS8_10device_ptrIiEEEESD_jNS1_19radix_merge_compareILb0ELb0EiNS0_19identity_decomposerEEEEE10hipError_tT0_T1_T2_jT3_P12ihipStream_tbPNSt15iterator_traitsISI_E10value_typeEPNSO_ISJ_E10value_typeEPSK_NS1_7vsmem_tEENKUlT_SI_SJ_SK_E_clISD_PiSD_S10_EESH_SX_SI_SJ_SK_EUlSX_E_NS1_11comp_targetILNS1_3genE10ELNS1_11target_archE1201ELNS1_3gpuE5ELNS1_3repE0EEENS1_48merge_mergepath_partition_config_static_selectorELNS0_4arch9wavefront6targetE1EEEvSJ_.uses_vcc, 0
	.set _ZN7rocprim17ROCPRIM_400000_NS6detail17trampoline_kernelINS0_14default_configENS1_38merge_sort_block_merge_config_selectorIiiEEZZNS1_27merge_sort_block_merge_implIS3_N6thrust23THRUST_200600_302600_NS6detail15normal_iteratorINS8_10device_ptrIiEEEESD_jNS1_19radix_merge_compareILb0ELb0EiNS0_19identity_decomposerEEEEE10hipError_tT0_T1_T2_jT3_P12ihipStream_tbPNSt15iterator_traitsISI_E10value_typeEPNSO_ISJ_E10value_typeEPSK_NS1_7vsmem_tEENKUlT_SI_SJ_SK_E_clISD_PiSD_S10_EESH_SX_SI_SJ_SK_EUlSX_E_NS1_11comp_targetILNS1_3genE10ELNS1_11target_archE1201ELNS1_3gpuE5ELNS1_3repE0EEENS1_48merge_mergepath_partition_config_static_selectorELNS0_4arch9wavefront6targetE1EEEvSJ_.uses_flat_scratch, 0
	.set _ZN7rocprim17ROCPRIM_400000_NS6detail17trampoline_kernelINS0_14default_configENS1_38merge_sort_block_merge_config_selectorIiiEEZZNS1_27merge_sort_block_merge_implIS3_N6thrust23THRUST_200600_302600_NS6detail15normal_iteratorINS8_10device_ptrIiEEEESD_jNS1_19radix_merge_compareILb0ELb0EiNS0_19identity_decomposerEEEEE10hipError_tT0_T1_T2_jT3_P12ihipStream_tbPNSt15iterator_traitsISI_E10value_typeEPNSO_ISJ_E10value_typeEPSK_NS1_7vsmem_tEENKUlT_SI_SJ_SK_E_clISD_PiSD_S10_EESH_SX_SI_SJ_SK_EUlSX_E_NS1_11comp_targetILNS1_3genE10ELNS1_11target_archE1201ELNS1_3gpuE5ELNS1_3repE0EEENS1_48merge_mergepath_partition_config_static_selectorELNS0_4arch9wavefront6targetE1EEEvSJ_.has_dyn_sized_stack, 0
	.set _ZN7rocprim17ROCPRIM_400000_NS6detail17trampoline_kernelINS0_14default_configENS1_38merge_sort_block_merge_config_selectorIiiEEZZNS1_27merge_sort_block_merge_implIS3_N6thrust23THRUST_200600_302600_NS6detail15normal_iteratorINS8_10device_ptrIiEEEESD_jNS1_19radix_merge_compareILb0ELb0EiNS0_19identity_decomposerEEEEE10hipError_tT0_T1_T2_jT3_P12ihipStream_tbPNSt15iterator_traitsISI_E10value_typeEPNSO_ISJ_E10value_typeEPSK_NS1_7vsmem_tEENKUlT_SI_SJ_SK_E_clISD_PiSD_S10_EESH_SX_SI_SJ_SK_EUlSX_E_NS1_11comp_targetILNS1_3genE10ELNS1_11target_archE1201ELNS1_3gpuE5ELNS1_3repE0EEENS1_48merge_mergepath_partition_config_static_selectorELNS0_4arch9wavefront6targetE1EEEvSJ_.has_recursion, 0
	.set _ZN7rocprim17ROCPRIM_400000_NS6detail17trampoline_kernelINS0_14default_configENS1_38merge_sort_block_merge_config_selectorIiiEEZZNS1_27merge_sort_block_merge_implIS3_N6thrust23THRUST_200600_302600_NS6detail15normal_iteratorINS8_10device_ptrIiEEEESD_jNS1_19radix_merge_compareILb0ELb0EiNS0_19identity_decomposerEEEEE10hipError_tT0_T1_T2_jT3_P12ihipStream_tbPNSt15iterator_traitsISI_E10value_typeEPNSO_ISJ_E10value_typeEPSK_NS1_7vsmem_tEENKUlT_SI_SJ_SK_E_clISD_PiSD_S10_EESH_SX_SI_SJ_SK_EUlSX_E_NS1_11comp_targetILNS1_3genE10ELNS1_11target_archE1201ELNS1_3gpuE5ELNS1_3repE0EEENS1_48merge_mergepath_partition_config_static_selectorELNS0_4arch9wavefront6targetE1EEEvSJ_.has_indirect_call, 0
	.section	.AMDGPU.csdata,"",@progbits
; Kernel info:
; codeLenInByte = 0
; TotalNumSgprs: 6
; NumVgprs: 0
; NumAgprs: 0
; TotalNumVgprs: 0
; ScratchSize: 0
; MemoryBound: 0
; FloatMode: 240
; IeeeMode: 1
; LDSByteSize: 0 bytes/workgroup (compile time only)
; SGPRBlocks: 0
; VGPRBlocks: 0
; NumSGPRsForWavesPerEU: 6
; NumVGPRsForWavesPerEU: 1
; AccumOffset: 4
; Occupancy: 8
; WaveLimiterHint : 0
; COMPUTE_PGM_RSRC2:SCRATCH_EN: 0
; COMPUTE_PGM_RSRC2:USER_SGPR: 2
; COMPUTE_PGM_RSRC2:TRAP_HANDLER: 0
; COMPUTE_PGM_RSRC2:TGID_X_EN: 1
; COMPUTE_PGM_RSRC2:TGID_Y_EN: 0
; COMPUTE_PGM_RSRC2:TGID_Z_EN: 0
; COMPUTE_PGM_RSRC2:TIDIG_COMP_CNT: 0
; COMPUTE_PGM_RSRC3_GFX90A:ACCUM_OFFSET: 0
; COMPUTE_PGM_RSRC3_GFX90A:TG_SPLIT: 0
	.section	.text._ZN7rocprim17ROCPRIM_400000_NS6detail17trampoline_kernelINS0_14default_configENS1_38merge_sort_block_merge_config_selectorIiiEEZZNS1_27merge_sort_block_merge_implIS3_N6thrust23THRUST_200600_302600_NS6detail15normal_iteratorINS8_10device_ptrIiEEEESD_jNS1_19radix_merge_compareILb0ELb0EiNS0_19identity_decomposerEEEEE10hipError_tT0_T1_T2_jT3_P12ihipStream_tbPNSt15iterator_traitsISI_E10value_typeEPNSO_ISJ_E10value_typeEPSK_NS1_7vsmem_tEENKUlT_SI_SJ_SK_E_clISD_PiSD_S10_EESH_SX_SI_SJ_SK_EUlSX_E_NS1_11comp_targetILNS1_3genE5ELNS1_11target_archE942ELNS1_3gpuE9ELNS1_3repE0EEENS1_48merge_mergepath_partition_config_static_selectorELNS0_4arch9wavefront6targetE1EEEvSJ_,"axG",@progbits,_ZN7rocprim17ROCPRIM_400000_NS6detail17trampoline_kernelINS0_14default_configENS1_38merge_sort_block_merge_config_selectorIiiEEZZNS1_27merge_sort_block_merge_implIS3_N6thrust23THRUST_200600_302600_NS6detail15normal_iteratorINS8_10device_ptrIiEEEESD_jNS1_19radix_merge_compareILb0ELb0EiNS0_19identity_decomposerEEEEE10hipError_tT0_T1_T2_jT3_P12ihipStream_tbPNSt15iterator_traitsISI_E10value_typeEPNSO_ISJ_E10value_typeEPSK_NS1_7vsmem_tEENKUlT_SI_SJ_SK_E_clISD_PiSD_S10_EESH_SX_SI_SJ_SK_EUlSX_E_NS1_11comp_targetILNS1_3genE5ELNS1_11target_archE942ELNS1_3gpuE9ELNS1_3repE0EEENS1_48merge_mergepath_partition_config_static_selectorELNS0_4arch9wavefront6targetE1EEEvSJ_,comdat
	.protected	_ZN7rocprim17ROCPRIM_400000_NS6detail17trampoline_kernelINS0_14default_configENS1_38merge_sort_block_merge_config_selectorIiiEEZZNS1_27merge_sort_block_merge_implIS3_N6thrust23THRUST_200600_302600_NS6detail15normal_iteratorINS8_10device_ptrIiEEEESD_jNS1_19radix_merge_compareILb0ELb0EiNS0_19identity_decomposerEEEEE10hipError_tT0_T1_T2_jT3_P12ihipStream_tbPNSt15iterator_traitsISI_E10value_typeEPNSO_ISJ_E10value_typeEPSK_NS1_7vsmem_tEENKUlT_SI_SJ_SK_E_clISD_PiSD_S10_EESH_SX_SI_SJ_SK_EUlSX_E_NS1_11comp_targetILNS1_3genE5ELNS1_11target_archE942ELNS1_3gpuE9ELNS1_3repE0EEENS1_48merge_mergepath_partition_config_static_selectorELNS0_4arch9wavefront6targetE1EEEvSJ_ ; -- Begin function _ZN7rocprim17ROCPRIM_400000_NS6detail17trampoline_kernelINS0_14default_configENS1_38merge_sort_block_merge_config_selectorIiiEEZZNS1_27merge_sort_block_merge_implIS3_N6thrust23THRUST_200600_302600_NS6detail15normal_iteratorINS8_10device_ptrIiEEEESD_jNS1_19radix_merge_compareILb0ELb0EiNS0_19identity_decomposerEEEEE10hipError_tT0_T1_T2_jT3_P12ihipStream_tbPNSt15iterator_traitsISI_E10value_typeEPNSO_ISJ_E10value_typeEPSK_NS1_7vsmem_tEENKUlT_SI_SJ_SK_E_clISD_PiSD_S10_EESH_SX_SI_SJ_SK_EUlSX_E_NS1_11comp_targetILNS1_3genE5ELNS1_11target_archE942ELNS1_3gpuE9ELNS1_3repE0EEENS1_48merge_mergepath_partition_config_static_selectorELNS0_4arch9wavefront6targetE1EEEvSJ_
	.globl	_ZN7rocprim17ROCPRIM_400000_NS6detail17trampoline_kernelINS0_14default_configENS1_38merge_sort_block_merge_config_selectorIiiEEZZNS1_27merge_sort_block_merge_implIS3_N6thrust23THRUST_200600_302600_NS6detail15normal_iteratorINS8_10device_ptrIiEEEESD_jNS1_19radix_merge_compareILb0ELb0EiNS0_19identity_decomposerEEEEE10hipError_tT0_T1_T2_jT3_P12ihipStream_tbPNSt15iterator_traitsISI_E10value_typeEPNSO_ISJ_E10value_typeEPSK_NS1_7vsmem_tEENKUlT_SI_SJ_SK_E_clISD_PiSD_S10_EESH_SX_SI_SJ_SK_EUlSX_E_NS1_11comp_targetILNS1_3genE5ELNS1_11target_archE942ELNS1_3gpuE9ELNS1_3repE0EEENS1_48merge_mergepath_partition_config_static_selectorELNS0_4arch9wavefront6targetE1EEEvSJ_
	.p2align	8
	.type	_ZN7rocprim17ROCPRIM_400000_NS6detail17trampoline_kernelINS0_14default_configENS1_38merge_sort_block_merge_config_selectorIiiEEZZNS1_27merge_sort_block_merge_implIS3_N6thrust23THRUST_200600_302600_NS6detail15normal_iteratorINS8_10device_ptrIiEEEESD_jNS1_19radix_merge_compareILb0ELb0EiNS0_19identity_decomposerEEEEE10hipError_tT0_T1_T2_jT3_P12ihipStream_tbPNSt15iterator_traitsISI_E10value_typeEPNSO_ISJ_E10value_typeEPSK_NS1_7vsmem_tEENKUlT_SI_SJ_SK_E_clISD_PiSD_S10_EESH_SX_SI_SJ_SK_EUlSX_E_NS1_11comp_targetILNS1_3genE5ELNS1_11target_archE942ELNS1_3gpuE9ELNS1_3repE0EEENS1_48merge_mergepath_partition_config_static_selectorELNS0_4arch9wavefront6targetE1EEEvSJ_,@function
_ZN7rocprim17ROCPRIM_400000_NS6detail17trampoline_kernelINS0_14default_configENS1_38merge_sort_block_merge_config_selectorIiiEEZZNS1_27merge_sort_block_merge_implIS3_N6thrust23THRUST_200600_302600_NS6detail15normal_iteratorINS8_10device_ptrIiEEEESD_jNS1_19radix_merge_compareILb0ELb0EiNS0_19identity_decomposerEEEEE10hipError_tT0_T1_T2_jT3_P12ihipStream_tbPNSt15iterator_traitsISI_E10value_typeEPNSO_ISJ_E10value_typeEPSK_NS1_7vsmem_tEENKUlT_SI_SJ_SK_E_clISD_PiSD_S10_EESH_SX_SI_SJ_SK_EUlSX_E_NS1_11comp_targetILNS1_3genE5ELNS1_11target_archE942ELNS1_3gpuE9ELNS1_3repE0EEENS1_48merge_mergepath_partition_config_static_selectorELNS0_4arch9wavefront6targetE1EEEvSJ_: ; @_ZN7rocprim17ROCPRIM_400000_NS6detail17trampoline_kernelINS0_14default_configENS1_38merge_sort_block_merge_config_selectorIiiEEZZNS1_27merge_sort_block_merge_implIS3_N6thrust23THRUST_200600_302600_NS6detail15normal_iteratorINS8_10device_ptrIiEEEESD_jNS1_19radix_merge_compareILb0ELb0EiNS0_19identity_decomposerEEEEE10hipError_tT0_T1_T2_jT3_P12ihipStream_tbPNSt15iterator_traitsISI_E10value_typeEPNSO_ISJ_E10value_typeEPSK_NS1_7vsmem_tEENKUlT_SI_SJ_SK_E_clISD_PiSD_S10_EESH_SX_SI_SJ_SK_EUlSX_E_NS1_11comp_targetILNS1_3genE5ELNS1_11target_archE942ELNS1_3gpuE9ELNS1_3repE0EEENS1_48merge_mergepath_partition_config_static_selectorELNS0_4arch9wavefront6targetE1EEEvSJ_
; %bb.0:
	.section	.rodata,"a",@progbits
	.p2align	6, 0x0
	.amdhsa_kernel _ZN7rocprim17ROCPRIM_400000_NS6detail17trampoline_kernelINS0_14default_configENS1_38merge_sort_block_merge_config_selectorIiiEEZZNS1_27merge_sort_block_merge_implIS3_N6thrust23THRUST_200600_302600_NS6detail15normal_iteratorINS8_10device_ptrIiEEEESD_jNS1_19radix_merge_compareILb0ELb0EiNS0_19identity_decomposerEEEEE10hipError_tT0_T1_T2_jT3_P12ihipStream_tbPNSt15iterator_traitsISI_E10value_typeEPNSO_ISJ_E10value_typeEPSK_NS1_7vsmem_tEENKUlT_SI_SJ_SK_E_clISD_PiSD_S10_EESH_SX_SI_SJ_SK_EUlSX_E_NS1_11comp_targetILNS1_3genE5ELNS1_11target_archE942ELNS1_3gpuE9ELNS1_3repE0EEENS1_48merge_mergepath_partition_config_static_selectorELNS0_4arch9wavefront6targetE1EEEvSJ_
		.amdhsa_group_segment_fixed_size 0
		.amdhsa_private_segment_fixed_size 0
		.amdhsa_kernarg_size 40
		.amdhsa_user_sgpr_count 2
		.amdhsa_user_sgpr_dispatch_ptr 0
		.amdhsa_user_sgpr_queue_ptr 0
		.amdhsa_user_sgpr_kernarg_segment_ptr 1
		.amdhsa_user_sgpr_dispatch_id 0
		.amdhsa_user_sgpr_kernarg_preload_length 0
		.amdhsa_user_sgpr_kernarg_preload_offset 0
		.amdhsa_user_sgpr_private_segment_size 0
		.amdhsa_uses_dynamic_stack 0
		.amdhsa_enable_private_segment 0
		.amdhsa_system_sgpr_workgroup_id_x 1
		.amdhsa_system_sgpr_workgroup_id_y 0
		.amdhsa_system_sgpr_workgroup_id_z 0
		.amdhsa_system_sgpr_workgroup_info 0
		.amdhsa_system_vgpr_workitem_id 0
		.amdhsa_next_free_vgpr 1
		.amdhsa_next_free_sgpr 0
		.amdhsa_accum_offset 4
		.amdhsa_reserve_vcc 0
		.amdhsa_float_round_mode_32 0
		.amdhsa_float_round_mode_16_64 0
		.amdhsa_float_denorm_mode_32 3
		.amdhsa_float_denorm_mode_16_64 3
		.amdhsa_dx10_clamp 1
		.amdhsa_ieee_mode 1
		.amdhsa_fp16_overflow 0
		.amdhsa_tg_split 0
		.amdhsa_exception_fp_ieee_invalid_op 0
		.amdhsa_exception_fp_denorm_src 0
		.amdhsa_exception_fp_ieee_div_zero 0
		.amdhsa_exception_fp_ieee_overflow 0
		.amdhsa_exception_fp_ieee_underflow 0
		.amdhsa_exception_fp_ieee_inexact 0
		.amdhsa_exception_int_div_zero 0
	.end_amdhsa_kernel
	.section	.text._ZN7rocprim17ROCPRIM_400000_NS6detail17trampoline_kernelINS0_14default_configENS1_38merge_sort_block_merge_config_selectorIiiEEZZNS1_27merge_sort_block_merge_implIS3_N6thrust23THRUST_200600_302600_NS6detail15normal_iteratorINS8_10device_ptrIiEEEESD_jNS1_19radix_merge_compareILb0ELb0EiNS0_19identity_decomposerEEEEE10hipError_tT0_T1_T2_jT3_P12ihipStream_tbPNSt15iterator_traitsISI_E10value_typeEPNSO_ISJ_E10value_typeEPSK_NS1_7vsmem_tEENKUlT_SI_SJ_SK_E_clISD_PiSD_S10_EESH_SX_SI_SJ_SK_EUlSX_E_NS1_11comp_targetILNS1_3genE5ELNS1_11target_archE942ELNS1_3gpuE9ELNS1_3repE0EEENS1_48merge_mergepath_partition_config_static_selectorELNS0_4arch9wavefront6targetE1EEEvSJ_,"axG",@progbits,_ZN7rocprim17ROCPRIM_400000_NS6detail17trampoline_kernelINS0_14default_configENS1_38merge_sort_block_merge_config_selectorIiiEEZZNS1_27merge_sort_block_merge_implIS3_N6thrust23THRUST_200600_302600_NS6detail15normal_iteratorINS8_10device_ptrIiEEEESD_jNS1_19radix_merge_compareILb0ELb0EiNS0_19identity_decomposerEEEEE10hipError_tT0_T1_T2_jT3_P12ihipStream_tbPNSt15iterator_traitsISI_E10value_typeEPNSO_ISJ_E10value_typeEPSK_NS1_7vsmem_tEENKUlT_SI_SJ_SK_E_clISD_PiSD_S10_EESH_SX_SI_SJ_SK_EUlSX_E_NS1_11comp_targetILNS1_3genE5ELNS1_11target_archE942ELNS1_3gpuE9ELNS1_3repE0EEENS1_48merge_mergepath_partition_config_static_selectorELNS0_4arch9wavefront6targetE1EEEvSJ_,comdat
.Lfunc_end1313:
	.size	_ZN7rocprim17ROCPRIM_400000_NS6detail17trampoline_kernelINS0_14default_configENS1_38merge_sort_block_merge_config_selectorIiiEEZZNS1_27merge_sort_block_merge_implIS3_N6thrust23THRUST_200600_302600_NS6detail15normal_iteratorINS8_10device_ptrIiEEEESD_jNS1_19radix_merge_compareILb0ELb0EiNS0_19identity_decomposerEEEEE10hipError_tT0_T1_T2_jT3_P12ihipStream_tbPNSt15iterator_traitsISI_E10value_typeEPNSO_ISJ_E10value_typeEPSK_NS1_7vsmem_tEENKUlT_SI_SJ_SK_E_clISD_PiSD_S10_EESH_SX_SI_SJ_SK_EUlSX_E_NS1_11comp_targetILNS1_3genE5ELNS1_11target_archE942ELNS1_3gpuE9ELNS1_3repE0EEENS1_48merge_mergepath_partition_config_static_selectorELNS0_4arch9wavefront6targetE1EEEvSJ_, .Lfunc_end1313-_ZN7rocprim17ROCPRIM_400000_NS6detail17trampoline_kernelINS0_14default_configENS1_38merge_sort_block_merge_config_selectorIiiEEZZNS1_27merge_sort_block_merge_implIS3_N6thrust23THRUST_200600_302600_NS6detail15normal_iteratorINS8_10device_ptrIiEEEESD_jNS1_19radix_merge_compareILb0ELb0EiNS0_19identity_decomposerEEEEE10hipError_tT0_T1_T2_jT3_P12ihipStream_tbPNSt15iterator_traitsISI_E10value_typeEPNSO_ISJ_E10value_typeEPSK_NS1_7vsmem_tEENKUlT_SI_SJ_SK_E_clISD_PiSD_S10_EESH_SX_SI_SJ_SK_EUlSX_E_NS1_11comp_targetILNS1_3genE5ELNS1_11target_archE942ELNS1_3gpuE9ELNS1_3repE0EEENS1_48merge_mergepath_partition_config_static_selectorELNS0_4arch9wavefront6targetE1EEEvSJ_
                                        ; -- End function
	.set _ZN7rocprim17ROCPRIM_400000_NS6detail17trampoline_kernelINS0_14default_configENS1_38merge_sort_block_merge_config_selectorIiiEEZZNS1_27merge_sort_block_merge_implIS3_N6thrust23THRUST_200600_302600_NS6detail15normal_iteratorINS8_10device_ptrIiEEEESD_jNS1_19radix_merge_compareILb0ELb0EiNS0_19identity_decomposerEEEEE10hipError_tT0_T1_T2_jT3_P12ihipStream_tbPNSt15iterator_traitsISI_E10value_typeEPNSO_ISJ_E10value_typeEPSK_NS1_7vsmem_tEENKUlT_SI_SJ_SK_E_clISD_PiSD_S10_EESH_SX_SI_SJ_SK_EUlSX_E_NS1_11comp_targetILNS1_3genE5ELNS1_11target_archE942ELNS1_3gpuE9ELNS1_3repE0EEENS1_48merge_mergepath_partition_config_static_selectorELNS0_4arch9wavefront6targetE1EEEvSJ_.num_vgpr, 0
	.set _ZN7rocprim17ROCPRIM_400000_NS6detail17trampoline_kernelINS0_14default_configENS1_38merge_sort_block_merge_config_selectorIiiEEZZNS1_27merge_sort_block_merge_implIS3_N6thrust23THRUST_200600_302600_NS6detail15normal_iteratorINS8_10device_ptrIiEEEESD_jNS1_19radix_merge_compareILb0ELb0EiNS0_19identity_decomposerEEEEE10hipError_tT0_T1_T2_jT3_P12ihipStream_tbPNSt15iterator_traitsISI_E10value_typeEPNSO_ISJ_E10value_typeEPSK_NS1_7vsmem_tEENKUlT_SI_SJ_SK_E_clISD_PiSD_S10_EESH_SX_SI_SJ_SK_EUlSX_E_NS1_11comp_targetILNS1_3genE5ELNS1_11target_archE942ELNS1_3gpuE9ELNS1_3repE0EEENS1_48merge_mergepath_partition_config_static_selectorELNS0_4arch9wavefront6targetE1EEEvSJ_.num_agpr, 0
	.set _ZN7rocprim17ROCPRIM_400000_NS6detail17trampoline_kernelINS0_14default_configENS1_38merge_sort_block_merge_config_selectorIiiEEZZNS1_27merge_sort_block_merge_implIS3_N6thrust23THRUST_200600_302600_NS6detail15normal_iteratorINS8_10device_ptrIiEEEESD_jNS1_19radix_merge_compareILb0ELb0EiNS0_19identity_decomposerEEEEE10hipError_tT0_T1_T2_jT3_P12ihipStream_tbPNSt15iterator_traitsISI_E10value_typeEPNSO_ISJ_E10value_typeEPSK_NS1_7vsmem_tEENKUlT_SI_SJ_SK_E_clISD_PiSD_S10_EESH_SX_SI_SJ_SK_EUlSX_E_NS1_11comp_targetILNS1_3genE5ELNS1_11target_archE942ELNS1_3gpuE9ELNS1_3repE0EEENS1_48merge_mergepath_partition_config_static_selectorELNS0_4arch9wavefront6targetE1EEEvSJ_.numbered_sgpr, 0
	.set _ZN7rocprim17ROCPRIM_400000_NS6detail17trampoline_kernelINS0_14default_configENS1_38merge_sort_block_merge_config_selectorIiiEEZZNS1_27merge_sort_block_merge_implIS3_N6thrust23THRUST_200600_302600_NS6detail15normal_iteratorINS8_10device_ptrIiEEEESD_jNS1_19radix_merge_compareILb0ELb0EiNS0_19identity_decomposerEEEEE10hipError_tT0_T1_T2_jT3_P12ihipStream_tbPNSt15iterator_traitsISI_E10value_typeEPNSO_ISJ_E10value_typeEPSK_NS1_7vsmem_tEENKUlT_SI_SJ_SK_E_clISD_PiSD_S10_EESH_SX_SI_SJ_SK_EUlSX_E_NS1_11comp_targetILNS1_3genE5ELNS1_11target_archE942ELNS1_3gpuE9ELNS1_3repE0EEENS1_48merge_mergepath_partition_config_static_selectorELNS0_4arch9wavefront6targetE1EEEvSJ_.num_named_barrier, 0
	.set _ZN7rocprim17ROCPRIM_400000_NS6detail17trampoline_kernelINS0_14default_configENS1_38merge_sort_block_merge_config_selectorIiiEEZZNS1_27merge_sort_block_merge_implIS3_N6thrust23THRUST_200600_302600_NS6detail15normal_iteratorINS8_10device_ptrIiEEEESD_jNS1_19radix_merge_compareILb0ELb0EiNS0_19identity_decomposerEEEEE10hipError_tT0_T1_T2_jT3_P12ihipStream_tbPNSt15iterator_traitsISI_E10value_typeEPNSO_ISJ_E10value_typeEPSK_NS1_7vsmem_tEENKUlT_SI_SJ_SK_E_clISD_PiSD_S10_EESH_SX_SI_SJ_SK_EUlSX_E_NS1_11comp_targetILNS1_3genE5ELNS1_11target_archE942ELNS1_3gpuE9ELNS1_3repE0EEENS1_48merge_mergepath_partition_config_static_selectorELNS0_4arch9wavefront6targetE1EEEvSJ_.private_seg_size, 0
	.set _ZN7rocprim17ROCPRIM_400000_NS6detail17trampoline_kernelINS0_14default_configENS1_38merge_sort_block_merge_config_selectorIiiEEZZNS1_27merge_sort_block_merge_implIS3_N6thrust23THRUST_200600_302600_NS6detail15normal_iteratorINS8_10device_ptrIiEEEESD_jNS1_19radix_merge_compareILb0ELb0EiNS0_19identity_decomposerEEEEE10hipError_tT0_T1_T2_jT3_P12ihipStream_tbPNSt15iterator_traitsISI_E10value_typeEPNSO_ISJ_E10value_typeEPSK_NS1_7vsmem_tEENKUlT_SI_SJ_SK_E_clISD_PiSD_S10_EESH_SX_SI_SJ_SK_EUlSX_E_NS1_11comp_targetILNS1_3genE5ELNS1_11target_archE942ELNS1_3gpuE9ELNS1_3repE0EEENS1_48merge_mergepath_partition_config_static_selectorELNS0_4arch9wavefront6targetE1EEEvSJ_.uses_vcc, 0
	.set _ZN7rocprim17ROCPRIM_400000_NS6detail17trampoline_kernelINS0_14default_configENS1_38merge_sort_block_merge_config_selectorIiiEEZZNS1_27merge_sort_block_merge_implIS3_N6thrust23THRUST_200600_302600_NS6detail15normal_iteratorINS8_10device_ptrIiEEEESD_jNS1_19radix_merge_compareILb0ELb0EiNS0_19identity_decomposerEEEEE10hipError_tT0_T1_T2_jT3_P12ihipStream_tbPNSt15iterator_traitsISI_E10value_typeEPNSO_ISJ_E10value_typeEPSK_NS1_7vsmem_tEENKUlT_SI_SJ_SK_E_clISD_PiSD_S10_EESH_SX_SI_SJ_SK_EUlSX_E_NS1_11comp_targetILNS1_3genE5ELNS1_11target_archE942ELNS1_3gpuE9ELNS1_3repE0EEENS1_48merge_mergepath_partition_config_static_selectorELNS0_4arch9wavefront6targetE1EEEvSJ_.uses_flat_scratch, 0
	.set _ZN7rocprim17ROCPRIM_400000_NS6detail17trampoline_kernelINS0_14default_configENS1_38merge_sort_block_merge_config_selectorIiiEEZZNS1_27merge_sort_block_merge_implIS3_N6thrust23THRUST_200600_302600_NS6detail15normal_iteratorINS8_10device_ptrIiEEEESD_jNS1_19radix_merge_compareILb0ELb0EiNS0_19identity_decomposerEEEEE10hipError_tT0_T1_T2_jT3_P12ihipStream_tbPNSt15iterator_traitsISI_E10value_typeEPNSO_ISJ_E10value_typeEPSK_NS1_7vsmem_tEENKUlT_SI_SJ_SK_E_clISD_PiSD_S10_EESH_SX_SI_SJ_SK_EUlSX_E_NS1_11comp_targetILNS1_3genE5ELNS1_11target_archE942ELNS1_3gpuE9ELNS1_3repE0EEENS1_48merge_mergepath_partition_config_static_selectorELNS0_4arch9wavefront6targetE1EEEvSJ_.has_dyn_sized_stack, 0
	.set _ZN7rocprim17ROCPRIM_400000_NS6detail17trampoline_kernelINS0_14default_configENS1_38merge_sort_block_merge_config_selectorIiiEEZZNS1_27merge_sort_block_merge_implIS3_N6thrust23THRUST_200600_302600_NS6detail15normal_iteratorINS8_10device_ptrIiEEEESD_jNS1_19radix_merge_compareILb0ELb0EiNS0_19identity_decomposerEEEEE10hipError_tT0_T1_T2_jT3_P12ihipStream_tbPNSt15iterator_traitsISI_E10value_typeEPNSO_ISJ_E10value_typeEPSK_NS1_7vsmem_tEENKUlT_SI_SJ_SK_E_clISD_PiSD_S10_EESH_SX_SI_SJ_SK_EUlSX_E_NS1_11comp_targetILNS1_3genE5ELNS1_11target_archE942ELNS1_3gpuE9ELNS1_3repE0EEENS1_48merge_mergepath_partition_config_static_selectorELNS0_4arch9wavefront6targetE1EEEvSJ_.has_recursion, 0
	.set _ZN7rocprim17ROCPRIM_400000_NS6detail17trampoline_kernelINS0_14default_configENS1_38merge_sort_block_merge_config_selectorIiiEEZZNS1_27merge_sort_block_merge_implIS3_N6thrust23THRUST_200600_302600_NS6detail15normal_iteratorINS8_10device_ptrIiEEEESD_jNS1_19radix_merge_compareILb0ELb0EiNS0_19identity_decomposerEEEEE10hipError_tT0_T1_T2_jT3_P12ihipStream_tbPNSt15iterator_traitsISI_E10value_typeEPNSO_ISJ_E10value_typeEPSK_NS1_7vsmem_tEENKUlT_SI_SJ_SK_E_clISD_PiSD_S10_EESH_SX_SI_SJ_SK_EUlSX_E_NS1_11comp_targetILNS1_3genE5ELNS1_11target_archE942ELNS1_3gpuE9ELNS1_3repE0EEENS1_48merge_mergepath_partition_config_static_selectorELNS0_4arch9wavefront6targetE1EEEvSJ_.has_indirect_call, 0
	.section	.AMDGPU.csdata,"",@progbits
; Kernel info:
; codeLenInByte = 0
; TotalNumSgprs: 6
; NumVgprs: 0
; NumAgprs: 0
; TotalNumVgprs: 0
; ScratchSize: 0
; MemoryBound: 0
; FloatMode: 240
; IeeeMode: 1
; LDSByteSize: 0 bytes/workgroup (compile time only)
; SGPRBlocks: 0
; VGPRBlocks: 0
; NumSGPRsForWavesPerEU: 6
; NumVGPRsForWavesPerEU: 1
; AccumOffset: 4
; Occupancy: 8
; WaveLimiterHint : 0
; COMPUTE_PGM_RSRC2:SCRATCH_EN: 0
; COMPUTE_PGM_RSRC2:USER_SGPR: 2
; COMPUTE_PGM_RSRC2:TRAP_HANDLER: 0
; COMPUTE_PGM_RSRC2:TGID_X_EN: 1
; COMPUTE_PGM_RSRC2:TGID_Y_EN: 0
; COMPUTE_PGM_RSRC2:TGID_Z_EN: 0
; COMPUTE_PGM_RSRC2:TIDIG_COMP_CNT: 0
; COMPUTE_PGM_RSRC3_GFX90A:ACCUM_OFFSET: 0
; COMPUTE_PGM_RSRC3_GFX90A:TG_SPLIT: 0
	.section	.text._ZN7rocprim17ROCPRIM_400000_NS6detail17trampoline_kernelINS0_14default_configENS1_38merge_sort_block_merge_config_selectorIiiEEZZNS1_27merge_sort_block_merge_implIS3_N6thrust23THRUST_200600_302600_NS6detail15normal_iteratorINS8_10device_ptrIiEEEESD_jNS1_19radix_merge_compareILb0ELb0EiNS0_19identity_decomposerEEEEE10hipError_tT0_T1_T2_jT3_P12ihipStream_tbPNSt15iterator_traitsISI_E10value_typeEPNSO_ISJ_E10value_typeEPSK_NS1_7vsmem_tEENKUlT_SI_SJ_SK_E_clISD_PiSD_S10_EESH_SX_SI_SJ_SK_EUlSX_E_NS1_11comp_targetILNS1_3genE4ELNS1_11target_archE910ELNS1_3gpuE8ELNS1_3repE0EEENS1_48merge_mergepath_partition_config_static_selectorELNS0_4arch9wavefront6targetE1EEEvSJ_,"axG",@progbits,_ZN7rocprim17ROCPRIM_400000_NS6detail17trampoline_kernelINS0_14default_configENS1_38merge_sort_block_merge_config_selectorIiiEEZZNS1_27merge_sort_block_merge_implIS3_N6thrust23THRUST_200600_302600_NS6detail15normal_iteratorINS8_10device_ptrIiEEEESD_jNS1_19radix_merge_compareILb0ELb0EiNS0_19identity_decomposerEEEEE10hipError_tT0_T1_T2_jT3_P12ihipStream_tbPNSt15iterator_traitsISI_E10value_typeEPNSO_ISJ_E10value_typeEPSK_NS1_7vsmem_tEENKUlT_SI_SJ_SK_E_clISD_PiSD_S10_EESH_SX_SI_SJ_SK_EUlSX_E_NS1_11comp_targetILNS1_3genE4ELNS1_11target_archE910ELNS1_3gpuE8ELNS1_3repE0EEENS1_48merge_mergepath_partition_config_static_selectorELNS0_4arch9wavefront6targetE1EEEvSJ_,comdat
	.protected	_ZN7rocprim17ROCPRIM_400000_NS6detail17trampoline_kernelINS0_14default_configENS1_38merge_sort_block_merge_config_selectorIiiEEZZNS1_27merge_sort_block_merge_implIS3_N6thrust23THRUST_200600_302600_NS6detail15normal_iteratorINS8_10device_ptrIiEEEESD_jNS1_19radix_merge_compareILb0ELb0EiNS0_19identity_decomposerEEEEE10hipError_tT0_T1_T2_jT3_P12ihipStream_tbPNSt15iterator_traitsISI_E10value_typeEPNSO_ISJ_E10value_typeEPSK_NS1_7vsmem_tEENKUlT_SI_SJ_SK_E_clISD_PiSD_S10_EESH_SX_SI_SJ_SK_EUlSX_E_NS1_11comp_targetILNS1_3genE4ELNS1_11target_archE910ELNS1_3gpuE8ELNS1_3repE0EEENS1_48merge_mergepath_partition_config_static_selectorELNS0_4arch9wavefront6targetE1EEEvSJ_ ; -- Begin function _ZN7rocprim17ROCPRIM_400000_NS6detail17trampoline_kernelINS0_14default_configENS1_38merge_sort_block_merge_config_selectorIiiEEZZNS1_27merge_sort_block_merge_implIS3_N6thrust23THRUST_200600_302600_NS6detail15normal_iteratorINS8_10device_ptrIiEEEESD_jNS1_19radix_merge_compareILb0ELb0EiNS0_19identity_decomposerEEEEE10hipError_tT0_T1_T2_jT3_P12ihipStream_tbPNSt15iterator_traitsISI_E10value_typeEPNSO_ISJ_E10value_typeEPSK_NS1_7vsmem_tEENKUlT_SI_SJ_SK_E_clISD_PiSD_S10_EESH_SX_SI_SJ_SK_EUlSX_E_NS1_11comp_targetILNS1_3genE4ELNS1_11target_archE910ELNS1_3gpuE8ELNS1_3repE0EEENS1_48merge_mergepath_partition_config_static_selectorELNS0_4arch9wavefront6targetE1EEEvSJ_
	.globl	_ZN7rocprim17ROCPRIM_400000_NS6detail17trampoline_kernelINS0_14default_configENS1_38merge_sort_block_merge_config_selectorIiiEEZZNS1_27merge_sort_block_merge_implIS3_N6thrust23THRUST_200600_302600_NS6detail15normal_iteratorINS8_10device_ptrIiEEEESD_jNS1_19radix_merge_compareILb0ELb0EiNS0_19identity_decomposerEEEEE10hipError_tT0_T1_T2_jT3_P12ihipStream_tbPNSt15iterator_traitsISI_E10value_typeEPNSO_ISJ_E10value_typeEPSK_NS1_7vsmem_tEENKUlT_SI_SJ_SK_E_clISD_PiSD_S10_EESH_SX_SI_SJ_SK_EUlSX_E_NS1_11comp_targetILNS1_3genE4ELNS1_11target_archE910ELNS1_3gpuE8ELNS1_3repE0EEENS1_48merge_mergepath_partition_config_static_selectorELNS0_4arch9wavefront6targetE1EEEvSJ_
	.p2align	8
	.type	_ZN7rocprim17ROCPRIM_400000_NS6detail17trampoline_kernelINS0_14default_configENS1_38merge_sort_block_merge_config_selectorIiiEEZZNS1_27merge_sort_block_merge_implIS3_N6thrust23THRUST_200600_302600_NS6detail15normal_iteratorINS8_10device_ptrIiEEEESD_jNS1_19radix_merge_compareILb0ELb0EiNS0_19identity_decomposerEEEEE10hipError_tT0_T1_T2_jT3_P12ihipStream_tbPNSt15iterator_traitsISI_E10value_typeEPNSO_ISJ_E10value_typeEPSK_NS1_7vsmem_tEENKUlT_SI_SJ_SK_E_clISD_PiSD_S10_EESH_SX_SI_SJ_SK_EUlSX_E_NS1_11comp_targetILNS1_3genE4ELNS1_11target_archE910ELNS1_3gpuE8ELNS1_3repE0EEENS1_48merge_mergepath_partition_config_static_selectorELNS0_4arch9wavefront6targetE1EEEvSJ_,@function
_ZN7rocprim17ROCPRIM_400000_NS6detail17trampoline_kernelINS0_14default_configENS1_38merge_sort_block_merge_config_selectorIiiEEZZNS1_27merge_sort_block_merge_implIS3_N6thrust23THRUST_200600_302600_NS6detail15normal_iteratorINS8_10device_ptrIiEEEESD_jNS1_19radix_merge_compareILb0ELb0EiNS0_19identity_decomposerEEEEE10hipError_tT0_T1_T2_jT3_P12ihipStream_tbPNSt15iterator_traitsISI_E10value_typeEPNSO_ISJ_E10value_typeEPSK_NS1_7vsmem_tEENKUlT_SI_SJ_SK_E_clISD_PiSD_S10_EESH_SX_SI_SJ_SK_EUlSX_E_NS1_11comp_targetILNS1_3genE4ELNS1_11target_archE910ELNS1_3gpuE8ELNS1_3repE0EEENS1_48merge_mergepath_partition_config_static_selectorELNS0_4arch9wavefront6targetE1EEEvSJ_: ; @_ZN7rocprim17ROCPRIM_400000_NS6detail17trampoline_kernelINS0_14default_configENS1_38merge_sort_block_merge_config_selectorIiiEEZZNS1_27merge_sort_block_merge_implIS3_N6thrust23THRUST_200600_302600_NS6detail15normal_iteratorINS8_10device_ptrIiEEEESD_jNS1_19radix_merge_compareILb0ELb0EiNS0_19identity_decomposerEEEEE10hipError_tT0_T1_T2_jT3_P12ihipStream_tbPNSt15iterator_traitsISI_E10value_typeEPNSO_ISJ_E10value_typeEPSK_NS1_7vsmem_tEENKUlT_SI_SJ_SK_E_clISD_PiSD_S10_EESH_SX_SI_SJ_SK_EUlSX_E_NS1_11comp_targetILNS1_3genE4ELNS1_11target_archE910ELNS1_3gpuE8ELNS1_3repE0EEENS1_48merge_mergepath_partition_config_static_selectorELNS0_4arch9wavefront6targetE1EEEvSJ_
; %bb.0:
	.section	.rodata,"a",@progbits
	.p2align	6, 0x0
	.amdhsa_kernel _ZN7rocprim17ROCPRIM_400000_NS6detail17trampoline_kernelINS0_14default_configENS1_38merge_sort_block_merge_config_selectorIiiEEZZNS1_27merge_sort_block_merge_implIS3_N6thrust23THRUST_200600_302600_NS6detail15normal_iteratorINS8_10device_ptrIiEEEESD_jNS1_19radix_merge_compareILb0ELb0EiNS0_19identity_decomposerEEEEE10hipError_tT0_T1_T2_jT3_P12ihipStream_tbPNSt15iterator_traitsISI_E10value_typeEPNSO_ISJ_E10value_typeEPSK_NS1_7vsmem_tEENKUlT_SI_SJ_SK_E_clISD_PiSD_S10_EESH_SX_SI_SJ_SK_EUlSX_E_NS1_11comp_targetILNS1_3genE4ELNS1_11target_archE910ELNS1_3gpuE8ELNS1_3repE0EEENS1_48merge_mergepath_partition_config_static_selectorELNS0_4arch9wavefront6targetE1EEEvSJ_
		.amdhsa_group_segment_fixed_size 0
		.amdhsa_private_segment_fixed_size 0
		.amdhsa_kernarg_size 40
		.amdhsa_user_sgpr_count 2
		.amdhsa_user_sgpr_dispatch_ptr 0
		.amdhsa_user_sgpr_queue_ptr 0
		.amdhsa_user_sgpr_kernarg_segment_ptr 1
		.amdhsa_user_sgpr_dispatch_id 0
		.amdhsa_user_sgpr_kernarg_preload_length 0
		.amdhsa_user_sgpr_kernarg_preload_offset 0
		.amdhsa_user_sgpr_private_segment_size 0
		.amdhsa_uses_dynamic_stack 0
		.amdhsa_enable_private_segment 0
		.amdhsa_system_sgpr_workgroup_id_x 1
		.amdhsa_system_sgpr_workgroup_id_y 0
		.amdhsa_system_sgpr_workgroup_id_z 0
		.amdhsa_system_sgpr_workgroup_info 0
		.amdhsa_system_vgpr_workitem_id 0
		.amdhsa_next_free_vgpr 1
		.amdhsa_next_free_sgpr 0
		.amdhsa_accum_offset 4
		.amdhsa_reserve_vcc 0
		.amdhsa_float_round_mode_32 0
		.amdhsa_float_round_mode_16_64 0
		.amdhsa_float_denorm_mode_32 3
		.amdhsa_float_denorm_mode_16_64 3
		.amdhsa_dx10_clamp 1
		.amdhsa_ieee_mode 1
		.amdhsa_fp16_overflow 0
		.amdhsa_tg_split 0
		.amdhsa_exception_fp_ieee_invalid_op 0
		.amdhsa_exception_fp_denorm_src 0
		.amdhsa_exception_fp_ieee_div_zero 0
		.amdhsa_exception_fp_ieee_overflow 0
		.amdhsa_exception_fp_ieee_underflow 0
		.amdhsa_exception_fp_ieee_inexact 0
		.amdhsa_exception_int_div_zero 0
	.end_amdhsa_kernel
	.section	.text._ZN7rocprim17ROCPRIM_400000_NS6detail17trampoline_kernelINS0_14default_configENS1_38merge_sort_block_merge_config_selectorIiiEEZZNS1_27merge_sort_block_merge_implIS3_N6thrust23THRUST_200600_302600_NS6detail15normal_iteratorINS8_10device_ptrIiEEEESD_jNS1_19radix_merge_compareILb0ELb0EiNS0_19identity_decomposerEEEEE10hipError_tT0_T1_T2_jT3_P12ihipStream_tbPNSt15iterator_traitsISI_E10value_typeEPNSO_ISJ_E10value_typeEPSK_NS1_7vsmem_tEENKUlT_SI_SJ_SK_E_clISD_PiSD_S10_EESH_SX_SI_SJ_SK_EUlSX_E_NS1_11comp_targetILNS1_3genE4ELNS1_11target_archE910ELNS1_3gpuE8ELNS1_3repE0EEENS1_48merge_mergepath_partition_config_static_selectorELNS0_4arch9wavefront6targetE1EEEvSJ_,"axG",@progbits,_ZN7rocprim17ROCPRIM_400000_NS6detail17trampoline_kernelINS0_14default_configENS1_38merge_sort_block_merge_config_selectorIiiEEZZNS1_27merge_sort_block_merge_implIS3_N6thrust23THRUST_200600_302600_NS6detail15normal_iteratorINS8_10device_ptrIiEEEESD_jNS1_19radix_merge_compareILb0ELb0EiNS0_19identity_decomposerEEEEE10hipError_tT0_T1_T2_jT3_P12ihipStream_tbPNSt15iterator_traitsISI_E10value_typeEPNSO_ISJ_E10value_typeEPSK_NS1_7vsmem_tEENKUlT_SI_SJ_SK_E_clISD_PiSD_S10_EESH_SX_SI_SJ_SK_EUlSX_E_NS1_11comp_targetILNS1_3genE4ELNS1_11target_archE910ELNS1_3gpuE8ELNS1_3repE0EEENS1_48merge_mergepath_partition_config_static_selectorELNS0_4arch9wavefront6targetE1EEEvSJ_,comdat
.Lfunc_end1314:
	.size	_ZN7rocprim17ROCPRIM_400000_NS6detail17trampoline_kernelINS0_14default_configENS1_38merge_sort_block_merge_config_selectorIiiEEZZNS1_27merge_sort_block_merge_implIS3_N6thrust23THRUST_200600_302600_NS6detail15normal_iteratorINS8_10device_ptrIiEEEESD_jNS1_19radix_merge_compareILb0ELb0EiNS0_19identity_decomposerEEEEE10hipError_tT0_T1_T2_jT3_P12ihipStream_tbPNSt15iterator_traitsISI_E10value_typeEPNSO_ISJ_E10value_typeEPSK_NS1_7vsmem_tEENKUlT_SI_SJ_SK_E_clISD_PiSD_S10_EESH_SX_SI_SJ_SK_EUlSX_E_NS1_11comp_targetILNS1_3genE4ELNS1_11target_archE910ELNS1_3gpuE8ELNS1_3repE0EEENS1_48merge_mergepath_partition_config_static_selectorELNS0_4arch9wavefront6targetE1EEEvSJ_, .Lfunc_end1314-_ZN7rocprim17ROCPRIM_400000_NS6detail17trampoline_kernelINS0_14default_configENS1_38merge_sort_block_merge_config_selectorIiiEEZZNS1_27merge_sort_block_merge_implIS3_N6thrust23THRUST_200600_302600_NS6detail15normal_iteratorINS8_10device_ptrIiEEEESD_jNS1_19radix_merge_compareILb0ELb0EiNS0_19identity_decomposerEEEEE10hipError_tT0_T1_T2_jT3_P12ihipStream_tbPNSt15iterator_traitsISI_E10value_typeEPNSO_ISJ_E10value_typeEPSK_NS1_7vsmem_tEENKUlT_SI_SJ_SK_E_clISD_PiSD_S10_EESH_SX_SI_SJ_SK_EUlSX_E_NS1_11comp_targetILNS1_3genE4ELNS1_11target_archE910ELNS1_3gpuE8ELNS1_3repE0EEENS1_48merge_mergepath_partition_config_static_selectorELNS0_4arch9wavefront6targetE1EEEvSJ_
                                        ; -- End function
	.set _ZN7rocprim17ROCPRIM_400000_NS6detail17trampoline_kernelINS0_14default_configENS1_38merge_sort_block_merge_config_selectorIiiEEZZNS1_27merge_sort_block_merge_implIS3_N6thrust23THRUST_200600_302600_NS6detail15normal_iteratorINS8_10device_ptrIiEEEESD_jNS1_19radix_merge_compareILb0ELb0EiNS0_19identity_decomposerEEEEE10hipError_tT0_T1_T2_jT3_P12ihipStream_tbPNSt15iterator_traitsISI_E10value_typeEPNSO_ISJ_E10value_typeEPSK_NS1_7vsmem_tEENKUlT_SI_SJ_SK_E_clISD_PiSD_S10_EESH_SX_SI_SJ_SK_EUlSX_E_NS1_11comp_targetILNS1_3genE4ELNS1_11target_archE910ELNS1_3gpuE8ELNS1_3repE0EEENS1_48merge_mergepath_partition_config_static_selectorELNS0_4arch9wavefront6targetE1EEEvSJ_.num_vgpr, 0
	.set _ZN7rocprim17ROCPRIM_400000_NS6detail17trampoline_kernelINS0_14default_configENS1_38merge_sort_block_merge_config_selectorIiiEEZZNS1_27merge_sort_block_merge_implIS3_N6thrust23THRUST_200600_302600_NS6detail15normal_iteratorINS8_10device_ptrIiEEEESD_jNS1_19radix_merge_compareILb0ELb0EiNS0_19identity_decomposerEEEEE10hipError_tT0_T1_T2_jT3_P12ihipStream_tbPNSt15iterator_traitsISI_E10value_typeEPNSO_ISJ_E10value_typeEPSK_NS1_7vsmem_tEENKUlT_SI_SJ_SK_E_clISD_PiSD_S10_EESH_SX_SI_SJ_SK_EUlSX_E_NS1_11comp_targetILNS1_3genE4ELNS1_11target_archE910ELNS1_3gpuE8ELNS1_3repE0EEENS1_48merge_mergepath_partition_config_static_selectorELNS0_4arch9wavefront6targetE1EEEvSJ_.num_agpr, 0
	.set _ZN7rocprim17ROCPRIM_400000_NS6detail17trampoline_kernelINS0_14default_configENS1_38merge_sort_block_merge_config_selectorIiiEEZZNS1_27merge_sort_block_merge_implIS3_N6thrust23THRUST_200600_302600_NS6detail15normal_iteratorINS8_10device_ptrIiEEEESD_jNS1_19radix_merge_compareILb0ELb0EiNS0_19identity_decomposerEEEEE10hipError_tT0_T1_T2_jT3_P12ihipStream_tbPNSt15iterator_traitsISI_E10value_typeEPNSO_ISJ_E10value_typeEPSK_NS1_7vsmem_tEENKUlT_SI_SJ_SK_E_clISD_PiSD_S10_EESH_SX_SI_SJ_SK_EUlSX_E_NS1_11comp_targetILNS1_3genE4ELNS1_11target_archE910ELNS1_3gpuE8ELNS1_3repE0EEENS1_48merge_mergepath_partition_config_static_selectorELNS0_4arch9wavefront6targetE1EEEvSJ_.numbered_sgpr, 0
	.set _ZN7rocprim17ROCPRIM_400000_NS6detail17trampoline_kernelINS0_14default_configENS1_38merge_sort_block_merge_config_selectorIiiEEZZNS1_27merge_sort_block_merge_implIS3_N6thrust23THRUST_200600_302600_NS6detail15normal_iteratorINS8_10device_ptrIiEEEESD_jNS1_19radix_merge_compareILb0ELb0EiNS0_19identity_decomposerEEEEE10hipError_tT0_T1_T2_jT3_P12ihipStream_tbPNSt15iterator_traitsISI_E10value_typeEPNSO_ISJ_E10value_typeEPSK_NS1_7vsmem_tEENKUlT_SI_SJ_SK_E_clISD_PiSD_S10_EESH_SX_SI_SJ_SK_EUlSX_E_NS1_11comp_targetILNS1_3genE4ELNS1_11target_archE910ELNS1_3gpuE8ELNS1_3repE0EEENS1_48merge_mergepath_partition_config_static_selectorELNS0_4arch9wavefront6targetE1EEEvSJ_.num_named_barrier, 0
	.set _ZN7rocprim17ROCPRIM_400000_NS6detail17trampoline_kernelINS0_14default_configENS1_38merge_sort_block_merge_config_selectorIiiEEZZNS1_27merge_sort_block_merge_implIS3_N6thrust23THRUST_200600_302600_NS6detail15normal_iteratorINS8_10device_ptrIiEEEESD_jNS1_19radix_merge_compareILb0ELb0EiNS0_19identity_decomposerEEEEE10hipError_tT0_T1_T2_jT3_P12ihipStream_tbPNSt15iterator_traitsISI_E10value_typeEPNSO_ISJ_E10value_typeEPSK_NS1_7vsmem_tEENKUlT_SI_SJ_SK_E_clISD_PiSD_S10_EESH_SX_SI_SJ_SK_EUlSX_E_NS1_11comp_targetILNS1_3genE4ELNS1_11target_archE910ELNS1_3gpuE8ELNS1_3repE0EEENS1_48merge_mergepath_partition_config_static_selectorELNS0_4arch9wavefront6targetE1EEEvSJ_.private_seg_size, 0
	.set _ZN7rocprim17ROCPRIM_400000_NS6detail17trampoline_kernelINS0_14default_configENS1_38merge_sort_block_merge_config_selectorIiiEEZZNS1_27merge_sort_block_merge_implIS3_N6thrust23THRUST_200600_302600_NS6detail15normal_iteratorINS8_10device_ptrIiEEEESD_jNS1_19radix_merge_compareILb0ELb0EiNS0_19identity_decomposerEEEEE10hipError_tT0_T1_T2_jT3_P12ihipStream_tbPNSt15iterator_traitsISI_E10value_typeEPNSO_ISJ_E10value_typeEPSK_NS1_7vsmem_tEENKUlT_SI_SJ_SK_E_clISD_PiSD_S10_EESH_SX_SI_SJ_SK_EUlSX_E_NS1_11comp_targetILNS1_3genE4ELNS1_11target_archE910ELNS1_3gpuE8ELNS1_3repE0EEENS1_48merge_mergepath_partition_config_static_selectorELNS0_4arch9wavefront6targetE1EEEvSJ_.uses_vcc, 0
	.set _ZN7rocprim17ROCPRIM_400000_NS6detail17trampoline_kernelINS0_14default_configENS1_38merge_sort_block_merge_config_selectorIiiEEZZNS1_27merge_sort_block_merge_implIS3_N6thrust23THRUST_200600_302600_NS6detail15normal_iteratorINS8_10device_ptrIiEEEESD_jNS1_19radix_merge_compareILb0ELb0EiNS0_19identity_decomposerEEEEE10hipError_tT0_T1_T2_jT3_P12ihipStream_tbPNSt15iterator_traitsISI_E10value_typeEPNSO_ISJ_E10value_typeEPSK_NS1_7vsmem_tEENKUlT_SI_SJ_SK_E_clISD_PiSD_S10_EESH_SX_SI_SJ_SK_EUlSX_E_NS1_11comp_targetILNS1_3genE4ELNS1_11target_archE910ELNS1_3gpuE8ELNS1_3repE0EEENS1_48merge_mergepath_partition_config_static_selectorELNS0_4arch9wavefront6targetE1EEEvSJ_.uses_flat_scratch, 0
	.set _ZN7rocprim17ROCPRIM_400000_NS6detail17trampoline_kernelINS0_14default_configENS1_38merge_sort_block_merge_config_selectorIiiEEZZNS1_27merge_sort_block_merge_implIS3_N6thrust23THRUST_200600_302600_NS6detail15normal_iteratorINS8_10device_ptrIiEEEESD_jNS1_19radix_merge_compareILb0ELb0EiNS0_19identity_decomposerEEEEE10hipError_tT0_T1_T2_jT3_P12ihipStream_tbPNSt15iterator_traitsISI_E10value_typeEPNSO_ISJ_E10value_typeEPSK_NS1_7vsmem_tEENKUlT_SI_SJ_SK_E_clISD_PiSD_S10_EESH_SX_SI_SJ_SK_EUlSX_E_NS1_11comp_targetILNS1_3genE4ELNS1_11target_archE910ELNS1_3gpuE8ELNS1_3repE0EEENS1_48merge_mergepath_partition_config_static_selectorELNS0_4arch9wavefront6targetE1EEEvSJ_.has_dyn_sized_stack, 0
	.set _ZN7rocprim17ROCPRIM_400000_NS6detail17trampoline_kernelINS0_14default_configENS1_38merge_sort_block_merge_config_selectorIiiEEZZNS1_27merge_sort_block_merge_implIS3_N6thrust23THRUST_200600_302600_NS6detail15normal_iteratorINS8_10device_ptrIiEEEESD_jNS1_19radix_merge_compareILb0ELb0EiNS0_19identity_decomposerEEEEE10hipError_tT0_T1_T2_jT3_P12ihipStream_tbPNSt15iterator_traitsISI_E10value_typeEPNSO_ISJ_E10value_typeEPSK_NS1_7vsmem_tEENKUlT_SI_SJ_SK_E_clISD_PiSD_S10_EESH_SX_SI_SJ_SK_EUlSX_E_NS1_11comp_targetILNS1_3genE4ELNS1_11target_archE910ELNS1_3gpuE8ELNS1_3repE0EEENS1_48merge_mergepath_partition_config_static_selectorELNS0_4arch9wavefront6targetE1EEEvSJ_.has_recursion, 0
	.set _ZN7rocprim17ROCPRIM_400000_NS6detail17trampoline_kernelINS0_14default_configENS1_38merge_sort_block_merge_config_selectorIiiEEZZNS1_27merge_sort_block_merge_implIS3_N6thrust23THRUST_200600_302600_NS6detail15normal_iteratorINS8_10device_ptrIiEEEESD_jNS1_19radix_merge_compareILb0ELb0EiNS0_19identity_decomposerEEEEE10hipError_tT0_T1_T2_jT3_P12ihipStream_tbPNSt15iterator_traitsISI_E10value_typeEPNSO_ISJ_E10value_typeEPSK_NS1_7vsmem_tEENKUlT_SI_SJ_SK_E_clISD_PiSD_S10_EESH_SX_SI_SJ_SK_EUlSX_E_NS1_11comp_targetILNS1_3genE4ELNS1_11target_archE910ELNS1_3gpuE8ELNS1_3repE0EEENS1_48merge_mergepath_partition_config_static_selectorELNS0_4arch9wavefront6targetE1EEEvSJ_.has_indirect_call, 0
	.section	.AMDGPU.csdata,"",@progbits
; Kernel info:
; codeLenInByte = 0
; TotalNumSgprs: 6
; NumVgprs: 0
; NumAgprs: 0
; TotalNumVgprs: 0
; ScratchSize: 0
; MemoryBound: 0
; FloatMode: 240
; IeeeMode: 1
; LDSByteSize: 0 bytes/workgroup (compile time only)
; SGPRBlocks: 0
; VGPRBlocks: 0
; NumSGPRsForWavesPerEU: 6
; NumVGPRsForWavesPerEU: 1
; AccumOffset: 4
; Occupancy: 8
; WaveLimiterHint : 0
; COMPUTE_PGM_RSRC2:SCRATCH_EN: 0
; COMPUTE_PGM_RSRC2:USER_SGPR: 2
; COMPUTE_PGM_RSRC2:TRAP_HANDLER: 0
; COMPUTE_PGM_RSRC2:TGID_X_EN: 1
; COMPUTE_PGM_RSRC2:TGID_Y_EN: 0
; COMPUTE_PGM_RSRC2:TGID_Z_EN: 0
; COMPUTE_PGM_RSRC2:TIDIG_COMP_CNT: 0
; COMPUTE_PGM_RSRC3_GFX90A:ACCUM_OFFSET: 0
; COMPUTE_PGM_RSRC3_GFX90A:TG_SPLIT: 0
	.section	.text._ZN7rocprim17ROCPRIM_400000_NS6detail17trampoline_kernelINS0_14default_configENS1_38merge_sort_block_merge_config_selectorIiiEEZZNS1_27merge_sort_block_merge_implIS3_N6thrust23THRUST_200600_302600_NS6detail15normal_iteratorINS8_10device_ptrIiEEEESD_jNS1_19radix_merge_compareILb0ELb0EiNS0_19identity_decomposerEEEEE10hipError_tT0_T1_T2_jT3_P12ihipStream_tbPNSt15iterator_traitsISI_E10value_typeEPNSO_ISJ_E10value_typeEPSK_NS1_7vsmem_tEENKUlT_SI_SJ_SK_E_clISD_PiSD_S10_EESH_SX_SI_SJ_SK_EUlSX_E_NS1_11comp_targetILNS1_3genE3ELNS1_11target_archE908ELNS1_3gpuE7ELNS1_3repE0EEENS1_48merge_mergepath_partition_config_static_selectorELNS0_4arch9wavefront6targetE1EEEvSJ_,"axG",@progbits,_ZN7rocprim17ROCPRIM_400000_NS6detail17trampoline_kernelINS0_14default_configENS1_38merge_sort_block_merge_config_selectorIiiEEZZNS1_27merge_sort_block_merge_implIS3_N6thrust23THRUST_200600_302600_NS6detail15normal_iteratorINS8_10device_ptrIiEEEESD_jNS1_19radix_merge_compareILb0ELb0EiNS0_19identity_decomposerEEEEE10hipError_tT0_T1_T2_jT3_P12ihipStream_tbPNSt15iterator_traitsISI_E10value_typeEPNSO_ISJ_E10value_typeEPSK_NS1_7vsmem_tEENKUlT_SI_SJ_SK_E_clISD_PiSD_S10_EESH_SX_SI_SJ_SK_EUlSX_E_NS1_11comp_targetILNS1_3genE3ELNS1_11target_archE908ELNS1_3gpuE7ELNS1_3repE0EEENS1_48merge_mergepath_partition_config_static_selectorELNS0_4arch9wavefront6targetE1EEEvSJ_,comdat
	.protected	_ZN7rocprim17ROCPRIM_400000_NS6detail17trampoline_kernelINS0_14default_configENS1_38merge_sort_block_merge_config_selectorIiiEEZZNS1_27merge_sort_block_merge_implIS3_N6thrust23THRUST_200600_302600_NS6detail15normal_iteratorINS8_10device_ptrIiEEEESD_jNS1_19radix_merge_compareILb0ELb0EiNS0_19identity_decomposerEEEEE10hipError_tT0_T1_T2_jT3_P12ihipStream_tbPNSt15iterator_traitsISI_E10value_typeEPNSO_ISJ_E10value_typeEPSK_NS1_7vsmem_tEENKUlT_SI_SJ_SK_E_clISD_PiSD_S10_EESH_SX_SI_SJ_SK_EUlSX_E_NS1_11comp_targetILNS1_3genE3ELNS1_11target_archE908ELNS1_3gpuE7ELNS1_3repE0EEENS1_48merge_mergepath_partition_config_static_selectorELNS0_4arch9wavefront6targetE1EEEvSJ_ ; -- Begin function _ZN7rocprim17ROCPRIM_400000_NS6detail17trampoline_kernelINS0_14default_configENS1_38merge_sort_block_merge_config_selectorIiiEEZZNS1_27merge_sort_block_merge_implIS3_N6thrust23THRUST_200600_302600_NS6detail15normal_iteratorINS8_10device_ptrIiEEEESD_jNS1_19radix_merge_compareILb0ELb0EiNS0_19identity_decomposerEEEEE10hipError_tT0_T1_T2_jT3_P12ihipStream_tbPNSt15iterator_traitsISI_E10value_typeEPNSO_ISJ_E10value_typeEPSK_NS1_7vsmem_tEENKUlT_SI_SJ_SK_E_clISD_PiSD_S10_EESH_SX_SI_SJ_SK_EUlSX_E_NS1_11comp_targetILNS1_3genE3ELNS1_11target_archE908ELNS1_3gpuE7ELNS1_3repE0EEENS1_48merge_mergepath_partition_config_static_selectorELNS0_4arch9wavefront6targetE1EEEvSJ_
	.globl	_ZN7rocprim17ROCPRIM_400000_NS6detail17trampoline_kernelINS0_14default_configENS1_38merge_sort_block_merge_config_selectorIiiEEZZNS1_27merge_sort_block_merge_implIS3_N6thrust23THRUST_200600_302600_NS6detail15normal_iteratorINS8_10device_ptrIiEEEESD_jNS1_19radix_merge_compareILb0ELb0EiNS0_19identity_decomposerEEEEE10hipError_tT0_T1_T2_jT3_P12ihipStream_tbPNSt15iterator_traitsISI_E10value_typeEPNSO_ISJ_E10value_typeEPSK_NS1_7vsmem_tEENKUlT_SI_SJ_SK_E_clISD_PiSD_S10_EESH_SX_SI_SJ_SK_EUlSX_E_NS1_11comp_targetILNS1_3genE3ELNS1_11target_archE908ELNS1_3gpuE7ELNS1_3repE0EEENS1_48merge_mergepath_partition_config_static_selectorELNS0_4arch9wavefront6targetE1EEEvSJ_
	.p2align	8
	.type	_ZN7rocprim17ROCPRIM_400000_NS6detail17trampoline_kernelINS0_14default_configENS1_38merge_sort_block_merge_config_selectorIiiEEZZNS1_27merge_sort_block_merge_implIS3_N6thrust23THRUST_200600_302600_NS6detail15normal_iteratorINS8_10device_ptrIiEEEESD_jNS1_19radix_merge_compareILb0ELb0EiNS0_19identity_decomposerEEEEE10hipError_tT0_T1_T2_jT3_P12ihipStream_tbPNSt15iterator_traitsISI_E10value_typeEPNSO_ISJ_E10value_typeEPSK_NS1_7vsmem_tEENKUlT_SI_SJ_SK_E_clISD_PiSD_S10_EESH_SX_SI_SJ_SK_EUlSX_E_NS1_11comp_targetILNS1_3genE3ELNS1_11target_archE908ELNS1_3gpuE7ELNS1_3repE0EEENS1_48merge_mergepath_partition_config_static_selectorELNS0_4arch9wavefront6targetE1EEEvSJ_,@function
_ZN7rocprim17ROCPRIM_400000_NS6detail17trampoline_kernelINS0_14default_configENS1_38merge_sort_block_merge_config_selectorIiiEEZZNS1_27merge_sort_block_merge_implIS3_N6thrust23THRUST_200600_302600_NS6detail15normal_iteratorINS8_10device_ptrIiEEEESD_jNS1_19radix_merge_compareILb0ELb0EiNS0_19identity_decomposerEEEEE10hipError_tT0_T1_T2_jT3_P12ihipStream_tbPNSt15iterator_traitsISI_E10value_typeEPNSO_ISJ_E10value_typeEPSK_NS1_7vsmem_tEENKUlT_SI_SJ_SK_E_clISD_PiSD_S10_EESH_SX_SI_SJ_SK_EUlSX_E_NS1_11comp_targetILNS1_3genE3ELNS1_11target_archE908ELNS1_3gpuE7ELNS1_3repE0EEENS1_48merge_mergepath_partition_config_static_selectorELNS0_4arch9wavefront6targetE1EEEvSJ_: ; @_ZN7rocprim17ROCPRIM_400000_NS6detail17trampoline_kernelINS0_14default_configENS1_38merge_sort_block_merge_config_selectorIiiEEZZNS1_27merge_sort_block_merge_implIS3_N6thrust23THRUST_200600_302600_NS6detail15normal_iteratorINS8_10device_ptrIiEEEESD_jNS1_19radix_merge_compareILb0ELb0EiNS0_19identity_decomposerEEEEE10hipError_tT0_T1_T2_jT3_P12ihipStream_tbPNSt15iterator_traitsISI_E10value_typeEPNSO_ISJ_E10value_typeEPSK_NS1_7vsmem_tEENKUlT_SI_SJ_SK_E_clISD_PiSD_S10_EESH_SX_SI_SJ_SK_EUlSX_E_NS1_11comp_targetILNS1_3genE3ELNS1_11target_archE908ELNS1_3gpuE7ELNS1_3repE0EEENS1_48merge_mergepath_partition_config_static_selectorELNS0_4arch9wavefront6targetE1EEEvSJ_
; %bb.0:
	.section	.rodata,"a",@progbits
	.p2align	6, 0x0
	.amdhsa_kernel _ZN7rocprim17ROCPRIM_400000_NS6detail17trampoline_kernelINS0_14default_configENS1_38merge_sort_block_merge_config_selectorIiiEEZZNS1_27merge_sort_block_merge_implIS3_N6thrust23THRUST_200600_302600_NS6detail15normal_iteratorINS8_10device_ptrIiEEEESD_jNS1_19radix_merge_compareILb0ELb0EiNS0_19identity_decomposerEEEEE10hipError_tT0_T1_T2_jT3_P12ihipStream_tbPNSt15iterator_traitsISI_E10value_typeEPNSO_ISJ_E10value_typeEPSK_NS1_7vsmem_tEENKUlT_SI_SJ_SK_E_clISD_PiSD_S10_EESH_SX_SI_SJ_SK_EUlSX_E_NS1_11comp_targetILNS1_3genE3ELNS1_11target_archE908ELNS1_3gpuE7ELNS1_3repE0EEENS1_48merge_mergepath_partition_config_static_selectorELNS0_4arch9wavefront6targetE1EEEvSJ_
		.amdhsa_group_segment_fixed_size 0
		.amdhsa_private_segment_fixed_size 0
		.amdhsa_kernarg_size 40
		.amdhsa_user_sgpr_count 2
		.amdhsa_user_sgpr_dispatch_ptr 0
		.amdhsa_user_sgpr_queue_ptr 0
		.amdhsa_user_sgpr_kernarg_segment_ptr 1
		.amdhsa_user_sgpr_dispatch_id 0
		.amdhsa_user_sgpr_kernarg_preload_length 0
		.amdhsa_user_sgpr_kernarg_preload_offset 0
		.amdhsa_user_sgpr_private_segment_size 0
		.amdhsa_uses_dynamic_stack 0
		.amdhsa_enable_private_segment 0
		.amdhsa_system_sgpr_workgroup_id_x 1
		.amdhsa_system_sgpr_workgroup_id_y 0
		.amdhsa_system_sgpr_workgroup_id_z 0
		.amdhsa_system_sgpr_workgroup_info 0
		.amdhsa_system_vgpr_workitem_id 0
		.amdhsa_next_free_vgpr 1
		.amdhsa_next_free_sgpr 0
		.amdhsa_accum_offset 4
		.amdhsa_reserve_vcc 0
		.amdhsa_float_round_mode_32 0
		.amdhsa_float_round_mode_16_64 0
		.amdhsa_float_denorm_mode_32 3
		.amdhsa_float_denorm_mode_16_64 3
		.amdhsa_dx10_clamp 1
		.amdhsa_ieee_mode 1
		.amdhsa_fp16_overflow 0
		.amdhsa_tg_split 0
		.amdhsa_exception_fp_ieee_invalid_op 0
		.amdhsa_exception_fp_denorm_src 0
		.amdhsa_exception_fp_ieee_div_zero 0
		.amdhsa_exception_fp_ieee_overflow 0
		.amdhsa_exception_fp_ieee_underflow 0
		.amdhsa_exception_fp_ieee_inexact 0
		.amdhsa_exception_int_div_zero 0
	.end_amdhsa_kernel
	.section	.text._ZN7rocprim17ROCPRIM_400000_NS6detail17trampoline_kernelINS0_14default_configENS1_38merge_sort_block_merge_config_selectorIiiEEZZNS1_27merge_sort_block_merge_implIS3_N6thrust23THRUST_200600_302600_NS6detail15normal_iteratorINS8_10device_ptrIiEEEESD_jNS1_19radix_merge_compareILb0ELb0EiNS0_19identity_decomposerEEEEE10hipError_tT0_T1_T2_jT3_P12ihipStream_tbPNSt15iterator_traitsISI_E10value_typeEPNSO_ISJ_E10value_typeEPSK_NS1_7vsmem_tEENKUlT_SI_SJ_SK_E_clISD_PiSD_S10_EESH_SX_SI_SJ_SK_EUlSX_E_NS1_11comp_targetILNS1_3genE3ELNS1_11target_archE908ELNS1_3gpuE7ELNS1_3repE0EEENS1_48merge_mergepath_partition_config_static_selectorELNS0_4arch9wavefront6targetE1EEEvSJ_,"axG",@progbits,_ZN7rocprim17ROCPRIM_400000_NS6detail17trampoline_kernelINS0_14default_configENS1_38merge_sort_block_merge_config_selectorIiiEEZZNS1_27merge_sort_block_merge_implIS3_N6thrust23THRUST_200600_302600_NS6detail15normal_iteratorINS8_10device_ptrIiEEEESD_jNS1_19radix_merge_compareILb0ELb0EiNS0_19identity_decomposerEEEEE10hipError_tT0_T1_T2_jT3_P12ihipStream_tbPNSt15iterator_traitsISI_E10value_typeEPNSO_ISJ_E10value_typeEPSK_NS1_7vsmem_tEENKUlT_SI_SJ_SK_E_clISD_PiSD_S10_EESH_SX_SI_SJ_SK_EUlSX_E_NS1_11comp_targetILNS1_3genE3ELNS1_11target_archE908ELNS1_3gpuE7ELNS1_3repE0EEENS1_48merge_mergepath_partition_config_static_selectorELNS0_4arch9wavefront6targetE1EEEvSJ_,comdat
.Lfunc_end1315:
	.size	_ZN7rocprim17ROCPRIM_400000_NS6detail17trampoline_kernelINS0_14default_configENS1_38merge_sort_block_merge_config_selectorIiiEEZZNS1_27merge_sort_block_merge_implIS3_N6thrust23THRUST_200600_302600_NS6detail15normal_iteratorINS8_10device_ptrIiEEEESD_jNS1_19radix_merge_compareILb0ELb0EiNS0_19identity_decomposerEEEEE10hipError_tT0_T1_T2_jT3_P12ihipStream_tbPNSt15iterator_traitsISI_E10value_typeEPNSO_ISJ_E10value_typeEPSK_NS1_7vsmem_tEENKUlT_SI_SJ_SK_E_clISD_PiSD_S10_EESH_SX_SI_SJ_SK_EUlSX_E_NS1_11comp_targetILNS1_3genE3ELNS1_11target_archE908ELNS1_3gpuE7ELNS1_3repE0EEENS1_48merge_mergepath_partition_config_static_selectorELNS0_4arch9wavefront6targetE1EEEvSJ_, .Lfunc_end1315-_ZN7rocprim17ROCPRIM_400000_NS6detail17trampoline_kernelINS0_14default_configENS1_38merge_sort_block_merge_config_selectorIiiEEZZNS1_27merge_sort_block_merge_implIS3_N6thrust23THRUST_200600_302600_NS6detail15normal_iteratorINS8_10device_ptrIiEEEESD_jNS1_19radix_merge_compareILb0ELb0EiNS0_19identity_decomposerEEEEE10hipError_tT0_T1_T2_jT3_P12ihipStream_tbPNSt15iterator_traitsISI_E10value_typeEPNSO_ISJ_E10value_typeEPSK_NS1_7vsmem_tEENKUlT_SI_SJ_SK_E_clISD_PiSD_S10_EESH_SX_SI_SJ_SK_EUlSX_E_NS1_11comp_targetILNS1_3genE3ELNS1_11target_archE908ELNS1_3gpuE7ELNS1_3repE0EEENS1_48merge_mergepath_partition_config_static_selectorELNS0_4arch9wavefront6targetE1EEEvSJ_
                                        ; -- End function
	.set _ZN7rocprim17ROCPRIM_400000_NS6detail17trampoline_kernelINS0_14default_configENS1_38merge_sort_block_merge_config_selectorIiiEEZZNS1_27merge_sort_block_merge_implIS3_N6thrust23THRUST_200600_302600_NS6detail15normal_iteratorINS8_10device_ptrIiEEEESD_jNS1_19radix_merge_compareILb0ELb0EiNS0_19identity_decomposerEEEEE10hipError_tT0_T1_T2_jT3_P12ihipStream_tbPNSt15iterator_traitsISI_E10value_typeEPNSO_ISJ_E10value_typeEPSK_NS1_7vsmem_tEENKUlT_SI_SJ_SK_E_clISD_PiSD_S10_EESH_SX_SI_SJ_SK_EUlSX_E_NS1_11comp_targetILNS1_3genE3ELNS1_11target_archE908ELNS1_3gpuE7ELNS1_3repE0EEENS1_48merge_mergepath_partition_config_static_selectorELNS0_4arch9wavefront6targetE1EEEvSJ_.num_vgpr, 0
	.set _ZN7rocprim17ROCPRIM_400000_NS6detail17trampoline_kernelINS0_14default_configENS1_38merge_sort_block_merge_config_selectorIiiEEZZNS1_27merge_sort_block_merge_implIS3_N6thrust23THRUST_200600_302600_NS6detail15normal_iteratorINS8_10device_ptrIiEEEESD_jNS1_19radix_merge_compareILb0ELb0EiNS0_19identity_decomposerEEEEE10hipError_tT0_T1_T2_jT3_P12ihipStream_tbPNSt15iterator_traitsISI_E10value_typeEPNSO_ISJ_E10value_typeEPSK_NS1_7vsmem_tEENKUlT_SI_SJ_SK_E_clISD_PiSD_S10_EESH_SX_SI_SJ_SK_EUlSX_E_NS1_11comp_targetILNS1_3genE3ELNS1_11target_archE908ELNS1_3gpuE7ELNS1_3repE0EEENS1_48merge_mergepath_partition_config_static_selectorELNS0_4arch9wavefront6targetE1EEEvSJ_.num_agpr, 0
	.set _ZN7rocprim17ROCPRIM_400000_NS6detail17trampoline_kernelINS0_14default_configENS1_38merge_sort_block_merge_config_selectorIiiEEZZNS1_27merge_sort_block_merge_implIS3_N6thrust23THRUST_200600_302600_NS6detail15normal_iteratorINS8_10device_ptrIiEEEESD_jNS1_19radix_merge_compareILb0ELb0EiNS0_19identity_decomposerEEEEE10hipError_tT0_T1_T2_jT3_P12ihipStream_tbPNSt15iterator_traitsISI_E10value_typeEPNSO_ISJ_E10value_typeEPSK_NS1_7vsmem_tEENKUlT_SI_SJ_SK_E_clISD_PiSD_S10_EESH_SX_SI_SJ_SK_EUlSX_E_NS1_11comp_targetILNS1_3genE3ELNS1_11target_archE908ELNS1_3gpuE7ELNS1_3repE0EEENS1_48merge_mergepath_partition_config_static_selectorELNS0_4arch9wavefront6targetE1EEEvSJ_.numbered_sgpr, 0
	.set _ZN7rocprim17ROCPRIM_400000_NS6detail17trampoline_kernelINS0_14default_configENS1_38merge_sort_block_merge_config_selectorIiiEEZZNS1_27merge_sort_block_merge_implIS3_N6thrust23THRUST_200600_302600_NS6detail15normal_iteratorINS8_10device_ptrIiEEEESD_jNS1_19radix_merge_compareILb0ELb0EiNS0_19identity_decomposerEEEEE10hipError_tT0_T1_T2_jT3_P12ihipStream_tbPNSt15iterator_traitsISI_E10value_typeEPNSO_ISJ_E10value_typeEPSK_NS1_7vsmem_tEENKUlT_SI_SJ_SK_E_clISD_PiSD_S10_EESH_SX_SI_SJ_SK_EUlSX_E_NS1_11comp_targetILNS1_3genE3ELNS1_11target_archE908ELNS1_3gpuE7ELNS1_3repE0EEENS1_48merge_mergepath_partition_config_static_selectorELNS0_4arch9wavefront6targetE1EEEvSJ_.num_named_barrier, 0
	.set _ZN7rocprim17ROCPRIM_400000_NS6detail17trampoline_kernelINS0_14default_configENS1_38merge_sort_block_merge_config_selectorIiiEEZZNS1_27merge_sort_block_merge_implIS3_N6thrust23THRUST_200600_302600_NS6detail15normal_iteratorINS8_10device_ptrIiEEEESD_jNS1_19radix_merge_compareILb0ELb0EiNS0_19identity_decomposerEEEEE10hipError_tT0_T1_T2_jT3_P12ihipStream_tbPNSt15iterator_traitsISI_E10value_typeEPNSO_ISJ_E10value_typeEPSK_NS1_7vsmem_tEENKUlT_SI_SJ_SK_E_clISD_PiSD_S10_EESH_SX_SI_SJ_SK_EUlSX_E_NS1_11comp_targetILNS1_3genE3ELNS1_11target_archE908ELNS1_3gpuE7ELNS1_3repE0EEENS1_48merge_mergepath_partition_config_static_selectorELNS0_4arch9wavefront6targetE1EEEvSJ_.private_seg_size, 0
	.set _ZN7rocprim17ROCPRIM_400000_NS6detail17trampoline_kernelINS0_14default_configENS1_38merge_sort_block_merge_config_selectorIiiEEZZNS1_27merge_sort_block_merge_implIS3_N6thrust23THRUST_200600_302600_NS6detail15normal_iteratorINS8_10device_ptrIiEEEESD_jNS1_19radix_merge_compareILb0ELb0EiNS0_19identity_decomposerEEEEE10hipError_tT0_T1_T2_jT3_P12ihipStream_tbPNSt15iterator_traitsISI_E10value_typeEPNSO_ISJ_E10value_typeEPSK_NS1_7vsmem_tEENKUlT_SI_SJ_SK_E_clISD_PiSD_S10_EESH_SX_SI_SJ_SK_EUlSX_E_NS1_11comp_targetILNS1_3genE3ELNS1_11target_archE908ELNS1_3gpuE7ELNS1_3repE0EEENS1_48merge_mergepath_partition_config_static_selectorELNS0_4arch9wavefront6targetE1EEEvSJ_.uses_vcc, 0
	.set _ZN7rocprim17ROCPRIM_400000_NS6detail17trampoline_kernelINS0_14default_configENS1_38merge_sort_block_merge_config_selectorIiiEEZZNS1_27merge_sort_block_merge_implIS3_N6thrust23THRUST_200600_302600_NS6detail15normal_iteratorINS8_10device_ptrIiEEEESD_jNS1_19radix_merge_compareILb0ELb0EiNS0_19identity_decomposerEEEEE10hipError_tT0_T1_T2_jT3_P12ihipStream_tbPNSt15iterator_traitsISI_E10value_typeEPNSO_ISJ_E10value_typeEPSK_NS1_7vsmem_tEENKUlT_SI_SJ_SK_E_clISD_PiSD_S10_EESH_SX_SI_SJ_SK_EUlSX_E_NS1_11comp_targetILNS1_3genE3ELNS1_11target_archE908ELNS1_3gpuE7ELNS1_3repE0EEENS1_48merge_mergepath_partition_config_static_selectorELNS0_4arch9wavefront6targetE1EEEvSJ_.uses_flat_scratch, 0
	.set _ZN7rocprim17ROCPRIM_400000_NS6detail17trampoline_kernelINS0_14default_configENS1_38merge_sort_block_merge_config_selectorIiiEEZZNS1_27merge_sort_block_merge_implIS3_N6thrust23THRUST_200600_302600_NS6detail15normal_iteratorINS8_10device_ptrIiEEEESD_jNS1_19radix_merge_compareILb0ELb0EiNS0_19identity_decomposerEEEEE10hipError_tT0_T1_T2_jT3_P12ihipStream_tbPNSt15iterator_traitsISI_E10value_typeEPNSO_ISJ_E10value_typeEPSK_NS1_7vsmem_tEENKUlT_SI_SJ_SK_E_clISD_PiSD_S10_EESH_SX_SI_SJ_SK_EUlSX_E_NS1_11comp_targetILNS1_3genE3ELNS1_11target_archE908ELNS1_3gpuE7ELNS1_3repE0EEENS1_48merge_mergepath_partition_config_static_selectorELNS0_4arch9wavefront6targetE1EEEvSJ_.has_dyn_sized_stack, 0
	.set _ZN7rocprim17ROCPRIM_400000_NS6detail17trampoline_kernelINS0_14default_configENS1_38merge_sort_block_merge_config_selectorIiiEEZZNS1_27merge_sort_block_merge_implIS3_N6thrust23THRUST_200600_302600_NS6detail15normal_iteratorINS8_10device_ptrIiEEEESD_jNS1_19radix_merge_compareILb0ELb0EiNS0_19identity_decomposerEEEEE10hipError_tT0_T1_T2_jT3_P12ihipStream_tbPNSt15iterator_traitsISI_E10value_typeEPNSO_ISJ_E10value_typeEPSK_NS1_7vsmem_tEENKUlT_SI_SJ_SK_E_clISD_PiSD_S10_EESH_SX_SI_SJ_SK_EUlSX_E_NS1_11comp_targetILNS1_3genE3ELNS1_11target_archE908ELNS1_3gpuE7ELNS1_3repE0EEENS1_48merge_mergepath_partition_config_static_selectorELNS0_4arch9wavefront6targetE1EEEvSJ_.has_recursion, 0
	.set _ZN7rocprim17ROCPRIM_400000_NS6detail17trampoline_kernelINS0_14default_configENS1_38merge_sort_block_merge_config_selectorIiiEEZZNS1_27merge_sort_block_merge_implIS3_N6thrust23THRUST_200600_302600_NS6detail15normal_iteratorINS8_10device_ptrIiEEEESD_jNS1_19radix_merge_compareILb0ELb0EiNS0_19identity_decomposerEEEEE10hipError_tT0_T1_T2_jT3_P12ihipStream_tbPNSt15iterator_traitsISI_E10value_typeEPNSO_ISJ_E10value_typeEPSK_NS1_7vsmem_tEENKUlT_SI_SJ_SK_E_clISD_PiSD_S10_EESH_SX_SI_SJ_SK_EUlSX_E_NS1_11comp_targetILNS1_3genE3ELNS1_11target_archE908ELNS1_3gpuE7ELNS1_3repE0EEENS1_48merge_mergepath_partition_config_static_selectorELNS0_4arch9wavefront6targetE1EEEvSJ_.has_indirect_call, 0
	.section	.AMDGPU.csdata,"",@progbits
; Kernel info:
; codeLenInByte = 0
; TotalNumSgprs: 6
; NumVgprs: 0
; NumAgprs: 0
; TotalNumVgprs: 0
; ScratchSize: 0
; MemoryBound: 0
; FloatMode: 240
; IeeeMode: 1
; LDSByteSize: 0 bytes/workgroup (compile time only)
; SGPRBlocks: 0
; VGPRBlocks: 0
; NumSGPRsForWavesPerEU: 6
; NumVGPRsForWavesPerEU: 1
; AccumOffset: 4
; Occupancy: 8
; WaveLimiterHint : 0
; COMPUTE_PGM_RSRC2:SCRATCH_EN: 0
; COMPUTE_PGM_RSRC2:USER_SGPR: 2
; COMPUTE_PGM_RSRC2:TRAP_HANDLER: 0
; COMPUTE_PGM_RSRC2:TGID_X_EN: 1
; COMPUTE_PGM_RSRC2:TGID_Y_EN: 0
; COMPUTE_PGM_RSRC2:TGID_Z_EN: 0
; COMPUTE_PGM_RSRC2:TIDIG_COMP_CNT: 0
; COMPUTE_PGM_RSRC3_GFX90A:ACCUM_OFFSET: 0
; COMPUTE_PGM_RSRC3_GFX90A:TG_SPLIT: 0
	.section	.text._ZN7rocprim17ROCPRIM_400000_NS6detail17trampoline_kernelINS0_14default_configENS1_38merge_sort_block_merge_config_selectorIiiEEZZNS1_27merge_sort_block_merge_implIS3_N6thrust23THRUST_200600_302600_NS6detail15normal_iteratorINS8_10device_ptrIiEEEESD_jNS1_19radix_merge_compareILb0ELb0EiNS0_19identity_decomposerEEEEE10hipError_tT0_T1_T2_jT3_P12ihipStream_tbPNSt15iterator_traitsISI_E10value_typeEPNSO_ISJ_E10value_typeEPSK_NS1_7vsmem_tEENKUlT_SI_SJ_SK_E_clISD_PiSD_S10_EESH_SX_SI_SJ_SK_EUlSX_E_NS1_11comp_targetILNS1_3genE2ELNS1_11target_archE906ELNS1_3gpuE6ELNS1_3repE0EEENS1_48merge_mergepath_partition_config_static_selectorELNS0_4arch9wavefront6targetE1EEEvSJ_,"axG",@progbits,_ZN7rocprim17ROCPRIM_400000_NS6detail17trampoline_kernelINS0_14default_configENS1_38merge_sort_block_merge_config_selectorIiiEEZZNS1_27merge_sort_block_merge_implIS3_N6thrust23THRUST_200600_302600_NS6detail15normal_iteratorINS8_10device_ptrIiEEEESD_jNS1_19radix_merge_compareILb0ELb0EiNS0_19identity_decomposerEEEEE10hipError_tT0_T1_T2_jT3_P12ihipStream_tbPNSt15iterator_traitsISI_E10value_typeEPNSO_ISJ_E10value_typeEPSK_NS1_7vsmem_tEENKUlT_SI_SJ_SK_E_clISD_PiSD_S10_EESH_SX_SI_SJ_SK_EUlSX_E_NS1_11comp_targetILNS1_3genE2ELNS1_11target_archE906ELNS1_3gpuE6ELNS1_3repE0EEENS1_48merge_mergepath_partition_config_static_selectorELNS0_4arch9wavefront6targetE1EEEvSJ_,comdat
	.protected	_ZN7rocprim17ROCPRIM_400000_NS6detail17trampoline_kernelINS0_14default_configENS1_38merge_sort_block_merge_config_selectorIiiEEZZNS1_27merge_sort_block_merge_implIS3_N6thrust23THRUST_200600_302600_NS6detail15normal_iteratorINS8_10device_ptrIiEEEESD_jNS1_19radix_merge_compareILb0ELb0EiNS0_19identity_decomposerEEEEE10hipError_tT0_T1_T2_jT3_P12ihipStream_tbPNSt15iterator_traitsISI_E10value_typeEPNSO_ISJ_E10value_typeEPSK_NS1_7vsmem_tEENKUlT_SI_SJ_SK_E_clISD_PiSD_S10_EESH_SX_SI_SJ_SK_EUlSX_E_NS1_11comp_targetILNS1_3genE2ELNS1_11target_archE906ELNS1_3gpuE6ELNS1_3repE0EEENS1_48merge_mergepath_partition_config_static_selectorELNS0_4arch9wavefront6targetE1EEEvSJ_ ; -- Begin function _ZN7rocprim17ROCPRIM_400000_NS6detail17trampoline_kernelINS0_14default_configENS1_38merge_sort_block_merge_config_selectorIiiEEZZNS1_27merge_sort_block_merge_implIS3_N6thrust23THRUST_200600_302600_NS6detail15normal_iteratorINS8_10device_ptrIiEEEESD_jNS1_19radix_merge_compareILb0ELb0EiNS0_19identity_decomposerEEEEE10hipError_tT0_T1_T2_jT3_P12ihipStream_tbPNSt15iterator_traitsISI_E10value_typeEPNSO_ISJ_E10value_typeEPSK_NS1_7vsmem_tEENKUlT_SI_SJ_SK_E_clISD_PiSD_S10_EESH_SX_SI_SJ_SK_EUlSX_E_NS1_11comp_targetILNS1_3genE2ELNS1_11target_archE906ELNS1_3gpuE6ELNS1_3repE0EEENS1_48merge_mergepath_partition_config_static_selectorELNS0_4arch9wavefront6targetE1EEEvSJ_
	.globl	_ZN7rocprim17ROCPRIM_400000_NS6detail17trampoline_kernelINS0_14default_configENS1_38merge_sort_block_merge_config_selectorIiiEEZZNS1_27merge_sort_block_merge_implIS3_N6thrust23THRUST_200600_302600_NS6detail15normal_iteratorINS8_10device_ptrIiEEEESD_jNS1_19radix_merge_compareILb0ELb0EiNS0_19identity_decomposerEEEEE10hipError_tT0_T1_T2_jT3_P12ihipStream_tbPNSt15iterator_traitsISI_E10value_typeEPNSO_ISJ_E10value_typeEPSK_NS1_7vsmem_tEENKUlT_SI_SJ_SK_E_clISD_PiSD_S10_EESH_SX_SI_SJ_SK_EUlSX_E_NS1_11comp_targetILNS1_3genE2ELNS1_11target_archE906ELNS1_3gpuE6ELNS1_3repE0EEENS1_48merge_mergepath_partition_config_static_selectorELNS0_4arch9wavefront6targetE1EEEvSJ_
	.p2align	8
	.type	_ZN7rocprim17ROCPRIM_400000_NS6detail17trampoline_kernelINS0_14default_configENS1_38merge_sort_block_merge_config_selectorIiiEEZZNS1_27merge_sort_block_merge_implIS3_N6thrust23THRUST_200600_302600_NS6detail15normal_iteratorINS8_10device_ptrIiEEEESD_jNS1_19radix_merge_compareILb0ELb0EiNS0_19identity_decomposerEEEEE10hipError_tT0_T1_T2_jT3_P12ihipStream_tbPNSt15iterator_traitsISI_E10value_typeEPNSO_ISJ_E10value_typeEPSK_NS1_7vsmem_tEENKUlT_SI_SJ_SK_E_clISD_PiSD_S10_EESH_SX_SI_SJ_SK_EUlSX_E_NS1_11comp_targetILNS1_3genE2ELNS1_11target_archE906ELNS1_3gpuE6ELNS1_3repE0EEENS1_48merge_mergepath_partition_config_static_selectorELNS0_4arch9wavefront6targetE1EEEvSJ_,@function
_ZN7rocprim17ROCPRIM_400000_NS6detail17trampoline_kernelINS0_14default_configENS1_38merge_sort_block_merge_config_selectorIiiEEZZNS1_27merge_sort_block_merge_implIS3_N6thrust23THRUST_200600_302600_NS6detail15normal_iteratorINS8_10device_ptrIiEEEESD_jNS1_19radix_merge_compareILb0ELb0EiNS0_19identity_decomposerEEEEE10hipError_tT0_T1_T2_jT3_P12ihipStream_tbPNSt15iterator_traitsISI_E10value_typeEPNSO_ISJ_E10value_typeEPSK_NS1_7vsmem_tEENKUlT_SI_SJ_SK_E_clISD_PiSD_S10_EESH_SX_SI_SJ_SK_EUlSX_E_NS1_11comp_targetILNS1_3genE2ELNS1_11target_archE906ELNS1_3gpuE6ELNS1_3repE0EEENS1_48merge_mergepath_partition_config_static_selectorELNS0_4arch9wavefront6targetE1EEEvSJ_: ; @_ZN7rocprim17ROCPRIM_400000_NS6detail17trampoline_kernelINS0_14default_configENS1_38merge_sort_block_merge_config_selectorIiiEEZZNS1_27merge_sort_block_merge_implIS3_N6thrust23THRUST_200600_302600_NS6detail15normal_iteratorINS8_10device_ptrIiEEEESD_jNS1_19radix_merge_compareILb0ELb0EiNS0_19identity_decomposerEEEEE10hipError_tT0_T1_T2_jT3_P12ihipStream_tbPNSt15iterator_traitsISI_E10value_typeEPNSO_ISJ_E10value_typeEPSK_NS1_7vsmem_tEENKUlT_SI_SJ_SK_E_clISD_PiSD_S10_EESH_SX_SI_SJ_SK_EUlSX_E_NS1_11comp_targetILNS1_3genE2ELNS1_11target_archE906ELNS1_3gpuE6ELNS1_3repE0EEENS1_48merge_mergepath_partition_config_static_selectorELNS0_4arch9wavefront6targetE1EEEvSJ_
; %bb.0:
	.section	.rodata,"a",@progbits
	.p2align	6, 0x0
	.amdhsa_kernel _ZN7rocprim17ROCPRIM_400000_NS6detail17trampoline_kernelINS0_14default_configENS1_38merge_sort_block_merge_config_selectorIiiEEZZNS1_27merge_sort_block_merge_implIS3_N6thrust23THRUST_200600_302600_NS6detail15normal_iteratorINS8_10device_ptrIiEEEESD_jNS1_19radix_merge_compareILb0ELb0EiNS0_19identity_decomposerEEEEE10hipError_tT0_T1_T2_jT3_P12ihipStream_tbPNSt15iterator_traitsISI_E10value_typeEPNSO_ISJ_E10value_typeEPSK_NS1_7vsmem_tEENKUlT_SI_SJ_SK_E_clISD_PiSD_S10_EESH_SX_SI_SJ_SK_EUlSX_E_NS1_11comp_targetILNS1_3genE2ELNS1_11target_archE906ELNS1_3gpuE6ELNS1_3repE0EEENS1_48merge_mergepath_partition_config_static_selectorELNS0_4arch9wavefront6targetE1EEEvSJ_
		.amdhsa_group_segment_fixed_size 0
		.amdhsa_private_segment_fixed_size 0
		.amdhsa_kernarg_size 40
		.amdhsa_user_sgpr_count 2
		.amdhsa_user_sgpr_dispatch_ptr 0
		.amdhsa_user_sgpr_queue_ptr 0
		.amdhsa_user_sgpr_kernarg_segment_ptr 1
		.amdhsa_user_sgpr_dispatch_id 0
		.amdhsa_user_sgpr_kernarg_preload_length 0
		.amdhsa_user_sgpr_kernarg_preload_offset 0
		.amdhsa_user_sgpr_private_segment_size 0
		.amdhsa_uses_dynamic_stack 0
		.amdhsa_enable_private_segment 0
		.amdhsa_system_sgpr_workgroup_id_x 1
		.amdhsa_system_sgpr_workgroup_id_y 0
		.amdhsa_system_sgpr_workgroup_id_z 0
		.amdhsa_system_sgpr_workgroup_info 0
		.amdhsa_system_vgpr_workitem_id 0
		.amdhsa_next_free_vgpr 1
		.amdhsa_next_free_sgpr 0
		.amdhsa_accum_offset 4
		.amdhsa_reserve_vcc 0
		.amdhsa_float_round_mode_32 0
		.amdhsa_float_round_mode_16_64 0
		.amdhsa_float_denorm_mode_32 3
		.amdhsa_float_denorm_mode_16_64 3
		.amdhsa_dx10_clamp 1
		.amdhsa_ieee_mode 1
		.amdhsa_fp16_overflow 0
		.amdhsa_tg_split 0
		.amdhsa_exception_fp_ieee_invalid_op 0
		.amdhsa_exception_fp_denorm_src 0
		.amdhsa_exception_fp_ieee_div_zero 0
		.amdhsa_exception_fp_ieee_overflow 0
		.amdhsa_exception_fp_ieee_underflow 0
		.amdhsa_exception_fp_ieee_inexact 0
		.amdhsa_exception_int_div_zero 0
	.end_amdhsa_kernel
	.section	.text._ZN7rocprim17ROCPRIM_400000_NS6detail17trampoline_kernelINS0_14default_configENS1_38merge_sort_block_merge_config_selectorIiiEEZZNS1_27merge_sort_block_merge_implIS3_N6thrust23THRUST_200600_302600_NS6detail15normal_iteratorINS8_10device_ptrIiEEEESD_jNS1_19radix_merge_compareILb0ELb0EiNS0_19identity_decomposerEEEEE10hipError_tT0_T1_T2_jT3_P12ihipStream_tbPNSt15iterator_traitsISI_E10value_typeEPNSO_ISJ_E10value_typeEPSK_NS1_7vsmem_tEENKUlT_SI_SJ_SK_E_clISD_PiSD_S10_EESH_SX_SI_SJ_SK_EUlSX_E_NS1_11comp_targetILNS1_3genE2ELNS1_11target_archE906ELNS1_3gpuE6ELNS1_3repE0EEENS1_48merge_mergepath_partition_config_static_selectorELNS0_4arch9wavefront6targetE1EEEvSJ_,"axG",@progbits,_ZN7rocprim17ROCPRIM_400000_NS6detail17trampoline_kernelINS0_14default_configENS1_38merge_sort_block_merge_config_selectorIiiEEZZNS1_27merge_sort_block_merge_implIS3_N6thrust23THRUST_200600_302600_NS6detail15normal_iteratorINS8_10device_ptrIiEEEESD_jNS1_19radix_merge_compareILb0ELb0EiNS0_19identity_decomposerEEEEE10hipError_tT0_T1_T2_jT3_P12ihipStream_tbPNSt15iterator_traitsISI_E10value_typeEPNSO_ISJ_E10value_typeEPSK_NS1_7vsmem_tEENKUlT_SI_SJ_SK_E_clISD_PiSD_S10_EESH_SX_SI_SJ_SK_EUlSX_E_NS1_11comp_targetILNS1_3genE2ELNS1_11target_archE906ELNS1_3gpuE6ELNS1_3repE0EEENS1_48merge_mergepath_partition_config_static_selectorELNS0_4arch9wavefront6targetE1EEEvSJ_,comdat
.Lfunc_end1316:
	.size	_ZN7rocprim17ROCPRIM_400000_NS6detail17trampoline_kernelINS0_14default_configENS1_38merge_sort_block_merge_config_selectorIiiEEZZNS1_27merge_sort_block_merge_implIS3_N6thrust23THRUST_200600_302600_NS6detail15normal_iteratorINS8_10device_ptrIiEEEESD_jNS1_19radix_merge_compareILb0ELb0EiNS0_19identity_decomposerEEEEE10hipError_tT0_T1_T2_jT3_P12ihipStream_tbPNSt15iterator_traitsISI_E10value_typeEPNSO_ISJ_E10value_typeEPSK_NS1_7vsmem_tEENKUlT_SI_SJ_SK_E_clISD_PiSD_S10_EESH_SX_SI_SJ_SK_EUlSX_E_NS1_11comp_targetILNS1_3genE2ELNS1_11target_archE906ELNS1_3gpuE6ELNS1_3repE0EEENS1_48merge_mergepath_partition_config_static_selectorELNS0_4arch9wavefront6targetE1EEEvSJ_, .Lfunc_end1316-_ZN7rocprim17ROCPRIM_400000_NS6detail17trampoline_kernelINS0_14default_configENS1_38merge_sort_block_merge_config_selectorIiiEEZZNS1_27merge_sort_block_merge_implIS3_N6thrust23THRUST_200600_302600_NS6detail15normal_iteratorINS8_10device_ptrIiEEEESD_jNS1_19radix_merge_compareILb0ELb0EiNS0_19identity_decomposerEEEEE10hipError_tT0_T1_T2_jT3_P12ihipStream_tbPNSt15iterator_traitsISI_E10value_typeEPNSO_ISJ_E10value_typeEPSK_NS1_7vsmem_tEENKUlT_SI_SJ_SK_E_clISD_PiSD_S10_EESH_SX_SI_SJ_SK_EUlSX_E_NS1_11comp_targetILNS1_3genE2ELNS1_11target_archE906ELNS1_3gpuE6ELNS1_3repE0EEENS1_48merge_mergepath_partition_config_static_selectorELNS0_4arch9wavefront6targetE1EEEvSJ_
                                        ; -- End function
	.set _ZN7rocprim17ROCPRIM_400000_NS6detail17trampoline_kernelINS0_14default_configENS1_38merge_sort_block_merge_config_selectorIiiEEZZNS1_27merge_sort_block_merge_implIS3_N6thrust23THRUST_200600_302600_NS6detail15normal_iteratorINS8_10device_ptrIiEEEESD_jNS1_19radix_merge_compareILb0ELb0EiNS0_19identity_decomposerEEEEE10hipError_tT0_T1_T2_jT3_P12ihipStream_tbPNSt15iterator_traitsISI_E10value_typeEPNSO_ISJ_E10value_typeEPSK_NS1_7vsmem_tEENKUlT_SI_SJ_SK_E_clISD_PiSD_S10_EESH_SX_SI_SJ_SK_EUlSX_E_NS1_11comp_targetILNS1_3genE2ELNS1_11target_archE906ELNS1_3gpuE6ELNS1_3repE0EEENS1_48merge_mergepath_partition_config_static_selectorELNS0_4arch9wavefront6targetE1EEEvSJ_.num_vgpr, 0
	.set _ZN7rocprim17ROCPRIM_400000_NS6detail17trampoline_kernelINS0_14default_configENS1_38merge_sort_block_merge_config_selectorIiiEEZZNS1_27merge_sort_block_merge_implIS3_N6thrust23THRUST_200600_302600_NS6detail15normal_iteratorINS8_10device_ptrIiEEEESD_jNS1_19radix_merge_compareILb0ELb0EiNS0_19identity_decomposerEEEEE10hipError_tT0_T1_T2_jT3_P12ihipStream_tbPNSt15iterator_traitsISI_E10value_typeEPNSO_ISJ_E10value_typeEPSK_NS1_7vsmem_tEENKUlT_SI_SJ_SK_E_clISD_PiSD_S10_EESH_SX_SI_SJ_SK_EUlSX_E_NS1_11comp_targetILNS1_3genE2ELNS1_11target_archE906ELNS1_3gpuE6ELNS1_3repE0EEENS1_48merge_mergepath_partition_config_static_selectorELNS0_4arch9wavefront6targetE1EEEvSJ_.num_agpr, 0
	.set _ZN7rocprim17ROCPRIM_400000_NS6detail17trampoline_kernelINS0_14default_configENS1_38merge_sort_block_merge_config_selectorIiiEEZZNS1_27merge_sort_block_merge_implIS3_N6thrust23THRUST_200600_302600_NS6detail15normal_iteratorINS8_10device_ptrIiEEEESD_jNS1_19radix_merge_compareILb0ELb0EiNS0_19identity_decomposerEEEEE10hipError_tT0_T1_T2_jT3_P12ihipStream_tbPNSt15iterator_traitsISI_E10value_typeEPNSO_ISJ_E10value_typeEPSK_NS1_7vsmem_tEENKUlT_SI_SJ_SK_E_clISD_PiSD_S10_EESH_SX_SI_SJ_SK_EUlSX_E_NS1_11comp_targetILNS1_3genE2ELNS1_11target_archE906ELNS1_3gpuE6ELNS1_3repE0EEENS1_48merge_mergepath_partition_config_static_selectorELNS0_4arch9wavefront6targetE1EEEvSJ_.numbered_sgpr, 0
	.set _ZN7rocprim17ROCPRIM_400000_NS6detail17trampoline_kernelINS0_14default_configENS1_38merge_sort_block_merge_config_selectorIiiEEZZNS1_27merge_sort_block_merge_implIS3_N6thrust23THRUST_200600_302600_NS6detail15normal_iteratorINS8_10device_ptrIiEEEESD_jNS1_19radix_merge_compareILb0ELb0EiNS0_19identity_decomposerEEEEE10hipError_tT0_T1_T2_jT3_P12ihipStream_tbPNSt15iterator_traitsISI_E10value_typeEPNSO_ISJ_E10value_typeEPSK_NS1_7vsmem_tEENKUlT_SI_SJ_SK_E_clISD_PiSD_S10_EESH_SX_SI_SJ_SK_EUlSX_E_NS1_11comp_targetILNS1_3genE2ELNS1_11target_archE906ELNS1_3gpuE6ELNS1_3repE0EEENS1_48merge_mergepath_partition_config_static_selectorELNS0_4arch9wavefront6targetE1EEEvSJ_.num_named_barrier, 0
	.set _ZN7rocprim17ROCPRIM_400000_NS6detail17trampoline_kernelINS0_14default_configENS1_38merge_sort_block_merge_config_selectorIiiEEZZNS1_27merge_sort_block_merge_implIS3_N6thrust23THRUST_200600_302600_NS6detail15normal_iteratorINS8_10device_ptrIiEEEESD_jNS1_19radix_merge_compareILb0ELb0EiNS0_19identity_decomposerEEEEE10hipError_tT0_T1_T2_jT3_P12ihipStream_tbPNSt15iterator_traitsISI_E10value_typeEPNSO_ISJ_E10value_typeEPSK_NS1_7vsmem_tEENKUlT_SI_SJ_SK_E_clISD_PiSD_S10_EESH_SX_SI_SJ_SK_EUlSX_E_NS1_11comp_targetILNS1_3genE2ELNS1_11target_archE906ELNS1_3gpuE6ELNS1_3repE0EEENS1_48merge_mergepath_partition_config_static_selectorELNS0_4arch9wavefront6targetE1EEEvSJ_.private_seg_size, 0
	.set _ZN7rocprim17ROCPRIM_400000_NS6detail17trampoline_kernelINS0_14default_configENS1_38merge_sort_block_merge_config_selectorIiiEEZZNS1_27merge_sort_block_merge_implIS3_N6thrust23THRUST_200600_302600_NS6detail15normal_iteratorINS8_10device_ptrIiEEEESD_jNS1_19radix_merge_compareILb0ELb0EiNS0_19identity_decomposerEEEEE10hipError_tT0_T1_T2_jT3_P12ihipStream_tbPNSt15iterator_traitsISI_E10value_typeEPNSO_ISJ_E10value_typeEPSK_NS1_7vsmem_tEENKUlT_SI_SJ_SK_E_clISD_PiSD_S10_EESH_SX_SI_SJ_SK_EUlSX_E_NS1_11comp_targetILNS1_3genE2ELNS1_11target_archE906ELNS1_3gpuE6ELNS1_3repE0EEENS1_48merge_mergepath_partition_config_static_selectorELNS0_4arch9wavefront6targetE1EEEvSJ_.uses_vcc, 0
	.set _ZN7rocprim17ROCPRIM_400000_NS6detail17trampoline_kernelINS0_14default_configENS1_38merge_sort_block_merge_config_selectorIiiEEZZNS1_27merge_sort_block_merge_implIS3_N6thrust23THRUST_200600_302600_NS6detail15normal_iteratorINS8_10device_ptrIiEEEESD_jNS1_19radix_merge_compareILb0ELb0EiNS0_19identity_decomposerEEEEE10hipError_tT0_T1_T2_jT3_P12ihipStream_tbPNSt15iterator_traitsISI_E10value_typeEPNSO_ISJ_E10value_typeEPSK_NS1_7vsmem_tEENKUlT_SI_SJ_SK_E_clISD_PiSD_S10_EESH_SX_SI_SJ_SK_EUlSX_E_NS1_11comp_targetILNS1_3genE2ELNS1_11target_archE906ELNS1_3gpuE6ELNS1_3repE0EEENS1_48merge_mergepath_partition_config_static_selectorELNS0_4arch9wavefront6targetE1EEEvSJ_.uses_flat_scratch, 0
	.set _ZN7rocprim17ROCPRIM_400000_NS6detail17trampoline_kernelINS0_14default_configENS1_38merge_sort_block_merge_config_selectorIiiEEZZNS1_27merge_sort_block_merge_implIS3_N6thrust23THRUST_200600_302600_NS6detail15normal_iteratorINS8_10device_ptrIiEEEESD_jNS1_19radix_merge_compareILb0ELb0EiNS0_19identity_decomposerEEEEE10hipError_tT0_T1_T2_jT3_P12ihipStream_tbPNSt15iterator_traitsISI_E10value_typeEPNSO_ISJ_E10value_typeEPSK_NS1_7vsmem_tEENKUlT_SI_SJ_SK_E_clISD_PiSD_S10_EESH_SX_SI_SJ_SK_EUlSX_E_NS1_11comp_targetILNS1_3genE2ELNS1_11target_archE906ELNS1_3gpuE6ELNS1_3repE0EEENS1_48merge_mergepath_partition_config_static_selectorELNS0_4arch9wavefront6targetE1EEEvSJ_.has_dyn_sized_stack, 0
	.set _ZN7rocprim17ROCPRIM_400000_NS6detail17trampoline_kernelINS0_14default_configENS1_38merge_sort_block_merge_config_selectorIiiEEZZNS1_27merge_sort_block_merge_implIS3_N6thrust23THRUST_200600_302600_NS6detail15normal_iteratorINS8_10device_ptrIiEEEESD_jNS1_19radix_merge_compareILb0ELb0EiNS0_19identity_decomposerEEEEE10hipError_tT0_T1_T2_jT3_P12ihipStream_tbPNSt15iterator_traitsISI_E10value_typeEPNSO_ISJ_E10value_typeEPSK_NS1_7vsmem_tEENKUlT_SI_SJ_SK_E_clISD_PiSD_S10_EESH_SX_SI_SJ_SK_EUlSX_E_NS1_11comp_targetILNS1_3genE2ELNS1_11target_archE906ELNS1_3gpuE6ELNS1_3repE0EEENS1_48merge_mergepath_partition_config_static_selectorELNS0_4arch9wavefront6targetE1EEEvSJ_.has_recursion, 0
	.set _ZN7rocprim17ROCPRIM_400000_NS6detail17trampoline_kernelINS0_14default_configENS1_38merge_sort_block_merge_config_selectorIiiEEZZNS1_27merge_sort_block_merge_implIS3_N6thrust23THRUST_200600_302600_NS6detail15normal_iteratorINS8_10device_ptrIiEEEESD_jNS1_19radix_merge_compareILb0ELb0EiNS0_19identity_decomposerEEEEE10hipError_tT0_T1_T2_jT3_P12ihipStream_tbPNSt15iterator_traitsISI_E10value_typeEPNSO_ISJ_E10value_typeEPSK_NS1_7vsmem_tEENKUlT_SI_SJ_SK_E_clISD_PiSD_S10_EESH_SX_SI_SJ_SK_EUlSX_E_NS1_11comp_targetILNS1_3genE2ELNS1_11target_archE906ELNS1_3gpuE6ELNS1_3repE0EEENS1_48merge_mergepath_partition_config_static_selectorELNS0_4arch9wavefront6targetE1EEEvSJ_.has_indirect_call, 0
	.section	.AMDGPU.csdata,"",@progbits
; Kernel info:
; codeLenInByte = 0
; TotalNumSgprs: 6
; NumVgprs: 0
; NumAgprs: 0
; TotalNumVgprs: 0
; ScratchSize: 0
; MemoryBound: 0
; FloatMode: 240
; IeeeMode: 1
; LDSByteSize: 0 bytes/workgroup (compile time only)
; SGPRBlocks: 0
; VGPRBlocks: 0
; NumSGPRsForWavesPerEU: 6
; NumVGPRsForWavesPerEU: 1
; AccumOffset: 4
; Occupancy: 8
; WaveLimiterHint : 0
; COMPUTE_PGM_RSRC2:SCRATCH_EN: 0
; COMPUTE_PGM_RSRC2:USER_SGPR: 2
; COMPUTE_PGM_RSRC2:TRAP_HANDLER: 0
; COMPUTE_PGM_RSRC2:TGID_X_EN: 1
; COMPUTE_PGM_RSRC2:TGID_Y_EN: 0
; COMPUTE_PGM_RSRC2:TGID_Z_EN: 0
; COMPUTE_PGM_RSRC2:TIDIG_COMP_CNT: 0
; COMPUTE_PGM_RSRC3_GFX90A:ACCUM_OFFSET: 0
; COMPUTE_PGM_RSRC3_GFX90A:TG_SPLIT: 0
	.section	.text._ZN7rocprim17ROCPRIM_400000_NS6detail17trampoline_kernelINS0_14default_configENS1_38merge_sort_block_merge_config_selectorIiiEEZZNS1_27merge_sort_block_merge_implIS3_N6thrust23THRUST_200600_302600_NS6detail15normal_iteratorINS8_10device_ptrIiEEEESD_jNS1_19radix_merge_compareILb0ELb0EiNS0_19identity_decomposerEEEEE10hipError_tT0_T1_T2_jT3_P12ihipStream_tbPNSt15iterator_traitsISI_E10value_typeEPNSO_ISJ_E10value_typeEPSK_NS1_7vsmem_tEENKUlT_SI_SJ_SK_E_clISD_PiSD_S10_EESH_SX_SI_SJ_SK_EUlSX_E_NS1_11comp_targetILNS1_3genE9ELNS1_11target_archE1100ELNS1_3gpuE3ELNS1_3repE0EEENS1_48merge_mergepath_partition_config_static_selectorELNS0_4arch9wavefront6targetE1EEEvSJ_,"axG",@progbits,_ZN7rocprim17ROCPRIM_400000_NS6detail17trampoline_kernelINS0_14default_configENS1_38merge_sort_block_merge_config_selectorIiiEEZZNS1_27merge_sort_block_merge_implIS3_N6thrust23THRUST_200600_302600_NS6detail15normal_iteratorINS8_10device_ptrIiEEEESD_jNS1_19radix_merge_compareILb0ELb0EiNS0_19identity_decomposerEEEEE10hipError_tT0_T1_T2_jT3_P12ihipStream_tbPNSt15iterator_traitsISI_E10value_typeEPNSO_ISJ_E10value_typeEPSK_NS1_7vsmem_tEENKUlT_SI_SJ_SK_E_clISD_PiSD_S10_EESH_SX_SI_SJ_SK_EUlSX_E_NS1_11comp_targetILNS1_3genE9ELNS1_11target_archE1100ELNS1_3gpuE3ELNS1_3repE0EEENS1_48merge_mergepath_partition_config_static_selectorELNS0_4arch9wavefront6targetE1EEEvSJ_,comdat
	.protected	_ZN7rocprim17ROCPRIM_400000_NS6detail17trampoline_kernelINS0_14default_configENS1_38merge_sort_block_merge_config_selectorIiiEEZZNS1_27merge_sort_block_merge_implIS3_N6thrust23THRUST_200600_302600_NS6detail15normal_iteratorINS8_10device_ptrIiEEEESD_jNS1_19radix_merge_compareILb0ELb0EiNS0_19identity_decomposerEEEEE10hipError_tT0_T1_T2_jT3_P12ihipStream_tbPNSt15iterator_traitsISI_E10value_typeEPNSO_ISJ_E10value_typeEPSK_NS1_7vsmem_tEENKUlT_SI_SJ_SK_E_clISD_PiSD_S10_EESH_SX_SI_SJ_SK_EUlSX_E_NS1_11comp_targetILNS1_3genE9ELNS1_11target_archE1100ELNS1_3gpuE3ELNS1_3repE0EEENS1_48merge_mergepath_partition_config_static_selectorELNS0_4arch9wavefront6targetE1EEEvSJ_ ; -- Begin function _ZN7rocprim17ROCPRIM_400000_NS6detail17trampoline_kernelINS0_14default_configENS1_38merge_sort_block_merge_config_selectorIiiEEZZNS1_27merge_sort_block_merge_implIS3_N6thrust23THRUST_200600_302600_NS6detail15normal_iteratorINS8_10device_ptrIiEEEESD_jNS1_19radix_merge_compareILb0ELb0EiNS0_19identity_decomposerEEEEE10hipError_tT0_T1_T2_jT3_P12ihipStream_tbPNSt15iterator_traitsISI_E10value_typeEPNSO_ISJ_E10value_typeEPSK_NS1_7vsmem_tEENKUlT_SI_SJ_SK_E_clISD_PiSD_S10_EESH_SX_SI_SJ_SK_EUlSX_E_NS1_11comp_targetILNS1_3genE9ELNS1_11target_archE1100ELNS1_3gpuE3ELNS1_3repE0EEENS1_48merge_mergepath_partition_config_static_selectorELNS0_4arch9wavefront6targetE1EEEvSJ_
	.globl	_ZN7rocprim17ROCPRIM_400000_NS6detail17trampoline_kernelINS0_14default_configENS1_38merge_sort_block_merge_config_selectorIiiEEZZNS1_27merge_sort_block_merge_implIS3_N6thrust23THRUST_200600_302600_NS6detail15normal_iteratorINS8_10device_ptrIiEEEESD_jNS1_19radix_merge_compareILb0ELb0EiNS0_19identity_decomposerEEEEE10hipError_tT0_T1_T2_jT3_P12ihipStream_tbPNSt15iterator_traitsISI_E10value_typeEPNSO_ISJ_E10value_typeEPSK_NS1_7vsmem_tEENKUlT_SI_SJ_SK_E_clISD_PiSD_S10_EESH_SX_SI_SJ_SK_EUlSX_E_NS1_11comp_targetILNS1_3genE9ELNS1_11target_archE1100ELNS1_3gpuE3ELNS1_3repE0EEENS1_48merge_mergepath_partition_config_static_selectorELNS0_4arch9wavefront6targetE1EEEvSJ_
	.p2align	8
	.type	_ZN7rocprim17ROCPRIM_400000_NS6detail17trampoline_kernelINS0_14default_configENS1_38merge_sort_block_merge_config_selectorIiiEEZZNS1_27merge_sort_block_merge_implIS3_N6thrust23THRUST_200600_302600_NS6detail15normal_iteratorINS8_10device_ptrIiEEEESD_jNS1_19radix_merge_compareILb0ELb0EiNS0_19identity_decomposerEEEEE10hipError_tT0_T1_T2_jT3_P12ihipStream_tbPNSt15iterator_traitsISI_E10value_typeEPNSO_ISJ_E10value_typeEPSK_NS1_7vsmem_tEENKUlT_SI_SJ_SK_E_clISD_PiSD_S10_EESH_SX_SI_SJ_SK_EUlSX_E_NS1_11comp_targetILNS1_3genE9ELNS1_11target_archE1100ELNS1_3gpuE3ELNS1_3repE0EEENS1_48merge_mergepath_partition_config_static_selectorELNS0_4arch9wavefront6targetE1EEEvSJ_,@function
_ZN7rocprim17ROCPRIM_400000_NS6detail17trampoline_kernelINS0_14default_configENS1_38merge_sort_block_merge_config_selectorIiiEEZZNS1_27merge_sort_block_merge_implIS3_N6thrust23THRUST_200600_302600_NS6detail15normal_iteratorINS8_10device_ptrIiEEEESD_jNS1_19radix_merge_compareILb0ELb0EiNS0_19identity_decomposerEEEEE10hipError_tT0_T1_T2_jT3_P12ihipStream_tbPNSt15iterator_traitsISI_E10value_typeEPNSO_ISJ_E10value_typeEPSK_NS1_7vsmem_tEENKUlT_SI_SJ_SK_E_clISD_PiSD_S10_EESH_SX_SI_SJ_SK_EUlSX_E_NS1_11comp_targetILNS1_3genE9ELNS1_11target_archE1100ELNS1_3gpuE3ELNS1_3repE0EEENS1_48merge_mergepath_partition_config_static_selectorELNS0_4arch9wavefront6targetE1EEEvSJ_: ; @_ZN7rocprim17ROCPRIM_400000_NS6detail17trampoline_kernelINS0_14default_configENS1_38merge_sort_block_merge_config_selectorIiiEEZZNS1_27merge_sort_block_merge_implIS3_N6thrust23THRUST_200600_302600_NS6detail15normal_iteratorINS8_10device_ptrIiEEEESD_jNS1_19radix_merge_compareILb0ELb0EiNS0_19identity_decomposerEEEEE10hipError_tT0_T1_T2_jT3_P12ihipStream_tbPNSt15iterator_traitsISI_E10value_typeEPNSO_ISJ_E10value_typeEPSK_NS1_7vsmem_tEENKUlT_SI_SJ_SK_E_clISD_PiSD_S10_EESH_SX_SI_SJ_SK_EUlSX_E_NS1_11comp_targetILNS1_3genE9ELNS1_11target_archE1100ELNS1_3gpuE3ELNS1_3repE0EEENS1_48merge_mergepath_partition_config_static_selectorELNS0_4arch9wavefront6targetE1EEEvSJ_
; %bb.0:
	.section	.rodata,"a",@progbits
	.p2align	6, 0x0
	.amdhsa_kernel _ZN7rocprim17ROCPRIM_400000_NS6detail17trampoline_kernelINS0_14default_configENS1_38merge_sort_block_merge_config_selectorIiiEEZZNS1_27merge_sort_block_merge_implIS3_N6thrust23THRUST_200600_302600_NS6detail15normal_iteratorINS8_10device_ptrIiEEEESD_jNS1_19radix_merge_compareILb0ELb0EiNS0_19identity_decomposerEEEEE10hipError_tT0_T1_T2_jT3_P12ihipStream_tbPNSt15iterator_traitsISI_E10value_typeEPNSO_ISJ_E10value_typeEPSK_NS1_7vsmem_tEENKUlT_SI_SJ_SK_E_clISD_PiSD_S10_EESH_SX_SI_SJ_SK_EUlSX_E_NS1_11comp_targetILNS1_3genE9ELNS1_11target_archE1100ELNS1_3gpuE3ELNS1_3repE0EEENS1_48merge_mergepath_partition_config_static_selectorELNS0_4arch9wavefront6targetE1EEEvSJ_
		.amdhsa_group_segment_fixed_size 0
		.amdhsa_private_segment_fixed_size 0
		.amdhsa_kernarg_size 40
		.amdhsa_user_sgpr_count 2
		.amdhsa_user_sgpr_dispatch_ptr 0
		.amdhsa_user_sgpr_queue_ptr 0
		.amdhsa_user_sgpr_kernarg_segment_ptr 1
		.amdhsa_user_sgpr_dispatch_id 0
		.amdhsa_user_sgpr_kernarg_preload_length 0
		.amdhsa_user_sgpr_kernarg_preload_offset 0
		.amdhsa_user_sgpr_private_segment_size 0
		.amdhsa_uses_dynamic_stack 0
		.amdhsa_enable_private_segment 0
		.amdhsa_system_sgpr_workgroup_id_x 1
		.amdhsa_system_sgpr_workgroup_id_y 0
		.amdhsa_system_sgpr_workgroup_id_z 0
		.amdhsa_system_sgpr_workgroup_info 0
		.amdhsa_system_vgpr_workitem_id 0
		.amdhsa_next_free_vgpr 1
		.amdhsa_next_free_sgpr 0
		.amdhsa_accum_offset 4
		.amdhsa_reserve_vcc 0
		.amdhsa_float_round_mode_32 0
		.amdhsa_float_round_mode_16_64 0
		.amdhsa_float_denorm_mode_32 3
		.amdhsa_float_denorm_mode_16_64 3
		.amdhsa_dx10_clamp 1
		.amdhsa_ieee_mode 1
		.amdhsa_fp16_overflow 0
		.amdhsa_tg_split 0
		.amdhsa_exception_fp_ieee_invalid_op 0
		.amdhsa_exception_fp_denorm_src 0
		.amdhsa_exception_fp_ieee_div_zero 0
		.amdhsa_exception_fp_ieee_overflow 0
		.amdhsa_exception_fp_ieee_underflow 0
		.amdhsa_exception_fp_ieee_inexact 0
		.amdhsa_exception_int_div_zero 0
	.end_amdhsa_kernel
	.section	.text._ZN7rocprim17ROCPRIM_400000_NS6detail17trampoline_kernelINS0_14default_configENS1_38merge_sort_block_merge_config_selectorIiiEEZZNS1_27merge_sort_block_merge_implIS3_N6thrust23THRUST_200600_302600_NS6detail15normal_iteratorINS8_10device_ptrIiEEEESD_jNS1_19radix_merge_compareILb0ELb0EiNS0_19identity_decomposerEEEEE10hipError_tT0_T1_T2_jT3_P12ihipStream_tbPNSt15iterator_traitsISI_E10value_typeEPNSO_ISJ_E10value_typeEPSK_NS1_7vsmem_tEENKUlT_SI_SJ_SK_E_clISD_PiSD_S10_EESH_SX_SI_SJ_SK_EUlSX_E_NS1_11comp_targetILNS1_3genE9ELNS1_11target_archE1100ELNS1_3gpuE3ELNS1_3repE0EEENS1_48merge_mergepath_partition_config_static_selectorELNS0_4arch9wavefront6targetE1EEEvSJ_,"axG",@progbits,_ZN7rocprim17ROCPRIM_400000_NS6detail17trampoline_kernelINS0_14default_configENS1_38merge_sort_block_merge_config_selectorIiiEEZZNS1_27merge_sort_block_merge_implIS3_N6thrust23THRUST_200600_302600_NS6detail15normal_iteratorINS8_10device_ptrIiEEEESD_jNS1_19radix_merge_compareILb0ELb0EiNS0_19identity_decomposerEEEEE10hipError_tT0_T1_T2_jT3_P12ihipStream_tbPNSt15iterator_traitsISI_E10value_typeEPNSO_ISJ_E10value_typeEPSK_NS1_7vsmem_tEENKUlT_SI_SJ_SK_E_clISD_PiSD_S10_EESH_SX_SI_SJ_SK_EUlSX_E_NS1_11comp_targetILNS1_3genE9ELNS1_11target_archE1100ELNS1_3gpuE3ELNS1_3repE0EEENS1_48merge_mergepath_partition_config_static_selectorELNS0_4arch9wavefront6targetE1EEEvSJ_,comdat
.Lfunc_end1317:
	.size	_ZN7rocprim17ROCPRIM_400000_NS6detail17trampoline_kernelINS0_14default_configENS1_38merge_sort_block_merge_config_selectorIiiEEZZNS1_27merge_sort_block_merge_implIS3_N6thrust23THRUST_200600_302600_NS6detail15normal_iteratorINS8_10device_ptrIiEEEESD_jNS1_19radix_merge_compareILb0ELb0EiNS0_19identity_decomposerEEEEE10hipError_tT0_T1_T2_jT3_P12ihipStream_tbPNSt15iterator_traitsISI_E10value_typeEPNSO_ISJ_E10value_typeEPSK_NS1_7vsmem_tEENKUlT_SI_SJ_SK_E_clISD_PiSD_S10_EESH_SX_SI_SJ_SK_EUlSX_E_NS1_11comp_targetILNS1_3genE9ELNS1_11target_archE1100ELNS1_3gpuE3ELNS1_3repE0EEENS1_48merge_mergepath_partition_config_static_selectorELNS0_4arch9wavefront6targetE1EEEvSJ_, .Lfunc_end1317-_ZN7rocprim17ROCPRIM_400000_NS6detail17trampoline_kernelINS0_14default_configENS1_38merge_sort_block_merge_config_selectorIiiEEZZNS1_27merge_sort_block_merge_implIS3_N6thrust23THRUST_200600_302600_NS6detail15normal_iteratorINS8_10device_ptrIiEEEESD_jNS1_19radix_merge_compareILb0ELb0EiNS0_19identity_decomposerEEEEE10hipError_tT0_T1_T2_jT3_P12ihipStream_tbPNSt15iterator_traitsISI_E10value_typeEPNSO_ISJ_E10value_typeEPSK_NS1_7vsmem_tEENKUlT_SI_SJ_SK_E_clISD_PiSD_S10_EESH_SX_SI_SJ_SK_EUlSX_E_NS1_11comp_targetILNS1_3genE9ELNS1_11target_archE1100ELNS1_3gpuE3ELNS1_3repE0EEENS1_48merge_mergepath_partition_config_static_selectorELNS0_4arch9wavefront6targetE1EEEvSJ_
                                        ; -- End function
	.set _ZN7rocprim17ROCPRIM_400000_NS6detail17trampoline_kernelINS0_14default_configENS1_38merge_sort_block_merge_config_selectorIiiEEZZNS1_27merge_sort_block_merge_implIS3_N6thrust23THRUST_200600_302600_NS6detail15normal_iteratorINS8_10device_ptrIiEEEESD_jNS1_19radix_merge_compareILb0ELb0EiNS0_19identity_decomposerEEEEE10hipError_tT0_T1_T2_jT3_P12ihipStream_tbPNSt15iterator_traitsISI_E10value_typeEPNSO_ISJ_E10value_typeEPSK_NS1_7vsmem_tEENKUlT_SI_SJ_SK_E_clISD_PiSD_S10_EESH_SX_SI_SJ_SK_EUlSX_E_NS1_11comp_targetILNS1_3genE9ELNS1_11target_archE1100ELNS1_3gpuE3ELNS1_3repE0EEENS1_48merge_mergepath_partition_config_static_selectorELNS0_4arch9wavefront6targetE1EEEvSJ_.num_vgpr, 0
	.set _ZN7rocprim17ROCPRIM_400000_NS6detail17trampoline_kernelINS0_14default_configENS1_38merge_sort_block_merge_config_selectorIiiEEZZNS1_27merge_sort_block_merge_implIS3_N6thrust23THRUST_200600_302600_NS6detail15normal_iteratorINS8_10device_ptrIiEEEESD_jNS1_19radix_merge_compareILb0ELb0EiNS0_19identity_decomposerEEEEE10hipError_tT0_T1_T2_jT3_P12ihipStream_tbPNSt15iterator_traitsISI_E10value_typeEPNSO_ISJ_E10value_typeEPSK_NS1_7vsmem_tEENKUlT_SI_SJ_SK_E_clISD_PiSD_S10_EESH_SX_SI_SJ_SK_EUlSX_E_NS1_11comp_targetILNS1_3genE9ELNS1_11target_archE1100ELNS1_3gpuE3ELNS1_3repE0EEENS1_48merge_mergepath_partition_config_static_selectorELNS0_4arch9wavefront6targetE1EEEvSJ_.num_agpr, 0
	.set _ZN7rocprim17ROCPRIM_400000_NS6detail17trampoline_kernelINS0_14default_configENS1_38merge_sort_block_merge_config_selectorIiiEEZZNS1_27merge_sort_block_merge_implIS3_N6thrust23THRUST_200600_302600_NS6detail15normal_iteratorINS8_10device_ptrIiEEEESD_jNS1_19radix_merge_compareILb0ELb0EiNS0_19identity_decomposerEEEEE10hipError_tT0_T1_T2_jT3_P12ihipStream_tbPNSt15iterator_traitsISI_E10value_typeEPNSO_ISJ_E10value_typeEPSK_NS1_7vsmem_tEENKUlT_SI_SJ_SK_E_clISD_PiSD_S10_EESH_SX_SI_SJ_SK_EUlSX_E_NS1_11comp_targetILNS1_3genE9ELNS1_11target_archE1100ELNS1_3gpuE3ELNS1_3repE0EEENS1_48merge_mergepath_partition_config_static_selectorELNS0_4arch9wavefront6targetE1EEEvSJ_.numbered_sgpr, 0
	.set _ZN7rocprim17ROCPRIM_400000_NS6detail17trampoline_kernelINS0_14default_configENS1_38merge_sort_block_merge_config_selectorIiiEEZZNS1_27merge_sort_block_merge_implIS3_N6thrust23THRUST_200600_302600_NS6detail15normal_iteratorINS8_10device_ptrIiEEEESD_jNS1_19radix_merge_compareILb0ELb0EiNS0_19identity_decomposerEEEEE10hipError_tT0_T1_T2_jT3_P12ihipStream_tbPNSt15iterator_traitsISI_E10value_typeEPNSO_ISJ_E10value_typeEPSK_NS1_7vsmem_tEENKUlT_SI_SJ_SK_E_clISD_PiSD_S10_EESH_SX_SI_SJ_SK_EUlSX_E_NS1_11comp_targetILNS1_3genE9ELNS1_11target_archE1100ELNS1_3gpuE3ELNS1_3repE0EEENS1_48merge_mergepath_partition_config_static_selectorELNS0_4arch9wavefront6targetE1EEEvSJ_.num_named_barrier, 0
	.set _ZN7rocprim17ROCPRIM_400000_NS6detail17trampoline_kernelINS0_14default_configENS1_38merge_sort_block_merge_config_selectorIiiEEZZNS1_27merge_sort_block_merge_implIS3_N6thrust23THRUST_200600_302600_NS6detail15normal_iteratorINS8_10device_ptrIiEEEESD_jNS1_19radix_merge_compareILb0ELb0EiNS0_19identity_decomposerEEEEE10hipError_tT0_T1_T2_jT3_P12ihipStream_tbPNSt15iterator_traitsISI_E10value_typeEPNSO_ISJ_E10value_typeEPSK_NS1_7vsmem_tEENKUlT_SI_SJ_SK_E_clISD_PiSD_S10_EESH_SX_SI_SJ_SK_EUlSX_E_NS1_11comp_targetILNS1_3genE9ELNS1_11target_archE1100ELNS1_3gpuE3ELNS1_3repE0EEENS1_48merge_mergepath_partition_config_static_selectorELNS0_4arch9wavefront6targetE1EEEvSJ_.private_seg_size, 0
	.set _ZN7rocprim17ROCPRIM_400000_NS6detail17trampoline_kernelINS0_14default_configENS1_38merge_sort_block_merge_config_selectorIiiEEZZNS1_27merge_sort_block_merge_implIS3_N6thrust23THRUST_200600_302600_NS6detail15normal_iteratorINS8_10device_ptrIiEEEESD_jNS1_19radix_merge_compareILb0ELb0EiNS0_19identity_decomposerEEEEE10hipError_tT0_T1_T2_jT3_P12ihipStream_tbPNSt15iterator_traitsISI_E10value_typeEPNSO_ISJ_E10value_typeEPSK_NS1_7vsmem_tEENKUlT_SI_SJ_SK_E_clISD_PiSD_S10_EESH_SX_SI_SJ_SK_EUlSX_E_NS1_11comp_targetILNS1_3genE9ELNS1_11target_archE1100ELNS1_3gpuE3ELNS1_3repE0EEENS1_48merge_mergepath_partition_config_static_selectorELNS0_4arch9wavefront6targetE1EEEvSJ_.uses_vcc, 0
	.set _ZN7rocprim17ROCPRIM_400000_NS6detail17trampoline_kernelINS0_14default_configENS1_38merge_sort_block_merge_config_selectorIiiEEZZNS1_27merge_sort_block_merge_implIS3_N6thrust23THRUST_200600_302600_NS6detail15normal_iteratorINS8_10device_ptrIiEEEESD_jNS1_19radix_merge_compareILb0ELb0EiNS0_19identity_decomposerEEEEE10hipError_tT0_T1_T2_jT3_P12ihipStream_tbPNSt15iterator_traitsISI_E10value_typeEPNSO_ISJ_E10value_typeEPSK_NS1_7vsmem_tEENKUlT_SI_SJ_SK_E_clISD_PiSD_S10_EESH_SX_SI_SJ_SK_EUlSX_E_NS1_11comp_targetILNS1_3genE9ELNS1_11target_archE1100ELNS1_3gpuE3ELNS1_3repE0EEENS1_48merge_mergepath_partition_config_static_selectorELNS0_4arch9wavefront6targetE1EEEvSJ_.uses_flat_scratch, 0
	.set _ZN7rocprim17ROCPRIM_400000_NS6detail17trampoline_kernelINS0_14default_configENS1_38merge_sort_block_merge_config_selectorIiiEEZZNS1_27merge_sort_block_merge_implIS3_N6thrust23THRUST_200600_302600_NS6detail15normal_iteratorINS8_10device_ptrIiEEEESD_jNS1_19radix_merge_compareILb0ELb0EiNS0_19identity_decomposerEEEEE10hipError_tT0_T1_T2_jT3_P12ihipStream_tbPNSt15iterator_traitsISI_E10value_typeEPNSO_ISJ_E10value_typeEPSK_NS1_7vsmem_tEENKUlT_SI_SJ_SK_E_clISD_PiSD_S10_EESH_SX_SI_SJ_SK_EUlSX_E_NS1_11comp_targetILNS1_3genE9ELNS1_11target_archE1100ELNS1_3gpuE3ELNS1_3repE0EEENS1_48merge_mergepath_partition_config_static_selectorELNS0_4arch9wavefront6targetE1EEEvSJ_.has_dyn_sized_stack, 0
	.set _ZN7rocprim17ROCPRIM_400000_NS6detail17trampoline_kernelINS0_14default_configENS1_38merge_sort_block_merge_config_selectorIiiEEZZNS1_27merge_sort_block_merge_implIS3_N6thrust23THRUST_200600_302600_NS6detail15normal_iteratorINS8_10device_ptrIiEEEESD_jNS1_19radix_merge_compareILb0ELb0EiNS0_19identity_decomposerEEEEE10hipError_tT0_T1_T2_jT3_P12ihipStream_tbPNSt15iterator_traitsISI_E10value_typeEPNSO_ISJ_E10value_typeEPSK_NS1_7vsmem_tEENKUlT_SI_SJ_SK_E_clISD_PiSD_S10_EESH_SX_SI_SJ_SK_EUlSX_E_NS1_11comp_targetILNS1_3genE9ELNS1_11target_archE1100ELNS1_3gpuE3ELNS1_3repE0EEENS1_48merge_mergepath_partition_config_static_selectorELNS0_4arch9wavefront6targetE1EEEvSJ_.has_recursion, 0
	.set _ZN7rocprim17ROCPRIM_400000_NS6detail17trampoline_kernelINS0_14default_configENS1_38merge_sort_block_merge_config_selectorIiiEEZZNS1_27merge_sort_block_merge_implIS3_N6thrust23THRUST_200600_302600_NS6detail15normal_iteratorINS8_10device_ptrIiEEEESD_jNS1_19radix_merge_compareILb0ELb0EiNS0_19identity_decomposerEEEEE10hipError_tT0_T1_T2_jT3_P12ihipStream_tbPNSt15iterator_traitsISI_E10value_typeEPNSO_ISJ_E10value_typeEPSK_NS1_7vsmem_tEENKUlT_SI_SJ_SK_E_clISD_PiSD_S10_EESH_SX_SI_SJ_SK_EUlSX_E_NS1_11comp_targetILNS1_3genE9ELNS1_11target_archE1100ELNS1_3gpuE3ELNS1_3repE0EEENS1_48merge_mergepath_partition_config_static_selectorELNS0_4arch9wavefront6targetE1EEEvSJ_.has_indirect_call, 0
	.section	.AMDGPU.csdata,"",@progbits
; Kernel info:
; codeLenInByte = 0
; TotalNumSgprs: 6
; NumVgprs: 0
; NumAgprs: 0
; TotalNumVgprs: 0
; ScratchSize: 0
; MemoryBound: 0
; FloatMode: 240
; IeeeMode: 1
; LDSByteSize: 0 bytes/workgroup (compile time only)
; SGPRBlocks: 0
; VGPRBlocks: 0
; NumSGPRsForWavesPerEU: 6
; NumVGPRsForWavesPerEU: 1
; AccumOffset: 4
; Occupancy: 8
; WaveLimiterHint : 0
; COMPUTE_PGM_RSRC2:SCRATCH_EN: 0
; COMPUTE_PGM_RSRC2:USER_SGPR: 2
; COMPUTE_PGM_RSRC2:TRAP_HANDLER: 0
; COMPUTE_PGM_RSRC2:TGID_X_EN: 1
; COMPUTE_PGM_RSRC2:TGID_Y_EN: 0
; COMPUTE_PGM_RSRC2:TGID_Z_EN: 0
; COMPUTE_PGM_RSRC2:TIDIG_COMP_CNT: 0
; COMPUTE_PGM_RSRC3_GFX90A:ACCUM_OFFSET: 0
; COMPUTE_PGM_RSRC3_GFX90A:TG_SPLIT: 0
	.section	.text._ZN7rocprim17ROCPRIM_400000_NS6detail17trampoline_kernelINS0_14default_configENS1_38merge_sort_block_merge_config_selectorIiiEEZZNS1_27merge_sort_block_merge_implIS3_N6thrust23THRUST_200600_302600_NS6detail15normal_iteratorINS8_10device_ptrIiEEEESD_jNS1_19radix_merge_compareILb0ELb0EiNS0_19identity_decomposerEEEEE10hipError_tT0_T1_T2_jT3_P12ihipStream_tbPNSt15iterator_traitsISI_E10value_typeEPNSO_ISJ_E10value_typeEPSK_NS1_7vsmem_tEENKUlT_SI_SJ_SK_E_clISD_PiSD_S10_EESH_SX_SI_SJ_SK_EUlSX_E_NS1_11comp_targetILNS1_3genE8ELNS1_11target_archE1030ELNS1_3gpuE2ELNS1_3repE0EEENS1_48merge_mergepath_partition_config_static_selectorELNS0_4arch9wavefront6targetE1EEEvSJ_,"axG",@progbits,_ZN7rocprim17ROCPRIM_400000_NS6detail17trampoline_kernelINS0_14default_configENS1_38merge_sort_block_merge_config_selectorIiiEEZZNS1_27merge_sort_block_merge_implIS3_N6thrust23THRUST_200600_302600_NS6detail15normal_iteratorINS8_10device_ptrIiEEEESD_jNS1_19radix_merge_compareILb0ELb0EiNS0_19identity_decomposerEEEEE10hipError_tT0_T1_T2_jT3_P12ihipStream_tbPNSt15iterator_traitsISI_E10value_typeEPNSO_ISJ_E10value_typeEPSK_NS1_7vsmem_tEENKUlT_SI_SJ_SK_E_clISD_PiSD_S10_EESH_SX_SI_SJ_SK_EUlSX_E_NS1_11comp_targetILNS1_3genE8ELNS1_11target_archE1030ELNS1_3gpuE2ELNS1_3repE0EEENS1_48merge_mergepath_partition_config_static_selectorELNS0_4arch9wavefront6targetE1EEEvSJ_,comdat
	.protected	_ZN7rocprim17ROCPRIM_400000_NS6detail17trampoline_kernelINS0_14default_configENS1_38merge_sort_block_merge_config_selectorIiiEEZZNS1_27merge_sort_block_merge_implIS3_N6thrust23THRUST_200600_302600_NS6detail15normal_iteratorINS8_10device_ptrIiEEEESD_jNS1_19radix_merge_compareILb0ELb0EiNS0_19identity_decomposerEEEEE10hipError_tT0_T1_T2_jT3_P12ihipStream_tbPNSt15iterator_traitsISI_E10value_typeEPNSO_ISJ_E10value_typeEPSK_NS1_7vsmem_tEENKUlT_SI_SJ_SK_E_clISD_PiSD_S10_EESH_SX_SI_SJ_SK_EUlSX_E_NS1_11comp_targetILNS1_3genE8ELNS1_11target_archE1030ELNS1_3gpuE2ELNS1_3repE0EEENS1_48merge_mergepath_partition_config_static_selectorELNS0_4arch9wavefront6targetE1EEEvSJ_ ; -- Begin function _ZN7rocprim17ROCPRIM_400000_NS6detail17trampoline_kernelINS0_14default_configENS1_38merge_sort_block_merge_config_selectorIiiEEZZNS1_27merge_sort_block_merge_implIS3_N6thrust23THRUST_200600_302600_NS6detail15normal_iteratorINS8_10device_ptrIiEEEESD_jNS1_19radix_merge_compareILb0ELb0EiNS0_19identity_decomposerEEEEE10hipError_tT0_T1_T2_jT3_P12ihipStream_tbPNSt15iterator_traitsISI_E10value_typeEPNSO_ISJ_E10value_typeEPSK_NS1_7vsmem_tEENKUlT_SI_SJ_SK_E_clISD_PiSD_S10_EESH_SX_SI_SJ_SK_EUlSX_E_NS1_11comp_targetILNS1_3genE8ELNS1_11target_archE1030ELNS1_3gpuE2ELNS1_3repE0EEENS1_48merge_mergepath_partition_config_static_selectorELNS0_4arch9wavefront6targetE1EEEvSJ_
	.globl	_ZN7rocprim17ROCPRIM_400000_NS6detail17trampoline_kernelINS0_14default_configENS1_38merge_sort_block_merge_config_selectorIiiEEZZNS1_27merge_sort_block_merge_implIS3_N6thrust23THRUST_200600_302600_NS6detail15normal_iteratorINS8_10device_ptrIiEEEESD_jNS1_19radix_merge_compareILb0ELb0EiNS0_19identity_decomposerEEEEE10hipError_tT0_T1_T2_jT3_P12ihipStream_tbPNSt15iterator_traitsISI_E10value_typeEPNSO_ISJ_E10value_typeEPSK_NS1_7vsmem_tEENKUlT_SI_SJ_SK_E_clISD_PiSD_S10_EESH_SX_SI_SJ_SK_EUlSX_E_NS1_11comp_targetILNS1_3genE8ELNS1_11target_archE1030ELNS1_3gpuE2ELNS1_3repE0EEENS1_48merge_mergepath_partition_config_static_selectorELNS0_4arch9wavefront6targetE1EEEvSJ_
	.p2align	8
	.type	_ZN7rocprim17ROCPRIM_400000_NS6detail17trampoline_kernelINS0_14default_configENS1_38merge_sort_block_merge_config_selectorIiiEEZZNS1_27merge_sort_block_merge_implIS3_N6thrust23THRUST_200600_302600_NS6detail15normal_iteratorINS8_10device_ptrIiEEEESD_jNS1_19radix_merge_compareILb0ELb0EiNS0_19identity_decomposerEEEEE10hipError_tT0_T1_T2_jT3_P12ihipStream_tbPNSt15iterator_traitsISI_E10value_typeEPNSO_ISJ_E10value_typeEPSK_NS1_7vsmem_tEENKUlT_SI_SJ_SK_E_clISD_PiSD_S10_EESH_SX_SI_SJ_SK_EUlSX_E_NS1_11comp_targetILNS1_3genE8ELNS1_11target_archE1030ELNS1_3gpuE2ELNS1_3repE0EEENS1_48merge_mergepath_partition_config_static_selectorELNS0_4arch9wavefront6targetE1EEEvSJ_,@function
_ZN7rocprim17ROCPRIM_400000_NS6detail17trampoline_kernelINS0_14default_configENS1_38merge_sort_block_merge_config_selectorIiiEEZZNS1_27merge_sort_block_merge_implIS3_N6thrust23THRUST_200600_302600_NS6detail15normal_iteratorINS8_10device_ptrIiEEEESD_jNS1_19radix_merge_compareILb0ELb0EiNS0_19identity_decomposerEEEEE10hipError_tT0_T1_T2_jT3_P12ihipStream_tbPNSt15iterator_traitsISI_E10value_typeEPNSO_ISJ_E10value_typeEPSK_NS1_7vsmem_tEENKUlT_SI_SJ_SK_E_clISD_PiSD_S10_EESH_SX_SI_SJ_SK_EUlSX_E_NS1_11comp_targetILNS1_3genE8ELNS1_11target_archE1030ELNS1_3gpuE2ELNS1_3repE0EEENS1_48merge_mergepath_partition_config_static_selectorELNS0_4arch9wavefront6targetE1EEEvSJ_: ; @_ZN7rocprim17ROCPRIM_400000_NS6detail17trampoline_kernelINS0_14default_configENS1_38merge_sort_block_merge_config_selectorIiiEEZZNS1_27merge_sort_block_merge_implIS3_N6thrust23THRUST_200600_302600_NS6detail15normal_iteratorINS8_10device_ptrIiEEEESD_jNS1_19radix_merge_compareILb0ELb0EiNS0_19identity_decomposerEEEEE10hipError_tT0_T1_T2_jT3_P12ihipStream_tbPNSt15iterator_traitsISI_E10value_typeEPNSO_ISJ_E10value_typeEPSK_NS1_7vsmem_tEENKUlT_SI_SJ_SK_E_clISD_PiSD_S10_EESH_SX_SI_SJ_SK_EUlSX_E_NS1_11comp_targetILNS1_3genE8ELNS1_11target_archE1030ELNS1_3gpuE2ELNS1_3repE0EEENS1_48merge_mergepath_partition_config_static_selectorELNS0_4arch9wavefront6targetE1EEEvSJ_
; %bb.0:
	.section	.rodata,"a",@progbits
	.p2align	6, 0x0
	.amdhsa_kernel _ZN7rocprim17ROCPRIM_400000_NS6detail17trampoline_kernelINS0_14default_configENS1_38merge_sort_block_merge_config_selectorIiiEEZZNS1_27merge_sort_block_merge_implIS3_N6thrust23THRUST_200600_302600_NS6detail15normal_iteratorINS8_10device_ptrIiEEEESD_jNS1_19radix_merge_compareILb0ELb0EiNS0_19identity_decomposerEEEEE10hipError_tT0_T1_T2_jT3_P12ihipStream_tbPNSt15iterator_traitsISI_E10value_typeEPNSO_ISJ_E10value_typeEPSK_NS1_7vsmem_tEENKUlT_SI_SJ_SK_E_clISD_PiSD_S10_EESH_SX_SI_SJ_SK_EUlSX_E_NS1_11comp_targetILNS1_3genE8ELNS1_11target_archE1030ELNS1_3gpuE2ELNS1_3repE0EEENS1_48merge_mergepath_partition_config_static_selectorELNS0_4arch9wavefront6targetE1EEEvSJ_
		.amdhsa_group_segment_fixed_size 0
		.amdhsa_private_segment_fixed_size 0
		.amdhsa_kernarg_size 40
		.amdhsa_user_sgpr_count 2
		.amdhsa_user_sgpr_dispatch_ptr 0
		.amdhsa_user_sgpr_queue_ptr 0
		.amdhsa_user_sgpr_kernarg_segment_ptr 1
		.amdhsa_user_sgpr_dispatch_id 0
		.amdhsa_user_sgpr_kernarg_preload_length 0
		.amdhsa_user_sgpr_kernarg_preload_offset 0
		.amdhsa_user_sgpr_private_segment_size 0
		.amdhsa_uses_dynamic_stack 0
		.amdhsa_enable_private_segment 0
		.amdhsa_system_sgpr_workgroup_id_x 1
		.amdhsa_system_sgpr_workgroup_id_y 0
		.amdhsa_system_sgpr_workgroup_id_z 0
		.amdhsa_system_sgpr_workgroup_info 0
		.amdhsa_system_vgpr_workitem_id 0
		.amdhsa_next_free_vgpr 1
		.amdhsa_next_free_sgpr 0
		.amdhsa_accum_offset 4
		.amdhsa_reserve_vcc 0
		.amdhsa_float_round_mode_32 0
		.amdhsa_float_round_mode_16_64 0
		.amdhsa_float_denorm_mode_32 3
		.amdhsa_float_denorm_mode_16_64 3
		.amdhsa_dx10_clamp 1
		.amdhsa_ieee_mode 1
		.amdhsa_fp16_overflow 0
		.amdhsa_tg_split 0
		.amdhsa_exception_fp_ieee_invalid_op 0
		.amdhsa_exception_fp_denorm_src 0
		.amdhsa_exception_fp_ieee_div_zero 0
		.amdhsa_exception_fp_ieee_overflow 0
		.amdhsa_exception_fp_ieee_underflow 0
		.amdhsa_exception_fp_ieee_inexact 0
		.amdhsa_exception_int_div_zero 0
	.end_amdhsa_kernel
	.section	.text._ZN7rocprim17ROCPRIM_400000_NS6detail17trampoline_kernelINS0_14default_configENS1_38merge_sort_block_merge_config_selectorIiiEEZZNS1_27merge_sort_block_merge_implIS3_N6thrust23THRUST_200600_302600_NS6detail15normal_iteratorINS8_10device_ptrIiEEEESD_jNS1_19radix_merge_compareILb0ELb0EiNS0_19identity_decomposerEEEEE10hipError_tT0_T1_T2_jT3_P12ihipStream_tbPNSt15iterator_traitsISI_E10value_typeEPNSO_ISJ_E10value_typeEPSK_NS1_7vsmem_tEENKUlT_SI_SJ_SK_E_clISD_PiSD_S10_EESH_SX_SI_SJ_SK_EUlSX_E_NS1_11comp_targetILNS1_3genE8ELNS1_11target_archE1030ELNS1_3gpuE2ELNS1_3repE0EEENS1_48merge_mergepath_partition_config_static_selectorELNS0_4arch9wavefront6targetE1EEEvSJ_,"axG",@progbits,_ZN7rocprim17ROCPRIM_400000_NS6detail17trampoline_kernelINS0_14default_configENS1_38merge_sort_block_merge_config_selectorIiiEEZZNS1_27merge_sort_block_merge_implIS3_N6thrust23THRUST_200600_302600_NS6detail15normal_iteratorINS8_10device_ptrIiEEEESD_jNS1_19radix_merge_compareILb0ELb0EiNS0_19identity_decomposerEEEEE10hipError_tT0_T1_T2_jT3_P12ihipStream_tbPNSt15iterator_traitsISI_E10value_typeEPNSO_ISJ_E10value_typeEPSK_NS1_7vsmem_tEENKUlT_SI_SJ_SK_E_clISD_PiSD_S10_EESH_SX_SI_SJ_SK_EUlSX_E_NS1_11comp_targetILNS1_3genE8ELNS1_11target_archE1030ELNS1_3gpuE2ELNS1_3repE0EEENS1_48merge_mergepath_partition_config_static_selectorELNS0_4arch9wavefront6targetE1EEEvSJ_,comdat
.Lfunc_end1318:
	.size	_ZN7rocprim17ROCPRIM_400000_NS6detail17trampoline_kernelINS0_14default_configENS1_38merge_sort_block_merge_config_selectorIiiEEZZNS1_27merge_sort_block_merge_implIS3_N6thrust23THRUST_200600_302600_NS6detail15normal_iteratorINS8_10device_ptrIiEEEESD_jNS1_19radix_merge_compareILb0ELb0EiNS0_19identity_decomposerEEEEE10hipError_tT0_T1_T2_jT3_P12ihipStream_tbPNSt15iterator_traitsISI_E10value_typeEPNSO_ISJ_E10value_typeEPSK_NS1_7vsmem_tEENKUlT_SI_SJ_SK_E_clISD_PiSD_S10_EESH_SX_SI_SJ_SK_EUlSX_E_NS1_11comp_targetILNS1_3genE8ELNS1_11target_archE1030ELNS1_3gpuE2ELNS1_3repE0EEENS1_48merge_mergepath_partition_config_static_selectorELNS0_4arch9wavefront6targetE1EEEvSJ_, .Lfunc_end1318-_ZN7rocprim17ROCPRIM_400000_NS6detail17trampoline_kernelINS0_14default_configENS1_38merge_sort_block_merge_config_selectorIiiEEZZNS1_27merge_sort_block_merge_implIS3_N6thrust23THRUST_200600_302600_NS6detail15normal_iteratorINS8_10device_ptrIiEEEESD_jNS1_19radix_merge_compareILb0ELb0EiNS0_19identity_decomposerEEEEE10hipError_tT0_T1_T2_jT3_P12ihipStream_tbPNSt15iterator_traitsISI_E10value_typeEPNSO_ISJ_E10value_typeEPSK_NS1_7vsmem_tEENKUlT_SI_SJ_SK_E_clISD_PiSD_S10_EESH_SX_SI_SJ_SK_EUlSX_E_NS1_11comp_targetILNS1_3genE8ELNS1_11target_archE1030ELNS1_3gpuE2ELNS1_3repE0EEENS1_48merge_mergepath_partition_config_static_selectorELNS0_4arch9wavefront6targetE1EEEvSJ_
                                        ; -- End function
	.set _ZN7rocprim17ROCPRIM_400000_NS6detail17trampoline_kernelINS0_14default_configENS1_38merge_sort_block_merge_config_selectorIiiEEZZNS1_27merge_sort_block_merge_implIS3_N6thrust23THRUST_200600_302600_NS6detail15normal_iteratorINS8_10device_ptrIiEEEESD_jNS1_19radix_merge_compareILb0ELb0EiNS0_19identity_decomposerEEEEE10hipError_tT0_T1_T2_jT3_P12ihipStream_tbPNSt15iterator_traitsISI_E10value_typeEPNSO_ISJ_E10value_typeEPSK_NS1_7vsmem_tEENKUlT_SI_SJ_SK_E_clISD_PiSD_S10_EESH_SX_SI_SJ_SK_EUlSX_E_NS1_11comp_targetILNS1_3genE8ELNS1_11target_archE1030ELNS1_3gpuE2ELNS1_3repE0EEENS1_48merge_mergepath_partition_config_static_selectorELNS0_4arch9wavefront6targetE1EEEvSJ_.num_vgpr, 0
	.set _ZN7rocprim17ROCPRIM_400000_NS6detail17trampoline_kernelINS0_14default_configENS1_38merge_sort_block_merge_config_selectorIiiEEZZNS1_27merge_sort_block_merge_implIS3_N6thrust23THRUST_200600_302600_NS6detail15normal_iteratorINS8_10device_ptrIiEEEESD_jNS1_19radix_merge_compareILb0ELb0EiNS0_19identity_decomposerEEEEE10hipError_tT0_T1_T2_jT3_P12ihipStream_tbPNSt15iterator_traitsISI_E10value_typeEPNSO_ISJ_E10value_typeEPSK_NS1_7vsmem_tEENKUlT_SI_SJ_SK_E_clISD_PiSD_S10_EESH_SX_SI_SJ_SK_EUlSX_E_NS1_11comp_targetILNS1_3genE8ELNS1_11target_archE1030ELNS1_3gpuE2ELNS1_3repE0EEENS1_48merge_mergepath_partition_config_static_selectorELNS0_4arch9wavefront6targetE1EEEvSJ_.num_agpr, 0
	.set _ZN7rocprim17ROCPRIM_400000_NS6detail17trampoline_kernelINS0_14default_configENS1_38merge_sort_block_merge_config_selectorIiiEEZZNS1_27merge_sort_block_merge_implIS3_N6thrust23THRUST_200600_302600_NS6detail15normal_iteratorINS8_10device_ptrIiEEEESD_jNS1_19radix_merge_compareILb0ELb0EiNS0_19identity_decomposerEEEEE10hipError_tT0_T1_T2_jT3_P12ihipStream_tbPNSt15iterator_traitsISI_E10value_typeEPNSO_ISJ_E10value_typeEPSK_NS1_7vsmem_tEENKUlT_SI_SJ_SK_E_clISD_PiSD_S10_EESH_SX_SI_SJ_SK_EUlSX_E_NS1_11comp_targetILNS1_3genE8ELNS1_11target_archE1030ELNS1_3gpuE2ELNS1_3repE0EEENS1_48merge_mergepath_partition_config_static_selectorELNS0_4arch9wavefront6targetE1EEEvSJ_.numbered_sgpr, 0
	.set _ZN7rocprim17ROCPRIM_400000_NS6detail17trampoline_kernelINS0_14default_configENS1_38merge_sort_block_merge_config_selectorIiiEEZZNS1_27merge_sort_block_merge_implIS3_N6thrust23THRUST_200600_302600_NS6detail15normal_iteratorINS8_10device_ptrIiEEEESD_jNS1_19radix_merge_compareILb0ELb0EiNS0_19identity_decomposerEEEEE10hipError_tT0_T1_T2_jT3_P12ihipStream_tbPNSt15iterator_traitsISI_E10value_typeEPNSO_ISJ_E10value_typeEPSK_NS1_7vsmem_tEENKUlT_SI_SJ_SK_E_clISD_PiSD_S10_EESH_SX_SI_SJ_SK_EUlSX_E_NS1_11comp_targetILNS1_3genE8ELNS1_11target_archE1030ELNS1_3gpuE2ELNS1_3repE0EEENS1_48merge_mergepath_partition_config_static_selectorELNS0_4arch9wavefront6targetE1EEEvSJ_.num_named_barrier, 0
	.set _ZN7rocprim17ROCPRIM_400000_NS6detail17trampoline_kernelINS0_14default_configENS1_38merge_sort_block_merge_config_selectorIiiEEZZNS1_27merge_sort_block_merge_implIS3_N6thrust23THRUST_200600_302600_NS6detail15normal_iteratorINS8_10device_ptrIiEEEESD_jNS1_19radix_merge_compareILb0ELb0EiNS0_19identity_decomposerEEEEE10hipError_tT0_T1_T2_jT3_P12ihipStream_tbPNSt15iterator_traitsISI_E10value_typeEPNSO_ISJ_E10value_typeEPSK_NS1_7vsmem_tEENKUlT_SI_SJ_SK_E_clISD_PiSD_S10_EESH_SX_SI_SJ_SK_EUlSX_E_NS1_11comp_targetILNS1_3genE8ELNS1_11target_archE1030ELNS1_3gpuE2ELNS1_3repE0EEENS1_48merge_mergepath_partition_config_static_selectorELNS0_4arch9wavefront6targetE1EEEvSJ_.private_seg_size, 0
	.set _ZN7rocprim17ROCPRIM_400000_NS6detail17trampoline_kernelINS0_14default_configENS1_38merge_sort_block_merge_config_selectorIiiEEZZNS1_27merge_sort_block_merge_implIS3_N6thrust23THRUST_200600_302600_NS6detail15normal_iteratorINS8_10device_ptrIiEEEESD_jNS1_19radix_merge_compareILb0ELb0EiNS0_19identity_decomposerEEEEE10hipError_tT0_T1_T2_jT3_P12ihipStream_tbPNSt15iterator_traitsISI_E10value_typeEPNSO_ISJ_E10value_typeEPSK_NS1_7vsmem_tEENKUlT_SI_SJ_SK_E_clISD_PiSD_S10_EESH_SX_SI_SJ_SK_EUlSX_E_NS1_11comp_targetILNS1_3genE8ELNS1_11target_archE1030ELNS1_3gpuE2ELNS1_3repE0EEENS1_48merge_mergepath_partition_config_static_selectorELNS0_4arch9wavefront6targetE1EEEvSJ_.uses_vcc, 0
	.set _ZN7rocprim17ROCPRIM_400000_NS6detail17trampoline_kernelINS0_14default_configENS1_38merge_sort_block_merge_config_selectorIiiEEZZNS1_27merge_sort_block_merge_implIS3_N6thrust23THRUST_200600_302600_NS6detail15normal_iteratorINS8_10device_ptrIiEEEESD_jNS1_19radix_merge_compareILb0ELb0EiNS0_19identity_decomposerEEEEE10hipError_tT0_T1_T2_jT3_P12ihipStream_tbPNSt15iterator_traitsISI_E10value_typeEPNSO_ISJ_E10value_typeEPSK_NS1_7vsmem_tEENKUlT_SI_SJ_SK_E_clISD_PiSD_S10_EESH_SX_SI_SJ_SK_EUlSX_E_NS1_11comp_targetILNS1_3genE8ELNS1_11target_archE1030ELNS1_3gpuE2ELNS1_3repE0EEENS1_48merge_mergepath_partition_config_static_selectorELNS0_4arch9wavefront6targetE1EEEvSJ_.uses_flat_scratch, 0
	.set _ZN7rocprim17ROCPRIM_400000_NS6detail17trampoline_kernelINS0_14default_configENS1_38merge_sort_block_merge_config_selectorIiiEEZZNS1_27merge_sort_block_merge_implIS3_N6thrust23THRUST_200600_302600_NS6detail15normal_iteratorINS8_10device_ptrIiEEEESD_jNS1_19radix_merge_compareILb0ELb0EiNS0_19identity_decomposerEEEEE10hipError_tT0_T1_T2_jT3_P12ihipStream_tbPNSt15iterator_traitsISI_E10value_typeEPNSO_ISJ_E10value_typeEPSK_NS1_7vsmem_tEENKUlT_SI_SJ_SK_E_clISD_PiSD_S10_EESH_SX_SI_SJ_SK_EUlSX_E_NS1_11comp_targetILNS1_3genE8ELNS1_11target_archE1030ELNS1_3gpuE2ELNS1_3repE0EEENS1_48merge_mergepath_partition_config_static_selectorELNS0_4arch9wavefront6targetE1EEEvSJ_.has_dyn_sized_stack, 0
	.set _ZN7rocprim17ROCPRIM_400000_NS6detail17trampoline_kernelINS0_14default_configENS1_38merge_sort_block_merge_config_selectorIiiEEZZNS1_27merge_sort_block_merge_implIS3_N6thrust23THRUST_200600_302600_NS6detail15normal_iteratorINS8_10device_ptrIiEEEESD_jNS1_19radix_merge_compareILb0ELb0EiNS0_19identity_decomposerEEEEE10hipError_tT0_T1_T2_jT3_P12ihipStream_tbPNSt15iterator_traitsISI_E10value_typeEPNSO_ISJ_E10value_typeEPSK_NS1_7vsmem_tEENKUlT_SI_SJ_SK_E_clISD_PiSD_S10_EESH_SX_SI_SJ_SK_EUlSX_E_NS1_11comp_targetILNS1_3genE8ELNS1_11target_archE1030ELNS1_3gpuE2ELNS1_3repE0EEENS1_48merge_mergepath_partition_config_static_selectorELNS0_4arch9wavefront6targetE1EEEvSJ_.has_recursion, 0
	.set _ZN7rocprim17ROCPRIM_400000_NS6detail17trampoline_kernelINS0_14default_configENS1_38merge_sort_block_merge_config_selectorIiiEEZZNS1_27merge_sort_block_merge_implIS3_N6thrust23THRUST_200600_302600_NS6detail15normal_iteratorINS8_10device_ptrIiEEEESD_jNS1_19radix_merge_compareILb0ELb0EiNS0_19identity_decomposerEEEEE10hipError_tT0_T1_T2_jT3_P12ihipStream_tbPNSt15iterator_traitsISI_E10value_typeEPNSO_ISJ_E10value_typeEPSK_NS1_7vsmem_tEENKUlT_SI_SJ_SK_E_clISD_PiSD_S10_EESH_SX_SI_SJ_SK_EUlSX_E_NS1_11comp_targetILNS1_3genE8ELNS1_11target_archE1030ELNS1_3gpuE2ELNS1_3repE0EEENS1_48merge_mergepath_partition_config_static_selectorELNS0_4arch9wavefront6targetE1EEEvSJ_.has_indirect_call, 0
	.section	.AMDGPU.csdata,"",@progbits
; Kernel info:
; codeLenInByte = 0
; TotalNumSgprs: 6
; NumVgprs: 0
; NumAgprs: 0
; TotalNumVgprs: 0
; ScratchSize: 0
; MemoryBound: 0
; FloatMode: 240
; IeeeMode: 1
; LDSByteSize: 0 bytes/workgroup (compile time only)
; SGPRBlocks: 0
; VGPRBlocks: 0
; NumSGPRsForWavesPerEU: 6
; NumVGPRsForWavesPerEU: 1
; AccumOffset: 4
; Occupancy: 8
; WaveLimiterHint : 0
; COMPUTE_PGM_RSRC2:SCRATCH_EN: 0
; COMPUTE_PGM_RSRC2:USER_SGPR: 2
; COMPUTE_PGM_RSRC2:TRAP_HANDLER: 0
; COMPUTE_PGM_RSRC2:TGID_X_EN: 1
; COMPUTE_PGM_RSRC2:TGID_Y_EN: 0
; COMPUTE_PGM_RSRC2:TGID_Z_EN: 0
; COMPUTE_PGM_RSRC2:TIDIG_COMP_CNT: 0
; COMPUTE_PGM_RSRC3_GFX90A:ACCUM_OFFSET: 0
; COMPUTE_PGM_RSRC3_GFX90A:TG_SPLIT: 0
	.section	.text._ZN7rocprim17ROCPRIM_400000_NS6detail17trampoline_kernelINS0_14default_configENS1_38merge_sort_block_merge_config_selectorIiiEEZZNS1_27merge_sort_block_merge_implIS3_N6thrust23THRUST_200600_302600_NS6detail15normal_iteratorINS8_10device_ptrIiEEEESD_jNS1_19radix_merge_compareILb0ELb0EiNS0_19identity_decomposerEEEEE10hipError_tT0_T1_T2_jT3_P12ihipStream_tbPNSt15iterator_traitsISI_E10value_typeEPNSO_ISJ_E10value_typeEPSK_NS1_7vsmem_tEENKUlT_SI_SJ_SK_E_clISD_PiSD_S10_EESH_SX_SI_SJ_SK_EUlSX_E0_NS1_11comp_targetILNS1_3genE0ELNS1_11target_archE4294967295ELNS1_3gpuE0ELNS1_3repE0EEENS1_38merge_mergepath_config_static_selectorELNS0_4arch9wavefront6targetE1EEEvSJ_,"axG",@progbits,_ZN7rocprim17ROCPRIM_400000_NS6detail17trampoline_kernelINS0_14default_configENS1_38merge_sort_block_merge_config_selectorIiiEEZZNS1_27merge_sort_block_merge_implIS3_N6thrust23THRUST_200600_302600_NS6detail15normal_iteratorINS8_10device_ptrIiEEEESD_jNS1_19radix_merge_compareILb0ELb0EiNS0_19identity_decomposerEEEEE10hipError_tT0_T1_T2_jT3_P12ihipStream_tbPNSt15iterator_traitsISI_E10value_typeEPNSO_ISJ_E10value_typeEPSK_NS1_7vsmem_tEENKUlT_SI_SJ_SK_E_clISD_PiSD_S10_EESH_SX_SI_SJ_SK_EUlSX_E0_NS1_11comp_targetILNS1_3genE0ELNS1_11target_archE4294967295ELNS1_3gpuE0ELNS1_3repE0EEENS1_38merge_mergepath_config_static_selectorELNS0_4arch9wavefront6targetE1EEEvSJ_,comdat
	.protected	_ZN7rocprim17ROCPRIM_400000_NS6detail17trampoline_kernelINS0_14default_configENS1_38merge_sort_block_merge_config_selectorIiiEEZZNS1_27merge_sort_block_merge_implIS3_N6thrust23THRUST_200600_302600_NS6detail15normal_iteratorINS8_10device_ptrIiEEEESD_jNS1_19radix_merge_compareILb0ELb0EiNS0_19identity_decomposerEEEEE10hipError_tT0_T1_T2_jT3_P12ihipStream_tbPNSt15iterator_traitsISI_E10value_typeEPNSO_ISJ_E10value_typeEPSK_NS1_7vsmem_tEENKUlT_SI_SJ_SK_E_clISD_PiSD_S10_EESH_SX_SI_SJ_SK_EUlSX_E0_NS1_11comp_targetILNS1_3genE0ELNS1_11target_archE4294967295ELNS1_3gpuE0ELNS1_3repE0EEENS1_38merge_mergepath_config_static_selectorELNS0_4arch9wavefront6targetE1EEEvSJ_ ; -- Begin function _ZN7rocprim17ROCPRIM_400000_NS6detail17trampoline_kernelINS0_14default_configENS1_38merge_sort_block_merge_config_selectorIiiEEZZNS1_27merge_sort_block_merge_implIS3_N6thrust23THRUST_200600_302600_NS6detail15normal_iteratorINS8_10device_ptrIiEEEESD_jNS1_19radix_merge_compareILb0ELb0EiNS0_19identity_decomposerEEEEE10hipError_tT0_T1_T2_jT3_P12ihipStream_tbPNSt15iterator_traitsISI_E10value_typeEPNSO_ISJ_E10value_typeEPSK_NS1_7vsmem_tEENKUlT_SI_SJ_SK_E_clISD_PiSD_S10_EESH_SX_SI_SJ_SK_EUlSX_E0_NS1_11comp_targetILNS1_3genE0ELNS1_11target_archE4294967295ELNS1_3gpuE0ELNS1_3repE0EEENS1_38merge_mergepath_config_static_selectorELNS0_4arch9wavefront6targetE1EEEvSJ_
	.globl	_ZN7rocprim17ROCPRIM_400000_NS6detail17trampoline_kernelINS0_14default_configENS1_38merge_sort_block_merge_config_selectorIiiEEZZNS1_27merge_sort_block_merge_implIS3_N6thrust23THRUST_200600_302600_NS6detail15normal_iteratorINS8_10device_ptrIiEEEESD_jNS1_19radix_merge_compareILb0ELb0EiNS0_19identity_decomposerEEEEE10hipError_tT0_T1_T2_jT3_P12ihipStream_tbPNSt15iterator_traitsISI_E10value_typeEPNSO_ISJ_E10value_typeEPSK_NS1_7vsmem_tEENKUlT_SI_SJ_SK_E_clISD_PiSD_S10_EESH_SX_SI_SJ_SK_EUlSX_E0_NS1_11comp_targetILNS1_3genE0ELNS1_11target_archE4294967295ELNS1_3gpuE0ELNS1_3repE0EEENS1_38merge_mergepath_config_static_selectorELNS0_4arch9wavefront6targetE1EEEvSJ_
	.p2align	8
	.type	_ZN7rocprim17ROCPRIM_400000_NS6detail17trampoline_kernelINS0_14default_configENS1_38merge_sort_block_merge_config_selectorIiiEEZZNS1_27merge_sort_block_merge_implIS3_N6thrust23THRUST_200600_302600_NS6detail15normal_iteratorINS8_10device_ptrIiEEEESD_jNS1_19radix_merge_compareILb0ELb0EiNS0_19identity_decomposerEEEEE10hipError_tT0_T1_T2_jT3_P12ihipStream_tbPNSt15iterator_traitsISI_E10value_typeEPNSO_ISJ_E10value_typeEPSK_NS1_7vsmem_tEENKUlT_SI_SJ_SK_E_clISD_PiSD_S10_EESH_SX_SI_SJ_SK_EUlSX_E0_NS1_11comp_targetILNS1_3genE0ELNS1_11target_archE4294967295ELNS1_3gpuE0ELNS1_3repE0EEENS1_38merge_mergepath_config_static_selectorELNS0_4arch9wavefront6targetE1EEEvSJ_,@function
_ZN7rocprim17ROCPRIM_400000_NS6detail17trampoline_kernelINS0_14default_configENS1_38merge_sort_block_merge_config_selectorIiiEEZZNS1_27merge_sort_block_merge_implIS3_N6thrust23THRUST_200600_302600_NS6detail15normal_iteratorINS8_10device_ptrIiEEEESD_jNS1_19radix_merge_compareILb0ELb0EiNS0_19identity_decomposerEEEEE10hipError_tT0_T1_T2_jT3_P12ihipStream_tbPNSt15iterator_traitsISI_E10value_typeEPNSO_ISJ_E10value_typeEPSK_NS1_7vsmem_tEENKUlT_SI_SJ_SK_E_clISD_PiSD_S10_EESH_SX_SI_SJ_SK_EUlSX_E0_NS1_11comp_targetILNS1_3genE0ELNS1_11target_archE4294967295ELNS1_3gpuE0ELNS1_3repE0EEENS1_38merge_mergepath_config_static_selectorELNS0_4arch9wavefront6targetE1EEEvSJ_: ; @_ZN7rocprim17ROCPRIM_400000_NS6detail17trampoline_kernelINS0_14default_configENS1_38merge_sort_block_merge_config_selectorIiiEEZZNS1_27merge_sort_block_merge_implIS3_N6thrust23THRUST_200600_302600_NS6detail15normal_iteratorINS8_10device_ptrIiEEEESD_jNS1_19radix_merge_compareILb0ELb0EiNS0_19identity_decomposerEEEEE10hipError_tT0_T1_T2_jT3_P12ihipStream_tbPNSt15iterator_traitsISI_E10value_typeEPNSO_ISJ_E10value_typeEPSK_NS1_7vsmem_tEENKUlT_SI_SJ_SK_E_clISD_PiSD_S10_EESH_SX_SI_SJ_SK_EUlSX_E0_NS1_11comp_targetILNS1_3genE0ELNS1_11target_archE4294967295ELNS1_3gpuE0ELNS1_3repE0EEENS1_38merge_mergepath_config_static_selectorELNS0_4arch9wavefront6targetE1EEEvSJ_
; %bb.0:
	s_load_dwordx2 s[28:29], s[0:1], 0x40
	s_load_dword s5, s[0:1], 0x30
	s_add_u32 s24, s0, 64
	s_addc_u32 s25, s1, 0
	s_waitcnt lgkmcnt(0)
	s_mul_i32 s4, s29, s4
	s_add_i32 s3, s4, s3
	s_mul_i32 s3, s3, s28
	s_add_i32 s26, s3, s2
	s_cmp_ge_u32 s26, s5
	s_cbranch_scc1 .LBB1319_46
; %bb.1:
	s_load_dwordx8 s[8:15], s[0:1], 0x10
	s_load_dwordx2 s[20:21], s[0:1], 0x8
	s_load_dwordx2 s[4:5], s[0:1], 0x38
	s_mov_b32 s27, 0
	s_mov_b32 s23, s27
	s_waitcnt lgkmcnt(0)
	s_lshr_b32 s29, s14, 10
	s_cmp_lg_u32 s26, s29
	s_cselect_b64 s[18:19], -1, 0
	s_lshl_b64 s[0:1], s[26:27], 2
	s_add_u32 s0, s4, s0
	s_addc_u32 s1, s5, s1
	s_load_dwordx2 s[4:5], s[0:1], 0x0
	s_lshr_b32 s0, s15, 9
	s_and_b32 s0, s0, 0x7ffffe
	s_sub_i32 s0, 0, s0
	s_and_b32 s1, s26, s0
	s_lshl_b32 s3, s1, 10
	s_lshl_b32 s16, s26, 10
	;; [unrolled: 1-line block ×3, first 2 shown]
	s_sub_i32 s6, s16, s3
	s_add_i32 s1, s1, s15
	s_add_i32 s6, s1, s6
	s_waitcnt lgkmcnt(0)
	s_sub_i32 s7, s6, s4
	s_sub_i32 s6, s6, s5
	;; [unrolled: 1-line block ×3, first 2 shown]
	s_min_u32 s22, s14, s7
	s_addk_i32 s6, 0x400
	s_or_b32 s0, s26, s0
	s_min_u32 s3, s14, s1
	s_add_i32 s1, s1, s15
	s_cmp_eq_u32 s0, -1
	s_cselect_b32 s0, s1, s6
	s_cselect_b32 s1, s3, s5
	s_mov_b32 s5, s27
	s_min_u32 s17, s0, s14
	s_sub_i32 s15, s1, s4
	s_lshl_b64 s[0:1], s[4:5], 2
	s_add_u32 s6, s20, s0
	s_addc_u32 s7, s21, s1
	s_lshl_b64 s[4:5], s[22:23], 2
	s_add_u32 s20, s20, s4
	s_addc_u32 s21, s21, s5
	s_cmp_lt_u32 s2, s28
	v_mov_b32_e32 v5, 0
	s_cselect_b32 s2, 12, 18
	global_load_dword v1, v5, s[24:25] offset:14
	s_add_u32 s2, s24, s2
	s_addc_u32 s3, s25, 0
	global_load_ushort v2, v5, s[2:3]
	s_cmp_eq_u32 s26, s29
	v_lshlrev_b32_e32 v10, 2, v0
	s_waitcnt vmcnt(1)
	v_lshrrev_b32_e32 v3, 16, v1
	v_and_b32_e32 v1, 0xffff, v1
	v_mul_lo_u32 v1, v1, v3
	s_waitcnt vmcnt(0)
	v_mul_lo_u32 v1, v1, v2
	v_add_u32_e32 v14, v1, v0
	v_add_u32_e32 v12, v14, v1
	s_cbranch_scc1 .LBB1319_3
; %bb.2:
	v_mov_b32_e32 v11, v5
	v_subrev_co_u32_e32 v4, vcc, s15, v0
	v_lshl_add_u64 v[2:3], s[6:7], 0, v[10:11]
	v_lshl_add_u64 v[6:7], v[4:5], 2, s[20:21]
	v_cndmask_b32_e32 v3, v7, v3, vcc
	v_cndmask_b32_e32 v2, v6, v2, vcc
	v_mov_b32_e32 v15, v5
	v_subrev_co_u32_e32 v4, vcc, s15, v14
	v_lshl_add_u64 v[6:7], v[14:15], 2, s[6:7]
	v_lshl_add_u64 v[8:9], v[4:5], 2, s[20:21]
	v_cndmask_b32_e32 v7, v9, v7, vcc
	v_cndmask_b32_e32 v6, v8, v6, vcc
	v_mov_b32_e32 v13, v5
	v_subrev_co_u32_e32 v4, vcc, s15, v12
	global_load_dword v2, v[2:3], off
	v_lshl_add_u64 v[8:9], v[4:5], 2, s[20:21]
	global_load_dword v3, v[6:7], off
	v_lshl_add_u64 v[6:7], v[12:13], 2, s[6:7]
	v_cndmask_b32_e32 v7, v9, v7, vcc
	v_cndmask_b32_e32 v6, v8, v6, vcc
	global_load_dword v4, v[6:7], off
	v_add_u32_e32 v6, v12, v1
	s_mov_b64 s[2:3], -1
	s_sub_i32 s17, s17, s22
	s_cbranch_execz .LBB1319_4
	s_branch .LBB1319_9
.LBB1319_3:
	s_mov_b64 s[2:3], 0
                                        ; implicit-def: $vgpr6
                                        ; implicit-def: $vgpr2_vgpr3_vgpr4_vgpr5
	s_sub_i32 s17, s17, s22
.LBB1319_4:
	s_add_i32 s22, s17, s15
	s_waitcnt vmcnt(2)
	v_mov_b32_e32 v2, 0
	v_cmp_gt_u32_e32 vcc, s22, v0
	s_waitcnt vmcnt(1)
	v_mov_b32_e32 v3, v2
	s_waitcnt vmcnt(0)
	v_mov_b32_e32 v4, v2
	v_mov_b32_e32 v5, v2
	s_and_saveexec_b64 s[2:3], vcc
	s_cbranch_execnz .LBB1319_47
; %bb.5:
	s_or_b64 exec, exec, s[2:3]
	v_cmp_gt_u32_e32 vcc, s22, v14
	s_and_saveexec_b64 s[2:3], vcc
	s_cbranch_execnz .LBB1319_48
.LBB1319_6:
	s_or_b64 exec, exec, s[2:3]
	v_cmp_gt_u32_e32 vcc, s22, v12
	s_and_saveexec_b64 s[2:3], vcc
	s_cbranch_execz .LBB1319_8
.LBB1319_7:
	v_mov_b32_e32 v13, 0
	v_subrev_co_u32_e32 v8, vcc, s15, v12
	v_mov_b32_e32 v9, v13
	v_lshl_add_u64 v[6:7], v[12:13], 2, s[6:7]
	v_lshl_add_u64 v[8:9], v[8:9], 2, s[20:21]
	v_cndmask_b32_e32 v7, v9, v7, vcc
	v_cndmask_b32_e32 v6, v8, v6, vcc
	global_load_dword v4, v[6:7], off
.LBB1319_8:
	s_or_b64 exec, exec, s[2:3]
	v_add_u32_e32 v6, v12, v1
	v_cmp_gt_u32_e64 s[2:3], s22, v6
.LBB1319_9:
	s_and_saveexec_b64 s[22:23], s[2:3]
	s_cbranch_execz .LBB1319_11
; %bb.10:
	v_mov_b32_e32 v9, 0
	v_mov_b32_e32 v7, v9
	v_subrev_co_u32_e32 v8, vcc, s15, v6
	v_lshl_add_u64 v[16:17], v[6:7], 2, s[6:7]
	v_lshl_add_u64 v[6:7], v[8:9], 2, s[20:21]
	v_cndmask_b32_e32 v7, v7, v17, vcc
	v_cndmask_b32_e32 v6, v6, v16, vcc
	global_load_dword v5, v[6:7], off
.LBB1319_11:
	s_or_b64 exec, exec, s[22:23]
	s_add_u32 s0, s10, s0
	s_addc_u32 s1, s11, s1
	s_add_u32 s2, s10, s4
	v_mov_b32_e32 v9, 0
	s_addc_u32 s3, s11, s5
	s_andn2_b64 vcc, exec, s[18:19]
	s_waitcnt vmcnt(0)
	ds_write2st64_b32 v10, v2, v3 offset1:4
	ds_write2st64_b32 v10, v4, v5 offset0:8 offset1:12
	s_cbranch_vccnz .LBB1319_13
; %bb.12:
	v_mov_b32_e32 v11, v9
	v_subrev_co_u32_e32 v8, vcc, s15, v0
	v_lshl_add_u64 v[6:7], s[0:1], 0, v[10:11]
	v_lshl_add_u64 v[16:17], v[8:9], 2, s[2:3]
	v_cndmask_b32_e32 v7, v17, v7, vcc
	v_cndmask_b32_e32 v6, v16, v6, vcc
	v_mov_b32_e32 v15, v9
	v_subrev_co_u32_e32 v8, vcc, s15, v14
	v_lshl_add_u64 v[16:17], v[14:15], 2, s[0:1]
	v_lshl_add_u64 v[18:19], v[8:9], 2, s[2:3]
	v_cndmask_b32_e32 v17, v19, v17, vcc
	v_cndmask_b32_e32 v16, v18, v16, vcc
	v_mov_b32_e32 v13, v9
	v_subrev_co_u32_e32 v8, vcc, s15, v12
	global_load_dword v6, v[6:7], off
	v_lshl_add_u64 v[18:19], v[8:9], 2, s[2:3]
	global_load_dword v7, v[16:17], off
	v_lshl_add_u64 v[16:17], v[12:13], 2, s[0:1]
	v_cndmask_b32_e32 v17, v19, v17, vcc
	v_cndmask_b32_e32 v16, v18, v16, vcc
	global_load_dword v8, v[16:17], off
	s_add_i32 s10, s17, s15
	v_add_u32_e32 v16, v12, v1
	s_mov_b64 s[4:5], -1
	v_mov_b32_e32 v11, s10
	s_cbranch_execz .LBB1319_14
	s_branch .LBB1319_19
.LBB1319_13:
	s_mov_b64 s[4:5], 0
                                        ; implicit-def: $vgpr16
                                        ; implicit-def: $vgpr6_vgpr7_vgpr8_vgpr9
                                        ; implicit-def: $vgpr11
.LBB1319_14:
	s_add_i32 s6, s17, s15
	s_waitcnt vmcnt(2)
	v_mov_b32_e32 v6, 0
	v_cmp_gt_u32_e32 vcc, s6, v0
	s_waitcnt vmcnt(1)
	v_mov_b32_e32 v7, v6
	s_waitcnt vmcnt(0)
	v_mov_b32_e32 v8, v6
	v_mov_b32_e32 v9, v6
	s_and_saveexec_b64 s[4:5], vcc
	s_cbranch_execnz .LBB1319_49
; %bb.15:
	s_or_b64 exec, exec, s[4:5]
	v_cmp_gt_u32_e32 vcc, s6, v14
	s_and_saveexec_b64 s[4:5], vcc
	s_cbranch_execnz .LBB1319_50
.LBB1319_16:
	s_or_b64 exec, exec, s[4:5]
	v_cmp_gt_u32_e32 vcc, s6, v12
	s_and_saveexec_b64 s[4:5], vcc
	s_cbranch_execz .LBB1319_18
.LBB1319_17:
	v_mov_b32_e32 v13, 0
	v_subrev_co_u32_e32 v16, vcc, s15, v12
	v_mov_b32_e32 v17, v13
	v_lshl_add_u64 v[14:15], v[12:13], 2, s[0:1]
	v_lshl_add_u64 v[16:17], v[16:17], 2, s[2:3]
	v_cndmask_b32_e32 v15, v17, v15, vcc
	v_cndmask_b32_e32 v14, v16, v14, vcc
	global_load_dword v8, v[14:15], off
.LBB1319_18:
	s_or_b64 exec, exec, s[4:5]
	v_add_u32_e32 v16, v12, v1
	v_cmp_gt_u32_e64 s[4:5], s6, v16
	v_mov_b32_e32 v11, s6
.LBB1319_19:
	s_and_saveexec_b64 s[6:7], s[4:5]
	s_cbranch_execz .LBB1319_21
; %bb.20:
	v_mov_b32_e32 v13, 0
	v_mov_b32_e32 v17, v13
	v_subrev_co_u32_e32 v12, vcc, s15, v16
	v_lshl_add_u64 v[14:15], v[16:17], 2, s[0:1]
	v_lshl_add_u64 v[12:13], v[12:13], 2, s[2:3]
	v_cndmask_b32_e32 v13, v13, v15, vcc
	v_cndmask_b32_e32 v12, v12, v14, vcc
	global_load_dword v9, v[12:13], off
.LBB1319_21:
	s_or_b64 exec, exec, s[6:7]
	v_min_u32_e32 v12, v11, v10
	v_sub_u32_e64 v1, v12, s17 clamp
	v_min_u32_e32 v13, s15, v12
	v_cmp_lt_u32_e32 vcc, v1, v13
	s_waitcnt lgkmcnt(0)
	s_barrier
	s_and_saveexec_b64 s[0:1], vcc
	s_cbranch_execz .LBB1319_25
; %bb.22:
	v_lshlrev_b32_e32 v14, 2, v12
	v_lshl_add_u32 v14, s15, 2, v14
	s_mov_b64 s[2:3], 0
.LBB1319_23:                            ; =>This Inner Loop Header: Depth=1
	v_add_u32_e32 v15, v13, v1
	v_lshrrev_b32_e32 v15, 1, v15
	v_not_b32_e32 v16, v15
	v_lshlrev_b32_e32 v17, 2, v15
	v_lshl_add_u32 v16, v16, 2, v14
	ds_read_b32 v17, v17
	ds_read_b32 v16, v16
	v_add_u32_e32 v18, 1, v15
	s_waitcnt lgkmcnt(0)
	v_cmp_gt_i32_e32 vcc, v17, v16
	s_nop 1
	v_cndmask_b32_e32 v13, v13, v15, vcc
	v_cndmask_b32_e32 v1, v18, v1, vcc
	v_cmp_ge_u32_e32 vcc, v1, v13
	s_or_b64 s[2:3], vcc, s[2:3]
	s_andn2_b64 exec, exec, s[2:3]
	s_cbranch_execnz .LBB1319_23
; %bb.24:
	s_or_b64 exec, exec, s[2:3]
.LBB1319_25:
	s_or_b64 exec, exec, s[0:1]
	v_sub_u32_e32 v12, v12, v1
	v_add_u32_e32 v15, s15, v12
	v_cmp_ge_u32_e32 vcc, s15, v1
	v_cmp_le_u32_e64 s[0:1], v15, v11
	s_or_b64 s[0:1], vcc, s[0:1]
	v_mov_b32_e32 v16, 0
	v_mov_b32_e32 v14, 0
	;; [unrolled: 1-line block ×4, first 2 shown]
	s_and_saveexec_b64 s[10:11], s[0:1]
	s_cbranch_execz .LBB1319_31
; %bb.26:
	v_cmp_gt_u32_e32 vcc, s15, v1
                                        ; implicit-def: $vgpr2
	s_and_saveexec_b64 s[0:1], vcc
; %bb.27:
	v_lshlrev_b32_e32 v2, 2, v1
	ds_read_b32 v2, v2
; %bb.28:
	s_or_b64 exec, exec, s[0:1]
	v_cmp_ge_u32_e64 s[0:1], v15, v11
	v_cmp_lt_u32_e64 s[2:3], v15, v11
                                        ; implicit-def: $vgpr3
	s_and_saveexec_b64 s[4:5], s[2:3]
; %bb.29:
	v_lshlrev_b32_e32 v3, 2, v15
	ds_read_b32 v3, v3
; %bb.30:
	s_or_b64 exec, exec, s[4:5]
	s_waitcnt lgkmcnt(0)
	v_cmp_le_i32_e64 s[2:3], v2, v3
	s_and_b64 s[2:3], vcc, s[2:3]
	s_or_b64 vcc, s[0:1], s[2:3]
	v_mov_b32_e32 v4, s15
	v_cndmask_b32_e32 v12, v15, v1, vcc
	v_cndmask_b32_e32 v5, v11, v4, vcc
	v_add_u32_e32 v13, 1, v12
	v_add_u32_e32 v5, -1, v5
	v_min_u32_e32 v5, v13, v5
	v_lshlrev_b32_e32 v5, 2, v5
	ds_read_b32 v5, v5
	v_cndmask_b32_e32 v1, v1, v13, vcc
	v_cndmask_b32_e32 v14, v13, v15, vcc
	v_cmp_gt_u32_e64 s[2:3], s15, v1
	v_cmp_ge_u32_e64 s[0:1], v14, v11
	s_waitcnt lgkmcnt(0)
	v_cndmask_b32_e32 v16, v5, v3, vcc
	v_cndmask_b32_e32 v5, v2, v5, vcc
	v_cmp_le_i32_e64 s[4:5], v5, v16
	s_and_b64 s[2:3], s[2:3], s[4:5]
	s_or_b64 s[0:1], s[0:1], s[2:3]
	v_cndmask_b32_e64 v13, v14, v1, s[0:1]
	v_cndmask_b32_e64 v15, v11, v4, s[0:1]
	v_add_u32_e32 v17, 1, v13
	v_add_u32_e32 v15, -1, v15
	v_min_u32_e32 v15, v17, v15
	v_lshlrev_b32_e32 v15, 2, v15
	ds_read_b32 v15, v15
	v_cndmask_b32_e64 v1, v1, v17, s[0:1]
	v_cndmask_b32_e64 v19, v17, v14, s[0:1]
	v_cmp_gt_u32_e64 s[4:5], s15, v1
	v_cmp_ge_u32_e64 s[2:3], v19, v11
	s_waitcnt lgkmcnt(0)
	v_cndmask_b32_e64 v18, v15, v16, s[0:1]
	v_cndmask_b32_e64 v15, v5, v15, s[0:1]
	v_cmp_le_i32_e64 s[6:7], v15, v18
	s_and_b64 s[4:5], s[4:5], s[6:7]
	s_or_b64 s[2:3], s[2:3], s[4:5]
	v_cndmask_b32_e64 v14, v19, v1, s[2:3]
	v_cndmask_b32_e64 v4, v11, v4, s[2:3]
	v_add_u32_e32 v17, 1, v14
	v_add_u32_e32 v4, -1, v4
	v_min_u32_e32 v4, v17, v4
	v_lshlrev_b32_e32 v4, 2, v4
	ds_read_b32 v20, v4
	v_cndmask_b32_e32 v2, v3, v2, vcc
	v_cndmask_b32_e64 v3, v16, v5, s[0:1]
	v_cndmask_b32_e64 v4, v18, v15, s[2:3]
	;; [unrolled: 1-line block ×3, first 2 shown]
	s_waitcnt lgkmcnt(0)
	v_cndmask_b32_e64 v5, v20, v18, s[2:3]
	v_cndmask_b32_e64 v15, v15, v20, s[2:3]
	;; [unrolled: 1-line block ×3, first 2 shown]
	v_cmp_gt_u32_e64 s[0:1], s15, v1
	v_cmp_le_i32_e64 s[2:3], v15, v5
	v_cmp_ge_u32_e32 vcc, v16, v11
	s_and_b64 s[0:1], s[0:1], s[2:3]
	s_or_b64 vcc, vcc, s[0:1]
	v_cndmask_b32_e32 v16, v16, v1, vcc
	v_cndmask_b32_e32 v5, v5, v15, vcc
.LBB1319_31:
	s_or_b64 exec, exec, s[10:11]
	s_barrier
	s_waitcnt vmcnt(0)
	ds_write2st64_b32 v10, v6, v7 offset1:4
	ds_write2st64_b32 v10, v8, v9 offset0:8 offset1:12
	v_lshrrev_b32_e32 v11, 3, v0
	v_lshlrev_b32_e32 v9, 2, v10
	v_lshlrev_b32_e32 v1, 2, v12
	;; [unrolled: 1-line block ×5, first 2 shown]
	v_lshl_add_u32 v9, v11, 2, v9
	s_waitcnt lgkmcnt(0)
	s_barrier
	ds_read_b32 v1, v1
	ds_read_b32 v6, v6
	ds_read_b32 v7, v7
	ds_read_b32 v8, v8
	s_waitcnt lgkmcnt(0)
	s_barrier
	s_barrier
	ds_write2_b32 v9, v2, v3 offset1:1
	ds_write2_b32 v9, v4, v5 offset0:2 offset1:3
	v_and_b32_e32 v2, 28, v11
	v_or_b32_e32 v16, 0x100, v0
	v_add_u32_e32 v4, v2, v10
	v_lshrrev_b32_e32 v2, 3, v16
	v_and_b32_e32 v2, 60, v2
	v_or_b32_e32 v15, 0x200, v0
	s_mov_b32 s17, 0
	v_add_u32_e32 v5, v2, v10
	v_lshrrev_b32_e32 v2, 3, v15
	s_lshl_b64 s[4:5], s[16:17], 2
	v_and_b32_e32 v2, 0x5c, v2
	v_or_b32_e32 v14, 0x300, v0
	s_add_u32 s0, s8, s4
	v_add_u32_e32 v12, v2, v10
	v_lshrrev_b32_e32 v2, 3, v14
	s_addc_u32 s1, s9, s5
	v_and_b32_e32 v2, 0x7c, v2
	v_mov_b32_e32 v11, 0
	v_add_u32_e32 v13, v2, v10
	v_lshl_add_u64 v[2:3], s[0:1], 0, v[10:11]
	s_and_b64 vcc, exec, s[18:19]
	s_waitcnt lgkmcnt(0)
	s_cbranch_vccz .LBB1319_33
; %bb.32:
	s_barrier
	ds_read_b32 v11, v4
	ds_read_b32 v17, v5 offset:1024
	ds_read_b32 v18, v12 offset:2048
	;; [unrolled: 1-line block ×3, first 2 shown]
	s_add_u32 s0, s12, s4
	s_addc_u32 s1, s13, s5
	s_waitcnt lgkmcnt(3)
	global_store_dword v[2:3], v11, off
	s_waitcnt lgkmcnt(2)
	global_store_dword v[2:3], v17, off offset:1024
	s_waitcnt lgkmcnt(1)
	global_store_dword v[2:3], v18, off offset:2048
	;; [unrolled: 2-line block ×3, first 2 shown]
	s_barrier
	ds_write2_b32 v9, v1, v6 offset1:1
	ds_write2_b32 v9, v7, v8 offset0:2 offset1:3
	s_waitcnt lgkmcnt(0)
	s_barrier
	ds_read_b32 v11, v4
	ds_read_b32 v18, v5 offset:1024
	ds_read_b32 v19, v12 offset:2048
	;; [unrolled: 1-line block ×3, first 2 shown]
	s_waitcnt lgkmcnt(3)
	global_store_dword v10, v11, s[0:1]
	s_waitcnt lgkmcnt(2)
	global_store_dword v10, v18, s[0:1] offset:1024
	s_waitcnt lgkmcnt(1)
	global_store_dword v10, v19, s[0:1] offset:2048
	s_mov_b64 s[6:7], -1
	s_cbranch_execz .LBB1319_34
	s_branch .LBB1319_44
.LBB1319_33:
	s_mov_b64 s[6:7], 0
                                        ; implicit-def: $vgpr17
.LBB1319_34:
	s_barrier
	s_waitcnt lgkmcnt(0)
	ds_read_b32 v18, v5 offset:1024
	ds_read_b32 v17, v12 offset:2048
	;; [unrolled: 1-line block ×3, first 2 shown]
	s_sub_i32 s8, s14, s16
	v_cmp_gt_u32_e32 vcc, s8, v0
	s_and_saveexec_b64 s[0:1], vcc
	s_cbranch_execnz .LBB1319_51
; %bb.35:
	s_or_b64 exec, exec, s[0:1]
	v_cmp_gt_u32_e64 s[0:1], s8, v16
	s_and_saveexec_b64 s[2:3], s[0:1]
	s_cbranch_execnz .LBB1319_52
.LBB1319_36:
	s_or_b64 exec, exec, s[2:3]
	v_cmp_gt_u32_e64 s[2:3], s8, v15
	s_and_saveexec_b64 s[6:7], s[2:3]
	s_cbranch_execnz .LBB1319_53
.LBB1319_37:
	s_or_b64 exec, exec, s[6:7]
	v_cmp_gt_u32_e64 s[6:7], s8, v14
	s_and_saveexec_b64 s[8:9], s[6:7]
	s_cbranch_execz .LBB1319_39
.LBB1319_38:
	s_waitcnt lgkmcnt(0)
	global_store_dword v[2:3], v11, off offset:3072
.LBB1319_39:
	s_or_b64 exec, exec, s[8:9]
	s_waitcnt lgkmcnt(0)
	s_barrier
	ds_write2_b32 v9, v1, v6 offset1:1
	ds_write2_b32 v9, v7, v8 offset0:2 offset1:3
	s_waitcnt lgkmcnt(0)
	s_barrier
	ds_read_b32 v3, v5 offset:1024
	ds_read_b32 v2, v12 offset:2048
	;; [unrolled: 1-line block ×3, first 2 shown]
	s_add_u32 s8, s12, s4
	s_addc_u32 s9, s13, s5
	v_mov_b32_e32 v11, 0
	v_lshl_add_u64 v[0:1], s[8:9], 0, v[10:11]
	s_and_saveexec_b64 s[8:9], vcc
	s_cbranch_execnz .LBB1319_54
; %bb.40:
	s_or_b64 exec, exec, s[8:9]
	s_and_saveexec_b64 s[8:9], s[0:1]
	s_cbranch_execnz .LBB1319_55
.LBB1319_41:
	s_or_b64 exec, exec, s[8:9]
	s_and_saveexec_b64 s[0:1], s[2:3]
	s_cbranch_execz .LBB1319_43
.LBB1319_42:
	s_waitcnt lgkmcnt(1)
	global_store_dword v[0:1], v2, off offset:2048
.LBB1319_43:
	s_or_b64 exec, exec, s[0:1]
.LBB1319_44:
	s_and_saveexec_b64 s[0:1], s[6:7]
	s_cbranch_execz .LBB1319_46
; %bb.45:
	s_add_u32 s0, s12, s4
	s_addc_u32 s1, s13, s5
	s_waitcnt lgkmcnt(0)
	global_store_dword v10, v17, s[0:1] offset:3072
.LBB1319_46:
	s_endpgm
.LBB1319_47:
	v_mov_b32_e32 v11, v2
	v_subrev_co_u32_e32 v6, vcc, s15, v0
	v_mov_b32_e32 v7, v2
	v_lshl_add_u64 v[4:5], s[6:7], 0, v[10:11]
	v_lshl_add_u64 v[6:7], v[6:7], 2, s[20:21]
	v_cndmask_b32_e32 v5, v7, v5, vcc
	v_cndmask_b32_e32 v4, v6, v4, vcc
	global_load_dword v4, v[4:5], off
	v_mov_b32_e32 v5, v2
	v_mov_b32_e32 v6, v2
	v_mov_b32_e32 v7, v2
	s_waitcnt vmcnt(0)
	v_mov_b64_e32 v[2:3], v[4:5]
	v_mov_b64_e32 v[4:5], v[6:7]
	s_or_b64 exec, exec, s[2:3]
	v_cmp_gt_u32_e32 vcc, s22, v14
	s_and_saveexec_b64 s[2:3], vcc
	s_cbranch_execz .LBB1319_6
.LBB1319_48:
	v_mov_b32_e32 v15, 0
	v_subrev_co_u32_e32 v8, vcc, s15, v14
	v_mov_b32_e32 v9, v15
	v_lshl_add_u64 v[6:7], v[14:15], 2, s[6:7]
	v_lshl_add_u64 v[8:9], v[8:9], 2, s[20:21]
	v_cndmask_b32_e32 v7, v9, v7, vcc
	v_cndmask_b32_e32 v6, v8, v6, vcc
	global_load_dword v3, v[6:7], off
	s_or_b64 exec, exec, s[2:3]
	v_cmp_gt_u32_e32 vcc, s22, v12
	s_and_saveexec_b64 s[2:3], vcc
	s_cbranch_execnz .LBB1319_7
	s_branch .LBB1319_8
.LBB1319_49:
	v_mov_b32_e32 v11, v6
	v_subrev_co_u32_e32 v16, vcc, s15, v0
	v_mov_b32_e32 v17, v6
	v_lshl_add_u64 v[8:9], s[0:1], 0, v[10:11]
	v_lshl_add_u64 v[16:17], v[16:17], 2, s[2:3]
	v_cndmask_b32_e32 v9, v17, v9, vcc
	v_cndmask_b32_e32 v8, v16, v8, vcc
	global_load_dword v16, v[8:9], off
	v_mov_b32_e32 v17, v6
	v_mov_b32_e32 v18, v6
	;; [unrolled: 1-line block ×3, first 2 shown]
	s_waitcnt vmcnt(0)
	v_mov_b64_e32 v[6:7], v[16:17]
	v_mov_b64_e32 v[8:9], v[18:19]
	s_or_b64 exec, exec, s[4:5]
	v_cmp_gt_u32_e32 vcc, s6, v14
	s_and_saveexec_b64 s[4:5], vcc
	s_cbranch_execz .LBB1319_16
.LBB1319_50:
	v_mov_b32_e32 v15, 0
	v_lshl_add_u64 v[16:17], v[14:15], 2, s[0:1]
	v_subrev_co_u32_e32 v14, vcc, s15, v14
	v_lshl_add_u64 v[14:15], v[14:15], 2, s[2:3]
	s_nop 0
	v_cndmask_b32_e32 v15, v15, v17, vcc
	v_cndmask_b32_e32 v14, v14, v16, vcc
	global_load_dword v7, v[14:15], off
	s_or_b64 exec, exec, s[4:5]
	v_cmp_gt_u32_e32 vcc, s6, v12
	s_and_saveexec_b64 s[4:5], vcc
	s_cbranch_execnz .LBB1319_17
	s_branch .LBB1319_18
.LBB1319_51:
	ds_read_b32 v0, v4
	s_waitcnt lgkmcnt(0)
	global_store_dword v[2:3], v0, off
	s_or_b64 exec, exec, s[0:1]
	v_cmp_gt_u32_e64 s[0:1], s8, v16
	s_and_saveexec_b64 s[2:3], s[0:1]
	s_cbranch_execz .LBB1319_36
.LBB1319_52:
	s_waitcnt lgkmcnt(2)
	global_store_dword v[2:3], v18, off offset:1024
	s_or_b64 exec, exec, s[2:3]
	v_cmp_gt_u32_e64 s[2:3], s8, v15
	s_and_saveexec_b64 s[6:7], s[2:3]
	s_cbranch_execz .LBB1319_37
.LBB1319_53:
	s_waitcnt lgkmcnt(1)
	global_store_dword v[2:3], v17, off offset:2048
	s_or_b64 exec, exec, s[6:7]
	v_cmp_gt_u32_e64 s[6:7], s8, v14
	s_and_saveexec_b64 s[8:9], s[6:7]
	s_cbranch_execnz .LBB1319_38
	s_branch .LBB1319_39
.LBB1319_54:
	ds_read_b32 v4, v4
	s_waitcnt lgkmcnt(0)
	global_store_dword v[0:1], v4, off
	s_or_b64 exec, exec, s[8:9]
	s_and_saveexec_b64 s[8:9], s[0:1]
	s_cbranch_execz .LBB1319_41
.LBB1319_55:
	s_waitcnt lgkmcnt(2)
	global_store_dword v[0:1], v3, off offset:1024
	s_or_b64 exec, exec, s[8:9]
	s_and_saveexec_b64 s[0:1], s[2:3]
	s_cbranch_execnz .LBB1319_42
	s_branch .LBB1319_43
	.section	.rodata,"a",@progbits
	.p2align	6, 0x0
	.amdhsa_kernel _ZN7rocprim17ROCPRIM_400000_NS6detail17trampoline_kernelINS0_14default_configENS1_38merge_sort_block_merge_config_selectorIiiEEZZNS1_27merge_sort_block_merge_implIS3_N6thrust23THRUST_200600_302600_NS6detail15normal_iteratorINS8_10device_ptrIiEEEESD_jNS1_19radix_merge_compareILb0ELb0EiNS0_19identity_decomposerEEEEE10hipError_tT0_T1_T2_jT3_P12ihipStream_tbPNSt15iterator_traitsISI_E10value_typeEPNSO_ISJ_E10value_typeEPSK_NS1_7vsmem_tEENKUlT_SI_SJ_SK_E_clISD_PiSD_S10_EESH_SX_SI_SJ_SK_EUlSX_E0_NS1_11comp_targetILNS1_3genE0ELNS1_11target_archE4294967295ELNS1_3gpuE0ELNS1_3repE0EEENS1_38merge_mergepath_config_static_selectorELNS0_4arch9wavefront6targetE1EEEvSJ_
		.amdhsa_group_segment_fixed_size 4224
		.amdhsa_private_segment_fixed_size 0
		.amdhsa_kernarg_size 320
		.amdhsa_user_sgpr_count 2
		.amdhsa_user_sgpr_dispatch_ptr 0
		.amdhsa_user_sgpr_queue_ptr 0
		.amdhsa_user_sgpr_kernarg_segment_ptr 1
		.amdhsa_user_sgpr_dispatch_id 0
		.amdhsa_user_sgpr_kernarg_preload_length 0
		.amdhsa_user_sgpr_kernarg_preload_offset 0
		.amdhsa_user_sgpr_private_segment_size 0
		.amdhsa_uses_dynamic_stack 0
		.amdhsa_enable_private_segment 0
		.amdhsa_system_sgpr_workgroup_id_x 1
		.amdhsa_system_sgpr_workgroup_id_y 1
		.amdhsa_system_sgpr_workgroup_id_z 1
		.amdhsa_system_sgpr_workgroup_info 0
		.amdhsa_system_vgpr_workitem_id 0
		.amdhsa_next_free_vgpr 21
		.amdhsa_next_free_sgpr 30
		.amdhsa_accum_offset 24
		.amdhsa_reserve_vcc 1
		.amdhsa_float_round_mode_32 0
		.amdhsa_float_round_mode_16_64 0
		.amdhsa_float_denorm_mode_32 3
		.amdhsa_float_denorm_mode_16_64 3
		.amdhsa_dx10_clamp 1
		.amdhsa_ieee_mode 1
		.amdhsa_fp16_overflow 0
		.amdhsa_tg_split 0
		.amdhsa_exception_fp_ieee_invalid_op 0
		.amdhsa_exception_fp_denorm_src 0
		.amdhsa_exception_fp_ieee_div_zero 0
		.amdhsa_exception_fp_ieee_overflow 0
		.amdhsa_exception_fp_ieee_underflow 0
		.amdhsa_exception_fp_ieee_inexact 0
		.amdhsa_exception_int_div_zero 0
	.end_amdhsa_kernel
	.section	.text._ZN7rocprim17ROCPRIM_400000_NS6detail17trampoline_kernelINS0_14default_configENS1_38merge_sort_block_merge_config_selectorIiiEEZZNS1_27merge_sort_block_merge_implIS3_N6thrust23THRUST_200600_302600_NS6detail15normal_iteratorINS8_10device_ptrIiEEEESD_jNS1_19radix_merge_compareILb0ELb0EiNS0_19identity_decomposerEEEEE10hipError_tT0_T1_T2_jT3_P12ihipStream_tbPNSt15iterator_traitsISI_E10value_typeEPNSO_ISJ_E10value_typeEPSK_NS1_7vsmem_tEENKUlT_SI_SJ_SK_E_clISD_PiSD_S10_EESH_SX_SI_SJ_SK_EUlSX_E0_NS1_11comp_targetILNS1_3genE0ELNS1_11target_archE4294967295ELNS1_3gpuE0ELNS1_3repE0EEENS1_38merge_mergepath_config_static_selectorELNS0_4arch9wavefront6targetE1EEEvSJ_,"axG",@progbits,_ZN7rocprim17ROCPRIM_400000_NS6detail17trampoline_kernelINS0_14default_configENS1_38merge_sort_block_merge_config_selectorIiiEEZZNS1_27merge_sort_block_merge_implIS3_N6thrust23THRUST_200600_302600_NS6detail15normal_iteratorINS8_10device_ptrIiEEEESD_jNS1_19radix_merge_compareILb0ELb0EiNS0_19identity_decomposerEEEEE10hipError_tT0_T1_T2_jT3_P12ihipStream_tbPNSt15iterator_traitsISI_E10value_typeEPNSO_ISJ_E10value_typeEPSK_NS1_7vsmem_tEENKUlT_SI_SJ_SK_E_clISD_PiSD_S10_EESH_SX_SI_SJ_SK_EUlSX_E0_NS1_11comp_targetILNS1_3genE0ELNS1_11target_archE4294967295ELNS1_3gpuE0ELNS1_3repE0EEENS1_38merge_mergepath_config_static_selectorELNS0_4arch9wavefront6targetE1EEEvSJ_,comdat
.Lfunc_end1319:
	.size	_ZN7rocprim17ROCPRIM_400000_NS6detail17trampoline_kernelINS0_14default_configENS1_38merge_sort_block_merge_config_selectorIiiEEZZNS1_27merge_sort_block_merge_implIS3_N6thrust23THRUST_200600_302600_NS6detail15normal_iteratorINS8_10device_ptrIiEEEESD_jNS1_19radix_merge_compareILb0ELb0EiNS0_19identity_decomposerEEEEE10hipError_tT0_T1_T2_jT3_P12ihipStream_tbPNSt15iterator_traitsISI_E10value_typeEPNSO_ISJ_E10value_typeEPSK_NS1_7vsmem_tEENKUlT_SI_SJ_SK_E_clISD_PiSD_S10_EESH_SX_SI_SJ_SK_EUlSX_E0_NS1_11comp_targetILNS1_3genE0ELNS1_11target_archE4294967295ELNS1_3gpuE0ELNS1_3repE0EEENS1_38merge_mergepath_config_static_selectorELNS0_4arch9wavefront6targetE1EEEvSJ_, .Lfunc_end1319-_ZN7rocprim17ROCPRIM_400000_NS6detail17trampoline_kernelINS0_14default_configENS1_38merge_sort_block_merge_config_selectorIiiEEZZNS1_27merge_sort_block_merge_implIS3_N6thrust23THRUST_200600_302600_NS6detail15normal_iteratorINS8_10device_ptrIiEEEESD_jNS1_19radix_merge_compareILb0ELb0EiNS0_19identity_decomposerEEEEE10hipError_tT0_T1_T2_jT3_P12ihipStream_tbPNSt15iterator_traitsISI_E10value_typeEPNSO_ISJ_E10value_typeEPSK_NS1_7vsmem_tEENKUlT_SI_SJ_SK_E_clISD_PiSD_S10_EESH_SX_SI_SJ_SK_EUlSX_E0_NS1_11comp_targetILNS1_3genE0ELNS1_11target_archE4294967295ELNS1_3gpuE0ELNS1_3repE0EEENS1_38merge_mergepath_config_static_selectorELNS0_4arch9wavefront6targetE1EEEvSJ_
                                        ; -- End function
	.set _ZN7rocprim17ROCPRIM_400000_NS6detail17trampoline_kernelINS0_14default_configENS1_38merge_sort_block_merge_config_selectorIiiEEZZNS1_27merge_sort_block_merge_implIS3_N6thrust23THRUST_200600_302600_NS6detail15normal_iteratorINS8_10device_ptrIiEEEESD_jNS1_19radix_merge_compareILb0ELb0EiNS0_19identity_decomposerEEEEE10hipError_tT0_T1_T2_jT3_P12ihipStream_tbPNSt15iterator_traitsISI_E10value_typeEPNSO_ISJ_E10value_typeEPSK_NS1_7vsmem_tEENKUlT_SI_SJ_SK_E_clISD_PiSD_S10_EESH_SX_SI_SJ_SK_EUlSX_E0_NS1_11comp_targetILNS1_3genE0ELNS1_11target_archE4294967295ELNS1_3gpuE0ELNS1_3repE0EEENS1_38merge_mergepath_config_static_selectorELNS0_4arch9wavefront6targetE1EEEvSJ_.num_vgpr, 21
	.set _ZN7rocprim17ROCPRIM_400000_NS6detail17trampoline_kernelINS0_14default_configENS1_38merge_sort_block_merge_config_selectorIiiEEZZNS1_27merge_sort_block_merge_implIS3_N6thrust23THRUST_200600_302600_NS6detail15normal_iteratorINS8_10device_ptrIiEEEESD_jNS1_19radix_merge_compareILb0ELb0EiNS0_19identity_decomposerEEEEE10hipError_tT0_T1_T2_jT3_P12ihipStream_tbPNSt15iterator_traitsISI_E10value_typeEPNSO_ISJ_E10value_typeEPSK_NS1_7vsmem_tEENKUlT_SI_SJ_SK_E_clISD_PiSD_S10_EESH_SX_SI_SJ_SK_EUlSX_E0_NS1_11comp_targetILNS1_3genE0ELNS1_11target_archE4294967295ELNS1_3gpuE0ELNS1_3repE0EEENS1_38merge_mergepath_config_static_selectorELNS0_4arch9wavefront6targetE1EEEvSJ_.num_agpr, 0
	.set _ZN7rocprim17ROCPRIM_400000_NS6detail17trampoline_kernelINS0_14default_configENS1_38merge_sort_block_merge_config_selectorIiiEEZZNS1_27merge_sort_block_merge_implIS3_N6thrust23THRUST_200600_302600_NS6detail15normal_iteratorINS8_10device_ptrIiEEEESD_jNS1_19radix_merge_compareILb0ELb0EiNS0_19identity_decomposerEEEEE10hipError_tT0_T1_T2_jT3_P12ihipStream_tbPNSt15iterator_traitsISI_E10value_typeEPNSO_ISJ_E10value_typeEPSK_NS1_7vsmem_tEENKUlT_SI_SJ_SK_E_clISD_PiSD_S10_EESH_SX_SI_SJ_SK_EUlSX_E0_NS1_11comp_targetILNS1_3genE0ELNS1_11target_archE4294967295ELNS1_3gpuE0ELNS1_3repE0EEENS1_38merge_mergepath_config_static_selectorELNS0_4arch9wavefront6targetE1EEEvSJ_.numbered_sgpr, 30
	.set _ZN7rocprim17ROCPRIM_400000_NS6detail17trampoline_kernelINS0_14default_configENS1_38merge_sort_block_merge_config_selectorIiiEEZZNS1_27merge_sort_block_merge_implIS3_N6thrust23THRUST_200600_302600_NS6detail15normal_iteratorINS8_10device_ptrIiEEEESD_jNS1_19radix_merge_compareILb0ELb0EiNS0_19identity_decomposerEEEEE10hipError_tT0_T1_T2_jT3_P12ihipStream_tbPNSt15iterator_traitsISI_E10value_typeEPNSO_ISJ_E10value_typeEPSK_NS1_7vsmem_tEENKUlT_SI_SJ_SK_E_clISD_PiSD_S10_EESH_SX_SI_SJ_SK_EUlSX_E0_NS1_11comp_targetILNS1_3genE0ELNS1_11target_archE4294967295ELNS1_3gpuE0ELNS1_3repE0EEENS1_38merge_mergepath_config_static_selectorELNS0_4arch9wavefront6targetE1EEEvSJ_.num_named_barrier, 0
	.set _ZN7rocprim17ROCPRIM_400000_NS6detail17trampoline_kernelINS0_14default_configENS1_38merge_sort_block_merge_config_selectorIiiEEZZNS1_27merge_sort_block_merge_implIS3_N6thrust23THRUST_200600_302600_NS6detail15normal_iteratorINS8_10device_ptrIiEEEESD_jNS1_19radix_merge_compareILb0ELb0EiNS0_19identity_decomposerEEEEE10hipError_tT0_T1_T2_jT3_P12ihipStream_tbPNSt15iterator_traitsISI_E10value_typeEPNSO_ISJ_E10value_typeEPSK_NS1_7vsmem_tEENKUlT_SI_SJ_SK_E_clISD_PiSD_S10_EESH_SX_SI_SJ_SK_EUlSX_E0_NS1_11comp_targetILNS1_3genE0ELNS1_11target_archE4294967295ELNS1_3gpuE0ELNS1_3repE0EEENS1_38merge_mergepath_config_static_selectorELNS0_4arch9wavefront6targetE1EEEvSJ_.private_seg_size, 0
	.set _ZN7rocprim17ROCPRIM_400000_NS6detail17trampoline_kernelINS0_14default_configENS1_38merge_sort_block_merge_config_selectorIiiEEZZNS1_27merge_sort_block_merge_implIS3_N6thrust23THRUST_200600_302600_NS6detail15normal_iteratorINS8_10device_ptrIiEEEESD_jNS1_19radix_merge_compareILb0ELb0EiNS0_19identity_decomposerEEEEE10hipError_tT0_T1_T2_jT3_P12ihipStream_tbPNSt15iterator_traitsISI_E10value_typeEPNSO_ISJ_E10value_typeEPSK_NS1_7vsmem_tEENKUlT_SI_SJ_SK_E_clISD_PiSD_S10_EESH_SX_SI_SJ_SK_EUlSX_E0_NS1_11comp_targetILNS1_3genE0ELNS1_11target_archE4294967295ELNS1_3gpuE0ELNS1_3repE0EEENS1_38merge_mergepath_config_static_selectorELNS0_4arch9wavefront6targetE1EEEvSJ_.uses_vcc, 1
	.set _ZN7rocprim17ROCPRIM_400000_NS6detail17trampoline_kernelINS0_14default_configENS1_38merge_sort_block_merge_config_selectorIiiEEZZNS1_27merge_sort_block_merge_implIS3_N6thrust23THRUST_200600_302600_NS6detail15normal_iteratorINS8_10device_ptrIiEEEESD_jNS1_19radix_merge_compareILb0ELb0EiNS0_19identity_decomposerEEEEE10hipError_tT0_T1_T2_jT3_P12ihipStream_tbPNSt15iterator_traitsISI_E10value_typeEPNSO_ISJ_E10value_typeEPSK_NS1_7vsmem_tEENKUlT_SI_SJ_SK_E_clISD_PiSD_S10_EESH_SX_SI_SJ_SK_EUlSX_E0_NS1_11comp_targetILNS1_3genE0ELNS1_11target_archE4294967295ELNS1_3gpuE0ELNS1_3repE0EEENS1_38merge_mergepath_config_static_selectorELNS0_4arch9wavefront6targetE1EEEvSJ_.uses_flat_scratch, 0
	.set _ZN7rocprim17ROCPRIM_400000_NS6detail17trampoline_kernelINS0_14default_configENS1_38merge_sort_block_merge_config_selectorIiiEEZZNS1_27merge_sort_block_merge_implIS3_N6thrust23THRUST_200600_302600_NS6detail15normal_iteratorINS8_10device_ptrIiEEEESD_jNS1_19radix_merge_compareILb0ELb0EiNS0_19identity_decomposerEEEEE10hipError_tT0_T1_T2_jT3_P12ihipStream_tbPNSt15iterator_traitsISI_E10value_typeEPNSO_ISJ_E10value_typeEPSK_NS1_7vsmem_tEENKUlT_SI_SJ_SK_E_clISD_PiSD_S10_EESH_SX_SI_SJ_SK_EUlSX_E0_NS1_11comp_targetILNS1_3genE0ELNS1_11target_archE4294967295ELNS1_3gpuE0ELNS1_3repE0EEENS1_38merge_mergepath_config_static_selectorELNS0_4arch9wavefront6targetE1EEEvSJ_.has_dyn_sized_stack, 0
	.set _ZN7rocprim17ROCPRIM_400000_NS6detail17trampoline_kernelINS0_14default_configENS1_38merge_sort_block_merge_config_selectorIiiEEZZNS1_27merge_sort_block_merge_implIS3_N6thrust23THRUST_200600_302600_NS6detail15normal_iteratorINS8_10device_ptrIiEEEESD_jNS1_19radix_merge_compareILb0ELb0EiNS0_19identity_decomposerEEEEE10hipError_tT0_T1_T2_jT3_P12ihipStream_tbPNSt15iterator_traitsISI_E10value_typeEPNSO_ISJ_E10value_typeEPSK_NS1_7vsmem_tEENKUlT_SI_SJ_SK_E_clISD_PiSD_S10_EESH_SX_SI_SJ_SK_EUlSX_E0_NS1_11comp_targetILNS1_3genE0ELNS1_11target_archE4294967295ELNS1_3gpuE0ELNS1_3repE0EEENS1_38merge_mergepath_config_static_selectorELNS0_4arch9wavefront6targetE1EEEvSJ_.has_recursion, 0
	.set _ZN7rocprim17ROCPRIM_400000_NS6detail17trampoline_kernelINS0_14default_configENS1_38merge_sort_block_merge_config_selectorIiiEEZZNS1_27merge_sort_block_merge_implIS3_N6thrust23THRUST_200600_302600_NS6detail15normal_iteratorINS8_10device_ptrIiEEEESD_jNS1_19radix_merge_compareILb0ELb0EiNS0_19identity_decomposerEEEEE10hipError_tT0_T1_T2_jT3_P12ihipStream_tbPNSt15iterator_traitsISI_E10value_typeEPNSO_ISJ_E10value_typeEPSK_NS1_7vsmem_tEENKUlT_SI_SJ_SK_E_clISD_PiSD_S10_EESH_SX_SI_SJ_SK_EUlSX_E0_NS1_11comp_targetILNS1_3genE0ELNS1_11target_archE4294967295ELNS1_3gpuE0ELNS1_3repE0EEENS1_38merge_mergepath_config_static_selectorELNS0_4arch9wavefront6targetE1EEEvSJ_.has_indirect_call, 0
	.section	.AMDGPU.csdata,"",@progbits
; Kernel info:
; codeLenInByte = 2860
; TotalNumSgprs: 36
; NumVgprs: 21
; NumAgprs: 0
; TotalNumVgprs: 21
; ScratchSize: 0
; MemoryBound: 0
; FloatMode: 240
; IeeeMode: 1
; LDSByteSize: 4224 bytes/workgroup (compile time only)
; SGPRBlocks: 4
; VGPRBlocks: 2
; NumSGPRsForWavesPerEU: 36
; NumVGPRsForWavesPerEU: 21
; AccumOffset: 24
; Occupancy: 8
; WaveLimiterHint : 1
; COMPUTE_PGM_RSRC2:SCRATCH_EN: 0
; COMPUTE_PGM_RSRC2:USER_SGPR: 2
; COMPUTE_PGM_RSRC2:TRAP_HANDLER: 0
; COMPUTE_PGM_RSRC2:TGID_X_EN: 1
; COMPUTE_PGM_RSRC2:TGID_Y_EN: 1
; COMPUTE_PGM_RSRC2:TGID_Z_EN: 1
; COMPUTE_PGM_RSRC2:TIDIG_COMP_CNT: 0
; COMPUTE_PGM_RSRC3_GFX90A:ACCUM_OFFSET: 5
; COMPUTE_PGM_RSRC3_GFX90A:TG_SPLIT: 0
	.section	.text._ZN7rocprim17ROCPRIM_400000_NS6detail17trampoline_kernelINS0_14default_configENS1_38merge_sort_block_merge_config_selectorIiiEEZZNS1_27merge_sort_block_merge_implIS3_N6thrust23THRUST_200600_302600_NS6detail15normal_iteratorINS8_10device_ptrIiEEEESD_jNS1_19radix_merge_compareILb0ELb0EiNS0_19identity_decomposerEEEEE10hipError_tT0_T1_T2_jT3_P12ihipStream_tbPNSt15iterator_traitsISI_E10value_typeEPNSO_ISJ_E10value_typeEPSK_NS1_7vsmem_tEENKUlT_SI_SJ_SK_E_clISD_PiSD_S10_EESH_SX_SI_SJ_SK_EUlSX_E0_NS1_11comp_targetILNS1_3genE10ELNS1_11target_archE1201ELNS1_3gpuE5ELNS1_3repE0EEENS1_38merge_mergepath_config_static_selectorELNS0_4arch9wavefront6targetE1EEEvSJ_,"axG",@progbits,_ZN7rocprim17ROCPRIM_400000_NS6detail17trampoline_kernelINS0_14default_configENS1_38merge_sort_block_merge_config_selectorIiiEEZZNS1_27merge_sort_block_merge_implIS3_N6thrust23THRUST_200600_302600_NS6detail15normal_iteratorINS8_10device_ptrIiEEEESD_jNS1_19radix_merge_compareILb0ELb0EiNS0_19identity_decomposerEEEEE10hipError_tT0_T1_T2_jT3_P12ihipStream_tbPNSt15iterator_traitsISI_E10value_typeEPNSO_ISJ_E10value_typeEPSK_NS1_7vsmem_tEENKUlT_SI_SJ_SK_E_clISD_PiSD_S10_EESH_SX_SI_SJ_SK_EUlSX_E0_NS1_11comp_targetILNS1_3genE10ELNS1_11target_archE1201ELNS1_3gpuE5ELNS1_3repE0EEENS1_38merge_mergepath_config_static_selectorELNS0_4arch9wavefront6targetE1EEEvSJ_,comdat
	.protected	_ZN7rocprim17ROCPRIM_400000_NS6detail17trampoline_kernelINS0_14default_configENS1_38merge_sort_block_merge_config_selectorIiiEEZZNS1_27merge_sort_block_merge_implIS3_N6thrust23THRUST_200600_302600_NS6detail15normal_iteratorINS8_10device_ptrIiEEEESD_jNS1_19radix_merge_compareILb0ELb0EiNS0_19identity_decomposerEEEEE10hipError_tT0_T1_T2_jT3_P12ihipStream_tbPNSt15iterator_traitsISI_E10value_typeEPNSO_ISJ_E10value_typeEPSK_NS1_7vsmem_tEENKUlT_SI_SJ_SK_E_clISD_PiSD_S10_EESH_SX_SI_SJ_SK_EUlSX_E0_NS1_11comp_targetILNS1_3genE10ELNS1_11target_archE1201ELNS1_3gpuE5ELNS1_3repE0EEENS1_38merge_mergepath_config_static_selectorELNS0_4arch9wavefront6targetE1EEEvSJ_ ; -- Begin function _ZN7rocprim17ROCPRIM_400000_NS6detail17trampoline_kernelINS0_14default_configENS1_38merge_sort_block_merge_config_selectorIiiEEZZNS1_27merge_sort_block_merge_implIS3_N6thrust23THRUST_200600_302600_NS6detail15normal_iteratorINS8_10device_ptrIiEEEESD_jNS1_19radix_merge_compareILb0ELb0EiNS0_19identity_decomposerEEEEE10hipError_tT0_T1_T2_jT3_P12ihipStream_tbPNSt15iterator_traitsISI_E10value_typeEPNSO_ISJ_E10value_typeEPSK_NS1_7vsmem_tEENKUlT_SI_SJ_SK_E_clISD_PiSD_S10_EESH_SX_SI_SJ_SK_EUlSX_E0_NS1_11comp_targetILNS1_3genE10ELNS1_11target_archE1201ELNS1_3gpuE5ELNS1_3repE0EEENS1_38merge_mergepath_config_static_selectorELNS0_4arch9wavefront6targetE1EEEvSJ_
	.globl	_ZN7rocprim17ROCPRIM_400000_NS6detail17trampoline_kernelINS0_14default_configENS1_38merge_sort_block_merge_config_selectorIiiEEZZNS1_27merge_sort_block_merge_implIS3_N6thrust23THRUST_200600_302600_NS6detail15normal_iteratorINS8_10device_ptrIiEEEESD_jNS1_19radix_merge_compareILb0ELb0EiNS0_19identity_decomposerEEEEE10hipError_tT0_T1_T2_jT3_P12ihipStream_tbPNSt15iterator_traitsISI_E10value_typeEPNSO_ISJ_E10value_typeEPSK_NS1_7vsmem_tEENKUlT_SI_SJ_SK_E_clISD_PiSD_S10_EESH_SX_SI_SJ_SK_EUlSX_E0_NS1_11comp_targetILNS1_3genE10ELNS1_11target_archE1201ELNS1_3gpuE5ELNS1_3repE0EEENS1_38merge_mergepath_config_static_selectorELNS0_4arch9wavefront6targetE1EEEvSJ_
	.p2align	8
	.type	_ZN7rocprim17ROCPRIM_400000_NS6detail17trampoline_kernelINS0_14default_configENS1_38merge_sort_block_merge_config_selectorIiiEEZZNS1_27merge_sort_block_merge_implIS3_N6thrust23THRUST_200600_302600_NS6detail15normal_iteratorINS8_10device_ptrIiEEEESD_jNS1_19radix_merge_compareILb0ELb0EiNS0_19identity_decomposerEEEEE10hipError_tT0_T1_T2_jT3_P12ihipStream_tbPNSt15iterator_traitsISI_E10value_typeEPNSO_ISJ_E10value_typeEPSK_NS1_7vsmem_tEENKUlT_SI_SJ_SK_E_clISD_PiSD_S10_EESH_SX_SI_SJ_SK_EUlSX_E0_NS1_11comp_targetILNS1_3genE10ELNS1_11target_archE1201ELNS1_3gpuE5ELNS1_3repE0EEENS1_38merge_mergepath_config_static_selectorELNS0_4arch9wavefront6targetE1EEEvSJ_,@function
_ZN7rocprim17ROCPRIM_400000_NS6detail17trampoline_kernelINS0_14default_configENS1_38merge_sort_block_merge_config_selectorIiiEEZZNS1_27merge_sort_block_merge_implIS3_N6thrust23THRUST_200600_302600_NS6detail15normal_iteratorINS8_10device_ptrIiEEEESD_jNS1_19radix_merge_compareILb0ELb0EiNS0_19identity_decomposerEEEEE10hipError_tT0_T1_T2_jT3_P12ihipStream_tbPNSt15iterator_traitsISI_E10value_typeEPNSO_ISJ_E10value_typeEPSK_NS1_7vsmem_tEENKUlT_SI_SJ_SK_E_clISD_PiSD_S10_EESH_SX_SI_SJ_SK_EUlSX_E0_NS1_11comp_targetILNS1_3genE10ELNS1_11target_archE1201ELNS1_3gpuE5ELNS1_3repE0EEENS1_38merge_mergepath_config_static_selectorELNS0_4arch9wavefront6targetE1EEEvSJ_: ; @_ZN7rocprim17ROCPRIM_400000_NS6detail17trampoline_kernelINS0_14default_configENS1_38merge_sort_block_merge_config_selectorIiiEEZZNS1_27merge_sort_block_merge_implIS3_N6thrust23THRUST_200600_302600_NS6detail15normal_iteratorINS8_10device_ptrIiEEEESD_jNS1_19radix_merge_compareILb0ELb0EiNS0_19identity_decomposerEEEEE10hipError_tT0_T1_T2_jT3_P12ihipStream_tbPNSt15iterator_traitsISI_E10value_typeEPNSO_ISJ_E10value_typeEPSK_NS1_7vsmem_tEENKUlT_SI_SJ_SK_E_clISD_PiSD_S10_EESH_SX_SI_SJ_SK_EUlSX_E0_NS1_11comp_targetILNS1_3genE10ELNS1_11target_archE1201ELNS1_3gpuE5ELNS1_3repE0EEENS1_38merge_mergepath_config_static_selectorELNS0_4arch9wavefront6targetE1EEEvSJ_
; %bb.0:
	.section	.rodata,"a",@progbits
	.p2align	6, 0x0
	.amdhsa_kernel _ZN7rocprim17ROCPRIM_400000_NS6detail17trampoline_kernelINS0_14default_configENS1_38merge_sort_block_merge_config_selectorIiiEEZZNS1_27merge_sort_block_merge_implIS3_N6thrust23THRUST_200600_302600_NS6detail15normal_iteratorINS8_10device_ptrIiEEEESD_jNS1_19radix_merge_compareILb0ELb0EiNS0_19identity_decomposerEEEEE10hipError_tT0_T1_T2_jT3_P12ihipStream_tbPNSt15iterator_traitsISI_E10value_typeEPNSO_ISJ_E10value_typeEPSK_NS1_7vsmem_tEENKUlT_SI_SJ_SK_E_clISD_PiSD_S10_EESH_SX_SI_SJ_SK_EUlSX_E0_NS1_11comp_targetILNS1_3genE10ELNS1_11target_archE1201ELNS1_3gpuE5ELNS1_3repE0EEENS1_38merge_mergepath_config_static_selectorELNS0_4arch9wavefront6targetE1EEEvSJ_
		.amdhsa_group_segment_fixed_size 0
		.amdhsa_private_segment_fixed_size 0
		.amdhsa_kernarg_size 64
		.amdhsa_user_sgpr_count 2
		.amdhsa_user_sgpr_dispatch_ptr 0
		.amdhsa_user_sgpr_queue_ptr 0
		.amdhsa_user_sgpr_kernarg_segment_ptr 1
		.amdhsa_user_sgpr_dispatch_id 0
		.amdhsa_user_sgpr_kernarg_preload_length 0
		.amdhsa_user_sgpr_kernarg_preload_offset 0
		.amdhsa_user_sgpr_private_segment_size 0
		.amdhsa_uses_dynamic_stack 0
		.amdhsa_enable_private_segment 0
		.amdhsa_system_sgpr_workgroup_id_x 1
		.amdhsa_system_sgpr_workgroup_id_y 0
		.amdhsa_system_sgpr_workgroup_id_z 0
		.amdhsa_system_sgpr_workgroup_info 0
		.amdhsa_system_vgpr_workitem_id 0
		.amdhsa_next_free_vgpr 1
		.amdhsa_next_free_sgpr 0
		.amdhsa_accum_offset 4
		.amdhsa_reserve_vcc 0
		.amdhsa_float_round_mode_32 0
		.amdhsa_float_round_mode_16_64 0
		.amdhsa_float_denorm_mode_32 3
		.amdhsa_float_denorm_mode_16_64 3
		.amdhsa_dx10_clamp 1
		.amdhsa_ieee_mode 1
		.amdhsa_fp16_overflow 0
		.amdhsa_tg_split 0
		.amdhsa_exception_fp_ieee_invalid_op 0
		.amdhsa_exception_fp_denorm_src 0
		.amdhsa_exception_fp_ieee_div_zero 0
		.amdhsa_exception_fp_ieee_overflow 0
		.amdhsa_exception_fp_ieee_underflow 0
		.amdhsa_exception_fp_ieee_inexact 0
		.amdhsa_exception_int_div_zero 0
	.end_amdhsa_kernel
	.section	.text._ZN7rocprim17ROCPRIM_400000_NS6detail17trampoline_kernelINS0_14default_configENS1_38merge_sort_block_merge_config_selectorIiiEEZZNS1_27merge_sort_block_merge_implIS3_N6thrust23THRUST_200600_302600_NS6detail15normal_iteratorINS8_10device_ptrIiEEEESD_jNS1_19radix_merge_compareILb0ELb0EiNS0_19identity_decomposerEEEEE10hipError_tT0_T1_T2_jT3_P12ihipStream_tbPNSt15iterator_traitsISI_E10value_typeEPNSO_ISJ_E10value_typeEPSK_NS1_7vsmem_tEENKUlT_SI_SJ_SK_E_clISD_PiSD_S10_EESH_SX_SI_SJ_SK_EUlSX_E0_NS1_11comp_targetILNS1_3genE10ELNS1_11target_archE1201ELNS1_3gpuE5ELNS1_3repE0EEENS1_38merge_mergepath_config_static_selectorELNS0_4arch9wavefront6targetE1EEEvSJ_,"axG",@progbits,_ZN7rocprim17ROCPRIM_400000_NS6detail17trampoline_kernelINS0_14default_configENS1_38merge_sort_block_merge_config_selectorIiiEEZZNS1_27merge_sort_block_merge_implIS3_N6thrust23THRUST_200600_302600_NS6detail15normal_iteratorINS8_10device_ptrIiEEEESD_jNS1_19radix_merge_compareILb0ELb0EiNS0_19identity_decomposerEEEEE10hipError_tT0_T1_T2_jT3_P12ihipStream_tbPNSt15iterator_traitsISI_E10value_typeEPNSO_ISJ_E10value_typeEPSK_NS1_7vsmem_tEENKUlT_SI_SJ_SK_E_clISD_PiSD_S10_EESH_SX_SI_SJ_SK_EUlSX_E0_NS1_11comp_targetILNS1_3genE10ELNS1_11target_archE1201ELNS1_3gpuE5ELNS1_3repE0EEENS1_38merge_mergepath_config_static_selectorELNS0_4arch9wavefront6targetE1EEEvSJ_,comdat
.Lfunc_end1320:
	.size	_ZN7rocprim17ROCPRIM_400000_NS6detail17trampoline_kernelINS0_14default_configENS1_38merge_sort_block_merge_config_selectorIiiEEZZNS1_27merge_sort_block_merge_implIS3_N6thrust23THRUST_200600_302600_NS6detail15normal_iteratorINS8_10device_ptrIiEEEESD_jNS1_19radix_merge_compareILb0ELb0EiNS0_19identity_decomposerEEEEE10hipError_tT0_T1_T2_jT3_P12ihipStream_tbPNSt15iterator_traitsISI_E10value_typeEPNSO_ISJ_E10value_typeEPSK_NS1_7vsmem_tEENKUlT_SI_SJ_SK_E_clISD_PiSD_S10_EESH_SX_SI_SJ_SK_EUlSX_E0_NS1_11comp_targetILNS1_3genE10ELNS1_11target_archE1201ELNS1_3gpuE5ELNS1_3repE0EEENS1_38merge_mergepath_config_static_selectorELNS0_4arch9wavefront6targetE1EEEvSJ_, .Lfunc_end1320-_ZN7rocprim17ROCPRIM_400000_NS6detail17trampoline_kernelINS0_14default_configENS1_38merge_sort_block_merge_config_selectorIiiEEZZNS1_27merge_sort_block_merge_implIS3_N6thrust23THRUST_200600_302600_NS6detail15normal_iteratorINS8_10device_ptrIiEEEESD_jNS1_19radix_merge_compareILb0ELb0EiNS0_19identity_decomposerEEEEE10hipError_tT0_T1_T2_jT3_P12ihipStream_tbPNSt15iterator_traitsISI_E10value_typeEPNSO_ISJ_E10value_typeEPSK_NS1_7vsmem_tEENKUlT_SI_SJ_SK_E_clISD_PiSD_S10_EESH_SX_SI_SJ_SK_EUlSX_E0_NS1_11comp_targetILNS1_3genE10ELNS1_11target_archE1201ELNS1_3gpuE5ELNS1_3repE0EEENS1_38merge_mergepath_config_static_selectorELNS0_4arch9wavefront6targetE1EEEvSJ_
                                        ; -- End function
	.set _ZN7rocprim17ROCPRIM_400000_NS6detail17trampoline_kernelINS0_14default_configENS1_38merge_sort_block_merge_config_selectorIiiEEZZNS1_27merge_sort_block_merge_implIS3_N6thrust23THRUST_200600_302600_NS6detail15normal_iteratorINS8_10device_ptrIiEEEESD_jNS1_19radix_merge_compareILb0ELb0EiNS0_19identity_decomposerEEEEE10hipError_tT0_T1_T2_jT3_P12ihipStream_tbPNSt15iterator_traitsISI_E10value_typeEPNSO_ISJ_E10value_typeEPSK_NS1_7vsmem_tEENKUlT_SI_SJ_SK_E_clISD_PiSD_S10_EESH_SX_SI_SJ_SK_EUlSX_E0_NS1_11comp_targetILNS1_3genE10ELNS1_11target_archE1201ELNS1_3gpuE5ELNS1_3repE0EEENS1_38merge_mergepath_config_static_selectorELNS0_4arch9wavefront6targetE1EEEvSJ_.num_vgpr, 0
	.set _ZN7rocprim17ROCPRIM_400000_NS6detail17trampoline_kernelINS0_14default_configENS1_38merge_sort_block_merge_config_selectorIiiEEZZNS1_27merge_sort_block_merge_implIS3_N6thrust23THRUST_200600_302600_NS6detail15normal_iteratorINS8_10device_ptrIiEEEESD_jNS1_19radix_merge_compareILb0ELb0EiNS0_19identity_decomposerEEEEE10hipError_tT0_T1_T2_jT3_P12ihipStream_tbPNSt15iterator_traitsISI_E10value_typeEPNSO_ISJ_E10value_typeEPSK_NS1_7vsmem_tEENKUlT_SI_SJ_SK_E_clISD_PiSD_S10_EESH_SX_SI_SJ_SK_EUlSX_E0_NS1_11comp_targetILNS1_3genE10ELNS1_11target_archE1201ELNS1_3gpuE5ELNS1_3repE0EEENS1_38merge_mergepath_config_static_selectorELNS0_4arch9wavefront6targetE1EEEvSJ_.num_agpr, 0
	.set _ZN7rocprim17ROCPRIM_400000_NS6detail17trampoline_kernelINS0_14default_configENS1_38merge_sort_block_merge_config_selectorIiiEEZZNS1_27merge_sort_block_merge_implIS3_N6thrust23THRUST_200600_302600_NS6detail15normal_iteratorINS8_10device_ptrIiEEEESD_jNS1_19radix_merge_compareILb0ELb0EiNS0_19identity_decomposerEEEEE10hipError_tT0_T1_T2_jT3_P12ihipStream_tbPNSt15iterator_traitsISI_E10value_typeEPNSO_ISJ_E10value_typeEPSK_NS1_7vsmem_tEENKUlT_SI_SJ_SK_E_clISD_PiSD_S10_EESH_SX_SI_SJ_SK_EUlSX_E0_NS1_11comp_targetILNS1_3genE10ELNS1_11target_archE1201ELNS1_3gpuE5ELNS1_3repE0EEENS1_38merge_mergepath_config_static_selectorELNS0_4arch9wavefront6targetE1EEEvSJ_.numbered_sgpr, 0
	.set _ZN7rocprim17ROCPRIM_400000_NS6detail17trampoline_kernelINS0_14default_configENS1_38merge_sort_block_merge_config_selectorIiiEEZZNS1_27merge_sort_block_merge_implIS3_N6thrust23THRUST_200600_302600_NS6detail15normal_iteratorINS8_10device_ptrIiEEEESD_jNS1_19radix_merge_compareILb0ELb0EiNS0_19identity_decomposerEEEEE10hipError_tT0_T1_T2_jT3_P12ihipStream_tbPNSt15iterator_traitsISI_E10value_typeEPNSO_ISJ_E10value_typeEPSK_NS1_7vsmem_tEENKUlT_SI_SJ_SK_E_clISD_PiSD_S10_EESH_SX_SI_SJ_SK_EUlSX_E0_NS1_11comp_targetILNS1_3genE10ELNS1_11target_archE1201ELNS1_3gpuE5ELNS1_3repE0EEENS1_38merge_mergepath_config_static_selectorELNS0_4arch9wavefront6targetE1EEEvSJ_.num_named_barrier, 0
	.set _ZN7rocprim17ROCPRIM_400000_NS6detail17trampoline_kernelINS0_14default_configENS1_38merge_sort_block_merge_config_selectorIiiEEZZNS1_27merge_sort_block_merge_implIS3_N6thrust23THRUST_200600_302600_NS6detail15normal_iteratorINS8_10device_ptrIiEEEESD_jNS1_19radix_merge_compareILb0ELb0EiNS0_19identity_decomposerEEEEE10hipError_tT0_T1_T2_jT3_P12ihipStream_tbPNSt15iterator_traitsISI_E10value_typeEPNSO_ISJ_E10value_typeEPSK_NS1_7vsmem_tEENKUlT_SI_SJ_SK_E_clISD_PiSD_S10_EESH_SX_SI_SJ_SK_EUlSX_E0_NS1_11comp_targetILNS1_3genE10ELNS1_11target_archE1201ELNS1_3gpuE5ELNS1_3repE0EEENS1_38merge_mergepath_config_static_selectorELNS0_4arch9wavefront6targetE1EEEvSJ_.private_seg_size, 0
	.set _ZN7rocprim17ROCPRIM_400000_NS6detail17trampoline_kernelINS0_14default_configENS1_38merge_sort_block_merge_config_selectorIiiEEZZNS1_27merge_sort_block_merge_implIS3_N6thrust23THRUST_200600_302600_NS6detail15normal_iteratorINS8_10device_ptrIiEEEESD_jNS1_19radix_merge_compareILb0ELb0EiNS0_19identity_decomposerEEEEE10hipError_tT0_T1_T2_jT3_P12ihipStream_tbPNSt15iterator_traitsISI_E10value_typeEPNSO_ISJ_E10value_typeEPSK_NS1_7vsmem_tEENKUlT_SI_SJ_SK_E_clISD_PiSD_S10_EESH_SX_SI_SJ_SK_EUlSX_E0_NS1_11comp_targetILNS1_3genE10ELNS1_11target_archE1201ELNS1_3gpuE5ELNS1_3repE0EEENS1_38merge_mergepath_config_static_selectorELNS0_4arch9wavefront6targetE1EEEvSJ_.uses_vcc, 0
	.set _ZN7rocprim17ROCPRIM_400000_NS6detail17trampoline_kernelINS0_14default_configENS1_38merge_sort_block_merge_config_selectorIiiEEZZNS1_27merge_sort_block_merge_implIS3_N6thrust23THRUST_200600_302600_NS6detail15normal_iteratorINS8_10device_ptrIiEEEESD_jNS1_19radix_merge_compareILb0ELb0EiNS0_19identity_decomposerEEEEE10hipError_tT0_T1_T2_jT3_P12ihipStream_tbPNSt15iterator_traitsISI_E10value_typeEPNSO_ISJ_E10value_typeEPSK_NS1_7vsmem_tEENKUlT_SI_SJ_SK_E_clISD_PiSD_S10_EESH_SX_SI_SJ_SK_EUlSX_E0_NS1_11comp_targetILNS1_3genE10ELNS1_11target_archE1201ELNS1_3gpuE5ELNS1_3repE0EEENS1_38merge_mergepath_config_static_selectorELNS0_4arch9wavefront6targetE1EEEvSJ_.uses_flat_scratch, 0
	.set _ZN7rocprim17ROCPRIM_400000_NS6detail17trampoline_kernelINS0_14default_configENS1_38merge_sort_block_merge_config_selectorIiiEEZZNS1_27merge_sort_block_merge_implIS3_N6thrust23THRUST_200600_302600_NS6detail15normal_iteratorINS8_10device_ptrIiEEEESD_jNS1_19radix_merge_compareILb0ELb0EiNS0_19identity_decomposerEEEEE10hipError_tT0_T1_T2_jT3_P12ihipStream_tbPNSt15iterator_traitsISI_E10value_typeEPNSO_ISJ_E10value_typeEPSK_NS1_7vsmem_tEENKUlT_SI_SJ_SK_E_clISD_PiSD_S10_EESH_SX_SI_SJ_SK_EUlSX_E0_NS1_11comp_targetILNS1_3genE10ELNS1_11target_archE1201ELNS1_3gpuE5ELNS1_3repE0EEENS1_38merge_mergepath_config_static_selectorELNS0_4arch9wavefront6targetE1EEEvSJ_.has_dyn_sized_stack, 0
	.set _ZN7rocprim17ROCPRIM_400000_NS6detail17trampoline_kernelINS0_14default_configENS1_38merge_sort_block_merge_config_selectorIiiEEZZNS1_27merge_sort_block_merge_implIS3_N6thrust23THRUST_200600_302600_NS6detail15normal_iteratorINS8_10device_ptrIiEEEESD_jNS1_19radix_merge_compareILb0ELb0EiNS0_19identity_decomposerEEEEE10hipError_tT0_T1_T2_jT3_P12ihipStream_tbPNSt15iterator_traitsISI_E10value_typeEPNSO_ISJ_E10value_typeEPSK_NS1_7vsmem_tEENKUlT_SI_SJ_SK_E_clISD_PiSD_S10_EESH_SX_SI_SJ_SK_EUlSX_E0_NS1_11comp_targetILNS1_3genE10ELNS1_11target_archE1201ELNS1_3gpuE5ELNS1_3repE0EEENS1_38merge_mergepath_config_static_selectorELNS0_4arch9wavefront6targetE1EEEvSJ_.has_recursion, 0
	.set _ZN7rocprim17ROCPRIM_400000_NS6detail17trampoline_kernelINS0_14default_configENS1_38merge_sort_block_merge_config_selectorIiiEEZZNS1_27merge_sort_block_merge_implIS3_N6thrust23THRUST_200600_302600_NS6detail15normal_iteratorINS8_10device_ptrIiEEEESD_jNS1_19radix_merge_compareILb0ELb0EiNS0_19identity_decomposerEEEEE10hipError_tT0_T1_T2_jT3_P12ihipStream_tbPNSt15iterator_traitsISI_E10value_typeEPNSO_ISJ_E10value_typeEPSK_NS1_7vsmem_tEENKUlT_SI_SJ_SK_E_clISD_PiSD_S10_EESH_SX_SI_SJ_SK_EUlSX_E0_NS1_11comp_targetILNS1_3genE10ELNS1_11target_archE1201ELNS1_3gpuE5ELNS1_3repE0EEENS1_38merge_mergepath_config_static_selectorELNS0_4arch9wavefront6targetE1EEEvSJ_.has_indirect_call, 0
	.section	.AMDGPU.csdata,"",@progbits
; Kernel info:
; codeLenInByte = 0
; TotalNumSgprs: 6
; NumVgprs: 0
; NumAgprs: 0
; TotalNumVgprs: 0
; ScratchSize: 0
; MemoryBound: 0
; FloatMode: 240
; IeeeMode: 1
; LDSByteSize: 0 bytes/workgroup (compile time only)
; SGPRBlocks: 0
; VGPRBlocks: 0
; NumSGPRsForWavesPerEU: 6
; NumVGPRsForWavesPerEU: 1
; AccumOffset: 4
; Occupancy: 8
; WaveLimiterHint : 0
; COMPUTE_PGM_RSRC2:SCRATCH_EN: 0
; COMPUTE_PGM_RSRC2:USER_SGPR: 2
; COMPUTE_PGM_RSRC2:TRAP_HANDLER: 0
; COMPUTE_PGM_RSRC2:TGID_X_EN: 1
; COMPUTE_PGM_RSRC2:TGID_Y_EN: 0
; COMPUTE_PGM_RSRC2:TGID_Z_EN: 0
; COMPUTE_PGM_RSRC2:TIDIG_COMP_CNT: 0
; COMPUTE_PGM_RSRC3_GFX90A:ACCUM_OFFSET: 0
; COMPUTE_PGM_RSRC3_GFX90A:TG_SPLIT: 0
	.section	.text._ZN7rocprim17ROCPRIM_400000_NS6detail17trampoline_kernelINS0_14default_configENS1_38merge_sort_block_merge_config_selectorIiiEEZZNS1_27merge_sort_block_merge_implIS3_N6thrust23THRUST_200600_302600_NS6detail15normal_iteratorINS8_10device_ptrIiEEEESD_jNS1_19radix_merge_compareILb0ELb0EiNS0_19identity_decomposerEEEEE10hipError_tT0_T1_T2_jT3_P12ihipStream_tbPNSt15iterator_traitsISI_E10value_typeEPNSO_ISJ_E10value_typeEPSK_NS1_7vsmem_tEENKUlT_SI_SJ_SK_E_clISD_PiSD_S10_EESH_SX_SI_SJ_SK_EUlSX_E0_NS1_11comp_targetILNS1_3genE5ELNS1_11target_archE942ELNS1_3gpuE9ELNS1_3repE0EEENS1_38merge_mergepath_config_static_selectorELNS0_4arch9wavefront6targetE1EEEvSJ_,"axG",@progbits,_ZN7rocprim17ROCPRIM_400000_NS6detail17trampoline_kernelINS0_14default_configENS1_38merge_sort_block_merge_config_selectorIiiEEZZNS1_27merge_sort_block_merge_implIS3_N6thrust23THRUST_200600_302600_NS6detail15normal_iteratorINS8_10device_ptrIiEEEESD_jNS1_19radix_merge_compareILb0ELb0EiNS0_19identity_decomposerEEEEE10hipError_tT0_T1_T2_jT3_P12ihipStream_tbPNSt15iterator_traitsISI_E10value_typeEPNSO_ISJ_E10value_typeEPSK_NS1_7vsmem_tEENKUlT_SI_SJ_SK_E_clISD_PiSD_S10_EESH_SX_SI_SJ_SK_EUlSX_E0_NS1_11comp_targetILNS1_3genE5ELNS1_11target_archE942ELNS1_3gpuE9ELNS1_3repE0EEENS1_38merge_mergepath_config_static_selectorELNS0_4arch9wavefront6targetE1EEEvSJ_,comdat
	.protected	_ZN7rocprim17ROCPRIM_400000_NS6detail17trampoline_kernelINS0_14default_configENS1_38merge_sort_block_merge_config_selectorIiiEEZZNS1_27merge_sort_block_merge_implIS3_N6thrust23THRUST_200600_302600_NS6detail15normal_iteratorINS8_10device_ptrIiEEEESD_jNS1_19radix_merge_compareILb0ELb0EiNS0_19identity_decomposerEEEEE10hipError_tT0_T1_T2_jT3_P12ihipStream_tbPNSt15iterator_traitsISI_E10value_typeEPNSO_ISJ_E10value_typeEPSK_NS1_7vsmem_tEENKUlT_SI_SJ_SK_E_clISD_PiSD_S10_EESH_SX_SI_SJ_SK_EUlSX_E0_NS1_11comp_targetILNS1_3genE5ELNS1_11target_archE942ELNS1_3gpuE9ELNS1_3repE0EEENS1_38merge_mergepath_config_static_selectorELNS0_4arch9wavefront6targetE1EEEvSJ_ ; -- Begin function _ZN7rocprim17ROCPRIM_400000_NS6detail17trampoline_kernelINS0_14default_configENS1_38merge_sort_block_merge_config_selectorIiiEEZZNS1_27merge_sort_block_merge_implIS3_N6thrust23THRUST_200600_302600_NS6detail15normal_iteratorINS8_10device_ptrIiEEEESD_jNS1_19radix_merge_compareILb0ELb0EiNS0_19identity_decomposerEEEEE10hipError_tT0_T1_T2_jT3_P12ihipStream_tbPNSt15iterator_traitsISI_E10value_typeEPNSO_ISJ_E10value_typeEPSK_NS1_7vsmem_tEENKUlT_SI_SJ_SK_E_clISD_PiSD_S10_EESH_SX_SI_SJ_SK_EUlSX_E0_NS1_11comp_targetILNS1_3genE5ELNS1_11target_archE942ELNS1_3gpuE9ELNS1_3repE0EEENS1_38merge_mergepath_config_static_selectorELNS0_4arch9wavefront6targetE1EEEvSJ_
	.globl	_ZN7rocprim17ROCPRIM_400000_NS6detail17trampoline_kernelINS0_14default_configENS1_38merge_sort_block_merge_config_selectorIiiEEZZNS1_27merge_sort_block_merge_implIS3_N6thrust23THRUST_200600_302600_NS6detail15normal_iteratorINS8_10device_ptrIiEEEESD_jNS1_19radix_merge_compareILb0ELb0EiNS0_19identity_decomposerEEEEE10hipError_tT0_T1_T2_jT3_P12ihipStream_tbPNSt15iterator_traitsISI_E10value_typeEPNSO_ISJ_E10value_typeEPSK_NS1_7vsmem_tEENKUlT_SI_SJ_SK_E_clISD_PiSD_S10_EESH_SX_SI_SJ_SK_EUlSX_E0_NS1_11comp_targetILNS1_3genE5ELNS1_11target_archE942ELNS1_3gpuE9ELNS1_3repE0EEENS1_38merge_mergepath_config_static_selectorELNS0_4arch9wavefront6targetE1EEEvSJ_
	.p2align	8
	.type	_ZN7rocprim17ROCPRIM_400000_NS6detail17trampoline_kernelINS0_14default_configENS1_38merge_sort_block_merge_config_selectorIiiEEZZNS1_27merge_sort_block_merge_implIS3_N6thrust23THRUST_200600_302600_NS6detail15normal_iteratorINS8_10device_ptrIiEEEESD_jNS1_19radix_merge_compareILb0ELb0EiNS0_19identity_decomposerEEEEE10hipError_tT0_T1_T2_jT3_P12ihipStream_tbPNSt15iterator_traitsISI_E10value_typeEPNSO_ISJ_E10value_typeEPSK_NS1_7vsmem_tEENKUlT_SI_SJ_SK_E_clISD_PiSD_S10_EESH_SX_SI_SJ_SK_EUlSX_E0_NS1_11comp_targetILNS1_3genE5ELNS1_11target_archE942ELNS1_3gpuE9ELNS1_3repE0EEENS1_38merge_mergepath_config_static_selectorELNS0_4arch9wavefront6targetE1EEEvSJ_,@function
_ZN7rocprim17ROCPRIM_400000_NS6detail17trampoline_kernelINS0_14default_configENS1_38merge_sort_block_merge_config_selectorIiiEEZZNS1_27merge_sort_block_merge_implIS3_N6thrust23THRUST_200600_302600_NS6detail15normal_iteratorINS8_10device_ptrIiEEEESD_jNS1_19radix_merge_compareILb0ELb0EiNS0_19identity_decomposerEEEEE10hipError_tT0_T1_T2_jT3_P12ihipStream_tbPNSt15iterator_traitsISI_E10value_typeEPNSO_ISJ_E10value_typeEPSK_NS1_7vsmem_tEENKUlT_SI_SJ_SK_E_clISD_PiSD_S10_EESH_SX_SI_SJ_SK_EUlSX_E0_NS1_11comp_targetILNS1_3genE5ELNS1_11target_archE942ELNS1_3gpuE9ELNS1_3repE0EEENS1_38merge_mergepath_config_static_selectorELNS0_4arch9wavefront6targetE1EEEvSJ_: ; @_ZN7rocprim17ROCPRIM_400000_NS6detail17trampoline_kernelINS0_14default_configENS1_38merge_sort_block_merge_config_selectorIiiEEZZNS1_27merge_sort_block_merge_implIS3_N6thrust23THRUST_200600_302600_NS6detail15normal_iteratorINS8_10device_ptrIiEEEESD_jNS1_19radix_merge_compareILb0ELb0EiNS0_19identity_decomposerEEEEE10hipError_tT0_T1_T2_jT3_P12ihipStream_tbPNSt15iterator_traitsISI_E10value_typeEPNSO_ISJ_E10value_typeEPSK_NS1_7vsmem_tEENKUlT_SI_SJ_SK_E_clISD_PiSD_S10_EESH_SX_SI_SJ_SK_EUlSX_E0_NS1_11comp_targetILNS1_3genE5ELNS1_11target_archE942ELNS1_3gpuE9ELNS1_3repE0EEENS1_38merge_mergepath_config_static_selectorELNS0_4arch9wavefront6targetE1EEEvSJ_
; %bb.0:
	.section	.rodata,"a",@progbits
	.p2align	6, 0x0
	.amdhsa_kernel _ZN7rocprim17ROCPRIM_400000_NS6detail17trampoline_kernelINS0_14default_configENS1_38merge_sort_block_merge_config_selectorIiiEEZZNS1_27merge_sort_block_merge_implIS3_N6thrust23THRUST_200600_302600_NS6detail15normal_iteratorINS8_10device_ptrIiEEEESD_jNS1_19radix_merge_compareILb0ELb0EiNS0_19identity_decomposerEEEEE10hipError_tT0_T1_T2_jT3_P12ihipStream_tbPNSt15iterator_traitsISI_E10value_typeEPNSO_ISJ_E10value_typeEPSK_NS1_7vsmem_tEENKUlT_SI_SJ_SK_E_clISD_PiSD_S10_EESH_SX_SI_SJ_SK_EUlSX_E0_NS1_11comp_targetILNS1_3genE5ELNS1_11target_archE942ELNS1_3gpuE9ELNS1_3repE0EEENS1_38merge_mergepath_config_static_selectorELNS0_4arch9wavefront6targetE1EEEvSJ_
		.amdhsa_group_segment_fixed_size 0
		.amdhsa_private_segment_fixed_size 0
		.amdhsa_kernarg_size 64
		.amdhsa_user_sgpr_count 2
		.amdhsa_user_sgpr_dispatch_ptr 0
		.amdhsa_user_sgpr_queue_ptr 0
		.amdhsa_user_sgpr_kernarg_segment_ptr 1
		.amdhsa_user_sgpr_dispatch_id 0
		.amdhsa_user_sgpr_kernarg_preload_length 0
		.amdhsa_user_sgpr_kernarg_preload_offset 0
		.amdhsa_user_sgpr_private_segment_size 0
		.amdhsa_uses_dynamic_stack 0
		.amdhsa_enable_private_segment 0
		.amdhsa_system_sgpr_workgroup_id_x 1
		.amdhsa_system_sgpr_workgroup_id_y 0
		.amdhsa_system_sgpr_workgroup_id_z 0
		.amdhsa_system_sgpr_workgroup_info 0
		.amdhsa_system_vgpr_workitem_id 0
		.amdhsa_next_free_vgpr 1
		.amdhsa_next_free_sgpr 0
		.amdhsa_accum_offset 4
		.amdhsa_reserve_vcc 0
		.amdhsa_float_round_mode_32 0
		.amdhsa_float_round_mode_16_64 0
		.amdhsa_float_denorm_mode_32 3
		.amdhsa_float_denorm_mode_16_64 3
		.amdhsa_dx10_clamp 1
		.amdhsa_ieee_mode 1
		.amdhsa_fp16_overflow 0
		.amdhsa_tg_split 0
		.amdhsa_exception_fp_ieee_invalid_op 0
		.amdhsa_exception_fp_denorm_src 0
		.amdhsa_exception_fp_ieee_div_zero 0
		.amdhsa_exception_fp_ieee_overflow 0
		.amdhsa_exception_fp_ieee_underflow 0
		.amdhsa_exception_fp_ieee_inexact 0
		.amdhsa_exception_int_div_zero 0
	.end_amdhsa_kernel
	.section	.text._ZN7rocprim17ROCPRIM_400000_NS6detail17trampoline_kernelINS0_14default_configENS1_38merge_sort_block_merge_config_selectorIiiEEZZNS1_27merge_sort_block_merge_implIS3_N6thrust23THRUST_200600_302600_NS6detail15normal_iteratorINS8_10device_ptrIiEEEESD_jNS1_19radix_merge_compareILb0ELb0EiNS0_19identity_decomposerEEEEE10hipError_tT0_T1_T2_jT3_P12ihipStream_tbPNSt15iterator_traitsISI_E10value_typeEPNSO_ISJ_E10value_typeEPSK_NS1_7vsmem_tEENKUlT_SI_SJ_SK_E_clISD_PiSD_S10_EESH_SX_SI_SJ_SK_EUlSX_E0_NS1_11comp_targetILNS1_3genE5ELNS1_11target_archE942ELNS1_3gpuE9ELNS1_3repE0EEENS1_38merge_mergepath_config_static_selectorELNS0_4arch9wavefront6targetE1EEEvSJ_,"axG",@progbits,_ZN7rocprim17ROCPRIM_400000_NS6detail17trampoline_kernelINS0_14default_configENS1_38merge_sort_block_merge_config_selectorIiiEEZZNS1_27merge_sort_block_merge_implIS3_N6thrust23THRUST_200600_302600_NS6detail15normal_iteratorINS8_10device_ptrIiEEEESD_jNS1_19radix_merge_compareILb0ELb0EiNS0_19identity_decomposerEEEEE10hipError_tT0_T1_T2_jT3_P12ihipStream_tbPNSt15iterator_traitsISI_E10value_typeEPNSO_ISJ_E10value_typeEPSK_NS1_7vsmem_tEENKUlT_SI_SJ_SK_E_clISD_PiSD_S10_EESH_SX_SI_SJ_SK_EUlSX_E0_NS1_11comp_targetILNS1_3genE5ELNS1_11target_archE942ELNS1_3gpuE9ELNS1_3repE0EEENS1_38merge_mergepath_config_static_selectorELNS0_4arch9wavefront6targetE1EEEvSJ_,comdat
.Lfunc_end1321:
	.size	_ZN7rocprim17ROCPRIM_400000_NS6detail17trampoline_kernelINS0_14default_configENS1_38merge_sort_block_merge_config_selectorIiiEEZZNS1_27merge_sort_block_merge_implIS3_N6thrust23THRUST_200600_302600_NS6detail15normal_iteratorINS8_10device_ptrIiEEEESD_jNS1_19radix_merge_compareILb0ELb0EiNS0_19identity_decomposerEEEEE10hipError_tT0_T1_T2_jT3_P12ihipStream_tbPNSt15iterator_traitsISI_E10value_typeEPNSO_ISJ_E10value_typeEPSK_NS1_7vsmem_tEENKUlT_SI_SJ_SK_E_clISD_PiSD_S10_EESH_SX_SI_SJ_SK_EUlSX_E0_NS1_11comp_targetILNS1_3genE5ELNS1_11target_archE942ELNS1_3gpuE9ELNS1_3repE0EEENS1_38merge_mergepath_config_static_selectorELNS0_4arch9wavefront6targetE1EEEvSJ_, .Lfunc_end1321-_ZN7rocprim17ROCPRIM_400000_NS6detail17trampoline_kernelINS0_14default_configENS1_38merge_sort_block_merge_config_selectorIiiEEZZNS1_27merge_sort_block_merge_implIS3_N6thrust23THRUST_200600_302600_NS6detail15normal_iteratorINS8_10device_ptrIiEEEESD_jNS1_19radix_merge_compareILb0ELb0EiNS0_19identity_decomposerEEEEE10hipError_tT0_T1_T2_jT3_P12ihipStream_tbPNSt15iterator_traitsISI_E10value_typeEPNSO_ISJ_E10value_typeEPSK_NS1_7vsmem_tEENKUlT_SI_SJ_SK_E_clISD_PiSD_S10_EESH_SX_SI_SJ_SK_EUlSX_E0_NS1_11comp_targetILNS1_3genE5ELNS1_11target_archE942ELNS1_3gpuE9ELNS1_3repE0EEENS1_38merge_mergepath_config_static_selectorELNS0_4arch9wavefront6targetE1EEEvSJ_
                                        ; -- End function
	.set _ZN7rocprim17ROCPRIM_400000_NS6detail17trampoline_kernelINS0_14default_configENS1_38merge_sort_block_merge_config_selectorIiiEEZZNS1_27merge_sort_block_merge_implIS3_N6thrust23THRUST_200600_302600_NS6detail15normal_iteratorINS8_10device_ptrIiEEEESD_jNS1_19radix_merge_compareILb0ELb0EiNS0_19identity_decomposerEEEEE10hipError_tT0_T1_T2_jT3_P12ihipStream_tbPNSt15iterator_traitsISI_E10value_typeEPNSO_ISJ_E10value_typeEPSK_NS1_7vsmem_tEENKUlT_SI_SJ_SK_E_clISD_PiSD_S10_EESH_SX_SI_SJ_SK_EUlSX_E0_NS1_11comp_targetILNS1_3genE5ELNS1_11target_archE942ELNS1_3gpuE9ELNS1_3repE0EEENS1_38merge_mergepath_config_static_selectorELNS0_4arch9wavefront6targetE1EEEvSJ_.num_vgpr, 0
	.set _ZN7rocprim17ROCPRIM_400000_NS6detail17trampoline_kernelINS0_14default_configENS1_38merge_sort_block_merge_config_selectorIiiEEZZNS1_27merge_sort_block_merge_implIS3_N6thrust23THRUST_200600_302600_NS6detail15normal_iteratorINS8_10device_ptrIiEEEESD_jNS1_19radix_merge_compareILb0ELb0EiNS0_19identity_decomposerEEEEE10hipError_tT0_T1_T2_jT3_P12ihipStream_tbPNSt15iterator_traitsISI_E10value_typeEPNSO_ISJ_E10value_typeEPSK_NS1_7vsmem_tEENKUlT_SI_SJ_SK_E_clISD_PiSD_S10_EESH_SX_SI_SJ_SK_EUlSX_E0_NS1_11comp_targetILNS1_3genE5ELNS1_11target_archE942ELNS1_3gpuE9ELNS1_3repE0EEENS1_38merge_mergepath_config_static_selectorELNS0_4arch9wavefront6targetE1EEEvSJ_.num_agpr, 0
	.set _ZN7rocprim17ROCPRIM_400000_NS6detail17trampoline_kernelINS0_14default_configENS1_38merge_sort_block_merge_config_selectorIiiEEZZNS1_27merge_sort_block_merge_implIS3_N6thrust23THRUST_200600_302600_NS6detail15normal_iteratorINS8_10device_ptrIiEEEESD_jNS1_19radix_merge_compareILb0ELb0EiNS0_19identity_decomposerEEEEE10hipError_tT0_T1_T2_jT3_P12ihipStream_tbPNSt15iterator_traitsISI_E10value_typeEPNSO_ISJ_E10value_typeEPSK_NS1_7vsmem_tEENKUlT_SI_SJ_SK_E_clISD_PiSD_S10_EESH_SX_SI_SJ_SK_EUlSX_E0_NS1_11comp_targetILNS1_3genE5ELNS1_11target_archE942ELNS1_3gpuE9ELNS1_3repE0EEENS1_38merge_mergepath_config_static_selectorELNS0_4arch9wavefront6targetE1EEEvSJ_.numbered_sgpr, 0
	.set _ZN7rocprim17ROCPRIM_400000_NS6detail17trampoline_kernelINS0_14default_configENS1_38merge_sort_block_merge_config_selectorIiiEEZZNS1_27merge_sort_block_merge_implIS3_N6thrust23THRUST_200600_302600_NS6detail15normal_iteratorINS8_10device_ptrIiEEEESD_jNS1_19radix_merge_compareILb0ELb0EiNS0_19identity_decomposerEEEEE10hipError_tT0_T1_T2_jT3_P12ihipStream_tbPNSt15iterator_traitsISI_E10value_typeEPNSO_ISJ_E10value_typeEPSK_NS1_7vsmem_tEENKUlT_SI_SJ_SK_E_clISD_PiSD_S10_EESH_SX_SI_SJ_SK_EUlSX_E0_NS1_11comp_targetILNS1_3genE5ELNS1_11target_archE942ELNS1_3gpuE9ELNS1_3repE0EEENS1_38merge_mergepath_config_static_selectorELNS0_4arch9wavefront6targetE1EEEvSJ_.num_named_barrier, 0
	.set _ZN7rocprim17ROCPRIM_400000_NS6detail17trampoline_kernelINS0_14default_configENS1_38merge_sort_block_merge_config_selectorIiiEEZZNS1_27merge_sort_block_merge_implIS3_N6thrust23THRUST_200600_302600_NS6detail15normal_iteratorINS8_10device_ptrIiEEEESD_jNS1_19radix_merge_compareILb0ELb0EiNS0_19identity_decomposerEEEEE10hipError_tT0_T1_T2_jT3_P12ihipStream_tbPNSt15iterator_traitsISI_E10value_typeEPNSO_ISJ_E10value_typeEPSK_NS1_7vsmem_tEENKUlT_SI_SJ_SK_E_clISD_PiSD_S10_EESH_SX_SI_SJ_SK_EUlSX_E0_NS1_11comp_targetILNS1_3genE5ELNS1_11target_archE942ELNS1_3gpuE9ELNS1_3repE0EEENS1_38merge_mergepath_config_static_selectorELNS0_4arch9wavefront6targetE1EEEvSJ_.private_seg_size, 0
	.set _ZN7rocprim17ROCPRIM_400000_NS6detail17trampoline_kernelINS0_14default_configENS1_38merge_sort_block_merge_config_selectorIiiEEZZNS1_27merge_sort_block_merge_implIS3_N6thrust23THRUST_200600_302600_NS6detail15normal_iteratorINS8_10device_ptrIiEEEESD_jNS1_19radix_merge_compareILb0ELb0EiNS0_19identity_decomposerEEEEE10hipError_tT0_T1_T2_jT3_P12ihipStream_tbPNSt15iterator_traitsISI_E10value_typeEPNSO_ISJ_E10value_typeEPSK_NS1_7vsmem_tEENKUlT_SI_SJ_SK_E_clISD_PiSD_S10_EESH_SX_SI_SJ_SK_EUlSX_E0_NS1_11comp_targetILNS1_3genE5ELNS1_11target_archE942ELNS1_3gpuE9ELNS1_3repE0EEENS1_38merge_mergepath_config_static_selectorELNS0_4arch9wavefront6targetE1EEEvSJ_.uses_vcc, 0
	.set _ZN7rocprim17ROCPRIM_400000_NS6detail17trampoline_kernelINS0_14default_configENS1_38merge_sort_block_merge_config_selectorIiiEEZZNS1_27merge_sort_block_merge_implIS3_N6thrust23THRUST_200600_302600_NS6detail15normal_iteratorINS8_10device_ptrIiEEEESD_jNS1_19radix_merge_compareILb0ELb0EiNS0_19identity_decomposerEEEEE10hipError_tT0_T1_T2_jT3_P12ihipStream_tbPNSt15iterator_traitsISI_E10value_typeEPNSO_ISJ_E10value_typeEPSK_NS1_7vsmem_tEENKUlT_SI_SJ_SK_E_clISD_PiSD_S10_EESH_SX_SI_SJ_SK_EUlSX_E0_NS1_11comp_targetILNS1_3genE5ELNS1_11target_archE942ELNS1_3gpuE9ELNS1_3repE0EEENS1_38merge_mergepath_config_static_selectorELNS0_4arch9wavefront6targetE1EEEvSJ_.uses_flat_scratch, 0
	.set _ZN7rocprim17ROCPRIM_400000_NS6detail17trampoline_kernelINS0_14default_configENS1_38merge_sort_block_merge_config_selectorIiiEEZZNS1_27merge_sort_block_merge_implIS3_N6thrust23THRUST_200600_302600_NS6detail15normal_iteratorINS8_10device_ptrIiEEEESD_jNS1_19radix_merge_compareILb0ELb0EiNS0_19identity_decomposerEEEEE10hipError_tT0_T1_T2_jT3_P12ihipStream_tbPNSt15iterator_traitsISI_E10value_typeEPNSO_ISJ_E10value_typeEPSK_NS1_7vsmem_tEENKUlT_SI_SJ_SK_E_clISD_PiSD_S10_EESH_SX_SI_SJ_SK_EUlSX_E0_NS1_11comp_targetILNS1_3genE5ELNS1_11target_archE942ELNS1_3gpuE9ELNS1_3repE0EEENS1_38merge_mergepath_config_static_selectorELNS0_4arch9wavefront6targetE1EEEvSJ_.has_dyn_sized_stack, 0
	.set _ZN7rocprim17ROCPRIM_400000_NS6detail17trampoline_kernelINS0_14default_configENS1_38merge_sort_block_merge_config_selectorIiiEEZZNS1_27merge_sort_block_merge_implIS3_N6thrust23THRUST_200600_302600_NS6detail15normal_iteratorINS8_10device_ptrIiEEEESD_jNS1_19radix_merge_compareILb0ELb0EiNS0_19identity_decomposerEEEEE10hipError_tT0_T1_T2_jT3_P12ihipStream_tbPNSt15iterator_traitsISI_E10value_typeEPNSO_ISJ_E10value_typeEPSK_NS1_7vsmem_tEENKUlT_SI_SJ_SK_E_clISD_PiSD_S10_EESH_SX_SI_SJ_SK_EUlSX_E0_NS1_11comp_targetILNS1_3genE5ELNS1_11target_archE942ELNS1_3gpuE9ELNS1_3repE0EEENS1_38merge_mergepath_config_static_selectorELNS0_4arch9wavefront6targetE1EEEvSJ_.has_recursion, 0
	.set _ZN7rocprim17ROCPRIM_400000_NS6detail17trampoline_kernelINS0_14default_configENS1_38merge_sort_block_merge_config_selectorIiiEEZZNS1_27merge_sort_block_merge_implIS3_N6thrust23THRUST_200600_302600_NS6detail15normal_iteratorINS8_10device_ptrIiEEEESD_jNS1_19radix_merge_compareILb0ELb0EiNS0_19identity_decomposerEEEEE10hipError_tT0_T1_T2_jT3_P12ihipStream_tbPNSt15iterator_traitsISI_E10value_typeEPNSO_ISJ_E10value_typeEPSK_NS1_7vsmem_tEENKUlT_SI_SJ_SK_E_clISD_PiSD_S10_EESH_SX_SI_SJ_SK_EUlSX_E0_NS1_11comp_targetILNS1_3genE5ELNS1_11target_archE942ELNS1_3gpuE9ELNS1_3repE0EEENS1_38merge_mergepath_config_static_selectorELNS0_4arch9wavefront6targetE1EEEvSJ_.has_indirect_call, 0
	.section	.AMDGPU.csdata,"",@progbits
; Kernel info:
; codeLenInByte = 0
; TotalNumSgprs: 6
; NumVgprs: 0
; NumAgprs: 0
; TotalNumVgprs: 0
; ScratchSize: 0
; MemoryBound: 0
; FloatMode: 240
; IeeeMode: 1
; LDSByteSize: 0 bytes/workgroup (compile time only)
; SGPRBlocks: 0
; VGPRBlocks: 0
; NumSGPRsForWavesPerEU: 6
; NumVGPRsForWavesPerEU: 1
; AccumOffset: 4
; Occupancy: 8
; WaveLimiterHint : 0
; COMPUTE_PGM_RSRC2:SCRATCH_EN: 0
; COMPUTE_PGM_RSRC2:USER_SGPR: 2
; COMPUTE_PGM_RSRC2:TRAP_HANDLER: 0
; COMPUTE_PGM_RSRC2:TGID_X_EN: 1
; COMPUTE_PGM_RSRC2:TGID_Y_EN: 0
; COMPUTE_PGM_RSRC2:TGID_Z_EN: 0
; COMPUTE_PGM_RSRC2:TIDIG_COMP_CNT: 0
; COMPUTE_PGM_RSRC3_GFX90A:ACCUM_OFFSET: 0
; COMPUTE_PGM_RSRC3_GFX90A:TG_SPLIT: 0
	.section	.text._ZN7rocprim17ROCPRIM_400000_NS6detail17trampoline_kernelINS0_14default_configENS1_38merge_sort_block_merge_config_selectorIiiEEZZNS1_27merge_sort_block_merge_implIS3_N6thrust23THRUST_200600_302600_NS6detail15normal_iteratorINS8_10device_ptrIiEEEESD_jNS1_19radix_merge_compareILb0ELb0EiNS0_19identity_decomposerEEEEE10hipError_tT0_T1_T2_jT3_P12ihipStream_tbPNSt15iterator_traitsISI_E10value_typeEPNSO_ISJ_E10value_typeEPSK_NS1_7vsmem_tEENKUlT_SI_SJ_SK_E_clISD_PiSD_S10_EESH_SX_SI_SJ_SK_EUlSX_E0_NS1_11comp_targetILNS1_3genE4ELNS1_11target_archE910ELNS1_3gpuE8ELNS1_3repE0EEENS1_38merge_mergepath_config_static_selectorELNS0_4arch9wavefront6targetE1EEEvSJ_,"axG",@progbits,_ZN7rocprim17ROCPRIM_400000_NS6detail17trampoline_kernelINS0_14default_configENS1_38merge_sort_block_merge_config_selectorIiiEEZZNS1_27merge_sort_block_merge_implIS3_N6thrust23THRUST_200600_302600_NS6detail15normal_iteratorINS8_10device_ptrIiEEEESD_jNS1_19radix_merge_compareILb0ELb0EiNS0_19identity_decomposerEEEEE10hipError_tT0_T1_T2_jT3_P12ihipStream_tbPNSt15iterator_traitsISI_E10value_typeEPNSO_ISJ_E10value_typeEPSK_NS1_7vsmem_tEENKUlT_SI_SJ_SK_E_clISD_PiSD_S10_EESH_SX_SI_SJ_SK_EUlSX_E0_NS1_11comp_targetILNS1_3genE4ELNS1_11target_archE910ELNS1_3gpuE8ELNS1_3repE0EEENS1_38merge_mergepath_config_static_selectorELNS0_4arch9wavefront6targetE1EEEvSJ_,comdat
	.protected	_ZN7rocprim17ROCPRIM_400000_NS6detail17trampoline_kernelINS0_14default_configENS1_38merge_sort_block_merge_config_selectorIiiEEZZNS1_27merge_sort_block_merge_implIS3_N6thrust23THRUST_200600_302600_NS6detail15normal_iteratorINS8_10device_ptrIiEEEESD_jNS1_19radix_merge_compareILb0ELb0EiNS0_19identity_decomposerEEEEE10hipError_tT0_T1_T2_jT3_P12ihipStream_tbPNSt15iterator_traitsISI_E10value_typeEPNSO_ISJ_E10value_typeEPSK_NS1_7vsmem_tEENKUlT_SI_SJ_SK_E_clISD_PiSD_S10_EESH_SX_SI_SJ_SK_EUlSX_E0_NS1_11comp_targetILNS1_3genE4ELNS1_11target_archE910ELNS1_3gpuE8ELNS1_3repE0EEENS1_38merge_mergepath_config_static_selectorELNS0_4arch9wavefront6targetE1EEEvSJ_ ; -- Begin function _ZN7rocprim17ROCPRIM_400000_NS6detail17trampoline_kernelINS0_14default_configENS1_38merge_sort_block_merge_config_selectorIiiEEZZNS1_27merge_sort_block_merge_implIS3_N6thrust23THRUST_200600_302600_NS6detail15normal_iteratorINS8_10device_ptrIiEEEESD_jNS1_19radix_merge_compareILb0ELb0EiNS0_19identity_decomposerEEEEE10hipError_tT0_T1_T2_jT3_P12ihipStream_tbPNSt15iterator_traitsISI_E10value_typeEPNSO_ISJ_E10value_typeEPSK_NS1_7vsmem_tEENKUlT_SI_SJ_SK_E_clISD_PiSD_S10_EESH_SX_SI_SJ_SK_EUlSX_E0_NS1_11comp_targetILNS1_3genE4ELNS1_11target_archE910ELNS1_3gpuE8ELNS1_3repE0EEENS1_38merge_mergepath_config_static_selectorELNS0_4arch9wavefront6targetE1EEEvSJ_
	.globl	_ZN7rocprim17ROCPRIM_400000_NS6detail17trampoline_kernelINS0_14default_configENS1_38merge_sort_block_merge_config_selectorIiiEEZZNS1_27merge_sort_block_merge_implIS3_N6thrust23THRUST_200600_302600_NS6detail15normal_iteratorINS8_10device_ptrIiEEEESD_jNS1_19radix_merge_compareILb0ELb0EiNS0_19identity_decomposerEEEEE10hipError_tT0_T1_T2_jT3_P12ihipStream_tbPNSt15iterator_traitsISI_E10value_typeEPNSO_ISJ_E10value_typeEPSK_NS1_7vsmem_tEENKUlT_SI_SJ_SK_E_clISD_PiSD_S10_EESH_SX_SI_SJ_SK_EUlSX_E0_NS1_11comp_targetILNS1_3genE4ELNS1_11target_archE910ELNS1_3gpuE8ELNS1_3repE0EEENS1_38merge_mergepath_config_static_selectorELNS0_4arch9wavefront6targetE1EEEvSJ_
	.p2align	8
	.type	_ZN7rocprim17ROCPRIM_400000_NS6detail17trampoline_kernelINS0_14default_configENS1_38merge_sort_block_merge_config_selectorIiiEEZZNS1_27merge_sort_block_merge_implIS3_N6thrust23THRUST_200600_302600_NS6detail15normal_iteratorINS8_10device_ptrIiEEEESD_jNS1_19radix_merge_compareILb0ELb0EiNS0_19identity_decomposerEEEEE10hipError_tT0_T1_T2_jT3_P12ihipStream_tbPNSt15iterator_traitsISI_E10value_typeEPNSO_ISJ_E10value_typeEPSK_NS1_7vsmem_tEENKUlT_SI_SJ_SK_E_clISD_PiSD_S10_EESH_SX_SI_SJ_SK_EUlSX_E0_NS1_11comp_targetILNS1_3genE4ELNS1_11target_archE910ELNS1_3gpuE8ELNS1_3repE0EEENS1_38merge_mergepath_config_static_selectorELNS0_4arch9wavefront6targetE1EEEvSJ_,@function
_ZN7rocprim17ROCPRIM_400000_NS6detail17trampoline_kernelINS0_14default_configENS1_38merge_sort_block_merge_config_selectorIiiEEZZNS1_27merge_sort_block_merge_implIS3_N6thrust23THRUST_200600_302600_NS6detail15normal_iteratorINS8_10device_ptrIiEEEESD_jNS1_19radix_merge_compareILb0ELb0EiNS0_19identity_decomposerEEEEE10hipError_tT0_T1_T2_jT3_P12ihipStream_tbPNSt15iterator_traitsISI_E10value_typeEPNSO_ISJ_E10value_typeEPSK_NS1_7vsmem_tEENKUlT_SI_SJ_SK_E_clISD_PiSD_S10_EESH_SX_SI_SJ_SK_EUlSX_E0_NS1_11comp_targetILNS1_3genE4ELNS1_11target_archE910ELNS1_3gpuE8ELNS1_3repE0EEENS1_38merge_mergepath_config_static_selectorELNS0_4arch9wavefront6targetE1EEEvSJ_: ; @_ZN7rocprim17ROCPRIM_400000_NS6detail17trampoline_kernelINS0_14default_configENS1_38merge_sort_block_merge_config_selectorIiiEEZZNS1_27merge_sort_block_merge_implIS3_N6thrust23THRUST_200600_302600_NS6detail15normal_iteratorINS8_10device_ptrIiEEEESD_jNS1_19radix_merge_compareILb0ELb0EiNS0_19identity_decomposerEEEEE10hipError_tT0_T1_T2_jT3_P12ihipStream_tbPNSt15iterator_traitsISI_E10value_typeEPNSO_ISJ_E10value_typeEPSK_NS1_7vsmem_tEENKUlT_SI_SJ_SK_E_clISD_PiSD_S10_EESH_SX_SI_SJ_SK_EUlSX_E0_NS1_11comp_targetILNS1_3genE4ELNS1_11target_archE910ELNS1_3gpuE8ELNS1_3repE0EEENS1_38merge_mergepath_config_static_selectorELNS0_4arch9wavefront6targetE1EEEvSJ_
; %bb.0:
	.section	.rodata,"a",@progbits
	.p2align	6, 0x0
	.amdhsa_kernel _ZN7rocprim17ROCPRIM_400000_NS6detail17trampoline_kernelINS0_14default_configENS1_38merge_sort_block_merge_config_selectorIiiEEZZNS1_27merge_sort_block_merge_implIS3_N6thrust23THRUST_200600_302600_NS6detail15normal_iteratorINS8_10device_ptrIiEEEESD_jNS1_19radix_merge_compareILb0ELb0EiNS0_19identity_decomposerEEEEE10hipError_tT0_T1_T2_jT3_P12ihipStream_tbPNSt15iterator_traitsISI_E10value_typeEPNSO_ISJ_E10value_typeEPSK_NS1_7vsmem_tEENKUlT_SI_SJ_SK_E_clISD_PiSD_S10_EESH_SX_SI_SJ_SK_EUlSX_E0_NS1_11comp_targetILNS1_3genE4ELNS1_11target_archE910ELNS1_3gpuE8ELNS1_3repE0EEENS1_38merge_mergepath_config_static_selectorELNS0_4arch9wavefront6targetE1EEEvSJ_
		.amdhsa_group_segment_fixed_size 0
		.amdhsa_private_segment_fixed_size 0
		.amdhsa_kernarg_size 64
		.amdhsa_user_sgpr_count 2
		.amdhsa_user_sgpr_dispatch_ptr 0
		.amdhsa_user_sgpr_queue_ptr 0
		.amdhsa_user_sgpr_kernarg_segment_ptr 1
		.amdhsa_user_sgpr_dispatch_id 0
		.amdhsa_user_sgpr_kernarg_preload_length 0
		.amdhsa_user_sgpr_kernarg_preload_offset 0
		.amdhsa_user_sgpr_private_segment_size 0
		.amdhsa_uses_dynamic_stack 0
		.amdhsa_enable_private_segment 0
		.amdhsa_system_sgpr_workgroup_id_x 1
		.amdhsa_system_sgpr_workgroup_id_y 0
		.amdhsa_system_sgpr_workgroup_id_z 0
		.amdhsa_system_sgpr_workgroup_info 0
		.amdhsa_system_vgpr_workitem_id 0
		.amdhsa_next_free_vgpr 1
		.amdhsa_next_free_sgpr 0
		.amdhsa_accum_offset 4
		.amdhsa_reserve_vcc 0
		.amdhsa_float_round_mode_32 0
		.amdhsa_float_round_mode_16_64 0
		.amdhsa_float_denorm_mode_32 3
		.amdhsa_float_denorm_mode_16_64 3
		.amdhsa_dx10_clamp 1
		.amdhsa_ieee_mode 1
		.amdhsa_fp16_overflow 0
		.amdhsa_tg_split 0
		.amdhsa_exception_fp_ieee_invalid_op 0
		.amdhsa_exception_fp_denorm_src 0
		.amdhsa_exception_fp_ieee_div_zero 0
		.amdhsa_exception_fp_ieee_overflow 0
		.amdhsa_exception_fp_ieee_underflow 0
		.amdhsa_exception_fp_ieee_inexact 0
		.amdhsa_exception_int_div_zero 0
	.end_amdhsa_kernel
	.section	.text._ZN7rocprim17ROCPRIM_400000_NS6detail17trampoline_kernelINS0_14default_configENS1_38merge_sort_block_merge_config_selectorIiiEEZZNS1_27merge_sort_block_merge_implIS3_N6thrust23THRUST_200600_302600_NS6detail15normal_iteratorINS8_10device_ptrIiEEEESD_jNS1_19radix_merge_compareILb0ELb0EiNS0_19identity_decomposerEEEEE10hipError_tT0_T1_T2_jT3_P12ihipStream_tbPNSt15iterator_traitsISI_E10value_typeEPNSO_ISJ_E10value_typeEPSK_NS1_7vsmem_tEENKUlT_SI_SJ_SK_E_clISD_PiSD_S10_EESH_SX_SI_SJ_SK_EUlSX_E0_NS1_11comp_targetILNS1_3genE4ELNS1_11target_archE910ELNS1_3gpuE8ELNS1_3repE0EEENS1_38merge_mergepath_config_static_selectorELNS0_4arch9wavefront6targetE1EEEvSJ_,"axG",@progbits,_ZN7rocprim17ROCPRIM_400000_NS6detail17trampoline_kernelINS0_14default_configENS1_38merge_sort_block_merge_config_selectorIiiEEZZNS1_27merge_sort_block_merge_implIS3_N6thrust23THRUST_200600_302600_NS6detail15normal_iteratorINS8_10device_ptrIiEEEESD_jNS1_19radix_merge_compareILb0ELb0EiNS0_19identity_decomposerEEEEE10hipError_tT0_T1_T2_jT3_P12ihipStream_tbPNSt15iterator_traitsISI_E10value_typeEPNSO_ISJ_E10value_typeEPSK_NS1_7vsmem_tEENKUlT_SI_SJ_SK_E_clISD_PiSD_S10_EESH_SX_SI_SJ_SK_EUlSX_E0_NS1_11comp_targetILNS1_3genE4ELNS1_11target_archE910ELNS1_3gpuE8ELNS1_3repE0EEENS1_38merge_mergepath_config_static_selectorELNS0_4arch9wavefront6targetE1EEEvSJ_,comdat
.Lfunc_end1322:
	.size	_ZN7rocprim17ROCPRIM_400000_NS6detail17trampoline_kernelINS0_14default_configENS1_38merge_sort_block_merge_config_selectorIiiEEZZNS1_27merge_sort_block_merge_implIS3_N6thrust23THRUST_200600_302600_NS6detail15normal_iteratorINS8_10device_ptrIiEEEESD_jNS1_19radix_merge_compareILb0ELb0EiNS0_19identity_decomposerEEEEE10hipError_tT0_T1_T2_jT3_P12ihipStream_tbPNSt15iterator_traitsISI_E10value_typeEPNSO_ISJ_E10value_typeEPSK_NS1_7vsmem_tEENKUlT_SI_SJ_SK_E_clISD_PiSD_S10_EESH_SX_SI_SJ_SK_EUlSX_E0_NS1_11comp_targetILNS1_3genE4ELNS1_11target_archE910ELNS1_3gpuE8ELNS1_3repE0EEENS1_38merge_mergepath_config_static_selectorELNS0_4arch9wavefront6targetE1EEEvSJ_, .Lfunc_end1322-_ZN7rocprim17ROCPRIM_400000_NS6detail17trampoline_kernelINS0_14default_configENS1_38merge_sort_block_merge_config_selectorIiiEEZZNS1_27merge_sort_block_merge_implIS3_N6thrust23THRUST_200600_302600_NS6detail15normal_iteratorINS8_10device_ptrIiEEEESD_jNS1_19radix_merge_compareILb0ELb0EiNS0_19identity_decomposerEEEEE10hipError_tT0_T1_T2_jT3_P12ihipStream_tbPNSt15iterator_traitsISI_E10value_typeEPNSO_ISJ_E10value_typeEPSK_NS1_7vsmem_tEENKUlT_SI_SJ_SK_E_clISD_PiSD_S10_EESH_SX_SI_SJ_SK_EUlSX_E0_NS1_11comp_targetILNS1_3genE4ELNS1_11target_archE910ELNS1_3gpuE8ELNS1_3repE0EEENS1_38merge_mergepath_config_static_selectorELNS0_4arch9wavefront6targetE1EEEvSJ_
                                        ; -- End function
	.set _ZN7rocprim17ROCPRIM_400000_NS6detail17trampoline_kernelINS0_14default_configENS1_38merge_sort_block_merge_config_selectorIiiEEZZNS1_27merge_sort_block_merge_implIS3_N6thrust23THRUST_200600_302600_NS6detail15normal_iteratorINS8_10device_ptrIiEEEESD_jNS1_19radix_merge_compareILb0ELb0EiNS0_19identity_decomposerEEEEE10hipError_tT0_T1_T2_jT3_P12ihipStream_tbPNSt15iterator_traitsISI_E10value_typeEPNSO_ISJ_E10value_typeEPSK_NS1_7vsmem_tEENKUlT_SI_SJ_SK_E_clISD_PiSD_S10_EESH_SX_SI_SJ_SK_EUlSX_E0_NS1_11comp_targetILNS1_3genE4ELNS1_11target_archE910ELNS1_3gpuE8ELNS1_3repE0EEENS1_38merge_mergepath_config_static_selectorELNS0_4arch9wavefront6targetE1EEEvSJ_.num_vgpr, 0
	.set _ZN7rocprim17ROCPRIM_400000_NS6detail17trampoline_kernelINS0_14default_configENS1_38merge_sort_block_merge_config_selectorIiiEEZZNS1_27merge_sort_block_merge_implIS3_N6thrust23THRUST_200600_302600_NS6detail15normal_iteratorINS8_10device_ptrIiEEEESD_jNS1_19radix_merge_compareILb0ELb0EiNS0_19identity_decomposerEEEEE10hipError_tT0_T1_T2_jT3_P12ihipStream_tbPNSt15iterator_traitsISI_E10value_typeEPNSO_ISJ_E10value_typeEPSK_NS1_7vsmem_tEENKUlT_SI_SJ_SK_E_clISD_PiSD_S10_EESH_SX_SI_SJ_SK_EUlSX_E0_NS1_11comp_targetILNS1_3genE4ELNS1_11target_archE910ELNS1_3gpuE8ELNS1_3repE0EEENS1_38merge_mergepath_config_static_selectorELNS0_4arch9wavefront6targetE1EEEvSJ_.num_agpr, 0
	.set _ZN7rocprim17ROCPRIM_400000_NS6detail17trampoline_kernelINS0_14default_configENS1_38merge_sort_block_merge_config_selectorIiiEEZZNS1_27merge_sort_block_merge_implIS3_N6thrust23THRUST_200600_302600_NS6detail15normal_iteratorINS8_10device_ptrIiEEEESD_jNS1_19radix_merge_compareILb0ELb0EiNS0_19identity_decomposerEEEEE10hipError_tT0_T1_T2_jT3_P12ihipStream_tbPNSt15iterator_traitsISI_E10value_typeEPNSO_ISJ_E10value_typeEPSK_NS1_7vsmem_tEENKUlT_SI_SJ_SK_E_clISD_PiSD_S10_EESH_SX_SI_SJ_SK_EUlSX_E0_NS1_11comp_targetILNS1_3genE4ELNS1_11target_archE910ELNS1_3gpuE8ELNS1_3repE0EEENS1_38merge_mergepath_config_static_selectorELNS0_4arch9wavefront6targetE1EEEvSJ_.numbered_sgpr, 0
	.set _ZN7rocprim17ROCPRIM_400000_NS6detail17trampoline_kernelINS0_14default_configENS1_38merge_sort_block_merge_config_selectorIiiEEZZNS1_27merge_sort_block_merge_implIS3_N6thrust23THRUST_200600_302600_NS6detail15normal_iteratorINS8_10device_ptrIiEEEESD_jNS1_19radix_merge_compareILb0ELb0EiNS0_19identity_decomposerEEEEE10hipError_tT0_T1_T2_jT3_P12ihipStream_tbPNSt15iterator_traitsISI_E10value_typeEPNSO_ISJ_E10value_typeEPSK_NS1_7vsmem_tEENKUlT_SI_SJ_SK_E_clISD_PiSD_S10_EESH_SX_SI_SJ_SK_EUlSX_E0_NS1_11comp_targetILNS1_3genE4ELNS1_11target_archE910ELNS1_3gpuE8ELNS1_3repE0EEENS1_38merge_mergepath_config_static_selectorELNS0_4arch9wavefront6targetE1EEEvSJ_.num_named_barrier, 0
	.set _ZN7rocprim17ROCPRIM_400000_NS6detail17trampoline_kernelINS0_14default_configENS1_38merge_sort_block_merge_config_selectorIiiEEZZNS1_27merge_sort_block_merge_implIS3_N6thrust23THRUST_200600_302600_NS6detail15normal_iteratorINS8_10device_ptrIiEEEESD_jNS1_19radix_merge_compareILb0ELb0EiNS0_19identity_decomposerEEEEE10hipError_tT0_T1_T2_jT3_P12ihipStream_tbPNSt15iterator_traitsISI_E10value_typeEPNSO_ISJ_E10value_typeEPSK_NS1_7vsmem_tEENKUlT_SI_SJ_SK_E_clISD_PiSD_S10_EESH_SX_SI_SJ_SK_EUlSX_E0_NS1_11comp_targetILNS1_3genE4ELNS1_11target_archE910ELNS1_3gpuE8ELNS1_3repE0EEENS1_38merge_mergepath_config_static_selectorELNS0_4arch9wavefront6targetE1EEEvSJ_.private_seg_size, 0
	.set _ZN7rocprim17ROCPRIM_400000_NS6detail17trampoline_kernelINS0_14default_configENS1_38merge_sort_block_merge_config_selectorIiiEEZZNS1_27merge_sort_block_merge_implIS3_N6thrust23THRUST_200600_302600_NS6detail15normal_iteratorINS8_10device_ptrIiEEEESD_jNS1_19radix_merge_compareILb0ELb0EiNS0_19identity_decomposerEEEEE10hipError_tT0_T1_T2_jT3_P12ihipStream_tbPNSt15iterator_traitsISI_E10value_typeEPNSO_ISJ_E10value_typeEPSK_NS1_7vsmem_tEENKUlT_SI_SJ_SK_E_clISD_PiSD_S10_EESH_SX_SI_SJ_SK_EUlSX_E0_NS1_11comp_targetILNS1_3genE4ELNS1_11target_archE910ELNS1_3gpuE8ELNS1_3repE0EEENS1_38merge_mergepath_config_static_selectorELNS0_4arch9wavefront6targetE1EEEvSJ_.uses_vcc, 0
	.set _ZN7rocprim17ROCPRIM_400000_NS6detail17trampoline_kernelINS0_14default_configENS1_38merge_sort_block_merge_config_selectorIiiEEZZNS1_27merge_sort_block_merge_implIS3_N6thrust23THRUST_200600_302600_NS6detail15normal_iteratorINS8_10device_ptrIiEEEESD_jNS1_19radix_merge_compareILb0ELb0EiNS0_19identity_decomposerEEEEE10hipError_tT0_T1_T2_jT3_P12ihipStream_tbPNSt15iterator_traitsISI_E10value_typeEPNSO_ISJ_E10value_typeEPSK_NS1_7vsmem_tEENKUlT_SI_SJ_SK_E_clISD_PiSD_S10_EESH_SX_SI_SJ_SK_EUlSX_E0_NS1_11comp_targetILNS1_3genE4ELNS1_11target_archE910ELNS1_3gpuE8ELNS1_3repE0EEENS1_38merge_mergepath_config_static_selectorELNS0_4arch9wavefront6targetE1EEEvSJ_.uses_flat_scratch, 0
	.set _ZN7rocprim17ROCPRIM_400000_NS6detail17trampoline_kernelINS0_14default_configENS1_38merge_sort_block_merge_config_selectorIiiEEZZNS1_27merge_sort_block_merge_implIS3_N6thrust23THRUST_200600_302600_NS6detail15normal_iteratorINS8_10device_ptrIiEEEESD_jNS1_19radix_merge_compareILb0ELb0EiNS0_19identity_decomposerEEEEE10hipError_tT0_T1_T2_jT3_P12ihipStream_tbPNSt15iterator_traitsISI_E10value_typeEPNSO_ISJ_E10value_typeEPSK_NS1_7vsmem_tEENKUlT_SI_SJ_SK_E_clISD_PiSD_S10_EESH_SX_SI_SJ_SK_EUlSX_E0_NS1_11comp_targetILNS1_3genE4ELNS1_11target_archE910ELNS1_3gpuE8ELNS1_3repE0EEENS1_38merge_mergepath_config_static_selectorELNS0_4arch9wavefront6targetE1EEEvSJ_.has_dyn_sized_stack, 0
	.set _ZN7rocprim17ROCPRIM_400000_NS6detail17trampoline_kernelINS0_14default_configENS1_38merge_sort_block_merge_config_selectorIiiEEZZNS1_27merge_sort_block_merge_implIS3_N6thrust23THRUST_200600_302600_NS6detail15normal_iteratorINS8_10device_ptrIiEEEESD_jNS1_19radix_merge_compareILb0ELb0EiNS0_19identity_decomposerEEEEE10hipError_tT0_T1_T2_jT3_P12ihipStream_tbPNSt15iterator_traitsISI_E10value_typeEPNSO_ISJ_E10value_typeEPSK_NS1_7vsmem_tEENKUlT_SI_SJ_SK_E_clISD_PiSD_S10_EESH_SX_SI_SJ_SK_EUlSX_E0_NS1_11comp_targetILNS1_3genE4ELNS1_11target_archE910ELNS1_3gpuE8ELNS1_3repE0EEENS1_38merge_mergepath_config_static_selectorELNS0_4arch9wavefront6targetE1EEEvSJ_.has_recursion, 0
	.set _ZN7rocprim17ROCPRIM_400000_NS6detail17trampoline_kernelINS0_14default_configENS1_38merge_sort_block_merge_config_selectorIiiEEZZNS1_27merge_sort_block_merge_implIS3_N6thrust23THRUST_200600_302600_NS6detail15normal_iteratorINS8_10device_ptrIiEEEESD_jNS1_19radix_merge_compareILb0ELb0EiNS0_19identity_decomposerEEEEE10hipError_tT0_T1_T2_jT3_P12ihipStream_tbPNSt15iterator_traitsISI_E10value_typeEPNSO_ISJ_E10value_typeEPSK_NS1_7vsmem_tEENKUlT_SI_SJ_SK_E_clISD_PiSD_S10_EESH_SX_SI_SJ_SK_EUlSX_E0_NS1_11comp_targetILNS1_3genE4ELNS1_11target_archE910ELNS1_3gpuE8ELNS1_3repE0EEENS1_38merge_mergepath_config_static_selectorELNS0_4arch9wavefront6targetE1EEEvSJ_.has_indirect_call, 0
	.section	.AMDGPU.csdata,"",@progbits
; Kernel info:
; codeLenInByte = 0
; TotalNumSgprs: 6
; NumVgprs: 0
; NumAgprs: 0
; TotalNumVgprs: 0
; ScratchSize: 0
; MemoryBound: 0
; FloatMode: 240
; IeeeMode: 1
; LDSByteSize: 0 bytes/workgroup (compile time only)
; SGPRBlocks: 0
; VGPRBlocks: 0
; NumSGPRsForWavesPerEU: 6
; NumVGPRsForWavesPerEU: 1
; AccumOffset: 4
; Occupancy: 8
; WaveLimiterHint : 0
; COMPUTE_PGM_RSRC2:SCRATCH_EN: 0
; COMPUTE_PGM_RSRC2:USER_SGPR: 2
; COMPUTE_PGM_RSRC2:TRAP_HANDLER: 0
; COMPUTE_PGM_RSRC2:TGID_X_EN: 1
; COMPUTE_PGM_RSRC2:TGID_Y_EN: 0
; COMPUTE_PGM_RSRC2:TGID_Z_EN: 0
; COMPUTE_PGM_RSRC2:TIDIG_COMP_CNT: 0
; COMPUTE_PGM_RSRC3_GFX90A:ACCUM_OFFSET: 0
; COMPUTE_PGM_RSRC3_GFX90A:TG_SPLIT: 0
	.section	.text._ZN7rocprim17ROCPRIM_400000_NS6detail17trampoline_kernelINS0_14default_configENS1_38merge_sort_block_merge_config_selectorIiiEEZZNS1_27merge_sort_block_merge_implIS3_N6thrust23THRUST_200600_302600_NS6detail15normal_iteratorINS8_10device_ptrIiEEEESD_jNS1_19radix_merge_compareILb0ELb0EiNS0_19identity_decomposerEEEEE10hipError_tT0_T1_T2_jT3_P12ihipStream_tbPNSt15iterator_traitsISI_E10value_typeEPNSO_ISJ_E10value_typeEPSK_NS1_7vsmem_tEENKUlT_SI_SJ_SK_E_clISD_PiSD_S10_EESH_SX_SI_SJ_SK_EUlSX_E0_NS1_11comp_targetILNS1_3genE3ELNS1_11target_archE908ELNS1_3gpuE7ELNS1_3repE0EEENS1_38merge_mergepath_config_static_selectorELNS0_4arch9wavefront6targetE1EEEvSJ_,"axG",@progbits,_ZN7rocprim17ROCPRIM_400000_NS6detail17trampoline_kernelINS0_14default_configENS1_38merge_sort_block_merge_config_selectorIiiEEZZNS1_27merge_sort_block_merge_implIS3_N6thrust23THRUST_200600_302600_NS6detail15normal_iteratorINS8_10device_ptrIiEEEESD_jNS1_19radix_merge_compareILb0ELb0EiNS0_19identity_decomposerEEEEE10hipError_tT0_T1_T2_jT3_P12ihipStream_tbPNSt15iterator_traitsISI_E10value_typeEPNSO_ISJ_E10value_typeEPSK_NS1_7vsmem_tEENKUlT_SI_SJ_SK_E_clISD_PiSD_S10_EESH_SX_SI_SJ_SK_EUlSX_E0_NS1_11comp_targetILNS1_3genE3ELNS1_11target_archE908ELNS1_3gpuE7ELNS1_3repE0EEENS1_38merge_mergepath_config_static_selectorELNS0_4arch9wavefront6targetE1EEEvSJ_,comdat
	.protected	_ZN7rocprim17ROCPRIM_400000_NS6detail17trampoline_kernelINS0_14default_configENS1_38merge_sort_block_merge_config_selectorIiiEEZZNS1_27merge_sort_block_merge_implIS3_N6thrust23THRUST_200600_302600_NS6detail15normal_iteratorINS8_10device_ptrIiEEEESD_jNS1_19radix_merge_compareILb0ELb0EiNS0_19identity_decomposerEEEEE10hipError_tT0_T1_T2_jT3_P12ihipStream_tbPNSt15iterator_traitsISI_E10value_typeEPNSO_ISJ_E10value_typeEPSK_NS1_7vsmem_tEENKUlT_SI_SJ_SK_E_clISD_PiSD_S10_EESH_SX_SI_SJ_SK_EUlSX_E0_NS1_11comp_targetILNS1_3genE3ELNS1_11target_archE908ELNS1_3gpuE7ELNS1_3repE0EEENS1_38merge_mergepath_config_static_selectorELNS0_4arch9wavefront6targetE1EEEvSJ_ ; -- Begin function _ZN7rocprim17ROCPRIM_400000_NS6detail17trampoline_kernelINS0_14default_configENS1_38merge_sort_block_merge_config_selectorIiiEEZZNS1_27merge_sort_block_merge_implIS3_N6thrust23THRUST_200600_302600_NS6detail15normal_iteratorINS8_10device_ptrIiEEEESD_jNS1_19radix_merge_compareILb0ELb0EiNS0_19identity_decomposerEEEEE10hipError_tT0_T1_T2_jT3_P12ihipStream_tbPNSt15iterator_traitsISI_E10value_typeEPNSO_ISJ_E10value_typeEPSK_NS1_7vsmem_tEENKUlT_SI_SJ_SK_E_clISD_PiSD_S10_EESH_SX_SI_SJ_SK_EUlSX_E0_NS1_11comp_targetILNS1_3genE3ELNS1_11target_archE908ELNS1_3gpuE7ELNS1_3repE0EEENS1_38merge_mergepath_config_static_selectorELNS0_4arch9wavefront6targetE1EEEvSJ_
	.globl	_ZN7rocprim17ROCPRIM_400000_NS6detail17trampoline_kernelINS0_14default_configENS1_38merge_sort_block_merge_config_selectorIiiEEZZNS1_27merge_sort_block_merge_implIS3_N6thrust23THRUST_200600_302600_NS6detail15normal_iteratorINS8_10device_ptrIiEEEESD_jNS1_19radix_merge_compareILb0ELb0EiNS0_19identity_decomposerEEEEE10hipError_tT0_T1_T2_jT3_P12ihipStream_tbPNSt15iterator_traitsISI_E10value_typeEPNSO_ISJ_E10value_typeEPSK_NS1_7vsmem_tEENKUlT_SI_SJ_SK_E_clISD_PiSD_S10_EESH_SX_SI_SJ_SK_EUlSX_E0_NS1_11comp_targetILNS1_3genE3ELNS1_11target_archE908ELNS1_3gpuE7ELNS1_3repE0EEENS1_38merge_mergepath_config_static_selectorELNS0_4arch9wavefront6targetE1EEEvSJ_
	.p2align	8
	.type	_ZN7rocprim17ROCPRIM_400000_NS6detail17trampoline_kernelINS0_14default_configENS1_38merge_sort_block_merge_config_selectorIiiEEZZNS1_27merge_sort_block_merge_implIS3_N6thrust23THRUST_200600_302600_NS6detail15normal_iteratorINS8_10device_ptrIiEEEESD_jNS1_19radix_merge_compareILb0ELb0EiNS0_19identity_decomposerEEEEE10hipError_tT0_T1_T2_jT3_P12ihipStream_tbPNSt15iterator_traitsISI_E10value_typeEPNSO_ISJ_E10value_typeEPSK_NS1_7vsmem_tEENKUlT_SI_SJ_SK_E_clISD_PiSD_S10_EESH_SX_SI_SJ_SK_EUlSX_E0_NS1_11comp_targetILNS1_3genE3ELNS1_11target_archE908ELNS1_3gpuE7ELNS1_3repE0EEENS1_38merge_mergepath_config_static_selectorELNS0_4arch9wavefront6targetE1EEEvSJ_,@function
_ZN7rocprim17ROCPRIM_400000_NS6detail17trampoline_kernelINS0_14default_configENS1_38merge_sort_block_merge_config_selectorIiiEEZZNS1_27merge_sort_block_merge_implIS3_N6thrust23THRUST_200600_302600_NS6detail15normal_iteratorINS8_10device_ptrIiEEEESD_jNS1_19radix_merge_compareILb0ELb0EiNS0_19identity_decomposerEEEEE10hipError_tT0_T1_T2_jT3_P12ihipStream_tbPNSt15iterator_traitsISI_E10value_typeEPNSO_ISJ_E10value_typeEPSK_NS1_7vsmem_tEENKUlT_SI_SJ_SK_E_clISD_PiSD_S10_EESH_SX_SI_SJ_SK_EUlSX_E0_NS1_11comp_targetILNS1_3genE3ELNS1_11target_archE908ELNS1_3gpuE7ELNS1_3repE0EEENS1_38merge_mergepath_config_static_selectorELNS0_4arch9wavefront6targetE1EEEvSJ_: ; @_ZN7rocprim17ROCPRIM_400000_NS6detail17trampoline_kernelINS0_14default_configENS1_38merge_sort_block_merge_config_selectorIiiEEZZNS1_27merge_sort_block_merge_implIS3_N6thrust23THRUST_200600_302600_NS6detail15normal_iteratorINS8_10device_ptrIiEEEESD_jNS1_19radix_merge_compareILb0ELb0EiNS0_19identity_decomposerEEEEE10hipError_tT0_T1_T2_jT3_P12ihipStream_tbPNSt15iterator_traitsISI_E10value_typeEPNSO_ISJ_E10value_typeEPSK_NS1_7vsmem_tEENKUlT_SI_SJ_SK_E_clISD_PiSD_S10_EESH_SX_SI_SJ_SK_EUlSX_E0_NS1_11comp_targetILNS1_3genE3ELNS1_11target_archE908ELNS1_3gpuE7ELNS1_3repE0EEENS1_38merge_mergepath_config_static_selectorELNS0_4arch9wavefront6targetE1EEEvSJ_
; %bb.0:
	.section	.rodata,"a",@progbits
	.p2align	6, 0x0
	.amdhsa_kernel _ZN7rocprim17ROCPRIM_400000_NS6detail17trampoline_kernelINS0_14default_configENS1_38merge_sort_block_merge_config_selectorIiiEEZZNS1_27merge_sort_block_merge_implIS3_N6thrust23THRUST_200600_302600_NS6detail15normal_iteratorINS8_10device_ptrIiEEEESD_jNS1_19radix_merge_compareILb0ELb0EiNS0_19identity_decomposerEEEEE10hipError_tT0_T1_T2_jT3_P12ihipStream_tbPNSt15iterator_traitsISI_E10value_typeEPNSO_ISJ_E10value_typeEPSK_NS1_7vsmem_tEENKUlT_SI_SJ_SK_E_clISD_PiSD_S10_EESH_SX_SI_SJ_SK_EUlSX_E0_NS1_11comp_targetILNS1_3genE3ELNS1_11target_archE908ELNS1_3gpuE7ELNS1_3repE0EEENS1_38merge_mergepath_config_static_selectorELNS0_4arch9wavefront6targetE1EEEvSJ_
		.amdhsa_group_segment_fixed_size 0
		.amdhsa_private_segment_fixed_size 0
		.amdhsa_kernarg_size 64
		.amdhsa_user_sgpr_count 2
		.amdhsa_user_sgpr_dispatch_ptr 0
		.amdhsa_user_sgpr_queue_ptr 0
		.amdhsa_user_sgpr_kernarg_segment_ptr 1
		.amdhsa_user_sgpr_dispatch_id 0
		.amdhsa_user_sgpr_kernarg_preload_length 0
		.amdhsa_user_sgpr_kernarg_preload_offset 0
		.amdhsa_user_sgpr_private_segment_size 0
		.amdhsa_uses_dynamic_stack 0
		.amdhsa_enable_private_segment 0
		.amdhsa_system_sgpr_workgroup_id_x 1
		.amdhsa_system_sgpr_workgroup_id_y 0
		.amdhsa_system_sgpr_workgroup_id_z 0
		.amdhsa_system_sgpr_workgroup_info 0
		.amdhsa_system_vgpr_workitem_id 0
		.amdhsa_next_free_vgpr 1
		.amdhsa_next_free_sgpr 0
		.amdhsa_accum_offset 4
		.amdhsa_reserve_vcc 0
		.amdhsa_float_round_mode_32 0
		.amdhsa_float_round_mode_16_64 0
		.amdhsa_float_denorm_mode_32 3
		.amdhsa_float_denorm_mode_16_64 3
		.amdhsa_dx10_clamp 1
		.amdhsa_ieee_mode 1
		.amdhsa_fp16_overflow 0
		.amdhsa_tg_split 0
		.amdhsa_exception_fp_ieee_invalid_op 0
		.amdhsa_exception_fp_denorm_src 0
		.amdhsa_exception_fp_ieee_div_zero 0
		.amdhsa_exception_fp_ieee_overflow 0
		.amdhsa_exception_fp_ieee_underflow 0
		.amdhsa_exception_fp_ieee_inexact 0
		.amdhsa_exception_int_div_zero 0
	.end_amdhsa_kernel
	.section	.text._ZN7rocprim17ROCPRIM_400000_NS6detail17trampoline_kernelINS0_14default_configENS1_38merge_sort_block_merge_config_selectorIiiEEZZNS1_27merge_sort_block_merge_implIS3_N6thrust23THRUST_200600_302600_NS6detail15normal_iteratorINS8_10device_ptrIiEEEESD_jNS1_19radix_merge_compareILb0ELb0EiNS0_19identity_decomposerEEEEE10hipError_tT0_T1_T2_jT3_P12ihipStream_tbPNSt15iterator_traitsISI_E10value_typeEPNSO_ISJ_E10value_typeEPSK_NS1_7vsmem_tEENKUlT_SI_SJ_SK_E_clISD_PiSD_S10_EESH_SX_SI_SJ_SK_EUlSX_E0_NS1_11comp_targetILNS1_3genE3ELNS1_11target_archE908ELNS1_3gpuE7ELNS1_3repE0EEENS1_38merge_mergepath_config_static_selectorELNS0_4arch9wavefront6targetE1EEEvSJ_,"axG",@progbits,_ZN7rocprim17ROCPRIM_400000_NS6detail17trampoline_kernelINS0_14default_configENS1_38merge_sort_block_merge_config_selectorIiiEEZZNS1_27merge_sort_block_merge_implIS3_N6thrust23THRUST_200600_302600_NS6detail15normal_iteratorINS8_10device_ptrIiEEEESD_jNS1_19radix_merge_compareILb0ELb0EiNS0_19identity_decomposerEEEEE10hipError_tT0_T1_T2_jT3_P12ihipStream_tbPNSt15iterator_traitsISI_E10value_typeEPNSO_ISJ_E10value_typeEPSK_NS1_7vsmem_tEENKUlT_SI_SJ_SK_E_clISD_PiSD_S10_EESH_SX_SI_SJ_SK_EUlSX_E0_NS1_11comp_targetILNS1_3genE3ELNS1_11target_archE908ELNS1_3gpuE7ELNS1_3repE0EEENS1_38merge_mergepath_config_static_selectorELNS0_4arch9wavefront6targetE1EEEvSJ_,comdat
.Lfunc_end1323:
	.size	_ZN7rocprim17ROCPRIM_400000_NS6detail17trampoline_kernelINS0_14default_configENS1_38merge_sort_block_merge_config_selectorIiiEEZZNS1_27merge_sort_block_merge_implIS3_N6thrust23THRUST_200600_302600_NS6detail15normal_iteratorINS8_10device_ptrIiEEEESD_jNS1_19radix_merge_compareILb0ELb0EiNS0_19identity_decomposerEEEEE10hipError_tT0_T1_T2_jT3_P12ihipStream_tbPNSt15iterator_traitsISI_E10value_typeEPNSO_ISJ_E10value_typeEPSK_NS1_7vsmem_tEENKUlT_SI_SJ_SK_E_clISD_PiSD_S10_EESH_SX_SI_SJ_SK_EUlSX_E0_NS1_11comp_targetILNS1_3genE3ELNS1_11target_archE908ELNS1_3gpuE7ELNS1_3repE0EEENS1_38merge_mergepath_config_static_selectorELNS0_4arch9wavefront6targetE1EEEvSJ_, .Lfunc_end1323-_ZN7rocprim17ROCPRIM_400000_NS6detail17trampoline_kernelINS0_14default_configENS1_38merge_sort_block_merge_config_selectorIiiEEZZNS1_27merge_sort_block_merge_implIS3_N6thrust23THRUST_200600_302600_NS6detail15normal_iteratorINS8_10device_ptrIiEEEESD_jNS1_19radix_merge_compareILb0ELb0EiNS0_19identity_decomposerEEEEE10hipError_tT0_T1_T2_jT3_P12ihipStream_tbPNSt15iterator_traitsISI_E10value_typeEPNSO_ISJ_E10value_typeEPSK_NS1_7vsmem_tEENKUlT_SI_SJ_SK_E_clISD_PiSD_S10_EESH_SX_SI_SJ_SK_EUlSX_E0_NS1_11comp_targetILNS1_3genE3ELNS1_11target_archE908ELNS1_3gpuE7ELNS1_3repE0EEENS1_38merge_mergepath_config_static_selectorELNS0_4arch9wavefront6targetE1EEEvSJ_
                                        ; -- End function
	.set _ZN7rocprim17ROCPRIM_400000_NS6detail17trampoline_kernelINS0_14default_configENS1_38merge_sort_block_merge_config_selectorIiiEEZZNS1_27merge_sort_block_merge_implIS3_N6thrust23THRUST_200600_302600_NS6detail15normal_iteratorINS8_10device_ptrIiEEEESD_jNS1_19radix_merge_compareILb0ELb0EiNS0_19identity_decomposerEEEEE10hipError_tT0_T1_T2_jT3_P12ihipStream_tbPNSt15iterator_traitsISI_E10value_typeEPNSO_ISJ_E10value_typeEPSK_NS1_7vsmem_tEENKUlT_SI_SJ_SK_E_clISD_PiSD_S10_EESH_SX_SI_SJ_SK_EUlSX_E0_NS1_11comp_targetILNS1_3genE3ELNS1_11target_archE908ELNS1_3gpuE7ELNS1_3repE0EEENS1_38merge_mergepath_config_static_selectorELNS0_4arch9wavefront6targetE1EEEvSJ_.num_vgpr, 0
	.set _ZN7rocprim17ROCPRIM_400000_NS6detail17trampoline_kernelINS0_14default_configENS1_38merge_sort_block_merge_config_selectorIiiEEZZNS1_27merge_sort_block_merge_implIS3_N6thrust23THRUST_200600_302600_NS6detail15normal_iteratorINS8_10device_ptrIiEEEESD_jNS1_19radix_merge_compareILb0ELb0EiNS0_19identity_decomposerEEEEE10hipError_tT0_T1_T2_jT3_P12ihipStream_tbPNSt15iterator_traitsISI_E10value_typeEPNSO_ISJ_E10value_typeEPSK_NS1_7vsmem_tEENKUlT_SI_SJ_SK_E_clISD_PiSD_S10_EESH_SX_SI_SJ_SK_EUlSX_E0_NS1_11comp_targetILNS1_3genE3ELNS1_11target_archE908ELNS1_3gpuE7ELNS1_3repE0EEENS1_38merge_mergepath_config_static_selectorELNS0_4arch9wavefront6targetE1EEEvSJ_.num_agpr, 0
	.set _ZN7rocprim17ROCPRIM_400000_NS6detail17trampoline_kernelINS0_14default_configENS1_38merge_sort_block_merge_config_selectorIiiEEZZNS1_27merge_sort_block_merge_implIS3_N6thrust23THRUST_200600_302600_NS6detail15normal_iteratorINS8_10device_ptrIiEEEESD_jNS1_19radix_merge_compareILb0ELb0EiNS0_19identity_decomposerEEEEE10hipError_tT0_T1_T2_jT3_P12ihipStream_tbPNSt15iterator_traitsISI_E10value_typeEPNSO_ISJ_E10value_typeEPSK_NS1_7vsmem_tEENKUlT_SI_SJ_SK_E_clISD_PiSD_S10_EESH_SX_SI_SJ_SK_EUlSX_E0_NS1_11comp_targetILNS1_3genE3ELNS1_11target_archE908ELNS1_3gpuE7ELNS1_3repE0EEENS1_38merge_mergepath_config_static_selectorELNS0_4arch9wavefront6targetE1EEEvSJ_.numbered_sgpr, 0
	.set _ZN7rocprim17ROCPRIM_400000_NS6detail17trampoline_kernelINS0_14default_configENS1_38merge_sort_block_merge_config_selectorIiiEEZZNS1_27merge_sort_block_merge_implIS3_N6thrust23THRUST_200600_302600_NS6detail15normal_iteratorINS8_10device_ptrIiEEEESD_jNS1_19radix_merge_compareILb0ELb0EiNS0_19identity_decomposerEEEEE10hipError_tT0_T1_T2_jT3_P12ihipStream_tbPNSt15iterator_traitsISI_E10value_typeEPNSO_ISJ_E10value_typeEPSK_NS1_7vsmem_tEENKUlT_SI_SJ_SK_E_clISD_PiSD_S10_EESH_SX_SI_SJ_SK_EUlSX_E0_NS1_11comp_targetILNS1_3genE3ELNS1_11target_archE908ELNS1_3gpuE7ELNS1_3repE0EEENS1_38merge_mergepath_config_static_selectorELNS0_4arch9wavefront6targetE1EEEvSJ_.num_named_barrier, 0
	.set _ZN7rocprim17ROCPRIM_400000_NS6detail17trampoline_kernelINS0_14default_configENS1_38merge_sort_block_merge_config_selectorIiiEEZZNS1_27merge_sort_block_merge_implIS3_N6thrust23THRUST_200600_302600_NS6detail15normal_iteratorINS8_10device_ptrIiEEEESD_jNS1_19radix_merge_compareILb0ELb0EiNS0_19identity_decomposerEEEEE10hipError_tT0_T1_T2_jT3_P12ihipStream_tbPNSt15iterator_traitsISI_E10value_typeEPNSO_ISJ_E10value_typeEPSK_NS1_7vsmem_tEENKUlT_SI_SJ_SK_E_clISD_PiSD_S10_EESH_SX_SI_SJ_SK_EUlSX_E0_NS1_11comp_targetILNS1_3genE3ELNS1_11target_archE908ELNS1_3gpuE7ELNS1_3repE0EEENS1_38merge_mergepath_config_static_selectorELNS0_4arch9wavefront6targetE1EEEvSJ_.private_seg_size, 0
	.set _ZN7rocprim17ROCPRIM_400000_NS6detail17trampoline_kernelINS0_14default_configENS1_38merge_sort_block_merge_config_selectorIiiEEZZNS1_27merge_sort_block_merge_implIS3_N6thrust23THRUST_200600_302600_NS6detail15normal_iteratorINS8_10device_ptrIiEEEESD_jNS1_19radix_merge_compareILb0ELb0EiNS0_19identity_decomposerEEEEE10hipError_tT0_T1_T2_jT3_P12ihipStream_tbPNSt15iterator_traitsISI_E10value_typeEPNSO_ISJ_E10value_typeEPSK_NS1_7vsmem_tEENKUlT_SI_SJ_SK_E_clISD_PiSD_S10_EESH_SX_SI_SJ_SK_EUlSX_E0_NS1_11comp_targetILNS1_3genE3ELNS1_11target_archE908ELNS1_3gpuE7ELNS1_3repE0EEENS1_38merge_mergepath_config_static_selectorELNS0_4arch9wavefront6targetE1EEEvSJ_.uses_vcc, 0
	.set _ZN7rocprim17ROCPRIM_400000_NS6detail17trampoline_kernelINS0_14default_configENS1_38merge_sort_block_merge_config_selectorIiiEEZZNS1_27merge_sort_block_merge_implIS3_N6thrust23THRUST_200600_302600_NS6detail15normal_iteratorINS8_10device_ptrIiEEEESD_jNS1_19radix_merge_compareILb0ELb0EiNS0_19identity_decomposerEEEEE10hipError_tT0_T1_T2_jT3_P12ihipStream_tbPNSt15iterator_traitsISI_E10value_typeEPNSO_ISJ_E10value_typeEPSK_NS1_7vsmem_tEENKUlT_SI_SJ_SK_E_clISD_PiSD_S10_EESH_SX_SI_SJ_SK_EUlSX_E0_NS1_11comp_targetILNS1_3genE3ELNS1_11target_archE908ELNS1_3gpuE7ELNS1_3repE0EEENS1_38merge_mergepath_config_static_selectorELNS0_4arch9wavefront6targetE1EEEvSJ_.uses_flat_scratch, 0
	.set _ZN7rocprim17ROCPRIM_400000_NS6detail17trampoline_kernelINS0_14default_configENS1_38merge_sort_block_merge_config_selectorIiiEEZZNS1_27merge_sort_block_merge_implIS3_N6thrust23THRUST_200600_302600_NS6detail15normal_iteratorINS8_10device_ptrIiEEEESD_jNS1_19radix_merge_compareILb0ELb0EiNS0_19identity_decomposerEEEEE10hipError_tT0_T1_T2_jT3_P12ihipStream_tbPNSt15iterator_traitsISI_E10value_typeEPNSO_ISJ_E10value_typeEPSK_NS1_7vsmem_tEENKUlT_SI_SJ_SK_E_clISD_PiSD_S10_EESH_SX_SI_SJ_SK_EUlSX_E0_NS1_11comp_targetILNS1_3genE3ELNS1_11target_archE908ELNS1_3gpuE7ELNS1_3repE0EEENS1_38merge_mergepath_config_static_selectorELNS0_4arch9wavefront6targetE1EEEvSJ_.has_dyn_sized_stack, 0
	.set _ZN7rocprim17ROCPRIM_400000_NS6detail17trampoline_kernelINS0_14default_configENS1_38merge_sort_block_merge_config_selectorIiiEEZZNS1_27merge_sort_block_merge_implIS3_N6thrust23THRUST_200600_302600_NS6detail15normal_iteratorINS8_10device_ptrIiEEEESD_jNS1_19radix_merge_compareILb0ELb0EiNS0_19identity_decomposerEEEEE10hipError_tT0_T1_T2_jT3_P12ihipStream_tbPNSt15iterator_traitsISI_E10value_typeEPNSO_ISJ_E10value_typeEPSK_NS1_7vsmem_tEENKUlT_SI_SJ_SK_E_clISD_PiSD_S10_EESH_SX_SI_SJ_SK_EUlSX_E0_NS1_11comp_targetILNS1_3genE3ELNS1_11target_archE908ELNS1_3gpuE7ELNS1_3repE0EEENS1_38merge_mergepath_config_static_selectorELNS0_4arch9wavefront6targetE1EEEvSJ_.has_recursion, 0
	.set _ZN7rocprim17ROCPRIM_400000_NS6detail17trampoline_kernelINS0_14default_configENS1_38merge_sort_block_merge_config_selectorIiiEEZZNS1_27merge_sort_block_merge_implIS3_N6thrust23THRUST_200600_302600_NS6detail15normal_iteratorINS8_10device_ptrIiEEEESD_jNS1_19radix_merge_compareILb0ELb0EiNS0_19identity_decomposerEEEEE10hipError_tT0_T1_T2_jT3_P12ihipStream_tbPNSt15iterator_traitsISI_E10value_typeEPNSO_ISJ_E10value_typeEPSK_NS1_7vsmem_tEENKUlT_SI_SJ_SK_E_clISD_PiSD_S10_EESH_SX_SI_SJ_SK_EUlSX_E0_NS1_11comp_targetILNS1_3genE3ELNS1_11target_archE908ELNS1_3gpuE7ELNS1_3repE0EEENS1_38merge_mergepath_config_static_selectorELNS0_4arch9wavefront6targetE1EEEvSJ_.has_indirect_call, 0
	.section	.AMDGPU.csdata,"",@progbits
; Kernel info:
; codeLenInByte = 0
; TotalNumSgprs: 6
; NumVgprs: 0
; NumAgprs: 0
; TotalNumVgprs: 0
; ScratchSize: 0
; MemoryBound: 0
; FloatMode: 240
; IeeeMode: 1
; LDSByteSize: 0 bytes/workgroup (compile time only)
; SGPRBlocks: 0
; VGPRBlocks: 0
; NumSGPRsForWavesPerEU: 6
; NumVGPRsForWavesPerEU: 1
; AccumOffset: 4
; Occupancy: 8
; WaveLimiterHint : 0
; COMPUTE_PGM_RSRC2:SCRATCH_EN: 0
; COMPUTE_PGM_RSRC2:USER_SGPR: 2
; COMPUTE_PGM_RSRC2:TRAP_HANDLER: 0
; COMPUTE_PGM_RSRC2:TGID_X_EN: 1
; COMPUTE_PGM_RSRC2:TGID_Y_EN: 0
; COMPUTE_PGM_RSRC2:TGID_Z_EN: 0
; COMPUTE_PGM_RSRC2:TIDIG_COMP_CNT: 0
; COMPUTE_PGM_RSRC3_GFX90A:ACCUM_OFFSET: 0
; COMPUTE_PGM_RSRC3_GFX90A:TG_SPLIT: 0
	.section	.text._ZN7rocprim17ROCPRIM_400000_NS6detail17trampoline_kernelINS0_14default_configENS1_38merge_sort_block_merge_config_selectorIiiEEZZNS1_27merge_sort_block_merge_implIS3_N6thrust23THRUST_200600_302600_NS6detail15normal_iteratorINS8_10device_ptrIiEEEESD_jNS1_19radix_merge_compareILb0ELb0EiNS0_19identity_decomposerEEEEE10hipError_tT0_T1_T2_jT3_P12ihipStream_tbPNSt15iterator_traitsISI_E10value_typeEPNSO_ISJ_E10value_typeEPSK_NS1_7vsmem_tEENKUlT_SI_SJ_SK_E_clISD_PiSD_S10_EESH_SX_SI_SJ_SK_EUlSX_E0_NS1_11comp_targetILNS1_3genE2ELNS1_11target_archE906ELNS1_3gpuE6ELNS1_3repE0EEENS1_38merge_mergepath_config_static_selectorELNS0_4arch9wavefront6targetE1EEEvSJ_,"axG",@progbits,_ZN7rocprim17ROCPRIM_400000_NS6detail17trampoline_kernelINS0_14default_configENS1_38merge_sort_block_merge_config_selectorIiiEEZZNS1_27merge_sort_block_merge_implIS3_N6thrust23THRUST_200600_302600_NS6detail15normal_iteratorINS8_10device_ptrIiEEEESD_jNS1_19radix_merge_compareILb0ELb0EiNS0_19identity_decomposerEEEEE10hipError_tT0_T1_T2_jT3_P12ihipStream_tbPNSt15iterator_traitsISI_E10value_typeEPNSO_ISJ_E10value_typeEPSK_NS1_7vsmem_tEENKUlT_SI_SJ_SK_E_clISD_PiSD_S10_EESH_SX_SI_SJ_SK_EUlSX_E0_NS1_11comp_targetILNS1_3genE2ELNS1_11target_archE906ELNS1_3gpuE6ELNS1_3repE0EEENS1_38merge_mergepath_config_static_selectorELNS0_4arch9wavefront6targetE1EEEvSJ_,comdat
	.protected	_ZN7rocprim17ROCPRIM_400000_NS6detail17trampoline_kernelINS0_14default_configENS1_38merge_sort_block_merge_config_selectorIiiEEZZNS1_27merge_sort_block_merge_implIS3_N6thrust23THRUST_200600_302600_NS6detail15normal_iteratorINS8_10device_ptrIiEEEESD_jNS1_19radix_merge_compareILb0ELb0EiNS0_19identity_decomposerEEEEE10hipError_tT0_T1_T2_jT3_P12ihipStream_tbPNSt15iterator_traitsISI_E10value_typeEPNSO_ISJ_E10value_typeEPSK_NS1_7vsmem_tEENKUlT_SI_SJ_SK_E_clISD_PiSD_S10_EESH_SX_SI_SJ_SK_EUlSX_E0_NS1_11comp_targetILNS1_3genE2ELNS1_11target_archE906ELNS1_3gpuE6ELNS1_3repE0EEENS1_38merge_mergepath_config_static_selectorELNS0_4arch9wavefront6targetE1EEEvSJ_ ; -- Begin function _ZN7rocprim17ROCPRIM_400000_NS6detail17trampoline_kernelINS0_14default_configENS1_38merge_sort_block_merge_config_selectorIiiEEZZNS1_27merge_sort_block_merge_implIS3_N6thrust23THRUST_200600_302600_NS6detail15normal_iteratorINS8_10device_ptrIiEEEESD_jNS1_19radix_merge_compareILb0ELb0EiNS0_19identity_decomposerEEEEE10hipError_tT0_T1_T2_jT3_P12ihipStream_tbPNSt15iterator_traitsISI_E10value_typeEPNSO_ISJ_E10value_typeEPSK_NS1_7vsmem_tEENKUlT_SI_SJ_SK_E_clISD_PiSD_S10_EESH_SX_SI_SJ_SK_EUlSX_E0_NS1_11comp_targetILNS1_3genE2ELNS1_11target_archE906ELNS1_3gpuE6ELNS1_3repE0EEENS1_38merge_mergepath_config_static_selectorELNS0_4arch9wavefront6targetE1EEEvSJ_
	.globl	_ZN7rocprim17ROCPRIM_400000_NS6detail17trampoline_kernelINS0_14default_configENS1_38merge_sort_block_merge_config_selectorIiiEEZZNS1_27merge_sort_block_merge_implIS3_N6thrust23THRUST_200600_302600_NS6detail15normal_iteratorINS8_10device_ptrIiEEEESD_jNS1_19radix_merge_compareILb0ELb0EiNS0_19identity_decomposerEEEEE10hipError_tT0_T1_T2_jT3_P12ihipStream_tbPNSt15iterator_traitsISI_E10value_typeEPNSO_ISJ_E10value_typeEPSK_NS1_7vsmem_tEENKUlT_SI_SJ_SK_E_clISD_PiSD_S10_EESH_SX_SI_SJ_SK_EUlSX_E0_NS1_11comp_targetILNS1_3genE2ELNS1_11target_archE906ELNS1_3gpuE6ELNS1_3repE0EEENS1_38merge_mergepath_config_static_selectorELNS0_4arch9wavefront6targetE1EEEvSJ_
	.p2align	8
	.type	_ZN7rocprim17ROCPRIM_400000_NS6detail17trampoline_kernelINS0_14default_configENS1_38merge_sort_block_merge_config_selectorIiiEEZZNS1_27merge_sort_block_merge_implIS3_N6thrust23THRUST_200600_302600_NS6detail15normal_iteratorINS8_10device_ptrIiEEEESD_jNS1_19radix_merge_compareILb0ELb0EiNS0_19identity_decomposerEEEEE10hipError_tT0_T1_T2_jT3_P12ihipStream_tbPNSt15iterator_traitsISI_E10value_typeEPNSO_ISJ_E10value_typeEPSK_NS1_7vsmem_tEENKUlT_SI_SJ_SK_E_clISD_PiSD_S10_EESH_SX_SI_SJ_SK_EUlSX_E0_NS1_11comp_targetILNS1_3genE2ELNS1_11target_archE906ELNS1_3gpuE6ELNS1_3repE0EEENS1_38merge_mergepath_config_static_selectorELNS0_4arch9wavefront6targetE1EEEvSJ_,@function
_ZN7rocprim17ROCPRIM_400000_NS6detail17trampoline_kernelINS0_14default_configENS1_38merge_sort_block_merge_config_selectorIiiEEZZNS1_27merge_sort_block_merge_implIS3_N6thrust23THRUST_200600_302600_NS6detail15normal_iteratorINS8_10device_ptrIiEEEESD_jNS1_19radix_merge_compareILb0ELb0EiNS0_19identity_decomposerEEEEE10hipError_tT0_T1_T2_jT3_P12ihipStream_tbPNSt15iterator_traitsISI_E10value_typeEPNSO_ISJ_E10value_typeEPSK_NS1_7vsmem_tEENKUlT_SI_SJ_SK_E_clISD_PiSD_S10_EESH_SX_SI_SJ_SK_EUlSX_E0_NS1_11comp_targetILNS1_3genE2ELNS1_11target_archE906ELNS1_3gpuE6ELNS1_3repE0EEENS1_38merge_mergepath_config_static_selectorELNS0_4arch9wavefront6targetE1EEEvSJ_: ; @_ZN7rocprim17ROCPRIM_400000_NS6detail17trampoline_kernelINS0_14default_configENS1_38merge_sort_block_merge_config_selectorIiiEEZZNS1_27merge_sort_block_merge_implIS3_N6thrust23THRUST_200600_302600_NS6detail15normal_iteratorINS8_10device_ptrIiEEEESD_jNS1_19radix_merge_compareILb0ELb0EiNS0_19identity_decomposerEEEEE10hipError_tT0_T1_T2_jT3_P12ihipStream_tbPNSt15iterator_traitsISI_E10value_typeEPNSO_ISJ_E10value_typeEPSK_NS1_7vsmem_tEENKUlT_SI_SJ_SK_E_clISD_PiSD_S10_EESH_SX_SI_SJ_SK_EUlSX_E0_NS1_11comp_targetILNS1_3genE2ELNS1_11target_archE906ELNS1_3gpuE6ELNS1_3repE0EEENS1_38merge_mergepath_config_static_selectorELNS0_4arch9wavefront6targetE1EEEvSJ_
; %bb.0:
	.section	.rodata,"a",@progbits
	.p2align	6, 0x0
	.amdhsa_kernel _ZN7rocprim17ROCPRIM_400000_NS6detail17trampoline_kernelINS0_14default_configENS1_38merge_sort_block_merge_config_selectorIiiEEZZNS1_27merge_sort_block_merge_implIS3_N6thrust23THRUST_200600_302600_NS6detail15normal_iteratorINS8_10device_ptrIiEEEESD_jNS1_19radix_merge_compareILb0ELb0EiNS0_19identity_decomposerEEEEE10hipError_tT0_T1_T2_jT3_P12ihipStream_tbPNSt15iterator_traitsISI_E10value_typeEPNSO_ISJ_E10value_typeEPSK_NS1_7vsmem_tEENKUlT_SI_SJ_SK_E_clISD_PiSD_S10_EESH_SX_SI_SJ_SK_EUlSX_E0_NS1_11comp_targetILNS1_3genE2ELNS1_11target_archE906ELNS1_3gpuE6ELNS1_3repE0EEENS1_38merge_mergepath_config_static_selectorELNS0_4arch9wavefront6targetE1EEEvSJ_
		.amdhsa_group_segment_fixed_size 0
		.amdhsa_private_segment_fixed_size 0
		.amdhsa_kernarg_size 64
		.amdhsa_user_sgpr_count 2
		.amdhsa_user_sgpr_dispatch_ptr 0
		.amdhsa_user_sgpr_queue_ptr 0
		.amdhsa_user_sgpr_kernarg_segment_ptr 1
		.amdhsa_user_sgpr_dispatch_id 0
		.amdhsa_user_sgpr_kernarg_preload_length 0
		.amdhsa_user_sgpr_kernarg_preload_offset 0
		.amdhsa_user_sgpr_private_segment_size 0
		.amdhsa_uses_dynamic_stack 0
		.amdhsa_enable_private_segment 0
		.amdhsa_system_sgpr_workgroup_id_x 1
		.amdhsa_system_sgpr_workgroup_id_y 0
		.amdhsa_system_sgpr_workgroup_id_z 0
		.amdhsa_system_sgpr_workgroup_info 0
		.amdhsa_system_vgpr_workitem_id 0
		.amdhsa_next_free_vgpr 1
		.amdhsa_next_free_sgpr 0
		.amdhsa_accum_offset 4
		.amdhsa_reserve_vcc 0
		.amdhsa_float_round_mode_32 0
		.amdhsa_float_round_mode_16_64 0
		.amdhsa_float_denorm_mode_32 3
		.amdhsa_float_denorm_mode_16_64 3
		.amdhsa_dx10_clamp 1
		.amdhsa_ieee_mode 1
		.amdhsa_fp16_overflow 0
		.amdhsa_tg_split 0
		.amdhsa_exception_fp_ieee_invalid_op 0
		.amdhsa_exception_fp_denorm_src 0
		.amdhsa_exception_fp_ieee_div_zero 0
		.amdhsa_exception_fp_ieee_overflow 0
		.amdhsa_exception_fp_ieee_underflow 0
		.amdhsa_exception_fp_ieee_inexact 0
		.amdhsa_exception_int_div_zero 0
	.end_amdhsa_kernel
	.section	.text._ZN7rocprim17ROCPRIM_400000_NS6detail17trampoline_kernelINS0_14default_configENS1_38merge_sort_block_merge_config_selectorIiiEEZZNS1_27merge_sort_block_merge_implIS3_N6thrust23THRUST_200600_302600_NS6detail15normal_iteratorINS8_10device_ptrIiEEEESD_jNS1_19radix_merge_compareILb0ELb0EiNS0_19identity_decomposerEEEEE10hipError_tT0_T1_T2_jT3_P12ihipStream_tbPNSt15iterator_traitsISI_E10value_typeEPNSO_ISJ_E10value_typeEPSK_NS1_7vsmem_tEENKUlT_SI_SJ_SK_E_clISD_PiSD_S10_EESH_SX_SI_SJ_SK_EUlSX_E0_NS1_11comp_targetILNS1_3genE2ELNS1_11target_archE906ELNS1_3gpuE6ELNS1_3repE0EEENS1_38merge_mergepath_config_static_selectorELNS0_4arch9wavefront6targetE1EEEvSJ_,"axG",@progbits,_ZN7rocprim17ROCPRIM_400000_NS6detail17trampoline_kernelINS0_14default_configENS1_38merge_sort_block_merge_config_selectorIiiEEZZNS1_27merge_sort_block_merge_implIS3_N6thrust23THRUST_200600_302600_NS6detail15normal_iteratorINS8_10device_ptrIiEEEESD_jNS1_19radix_merge_compareILb0ELb0EiNS0_19identity_decomposerEEEEE10hipError_tT0_T1_T2_jT3_P12ihipStream_tbPNSt15iterator_traitsISI_E10value_typeEPNSO_ISJ_E10value_typeEPSK_NS1_7vsmem_tEENKUlT_SI_SJ_SK_E_clISD_PiSD_S10_EESH_SX_SI_SJ_SK_EUlSX_E0_NS1_11comp_targetILNS1_3genE2ELNS1_11target_archE906ELNS1_3gpuE6ELNS1_3repE0EEENS1_38merge_mergepath_config_static_selectorELNS0_4arch9wavefront6targetE1EEEvSJ_,comdat
.Lfunc_end1324:
	.size	_ZN7rocprim17ROCPRIM_400000_NS6detail17trampoline_kernelINS0_14default_configENS1_38merge_sort_block_merge_config_selectorIiiEEZZNS1_27merge_sort_block_merge_implIS3_N6thrust23THRUST_200600_302600_NS6detail15normal_iteratorINS8_10device_ptrIiEEEESD_jNS1_19radix_merge_compareILb0ELb0EiNS0_19identity_decomposerEEEEE10hipError_tT0_T1_T2_jT3_P12ihipStream_tbPNSt15iterator_traitsISI_E10value_typeEPNSO_ISJ_E10value_typeEPSK_NS1_7vsmem_tEENKUlT_SI_SJ_SK_E_clISD_PiSD_S10_EESH_SX_SI_SJ_SK_EUlSX_E0_NS1_11comp_targetILNS1_3genE2ELNS1_11target_archE906ELNS1_3gpuE6ELNS1_3repE0EEENS1_38merge_mergepath_config_static_selectorELNS0_4arch9wavefront6targetE1EEEvSJ_, .Lfunc_end1324-_ZN7rocprim17ROCPRIM_400000_NS6detail17trampoline_kernelINS0_14default_configENS1_38merge_sort_block_merge_config_selectorIiiEEZZNS1_27merge_sort_block_merge_implIS3_N6thrust23THRUST_200600_302600_NS6detail15normal_iteratorINS8_10device_ptrIiEEEESD_jNS1_19radix_merge_compareILb0ELb0EiNS0_19identity_decomposerEEEEE10hipError_tT0_T1_T2_jT3_P12ihipStream_tbPNSt15iterator_traitsISI_E10value_typeEPNSO_ISJ_E10value_typeEPSK_NS1_7vsmem_tEENKUlT_SI_SJ_SK_E_clISD_PiSD_S10_EESH_SX_SI_SJ_SK_EUlSX_E0_NS1_11comp_targetILNS1_3genE2ELNS1_11target_archE906ELNS1_3gpuE6ELNS1_3repE0EEENS1_38merge_mergepath_config_static_selectorELNS0_4arch9wavefront6targetE1EEEvSJ_
                                        ; -- End function
	.set _ZN7rocprim17ROCPRIM_400000_NS6detail17trampoline_kernelINS0_14default_configENS1_38merge_sort_block_merge_config_selectorIiiEEZZNS1_27merge_sort_block_merge_implIS3_N6thrust23THRUST_200600_302600_NS6detail15normal_iteratorINS8_10device_ptrIiEEEESD_jNS1_19radix_merge_compareILb0ELb0EiNS0_19identity_decomposerEEEEE10hipError_tT0_T1_T2_jT3_P12ihipStream_tbPNSt15iterator_traitsISI_E10value_typeEPNSO_ISJ_E10value_typeEPSK_NS1_7vsmem_tEENKUlT_SI_SJ_SK_E_clISD_PiSD_S10_EESH_SX_SI_SJ_SK_EUlSX_E0_NS1_11comp_targetILNS1_3genE2ELNS1_11target_archE906ELNS1_3gpuE6ELNS1_3repE0EEENS1_38merge_mergepath_config_static_selectorELNS0_4arch9wavefront6targetE1EEEvSJ_.num_vgpr, 0
	.set _ZN7rocprim17ROCPRIM_400000_NS6detail17trampoline_kernelINS0_14default_configENS1_38merge_sort_block_merge_config_selectorIiiEEZZNS1_27merge_sort_block_merge_implIS3_N6thrust23THRUST_200600_302600_NS6detail15normal_iteratorINS8_10device_ptrIiEEEESD_jNS1_19radix_merge_compareILb0ELb0EiNS0_19identity_decomposerEEEEE10hipError_tT0_T1_T2_jT3_P12ihipStream_tbPNSt15iterator_traitsISI_E10value_typeEPNSO_ISJ_E10value_typeEPSK_NS1_7vsmem_tEENKUlT_SI_SJ_SK_E_clISD_PiSD_S10_EESH_SX_SI_SJ_SK_EUlSX_E0_NS1_11comp_targetILNS1_3genE2ELNS1_11target_archE906ELNS1_3gpuE6ELNS1_3repE0EEENS1_38merge_mergepath_config_static_selectorELNS0_4arch9wavefront6targetE1EEEvSJ_.num_agpr, 0
	.set _ZN7rocprim17ROCPRIM_400000_NS6detail17trampoline_kernelINS0_14default_configENS1_38merge_sort_block_merge_config_selectorIiiEEZZNS1_27merge_sort_block_merge_implIS3_N6thrust23THRUST_200600_302600_NS6detail15normal_iteratorINS8_10device_ptrIiEEEESD_jNS1_19radix_merge_compareILb0ELb0EiNS0_19identity_decomposerEEEEE10hipError_tT0_T1_T2_jT3_P12ihipStream_tbPNSt15iterator_traitsISI_E10value_typeEPNSO_ISJ_E10value_typeEPSK_NS1_7vsmem_tEENKUlT_SI_SJ_SK_E_clISD_PiSD_S10_EESH_SX_SI_SJ_SK_EUlSX_E0_NS1_11comp_targetILNS1_3genE2ELNS1_11target_archE906ELNS1_3gpuE6ELNS1_3repE0EEENS1_38merge_mergepath_config_static_selectorELNS0_4arch9wavefront6targetE1EEEvSJ_.numbered_sgpr, 0
	.set _ZN7rocprim17ROCPRIM_400000_NS6detail17trampoline_kernelINS0_14default_configENS1_38merge_sort_block_merge_config_selectorIiiEEZZNS1_27merge_sort_block_merge_implIS3_N6thrust23THRUST_200600_302600_NS6detail15normal_iteratorINS8_10device_ptrIiEEEESD_jNS1_19radix_merge_compareILb0ELb0EiNS0_19identity_decomposerEEEEE10hipError_tT0_T1_T2_jT3_P12ihipStream_tbPNSt15iterator_traitsISI_E10value_typeEPNSO_ISJ_E10value_typeEPSK_NS1_7vsmem_tEENKUlT_SI_SJ_SK_E_clISD_PiSD_S10_EESH_SX_SI_SJ_SK_EUlSX_E0_NS1_11comp_targetILNS1_3genE2ELNS1_11target_archE906ELNS1_3gpuE6ELNS1_3repE0EEENS1_38merge_mergepath_config_static_selectorELNS0_4arch9wavefront6targetE1EEEvSJ_.num_named_barrier, 0
	.set _ZN7rocprim17ROCPRIM_400000_NS6detail17trampoline_kernelINS0_14default_configENS1_38merge_sort_block_merge_config_selectorIiiEEZZNS1_27merge_sort_block_merge_implIS3_N6thrust23THRUST_200600_302600_NS6detail15normal_iteratorINS8_10device_ptrIiEEEESD_jNS1_19radix_merge_compareILb0ELb0EiNS0_19identity_decomposerEEEEE10hipError_tT0_T1_T2_jT3_P12ihipStream_tbPNSt15iterator_traitsISI_E10value_typeEPNSO_ISJ_E10value_typeEPSK_NS1_7vsmem_tEENKUlT_SI_SJ_SK_E_clISD_PiSD_S10_EESH_SX_SI_SJ_SK_EUlSX_E0_NS1_11comp_targetILNS1_3genE2ELNS1_11target_archE906ELNS1_3gpuE6ELNS1_3repE0EEENS1_38merge_mergepath_config_static_selectorELNS0_4arch9wavefront6targetE1EEEvSJ_.private_seg_size, 0
	.set _ZN7rocprim17ROCPRIM_400000_NS6detail17trampoline_kernelINS0_14default_configENS1_38merge_sort_block_merge_config_selectorIiiEEZZNS1_27merge_sort_block_merge_implIS3_N6thrust23THRUST_200600_302600_NS6detail15normal_iteratorINS8_10device_ptrIiEEEESD_jNS1_19radix_merge_compareILb0ELb0EiNS0_19identity_decomposerEEEEE10hipError_tT0_T1_T2_jT3_P12ihipStream_tbPNSt15iterator_traitsISI_E10value_typeEPNSO_ISJ_E10value_typeEPSK_NS1_7vsmem_tEENKUlT_SI_SJ_SK_E_clISD_PiSD_S10_EESH_SX_SI_SJ_SK_EUlSX_E0_NS1_11comp_targetILNS1_3genE2ELNS1_11target_archE906ELNS1_3gpuE6ELNS1_3repE0EEENS1_38merge_mergepath_config_static_selectorELNS0_4arch9wavefront6targetE1EEEvSJ_.uses_vcc, 0
	.set _ZN7rocprim17ROCPRIM_400000_NS6detail17trampoline_kernelINS0_14default_configENS1_38merge_sort_block_merge_config_selectorIiiEEZZNS1_27merge_sort_block_merge_implIS3_N6thrust23THRUST_200600_302600_NS6detail15normal_iteratorINS8_10device_ptrIiEEEESD_jNS1_19radix_merge_compareILb0ELb0EiNS0_19identity_decomposerEEEEE10hipError_tT0_T1_T2_jT3_P12ihipStream_tbPNSt15iterator_traitsISI_E10value_typeEPNSO_ISJ_E10value_typeEPSK_NS1_7vsmem_tEENKUlT_SI_SJ_SK_E_clISD_PiSD_S10_EESH_SX_SI_SJ_SK_EUlSX_E0_NS1_11comp_targetILNS1_3genE2ELNS1_11target_archE906ELNS1_3gpuE6ELNS1_3repE0EEENS1_38merge_mergepath_config_static_selectorELNS0_4arch9wavefront6targetE1EEEvSJ_.uses_flat_scratch, 0
	.set _ZN7rocprim17ROCPRIM_400000_NS6detail17trampoline_kernelINS0_14default_configENS1_38merge_sort_block_merge_config_selectorIiiEEZZNS1_27merge_sort_block_merge_implIS3_N6thrust23THRUST_200600_302600_NS6detail15normal_iteratorINS8_10device_ptrIiEEEESD_jNS1_19radix_merge_compareILb0ELb0EiNS0_19identity_decomposerEEEEE10hipError_tT0_T1_T2_jT3_P12ihipStream_tbPNSt15iterator_traitsISI_E10value_typeEPNSO_ISJ_E10value_typeEPSK_NS1_7vsmem_tEENKUlT_SI_SJ_SK_E_clISD_PiSD_S10_EESH_SX_SI_SJ_SK_EUlSX_E0_NS1_11comp_targetILNS1_3genE2ELNS1_11target_archE906ELNS1_3gpuE6ELNS1_3repE0EEENS1_38merge_mergepath_config_static_selectorELNS0_4arch9wavefront6targetE1EEEvSJ_.has_dyn_sized_stack, 0
	.set _ZN7rocprim17ROCPRIM_400000_NS6detail17trampoline_kernelINS0_14default_configENS1_38merge_sort_block_merge_config_selectorIiiEEZZNS1_27merge_sort_block_merge_implIS3_N6thrust23THRUST_200600_302600_NS6detail15normal_iteratorINS8_10device_ptrIiEEEESD_jNS1_19radix_merge_compareILb0ELb0EiNS0_19identity_decomposerEEEEE10hipError_tT0_T1_T2_jT3_P12ihipStream_tbPNSt15iterator_traitsISI_E10value_typeEPNSO_ISJ_E10value_typeEPSK_NS1_7vsmem_tEENKUlT_SI_SJ_SK_E_clISD_PiSD_S10_EESH_SX_SI_SJ_SK_EUlSX_E0_NS1_11comp_targetILNS1_3genE2ELNS1_11target_archE906ELNS1_3gpuE6ELNS1_3repE0EEENS1_38merge_mergepath_config_static_selectorELNS0_4arch9wavefront6targetE1EEEvSJ_.has_recursion, 0
	.set _ZN7rocprim17ROCPRIM_400000_NS6detail17trampoline_kernelINS0_14default_configENS1_38merge_sort_block_merge_config_selectorIiiEEZZNS1_27merge_sort_block_merge_implIS3_N6thrust23THRUST_200600_302600_NS6detail15normal_iteratorINS8_10device_ptrIiEEEESD_jNS1_19radix_merge_compareILb0ELb0EiNS0_19identity_decomposerEEEEE10hipError_tT0_T1_T2_jT3_P12ihipStream_tbPNSt15iterator_traitsISI_E10value_typeEPNSO_ISJ_E10value_typeEPSK_NS1_7vsmem_tEENKUlT_SI_SJ_SK_E_clISD_PiSD_S10_EESH_SX_SI_SJ_SK_EUlSX_E0_NS1_11comp_targetILNS1_3genE2ELNS1_11target_archE906ELNS1_3gpuE6ELNS1_3repE0EEENS1_38merge_mergepath_config_static_selectorELNS0_4arch9wavefront6targetE1EEEvSJ_.has_indirect_call, 0
	.section	.AMDGPU.csdata,"",@progbits
; Kernel info:
; codeLenInByte = 0
; TotalNumSgprs: 6
; NumVgprs: 0
; NumAgprs: 0
; TotalNumVgprs: 0
; ScratchSize: 0
; MemoryBound: 0
; FloatMode: 240
; IeeeMode: 1
; LDSByteSize: 0 bytes/workgroup (compile time only)
; SGPRBlocks: 0
; VGPRBlocks: 0
; NumSGPRsForWavesPerEU: 6
; NumVGPRsForWavesPerEU: 1
; AccumOffset: 4
; Occupancy: 8
; WaveLimiterHint : 0
; COMPUTE_PGM_RSRC2:SCRATCH_EN: 0
; COMPUTE_PGM_RSRC2:USER_SGPR: 2
; COMPUTE_PGM_RSRC2:TRAP_HANDLER: 0
; COMPUTE_PGM_RSRC2:TGID_X_EN: 1
; COMPUTE_PGM_RSRC2:TGID_Y_EN: 0
; COMPUTE_PGM_RSRC2:TGID_Z_EN: 0
; COMPUTE_PGM_RSRC2:TIDIG_COMP_CNT: 0
; COMPUTE_PGM_RSRC3_GFX90A:ACCUM_OFFSET: 0
; COMPUTE_PGM_RSRC3_GFX90A:TG_SPLIT: 0
	.section	.text._ZN7rocprim17ROCPRIM_400000_NS6detail17trampoline_kernelINS0_14default_configENS1_38merge_sort_block_merge_config_selectorIiiEEZZNS1_27merge_sort_block_merge_implIS3_N6thrust23THRUST_200600_302600_NS6detail15normal_iteratorINS8_10device_ptrIiEEEESD_jNS1_19radix_merge_compareILb0ELb0EiNS0_19identity_decomposerEEEEE10hipError_tT0_T1_T2_jT3_P12ihipStream_tbPNSt15iterator_traitsISI_E10value_typeEPNSO_ISJ_E10value_typeEPSK_NS1_7vsmem_tEENKUlT_SI_SJ_SK_E_clISD_PiSD_S10_EESH_SX_SI_SJ_SK_EUlSX_E0_NS1_11comp_targetILNS1_3genE9ELNS1_11target_archE1100ELNS1_3gpuE3ELNS1_3repE0EEENS1_38merge_mergepath_config_static_selectorELNS0_4arch9wavefront6targetE1EEEvSJ_,"axG",@progbits,_ZN7rocprim17ROCPRIM_400000_NS6detail17trampoline_kernelINS0_14default_configENS1_38merge_sort_block_merge_config_selectorIiiEEZZNS1_27merge_sort_block_merge_implIS3_N6thrust23THRUST_200600_302600_NS6detail15normal_iteratorINS8_10device_ptrIiEEEESD_jNS1_19radix_merge_compareILb0ELb0EiNS0_19identity_decomposerEEEEE10hipError_tT0_T1_T2_jT3_P12ihipStream_tbPNSt15iterator_traitsISI_E10value_typeEPNSO_ISJ_E10value_typeEPSK_NS1_7vsmem_tEENKUlT_SI_SJ_SK_E_clISD_PiSD_S10_EESH_SX_SI_SJ_SK_EUlSX_E0_NS1_11comp_targetILNS1_3genE9ELNS1_11target_archE1100ELNS1_3gpuE3ELNS1_3repE0EEENS1_38merge_mergepath_config_static_selectorELNS0_4arch9wavefront6targetE1EEEvSJ_,comdat
	.protected	_ZN7rocprim17ROCPRIM_400000_NS6detail17trampoline_kernelINS0_14default_configENS1_38merge_sort_block_merge_config_selectorIiiEEZZNS1_27merge_sort_block_merge_implIS3_N6thrust23THRUST_200600_302600_NS6detail15normal_iteratorINS8_10device_ptrIiEEEESD_jNS1_19radix_merge_compareILb0ELb0EiNS0_19identity_decomposerEEEEE10hipError_tT0_T1_T2_jT3_P12ihipStream_tbPNSt15iterator_traitsISI_E10value_typeEPNSO_ISJ_E10value_typeEPSK_NS1_7vsmem_tEENKUlT_SI_SJ_SK_E_clISD_PiSD_S10_EESH_SX_SI_SJ_SK_EUlSX_E0_NS1_11comp_targetILNS1_3genE9ELNS1_11target_archE1100ELNS1_3gpuE3ELNS1_3repE0EEENS1_38merge_mergepath_config_static_selectorELNS0_4arch9wavefront6targetE1EEEvSJ_ ; -- Begin function _ZN7rocprim17ROCPRIM_400000_NS6detail17trampoline_kernelINS0_14default_configENS1_38merge_sort_block_merge_config_selectorIiiEEZZNS1_27merge_sort_block_merge_implIS3_N6thrust23THRUST_200600_302600_NS6detail15normal_iteratorINS8_10device_ptrIiEEEESD_jNS1_19radix_merge_compareILb0ELb0EiNS0_19identity_decomposerEEEEE10hipError_tT0_T1_T2_jT3_P12ihipStream_tbPNSt15iterator_traitsISI_E10value_typeEPNSO_ISJ_E10value_typeEPSK_NS1_7vsmem_tEENKUlT_SI_SJ_SK_E_clISD_PiSD_S10_EESH_SX_SI_SJ_SK_EUlSX_E0_NS1_11comp_targetILNS1_3genE9ELNS1_11target_archE1100ELNS1_3gpuE3ELNS1_3repE0EEENS1_38merge_mergepath_config_static_selectorELNS0_4arch9wavefront6targetE1EEEvSJ_
	.globl	_ZN7rocprim17ROCPRIM_400000_NS6detail17trampoline_kernelINS0_14default_configENS1_38merge_sort_block_merge_config_selectorIiiEEZZNS1_27merge_sort_block_merge_implIS3_N6thrust23THRUST_200600_302600_NS6detail15normal_iteratorINS8_10device_ptrIiEEEESD_jNS1_19radix_merge_compareILb0ELb0EiNS0_19identity_decomposerEEEEE10hipError_tT0_T1_T2_jT3_P12ihipStream_tbPNSt15iterator_traitsISI_E10value_typeEPNSO_ISJ_E10value_typeEPSK_NS1_7vsmem_tEENKUlT_SI_SJ_SK_E_clISD_PiSD_S10_EESH_SX_SI_SJ_SK_EUlSX_E0_NS1_11comp_targetILNS1_3genE9ELNS1_11target_archE1100ELNS1_3gpuE3ELNS1_3repE0EEENS1_38merge_mergepath_config_static_selectorELNS0_4arch9wavefront6targetE1EEEvSJ_
	.p2align	8
	.type	_ZN7rocprim17ROCPRIM_400000_NS6detail17trampoline_kernelINS0_14default_configENS1_38merge_sort_block_merge_config_selectorIiiEEZZNS1_27merge_sort_block_merge_implIS3_N6thrust23THRUST_200600_302600_NS6detail15normal_iteratorINS8_10device_ptrIiEEEESD_jNS1_19radix_merge_compareILb0ELb0EiNS0_19identity_decomposerEEEEE10hipError_tT0_T1_T2_jT3_P12ihipStream_tbPNSt15iterator_traitsISI_E10value_typeEPNSO_ISJ_E10value_typeEPSK_NS1_7vsmem_tEENKUlT_SI_SJ_SK_E_clISD_PiSD_S10_EESH_SX_SI_SJ_SK_EUlSX_E0_NS1_11comp_targetILNS1_3genE9ELNS1_11target_archE1100ELNS1_3gpuE3ELNS1_3repE0EEENS1_38merge_mergepath_config_static_selectorELNS0_4arch9wavefront6targetE1EEEvSJ_,@function
_ZN7rocprim17ROCPRIM_400000_NS6detail17trampoline_kernelINS0_14default_configENS1_38merge_sort_block_merge_config_selectorIiiEEZZNS1_27merge_sort_block_merge_implIS3_N6thrust23THRUST_200600_302600_NS6detail15normal_iteratorINS8_10device_ptrIiEEEESD_jNS1_19radix_merge_compareILb0ELb0EiNS0_19identity_decomposerEEEEE10hipError_tT0_T1_T2_jT3_P12ihipStream_tbPNSt15iterator_traitsISI_E10value_typeEPNSO_ISJ_E10value_typeEPSK_NS1_7vsmem_tEENKUlT_SI_SJ_SK_E_clISD_PiSD_S10_EESH_SX_SI_SJ_SK_EUlSX_E0_NS1_11comp_targetILNS1_3genE9ELNS1_11target_archE1100ELNS1_3gpuE3ELNS1_3repE0EEENS1_38merge_mergepath_config_static_selectorELNS0_4arch9wavefront6targetE1EEEvSJ_: ; @_ZN7rocprim17ROCPRIM_400000_NS6detail17trampoline_kernelINS0_14default_configENS1_38merge_sort_block_merge_config_selectorIiiEEZZNS1_27merge_sort_block_merge_implIS3_N6thrust23THRUST_200600_302600_NS6detail15normal_iteratorINS8_10device_ptrIiEEEESD_jNS1_19radix_merge_compareILb0ELb0EiNS0_19identity_decomposerEEEEE10hipError_tT0_T1_T2_jT3_P12ihipStream_tbPNSt15iterator_traitsISI_E10value_typeEPNSO_ISJ_E10value_typeEPSK_NS1_7vsmem_tEENKUlT_SI_SJ_SK_E_clISD_PiSD_S10_EESH_SX_SI_SJ_SK_EUlSX_E0_NS1_11comp_targetILNS1_3genE9ELNS1_11target_archE1100ELNS1_3gpuE3ELNS1_3repE0EEENS1_38merge_mergepath_config_static_selectorELNS0_4arch9wavefront6targetE1EEEvSJ_
; %bb.0:
	.section	.rodata,"a",@progbits
	.p2align	6, 0x0
	.amdhsa_kernel _ZN7rocprim17ROCPRIM_400000_NS6detail17trampoline_kernelINS0_14default_configENS1_38merge_sort_block_merge_config_selectorIiiEEZZNS1_27merge_sort_block_merge_implIS3_N6thrust23THRUST_200600_302600_NS6detail15normal_iteratorINS8_10device_ptrIiEEEESD_jNS1_19radix_merge_compareILb0ELb0EiNS0_19identity_decomposerEEEEE10hipError_tT0_T1_T2_jT3_P12ihipStream_tbPNSt15iterator_traitsISI_E10value_typeEPNSO_ISJ_E10value_typeEPSK_NS1_7vsmem_tEENKUlT_SI_SJ_SK_E_clISD_PiSD_S10_EESH_SX_SI_SJ_SK_EUlSX_E0_NS1_11comp_targetILNS1_3genE9ELNS1_11target_archE1100ELNS1_3gpuE3ELNS1_3repE0EEENS1_38merge_mergepath_config_static_selectorELNS0_4arch9wavefront6targetE1EEEvSJ_
		.amdhsa_group_segment_fixed_size 0
		.amdhsa_private_segment_fixed_size 0
		.amdhsa_kernarg_size 64
		.amdhsa_user_sgpr_count 2
		.amdhsa_user_sgpr_dispatch_ptr 0
		.amdhsa_user_sgpr_queue_ptr 0
		.amdhsa_user_sgpr_kernarg_segment_ptr 1
		.amdhsa_user_sgpr_dispatch_id 0
		.amdhsa_user_sgpr_kernarg_preload_length 0
		.amdhsa_user_sgpr_kernarg_preload_offset 0
		.amdhsa_user_sgpr_private_segment_size 0
		.amdhsa_uses_dynamic_stack 0
		.amdhsa_enable_private_segment 0
		.amdhsa_system_sgpr_workgroup_id_x 1
		.amdhsa_system_sgpr_workgroup_id_y 0
		.amdhsa_system_sgpr_workgroup_id_z 0
		.amdhsa_system_sgpr_workgroup_info 0
		.amdhsa_system_vgpr_workitem_id 0
		.amdhsa_next_free_vgpr 1
		.amdhsa_next_free_sgpr 0
		.amdhsa_accum_offset 4
		.amdhsa_reserve_vcc 0
		.amdhsa_float_round_mode_32 0
		.amdhsa_float_round_mode_16_64 0
		.amdhsa_float_denorm_mode_32 3
		.amdhsa_float_denorm_mode_16_64 3
		.amdhsa_dx10_clamp 1
		.amdhsa_ieee_mode 1
		.amdhsa_fp16_overflow 0
		.amdhsa_tg_split 0
		.amdhsa_exception_fp_ieee_invalid_op 0
		.amdhsa_exception_fp_denorm_src 0
		.amdhsa_exception_fp_ieee_div_zero 0
		.amdhsa_exception_fp_ieee_overflow 0
		.amdhsa_exception_fp_ieee_underflow 0
		.amdhsa_exception_fp_ieee_inexact 0
		.amdhsa_exception_int_div_zero 0
	.end_amdhsa_kernel
	.section	.text._ZN7rocprim17ROCPRIM_400000_NS6detail17trampoline_kernelINS0_14default_configENS1_38merge_sort_block_merge_config_selectorIiiEEZZNS1_27merge_sort_block_merge_implIS3_N6thrust23THRUST_200600_302600_NS6detail15normal_iteratorINS8_10device_ptrIiEEEESD_jNS1_19radix_merge_compareILb0ELb0EiNS0_19identity_decomposerEEEEE10hipError_tT0_T1_T2_jT3_P12ihipStream_tbPNSt15iterator_traitsISI_E10value_typeEPNSO_ISJ_E10value_typeEPSK_NS1_7vsmem_tEENKUlT_SI_SJ_SK_E_clISD_PiSD_S10_EESH_SX_SI_SJ_SK_EUlSX_E0_NS1_11comp_targetILNS1_3genE9ELNS1_11target_archE1100ELNS1_3gpuE3ELNS1_3repE0EEENS1_38merge_mergepath_config_static_selectorELNS0_4arch9wavefront6targetE1EEEvSJ_,"axG",@progbits,_ZN7rocprim17ROCPRIM_400000_NS6detail17trampoline_kernelINS0_14default_configENS1_38merge_sort_block_merge_config_selectorIiiEEZZNS1_27merge_sort_block_merge_implIS3_N6thrust23THRUST_200600_302600_NS6detail15normal_iteratorINS8_10device_ptrIiEEEESD_jNS1_19radix_merge_compareILb0ELb0EiNS0_19identity_decomposerEEEEE10hipError_tT0_T1_T2_jT3_P12ihipStream_tbPNSt15iterator_traitsISI_E10value_typeEPNSO_ISJ_E10value_typeEPSK_NS1_7vsmem_tEENKUlT_SI_SJ_SK_E_clISD_PiSD_S10_EESH_SX_SI_SJ_SK_EUlSX_E0_NS1_11comp_targetILNS1_3genE9ELNS1_11target_archE1100ELNS1_3gpuE3ELNS1_3repE0EEENS1_38merge_mergepath_config_static_selectorELNS0_4arch9wavefront6targetE1EEEvSJ_,comdat
.Lfunc_end1325:
	.size	_ZN7rocprim17ROCPRIM_400000_NS6detail17trampoline_kernelINS0_14default_configENS1_38merge_sort_block_merge_config_selectorIiiEEZZNS1_27merge_sort_block_merge_implIS3_N6thrust23THRUST_200600_302600_NS6detail15normal_iteratorINS8_10device_ptrIiEEEESD_jNS1_19radix_merge_compareILb0ELb0EiNS0_19identity_decomposerEEEEE10hipError_tT0_T1_T2_jT3_P12ihipStream_tbPNSt15iterator_traitsISI_E10value_typeEPNSO_ISJ_E10value_typeEPSK_NS1_7vsmem_tEENKUlT_SI_SJ_SK_E_clISD_PiSD_S10_EESH_SX_SI_SJ_SK_EUlSX_E0_NS1_11comp_targetILNS1_3genE9ELNS1_11target_archE1100ELNS1_3gpuE3ELNS1_3repE0EEENS1_38merge_mergepath_config_static_selectorELNS0_4arch9wavefront6targetE1EEEvSJ_, .Lfunc_end1325-_ZN7rocprim17ROCPRIM_400000_NS6detail17trampoline_kernelINS0_14default_configENS1_38merge_sort_block_merge_config_selectorIiiEEZZNS1_27merge_sort_block_merge_implIS3_N6thrust23THRUST_200600_302600_NS6detail15normal_iteratorINS8_10device_ptrIiEEEESD_jNS1_19radix_merge_compareILb0ELb0EiNS0_19identity_decomposerEEEEE10hipError_tT0_T1_T2_jT3_P12ihipStream_tbPNSt15iterator_traitsISI_E10value_typeEPNSO_ISJ_E10value_typeEPSK_NS1_7vsmem_tEENKUlT_SI_SJ_SK_E_clISD_PiSD_S10_EESH_SX_SI_SJ_SK_EUlSX_E0_NS1_11comp_targetILNS1_3genE9ELNS1_11target_archE1100ELNS1_3gpuE3ELNS1_3repE0EEENS1_38merge_mergepath_config_static_selectorELNS0_4arch9wavefront6targetE1EEEvSJ_
                                        ; -- End function
	.set _ZN7rocprim17ROCPRIM_400000_NS6detail17trampoline_kernelINS0_14default_configENS1_38merge_sort_block_merge_config_selectorIiiEEZZNS1_27merge_sort_block_merge_implIS3_N6thrust23THRUST_200600_302600_NS6detail15normal_iteratorINS8_10device_ptrIiEEEESD_jNS1_19radix_merge_compareILb0ELb0EiNS0_19identity_decomposerEEEEE10hipError_tT0_T1_T2_jT3_P12ihipStream_tbPNSt15iterator_traitsISI_E10value_typeEPNSO_ISJ_E10value_typeEPSK_NS1_7vsmem_tEENKUlT_SI_SJ_SK_E_clISD_PiSD_S10_EESH_SX_SI_SJ_SK_EUlSX_E0_NS1_11comp_targetILNS1_3genE9ELNS1_11target_archE1100ELNS1_3gpuE3ELNS1_3repE0EEENS1_38merge_mergepath_config_static_selectorELNS0_4arch9wavefront6targetE1EEEvSJ_.num_vgpr, 0
	.set _ZN7rocprim17ROCPRIM_400000_NS6detail17trampoline_kernelINS0_14default_configENS1_38merge_sort_block_merge_config_selectorIiiEEZZNS1_27merge_sort_block_merge_implIS3_N6thrust23THRUST_200600_302600_NS6detail15normal_iteratorINS8_10device_ptrIiEEEESD_jNS1_19radix_merge_compareILb0ELb0EiNS0_19identity_decomposerEEEEE10hipError_tT0_T1_T2_jT3_P12ihipStream_tbPNSt15iterator_traitsISI_E10value_typeEPNSO_ISJ_E10value_typeEPSK_NS1_7vsmem_tEENKUlT_SI_SJ_SK_E_clISD_PiSD_S10_EESH_SX_SI_SJ_SK_EUlSX_E0_NS1_11comp_targetILNS1_3genE9ELNS1_11target_archE1100ELNS1_3gpuE3ELNS1_3repE0EEENS1_38merge_mergepath_config_static_selectorELNS0_4arch9wavefront6targetE1EEEvSJ_.num_agpr, 0
	.set _ZN7rocprim17ROCPRIM_400000_NS6detail17trampoline_kernelINS0_14default_configENS1_38merge_sort_block_merge_config_selectorIiiEEZZNS1_27merge_sort_block_merge_implIS3_N6thrust23THRUST_200600_302600_NS6detail15normal_iteratorINS8_10device_ptrIiEEEESD_jNS1_19radix_merge_compareILb0ELb0EiNS0_19identity_decomposerEEEEE10hipError_tT0_T1_T2_jT3_P12ihipStream_tbPNSt15iterator_traitsISI_E10value_typeEPNSO_ISJ_E10value_typeEPSK_NS1_7vsmem_tEENKUlT_SI_SJ_SK_E_clISD_PiSD_S10_EESH_SX_SI_SJ_SK_EUlSX_E0_NS1_11comp_targetILNS1_3genE9ELNS1_11target_archE1100ELNS1_3gpuE3ELNS1_3repE0EEENS1_38merge_mergepath_config_static_selectorELNS0_4arch9wavefront6targetE1EEEvSJ_.numbered_sgpr, 0
	.set _ZN7rocprim17ROCPRIM_400000_NS6detail17trampoline_kernelINS0_14default_configENS1_38merge_sort_block_merge_config_selectorIiiEEZZNS1_27merge_sort_block_merge_implIS3_N6thrust23THRUST_200600_302600_NS6detail15normal_iteratorINS8_10device_ptrIiEEEESD_jNS1_19radix_merge_compareILb0ELb0EiNS0_19identity_decomposerEEEEE10hipError_tT0_T1_T2_jT3_P12ihipStream_tbPNSt15iterator_traitsISI_E10value_typeEPNSO_ISJ_E10value_typeEPSK_NS1_7vsmem_tEENKUlT_SI_SJ_SK_E_clISD_PiSD_S10_EESH_SX_SI_SJ_SK_EUlSX_E0_NS1_11comp_targetILNS1_3genE9ELNS1_11target_archE1100ELNS1_3gpuE3ELNS1_3repE0EEENS1_38merge_mergepath_config_static_selectorELNS0_4arch9wavefront6targetE1EEEvSJ_.num_named_barrier, 0
	.set _ZN7rocprim17ROCPRIM_400000_NS6detail17trampoline_kernelINS0_14default_configENS1_38merge_sort_block_merge_config_selectorIiiEEZZNS1_27merge_sort_block_merge_implIS3_N6thrust23THRUST_200600_302600_NS6detail15normal_iteratorINS8_10device_ptrIiEEEESD_jNS1_19radix_merge_compareILb0ELb0EiNS0_19identity_decomposerEEEEE10hipError_tT0_T1_T2_jT3_P12ihipStream_tbPNSt15iterator_traitsISI_E10value_typeEPNSO_ISJ_E10value_typeEPSK_NS1_7vsmem_tEENKUlT_SI_SJ_SK_E_clISD_PiSD_S10_EESH_SX_SI_SJ_SK_EUlSX_E0_NS1_11comp_targetILNS1_3genE9ELNS1_11target_archE1100ELNS1_3gpuE3ELNS1_3repE0EEENS1_38merge_mergepath_config_static_selectorELNS0_4arch9wavefront6targetE1EEEvSJ_.private_seg_size, 0
	.set _ZN7rocprim17ROCPRIM_400000_NS6detail17trampoline_kernelINS0_14default_configENS1_38merge_sort_block_merge_config_selectorIiiEEZZNS1_27merge_sort_block_merge_implIS3_N6thrust23THRUST_200600_302600_NS6detail15normal_iteratorINS8_10device_ptrIiEEEESD_jNS1_19radix_merge_compareILb0ELb0EiNS0_19identity_decomposerEEEEE10hipError_tT0_T1_T2_jT3_P12ihipStream_tbPNSt15iterator_traitsISI_E10value_typeEPNSO_ISJ_E10value_typeEPSK_NS1_7vsmem_tEENKUlT_SI_SJ_SK_E_clISD_PiSD_S10_EESH_SX_SI_SJ_SK_EUlSX_E0_NS1_11comp_targetILNS1_3genE9ELNS1_11target_archE1100ELNS1_3gpuE3ELNS1_3repE0EEENS1_38merge_mergepath_config_static_selectorELNS0_4arch9wavefront6targetE1EEEvSJ_.uses_vcc, 0
	.set _ZN7rocprim17ROCPRIM_400000_NS6detail17trampoline_kernelINS0_14default_configENS1_38merge_sort_block_merge_config_selectorIiiEEZZNS1_27merge_sort_block_merge_implIS3_N6thrust23THRUST_200600_302600_NS6detail15normal_iteratorINS8_10device_ptrIiEEEESD_jNS1_19radix_merge_compareILb0ELb0EiNS0_19identity_decomposerEEEEE10hipError_tT0_T1_T2_jT3_P12ihipStream_tbPNSt15iterator_traitsISI_E10value_typeEPNSO_ISJ_E10value_typeEPSK_NS1_7vsmem_tEENKUlT_SI_SJ_SK_E_clISD_PiSD_S10_EESH_SX_SI_SJ_SK_EUlSX_E0_NS1_11comp_targetILNS1_3genE9ELNS1_11target_archE1100ELNS1_3gpuE3ELNS1_3repE0EEENS1_38merge_mergepath_config_static_selectorELNS0_4arch9wavefront6targetE1EEEvSJ_.uses_flat_scratch, 0
	.set _ZN7rocprim17ROCPRIM_400000_NS6detail17trampoline_kernelINS0_14default_configENS1_38merge_sort_block_merge_config_selectorIiiEEZZNS1_27merge_sort_block_merge_implIS3_N6thrust23THRUST_200600_302600_NS6detail15normal_iteratorINS8_10device_ptrIiEEEESD_jNS1_19radix_merge_compareILb0ELb0EiNS0_19identity_decomposerEEEEE10hipError_tT0_T1_T2_jT3_P12ihipStream_tbPNSt15iterator_traitsISI_E10value_typeEPNSO_ISJ_E10value_typeEPSK_NS1_7vsmem_tEENKUlT_SI_SJ_SK_E_clISD_PiSD_S10_EESH_SX_SI_SJ_SK_EUlSX_E0_NS1_11comp_targetILNS1_3genE9ELNS1_11target_archE1100ELNS1_3gpuE3ELNS1_3repE0EEENS1_38merge_mergepath_config_static_selectorELNS0_4arch9wavefront6targetE1EEEvSJ_.has_dyn_sized_stack, 0
	.set _ZN7rocprim17ROCPRIM_400000_NS6detail17trampoline_kernelINS0_14default_configENS1_38merge_sort_block_merge_config_selectorIiiEEZZNS1_27merge_sort_block_merge_implIS3_N6thrust23THRUST_200600_302600_NS6detail15normal_iteratorINS8_10device_ptrIiEEEESD_jNS1_19radix_merge_compareILb0ELb0EiNS0_19identity_decomposerEEEEE10hipError_tT0_T1_T2_jT3_P12ihipStream_tbPNSt15iterator_traitsISI_E10value_typeEPNSO_ISJ_E10value_typeEPSK_NS1_7vsmem_tEENKUlT_SI_SJ_SK_E_clISD_PiSD_S10_EESH_SX_SI_SJ_SK_EUlSX_E0_NS1_11comp_targetILNS1_3genE9ELNS1_11target_archE1100ELNS1_3gpuE3ELNS1_3repE0EEENS1_38merge_mergepath_config_static_selectorELNS0_4arch9wavefront6targetE1EEEvSJ_.has_recursion, 0
	.set _ZN7rocprim17ROCPRIM_400000_NS6detail17trampoline_kernelINS0_14default_configENS1_38merge_sort_block_merge_config_selectorIiiEEZZNS1_27merge_sort_block_merge_implIS3_N6thrust23THRUST_200600_302600_NS6detail15normal_iteratorINS8_10device_ptrIiEEEESD_jNS1_19radix_merge_compareILb0ELb0EiNS0_19identity_decomposerEEEEE10hipError_tT0_T1_T2_jT3_P12ihipStream_tbPNSt15iterator_traitsISI_E10value_typeEPNSO_ISJ_E10value_typeEPSK_NS1_7vsmem_tEENKUlT_SI_SJ_SK_E_clISD_PiSD_S10_EESH_SX_SI_SJ_SK_EUlSX_E0_NS1_11comp_targetILNS1_3genE9ELNS1_11target_archE1100ELNS1_3gpuE3ELNS1_3repE0EEENS1_38merge_mergepath_config_static_selectorELNS0_4arch9wavefront6targetE1EEEvSJ_.has_indirect_call, 0
	.section	.AMDGPU.csdata,"",@progbits
; Kernel info:
; codeLenInByte = 0
; TotalNumSgprs: 6
; NumVgprs: 0
; NumAgprs: 0
; TotalNumVgprs: 0
; ScratchSize: 0
; MemoryBound: 0
; FloatMode: 240
; IeeeMode: 1
; LDSByteSize: 0 bytes/workgroup (compile time only)
; SGPRBlocks: 0
; VGPRBlocks: 0
; NumSGPRsForWavesPerEU: 6
; NumVGPRsForWavesPerEU: 1
; AccumOffset: 4
; Occupancy: 8
; WaveLimiterHint : 0
; COMPUTE_PGM_RSRC2:SCRATCH_EN: 0
; COMPUTE_PGM_RSRC2:USER_SGPR: 2
; COMPUTE_PGM_RSRC2:TRAP_HANDLER: 0
; COMPUTE_PGM_RSRC2:TGID_X_EN: 1
; COMPUTE_PGM_RSRC2:TGID_Y_EN: 0
; COMPUTE_PGM_RSRC2:TGID_Z_EN: 0
; COMPUTE_PGM_RSRC2:TIDIG_COMP_CNT: 0
; COMPUTE_PGM_RSRC3_GFX90A:ACCUM_OFFSET: 0
; COMPUTE_PGM_RSRC3_GFX90A:TG_SPLIT: 0
	.section	.text._ZN7rocprim17ROCPRIM_400000_NS6detail17trampoline_kernelINS0_14default_configENS1_38merge_sort_block_merge_config_selectorIiiEEZZNS1_27merge_sort_block_merge_implIS3_N6thrust23THRUST_200600_302600_NS6detail15normal_iteratorINS8_10device_ptrIiEEEESD_jNS1_19radix_merge_compareILb0ELb0EiNS0_19identity_decomposerEEEEE10hipError_tT0_T1_T2_jT3_P12ihipStream_tbPNSt15iterator_traitsISI_E10value_typeEPNSO_ISJ_E10value_typeEPSK_NS1_7vsmem_tEENKUlT_SI_SJ_SK_E_clISD_PiSD_S10_EESH_SX_SI_SJ_SK_EUlSX_E0_NS1_11comp_targetILNS1_3genE8ELNS1_11target_archE1030ELNS1_3gpuE2ELNS1_3repE0EEENS1_38merge_mergepath_config_static_selectorELNS0_4arch9wavefront6targetE1EEEvSJ_,"axG",@progbits,_ZN7rocprim17ROCPRIM_400000_NS6detail17trampoline_kernelINS0_14default_configENS1_38merge_sort_block_merge_config_selectorIiiEEZZNS1_27merge_sort_block_merge_implIS3_N6thrust23THRUST_200600_302600_NS6detail15normal_iteratorINS8_10device_ptrIiEEEESD_jNS1_19radix_merge_compareILb0ELb0EiNS0_19identity_decomposerEEEEE10hipError_tT0_T1_T2_jT3_P12ihipStream_tbPNSt15iterator_traitsISI_E10value_typeEPNSO_ISJ_E10value_typeEPSK_NS1_7vsmem_tEENKUlT_SI_SJ_SK_E_clISD_PiSD_S10_EESH_SX_SI_SJ_SK_EUlSX_E0_NS1_11comp_targetILNS1_3genE8ELNS1_11target_archE1030ELNS1_3gpuE2ELNS1_3repE0EEENS1_38merge_mergepath_config_static_selectorELNS0_4arch9wavefront6targetE1EEEvSJ_,comdat
	.protected	_ZN7rocprim17ROCPRIM_400000_NS6detail17trampoline_kernelINS0_14default_configENS1_38merge_sort_block_merge_config_selectorIiiEEZZNS1_27merge_sort_block_merge_implIS3_N6thrust23THRUST_200600_302600_NS6detail15normal_iteratorINS8_10device_ptrIiEEEESD_jNS1_19radix_merge_compareILb0ELb0EiNS0_19identity_decomposerEEEEE10hipError_tT0_T1_T2_jT3_P12ihipStream_tbPNSt15iterator_traitsISI_E10value_typeEPNSO_ISJ_E10value_typeEPSK_NS1_7vsmem_tEENKUlT_SI_SJ_SK_E_clISD_PiSD_S10_EESH_SX_SI_SJ_SK_EUlSX_E0_NS1_11comp_targetILNS1_3genE8ELNS1_11target_archE1030ELNS1_3gpuE2ELNS1_3repE0EEENS1_38merge_mergepath_config_static_selectorELNS0_4arch9wavefront6targetE1EEEvSJ_ ; -- Begin function _ZN7rocprim17ROCPRIM_400000_NS6detail17trampoline_kernelINS0_14default_configENS1_38merge_sort_block_merge_config_selectorIiiEEZZNS1_27merge_sort_block_merge_implIS3_N6thrust23THRUST_200600_302600_NS6detail15normal_iteratorINS8_10device_ptrIiEEEESD_jNS1_19radix_merge_compareILb0ELb0EiNS0_19identity_decomposerEEEEE10hipError_tT0_T1_T2_jT3_P12ihipStream_tbPNSt15iterator_traitsISI_E10value_typeEPNSO_ISJ_E10value_typeEPSK_NS1_7vsmem_tEENKUlT_SI_SJ_SK_E_clISD_PiSD_S10_EESH_SX_SI_SJ_SK_EUlSX_E0_NS1_11comp_targetILNS1_3genE8ELNS1_11target_archE1030ELNS1_3gpuE2ELNS1_3repE0EEENS1_38merge_mergepath_config_static_selectorELNS0_4arch9wavefront6targetE1EEEvSJ_
	.globl	_ZN7rocprim17ROCPRIM_400000_NS6detail17trampoline_kernelINS0_14default_configENS1_38merge_sort_block_merge_config_selectorIiiEEZZNS1_27merge_sort_block_merge_implIS3_N6thrust23THRUST_200600_302600_NS6detail15normal_iteratorINS8_10device_ptrIiEEEESD_jNS1_19radix_merge_compareILb0ELb0EiNS0_19identity_decomposerEEEEE10hipError_tT0_T1_T2_jT3_P12ihipStream_tbPNSt15iterator_traitsISI_E10value_typeEPNSO_ISJ_E10value_typeEPSK_NS1_7vsmem_tEENKUlT_SI_SJ_SK_E_clISD_PiSD_S10_EESH_SX_SI_SJ_SK_EUlSX_E0_NS1_11comp_targetILNS1_3genE8ELNS1_11target_archE1030ELNS1_3gpuE2ELNS1_3repE0EEENS1_38merge_mergepath_config_static_selectorELNS0_4arch9wavefront6targetE1EEEvSJ_
	.p2align	8
	.type	_ZN7rocprim17ROCPRIM_400000_NS6detail17trampoline_kernelINS0_14default_configENS1_38merge_sort_block_merge_config_selectorIiiEEZZNS1_27merge_sort_block_merge_implIS3_N6thrust23THRUST_200600_302600_NS6detail15normal_iteratorINS8_10device_ptrIiEEEESD_jNS1_19radix_merge_compareILb0ELb0EiNS0_19identity_decomposerEEEEE10hipError_tT0_T1_T2_jT3_P12ihipStream_tbPNSt15iterator_traitsISI_E10value_typeEPNSO_ISJ_E10value_typeEPSK_NS1_7vsmem_tEENKUlT_SI_SJ_SK_E_clISD_PiSD_S10_EESH_SX_SI_SJ_SK_EUlSX_E0_NS1_11comp_targetILNS1_3genE8ELNS1_11target_archE1030ELNS1_3gpuE2ELNS1_3repE0EEENS1_38merge_mergepath_config_static_selectorELNS0_4arch9wavefront6targetE1EEEvSJ_,@function
_ZN7rocprim17ROCPRIM_400000_NS6detail17trampoline_kernelINS0_14default_configENS1_38merge_sort_block_merge_config_selectorIiiEEZZNS1_27merge_sort_block_merge_implIS3_N6thrust23THRUST_200600_302600_NS6detail15normal_iteratorINS8_10device_ptrIiEEEESD_jNS1_19radix_merge_compareILb0ELb0EiNS0_19identity_decomposerEEEEE10hipError_tT0_T1_T2_jT3_P12ihipStream_tbPNSt15iterator_traitsISI_E10value_typeEPNSO_ISJ_E10value_typeEPSK_NS1_7vsmem_tEENKUlT_SI_SJ_SK_E_clISD_PiSD_S10_EESH_SX_SI_SJ_SK_EUlSX_E0_NS1_11comp_targetILNS1_3genE8ELNS1_11target_archE1030ELNS1_3gpuE2ELNS1_3repE0EEENS1_38merge_mergepath_config_static_selectorELNS0_4arch9wavefront6targetE1EEEvSJ_: ; @_ZN7rocprim17ROCPRIM_400000_NS6detail17trampoline_kernelINS0_14default_configENS1_38merge_sort_block_merge_config_selectorIiiEEZZNS1_27merge_sort_block_merge_implIS3_N6thrust23THRUST_200600_302600_NS6detail15normal_iteratorINS8_10device_ptrIiEEEESD_jNS1_19radix_merge_compareILb0ELb0EiNS0_19identity_decomposerEEEEE10hipError_tT0_T1_T2_jT3_P12ihipStream_tbPNSt15iterator_traitsISI_E10value_typeEPNSO_ISJ_E10value_typeEPSK_NS1_7vsmem_tEENKUlT_SI_SJ_SK_E_clISD_PiSD_S10_EESH_SX_SI_SJ_SK_EUlSX_E0_NS1_11comp_targetILNS1_3genE8ELNS1_11target_archE1030ELNS1_3gpuE2ELNS1_3repE0EEENS1_38merge_mergepath_config_static_selectorELNS0_4arch9wavefront6targetE1EEEvSJ_
; %bb.0:
	.section	.rodata,"a",@progbits
	.p2align	6, 0x0
	.amdhsa_kernel _ZN7rocprim17ROCPRIM_400000_NS6detail17trampoline_kernelINS0_14default_configENS1_38merge_sort_block_merge_config_selectorIiiEEZZNS1_27merge_sort_block_merge_implIS3_N6thrust23THRUST_200600_302600_NS6detail15normal_iteratorINS8_10device_ptrIiEEEESD_jNS1_19radix_merge_compareILb0ELb0EiNS0_19identity_decomposerEEEEE10hipError_tT0_T1_T2_jT3_P12ihipStream_tbPNSt15iterator_traitsISI_E10value_typeEPNSO_ISJ_E10value_typeEPSK_NS1_7vsmem_tEENKUlT_SI_SJ_SK_E_clISD_PiSD_S10_EESH_SX_SI_SJ_SK_EUlSX_E0_NS1_11comp_targetILNS1_3genE8ELNS1_11target_archE1030ELNS1_3gpuE2ELNS1_3repE0EEENS1_38merge_mergepath_config_static_selectorELNS0_4arch9wavefront6targetE1EEEvSJ_
		.amdhsa_group_segment_fixed_size 0
		.amdhsa_private_segment_fixed_size 0
		.amdhsa_kernarg_size 64
		.amdhsa_user_sgpr_count 2
		.amdhsa_user_sgpr_dispatch_ptr 0
		.amdhsa_user_sgpr_queue_ptr 0
		.amdhsa_user_sgpr_kernarg_segment_ptr 1
		.amdhsa_user_sgpr_dispatch_id 0
		.amdhsa_user_sgpr_kernarg_preload_length 0
		.amdhsa_user_sgpr_kernarg_preload_offset 0
		.amdhsa_user_sgpr_private_segment_size 0
		.amdhsa_uses_dynamic_stack 0
		.amdhsa_enable_private_segment 0
		.amdhsa_system_sgpr_workgroup_id_x 1
		.amdhsa_system_sgpr_workgroup_id_y 0
		.amdhsa_system_sgpr_workgroup_id_z 0
		.amdhsa_system_sgpr_workgroup_info 0
		.amdhsa_system_vgpr_workitem_id 0
		.amdhsa_next_free_vgpr 1
		.amdhsa_next_free_sgpr 0
		.amdhsa_accum_offset 4
		.amdhsa_reserve_vcc 0
		.amdhsa_float_round_mode_32 0
		.amdhsa_float_round_mode_16_64 0
		.amdhsa_float_denorm_mode_32 3
		.amdhsa_float_denorm_mode_16_64 3
		.amdhsa_dx10_clamp 1
		.amdhsa_ieee_mode 1
		.amdhsa_fp16_overflow 0
		.amdhsa_tg_split 0
		.amdhsa_exception_fp_ieee_invalid_op 0
		.amdhsa_exception_fp_denorm_src 0
		.amdhsa_exception_fp_ieee_div_zero 0
		.amdhsa_exception_fp_ieee_overflow 0
		.amdhsa_exception_fp_ieee_underflow 0
		.amdhsa_exception_fp_ieee_inexact 0
		.amdhsa_exception_int_div_zero 0
	.end_amdhsa_kernel
	.section	.text._ZN7rocprim17ROCPRIM_400000_NS6detail17trampoline_kernelINS0_14default_configENS1_38merge_sort_block_merge_config_selectorIiiEEZZNS1_27merge_sort_block_merge_implIS3_N6thrust23THRUST_200600_302600_NS6detail15normal_iteratorINS8_10device_ptrIiEEEESD_jNS1_19radix_merge_compareILb0ELb0EiNS0_19identity_decomposerEEEEE10hipError_tT0_T1_T2_jT3_P12ihipStream_tbPNSt15iterator_traitsISI_E10value_typeEPNSO_ISJ_E10value_typeEPSK_NS1_7vsmem_tEENKUlT_SI_SJ_SK_E_clISD_PiSD_S10_EESH_SX_SI_SJ_SK_EUlSX_E0_NS1_11comp_targetILNS1_3genE8ELNS1_11target_archE1030ELNS1_3gpuE2ELNS1_3repE0EEENS1_38merge_mergepath_config_static_selectorELNS0_4arch9wavefront6targetE1EEEvSJ_,"axG",@progbits,_ZN7rocprim17ROCPRIM_400000_NS6detail17trampoline_kernelINS0_14default_configENS1_38merge_sort_block_merge_config_selectorIiiEEZZNS1_27merge_sort_block_merge_implIS3_N6thrust23THRUST_200600_302600_NS6detail15normal_iteratorINS8_10device_ptrIiEEEESD_jNS1_19radix_merge_compareILb0ELb0EiNS0_19identity_decomposerEEEEE10hipError_tT0_T1_T2_jT3_P12ihipStream_tbPNSt15iterator_traitsISI_E10value_typeEPNSO_ISJ_E10value_typeEPSK_NS1_7vsmem_tEENKUlT_SI_SJ_SK_E_clISD_PiSD_S10_EESH_SX_SI_SJ_SK_EUlSX_E0_NS1_11comp_targetILNS1_3genE8ELNS1_11target_archE1030ELNS1_3gpuE2ELNS1_3repE0EEENS1_38merge_mergepath_config_static_selectorELNS0_4arch9wavefront6targetE1EEEvSJ_,comdat
.Lfunc_end1326:
	.size	_ZN7rocprim17ROCPRIM_400000_NS6detail17trampoline_kernelINS0_14default_configENS1_38merge_sort_block_merge_config_selectorIiiEEZZNS1_27merge_sort_block_merge_implIS3_N6thrust23THRUST_200600_302600_NS6detail15normal_iteratorINS8_10device_ptrIiEEEESD_jNS1_19radix_merge_compareILb0ELb0EiNS0_19identity_decomposerEEEEE10hipError_tT0_T1_T2_jT3_P12ihipStream_tbPNSt15iterator_traitsISI_E10value_typeEPNSO_ISJ_E10value_typeEPSK_NS1_7vsmem_tEENKUlT_SI_SJ_SK_E_clISD_PiSD_S10_EESH_SX_SI_SJ_SK_EUlSX_E0_NS1_11comp_targetILNS1_3genE8ELNS1_11target_archE1030ELNS1_3gpuE2ELNS1_3repE0EEENS1_38merge_mergepath_config_static_selectorELNS0_4arch9wavefront6targetE1EEEvSJ_, .Lfunc_end1326-_ZN7rocprim17ROCPRIM_400000_NS6detail17trampoline_kernelINS0_14default_configENS1_38merge_sort_block_merge_config_selectorIiiEEZZNS1_27merge_sort_block_merge_implIS3_N6thrust23THRUST_200600_302600_NS6detail15normal_iteratorINS8_10device_ptrIiEEEESD_jNS1_19radix_merge_compareILb0ELb0EiNS0_19identity_decomposerEEEEE10hipError_tT0_T1_T2_jT3_P12ihipStream_tbPNSt15iterator_traitsISI_E10value_typeEPNSO_ISJ_E10value_typeEPSK_NS1_7vsmem_tEENKUlT_SI_SJ_SK_E_clISD_PiSD_S10_EESH_SX_SI_SJ_SK_EUlSX_E0_NS1_11comp_targetILNS1_3genE8ELNS1_11target_archE1030ELNS1_3gpuE2ELNS1_3repE0EEENS1_38merge_mergepath_config_static_selectorELNS0_4arch9wavefront6targetE1EEEvSJ_
                                        ; -- End function
	.set _ZN7rocprim17ROCPRIM_400000_NS6detail17trampoline_kernelINS0_14default_configENS1_38merge_sort_block_merge_config_selectorIiiEEZZNS1_27merge_sort_block_merge_implIS3_N6thrust23THRUST_200600_302600_NS6detail15normal_iteratorINS8_10device_ptrIiEEEESD_jNS1_19radix_merge_compareILb0ELb0EiNS0_19identity_decomposerEEEEE10hipError_tT0_T1_T2_jT3_P12ihipStream_tbPNSt15iterator_traitsISI_E10value_typeEPNSO_ISJ_E10value_typeEPSK_NS1_7vsmem_tEENKUlT_SI_SJ_SK_E_clISD_PiSD_S10_EESH_SX_SI_SJ_SK_EUlSX_E0_NS1_11comp_targetILNS1_3genE8ELNS1_11target_archE1030ELNS1_3gpuE2ELNS1_3repE0EEENS1_38merge_mergepath_config_static_selectorELNS0_4arch9wavefront6targetE1EEEvSJ_.num_vgpr, 0
	.set _ZN7rocprim17ROCPRIM_400000_NS6detail17trampoline_kernelINS0_14default_configENS1_38merge_sort_block_merge_config_selectorIiiEEZZNS1_27merge_sort_block_merge_implIS3_N6thrust23THRUST_200600_302600_NS6detail15normal_iteratorINS8_10device_ptrIiEEEESD_jNS1_19radix_merge_compareILb0ELb0EiNS0_19identity_decomposerEEEEE10hipError_tT0_T1_T2_jT3_P12ihipStream_tbPNSt15iterator_traitsISI_E10value_typeEPNSO_ISJ_E10value_typeEPSK_NS1_7vsmem_tEENKUlT_SI_SJ_SK_E_clISD_PiSD_S10_EESH_SX_SI_SJ_SK_EUlSX_E0_NS1_11comp_targetILNS1_3genE8ELNS1_11target_archE1030ELNS1_3gpuE2ELNS1_3repE0EEENS1_38merge_mergepath_config_static_selectorELNS0_4arch9wavefront6targetE1EEEvSJ_.num_agpr, 0
	.set _ZN7rocprim17ROCPRIM_400000_NS6detail17trampoline_kernelINS0_14default_configENS1_38merge_sort_block_merge_config_selectorIiiEEZZNS1_27merge_sort_block_merge_implIS3_N6thrust23THRUST_200600_302600_NS6detail15normal_iteratorINS8_10device_ptrIiEEEESD_jNS1_19radix_merge_compareILb0ELb0EiNS0_19identity_decomposerEEEEE10hipError_tT0_T1_T2_jT3_P12ihipStream_tbPNSt15iterator_traitsISI_E10value_typeEPNSO_ISJ_E10value_typeEPSK_NS1_7vsmem_tEENKUlT_SI_SJ_SK_E_clISD_PiSD_S10_EESH_SX_SI_SJ_SK_EUlSX_E0_NS1_11comp_targetILNS1_3genE8ELNS1_11target_archE1030ELNS1_3gpuE2ELNS1_3repE0EEENS1_38merge_mergepath_config_static_selectorELNS0_4arch9wavefront6targetE1EEEvSJ_.numbered_sgpr, 0
	.set _ZN7rocprim17ROCPRIM_400000_NS6detail17trampoline_kernelINS0_14default_configENS1_38merge_sort_block_merge_config_selectorIiiEEZZNS1_27merge_sort_block_merge_implIS3_N6thrust23THRUST_200600_302600_NS6detail15normal_iteratorINS8_10device_ptrIiEEEESD_jNS1_19radix_merge_compareILb0ELb0EiNS0_19identity_decomposerEEEEE10hipError_tT0_T1_T2_jT3_P12ihipStream_tbPNSt15iterator_traitsISI_E10value_typeEPNSO_ISJ_E10value_typeEPSK_NS1_7vsmem_tEENKUlT_SI_SJ_SK_E_clISD_PiSD_S10_EESH_SX_SI_SJ_SK_EUlSX_E0_NS1_11comp_targetILNS1_3genE8ELNS1_11target_archE1030ELNS1_3gpuE2ELNS1_3repE0EEENS1_38merge_mergepath_config_static_selectorELNS0_4arch9wavefront6targetE1EEEvSJ_.num_named_barrier, 0
	.set _ZN7rocprim17ROCPRIM_400000_NS6detail17trampoline_kernelINS0_14default_configENS1_38merge_sort_block_merge_config_selectorIiiEEZZNS1_27merge_sort_block_merge_implIS3_N6thrust23THRUST_200600_302600_NS6detail15normal_iteratorINS8_10device_ptrIiEEEESD_jNS1_19radix_merge_compareILb0ELb0EiNS0_19identity_decomposerEEEEE10hipError_tT0_T1_T2_jT3_P12ihipStream_tbPNSt15iterator_traitsISI_E10value_typeEPNSO_ISJ_E10value_typeEPSK_NS1_7vsmem_tEENKUlT_SI_SJ_SK_E_clISD_PiSD_S10_EESH_SX_SI_SJ_SK_EUlSX_E0_NS1_11comp_targetILNS1_3genE8ELNS1_11target_archE1030ELNS1_3gpuE2ELNS1_3repE0EEENS1_38merge_mergepath_config_static_selectorELNS0_4arch9wavefront6targetE1EEEvSJ_.private_seg_size, 0
	.set _ZN7rocprim17ROCPRIM_400000_NS6detail17trampoline_kernelINS0_14default_configENS1_38merge_sort_block_merge_config_selectorIiiEEZZNS1_27merge_sort_block_merge_implIS3_N6thrust23THRUST_200600_302600_NS6detail15normal_iteratorINS8_10device_ptrIiEEEESD_jNS1_19radix_merge_compareILb0ELb0EiNS0_19identity_decomposerEEEEE10hipError_tT0_T1_T2_jT3_P12ihipStream_tbPNSt15iterator_traitsISI_E10value_typeEPNSO_ISJ_E10value_typeEPSK_NS1_7vsmem_tEENKUlT_SI_SJ_SK_E_clISD_PiSD_S10_EESH_SX_SI_SJ_SK_EUlSX_E0_NS1_11comp_targetILNS1_3genE8ELNS1_11target_archE1030ELNS1_3gpuE2ELNS1_3repE0EEENS1_38merge_mergepath_config_static_selectorELNS0_4arch9wavefront6targetE1EEEvSJ_.uses_vcc, 0
	.set _ZN7rocprim17ROCPRIM_400000_NS6detail17trampoline_kernelINS0_14default_configENS1_38merge_sort_block_merge_config_selectorIiiEEZZNS1_27merge_sort_block_merge_implIS3_N6thrust23THRUST_200600_302600_NS6detail15normal_iteratorINS8_10device_ptrIiEEEESD_jNS1_19radix_merge_compareILb0ELb0EiNS0_19identity_decomposerEEEEE10hipError_tT0_T1_T2_jT3_P12ihipStream_tbPNSt15iterator_traitsISI_E10value_typeEPNSO_ISJ_E10value_typeEPSK_NS1_7vsmem_tEENKUlT_SI_SJ_SK_E_clISD_PiSD_S10_EESH_SX_SI_SJ_SK_EUlSX_E0_NS1_11comp_targetILNS1_3genE8ELNS1_11target_archE1030ELNS1_3gpuE2ELNS1_3repE0EEENS1_38merge_mergepath_config_static_selectorELNS0_4arch9wavefront6targetE1EEEvSJ_.uses_flat_scratch, 0
	.set _ZN7rocprim17ROCPRIM_400000_NS6detail17trampoline_kernelINS0_14default_configENS1_38merge_sort_block_merge_config_selectorIiiEEZZNS1_27merge_sort_block_merge_implIS3_N6thrust23THRUST_200600_302600_NS6detail15normal_iteratorINS8_10device_ptrIiEEEESD_jNS1_19radix_merge_compareILb0ELb0EiNS0_19identity_decomposerEEEEE10hipError_tT0_T1_T2_jT3_P12ihipStream_tbPNSt15iterator_traitsISI_E10value_typeEPNSO_ISJ_E10value_typeEPSK_NS1_7vsmem_tEENKUlT_SI_SJ_SK_E_clISD_PiSD_S10_EESH_SX_SI_SJ_SK_EUlSX_E0_NS1_11comp_targetILNS1_3genE8ELNS1_11target_archE1030ELNS1_3gpuE2ELNS1_3repE0EEENS1_38merge_mergepath_config_static_selectorELNS0_4arch9wavefront6targetE1EEEvSJ_.has_dyn_sized_stack, 0
	.set _ZN7rocprim17ROCPRIM_400000_NS6detail17trampoline_kernelINS0_14default_configENS1_38merge_sort_block_merge_config_selectorIiiEEZZNS1_27merge_sort_block_merge_implIS3_N6thrust23THRUST_200600_302600_NS6detail15normal_iteratorINS8_10device_ptrIiEEEESD_jNS1_19radix_merge_compareILb0ELb0EiNS0_19identity_decomposerEEEEE10hipError_tT0_T1_T2_jT3_P12ihipStream_tbPNSt15iterator_traitsISI_E10value_typeEPNSO_ISJ_E10value_typeEPSK_NS1_7vsmem_tEENKUlT_SI_SJ_SK_E_clISD_PiSD_S10_EESH_SX_SI_SJ_SK_EUlSX_E0_NS1_11comp_targetILNS1_3genE8ELNS1_11target_archE1030ELNS1_3gpuE2ELNS1_3repE0EEENS1_38merge_mergepath_config_static_selectorELNS0_4arch9wavefront6targetE1EEEvSJ_.has_recursion, 0
	.set _ZN7rocprim17ROCPRIM_400000_NS6detail17trampoline_kernelINS0_14default_configENS1_38merge_sort_block_merge_config_selectorIiiEEZZNS1_27merge_sort_block_merge_implIS3_N6thrust23THRUST_200600_302600_NS6detail15normal_iteratorINS8_10device_ptrIiEEEESD_jNS1_19radix_merge_compareILb0ELb0EiNS0_19identity_decomposerEEEEE10hipError_tT0_T1_T2_jT3_P12ihipStream_tbPNSt15iterator_traitsISI_E10value_typeEPNSO_ISJ_E10value_typeEPSK_NS1_7vsmem_tEENKUlT_SI_SJ_SK_E_clISD_PiSD_S10_EESH_SX_SI_SJ_SK_EUlSX_E0_NS1_11comp_targetILNS1_3genE8ELNS1_11target_archE1030ELNS1_3gpuE2ELNS1_3repE0EEENS1_38merge_mergepath_config_static_selectorELNS0_4arch9wavefront6targetE1EEEvSJ_.has_indirect_call, 0
	.section	.AMDGPU.csdata,"",@progbits
; Kernel info:
; codeLenInByte = 0
; TotalNumSgprs: 6
; NumVgprs: 0
; NumAgprs: 0
; TotalNumVgprs: 0
; ScratchSize: 0
; MemoryBound: 0
; FloatMode: 240
; IeeeMode: 1
; LDSByteSize: 0 bytes/workgroup (compile time only)
; SGPRBlocks: 0
; VGPRBlocks: 0
; NumSGPRsForWavesPerEU: 6
; NumVGPRsForWavesPerEU: 1
; AccumOffset: 4
; Occupancy: 8
; WaveLimiterHint : 0
; COMPUTE_PGM_RSRC2:SCRATCH_EN: 0
; COMPUTE_PGM_RSRC2:USER_SGPR: 2
; COMPUTE_PGM_RSRC2:TRAP_HANDLER: 0
; COMPUTE_PGM_RSRC2:TGID_X_EN: 1
; COMPUTE_PGM_RSRC2:TGID_Y_EN: 0
; COMPUTE_PGM_RSRC2:TGID_Z_EN: 0
; COMPUTE_PGM_RSRC2:TIDIG_COMP_CNT: 0
; COMPUTE_PGM_RSRC3_GFX90A:ACCUM_OFFSET: 0
; COMPUTE_PGM_RSRC3_GFX90A:TG_SPLIT: 0
	.section	.text._ZN7rocprim17ROCPRIM_400000_NS6detail17trampoline_kernelINS0_14default_configENS1_38merge_sort_block_merge_config_selectorIiiEEZZNS1_27merge_sort_block_merge_implIS3_N6thrust23THRUST_200600_302600_NS6detail15normal_iteratorINS8_10device_ptrIiEEEESD_jNS1_19radix_merge_compareILb0ELb0EiNS0_19identity_decomposerEEEEE10hipError_tT0_T1_T2_jT3_P12ihipStream_tbPNSt15iterator_traitsISI_E10value_typeEPNSO_ISJ_E10value_typeEPSK_NS1_7vsmem_tEENKUlT_SI_SJ_SK_E_clISD_PiSD_S10_EESH_SX_SI_SJ_SK_EUlSX_E1_NS1_11comp_targetILNS1_3genE0ELNS1_11target_archE4294967295ELNS1_3gpuE0ELNS1_3repE0EEENS1_36merge_oddeven_config_static_selectorELNS0_4arch9wavefront6targetE1EEEvSJ_,"axG",@progbits,_ZN7rocprim17ROCPRIM_400000_NS6detail17trampoline_kernelINS0_14default_configENS1_38merge_sort_block_merge_config_selectorIiiEEZZNS1_27merge_sort_block_merge_implIS3_N6thrust23THRUST_200600_302600_NS6detail15normal_iteratorINS8_10device_ptrIiEEEESD_jNS1_19radix_merge_compareILb0ELb0EiNS0_19identity_decomposerEEEEE10hipError_tT0_T1_T2_jT3_P12ihipStream_tbPNSt15iterator_traitsISI_E10value_typeEPNSO_ISJ_E10value_typeEPSK_NS1_7vsmem_tEENKUlT_SI_SJ_SK_E_clISD_PiSD_S10_EESH_SX_SI_SJ_SK_EUlSX_E1_NS1_11comp_targetILNS1_3genE0ELNS1_11target_archE4294967295ELNS1_3gpuE0ELNS1_3repE0EEENS1_36merge_oddeven_config_static_selectorELNS0_4arch9wavefront6targetE1EEEvSJ_,comdat
	.protected	_ZN7rocprim17ROCPRIM_400000_NS6detail17trampoline_kernelINS0_14default_configENS1_38merge_sort_block_merge_config_selectorIiiEEZZNS1_27merge_sort_block_merge_implIS3_N6thrust23THRUST_200600_302600_NS6detail15normal_iteratorINS8_10device_ptrIiEEEESD_jNS1_19radix_merge_compareILb0ELb0EiNS0_19identity_decomposerEEEEE10hipError_tT0_T1_T2_jT3_P12ihipStream_tbPNSt15iterator_traitsISI_E10value_typeEPNSO_ISJ_E10value_typeEPSK_NS1_7vsmem_tEENKUlT_SI_SJ_SK_E_clISD_PiSD_S10_EESH_SX_SI_SJ_SK_EUlSX_E1_NS1_11comp_targetILNS1_3genE0ELNS1_11target_archE4294967295ELNS1_3gpuE0ELNS1_3repE0EEENS1_36merge_oddeven_config_static_selectorELNS0_4arch9wavefront6targetE1EEEvSJ_ ; -- Begin function _ZN7rocprim17ROCPRIM_400000_NS6detail17trampoline_kernelINS0_14default_configENS1_38merge_sort_block_merge_config_selectorIiiEEZZNS1_27merge_sort_block_merge_implIS3_N6thrust23THRUST_200600_302600_NS6detail15normal_iteratorINS8_10device_ptrIiEEEESD_jNS1_19radix_merge_compareILb0ELb0EiNS0_19identity_decomposerEEEEE10hipError_tT0_T1_T2_jT3_P12ihipStream_tbPNSt15iterator_traitsISI_E10value_typeEPNSO_ISJ_E10value_typeEPSK_NS1_7vsmem_tEENKUlT_SI_SJ_SK_E_clISD_PiSD_S10_EESH_SX_SI_SJ_SK_EUlSX_E1_NS1_11comp_targetILNS1_3genE0ELNS1_11target_archE4294967295ELNS1_3gpuE0ELNS1_3repE0EEENS1_36merge_oddeven_config_static_selectorELNS0_4arch9wavefront6targetE1EEEvSJ_
	.globl	_ZN7rocprim17ROCPRIM_400000_NS6detail17trampoline_kernelINS0_14default_configENS1_38merge_sort_block_merge_config_selectorIiiEEZZNS1_27merge_sort_block_merge_implIS3_N6thrust23THRUST_200600_302600_NS6detail15normal_iteratorINS8_10device_ptrIiEEEESD_jNS1_19radix_merge_compareILb0ELb0EiNS0_19identity_decomposerEEEEE10hipError_tT0_T1_T2_jT3_P12ihipStream_tbPNSt15iterator_traitsISI_E10value_typeEPNSO_ISJ_E10value_typeEPSK_NS1_7vsmem_tEENKUlT_SI_SJ_SK_E_clISD_PiSD_S10_EESH_SX_SI_SJ_SK_EUlSX_E1_NS1_11comp_targetILNS1_3genE0ELNS1_11target_archE4294967295ELNS1_3gpuE0ELNS1_3repE0EEENS1_36merge_oddeven_config_static_selectorELNS0_4arch9wavefront6targetE1EEEvSJ_
	.p2align	8
	.type	_ZN7rocprim17ROCPRIM_400000_NS6detail17trampoline_kernelINS0_14default_configENS1_38merge_sort_block_merge_config_selectorIiiEEZZNS1_27merge_sort_block_merge_implIS3_N6thrust23THRUST_200600_302600_NS6detail15normal_iteratorINS8_10device_ptrIiEEEESD_jNS1_19radix_merge_compareILb0ELb0EiNS0_19identity_decomposerEEEEE10hipError_tT0_T1_T2_jT3_P12ihipStream_tbPNSt15iterator_traitsISI_E10value_typeEPNSO_ISJ_E10value_typeEPSK_NS1_7vsmem_tEENKUlT_SI_SJ_SK_E_clISD_PiSD_S10_EESH_SX_SI_SJ_SK_EUlSX_E1_NS1_11comp_targetILNS1_3genE0ELNS1_11target_archE4294967295ELNS1_3gpuE0ELNS1_3repE0EEENS1_36merge_oddeven_config_static_selectorELNS0_4arch9wavefront6targetE1EEEvSJ_,@function
_ZN7rocprim17ROCPRIM_400000_NS6detail17trampoline_kernelINS0_14default_configENS1_38merge_sort_block_merge_config_selectorIiiEEZZNS1_27merge_sort_block_merge_implIS3_N6thrust23THRUST_200600_302600_NS6detail15normal_iteratorINS8_10device_ptrIiEEEESD_jNS1_19radix_merge_compareILb0ELb0EiNS0_19identity_decomposerEEEEE10hipError_tT0_T1_T2_jT3_P12ihipStream_tbPNSt15iterator_traitsISI_E10value_typeEPNSO_ISJ_E10value_typeEPSK_NS1_7vsmem_tEENKUlT_SI_SJ_SK_E_clISD_PiSD_S10_EESH_SX_SI_SJ_SK_EUlSX_E1_NS1_11comp_targetILNS1_3genE0ELNS1_11target_archE4294967295ELNS1_3gpuE0ELNS1_3repE0EEENS1_36merge_oddeven_config_static_selectorELNS0_4arch9wavefront6targetE1EEEvSJ_: ; @_ZN7rocprim17ROCPRIM_400000_NS6detail17trampoline_kernelINS0_14default_configENS1_38merge_sort_block_merge_config_selectorIiiEEZZNS1_27merge_sort_block_merge_implIS3_N6thrust23THRUST_200600_302600_NS6detail15normal_iteratorINS8_10device_ptrIiEEEESD_jNS1_19radix_merge_compareILb0ELb0EiNS0_19identity_decomposerEEEEE10hipError_tT0_T1_T2_jT3_P12ihipStream_tbPNSt15iterator_traitsISI_E10value_typeEPNSO_ISJ_E10value_typeEPSK_NS1_7vsmem_tEENKUlT_SI_SJ_SK_E_clISD_PiSD_S10_EESH_SX_SI_SJ_SK_EUlSX_E1_NS1_11comp_targetILNS1_3genE0ELNS1_11target_archE4294967295ELNS1_3gpuE0ELNS1_3repE0EEENS1_36merge_oddeven_config_static_selectorELNS0_4arch9wavefront6targetE1EEEvSJ_
; %bb.0:
	s_load_dword s18, s[0:1], 0x20
	s_waitcnt lgkmcnt(0)
	s_lshr_b32 s3, s18, 8
	s_cmp_eq_u32 s2, s3
	s_cselect_b64 s[6:7], -1, 0
	s_cmp_lg_u32 s2, s3
	s_cselect_b64 s[8:9], -1, 0
	s_lshl_b32 s16, s2, 8
	s_sub_i32 s3, s18, s16
	v_cmp_gt_u32_e64 s[4:5], s3, v0
	s_or_b64 s[8:9], s[8:9], s[4:5]
	s_and_saveexec_b64 s[10:11], s[8:9]
	s_cbranch_execz .LBB1327_24
; %bb.1:
	s_load_dwordx8 s[8:15], s[0:1], 0x0
	s_mov_b32 s17, 0
	s_lshl_b64 s[20:21], s[16:17], 2
	v_lshlrev_b32_e32 v1, 2, v0
	s_load_dword s17, s[0:1], 0x24
	s_waitcnt lgkmcnt(0)
	s_add_u32 s22, s8, s20
	s_addc_u32 s23, s9, s21
	s_add_u32 s12, s12, s20
	s_addc_u32 s13, s13, s21
	global_load_dword v2, v1, s[12:13]
	global_load_dword v3, v1, s[22:23]
	s_lshr_b32 s0, s17, 8
	s_sub_i32 s1, 0, s0
	s_and_b32 s1, s2, s1
	s_and_b32 s0, s1, s0
	s_lshl_b32 s19, s1, 8
	s_sub_i32 s12, 0, s17
	s_cmp_eq_u32 s0, 0
	s_cselect_b64 s[0:1], -1, 0
	s_and_b64 s[2:3], s[0:1], exec
	s_cselect_b32 s12, s17, s12
	s_add_i32 s12, s12, s19
	s_mov_b64 s[2:3], -1
	s_cmp_gt_u32 s18, s12
	v_add_u32_e32 v0, s16, v0
	s_cbranch_scc1 .LBB1327_9
; %bb.2:
	s_and_b64 vcc, exec, s[6:7]
	s_cbranch_vccz .LBB1327_6
; %bb.3:
	v_cmp_gt_u32_e32 vcc, s18, v0
	s_and_saveexec_b64 s[2:3], vcc
	s_cbranch_execz .LBB1327_5
; %bb.4:
	v_mov_b32_e32 v1, 0
	v_lshlrev_b64 v[4:5], 2, v[0:1]
	v_lshl_add_u64 v[6:7], s[10:11], 0, v[4:5]
	v_lshl_add_u64 v[4:5], s[14:15], 0, v[4:5]
	s_waitcnt vmcnt(0)
	global_store_dword v[6:7], v3, off
	global_store_dword v[4:5], v2, off
.LBB1327_5:
	s_or_b64 exec, exec, s[2:3]
	s_mov_b64 s[2:3], 0
.LBB1327_6:
	s_andn2_b64 vcc, exec, s[2:3]
	s_cbranch_vccnz .LBB1327_8
; %bb.7:
	v_mov_b32_e32 v1, 0
	v_lshlrev_b64 v[4:5], 2, v[0:1]
	v_lshl_add_u64 v[6:7], s[10:11], 0, v[4:5]
	v_lshl_add_u64 v[4:5], s[14:15], 0, v[4:5]
	s_waitcnt vmcnt(0)
	global_store_dword v[6:7], v3, off
	global_store_dword v[4:5], v2, off
.LBB1327_8:
	s_mov_b64 s[2:3], 0
.LBB1327_9:
	s_andn2_b64 vcc, exec, s[2:3]
	s_cbranch_vccnz .LBB1327_24
; %bb.10:
	s_min_u32 s13, s12, s18
	s_add_i32 s2, s13, s17
	s_min_u32 s16, s2, s18
	s_min_u32 s2, s19, s13
	s_add_i32 s19, s19, s13
	v_subrev_u32_e32 v0, s19, v0
	v_add_u32_e32 v4, s2, v0
	s_andn2_b64 vcc, exec, s[6:7]
	s_mov_b64 s[2:3], -1
	s_cbranch_vccnz .LBB1327_18
; %bb.11:
	s_and_saveexec_b64 s[2:3], s[4:5]
	s_cbranch_execz .LBB1327_17
; %bb.12:
	s_cmp_ge_u32 s12, s16
	v_mov_b32_e32 v5, s13
	s_cbranch_scc1 .LBB1327_16
; %bb.13:
	s_mov_b64 s[4:5], 0
	v_mov_b32_e32 v6, s16
	v_mov_b32_e32 v5, s13
	;; [unrolled: 1-line block ×3, first 2 shown]
.LBB1327_14:                            ; =>This Inner Loop Header: Depth=1
	v_add_u32_e32 v0, v5, v6
	v_lshrrev_b32_e32 v0, 1, v0
	v_lshl_add_u64 v[8:9], v[0:1], 2, s[8:9]
	global_load_dword v7, v[8:9], off
	v_add_u32_e32 v8, 1, v0
	s_waitcnt vmcnt(0)
	v_cmp_gt_i32_e32 vcc, v3, v7
	s_nop 1
	v_cndmask_b32_e64 v9, 0, 1, vcc
	v_cmp_le_i32_e32 vcc, v7, v3
	s_nop 1
	v_cndmask_b32_e64 v7, 0, 1, vcc
	v_cndmask_b32_e64 v7, v7, v9, s[0:1]
	v_and_b32_e32 v7, 1, v7
	v_cmp_eq_u32_e32 vcc, 1, v7
	s_nop 1
	v_cndmask_b32_e32 v6, v0, v6, vcc
	v_cndmask_b32_e32 v5, v5, v8, vcc
	v_cmp_ge_u32_e32 vcc, v5, v6
	s_or_b64 s[4:5], vcc, s[4:5]
	s_andn2_b64 exec, exec, s[4:5]
	s_cbranch_execnz .LBB1327_14
; %bb.15:
	s_or_b64 exec, exec, s[4:5]
.LBB1327_16:
	v_add_u32_e32 v0, v5, v4
	v_mov_b32_e32 v1, 0
	v_lshlrev_b64 v[0:1], 2, v[0:1]
	v_lshl_add_u64 v[6:7], s[10:11], 0, v[0:1]
	v_lshl_add_u64 v[0:1], s[14:15], 0, v[0:1]
	s_waitcnt vmcnt(0)
	global_store_dword v[6:7], v3, off
	global_store_dword v[0:1], v2, off
.LBB1327_17:
	s_or_b64 exec, exec, s[2:3]
	s_mov_b64 s[2:3], 0
.LBB1327_18:
	s_andn2_b64 vcc, exec, s[2:3]
	s_cbranch_vccnz .LBB1327_24
; %bb.19:
	s_cmp_ge_u32 s12, s16
	v_mov_b32_e32 v5, s13
	s_cbranch_scc1 .LBB1327_23
; %bb.20:
	s_mov_b64 s[2:3], 0
	v_mov_b32_e32 v6, s16
	v_mov_b32_e32 v5, s13
	v_mov_b32_e32 v1, 0
.LBB1327_21:                            ; =>This Inner Loop Header: Depth=1
	v_add_u32_e32 v0, v5, v6
	v_lshrrev_b32_e32 v0, 1, v0
	v_lshl_add_u64 v[8:9], v[0:1], 2, s[8:9]
	global_load_dword v7, v[8:9], off
	v_add_u32_e32 v8, 1, v0
	s_waitcnt vmcnt(0)
	v_cmp_gt_i32_e32 vcc, v3, v7
	s_nop 1
	v_cndmask_b32_e64 v9, 0, 1, vcc
	v_cmp_le_i32_e32 vcc, v7, v3
	s_nop 1
	v_cndmask_b32_e64 v7, 0, 1, vcc
	v_cndmask_b32_e64 v7, v7, v9, s[0:1]
	v_and_b32_e32 v7, 1, v7
	v_cmp_eq_u32_e32 vcc, 1, v7
	s_nop 1
	v_cndmask_b32_e32 v6, v0, v6, vcc
	v_cndmask_b32_e32 v5, v5, v8, vcc
	v_cmp_ge_u32_e32 vcc, v5, v6
	s_or_b64 s[2:3], vcc, s[2:3]
	s_andn2_b64 exec, exec, s[2:3]
	s_cbranch_execnz .LBB1327_21
; %bb.22:
	s_or_b64 exec, exec, s[2:3]
.LBB1327_23:
	v_add_u32_e32 v0, v5, v4
	v_mov_b32_e32 v1, 0
	v_lshlrev_b64 v[0:1], 2, v[0:1]
	v_lshl_add_u64 v[4:5], s[10:11], 0, v[0:1]
	v_lshl_add_u64 v[0:1], s[14:15], 0, v[0:1]
	s_waitcnt vmcnt(0)
	global_store_dword v[4:5], v3, off
	global_store_dword v[0:1], v2, off
.LBB1327_24:
	s_endpgm
	.section	.rodata,"a",@progbits
	.p2align	6, 0x0
	.amdhsa_kernel _ZN7rocprim17ROCPRIM_400000_NS6detail17trampoline_kernelINS0_14default_configENS1_38merge_sort_block_merge_config_selectorIiiEEZZNS1_27merge_sort_block_merge_implIS3_N6thrust23THRUST_200600_302600_NS6detail15normal_iteratorINS8_10device_ptrIiEEEESD_jNS1_19radix_merge_compareILb0ELb0EiNS0_19identity_decomposerEEEEE10hipError_tT0_T1_T2_jT3_P12ihipStream_tbPNSt15iterator_traitsISI_E10value_typeEPNSO_ISJ_E10value_typeEPSK_NS1_7vsmem_tEENKUlT_SI_SJ_SK_E_clISD_PiSD_S10_EESH_SX_SI_SJ_SK_EUlSX_E1_NS1_11comp_targetILNS1_3genE0ELNS1_11target_archE4294967295ELNS1_3gpuE0ELNS1_3repE0EEENS1_36merge_oddeven_config_static_selectorELNS0_4arch9wavefront6targetE1EEEvSJ_
		.amdhsa_group_segment_fixed_size 0
		.amdhsa_private_segment_fixed_size 0
		.amdhsa_kernarg_size 48
		.amdhsa_user_sgpr_count 2
		.amdhsa_user_sgpr_dispatch_ptr 0
		.amdhsa_user_sgpr_queue_ptr 0
		.amdhsa_user_sgpr_kernarg_segment_ptr 1
		.amdhsa_user_sgpr_dispatch_id 0
		.amdhsa_user_sgpr_kernarg_preload_length 0
		.amdhsa_user_sgpr_kernarg_preload_offset 0
		.amdhsa_user_sgpr_private_segment_size 0
		.amdhsa_uses_dynamic_stack 0
		.amdhsa_enable_private_segment 0
		.amdhsa_system_sgpr_workgroup_id_x 1
		.amdhsa_system_sgpr_workgroup_id_y 0
		.amdhsa_system_sgpr_workgroup_id_z 0
		.amdhsa_system_sgpr_workgroup_info 0
		.amdhsa_system_vgpr_workitem_id 0
		.amdhsa_next_free_vgpr 10
		.amdhsa_next_free_sgpr 24
		.amdhsa_accum_offset 12
		.amdhsa_reserve_vcc 1
		.amdhsa_float_round_mode_32 0
		.amdhsa_float_round_mode_16_64 0
		.amdhsa_float_denorm_mode_32 3
		.amdhsa_float_denorm_mode_16_64 3
		.amdhsa_dx10_clamp 1
		.amdhsa_ieee_mode 1
		.amdhsa_fp16_overflow 0
		.amdhsa_tg_split 0
		.amdhsa_exception_fp_ieee_invalid_op 0
		.amdhsa_exception_fp_denorm_src 0
		.amdhsa_exception_fp_ieee_div_zero 0
		.amdhsa_exception_fp_ieee_overflow 0
		.amdhsa_exception_fp_ieee_underflow 0
		.amdhsa_exception_fp_ieee_inexact 0
		.amdhsa_exception_int_div_zero 0
	.end_amdhsa_kernel
	.section	.text._ZN7rocprim17ROCPRIM_400000_NS6detail17trampoline_kernelINS0_14default_configENS1_38merge_sort_block_merge_config_selectorIiiEEZZNS1_27merge_sort_block_merge_implIS3_N6thrust23THRUST_200600_302600_NS6detail15normal_iteratorINS8_10device_ptrIiEEEESD_jNS1_19radix_merge_compareILb0ELb0EiNS0_19identity_decomposerEEEEE10hipError_tT0_T1_T2_jT3_P12ihipStream_tbPNSt15iterator_traitsISI_E10value_typeEPNSO_ISJ_E10value_typeEPSK_NS1_7vsmem_tEENKUlT_SI_SJ_SK_E_clISD_PiSD_S10_EESH_SX_SI_SJ_SK_EUlSX_E1_NS1_11comp_targetILNS1_3genE0ELNS1_11target_archE4294967295ELNS1_3gpuE0ELNS1_3repE0EEENS1_36merge_oddeven_config_static_selectorELNS0_4arch9wavefront6targetE1EEEvSJ_,"axG",@progbits,_ZN7rocprim17ROCPRIM_400000_NS6detail17trampoline_kernelINS0_14default_configENS1_38merge_sort_block_merge_config_selectorIiiEEZZNS1_27merge_sort_block_merge_implIS3_N6thrust23THRUST_200600_302600_NS6detail15normal_iteratorINS8_10device_ptrIiEEEESD_jNS1_19radix_merge_compareILb0ELb0EiNS0_19identity_decomposerEEEEE10hipError_tT0_T1_T2_jT3_P12ihipStream_tbPNSt15iterator_traitsISI_E10value_typeEPNSO_ISJ_E10value_typeEPSK_NS1_7vsmem_tEENKUlT_SI_SJ_SK_E_clISD_PiSD_S10_EESH_SX_SI_SJ_SK_EUlSX_E1_NS1_11comp_targetILNS1_3genE0ELNS1_11target_archE4294967295ELNS1_3gpuE0ELNS1_3repE0EEENS1_36merge_oddeven_config_static_selectorELNS0_4arch9wavefront6targetE1EEEvSJ_,comdat
.Lfunc_end1327:
	.size	_ZN7rocprim17ROCPRIM_400000_NS6detail17trampoline_kernelINS0_14default_configENS1_38merge_sort_block_merge_config_selectorIiiEEZZNS1_27merge_sort_block_merge_implIS3_N6thrust23THRUST_200600_302600_NS6detail15normal_iteratorINS8_10device_ptrIiEEEESD_jNS1_19radix_merge_compareILb0ELb0EiNS0_19identity_decomposerEEEEE10hipError_tT0_T1_T2_jT3_P12ihipStream_tbPNSt15iterator_traitsISI_E10value_typeEPNSO_ISJ_E10value_typeEPSK_NS1_7vsmem_tEENKUlT_SI_SJ_SK_E_clISD_PiSD_S10_EESH_SX_SI_SJ_SK_EUlSX_E1_NS1_11comp_targetILNS1_3genE0ELNS1_11target_archE4294967295ELNS1_3gpuE0ELNS1_3repE0EEENS1_36merge_oddeven_config_static_selectorELNS0_4arch9wavefront6targetE1EEEvSJ_, .Lfunc_end1327-_ZN7rocprim17ROCPRIM_400000_NS6detail17trampoline_kernelINS0_14default_configENS1_38merge_sort_block_merge_config_selectorIiiEEZZNS1_27merge_sort_block_merge_implIS3_N6thrust23THRUST_200600_302600_NS6detail15normal_iteratorINS8_10device_ptrIiEEEESD_jNS1_19radix_merge_compareILb0ELb0EiNS0_19identity_decomposerEEEEE10hipError_tT0_T1_T2_jT3_P12ihipStream_tbPNSt15iterator_traitsISI_E10value_typeEPNSO_ISJ_E10value_typeEPSK_NS1_7vsmem_tEENKUlT_SI_SJ_SK_E_clISD_PiSD_S10_EESH_SX_SI_SJ_SK_EUlSX_E1_NS1_11comp_targetILNS1_3genE0ELNS1_11target_archE4294967295ELNS1_3gpuE0ELNS1_3repE0EEENS1_36merge_oddeven_config_static_selectorELNS0_4arch9wavefront6targetE1EEEvSJ_
                                        ; -- End function
	.set _ZN7rocprim17ROCPRIM_400000_NS6detail17trampoline_kernelINS0_14default_configENS1_38merge_sort_block_merge_config_selectorIiiEEZZNS1_27merge_sort_block_merge_implIS3_N6thrust23THRUST_200600_302600_NS6detail15normal_iteratorINS8_10device_ptrIiEEEESD_jNS1_19radix_merge_compareILb0ELb0EiNS0_19identity_decomposerEEEEE10hipError_tT0_T1_T2_jT3_P12ihipStream_tbPNSt15iterator_traitsISI_E10value_typeEPNSO_ISJ_E10value_typeEPSK_NS1_7vsmem_tEENKUlT_SI_SJ_SK_E_clISD_PiSD_S10_EESH_SX_SI_SJ_SK_EUlSX_E1_NS1_11comp_targetILNS1_3genE0ELNS1_11target_archE4294967295ELNS1_3gpuE0ELNS1_3repE0EEENS1_36merge_oddeven_config_static_selectorELNS0_4arch9wavefront6targetE1EEEvSJ_.num_vgpr, 10
	.set _ZN7rocprim17ROCPRIM_400000_NS6detail17trampoline_kernelINS0_14default_configENS1_38merge_sort_block_merge_config_selectorIiiEEZZNS1_27merge_sort_block_merge_implIS3_N6thrust23THRUST_200600_302600_NS6detail15normal_iteratorINS8_10device_ptrIiEEEESD_jNS1_19radix_merge_compareILb0ELb0EiNS0_19identity_decomposerEEEEE10hipError_tT0_T1_T2_jT3_P12ihipStream_tbPNSt15iterator_traitsISI_E10value_typeEPNSO_ISJ_E10value_typeEPSK_NS1_7vsmem_tEENKUlT_SI_SJ_SK_E_clISD_PiSD_S10_EESH_SX_SI_SJ_SK_EUlSX_E1_NS1_11comp_targetILNS1_3genE0ELNS1_11target_archE4294967295ELNS1_3gpuE0ELNS1_3repE0EEENS1_36merge_oddeven_config_static_selectorELNS0_4arch9wavefront6targetE1EEEvSJ_.num_agpr, 0
	.set _ZN7rocprim17ROCPRIM_400000_NS6detail17trampoline_kernelINS0_14default_configENS1_38merge_sort_block_merge_config_selectorIiiEEZZNS1_27merge_sort_block_merge_implIS3_N6thrust23THRUST_200600_302600_NS6detail15normal_iteratorINS8_10device_ptrIiEEEESD_jNS1_19radix_merge_compareILb0ELb0EiNS0_19identity_decomposerEEEEE10hipError_tT0_T1_T2_jT3_P12ihipStream_tbPNSt15iterator_traitsISI_E10value_typeEPNSO_ISJ_E10value_typeEPSK_NS1_7vsmem_tEENKUlT_SI_SJ_SK_E_clISD_PiSD_S10_EESH_SX_SI_SJ_SK_EUlSX_E1_NS1_11comp_targetILNS1_3genE0ELNS1_11target_archE4294967295ELNS1_3gpuE0ELNS1_3repE0EEENS1_36merge_oddeven_config_static_selectorELNS0_4arch9wavefront6targetE1EEEvSJ_.numbered_sgpr, 24
	.set _ZN7rocprim17ROCPRIM_400000_NS6detail17trampoline_kernelINS0_14default_configENS1_38merge_sort_block_merge_config_selectorIiiEEZZNS1_27merge_sort_block_merge_implIS3_N6thrust23THRUST_200600_302600_NS6detail15normal_iteratorINS8_10device_ptrIiEEEESD_jNS1_19radix_merge_compareILb0ELb0EiNS0_19identity_decomposerEEEEE10hipError_tT0_T1_T2_jT3_P12ihipStream_tbPNSt15iterator_traitsISI_E10value_typeEPNSO_ISJ_E10value_typeEPSK_NS1_7vsmem_tEENKUlT_SI_SJ_SK_E_clISD_PiSD_S10_EESH_SX_SI_SJ_SK_EUlSX_E1_NS1_11comp_targetILNS1_3genE0ELNS1_11target_archE4294967295ELNS1_3gpuE0ELNS1_3repE0EEENS1_36merge_oddeven_config_static_selectorELNS0_4arch9wavefront6targetE1EEEvSJ_.num_named_barrier, 0
	.set _ZN7rocprim17ROCPRIM_400000_NS6detail17trampoline_kernelINS0_14default_configENS1_38merge_sort_block_merge_config_selectorIiiEEZZNS1_27merge_sort_block_merge_implIS3_N6thrust23THRUST_200600_302600_NS6detail15normal_iteratorINS8_10device_ptrIiEEEESD_jNS1_19radix_merge_compareILb0ELb0EiNS0_19identity_decomposerEEEEE10hipError_tT0_T1_T2_jT3_P12ihipStream_tbPNSt15iterator_traitsISI_E10value_typeEPNSO_ISJ_E10value_typeEPSK_NS1_7vsmem_tEENKUlT_SI_SJ_SK_E_clISD_PiSD_S10_EESH_SX_SI_SJ_SK_EUlSX_E1_NS1_11comp_targetILNS1_3genE0ELNS1_11target_archE4294967295ELNS1_3gpuE0ELNS1_3repE0EEENS1_36merge_oddeven_config_static_selectorELNS0_4arch9wavefront6targetE1EEEvSJ_.private_seg_size, 0
	.set _ZN7rocprim17ROCPRIM_400000_NS6detail17trampoline_kernelINS0_14default_configENS1_38merge_sort_block_merge_config_selectorIiiEEZZNS1_27merge_sort_block_merge_implIS3_N6thrust23THRUST_200600_302600_NS6detail15normal_iteratorINS8_10device_ptrIiEEEESD_jNS1_19radix_merge_compareILb0ELb0EiNS0_19identity_decomposerEEEEE10hipError_tT0_T1_T2_jT3_P12ihipStream_tbPNSt15iterator_traitsISI_E10value_typeEPNSO_ISJ_E10value_typeEPSK_NS1_7vsmem_tEENKUlT_SI_SJ_SK_E_clISD_PiSD_S10_EESH_SX_SI_SJ_SK_EUlSX_E1_NS1_11comp_targetILNS1_3genE0ELNS1_11target_archE4294967295ELNS1_3gpuE0ELNS1_3repE0EEENS1_36merge_oddeven_config_static_selectorELNS0_4arch9wavefront6targetE1EEEvSJ_.uses_vcc, 1
	.set _ZN7rocprim17ROCPRIM_400000_NS6detail17trampoline_kernelINS0_14default_configENS1_38merge_sort_block_merge_config_selectorIiiEEZZNS1_27merge_sort_block_merge_implIS3_N6thrust23THRUST_200600_302600_NS6detail15normal_iteratorINS8_10device_ptrIiEEEESD_jNS1_19radix_merge_compareILb0ELb0EiNS0_19identity_decomposerEEEEE10hipError_tT0_T1_T2_jT3_P12ihipStream_tbPNSt15iterator_traitsISI_E10value_typeEPNSO_ISJ_E10value_typeEPSK_NS1_7vsmem_tEENKUlT_SI_SJ_SK_E_clISD_PiSD_S10_EESH_SX_SI_SJ_SK_EUlSX_E1_NS1_11comp_targetILNS1_3genE0ELNS1_11target_archE4294967295ELNS1_3gpuE0ELNS1_3repE0EEENS1_36merge_oddeven_config_static_selectorELNS0_4arch9wavefront6targetE1EEEvSJ_.uses_flat_scratch, 0
	.set _ZN7rocprim17ROCPRIM_400000_NS6detail17trampoline_kernelINS0_14default_configENS1_38merge_sort_block_merge_config_selectorIiiEEZZNS1_27merge_sort_block_merge_implIS3_N6thrust23THRUST_200600_302600_NS6detail15normal_iteratorINS8_10device_ptrIiEEEESD_jNS1_19radix_merge_compareILb0ELb0EiNS0_19identity_decomposerEEEEE10hipError_tT0_T1_T2_jT3_P12ihipStream_tbPNSt15iterator_traitsISI_E10value_typeEPNSO_ISJ_E10value_typeEPSK_NS1_7vsmem_tEENKUlT_SI_SJ_SK_E_clISD_PiSD_S10_EESH_SX_SI_SJ_SK_EUlSX_E1_NS1_11comp_targetILNS1_3genE0ELNS1_11target_archE4294967295ELNS1_3gpuE0ELNS1_3repE0EEENS1_36merge_oddeven_config_static_selectorELNS0_4arch9wavefront6targetE1EEEvSJ_.has_dyn_sized_stack, 0
	.set _ZN7rocprim17ROCPRIM_400000_NS6detail17trampoline_kernelINS0_14default_configENS1_38merge_sort_block_merge_config_selectorIiiEEZZNS1_27merge_sort_block_merge_implIS3_N6thrust23THRUST_200600_302600_NS6detail15normal_iteratorINS8_10device_ptrIiEEEESD_jNS1_19radix_merge_compareILb0ELb0EiNS0_19identity_decomposerEEEEE10hipError_tT0_T1_T2_jT3_P12ihipStream_tbPNSt15iterator_traitsISI_E10value_typeEPNSO_ISJ_E10value_typeEPSK_NS1_7vsmem_tEENKUlT_SI_SJ_SK_E_clISD_PiSD_S10_EESH_SX_SI_SJ_SK_EUlSX_E1_NS1_11comp_targetILNS1_3genE0ELNS1_11target_archE4294967295ELNS1_3gpuE0ELNS1_3repE0EEENS1_36merge_oddeven_config_static_selectorELNS0_4arch9wavefront6targetE1EEEvSJ_.has_recursion, 0
	.set _ZN7rocprim17ROCPRIM_400000_NS6detail17trampoline_kernelINS0_14default_configENS1_38merge_sort_block_merge_config_selectorIiiEEZZNS1_27merge_sort_block_merge_implIS3_N6thrust23THRUST_200600_302600_NS6detail15normal_iteratorINS8_10device_ptrIiEEEESD_jNS1_19radix_merge_compareILb0ELb0EiNS0_19identity_decomposerEEEEE10hipError_tT0_T1_T2_jT3_P12ihipStream_tbPNSt15iterator_traitsISI_E10value_typeEPNSO_ISJ_E10value_typeEPSK_NS1_7vsmem_tEENKUlT_SI_SJ_SK_E_clISD_PiSD_S10_EESH_SX_SI_SJ_SK_EUlSX_E1_NS1_11comp_targetILNS1_3genE0ELNS1_11target_archE4294967295ELNS1_3gpuE0ELNS1_3repE0EEENS1_36merge_oddeven_config_static_selectorELNS0_4arch9wavefront6targetE1EEEvSJ_.has_indirect_call, 0
	.section	.AMDGPU.csdata,"",@progbits
; Kernel info:
; codeLenInByte = 780
; TotalNumSgprs: 30
; NumVgprs: 10
; NumAgprs: 0
; TotalNumVgprs: 10
; ScratchSize: 0
; MemoryBound: 0
; FloatMode: 240
; IeeeMode: 1
; LDSByteSize: 0 bytes/workgroup (compile time only)
; SGPRBlocks: 3
; VGPRBlocks: 1
; NumSGPRsForWavesPerEU: 30
; NumVGPRsForWavesPerEU: 10
; AccumOffset: 12
; Occupancy: 8
; WaveLimiterHint : 0
; COMPUTE_PGM_RSRC2:SCRATCH_EN: 0
; COMPUTE_PGM_RSRC2:USER_SGPR: 2
; COMPUTE_PGM_RSRC2:TRAP_HANDLER: 0
; COMPUTE_PGM_RSRC2:TGID_X_EN: 1
; COMPUTE_PGM_RSRC2:TGID_Y_EN: 0
; COMPUTE_PGM_RSRC2:TGID_Z_EN: 0
; COMPUTE_PGM_RSRC2:TIDIG_COMP_CNT: 0
; COMPUTE_PGM_RSRC3_GFX90A:ACCUM_OFFSET: 2
; COMPUTE_PGM_RSRC3_GFX90A:TG_SPLIT: 0
	.section	.text._ZN7rocprim17ROCPRIM_400000_NS6detail17trampoline_kernelINS0_14default_configENS1_38merge_sort_block_merge_config_selectorIiiEEZZNS1_27merge_sort_block_merge_implIS3_N6thrust23THRUST_200600_302600_NS6detail15normal_iteratorINS8_10device_ptrIiEEEESD_jNS1_19radix_merge_compareILb0ELb0EiNS0_19identity_decomposerEEEEE10hipError_tT0_T1_T2_jT3_P12ihipStream_tbPNSt15iterator_traitsISI_E10value_typeEPNSO_ISJ_E10value_typeEPSK_NS1_7vsmem_tEENKUlT_SI_SJ_SK_E_clISD_PiSD_S10_EESH_SX_SI_SJ_SK_EUlSX_E1_NS1_11comp_targetILNS1_3genE10ELNS1_11target_archE1201ELNS1_3gpuE5ELNS1_3repE0EEENS1_36merge_oddeven_config_static_selectorELNS0_4arch9wavefront6targetE1EEEvSJ_,"axG",@progbits,_ZN7rocprim17ROCPRIM_400000_NS6detail17trampoline_kernelINS0_14default_configENS1_38merge_sort_block_merge_config_selectorIiiEEZZNS1_27merge_sort_block_merge_implIS3_N6thrust23THRUST_200600_302600_NS6detail15normal_iteratorINS8_10device_ptrIiEEEESD_jNS1_19radix_merge_compareILb0ELb0EiNS0_19identity_decomposerEEEEE10hipError_tT0_T1_T2_jT3_P12ihipStream_tbPNSt15iterator_traitsISI_E10value_typeEPNSO_ISJ_E10value_typeEPSK_NS1_7vsmem_tEENKUlT_SI_SJ_SK_E_clISD_PiSD_S10_EESH_SX_SI_SJ_SK_EUlSX_E1_NS1_11comp_targetILNS1_3genE10ELNS1_11target_archE1201ELNS1_3gpuE5ELNS1_3repE0EEENS1_36merge_oddeven_config_static_selectorELNS0_4arch9wavefront6targetE1EEEvSJ_,comdat
	.protected	_ZN7rocprim17ROCPRIM_400000_NS6detail17trampoline_kernelINS0_14default_configENS1_38merge_sort_block_merge_config_selectorIiiEEZZNS1_27merge_sort_block_merge_implIS3_N6thrust23THRUST_200600_302600_NS6detail15normal_iteratorINS8_10device_ptrIiEEEESD_jNS1_19radix_merge_compareILb0ELb0EiNS0_19identity_decomposerEEEEE10hipError_tT0_T1_T2_jT3_P12ihipStream_tbPNSt15iterator_traitsISI_E10value_typeEPNSO_ISJ_E10value_typeEPSK_NS1_7vsmem_tEENKUlT_SI_SJ_SK_E_clISD_PiSD_S10_EESH_SX_SI_SJ_SK_EUlSX_E1_NS1_11comp_targetILNS1_3genE10ELNS1_11target_archE1201ELNS1_3gpuE5ELNS1_3repE0EEENS1_36merge_oddeven_config_static_selectorELNS0_4arch9wavefront6targetE1EEEvSJ_ ; -- Begin function _ZN7rocprim17ROCPRIM_400000_NS6detail17trampoline_kernelINS0_14default_configENS1_38merge_sort_block_merge_config_selectorIiiEEZZNS1_27merge_sort_block_merge_implIS3_N6thrust23THRUST_200600_302600_NS6detail15normal_iteratorINS8_10device_ptrIiEEEESD_jNS1_19radix_merge_compareILb0ELb0EiNS0_19identity_decomposerEEEEE10hipError_tT0_T1_T2_jT3_P12ihipStream_tbPNSt15iterator_traitsISI_E10value_typeEPNSO_ISJ_E10value_typeEPSK_NS1_7vsmem_tEENKUlT_SI_SJ_SK_E_clISD_PiSD_S10_EESH_SX_SI_SJ_SK_EUlSX_E1_NS1_11comp_targetILNS1_3genE10ELNS1_11target_archE1201ELNS1_3gpuE5ELNS1_3repE0EEENS1_36merge_oddeven_config_static_selectorELNS0_4arch9wavefront6targetE1EEEvSJ_
	.globl	_ZN7rocprim17ROCPRIM_400000_NS6detail17trampoline_kernelINS0_14default_configENS1_38merge_sort_block_merge_config_selectorIiiEEZZNS1_27merge_sort_block_merge_implIS3_N6thrust23THRUST_200600_302600_NS6detail15normal_iteratorINS8_10device_ptrIiEEEESD_jNS1_19radix_merge_compareILb0ELb0EiNS0_19identity_decomposerEEEEE10hipError_tT0_T1_T2_jT3_P12ihipStream_tbPNSt15iterator_traitsISI_E10value_typeEPNSO_ISJ_E10value_typeEPSK_NS1_7vsmem_tEENKUlT_SI_SJ_SK_E_clISD_PiSD_S10_EESH_SX_SI_SJ_SK_EUlSX_E1_NS1_11comp_targetILNS1_3genE10ELNS1_11target_archE1201ELNS1_3gpuE5ELNS1_3repE0EEENS1_36merge_oddeven_config_static_selectorELNS0_4arch9wavefront6targetE1EEEvSJ_
	.p2align	8
	.type	_ZN7rocprim17ROCPRIM_400000_NS6detail17trampoline_kernelINS0_14default_configENS1_38merge_sort_block_merge_config_selectorIiiEEZZNS1_27merge_sort_block_merge_implIS3_N6thrust23THRUST_200600_302600_NS6detail15normal_iteratorINS8_10device_ptrIiEEEESD_jNS1_19radix_merge_compareILb0ELb0EiNS0_19identity_decomposerEEEEE10hipError_tT0_T1_T2_jT3_P12ihipStream_tbPNSt15iterator_traitsISI_E10value_typeEPNSO_ISJ_E10value_typeEPSK_NS1_7vsmem_tEENKUlT_SI_SJ_SK_E_clISD_PiSD_S10_EESH_SX_SI_SJ_SK_EUlSX_E1_NS1_11comp_targetILNS1_3genE10ELNS1_11target_archE1201ELNS1_3gpuE5ELNS1_3repE0EEENS1_36merge_oddeven_config_static_selectorELNS0_4arch9wavefront6targetE1EEEvSJ_,@function
_ZN7rocprim17ROCPRIM_400000_NS6detail17trampoline_kernelINS0_14default_configENS1_38merge_sort_block_merge_config_selectorIiiEEZZNS1_27merge_sort_block_merge_implIS3_N6thrust23THRUST_200600_302600_NS6detail15normal_iteratorINS8_10device_ptrIiEEEESD_jNS1_19radix_merge_compareILb0ELb0EiNS0_19identity_decomposerEEEEE10hipError_tT0_T1_T2_jT3_P12ihipStream_tbPNSt15iterator_traitsISI_E10value_typeEPNSO_ISJ_E10value_typeEPSK_NS1_7vsmem_tEENKUlT_SI_SJ_SK_E_clISD_PiSD_S10_EESH_SX_SI_SJ_SK_EUlSX_E1_NS1_11comp_targetILNS1_3genE10ELNS1_11target_archE1201ELNS1_3gpuE5ELNS1_3repE0EEENS1_36merge_oddeven_config_static_selectorELNS0_4arch9wavefront6targetE1EEEvSJ_: ; @_ZN7rocprim17ROCPRIM_400000_NS6detail17trampoline_kernelINS0_14default_configENS1_38merge_sort_block_merge_config_selectorIiiEEZZNS1_27merge_sort_block_merge_implIS3_N6thrust23THRUST_200600_302600_NS6detail15normal_iteratorINS8_10device_ptrIiEEEESD_jNS1_19radix_merge_compareILb0ELb0EiNS0_19identity_decomposerEEEEE10hipError_tT0_T1_T2_jT3_P12ihipStream_tbPNSt15iterator_traitsISI_E10value_typeEPNSO_ISJ_E10value_typeEPSK_NS1_7vsmem_tEENKUlT_SI_SJ_SK_E_clISD_PiSD_S10_EESH_SX_SI_SJ_SK_EUlSX_E1_NS1_11comp_targetILNS1_3genE10ELNS1_11target_archE1201ELNS1_3gpuE5ELNS1_3repE0EEENS1_36merge_oddeven_config_static_selectorELNS0_4arch9wavefront6targetE1EEEvSJ_
; %bb.0:
	.section	.rodata,"a",@progbits
	.p2align	6, 0x0
	.amdhsa_kernel _ZN7rocprim17ROCPRIM_400000_NS6detail17trampoline_kernelINS0_14default_configENS1_38merge_sort_block_merge_config_selectorIiiEEZZNS1_27merge_sort_block_merge_implIS3_N6thrust23THRUST_200600_302600_NS6detail15normal_iteratorINS8_10device_ptrIiEEEESD_jNS1_19radix_merge_compareILb0ELb0EiNS0_19identity_decomposerEEEEE10hipError_tT0_T1_T2_jT3_P12ihipStream_tbPNSt15iterator_traitsISI_E10value_typeEPNSO_ISJ_E10value_typeEPSK_NS1_7vsmem_tEENKUlT_SI_SJ_SK_E_clISD_PiSD_S10_EESH_SX_SI_SJ_SK_EUlSX_E1_NS1_11comp_targetILNS1_3genE10ELNS1_11target_archE1201ELNS1_3gpuE5ELNS1_3repE0EEENS1_36merge_oddeven_config_static_selectorELNS0_4arch9wavefront6targetE1EEEvSJ_
		.amdhsa_group_segment_fixed_size 0
		.amdhsa_private_segment_fixed_size 0
		.amdhsa_kernarg_size 48
		.amdhsa_user_sgpr_count 2
		.amdhsa_user_sgpr_dispatch_ptr 0
		.amdhsa_user_sgpr_queue_ptr 0
		.amdhsa_user_sgpr_kernarg_segment_ptr 1
		.amdhsa_user_sgpr_dispatch_id 0
		.amdhsa_user_sgpr_kernarg_preload_length 0
		.amdhsa_user_sgpr_kernarg_preload_offset 0
		.amdhsa_user_sgpr_private_segment_size 0
		.amdhsa_uses_dynamic_stack 0
		.amdhsa_enable_private_segment 0
		.amdhsa_system_sgpr_workgroup_id_x 1
		.amdhsa_system_sgpr_workgroup_id_y 0
		.amdhsa_system_sgpr_workgroup_id_z 0
		.amdhsa_system_sgpr_workgroup_info 0
		.amdhsa_system_vgpr_workitem_id 0
		.amdhsa_next_free_vgpr 1
		.amdhsa_next_free_sgpr 0
		.amdhsa_accum_offset 4
		.amdhsa_reserve_vcc 0
		.amdhsa_float_round_mode_32 0
		.amdhsa_float_round_mode_16_64 0
		.amdhsa_float_denorm_mode_32 3
		.amdhsa_float_denorm_mode_16_64 3
		.amdhsa_dx10_clamp 1
		.amdhsa_ieee_mode 1
		.amdhsa_fp16_overflow 0
		.amdhsa_tg_split 0
		.amdhsa_exception_fp_ieee_invalid_op 0
		.amdhsa_exception_fp_denorm_src 0
		.amdhsa_exception_fp_ieee_div_zero 0
		.amdhsa_exception_fp_ieee_overflow 0
		.amdhsa_exception_fp_ieee_underflow 0
		.amdhsa_exception_fp_ieee_inexact 0
		.amdhsa_exception_int_div_zero 0
	.end_amdhsa_kernel
	.section	.text._ZN7rocprim17ROCPRIM_400000_NS6detail17trampoline_kernelINS0_14default_configENS1_38merge_sort_block_merge_config_selectorIiiEEZZNS1_27merge_sort_block_merge_implIS3_N6thrust23THRUST_200600_302600_NS6detail15normal_iteratorINS8_10device_ptrIiEEEESD_jNS1_19radix_merge_compareILb0ELb0EiNS0_19identity_decomposerEEEEE10hipError_tT0_T1_T2_jT3_P12ihipStream_tbPNSt15iterator_traitsISI_E10value_typeEPNSO_ISJ_E10value_typeEPSK_NS1_7vsmem_tEENKUlT_SI_SJ_SK_E_clISD_PiSD_S10_EESH_SX_SI_SJ_SK_EUlSX_E1_NS1_11comp_targetILNS1_3genE10ELNS1_11target_archE1201ELNS1_3gpuE5ELNS1_3repE0EEENS1_36merge_oddeven_config_static_selectorELNS0_4arch9wavefront6targetE1EEEvSJ_,"axG",@progbits,_ZN7rocprim17ROCPRIM_400000_NS6detail17trampoline_kernelINS0_14default_configENS1_38merge_sort_block_merge_config_selectorIiiEEZZNS1_27merge_sort_block_merge_implIS3_N6thrust23THRUST_200600_302600_NS6detail15normal_iteratorINS8_10device_ptrIiEEEESD_jNS1_19radix_merge_compareILb0ELb0EiNS0_19identity_decomposerEEEEE10hipError_tT0_T1_T2_jT3_P12ihipStream_tbPNSt15iterator_traitsISI_E10value_typeEPNSO_ISJ_E10value_typeEPSK_NS1_7vsmem_tEENKUlT_SI_SJ_SK_E_clISD_PiSD_S10_EESH_SX_SI_SJ_SK_EUlSX_E1_NS1_11comp_targetILNS1_3genE10ELNS1_11target_archE1201ELNS1_3gpuE5ELNS1_3repE0EEENS1_36merge_oddeven_config_static_selectorELNS0_4arch9wavefront6targetE1EEEvSJ_,comdat
.Lfunc_end1328:
	.size	_ZN7rocprim17ROCPRIM_400000_NS6detail17trampoline_kernelINS0_14default_configENS1_38merge_sort_block_merge_config_selectorIiiEEZZNS1_27merge_sort_block_merge_implIS3_N6thrust23THRUST_200600_302600_NS6detail15normal_iteratorINS8_10device_ptrIiEEEESD_jNS1_19radix_merge_compareILb0ELb0EiNS0_19identity_decomposerEEEEE10hipError_tT0_T1_T2_jT3_P12ihipStream_tbPNSt15iterator_traitsISI_E10value_typeEPNSO_ISJ_E10value_typeEPSK_NS1_7vsmem_tEENKUlT_SI_SJ_SK_E_clISD_PiSD_S10_EESH_SX_SI_SJ_SK_EUlSX_E1_NS1_11comp_targetILNS1_3genE10ELNS1_11target_archE1201ELNS1_3gpuE5ELNS1_3repE0EEENS1_36merge_oddeven_config_static_selectorELNS0_4arch9wavefront6targetE1EEEvSJ_, .Lfunc_end1328-_ZN7rocprim17ROCPRIM_400000_NS6detail17trampoline_kernelINS0_14default_configENS1_38merge_sort_block_merge_config_selectorIiiEEZZNS1_27merge_sort_block_merge_implIS3_N6thrust23THRUST_200600_302600_NS6detail15normal_iteratorINS8_10device_ptrIiEEEESD_jNS1_19radix_merge_compareILb0ELb0EiNS0_19identity_decomposerEEEEE10hipError_tT0_T1_T2_jT3_P12ihipStream_tbPNSt15iterator_traitsISI_E10value_typeEPNSO_ISJ_E10value_typeEPSK_NS1_7vsmem_tEENKUlT_SI_SJ_SK_E_clISD_PiSD_S10_EESH_SX_SI_SJ_SK_EUlSX_E1_NS1_11comp_targetILNS1_3genE10ELNS1_11target_archE1201ELNS1_3gpuE5ELNS1_3repE0EEENS1_36merge_oddeven_config_static_selectorELNS0_4arch9wavefront6targetE1EEEvSJ_
                                        ; -- End function
	.set _ZN7rocprim17ROCPRIM_400000_NS6detail17trampoline_kernelINS0_14default_configENS1_38merge_sort_block_merge_config_selectorIiiEEZZNS1_27merge_sort_block_merge_implIS3_N6thrust23THRUST_200600_302600_NS6detail15normal_iteratorINS8_10device_ptrIiEEEESD_jNS1_19radix_merge_compareILb0ELb0EiNS0_19identity_decomposerEEEEE10hipError_tT0_T1_T2_jT3_P12ihipStream_tbPNSt15iterator_traitsISI_E10value_typeEPNSO_ISJ_E10value_typeEPSK_NS1_7vsmem_tEENKUlT_SI_SJ_SK_E_clISD_PiSD_S10_EESH_SX_SI_SJ_SK_EUlSX_E1_NS1_11comp_targetILNS1_3genE10ELNS1_11target_archE1201ELNS1_3gpuE5ELNS1_3repE0EEENS1_36merge_oddeven_config_static_selectorELNS0_4arch9wavefront6targetE1EEEvSJ_.num_vgpr, 0
	.set _ZN7rocprim17ROCPRIM_400000_NS6detail17trampoline_kernelINS0_14default_configENS1_38merge_sort_block_merge_config_selectorIiiEEZZNS1_27merge_sort_block_merge_implIS3_N6thrust23THRUST_200600_302600_NS6detail15normal_iteratorINS8_10device_ptrIiEEEESD_jNS1_19radix_merge_compareILb0ELb0EiNS0_19identity_decomposerEEEEE10hipError_tT0_T1_T2_jT3_P12ihipStream_tbPNSt15iterator_traitsISI_E10value_typeEPNSO_ISJ_E10value_typeEPSK_NS1_7vsmem_tEENKUlT_SI_SJ_SK_E_clISD_PiSD_S10_EESH_SX_SI_SJ_SK_EUlSX_E1_NS1_11comp_targetILNS1_3genE10ELNS1_11target_archE1201ELNS1_3gpuE5ELNS1_3repE0EEENS1_36merge_oddeven_config_static_selectorELNS0_4arch9wavefront6targetE1EEEvSJ_.num_agpr, 0
	.set _ZN7rocprim17ROCPRIM_400000_NS6detail17trampoline_kernelINS0_14default_configENS1_38merge_sort_block_merge_config_selectorIiiEEZZNS1_27merge_sort_block_merge_implIS3_N6thrust23THRUST_200600_302600_NS6detail15normal_iteratorINS8_10device_ptrIiEEEESD_jNS1_19radix_merge_compareILb0ELb0EiNS0_19identity_decomposerEEEEE10hipError_tT0_T1_T2_jT3_P12ihipStream_tbPNSt15iterator_traitsISI_E10value_typeEPNSO_ISJ_E10value_typeEPSK_NS1_7vsmem_tEENKUlT_SI_SJ_SK_E_clISD_PiSD_S10_EESH_SX_SI_SJ_SK_EUlSX_E1_NS1_11comp_targetILNS1_3genE10ELNS1_11target_archE1201ELNS1_3gpuE5ELNS1_3repE0EEENS1_36merge_oddeven_config_static_selectorELNS0_4arch9wavefront6targetE1EEEvSJ_.numbered_sgpr, 0
	.set _ZN7rocprim17ROCPRIM_400000_NS6detail17trampoline_kernelINS0_14default_configENS1_38merge_sort_block_merge_config_selectorIiiEEZZNS1_27merge_sort_block_merge_implIS3_N6thrust23THRUST_200600_302600_NS6detail15normal_iteratorINS8_10device_ptrIiEEEESD_jNS1_19radix_merge_compareILb0ELb0EiNS0_19identity_decomposerEEEEE10hipError_tT0_T1_T2_jT3_P12ihipStream_tbPNSt15iterator_traitsISI_E10value_typeEPNSO_ISJ_E10value_typeEPSK_NS1_7vsmem_tEENKUlT_SI_SJ_SK_E_clISD_PiSD_S10_EESH_SX_SI_SJ_SK_EUlSX_E1_NS1_11comp_targetILNS1_3genE10ELNS1_11target_archE1201ELNS1_3gpuE5ELNS1_3repE0EEENS1_36merge_oddeven_config_static_selectorELNS0_4arch9wavefront6targetE1EEEvSJ_.num_named_barrier, 0
	.set _ZN7rocprim17ROCPRIM_400000_NS6detail17trampoline_kernelINS0_14default_configENS1_38merge_sort_block_merge_config_selectorIiiEEZZNS1_27merge_sort_block_merge_implIS3_N6thrust23THRUST_200600_302600_NS6detail15normal_iteratorINS8_10device_ptrIiEEEESD_jNS1_19radix_merge_compareILb0ELb0EiNS0_19identity_decomposerEEEEE10hipError_tT0_T1_T2_jT3_P12ihipStream_tbPNSt15iterator_traitsISI_E10value_typeEPNSO_ISJ_E10value_typeEPSK_NS1_7vsmem_tEENKUlT_SI_SJ_SK_E_clISD_PiSD_S10_EESH_SX_SI_SJ_SK_EUlSX_E1_NS1_11comp_targetILNS1_3genE10ELNS1_11target_archE1201ELNS1_3gpuE5ELNS1_3repE0EEENS1_36merge_oddeven_config_static_selectorELNS0_4arch9wavefront6targetE1EEEvSJ_.private_seg_size, 0
	.set _ZN7rocprim17ROCPRIM_400000_NS6detail17trampoline_kernelINS0_14default_configENS1_38merge_sort_block_merge_config_selectorIiiEEZZNS1_27merge_sort_block_merge_implIS3_N6thrust23THRUST_200600_302600_NS6detail15normal_iteratorINS8_10device_ptrIiEEEESD_jNS1_19radix_merge_compareILb0ELb0EiNS0_19identity_decomposerEEEEE10hipError_tT0_T1_T2_jT3_P12ihipStream_tbPNSt15iterator_traitsISI_E10value_typeEPNSO_ISJ_E10value_typeEPSK_NS1_7vsmem_tEENKUlT_SI_SJ_SK_E_clISD_PiSD_S10_EESH_SX_SI_SJ_SK_EUlSX_E1_NS1_11comp_targetILNS1_3genE10ELNS1_11target_archE1201ELNS1_3gpuE5ELNS1_3repE0EEENS1_36merge_oddeven_config_static_selectorELNS0_4arch9wavefront6targetE1EEEvSJ_.uses_vcc, 0
	.set _ZN7rocprim17ROCPRIM_400000_NS6detail17trampoline_kernelINS0_14default_configENS1_38merge_sort_block_merge_config_selectorIiiEEZZNS1_27merge_sort_block_merge_implIS3_N6thrust23THRUST_200600_302600_NS6detail15normal_iteratorINS8_10device_ptrIiEEEESD_jNS1_19radix_merge_compareILb0ELb0EiNS0_19identity_decomposerEEEEE10hipError_tT0_T1_T2_jT3_P12ihipStream_tbPNSt15iterator_traitsISI_E10value_typeEPNSO_ISJ_E10value_typeEPSK_NS1_7vsmem_tEENKUlT_SI_SJ_SK_E_clISD_PiSD_S10_EESH_SX_SI_SJ_SK_EUlSX_E1_NS1_11comp_targetILNS1_3genE10ELNS1_11target_archE1201ELNS1_3gpuE5ELNS1_3repE0EEENS1_36merge_oddeven_config_static_selectorELNS0_4arch9wavefront6targetE1EEEvSJ_.uses_flat_scratch, 0
	.set _ZN7rocprim17ROCPRIM_400000_NS6detail17trampoline_kernelINS0_14default_configENS1_38merge_sort_block_merge_config_selectorIiiEEZZNS1_27merge_sort_block_merge_implIS3_N6thrust23THRUST_200600_302600_NS6detail15normal_iteratorINS8_10device_ptrIiEEEESD_jNS1_19radix_merge_compareILb0ELb0EiNS0_19identity_decomposerEEEEE10hipError_tT0_T1_T2_jT3_P12ihipStream_tbPNSt15iterator_traitsISI_E10value_typeEPNSO_ISJ_E10value_typeEPSK_NS1_7vsmem_tEENKUlT_SI_SJ_SK_E_clISD_PiSD_S10_EESH_SX_SI_SJ_SK_EUlSX_E1_NS1_11comp_targetILNS1_3genE10ELNS1_11target_archE1201ELNS1_3gpuE5ELNS1_3repE0EEENS1_36merge_oddeven_config_static_selectorELNS0_4arch9wavefront6targetE1EEEvSJ_.has_dyn_sized_stack, 0
	.set _ZN7rocprim17ROCPRIM_400000_NS6detail17trampoline_kernelINS0_14default_configENS1_38merge_sort_block_merge_config_selectorIiiEEZZNS1_27merge_sort_block_merge_implIS3_N6thrust23THRUST_200600_302600_NS6detail15normal_iteratorINS8_10device_ptrIiEEEESD_jNS1_19radix_merge_compareILb0ELb0EiNS0_19identity_decomposerEEEEE10hipError_tT0_T1_T2_jT3_P12ihipStream_tbPNSt15iterator_traitsISI_E10value_typeEPNSO_ISJ_E10value_typeEPSK_NS1_7vsmem_tEENKUlT_SI_SJ_SK_E_clISD_PiSD_S10_EESH_SX_SI_SJ_SK_EUlSX_E1_NS1_11comp_targetILNS1_3genE10ELNS1_11target_archE1201ELNS1_3gpuE5ELNS1_3repE0EEENS1_36merge_oddeven_config_static_selectorELNS0_4arch9wavefront6targetE1EEEvSJ_.has_recursion, 0
	.set _ZN7rocprim17ROCPRIM_400000_NS6detail17trampoline_kernelINS0_14default_configENS1_38merge_sort_block_merge_config_selectorIiiEEZZNS1_27merge_sort_block_merge_implIS3_N6thrust23THRUST_200600_302600_NS6detail15normal_iteratorINS8_10device_ptrIiEEEESD_jNS1_19radix_merge_compareILb0ELb0EiNS0_19identity_decomposerEEEEE10hipError_tT0_T1_T2_jT3_P12ihipStream_tbPNSt15iterator_traitsISI_E10value_typeEPNSO_ISJ_E10value_typeEPSK_NS1_7vsmem_tEENKUlT_SI_SJ_SK_E_clISD_PiSD_S10_EESH_SX_SI_SJ_SK_EUlSX_E1_NS1_11comp_targetILNS1_3genE10ELNS1_11target_archE1201ELNS1_3gpuE5ELNS1_3repE0EEENS1_36merge_oddeven_config_static_selectorELNS0_4arch9wavefront6targetE1EEEvSJ_.has_indirect_call, 0
	.section	.AMDGPU.csdata,"",@progbits
; Kernel info:
; codeLenInByte = 0
; TotalNumSgprs: 6
; NumVgprs: 0
; NumAgprs: 0
; TotalNumVgprs: 0
; ScratchSize: 0
; MemoryBound: 0
; FloatMode: 240
; IeeeMode: 1
; LDSByteSize: 0 bytes/workgroup (compile time only)
; SGPRBlocks: 0
; VGPRBlocks: 0
; NumSGPRsForWavesPerEU: 6
; NumVGPRsForWavesPerEU: 1
; AccumOffset: 4
; Occupancy: 8
; WaveLimiterHint : 0
; COMPUTE_PGM_RSRC2:SCRATCH_EN: 0
; COMPUTE_PGM_RSRC2:USER_SGPR: 2
; COMPUTE_PGM_RSRC2:TRAP_HANDLER: 0
; COMPUTE_PGM_RSRC2:TGID_X_EN: 1
; COMPUTE_PGM_RSRC2:TGID_Y_EN: 0
; COMPUTE_PGM_RSRC2:TGID_Z_EN: 0
; COMPUTE_PGM_RSRC2:TIDIG_COMP_CNT: 0
; COMPUTE_PGM_RSRC3_GFX90A:ACCUM_OFFSET: 0
; COMPUTE_PGM_RSRC3_GFX90A:TG_SPLIT: 0
	.section	.text._ZN7rocprim17ROCPRIM_400000_NS6detail17trampoline_kernelINS0_14default_configENS1_38merge_sort_block_merge_config_selectorIiiEEZZNS1_27merge_sort_block_merge_implIS3_N6thrust23THRUST_200600_302600_NS6detail15normal_iteratorINS8_10device_ptrIiEEEESD_jNS1_19radix_merge_compareILb0ELb0EiNS0_19identity_decomposerEEEEE10hipError_tT0_T1_T2_jT3_P12ihipStream_tbPNSt15iterator_traitsISI_E10value_typeEPNSO_ISJ_E10value_typeEPSK_NS1_7vsmem_tEENKUlT_SI_SJ_SK_E_clISD_PiSD_S10_EESH_SX_SI_SJ_SK_EUlSX_E1_NS1_11comp_targetILNS1_3genE5ELNS1_11target_archE942ELNS1_3gpuE9ELNS1_3repE0EEENS1_36merge_oddeven_config_static_selectorELNS0_4arch9wavefront6targetE1EEEvSJ_,"axG",@progbits,_ZN7rocprim17ROCPRIM_400000_NS6detail17trampoline_kernelINS0_14default_configENS1_38merge_sort_block_merge_config_selectorIiiEEZZNS1_27merge_sort_block_merge_implIS3_N6thrust23THRUST_200600_302600_NS6detail15normal_iteratorINS8_10device_ptrIiEEEESD_jNS1_19radix_merge_compareILb0ELb0EiNS0_19identity_decomposerEEEEE10hipError_tT0_T1_T2_jT3_P12ihipStream_tbPNSt15iterator_traitsISI_E10value_typeEPNSO_ISJ_E10value_typeEPSK_NS1_7vsmem_tEENKUlT_SI_SJ_SK_E_clISD_PiSD_S10_EESH_SX_SI_SJ_SK_EUlSX_E1_NS1_11comp_targetILNS1_3genE5ELNS1_11target_archE942ELNS1_3gpuE9ELNS1_3repE0EEENS1_36merge_oddeven_config_static_selectorELNS0_4arch9wavefront6targetE1EEEvSJ_,comdat
	.protected	_ZN7rocprim17ROCPRIM_400000_NS6detail17trampoline_kernelINS0_14default_configENS1_38merge_sort_block_merge_config_selectorIiiEEZZNS1_27merge_sort_block_merge_implIS3_N6thrust23THRUST_200600_302600_NS6detail15normal_iteratorINS8_10device_ptrIiEEEESD_jNS1_19radix_merge_compareILb0ELb0EiNS0_19identity_decomposerEEEEE10hipError_tT0_T1_T2_jT3_P12ihipStream_tbPNSt15iterator_traitsISI_E10value_typeEPNSO_ISJ_E10value_typeEPSK_NS1_7vsmem_tEENKUlT_SI_SJ_SK_E_clISD_PiSD_S10_EESH_SX_SI_SJ_SK_EUlSX_E1_NS1_11comp_targetILNS1_3genE5ELNS1_11target_archE942ELNS1_3gpuE9ELNS1_3repE0EEENS1_36merge_oddeven_config_static_selectorELNS0_4arch9wavefront6targetE1EEEvSJ_ ; -- Begin function _ZN7rocprim17ROCPRIM_400000_NS6detail17trampoline_kernelINS0_14default_configENS1_38merge_sort_block_merge_config_selectorIiiEEZZNS1_27merge_sort_block_merge_implIS3_N6thrust23THRUST_200600_302600_NS6detail15normal_iteratorINS8_10device_ptrIiEEEESD_jNS1_19radix_merge_compareILb0ELb0EiNS0_19identity_decomposerEEEEE10hipError_tT0_T1_T2_jT3_P12ihipStream_tbPNSt15iterator_traitsISI_E10value_typeEPNSO_ISJ_E10value_typeEPSK_NS1_7vsmem_tEENKUlT_SI_SJ_SK_E_clISD_PiSD_S10_EESH_SX_SI_SJ_SK_EUlSX_E1_NS1_11comp_targetILNS1_3genE5ELNS1_11target_archE942ELNS1_3gpuE9ELNS1_3repE0EEENS1_36merge_oddeven_config_static_selectorELNS0_4arch9wavefront6targetE1EEEvSJ_
	.globl	_ZN7rocprim17ROCPRIM_400000_NS6detail17trampoline_kernelINS0_14default_configENS1_38merge_sort_block_merge_config_selectorIiiEEZZNS1_27merge_sort_block_merge_implIS3_N6thrust23THRUST_200600_302600_NS6detail15normal_iteratorINS8_10device_ptrIiEEEESD_jNS1_19radix_merge_compareILb0ELb0EiNS0_19identity_decomposerEEEEE10hipError_tT0_T1_T2_jT3_P12ihipStream_tbPNSt15iterator_traitsISI_E10value_typeEPNSO_ISJ_E10value_typeEPSK_NS1_7vsmem_tEENKUlT_SI_SJ_SK_E_clISD_PiSD_S10_EESH_SX_SI_SJ_SK_EUlSX_E1_NS1_11comp_targetILNS1_3genE5ELNS1_11target_archE942ELNS1_3gpuE9ELNS1_3repE0EEENS1_36merge_oddeven_config_static_selectorELNS0_4arch9wavefront6targetE1EEEvSJ_
	.p2align	8
	.type	_ZN7rocprim17ROCPRIM_400000_NS6detail17trampoline_kernelINS0_14default_configENS1_38merge_sort_block_merge_config_selectorIiiEEZZNS1_27merge_sort_block_merge_implIS3_N6thrust23THRUST_200600_302600_NS6detail15normal_iteratorINS8_10device_ptrIiEEEESD_jNS1_19radix_merge_compareILb0ELb0EiNS0_19identity_decomposerEEEEE10hipError_tT0_T1_T2_jT3_P12ihipStream_tbPNSt15iterator_traitsISI_E10value_typeEPNSO_ISJ_E10value_typeEPSK_NS1_7vsmem_tEENKUlT_SI_SJ_SK_E_clISD_PiSD_S10_EESH_SX_SI_SJ_SK_EUlSX_E1_NS1_11comp_targetILNS1_3genE5ELNS1_11target_archE942ELNS1_3gpuE9ELNS1_3repE0EEENS1_36merge_oddeven_config_static_selectorELNS0_4arch9wavefront6targetE1EEEvSJ_,@function
_ZN7rocprim17ROCPRIM_400000_NS6detail17trampoline_kernelINS0_14default_configENS1_38merge_sort_block_merge_config_selectorIiiEEZZNS1_27merge_sort_block_merge_implIS3_N6thrust23THRUST_200600_302600_NS6detail15normal_iteratorINS8_10device_ptrIiEEEESD_jNS1_19radix_merge_compareILb0ELb0EiNS0_19identity_decomposerEEEEE10hipError_tT0_T1_T2_jT3_P12ihipStream_tbPNSt15iterator_traitsISI_E10value_typeEPNSO_ISJ_E10value_typeEPSK_NS1_7vsmem_tEENKUlT_SI_SJ_SK_E_clISD_PiSD_S10_EESH_SX_SI_SJ_SK_EUlSX_E1_NS1_11comp_targetILNS1_3genE5ELNS1_11target_archE942ELNS1_3gpuE9ELNS1_3repE0EEENS1_36merge_oddeven_config_static_selectorELNS0_4arch9wavefront6targetE1EEEvSJ_: ; @_ZN7rocprim17ROCPRIM_400000_NS6detail17trampoline_kernelINS0_14default_configENS1_38merge_sort_block_merge_config_selectorIiiEEZZNS1_27merge_sort_block_merge_implIS3_N6thrust23THRUST_200600_302600_NS6detail15normal_iteratorINS8_10device_ptrIiEEEESD_jNS1_19radix_merge_compareILb0ELb0EiNS0_19identity_decomposerEEEEE10hipError_tT0_T1_T2_jT3_P12ihipStream_tbPNSt15iterator_traitsISI_E10value_typeEPNSO_ISJ_E10value_typeEPSK_NS1_7vsmem_tEENKUlT_SI_SJ_SK_E_clISD_PiSD_S10_EESH_SX_SI_SJ_SK_EUlSX_E1_NS1_11comp_targetILNS1_3genE5ELNS1_11target_archE942ELNS1_3gpuE9ELNS1_3repE0EEENS1_36merge_oddeven_config_static_selectorELNS0_4arch9wavefront6targetE1EEEvSJ_
; %bb.0:
	.section	.rodata,"a",@progbits
	.p2align	6, 0x0
	.amdhsa_kernel _ZN7rocprim17ROCPRIM_400000_NS6detail17trampoline_kernelINS0_14default_configENS1_38merge_sort_block_merge_config_selectorIiiEEZZNS1_27merge_sort_block_merge_implIS3_N6thrust23THRUST_200600_302600_NS6detail15normal_iteratorINS8_10device_ptrIiEEEESD_jNS1_19radix_merge_compareILb0ELb0EiNS0_19identity_decomposerEEEEE10hipError_tT0_T1_T2_jT3_P12ihipStream_tbPNSt15iterator_traitsISI_E10value_typeEPNSO_ISJ_E10value_typeEPSK_NS1_7vsmem_tEENKUlT_SI_SJ_SK_E_clISD_PiSD_S10_EESH_SX_SI_SJ_SK_EUlSX_E1_NS1_11comp_targetILNS1_3genE5ELNS1_11target_archE942ELNS1_3gpuE9ELNS1_3repE0EEENS1_36merge_oddeven_config_static_selectorELNS0_4arch9wavefront6targetE1EEEvSJ_
		.amdhsa_group_segment_fixed_size 0
		.amdhsa_private_segment_fixed_size 0
		.amdhsa_kernarg_size 48
		.amdhsa_user_sgpr_count 2
		.amdhsa_user_sgpr_dispatch_ptr 0
		.amdhsa_user_sgpr_queue_ptr 0
		.amdhsa_user_sgpr_kernarg_segment_ptr 1
		.amdhsa_user_sgpr_dispatch_id 0
		.amdhsa_user_sgpr_kernarg_preload_length 0
		.amdhsa_user_sgpr_kernarg_preload_offset 0
		.amdhsa_user_sgpr_private_segment_size 0
		.amdhsa_uses_dynamic_stack 0
		.amdhsa_enable_private_segment 0
		.amdhsa_system_sgpr_workgroup_id_x 1
		.amdhsa_system_sgpr_workgroup_id_y 0
		.amdhsa_system_sgpr_workgroup_id_z 0
		.amdhsa_system_sgpr_workgroup_info 0
		.amdhsa_system_vgpr_workitem_id 0
		.amdhsa_next_free_vgpr 1
		.amdhsa_next_free_sgpr 0
		.amdhsa_accum_offset 4
		.amdhsa_reserve_vcc 0
		.amdhsa_float_round_mode_32 0
		.amdhsa_float_round_mode_16_64 0
		.amdhsa_float_denorm_mode_32 3
		.amdhsa_float_denorm_mode_16_64 3
		.amdhsa_dx10_clamp 1
		.amdhsa_ieee_mode 1
		.amdhsa_fp16_overflow 0
		.amdhsa_tg_split 0
		.amdhsa_exception_fp_ieee_invalid_op 0
		.amdhsa_exception_fp_denorm_src 0
		.amdhsa_exception_fp_ieee_div_zero 0
		.amdhsa_exception_fp_ieee_overflow 0
		.amdhsa_exception_fp_ieee_underflow 0
		.amdhsa_exception_fp_ieee_inexact 0
		.amdhsa_exception_int_div_zero 0
	.end_amdhsa_kernel
	.section	.text._ZN7rocprim17ROCPRIM_400000_NS6detail17trampoline_kernelINS0_14default_configENS1_38merge_sort_block_merge_config_selectorIiiEEZZNS1_27merge_sort_block_merge_implIS3_N6thrust23THRUST_200600_302600_NS6detail15normal_iteratorINS8_10device_ptrIiEEEESD_jNS1_19radix_merge_compareILb0ELb0EiNS0_19identity_decomposerEEEEE10hipError_tT0_T1_T2_jT3_P12ihipStream_tbPNSt15iterator_traitsISI_E10value_typeEPNSO_ISJ_E10value_typeEPSK_NS1_7vsmem_tEENKUlT_SI_SJ_SK_E_clISD_PiSD_S10_EESH_SX_SI_SJ_SK_EUlSX_E1_NS1_11comp_targetILNS1_3genE5ELNS1_11target_archE942ELNS1_3gpuE9ELNS1_3repE0EEENS1_36merge_oddeven_config_static_selectorELNS0_4arch9wavefront6targetE1EEEvSJ_,"axG",@progbits,_ZN7rocprim17ROCPRIM_400000_NS6detail17trampoline_kernelINS0_14default_configENS1_38merge_sort_block_merge_config_selectorIiiEEZZNS1_27merge_sort_block_merge_implIS3_N6thrust23THRUST_200600_302600_NS6detail15normal_iteratorINS8_10device_ptrIiEEEESD_jNS1_19radix_merge_compareILb0ELb0EiNS0_19identity_decomposerEEEEE10hipError_tT0_T1_T2_jT3_P12ihipStream_tbPNSt15iterator_traitsISI_E10value_typeEPNSO_ISJ_E10value_typeEPSK_NS1_7vsmem_tEENKUlT_SI_SJ_SK_E_clISD_PiSD_S10_EESH_SX_SI_SJ_SK_EUlSX_E1_NS1_11comp_targetILNS1_3genE5ELNS1_11target_archE942ELNS1_3gpuE9ELNS1_3repE0EEENS1_36merge_oddeven_config_static_selectorELNS0_4arch9wavefront6targetE1EEEvSJ_,comdat
.Lfunc_end1329:
	.size	_ZN7rocprim17ROCPRIM_400000_NS6detail17trampoline_kernelINS0_14default_configENS1_38merge_sort_block_merge_config_selectorIiiEEZZNS1_27merge_sort_block_merge_implIS3_N6thrust23THRUST_200600_302600_NS6detail15normal_iteratorINS8_10device_ptrIiEEEESD_jNS1_19radix_merge_compareILb0ELb0EiNS0_19identity_decomposerEEEEE10hipError_tT0_T1_T2_jT3_P12ihipStream_tbPNSt15iterator_traitsISI_E10value_typeEPNSO_ISJ_E10value_typeEPSK_NS1_7vsmem_tEENKUlT_SI_SJ_SK_E_clISD_PiSD_S10_EESH_SX_SI_SJ_SK_EUlSX_E1_NS1_11comp_targetILNS1_3genE5ELNS1_11target_archE942ELNS1_3gpuE9ELNS1_3repE0EEENS1_36merge_oddeven_config_static_selectorELNS0_4arch9wavefront6targetE1EEEvSJ_, .Lfunc_end1329-_ZN7rocprim17ROCPRIM_400000_NS6detail17trampoline_kernelINS0_14default_configENS1_38merge_sort_block_merge_config_selectorIiiEEZZNS1_27merge_sort_block_merge_implIS3_N6thrust23THRUST_200600_302600_NS6detail15normal_iteratorINS8_10device_ptrIiEEEESD_jNS1_19radix_merge_compareILb0ELb0EiNS0_19identity_decomposerEEEEE10hipError_tT0_T1_T2_jT3_P12ihipStream_tbPNSt15iterator_traitsISI_E10value_typeEPNSO_ISJ_E10value_typeEPSK_NS1_7vsmem_tEENKUlT_SI_SJ_SK_E_clISD_PiSD_S10_EESH_SX_SI_SJ_SK_EUlSX_E1_NS1_11comp_targetILNS1_3genE5ELNS1_11target_archE942ELNS1_3gpuE9ELNS1_3repE0EEENS1_36merge_oddeven_config_static_selectorELNS0_4arch9wavefront6targetE1EEEvSJ_
                                        ; -- End function
	.set _ZN7rocprim17ROCPRIM_400000_NS6detail17trampoline_kernelINS0_14default_configENS1_38merge_sort_block_merge_config_selectorIiiEEZZNS1_27merge_sort_block_merge_implIS3_N6thrust23THRUST_200600_302600_NS6detail15normal_iteratorINS8_10device_ptrIiEEEESD_jNS1_19radix_merge_compareILb0ELb0EiNS0_19identity_decomposerEEEEE10hipError_tT0_T1_T2_jT3_P12ihipStream_tbPNSt15iterator_traitsISI_E10value_typeEPNSO_ISJ_E10value_typeEPSK_NS1_7vsmem_tEENKUlT_SI_SJ_SK_E_clISD_PiSD_S10_EESH_SX_SI_SJ_SK_EUlSX_E1_NS1_11comp_targetILNS1_3genE5ELNS1_11target_archE942ELNS1_3gpuE9ELNS1_3repE0EEENS1_36merge_oddeven_config_static_selectorELNS0_4arch9wavefront6targetE1EEEvSJ_.num_vgpr, 0
	.set _ZN7rocprim17ROCPRIM_400000_NS6detail17trampoline_kernelINS0_14default_configENS1_38merge_sort_block_merge_config_selectorIiiEEZZNS1_27merge_sort_block_merge_implIS3_N6thrust23THRUST_200600_302600_NS6detail15normal_iteratorINS8_10device_ptrIiEEEESD_jNS1_19radix_merge_compareILb0ELb0EiNS0_19identity_decomposerEEEEE10hipError_tT0_T1_T2_jT3_P12ihipStream_tbPNSt15iterator_traitsISI_E10value_typeEPNSO_ISJ_E10value_typeEPSK_NS1_7vsmem_tEENKUlT_SI_SJ_SK_E_clISD_PiSD_S10_EESH_SX_SI_SJ_SK_EUlSX_E1_NS1_11comp_targetILNS1_3genE5ELNS1_11target_archE942ELNS1_3gpuE9ELNS1_3repE0EEENS1_36merge_oddeven_config_static_selectorELNS0_4arch9wavefront6targetE1EEEvSJ_.num_agpr, 0
	.set _ZN7rocprim17ROCPRIM_400000_NS6detail17trampoline_kernelINS0_14default_configENS1_38merge_sort_block_merge_config_selectorIiiEEZZNS1_27merge_sort_block_merge_implIS3_N6thrust23THRUST_200600_302600_NS6detail15normal_iteratorINS8_10device_ptrIiEEEESD_jNS1_19radix_merge_compareILb0ELb0EiNS0_19identity_decomposerEEEEE10hipError_tT0_T1_T2_jT3_P12ihipStream_tbPNSt15iterator_traitsISI_E10value_typeEPNSO_ISJ_E10value_typeEPSK_NS1_7vsmem_tEENKUlT_SI_SJ_SK_E_clISD_PiSD_S10_EESH_SX_SI_SJ_SK_EUlSX_E1_NS1_11comp_targetILNS1_3genE5ELNS1_11target_archE942ELNS1_3gpuE9ELNS1_3repE0EEENS1_36merge_oddeven_config_static_selectorELNS0_4arch9wavefront6targetE1EEEvSJ_.numbered_sgpr, 0
	.set _ZN7rocprim17ROCPRIM_400000_NS6detail17trampoline_kernelINS0_14default_configENS1_38merge_sort_block_merge_config_selectorIiiEEZZNS1_27merge_sort_block_merge_implIS3_N6thrust23THRUST_200600_302600_NS6detail15normal_iteratorINS8_10device_ptrIiEEEESD_jNS1_19radix_merge_compareILb0ELb0EiNS0_19identity_decomposerEEEEE10hipError_tT0_T1_T2_jT3_P12ihipStream_tbPNSt15iterator_traitsISI_E10value_typeEPNSO_ISJ_E10value_typeEPSK_NS1_7vsmem_tEENKUlT_SI_SJ_SK_E_clISD_PiSD_S10_EESH_SX_SI_SJ_SK_EUlSX_E1_NS1_11comp_targetILNS1_3genE5ELNS1_11target_archE942ELNS1_3gpuE9ELNS1_3repE0EEENS1_36merge_oddeven_config_static_selectorELNS0_4arch9wavefront6targetE1EEEvSJ_.num_named_barrier, 0
	.set _ZN7rocprim17ROCPRIM_400000_NS6detail17trampoline_kernelINS0_14default_configENS1_38merge_sort_block_merge_config_selectorIiiEEZZNS1_27merge_sort_block_merge_implIS3_N6thrust23THRUST_200600_302600_NS6detail15normal_iteratorINS8_10device_ptrIiEEEESD_jNS1_19radix_merge_compareILb0ELb0EiNS0_19identity_decomposerEEEEE10hipError_tT0_T1_T2_jT3_P12ihipStream_tbPNSt15iterator_traitsISI_E10value_typeEPNSO_ISJ_E10value_typeEPSK_NS1_7vsmem_tEENKUlT_SI_SJ_SK_E_clISD_PiSD_S10_EESH_SX_SI_SJ_SK_EUlSX_E1_NS1_11comp_targetILNS1_3genE5ELNS1_11target_archE942ELNS1_3gpuE9ELNS1_3repE0EEENS1_36merge_oddeven_config_static_selectorELNS0_4arch9wavefront6targetE1EEEvSJ_.private_seg_size, 0
	.set _ZN7rocprim17ROCPRIM_400000_NS6detail17trampoline_kernelINS0_14default_configENS1_38merge_sort_block_merge_config_selectorIiiEEZZNS1_27merge_sort_block_merge_implIS3_N6thrust23THRUST_200600_302600_NS6detail15normal_iteratorINS8_10device_ptrIiEEEESD_jNS1_19radix_merge_compareILb0ELb0EiNS0_19identity_decomposerEEEEE10hipError_tT0_T1_T2_jT3_P12ihipStream_tbPNSt15iterator_traitsISI_E10value_typeEPNSO_ISJ_E10value_typeEPSK_NS1_7vsmem_tEENKUlT_SI_SJ_SK_E_clISD_PiSD_S10_EESH_SX_SI_SJ_SK_EUlSX_E1_NS1_11comp_targetILNS1_3genE5ELNS1_11target_archE942ELNS1_3gpuE9ELNS1_3repE0EEENS1_36merge_oddeven_config_static_selectorELNS0_4arch9wavefront6targetE1EEEvSJ_.uses_vcc, 0
	.set _ZN7rocprim17ROCPRIM_400000_NS6detail17trampoline_kernelINS0_14default_configENS1_38merge_sort_block_merge_config_selectorIiiEEZZNS1_27merge_sort_block_merge_implIS3_N6thrust23THRUST_200600_302600_NS6detail15normal_iteratorINS8_10device_ptrIiEEEESD_jNS1_19radix_merge_compareILb0ELb0EiNS0_19identity_decomposerEEEEE10hipError_tT0_T1_T2_jT3_P12ihipStream_tbPNSt15iterator_traitsISI_E10value_typeEPNSO_ISJ_E10value_typeEPSK_NS1_7vsmem_tEENKUlT_SI_SJ_SK_E_clISD_PiSD_S10_EESH_SX_SI_SJ_SK_EUlSX_E1_NS1_11comp_targetILNS1_3genE5ELNS1_11target_archE942ELNS1_3gpuE9ELNS1_3repE0EEENS1_36merge_oddeven_config_static_selectorELNS0_4arch9wavefront6targetE1EEEvSJ_.uses_flat_scratch, 0
	.set _ZN7rocprim17ROCPRIM_400000_NS6detail17trampoline_kernelINS0_14default_configENS1_38merge_sort_block_merge_config_selectorIiiEEZZNS1_27merge_sort_block_merge_implIS3_N6thrust23THRUST_200600_302600_NS6detail15normal_iteratorINS8_10device_ptrIiEEEESD_jNS1_19radix_merge_compareILb0ELb0EiNS0_19identity_decomposerEEEEE10hipError_tT0_T1_T2_jT3_P12ihipStream_tbPNSt15iterator_traitsISI_E10value_typeEPNSO_ISJ_E10value_typeEPSK_NS1_7vsmem_tEENKUlT_SI_SJ_SK_E_clISD_PiSD_S10_EESH_SX_SI_SJ_SK_EUlSX_E1_NS1_11comp_targetILNS1_3genE5ELNS1_11target_archE942ELNS1_3gpuE9ELNS1_3repE0EEENS1_36merge_oddeven_config_static_selectorELNS0_4arch9wavefront6targetE1EEEvSJ_.has_dyn_sized_stack, 0
	.set _ZN7rocprim17ROCPRIM_400000_NS6detail17trampoline_kernelINS0_14default_configENS1_38merge_sort_block_merge_config_selectorIiiEEZZNS1_27merge_sort_block_merge_implIS3_N6thrust23THRUST_200600_302600_NS6detail15normal_iteratorINS8_10device_ptrIiEEEESD_jNS1_19radix_merge_compareILb0ELb0EiNS0_19identity_decomposerEEEEE10hipError_tT0_T1_T2_jT3_P12ihipStream_tbPNSt15iterator_traitsISI_E10value_typeEPNSO_ISJ_E10value_typeEPSK_NS1_7vsmem_tEENKUlT_SI_SJ_SK_E_clISD_PiSD_S10_EESH_SX_SI_SJ_SK_EUlSX_E1_NS1_11comp_targetILNS1_3genE5ELNS1_11target_archE942ELNS1_3gpuE9ELNS1_3repE0EEENS1_36merge_oddeven_config_static_selectorELNS0_4arch9wavefront6targetE1EEEvSJ_.has_recursion, 0
	.set _ZN7rocprim17ROCPRIM_400000_NS6detail17trampoline_kernelINS0_14default_configENS1_38merge_sort_block_merge_config_selectorIiiEEZZNS1_27merge_sort_block_merge_implIS3_N6thrust23THRUST_200600_302600_NS6detail15normal_iteratorINS8_10device_ptrIiEEEESD_jNS1_19radix_merge_compareILb0ELb0EiNS0_19identity_decomposerEEEEE10hipError_tT0_T1_T2_jT3_P12ihipStream_tbPNSt15iterator_traitsISI_E10value_typeEPNSO_ISJ_E10value_typeEPSK_NS1_7vsmem_tEENKUlT_SI_SJ_SK_E_clISD_PiSD_S10_EESH_SX_SI_SJ_SK_EUlSX_E1_NS1_11comp_targetILNS1_3genE5ELNS1_11target_archE942ELNS1_3gpuE9ELNS1_3repE0EEENS1_36merge_oddeven_config_static_selectorELNS0_4arch9wavefront6targetE1EEEvSJ_.has_indirect_call, 0
	.section	.AMDGPU.csdata,"",@progbits
; Kernel info:
; codeLenInByte = 0
; TotalNumSgprs: 6
; NumVgprs: 0
; NumAgprs: 0
; TotalNumVgprs: 0
; ScratchSize: 0
; MemoryBound: 0
; FloatMode: 240
; IeeeMode: 1
; LDSByteSize: 0 bytes/workgroup (compile time only)
; SGPRBlocks: 0
; VGPRBlocks: 0
; NumSGPRsForWavesPerEU: 6
; NumVGPRsForWavesPerEU: 1
; AccumOffset: 4
; Occupancy: 8
; WaveLimiterHint : 0
; COMPUTE_PGM_RSRC2:SCRATCH_EN: 0
; COMPUTE_PGM_RSRC2:USER_SGPR: 2
; COMPUTE_PGM_RSRC2:TRAP_HANDLER: 0
; COMPUTE_PGM_RSRC2:TGID_X_EN: 1
; COMPUTE_PGM_RSRC2:TGID_Y_EN: 0
; COMPUTE_PGM_RSRC2:TGID_Z_EN: 0
; COMPUTE_PGM_RSRC2:TIDIG_COMP_CNT: 0
; COMPUTE_PGM_RSRC3_GFX90A:ACCUM_OFFSET: 0
; COMPUTE_PGM_RSRC3_GFX90A:TG_SPLIT: 0
	.section	.text._ZN7rocprim17ROCPRIM_400000_NS6detail17trampoline_kernelINS0_14default_configENS1_38merge_sort_block_merge_config_selectorIiiEEZZNS1_27merge_sort_block_merge_implIS3_N6thrust23THRUST_200600_302600_NS6detail15normal_iteratorINS8_10device_ptrIiEEEESD_jNS1_19radix_merge_compareILb0ELb0EiNS0_19identity_decomposerEEEEE10hipError_tT0_T1_T2_jT3_P12ihipStream_tbPNSt15iterator_traitsISI_E10value_typeEPNSO_ISJ_E10value_typeEPSK_NS1_7vsmem_tEENKUlT_SI_SJ_SK_E_clISD_PiSD_S10_EESH_SX_SI_SJ_SK_EUlSX_E1_NS1_11comp_targetILNS1_3genE4ELNS1_11target_archE910ELNS1_3gpuE8ELNS1_3repE0EEENS1_36merge_oddeven_config_static_selectorELNS0_4arch9wavefront6targetE1EEEvSJ_,"axG",@progbits,_ZN7rocprim17ROCPRIM_400000_NS6detail17trampoline_kernelINS0_14default_configENS1_38merge_sort_block_merge_config_selectorIiiEEZZNS1_27merge_sort_block_merge_implIS3_N6thrust23THRUST_200600_302600_NS6detail15normal_iteratorINS8_10device_ptrIiEEEESD_jNS1_19radix_merge_compareILb0ELb0EiNS0_19identity_decomposerEEEEE10hipError_tT0_T1_T2_jT3_P12ihipStream_tbPNSt15iterator_traitsISI_E10value_typeEPNSO_ISJ_E10value_typeEPSK_NS1_7vsmem_tEENKUlT_SI_SJ_SK_E_clISD_PiSD_S10_EESH_SX_SI_SJ_SK_EUlSX_E1_NS1_11comp_targetILNS1_3genE4ELNS1_11target_archE910ELNS1_3gpuE8ELNS1_3repE0EEENS1_36merge_oddeven_config_static_selectorELNS0_4arch9wavefront6targetE1EEEvSJ_,comdat
	.protected	_ZN7rocprim17ROCPRIM_400000_NS6detail17trampoline_kernelINS0_14default_configENS1_38merge_sort_block_merge_config_selectorIiiEEZZNS1_27merge_sort_block_merge_implIS3_N6thrust23THRUST_200600_302600_NS6detail15normal_iteratorINS8_10device_ptrIiEEEESD_jNS1_19radix_merge_compareILb0ELb0EiNS0_19identity_decomposerEEEEE10hipError_tT0_T1_T2_jT3_P12ihipStream_tbPNSt15iterator_traitsISI_E10value_typeEPNSO_ISJ_E10value_typeEPSK_NS1_7vsmem_tEENKUlT_SI_SJ_SK_E_clISD_PiSD_S10_EESH_SX_SI_SJ_SK_EUlSX_E1_NS1_11comp_targetILNS1_3genE4ELNS1_11target_archE910ELNS1_3gpuE8ELNS1_3repE0EEENS1_36merge_oddeven_config_static_selectorELNS0_4arch9wavefront6targetE1EEEvSJ_ ; -- Begin function _ZN7rocprim17ROCPRIM_400000_NS6detail17trampoline_kernelINS0_14default_configENS1_38merge_sort_block_merge_config_selectorIiiEEZZNS1_27merge_sort_block_merge_implIS3_N6thrust23THRUST_200600_302600_NS6detail15normal_iteratorINS8_10device_ptrIiEEEESD_jNS1_19radix_merge_compareILb0ELb0EiNS0_19identity_decomposerEEEEE10hipError_tT0_T1_T2_jT3_P12ihipStream_tbPNSt15iterator_traitsISI_E10value_typeEPNSO_ISJ_E10value_typeEPSK_NS1_7vsmem_tEENKUlT_SI_SJ_SK_E_clISD_PiSD_S10_EESH_SX_SI_SJ_SK_EUlSX_E1_NS1_11comp_targetILNS1_3genE4ELNS1_11target_archE910ELNS1_3gpuE8ELNS1_3repE0EEENS1_36merge_oddeven_config_static_selectorELNS0_4arch9wavefront6targetE1EEEvSJ_
	.globl	_ZN7rocprim17ROCPRIM_400000_NS6detail17trampoline_kernelINS0_14default_configENS1_38merge_sort_block_merge_config_selectorIiiEEZZNS1_27merge_sort_block_merge_implIS3_N6thrust23THRUST_200600_302600_NS6detail15normal_iteratorINS8_10device_ptrIiEEEESD_jNS1_19radix_merge_compareILb0ELb0EiNS0_19identity_decomposerEEEEE10hipError_tT0_T1_T2_jT3_P12ihipStream_tbPNSt15iterator_traitsISI_E10value_typeEPNSO_ISJ_E10value_typeEPSK_NS1_7vsmem_tEENKUlT_SI_SJ_SK_E_clISD_PiSD_S10_EESH_SX_SI_SJ_SK_EUlSX_E1_NS1_11comp_targetILNS1_3genE4ELNS1_11target_archE910ELNS1_3gpuE8ELNS1_3repE0EEENS1_36merge_oddeven_config_static_selectorELNS0_4arch9wavefront6targetE1EEEvSJ_
	.p2align	8
	.type	_ZN7rocprim17ROCPRIM_400000_NS6detail17trampoline_kernelINS0_14default_configENS1_38merge_sort_block_merge_config_selectorIiiEEZZNS1_27merge_sort_block_merge_implIS3_N6thrust23THRUST_200600_302600_NS6detail15normal_iteratorINS8_10device_ptrIiEEEESD_jNS1_19radix_merge_compareILb0ELb0EiNS0_19identity_decomposerEEEEE10hipError_tT0_T1_T2_jT3_P12ihipStream_tbPNSt15iterator_traitsISI_E10value_typeEPNSO_ISJ_E10value_typeEPSK_NS1_7vsmem_tEENKUlT_SI_SJ_SK_E_clISD_PiSD_S10_EESH_SX_SI_SJ_SK_EUlSX_E1_NS1_11comp_targetILNS1_3genE4ELNS1_11target_archE910ELNS1_3gpuE8ELNS1_3repE0EEENS1_36merge_oddeven_config_static_selectorELNS0_4arch9wavefront6targetE1EEEvSJ_,@function
_ZN7rocprim17ROCPRIM_400000_NS6detail17trampoline_kernelINS0_14default_configENS1_38merge_sort_block_merge_config_selectorIiiEEZZNS1_27merge_sort_block_merge_implIS3_N6thrust23THRUST_200600_302600_NS6detail15normal_iteratorINS8_10device_ptrIiEEEESD_jNS1_19radix_merge_compareILb0ELb0EiNS0_19identity_decomposerEEEEE10hipError_tT0_T1_T2_jT3_P12ihipStream_tbPNSt15iterator_traitsISI_E10value_typeEPNSO_ISJ_E10value_typeEPSK_NS1_7vsmem_tEENKUlT_SI_SJ_SK_E_clISD_PiSD_S10_EESH_SX_SI_SJ_SK_EUlSX_E1_NS1_11comp_targetILNS1_3genE4ELNS1_11target_archE910ELNS1_3gpuE8ELNS1_3repE0EEENS1_36merge_oddeven_config_static_selectorELNS0_4arch9wavefront6targetE1EEEvSJ_: ; @_ZN7rocprim17ROCPRIM_400000_NS6detail17trampoline_kernelINS0_14default_configENS1_38merge_sort_block_merge_config_selectorIiiEEZZNS1_27merge_sort_block_merge_implIS3_N6thrust23THRUST_200600_302600_NS6detail15normal_iteratorINS8_10device_ptrIiEEEESD_jNS1_19radix_merge_compareILb0ELb0EiNS0_19identity_decomposerEEEEE10hipError_tT0_T1_T2_jT3_P12ihipStream_tbPNSt15iterator_traitsISI_E10value_typeEPNSO_ISJ_E10value_typeEPSK_NS1_7vsmem_tEENKUlT_SI_SJ_SK_E_clISD_PiSD_S10_EESH_SX_SI_SJ_SK_EUlSX_E1_NS1_11comp_targetILNS1_3genE4ELNS1_11target_archE910ELNS1_3gpuE8ELNS1_3repE0EEENS1_36merge_oddeven_config_static_selectorELNS0_4arch9wavefront6targetE1EEEvSJ_
; %bb.0:
	.section	.rodata,"a",@progbits
	.p2align	6, 0x0
	.amdhsa_kernel _ZN7rocprim17ROCPRIM_400000_NS6detail17trampoline_kernelINS0_14default_configENS1_38merge_sort_block_merge_config_selectorIiiEEZZNS1_27merge_sort_block_merge_implIS3_N6thrust23THRUST_200600_302600_NS6detail15normal_iteratorINS8_10device_ptrIiEEEESD_jNS1_19radix_merge_compareILb0ELb0EiNS0_19identity_decomposerEEEEE10hipError_tT0_T1_T2_jT3_P12ihipStream_tbPNSt15iterator_traitsISI_E10value_typeEPNSO_ISJ_E10value_typeEPSK_NS1_7vsmem_tEENKUlT_SI_SJ_SK_E_clISD_PiSD_S10_EESH_SX_SI_SJ_SK_EUlSX_E1_NS1_11comp_targetILNS1_3genE4ELNS1_11target_archE910ELNS1_3gpuE8ELNS1_3repE0EEENS1_36merge_oddeven_config_static_selectorELNS0_4arch9wavefront6targetE1EEEvSJ_
		.amdhsa_group_segment_fixed_size 0
		.amdhsa_private_segment_fixed_size 0
		.amdhsa_kernarg_size 48
		.amdhsa_user_sgpr_count 2
		.amdhsa_user_sgpr_dispatch_ptr 0
		.amdhsa_user_sgpr_queue_ptr 0
		.amdhsa_user_sgpr_kernarg_segment_ptr 1
		.amdhsa_user_sgpr_dispatch_id 0
		.amdhsa_user_sgpr_kernarg_preload_length 0
		.amdhsa_user_sgpr_kernarg_preload_offset 0
		.amdhsa_user_sgpr_private_segment_size 0
		.amdhsa_uses_dynamic_stack 0
		.amdhsa_enable_private_segment 0
		.amdhsa_system_sgpr_workgroup_id_x 1
		.amdhsa_system_sgpr_workgroup_id_y 0
		.amdhsa_system_sgpr_workgroup_id_z 0
		.amdhsa_system_sgpr_workgroup_info 0
		.amdhsa_system_vgpr_workitem_id 0
		.amdhsa_next_free_vgpr 1
		.amdhsa_next_free_sgpr 0
		.amdhsa_accum_offset 4
		.amdhsa_reserve_vcc 0
		.amdhsa_float_round_mode_32 0
		.amdhsa_float_round_mode_16_64 0
		.amdhsa_float_denorm_mode_32 3
		.amdhsa_float_denorm_mode_16_64 3
		.amdhsa_dx10_clamp 1
		.amdhsa_ieee_mode 1
		.amdhsa_fp16_overflow 0
		.amdhsa_tg_split 0
		.amdhsa_exception_fp_ieee_invalid_op 0
		.amdhsa_exception_fp_denorm_src 0
		.amdhsa_exception_fp_ieee_div_zero 0
		.amdhsa_exception_fp_ieee_overflow 0
		.amdhsa_exception_fp_ieee_underflow 0
		.amdhsa_exception_fp_ieee_inexact 0
		.amdhsa_exception_int_div_zero 0
	.end_amdhsa_kernel
	.section	.text._ZN7rocprim17ROCPRIM_400000_NS6detail17trampoline_kernelINS0_14default_configENS1_38merge_sort_block_merge_config_selectorIiiEEZZNS1_27merge_sort_block_merge_implIS3_N6thrust23THRUST_200600_302600_NS6detail15normal_iteratorINS8_10device_ptrIiEEEESD_jNS1_19radix_merge_compareILb0ELb0EiNS0_19identity_decomposerEEEEE10hipError_tT0_T1_T2_jT3_P12ihipStream_tbPNSt15iterator_traitsISI_E10value_typeEPNSO_ISJ_E10value_typeEPSK_NS1_7vsmem_tEENKUlT_SI_SJ_SK_E_clISD_PiSD_S10_EESH_SX_SI_SJ_SK_EUlSX_E1_NS1_11comp_targetILNS1_3genE4ELNS1_11target_archE910ELNS1_3gpuE8ELNS1_3repE0EEENS1_36merge_oddeven_config_static_selectorELNS0_4arch9wavefront6targetE1EEEvSJ_,"axG",@progbits,_ZN7rocprim17ROCPRIM_400000_NS6detail17trampoline_kernelINS0_14default_configENS1_38merge_sort_block_merge_config_selectorIiiEEZZNS1_27merge_sort_block_merge_implIS3_N6thrust23THRUST_200600_302600_NS6detail15normal_iteratorINS8_10device_ptrIiEEEESD_jNS1_19radix_merge_compareILb0ELb0EiNS0_19identity_decomposerEEEEE10hipError_tT0_T1_T2_jT3_P12ihipStream_tbPNSt15iterator_traitsISI_E10value_typeEPNSO_ISJ_E10value_typeEPSK_NS1_7vsmem_tEENKUlT_SI_SJ_SK_E_clISD_PiSD_S10_EESH_SX_SI_SJ_SK_EUlSX_E1_NS1_11comp_targetILNS1_3genE4ELNS1_11target_archE910ELNS1_3gpuE8ELNS1_3repE0EEENS1_36merge_oddeven_config_static_selectorELNS0_4arch9wavefront6targetE1EEEvSJ_,comdat
.Lfunc_end1330:
	.size	_ZN7rocprim17ROCPRIM_400000_NS6detail17trampoline_kernelINS0_14default_configENS1_38merge_sort_block_merge_config_selectorIiiEEZZNS1_27merge_sort_block_merge_implIS3_N6thrust23THRUST_200600_302600_NS6detail15normal_iteratorINS8_10device_ptrIiEEEESD_jNS1_19radix_merge_compareILb0ELb0EiNS0_19identity_decomposerEEEEE10hipError_tT0_T1_T2_jT3_P12ihipStream_tbPNSt15iterator_traitsISI_E10value_typeEPNSO_ISJ_E10value_typeEPSK_NS1_7vsmem_tEENKUlT_SI_SJ_SK_E_clISD_PiSD_S10_EESH_SX_SI_SJ_SK_EUlSX_E1_NS1_11comp_targetILNS1_3genE4ELNS1_11target_archE910ELNS1_3gpuE8ELNS1_3repE0EEENS1_36merge_oddeven_config_static_selectorELNS0_4arch9wavefront6targetE1EEEvSJ_, .Lfunc_end1330-_ZN7rocprim17ROCPRIM_400000_NS6detail17trampoline_kernelINS0_14default_configENS1_38merge_sort_block_merge_config_selectorIiiEEZZNS1_27merge_sort_block_merge_implIS3_N6thrust23THRUST_200600_302600_NS6detail15normal_iteratorINS8_10device_ptrIiEEEESD_jNS1_19radix_merge_compareILb0ELb0EiNS0_19identity_decomposerEEEEE10hipError_tT0_T1_T2_jT3_P12ihipStream_tbPNSt15iterator_traitsISI_E10value_typeEPNSO_ISJ_E10value_typeEPSK_NS1_7vsmem_tEENKUlT_SI_SJ_SK_E_clISD_PiSD_S10_EESH_SX_SI_SJ_SK_EUlSX_E1_NS1_11comp_targetILNS1_3genE4ELNS1_11target_archE910ELNS1_3gpuE8ELNS1_3repE0EEENS1_36merge_oddeven_config_static_selectorELNS0_4arch9wavefront6targetE1EEEvSJ_
                                        ; -- End function
	.set _ZN7rocprim17ROCPRIM_400000_NS6detail17trampoline_kernelINS0_14default_configENS1_38merge_sort_block_merge_config_selectorIiiEEZZNS1_27merge_sort_block_merge_implIS3_N6thrust23THRUST_200600_302600_NS6detail15normal_iteratorINS8_10device_ptrIiEEEESD_jNS1_19radix_merge_compareILb0ELb0EiNS0_19identity_decomposerEEEEE10hipError_tT0_T1_T2_jT3_P12ihipStream_tbPNSt15iterator_traitsISI_E10value_typeEPNSO_ISJ_E10value_typeEPSK_NS1_7vsmem_tEENKUlT_SI_SJ_SK_E_clISD_PiSD_S10_EESH_SX_SI_SJ_SK_EUlSX_E1_NS1_11comp_targetILNS1_3genE4ELNS1_11target_archE910ELNS1_3gpuE8ELNS1_3repE0EEENS1_36merge_oddeven_config_static_selectorELNS0_4arch9wavefront6targetE1EEEvSJ_.num_vgpr, 0
	.set _ZN7rocprim17ROCPRIM_400000_NS6detail17trampoline_kernelINS0_14default_configENS1_38merge_sort_block_merge_config_selectorIiiEEZZNS1_27merge_sort_block_merge_implIS3_N6thrust23THRUST_200600_302600_NS6detail15normal_iteratorINS8_10device_ptrIiEEEESD_jNS1_19radix_merge_compareILb0ELb0EiNS0_19identity_decomposerEEEEE10hipError_tT0_T1_T2_jT3_P12ihipStream_tbPNSt15iterator_traitsISI_E10value_typeEPNSO_ISJ_E10value_typeEPSK_NS1_7vsmem_tEENKUlT_SI_SJ_SK_E_clISD_PiSD_S10_EESH_SX_SI_SJ_SK_EUlSX_E1_NS1_11comp_targetILNS1_3genE4ELNS1_11target_archE910ELNS1_3gpuE8ELNS1_3repE0EEENS1_36merge_oddeven_config_static_selectorELNS0_4arch9wavefront6targetE1EEEvSJ_.num_agpr, 0
	.set _ZN7rocprim17ROCPRIM_400000_NS6detail17trampoline_kernelINS0_14default_configENS1_38merge_sort_block_merge_config_selectorIiiEEZZNS1_27merge_sort_block_merge_implIS3_N6thrust23THRUST_200600_302600_NS6detail15normal_iteratorINS8_10device_ptrIiEEEESD_jNS1_19radix_merge_compareILb0ELb0EiNS0_19identity_decomposerEEEEE10hipError_tT0_T1_T2_jT3_P12ihipStream_tbPNSt15iterator_traitsISI_E10value_typeEPNSO_ISJ_E10value_typeEPSK_NS1_7vsmem_tEENKUlT_SI_SJ_SK_E_clISD_PiSD_S10_EESH_SX_SI_SJ_SK_EUlSX_E1_NS1_11comp_targetILNS1_3genE4ELNS1_11target_archE910ELNS1_3gpuE8ELNS1_3repE0EEENS1_36merge_oddeven_config_static_selectorELNS0_4arch9wavefront6targetE1EEEvSJ_.numbered_sgpr, 0
	.set _ZN7rocprim17ROCPRIM_400000_NS6detail17trampoline_kernelINS0_14default_configENS1_38merge_sort_block_merge_config_selectorIiiEEZZNS1_27merge_sort_block_merge_implIS3_N6thrust23THRUST_200600_302600_NS6detail15normal_iteratorINS8_10device_ptrIiEEEESD_jNS1_19radix_merge_compareILb0ELb0EiNS0_19identity_decomposerEEEEE10hipError_tT0_T1_T2_jT3_P12ihipStream_tbPNSt15iterator_traitsISI_E10value_typeEPNSO_ISJ_E10value_typeEPSK_NS1_7vsmem_tEENKUlT_SI_SJ_SK_E_clISD_PiSD_S10_EESH_SX_SI_SJ_SK_EUlSX_E1_NS1_11comp_targetILNS1_3genE4ELNS1_11target_archE910ELNS1_3gpuE8ELNS1_3repE0EEENS1_36merge_oddeven_config_static_selectorELNS0_4arch9wavefront6targetE1EEEvSJ_.num_named_barrier, 0
	.set _ZN7rocprim17ROCPRIM_400000_NS6detail17trampoline_kernelINS0_14default_configENS1_38merge_sort_block_merge_config_selectorIiiEEZZNS1_27merge_sort_block_merge_implIS3_N6thrust23THRUST_200600_302600_NS6detail15normal_iteratorINS8_10device_ptrIiEEEESD_jNS1_19radix_merge_compareILb0ELb0EiNS0_19identity_decomposerEEEEE10hipError_tT0_T1_T2_jT3_P12ihipStream_tbPNSt15iterator_traitsISI_E10value_typeEPNSO_ISJ_E10value_typeEPSK_NS1_7vsmem_tEENKUlT_SI_SJ_SK_E_clISD_PiSD_S10_EESH_SX_SI_SJ_SK_EUlSX_E1_NS1_11comp_targetILNS1_3genE4ELNS1_11target_archE910ELNS1_3gpuE8ELNS1_3repE0EEENS1_36merge_oddeven_config_static_selectorELNS0_4arch9wavefront6targetE1EEEvSJ_.private_seg_size, 0
	.set _ZN7rocprim17ROCPRIM_400000_NS6detail17trampoline_kernelINS0_14default_configENS1_38merge_sort_block_merge_config_selectorIiiEEZZNS1_27merge_sort_block_merge_implIS3_N6thrust23THRUST_200600_302600_NS6detail15normal_iteratorINS8_10device_ptrIiEEEESD_jNS1_19radix_merge_compareILb0ELb0EiNS0_19identity_decomposerEEEEE10hipError_tT0_T1_T2_jT3_P12ihipStream_tbPNSt15iterator_traitsISI_E10value_typeEPNSO_ISJ_E10value_typeEPSK_NS1_7vsmem_tEENKUlT_SI_SJ_SK_E_clISD_PiSD_S10_EESH_SX_SI_SJ_SK_EUlSX_E1_NS1_11comp_targetILNS1_3genE4ELNS1_11target_archE910ELNS1_3gpuE8ELNS1_3repE0EEENS1_36merge_oddeven_config_static_selectorELNS0_4arch9wavefront6targetE1EEEvSJ_.uses_vcc, 0
	.set _ZN7rocprim17ROCPRIM_400000_NS6detail17trampoline_kernelINS0_14default_configENS1_38merge_sort_block_merge_config_selectorIiiEEZZNS1_27merge_sort_block_merge_implIS3_N6thrust23THRUST_200600_302600_NS6detail15normal_iteratorINS8_10device_ptrIiEEEESD_jNS1_19radix_merge_compareILb0ELb0EiNS0_19identity_decomposerEEEEE10hipError_tT0_T1_T2_jT3_P12ihipStream_tbPNSt15iterator_traitsISI_E10value_typeEPNSO_ISJ_E10value_typeEPSK_NS1_7vsmem_tEENKUlT_SI_SJ_SK_E_clISD_PiSD_S10_EESH_SX_SI_SJ_SK_EUlSX_E1_NS1_11comp_targetILNS1_3genE4ELNS1_11target_archE910ELNS1_3gpuE8ELNS1_3repE0EEENS1_36merge_oddeven_config_static_selectorELNS0_4arch9wavefront6targetE1EEEvSJ_.uses_flat_scratch, 0
	.set _ZN7rocprim17ROCPRIM_400000_NS6detail17trampoline_kernelINS0_14default_configENS1_38merge_sort_block_merge_config_selectorIiiEEZZNS1_27merge_sort_block_merge_implIS3_N6thrust23THRUST_200600_302600_NS6detail15normal_iteratorINS8_10device_ptrIiEEEESD_jNS1_19radix_merge_compareILb0ELb0EiNS0_19identity_decomposerEEEEE10hipError_tT0_T1_T2_jT3_P12ihipStream_tbPNSt15iterator_traitsISI_E10value_typeEPNSO_ISJ_E10value_typeEPSK_NS1_7vsmem_tEENKUlT_SI_SJ_SK_E_clISD_PiSD_S10_EESH_SX_SI_SJ_SK_EUlSX_E1_NS1_11comp_targetILNS1_3genE4ELNS1_11target_archE910ELNS1_3gpuE8ELNS1_3repE0EEENS1_36merge_oddeven_config_static_selectorELNS0_4arch9wavefront6targetE1EEEvSJ_.has_dyn_sized_stack, 0
	.set _ZN7rocprim17ROCPRIM_400000_NS6detail17trampoline_kernelINS0_14default_configENS1_38merge_sort_block_merge_config_selectorIiiEEZZNS1_27merge_sort_block_merge_implIS3_N6thrust23THRUST_200600_302600_NS6detail15normal_iteratorINS8_10device_ptrIiEEEESD_jNS1_19radix_merge_compareILb0ELb0EiNS0_19identity_decomposerEEEEE10hipError_tT0_T1_T2_jT3_P12ihipStream_tbPNSt15iterator_traitsISI_E10value_typeEPNSO_ISJ_E10value_typeEPSK_NS1_7vsmem_tEENKUlT_SI_SJ_SK_E_clISD_PiSD_S10_EESH_SX_SI_SJ_SK_EUlSX_E1_NS1_11comp_targetILNS1_3genE4ELNS1_11target_archE910ELNS1_3gpuE8ELNS1_3repE0EEENS1_36merge_oddeven_config_static_selectorELNS0_4arch9wavefront6targetE1EEEvSJ_.has_recursion, 0
	.set _ZN7rocprim17ROCPRIM_400000_NS6detail17trampoline_kernelINS0_14default_configENS1_38merge_sort_block_merge_config_selectorIiiEEZZNS1_27merge_sort_block_merge_implIS3_N6thrust23THRUST_200600_302600_NS6detail15normal_iteratorINS8_10device_ptrIiEEEESD_jNS1_19radix_merge_compareILb0ELb0EiNS0_19identity_decomposerEEEEE10hipError_tT0_T1_T2_jT3_P12ihipStream_tbPNSt15iterator_traitsISI_E10value_typeEPNSO_ISJ_E10value_typeEPSK_NS1_7vsmem_tEENKUlT_SI_SJ_SK_E_clISD_PiSD_S10_EESH_SX_SI_SJ_SK_EUlSX_E1_NS1_11comp_targetILNS1_3genE4ELNS1_11target_archE910ELNS1_3gpuE8ELNS1_3repE0EEENS1_36merge_oddeven_config_static_selectorELNS0_4arch9wavefront6targetE1EEEvSJ_.has_indirect_call, 0
	.section	.AMDGPU.csdata,"",@progbits
; Kernel info:
; codeLenInByte = 0
; TotalNumSgprs: 6
; NumVgprs: 0
; NumAgprs: 0
; TotalNumVgprs: 0
; ScratchSize: 0
; MemoryBound: 0
; FloatMode: 240
; IeeeMode: 1
; LDSByteSize: 0 bytes/workgroup (compile time only)
; SGPRBlocks: 0
; VGPRBlocks: 0
; NumSGPRsForWavesPerEU: 6
; NumVGPRsForWavesPerEU: 1
; AccumOffset: 4
; Occupancy: 8
; WaveLimiterHint : 0
; COMPUTE_PGM_RSRC2:SCRATCH_EN: 0
; COMPUTE_PGM_RSRC2:USER_SGPR: 2
; COMPUTE_PGM_RSRC2:TRAP_HANDLER: 0
; COMPUTE_PGM_RSRC2:TGID_X_EN: 1
; COMPUTE_PGM_RSRC2:TGID_Y_EN: 0
; COMPUTE_PGM_RSRC2:TGID_Z_EN: 0
; COMPUTE_PGM_RSRC2:TIDIG_COMP_CNT: 0
; COMPUTE_PGM_RSRC3_GFX90A:ACCUM_OFFSET: 0
; COMPUTE_PGM_RSRC3_GFX90A:TG_SPLIT: 0
	.section	.text._ZN7rocprim17ROCPRIM_400000_NS6detail17trampoline_kernelINS0_14default_configENS1_38merge_sort_block_merge_config_selectorIiiEEZZNS1_27merge_sort_block_merge_implIS3_N6thrust23THRUST_200600_302600_NS6detail15normal_iteratorINS8_10device_ptrIiEEEESD_jNS1_19radix_merge_compareILb0ELb0EiNS0_19identity_decomposerEEEEE10hipError_tT0_T1_T2_jT3_P12ihipStream_tbPNSt15iterator_traitsISI_E10value_typeEPNSO_ISJ_E10value_typeEPSK_NS1_7vsmem_tEENKUlT_SI_SJ_SK_E_clISD_PiSD_S10_EESH_SX_SI_SJ_SK_EUlSX_E1_NS1_11comp_targetILNS1_3genE3ELNS1_11target_archE908ELNS1_3gpuE7ELNS1_3repE0EEENS1_36merge_oddeven_config_static_selectorELNS0_4arch9wavefront6targetE1EEEvSJ_,"axG",@progbits,_ZN7rocprim17ROCPRIM_400000_NS6detail17trampoline_kernelINS0_14default_configENS1_38merge_sort_block_merge_config_selectorIiiEEZZNS1_27merge_sort_block_merge_implIS3_N6thrust23THRUST_200600_302600_NS6detail15normal_iteratorINS8_10device_ptrIiEEEESD_jNS1_19radix_merge_compareILb0ELb0EiNS0_19identity_decomposerEEEEE10hipError_tT0_T1_T2_jT3_P12ihipStream_tbPNSt15iterator_traitsISI_E10value_typeEPNSO_ISJ_E10value_typeEPSK_NS1_7vsmem_tEENKUlT_SI_SJ_SK_E_clISD_PiSD_S10_EESH_SX_SI_SJ_SK_EUlSX_E1_NS1_11comp_targetILNS1_3genE3ELNS1_11target_archE908ELNS1_3gpuE7ELNS1_3repE0EEENS1_36merge_oddeven_config_static_selectorELNS0_4arch9wavefront6targetE1EEEvSJ_,comdat
	.protected	_ZN7rocprim17ROCPRIM_400000_NS6detail17trampoline_kernelINS0_14default_configENS1_38merge_sort_block_merge_config_selectorIiiEEZZNS1_27merge_sort_block_merge_implIS3_N6thrust23THRUST_200600_302600_NS6detail15normal_iteratorINS8_10device_ptrIiEEEESD_jNS1_19radix_merge_compareILb0ELb0EiNS0_19identity_decomposerEEEEE10hipError_tT0_T1_T2_jT3_P12ihipStream_tbPNSt15iterator_traitsISI_E10value_typeEPNSO_ISJ_E10value_typeEPSK_NS1_7vsmem_tEENKUlT_SI_SJ_SK_E_clISD_PiSD_S10_EESH_SX_SI_SJ_SK_EUlSX_E1_NS1_11comp_targetILNS1_3genE3ELNS1_11target_archE908ELNS1_3gpuE7ELNS1_3repE0EEENS1_36merge_oddeven_config_static_selectorELNS0_4arch9wavefront6targetE1EEEvSJ_ ; -- Begin function _ZN7rocprim17ROCPRIM_400000_NS6detail17trampoline_kernelINS0_14default_configENS1_38merge_sort_block_merge_config_selectorIiiEEZZNS1_27merge_sort_block_merge_implIS3_N6thrust23THRUST_200600_302600_NS6detail15normal_iteratorINS8_10device_ptrIiEEEESD_jNS1_19radix_merge_compareILb0ELb0EiNS0_19identity_decomposerEEEEE10hipError_tT0_T1_T2_jT3_P12ihipStream_tbPNSt15iterator_traitsISI_E10value_typeEPNSO_ISJ_E10value_typeEPSK_NS1_7vsmem_tEENKUlT_SI_SJ_SK_E_clISD_PiSD_S10_EESH_SX_SI_SJ_SK_EUlSX_E1_NS1_11comp_targetILNS1_3genE3ELNS1_11target_archE908ELNS1_3gpuE7ELNS1_3repE0EEENS1_36merge_oddeven_config_static_selectorELNS0_4arch9wavefront6targetE1EEEvSJ_
	.globl	_ZN7rocprim17ROCPRIM_400000_NS6detail17trampoline_kernelINS0_14default_configENS1_38merge_sort_block_merge_config_selectorIiiEEZZNS1_27merge_sort_block_merge_implIS3_N6thrust23THRUST_200600_302600_NS6detail15normal_iteratorINS8_10device_ptrIiEEEESD_jNS1_19radix_merge_compareILb0ELb0EiNS0_19identity_decomposerEEEEE10hipError_tT0_T1_T2_jT3_P12ihipStream_tbPNSt15iterator_traitsISI_E10value_typeEPNSO_ISJ_E10value_typeEPSK_NS1_7vsmem_tEENKUlT_SI_SJ_SK_E_clISD_PiSD_S10_EESH_SX_SI_SJ_SK_EUlSX_E1_NS1_11comp_targetILNS1_3genE3ELNS1_11target_archE908ELNS1_3gpuE7ELNS1_3repE0EEENS1_36merge_oddeven_config_static_selectorELNS0_4arch9wavefront6targetE1EEEvSJ_
	.p2align	8
	.type	_ZN7rocprim17ROCPRIM_400000_NS6detail17trampoline_kernelINS0_14default_configENS1_38merge_sort_block_merge_config_selectorIiiEEZZNS1_27merge_sort_block_merge_implIS3_N6thrust23THRUST_200600_302600_NS6detail15normal_iteratorINS8_10device_ptrIiEEEESD_jNS1_19radix_merge_compareILb0ELb0EiNS0_19identity_decomposerEEEEE10hipError_tT0_T1_T2_jT3_P12ihipStream_tbPNSt15iterator_traitsISI_E10value_typeEPNSO_ISJ_E10value_typeEPSK_NS1_7vsmem_tEENKUlT_SI_SJ_SK_E_clISD_PiSD_S10_EESH_SX_SI_SJ_SK_EUlSX_E1_NS1_11comp_targetILNS1_3genE3ELNS1_11target_archE908ELNS1_3gpuE7ELNS1_3repE0EEENS1_36merge_oddeven_config_static_selectorELNS0_4arch9wavefront6targetE1EEEvSJ_,@function
_ZN7rocprim17ROCPRIM_400000_NS6detail17trampoline_kernelINS0_14default_configENS1_38merge_sort_block_merge_config_selectorIiiEEZZNS1_27merge_sort_block_merge_implIS3_N6thrust23THRUST_200600_302600_NS6detail15normal_iteratorINS8_10device_ptrIiEEEESD_jNS1_19radix_merge_compareILb0ELb0EiNS0_19identity_decomposerEEEEE10hipError_tT0_T1_T2_jT3_P12ihipStream_tbPNSt15iterator_traitsISI_E10value_typeEPNSO_ISJ_E10value_typeEPSK_NS1_7vsmem_tEENKUlT_SI_SJ_SK_E_clISD_PiSD_S10_EESH_SX_SI_SJ_SK_EUlSX_E1_NS1_11comp_targetILNS1_3genE3ELNS1_11target_archE908ELNS1_3gpuE7ELNS1_3repE0EEENS1_36merge_oddeven_config_static_selectorELNS0_4arch9wavefront6targetE1EEEvSJ_: ; @_ZN7rocprim17ROCPRIM_400000_NS6detail17trampoline_kernelINS0_14default_configENS1_38merge_sort_block_merge_config_selectorIiiEEZZNS1_27merge_sort_block_merge_implIS3_N6thrust23THRUST_200600_302600_NS6detail15normal_iteratorINS8_10device_ptrIiEEEESD_jNS1_19radix_merge_compareILb0ELb0EiNS0_19identity_decomposerEEEEE10hipError_tT0_T1_T2_jT3_P12ihipStream_tbPNSt15iterator_traitsISI_E10value_typeEPNSO_ISJ_E10value_typeEPSK_NS1_7vsmem_tEENKUlT_SI_SJ_SK_E_clISD_PiSD_S10_EESH_SX_SI_SJ_SK_EUlSX_E1_NS1_11comp_targetILNS1_3genE3ELNS1_11target_archE908ELNS1_3gpuE7ELNS1_3repE0EEENS1_36merge_oddeven_config_static_selectorELNS0_4arch9wavefront6targetE1EEEvSJ_
; %bb.0:
	.section	.rodata,"a",@progbits
	.p2align	6, 0x0
	.amdhsa_kernel _ZN7rocprim17ROCPRIM_400000_NS6detail17trampoline_kernelINS0_14default_configENS1_38merge_sort_block_merge_config_selectorIiiEEZZNS1_27merge_sort_block_merge_implIS3_N6thrust23THRUST_200600_302600_NS6detail15normal_iteratorINS8_10device_ptrIiEEEESD_jNS1_19radix_merge_compareILb0ELb0EiNS0_19identity_decomposerEEEEE10hipError_tT0_T1_T2_jT3_P12ihipStream_tbPNSt15iterator_traitsISI_E10value_typeEPNSO_ISJ_E10value_typeEPSK_NS1_7vsmem_tEENKUlT_SI_SJ_SK_E_clISD_PiSD_S10_EESH_SX_SI_SJ_SK_EUlSX_E1_NS1_11comp_targetILNS1_3genE3ELNS1_11target_archE908ELNS1_3gpuE7ELNS1_3repE0EEENS1_36merge_oddeven_config_static_selectorELNS0_4arch9wavefront6targetE1EEEvSJ_
		.amdhsa_group_segment_fixed_size 0
		.amdhsa_private_segment_fixed_size 0
		.amdhsa_kernarg_size 48
		.amdhsa_user_sgpr_count 2
		.amdhsa_user_sgpr_dispatch_ptr 0
		.amdhsa_user_sgpr_queue_ptr 0
		.amdhsa_user_sgpr_kernarg_segment_ptr 1
		.amdhsa_user_sgpr_dispatch_id 0
		.amdhsa_user_sgpr_kernarg_preload_length 0
		.amdhsa_user_sgpr_kernarg_preload_offset 0
		.amdhsa_user_sgpr_private_segment_size 0
		.amdhsa_uses_dynamic_stack 0
		.amdhsa_enable_private_segment 0
		.amdhsa_system_sgpr_workgroup_id_x 1
		.amdhsa_system_sgpr_workgroup_id_y 0
		.amdhsa_system_sgpr_workgroup_id_z 0
		.amdhsa_system_sgpr_workgroup_info 0
		.amdhsa_system_vgpr_workitem_id 0
		.amdhsa_next_free_vgpr 1
		.amdhsa_next_free_sgpr 0
		.amdhsa_accum_offset 4
		.amdhsa_reserve_vcc 0
		.amdhsa_float_round_mode_32 0
		.amdhsa_float_round_mode_16_64 0
		.amdhsa_float_denorm_mode_32 3
		.amdhsa_float_denorm_mode_16_64 3
		.amdhsa_dx10_clamp 1
		.amdhsa_ieee_mode 1
		.amdhsa_fp16_overflow 0
		.amdhsa_tg_split 0
		.amdhsa_exception_fp_ieee_invalid_op 0
		.amdhsa_exception_fp_denorm_src 0
		.amdhsa_exception_fp_ieee_div_zero 0
		.amdhsa_exception_fp_ieee_overflow 0
		.amdhsa_exception_fp_ieee_underflow 0
		.amdhsa_exception_fp_ieee_inexact 0
		.amdhsa_exception_int_div_zero 0
	.end_amdhsa_kernel
	.section	.text._ZN7rocprim17ROCPRIM_400000_NS6detail17trampoline_kernelINS0_14default_configENS1_38merge_sort_block_merge_config_selectorIiiEEZZNS1_27merge_sort_block_merge_implIS3_N6thrust23THRUST_200600_302600_NS6detail15normal_iteratorINS8_10device_ptrIiEEEESD_jNS1_19radix_merge_compareILb0ELb0EiNS0_19identity_decomposerEEEEE10hipError_tT0_T1_T2_jT3_P12ihipStream_tbPNSt15iterator_traitsISI_E10value_typeEPNSO_ISJ_E10value_typeEPSK_NS1_7vsmem_tEENKUlT_SI_SJ_SK_E_clISD_PiSD_S10_EESH_SX_SI_SJ_SK_EUlSX_E1_NS1_11comp_targetILNS1_3genE3ELNS1_11target_archE908ELNS1_3gpuE7ELNS1_3repE0EEENS1_36merge_oddeven_config_static_selectorELNS0_4arch9wavefront6targetE1EEEvSJ_,"axG",@progbits,_ZN7rocprim17ROCPRIM_400000_NS6detail17trampoline_kernelINS0_14default_configENS1_38merge_sort_block_merge_config_selectorIiiEEZZNS1_27merge_sort_block_merge_implIS3_N6thrust23THRUST_200600_302600_NS6detail15normal_iteratorINS8_10device_ptrIiEEEESD_jNS1_19radix_merge_compareILb0ELb0EiNS0_19identity_decomposerEEEEE10hipError_tT0_T1_T2_jT3_P12ihipStream_tbPNSt15iterator_traitsISI_E10value_typeEPNSO_ISJ_E10value_typeEPSK_NS1_7vsmem_tEENKUlT_SI_SJ_SK_E_clISD_PiSD_S10_EESH_SX_SI_SJ_SK_EUlSX_E1_NS1_11comp_targetILNS1_3genE3ELNS1_11target_archE908ELNS1_3gpuE7ELNS1_3repE0EEENS1_36merge_oddeven_config_static_selectorELNS0_4arch9wavefront6targetE1EEEvSJ_,comdat
.Lfunc_end1331:
	.size	_ZN7rocprim17ROCPRIM_400000_NS6detail17trampoline_kernelINS0_14default_configENS1_38merge_sort_block_merge_config_selectorIiiEEZZNS1_27merge_sort_block_merge_implIS3_N6thrust23THRUST_200600_302600_NS6detail15normal_iteratorINS8_10device_ptrIiEEEESD_jNS1_19radix_merge_compareILb0ELb0EiNS0_19identity_decomposerEEEEE10hipError_tT0_T1_T2_jT3_P12ihipStream_tbPNSt15iterator_traitsISI_E10value_typeEPNSO_ISJ_E10value_typeEPSK_NS1_7vsmem_tEENKUlT_SI_SJ_SK_E_clISD_PiSD_S10_EESH_SX_SI_SJ_SK_EUlSX_E1_NS1_11comp_targetILNS1_3genE3ELNS1_11target_archE908ELNS1_3gpuE7ELNS1_3repE0EEENS1_36merge_oddeven_config_static_selectorELNS0_4arch9wavefront6targetE1EEEvSJ_, .Lfunc_end1331-_ZN7rocprim17ROCPRIM_400000_NS6detail17trampoline_kernelINS0_14default_configENS1_38merge_sort_block_merge_config_selectorIiiEEZZNS1_27merge_sort_block_merge_implIS3_N6thrust23THRUST_200600_302600_NS6detail15normal_iteratorINS8_10device_ptrIiEEEESD_jNS1_19radix_merge_compareILb0ELb0EiNS0_19identity_decomposerEEEEE10hipError_tT0_T1_T2_jT3_P12ihipStream_tbPNSt15iterator_traitsISI_E10value_typeEPNSO_ISJ_E10value_typeEPSK_NS1_7vsmem_tEENKUlT_SI_SJ_SK_E_clISD_PiSD_S10_EESH_SX_SI_SJ_SK_EUlSX_E1_NS1_11comp_targetILNS1_3genE3ELNS1_11target_archE908ELNS1_3gpuE7ELNS1_3repE0EEENS1_36merge_oddeven_config_static_selectorELNS0_4arch9wavefront6targetE1EEEvSJ_
                                        ; -- End function
	.set _ZN7rocprim17ROCPRIM_400000_NS6detail17trampoline_kernelINS0_14default_configENS1_38merge_sort_block_merge_config_selectorIiiEEZZNS1_27merge_sort_block_merge_implIS3_N6thrust23THRUST_200600_302600_NS6detail15normal_iteratorINS8_10device_ptrIiEEEESD_jNS1_19radix_merge_compareILb0ELb0EiNS0_19identity_decomposerEEEEE10hipError_tT0_T1_T2_jT3_P12ihipStream_tbPNSt15iterator_traitsISI_E10value_typeEPNSO_ISJ_E10value_typeEPSK_NS1_7vsmem_tEENKUlT_SI_SJ_SK_E_clISD_PiSD_S10_EESH_SX_SI_SJ_SK_EUlSX_E1_NS1_11comp_targetILNS1_3genE3ELNS1_11target_archE908ELNS1_3gpuE7ELNS1_3repE0EEENS1_36merge_oddeven_config_static_selectorELNS0_4arch9wavefront6targetE1EEEvSJ_.num_vgpr, 0
	.set _ZN7rocprim17ROCPRIM_400000_NS6detail17trampoline_kernelINS0_14default_configENS1_38merge_sort_block_merge_config_selectorIiiEEZZNS1_27merge_sort_block_merge_implIS3_N6thrust23THRUST_200600_302600_NS6detail15normal_iteratorINS8_10device_ptrIiEEEESD_jNS1_19radix_merge_compareILb0ELb0EiNS0_19identity_decomposerEEEEE10hipError_tT0_T1_T2_jT3_P12ihipStream_tbPNSt15iterator_traitsISI_E10value_typeEPNSO_ISJ_E10value_typeEPSK_NS1_7vsmem_tEENKUlT_SI_SJ_SK_E_clISD_PiSD_S10_EESH_SX_SI_SJ_SK_EUlSX_E1_NS1_11comp_targetILNS1_3genE3ELNS1_11target_archE908ELNS1_3gpuE7ELNS1_3repE0EEENS1_36merge_oddeven_config_static_selectorELNS0_4arch9wavefront6targetE1EEEvSJ_.num_agpr, 0
	.set _ZN7rocprim17ROCPRIM_400000_NS6detail17trampoline_kernelINS0_14default_configENS1_38merge_sort_block_merge_config_selectorIiiEEZZNS1_27merge_sort_block_merge_implIS3_N6thrust23THRUST_200600_302600_NS6detail15normal_iteratorINS8_10device_ptrIiEEEESD_jNS1_19radix_merge_compareILb0ELb0EiNS0_19identity_decomposerEEEEE10hipError_tT0_T1_T2_jT3_P12ihipStream_tbPNSt15iterator_traitsISI_E10value_typeEPNSO_ISJ_E10value_typeEPSK_NS1_7vsmem_tEENKUlT_SI_SJ_SK_E_clISD_PiSD_S10_EESH_SX_SI_SJ_SK_EUlSX_E1_NS1_11comp_targetILNS1_3genE3ELNS1_11target_archE908ELNS1_3gpuE7ELNS1_3repE0EEENS1_36merge_oddeven_config_static_selectorELNS0_4arch9wavefront6targetE1EEEvSJ_.numbered_sgpr, 0
	.set _ZN7rocprim17ROCPRIM_400000_NS6detail17trampoline_kernelINS0_14default_configENS1_38merge_sort_block_merge_config_selectorIiiEEZZNS1_27merge_sort_block_merge_implIS3_N6thrust23THRUST_200600_302600_NS6detail15normal_iteratorINS8_10device_ptrIiEEEESD_jNS1_19radix_merge_compareILb0ELb0EiNS0_19identity_decomposerEEEEE10hipError_tT0_T1_T2_jT3_P12ihipStream_tbPNSt15iterator_traitsISI_E10value_typeEPNSO_ISJ_E10value_typeEPSK_NS1_7vsmem_tEENKUlT_SI_SJ_SK_E_clISD_PiSD_S10_EESH_SX_SI_SJ_SK_EUlSX_E1_NS1_11comp_targetILNS1_3genE3ELNS1_11target_archE908ELNS1_3gpuE7ELNS1_3repE0EEENS1_36merge_oddeven_config_static_selectorELNS0_4arch9wavefront6targetE1EEEvSJ_.num_named_barrier, 0
	.set _ZN7rocprim17ROCPRIM_400000_NS6detail17trampoline_kernelINS0_14default_configENS1_38merge_sort_block_merge_config_selectorIiiEEZZNS1_27merge_sort_block_merge_implIS3_N6thrust23THRUST_200600_302600_NS6detail15normal_iteratorINS8_10device_ptrIiEEEESD_jNS1_19radix_merge_compareILb0ELb0EiNS0_19identity_decomposerEEEEE10hipError_tT0_T1_T2_jT3_P12ihipStream_tbPNSt15iterator_traitsISI_E10value_typeEPNSO_ISJ_E10value_typeEPSK_NS1_7vsmem_tEENKUlT_SI_SJ_SK_E_clISD_PiSD_S10_EESH_SX_SI_SJ_SK_EUlSX_E1_NS1_11comp_targetILNS1_3genE3ELNS1_11target_archE908ELNS1_3gpuE7ELNS1_3repE0EEENS1_36merge_oddeven_config_static_selectorELNS0_4arch9wavefront6targetE1EEEvSJ_.private_seg_size, 0
	.set _ZN7rocprim17ROCPRIM_400000_NS6detail17trampoline_kernelINS0_14default_configENS1_38merge_sort_block_merge_config_selectorIiiEEZZNS1_27merge_sort_block_merge_implIS3_N6thrust23THRUST_200600_302600_NS6detail15normal_iteratorINS8_10device_ptrIiEEEESD_jNS1_19radix_merge_compareILb0ELb0EiNS0_19identity_decomposerEEEEE10hipError_tT0_T1_T2_jT3_P12ihipStream_tbPNSt15iterator_traitsISI_E10value_typeEPNSO_ISJ_E10value_typeEPSK_NS1_7vsmem_tEENKUlT_SI_SJ_SK_E_clISD_PiSD_S10_EESH_SX_SI_SJ_SK_EUlSX_E1_NS1_11comp_targetILNS1_3genE3ELNS1_11target_archE908ELNS1_3gpuE7ELNS1_3repE0EEENS1_36merge_oddeven_config_static_selectorELNS0_4arch9wavefront6targetE1EEEvSJ_.uses_vcc, 0
	.set _ZN7rocprim17ROCPRIM_400000_NS6detail17trampoline_kernelINS0_14default_configENS1_38merge_sort_block_merge_config_selectorIiiEEZZNS1_27merge_sort_block_merge_implIS3_N6thrust23THRUST_200600_302600_NS6detail15normal_iteratorINS8_10device_ptrIiEEEESD_jNS1_19radix_merge_compareILb0ELb0EiNS0_19identity_decomposerEEEEE10hipError_tT0_T1_T2_jT3_P12ihipStream_tbPNSt15iterator_traitsISI_E10value_typeEPNSO_ISJ_E10value_typeEPSK_NS1_7vsmem_tEENKUlT_SI_SJ_SK_E_clISD_PiSD_S10_EESH_SX_SI_SJ_SK_EUlSX_E1_NS1_11comp_targetILNS1_3genE3ELNS1_11target_archE908ELNS1_3gpuE7ELNS1_3repE0EEENS1_36merge_oddeven_config_static_selectorELNS0_4arch9wavefront6targetE1EEEvSJ_.uses_flat_scratch, 0
	.set _ZN7rocprim17ROCPRIM_400000_NS6detail17trampoline_kernelINS0_14default_configENS1_38merge_sort_block_merge_config_selectorIiiEEZZNS1_27merge_sort_block_merge_implIS3_N6thrust23THRUST_200600_302600_NS6detail15normal_iteratorINS8_10device_ptrIiEEEESD_jNS1_19radix_merge_compareILb0ELb0EiNS0_19identity_decomposerEEEEE10hipError_tT0_T1_T2_jT3_P12ihipStream_tbPNSt15iterator_traitsISI_E10value_typeEPNSO_ISJ_E10value_typeEPSK_NS1_7vsmem_tEENKUlT_SI_SJ_SK_E_clISD_PiSD_S10_EESH_SX_SI_SJ_SK_EUlSX_E1_NS1_11comp_targetILNS1_3genE3ELNS1_11target_archE908ELNS1_3gpuE7ELNS1_3repE0EEENS1_36merge_oddeven_config_static_selectorELNS0_4arch9wavefront6targetE1EEEvSJ_.has_dyn_sized_stack, 0
	.set _ZN7rocprim17ROCPRIM_400000_NS6detail17trampoline_kernelINS0_14default_configENS1_38merge_sort_block_merge_config_selectorIiiEEZZNS1_27merge_sort_block_merge_implIS3_N6thrust23THRUST_200600_302600_NS6detail15normal_iteratorINS8_10device_ptrIiEEEESD_jNS1_19radix_merge_compareILb0ELb0EiNS0_19identity_decomposerEEEEE10hipError_tT0_T1_T2_jT3_P12ihipStream_tbPNSt15iterator_traitsISI_E10value_typeEPNSO_ISJ_E10value_typeEPSK_NS1_7vsmem_tEENKUlT_SI_SJ_SK_E_clISD_PiSD_S10_EESH_SX_SI_SJ_SK_EUlSX_E1_NS1_11comp_targetILNS1_3genE3ELNS1_11target_archE908ELNS1_3gpuE7ELNS1_3repE0EEENS1_36merge_oddeven_config_static_selectorELNS0_4arch9wavefront6targetE1EEEvSJ_.has_recursion, 0
	.set _ZN7rocprim17ROCPRIM_400000_NS6detail17trampoline_kernelINS0_14default_configENS1_38merge_sort_block_merge_config_selectorIiiEEZZNS1_27merge_sort_block_merge_implIS3_N6thrust23THRUST_200600_302600_NS6detail15normal_iteratorINS8_10device_ptrIiEEEESD_jNS1_19radix_merge_compareILb0ELb0EiNS0_19identity_decomposerEEEEE10hipError_tT0_T1_T2_jT3_P12ihipStream_tbPNSt15iterator_traitsISI_E10value_typeEPNSO_ISJ_E10value_typeEPSK_NS1_7vsmem_tEENKUlT_SI_SJ_SK_E_clISD_PiSD_S10_EESH_SX_SI_SJ_SK_EUlSX_E1_NS1_11comp_targetILNS1_3genE3ELNS1_11target_archE908ELNS1_3gpuE7ELNS1_3repE0EEENS1_36merge_oddeven_config_static_selectorELNS0_4arch9wavefront6targetE1EEEvSJ_.has_indirect_call, 0
	.section	.AMDGPU.csdata,"",@progbits
; Kernel info:
; codeLenInByte = 0
; TotalNumSgprs: 6
; NumVgprs: 0
; NumAgprs: 0
; TotalNumVgprs: 0
; ScratchSize: 0
; MemoryBound: 0
; FloatMode: 240
; IeeeMode: 1
; LDSByteSize: 0 bytes/workgroup (compile time only)
; SGPRBlocks: 0
; VGPRBlocks: 0
; NumSGPRsForWavesPerEU: 6
; NumVGPRsForWavesPerEU: 1
; AccumOffset: 4
; Occupancy: 8
; WaveLimiterHint : 0
; COMPUTE_PGM_RSRC2:SCRATCH_EN: 0
; COMPUTE_PGM_RSRC2:USER_SGPR: 2
; COMPUTE_PGM_RSRC2:TRAP_HANDLER: 0
; COMPUTE_PGM_RSRC2:TGID_X_EN: 1
; COMPUTE_PGM_RSRC2:TGID_Y_EN: 0
; COMPUTE_PGM_RSRC2:TGID_Z_EN: 0
; COMPUTE_PGM_RSRC2:TIDIG_COMP_CNT: 0
; COMPUTE_PGM_RSRC3_GFX90A:ACCUM_OFFSET: 0
; COMPUTE_PGM_RSRC3_GFX90A:TG_SPLIT: 0
	.section	.text._ZN7rocprim17ROCPRIM_400000_NS6detail17trampoline_kernelINS0_14default_configENS1_38merge_sort_block_merge_config_selectorIiiEEZZNS1_27merge_sort_block_merge_implIS3_N6thrust23THRUST_200600_302600_NS6detail15normal_iteratorINS8_10device_ptrIiEEEESD_jNS1_19radix_merge_compareILb0ELb0EiNS0_19identity_decomposerEEEEE10hipError_tT0_T1_T2_jT3_P12ihipStream_tbPNSt15iterator_traitsISI_E10value_typeEPNSO_ISJ_E10value_typeEPSK_NS1_7vsmem_tEENKUlT_SI_SJ_SK_E_clISD_PiSD_S10_EESH_SX_SI_SJ_SK_EUlSX_E1_NS1_11comp_targetILNS1_3genE2ELNS1_11target_archE906ELNS1_3gpuE6ELNS1_3repE0EEENS1_36merge_oddeven_config_static_selectorELNS0_4arch9wavefront6targetE1EEEvSJ_,"axG",@progbits,_ZN7rocprim17ROCPRIM_400000_NS6detail17trampoline_kernelINS0_14default_configENS1_38merge_sort_block_merge_config_selectorIiiEEZZNS1_27merge_sort_block_merge_implIS3_N6thrust23THRUST_200600_302600_NS6detail15normal_iteratorINS8_10device_ptrIiEEEESD_jNS1_19radix_merge_compareILb0ELb0EiNS0_19identity_decomposerEEEEE10hipError_tT0_T1_T2_jT3_P12ihipStream_tbPNSt15iterator_traitsISI_E10value_typeEPNSO_ISJ_E10value_typeEPSK_NS1_7vsmem_tEENKUlT_SI_SJ_SK_E_clISD_PiSD_S10_EESH_SX_SI_SJ_SK_EUlSX_E1_NS1_11comp_targetILNS1_3genE2ELNS1_11target_archE906ELNS1_3gpuE6ELNS1_3repE0EEENS1_36merge_oddeven_config_static_selectorELNS0_4arch9wavefront6targetE1EEEvSJ_,comdat
	.protected	_ZN7rocprim17ROCPRIM_400000_NS6detail17trampoline_kernelINS0_14default_configENS1_38merge_sort_block_merge_config_selectorIiiEEZZNS1_27merge_sort_block_merge_implIS3_N6thrust23THRUST_200600_302600_NS6detail15normal_iteratorINS8_10device_ptrIiEEEESD_jNS1_19radix_merge_compareILb0ELb0EiNS0_19identity_decomposerEEEEE10hipError_tT0_T1_T2_jT3_P12ihipStream_tbPNSt15iterator_traitsISI_E10value_typeEPNSO_ISJ_E10value_typeEPSK_NS1_7vsmem_tEENKUlT_SI_SJ_SK_E_clISD_PiSD_S10_EESH_SX_SI_SJ_SK_EUlSX_E1_NS1_11comp_targetILNS1_3genE2ELNS1_11target_archE906ELNS1_3gpuE6ELNS1_3repE0EEENS1_36merge_oddeven_config_static_selectorELNS0_4arch9wavefront6targetE1EEEvSJ_ ; -- Begin function _ZN7rocprim17ROCPRIM_400000_NS6detail17trampoline_kernelINS0_14default_configENS1_38merge_sort_block_merge_config_selectorIiiEEZZNS1_27merge_sort_block_merge_implIS3_N6thrust23THRUST_200600_302600_NS6detail15normal_iteratorINS8_10device_ptrIiEEEESD_jNS1_19radix_merge_compareILb0ELb0EiNS0_19identity_decomposerEEEEE10hipError_tT0_T1_T2_jT3_P12ihipStream_tbPNSt15iterator_traitsISI_E10value_typeEPNSO_ISJ_E10value_typeEPSK_NS1_7vsmem_tEENKUlT_SI_SJ_SK_E_clISD_PiSD_S10_EESH_SX_SI_SJ_SK_EUlSX_E1_NS1_11comp_targetILNS1_3genE2ELNS1_11target_archE906ELNS1_3gpuE6ELNS1_3repE0EEENS1_36merge_oddeven_config_static_selectorELNS0_4arch9wavefront6targetE1EEEvSJ_
	.globl	_ZN7rocprim17ROCPRIM_400000_NS6detail17trampoline_kernelINS0_14default_configENS1_38merge_sort_block_merge_config_selectorIiiEEZZNS1_27merge_sort_block_merge_implIS3_N6thrust23THRUST_200600_302600_NS6detail15normal_iteratorINS8_10device_ptrIiEEEESD_jNS1_19radix_merge_compareILb0ELb0EiNS0_19identity_decomposerEEEEE10hipError_tT0_T1_T2_jT3_P12ihipStream_tbPNSt15iterator_traitsISI_E10value_typeEPNSO_ISJ_E10value_typeEPSK_NS1_7vsmem_tEENKUlT_SI_SJ_SK_E_clISD_PiSD_S10_EESH_SX_SI_SJ_SK_EUlSX_E1_NS1_11comp_targetILNS1_3genE2ELNS1_11target_archE906ELNS1_3gpuE6ELNS1_3repE0EEENS1_36merge_oddeven_config_static_selectorELNS0_4arch9wavefront6targetE1EEEvSJ_
	.p2align	8
	.type	_ZN7rocprim17ROCPRIM_400000_NS6detail17trampoline_kernelINS0_14default_configENS1_38merge_sort_block_merge_config_selectorIiiEEZZNS1_27merge_sort_block_merge_implIS3_N6thrust23THRUST_200600_302600_NS6detail15normal_iteratorINS8_10device_ptrIiEEEESD_jNS1_19radix_merge_compareILb0ELb0EiNS0_19identity_decomposerEEEEE10hipError_tT0_T1_T2_jT3_P12ihipStream_tbPNSt15iterator_traitsISI_E10value_typeEPNSO_ISJ_E10value_typeEPSK_NS1_7vsmem_tEENKUlT_SI_SJ_SK_E_clISD_PiSD_S10_EESH_SX_SI_SJ_SK_EUlSX_E1_NS1_11comp_targetILNS1_3genE2ELNS1_11target_archE906ELNS1_3gpuE6ELNS1_3repE0EEENS1_36merge_oddeven_config_static_selectorELNS0_4arch9wavefront6targetE1EEEvSJ_,@function
_ZN7rocprim17ROCPRIM_400000_NS6detail17trampoline_kernelINS0_14default_configENS1_38merge_sort_block_merge_config_selectorIiiEEZZNS1_27merge_sort_block_merge_implIS3_N6thrust23THRUST_200600_302600_NS6detail15normal_iteratorINS8_10device_ptrIiEEEESD_jNS1_19radix_merge_compareILb0ELb0EiNS0_19identity_decomposerEEEEE10hipError_tT0_T1_T2_jT3_P12ihipStream_tbPNSt15iterator_traitsISI_E10value_typeEPNSO_ISJ_E10value_typeEPSK_NS1_7vsmem_tEENKUlT_SI_SJ_SK_E_clISD_PiSD_S10_EESH_SX_SI_SJ_SK_EUlSX_E1_NS1_11comp_targetILNS1_3genE2ELNS1_11target_archE906ELNS1_3gpuE6ELNS1_3repE0EEENS1_36merge_oddeven_config_static_selectorELNS0_4arch9wavefront6targetE1EEEvSJ_: ; @_ZN7rocprim17ROCPRIM_400000_NS6detail17trampoline_kernelINS0_14default_configENS1_38merge_sort_block_merge_config_selectorIiiEEZZNS1_27merge_sort_block_merge_implIS3_N6thrust23THRUST_200600_302600_NS6detail15normal_iteratorINS8_10device_ptrIiEEEESD_jNS1_19radix_merge_compareILb0ELb0EiNS0_19identity_decomposerEEEEE10hipError_tT0_T1_T2_jT3_P12ihipStream_tbPNSt15iterator_traitsISI_E10value_typeEPNSO_ISJ_E10value_typeEPSK_NS1_7vsmem_tEENKUlT_SI_SJ_SK_E_clISD_PiSD_S10_EESH_SX_SI_SJ_SK_EUlSX_E1_NS1_11comp_targetILNS1_3genE2ELNS1_11target_archE906ELNS1_3gpuE6ELNS1_3repE0EEENS1_36merge_oddeven_config_static_selectorELNS0_4arch9wavefront6targetE1EEEvSJ_
; %bb.0:
	.section	.rodata,"a",@progbits
	.p2align	6, 0x0
	.amdhsa_kernel _ZN7rocprim17ROCPRIM_400000_NS6detail17trampoline_kernelINS0_14default_configENS1_38merge_sort_block_merge_config_selectorIiiEEZZNS1_27merge_sort_block_merge_implIS3_N6thrust23THRUST_200600_302600_NS6detail15normal_iteratorINS8_10device_ptrIiEEEESD_jNS1_19radix_merge_compareILb0ELb0EiNS0_19identity_decomposerEEEEE10hipError_tT0_T1_T2_jT3_P12ihipStream_tbPNSt15iterator_traitsISI_E10value_typeEPNSO_ISJ_E10value_typeEPSK_NS1_7vsmem_tEENKUlT_SI_SJ_SK_E_clISD_PiSD_S10_EESH_SX_SI_SJ_SK_EUlSX_E1_NS1_11comp_targetILNS1_3genE2ELNS1_11target_archE906ELNS1_3gpuE6ELNS1_3repE0EEENS1_36merge_oddeven_config_static_selectorELNS0_4arch9wavefront6targetE1EEEvSJ_
		.amdhsa_group_segment_fixed_size 0
		.amdhsa_private_segment_fixed_size 0
		.amdhsa_kernarg_size 48
		.amdhsa_user_sgpr_count 2
		.amdhsa_user_sgpr_dispatch_ptr 0
		.amdhsa_user_sgpr_queue_ptr 0
		.amdhsa_user_sgpr_kernarg_segment_ptr 1
		.amdhsa_user_sgpr_dispatch_id 0
		.amdhsa_user_sgpr_kernarg_preload_length 0
		.amdhsa_user_sgpr_kernarg_preload_offset 0
		.amdhsa_user_sgpr_private_segment_size 0
		.amdhsa_uses_dynamic_stack 0
		.amdhsa_enable_private_segment 0
		.amdhsa_system_sgpr_workgroup_id_x 1
		.amdhsa_system_sgpr_workgroup_id_y 0
		.amdhsa_system_sgpr_workgroup_id_z 0
		.amdhsa_system_sgpr_workgroup_info 0
		.amdhsa_system_vgpr_workitem_id 0
		.amdhsa_next_free_vgpr 1
		.amdhsa_next_free_sgpr 0
		.amdhsa_accum_offset 4
		.amdhsa_reserve_vcc 0
		.amdhsa_float_round_mode_32 0
		.amdhsa_float_round_mode_16_64 0
		.amdhsa_float_denorm_mode_32 3
		.amdhsa_float_denorm_mode_16_64 3
		.amdhsa_dx10_clamp 1
		.amdhsa_ieee_mode 1
		.amdhsa_fp16_overflow 0
		.amdhsa_tg_split 0
		.amdhsa_exception_fp_ieee_invalid_op 0
		.amdhsa_exception_fp_denorm_src 0
		.amdhsa_exception_fp_ieee_div_zero 0
		.amdhsa_exception_fp_ieee_overflow 0
		.amdhsa_exception_fp_ieee_underflow 0
		.amdhsa_exception_fp_ieee_inexact 0
		.amdhsa_exception_int_div_zero 0
	.end_amdhsa_kernel
	.section	.text._ZN7rocprim17ROCPRIM_400000_NS6detail17trampoline_kernelINS0_14default_configENS1_38merge_sort_block_merge_config_selectorIiiEEZZNS1_27merge_sort_block_merge_implIS3_N6thrust23THRUST_200600_302600_NS6detail15normal_iteratorINS8_10device_ptrIiEEEESD_jNS1_19radix_merge_compareILb0ELb0EiNS0_19identity_decomposerEEEEE10hipError_tT0_T1_T2_jT3_P12ihipStream_tbPNSt15iterator_traitsISI_E10value_typeEPNSO_ISJ_E10value_typeEPSK_NS1_7vsmem_tEENKUlT_SI_SJ_SK_E_clISD_PiSD_S10_EESH_SX_SI_SJ_SK_EUlSX_E1_NS1_11comp_targetILNS1_3genE2ELNS1_11target_archE906ELNS1_3gpuE6ELNS1_3repE0EEENS1_36merge_oddeven_config_static_selectorELNS0_4arch9wavefront6targetE1EEEvSJ_,"axG",@progbits,_ZN7rocprim17ROCPRIM_400000_NS6detail17trampoline_kernelINS0_14default_configENS1_38merge_sort_block_merge_config_selectorIiiEEZZNS1_27merge_sort_block_merge_implIS3_N6thrust23THRUST_200600_302600_NS6detail15normal_iteratorINS8_10device_ptrIiEEEESD_jNS1_19radix_merge_compareILb0ELb0EiNS0_19identity_decomposerEEEEE10hipError_tT0_T1_T2_jT3_P12ihipStream_tbPNSt15iterator_traitsISI_E10value_typeEPNSO_ISJ_E10value_typeEPSK_NS1_7vsmem_tEENKUlT_SI_SJ_SK_E_clISD_PiSD_S10_EESH_SX_SI_SJ_SK_EUlSX_E1_NS1_11comp_targetILNS1_3genE2ELNS1_11target_archE906ELNS1_3gpuE6ELNS1_3repE0EEENS1_36merge_oddeven_config_static_selectorELNS0_4arch9wavefront6targetE1EEEvSJ_,comdat
.Lfunc_end1332:
	.size	_ZN7rocprim17ROCPRIM_400000_NS6detail17trampoline_kernelINS0_14default_configENS1_38merge_sort_block_merge_config_selectorIiiEEZZNS1_27merge_sort_block_merge_implIS3_N6thrust23THRUST_200600_302600_NS6detail15normal_iteratorINS8_10device_ptrIiEEEESD_jNS1_19radix_merge_compareILb0ELb0EiNS0_19identity_decomposerEEEEE10hipError_tT0_T1_T2_jT3_P12ihipStream_tbPNSt15iterator_traitsISI_E10value_typeEPNSO_ISJ_E10value_typeEPSK_NS1_7vsmem_tEENKUlT_SI_SJ_SK_E_clISD_PiSD_S10_EESH_SX_SI_SJ_SK_EUlSX_E1_NS1_11comp_targetILNS1_3genE2ELNS1_11target_archE906ELNS1_3gpuE6ELNS1_3repE0EEENS1_36merge_oddeven_config_static_selectorELNS0_4arch9wavefront6targetE1EEEvSJ_, .Lfunc_end1332-_ZN7rocprim17ROCPRIM_400000_NS6detail17trampoline_kernelINS0_14default_configENS1_38merge_sort_block_merge_config_selectorIiiEEZZNS1_27merge_sort_block_merge_implIS3_N6thrust23THRUST_200600_302600_NS6detail15normal_iteratorINS8_10device_ptrIiEEEESD_jNS1_19radix_merge_compareILb0ELb0EiNS0_19identity_decomposerEEEEE10hipError_tT0_T1_T2_jT3_P12ihipStream_tbPNSt15iterator_traitsISI_E10value_typeEPNSO_ISJ_E10value_typeEPSK_NS1_7vsmem_tEENKUlT_SI_SJ_SK_E_clISD_PiSD_S10_EESH_SX_SI_SJ_SK_EUlSX_E1_NS1_11comp_targetILNS1_3genE2ELNS1_11target_archE906ELNS1_3gpuE6ELNS1_3repE0EEENS1_36merge_oddeven_config_static_selectorELNS0_4arch9wavefront6targetE1EEEvSJ_
                                        ; -- End function
	.set _ZN7rocprim17ROCPRIM_400000_NS6detail17trampoline_kernelINS0_14default_configENS1_38merge_sort_block_merge_config_selectorIiiEEZZNS1_27merge_sort_block_merge_implIS3_N6thrust23THRUST_200600_302600_NS6detail15normal_iteratorINS8_10device_ptrIiEEEESD_jNS1_19radix_merge_compareILb0ELb0EiNS0_19identity_decomposerEEEEE10hipError_tT0_T1_T2_jT3_P12ihipStream_tbPNSt15iterator_traitsISI_E10value_typeEPNSO_ISJ_E10value_typeEPSK_NS1_7vsmem_tEENKUlT_SI_SJ_SK_E_clISD_PiSD_S10_EESH_SX_SI_SJ_SK_EUlSX_E1_NS1_11comp_targetILNS1_3genE2ELNS1_11target_archE906ELNS1_3gpuE6ELNS1_3repE0EEENS1_36merge_oddeven_config_static_selectorELNS0_4arch9wavefront6targetE1EEEvSJ_.num_vgpr, 0
	.set _ZN7rocprim17ROCPRIM_400000_NS6detail17trampoline_kernelINS0_14default_configENS1_38merge_sort_block_merge_config_selectorIiiEEZZNS1_27merge_sort_block_merge_implIS3_N6thrust23THRUST_200600_302600_NS6detail15normal_iteratorINS8_10device_ptrIiEEEESD_jNS1_19radix_merge_compareILb0ELb0EiNS0_19identity_decomposerEEEEE10hipError_tT0_T1_T2_jT3_P12ihipStream_tbPNSt15iterator_traitsISI_E10value_typeEPNSO_ISJ_E10value_typeEPSK_NS1_7vsmem_tEENKUlT_SI_SJ_SK_E_clISD_PiSD_S10_EESH_SX_SI_SJ_SK_EUlSX_E1_NS1_11comp_targetILNS1_3genE2ELNS1_11target_archE906ELNS1_3gpuE6ELNS1_3repE0EEENS1_36merge_oddeven_config_static_selectorELNS0_4arch9wavefront6targetE1EEEvSJ_.num_agpr, 0
	.set _ZN7rocprim17ROCPRIM_400000_NS6detail17trampoline_kernelINS0_14default_configENS1_38merge_sort_block_merge_config_selectorIiiEEZZNS1_27merge_sort_block_merge_implIS3_N6thrust23THRUST_200600_302600_NS6detail15normal_iteratorINS8_10device_ptrIiEEEESD_jNS1_19radix_merge_compareILb0ELb0EiNS0_19identity_decomposerEEEEE10hipError_tT0_T1_T2_jT3_P12ihipStream_tbPNSt15iterator_traitsISI_E10value_typeEPNSO_ISJ_E10value_typeEPSK_NS1_7vsmem_tEENKUlT_SI_SJ_SK_E_clISD_PiSD_S10_EESH_SX_SI_SJ_SK_EUlSX_E1_NS1_11comp_targetILNS1_3genE2ELNS1_11target_archE906ELNS1_3gpuE6ELNS1_3repE0EEENS1_36merge_oddeven_config_static_selectorELNS0_4arch9wavefront6targetE1EEEvSJ_.numbered_sgpr, 0
	.set _ZN7rocprim17ROCPRIM_400000_NS6detail17trampoline_kernelINS0_14default_configENS1_38merge_sort_block_merge_config_selectorIiiEEZZNS1_27merge_sort_block_merge_implIS3_N6thrust23THRUST_200600_302600_NS6detail15normal_iteratorINS8_10device_ptrIiEEEESD_jNS1_19radix_merge_compareILb0ELb0EiNS0_19identity_decomposerEEEEE10hipError_tT0_T1_T2_jT3_P12ihipStream_tbPNSt15iterator_traitsISI_E10value_typeEPNSO_ISJ_E10value_typeEPSK_NS1_7vsmem_tEENKUlT_SI_SJ_SK_E_clISD_PiSD_S10_EESH_SX_SI_SJ_SK_EUlSX_E1_NS1_11comp_targetILNS1_3genE2ELNS1_11target_archE906ELNS1_3gpuE6ELNS1_3repE0EEENS1_36merge_oddeven_config_static_selectorELNS0_4arch9wavefront6targetE1EEEvSJ_.num_named_barrier, 0
	.set _ZN7rocprim17ROCPRIM_400000_NS6detail17trampoline_kernelINS0_14default_configENS1_38merge_sort_block_merge_config_selectorIiiEEZZNS1_27merge_sort_block_merge_implIS3_N6thrust23THRUST_200600_302600_NS6detail15normal_iteratorINS8_10device_ptrIiEEEESD_jNS1_19radix_merge_compareILb0ELb0EiNS0_19identity_decomposerEEEEE10hipError_tT0_T1_T2_jT3_P12ihipStream_tbPNSt15iterator_traitsISI_E10value_typeEPNSO_ISJ_E10value_typeEPSK_NS1_7vsmem_tEENKUlT_SI_SJ_SK_E_clISD_PiSD_S10_EESH_SX_SI_SJ_SK_EUlSX_E1_NS1_11comp_targetILNS1_3genE2ELNS1_11target_archE906ELNS1_3gpuE6ELNS1_3repE0EEENS1_36merge_oddeven_config_static_selectorELNS0_4arch9wavefront6targetE1EEEvSJ_.private_seg_size, 0
	.set _ZN7rocprim17ROCPRIM_400000_NS6detail17trampoline_kernelINS0_14default_configENS1_38merge_sort_block_merge_config_selectorIiiEEZZNS1_27merge_sort_block_merge_implIS3_N6thrust23THRUST_200600_302600_NS6detail15normal_iteratorINS8_10device_ptrIiEEEESD_jNS1_19radix_merge_compareILb0ELb0EiNS0_19identity_decomposerEEEEE10hipError_tT0_T1_T2_jT3_P12ihipStream_tbPNSt15iterator_traitsISI_E10value_typeEPNSO_ISJ_E10value_typeEPSK_NS1_7vsmem_tEENKUlT_SI_SJ_SK_E_clISD_PiSD_S10_EESH_SX_SI_SJ_SK_EUlSX_E1_NS1_11comp_targetILNS1_3genE2ELNS1_11target_archE906ELNS1_3gpuE6ELNS1_3repE0EEENS1_36merge_oddeven_config_static_selectorELNS0_4arch9wavefront6targetE1EEEvSJ_.uses_vcc, 0
	.set _ZN7rocprim17ROCPRIM_400000_NS6detail17trampoline_kernelINS0_14default_configENS1_38merge_sort_block_merge_config_selectorIiiEEZZNS1_27merge_sort_block_merge_implIS3_N6thrust23THRUST_200600_302600_NS6detail15normal_iteratorINS8_10device_ptrIiEEEESD_jNS1_19radix_merge_compareILb0ELb0EiNS0_19identity_decomposerEEEEE10hipError_tT0_T1_T2_jT3_P12ihipStream_tbPNSt15iterator_traitsISI_E10value_typeEPNSO_ISJ_E10value_typeEPSK_NS1_7vsmem_tEENKUlT_SI_SJ_SK_E_clISD_PiSD_S10_EESH_SX_SI_SJ_SK_EUlSX_E1_NS1_11comp_targetILNS1_3genE2ELNS1_11target_archE906ELNS1_3gpuE6ELNS1_3repE0EEENS1_36merge_oddeven_config_static_selectorELNS0_4arch9wavefront6targetE1EEEvSJ_.uses_flat_scratch, 0
	.set _ZN7rocprim17ROCPRIM_400000_NS6detail17trampoline_kernelINS0_14default_configENS1_38merge_sort_block_merge_config_selectorIiiEEZZNS1_27merge_sort_block_merge_implIS3_N6thrust23THRUST_200600_302600_NS6detail15normal_iteratorINS8_10device_ptrIiEEEESD_jNS1_19radix_merge_compareILb0ELb0EiNS0_19identity_decomposerEEEEE10hipError_tT0_T1_T2_jT3_P12ihipStream_tbPNSt15iterator_traitsISI_E10value_typeEPNSO_ISJ_E10value_typeEPSK_NS1_7vsmem_tEENKUlT_SI_SJ_SK_E_clISD_PiSD_S10_EESH_SX_SI_SJ_SK_EUlSX_E1_NS1_11comp_targetILNS1_3genE2ELNS1_11target_archE906ELNS1_3gpuE6ELNS1_3repE0EEENS1_36merge_oddeven_config_static_selectorELNS0_4arch9wavefront6targetE1EEEvSJ_.has_dyn_sized_stack, 0
	.set _ZN7rocprim17ROCPRIM_400000_NS6detail17trampoline_kernelINS0_14default_configENS1_38merge_sort_block_merge_config_selectorIiiEEZZNS1_27merge_sort_block_merge_implIS3_N6thrust23THRUST_200600_302600_NS6detail15normal_iteratorINS8_10device_ptrIiEEEESD_jNS1_19radix_merge_compareILb0ELb0EiNS0_19identity_decomposerEEEEE10hipError_tT0_T1_T2_jT3_P12ihipStream_tbPNSt15iterator_traitsISI_E10value_typeEPNSO_ISJ_E10value_typeEPSK_NS1_7vsmem_tEENKUlT_SI_SJ_SK_E_clISD_PiSD_S10_EESH_SX_SI_SJ_SK_EUlSX_E1_NS1_11comp_targetILNS1_3genE2ELNS1_11target_archE906ELNS1_3gpuE6ELNS1_3repE0EEENS1_36merge_oddeven_config_static_selectorELNS0_4arch9wavefront6targetE1EEEvSJ_.has_recursion, 0
	.set _ZN7rocprim17ROCPRIM_400000_NS6detail17trampoline_kernelINS0_14default_configENS1_38merge_sort_block_merge_config_selectorIiiEEZZNS1_27merge_sort_block_merge_implIS3_N6thrust23THRUST_200600_302600_NS6detail15normal_iteratorINS8_10device_ptrIiEEEESD_jNS1_19radix_merge_compareILb0ELb0EiNS0_19identity_decomposerEEEEE10hipError_tT0_T1_T2_jT3_P12ihipStream_tbPNSt15iterator_traitsISI_E10value_typeEPNSO_ISJ_E10value_typeEPSK_NS1_7vsmem_tEENKUlT_SI_SJ_SK_E_clISD_PiSD_S10_EESH_SX_SI_SJ_SK_EUlSX_E1_NS1_11comp_targetILNS1_3genE2ELNS1_11target_archE906ELNS1_3gpuE6ELNS1_3repE0EEENS1_36merge_oddeven_config_static_selectorELNS0_4arch9wavefront6targetE1EEEvSJ_.has_indirect_call, 0
	.section	.AMDGPU.csdata,"",@progbits
; Kernel info:
; codeLenInByte = 0
; TotalNumSgprs: 6
; NumVgprs: 0
; NumAgprs: 0
; TotalNumVgprs: 0
; ScratchSize: 0
; MemoryBound: 0
; FloatMode: 240
; IeeeMode: 1
; LDSByteSize: 0 bytes/workgroup (compile time only)
; SGPRBlocks: 0
; VGPRBlocks: 0
; NumSGPRsForWavesPerEU: 6
; NumVGPRsForWavesPerEU: 1
; AccumOffset: 4
; Occupancy: 8
; WaveLimiterHint : 0
; COMPUTE_PGM_RSRC2:SCRATCH_EN: 0
; COMPUTE_PGM_RSRC2:USER_SGPR: 2
; COMPUTE_PGM_RSRC2:TRAP_HANDLER: 0
; COMPUTE_PGM_RSRC2:TGID_X_EN: 1
; COMPUTE_PGM_RSRC2:TGID_Y_EN: 0
; COMPUTE_PGM_RSRC2:TGID_Z_EN: 0
; COMPUTE_PGM_RSRC2:TIDIG_COMP_CNT: 0
; COMPUTE_PGM_RSRC3_GFX90A:ACCUM_OFFSET: 0
; COMPUTE_PGM_RSRC3_GFX90A:TG_SPLIT: 0
	.section	.text._ZN7rocprim17ROCPRIM_400000_NS6detail17trampoline_kernelINS0_14default_configENS1_38merge_sort_block_merge_config_selectorIiiEEZZNS1_27merge_sort_block_merge_implIS3_N6thrust23THRUST_200600_302600_NS6detail15normal_iteratorINS8_10device_ptrIiEEEESD_jNS1_19radix_merge_compareILb0ELb0EiNS0_19identity_decomposerEEEEE10hipError_tT0_T1_T2_jT3_P12ihipStream_tbPNSt15iterator_traitsISI_E10value_typeEPNSO_ISJ_E10value_typeEPSK_NS1_7vsmem_tEENKUlT_SI_SJ_SK_E_clISD_PiSD_S10_EESH_SX_SI_SJ_SK_EUlSX_E1_NS1_11comp_targetILNS1_3genE9ELNS1_11target_archE1100ELNS1_3gpuE3ELNS1_3repE0EEENS1_36merge_oddeven_config_static_selectorELNS0_4arch9wavefront6targetE1EEEvSJ_,"axG",@progbits,_ZN7rocprim17ROCPRIM_400000_NS6detail17trampoline_kernelINS0_14default_configENS1_38merge_sort_block_merge_config_selectorIiiEEZZNS1_27merge_sort_block_merge_implIS3_N6thrust23THRUST_200600_302600_NS6detail15normal_iteratorINS8_10device_ptrIiEEEESD_jNS1_19radix_merge_compareILb0ELb0EiNS0_19identity_decomposerEEEEE10hipError_tT0_T1_T2_jT3_P12ihipStream_tbPNSt15iterator_traitsISI_E10value_typeEPNSO_ISJ_E10value_typeEPSK_NS1_7vsmem_tEENKUlT_SI_SJ_SK_E_clISD_PiSD_S10_EESH_SX_SI_SJ_SK_EUlSX_E1_NS1_11comp_targetILNS1_3genE9ELNS1_11target_archE1100ELNS1_3gpuE3ELNS1_3repE0EEENS1_36merge_oddeven_config_static_selectorELNS0_4arch9wavefront6targetE1EEEvSJ_,comdat
	.protected	_ZN7rocprim17ROCPRIM_400000_NS6detail17trampoline_kernelINS0_14default_configENS1_38merge_sort_block_merge_config_selectorIiiEEZZNS1_27merge_sort_block_merge_implIS3_N6thrust23THRUST_200600_302600_NS6detail15normal_iteratorINS8_10device_ptrIiEEEESD_jNS1_19radix_merge_compareILb0ELb0EiNS0_19identity_decomposerEEEEE10hipError_tT0_T1_T2_jT3_P12ihipStream_tbPNSt15iterator_traitsISI_E10value_typeEPNSO_ISJ_E10value_typeEPSK_NS1_7vsmem_tEENKUlT_SI_SJ_SK_E_clISD_PiSD_S10_EESH_SX_SI_SJ_SK_EUlSX_E1_NS1_11comp_targetILNS1_3genE9ELNS1_11target_archE1100ELNS1_3gpuE3ELNS1_3repE0EEENS1_36merge_oddeven_config_static_selectorELNS0_4arch9wavefront6targetE1EEEvSJ_ ; -- Begin function _ZN7rocprim17ROCPRIM_400000_NS6detail17trampoline_kernelINS0_14default_configENS1_38merge_sort_block_merge_config_selectorIiiEEZZNS1_27merge_sort_block_merge_implIS3_N6thrust23THRUST_200600_302600_NS6detail15normal_iteratorINS8_10device_ptrIiEEEESD_jNS1_19radix_merge_compareILb0ELb0EiNS0_19identity_decomposerEEEEE10hipError_tT0_T1_T2_jT3_P12ihipStream_tbPNSt15iterator_traitsISI_E10value_typeEPNSO_ISJ_E10value_typeEPSK_NS1_7vsmem_tEENKUlT_SI_SJ_SK_E_clISD_PiSD_S10_EESH_SX_SI_SJ_SK_EUlSX_E1_NS1_11comp_targetILNS1_3genE9ELNS1_11target_archE1100ELNS1_3gpuE3ELNS1_3repE0EEENS1_36merge_oddeven_config_static_selectorELNS0_4arch9wavefront6targetE1EEEvSJ_
	.globl	_ZN7rocprim17ROCPRIM_400000_NS6detail17trampoline_kernelINS0_14default_configENS1_38merge_sort_block_merge_config_selectorIiiEEZZNS1_27merge_sort_block_merge_implIS3_N6thrust23THRUST_200600_302600_NS6detail15normal_iteratorINS8_10device_ptrIiEEEESD_jNS1_19radix_merge_compareILb0ELb0EiNS0_19identity_decomposerEEEEE10hipError_tT0_T1_T2_jT3_P12ihipStream_tbPNSt15iterator_traitsISI_E10value_typeEPNSO_ISJ_E10value_typeEPSK_NS1_7vsmem_tEENKUlT_SI_SJ_SK_E_clISD_PiSD_S10_EESH_SX_SI_SJ_SK_EUlSX_E1_NS1_11comp_targetILNS1_3genE9ELNS1_11target_archE1100ELNS1_3gpuE3ELNS1_3repE0EEENS1_36merge_oddeven_config_static_selectorELNS0_4arch9wavefront6targetE1EEEvSJ_
	.p2align	8
	.type	_ZN7rocprim17ROCPRIM_400000_NS6detail17trampoline_kernelINS0_14default_configENS1_38merge_sort_block_merge_config_selectorIiiEEZZNS1_27merge_sort_block_merge_implIS3_N6thrust23THRUST_200600_302600_NS6detail15normal_iteratorINS8_10device_ptrIiEEEESD_jNS1_19radix_merge_compareILb0ELb0EiNS0_19identity_decomposerEEEEE10hipError_tT0_T1_T2_jT3_P12ihipStream_tbPNSt15iterator_traitsISI_E10value_typeEPNSO_ISJ_E10value_typeEPSK_NS1_7vsmem_tEENKUlT_SI_SJ_SK_E_clISD_PiSD_S10_EESH_SX_SI_SJ_SK_EUlSX_E1_NS1_11comp_targetILNS1_3genE9ELNS1_11target_archE1100ELNS1_3gpuE3ELNS1_3repE0EEENS1_36merge_oddeven_config_static_selectorELNS0_4arch9wavefront6targetE1EEEvSJ_,@function
_ZN7rocprim17ROCPRIM_400000_NS6detail17trampoline_kernelINS0_14default_configENS1_38merge_sort_block_merge_config_selectorIiiEEZZNS1_27merge_sort_block_merge_implIS3_N6thrust23THRUST_200600_302600_NS6detail15normal_iteratorINS8_10device_ptrIiEEEESD_jNS1_19radix_merge_compareILb0ELb0EiNS0_19identity_decomposerEEEEE10hipError_tT0_T1_T2_jT3_P12ihipStream_tbPNSt15iterator_traitsISI_E10value_typeEPNSO_ISJ_E10value_typeEPSK_NS1_7vsmem_tEENKUlT_SI_SJ_SK_E_clISD_PiSD_S10_EESH_SX_SI_SJ_SK_EUlSX_E1_NS1_11comp_targetILNS1_3genE9ELNS1_11target_archE1100ELNS1_3gpuE3ELNS1_3repE0EEENS1_36merge_oddeven_config_static_selectorELNS0_4arch9wavefront6targetE1EEEvSJ_: ; @_ZN7rocprim17ROCPRIM_400000_NS6detail17trampoline_kernelINS0_14default_configENS1_38merge_sort_block_merge_config_selectorIiiEEZZNS1_27merge_sort_block_merge_implIS3_N6thrust23THRUST_200600_302600_NS6detail15normal_iteratorINS8_10device_ptrIiEEEESD_jNS1_19radix_merge_compareILb0ELb0EiNS0_19identity_decomposerEEEEE10hipError_tT0_T1_T2_jT3_P12ihipStream_tbPNSt15iterator_traitsISI_E10value_typeEPNSO_ISJ_E10value_typeEPSK_NS1_7vsmem_tEENKUlT_SI_SJ_SK_E_clISD_PiSD_S10_EESH_SX_SI_SJ_SK_EUlSX_E1_NS1_11comp_targetILNS1_3genE9ELNS1_11target_archE1100ELNS1_3gpuE3ELNS1_3repE0EEENS1_36merge_oddeven_config_static_selectorELNS0_4arch9wavefront6targetE1EEEvSJ_
; %bb.0:
	.section	.rodata,"a",@progbits
	.p2align	6, 0x0
	.amdhsa_kernel _ZN7rocprim17ROCPRIM_400000_NS6detail17trampoline_kernelINS0_14default_configENS1_38merge_sort_block_merge_config_selectorIiiEEZZNS1_27merge_sort_block_merge_implIS3_N6thrust23THRUST_200600_302600_NS6detail15normal_iteratorINS8_10device_ptrIiEEEESD_jNS1_19radix_merge_compareILb0ELb0EiNS0_19identity_decomposerEEEEE10hipError_tT0_T1_T2_jT3_P12ihipStream_tbPNSt15iterator_traitsISI_E10value_typeEPNSO_ISJ_E10value_typeEPSK_NS1_7vsmem_tEENKUlT_SI_SJ_SK_E_clISD_PiSD_S10_EESH_SX_SI_SJ_SK_EUlSX_E1_NS1_11comp_targetILNS1_3genE9ELNS1_11target_archE1100ELNS1_3gpuE3ELNS1_3repE0EEENS1_36merge_oddeven_config_static_selectorELNS0_4arch9wavefront6targetE1EEEvSJ_
		.amdhsa_group_segment_fixed_size 0
		.amdhsa_private_segment_fixed_size 0
		.amdhsa_kernarg_size 48
		.amdhsa_user_sgpr_count 2
		.amdhsa_user_sgpr_dispatch_ptr 0
		.amdhsa_user_sgpr_queue_ptr 0
		.amdhsa_user_sgpr_kernarg_segment_ptr 1
		.amdhsa_user_sgpr_dispatch_id 0
		.amdhsa_user_sgpr_kernarg_preload_length 0
		.amdhsa_user_sgpr_kernarg_preload_offset 0
		.amdhsa_user_sgpr_private_segment_size 0
		.amdhsa_uses_dynamic_stack 0
		.amdhsa_enable_private_segment 0
		.amdhsa_system_sgpr_workgroup_id_x 1
		.amdhsa_system_sgpr_workgroup_id_y 0
		.amdhsa_system_sgpr_workgroup_id_z 0
		.amdhsa_system_sgpr_workgroup_info 0
		.amdhsa_system_vgpr_workitem_id 0
		.amdhsa_next_free_vgpr 1
		.amdhsa_next_free_sgpr 0
		.amdhsa_accum_offset 4
		.amdhsa_reserve_vcc 0
		.amdhsa_float_round_mode_32 0
		.amdhsa_float_round_mode_16_64 0
		.amdhsa_float_denorm_mode_32 3
		.amdhsa_float_denorm_mode_16_64 3
		.amdhsa_dx10_clamp 1
		.amdhsa_ieee_mode 1
		.amdhsa_fp16_overflow 0
		.amdhsa_tg_split 0
		.amdhsa_exception_fp_ieee_invalid_op 0
		.amdhsa_exception_fp_denorm_src 0
		.amdhsa_exception_fp_ieee_div_zero 0
		.amdhsa_exception_fp_ieee_overflow 0
		.amdhsa_exception_fp_ieee_underflow 0
		.amdhsa_exception_fp_ieee_inexact 0
		.amdhsa_exception_int_div_zero 0
	.end_amdhsa_kernel
	.section	.text._ZN7rocprim17ROCPRIM_400000_NS6detail17trampoline_kernelINS0_14default_configENS1_38merge_sort_block_merge_config_selectorIiiEEZZNS1_27merge_sort_block_merge_implIS3_N6thrust23THRUST_200600_302600_NS6detail15normal_iteratorINS8_10device_ptrIiEEEESD_jNS1_19radix_merge_compareILb0ELb0EiNS0_19identity_decomposerEEEEE10hipError_tT0_T1_T2_jT3_P12ihipStream_tbPNSt15iterator_traitsISI_E10value_typeEPNSO_ISJ_E10value_typeEPSK_NS1_7vsmem_tEENKUlT_SI_SJ_SK_E_clISD_PiSD_S10_EESH_SX_SI_SJ_SK_EUlSX_E1_NS1_11comp_targetILNS1_3genE9ELNS1_11target_archE1100ELNS1_3gpuE3ELNS1_3repE0EEENS1_36merge_oddeven_config_static_selectorELNS0_4arch9wavefront6targetE1EEEvSJ_,"axG",@progbits,_ZN7rocprim17ROCPRIM_400000_NS6detail17trampoline_kernelINS0_14default_configENS1_38merge_sort_block_merge_config_selectorIiiEEZZNS1_27merge_sort_block_merge_implIS3_N6thrust23THRUST_200600_302600_NS6detail15normal_iteratorINS8_10device_ptrIiEEEESD_jNS1_19radix_merge_compareILb0ELb0EiNS0_19identity_decomposerEEEEE10hipError_tT0_T1_T2_jT3_P12ihipStream_tbPNSt15iterator_traitsISI_E10value_typeEPNSO_ISJ_E10value_typeEPSK_NS1_7vsmem_tEENKUlT_SI_SJ_SK_E_clISD_PiSD_S10_EESH_SX_SI_SJ_SK_EUlSX_E1_NS1_11comp_targetILNS1_3genE9ELNS1_11target_archE1100ELNS1_3gpuE3ELNS1_3repE0EEENS1_36merge_oddeven_config_static_selectorELNS0_4arch9wavefront6targetE1EEEvSJ_,comdat
.Lfunc_end1333:
	.size	_ZN7rocprim17ROCPRIM_400000_NS6detail17trampoline_kernelINS0_14default_configENS1_38merge_sort_block_merge_config_selectorIiiEEZZNS1_27merge_sort_block_merge_implIS3_N6thrust23THRUST_200600_302600_NS6detail15normal_iteratorINS8_10device_ptrIiEEEESD_jNS1_19radix_merge_compareILb0ELb0EiNS0_19identity_decomposerEEEEE10hipError_tT0_T1_T2_jT3_P12ihipStream_tbPNSt15iterator_traitsISI_E10value_typeEPNSO_ISJ_E10value_typeEPSK_NS1_7vsmem_tEENKUlT_SI_SJ_SK_E_clISD_PiSD_S10_EESH_SX_SI_SJ_SK_EUlSX_E1_NS1_11comp_targetILNS1_3genE9ELNS1_11target_archE1100ELNS1_3gpuE3ELNS1_3repE0EEENS1_36merge_oddeven_config_static_selectorELNS0_4arch9wavefront6targetE1EEEvSJ_, .Lfunc_end1333-_ZN7rocprim17ROCPRIM_400000_NS6detail17trampoline_kernelINS0_14default_configENS1_38merge_sort_block_merge_config_selectorIiiEEZZNS1_27merge_sort_block_merge_implIS3_N6thrust23THRUST_200600_302600_NS6detail15normal_iteratorINS8_10device_ptrIiEEEESD_jNS1_19radix_merge_compareILb0ELb0EiNS0_19identity_decomposerEEEEE10hipError_tT0_T1_T2_jT3_P12ihipStream_tbPNSt15iterator_traitsISI_E10value_typeEPNSO_ISJ_E10value_typeEPSK_NS1_7vsmem_tEENKUlT_SI_SJ_SK_E_clISD_PiSD_S10_EESH_SX_SI_SJ_SK_EUlSX_E1_NS1_11comp_targetILNS1_3genE9ELNS1_11target_archE1100ELNS1_3gpuE3ELNS1_3repE0EEENS1_36merge_oddeven_config_static_selectorELNS0_4arch9wavefront6targetE1EEEvSJ_
                                        ; -- End function
	.set _ZN7rocprim17ROCPRIM_400000_NS6detail17trampoline_kernelINS0_14default_configENS1_38merge_sort_block_merge_config_selectorIiiEEZZNS1_27merge_sort_block_merge_implIS3_N6thrust23THRUST_200600_302600_NS6detail15normal_iteratorINS8_10device_ptrIiEEEESD_jNS1_19radix_merge_compareILb0ELb0EiNS0_19identity_decomposerEEEEE10hipError_tT0_T1_T2_jT3_P12ihipStream_tbPNSt15iterator_traitsISI_E10value_typeEPNSO_ISJ_E10value_typeEPSK_NS1_7vsmem_tEENKUlT_SI_SJ_SK_E_clISD_PiSD_S10_EESH_SX_SI_SJ_SK_EUlSX_E1_NS1_11comp_targetILNS1_3genE9ELNS1_11target_archE1100ELNS1_3gpuE3ELNS1_3repE0EEENS1_36merge_oddeven_config_static_selectorELNS0_4arch9wavefront6targetE1EEEvSJ_.num_vgpr, 0
	.set _ZN7rocprim17ROCPRIM_400000_NS6detail17trampoline_kernelINS0_14default_configENS1_38merge_sort_block_merge_config_selectorIiiEEZZNS1_27merge_sort_block_merge_implIS3_N6thrust23THRUST_200600_302600_NS6detail15normal_iteratorINS8_10device_ptrIiEEEESD_jNS1_19radix_merge_compareILb0ELb0EiNS0_19identity_decomposerEEEEE10hipError_tT0_T1_T2_jT3_P12ihipStream_tbPNSt15iterator_traitsISI_E10value_typeEPNSO_ISJ_E10value_typeEPSK_NS1_7vsmem_tEENKUlT_SI_SJ_SK_E_clISD_PiSD_S10_EESH_SX_SI_SJ_SK_EUlSX_E1_NS1_11comp_targetILNS1_3genE9ELNS1_11target_archE1100ELNS1_3gpuE3ELNS1_3repE0EEENS1_36merge_oddeven_config_static_selectorELNS0_4arch9wavefront6targetE1EEEvSJ_.num_agpr, 0
	.set _ZN7rocprim17ROCPRIM_400000_NS6detail17trampoline_kernelINS0_14default_configENS1_38merge_sort_block_merge_config_selectorIiiEEZZNS1_27merge_sort_block_merge_implIS3_N6thrust23THRUST_200600_302600_NS6detail15normal_iteratorINS8_10device_ptrIiEEEESD_jNS1_19radix_merge_compareILb0ELb0EiNS0_19identity_decomposerEEEEE10hipError_tT0_T1_T2_jT3_P12ihipStream_tbPNSt15iterator_traitsISI_E10value_typeEPNSO_ISJ_E10value_typeEPSK_NS1_7vsmem_tEENKUlT_SI_SJ_SK_E_clISD_PiSD_S10_EESH_SX_SI_SJ_SK_EUlSX_E1_NS1_11comp_targetILNS1_3genE9ELNS1_11target_archE1100ELNS1_3gpuE3ELNS1_3repE0EEENS1_36merge_oddeven_config_static_selectorELNS0_4arch9wavefront6targetE1EEEvSJ_.numbered_sgpr, 0
	.set _ZN7rocprim17ROCPRIM_400000_NS6detail17trampoline_kernelINS0_14default_configENS1_38merge_sort_block_merge_config_selectorIiiEEZZNS1_27merge_sort_block_merge_implIS3_N6thrust23THRUST_200600_302600_NS6detail15normal_iteratorINS8_10device_ptrIiEEEESD_jNS1_19radix_merge_compareILb0ELb0EiNS0_19identity_decomposerEEEEE10hipError_tT0_T1_T2_jT3_P12ihipStream_tbPNSt15iterator_traitsISI_E10value_typeEPNSO_ISJ_E10value_typeEPSK_NS1_7vsmem_tEENKUlT_SI_SJ_SK_E_clISD_PiSD_S10_EESH_SX_SI_SJ_SK_EUlSX_E1_NS1_11comp_targetILNS1_3genE9ELNS1_11target_archE1100ELNS1_3gpuE3ELNS1_3repE0EEENS1_36merge_oddeven_config_static_selectorELNS0_4arch9wavefront6targetE1EEEvSJ_.num_named_barrier, 0
	.set _ZN7rocprim17ROCPRIM_400000_NS6detail17trampoline_kernelINS0_14default_configENS1_38merge_sort_block_merge_config_selectorIiiEEZZNS1_27merge_sort_block_merge_implIS3_N6thrust23THRUST_200600_302600_NS6detail15normal_iteratorINS8_10device_ptrIiEEEESD_jNS1_19radix_merge_compareILb0ELb0EiNS0_19identity_decomposerEEEEE10hipError_tT0_T1_T2_jT3_P12ihipStream_tbPNSt15iterator_traitsISI_E10value_typeEPNSO_ISJ_E10value_typeEPSK_NS1_7vsmem_tEENKUlT_SI_SJ_SK_E_clISD_PiSD_S10_EESH_SX_SI_SJ_SK_EUlSX_E1_NS1_11comp_targetILNS1_3genE9ELNS1_11target_archE1100ELNS1_3gpuE3ELNS1_3repE0EEENS1_36merge_oddeven_config_static_selectorELNS0_4arch9wavefront6targetE1EEEvSJ_.private_seg_size, 0
	.set _ZN7rocprim17ROCPRIM_400000_NS6detail17trampoline_kernelINS0_14default_configENS1_38merge_sort_block_merge_config_selectorIiiEEZZNS1_27merge_sort_block_merge_implIS3_N6thrust23THRUST_200600_302600_NS6detail15normal_iteratorINS8_10device_ptrIiEEEESD_jNS1_19radix_merge_compareILb0ELb0EiNS0_19identity_decomposerEEEEE10hipError_tT0_T1_T2_jT3_P12ihipStream_tbPNSt15iterator_traitsISI_E10value_typeEPNSO_ISJ_E10value_typeEPSK_NS1_7vsmem_tEENKUlT_SI_SJ_SK_E_clISD_PiSD_S10_EESH_SX_SI_SJ_SK_EUlSX_E1_NS1_11comp_targetILNS1_3genE9ELNS1_11target_archE1100ELNS1_3gpuE3ELNS1_3repE0EEENS1_36merge_oddeven_config_static_selectorELNS0_4arch9wavefront6targetE1EEEvSJ_.uses_vcc, 0
	.set _ZN7rocprim17ROCPRIM_400000_NS6detail17trampoline_kernelINS0_14default_configENS1_38merge_sort_block_merge_config_selectorIiiEEZZNS1_27merge_sort_block_merge_implIS3_N6thrust23THRUST_200600_302600_NS6detail15normal_iteratorINS8_10device_ptrIiEEEESD_jNS1_19radix_merge_compareILb0ELb0EiNS0_19identity_decomposerEEEEE10hipError_tT0_T1_T2_jT3_P12ihipStream_tbPNSt15iterator_traitsISI_E10value_typeEPNSO_ISJ_E10value_typeEPSK_NS1_7vsmem_tEENKUlT_SI_SJ_SK_E_clISD_PiSD_S10_EESH_SX_SI_SJ_SK_EUlSX_E1_NS1_11comp_targetILNS1_3genE9ELNS1_11target_archE1100ELNS1_3gpuE3ELNS1_3repE0EEENS1_36merge_oddeven_config_static_selectorELNS0_4arch9wavefront6targetE1EEEvSJ_.uses_flat_scratch, 0
	.set _ZN7rocprim17ROCPRIM_400000_NS6detail17trampoline_kernelINS0_14default_configENS1_38merge_sort_block_merge_config_selectorIiiEEZZNS1_27merge_sort_block_merge_implIS3_N6thrust23THRUST_200600_302600_NS6detail15normal_iteratorINS8_10device_ptrIiEEEESD_jNS1_19radix_merge_compareILb0ELb0EiNS0_19identity_decomposerEEEEE10hipError_tT0_T1_T2_jT3_P12ihipStream_tbPNSt15iterator_traitsISI_E10value_typeEPNSO_ISJ_E10value_typeEPSK_NS1_7vsmem_tEENKUlT_SI_SJ_SK_E_clISD_PiSD_S10_EESH_SX_SI_SJ_SK_EUlSX_E1_NS1_11comp_targetILNS1_3genE9ELNS1_11target_archE1100ELNS1_3gpuE3ELNS1_3repE0EEENS1_36merge_oddeven_config_static_selectorELNS0_4arch9wavefront6targetE1EEEvSJ_.has_dyn_sized_stack, 0
	.set _ZN7rocprim17ROCPRIM_400000_NS6detail17trampoline_kernelINS0_14default_configENS1_38merge_sort_block_merge_config_selectorIiiEEZZNS1_27merge_sort_block_merge_implIS3_N6thrust23THRUST_200600_302600_NS6detail15normal_iteratorINS8_10device_ptrIiEEEESD_jNS1_19radix_merge_compareILb0ELb0EiNS0_19identity_decomposerEEEEE10hipError_tT0_T1_T2_jT3_P12ihipStream_tbPNSt15iterator_traitsISI_E10value_typeEPNSO_ISJ_E10value_typeEPSK_NS1_7vsmem_tEENKUlT_SI_SJ_SK_E_clISD_PiSD_S10_EESH_SX_SI_SJ_SK_EUlSX_E1_NS1_11comp_targetILNS1_3genE9ELNS1_11target_archE1100ELNS1_3gpuE3ELNS1_3repE0EEENS1_36merge_oddeven_config_static_selectorELNS0_4arch9wavefront6targetE1EEEvSJ_.has_recursion, 0
	.set _ZN7rocprim17ROCPRIM_400000_NS6detail17trampoline_kernelINS0_14default_configENS1_38merge_sort_block_merge_config_selectorIiiEEZZNS1_27merge_sort_block_merge_implIS3_N6thrust23THRUST_200600_302600_NS6detail15normal_iteratorINS8_10device_ptrIiEEEESD_jNS1_19radix_merge_compareILb0ELb0EiNS0_19identity_decomposerEEEEE10hipError_tT0_T1_T2_jT3_P12ihipStream_tbPNSt15iterator_traitsISI_E10value_typeEPNSO_ISJ_E10value_typeEPSK_NS1_7vsmem_tEENKUlT_SI_SJ_SK_E_clISD_PiSD_S10_EESH_SX_SI_SJ_SK_EUlSX_E1_NS1_11comp_targetILNS1_3genE9ELNS1_11target_archE1100ELNS1_3gpuE3ELNS1_3repE0EEENS1_36merge_oddeven_config_static_selectorELNS0_4arch9wavefront6targetE1EEEvSJ_.has_indirect_call, 0
	.section	.AMDGPU.csdata,"",@progbits
; Kernel info:
; codeLenInByte = 0
; TotalNumSgprs: 6
; NumVgprs: 0
; NumAgprs: 0
; TotalNumVgprs: 0
; ScratchSize: 0
; MemoryBound: 0
; FloatMode: 240
; IeeeMode: 1
; LDSByteSize: 0 bytes/workgroup (compile time only)
; SGPRBlocks: 0
; VGPRBlocks: 0
; NumSGPRsForWavesPerEU: 6
; NumVGPRsForWavesPerEU: 1
; AccumOffset: 4
; Occupancy: 8
; WaveLimiterHint : 0
; COMPUTE_PGM_RSRC2:SCRATCH_EN: 0
; COMPUTE_PGM_RSRC2:USER_SGPR: 2
; COMPUTE_PGM_RSRC2:TRAP_HANDLER: 0
; COMPUTE_PGM_RSRC2:TGID_X_EN: 1
; COMPUTE_PGM_RSRC2:TGID_Y_EN: 0
; COMPUTE_PGM_RSRC2:TGID_Z_EN: 0
; COMPUTE_PGM_RSRC2:TIDIG_COMP_CNT: 0
; COMPUTE_PGM_RSRC3_GFX90A:ACCUM_OFFSET: 0
; COMPUTE_PGM_RSRC3_GFX90A:TG_SPLIT: 0
	.section	.text._ZN7rocprim17ROCPRIM_400000_NS6detail17trampoline_kernelINS0_14default_configENS1_38merge_sort_block_merge_config_selectorIiiEEZZNS1_27merge_sort_block_merge_implIS3_N6thrust23THRUST_200600_302600_NS6detail15normal_iteratorINS8_10device_ptrIiEEEESD_jNS1_19radix_merge_compareILb0ELb0EiNS0_19identity_decomposerEEEEE10hipError_tT0_T1_T2_jT3_P12ihipStream_tbPNSt15iterator_traitsISI_E10value_typeEPNSO_ISJ_E10value_typeEPSK_NS1_7vsmem_tEENKUlT_SI_SJ_SK_E_clISD_PiSD_S10_EESH_SX_SI_SJ_SK_EUlSX_E1_NS1_11comp_targetILNS1_3genE8ELNS1_11target_archE1030ELNS1_3gpuE2ELNS1_3repE0EEENS1_36merge_oddeven_config_static_selectorELNS0_4arch9wavefront6targetE1EEEvSJ_,"axG",@progbits,_ZN7rocprim17ROCPRIM_400000_NS6detail17trampoline_kernelINS0_14default_configENS1_38merge_sort_block_merge_config_selectorIiiEEZZNS1_27merge_sort_block_merge_implIS3_N6thrust23THRUST_200600_302600_NS6detail15normal_iteratorINS8_10device_ptrIiEEEESD_jNS1_19radix_merge_compareILb0ELb0EiNS0_19identity_decomposerEEEEE10hipError_tT0_T1_T2_jT3_P12ihipStream_tbPNSt15iterator_traitsISI_E10value_typeEPNSO_ISJ_E10value_typeEPSK_NS1_7vsmem_tEENKUlT_SI_SJ_SK_E_clISD_PiSD_S10_EESH_SX_SI_SJ_SK_EUlSX_E1_NS1_11comp_targetILNS1_3genE8ELNS1_11target_archE1030ELNS1_3gpuE2ELNS1_3repE0EEENS1_36merge_oddeven_config_static_selectorELNS0_4arch9wavefront6targetE1EEEvSJ_,comdat
	.protected	_ZN7rocprim17ROCPRIM_400000_NS6detail17trampoline_kernelINS0_14default_configENS1_38merge_sort_block_merge_config_selectorIiiEEZZNS1_27merge_sort_block_merge_implIS3_N6thrust23THRUST_200600_302600_NS6detail15normal_iteratorINS8_10device_ptrIiEEEESD_jNS1_19radix_merge_compareILb0ELb0EiNS0_19identity_decomposerEEEEE10hipError_tT0_T1_T2_jT3_P12ihipStream_tbPNSt15iterator_traitsISI_E10value_typeEPNSO_ISJ_E10value_typeEPSK_NS1_7vsmem_tEENKUlT_SI_SJ_SK_E_clISD_PiSD_S10_EESH_SX_SI_SJ_SK_EUlSX_E1_NS1_11comp_targetILNS1_3genE8ELNS1_11target_archE1030ELNS1_3gpuE2ELNS1_3repE0EEENS1_36merge_oddeven_config_static_selectorELNS0_4arch9wavefront6targetE1EEEvSJ_ ; -- Begin function _ZN7rocprim17ROCPRIM_400000_NS6detail17trampoline_kernelINS0_14default_configENS1_38merge_sort_block_merge_config_selectorIiiEEZZNS1_27merge_sort_block_merge_implIS3_N6thrust23THRUST_200600_302600_NS6detail15normal_iteratorINS8_10device_ptrIiEEEESD_jNS1_19radix_merge_compareILb0ELb0EiNS0_19identity_decomposerEEEEE10hipError_tT0_T1_T2_jT3_P12ihipStream_tbPNSt15iterator_traitsISI_E10value_typeEPNSO_ISJ_E10value_typeEPSK_NS1_7vsmem_tEENKUlT_SI_SJ_SK_E_clISD_PiSD_S10_EESH_SX_SI_SJ_SK_EUlSX_E1_NS1_11comp_targetILNS1_3genE8ELNS1_11target_archE1030ELNS1_3gpuE2ELNS1_3repE0EEENS1_36merge_oddeven_config_static_selectorELNS0_4arch9wavefront6targetE1EEEvSJ_
	.globl	_ZN7rocprim17ROCPRIM_400000_NS6detail17trampoline_kernelINS0_14default_configENS1_38merge_sort_block_merge_config_selectorIiiEEZZNS1_27merge_sort_block_merge_implIS3_N6thrust23THRUST_200600_302600_NS6detail15normal_iteratorINS8_10device_ptrIiEEEESD_jNS1_19radix_merge_compareILb0ELb0EiNS0_19identity_decomposerEEEEE10hipError_tT0_T1_T2_jT3_P12ihipStream_tbPNSt15iterator_traitsISI_E10value_typeEPNSO_ISJ_E10value_typeEPSK_NS1_7vsmem_tEENKUlT_SI_SJ_SK_E_clISD_PiSD_S10_EESH_SX_SI_SJ_SK_EUlSX_E1_NS1_11comp_targetILNS1_3genE8ELNS1_11target_archE1030ELNS1_3gpuE2ELNS1_3repE0EEENS1_36merge_oddeven_config_static_selectorELNS0_4arch9wavefront6targetE1EEEvSJ_
	.p2align	8
	.type	_ZN7rocprim17ROCPRIM_400000_NS6detail17trampoline_kernelINS0_14default_configENS1_38merge_sort_block_merge_config_selectorIiiEEZZNS1_27merge_sort_block_merge_implIS3_N6thrust23THRUST_200600_302600_NS6detail15normal_iteratorINS8_10device_ptrIiEEEESD_jNS1_19radix_merge_compareILb0ELb0EiNS0_19identity_decomposerEEEEE10hipError_tT0_T1_T2_jT3_P12ihipStream_tbPNSt15iterator_traitsISI_E10value_typeEPNSO_ISJ_E10value_typeEPSK_NS1_7vsmem_tEENKUlT_SI_SJ_SK_E_clISD_PiSD_S10_EESH_SX_SI_SJ_SK_EUlSX_E1_NS1_11comp_targetILNS1_3genE8ELNS1_11target_archE1030ELNS1_3gpuE2ELNS1_3repE0EEENS1_36merge_oddeven_config_static_selectorELNS0_4arch9wavefront6targetE1EEEvSJ_,@function
_ZN7rocprim17ROCPRIM_400000_NS6detail17trampoline_kernelINS0_14default_configENS1_38merge_sort_block_merge_config_selectorIiiEEZZNS1_27merge_sort_block_merge_implIS3_N6thrust23THRUST_200600_302600_NS6detail15normal_iteratorINS8_10device_ptrIiEEEESD_jNS1_19radix_merge_compareILb0ELb0EiNS0_19identity_decomposerEEEEE10hipError_tT0_T1_T2_jT3_P12ihipStream_tbPNSt15iterator_traitsISI_E10value_typeEPNSO_ISJ_E10value_typeEPSK_NS1_7vsmem_tEENKUlT_SI_SJ_SK_E_clISD_PiSD_S10_EESH_SX_SI_SJ_SK_EUlSX_E1_NS1_11comp_targetILNS1_3genE8ELNS1_11target_archE1030ELNS1_3gpuE2ELNS1_3repE0EEENS1_36merge_oddeven_config_static_selectorELNS0_4arch9wavefront6targetE1EEEvSJ_: ; @_ZN7rocprim17ROCPRIM_400000_NS6detail17trampoline_kernelINS0_14default_configENS1_38merge_sort_block_merge_config_selectorIiiEEZZNS1_27merge_sort_block_merge_implIS3_N6thrust23THRUST_200600_302600_NS6detail15normal_iteratorINS8_10device_ptrIiEEEESD_jNS1_19radix_merge_compareILb0ELb0EiNS0_19identity_decomposerEEEEE10hipError_tT0_T1_T2_jT3_P12ihipStream_tbPNSt15iterator_traitsISI_E10value_typeEPNSO_ISJ_E10value_typeEPSK_NS1_7vsmem_tEENKUlT_SI_SJ_SK_E_clISD_PiSD_S10_EESH_SX_SI_SJ_SK_EUlSX_E1_NS1_11comp_targetILNS1_3genE8ELNS1_11target_archE1030ELNS1_3gpuE2ELNS1_3repE0EEENS1_36merge_oddeven_config_static_selectorELNS0_4arch9wavefront6targetE1EEEvSJ_
; %bb.0:
	.section	.rodata,"a",@progbits
	.p2align	6, 0x0
	.amdhsa_kernel _ZN7rocprim17ROCPRIM_400000_NS6detail17trampoline_kernelINS0_14default_configENS1_38merge_sort_block_merge_config_selectorIiiEEZZNS1_27merge_sort_block_merge_implIS3_N6thrust23THRUST_200600_302600_NS6detail15normal_iteratorINS8_10device_ptrIiEEEESD_jNS1_19radix_merge_compareILb0ELb0EiNS0_19identity_decomposerEEEEE10hipError_tT0_T1_T2_jT3_P12ihipStream_tbPNSt15iterator_traitsISI_E10value_typeEPNSO_ISJ_E10value_typeEPSK_NS1_7vsmem_tEENKUlT_SI_SJ_SK_E_clISD_PiSD_S10_EESH_SX_SI_SJ_SK_EUlSX_E1_NS1_11comp_targetILNS1_3genE8ELNS1_11target_archE1030ELNS1_3gpuE2ELNS1_3repE0EEENS1_36merge_oddeven_config_static_selectorELNS0_4arch9wavefront6targetE1EEEvSJ_
		.amdhsa_group_segment_fixed_size 0
		.amdhsa_private_segment_fixed_size 0
		.amdhsa_kernarg_size 48
		.amdhsa_user_sgpr_count 2
		.amdhsa_user_sgpr_dispatch_ptr 0
		.amdhsa_user_sgpr_queue_ptr 0
		.amdhsa_user_sgpr_kernarg_segment_ptr 1
		.amdhsa_user_sgpr_dispatch_id 0
		.amdhsa_user_sgpr_kernarg_preload_length 0
		.amdhsa_user_sgpr_kernarg_preload_offset 0
		.amdhsa_user_sgpr_private_segment_size 0
		.amdhsa_uses_dynamic_stack 0
		.amdhsa_enable_private_segment 0
		.amdhsa_system_sgpr_workgroup_id_x 1
		.amdhsa_system_sgpr_workgroup_id_y 0
		.amdhsa_system_sgpr_workgroup_id_z 0
		.amdhsa_system_sgpr_workgroup_info 0
		.amdhsa_system_vgpr_workitem_id 0
		.amdhsa_next_free_vgpr 1
		.amdhsa_next_free_sgpr 0
		.amdhsa_accum_offset 4
		.amdhsa_reserve_vcc 0
		.amdhsa_float_round_mode_32 0
		.amdhsa_float_round_mode_16_64 0
		.amdhsa_float_denorm_mode_32 3
		.amdhsa_float_denorm_mode_16_64 3
		.amdhsa_dx10_clamp 1
		.amdhsa_ieee_mode 1
		.amdhsa_fp16_overflow 0
		.amdhsa_tg_split 0
		.amdhsa_exception_fp_ieee_invalid_op 0
		.amdhsa_exception_fp_denorm_src 0
		.amdhsa_exception_fp_ieee_div_zero 0
		.amdhsa_exception_fp_ieee_overflow 0
		.amdhsa_exception_fp_ieee_underflow 0
		.amdhsa_exception_fp_ieee_inexact 0
		.amdhsa_exception_int_div_zero 0
	.end_amdhsa_kernel
	.section	.text._ZN7rocprim17ROCPRIM_400000_NS6detail17trampoline_kernelINS0_14default_configENS1_38merge_sort_block_merge_config_selectorIiiEEZZNS1_27merge_sort_block_merge_implIS3_N6thrust23THRUST_200600_302600_NS6detail15normal_iteratorINS8_10device_ptrIiEEEESD_jNS1_19radix_merge_compareILb0ELb0EiNS0_19identity_decomposerEEEEE10hipError_tT0_T1_T2_jT3_P12ihipStream_tbPNSt15iterator_traitsISI_E10value_typeEPNSO_ISJ_E10value_typeEPSK_NS1_7vsmem_tEENKUlT_SI_SJ_SK_E_clISD_PiSD_S10_EESH_SX_SI_SJ_SK_EUlSX_E1_NS1_11comp_targetILNS1_3genE8ELNS1_11target_archE1030ELNS1_3gpuE2ELNS1_3repE0EEENS1_36merge_oddeven_config_static_selectorELNS0_4arch9wavefront6targetE1EEEvSJ_,"axG",@progbits,_ZN7rocprim17ROCPRIM_400000_NS6detail17trampoline_kernelINS0_14default_configENS1_38merge_sort_block_merge_config_selectorIiiEEZZNS1_27merge_sort_block_merge_implIS3_N6thrust23THRUST_200600_302600_NS6detail15normal_iteratorINS8_10device_ptrIiEEEESD_jNS1_19radix_merge_compareILb0ELb0EiNS0_19identity_decomposerEEEEE10hipError_tT0_T1_T2_jT3_P12ihipStream_tbPNSt15iterator_traitsISI_E10value_typeEPNSO_ISJ_E10value_typeEPSK_NS1_7vsmem_tEENKUlT_SI_SJ_SK_E_clISD_PiSD_S10_EESH_SX_SI_SJ_SK_EUlSX_E1_NS1_11comp_targetILNS1_3genE8ELNS1_11target_archE1030ELNS1_3gpuE2ELNS1_3repE0EEENS1_36merge_oddeven_config_static_selectorELNS0_4arch9wavefront6targetE1EEEvSJ_,comdat
.Lfunc_end1334:
	.size	_ZN7rocprim17ROCPRIM_400000_NS6detail17trampoline_kernelINS0_14default_configENS1_38merge_sort_block_merge_config_selectorIiiEEZZNS1_27merge_sort_block_merge_implIS3_N6thrust23THRUST_200600_302600_NS6detail15normal_iteratorINS8_10device_ptrIiEEEESD_jNS1_19radix_merge_compareILb0ELb0EiNS0_19identity_decomposerEEEEE10hipError_tT0_T1_T2_jT3_P12ihipStream_tbPNSt15iterator_traitsISI_E10value_typeEPNSO_ISJ_E10value_typeEPSK_NS1_7vsmem_tEENKUlT_SI_SJ_SK_E_clISD_PiSD_S10_EESH_SX_SI_SJ_SK_EUlSX_E1_NS1_11comp_targetILNS1_3genE8ELNS1_11target_archE1030ELNS1_3gpuE2ELNS1_3repE0EEENS1_36merge_oddeven_config_static_selectorELNS0_4arch9wavefront6targetE1EEEvSJ_, .Lfunc_end1334-_ZN7rocprim17ROCPRIM_400000_NS6detail17trampoline_kernelINS0_14default_configENS1_38merge_sort_block_merge_config_selectorIiiEEZZNS1_27merge_sort_block_merge_implIS3_N6thrust23THRUST_200600_302600_NS6detail15normal_iteratorINS8_10device_ptrIiEEEESD_jNS1_19radix_merge_compareILb0ELb0EiNS0_19identity_decomposerEEEEE10hipError_tT0_T1_T2_jT3_P12ihipStream_tbPNSt15iterator_traitsISI_E10value_typeEPNSO_ISJ_E10value_typeEPSK_NS1_7vsmem_tEENKUlT_SI_SJ_SK_E_clISD_PiSD_S10_EESH_SX_SI_SJ_SK_EUlSX_E1_NS1_11comp_targetILNS1_3genE8ELNS1_11target_archE1030ELNS1_3gpuE2ELNS1_3repE0EEENS1_36merge_oddeven_config_static_selectorELNS0_4arch9wavefront6targetE1EEEvSJ_
                                        ; -- End function
	.set _ZN7rocprim17ROCPRIM_400000_NS6detail17trampoline_kernelINS0_14default_configENS1_38merge_sort_block_merge_config_selectorIiiEEZZNS1_27merge_sort_block_merge_implIS3_N6thrust23THRUST_200600_302600_NS6detail15normal_iteratorINS8_10device_ptrIiEEEESD_jNS1_19radix_merge_compareILb0ELb0EiNS0_19identity_decomposerEEEEE10hipError_tT0_T1_T2_jT3_P12ihipStream_tbPNSt15iterator_traitsISI_E10value_typeEPNSO_ISJ_E10value_typeEPSK_NS1_7vsmem_tEENKUlT_SI_SJ_SK_E_clISD_PiSD_S10_EESH_SX_SI_SJ_SK_EUlSX_E1_NS1_11comp_targetILNS1_3genE8ELNS1_11target_archE1030ELNS1_3gpuE2ELNS1_3repE0EEENS1_36merge_oddeven_config_static_selectorELNS0_4arch9wavefront6targetE1EEEvSJ_.num_vgpr, 0
	.set _ZN7rocprim17ROCPRIM_400000_NS6detail17trampoline_kernelINS0_14default_configENS1_38merge_sort_block_merge_config_selectorIiiEEZZNS1_27merge_sort_block_merge_implIS3_N6thrust23THRUST_200600_302600_NS6detail15normal_iteratorINS8_10device_ptrIiEEEESD_jNS1_19radix_merge_compareILb0ELb0EiNS0_19identity_decomposerEEEEE10hipError_tT0_T1_T2_jT3_P12ihipStream_tbPNSt15iterator_traitsISI_E10value_typeEPNSO_ISJ_E10value_typeEPSK_NS1_7vsmem_tEENKUlT_SI_SJ_SK_E_clISD_PiSD_S10_EESH_SX_SI_SJ_SK_EUlSX_E1_NS1_11comp_targetILNS1_3genE8ELNS1_11target_archE1030ELNS1_3gpuE2ELNS1_3repE0EEENS1_36merge_oddeven_config_static_selectorELNS0_4arch9wavefront6targetE1EEEvSJ_.num_agpr, 0
	.set _ZN7rocprim17ROCPRIM_400000_NS6detail17trampoline_kernelINS0_14default_configENS1_38merge_sort_block_merge_config_selectorIiiEEZZNS1_27merge_sort_block_merge_implIS3_N6thrust23THRUST_200600_302600_NS6detail15normal_iteratorINS8_10device_ptrIiEEEESD_jNS1_19radix_merge_compareILb0ELb0EiNS0_19identity_decomposerEEEEE10hipError_tT0_T1_T2_jT3_P12ihipStream_tbPNSt15iterator_traitsISI_E10value_typeEPNSO_ISJ_E10value_typeEPSK_NS1_7vsmem_tEENKUlT_SI_SJ_SK_E_clISD_PiSD_S10_EESH_SX_SI_SJ_SK_EUlSX_E1_NS1_11comp_targetILNS1_3genE8ELNS1_11target_archE1030ELNS1_3gpuE2ELNS1_3repE0EEENS1_36merge_oddeven_config_static_selectorELNS0_4arch9wavefront6targetE1EEEvSJ_.numbered_sgpr, 0
	.set _ZN7rocprim17ROCPRIM_400000_NS6detail17trampoline_kernelINS0_14default_configENS1_38merge_sort_block_merge_config_selectorIiiEEZZNS1_27merge_sort_block_merge_implIS3_N6thrust23THRUST_200600_302600_NS6detail15normal_iteratorINS8_10device_ptrIiEEEESD_jNS1_19radix_merge_compareILb0ELb0EiNS0_19identity_decomposerEEEEE10hipError_tT0_T1_T2_jT3_P12ihipStream_tbPNSt15iterator_traitsISI_E10value_typeEPNSO_ISJ_E10value_typeEPSK_NS1_7vsmem_tEENKUlT_SI_SJ_SK_E_clISD_PiSD_S10_EESH_SX_SI_SJ_SK_EUlSX_E1_NS1_11comp_targetILNS1_3genE8ELNS1_11target_archE1030ELNS1_3gpuE2ELNS1_3repE0EEENS1_36merge_oddeven_config_static_selectorELNS0_4arch9wavefront6targetE1EEEvSJ_.num_named_barrier, 0
	.set _ZN7rocprim17ROCPRIM_400000_NS6detail17trampoline_kernelINS0_14default_configENS1_38merge_sort_block_merge_config_selectorIiiEEZZNS1_27merge_sort_block_merge_implIS3_N6thrust23THRUST_200600_302600_NS6detail15normal_iteratorINS8_10device_ptrIiEEEESD_jNS1_19radix_merge_compareILb0ELb0EiNS0_19identity_decomposerEEEEE10hipError_tT0_T1_T2_jT3_P12ihipStream_tbPNSt15iterator_traitsISI_E10value_typeEPNSO_ISJ_E10value_typeEPSK_NS1_7vsmem_tEENKUlT_SI_SJ_SK_E_clISD_PiSD_S10_EESH_SX_SI_SJ_SK_EUlSX_E1_NS1_11comp_targetILNS1_3genE8ELNS1_11target_archE1030ELNS1_3gpuE2ELNS1_3repE0EEENS1_36merge_oddeven_config_static_selectorELNS0_4arch9wavefront6targetE1EEEvSJ_.private_seg_size, 0
	.set _ZN7rocprim17ROCPRIM_400000_NS6detail17trampoline_kernelINS0_14default_configENS1_38merge_sort_block_merge_config_selectorIiiEEZZNS1_27merge_sort_block_merge_implIS3_N6thrust23THRUST_200600_302600_NS6detail15normal_iteratorINS8_10device_ptrIiEEEESD_jNS1_19radix_merge_compareILb0ELb0EiNS0_19identity_decomposerEEEEE10hipError_tT0_T1_T2_jT3_P12ihipStream_tbPNSt15iterator_traitsISI_E10value_typeEPNSO_ISJ_E10value_typeEPSK_NS1_7vsmem_tEENKUlT_SI_SJ_SK_E_clISD_PiSD_S10_EESH_SX_SI_SJ_SK_EUlSX_E1_NS1_11comp_targetILNS1_3genE8ELNS1_11target_archE1030ELNS1_3gpuE2ELNS1_3repE0EEENS1_36merge_oddeven_config_static_selectorELNS0_4arch9wavefront6targetE1EEEvSJ_.uses_vcc, 0
	.set _ZN7rocprim17ROCPRIM_400000_NS6detail17trampoline_kernelINS0_14default_configENS1_38merge_sort_block_merge_config_selectorIiiEEZZNS1_27merge_sort_block_merge_implIS3_N6thrust23THRUST_200600_302600_NS6detail15normal_iteratorINS8_10device_ptrIiEEEESD_jNS1_19radix_merge_compareILb0ELb0EiNS0_19identity_decomposerEEEEE10hipError_tT0_T1_T2_jT3_P12ihipStream_tbPNSt15iterator_traitsISI_E10value_typeEPNSO_ISJ_E10value_typeEPSK_NS1_7vsmem_tEENKUlT_SI_SJ_SK_E_clISD_PiSD_S10_EESH_SX_SI_SJ_SK_EUlSX_E1_NS1_11comp_targetILNS1_3genE8ELNS1_11target_archE1030ELNS1_3gpuE2ELNS1_3repE0EEENS1_36merge_oddeven_config_static_selectorELNS0_4arch9wavefront6targetE1EEEvSJ_.uses_flat_scratch, 0
	.set _ZN7rocprim17ROCPRIM_400000_NS6detail17trampoline_kernelINS0_14default_configENS1_38merge_sort_block_merge_config_selectorIiiEEZZNS1_27merge_sort_block_merge_implIS3_N6thrust23THRUST_200600_302600_NS6detail15normal_iteratorINS8_10device_ptrIiEEEESD_jNS1_19radix_merge_compareILb0ELb0EiNS0_19identity_decomposerEEEEE10hipError_tT0_T1_T2_jT3_P12ihipStream_tbPNSt15iterator_traitsISI_E10value_typeEPNSO_ISJ_E10value_typeEPSK_NS1_7vsmem_tEENKUlT_SI_SJ_SK_E_clISD_PiSD_S10_EESH_SX_SI_SJ_SK_EUlSX_E1_NS1_11comp_targetILNS1_3genE8ELNS1_11target_archE1030ELNS1_3gpuE2ELNS1_3repE0EEENS1_36merge_oddeven_config_static_selectorELNS0_4arch9wavefront6targetE1EEEvSJ_.has_dyn_sized_stack, 0
	.set _ZN7rocprim17ROCPRIM_400000_NS6detail17trampoline_kernelINS0_14default_configENS1_38merge_sort_block_merge_config_selectorIiiEEZZNS1_27merge_sort_block_merge_implIS3_N6thrust23THRUST_200600_302600_NS6detail15normal_iteratorINS8_10device_ptrIiEEEESD_jNS1_19radix_merge_compareILb0ELb0EiNS0_19identity_decomposerEEEEE10hipError_tT0_T1_T2_jT3_P12ihipStream_tbPNSt15iterator_traitsISI_E10value_typeEPNSO_ISJ_E10value_typeEPSK_NS1_7vsmem_tEENKUlT_SI_SJ_SK_E_clISD_PiSD_S10_EESH_SX_SI_SJ_SK_EUlSX_E1_NS1_11comp_targetILNS1_3genE8ELNS1_11target_archE1030ELNS1_3gpuE2ELNS1_3repE0EEENS1_36merge_oddeven_config_static_selectorELNS0_4arch9wavefront6targetE1EEEvSJ_.has_recursion, 0
	.set _ZN7rocprim17ROCPRIM_400000_NS6detail17trampoline_kernelINS0_14default_configENS1_38merge_sort_block_merge_config_selectorIiiEEZZNS1_27merge_sort_block_merge_implIS3_N6thrust23THRUST_200600_302600_NS6detail15normal_iteratorINS8_10device_ptrIiEEEESD_jNS1_19radix_merge_compareILb0ELb0EiNS0_19identity_decomposerEEEEE10hipError_tT0_T1_T2_jT3_P12ihipStream_tbPNSt15iterator_traitsISI_E10value_typeEPNSO_ISJ_E10value_typeEPSK_NS1_7vsmem_tEENKUlT_SI_SJ_SK_E_clISD_PiSD_S10_EESH_SX_SI_SJ_SK_EUlSX_E1_NS1_11comp_targetILNS1_3genE8ELNS1_11target_archE1030ELNS1_3gpuE2ELNS1_3repE0EEENS1_36merge_oddeven_config_static_selectorELNS0_4arch9wavefront6targetE1EEEvSJ_.has_indirect_call, 0
	.section	.AMDGPU.csdata,"",@progbits
; Kernel info:
; codeLenInByte = 0
; TotalNumSgprs: 6
; NumVgprs: 0
; NumAgprs: 0
; TotalNumVgprs: 0
; ScratchSize: 0
; MemoryBound: 0
; FloatMode: 240
; IeeeMode: 1
; LDSByteSize: 0 bytes/workgroup (compile time only)
; SGPRBlocks: 0
; VGPRBlocks: 0
; NumSGPRsForWavesPerEU: 6
; NumVGPRsForWavesPerEU: 1
; AccumOffset: 4
; Occupancy: 8
; WaveLimiterHint : 0
; COMPUTE_PGM_RSRC2:SCRATCH_EN: 0
; COMPUTE_PGM_RSRC2:USER_SGPR: 2
; COMPUTE_PGM_RSRC2:TRAP_HANDLER: 0
; COMPUTE_PGM_RSRC2:TGID_X_EN: 1
; COMPUTE_PGM_RSRC2:TGID_Y_EN: 0
; COMPUTE_PGM_RSRC2:TGID_Z_EN: 0
; COMPUTE_PGM_RSRC2:TIDIG_COMP_CNT: 0
; COMPUTE_PGM_RSRC3_GFX90A:ACCUM_OFFSET: 0
; COMPUTE_PGM_RSRC3_GFX90A:TG_SPLIT: 0
	.section	.text._ZN7rocprim17ROCPRIM_400000_NS6detail17trampoline_kernelINS0_14default_configENS1_25transform_config_selectorIiLb0EEEZNS1_14transform_implILb0ES3_S5_PiN6thrust23THRUST_200600_302600_NS6detail15normal_iteratorINS9_10device_ptrIiEEEENS0_8identityIiEEEE10hipError_tT2_T3_mT4_P12ihipStream_tbEUlT_E_NS1_11comp_targetILNS1_3genE0ELNS1_11target_archE4294967295ELNS1_3gpuE0ELNS1_3repE0EEENS1_30default_config_static_selectorELNS0_4arch9wavefront6targetE1EEEvT1_,"axG",@progbits,_ZN7rocprim17ROCPRIM_400000_NS6detail17trampoline_kernelINS0_14default_configENS1_25transform_config_selectorIiLb0EEEZNS1_14transform_implILb0ES3_S5_PiN6thrust23THRUST_200600_302600_NS6detail15normal_iteratorINS9_10device_ptrIiEEEENS0_8identityIiEEEE10hipError_tT2_T3_mT4_P12ihipStream_tbEUlT_E_NS1_11comp_targetILNS1_3genE0ELNS1_11target_archE4294967295ELNS1_3gpuE0ELNS1_3repE0EEENS1_30default_config_static_selectorELNS0_4arch9wavefront6targetE1EEEvT1_,comdat
	.protected	_ZN7rocprim17ROCPRIM_400000_NS6detail17trampoline_kernelINS0_14default_configENS1_25transform_config_selectorIiLb0EEEZNS1_14transform_implILb0ES3_S5_PiN6thrust23THRUST_200600_302600_NS6detail15normal_iteratorINS9_10device_ptrIiEEEENS0_8identityIiEEEE10hipError_tT2_T3_mT4_P12ihipStream_tbEUlT_E_NS1_11comp_targetILNS1_3genE0ELNS1_11target_archE4294967295ELNS1_3gpuE0ELNS1_3repE0EEENS1_30default_config_static_selectorELNS0_4arch9wavefront6targetE1EEEvT1_ ; -- Begin function _ZN7rocprim17ROCPRIM_400000_NS6detail17trampoline_kernelINS0_14default_configENS1_25transform_config_selectorIiLb0EEEZNS1_14transform_implILb0ES3_S5_PiN6thrust23THRUST_200600_302600_NS6detail15normal_iteratorINS9_10device_ptrIiEEEENS0_8identityIiEEEE10hipError_tT2_T3_mT4_P12ihipStream_tbEUlT_E_NS1_11comp_targetILNS1_3genE0ELNS1_11target_archE4294967295ELNS1_3gpuE0ELNS1_3repE0EEENS1_30default_config_static_selectorELNS0_4arch9wavefront6targetE1EEEvT1_
	.globl	_ZN7rocprim17ROCPRIM_400000_NS6detail17trampoline_kernelINS0_14default_configENS1_25transform_config_selectorIiLb0EEEZNS1_14transform_implILb0ES3_S5_PiN6thrust23THRUST_200600_302600_NS6detail15normal_iteratorINS9_10device_ptrIiEEEENS0_8identityIiEEEE10hipError_tT2_T3_mT4_P12ihipStream_tbEUlT_E_NS1_11comp_targetILNS1_3genE0ELNS1_11target_archE4294967295ELNS1_3gpuE0ELNS1_3repE0EEENS1_30default_config_static_selectorELNS0_4arch9wavefront6targetE1EEEvT1_
	.p2align	8
	.type	_ZN7rocprim17ROCPRIM_400000_NS6detail17trampoline_kernelINS0_14default_configENS1_25transform_config_selectorIiLb0EEEZNS1_14transform_implILb0ES3_S5_PiN6thrust23THRUST_200600_302600_NS6detail15normal_iteratorINS9_10device_ptrIiEEEENS0_8identityIiEEEE10hipError_tT2_T3_mT4_P12ihipStream_tbEUlT_E_NS1_11comp_targetILNS1_3genE0ELNS1_11target_archE4294967295ELNS1_3gpuE0ELNS1_3repE0EEENS1_30default_config_static_selectorELNS0_4arch9wavefront6targetE1EEEvT1_,@function
_ZN7rocprim17ROCPRIM_400000_NS6detail17trampoline_kernelINS0_14default_configENS1_25transform_config_selectorIiLb0EEEZNS1_14transform_implILb0ES3_S5_PiN6thrust23THRUST_200600_302600_NS6detail15normal_iteratorINS9_10device_ptrIiEEEENS0_8identityIiEEEE10hipError_tT2_T3_mT4_P12ihipStream_tbEUlT_E_NS1_11comp_targetILNS1_3genE0ELNS1_11target_archE4294967295ELNS1_3gpuE0ELNS1_3repE0EEENS1_30default_config_static_selectorELNS0_4arch9wavefront6targetE1EEEvT1_: ; @_ZN7rocprim17ROCPRIM_400000_NS6detail17trampoline_kernelINS0_14default_configENS1_25transform_config_selectorIiLb0EEEZNS1_14transform_implILb0ES3_S5_PiN6thrust23THRUST_200600_302600_NS6detail15normal_iteratorINS9_10device_ptrIiEEEENS0_8identityIiEEEE10hipError_tT2_T3_mT4_P12ihipStream_tbEUlT_E_NS1_11comp_targetILNS1_3genE0ELNS1_11target_archE4294967295ELNS1_3gpuE0ELNS1_3repE0EEENS1_30default_config_static_selectorELNS0_4arch9wavefront6targetE1EEEvT1_
; %bb.0:
	s_load_dwordx8 s[4:11], s[0:1], 0x0
	s_load_dword s3, s[0:1], 0x28
	s_waitcnt lgkmcnt(0)
	s_lshl_b64 s[0:1], s[6:7], 2
	s_add_u32 s4, s4, s0
	s_addc_u32 s5, s5, s1
	s_add_u32 s9, s10, s0
	s_addc_u32 s12, s11, s1
	s_lshl_b32 s0, s2, 8
	s_mov_b32 s1, 0
	s_add_i32 s3, s3, -1
	s_lshl_b64 s[6:7], s[0:1], 2
	s_add_u32 s10, s4, s6
	s_addc_u32 s11, s5, s7
	s_cmp_lg_u32 s2, s3
	s_cbranch_scc0 .LBB1335_2
; %bb.1:
	v_lshlrev_b32_e32 v2, 2, v0
	global_load_dword v6, v2, s[10:11]
	global_load_dword v1, v2, s[10:11] offset:512
	s_add_u32 s4, s9, s6
	v_mov_b32_e32 v3, 0
	s_addc_u32 s5, s12, s7
	v_lshl_add_u64 v[4:5], s[4:5], 0, v[2:3]
	s_mov_b64 s[4:5], -1
	s_waitcnt vmcnt(1)
	flat_store_dword v[4:5], v6
	s_cbranch_execz .LBB1335_3
	s_branch .LBB1335_12
.LBB1335_2:
	s_mov_b64 s[4:5], 0
                                        ; implicit-def: $vgpr1
                                        ; implicit-def: $vgpr4_vgpr5
.LBB1335_3:
	s_sub_i32 s2, s8, s0
	v_mov_b32_e32 v2, 0
	v_cmp_gt_u32_e32 vcc, s2, v0
	v_mov_b32_e32 v3, v2
	s_and_saveexec_b64 s[0:1], vcc
	s_cbranch_execz .LBB1335_5
; %bb.4:
	s_waitcnt vmcnt(0)
	v_lshlrev_b32_e32 v1, 2, v0
	global_load_dword v4, v1, s[10:11]
	v_mov_b32_e32 v5, v2
	s_waitcnt vmcnt(0)
	v_mov_b64_e32 v[2:3], v[4:5]
.LBB1335_5:
	s_or_b64 exec, exec, s[0:1]
	s_waitcnt vmcnt(0)
	v_or_b32_e32 v1, 0x80, v0
	v_cmp_gt_u32_e64 s[0:1], s2, v1
	v_cmp_le_u32_e64 s[2:3], s2, v1
	s_and_saveexec_b64 s[14:15], s[2:3]
	s_xor_b64 s[2:3], exec, s[14:15]
	s_andn2_saveexec_b64 s[2:3], s[2:3]
	s_cbranch_execz .LBB1335_7
; %bb.6:
	v_lshlrev_b32_e32 v1, 2, v0
	global_load_dword v3, v1, s[10:11] offset:512
.LBB1335_7:
	s_or_b64 exec, exec, s[2:3]
	s_add_u32 s2, s9, s6
	v_mov_b32_e32 v5, 0
	s_addc_u32 s3, s12, s7
	v_lshlrev_b32_e32 v4, 2, v0
	v_cndmask_b32_e32 v1, 0, v2, vcc
	v_lshl_add_u64 v[4:5], s[2:3], 0, v[4:5]
	s_and_saveexec_b64 s[2:3], vcc
	s_cbranch_execz .LBB1335_9
; %bb.8:
	flat_store_dword v[4:5], v1
.LBB1335_9:
	s_or_b64 exec, exec, s[2:3]
                                        ; implicit-def: $vgpr1
	s_and_saveexec_b64 s[2:3], s[0:1]
	s_cbranch_execz .LBB1335_11
; %bb.10:
	s_waitcnt vmcnt(0)
	v_cndmask_b32_e64 v1, 0, v3, s[0:1]
	s_or_b64 s[4:5], s[4:5], exec
.LBB1335_11:
	s_or_b64 exec, exec, s[2:3]
.LBB1335_12:
	s_and_saveexec_b64 s[0:1], s[4:5]
	s_cbranch_execnz .LBB1335_14
; %bb.13:
	s_endpgm
.LBB1335_14:
	s_waitcnt vmcnt(0)
	flat_store_dword v[4:5], v1 offset:512
	s_endpgm
	.section	.rodata,"a",@progbits
	.p2align	6, 0x0
	.amdhsa_kernel _ZN7rocprim17ROCPRIM_400000_NS6detail17trampoline_kernelINS0_14default_configENS1_25transform_config_selectorIiLb0EEEZNS1_14transform_implILb0ES3_S5_PiN6thrust23THRUST_200600_302600_NS6detail15normal_iteratorINS9_10device_ptrIiEEEENS0_8identityIiEEEE10hipError_tT2_T3_mT4_P12ihipStream_tbEUlT_E_NS1_11comp_targetILNS1_3genE0ELNS1_11target_archE4294967295ELNS1_3gpuE0ELNS1_3repE0EEENS1_30default_config_static_selectorELNS0_4arch9wavefront6targetE1EEEvT1_
		.amdhsa_group_segment_fixed_size 0
		.amdhsa_private_segment_fixed_size 0
		.amdhsa_kernarg_size 296
		.amdhsa_user_sgpr_count 2
		.amdhsa_user_sgpr_dispatch_ptr 0
		.amdhsa_user_sgpr_queue_ptr 0
		.amdhsa_user_sgpr_kernarg_segment_ptr 1
		.amdhsa_user_sgpr_dispatch_id 0
		.amdhsa_user_sgpr_kernarg_preload_length 0
		.amdhsa_user_sgpr_kernarg_preload_offset 0
		.amdhsa_user_sgpr_private_segment_size 0
		.amdhsa_uses_dynamic_stack 0
		.amdhsa_enable_private_segment 0
		.amdhsa_system_sgpr_workgroup_id_x 1
		.amdhsa_system_sgpr_workgroup_id_y 0
		.amdhsa_system_sgpr_workgroup_id_z 0
		.amdhsa_system_sgpr_workgroup_info 0
		.amdhsa_system_vgpr_workitem_id 0
		.amdhsa_next_free_vgpr 7
		.amdhsa_next_free_sgpr 16
		.amdhsa_accum_offset 8
		.amdhsa_reserve_vcc 1
		.amdhsa_float_round_mode_32 0
		.amdhsa_float_round_mode_16_64 0
		.amdhsa_float_denorm_mode_32 3
		.amdhsa_float_denorm_mode_16_64 3
		.amdhsa_dx10_clamp 1
		.amdhsa_ieee_mode 1
		.amdhsa_fp16_overflow 0
		.amdhsa_tg_split 0
		.amdhsa_exception_fp_ieee_invalid_op 0
		.amdhsa_exception_fp_denorm_src 0
		.amdhsa_exception_fp_ieee_div_zero 0
		.amdhsa_exception_fp_ieee_overflow 0
		.amdhsa_exception_fp_ieee_underflow 0
		.amdhsa_exception_fp_ieee_inexact 0
		.amdhsa_exception_int_div_zero 0
	.end_amdhsa_kernel
	.section	.text._ZN7rocprim17ROCPRIM_400000_NS6detail17trampoline_kernelINS0_14default_configENS1_25transform_config_selectorIiLb0EEEZNS1_14transform_implILb0ES3_S5_PiN6thrust23THRUST_200600_302600_NS6detail15normal_iteratorINS9_10device_ptrIiEEEENS0_8identityIiEEEE10hipError_tT2_T3_mT4_P12ihipStream_tbEUlT_E_NS1_11comp_targetILNS1_3genE0ELNS1_11target_archE4294967295ELNS1_3gpuE0ELNS1_3repE0EEENS1_30default_config_static_selectorELNS0_4arch9wavefront6targetE1EEEvT1_,"axG",@progbits,_ZN7rocprim17ROCPRIM_400000_NS6detail17trampoline_kernelINS0_14default_configENS1_25transform_config_selectorIiLb0EEEZNS1_14transform_implILb0ES3_S5_PiN6thrust23THRUST_200600_302600_NS6detail15normal_iteratorINS9_10device_ptrIiEEEENS0_8identityIiEEEE10hipError_tT2_T3_mT4_P12ihipStream_tbEUlT_E_NS1_11comp_targetILNS1_3genE0ELNS1_11target_archE4294967295ELNS1_3gpuE0ELNS1_3repE0EEENS1_30default_config_static_selectorELNS0_4arch9wavefront6targetE1EEEvT1_,comdat
.Lfunc_end1335:
	.size	_ZN7rocprim17ROCPRIM_400000_NS6detail17trampoline_kernelINS0_14default_configENS1_25transform_config_selectorIiLb0EEEZNS1_14transform_implILb0ES3_S5_PiN6thrust23THRUST_200600_302600_NS6detail15normal_iteratorINS9_10device_ptrIiEEEENS0_8identityIiEEEE10hipError_tT2_T3_mT4_P12ihipStream_tbEUlT_E_NS1_11comp_targetILNS1_3genE0ELNS1_11target_archE4294967295ELNS1_3gpuE0ELNS1_3repE0EEENS1_30default_config_static_selectorELNS0_4arch9wavefront6targetE1EEEvT1_, .Lfunc_end1335-_ZN7rocprim17ROCPRIM_400000_NS6detail17trampoline_kernelINS0_14default_configENS1_25transform_config_selectorIiLb0EEEZNS1_14transform_implILb0ES3_S5_PiN6thrust23THRUST_200600_302600_NS6detail15normal_iteratorINS9_10device_ptrIiEEEENS0_8identityIiEEEE10hipError_tT2_T3_mT4_P12ihipStream_tbEUlT_E_NS1_11comp_targetILNS1_3genE0ELNS1_11target_archE4294967295ELNS1_3gpuE0ELNS1_3repE0EEENS1_30default_config_static_selectorELNS0_4arch9wavefront6targetE1EEEvT1_
                                        ; -- End function
	.set _ZN7rocprim17ROCPRIM_400000_NS6detail17trampoline_kernelINS0_14default_configENS1_25transform_config_selectorIiLb0EEEZNS1_14transform_implILb0ES3_S5_PiN6thrust23THRUST_200600_302600_NS6detail15normal_iteratorINS9_10device_ptrIiEEEENS0_8identityIiEEEE10hipError_tT2_T3_mT4_P12ihipStream_tbEUlT_E_NS1_11comp_targetILNS1_3genE0ELNS1_11target_archE4294967295ELNS1_3gpuE0ELNS1_3repE0EEENS1_30default_config_static_selectorELNS0_4arch9wavefront6targetE1EEEvT1_.num_vgpr, 7
	.set _ZN7rocprim17ROCPRIM_400000_NS6detail17trampoline_kernelINS0_14default_configENS1_25transform_config_selectorIiLb0EEEZNS1_14transform_implILb0ES3_S5_PiN6thrust23THRUST_200600_302600_NS6detail15normal_iteratorINS9_10device_ptrIiEEEENS0_8identityIiEEEE10hipError_tT2_T3_mT4_P12ihipStream_tbEUlT_E_NS1_11comp_targetILNS1_3genE0ELNS1_11target_archE4294967295ELNS1_3gpuE0ELNS1_3repE0EEENS1_30default_config_static_selectorELNS0_4arch9wavefront6targetE1EEEvT1_.num_agpr, 0
	.set _ZN7rocprim17ROCPRIM_400000_NS6detail17trampoline_kernelINS0_14default_configENS1_25transform_config_selectorIiLb0EEEZNS1_14transform_implILb0ES3_S5_PiN6thrust23THRUST_200600_302600_NS6detail15normal_iteratorINS9_10device_ptrIiEEEENS0_8identityIiEEEE10hipError_tT2_T3_mT4_P12ihipStream_tbEUlT_E_NS1_11comp_targetILNS1_3genE0ELNS1_11target_archE4294967295ELNS1_3gpuE0ELNS1_3repE0EEENS1_30default_config_static_selectorELNS0_4arch9wavefront6targetE1EEEvT1_.numbered_sgpr, 16
	.set _ZN7rocprim17ROCPRIM_400000_NS6detail17trampoline_kernelINS0_14default_configENS1_25transform_config_selectorIiLb0EEEZNS1_14transform_implILb0ES3_S5_PiN6thrust23THRUST_200600_302600_NS6detail15normal_iteratorINS9_10device_ptrIiEEEENS0_8identityIiEEEE10hipError_tT2_T3_mT4_P12ihipStream_tbEUlT_E_NS1_11comp_targetILNS1_3genE0ELNS1_11target_archE4294967295ELNS1_3gpuE0ELNS1_3repE0EEENS1_30default_config_static_selectorELNS0_4arch9wavefront6targetE1EEEvT1_.num_named_barrier, 0
	.set _ZN7rocprim17ROCPRIM_400000_NS6detail17trampoline_kernelINS0_14default_configENS1_25transform_config_selectorIiLb0EEEZNS1_14transform_implILb0ES3_S5_PiN6thrust23THRUST_200600_302600_NS6detail15normal_iteratorINS9_10device_ptrIiEEEENS0_8identityIiEEEE10hipError_tT2_T3_mT4_P12ihipStream_tbEUlT_E_NS1_11comp_targetILNS1_3genE0ELNS1_11target_archE4294967295ELNS1_3gpuE0ELNS1_3repE0EEENS1_30default_config_static_selectorELNS0_4arch9wavefront6targetE1EEEvT1_.private_seg_size, 0
	.set _ZN7rocprim17ROCPRIM_400000_NS6detail17trampoline_kernelINS0_14default_configENS1_25transform_config_selectorIiLb0EEEZNS1_14transform_implILb0ES3_S5_PiN6thrust23THRUST_200600_302600_NS6detail15normal_iteratorINS9_10device_ptrIiEEEENS0_8identityIiEEEE10hipError_tT2_T3_mT4_P12ihipStream_tbEUlT_E_NS1_11comp_targetILNS1_3genE0ELNS1_11target_archE4294967295ELNS1_3gpuE0ELNS1_3repE0EEENS1_30default_config_static_selectorELNS0_4arch9wavefront6targetE1EEEvT1_.uses_vcc, 1
	.set _ZN7rocprim17ROCPRIM_400000_NS6detail17trampoline_kernelINS0_14default_configENS1_25transform_config_selectorIiLb0EEEZNS1_14transform_implILb0ES3_S5_PiN6thrust23THRUST_200600_302600_NS6detail15normal_iteratorINS9_10device_ptrIiEEEENS0_8identityIiEEEE10hipError_tT2_T3_mT4_P12ihipStream_tbEUlT_E_NS1_11comp_targetILNS1_3genE0ELNS1_11target_archE4294967295ELNS1_3gpuE0ELNS1_3repE0EEENS1_30default_config_static_selectorELNS0_4arch9wavefront6targetE1EEEvT1_.uses_flat_scratch, 0
	.set _ZN7rocprim17ROCPRIM_400000_NS6detail17trampoline_kernelINS0_14default_configENS1_25transform_config_selectorIiLb0EEEZNS1_14transform_implILb0ES3_S5_PiN6thrust23THRUST_200600_302600_NS6detail15normal_iteratorINS9_10device_ptrIiEEEENS0_8identityIiEEEE10hipError_tT2_T3_mT4_P12ihipStream_tbEUlT_E_NS1_11comp_targetILNS1_3genE0ELNS1_11target_archE4294967295ELNS1_3gpuE0ELNS1_3repE0EEENS1_30default_config_static_selectorELNS0_4arch9wavefront6targetE1EEEvT1_.has_dyn_sized_stack, 0
	.set _ZN7rocprim17ROCPRIM_400000_NS6detail17trampoline_kernelINS0_14default_configENS1_25transform_config_selectorIiLb0EEEZNS1_14transform_implILb0ES3_S5_PiN6thrust23THRUST_200600_302600_NS6detail15normal_iteratorINS9_10device_ptrIiEEEENS0_8identityIiEEEE10hipError_tT2_T3_mT4_P12ihipStream_tbEUlT_E_NS1_11comp_targetILNS1_3genE0ELNS1_11target_archE4294967295ELNS1_3gpuE0ELNS1_3repE0EEENS1_30default_config_static_selectorELNS0_4arch9wavefront6targetE1EEEvT1_.has_recursion, 0
	.set _ZN7rocprim17ROCPRIM_400000_NS6detail17trampoline_kernelINS0_14default_configENS1_25transform_config_selectorIiLb0EEEZNS1_14transform_implILb0ES3_S5_PiN6thrust23THRUST_200600_302600_NS6detail15normal_iteratorINS9_10device_ptrIiEEEENS0_8identityIiEEEE10hipError_tT2_T3_mT4_P12ihipStream_tbEUlT_E_NS1_11comp_targetILNS1_3genE0ELNS1_11target_archE4294967295ELNS1_3gpuE0ELNS1_3repE0EEENS1_30default_config_static_selectorELNS0_4arch9wavefront6targetE1EEEvT1_.has_indirect_call, 0
	.section	.AMDGPU.csdata,"",@progbits
; Kernel info:
; codeLenInByte = 360
; TotalNumSgprs: 22
; NumVgprs: 7
; NumAgprs: 0
; TotalNumVgprs: 7
; ScratchSize: 0
; MemoryBound: 0
; FloatMode: 240
; IeeeMode: 1
; LDSByteSize: 0 bytes/workgroup (compile time only)
; SGPRBlocks: 2
; VGPRBlocks: 0
; NumSGPRsForWavesPerEU: 22
; NumVGPRsForWavesPerEU: 7
; AccumOffset: 8
; Occupancy: 8
; WaveLimiterHint : 1
; COMPUTE_PGM_RSRC2:SCRATCH_EN: 0
; COMPUTE_PGM_RSRC2:USER_SGPR: 2
; COMPUTE_PGM_RSRC2:TRAP_HANDLER: 0
; COMPUTE_PGM_RSRC2:TGID_X_EN: 1
; COMPUTE_PGM_RSRC2:TGID_Y_EN: 0
; COMPUTE_PGM_RSRC2:TGID_Z_EN: 0
; COMPUTE_PGM_RSRC2:TIDIG_COMP_CNT: 0
; COMPUTE_PGM_RSRC3_GFX90A:ACCUM_OFFSET: 1
; COMPUTE_PGM_RSRC3_GFX90A:TG_SPLIT: 0
	.section	.text._ZN7rocprim17ROCPRIM_400000_NS6detail17trampoline_kernelINS0_14default_configENS1_25transform_config_selectorIiLb0EEEZNS1_14transform_implILb0ES3_S5_PiN6thrust23THRUST_200600_302600_NS6detail15normal_iteratorINS9_10device_ptrIiEEEENS0_8identityIiEEEE10hipError_tT2_T3_mT4_P12ihipStream_tbEUlT_E_NS1_11comp_targetILNS1_3genE5ELNS1_11target_archE942ELNS1_3gpuE9ELNS1_3repE0EEENS1_30default_config_static_selectorELNS0_4arch9wavefront6targetE1EEEvT1_,"axG",@progbits,_ZN7rocprim17ROCPRIM_400000_NS6detail17trampoline_kernelINS0_14default_configENS1_25transform_config_selectorIiLb0EEEZNS1_14transform_implILb0ES3_S5_PiN6thrust23THRUST_200600_302600_NS6detail15normal_iteratorINS9_10device_ptrIiEEEENS0_8identityIiEEEE10hipError_tT2_T3_mT4_P12ihipStream_tbEUlT_E_NS1_11comp_targetILNS1_3genE5ELNS1_11target_archE942ELNS1_3gpuE9ELNS1_3repE0EEENS1_30default_config_static_selectorELNS0_4arch9wavefront6targetE1EEEvT1_,comdat
	.protected	_ZN7rocprim17ROCPRIM_400000_NS6detail17trampoline_kernelINS0_14default_configENS1_25transform_config_selectorIiLb0EEEZNS1_14transform_implILb0ES3_S5_PiN6thrust23THRUST_200600_302600_NS6detail15normal_iteratorINS9_10device_ptrIiEEEENS0_8identityIiEEEE10hipError_tT2_T3_mT4_P12ihipStream_tbEUlT_E_NS1_11comp_targetILNS1_3genE5ELNS1_11target_archE942ELNS1_3gpuE9ELNS1_3repE0EEENS1_30default_config_static_selectorELNS0_4arch9wavefront6targetE1EEEvT1_ ; -- Begin function _ZN7rocprim17ROCPRIM_400000_NS6detail17trampoline_kernelINS0_14default_configENS1_25transform_config_selectorIiLb0EEEZNS1_14transform_implILb0ES3_S5_PiN6thrust23THRUST_200600_302600_NS6detail15normal_iteratorINS9_10device_ptrIiEEEENS0_8identityIiEEEE10hipError_tT2_T3_mT4_P12ihipStream_tbEUlT_E_NS1_11comp_targetILNS1_3genE5ELNS1_11target_archE942ELNS1_3gpuE9ELNS1_3repE0EEENS1_30default_config_static_selectorELNS0_4arch9wavefront6targetE1EEEvT1_
	.globl	_ZN7rocprim17ROCPRIM_400000_NS6detail17trampoline_kernelINS0_14default_configENS1_25transform_config_selectorIiLb0EEEZNS1_14transform_implILb0ES3_S5_PiN6thrust23THRUST_200600_302600_NS6detail15normal_iteratorINS9_10device_ptrIiEEEENS0_8identityIiEEEE10hipError_tT2_T3_mT4_P12ihipStream_tbEUlT_E_NS1_11comp_targetILNS1_3genE5ELNS1_11target_archE942ELNS1_3gpuE9ELNS1_3repE0EEENS1_30default_config_static_selectorELNS0_4arch9wavefront6targetE1EEEvT1_
	.p2align	8
	.type	_ZN7rocprim17ROCPRIM_400000_NS6detail17trampoline_kernelINS0_14default_configENS1_25transform_config_selectorIiLb0EEEZNS1_14transform_implILb0ES3_S5_PiN6thrust23THRUST_200600_302600_NS6detail15normal_iteratorINS9_10device_ptrIiEEEENS0_8identityIiEEEE10hipError_tT2_T3_mT4_P12ihipStream_tbEUlT_E_NS1_11comp_targetILNS1_3genE5ELNS1_11target_archE942ELNS1_3gpuE9ELNS1_3repE0EEENS1_30default_config_static_selectorELNS0_4arch9wavefront6targetE1EEEvT1_,@function
_ZN7rocprim17ROCPRIM_400000_NS6detail17trampoline_kernelINS0_14default_configENS1_25transform_config_selectorIiLb0EEEZNS1_14transform_implILb0ES3_S5_PiN6thrust23THRUST_200600_302600_NS6detail15normal_iteratorINS9_10device_ptrIiEEEENS0_8identityIiEEEE10hipError_tT2_T3_mT4_P12ihipStream_tbEUlT_E_NS1_11comp_targetILNS1_3genE5ELNS1_11target_archE942ELNS1_3gpuE9ELNS1_3repE0EEENS1_30default_config_static_selectorELNS0_4arch9wavefront6targetE1EEEvT1_: ; @_ZN7rocprim17ROCPRIM_400000_NS6detail17trampoline_kernelINS0_14default_configENS1_25transform_config_selectorIiLb0EEEZNS1_14transform_implILb0ES3_S5_PiN6thrust23THRUST_200600_302600_NS6detail15normal_iteratorINS9_10device_ptrIiEEEENS0_8identityIiEEEE10hipError_tT2_T3_mT4_P12ihipStream_tbEUlT_E_NS1_11comp_targetILNS1_3genE5ELNS1_11target_archE942ELNS1_3gpuE9ELNS1_3repE0EEENS1_30default_config_static_selectorELNS0_4arch9wavefront6targetE1EEEvT1_
; %bb.0:
	.section	.rodata,"a",@progbits
	.p2align	6, 0x0
	.amdhsa_kernel _ZN7rocprim17ROCPRIM_400000_NS6detail17trampoline_kernelINS0_14default_configENS1_25transform_config_selectorIiLb0EEEZNS1_14transform_implILb0ES3_S5_PiN6thrust23THRUST_200600_302600_NS6detail15normal_iteratorINS9_10device_ptrIiEEEENS0_8identityIiEEEE10hipError_tT2_T3_mT4_P12ihipStream_tbEUlT_E_NS1_11comp_targetILNS1_3genE5ELNS1_11target_archE942ELNS1_3gpuE9ELNS1_3repE0EEENS1_30default_config_static_selectorELNS0_4arch9wavefront6targetE1EEEvT1_
		.amdhsa_group_segment_fixed_size 0
		.amdhsa_private_segment_fixed_size 0
		.amdhsa_kernarg_size 40
		.amdhsa_user_sgpr_count 2
		.amdhsa_user_sgpr_dispatch_ptr 0
		.amdhsa_user_sgpr_queue_ptr 0
		.amdhsa_user_sgpr_kernarg_segment_ptr 1
		.amdhsa_user_sgpr_dispatch_id 0
		.amdhsa_user_sgpr_kernarg_preload_length 0
		.amdhsa_user_sgpr_kernarg_preload_offset 0
		.amdhsa_user_sgpr_private_segment_size 0
		.amdhsa_uses_dynamic_stack 0
		.amdhsa_enable_private_segment 0
		.amdhsa_system_sgpr_workgroup_id_x 1
		.amdhsa_system_sgpr_workgroup_id_y 0
		.amdhsa_system_sgpr_workgroup_id_z 0
		.amdhsa_system_sgpr_workgroup_info 0
		.amdhsa_system_vgpr_workitem_id 0
		.amdhsa_next_free_vgpr 1
		.amdhsa_next_free_sgpr 0
		.amdhsa_accum_offset 4
		.amdhsa_reserve_vcc 0
		.amdhsa_float_round_mode_32 0
		.amdhsa_float_round_mode_16_64 0
		.amdhsa_float_denorm_mode_32 3
		.amdhsa_float_denorm_mode_16_64 3
		.amdhsa_dx10_clamp 1
		.amdhsa_ieee_mode 1
		.amdhsa_fp16_overflow 0
		.amdhsa_tg_split 0
		.amdhsa_exception_fp_ieee_invalid_op 0
		.amdhsa_exception_fp_denorm_src 0
		.amdhsa_exception_fp_ieee_div_zero 0
		.amdhsa_exception_fp_ieee_overflow 0
		.amdhsa_exception_fp_ieee_underflow 0
		.amdhsa_exception_fp_ieee_inexact 0
		.amdhsa_exception_int_div_zero 0
	.end_amdhsa_kernel
	.section	.text._ZN7rocprim17ROCPRIM_400000_NS6detail17trampoline_kernelINS0_14default_configENS1_25transform_config_selectorIiLb0EEEZNS1_14transform_implILb0ES3_S5_PiN6thrust23THRUST_200600_302600_NS6detail15normal_iteratorINS9_10device_ptrIiEEEENS0_8identityIiEEEE10hipError_tT2_T3_mT4_P12ihipStream_tbEUlT_E_NS1_11comp_targetILNS1_3genE5ELNS1_11target_archE942ELNS1_3gpuE9ELNS1_3repE0EEENS1_30default_config_static_selectorELNS0_4arch9wavefront6targetE1EEEvT1_,"axG",@progbits,_ZN7rocprim17ROCPRIM_400000_NS6detail17trampoline_kernelINS0_14default_configENS1_25transform_config_selectorIiLb0EEEZNS1_14transform_implILb0ES3_S5_PiN6thrust23THRUST_200600_302600_NS6detail15normal_iteratorINS9_10device_ptrIiEEEENS0_8identityIiEEEE10hipError_tT2_T3_mT4_P12ihipStream_tbEUlT_E_NS1_11comp_targetILNS1_3genE5ELNS1_11target_archE942ELNS1_3gpuE9ELNS1_3repE0EEENS1_30default_config_static_selectorELNS0_4arch9wavefront6targetE1EEEvT1_,comdat
.Lfunc_end1336:
	.size	_ZN7rocprim17ROCPRIM_400000_NS6detail17trampoline_kernelINS0_14default_configENS1_25transform_config_selectorIiLb0EEEZNS1_14transform_implILb0ES3_S5_PiN6thrust23THRUST_200600_302600_NS6detail15normal_iteratorINS9_10device_ptrIiEEEENS0_8identityIiEEEE10hipError_tT2_T3_mT4_P12ihipStream_tbEUlT_E_NS1_11comp_targetILNS1_3genE5ELNS1_11target_archE942ELNS1_3gpuE9ELNS1_3repE0EEENS1_30default_config_static_selectorELNS0_4arch9wavefront6targetE1EEEvT1_, .Lfunc_end1336-_ZN7rocprim17ROCPRIM_400000_NS6detail17trampoline_kernelINS0_14default_configENS1_25transform_config_selectorIiLb0EEEZNS1_14transform_implILb0ES3_S5_PiN6thrust23THRUST_200600_302600_NS6detail15normal_iteratorINS9_10device_ptrIiEEEENS0_8identityIiEEEE10hipError_tT2_T3_mT4_P12ihipStream_tbEUlT_E_NS1_11comp_targetILNS1_3genE5ELNS1_11target_archE942ELNS1_3gpuE9ELNS1_3repE0EEENS1_30default_config_static_selectorELNS0_4arch9wavefront6targetE1EEEvT1_
                                        ; -- End function
	.set _ZN7rocprim17ROCPRIM_400000_NS6detail17trampoline_kernelINS0_14default_configENS1_25transform_config_selectorIiLb0EEEZNS1_14transform_implILb0ES3_S5_PiN6thrust23THRUST_200600_302600_NS6detail15normal_iteratorINS9_10device_ptrIiEEEENS0_8identityIiEEEE10hipError_tT2_T3_mT4_P12ihipStream_tbEUlT_E_NS1_11comp_targetILNS1_3genE5ELNS1_11target_archE942ELNS1_3gpuE9ELNS1_3repE0EEENS1_30default_config_static_selectorELNS0_4arch9wavefront6targetE1EEEvT1_.num_vgpr, 0
	.set _ZN7rocprim17ROCPRIM_400000_NS6detail17trampoline_kernelINS0_14default_configENS1_25transform_config_selectorIiLb0EEEZNS1_14transform_implILb0ES3_S5_PiN6thrust23THRUST_200600_302600_NS6detail15normal_iteratorINS9_10device_ptrIiEEEENS0_8identityIiEEEE10hipError_tT2_T3_mT4_P12ihipStream_tbEUlT_E_NS1_11comp_targetILNS1_3genE5ELNS1_11target_archE942ELNS1_3gpuE9ELNS1_3repE0EEENS1_30default_config_static_selectorELNS0_4arch9wavefront6targetE1EEEvT1_.num_agpr, 0
	.set _ZN7rocprim17ROCPRIM_400000_NS6detail17trampoline_kernelINS0_14default_configENS1_25transform_config_selectorIiLb0EEEZNS1_14transform_implILb0ES3_S5_PiN6thrust23THRUST_200600_302600_NS6detail15normal_iteratorINS9_10device_ptrIiEEEENS0_8identityIiEEEE10hipError_tT2_T3_mT4_P12ihipStream_tbEUlT_E_NS1_11comp_targetILNS1_3genE5ELNS1_11target_archE942ELNS1_3gpuE9ELNS1_3repE0EEENS1_30default_config_static_selectorELNS0_4arch9wavefront6targetE1EEEvT1_.numbered_sgpr, 0
	.set _ZN7rocprim17ROCPRIM_400000_NS6detail17trampoline_kernelINS0_14default_configENS1_25transform_config_selectorIiLb0EEEZNS1_14transform_implILb0ES3_S5_PiN6thrust23THRUST_200600_302600_NS6detail15normal_iteratorINS9_10device_ptrIiEEEENS0_8identityIiEEEE10hipError_tT2_T3_mT4_P12ihipStream_tbEUlT_E_NS1_11comp_targetILNS1_3genE5ELNS1_11target_archE942ELNS1_3gpuE9ELNS1_3repE0EEENS1_30default_config_static_selectorELNS0_4arch9wavefront6targetE1EEEvT1_.num_named_barrier, 0
	.set _ZN7rocprim17ROCPRIM_400000_NS6detail17trampoline_kernelINS0_14default_configENS1_25transform_config_selectorIiLb0EEEZNS1_14transform_implILb0ES3_S5_PiN6thrust23THRUST_200600_302600_NS6detail15normal_iteratorINS9_10device_ptrIiEEEENS0_8identityIiEEEE10hipError_tT2_T3_mT4_P12ihipStream_tbEUlT_E_NS1_11comp_targetILNS1_3genE5ELNS1_11target_archE942ELNS1_3gpuE9ELNS1_3repE0EEENS1_30default_config_static_selectorELNS0_4arch9wavefront6targetE1EEEvT1_.private_seg_size, 0
	.set _ZN7rocprim17ROCPRIM_400000_NS6detail17trampoline_kernelINS0_14default_configENS1_25transform_config_selectorIiLb0EEEZNS1_14transform_implILb0ES3_S5_PiN6thrust23THRUST_200600_302600_NS6detail15normal_iteratorINS9_10device_ptrIiEEEENS0_8identityIiEEEE10hipError_tT2_T3_mT4_P12ihipStream_tbEUlT_E_NS1_11comp_targetILNS1_3genE5ELNS1_11target_archE942ELNS1_3gpuE9ELNS1_3repE0EEENS1_30default_config_static_selectorELNS0_4arch9wavefront6targetE1EEEvT1_.uses_vcc, 0
	.set _ZN7rocprim17ROCPRIM_400000_NS6detail17trampoline_kernelINS0_14default_configENS1_25transform_config_selectorIiLb0EEEZNS1_14transform_implILb0ES3_S5_PiN6thrust23THRUST_200600_302600_NS6detail15normal_iteratorINS9_10device_ptrIiEEEENS0_8identityIiEEEE10hipError_tT2_T3_mT4_P12ihipStream_tbEUlT_E_NS1_11comp_targetILNS1_3genE5ELNS1_11target_archE942ELNS1_3gpuE9ELNS1_3repE0EEENS1_30default_config_static_selectorELNS0_4arch9wavefront6targetE1EEEvT1_.uses_flat_scratch, 0
	.set _ZN7rocprim17ROCPRIM_400000_NS6detail17trampoline_kernelINS0_14default_configENS1_25transform_config_selectorIiLb0EEEZNS1_14transform_implILb0ES3_S5_PiN6thrust23THRUST_200600_302600_NS6detail15normal_iteratorINS9_10device_ptrIiEEEENS0_8identityIiEEEE10hipError_tT2_T3_mT4_P12ihipStream_tbEUlT_E_NS1_11comp_targetILNS1_3genE5ELNS1_11target_archE942ELNS1_3gpuE9ELNS1_3repE0EEENS1_30default_config_static_selectorELNS0_4arch9wavefront6targetE1EEEvT1_.has_dyn_sized_stack, 0
	.set _ZN7rocprim17ROCPRIM_400000_NS6detail17trampoline_kernelINS0_14default_configENS1_25transform_config_selectorIiLb0EEEZNS1_14transform_implILb0ES3_S5_PiN6thrust23THRUST_200600_302600_NS6detail15normal_iteratorINS9_10device_ptrIiEEEENS0_8identityIiEEEE10hipError_tT2_T3_mT4_P12ihipStream_tbEUlT_E_NS1_11comp_targetILNS1_3genE5ELNS1_11target_archE942ELNS1_3gpuE9ELNS1_3repE0EEENS1_30default_config_static_selectorELNS0_4arch9wavefront6targetE1EEEvT1_.has_recursion, 0
	.set _ZN7rocprim17ROCPRIM_400000_NS6detail17trampoline_kernelINS0_14default_configENS1_25transform_config_selectorIiLb0EEEZNS1_14transform_implILb0ES3_S5_PiN6thrust23THRUST_200600_302600_NS6detail15normal_iteratorINS9_10device_ptrIiEEEENS0_8identityIiEEEE10hipError_tT2_T3_mT4_P12ihipStream_tbEUlT_E_NS1_11comp_targetILNS1_3genE5ELNS1_11target_archE942ELNS1_3gpuE9ELNS1_3repE0EEENS1_30default_config_static_selectorELNS0_4arch9wavefront6targetE1EEEvT1_.has_indirect_call, 0
	.section	.AMDGPU.csdata,"",@progbits
; Kernel info:
; codeLenInByte = 0
; TotalNumSgprs: 6
; NumVgprs: 0
; NumAgprs: 0
; TotalNumVgprs: 0
; ScratchSize: 0
; MemoryBound: 0
; FloatMode: 240
; IeeeMode: 1
; LDSByteSize: 0 bytes/workgroup (compile time only)
; SGPRBlocks: 0
; VGPRBlocks: 0
; NumSGPRsForWavesPerEU: 6
; NumVGPRsForWavesPerEU: 1
; AccumOffset: 4
; Occupancy: 8
; WaveLimiterHint : 0
; COMPUTE_PGM_RSRC2:SCRATCH_EN: 0
; COMPUTE_PGM_RSRC2:USER_SGPR: 2
; COMPUTE_PGM_RSRC2:TRAP_HANDLER: 0
; COMPUTE_PGM_RSRC2:TGID_X_EN: 1
; COMPUTE_PGM_RSRC2:TGID_Y_EN: 0
; COMPUTE_PGM_RSRC2:TGID_Z_EN: 0
; COMPUTE_PGM_RSRC2:TIDIG_COMP_CNT: 0
; COMPUTE_PGM_RSRC3_GFX90A:ACCUM_OFFSET: 0
; COMPUTE_PGM_RSRC3_GFX90A:TG_SPLIT: 0
	.section	.text._ZN7rocprim17ROCPRIM_400000_NS6detail17trampoline_kernelINS0_14default_configENS1_25transform_config_selectorIiLb0EEEZNS1_14transform_implILb0ES3_S5_PiN6thrust23THRUST_200600_302600_NS6detail15normal_iteratorINS9_10device_ptrIiEEEENS0_8identityIiEEEE10hipError_tT2_T3_mT4_P12ihipStream_tbEUlT_E_NS1_11comp_targetILNS1_3genE4ELNS1_11target_archE910ELNS1_3gpuE8ELNS1_3repE0EEENS1_30default_config_static_selectorELNS0_4arch9wavefront6targetE1EEEvT1_,"axG",@progbits,_ZN7rocprim17ROCPRIM_400000_NS6detail17trampoline_kernelINS0_14default_configENS1_25transform_config_selectorIiLb0EEEZNS1_14transform_implILb0ES3_S5_PiN6thrust23THRUST_200600_302600_NS6detail15normal_iteratorINS9_10device_ptrIiEEEENS0_8identityIiEEEE10hipError_tT2_T3_mT4_P12ihipStream_tbEUlT_E_NS1_11comp_targetILNS1_3genE4ELNS1_11target_archE910ELNS1_3gpuE8ELNS1_3repE0EEENS1_30default_config_static_selectorELNS0_4arch9wavefront6targetE1EEEvT1_,comdat
	.protected	_ZN7rocprim17ROCPRIM_400000_NS6detail17trampoline_kernelINS0_14default_configENS1_25transform_config_selectorIiLb0EEEZNS1_14transform_implILb0ES3_S5_PiN6thrust23THRUST_200600_302600_NS6detail15normal_iteratorINS9_10device_ptrIiEEEENS0_8identityIiEEEE10hipError_tT2_T3_mT4_P12ihipStream_tbEUlT_E_NS1_11comp_targetILNS1_3genE4ELNS1_11target_archE910ELNS1_3gpuE8ELNS1_3repE0EEENS1_30default_config_static_selectorELNS0_4arch9wavefront6targetE1EEEvT1_ ; -- Begin function _ZN7rocprim17ROCPRIM_400000_NS6detail17trampoline_kernelINS0_14default_configENS1_25transform_config_selectorIiLb0EEEZNS1_14transform_implILb0ES3_S5_PiN6thrust23THRUST_200600_302600_NS6detail15normal_iteratorINS9_10device_ptrIiEEEENS0_8identityIiEEEE10hipError_tT2_T3_mT4_P12ihipStream_tbEUlT_E_NS1_11comp_targetILNS1_3genE4ELNS1_11target_archE910ELNS1_3gpuE8ELNS1_3repE0EEENS1_30default_config_static_selectorELNS0_4arch9wavefront6targetE1EEEvT1_
	.globl	_ZN7rocprim17ROCPRIM_400000_NS6detail17trampoline_kernelINS0_14default_configENS1_25transform_config_selectorIiLb0EEEZNS1_14transform_implILb0ES3_S5_PiN6thrust23THRUST_200600_302600_NS6detail15normal_iteratorINS9_10device_ptrIiEEEENS0_8identityIiEEEE10hipError_tT2_T3_mT4_P12ihipStream_tbEUlT_E_NS1_11comp_targetILNS1_3genE4ELNS1_11target_archE910ELNS1_3gpuE8ELNS1_3repE0EEENS1_30default_config_static_selectorELNS0_4arch9wavefront6targetE1EEEvT1_
	.p2align	8
	.type	_ZN7rocprim17ROCPRIM_400000_NS6detail17trampoline_kernelINS0_14default_configENS1_25transform_config_selectorIiLb0EEEZNS1_14transform_implILb0ES3_S5_PiN6thrust23THRUST_200600_302600_NS6detail15normal_iteratorINS9_10device_ptrIiEEEENS0_8identityIiEEEE10hipError_tT2_T3_mT4_P12ihipStream_tbEUlT_E_NS1_11comp_targetILNS1_3genE4ELNS1_11target_archE910ELNS1_3gpuE8ELNS1_3repE0EEENS1_30default_config_static_selectorELNS0_4arch9wavefront6targetE1EEEvT1_,@function
_ZN7rocprim17ROCPRIM_400000_NS6detail17trampoline_kernelINS0_14default_configENS1_25transform_config_selectorIiLb0EEEZNS1_14transform_implILb0ES3_S5_PiN6thrust23THRUST_200600_302600_NS6detail15normal_iteratorINS9_10device_ptrIiEEEENS0_8identityIiEEEE10hipError_tT2_T3_mT4_P12ihipStream_tbEUlT_E_NS1_11comp_targetILNS1_3genE4ELNS1_11target_archE910ELNS1_3gpuE8ELNS1_3repE0EEENS1_30default_config_static_selectorELNS0_4arch9wavefront6targetE1EEEvT1_: ; @_ZN7rocprim17ROCPRIM_400000_NS6detail17trampoline_kernelINS0_14default_configENS1_25transform_config_selectorIiLb0EEEZNS1_14transform_implILb0ES3_S5_PiN6thrust23THRUST_200600_302600_NS6detail15normal_iteratorINS9_10device_ptrIiEEEENS0_8identityIiEEEE10hipError_tT2_T3_mT4_P12ihipStream_tbEUlT_E_NS1_11comp_targetILNS1_3genE4ELNS1_11target_archE910ELNS1_3gpuE8ELNS1_3repE0EEENS1_30default_config_static_selectorELNS0_4arch9wavefront6targetE1EEEvT1_
; %bb.0:
	.section	.rodata,"a",@progbits
	.p2align	6, 0x0
	.amdhsa_kernel _ZN7rocprim17ROCPRIM_400000_NS6detail17trampoline_kernelINS0_14default_configENS1_25transform_config_selectorIiLb0EEEZNS1_14transform_implILb0ES3_S5_PiN6thrust23THRUST_200600_302600_NS6detail15normal_iteratorINS9_10device_ptrIiEEEENS0_8identityIiEEEE10hipError_tT2_T3_mT4_P12ihipStream_tbEUlT_E_NS1_11comp_targetILNS1_3genE4ELNS1_11target_archE910ELNS1_3gpuE8ELNS1_3repE0EEENS1_30default_config_static_selectorELNS0_4arch9wavefront6targetE1EEEvT1_
		.amdhsa_group_segment_fixed_size 0
		.amdhsa_private_segment_fixed_size 0
		.amdhsa_kernarg_size 40
		.amdhsa_user_sgpr_count 2
		.amdhsa_user_sgpr_dispatch_ptr 0
		.amdhsa_user_sgpr_queue_ptr 0
		.amdhsa_user_sgpr_kernarg_segment_ptr 1
		.amdhsa_user_sgpr_dispatch_id 0
		.amdhsa_user_sgpr_kernarg_preload_length 0
		.amdhsa_user_sgpr_kernarg_preload_offset 0
		.amdhsa_user_sgpr_private_segment_size 0
		.amdhsa_uses_dynamic_stack 0
		.amdhsa_enable_private_segment 0
		.amdhsa_system_sgpr_workgroup_id_x 1
		.amdhsa_system_sgpr_workgroup_id_y 0
		.amdhsa_system_sgpr_workgroup_id_z 0
		.amdhsa_system_sgpr_workgroup_info 0
		.amdhsa_system_vgpr_workitem_id 0
		.amdhsa_next_free_vgpr 1
		.amdhsa_next_free_sgpr 0
		.amdhsa_accum_offset 4
		.amdhsa_reserve_vcc 0
		.amdhsa_float_round_mode_32 0
		.amdhsa_float_round_mode_16_64 0
		.amdhsa_float_denorm_mode_32 3
		.amdhsa_float_denorm_mode_16_64 3
		.amdhsa_dx10_clamp 1
		.amdhsa_ieee_mode 1
		.amdhsa_fp16_overflow 0
		.amdhsa_tg_split 0
		.amdhsa_exception_fp_ieee_invalid_op 0
		.amdhsa_exception_fp_denorm_src 0
		.amdhsa_exception_fp_ieee_div_zero 0
		.amdhsa_exception_fp_ieee_overflow 0
		.amdhsa_exception_fp_ieee_underflow 0
		.amdhsa_exception_fp_ieee_inexact 0
		.amdhsa_exception_int_div_zero 0
	.end_amdhsa_kernel
	.section	.text._ZN7rocprim17ROCPRIM_400000_NS6detail17trampoline_kernelINS0_14default_configENS1_25transform_config_selectorIiLb0EEEZNS1_14transform_implILb0ES3_S5_PiN6thrust23THRUST_200600_302600_NS6detail15normal_iteratorINS9_10device_ptrIiEEEENS0_8identityIiEEEE10hipError_tT2_T3_mT4_P12ihipStream_tbEUlT_E_NS1_11comp_targetILNS1_3genE4ELNS1_11target_archE910ELNS1_3gpuE8ELNS1_3repE0EEENS1_30default_config_static_selectorELNS0_4arch9wavefront6targetE1EEEvT1_,"axG",@progbits,_ZN7rocprim17ROCPRIM_400000_NS6detail17trampoline_kernelINS0_14default_configENS1_25transform_config_selectorIiLb0EEEZNS1_14transform_implILb0ES3_S5_PiN6thrust23THRUST_200600_302600_NS6detail15normal_iteratorINS9_10device_ptrIiEEEENS0_8identityIiEEEE10hipError_tT2_T3_mT4_P12ihipStream_tbEUlT_E_NS1_11comp_targetILNS1_3genE4ELNS1_11target_archE910ELNS1_3gpuE8ELNS1_3repE0EEENS1_30default_config_static_selectorELNS0_4arch9wavefront6targetE1EEEvT1_,comdat
.Lfunc_end1337:
	.size	_ZN7rocprim17ROCPRIM_400000_NS6detail17trampoline_kernelINS0_14default_configENS1_25transform_config_selectorIiLb0EEEZNS1_14transform_implILb0ES3_S5_PiN6thrust23THRUST_200600_302600_NS6detail15normal_iteratorINS9_10device_ptrIiEEEENS0_8identityIiEEEE10hipError_tT2_T3_mT4_P12ihipStream_tbEUlT_E_NS1_11comp_targetILNS1_3genE4ELNS1_11target_archE910ELNS1_3gpuE8ELNS1_3repE0EEENS1_30default_config_static_selectorELNS0_4arch9wavefront6targetE1EEEvT1_, .Lfunc_end1337-_ZN7rocprim17ROCPRIM_400000_NS6detail17trampoline_kernelINS0_14default_configENS1_25transform_config_selectorIiLb0EEEZNS1_14transform_implILb0ES3_S5_PiN6thrust23THRUST_200600_302600_NS6detail15normal_iteratorINS9_10device_ptrIiEEEENS0_8identityIiEEEE10hipError_tT2_T3_mT4_P12ihipStream_tbEUlT_E_NS1_11comp_targetILNS1_3genE4ELNS1_11target_archE910ELNS1_3gpuE8ELNS1_3repE0EEENS1_30default_config_static_selectorELNS0_4arch9wavefront6targetE1EEEvT1_
                                        ; -- End function
	.set _ZN7rocprim17ROCPRIM_400000_NS6detail17trampoline_kernelINS0_14default_configENS1_25transform_config_selectorIiLb0EEEZNS1_14transform_implILb0ES3_S5_PiN6thrust23THRUST_200600_302600_NS6detail15normal_iteratorINS9_10device_ptrIiEEEENS0_8identityIiEEEE10hipError_tT2_T3_mT4_P12ihipStream_tbEUlT_E_NS1_11comp_targetILNS1_3genE4ELNS1_11target_archE910ELNS1_3gpuE8ELNS1_3repE0EEENS1_30default_config_static_selectorELNS0_4arch9wavefront6targetE1EEEvT1_.num_vgpr, 0
	.set _ZN7rocprim17ROCPRIM_400000_NS6detail17trampoline_kernelINS0_14default_configENS1_25transform_config_selectorIiLb0EEEZNS1_14transform_implILb0ES3_S5_PiN6thrust23THRUST_200600_302600_NS6detail15normal_iteratorINS9_10device_ptrIiEEEENS0_8identityIiEEEE10hipError_tT2_T3_mT4_P12ihipStream_tbEUlT_E_NS1_11comp_targetILNS1_3genE4ELNS1_11target_archE910ELNS1_3gpuE8ELNS1_3repE0EEENS1_30default_config_static_selectorELNS0_4arch9wavefront6targetE1EEEvT1_.num_agpr, 0
	.set _ZN7rocprim17ROCPRIM_400000_NS6detail17trampoline_kernelINS0_14default_configENS1_25transform_config_selectorIiLb0EEEZNS1_14transform_implILb0ES3_S5_PiN6thrust23THRUST_200600_302600_NS6detail15normal_iteratorINS9_10device_ptrIiEEEENS0_8identityIiEEEE10hipError_tT2_T3_mT4_P12ihipStream_tbEUlT_E_NS1_11comp_targetILNS1_3genE4ELNS1_11target_archE910ELNS1_3gpuE8ELNS1_3repE0EEENS1_30default_config_static_selectorELNS0_4arch9wavefront6targetE1EEEvT1_.numbered_sgpr, 0
	.set _ZN7rocprim17ROCPRIM_400000_NS6detail17trampoline_kernelINS0_14default_configENS1_25transform_config_selectorIiLb0EEEZNS1_14transform_implILb0ES3_S5_PiN6thrust23THRUST_200600_302600_NS6detail15normal_iteratorINS9_10device_ptrIiEEEENS0_8identityIiEEEE10hipError_tT2_T3_mT4_P12ihipStream_tbEUlT_E_NS1_11comp_targetILNS1_3genE4ELNS1_11target_archE910ELNS1_3gpuE8ELNS1_3repE0EEENS1_30default_config_static_selectorELNS0_4arch9wavefront6targetE1EEEvT1_.num_named_barrier, 0
	.set _ZN7rocprim17ROCPRIM_400000_NS6detail17trampoline_kernelINS0_14default_configENS1_25transform_config_selectorIiLb0EEEZNS1_14transform_implILb0ES3_S5_PiN6thrust23THRUST_200600_302600_NS6detail15normal_iteratorINS9_10device_ptrIiEEEENS0_8identityIiEEEE10hipError_tT2_T3_mT4_P12ihipStream_tbEUlT_E_NS1_11comp_targetILNS1_3genE4ELNS1_11target_archE910ELNS1_3gpuE8ELNS1_3repE0EEENS1_30default_config_static_selectorELNS0_4arch9wavefront6targetE1EEEvT1_.private_seg_size, 0
	.set _ZN7rocprim17ROCPRIM_400000_NS6detail17trampoline_kernelINS0_14default_configENS1_25transform_config_selectorIiLb0EEEZNS1_14transform_implILb0ES3_S5_PiN6thrust23THRUST_200600_302600_NS6detail15normal_iteratorINS9_10device_ptrIiEEEENS0_8identityIiEEEE10hipError_tT2_T3_mT4_P12ihipStream_tbEUlT_E_NS1_11comp_targetILNS1_3genE4ELNS1_11target_archE910ELNS1_3gpuE8ELNS1_3repE0EEENS1_30default_config_static_selectorELNS0_4arch9wavefront6targetE1EEEvT1_.uses_vcc, 0
	.set _ZN7rocprim17ROCPRIM_400000_NS6detail17trampoline_kernelINS0_14default_configENS1_25transform_config_selectorIiLb0EEEZNS1_14transform_implILb0ES3_S5_PiN6thrust23THRUST_200600_302600_NS6detail15normal_iteratorINS9_10device_ptrIiEEEENS0_8identityIiEEEE10hipError_tT2_T3_mT4_P12ihipStream_tbEUlT_E_NS1_11comp_targetILNS1_3genE4ELNS1_11target_archE910ELNS1_3gpuE8ELNS1_3repE0EEENS1_30default_config_static_selectorELNS0_4arch9wavefront6targetE1EEEvT1_.uses_flat_scratch, 0
	.set _ZN7rocprim17ROCPRIM_400000_NS6detail17trampoline_kernelINS0_14default_configENS1_25transform_config_selectorIiLb0EEEZNS1_14transform_implILb0ES3_S5_PiN6thrust23THRUST_200600_302600_NS6detail15normal_iteratorINS9_10device_ptrIiEEEENS0_8identityIiEEEE10hipError_tT2_T3_mT4_P12ihipStream_tbEUlT_E_NS1_11comp_targetILNS1_3genE4ELNS1_11target_archE910ELNS1_3gpuE8ELNS1_3repE0EEENS1_30default_config_static_selectorELNS0_4arch9wavefront6targetE1EEEvT1_.has_dyn_sized_stack, 0
	.set _ZN7rocprim17ROCPRIM_400000_NS6detail17trampoline_kernelINS0_14default_configENS1_25transform_config_selectorIiLb0EEEZNS1_14transform_implILb0ES3_S5_PiN6thrust23THRUST_200600_302600_NS6detail15normal_iteratorINS9_10device_ptrIiEEEENS0_8identityIiEEEE10hipError_tT2_T3_mT4_P12ihipStream_tbEUlT_E_NS1_11comp_targetILNS1_3genE4ELNS1_11target_archE910ELNS1_3gpuE8ELNS1_3repE0EEENS1_30default_config_static_selectorELNS0_4arch9wavefront6targetE1EEEvT1_.has_recursion, 0
	.set _ZN7rocprim17ROCPRIM_400000_NS6detail17trampoline_kernelINS0_14default_configENS1_25transform_config_selectorIiLb0EEEZNS1_14transform_implILb0ES3_S5_PiN6thrust23THRUST_200600_302600_NS6detail15normal_iteratorINS9_10device_ptrIiEEEENS0_8identityIiEEEE10hipError_tT2_T3_mT4_P12ihipStream_tbEUlT_E_NS1_11comp_targetILNS1_3genE4ELNS1_11target_archE910ELNS1_3gpuE8ELNS1_3repE0EEENS1_30default_config_static_selectorELNS0_4arch9wavefront6targetE1EEEvT1_.has_indirect_call, 0
	.section	.AMDGPU.csdata,"",@progbits
; Kernel info:
; codeLenInByte = 0
; TotalNumSgprs: 6
; NumVgprs: 0
; NumAgprs: 0
; TotalNumVgprs: 0
; ScratchSize: 0
; MemoryBound: 0
; FloatMode: 240
; IeeeMode: 1
; LDSByteSize: 0 bytes/workgroup (compile time only)
; SGPRBlocks: 0
; VGPRBlocks: 0
; NumSGPRsForWavesPerEU: 6
; NumVGPRsForWavesPerEU: 1
; AccumOffset: 4
; Occupancy: 8
; WaveLimiterHint : 0
; COMPUTE_PGM_RSRC2:SCRATCH_EN: 0
; COMPUTE_PGM_RSRC2:USER_SGPR: 2
; COMPUTE_PGM_RSRC2:TRAP_HANDLER: 0
; COMPUTE_PGM_RSRC2:TGID_X_EN: 1
; COMPUTE_PGM_RSRC2:TGID_Y_EN: 0
; COMPUTE_PGM_RSRC2:TGID_Z_EN: 0
; COMPUTE_PGM_RSRC2:TIDIG_COMP_CNT: 0
; COMPUTE_PGM_RSRC3_GFX90A:ACCUM_OFFSET: 0
; COMPUTE_PGM_RSRC3_GFX90A:TG_SPLIT: 0
	.section	.text._ZN7rocprim17ROCPRIM_400000_NS6detail17trampoline_kernelINS0_14default_configENS1_25transform_config_selectorIiLb0EEEZNS1_14transform_implILb0ES3_S5_PiN6thrust23THRUST_200600_302600_NS6detail15normal_iteratorINS9_10device_ptrIiEEEENS0_8identityIiEEEE10hipError_tT2_T3_mT4_P12ihipStream_tbEUlT_E_NS1_11comp_targetILNS1_3genE3ELNS1_11target_archE908ELNS1_3gpuE7ELNS1_3repE0EEENS1_30default_config_static_selectorELNS0_4arch9wavefront6targetE1EEEvT1_,"axG",@progbits,_ZN7rocprim17ROCPRIM_400000_NS6detail17trampoline_kernelINS0_14default_configENS1_25transform_config_selectorIiLb0EEEZNS1_14transform_implILb0ES3_S5_PiN6thrust23THRUST_200600_302600_NS6detail15normal_iteratorINS9_10device_ptrIiEEEENS0_8identityIiEEEE10hipError_tT2_T3_mT4_P12ihipStream_tbEUlT_E_NS1_11comp_targetILNS1_3genE3ELNS1_11target_archE908ELNS1_3gpuE7ELNS1_3repE0EEENS1_30default_config_static_selectorELNS0_4arch9wavefront6targetE1EEEvT1_,comdat
	.protected	_ZN7rocprim17ROCPRIM_400000_NS6detail17trampoline_kernelINS0_14default_configENS1_25transform_config_selectorIiLb0EEEZNS1_14transform_implILb0ES3_S5_PiN6thrust23THRUST_200600_302600_NS6detail15normal_iteratorINS9_10device_ptrIiEEEENS0_8identityIiEEEE10hipError_tT2_T3_mT4_P12ihipStream_tbEUlT_E_NS1_11comp_targetILNS1_3genE3ELNS1_11target_archE908ELNS1_3gpuE7ELNS1_3repE0EEENS1_30default_config_static_selectorELNS0_4arch9wavefront6targetE1EEEvT1_ ; -- Begin function _ZN7rocprim17ROCPRIM_400000_NS6detail17trampoline_kernelINS0_14default_configENS1_25transform_config_selectorIiLb0EEEZNS1_14transform_implILb0ES3_S5_PiN6thrust23THRUST_200600_302600_NS6detail15normal_iteratorINS9_10device_ptrIiEEEENS0_8identityIiEEEE10hipError_tT2_T3_mT4_P12ihipStream_tbEUlT_E_NS1_11comp_targetILNS1_3genE3ELNS1_11target_archE908ELNS1_3gpuE7ELNS1_3repE0EEENS1_30default_config_static_selectorELNS0_4arch9wavefront6targetE1EEEvT1_
	.globl	_ZN7rocprim17ROCPRIM_400000_NS6detail17trampoline_kernelINS0_14default_configENS1_25transform_config_selectorIiLb0EEEZNS1_14transform_implILb0ES3_S5_PiN6thrust23THRUST_200600_302600_NS6detail15normal_iteratorINS9_10device_ptrIiEEEENS0_8identityIiEEEE10hipError_tT2_T3_mT4_P12ihipStream_tbEUlT_E_NS1_11comp_targetILNS1_3genE3ELNS1_11target_archE908ELNS1_3gpuE7ELNS1_3repE0EEENS1_30default_config_static_selectorELNS0_4arch9wavefront6targetE1EEEvT1_
	.p2align	8
	.type	_ZN7rocprim17ROCPRIM_400000_NS6detail17trampoline_kernelINS0_14default_configENS1_25transform_config_selectorIiLb0EEEZNS1_14transform_implILb0ES3_S5_PiN6thrust23THRUST_200600_302600_NS6detail15normal_iteratorINS9_10device_ptrIiEEEENS0_8identityIiEEEE10hipError_tT2_T3_mT4_P12ihipStream_tbEUlT_E_NS1_11comp_targetILNS1_3genE3ELNS1_11target_archE908ELNS1_3gpuE7ELNS1_3repE0EEENS1_30default_config_static_selectorELNS0_4arch9wavefront6targetE1EEEvT1_,@function
_ZN7rocprim17ROCPRIM_400000_NS6detail17trampoline_kernelINS0_14default_configENS1_25transform_config_selectorIiLb0EEEZNS1_14transform_implILb0ES3_S5_PiN6thrust23THRUST_200600_302600_NS6detail15normal_iteratorINS9_10device_ptrIiEEEENS0_8identityIiEEEE10hipError_tT2_T3_mT4_P12ihipStream_tbEUlT_E_NS1_11comp_targetILNS1_3genE3ELNS1_11target_archE908ELNS1_3gpuE7ELNS1_3repE0EEENS1_30default_config_static_selectorELNS0_4arch9wavefront6targetE1EEEvT1_: ; @_ZN7rocprim17ROCPRIM_400000_NS6detail17trampoline_kernelINS0_14default_configENS1_25transform_config_selectorIiLb0EEEZNS1_14transform_implILb0ES3_S5_PiN6thrust23THRUST_200600_302600_NS6detail15normal_iteratorINS9_10device_ptrIiEEEENS0_8identityIiEEEE10hipError_tT2_T3_mT4_P12ihipStream_tbEUlT_E_NS1_11comp_targetILNS1_3genE3ELNS1_11target_archE908ELNS1_3gpuE7ELNS1_3repE0EEENS1_30default_config_static_selectorELNS0_4arch9wavefront6targetE1EEEvT1_
; %bb.0:
	.section	.rodata,"a",@progbits
	.p2align	6, 0x0
	.amdhsa_kernel _ZN7rocprim17ROCPRIM_400000_NS6detail17trampoline_kernelINS0_14default_configENS1_25transform_config_selectorIiLb0EEEZNS1_14transform_implILb0ES3_S5_PiN6thrust23THRUST_200600_302600_NS6detail15normal_iteratorINS9_10device_ptrIiEEEENS0_8identityIiEEEE10hipError_tT2_T3_mT4_P12ihipStream_tbEUlT_E_NS1_11comp_targetILNS1_3genE3ELNS1_11target_archE908ELNS1_3gpuE7ELNS1_3repE0EEENS1_30default_config_static_selectorELNS0_4arch9wavefront6targetE1EEEvT1_
		.amdhsa_group_segment_fixed_size 0
		.amdhsa_private_segment_fixed_size 0
		.amdhsa_kernarg_size 40
		.amdhsa_user_sgpr_count 2
		.amdhsa_user_sgpr_dispatch_ptr 0
		.amdhsa_user_sgpr_queue_ptr 0
		.amdhsa_user_sgpr_kernarg_segment_ptr 1
		.amdhsa_user_sgpr_dispatch_id 0
		.amdhsa_user_sgpr_kernarg_preload_length 0
		.amdhsa_user_sgpr_kernarg_preload_offset 0
		.amdhsa_user_sgpr_private_segment_size 0
		.amdhsa_uses_dynamic_stack 0
		.amdhsa_enable_private_segment 0
		.amdhsa_system_sgpr_workgroup_id_x 1
		.amdhsa_system_sgpr_workgroup_id_y 0
		.amdhsa_system_sgpr_workgroup_id_z 0
		.amdhsa_system_sgpr_workgroup_info 0
		.amdhsa_system_vgpr_workitem_id 0
		.amdhsa_next_free_vgpr 1
		.amdhsa_next_free_sgpr 0
		.amdhsa_accum_offset 4
		.amdhsa_reserve_vcc 0
		.amdhsa_float_round_mode_32 0
		.amdhsa_float_round_mode_16_64 0
		.amdhsa_float_denorm_mode_32 3
		.amdhsa_float_denorm_mode_16_64 3
		.amdhsa_dx10_clamp 1
		.amdhsa_ieee_mode 1
		.amdhsa_fp16_overflow 0
		.amdhsa_tg_split 0
		.amdhsa_exception_fp_ieee_invalid_op 0
		.amdhsa_exception_fp_denorm_src 0
		.amdhsa_exception_fp_ieee_div_zero 0
		.amdhsa_exception_fp_ieee_overflow 0
		.amdhsa_exception_fp_ieee_underflow 0
		.amdhsa_exception_fp_ieee_inexact 0
		.amdhsa_exception_int_div_zero 0
	.end_amdhsa_kernel
	.section	.text._ZN7rocprim17ROCPRIM_400000_NS6detail17trampoline_kernelINS0_14default_configENS1_25transform_config_selectorIiLb0EEEZNS1_14transform_implILb0ES3_S5_PiN6thrust23THRUST_200600_302600_NS6detail15normal_iteratorINS9_10device_ptrIiEEEENS0_8identityIiEEEE10hipError_tT2_T3_mT4_P12ihipStream_tbEUlT_E_NS1_11comp_targetILNS1_3genE3ELNS1_11target_archE908ELNS1_3gpuE7ELNS1_3repE0EEENS1_30default_config_static_selectorELNS0_4arch9wavefront6targetE1EEEvT1_,"axG",@progbits,_ZN7rocprim17ROCPRIM_400000_NS6detail17trampoline_kernelINS0_14default_configENS1_25transform_config_selectorIiLb0EEEZNS1_14transform_implILb0ES3_S5_PiN6thrust23THRUST_200600_302600_NS6detail15normal_iteratorINS9_10device_ptrIiEEEENS0_8identityIiEEEE10hipError_tT2_T3_mT4_P12ihipStream_tbEUlT_E_NS1_11comp_targetILNS1_3genE3ELNS1_11target_archE908ELNS1_3gpuE7ELNS1_3repE0EEENS1_30default_config_static_selectorELNS0_4arch9wavefront6targetE1EEEvT1_,comdat
.Lfunc_end1338:
	.size	_ZN7rocprim17ROCPRIM_400000_NS6detail17trampoline_kernelINS0_14default_configENS1_25transform_config_selectorIiLb0EEEZNS1_14transform_implILb0ES3_S5_PiN6thrust23THRUST_200600_302600_NS6detail15normal_iteratorINS9_10device_ptrIiEEEENS0_8identityIiEEEE10hipError_tT2_T3_mT4_P12ihipStream_tbEUlT_E_NS1_11comp_targetILNS1_3genE3ELNS1_11target_archE908ELNS1_3gpuE7ELNS1_3repE0EEENS1_30default_config_static_selectorELNS0_4arch9wavefront6targetE1EEEvT1_, .Lfunc_end1338-_ZN7rocprim17ROCPRIM_400000_NS6detail17trampoline_kernelINS0_14default_configENS1_25transform_config_selectorIiLb0EEEZNS1_14transform_implILb0ES3_S5_PiN6thrust23THRUST_200600_302600_NS6detail15normal_iteratorINS9_10device_ptrIiEEEENS0_8identityIiEEEE10hipError_tT2_T3_mT4_P12ihipStream_tbEUlT_E_NS1_11comp_targetILNS1_3genE3ELNS1_11target_archE908ELNS1_3gpuE7ELNS1_3repE0EEENS1_30default_config_static_selectorELNS0_4arch9wavefront6targetE1EEEvT1_
                                        ; -- End function
	.set _ZN7rocprim17ROCPRIM_400000_NS6detail17trampoline_kernelINS0_14default_configENS1_25transform_config_selectorIiLb0EEEZNS1_14transform_implILb0ES3_S5_PiN6thrust23THRUST_200600_302600_NS6detail15normal_iteratorINS9_10device_ptrIiEEEENS0_8identityIiEEEE10hipError_tT2_T3_mT4_P12ihipStream_tbEUlT_E_NS1_11comp_targetILNS1_3genE3ELNS1_11target_archE908ELNS1_3gpuE7ELNS1_3repE0EEENS1_30default_config_static_selectorELNS0_4arch9wavefront6targetE1EEEvT1_.num_vgpr, 0
	.set _ZN7rocprim17ROCPRIM_400000_NS6detail17trampoline_kernelINS0_14default_configENS1_25transform_config_selectorIiLb0EEEZNS1_14transform_implILb0ES3_S5_PiN6thrust23THRUST_200600_302600_NS6detail15normal_iteratorINS9_10device_ptrIiEEEENS0_8identityIiEEEE10hipError_tT2_T3_mT4_P12ihipStream_tbEUlT_E_NS1_11comp_targetILNS1_3genE3ELNS1_11target_archE908ELNS1_3gpuE7ELNS1_3repE0EEENS1_30default_config_static_selectorELNS0_4arch9wavefront6targetE1EEEvT1_.num_agpr, 0
	.set _ZN7rocprim17ROCPRIM_400000_NS6detail17trampoline_kernelINS0_14default_configENS1_25transform_config_selectorIiLb0EEEZNS1_14transform_implILb0ES3_S5_PiN6thrust23THRUST_200600_302600_NS6detail15normal_iteratorINS9_10device_ptrIiEEEENS0_8identityIiEEEE10hipError_tT2_T3_mT4_P12ihipStream_tbEUlT_E_NS1_11comp_targetILNS1_3genE3ELNS1_11target_archE908ELNS1_3gpuE7ELNS1_3repE0EEENS1_30default_config_static_selectorELNS0_4arch9wavefront6targetE1EEEvT1_.numbered_sgpr, 0
	.set _ZN7rocprim17ROCPRIM_400000_NS6detail17trampoline_kernelINS0_14default_configENS1_25transform_config_selectorIiLb0EEEZNS1_14transform_implILb0ES3_S5_PiN6thrust23THRUST_200600_302600_NS6detail15normal_iteratorINS9_10device_ptrIiEEEENS0_8identityIiEEEE10hipError_tT2_T3_mT4_P12ihipStream_tbEUlT_E_NS1_11comp_targetILNS1_3genE3ELNS1_11target_archE908ELNS1_3gpuE7ELNS1_3repE0EEENS1_30default_config_static_selectorELNS0_4arch9wavefront6targetE1EEEvT1_.num_named_barrier, 0
	.set _ZN7rocprim17ROCPRIM_400000_NS6detail17trampoline_kernelINS0_14default_configENS1_25transform_config_selectorIiLb0EEEZNS1_14transform_implILb0ES3_S5_PiN6thrust23THRUST_200600_302600_NS6detail15normal_iteratorINS9_10device_ptrIiEEEENS0_8identityIiEEEE10hipError_tT2_T3_mT4_P12ihipStream_tbEUlT_E_NS1_11comp_targetILNS1_3genE3ELNS1_11target_archE908ELNS1_3gpuE7ELNS1_3repE0EEENS1_30default_config_static_selectorELNS0_4arch9wavefront6targetE1EEEvT1_.private_seg_size, 0
	.set _ZN7rocprim17ROCPRIM_400000_NS6detail17trampoline_kernelINS0_14default_configENS1_25transform_config_selectorIiLb0EEEZNS1_14transform_implILb0ES3_S5_PiN6thrust23THRUST_200600_302600_NS6detail15normal_iteratorINS9_10device_ptrIiEEEENS0_8identityIiEEEE10hipError_tT2_T3_mT4_P12ihipStream_tbEUlT_E_NS1_11comp_targetILNS1_3genE3ELNS1_11target_archE908ELNS1_3gpuE7ELNS1_3repE0EEENS1_30default_config_static_selectorELNS0_4arch9wavefront6targetE1EEEvT1_.uses_vcc, 0
	.set _ZN7rocprim17ROCPRIM_400000_NS6detail17trampoline_kernelINS0_14default_configENS1_25transform_config_selectorIiLb0EEEZNS1_14transform_implILb0ES3_S5_PiN6thrust23THRUST_200600_302600_NS6detail15normal_iteratorINS9_10device_ptrIiEEEENS0_8identityIiEEEE10hipError_tT2_T3_mT4_P12ihipStream_tbEUlT_E_NS1_11comp_targetILNS1_3genE3ELNS1_11target_archE908ELNS1_3gpuE7ELNS1_3repE0EEENS1_30default_config_static_selectorELNS0_4arch9wavefront6targetE1EEEvT1_.uses_flat_scratch, 0
	.set _ZN7rocprim17ROCPRIM_400000_NS6detail17trampoline_kernelINS0_14default_configENS1_25transform_config_selectorIiLb0EEEZNS1_14transform_implILb0ES3_S5_PiN6thrust23THRUST_200600_302600_NS6detail15normal_iteratorINS9_10device_ptrIiEEEENS0_8identityIiEEEE10hipError_tT2_T3_mT4_P12ihipStream_tbEUlT_E_NS1_11comp_targetILNS1_3genE3ELNS1_11target_archE908ELNS1_3gpuE7ELNS1_3repE0EEENS1_30default_config_static_selectorELNS0_4arch9wavefront6targetE1EEEvT1_.has_dyn_sized_stack, 0
	.set _ZN7rocprim17ROCPRIM_400000_NS6detail17trampoline_kernelINS0_14default_configENS1_25transform_config_selectorIiLb0EEEZNS1_14transform_implILb0ES3_S5_PiN6thrust23THRUST_200600_302600_NS6detail15normal_iteratorINS9_10device_ptrIiEEEENS0_8identityIiEEEE10hipError_tT2_T3_mT4_P12ihipStream_tbEUlT_E_NS1_11comp_targetILNS1_3genE3ELNS1_11target_archE908ELNS1_3gpuE7ELNS1_3repE0EEENS1_30default_config_static_selectorELNS0_4arch9wavefront6targetE1EEEvT1_.has_recursion, 0
	.set _ZN7rocprim17ROCPRIM_400000_NS6detail17trampoline_kernelINS0_14default_configENS1_25transform_config_selectorIiLb0EEEZNS1_14transform_implILb0ES3_S5_PiN6thrust23THRUST_200600_302600_NS6detail15normal_iteratorINS9_10device_ptrIiEEEENS0_8identityIiEEEE10hipError_tT2_T3_mT4_P12ihipStream_tbEUlT_E_NS1_11comp_targetILNS1_3genE3ELNS1_11target_archE908ELNS1_3gpuE7ELNS1_3repE0EEENS1_30default_config_static_selectorELNS0_4arch9wavefront6targetE1EEEvT1_.has_indirect_call, 0
	.section	.AMDGPU.csdata,"",@progbits
; Kernel info:
; codeLenInByte = 0
; TotalNumSgprs: 6
; NumVgprs: 0
; NumAgprs: 0
; TotalNumVgprs: 0
; ScratchSize: 0
; MemoryBound: 0
; FloatMode: 240
; IeeeMode: 1
; LDSByteSize: 0 bytes/workgroup (compile time only)
; SGPRBlocks: 0
; VGPRBlocks: 0
; NumSGPRsForWavesPerEU: 6
; NumVGPRsForWavesPerEU: 1
; AccumOffset: 4
; Occupancy: 8
; WaveLimiterHint : 0
; COMPUTE_PGM_RSRC2:SCRATCH_EN: 0
; COMPUTE_PGM_RSRC2:USER_SGPR: 2
; COMPUTE_PGM_RSRC2:TRAP_HANDLER: 0
; COMPUTE_PGM_RSRC2:TGID_X_EN: 1
; COMPUTE_PGM_RSRC2:TGID_Y_EN: 0
; COMPUTE_PGM_RSRC2:TGID_Z_EN: 0
; COMPUTE_PGM_RSRC2:TIDIG_COMP_CNT: 0
; COMPUTE_PGM_RSRC3_GFX90A:ACCUM_OFFSET: 0
; COMPUTE_PGM_RSRC3_GFX90A:TG_SPLIT: 0
	.section	.text._ZN7rocprim17ROCPRIM_400000_NS6detail17trampoline_kernelINS0_14default_configENS1_25transform_config_selectorIiLb0EEEZNS1_14transform_implILb0ES3_S5_PiN6thrust23THRUST_200600_302600_NS6detail15normal_iteratorINS9_10device_ptrIiEEEENS0_8identityIiEEEE10hipError_tT2_T3_mT4_P12ihipStream_tbEUlT_E_NS1_11comp_targetILNS1_3genE2ELNS1_11target_archE906ELNS1_3gpuE6ELNS1_3repE0EEENS1_30default_config_static_selectorELNS0_4arch9wavefront6targetE1EEEvT1_,"axG",@progbits,_ZN7rocprim17ROCPRIM_400000_NS6detail17trampoline_kernelINS0_14default_configENS1_25transform_config_selectorIiLb0EEEZNS1_14transform_implILb0ES3_S5_PiN6thrust23THRUST_200600_302600_NS6detail15normal_iteratorINS9_10device_ptrIiEEEENS0_8identityIiEEEE10hipError_tT2_T3_mT4_P12ihipStream_tbEUlT_E_NS1_11comp_targetILNS1_3genE2ELNS1_11target_archE906ELNS1_3gpuE6ELNS1_3repE0EEENS1_30default_config_static_selectorELNS0_4arch9wavefront6targetE1EEEvT1_,comdat
	.protected	_ZN7rocprim17ROCPRIM_400000_NS6detail17trampoline_kernelINS0_14default_configENS1_25transform_config_selectorIiLb0EEEZNS1_14transform_implILb0ES3_S5_PiN6thrust23THRUST_200600_302600_NS6detail15normal_iteratorINS9_10device_ptrIiEEEENS0_8identityIiEEEE10hipError_tT2_T3_mT4_P12ihipStream_tbEUlT_E_NS1_11comp_targetILNS1_3genE2ELNS1_11target_archE906ELNS1_3gpuE6ELNS1_3repE0EEENS1_30default_config_static_selectorELNS0_4arch9wavefront6targetE1EEEvT1_ ; -- Begin function _ZN7rocprim17ROCPRIM_400000_NS6detail17trampoline_kernelINS0_14default_configENS1_25transform_config_selectorIiLb0EEEZNS1_14transform_implILb0ES3_S5_PiN6thrust23THRUST_200600_302600_NS6detail15normal_iteratorINS9_10device_ptrIiEEEENS0_8identityIiEEEE10hipError_tT2_T3_mT4_P12ihipStream_tbEUlT_E_NS1_11comp_targetILNS1_3genE2ELNS1_11target_archE906ELNS1_3gpuE6ELNS1_3repE0EEENS1_30default_config_static_selectorELNS0_4arch9wavefront6targetE1EEEvT1_
	.globl	_ZN7rocprim17ROCPRIM_400000_NS6detail17trampoline_kernelINS0_14default_configENS1_25transform_config_selectorIiLb0EEEZNS1_14transform_implILb0ES3_S5_PiN6thrust23THRUST_200600_302600_NS6detail15normal_iteratorINS9_10device_ptrIiEEEENS0_8identityIiEEEE10hipError_tT2_T3_mT4_P12ihipStream_tbEUlT_E_NS1_11comp_targetILNS1_3genE2ELNS1_11target_archE906ELNS1_3gpuE6ELNS1_3repE0EEENS1_30default_config_static_selectorELNS0_4arch9wavefront6targetE1EEEvT1_
	.p2align	8
	.type	_ZN7rocprim17ROCPRIM_400000_NS6detail17trampoline_kernelINS0_14default_configENS1_25transform_config_selectorIiLb0EEEZNS1_14transform_implILb0ES3_S5_PiN6thrust23THRUST_200600_302600_NS6detail15normal_iteratorINS9_10device_ptrIiEEEENS0_8identityIiEEEE10hipError_tT2_T3_mT4_P12ihipStream_tbEUlT_E_NS1_11comp_targetILNS1_3genE2ELNS1_11target_archE906ELNS1_3gpuE6ELNS1_3repE0EEENS1_30default_config_static_selectorELNS0_4arch9wavefront6targetE1EEEvT1_,@function
_ZN7rocprim17ROCPRIM_400000_NS6detail17trampoline_kernelINS0_14default_configENS1_25transform_config_selectorIiLb0EEEZNS1_14transform_implILb0ES3_S5_PiN6thrust23THRUST_200600_302600_NS6detail15normal_iteratorINS9_10device_ptrIiEEEENS0_8identityIiEEEE10hipError_tT2_T3_mT4_P12ihipStream_tbEUlT_E_NS1_11comp_targetILNS1_3genE2ELNS1_11target_archE906ELNS1_3gpuE6ELNS1_3repE0EEENS1_30default_config_static_selectorELNS0_4arch9wavefront6targetE1EEEvT1_: ; @_ZN7rocprim17ROCPRIM_400000_NS6detail17trampoline_kernelINS0_14default_configENS1_25transform_config_selectorIiLb0EEEZNS1_14transform_implILb0ES3_S5_PiN6thrust23THRUST_200600_302600_NS6detail15normal_iteratorINS9_10device_ptrIiEEEENS0_8identityIiEEEE10hipError_tT2_T3_mT4_P12ihipStream_tbEUlT_E_NS1_11comp_targetILNS1_3genE2ELNS1_11target_archE906ELNS1_3gpuE6ELNS1_3repE0EEENS1_30default_config_static_selectorELNS0_4arch9wavefront6targetE1EEEvT1_
; %bb.0:
	.section	.rodata,"a",@progbits
	.p2align	6, 0x0
	.amdhsa_kernel _ZN7rocprim17ROCPRIM_400000_NS6detail17trampoline_kernelINS0_14default_configENS1_25transform_config_selectorIiLb0EEEZNS1_14transform_implILb0ES3_S5_PiN6thrust23THRUST_200600_302600_NS6detail15normal_iteratorINS9_10device_ptrIiEEEENS0_8identityIiEEEE10hipError_tT2_T3_mT4_P12ihipStream_tbEUlT_E_NS1_11comp_targetILNS1_3genE2ELNS1_11target_archE906ELNS1_3gpuE6ELNS1_3repE0EEENS1_30default_config_static_selectorELNS0_4arch9wavefront6targetE1EEEvT1_
		.amdhsa_group_segment_fixed_size 0
		.amdhsa_private_segment_fixed_size 0
		.amdhsa_kernarg_size 40
		.amdhsa_user_sgpr_count 2
		.amdhsa_user_sgpr_dispatch_ptr 0
		.amdhsa_user_sgpr_queue_ptr 0
		.amdhsa_user_sgpr_kernarg_segment_ptr 1
		.amdhsa_user_sgpr_dispatch_id 0
		.amdhsa_user_sgpr_kernarg_preload_length 0
		.amdhsa_user_sgpr_kernarg_preload_offset 0
		.amdhsa_user_sgpr_private_segment_size 0
		.amdhsa_uses_dynamic_stack 0
		.amdhsa_enable_private_segment 0
		.amdhsa_system_sgpr_workgroup_id_x 1
		.amdhsa_system_sgpr_workgroup_id_y 0
		.amdhsa_system_sgpr_workgroup_id_z 0
		.amdhsa_system_sgpr_workgroup_info 0
		.amdhsa_system_vgpr_workitem_id 0
		.amdhsa_next_free_vgpr 1
		.amdhsa_next_free_sgpr 0
		.amdhsa_accum_offset 4
		.amdhsa_reserve_vcc 0
		.amdhsa_float_round_mode_32 0
		.amdhsa_float_round_mode_16_64 0
		.amdhsa_float_denorm_mode_32 3
		.amdhsa_float_denorm_mode_16_64 3
		.amdhsa_dx10_clamp 1
		.amdhsa_ieee_mode 1
		.amdhsa_fp16_overflow 0
		.amdhsa_tg_split 0
		.amdhsa_exception_fp_ieee_invalid_op 0
		.amdhsa_exception_fp_denorm_src 0
		.amdhsa_exception_fp_ieee_div_zero 0
		.amdhsa_exception_fp_ieee_overflow 0
		.amdhsa_exception_fp_ieee_underflow 0
		.amdhsa_exception_fp_ieee_inexact 0
		.amdhsa_exception_int_div_zero 0
	.end_amdhsa_kernel
	.section	.text._ZN7rocprim17ROCPRIM_400000_NS6detail17trampoline_kernelINS0_14default_configENS1_25transform_config_selectorIiLb0EEEZNS1_14transform_implILb0ES3_S5_PiN6thrust23THRUST_200600_302600_NS6detail15normal_iteratorINS9_10device_ptrIiEEEENS0_8identityIiEEEE10hipError_tT2_T3_mT4_P12ihipStream_tbEUlT_E_NS1_11comp_targetILNS1_3genE2ELNS1_11target_archE906ELNS1_3gpuE6ELNS1_3repE0EEENS1_30default_config_static_selectorELNS0_4arch9wavefront6targetE1EEEvT1_,"axG",@progbits,_ZN7rocprim17ROCPRIM_400000_NS6detail17trampoline_kernelINS0_14default_configENS1_25transform_config_selectorIiLb0EEEZNS1_14transform_implILb0ES3_S5_PiN6thrust23THRUST_200600_302600_NS6detail15normal_iteratorINS9_10device_ptrIiEEEENS0_8identityIiEEEE10hipError_tT2_T3_mT4_P12ihipStream_tbEUlT_E_NS1_11comp_targetILNS1_3genE2ELNS1_11target_archE906ELNS1_3gpuE6ELNS1_3repE0EEENS1_30default_config_static_selectorELNS0_4arch9wavefront6targetE1EEEvT1_,comdat
.Lfunc_end1339:
	.size	_ZN7rocprim17ROCPRIM_400000_NS6detail17trampoline_kernelINS0_14default_configENS1_25transform_config_selectorIiLb0EEEZNS1_14transform_implILb0ES3_S5_PiN6thrust23THRUST_200600_302600_NS6detail15normal_iteratorINS9_10device_ptrIiEEEENS0_8identityIiEEEE10hipError_tT2_T3_mT4_P12ihipStream_tbEUlT_E_NS1_11comp_targetILNS1_3genE2ELNS1_11target_archE906ELNS1_3gpuE6ELNS1_3repE0EEENS1_30default_config_static_selectorELNS0_4arch9wavefront6targetE1EEEvT1_, .Lfunc_end1339-_ZN7rocprim17ROCPRIM_400000_NS6detail17trampoline_kernelINS0_14default_configENS1_25transform_config_selectorIiLb0EEEZNS1_14transform_implILb0ES3_S5_PiN6thrust23THRUST_200600_302600_NS6detail15normal_iteratorINS9_10device_ptrIiEEEENS0_8identityIiEEEE10hipError_tT2_T3_mT4_P12ihipStream_tbEUlT_E_NS1_11comp_targetILNS1_3genE2ELNS1_11target_archE906ELNS1_3gpuE6ELNS1_3repE0EEENS1_30default_config_static_selectorELNS0_4arch9wavefront6targetE1EEEvT1_
                                        ; -- End function
	.set _ZN7rocprim17ROCPRIM_400000_NS6detail17trampoline_kernelINS0_14default_configENS1_25transform_config_selectorIiLb0EEEZNS1_14transform_implILb0ES3_S5_PiN6thrust23THRUST_200600_302600_NS6detail15normal_iteratorINS9_10device_ptrIiEEEENS0_8identityIiEEEE10hipError_tT2_T3_mT4_P12ihipStream_tbEUlT_E_NS1_11comp_targetILNS1_3genE2ELNS1_11target_archE906ELNS1_3gpuE6ELNS1_3repE0EEENS1_30default_config_static_selectorELNS0_4arch9wavefront6targetE1EEEvT1_.num_vgpr, 0
	.set _ZN7rocprim17ROCPRIM_400000_NS6detail17trampoline_kernelINS0_14default_configENS1_25transform_config_selectorIiLb0EEEZNS1_14transform_implILb0ES3_S5_PiN6thrust23THRUST_200600_302600_NS6detail15normal_iteratorINS9_10device_ptrIiEEEENS0_8identityIiEEEE10hipError_tT2_T3_mT4_P12ihipStream_tbEUlT_E_NS1_11comp_targetILNS1_3genE2ELNS1_11target_archE906ELNS1_3gpuE6ELNS1_3repE0EEENS1_30default_config_static_selectorELNS0_4arch9wavefront6targetE1EEEvT1_.num_agpr, 0
	.set _ZN7rocprim17ROCPRIM_400000_NS6detail17trampoline_kernelINS0_14default_configENS1_25transform_config_selectorIiLb0EEEZNS1_14transform_implILb0ES3_S5_PiN6thrust23THRUST_200600_302600_NS6detail15normal_iteratorINS9_10device_ptrIiEEEENS0_8identityIiEEEE10hipError_tT2_T3_mT4_P12ihipStream_tbEUlT_E_NS1_11comp_targetILNS1_3genE2ELNS1_11target_archE906ELNS1_3gpuE6ELNS1_3repE0EEENS1_30default_config_static_selectorELNS0_4arch9wavefront6targetE1EEEvT1_.numbered_sgpr, 0
	.set _ZN7rocprim17ROCPRIM_400000_NS6detail17trampoline_kernelINS0_14default_configENS1_25transform_config_selectorIiLb0EEEZNS1_14transform_implILb0ES3_S5_PiN6thrust23THRUST_200600_302600_NS6detail15normal_iteratorINS9_10device_ptrIiEEEENS0_8identityIiEEEE10hipError_tT2_T3_mT4_P12ihipStream_tbEUlT_E_NS1_11comp_targetILNS1_3genE2ELNS1_11target_archE906ELNS1_3gpuE6ELNS1_3repE0EEENS1_30default_config_static_selectorELNS0_4arch9wavefront6targetE1EEEvT1_.num_named_barrier, 0
	.set _ZN7rocprim17ROCPRIM_400000_NS6detail17trampoline_kernelINS0_14default_configENS1_25transform_config_selectorIiLb0EEEZNS1_14transform_implILb0ES3_S5_PiN6thrust23THRUST_200600_302600_NS6detail15normal_iteratorINS9_10device_ptrIiEEEENS0_8identityIiEEEE10hipError_tT2_T3_mT4_P12ihipStream_tbEUlT_E_NS1_11comp_targetILNS1_3genE2ELNS1_11target_archE906ELNS1_3gpuE6ELNS1_3repE0EEENS1_30default_config_static_selectorELNS0_4arch9wavefront6targetE1EEEvT1_.private_seg_size, 0
	.set _ZN7rocprim17ROCPRIM_400000_NS6detail17trampoline_kernelINS0_14default_configENS1_25transform_config_selectorIiLb0EEEZNS1_14transform_implILb0ES3_S5_PiN6thrust23THRUST_200600_302600_NS6detail15normal_iteratorINS9_10device_ptrIiEEEENS0_8identityIiEEEE10hipError_tT2_T3_mT4_P12ihipStream_tbEUlT_E_NS1_11comp_targetILNS1_3genE2ELNS1_11target_archE906ELNS1_3gpuE6ELNS1_3repE0EEENS1_30default_config_static_selectorELNS0_4arch9wavefront6targetE1EEEvT1_.uses_vcc, 0
	.set _ZN7rocprim17ROCPRIM_400000_NS6detail17trampoline_kernelINS0_14default_configENS1_25transform_config_selectorIiLb0EEEZNS1_14transform_implILb0ES3_S5_PiN6thrust23THRUST_200600_302600_NS6detail15normal_iteratorINS9_10device_ptrIiEEEENS0_8identityIiEEEE10hipError_tT2_T3_mT4_P12ihipStream_tbEUlT_E_NS1_11comp_targetILNS1_3genE2ELNS1_11target_archE906ELNS1_3gpuE6ELNS1_3repE0EEENS1_30default_config_static_selectorELNS0_4arch9wavefront6targetE1EEEvT1_.uses_flat_scratch, 0
	.set _ZN7rocprim17ROCPRIM_400000_NS6detail17trampoline_kernelINS0_14default_configENS1_25transform_config_selectorIiLb0EEEZNS1_14transform_implILb0ES3_S5_PiN6thrust23THRUST_200600_302600_NS6detail15normal_iteratorINS9_10device_ptrIiEEEENS0_8identityIiEEEE10hipError_tT2_T3_mT4_P12ihipStream_tbEUlT_E_NS1_11comp_targetILNS1_3genE2ELNS1_11target_archE906ELNS1_3gpuE6ELNS1_3repE0EEENS1_30default_config_static_selectorELNS0_4arch9wavefront6targetE1EEEvT1_.has_dyn_sized_stack, 0
	.set _ZN7rocprim17ROCPRIM_400000_NS6detail17trampoline_kernelINS0_14default_configENS1_25transform_config_selectorIiLb0EEEZNS1_14transform_implILb0ES3_S5_PiN6thrust23THRUST_200600_302600_NS6detail15normal_iteratorINS9_10device_ptrIiEEEENS0_8identityIiEEEE10hipError_tT2_T3_mT4_P12ihipStream_tbEUlT_E_NS1_11comp_targetILNS1_3genE2ELNS1_11target_archE906ELNS1_3gpuE6ELNS1_3repE0EEENS1_30default_config_static_selectorELNS0_4arch9wavefront6targetE1EEEvT1_.has_recursion, 0
	.set _ZN7rocprim17ROCPRIM_400000_NS6detail17trampoline_kernelINS0_14default_configENS1_25transform_config_selectorIiLb0EEEZNS1_14transform_implILb0ES3_S5_PiN6thrust23THRUST_200600_302600_NS6detail15normal_iteratorINS9_10device_ptrIiEEEENS0_8identityIiEEEE10hipError_tT2_T3_mT4_P12ihipStream_tbEUlT_E_NS1_11comp_targetILNS1_3genE2ELNS1_11target_archE906ELNS1_3gpuE6ELNS1_3repE0EEENS1_30default_config_static_selectorELNS0_4arch9wavefront6targetE1EEEvT1_.has_indirect_call, 0
	.section	.AMDGPU.csdata,"",@progbits
; Kernel info:
; codeLenInByte = 0
; TotalNumSgprs: 6
; NumVgprs: 0
; NumAgprs: 0
; TotalNumVgprs: 0
; ScratchSize: 0
; MemoryBound: 0
; FloatMode: 240
; IeeeMode: 1
; LDSByteSize: 0 bytes/workgroup (compile time only)
; SGPRBlocks: 0
; VGPRBlocks: 0
; NumSGPRsForWavesPerEU: 6
; NumVGPRsForWavesPerEU: 1
; AccumOffset: 4
; Occupancy: 8
; WaveLimiterHint : 0
; COMPUTE_PGM_RSRC2:SCRATCH_EN: 0
; COMPUTE_PGM_RSRC2:USER_SGPR: 2
; COMPUTE_PGM_RSRC2:TRAP_HANDLER: 0
; COMPUTE_PGM_RSRC2:TGID_X_EN: 1
; COMPUTE_PGM_RSRC2:TGID_Y_EN: 0
; COMPUTE_PGM_RSRC2:TGID_Z_EN: 0
; COMPUTE_PGM_RSRC2:TIDIG_COMP_CNT: 0
; COMPUTE_PGM_RSRC3_GFX90A:ACCUM_OFFSET: 0
; COMPUTE_PGM_RSRC3_GFX90A:TG_SPLIT: 0
	.section	.text._ZN7rocprim17ROCPRIM_400000_NS6detail17trampoline_kernelINS0_14default_configENS1_25transform_config_selectorIiLb0EEEZNS1_14transform_implILb0ES3_S5_PiN6thrust23THRUST_200600_302600_NS6detail15normal_iteratorINS9_10device_ptrIiEEEENS0_8identityIiEEEE10hipError_tT2_T3_mT4_P12ihipStream_tbEUlT_E_NS1_11comp_targetILNS1_3genE10ELNS1_11target_archE1201ELNS1_3gpuE5ELNS1_3repE0EEENS1_30default_config_static_selectorELNS0_4arch9wavefront6targetE1EEEvT1_,"axG",@progbits,_ZN7rocprim17ROCPRIM_400000_NS6detail17trampoline_kernelINS0_14default_configENS1_25transform_config_selectorIiLb0EEEZNS1_14transform_implILb0ES3_S5_PiN6thrust23THRUST_200600_302600_NS6detail15normal_iteratorINS9_10device_ptrIiEEEENS0_8identityIiEEEE10hipError_tT2_T3_mT4_P12ihipStream_tbEUlT_E_NS1_11comp_targetILNS1_3genE10ELNS1_11target_archE1201ELNS1_3gpuE5ELNS1_3repE0EEENS1_30default_config_static_selectorELNS0_4arch9wavefront6targetE1EEEvT1_,comdat
	.protected	_ZN7rocprim17ROCPRIM_400000_NS6detail17trampoline_kernelINS0_14default_configENS1_25transform_config_selectorIiLb0EEEZNS1_14transform_implILb0ES3_S5_PiN6thrust23THRUST_200600_302600_NS6detail15normal_iteratorINS9_10device_ptrIiEEEENS0_8identityIiEEEE10hipError_tT2_T3_mT4_P12ihipStream_tbEUlT_E_NS1_11comp_targetILNS1_3genE10ELNS1_11target_archE1201ELNS1_3gpuE5ELNS1_3repE0EEENS1_30default_config_static_selectorELNS0_4arch9wavefront6targetE1EEEvT1_ ; -- Begin function _ZN7rocprim17ROCPRIM_400000_NS6detail17trampoline_kernelINS0_14default_configENS1_25transform_config_selectorIiLb0EEEZNS1_14transform_implILb0ES3_S5_PiN6thrust23THRUST_200600_302600_NS6detail15normal_iteratorINS9_10device_ptrIiEEEENS0_8identityIiEEEE10hipError_tT2_T3_mT4_P12ihipStream_tbEUlT_E_NS1_11comp_targetILNS1_3genE10ELNS1_11target_archE1201ELNS1_3gpuE5ELNS1_3repE0EEENS1_30default_config_static_selectorELNS0_4arch9wavefront6targetE1EEEvT1_
	.globl	_ZN7rocprim17ROCPRIM_400000_NS6detail17trampoline_kernelINS0_14default_configENS1_25transform_config_selectorIiLb0EEEZNS1_14transform_implILb0ES3_S5_PiN6thrust23THRUST_200600_302600_NS6detail15normal_iteratorINS9_10device_ptrIiEEEENS0_8identityIiEEEE10hipError_tT2_T3_mT4_P12ihipStream_tbEUlT_E_NS1_11comp_targetILNS1_3genE10ELNS1_11target_archE1201ELNS1_3gpuE5ELNS1_3repE0EEENS1_30default_config_static_selectorELNS0_4arch9wavefront6targetE1EEEvT1_
	.p2align	8
	.type	_ZN7rocprim17ROCPRIM_400000_NS6detail17trampoline_kernelINS0_14default_configENS1_25transform_config_selectorIiLb0EEEZNS1_14transform_implILb0ES3_S5_PiN6thrust23THRUST_200600_302600_NS6detail15normal_iteratorINS9_10device_ptrIiEEEENS0_8identityIiEEEE10hipError_tT2_T3_mT4_P12ihipStream_tbEUlT_E_NS1_11comp_targetILNS1_3genE10ELNS1_11target_archE1201ELNS1_3gpuE5ELNS1_3repE0EEENS1_30default_config_static_selectorELNS0_4arch9wavefront6targetE1EEEvT1_,@function
_ZN7rocprim17ROCPRIM_400000_NS6detail17trampoline_kernelINS0_14default_configENS1_25transform_config_selectorIiLb0EEEZNS1_14transform_implILb0ES3_S5_PiN6thrust23THRUST_200600_302600_NS6detail15normal_iteratorINS9_10device_ptrIiEEEENS0_8identityIiEEEE10hipError_tT2_T3_mT4_P12ihipStream_tbEUlT_E_NS1_11comp_targetILNS1_3genE10ELNS1_11target_archE1201ELNS1_3gpuE5ELNS1_3repE0EEENS1_30default_config_static_selectorELNS0_4arch9wavefront6targetE1EEEvT1_: ; @_ZN7rocprim17ROCPRIM_400000_NS6detail17trampoline_kernelINS0_14default_configENS1_25transform_config_selectorIiLb0EEEZNS1_14transform_implILb0ES3_S5_PiN6thrust23THRUST_200600_302600_NS6detail15normal_iteratorINS9_10device_ptrIiEEEENS0_8identityIiEEEE10hipError_tT2_T3_mT4_P12ihipStream_tbEUlT_E_NS1_11comp_targetILNS1_3genE10ELNS1_11target_archE1201ELNS1_3gpuE5ELNS1_3repE0EEENS1_30default_config_static_selectorELNS0_4arch9wavefront6targetE1EEEvT1_
; %bb.0:
	.section	.rodata,"a",@progbits
	.p2align	6, 0x0
	.amdhsa_kernel _ZN7rocprim17ROCPRIM_400000_NS6detail17trampoline_kernelINS0_14default_configENS1_25transform_config_selectorIiLb0EEEZNS1_14transform_implILb0ES3_S5_PiN6thrust23THRUST_200600_302600_NS6detail15normal_iteratorINS9_10device_ptrIiEEEENS0_8identityIiEEEE10hipError_tT2_T3_mT4_P12ihipStream_tbEUlT_E_NS1_11comp_targetILNS1_3genE10ELNS1_11target_archE1201ELNS1_3gpuE5ELNS1_3repE0EEENS1_30default_config_static_selectorELNS0_4arch9wavefront6targetE1EEEvT1_
		.amdhsa_group_segment_fixed_size 0
		.amdhsa_private_segment_fixed_size 0
		.amdhsa_kernarg_size 40
		.amdhsa_user_sgpr_count 2
		.amdhsa_user_sgpr_dispatch_ptr 0
		.amdhsa_user_sgpr_queue_ptr 0
		.amdhsa_user_sgpr_kernarg_segment_ptr 1
		.amdhsa_user_sgpr_dispatch_id 0
		.amdhsa_user_sgpr_kernarg_preload_length 0
		.amdhsa_user_sgpr_kernarg_preload_offset 0
		.amdhsa_user_sgpr_private_segment_size 0
		.amdhsa_uses_dynamic_stack 0
		.amdhsa_enable_private_segment 0
		.amdhsa_system_sgpr_workgroup_id_x 1
		.amdhsa_system_sgpr_workgroup_id_y 0
		.amdhsa_system_sgpr_workgroup_id_z 0
		.amdhsa_system_sgpr_workgroup_info 0
		.amdhsa_system_vgpr_workitem_id 0
		.amdhsa_next_free_vgpr 1
		.amdhsa_next_free_sgpr 0
		.amdhsa_accum_offset 4
		.amdhsa_reserve_vcc 0
		.amdhsa_float_round_mode_32 0
		.amdhsa_float_round_mode_16_64 0
		.amdhsa_float_denorm_mode_32 3
		.amdhsa_float_denorm_mode_16_64 3
		.amdhsa_dx10_clamp 1
		.amdhsa_ieee_mode 1
		.amdhsa_fp16_overflow 0
		.amdhsa_tg_split 0
		.amdhsa_exception_fp_ieee_invalid_op 0
		.amdhsa_exception_fp_denorm_src 0
		.amdhsa_exception_fp_ieee_div_zero 0
		.amdhsa_exception_fp_ieee_overflow 0
		.amdhsa_exception_fp_ieee_underflow 0
		.amdhsa_exception_fp_ieee_inexact 0
		.amdhsa_exception_int_div_zero 0
	.end_amdhsa_kernel
	.section	.text._ZN7rocprim17ROCPRIM_400000_NS6detail17trampoline_kernelINS0_14default_configENS1_25transform_config_selectorIiLb0EEEZNS1_14transform_implILb0ES3_S5_PiN6thrust23THRUST_200600_302600_NS6detail15normal_iteratorINS9_10device_ptrIiEEEENS0_8identityIiEEEE10hipError_tT2_T3_mT4_P12ihipStream_tbEUlT_E_NS1_11comp_targetILNS1_3genE10ELNS1_11target_archE1201ELNS1_3gpuE5ELNS1_3repE0EEENS1_30default_config_static_selectorELNS0_4arch9wavefront6targetE1EEEvT1_,"axG",@progbits,_ZN7rocprim17ROCPRIM_400000_NS6detail17trampoline_kernelINS0_14default_configENS1_25transform_config_selectorIiLb0EEEZNS1_14transform_implILb0ES3_S5_PiN6thrust23THRUST_200600_302600_NS6detail15normal_iteratorINS9_10device_ptrIiEEEENS0_8identityIiEEEE10hipError_tT2_T3_mT4_P12ihipStream_tbEUlT_E_NS1_11comp_targetILNS1_3genE10ELNS1_11target_archE1201ELNS1_3gpuE5ELNS1_3repE0EEENS1_30default_config_static_selectorELNS0_4arch9wavefront6targetE1EEEvT1_,comdat
.Lfunc_end1340:
	.size	_ZN7rocprim17ROCPRIM_400000_NS6detail17trampoline_kernelINS0_14default_configENS1_25transform_config_selectorIiLb0EEEZNS1_14transform_implILb0ES3_S5_PiN6thrust23THRUST_200600_302600_NS6detail15normal_iteratorINS9_10device_ptrIiEEEENS0_8identityIiEEEE10hipError_tT2_T3_mT4_P12ihipStream_tbEUlT_E_NS1_11comp_targetILNS1_3genE10ELNS1_11target_archE1201ELNS1_3gpuE5ELNS1_3repE0EEENS1_30default_config_static_selectorELNS0_4arch9wavefront6targetE1EEEvT1_, .Lfunc_end1340-_ZN7rocprim17ROCPRIM_400000_NS6detail17trampoline_kernelINS0_14default_configENS1_25transform_config_selectorIiLb0EEEZNS1_14transform_implILb0ES3_S5_PiN6thrust23THRUST_200600_302600_NS6detail15normal_iteratorINS9_10device_ptrIiEEEENS0_8identityIiEEEE10hipError_tT2_T3_mT4_P12ihipStream_tbEUlT_E_NS1_11comp_targetILNS1_3genE10ELNS1_11target_archE1201ELNS1_3gpuE5ELNS1_3repE0EEENS1_30default_config_static_selectorELNS0_4arch9wavefront6targetE1EEEvT1_
                                        ; -- End function
	.set _ZN7rocprim17ROCPRIM_400000_NS6detail17trampoline_kernelINS0_14default_configENS1_25transform_config_selectorIiLb0EEEZNS1_14transform_implILb0ES3_S5_PiN6thrust23THRUST_200600_302600_NS6detail15normal_iteratorINS9_10device_ptrIiEEEENS0_8identityIiEEEE10hipError_tT2_T3_mT4_P12ihipStream_tbEUlT_E_NS1_11comp_targetILNS1_3genE10ELNS1_11target_archE1201ELNS1_3gpuE5ELNS1_3repE0EEENS1_30default_config_static_selectorELNS0_4arch9wavefront6targetE1EEEvT1_.num_vgpr, 0
	.set _ZN7rocprim17ROCPRIM_400000_NS6detail17trampoline_kernelINS0_14default_configENS1_25transform_config_selectorIiLb0EEEZNS1_14transform_implILb0ES3_S5_PiN6thrust23THRUST_200600_302600_NS6detail15normal_iteratorINS9_10device_ptrIiEEEENS0_8identityIiEEEE10hipError_tT2_T3_mT4_P12ihipStream_tbEUlT_E_NS1_11comp_targetILNS1_3genE10ELNS1_11target_archE1201ELNS1_3gpuE5ELNS1_3repE0EEENS1_30default_config_static_selectorELNS0_4arch9wavefront6targetE1EEEvT1_.num_agpr, 0
	.set _ZN7rocprim17ROCPRIM_400000_NS6detail17trampoline_kernelINS0_14default_configENS1_25transform_config_selectorIiLb0EEEZNS1_14transform_implILb0ES3_S5_PiN6thrust23THRUST_200600_302600_NS6detail15normal_iteratorINS9_10device_ptrIiEEEENS0_8identityIiEEEE10hipError_tT2_T3_mT4_P12ihipStream_tbEUlT_E_NS1_11comp_targetILNS1_3genE10ELNS1_11target_archE1201ELNS1_3gpuE5ELNS1_3repE0EEENS1_30default_config_static_selectorELNS0_4arch9wavefront6targetE1EEEvT1_.numbered_sgpr, 0
	.set _ZN7rocprim17ROCPRIM_400000_NS6detail17trampoline_kernelINS0_14default_configENS1_25transform_config_selectorIiLb0EEEZNS1_14transform_implILb0ES3_S5_PiN6thrust23THRUST_200600_302600_NS6detail15normal_iteratorINS9_10device_ptrIiEEEENS0_8identityIiEEEE10hipError_tT2_T3_mT4_P12ihipStream_tbEUlT_E_NS1_11comp_targetILNS1_3genE10ELNS1_11target_archE1201ELNS1_3gpuE5ELNS1_3repE0EEENS1_30default_config_static_selectorELNS0_4arch9wavefront6targetE1EEEvT1_.num_named_barrier, 0
	.set _ZN7rocprim17ROCPRIM_400000_NS6detail17trampoline_kernelINS0_14default_configENS1_25transform_config_selectorIiLb0EEEZNS1_14transform_implILb0ES3_S5_PiN6thrust23THRUST_200600_302600_NS6detail15normal_iteratorINS9_10device_ptrIiEEEENS0_8identityIiEEEE10hipError_tT2_T3_mT4_P12ihipStream_tbEUlT_E_NS1_11comp_targetILNS1_3genE10ELNS1_11target_archE1201ELNS1_3gpuE5ELNS1_3repE0EEENS1_30default_config_static_selectorELNS0_4arch9wavefront6targetE1EEEvT1_.private_seg_size, 0
	.set _ZN7rocprim17ROCPRIM_400000_NS6detail17trampoline_kernelINS0_14default_configENS1_25transform_config_selectorIiLb0EEEZNS1_14transform_implILb0ES3_S5_PiN6thrust23THRUST_200600_302600_NS6detail15normal_iteratorINS9_10device_ptrIiEEEENS0_8identityIiEEEE10hipError_tT2_T3_mT4_P12ihipStream_tbEUlT_E_NS1_11comp_targetILNS1_3genE10ELNS1_11target_archE1201ELNS1_3gpuE5ELNS1_3repE0EEENS1_30default_config_static_selectorELNS0_4arch9wavefront6targetE1EEEvT1_.uses_vcc, 0
	.set _ZN7rocprim17ROCPRIM_400000_NS6detail17trampoline_kernelINS0_14default_configENS1_25transform_config_selectorIiLb0EEEZNS1_14transform_implILb0ES3_S5_PiN6thrust23THRUST_200600_302600_NS6detail15normal_iteratorINS9_10device_ptrIiEEEENS0_8identityIiEEEE10hipError_tT2_T3_mT4_P12ihipStream_tbEUlT_E_NS1_11comp_targetILNS1_3genE10ELNS1_11target_archE1201ELNS1_3gpuE5ELNS1_3repE0EEENS1_30default_config_static_selectorELNS0_4arch9wavefront6targetE1EEEvT1_.uses_flat_scratch, 0
	.set _ZN7rocprim17ROCPRIM_400000_NS6detail17trampoline_kernelINS0_14default_configENS1_25transform_config_selectorIiLb0EEEZNS1_14transform_implILb0ES3_S5_PiN6thrust23THRUST_200600_302600_NS6detail15normal_iteratorINS9_10device_ptrIiEEEENS0_8identityIiEEEE10hipError_tT2_T3_mT4_P12ihipStream_tbEUlT_E_NS1_11comp_targetILNS1_3genE10ELNS1_11target_archE1201ELNS1_3gpuE5ELNS1_3repE0EEENS1_30default_config_static_selectorELNS0_4arch9wavefront6targetE1EEEvT1_.has_dyn_sized_stack, 0
	.set _ZN7rocprim17ROCPRIM_400000_NS6detail17trampoline_kernelINS0_14default_configENS1_25transform_config_selectorIiLb0EEEZNS1_14transform_implILb0ES3_S5_PiN6thrust23THRUST_200600_302600_NS6detail15normal_iteratorINS9_10device_ptrIiEEEENS0_8identityIiEEEE10hipError_tT2_T3_mT4_P12ihipStream_tbEUlT_E_NS1_11comp_targetILNS1_3genE10ELNS1_11target_archE1201ELNS1_3gpuE5ELNS1_3repE0EEENS1_30default_config_static_selectorELNS0_4arch9wavefront6targetE1EEEvT1_.has_recursion, 0
	.set _ZN7rocprim17ROCPRIM_400000_NS6detail17trampoline_kernelINS0_14default_configENS1_25transform_config_selectorIiLb0EEEZNS1_14transform_implILb0ES3_S5_PiN6thrust23THRUST_200600_302600_NS6detail15normal_iteratorINS9_10device_ptrIiEEEENS0_8identityIiEEEE10hipError_tT2_T3_mT4_P12ihipStream_tbEUlT_E_NS1_11comp_targetILNS1_3genE10ELNS1_11target_archE1201ELNS1_3gpuE5ELNS1_3repE0EEENS1_30default_config_static_selectorELNS0_4arch9wavefront6targetE1EEEvT1_.has_indirect_call, 0
	.section	.AMDGPU.csdata,"",@progbits
; Kernel info:
; codeLenInByte = 0
; TotalNumSgprs: 6
; NumVgprs: 0
; NumAgprs: 0
; TotalNumVgprs: 0
; ScratchSize: 0
; MemoryBound: 0
; FloatMode: 240
; IeeeMode: 1
; LDSByteSize: 0 bytes/workgroup (compile time only)
; SGPRBlocks: 0
; VGPRBlocks: 0
; NumSGPRsForWavesPerEU: 6
; NumVGPRsForWavesPerEU: 1
; AccumOffset: 4
; Occupancy: 8
; WaveLimiterHint : 0
; COMPUTE_PGM_RSRC2:SCRATCH_EN: 0
; COMPUTE_PGM_RSRC2:USER_SGPR: 2
; COMPUTE_PGM_RSRC2:TRAP_HANDLER: 0
; COMPUTE_PGM_RSRC2:TGID_X_EN: 1
; COMPUTE_PGM_RSRC2:TGID_Y_EN: 0
; COMPUTE_PGM_RSRC2:TGID_Z_EN: 0
; COMPUTE_PGM_RSRC2:TIDIG_COMP_CNT: 0
; COMPUTE_PGM_RSRC3_GFX90A:ACCUM_OFFSET: 0
; COMPUTE_PGM_RSRC3_GFX90A:TG_SPLIT: 0
	.section	.text._ZN7rocprim17ROCPRIM_400000_NS6detail17trampoline_kernelINS0_14default_configENS1_25transform_config_selectorIiLb0EEEZNS1_14transform_implILb0ES3_S5_PiN6thrust23THRUST_200600_302600_NS6detail15normal_iteratorINS9_10device_ptrIiEEEENS0_8identityIiEEEE10hipError_tT2_T3_mT4_P12ihipStream_tbEUlT_E_NS1_11comp_targetILNS1_3genE10ELNS1_11target_archE1200ELNS1_3gpuE4ELNS1_3repE0EEENS1_30default_config_static_selectorELNS0_4arch9wavefront6targetE1EEEvT1_,"axG",@progbits,_ZN7rocprim17ROCPRIM_400000_NS6detail17trampoline_kernelINS0_14default_configENS1_25transform_config_selectorIiLb0EEEZNS1_14transform_implILb0ES3_S5_PiN6thrust23THRUST_200600_302600_NS6detail15normal_iteratorINS9_10device_ptrIiEEEENS0_8identityIiEEEE10hipError_tT2_T3_mT4_P12ihipStream_tbEUlT_E_NS1_11comp_targetILNS1_3genE10ELNS1_11target_archE1200ELNS1_3gpuE4ELNS1_3repE0EEENS1_30default_config_static_selectorELNS0_4arch9wavefront6targetE1EEEvT1_,comdat
	.protected	_ZN7rocprim17ROCPRIM_400000_NS6detail17trampoline_kernelINS0_14default_configENS1_25transform_config_selectorIiLb0EEEZNS1_14transform_implILb0ES3_S5_PiN6thrust23THRUST_200600_302600_NS6detail15normal_iteratorINS9_10device_ptrIiEEEENS0_8identityIiEEEE10hipError_tT2_T3_mT4_P12ihipStream_tbEUlT_E_NS1_11comp_targetILNS1_3genE10ELNS1_11target_archE1200ELNS1_3gpuE4ELNS1_3repE0EEENS1_30default_config_static_selectorELNS0_4arch9wavefront6targetE1EEEvT1_ ; -- Begin function _ZN7rocprim17ROCPRIM_400000_NS6detail17trampoline_kernelINS0_14default_configENS1_25transform_config_selectorIiLb0EEEZNS1_14transform_implILb0ES3_S5_PiN6thrust23THRUST_200600_302600_NS6detail15normal_iteratorINS9_10device_ptrIiEEEENS0_8identityIiEEEE10hipError_tT2_T3_mT4_P12ihipStream_tbEUlT_E_NS1_11comp_targetILNS1_3genE10ELNS1_11target_archE1200ELNS1_3gpuE4ELNS1_3repE0EEENS1_30default_config_static_selectorELNS0_4arch9wavefront6targetE1EEEvT1_
	.globl	_ZN7rocprim17ROCPRIM_400000_NS6detail17trampoline_kernelINS0_14default_configENS1_25transform_config_selectorIiLb0EEEZNS1_14transform_implILb0ES3_S5_PiN6thrust23THRUST_200600_302600_NS6detail15normal_iteratorINS9_10device_ptrIiEEEENS0_8identityIiEEEE10hipError_tT2_T3_mT4_P12ihipStream_tbEUlT_E_NS1_11comp_targetILNS1_3genE10ELNS1_11target_archE1200ELNS1_3gpuE4ELNS1_3repE0EEENS1_30default_config_static_selectorELNS0_4arch9wavefront6targetE1EEEvT1_
	.p2align	8
	.type	_ZN7rocprim17ROCPRIM_400000_NS6detail17trampoline_kernelINS0_14default_configENS1_25transform_config_selectorIiLb0EEEZNS1_14transform_implILb0ES3_S5_PiN6thrust23THRUST_200600_302600_NS6detail15normal_iteratorINS9_10device_ptrIiEEEENS0_8identityIiEEEE10hipError_tT2_T3_mT4_P12ihipStream_tbEUlT_E_NS1_11comp_targetILNS1_3genE10ELNS1_11target_archE1200ELNS1_3gpuE4ELNS1_3repE0EEENS1_30default_config_static_selectorELNS0_4arch9wavefront6targetE1EEEvT1_,@function
_ZN7rocprim17ROCPRIM_400000_NS6detail17trampoline_kernelINS0_14default_configENS1_25transform_config_selectorIiLb0EEEZNS1_14transform_implILb0ES3_S5_PiN6thrust23THRUST_200600_302600_NS6detail15normal_iteratorINS9_10device_ptrIiEEEENS0_8identityIiEEEE10hipError_tT2_T3_mT4_P12ihipStream_tbEUlT_E_NS1_11comp_targetILNS1_3genE10ELNS1_11target_archE1200ELNS1_3gpuE4ELNS1_3repE0EEENS1_30default_config_static_selectorELNS0_4arch9wavefront6targetE1EEEvT1_: ; @_ZN7rocprim17ROCPRIM_400000_NS6detail17trampoline_kernelINS0_14default_configENS1_25transform_config_selectorIiLb0EEEZNS1_14transform_implILb0ES3_S5_PiN6thrust23THRUST_200600_302600_NS6detail15normal_iteratorINS9_10device_ptrIiEEEENS0_8identityIiEEEE10hipError_tT2_T3_mT4_P12ihipStream_tbEUlT_E_NS1_11comp_targetILNS1_3genE10ELNS1_11target_archE1200ELNS1_3gpuE4ELNS1_3repE0EEENS1_30default_config_static_selectorELNS0_4arch9wavefront6targetE1EEEvT1_
; %bb.0:
	.section	.rodata,"a",@progbits
	.p2align	6, 0x0
	.amdhsa_kernel _ZN7rocprim17ROCPRIM_400000_NS6detail17trampoline_kernelINS0_14default_configENS1_25transform_config_selectorIiLb0EEEZNS1_14transform_implILb0ES3_S5_PiN6thrust23THRUST_200600_302600_NS6detail15normal_iteratorINS9_10device_ptrIiEEEENS0_8identityIiEEEE10hipError_tT2_T3_mT4_P12ihipStream_tbEUlT_E_NS1_11comp_targetILNS1_3genE10ELNS1_11target_archE1200ELNS1_3gpuE4ELNS1_3repE0EEENS1_30default_config_static_selectorELNS0_4arch9wavefront6targetE1EEEvT1_
		.amdhsa_group_segment_fixed_size 0
		.amdhsa_private_segment_fixed_size 0
		.amdhsa_kernarg_size 40
		.amdhsa_user_sgpr_count 2
		.amdhsa_user_sgpr_dispatch_ptr 0
		.amdhsa_user_sgpr_queue_ptr 0
		.amdhsa_user_sgpr_kernarg_segment_ptr 1
		.amdhsa_user_sgpr_dispatch_id 0
		.amdhsa_user_sgpr_kernarg_preload_length 0
		.amdhsa_user_sgpr_kernarg_preload_offset 0
		.amdhsa_user_sgpr_private_segment_size 0
		.amdhsa_uses_dynamic_stack 0
		.amdhsa_enable_private_segment 0
		.amdhsa_system_sgpr_workgroup_id_x 1
		.amdhsa_system_sgpr_workgroup_id_y 0
		.amdhsa_system_sgpr_workgroup_id_z 0
		.amdhsa_system_sgpr_workgroup_info 0
		.amdhsa_system_vgpr_workitem_id 0
		.amdhsa_next_free_vgpr 1
		.amdhsa_next_free_sgpr 0
		.amdhsa_accum_offset 4
		.amdhsa_reserve_vcc 0
		.amdhsa_float_round_mode_32 0
		.amdhsa_float_round_mode_16_64 0
		.amdhsa_float_denorm_mode_32 3
		.amdhsa_float_denorm_mode_16_64 3
		.amdhsa_dx10_clamp 1
		.amdhsa_ieee_mode 1
		.amdhsa_fp16_overflow 0
		.amdhsa_tg_split 0
		.amdhsa_exception_fp_ieee_invalid_op 0
		.amdhsa_exception_fp_denorm_src 0
		.amdhsa_exception_fp_ieee_div_zero 0
		.amdhsa_exception_fp_ieee_overflow 0
		.amdhsa_exception_fp_ieee_underflow 0
		.amdhsa_exception_fp_ieee_inexact 0
		.amdhsa_exception_int_div_zero 0
	.end_amdhsa_kernel
	.section	.text._ZN7rocprim17ROCPRIM_400000_NS6detail17trampoline_kernelINS0_14default_configENS1_25transform_config_selectorIiLb0EEEZNS1_14transform_implILb0ES3_S5_PiN6thrust23THRUST_200600_302600_NS6detail15normal_iteratorINS9_10device_ptrIiEEEENS0_8identityIiEEEE10hipError_tT2_T3_mT4_P12ihipStream_tbEUlT_E_NS1_11comp_targetILNS1_3genE10ELNS1_11target_archE1200ELNS1_3gpuE4ELNS1_3repE0EEENS1_30default_config_static_selectorELNS0_4arch9wavefront6targetE1EEEvT1_,"axG",@progbits,_ZN7rocprim17ROCPRIM_400000_NS6detail17trampoline_kernelINS0_14default_configENS1_25transform_config_selectorIiLb0EEEZNS1_14transform_implILb0ES3_S5_PiN6thrust23THRUST_200600_302600_NS6detail15normal_iteratorINS9_10device_ptrIiEEEENS0_8identityIiEEEE10hipError_tT2_T3_mT4_P12ihipStream_tbEUlT_E_NS1_11comp_targetILNS1_3genE10ELNS1_11target_archE1200ELNS1_3gpuE4ELNS1_3repE0EEENS1_30default_config_static_selectorELNS0_4arch9wavefront6targetE1EEEvT1_,comdat
.Lfunc_end1341:
	.size	_ZN7rocprim17ROCPRIM_400000_NS6detail17trampoline_kernelINS0_14default_configENS1_25transform_config_selectorIiLb0EEEZNS1_14transform_implILb0ES3_S5_PiN6thrust23THRUST_200600_302600_NS6detail15normal_iteratorINS9_10device_ptrIiEEEENS0_8identityIiEEEE10hipError_tT2_T3_mT4_P12ihipStream_tbEUlT_E_NS1_11comp_targetILNS1_3genE10ELNS1_11target_archE1200ELNS1_3gpuE4ELNS1_3repE0EEENS1_30default_config_static_selectorELNS0_4arch9wavefront6targetE1EEEvT1_, .Lfunc_end1341-_ZN7rocprim17ROCPRIM_400000_NS6detail17trampoline_kernelINS0_14default_configENS1_25transform_config_selectorIiLb0EEEZNS1_14transform_implILb0ES3_S5_PiN6thrust23THRUST_200600_302600_NS6detail15normal_iteratorINS9_10device_ptrIiEEEENS0_8identityIiEEEE10hipError_tT2_T3_mT4_P12ihipStream_tbEUlT_E_NS1_11comp_targetILNS1_3genE10ELNS1_11target_archE1200ELNS1_3gpuE4ELNS1_3repE0EEENS1_30default_config_static_selectorELNS0_4arch9wavefront6targetE1EEEvT1_
                                        ; -- End function
	.set _ZN7rocprim17ROCPRIM_400000_NS6detail17trampoline_kernelINS0_14default_configENS1_25transform_config_selectorIiLb0EEEZNS1_14transform_implILb0ES3_S5_PiN6thrust23THRUST_200600_302600_NS6detail15normal_iteratorINS9_10device_ptrIiEEEENS0_8identityIiEEEE10hipError_tT2_T3_mT4_P12ihipStream_tbEUlT_E_NS1_11comp_targetILNS1_3genE10ELNS1_11target_archE1200ELNS1_3gpuE4ELNS1_3repE0EEENS1_30default_config_static_selectorELNS0_4arch9wavefront6targetE1EEEvT1_.num_vgpr, 0
	.set _ZN7rocprim17ROCPRIM_400000_NS6detail17trampoline_kernelINS0_14default_configENS1_25transform_config_selectorIiLb0EEEZNS1_14transform_implILb0ES3_S5_PiN6thrust23THRUST_200600_302600_NS6detail15normal_iteratorINS9_10device_ptrIiEEEENS0_8identityIiEEEE10hipError_tT2_T3_mT4_P12ihipStream_tbEUlT_E_NS1_11comp_targetILNS1_3genE10ELNS1_11target_archE1200ELNS1_3gpuE4ELNS1_3repE0EEENS1_30default_config_static_selectorELNS0_4arch9wavefront6targetE1EEEvT1_.num_agpr, 0
	.set _ZN7rocprim17ROCPRIM_400000_NS6detail17trampoline_kernelINS0_14default_configENS1_25transform_config_selectorIiLb0EEEZNS1_14transform_implILb0ES3_S5_PiN6thrust23THRUST_200600_302600_NS6detail15normal_iteratorINS9_10device_ptrIiEEEENS0_8identityIiEEEE10hipError_tT2_T3_mT4_P12ihipStream_tbEUlT_E_NS1_11comp_targetILNS1_3genE10ELNS1_11target_archE1200ELNS1_3gpuE4ELNS1_3repE0EEENS1_30default_config_static_selectorELNS0_4arch9wavefront6targetE1EEEvT1_.numbered_sgpr, 0
	.set _ZN7rocprim17ROCPRIM_400000_NS6detail17trampoline_kernelINS0_14default_configENS1_25transform_config_selectorIiLb0EEEZNS1_14transform_implILb0ES3_S5_PiN6thrust23THRUST_200600_302600_NS6detail15normal_iteratorINS9_10device_ptrIiEEEENS0_8identityIiEEEE10hipError_tT2_T3_mT4_P12ihipStream_tbEUlT_E_NS1_11comp_targetILNS1_3genE10ELNS1_11target_archE1200ELNS1_3gpuE4ELNS1_3repE0EEENS1_30default_config_static_selectorELNS0_4arch9wavefront6targetE1EEEvT1_.num_named_barrier, 0
	.set _ZN7rocprim17ROCPRIM_400000_NS6detail17trampoline_kernelINS0_14default_configENS1_25transform_config_selectorIiLb0EEEZNS1_14transform_implILb0ES3_S5_PiN6thrust23THRUST_200600_302600_NS6detail15normal_iteratorINS9_10device_ptrIiEEEENS0_8identityIiEEEE10hipError_tT2_T3_mT4_P12ihipStream_tbEUlT_E_NS1_11comp_targetILNS1_3genE10ELNS1_11target_archE1200ELNS1_3gpuE4ELNS1_3repE0EEENS1_30default_config_static_selectorELNS0_4arch9wavefront6targetE1EEEvT1_.private_seg_size, 0
	.set _ZN7rocprim17ROCPRIM_400000_NS6detail17trampoline_kernelINS0_14default_configENS1_25transform_config_selectorIiLb0EEEZNS1_14transform_implILb0ES3_S5_PiN6thrust23THRUST_200600_302600_NS6detail15normal_iteratorINS9_10device_ptrIiEEEENS0_8identityIiEEEE10hipError_tT2_T3_mT4_P12ihipStream_tbEUlT_E_NS1_11comp_targetILNS1_3genE10ELNS1_11target_archE1200ELNS1_3gpuE4ELNS1_3repE0EEENS1_30default_config_static_selectorELNS0_4arch9wavefront6targetE1EEEvT1_.uses_vcc, 0
	.set _ZN7rocprim17ROCPRIM_400000_NS6detail17trampoline_kernelINS0_14default_configENS1_25transform_config_selectorIiLb0EEEZNS1_14transform_implILb0ES3_S5_PiN6thrust23THRUST_200600_302600_NS6detail15normal_iteratorINS9_10device_ptrIiEEEENS0_8identityIiEEEE10hipError_tT2_T3_mT4_P12ihipStream_tbEUlT_E_NS1_11comp_targetILNS1_3genE10ELNS1_11target_archE1200ELNS1_3gpuE4ELNS1_3repE0EEENS1_30default_config_static_selectorELNS0_4arch9wavefront6targetE1EEEvT1_.uses_flat_scratch, 0
	.set _ZN7rocprim17ROCPRIM_400000_NS6detail17trampoline_kernelINS0_14default_configENS1_25transform_config_selectorIiLb0EEEZNS1_14transform_implILb0ES3_S5_PiN6thrust23THRUST_200600_302600_NS6detail15normal_iteratorINS9_10device_ptrIiEEEENS0_8identityIiEEEE10hipError_tT2_T3_mT4_P12ihipStream_tbEUlT_E_NS1_11comp_targetILNS1_3genE10ELNS1_11target_archE1200ELNS1_3gpuE4ELNS1_3repE0EEENS1_30default_config_static_selectorELNS0_4arch9wavefront6targetE1EEEvT1_.has_dyn_sized_stack, 0
	.set _ZN7rocprim17ROCPRIM_400000_NS6detail17trampoline_kernelINS0_14default_configENS1_25transform_config_selectorIiLb0EEEZNS1_14transform_implILb0ES3_S5_PiN6thrust23THRUST_200600_302600_NS6detail15normal_iteratorINS9_10device_ptrIiEEEENS0_8identityIiEEEE10hipError_tT2_T3_mT4_P12ihipStream_tbEUlT_E_NS1_11comp_targetILNS1_3genE10ELNS1_11target_archE1200ELNS1_3gpuE4ELNS1_3repE0EEENS1_30default_config_static_selectorELNS0_4arch9wavefront6targetE1EEEvT1_.has_recursion, 0
	.set _ZN7rocprim17ROCPRIM_400000_NS6detail17trampoline_kernelINS0_14default_configENS1_25transform_config_selectorIiLb0EEEZNS1_14transform_implILb0ES3_S5_PiN6thrust23THRUST_200600_302600_NS6detail15normal_iteratorINS9_10device_ptrIiEEEENS0_8identityIiEEEE10hipError_tT2_T3_mT4_P12ihipStream_tbEUlT_E_NS1_11comp_targetILNS1_3genE10ELNS1_11target_archE1200ELNS1_3gpuE4ELNS1_3repE0EEENS1_30default_config_static_selectorELNS0_4arch9wavefront6targetE1EEEvT1_.has_indirect_call, 0
	.section	.AMDGPU.csdata,"",@progbits
; Kernel info:
; codeLenInByte = 0
; TotalNumSgprs: 6
; NumVgprs: 0
; NumAgprs: 0
; TotalNumVgprs: 0
; ScratchSize: 0
; MemoryBound: 0
; FloatMode: 240
; IeeeMode: 1
; LDSByteSize: 0 bytes/workgroup (compile time only)
; SGPRBlocks: 0
; VGPRBlocks: 0
; NumSGPRsForWavesPerEU: 6
; NumVGPRsForWavesPerEU: 1
; AccumOffset: 4
; Occupancy: 8
; WaveLimiterHint : 0
; COMPUTE_PGM_RSRC2:SCRATCH_EN: 0
; COMPUTE_PGM_RSRC2:USER_SGPR: 2
; COMPUTE_PGM_RSRC2:TRAP_HANDLER: 0
; COMPUTE_PGM_RSRC2:TGID_X_EN: 1
; COMPUTE_PGM_RSRC2:TGID_Y_EN: 0
; COMPUTE_PGM_RSRC2:TGID_Z_EN: 0
; COMPUTE_PGM_RSRC2:TIDIG_COMP_CNT: 0
; COMPUTE_PGM_RSRC3_GFX90A:ACCUM_OFFSET: 0
; COMPUTE_PGM_RSRC3_GFX90A:TG_SPLIT: 0
	.section	.text._ZN7rocprim17ROCPRIM_400000_NS6detail17trampoline_kernelINS0_14default_configENS1_25transform_config_selectorIiLb0EEEZNS1_14transform_implILb0ES3_S5_PiN6thrust23THRUST_200600_302600_NS6detail15normal_iteratorINS9_10device_ptrIiEEEENS0_8identityIiEEEE10hipError_tT2_T3_mT4_P12ihipStream_tbEUlT_E_NS1_11comp_targetILNS1_3genE9ELNS1_11target_archE1100ELNS1_3gpuE3ELNS1_3repE0EEENS1_30default_config_static_selectorELNS0_4arch9wavefront6targetE1EEEvT1_,"axG",@progbits,_ZN7rocprim17ROCPRIM_400000_NS6detail17trampoline_kernelINS0_14default_configENS1_25transform_config_selectorIiLb0EEEZNS1_14transform_implILb0ES3_S5_PiN6thrust23THRUST_200600_302600_NS6detail15normal_iteratorINS9_10device_ptrIiEEEENS0_8identityIiEEEE10hipError_tT2_T3_mT4_P12ihipStream_tbEUlT_E_NS1_11comp_targetILNS1_3genE9ELNS1_11target_archE1100ELNS1_3gpuE3ELNS1_3repE0EEENS1_30default_config_static_selectorELNS0_4arch9wavefront6targetE1EEEvT1_,comdat
	.protected	_ZN7rocprim17ROCPRIM_400000_NS6detail17trampoline_kernelINS0_14default_configENS1_25transform_config_selectorIiLb0EEEZNS1_14transform_implILb0ES3_S5_PiN6thrust23THRUST_200600_302600_NS6detail15normal_iteratorINS9_10device_ptrIiEEEENS0_8identityIiEEEE10hipError_tT2_T3_mT4_P12ihipStream_tbEUlT_E_NS1_11comp_targetILNS1_3genE9ELNS1_11target_archE1100ELNS1_3gpuE3ELNS1_3repE0EEENS1_30default_config_static_selectorELNS0_4arch9wavefront6targetE1EEEvT1_ ; -- Begin function _ZN7rocprim17ROCPRIM_400000_NS6detail17trampoline_kernelINS0_14default_configENS1_25transform_config_selectorIiLb0EEEZNS1_14transform_implILb0ES3_S5_PiN6thrust23THRUST_200600_302600_NS6detail15normal_iteratorINS9_10device_ptrIiEEEENS0_8identityIiEEEE10hipError_tT2_T3_mT4_P12ihipStream_tbEUlT_E_NS1_11comp_targetILNS1_3genE9ELNS1_11target_archE1100ELNS1_3gpuE3ELNS1_3repE0EEENS1_30default_config_static_selectorELNS0_4arch9wavefront6targetE1EEEvT1_
	.globl	_ZN7rocprim17ROCPRIM_400000_NS6detail17trampoline_kernelINS0_14default_configENS1_25transform_config_selectorIiLb0EEEZNS1_14transform_implILb0ES3_S5_PiN6thrust23THRUST_200600_302600_NS6detail15normal_iteratorINS9_10device_ptrIiEEEENS0_8identityIiEEEE10hipError_tT2_T3_mT4_P12ihipStream_tbEUlT_E_NS1_11comp_targetILNS1_3genE9ELNS1_11target_archE1100ELNS1_3gpuE3ELNS1_3repE0EEENS1_30default_config_static_selectorELNS0_4arch9wavefront6targetE1EEEvT1_
	.p2align	8
	.type	_ZN7rocprim17ROCPRIM_400000_NS6detail17trampoline_kernelINS0_14default_configENS1_25transform_config_selectorIiLb0EEEZNS1_14transform_implILb0ES3_S5_PiN6thrust23THRUST_200600_302600_NS6detail15normal_iteratorINS9_10device_ptrIiEEEENS0_8identityIiEEEE10hipError_tT2_T3_mT4_P12ihipStream_tbEUlT_E_NS1_11comp_targetILNS1_3genE9ELNS1_11target_archE1100ELNS1_3gpuE3ELNS1_3repE0EEENS1_30default_config_static_selectorELNS0_4arch9wavefront6targetE1EEEvT1_,@function
_ZN7rocprim17ROCPRIM_400000_NS6detail17trampoline_kernelINS0_14default_configENS1_25transform_config_selectorIiLb0EEEZNS1_14transform_implILb0ES3_S5_PiN6thrust23THRUST_200600_302600_NS6detail15normal_iteratorINS9_10device_ptrIiEEEENS0_8identityIiEEEE10hipError_tT2_T3_mT4_P12ihipStream_tbEUlT_E_NS1_11comp_targetILNS1_3genE9ELNS1_11target_archE1100ELNS1_3gpuE3ELNS1_3repE0EEENS1_30default_config_static_selectorELNS0_4arch9wavefront6targetE1EEEvT1_: ; @_ZN7rocprim17ROCPRIM_400000_NS6detail17trampoline_kernelINS0_14default_configENS1_25transform_config_selectorIiLb0EEEZNS1_14transform_implILb0ES3_S5_PiN6thrust23THRUST_200600_302600_NS6detail15normal_iteratorINS9_10device_ptrIiEEEENS0_8identityIiEEEE10hipError_tT2_T3_mT4_P12ihipStream_tbEUlT_E_NS1_11comp_targetILNS1_3genE9ELNS1_11target_archE1100ELNS1_3gpuE3ELNS1_3repE0EEENS1_30default_config_static_selectorELNS0_4arch9wavefront6targetE1EEEvT1_
; %bb.0:
	.section	.rodata,"a",@progbits
	.p2align	6, 0x0
	.amdhsa_kernel _ZN7rocprim17ROCPRIM_400000_NS6detail17trampoline_kernelINS0_14default_configENS1_25transform_config_selectorIiLb0EEEZNS1_14transform_implILb0ES3_S5_PiN6thrust23THRUST_200600_302600_NS6detail15normal_iteratorINS9_10device_ptrIiEEEENS0_8identityIiEEEE10hipError_tT2_T3_mT4_P12ihipStream_tbEUlT_E_NS1_11comp_targetILNS1_3genE9ELNS1_11target_archE1100ELNS1_3gpuE3ELNS1_3repE0EEENS1_30default_config_static_selectorELNS0_4arch9wavefront6targetE1EEEvT1_
		.amdhsa_group_segment_fixed_size 0
		.amdhsa_private_segment_fixed_size 0
		.amdhsa_kernarg_size 40
		.amdhsa_user_sgpr_count 2
		.amdhsa_user_sgpr_dispatch_ptr 0
		.amdhsa_user_sgpr_queue_ptr 0
		.amdhsa_user_sgpr_kernarg_segment_ptr 1
		.amdhsa_user_sgpr_dispatch_id 0
		.amdhsa_user_sgpr_kernarg_preload_length 0
		.amdhsa_user_sgpr_kernarg_preload_offset 0
		.amdhsa_user_sgpr_private_segment_size 0
		.amdhsa_uses_dynamic_stack 0
		.amdhsa_enable_private_segment 0
		.amdhsa_system_sgpr_workgroup_id_x 1
		.amdhsa_system_sgpr_workgroup_id_y 0
		.amdhsa_system_sgpr_workgroup_id_z 0
		.amdhsa_system_sgpr_workgroup_info 0
		.amdhsa_system_vgpr_workitem_id 0
		.amdhsa_next_free_vgpr 1
		.amdhsa_next_free_sgpr 0
		.amdhsa_accum_offset 4
		.amdhsa_reserve_vcc 0
		.amdhsa_float_round_mode_32 0
		.amdhsa_float_round_mode_16_64 0
		.amdhsa_float_denorm_mode_32 3
		.amdhsa_float_denorm_mode_16_64 3
		.amdhsa_dx10_clamp 1
		.amdhsa_ieee_mode 1
		.amdhsa_fp16_overflow 0
		.amdhsa_tg_split 0
		.amdhsa_exception_fp_ieee_invalid_op 0
		.amdhsa_exception_fp_denorm_src 0
		.amdhsa_exception_fp_ieee_div_zero 0
		.amdhsa_exception_fp_ieee_overflow 0
		.amdhsa_exception_fp_ieee_underflow 0
		.amdhsa_exception_fp_ieee_inexact 0
		.amdhsa_exception_int_div_zero 0
	.end_amdhsa_kernel
	.section	.text._ZN7rocprim17ROCPRIM_400000_NS6detail17trampoline_kernelINS0_14default_configENS1_25transform_config_selectorIiLb0EEEZNS1_14transform_implILb0ES3_S5_PiN6thrust23THRUST_200600_302600_NS6detail15normal_iteratorINS9_10device_ptrIiEEEENS0_8identityIiEEEE10hipError_tT2_T3_mT4_P12ihipStream_tbEUlT_E_NS1_11comp_targetILNS1_3genE9ELNS1_11target_archE1100ELNS1_3gpuE3ELNS1_3repE0EEENS1_30default_config_static_selectorELNS0_4arch9wavefront6targetE1EEEvT1_,"axG",@progbits,_ZN7rocprim17ROCPRIM_400000_NS6detail17trampoline_kernelINS0_14default_configENS1_25transform_config_selectorIiLb0EEEZNS1_14transform_implILb0ES3_S5_PiN6thrust23THRUST_200600_302600_NS6detail15normal_iteratorINS9_10device_ptrIiEEEENS0_8identityIiEEEE10hipError_tT2_T3_mT4_P12ihipStream_tbEUlT_E_NS1_11comp_targetILNS1_3genE9ELNS1_11target_archE1100ELNS1_3gpuE3ELNS1_3repE0EEENS1_30default_config_static_selectorELNS0_4arch9wavefront6targetE1EEEvT1_,comdat
.Lfunc_end1342:
	.size	_ZN7rocprim17ROCPRIM_400000_NS6detail17trampoline_kernelINS0_14default_configENS1_25transform_config_selectorIiLb0EEEZNS1_14transform_implILb0ES3_S5_PiN6thrust23THRUST_200600_302600_NS6detail15normal_iteratorINS9_10device_ptrIiEEEENS0_8identityIiEEEE10hipError_tT2_T3_mT4_P12ihipStream_tbEUlT_E_NS1_11comp_targetILNS1_3genE9ELNS1_11target_archE1100ELNS1_3gpuE3ELNS1_3repE0EEENS1_30default_config_static_selectorELNS0_4arch9wavefront6targetE1EEEvT1_, .Lfunc_end1342-_ZN7rocprim17ROCPRIM_400000_NS6detail17trampoline_kernelINS0_14default_configENS1_25transform_config_selectorIiLb0EEEZNS1_14transform_implILb0ES3_S5_PiN6thrust23THRUST_200600_302600_NS6detail15normal_iteratorINS9_10device_ptrIiEEEENS0_8identityIiEEEE10hipError_tT2_T3_mT4_P12ihipStream_tbEUlT_E_NS1_11comp_targetILNS1_3genE9ELNS1_11target_archE1100ELNS1_3gpuE3ELNS1_3repE0EEENS1_30default_config_static_selectorELNS0_4arch9wavefront6targetE1EEEvT1_
                                        ; -- End function
	.set _ZN7rocprim17ROCPRIM_400000_NS6detail17trampoline_kernelINS0_14default_configENS1_25transform_config_selectorIiLb0EEEZNS1_14transform_implILb0ES3_S5_PiN6thrust23THRUST_200600_302600_NS6detail15normal_iteratorINS9_10device_ptrIiEEEENS0_8identityIiEEEE10hipError_tT2_T3_mT4_P12ihipStream_tbEUlT_E_NS1_11comp_targetILNS1_3genE9ELNS1_11target_archE1100ELNS1_3gpuE3ELNS1_3repE0EEENS1_30default_config_static_selectorELNS0_4arch9wavefront6targetE1EEEvT1_.num_vgpr, 0
	.set _ZN7rocprim17ROCPRIM_400000_NS6detail17trampoline_kernelINS0_14default_configENS1_25transform_config_selectorIiLb0EEEZNS1_14transform_implILb0ES3_S5_PiN6thrust23THRUST_200600_302600_NS6detail15normal_iteratorINS9_10device_ptrIiEEEENS0_8identityIiEEEE10hipError_tT2_T3_mT4_P12ihipStream_tbEUlT_E_NS1_11comp_targetILNS1_3genE9ELNS1_11target_archE1100ELNS1_3gpuE3ELNS1_3repE0EEENS1_30default_config_static_selectorELNS0_4arch9wavefront6targetE1EEEvT1_.num_agpr, 0
	.set _ZN7rocprim17ROCPRIM_400000_NS6detail17trampoline_kernelINS0_14default_configENS1_25transform_config_selectorIiLb0EEEZNS1_14transform_implILb0ES3_S5_PiN6thrust23THRUST_200600_302600_NS6detail15normal_iteratorINS9_10device_ptrIiEEEENS0_8identityIiEEEE10hipError_tT2_T3_mT4_P12ihipStream_tbEUlT_E_NS1_11comp_targetILNS1_3genE9ELNS1_11target_archE1100ELNS1_3gpuE3ELNS1_3repE0EEENS1_30default_config_static_selectorELNS0_4arch9wavefront6targetE1EEEvT1_.numbered_sgpr, 0
	.set _ZN7rocprim17ROCPRIM_400000_NS6detail17trampoline_kernelINS0_14default_configENS1_25transform_config_selectorIiLb0EEEZNS1_14transform_implILb0ES3_S5_PiN6thrust23THRUST_200600_302600_NS6detail15normal_iteratorINS9_10device_ptrIiEEEENS0_8identityIiEEEE10hipError_tT2_T3_mT4_P12ihipStream_tbEUlT_E_NS1_11comp_targetILNS1_3genE9ELNS1_11target_archE1100ELNS1_3gpuE3ELNS1_3repE0EEENS1_30default_config_static_selectorELNS0_4arch9wavefront6targetE1EEEvT1_.num_named_barrier, 0
	.set _ZN7rocprim17ROCPRIM_400000_NS6detail17trampoline_kernelINS0_14default_configENS1_25transform_config_selectorIiLb0EEEZNS1_14transform_implILb0ES3_S5_PiN6thrust23THRUST_200600_302600_NS6detail15normal_iteratorINS9_10device_ptrIiEEEENS0_8identityIiEEEE10hipError_tT2_T3_mT4_P12ihipStream_tbEUlT_E_NS1_11comp_targetILNS1_3genE9ELNS1_11target_archE1100ELNS1_3gpuE3ELNS1_3repE0EEENS1_30default_config_static_selectorELNS0_4arch9wavefront6targetE1EEEvT1_.private_seg_size, 0
	.set _ZN7rocprim17ROCPRIM_400000_NS6detail17trampoline_kernelINS0_14default_configENS1_25transform_config_selectorIiLb0EEEZNS1_14transform_implILb0ES3_S5_PiN6thrust23THRUST_200600_302600_NS6detail15normal_iteratorINS9_10device_ptrIiEEEENS0_8identityIiEEEE10hipError_tT2_T3_mT4_P12ihipStream_tbEUlT_E_NS1_11comp_targetILNS1_3genE9ELNS1_11target_archE1100ELNS1_3gpuE3ELNS1_3repE0EEENS1_30default_config_static_selectorELNS0_4arch9wavefront6targetE1EEEvT1_.uses_vcc, 0
	.set _ZN7rocprim17ROCPRIM_400000_NS6detail17trampoline_kernelINS0_14default_configENS1_25transform_config_selectorIiLb0EEEZNS1_14transform_implILb0ES3_S5_PiN6thrust23THRUST_200600_302600_NS6detail15normal_iteratorINS9_10device_ptrIiEEEENS0_8identityIiEEEE10hipError_tT2_T3_mT4_P12ihipStream_tbEUlT_E_NS1_11comp_targetILNS1_3genE9ELNS1_11target_archE1100ELNS1_3gpuE3ELNS1_3repE0EEENS1_30default_config_static_selectorELNS0_4arch9wavefront6targetE1EEEvT1_.uses_flat_scratch, 0
	.set _ZN7rocprim17ROCPRIM_400000_NS6detail17trampoline_kernelINS0_14default_configENS1_25transform_config_selectorIiLb0EEEZNS1_14transform_implILb0ES3_S5_PiN6thrust23THRUST_200600_302600_NS6detail15normal_iteratorINS9_10device_ptrIiEEEENS0_8identityIiEEEE10hipError_tT2_T3_mT4_P12ihipStream_tbEUlT_E_NS1_11comp_targetILNS1_3genE9ELNS1_11target_archE1100ELNS1_3gpuE3ELNS1_3repE0EEENS1_30default_config_static_selectorELNS0_4arch9wavefront6targetE1EEEvT1_.has_dyn_sized_stack, 0
	.set _ZN7rocprim17ROCPRIM_400000_NS6detail17trampoline_kernelINS0_14default_configENS1_25transform_config_selectorIiLb0EEEZNS1_14transform_implILb0ES3_S5_PiN6thrust23THRUST_200600_302600_NS6detail15normal_iteratorINS9_10device_ptrIiEEEENS0_8identityIiEEEE10hipError_tT2_T3_mT4_P12ihipStream_tbEUlT_E_NS1_11comp_targetILNS1_3genE9ELNS1_11target_archE1100ELNS1_3gpuE3ELNS1_3repE0EEENS1_30default_config_static_selectorELNS0_4arch9wavefront6targetE1EEEvT1_.has_recursion, 0
	.set _ZN7rocprim17ROCPRIM_400000_NS6detail17trampoline_kernelINS0_14default_configENS1_25transform_config_selectorIiLb0EEEZNS1_14transform_implILb0ES3_S5_PiN6thrust23THRUST_200600_302600_NS6detail15normal_iteratorINS9_10device_ptrIiEEEENS0_8identityIiEEEE10hipError_tT2_T3_mT4_P12ihipStream_tbEUlT_E_NS1_11comp_targetILNS1_3genE9ELNS1_11target_archE1100ELNS1_3gpuE3ELNS1_3repE0EEENS1_30default_config_static_selectorELNS0_4arch9wavefront6targetE1EEEvT1_.has_indirect_call, 0
	.section	.AMDGPU.csdata,"",@progbits
; Kernel info:
; codeLenInByte = 0
; TotalNumSgprs: 6
; NumVgprs: 0
; NumAgprs: 0
; TotalNumVgprs: 0
; ScratchSize: 0
; MemoryBound: 0
; FloatMode: 240
; IeeeMode: 1
; LDSByteSize: 0 bytes/workgroup (compile time only)
; SGPRBlocks: 0
; VGPRBlocks: 0
; NumSGPRsForWavesPerEU: 6
; NumVGPRsForWavesPerEU: 1
; AccumOffset: 4
; Occupancy: 8
; WaveLimiterHint : 0
; COMPUTE_PGM_RSRC2:SCRATCH_EN: 0
; COMPUTE_PGM_RSRC2:USER_SGPR: 2
; COMPUTE_PGM_RSRC2:TRAP_HANDLER: 0
; COMPUTE_PGM_RSRC2:TGID_X_EN: 1
; COMPUTE_PGM_RSRC2:TGID_Y_EN: 0
; COMPUTE_PGM_RSRC2:TGID_Z_EN: 0
; COMPUTE_PGM_RSRC2:TIDIG_COMP_CNT: 0
; COMPUTE_PGM_RSRC3_GFX90A:ACCUM_OFFSET: 0
; COMPUTE_PGM_RSRC3_GFX90A:TG_SPLIT: 0
	.section	.text._ZN7rocprim17ROCPRIM_400000_NS6detail17trampoline_kernelINS0_14default_configENS1_25transform_config_selectorIiLb0EEEZNS1_14transform_implILb0ES3_S5_PiN6thrust23THRUST_200600_302600_NS6detail15normal_iteratorINS9_10device_ptrIiEEEENS0_8identityIiEEEE10hipError_tT2_T3_mT4_P12ihipStream_tbEUlT_E_NS1_11comp_targetILNS1_3genE8ELNS1_11target_archE1030ELNS1_3gpuE2ELNS1_3repE0EEENS1_30default_config_static_selectorELNS0_4arch9wavefront6targetE1EEEvT1_,"axG",@progbits,_ZN7rocprim17ROCPRIM_400000_NS6detail17trampoline_kernelINS0_14default_configENS1_25transform_config_selectorIiLb0EEEZNS1_14transform_implILb0ES3_S5_PiN6thrust23THRUST_200600_302600_NS6detail15normal_iteratorINS9_10device_ptrIiEEEENS0_8identityIiEEEE10hipError_tT2_T3_mT4_P12ihipStream_tbEUlT_E_NS1_11comp_targetILNS1_3genE8ELNS1_11target_archE1030ELNS1_3gpuE2ELNS1_3repE0EEENS1_30default_config_static_selectorELNS0_4arch9wavefront6targetE1EEEvT1_,comdat
	.protected	_ZN7rocprim17ROCPRIM_400000_NS6detail17trampoline_kernelINS0_14default_configENS1_25transform_config_selectorIiLb0EEEZNS1_14transform_implILb0ES3_S5_PiN6thrust23THRUST_200600_302600_NS6detail15normal_iteratorINS9_10device_ptrIiEEEENS0_8identityIiEEEE10hipError_tT2_T3_mT4_P12ihipStream_tbEUlT_E_NS1_11comp_targetILNS1_3genE8ELNS1_11target_archE1030ELNS1_3gpuE2ELNS1_3repE0EEENS1_30default_config_static_selectorELNS0_4arch9wavefront6targetE1EEEvT1_ ; -- Begin function _ZN7rocprim17ROCPRIM_400000_NS6detail17trampoline_kernelINS0_14default_configENS1_25transform_config_selectorIiLb0EEEZNS1_14transform_implILb0ES3_S5_PiN6thrust23THRUST_200600_302600_NS6detail15normal_iteratorINS9_10device_ptrIiEEEENS0_8identityIiEEEE10hipError_tT2_T3_mT4_P12ihipStream_tbEUlT_E_NS1_11comp_targetILNS1_3genE8ELNS1_11target_archE1030ELNS1_3gpuE2ELNS1_3repE0EEENS1_30default_config_static_selectorELNS0_4arch9wavefront6targetE1EEEvT1_
	.globl	_ZN7rocprim17ROCPRIM_400000_NS6detail17trampoline_kernelINS0_14default_configENS1_25transform_config_selectorIiLb0EEEZNS1_14transform_implILb0ES3_S5_PiN6thrust23THRUST_200600_302600_NS6detail15normal_iteratorINS9_10device_ptrIiEEEENS0_8identityIiEEEE10hipError_tT2_T3_mT4_P12ihipStream_tbEUlT_E_NS1_11comp_targetILNS1_3genE8ELNS1_11target_archE1030ELNS1_3gpuE2ELNS1_3repE0EEENS1_30default_config_static_selectorELNS0_4arch9wavefront6targetE1EEEvT1_
	.p2align	8
	.type	_ZN7rocprim17ROCPRIM_400000_NS6detail17trampoline_kernelINS0_14default_configENS1_25transform_config_selectorIiLb0EEEZNS1_14transform_implILb0ES3_S5_PiN6thrust23THRUST_200600_302600_NS6detail15normal_iteratorINS9_10device_ptrIiEEEENS0_8identityIiEEEE10hipError_tT2_T3_mT4_P12ihipStream_tbEUlT_E_NS1_11comp_targetILNS1_3genE8ELNS1_11target_archE1030ELNS1_3gpuE2ELNS1_3repE0EEENS1_30default_config_static_selectorELNS0_4arch9wavefront6targetE1EEEvT1_,@function
_ZN7rocprim17ROCPRIM_400000_NS6detail17trampoline_kernelINS0_14default_configENS1_25transform_config_selectorIiLb0EEEZNS1_14transform_implILb0ES3_S5_PiN6thrust23THRUST_200600_302600_NS6detail15normal_iteratorINS9_10device_ptrIiEEEENS0_8identityIiEEEE10hipError_tT2_T3_mT4_P12ihipStream_tbEUlT_E_NS1_11comp_targetILNS1_3genE8ELNS1_11target_archE1030ELNS1_3gpuE2ELNS1_3repE0EEENS1_30default_config_static_selectorELNS0_4arch9wavefront6targetE1EEEvT1_: ; @_ZN7rocprim17ROCPRIM_400000_NS6detail17trampoline_kernelINS0_14default_configENS1_25transform_config_selectorIiLb0EEEZNS1_14transform_implILb0ES3_S5_PiN6thrust23THRUST_200600_302600_NS6detail15normal_iteratorINS9_10device_ptrIiEEEENS0_8identityIiEEEE10hipError_tT2_T3_mT4_P12ihipStream_tbEUlT_E_NS1_11comp_targetILNS1_3genE8ELNS1_11target_archE1030ELNS1_3gpuE2ELNS1_3repE0EEENS1_30default_config_static_selectorELNS0_4arch9wavefront6targetE1EEEvT1_
; %bb.0:
	.section	.rodata,"a",@progbits
	.p2align	6, 0x0
	.amdhsa_kernel _ZN7rocprim17ROCPRIM_400000_NS6detail17trampoline_kernelINS0_14default_configENS1_25transform_config_selectorIiLb0EEEZNS1_14transform_implILb0ES3_S5_PiN6thrust23THRUST_200600_302600_NS6detail15normal_iteratorINS9_10device_ptrIiEEEENS0_8identityIiEEEE10hipError_tT2_T3_mT4_P12ihipStream_tbEUlT_E_NS1_11comp_targetILNS1_3genE8ELNS1_11target_archE1030ELNS1_3gpuE2ELNS1_3repE0EEENS1_30default_config_static_selectorELNS0_4arch9wavefront6targetE1EEEvT1_
		.amdhsa_group_segment_fixed_size 0
		.amdhsa_private_segment_fixed_size 0
		.amdhsa_kernarg_size 40
		.amdhsa_user_sgpr_count 2
		.amdhsa_user_sgpr_dispatch_ptr 0
		.amdhsa_user_sgpr_queue_ptr 0
		.amdhsa_user_sgpr_kernarg_segment_ptr 1
		.amdhsa_user_sgpr_dispatch_id 0
		.amdhsa_user_sgpr_kernarg_preload_length 0
		.amdhsa_user_sgpr_kernarg_preload_offset 0
		.amdhsa_user_sgpr_private_segment_size 0
		.amdhsa_uses_dynamic_stack 0
		.amdhsa_enable_private_segment 0
		.amdhsa_system_sgpr_workgroup_id_x 1
		.amdhsa_system_sgpr_workgroup_id_y 0
		.amdhsa_system_sgpr_workgroup_id_z 0
		.amdhsa_system_sgpr_workgroup_info 0
		.amdhsa_system_vgpr_workitem_id 0
		.amdhsa_next_free_vgpr 1
		.amdhsa_next_free_sgpr 0
		.amdhsa_accum_offset 4
		.amdhsa_reserve_vcc 0
		.amdhsa_float_round_mode_32 0
		.amdhsa_float_round_mode_16_64 0
		.amdhsa_float_denorm_mode_32 3
		.amdhsa_float_denorm_mode_16_64 3
		.amdhsa_dx10_clamp 1
		.amdhsa_ieee_mode 1
		.amdhsa_fp16_overflow 0
		.amdhsa_tg_split 0
		.amdhsa_exception_fp_ieee_invalid_op 0
		.amdhsa_exception_fp_denorm_src 0
		.amdhsa_exception_fp_ieee_div_zero 0
		.amdhsa_exception_fp_ieee_overflow 0
		.amdhsa_exception_fp_ieee_underflow 0
		.amdhsa_exception_fp_ieee_inexact 0
		.amdhsa_exception_int_div_zero 0
	.end_amdhsa_kernel
	.section	.text._ZN7rocprim17ROCPRIM_400000_NS6detail17trampoline_kernelINS0_14default_configENS1_25transform_config_selectorIiLb0EEEZNS1_14transform_implILb0ES3_S5_PiN6thrust23THRUST_200600_302600_NS6detail15normal_iteratorINS9_10device_ptrIiEEEENS0_8identityIiEEEE10hipError_tT2_T3_mT4_P12ihipStream_tbEUlT_E_NS1_11comp_targetILNS1_3genE8ELNS1_11target_archE1030ELNS1_3gpuE2ELNS1_3repE0EEENS1_30default_config_static_selectorELNS0_4arch9wavefront6targetE1EEEvT1_,"axG",@progbits,_ZN7rocprim17ROCPRIM_400000_NS6detail17trampoline_kernelINS0_14default_configENS1_25transform_config_selectorIiLb0EEEZNS1_14transform_implILb0ES3_S5_PiN6thrust23THRUST_200600_302600_NS6detail15normal_iteratorINS9_10device_ptrIiEEEENS0_8identityIiEEEE10hipError_tT2_T3_mT4_P12ihipStream_tbEUlT_E_NS1_11comp_targetILNS1_3genE8ELNS1_11target_archE1030ELNS1_3gpuE2ELNS1_3repE0EEENS1_30default_config_static_selectorELNS0_4arch9wavefront6targetE1EEEvT1_,comdat
.Lfunc_end1343:
	.size	_ZN7rocprim17ROCPRIM_400000_NS6detail17trampoline_kernelINS0_14default_configENS1_25transform_config_selectorIiLb0EEEZNS1_14transform_implILb0ES3_S5_PiN6thrust23THRUST_200600_302600_NS6detail15normal_iteratorINS9_10device_ptrIiEEEENS0_8identityIiEEEE10hipError_tT2_T3_mT4_P12ihipStream_tbEUlT_E_NS1_11comp_targetILNS1_3genE8ELNS1_11target_archE1030ELNS1_3gpuE2ELNS1_3repE0EEENS1_30default_config_static_selectorELNS0_4arch9wavefront6targetE1EEEvT1_, .Lfunc_end1343-_ZN7rocprim17ROCPRIM_400000_NS6detail17trampoline_kernelINS0_14default_configENS1_25transform_config_selectorIiLb0EEEZNS1_14transform_implILb0ES3_S5_PiN6thrust23THRUST_200600_302600_NS6detail15normal_iteratorINS9_10device_ptrIiEEEENS0_8identityIiEEEE10hipError_tT2_T3_mT4_P12ihipStream_tbEUlT_E_NS1_11comp_targetILNS1_3genE8ELNS1_11target_archE1030ELNS1_3gpuE2ELNS1_3repE0EEENS1_30default_config_static_selectorELNS0_4arch9wavefront6targetE1EEEvT1_
                                        ; -- End function
	.set _ZN7rocprim17ROCPRIM_400000_NS6detail17trampoline_kernelINS0_14default_configENS1_25transform_config_selectorIiLb0EEEZNS1_14transform_implILb0ES3_S5_PiN6thrust23THRUST_200600_302600_NS6detail15normal_iteratorINS9_10device_ptrIiEEEENS0_8identityIiEEEE10hipError_tT2_T3_mT4_P12ihipStream_tbEUlT_E_NS1_11comp_targetILNS1_3genE8ELNS1_11target_archE1030ELNS1_3gpuE2ELNS1_3repE0EEENS1_30default_config_static_selectorELNS0_4arch9wavefront6targetE1EEEvT1_.num_vgpr, 0
	.set _ZN7rocprim17ROCPRIM_400000_NS6detail17trampoline_kernelINS0_14default_configENS1_25transform_config_selectorIiLb0EEEZNS1_14transform_implILb0ES3_S5_PiN6thrust23THRUST_200600_302600_NS6detail15normal_iteratorINS9_10device_ptrIiEEEENS0_8identityIiEEEE10hipError_tT2_T3_mT4_P12ihipStream_tbEUlT_E_NS1_11comp_targetILNS1_3genE8ELNS1_11target_archE1030ELNS1_3gpuE2ELNS1_3repE0EEENS1_30default_config_static_selectorELNS0_4arch9wavefront6targetE1EEEvT1_.num_agpr, 0
	.set _ZN7rocprim17ROCPRIM_400000_NS6detail17trampoline_kernelINS0_14default_configENS1_25transform_config_selectorIiLb0EEEZNS1_14transform_implILb0ES3_S5_PiN6thrust23THRUST_200600_302600_NS6detail15normal_iteratorINS9_10device_ptrIiEEEENS0_8identityIiEEEE10hipError_tT2_T3_mT4_P12ihipStream_tbEUlT_E_NS1_11comp_targetILNS1_3genE8ELNS1_11target_archE1030ELNS1_3gpuE2ELNS1_3repE0EEENS1_30default_config_static_selectorELNS0_4arch9wavefront6targetE1EEEvT1_.numbered_sgpr, 0
	.set _ZN7rocprim17ROCPRIM_400000_NS6detail17trampoline_kernelINS0_14default_configENS1_25transform_config_selectorIiLb0EEEZNS1_14transform_implILb0ES3_S5_PiN6thrust23THRUST_200600_302600_NS6detail15normal_iteratorINS9_10device_ptrIiEEEENS0_8identityIiEEEE10hipError_tT2_T3_mT4_P12ihipStream_tbEUlT_E_NS1_11comp_targetILNS1_3genE8ELNS1_11target_archE1030ELNS1_3gpuE2ELNS1_3repE0EEENS1_30default_config_static_selectorELNS0_4arch9wavefront6targetE1EEEvT1_.num_named_barrier, 0
	.set _ZN7rocprim17ROCPRIM_400000_NS6detail17trampoline_kernelINS0_14default_configENS1_25transform_config_selectorIiLb0EEEZNS1_14transform_implILb0ES3_S5_PiN6thrust23THRUST_200600_302600_NS6detail15normal_iteratorINS9_10device_ptrIiEEEENS0_8identityIiEEEE10hipError_tT2_T3_mT4_P12ihipStream_tbEUlT_E_NS1_11comp_targetILNS1_3genE8ELNS1_11target_archE1030ELNS1_3gpuE2ELNS1_3repE0EEENS1_30default_config_static_selectorELNS0_4arch9wavefront6targetE1EEEvT1_.private_seg_size, 0
	.set _ZN7rocprim17ROCPRIM_400000_NS6detail17trampoline_kernelINS0_14default_configENS1_25transform_config_selectorIiLb0EEEZNS1_14transform_implILb0ES3_S5_PiN6thrust23THRUST_200600_302600_NS6detail15normal_iteratorINS9_10device_ptrIiEEEENS0_8identityIiEEEE10hipError_tT2_T3_mT4_P12ihipStream_tbEUlT_E_NS1_11comp_targetILNS1_3genE8ELNS1_11target_archE1030ELNS1_3gpuE2ELNS1_3repE0EEENS1_30default_config_static_selectorELNS0_4arch9wavefront6targetE1EEEvT1_.uses_vcc, 0
	.set _ZN7rocprim17ROCPRIM_400000_NS6detail17trampoline_kernelINS0_14default_configENS1_25transform_config_selectorIiLb0EEEZNS1_14transform_implILb0ES3_S5_PiN6thrust23THRUST_200600_302600_NS6detail15normal_iteratorINS9_10device_ptrIiEEEENS0_8identityIiEEEE10hipError_tT2_T3_mT4_P12ihipStream_tbEUlT_E_NS1_11comp_targetILNS1_3genE8ELNS1_11target_archE1030ELNS1_3gpuE2ELNS1_3repE0EEENS1_30default_config_static_selectorELNS0_4arch9wavefront6targetE1EEEvT1_.uses_flat_scratch, 0
	.set _ZN7rocprim17ROCPRIM_400000_NS6detail17trampoline_kernelINS0_14default_configENS1_25transform_config_selectorIiLb0EEEZNS1_14transform_implILb0ES3_S5_PiN6thrust23THRUST_200600_302600_NS6detail15normal_iteratorINS9_10device_ptrIiEEEENS0_8identityIiEEEE10hipError_tT2_T3_mT4_P12ihipStream_tbEUlT_E_NS1_11comp_targetILNS1_3genE8ELNS1_11target_archE1030ELNS1_3gpuE2ELNS1_3repE0EEENS1_30default_config_static_selectorELNS0_4arch9wavefront6targetE1EEEvT1_.has_dyn_sized_stack, 0
	.set _ZN7rocprim17ROCPRIM_400000_NS6detail17trampoline_kernelINS0_14default_configENS1_25transform_config_selectorIiLb0EEEZNS1_14transform_implILb0ES3_S5_PiN6thrust23THRUST_200600_302600_NS6detail15normal_iteratorINS9_10device_ptrIiEEEENS0_8identityIiEEEE10hipError_tT2_T3_mT4_P12ihipStream_tbEUlT_E_NS1_11comp_targetILNS1_3genE8ELNS1_11target_archE1030ELNS1_3gpuE2ELNS1_3repE0EEENS1_30default_config_static_selectorELNS0_4arch9wavefront6targetE1EEEvT1_.has_recursion, 0
	.set _ZN7rocprim17ROCPRIM_400000_NS6detail17trampoline_kernelINS0_14default_configENS1_25transform_config_selectorIiLb0EEEZNS1_14transform_implILb0ES3_S5_PiN6thrust23THRUST_200600_302600_NS6detail15normal_iteratorINS9_10device_ptrIiEEEENS0_8identityIiEEEE10hipError_tT2_T3_mT4_P12ihipStream_tbEUlT_E_NS1_11comp_targetILNS1_3genE8ELNS1_11target_archE1030ELNS1_3gpuE2ELNS1_3repE0EEENS1_30default_config_static_selectorELNS0_4arch9wavefront6targetE1EEEvT1_.has_indirect_call, 0
	.section	.AMDGPU.csdata,"",@progbits
; Kernel info:
; codeLenInByte = 0
; TotalNumSgprs: 6
; NumVgprs: 0
; NumAgprs: 0
; TotalNumVgprs: 0
; ScratchSize: 0
; MemoryBound: 0
; FloatMode: 240
; IeeeMode: 1
; LDSByteSize: 0 bytes/workgroup (compile time only)
; SGPRBlocks: 0
; VGPRBlocks: 0
; NumSGPRsForWavesPerEU: 6
; NumVGPRsForWavesPerEU: 1
; AccumOffset: 4
; Occupancy: 8
; WaveLimiterHint : 0
; COMPUTE_PGM_RSRC2:SCRATCH_EN: 0
; COMPUTE_PGM_RSRC2:USER_SGPR: 2
; COMPUTE_PGM_RSRC2:TRAP_HANDLER: 0
; COMPUTE_PGM_RSRC2:TGID_X_EN: 1
; COMPUTE_PGM_RSRC2:TGID_Y_EN: 0
; COMPUTE_PGM_RSRC2:TGID_Z_EN: 0
; COMPUTE_PGM_RSRC2:TIDIG_COMP_CNT: 0
; COMPUTE_PGM_RSRC3_GFX90A:ACCUM_OFFSET: 0
; COMPUTE_PGM_RSRC3_GFX90A:TG_SPLIT: 0
	.section	.text._ZN7rocprim17ROCPRIM_400000_NS6detail17trampoline_kernelINS0_14default_configENS1_38merge_sort_block_merge_config_selectorIiiEEZZNS1_27merge_sort_block_merge_implIS3_N6thrust23THRUST_200600_302600_NS6detail15normal_iteratorINS8_10device_ptrIiEEEESD_jNS1_19radix_merge_compareILb0ELb1EiNS0_19identity_decomposerEEEEE10hipError_tT0_T1_T2_jT3_P12ihipStream_tbPNSt15iterator_traitsISI_E10value_typeEPNSO_ISJ_E10value_typeEPSK_NS1_7vsmem_tEENKUlT_SI_SJ_SK_E_clIPiSD_S10_SD_EESH_SX_SI_SJ_SK_EUlSX_E_NS1_11comp_targetILNS1_3genE0ELNS1_11target_archE4294967295ELNS1_3gpuE0ELNS1_3repE0EEENS1_48merge_mergepath_partition_config_static_selectorELNS0_4arch9wavefront6targetE1EEEvSJ_,"axG",@progbits,_ZN7rocprim17ROCPRIM_400000_NS6detail17trampoline_kernelINS0_14default_configENS1_38merge_sort_block_merge_config_selectorIiiEEZZNS1_27merge_sort_block_merge_implIS3_N6thrust23THRUST_200600_302600_NS6detail15normal_iteratorINS8_10device_ptrIiEEEESD_jNS1_19radix_merge_compareILb0ELb1EiNS0_19identity_decomposerEEEEE10hipError_tT0_T1_T2_jT3_P12ihipStream_tbPNSt15iterator_traitsISI_E10value_typeEPNSO_ISJ_E10value_typeEPSK_NS1_7vsmem_tEENKUlT_SI_SJ_SK_E_clIPiSD_S10_SD_EESH_SX_SI_SJ_SK_EUlSX_E_NS1_11comp_targetILNS1_3genE0ELNS1_11target_archE4294967295ELNS1_3gpuE0ELNS1_3repE0EEENS1_48merge_mergepath_partition_config_static_selectorELNS0_4arch9wavefront6targetE1EEEvSJ_,comdat
	.protected	_ZN7rocprim17ROCPRIM_400000_NS6detail17trampoline_kernelINS0_14default_configENS1_38merge_sort_block_merge_config_selectorIiiEEZZNS1_27merge_sort_block_merge_implIS3_N6thrust23THRUST_200600_302600_NS6detail15normal_iteratorINS8_10device_ptrIiEEEESD_jNS1_19radix_merge_compareILb0ELb1EiNS0_19identity_decomposerEEEEE10hipError_tT0_T1_T2_jT3_P12ihipStream_tbPNSt15iterator_traitsISI_E10value_typeEPNSO_ISJ_E10value_typeEPSK_NS1_7vsmem_tEENKUlT_SI_SJ_SK_E_clIPiSD_S10_SD_EESH_SX_SI_SJ_SK_EUlSX_E_NS1_11comp_targetILNS1_3genE0ELNS1_11target_archE4294967295ELNS1_3gpuE0ELNS1_3repE0EEENS1_48merge_mergepath_partition_config_static_selectorELNS0_4arch9wavefront6targetE1EEEvSJ_ ; -- Begin function _ZN7rocprim17ROCPRIM_400000_NS6detail17trampoline_kernelINS0_14default_configENS1_38merge_sort_block_merge_config_selectorIiiEEZZNS1_27merge_sort_block_merge_implIS3_N6thrust23THRUST_200600_302600_NS6detail15normal_iteratorINS8_10device_ptrIiEEEESD_jNS1_19radix_merge_compareILb0ELb1EiNS0_19identity_decomposerEEEEE10hipError_tT0_T1_T2_jT3_P12ihipStream_tbPNSt15iterator_traitsISI_E10value_typeEPNSO_ISJ_E10value_typeEPSK_NS1_7vsmem_tEENKUlT_SI_SJ_SK_E_clIPiSD_S10_SD_EESH_SX_SI_SJ_SK_EUlSX_E_NS1_11comp_targetILNS1_3genE0ELNS1_11target_archE4294967295ELNS1_3gpuE0ELNS1_3repE0EEENS1_48merge_mergepath_partition_config_static_selectorELNS0_4arch9wavefront6targetE1EEEvSJ_
	.globl	_ZN7rocprim17ROCPRIM_400000_NS6detail17trampoline_kernelINS0_14default_configENS1_38merge_sort_block_merge_config_selectorIiiEEZZNS1_27merge_sort_block_merge_implIS3_N6thrust23THRUST_200600_302600_NS6detail15normal_iteratorINS8_10device_ptrIiEEEESD_jNS1_19radix_merge_compareILb0ELb1EiNS0_19identity_decomposerEEEEE10hipError_tT0_T1_T2_jT3_P12ihipStream_tbPNSt15iterator_traitsISI_E10value_typeEPNSO_ISJ_E10value_typeEPSK_NS1_7vsmem_tEENKUlT_SI_SJ_SK_E_clIPiSD_S10_SD_EESH_SX_SI_SJ_SK_EUlSX_E_NS1_11comp_targetILNS1_3genE0ELNS1_11target_archE4294967295ELNS1_3gpuE0ELNS1_3repE0EEENS1_48merge_mergepath_partition_config_static_selectorELNS0_4arch9wavefront6targetE1EEEvSJ_
	.p2align	8
	.type	_ZN7rocprim17ROCPRIM_400000_NS6detail17trampoline_kernelINS0_14default_configENS1_38merge_sort_block_merge_config_selectorIiiEEZZNS1_27merge_sort_block_merge_implIS3_N6thrust23THRUST_200600_302600_NS6detail15normal_iteratorINS8_10device_ptrIiEEEESD_jNS1_19radix_merge_compareILb0ELb1EiNS0_19identity_decomposerEEEEE10hipError_tT0_T1_T2_jT3_P12ihipStream_tbPNSt15iterator_traitsISI_E10value_typeEPNSO_ISJ_E10value_typeEPSK_NS1_7vsmem_tEENKUlT_SI_SJ_SK_E_clIPiSD_S10_SD_EESH_SX_SI_SJ_SK_EUlSX_E_NS1_11comp_targetILNS1_3genE0ELNS1_11target_archE4294967295ELNS1_3gpuE0ELNS1_3repE0EEENS1_48merge_mergepath_partition_config_static_selectorELNS0_4arch9wavefront6targetE1EEEvSJ_,@function
_ZN7rocprim17ROCPRIM_400000_NS6detail17trampoline_kernelINS0_14default_configENS1_38merge_sort_block_merge_config_selectorIiiEEZZNS1_27merge_sort_block_merge_implIS3_N6thrust23THRUST_200600_302600_NS6detail15normal_iteratorINS8_10device_ptrIiEEEESD_jNS1_19radix_merge_compareILb0ELb1EiNS0_19identity_decomposerEEEEE10hipError_tT0_T1_T2_jT3_P12ihipStream_tbPNSt15iterator_traitsISI_E10value_typeEPNSO_ISJ_E10value_typeEPSK_NS1_7vsmem_tEENKUlT_SI_SJ_SK_E_clIPiSD_S10_SD_EESH_SX_SI_SJ_SK_EUlSX_E_NS1_11comp_targetILNS1_3genE0ELNS1_11target_archE4294967295ELNS1_3gpuE0ELNS1_3repE0EEENS1_48merge_mergepath_partition_config_static_selectorELNS0_4arch9wavefront6targetE1EEEvSJ_: ; @_ZN7rocprim17ROCPRIM_400000_NS6detail17trampoline_kernelINS0_14default_configENS1_38merge_sort_block_merge_config_selectorIiiEEZZNS1_27merge_sort_block_merge_implIS3_N6thrust23THRUST_200600_302600_NS6detail15normal_iteratorINS8_10device_ptrIiEEEESD_jNS1_19radix_merge_compareILb0ELb1EiNS0_19identity_decomposerEEEEE10hipError_tT0_T1_T2_jT3_P12ihipStream_tbPNSt15iterator_traitsISI_E10value_typeEPNSO_ISJ_E10value_typeEPSK_NS1_7vsmem_tEENKUlT_SI_SJ_SK_E_clIPiSD_S10_SD_EESH_SX_SI_SJ_SK_EUlSX_E_NS1_11comp_targetILNS1_3genE0ELNS1_11target_archE4294967295ELNS1_3gpuE0ELNS1_3repE0EEENS1_48merge_mergepath_partition_config_static_selectorELNS0_4arch9wavefront6targetE1EEEvSJ_
; %bb.0:
	s_load_dword s3, s[0:1], 0x0
	v_lshl_or_b32 v0, s2, 7, v0
	s_waitcnt lgkmcnt(0)
	v_cmp_gt_u32_e32 vcc, s3, v0
	s_and_saveexec_b64 s[2:3], vcc
	s_cbranch_execz .LBB1344_6
; %bb.1:
	s_load_dwordx2 s[4:5], s[0:1], 0x4
	s_load_dwordx2 s[2:3], s[0:1], 0x20
	s_waitcnt lgkmcnt(0)
	s_lshr_b32 s6, s4, 9
	s_and_b32 s6, s6, 0x7ffffe
	s_add_i32 s7, s6, -1
	s_sub_i32 s6, 0, s6
	v_and_b32_e32 v1, s6, v0
	v_lshlrev_b32_e32 v1, 10, v1
	v_min_u32_e32 v2, s5, v1
	v_add_u32_e32 v1, s4, v1
	v_min_u32_e32 v4, s5, v1
	v_add_u32_e32 v1, s4, v4
	v_and_b32_e32 v3, s7, v0
	v_min_u32_e32 v1, s5, v1
	v_sub_u32_e32 v5, v1, v2
	v_lshlrev_b32_e32 v3, 10, v3
	v_min_u32_e32 v10, v5, v3
	v_sub_u32_e32 v3, v4, v2
	v_sub_u32_e32 v1, v1, v4
	v_sub_u32_e64 v1, v10, v1 clamp
	v_min_u32_e32 v11, v10, v3
	v_cmp_lt_u32_e32 vcc, v1, v11
	s_and_saveexec_b64 s[4:5], vcc
	s_cbranch_execz .LBB1344_5
; %bb.2:
	s_load_dwordx2 s[8:9], s[0:1], 0x10
	s_load_dword s6, s[0:1], 0x18
	v_mov_b32_e32 v5, 0
	v_mov_b32_e32 v3, v5
	s_mov_b64 s[0:1], 0
	s_waitcnt lgkmcnt(0)
	v_lshl_add_u64 v[6:7], v[2:3], 2, s[8:9]
	v_lshl_add_u64 v[8:9], v[4:5], 2, s[8:9]
.LBB1344_3:                             ; =>This Inner Loop Header: Depth=1
	v_add_u32_e32 v3, v11, v1
	v_lshrrev_b32_e32 v4, 1, v3
	v_mov_b32_e32 v13, v5
	v_xad_u32 v12, v4, -1, v10
	v_lshl_add_u64 v[14:15], v[4:5], 2, v[6:7]
	v_lshl_add_u64 v[12:13], v[12:13], 2, v[8:9]
	global_load_dword v3, v[14:15], off
	global_load_dword v16, v[12:13], off
	v_add_u32_e32 v12, 1, v4
	s_waitcnt vmcnt(1)
	v_and_b32_e32 v3, s6, v3
	s_waitcnt vmcnt(0)
	v_and_b32_e32 v13, s6, v16
	v_cmp_gt_i32_e32 vcc, v3, v13
	s_nop 1
	v_cndmask_b32_e32 v11, v11, v4, vcc
	v_cndmask_b32_e32 v1, v12, v1, vcc
	v_cmp_ge_u32_e32 vcc, v1, v11
	s_or_b64 s[0:1], vcc, s[0:1]
	s_andn2_b64 exec, exec, s[0:1]
	s_cbranch_execnz .LBB1344_3
; %bb.4:
	s_or_b64 exec, exec, s[0:1]
.LBB1344_5:
	s_or_b64 exec, exec, s[4:5]
	v_add_u32_e32 v2, v1, v2
	v_mov_b32_e32 v1, 0
	v_lshl_add_u64 v[0:1], v[0:1], 2, s[2:3]
	global_store_dword v[0:1], v2, off
.LBB1344_6:
	s_endpgm
	.section	.rodata,"a",@progbits
	.p2align	6, 0x0
	.amdhsa_kernel _ZN7rocprim17ROCPRIM_400000_NS6detail17trampoline_kernelINS0_14default_configENS1_38merge_sort_block_merge_config_selectorIiiEEZZNS1_27merge_sort_block_merge_implIS3_N6thrust23THRUST_200600_302600_NS6detail15normal_iteratorINS8_10device_ptrIiEEEESD_jNS1_19radix_merge_compareILb0ELb1EiNS0_19identity_decomposerEEEEE10hipError_tT0_T1_T2_jT3_P12ihipStream_tbPNSt15iterator_traitsISI_E10value_typeEPNSO_ISJ_E10value_typeEPSK_NS1_7vsmem_tEENKUlT_SI_SJ_SK_E_clIPiSD_S10_SD_EESH_SX_SI_SJ_SK_EUlSX_E_NS1_11comp_targetILNS1_3genE0ELNS1_11target_archE4294967295ELNS1_3gpuE0ELNS1_3repE0EEENS1_48merge_mergepath_partition_config_static_selectorELNS0_4arch9wavefront6targetE1EEEvSJ_
		.amdhsa_group_segment_fixed_size 0
		.amdhsa_private_segment_fixed_size 0
		.amdhsa_kernarg_size 40
		.amdhsa_user_sgpr_count 2
		.amdhsa_user_sgpr_dispatch_ptr 0
		.amdhsa_user_sgpr_queue_ptr 0
		.amdhsa_user_sgpr_kernarg_segment_ptr 1
		.amdhsa_user_sgpr_dispatch_id 0
		.amdhsa_user_sgpr_kernarg_preload_length 0
		.amdhsa_user_sgpr_kernarg_preload_offset 0
		.amdhsa_user_sgpr_private_segment_size 0
		.amdhsa_uses_dynamic_stack 0
		.amdhsa_enable_private_segment 0
		.amdhsa_system_sgpr_workgroup_id_x 1
		.amdhsa_system_sgpr_workgroup_id_y 0
		.amdhsa_system_sgpr_workgroup_id_z 0
		.amdhsa_system_sgpr_workgroup_info 0
		.amdhsa_system_vgpr_workitem_id 0
		.amdhsa_next_free_vgpr 17
		.amdhsa_next_free_sgpr 10
		.amdhsa_accum_offset 20
		.amdhsa_reserve_vcc 1
		.amdhsa_float_round_mode_32 0
		.amdhsa_float_round_mode_16_64 0
		.amdhsa_float_denorm_mode_32 3
		.amdhsa_float_denorm_mode_16_64 3
		.amdhsa_dx10_clamp 1
		.amdhsa_ieee_mode 1
		.amdhsa_fp16_overflow 0
		.amdhsa_tg_split 0
		.amdhsa_exception_fp_ieee_invalid_op 0
		.amdhsa_exception_fp_denorm_src 0
		.amdhsa_exception_fp_ieee_div_zero 0
		.amdhsa_exception_fp_ieee_overflow 0
		.amdhsa_exception_fp_ieee_underflow 0
		.amdhsa_exception_fp_ieee_inexact 0
		.amdhsa_exception_int_div_zero 0
	.end_amdhsa_kernel
	.section	.text._ZN7rocprim17ROCPRIM_400000_NS6detail17trampoline_kernelINS0_14default_configENS1_38merge_sort_block_merge_config_selectorIiiEEZZNS1_27merge_sort_block_merge_implIS3_N6thrust23THRUST_200600_302600_NS6detail15normal_iteratorINS8_10device_ptrIiEEEESD_jNS1_19radix_merge_compareILb0ELb1EiNS0_19identity_decomposerEEEEE10hipError_tT0_T1_T2_jT3_P12ihipStream_tbPNSt15iterator_traitsISI_E10value_typeEPNSO_ISJ_E10value_typeEPSK_NS1_7vsmem_tEENKUlT_SI_SJ_SK_E_clIPiSD_S10_SD_EESH_SX_SI_SJ_SK_EUlSX_E_NS1_11comp_targetILNS1_3genE0ELNS1_11target_archE4294967295ELNS1_3gpuE0ELNS1_3repE0EEENS1_48merge_mergepath_partition_config_static_selectorELNS0_4arch9wavefront6targetE1EEEvSJ_,"axG",@progbits,_ZN7rocprim17ROCPRIM_400000_NS6detail17trampoline_kernelINS0_14default_configENS1_38merge_sort_block_merge_config_selectorIiiEEZZNS1_27merge_sort_block_merge_implIS3_N6thrust23THRUST_200600_302600_NS6detail15normal_iteratorINS8_10device_ptrIiEEEESD_jNS1_19radix_merge_compareILb0ELb1EiNS0_19identity_decomposerEEEEE10hipError_tT0_T1_T2_jT3_P12ihipStream_tbPNSt15iterator_traitsISI_E10value_typeEPNSO_ISJ_E10value_typeEPSK_NS1_7vsmem_tEENKUlT_SI_SJ_SK_E_clIPiSD_S10_SD_EESH_SX_SI_SJ_SK_EUlSX_E_NS1_11comp_targetILNS1_3genE0ELNS1_11target_archE4294967295ELNS1_3gpuE0ELNS1_3repE0EEENS1_48merge_mergepath_partition_config_static_selectorELNS0_4arch9wavefront6targetE1EEEvSJ_,comdat
.Lfunc_end1344:
	.size	_ZN7rocprim17ROCPRIM_400000_NS6detail17trampoline_kernelINS0_14default_configENS1_38merge_sort_block_merge_config_selectorIiiEEZZNS1_27merge_sort_block_merge_implIS3_N6thrust23THRUST_200600_302600_NS6detail15normal_iteratorINS8_10device_ptrIiEEEESD_jNS1_19radix_merge_compareILb0ELb1EiNS0_19identity_decomposerEEEEE10hipError_tT0_T1_T2_jT3_P12ihipStream_tbPNSt15iterator_traitsISI_E10value_typeEPNSO_ISJ_E10value_typeEPSK_NS1_7vsmem_tEENKUlT_SI_SJ_SK_E_clIPiSD_S10_SD_EESH_SX_SI_SJ_SK_EUlSX_E_NS1_11comp_targetILNS1_3genE0ELNS1_11target_archE4294967295ELNS1_3gpuE0ELNS1_3repE0EEENS1_48merge_mergepath_partition_config_static_selectorELNS0_4arch9wavefront6targetE1EEEvSJ_, .Lfunc_end1344-_ZN7rocprim17ROCPRIM_400000_NS6detail17trampoline_kernelINS0_14default_configENS1_38merge_sort_block_merge_config_selectorIiiEEZZNS1_27merge_sort_block_merge_implIS3_N6thrust23THRUST_200600_302600_NS6detail15normal_iteratorINS8_10device_ptrIiEEEESD_jNS1_19radix_merge_compareILb0ELb1EiNS0_19identity_decomposerEEEEE10hipError_tT0_T1_T2_jT3_P12ihipStream_tbPNSt15iterator_traitsISI_E10value_typeEPNSO_ISJ_E10value_typeEPSK_NS1_7vsmem_tEENKUlT_SI_SJ_SK_E_clIPiSD_S10_SD_EESH_SX_SI_SJ_SK_EUlSX_E_NS1_11comp_targetILNS1_3genE0ELNS1_11target_archE4294967295ELNS1_3gpuE0ELNS1_3repE0EEENS1_48merge_mergepath_partition_config_static_selectorELNS0_4arch9wavefront6targetE1EEEvSJ_
                                        ; -- End function
	.set _ZN7rocprim17ROCPRIM_400000_NS6detail17trampoline_kernelINS0_14default_configENS1_38merge_sort_block_merge_config_selectorIiiEEZZNS1_27merge_sort_block_merge_implIS3_N6thrust23THRUST_200600_302600_NS6detail15normal_iteratorINS8_10device_ptrIiEEEESD_jNS1_19radix_merge_compareILb0ELb1EiNS0_19identity_decomposerEEEEE10hipError_tT0_T1_T2_jT3_P12ihipStream_tbPNSt15iterator_traitsISI_E10value_typeEPNSO_ISJ_E10value_typeEPSK_NS1_7vsmem_tEENKUlT_SI_SJ_SK_E_clIPiSD_S10_SD_EESH_SX_SI_SJ_SK_EUlSX_E_NS1_11comp_targetILNS1_3genE0ELNS1_11target_archE4294967295ELNS1_3gpuE0ELNS1_3repE0EEENS1_48merge_mergepath_partition_config_static_selectorELNS0_4arch9wavefront6targetE1EEEvSJ_.num_vgpr, 17
	.set _ZN7rocprim17ROCPRIM_400000_NS6detail17trampoline_kernelINS0_14default_configENS1_38merge_sort_block_merge_config_selectorIiiEEZZNS1_27merge_sort_block_merge_implIS3_N6thrust23THRUST_200600_302600_NS6detail15normal_iteratorINS8_10device_ptrIiEEEESD_jNS1_19radix_merge_compareILb0ELb1EiNS0_19identity_decomposerEEEEE10hipError_tT0_T1_T2_jT3_P12ihipStream_tbPNSt15iterator_traitsISI_E10value_typeEPNSO_ISJ_E10value_typeEPSK_NS1_7vsmem_tEENKUlT_SI_SJ_SK_E_clIPiSD_S10_SD_EESH_SX_SI_SJ_SK_EUlSX_E_NS1_11comp_targetILNS1_3genE0ELNS1_11target_archE4294967295ELNS1_3gpuE0ELNS1_3repE0EEENS1_48merge_mergepath_partition_config_static_selectorELNS0_4arch9wavefront6targetE1EEEvSJ_.num_agpr, 0
	.set _ZN7rocprim17ROCPRIM_400000_NS6detail17trampoline_kernelINS0_14default_configENS1_38merge_sort_block_merge_config_selectorIiiEEZZNS1_27merge_sort_block_merge_implIS3_N6thrust23THRUST_200600_302600_NS6detail15normal_iteratorINS8_10device_ptrIiEEEESD_jNS1_19radix_merge_compareILb0ELb1EiNS0_19identity_decomposerEEEEE10hipError_tT0_T1_T2_jT3_P12ihipStream_tbPNSt15iterator_traitsISI_E10value_typeEPNSO_ISJ_E10value_typeEPSK_NS1_7vsmem_tEENKUlT_SI_SJ_SK_E_clIPiSD_S10_SD_EESH_SX_SI_SJ_SK_EUlSX_E_NS1_11comp_targetILNS1_3genE0ELNS1_11target_archE4294967295ELNS1_3gpuE0ELNS1_3repE0EEENS1_48merge_mergepath_partition_config_static_selectorELNS0_4arch9wavefront6targetE1EEEvSJ_.numbered_sgpr, 10
	.set _ZN7rocprim17ROCPRIM_400000_NS6detail17trampoline_kernelINS0_14default_configENS1_38merge_sort_block_merge_config_selectorIiiEEZZNS1_27merge_sort_block_merge_implIS3_N6thrust23THRUST_200600_302600_NS6detail15normal_iteratorINS8_10device_ptrIiEEEESD_jNS1_19radix_merge_compareILb0ELb1EiNS0_19identity_decomposerEEEEE10hipError_tT0_T1_T2_jT3_P12ihipStream_tbPNSt15iterator_traitsISI_E10value_typeEPNSO_ISJ_E10value_typeEPSK_NS1_7vsmem_tEENKUlT_SI_SJ_SK_E_clIPiSD_S10_SD_EESH_SX_SI_SJ_SK_EUlSX_E_NS1_11comp_targetILNS1_3genE0ELNS1_11target_archE4294967295ELNS1_3gpuE0ELNS1_3repE0EEENS1_48merge_mergepath_partition_config_static_selectorELNS0_4arch9wavefront6targetE1EEEvSJ_.num_named_barrier, 0
	.set _ZN7rocprim17ROCPRIM_400000_NS6detail17trampoline_kernelINS0_14default_configENS1_38merge_sort_block_merge_config_selectorIiiEEZZNS1_27merge_sort_block_merge_implIS3_N6thrust23THRUST_200600_302600_NS6detail15normal_iteratorINS8_10device_ptrIiEEEESD_jNS1_19radix_merge_compareILb0ELb1EiNS0_19identity_decomposerEEEEE10hipError_tT0_T1_T2_jT3_P12ihipStream_tbPNSt15iterator_traitsISI_E10value_typeEPNSO_ISJ_E10value_typeEPSK_NS1_7vsmem_tEENKUlT_SI_SJ_SK_E_clIPiSD_S10_SD_EESH_SX_SI_SJ_SK_EUlSX_E_NS1_11comp_targetILNS1_3genE0ELNS1_11target_archE4294967295ELNS1_3gpuE0ELNS1_3repE0EEENS1_48merge_mergepath_partition_config_static_selectorELNS0_4arch9wavefront6targetE1EEEvSJ_.private_seg_size, 0
	.set _ZN7rocprim17ROCPRIM_400000_NS6detail17trampoline_kernelINS0_14default_configENS1_38merge_sort_block_merge_config_selectorIiiEEZZNS1_27merge_sort_block_merge_implIS3_N6thrust23THRUST_200600_302600_NS6detail15normal_iteratorINS8_10device_ptrIiEEEESD_jNS1_19radix_merge_compareILb0ELb1EiNS0_19identity_decomposerEEEEE10hipError_tT0_T1_T2_jT3_P12ihipStream_tbPNSt15iterator_traitsISI_E10value_typeEPNSO_ISJ_E10value_typeEPSK_NS1_7vsmem_tEENKUlT_SI_SJ_SK_E_clIPiSD_S10_SD_EESH_SX_SI_SJ_SK_EUlSX_E_NS1_11comp_targetILNS1_3genE0ELNS1_11target_archE4294967295ELNS1_3gpuE0ELNS1_3repE0EEENS1_48merge_mergepath_partition_config_static_selectorELNS0_4arch9wavefront6targetE1EEEvSJ_.uses_vcc, 1
	.set _ZN7rocprim17ROCPRIM_400000_NS6detail17trampoline_kernelINS0_14default_configENS1_38merge_sort_block_merge_config_selectorIiiEEZZNS1_27merge_sort_block_merge_implIS3_N6thrust23THRUST_200600_302600_NS6detail15normal_iteratorINS8_10device_ptrIiEEEESD_jNS1_19radix_merge_compareILb0ELb1EiNS0_19identity_decomposerEEEEE10hipError_tT0_T1_T2_jT3_P12ihipStream_tbPNSt15iterator_traitsISI_E10value_typeEPNSO_ISJ_E10value_typeEPSK_NS1_7vsmem_tEENKUlT_SI_SJ_SK_E_clIPiSD_S10_SD_EESH_SX_SI_SJ_SK_EUlSX_E_NS1_11comp_targetILNS1_3genE0ELNS1_11target_archE4294967295ELNS1_3gpuE0ELNS1_3repE0EEENS1_48merge_mergepath_partition_config_static_selectorELNS0_4arch9wavefront6targetE1EEEvSJ_.uses_flat_scratch, 0
	.set _ZN7rocprim17ROCPRIM_400000_NS6detail17trampoline_kernelINS0_14default_configENS1_38merge_sort_block_merge_config_selectorIiiEEZZNS1_27merge_sort_block_merge_implIS3_N6thrust23THRUST_200600_302600_NS6detail15normal_iteratorINS8_10device_ptrIiEEEESD_jNS1_19radix_merge_compareILb0ELb1EiNS0_19identity_decomposerEEEEE10hipError_tT0_T1_T2_jT3_P12ihipStream_tbPNSt15iterator_traitsISI_E10value_typeEPNSO_ISJ_E10value_typeEPSK_NS1_7vsmem_tEENKUlT_SI_SJ_SK_E_clIPiSD_S10_SD_EESH_SX_SI_SJ_SK_EUlSX_E_NS1_11comp_targetILNS1_3genE0ELNS1_11target_archE4294967295ELNS1_3gpuE0ELNS1_3repE0EEENS1_48merge_mergepath_partition_config_static_selectorELNS0_4arch9wavefront6targetE1EEEvSJ_.has_dyn_sized_stack, 0
	.set _ZN7rocprim17ROCPRIM_400000_NS6detail17trampoline_kernelINS0_14default_configENS1_38merge_sort_block_merge_config_selectorIiiEEZZNS1_27merge_sort_block_merge_implIS3_N6thrust23THRUST_200600_302600_NS6detail15normal_iteratorINS8_10device_ptrIiEEEESD_jNS1_19radix_merge_compareILb0ELb1EiNS0_19identity_decomposerEEEEE10hipError_tT0_T1_T2_jT3_P12ihipStream_tbPNSt15iterator_traitsISI_E10value_typeEPNSO_ISJ_E10value_typeEPSK_NS1_7vsmem_tEENKUlT_SI_SJ_SK_E_clIPiSD_S10_SD_EESH_SX_SI_SJ_SK_EUlSX_E_NS1_11comp_targetILNS1_3genE0ELNS1_11target_archE4294967295ELNS1_3gpuE0ELNS1_3repE0EEENS1_48merge_mergepath_partition_config_static_selectorELNS0_4arch9wavefront6targetE1EEEvSJ_.has_recursion, 0
	.set _ZN7rocprim17ROCPRIM_400000_NS6detail17trampoline_kernelINS0_14default_configENS1_38merge_sort_block_merge_config_selectorIiiEEZZNS1_27merge_sort_block_merge_implIS3_N6thrust23THRUST_200600_302600_NS6detail15normal_iteratorINS8_10device_ptrIiEEEESD_jNS1_19radix_merge_compareILb0ELb1EiNS0_19identity_decomposerEEEEE10hipError_tT0_T1_T2_jT3_P12ihipStream_tbPNSt15iterator_traitsISI_E10value_typeEPNSO_ISJ_E10value_typeEPSK_NS1_7vsmem_tEENKUlT_SI_SJ_SK_E_clIPiSD_S10_SD_EESH_SX_SI_SJ_SK_EUlSX_E_NS1_11comp_targetILNS1_3genE0ELNS1_11target_archE4294967295ELNS1_3gpuE0ELNS1_3repE0EEENS1_48merge_mergepath_partition_config_static_selectorELNS0_4arch9wavefront6targetE1EEEvSJ_.has_indirect_call, 0
	.section	.AMDGPU.csdata,"",@progbits
; Kernel info:
; codeLenInByte = 336
; TotalNumSgprs: 16
; NumVgprs: 17
; NumAgprs: 0
; TotalNumVgprs: 17
; ScratchSize: 0
; MemoryBound: 0
; FloatMode: 240
; IeeeMode: 1
; LDSByteSize: 0 bytes/workgroup (compile time only)
; SGPRBlocks: 1
; VGPRBlocks: 2
; NumSGPRsForWavesPerEU: 16
; NumVGPRsForWavesPerEU: 17
; AccumOffset: 20
; Occupancy: 8
; WaveLimiterHint : 0
; COMPUTE_PGM_RSRC2:SCRATCH_EN: 0
; COMPUTE_PGM_RSRC2:USER_SGPR: 2
; COMPUTE_PGM_RSRC2:TRAP_HANDLER: 0
; COMPUTE_PGM_RSRC2:TGID_X_EN: 1
; COMPUTE_PGM_RSRC2:TGID_Y_EN: 0
; COMPUTE_PGM_RSRC2:TGID_Z_EN: 0
; COMPUTE_PGM_RSRC2:TIDIG_COMP_CNT: 0
; COMPUTE_PGM_RSRC3_GFX90A:ACCUM_OFFSET: 4
; COMPUTE_PGM_RSRC3_GFX90A:TG_SPLIT: 0
	.section	.text._ZN7rocprim17ROCPRIM_400000_NS6detail17trampoline_kernelINS0_14default_configENS1_38merge_sort_block_merge_config_selectorIiiEEZZNS1_27merge_sort_block_merge_implIS3_N6thrust23THRUST_200600_302600_NS6detail15normal_iteratorINS8_10device_ptrIiEEEESD_jNS1_19radix_merge_compareILb0ELb1EiNS0_19identity_decomposerEEEEE10hipError_tT0_T1_T2_jT3_P12ihipStream_tbPNSt15iterator_traitsISI_E10value_typeEPNSO_ISJ_E10value_typeEPSK_NS1_7vsmem_tEENKUlT_SI_SJ_SK_E_clIPiSD_S10_SD_EESH_SX_SI_SJ_SK_EUlSX_E_NS1_11comp_targetILNS1_3genE10ELNS1_11target_archE1201ELNS1_3gpuE5ELNS1_3repE0EEENS1_48merge_mergepath_partition_config_static_selectorELNS0_4arch9wavefront6targetE1EEEvSJ_,"axG",@progbits,_ZN7rocprim17ROCPRIM_400000_NS6detail17trampoline_kernelINS0_14default_configENS1_38merge_sort_block_merge_config_selectorIiiEEZZNS1_27merge_sort_block_merge_implIS3_N6thrust23THRUST_200600_302600_NS6detail15normal_iteratorINS8_10device_ptrIiEEEESD_jNS1_19radix_merge_compareILb0ELb1EiNS0_19identity_decomposerEEEEE10hipError_tT0_T1_T2_jT3_P12ihipStream_tbPNSt15iterator_traitsISI_E10value_typeEPNSO_ISJ_E10value_typeEPSK_NS1_7vsmem_tEENKUlT_SI_SJ_SK_E_clIPiSD_S10_SD_EESH_SX_SI_SJ_SK_EUlSX_E_NS1_11comp_targetILNS1_3genE10ELNS1_11target_archE1201ELNS1_3gpuE5ELNS1_3repE0EEENS1_48merge_mergepath_partition_config_static_selectorELNS0_4arch9wavefront6targetE1EEEvSJ_,comdat
	.protected	_ZN7rocprim17ROCPRIM_400000_NS6detail17trampoline_kernelINS0_14default_configENS1_38merge_sort_block_merge_config_selectorIiiEEZZNS1_27merge_sort_block_merge_implIS3_N6thrust23THRUST_200600_302600_NS6detail15normal_iteratorINS8_10device_ptrIiEEEESD_jNS1_19radix_merge_compareILb0ELb1EiNS0_19identity_decomposerEEEEE10hipError_tT0_T1_T2_jT3_P12ihipStream_tbPNSt15iterator_traitsISI_E10value_typeEPNSO_ISJ_E10value_typeEPSK_NS1_7vsmem_tEENKUlT_SI_SJ_SK_E_clIPiSD_S10_SD_EESH_SX_SI_SJ_SK_EUlSX_E_NS1_11comp_targetILNS1_3genE10ELNS1_11target_archE1201ELNS1_3gpuE5ELNS1_3repE0EEENS1_48merge_mergepath_partition_config_static_selectorELNS0_4arch9wavefront6targetE1EEEvSJ_ ; -- Begin function _ZN7rocprim17ROCPRIM_400000_NS6detail17trampoline_kernelINS0_14default_configENS1_38merge_sort_block_merge_config_selectorIiiEEZZNS1_27merge_sort_block_merge_implIS3_N6thrust23THRUST_200600_302600_NS6detail15normal_iteratorINS8_10device_ptrIiEEEESD_jNS1_19radix_merge_compareILb0ELb1EiNS0_19identity_decomposerEEEEE10hipError_tT0_T1_T2_jT3_P12ihipStream_tbPNSt15iterator_traitsISI_E10value_typeEPNSO_ISJ_E10value_typeEPSK_NS1_7vsmem_tEENKUlT_SI_SJ_SK_E_clIPiSD_S10_SD_EESH_SX_SI_SJ_SK_EUlSX_E_NS1_11comp_targetILNS1_3genE10ELNS1_11target_archE1201ELNS1_3gpuE5ELNS1_3repE0EEENS1_48merge_mergepath_partition_config_static_selectorELNS0_4arch9wavefront6targetE1EEEvSJ_
	.globl	_ZN7rocprim17ROCPRIM_400000_NS6detail17trampoline_kernelINS0_14default_configENS1_38merge_sort_block_merge_config_selectorIiiEEZZNS1_27merge_sort_block_merge_implIS3_N6thrust23THRUST_200600_302600_NS6detail15normal_iteratorINS8_10device_ptrIiEEEESD_jNS1_19radix_merge_compareILb0ELb1EiNS0_19identity_decomposerEEEEE10hipError_tT0_T1_T2_jT3_P12ihipStream_tbPNSt15iterator_traitsISI_E10value_typeEPNSO_ISJ_E10value_typeEPSK_NS1_7vsmem_tEENKUlT_SI_SJ_SK_E_clIPiSD_S10_SD_EESH_SX_SI_SJ_SK_EUlSX_E_NS1_11comp_targetILNS1_3genE10ELNS1_11target_archE1201ELNS1_3gpuE5ELNS1_3repE0EEENS1_48merge_mergepath_partition_config_static_selectorELNS0_4arch9wavefront6targetE1EEEvSJ_
	.p2align	8
	.type	_ZN7rocprim17ROCPRIM_400000_NS6detail17trampoline_kernelINS0_14default_configENS1_38merge_sort_block_merge_config_selectorIiiEEZZNS1_27merge_sort_block_merge_implIS3_N6thrust23THRUST_200600_302600_NS6detail15normal_iteratorINS8_10device_ptrIiEEEESD_jNS1_19radix_merge_compareILb0ELb1EiNS0_19identity_decomposerEEEEE10hipError_tT0_T1_T2_jT3_P12ihipStream_tbPNSt15iterator_traitsISI_E10value_typeEPNSO_ISJ_E10value_typeEPSK_NS1_7vsmem_tEENKUlT_SI_SJ_SK_E_clIPiSD_S10_SD_EESH_SX_SI_SJ_SK_EUlSX_E_NS1_11comp_targetILNS1_3genE10ELNS1_11target_archE1201ELNS1_3gpuE5ELNS1_3repE0EEENS1_48merge_mergepath_partition_config_static_selectorELNS0_4arch9wavefront6targetE1EEEvSJ_,@function
_ZN7rocprim17ROCPRIM_400000_NS6detail17trampoline_kernelINS0_14default_configENS1_38merge_sort_block_merge_config_selectorIiiEEZZNS1_27merge_sort_block_merge_implIS3_N6thrust23THRUST_200600_302600_NS6detail15normal_iteratorINS8_10device_ptrIiEEEESD_jNS1_19radix_merge_compareILb0ELb1EiNS0_19identity_decomposerEEEEE10hipError_tT0_T1_T2_jT3_P12ihipStream_tbPNSt15iterator_traitsISI_E10value_typeEPNSO_ISJ_E10value_typeEPSK_NS1_7vsmem_tEENKUlT_SI_SJ_SK_E_clIPiSD_S10_SD_EESH_SX_SI_SJ_SK_EUlSX_E_NS1_11comp_targetILNS1_3genE10ELNS1_11target_archE1201ELNS1_3gpuE5ELNS1_3repE0EEENS1_48merge_mergepath_partition_config_static_selectorELNS0_4arch9wavefront6targetE1EEEvSJ_: ; @_ZN7rocprim17ROCPRIM_400000_NS6detail17trampoline_kernelINS0_14default_configENS1_38merge_sort_block_merge_config_selectorIiiEEZZNS1_27merge_sort_block_merge_implIS3_N6thrust23THRUST_200600_302600_NS6detail15normal_iteratorINS8_10device_ptrIiEEEESD_jNS1_19radix_merge_compareILb0ELb1EiNS0_19identity_decomposerEEEEE10hipError_tT0_T1_T2_jT3_P12ihipStream_tbPNSt15iterator_traitsISI_E10value_typeEPNSO_ISJ_E10value_typeEPSK_NS1_7vsmem_tEENKUlT_SI_SJ_SK_E_clIPiSD_S10_SD_EESH_SX_SI_SJ_SK_EUlSX_E_NS1_11comp_targetILNS1_3genE10ELNS1_11target_archE1201ELNS1_3gpuE5ELNS1_3repE0EEENS1_48merge_mergepath_partition_config_static_selectorELNS0_4arch9wavefront6targetE1EEEvSJ_
; %bb.0:
	.section	.rodata,"a",@progbits
	.p2align	6, 0x0
	.amdhsa_kernel _ZN7rocprim17ROCPRIM_400000_NS6detail17trampoline_kernelINS0_14default_configENS1_38merge_sort_block_merge_config_selectorIiiEEZZNS1_27merge_sort_block_merge_implIS3_N6thrust23THRUST_200600_302600_NS6detail15normal_iteratorINS8_10device_ptrIiEEEESD_jNS1_19radix_merge_compareILb0ELb1EiNS0_19identity_decomposerEEEEE10hipError_tT0_T1_T2_jT3_P12ihipStream_tbPNSt15iterator_traitsISI_E10value_typeEPNSO_ISJ_E10value_typeEPSK_NS1_7vsmem_tEENKUlT_SI_SJ_SK_E_clIPiSD_S10_SD_EESH_SX_SI_SJ_SK_EUlSX_E_NS1_11comp_targetILNS1_3genE10ELNS1_11target_archE1201ELNS1_3gpuE5ELNS1_3repE0EEENS1_48merge_mergepath_partition_config_static_selectorELNS0_4arch9wavefront6targetE1EEEvSJ_
		.amdhsa_group_segment_fixed_size 0
		.amdhsa_private_segment_fixed_size 0
		.amdhsa_kernarg_size 40
		.amdhsa_user_sgpr_count 2
		.amdhsa_user_sgpr_dispatch_ptr 0
		.amdhsa_user_sgpr_queue_ptr 0
		.amdhsa_user_sgpr_kernarg_segment_ptr 1
		.amdhsa_user_sgpr_dispatch_id 0
		.amdhsa_user_sgpr_kernarg_preload_length 0
		.amdhsa_user_sgpr_kernarg_preload_offset 0
		.amdhsa_user_sgpr_private_segment_size 0
		.amdhsa_uses_dynamic_stack 0
		.amdhsa_enable_private_segment 0
		.amdhsa_system_sgpr_workgroup_id_x 1
		.amdhsa_system_sgpr_workgroup_id_y 0
		.amdhsa_system_sgpr_workgroup_id_z 0
		.amdhsa_system_sgpr_workgroup_info 0
		.amdhsa_system_vgpr_workitem_id 0
		.amdhsa_next_free_vgpr 1
		.amdhsa_next_free_sgpr 0
		.amdhsa_accum_offset 4
		.amdhsa_reserve_vcc 0
		.amdhsa_float_round_mode_32 0
		.amdhsa_float_round_mode_16_64 0
		.amdhsa_float_denorm_mode_32 3
		.amdhsa_float_denorm_mode_16_64 3
		.amdhsa_dx10_clamp 1
		.amdhsa_ieee_mode 1
		.amdhsa_fp16_overflow 0
		.amdhsa_tg_split 0
		.amdhsa_exception_fp_ieee_invalid_op 0
		.amdhsa_exception_fp_denorm_src 0
		.amdhsa_exception_fp_ieee_div_zero 0
		.amdhsa_exception_fp_ieee_overflow 0
		.amdhsa_exception_fp_ieee_underflow 0
		.amdhsa_exception_fp_ieee_inexact 0
		.amdhsa_exception_int_div_zero 0
	.end_amdhsa_kernel
	.section	.text._ZN7rocprim17ROCPRIM_400000_NS6detail17trampoline_kernelINS0_14default_configENS1_38merge_sort_block_merge_config_selectorIiiEEZZNS1_27merge_sort_block_merge_implIS3_N6thrust23THRUST_200600_302600_NS6detail15normal_iteratorINS8_10device_ptrIiEEEESD_jNS1_19radix_merge_compareILb0ELb1EiNS0_19identity_decomposerEEEEE10hipError_tT0_T1_T2_jT3_P12ihipStream_tbPNSt15iterator_traitsISI_E10value_typeEPNSO_ISJ_E10value_typeEPSK_NS1_7vsmem_tEENKUlT_SI_SJ_SK_E_clIPiSD_S10_SD_EESH_SX_SI_SJ_SK_EUlSX_E_NS1_11comp_targetILNS1_3genE10ELNS1_11target_archE1201ELNS1_3gpuE5ELNS1_3repE0EEENS1_48merge_mergepath_partition_config_static_selectorELNS0_4arch9wavefront6targetE1EEEvSJ_,"axG",@progbits,_ZN7rocprim17ROCPRIM_400000_NS6detail17trampoline_kernelINS0_14default_configENS1_38merge_sort_block_merge_config_selectorIiiEEZZNS1_27merge_sort_block_merge_implIS3_N6thrust23THRUST_200600_302600_NS6detail15normal_iteratorINS8_10device_ptrIiEEEESD_jNS1_19radix_merge_compareILb0ELb1EiNS0_19identity_decomposerEEEEE10hipError_tT0_T1_T2_jT3_P12ihipStream_tbPNSt15iterator_traitsISI_E10value_typeEPNSO_ISJ_E10value_typeEPSK_NS1_7vsmem_tEENKUlT_SI_SJ_SK_E_clIPiSD_S10_SD_EESH_SX_SI_SJ_SK_EUlSX_E_NS1_11comp_targetILNS1_3genE10ELNS1_11target_archE1201ELNS1_3gpuE5ELNS1_3repE0EEENS1_48merge_mergepath_partition_config_static_selectorELNS0_4arch9wavefront6targetE1EEEvSJ_,comdat
.Lfunc_end1345:
	.size	_ZN7rocprim17ROCPRIM_400000_NS6detail17trampoline_kernelINS0_14default_configENS1_38merge_sort_block_merge_config_selectorIiiEEZZNS1_27merge_sort_block_merge_implIS3_N6thrust23THRUST_200600_302600_NS6detail15normal_iteratorINS8_10device_ptrIiEEEESD_jNS1_19radix_merge_compareILb0ELb1EiNS0_19identity_decomposerEEEEE10hipError_tT0_T1_T2_jT3_P12ihipStream_tbPNSt15iterator_traitsISI_E10value_typeEPNSO_ISJ_E10value_typeEPSK_NS1_7vsmem_tEENKUlT_SI_SJ_SK_E_clIPiSD_S10_SD_EESH_SX_SI_SJ_SK_EUlSX_E_NS1_11comp_targetILNS1_3genE10ELNS1_11target_archE1201ELNS1_3gpuE5ELNS1_3repE0EEENS1_48merge_mergepath_partition_config_static_selectorELNS0_4arch9wavefront6targetE1EEEvSJ_, .Lfunc_end1345-_ZN7rocprim17ROCPRIM_400000_NS6detail17trampoline_kernelINS0_14default_configENS1_38merge_sort_block_merge_config_selectorIiiEEZZNS1_27merge_sort_block_merge_implIS3_N6thrust23THRUST_200600_302600_NS6detail15normal_iteratorINS8_10device_ptrIiEEEESD_jNS1_19radix_merge_compareILb0ELb1EiNS0_19identity_decomposerEEEEE10hipError_tT0_T1_T2_jT3_P12ihipStream_tbPNSt15iterator_traitsISI_E10value_typeEPNSO_ISJ_E10value_typeEPSK_NS1_7vsmem_tEENKUlT_SI_SJ_SK_E_clIPiSD_S10_SD_EESH_SX_SI_SJ_SK_EUlSX_E_NS1_11comp_targetILNS1_3genE10ELNS1_11target_archE1201ELNS1_3gpuE5ELNS1_3repE0EEENS1_48merge_mergepath_partition_config_static_selectorELNS0_4arch9wavefront6targetE1EEEvSJ_
                                        ; -- End function
	.set _ZN7rocprim17ROCPRIM_400000_NS6detail17trampoline_kernelINS0_14default_configENS1_38merge_sort_block_merge_config_selectorIiiEEZZNS1_27merge_sort_block_merge_implIS3_N6thrust23THRUST_200600_302600_NS6detail15normal_iteratorINS8_10device_ptrIiEEEESD_jNS1_19radix_merge_compareILb0ELb1EiNS0_19identity_decomposerEEEEE10hipError_tT0_T1_T2_jT3_P12ihipStream_tbPNSt15iterator_traitsISI_E10value_typeEPNSO_ISJ_E10value_typeEPSK_NS1_7vsmem_tEENKUlT_SI_SJ_SK_E_clIPiSD_S10_SD_EESH_SX_SI_SJ_SK_EUlSX_E_NS1_11comp_targetILNS1_3genE10ELNS1_11target_archE1201ELNS1_3gpuE5ELNS1_3repE0EEENS1_48merge_mergepath_partition_config_static_selectorELNS0_4arch9wavefront6targetE1EEEvSJ_.num_vgpr, 0
	.set _ZN7rocprim17ROCPRIM_400000_NS6detail17trampoline_kernelINS0_14default_configENS1_38merge_sort_block_merge_config_selectorIiiEEZZNS1_27merge_sort_block_merge_implIS3_N6thrust23THRUST_200600_302600_NS6detail15normal_iteratorINS8_10device_ptrIiEEEESD_jNS1_19radix_merge_compareILb0ELb1EiNS0_19identity_decomposerEEEEE10hipError_tT0_T1_T2_jT3_P12ihipStream_tbPNSt15iterator_traitsISI_E10value_typeEPNSO_ISJ_E10value_typeEPSK_NS1_7vsmem_tEENKUlT_SI_SJ_SK_E_clIPiSD_S10_SD_EESH_SX_SI_SJ_SK_EUlSX_E_NS1_11comp_targetILNS1_3genE10ELNS1_11target_archE1201ELNS1_3gpuE5ELNS1_3repE0EEENS1_48merge_mergepath_partition_config_static_selectorELNS0_4arch9wavefront6targetE1EEEvSJ_.num_agpr, 0
	.set _ZN7rocprim17ROCPRIM_400000_NS6detail17trampoline_kernelINS0_14default_configENS1_38merge_sort_block_merge_config_selectorIiiEEZZNS1_27merge_sort_block_merge_implIS3_N6thrust23THRUST_200600_302600_NS6detail15normal_iteratorINS8_10device_ptrIiEEEESD_jNS1_19radix_merge_compareILb0ELb1EiNS0_19identity_decomposerEEEEE10hipError_tT0_T1_T2_jT3_P12ihipStream_tbPNSt15iterator_traitsISI_E10value_typeEPNSO_ISJ_E10value_typeEPSK_NS1_7vsmem_tEENKUlT_SI_SJ_SK_E_clIPiSD_S10_SD_EESH_SX_SI_SJ_SK_EUlSX_E_NS1_11comp_targetILNS1_3genE10ELNS1_11target_archE1201ELNS1_3gpuE5ELNS1_3repE0EEENS1_48merge_mergepath_partition_config_static_selectorELNS0_4arch9wavefront6targetE1EEEvSJ_.numbered_sgpr, 0
	.set _ZN7rocprim17ROCPRIM_400000_NS6detail17trampoline_kernelINS0_14default_configENS1_38merge_sort_block_merge_config_selectorIiiEEZZNS1_27merge_sort_block_merge_implIS3_N6thrust23THRUST_200600_302600_NS6detail15normal_iteratorINS8_10device_ptrIiEEEESD_jNS1_19radix_merge_compareILb0ELb1EiNS0_19identity_decomposerEEEEE10hipError_tT0_T1_T2_jT3_P12ihipStream_tbPNSt15iterator_traitsISI_E10value_typeEPNSO_ISJ_E10value_typeEPSK_NS1_7vsmem_tEENKUlT_SI_SJ_SK_E_clIPiSD_S10_SD_EESH_SX_SI_SJ_SK_EUlSX_E_NS1_11comp_targetILNS1_3genE10ELNS1_11target_archE1201ELNS1_3gpuE5ELNS1_3repE0EEENS1_48merge_mergepath_partition_config_static_selectorELNS0_4arch9wavefront6targetE1EEEvSJ_.num_named_barrier, 0
	.set _ZN7rocprim17ROCPRIM_400000_NS6detail17trampoline_kernelINS0_14default_configENS1_38merge_sort_block_merge_config_selectorIiiEEZZNS1_27merge_sort_block_merge_implIS3_N6thrust23THRUST_200600_302600_NS6detail15normal_iteratorINS8_10device_ptrIiEEEESD_jNS1_19radix_merge_compareILb0ELb1EiNS0_19identity_decomposerEEEEE10hipError_tT0_T1_T2_jT3_P12ihipStream_tbPNSt15iterator_traitsISI_E10value_typeEPNSO_ISJ_E10value_typeEPSK_NS1_7vsmem_tEENKUlT_SI_SJ_SK_E_clIPiSD_S10_SD_EESH_SX_SI_SJ_SK_EUlSX_E_NS1_11comp_targetILNS1_3genE10ELNS1_11target_archE1201ELNS1_3gpuE5ELNS1_3repE0EEENS1_48merge_mergepath_partition_config_static_selectorELNS0_4arch9wavefront6targetE1EEEvSJ_.private_seg_size, 0
	.set _ZN7rocprim17ROCPRIM_400000_NS6detail17trampoline_kernelINS0_14default_configENS1_38merge_sort_block_merge_config_selectorIiiEEZZNS1_27merge_sort_block_merge_implIS3_N6thrust23THRUST_200600_302600_NS6detail15normal_iteratorINS8_10device_ptrIiEEEESD_jNS1_19radix_merge_compareILb0ELb1EiNS0_19identity_decomposerEEEEE10hipError_tT0_T1_T2_jT3_P12ihipStream_tbPNSt15iterator_traitsISI_E10value_typeEPNSO_ISJ_E10value_typeEPSK_NS1_7vsmem_tEENKUlT_SI_SJ_SK_E_clIPiSD_S10_SD_EESH_SX_SI_SJ_SK_EUlSX_E_NS1_11comp_targetILNS1_3genE10ELNS1_11target_archE1201ELNS1_3gpuE5ELNS1_3repE0EEENS1_48merge_mergepath_partition_config_static_selectorELNS0_4arch9wavefront6targetE1EEEvSJ_.uses_vcc, 0
	.set _ZN7rocprim17ROCPRIM_400000_NS6detail17trampoline_kernelINS0_14default_configENS1_38merge_sort_block_merge_config_selectorIiiEEZZNS1_27merge_sort_block_merge_implIS3_N6thrust23THRUST_200600_302600_NS6detail15normal_iteratorINS8_10device_ptrIiEEEESD_jNS1_19radix_merge_compareILb0ELb1EiNS0_19identity_decomposerEEEEE10hipError_tT0_T1_T2_jT3_P12ihipStream_tbPNSt15iterator_traitsISI_E10value_typeEPNSO_ISJ_E10value_typeEPSK_NS1_7vsmem_tEENKUlT_SI_SJ_SK_E_clIPiSD_S10_SD_EESH_SX_SI_SJ_SK_EUlSX_E_NS1_11comp_targetILNS1_3genE10ELNS1_11target_archE1201ELNS1_3gpuE5ELNS1_3repE0EEENS1_48merge_mergepath_partition_config_static_selectorELNS0_4arch9wavefront6targetE1EEEvSJ_.uses_flat_scratch, 0
	.set _ZN7rocprim17ROCPRIM_400000_NS6detail17trampoline_kernelINS0_14default_configENS1_38merge_sort_block_merge_config_selectorIiiEEZZNS1_27merge_sort_block_merge_implIS3_N6thrust23THRUST_200600_302600_NS6detail15normal_iteratorINS8_10device_ptrIiEEEESD_jNS1_19radix_merge_compareILb0ELb1EiNS0_19identity_decomposerEEEEE10hipError_tT0_T1_T2_jT3_P12ihipStream_tbPNSt15iterator_traitsISI_E10value_typeEPNSO_ISJ_E10value_typeEPSK_NS1_7vsmem_tEENKUlT_SI_SJ_SK_E_clIPiSD_S10_SD_EESH_SX_SI_SJ_SK_EUlSX_E_NS1_11comp_targetILNS1_3genE10ELNS1_11target_archE1201ELNS1_3gpuE5ELNS1_3repE0EEENS1_48merge_mergepath_partition_config_static_selectorELNS0_4arch9wavefront6targetE1EEEvSJ_.has_dyn_sized_stack, 0
	.set _ZN7rocprim17ROCPRIM_400000_NS6detail17trampoline_kernelINS0_14default_configENS1_38merge_sort_block_merge_config_selectorIiiEEZZNS1_27merge_sort_block_merge_implIS3_N6thrust23THRUST_200600_302600_NS6detail15normal_iteratorINS8_10device_ptrIiEEEESD_jNS1_19radix_merge_compareILb0ELb1EiNS0_19identity_decomposerEEEEE10hipError_tT0_T1_T2_jT3_P12ihipStream_tbPNSt15iterator_traitsISI_E10value_typeEPNSO_ISJ_E10value_typeEPSK_NS1_7vsmem_tEENKUlT_SI_SJ_SK_E_clIPiSD_S10_SD_EESH_SX_SI_SJ_SK_EUlSX_E_NS1_11comp_targetILNS1_3genE10ELNS1_11target_archE1201ELNS1_3gpuE5ELNS1_3repE0EEENS1_48merge_mergepath_partition_config_static_selectorELNS0_4arch9wavefront6targetE1EEEvSJ_.has_recursion, 0
	.set _ZN7rocprim17ROCPRIM_400000_NS6detail17trampoline_kernelINS0_14default_configENS1_38merge_sort_block_merge_config_selectorIiiEEZZNS1_27merge_sort_block_merge_implIS3_N6thrust23THRUST_200600_302600_NS6detail15normal_iteratorINS8_10device_ptrIiEEEESD_jNS1_19radix_merge_compareILb0ELb1EiNS0_19identity_decomposerEEEEE10hipError_tT0_T1_T2_jT3_P12ihipStream_tbPNSt15iterator_traitsISI_E10value_typeEPNSO_ISJ_E10value_typeEPSK_NS1_7vsmem_tEENKUlT_SI_SJ_SK_E_clIPiSD_S10_SD_EESH_SX_SI_SJ_SK_EUlSX_E_NS1_11comp_targetILNS1_3genE10ELNS1_11target_archE1201ELNS1_3gpuE5ELNS1_3repE0EEENS1_48merge_mergepath_partition_config_static_selectorELNS0_4arch9wavefront6targetE1EEEvSJ_.has_indirect_call, 0
	.section	.AMDGPU.csdata,"",@progbits
; Kernel info:
; codeLenInByte = 0
; TotalNumSgprs: 6
; NumVgprs: 0
; NumAgprs: 0
; TotalNumVgprs: 0
; ScratchSize: 0
; MemoryBound: 0
; FloatMode: 240
; IeeeMode: 1
; LDSByteSize: 0 bytes/workgroup (compile time only)
; SGPRBlocks: 0
; VGPRBlocks: 0
; NumSGPRsForWavesPerEU: 6
; NumVGPRsForWavesPerEU: 1
; AccumOffset: 4
; Occupancy: 8
; WaveLimiterHint : 0
; COMPUTE_PGM_RSRC2:SCRATCH_EN: 0
; COMPUTE_PGM_RSRC2:USER_SGPR: 2
; COMPUTE_PGM_RSRC2:TRAP_HANDLER: 0
; COMPUTE_PGM_RSRC2:TGID_X_EN: 1
; COMPUTE_PGM_RSRC2:TGID_Y_EN: 0
; COMPUTE_PGM_RSRC2:TGID_Z_EN: 0
; COMPUTE_PGM_RSRC2:TIDIG_COMP_CNT: 0
; COMPUTE_PGM_RSRC3_GFX90A:ACCUM_OFFSET: 0
; COMPUTE_PGM_RSRC3_GFX90A:TG_SPLIT: 0
	.section	.text._ZN7rocprim17ROCPRIM_400000_NS6detail17trampoline_kernelINS0_14default_configENS1_38merge_sort_block_merge_config_selectorIiiEEZZNS1_27merge_sort_block_merge_implIS3_N6thrust23THRUST_200600_302600_NS6detail15normal_iteratorINS8_10device_ptrIiEEEESD_jNS1_19radix_merge_compareILb0ELb1EiNS0_19identity_decomposerEEEEE10hipError_tT0_T1_T2_jT3_P12ihipStream_tbPNSt15iterator_traitsISI_E10value_typeEPNSO_ISJ_E10value_typeEPSK_NS1_7vsmem_tEENKUlT_SI_SJ_SK_E_clIPiSD_S10_SD_EESH_SX_SI_SJ_SK_EUlSX_E_NS1_11comp_targetILNS1_3genE5ELNS1_11target_archE942ELNS1_3gpuE9ELNS1_3repE0EEENS1_48merge_mergepath_partition_config_static_selectorELNS0_4arch9wavefront6targetE1EEEvSJ_,"axG",@progbits,_ZN7rocprim17ROCPRIM_400000_NS6detail17trampoline_kernelINS0_14default_configENS1_38merge_sort_block_merge_config_selectorIiiEEZZNS1_27merge_sort_block_merge_implIS3_N6thrust23THRUST_200600_302600_NS6detail15normal_iteratorINS8_10device_ptrIiEEEESD_jNS1_19radix_merge_compareILb0ELb1EiNS0_19identity_decomposerEEEEE10hipError_tT0_T1_T2_jT3_P12ihipStream_tbPNSt15iterator_traitsISI_E10value_typeEPNSO_ISJ_E10value_typeEPSK_NS1_7vsmem_tEENKUlT_SI_SJ_SK_E_clIPiSD_S10_SD_EESH_SX_SI_SJ_SK_EUlSX_E_NS1_11comp_targetILNS1_3genE5ELNS1_11target_archE942ELNS1_3gpuE9ELNS1_3repE0EEENS1_48merge_mergepath_partition_config_static_selectorELNS0_4arch9wavefront6targetE1EEEvSJ_,comdat
	.protected	_ZN7rocprim17ROCPRIM_400000_NS6detail17trampoline_kernelINS0_14default_configENS1_38merge_sort_block_merge_config_selectorIiiEEZZNS1_27merge_sort_block_merge_implIS3_N6thrust23THRUST_200600_302600_NS6detail15normal_iteratorINS8_10device_ptrIiEEEESD_jNS1_19radix_merge_compareILb0ELb1EiNS0_19identity_decomposerEEEEE10hipError_tT0_T1_T2_jT3_P12ihipStream_tbPNSt15iterator_traitsISI_E10value_typeEPNSO_ISJ_E10value_typeEPSK_NS1_7vsmem_tEENKUlT_SI_SJ_SK_E_clIPiSD_S10_SD_EESH_SX_SI_SJ_SK_EUlSX_E_NS1_11comp_targetILNS1_3genE5ELNS1_11target_archE942ELNS1_3gpuE9ELNS1_3repE0EEENS1_48merge_mergepath_partition_config_static_selectorELNS0_4arch9wavefront6targetE1EEEvSJ_ ; -- Begin function _ZN7rocprim17ROCPRIM_400000_NS6detail17trampoline_kernelINS0_14default_configENS1_38merge_sort_block_merge_config_selectorIiiEEZZNS1_27merge_sort_block_merge_implIS3_N6thrust23THRUST_200600_302600_NS6detail15normal_iteratorINS8_10device_ptrIiEEEESD_jNS1_19radix_merge_compareILb0ELb1EiNS0_19identity_decomposerEEEEE10hipError_tT0_T1_T2_jT3_P12ihipStream_tbPNSt15iterator_traitsISI_E10value_typeEPNSO_ISJ_E10value_typeEPSK_NS1_7vsmem_tEENKUlT_SI_SJ_SK_E_clIPiSD_S10_SD_EESH_SX_SI_SJ_SK_EUlSX_E_NS1_11comp_targetILNS1_3genE5ELNS1_11target_archE942ELNS1_3gpuE9ELNS1_3repE0EEENS1_48merge_mergepath_partition_config_static_selectorELNS0_4arch9wavefront6targetE1EEEvSJ_
	.globl	_ZN7rocprim17ROCPRIM_400000_NS6detail17trampoline_kernelINS0_14default_configENS1_38merge_sort_block_merge_config_selectorIiiEEZZNS1_27merge_sort_block_merge_implIS3_N6thrust23THRUST_200600_302600_NS6detail15normal_iteratorINS8_10device_ptrIiEEEESD_jNS1_19radix_merge_compareILb0ELb1EiNS0_19identity_decomposerEEEEE10hipError_tT0_T1_T2_jT3_P12ihipStream_tbPNSt15iterator_traitsISI_E10value_typeEPNSO_ISJ_E10value_typeEPSK_NS1_7vsmem_tEENKUlT_SI_SJ_SK_E_clIPiSD_S10_SD_EESH_SX_SI_SJ_SK_EUlSX_E_NS1_11comp_targetILNS1_3genE5ELNS1_11target_archE942ELNS1_3gpuE9ELNS1_3repE0EEENS1_48merge_mergepath_partition_config_static_selectorELNS0_4arch9wavefront6targetE1EEEvSJ_
	.p2align	8
	.type	_ZN7rocprim17ROCPRIM_400000_NS6detail17trampoline_kernelINS0_14default_configENS1_38merge_sort_block_merge_config_selectorIiiEEZZNS1_27merge_sort_block_merge_implIS3_N6thrust23THRUST_200600_302600_NS6detail15normal_iteratorINS8_10device_ptrIiEEEESD_jNS1_19radix_merge_compareILb0ELb1EiNS0_19identity_decomposerEEEEE10hipError_tT0_T1_T2_jT3_P12ihipStream_tbPNSt15iterator_traitsISI_E10value_typeEPNSO_ISJ_E10value_typeEPSK_NS1_7vsmem_tEENKUlT_SI_SJ_SK_E_clIPiSD_S10_SD_EESH_SX_SI_SJ_SK_EUlSX_E_NS1_11comp_targetILNS1_3genE5ELNS1_11target_archE942ELNS1_3gpuE9ELNS1_3repE0EEENS1_48merge_mergepath_partition_config_static_selectorELNS0_4arch9wavefront6targetE1EEEvSJ_,@function
_ZN7rocprim17ROCPRIM_400000_NS6detail17trampoline_kernelINS0_14default_configENS1_38merge_sort_block_merge_config_selectorIiiEEZZNS1_27merge_sort_block_merge_implIS3_N6thrust23THRUST_200600_302600_NS6detail15normal_iteratorINS8_10device_ptrIiEEEESD_jNS1_19radix_merge_compareILb0ELb1EiNS0_19identity_decomposerEEEEE10hipError_tT0_T1_T2_jT3_P12ihipStream_tbPNSt15iterator_traitsISI_E10value_typeEPNSO_ISJ_E10value_typeEPSK_NS1_7vsmem_tEENKUlT_SI_SJ_SK_E_clIPiSD_S10_SD_EESH_SX_SI_SJ_SK_EUlSX_E_NS1_11comp_targetILNS1_3genE5ELNS1_11target_archE942ELNS1_3gpuE9ELNS1_3repE0EEENS1_48merge_mergepath_partition_config_static_selectorELNS0_4arch9wavefront6targetE1EEEvSJ_: ; @_ZN7rocprim17ROCPRIM_400000_NS6detail17trampoline_kernelINS0_14default_configENS1_38merge_sort_block_merge_config_selectorIiiEEZZNS1_27merge_sort_block_merge_implIS3_N6thrust23THRUST_200600_302600_NS6detail15normal_iteratorINS8_10device_ptrIiEEEESD_jNS1_19radix_merge_compareILb0ELb1EiNS0_19identity_decomposerEEEEE10hipError_tT0_T1_T2_jT3_P12ihipStream_tbPNSt15iterator_traitsISI_E10value_typeEPNSO_ISJ_E10value_typeEPSK_NS1_7vsmem_tEENKUlT_SI_SJ_SK_E_clIPiSD_S10_SD_EESH_SX_SI_SJ_SK_EUlSX_E_NS1_11comp_targetILNS1_3genE5ELNS1_11target_archE942ELNS1_3gpuE9ELNS1_3repE0EEENS1_48merge_mergepath_partition_config_static_selectorELNS0_4arch9wavefront6targetE1EEEvSJ_
; %bb.0:
	.section	.rodata,"a",@progbits
	.p2align	6, 0x0
	.amdhsa_kernel _ZN7rocprim17ROCPRIM_400000_NS6detail17trampoline_kernelINS0_14default_configENS1_38merge_sort_block_merge_config_selectorIiiEEZZNS1_27merge_sort_block_merge_implIS3_N6thrust23THRUST_200600_302600_NS6detail15normal_iteratorINS8_10device_ptrIiEEEESD_jNS1_19radix_merge_compareILb0ELb1EiNS0_19identity_decomposerEEEEE10hipError_tT0_T1_T2_jT3_P12ihipStream_tbPNSt15iterator_traitsISI_E10value_typeEPNSO_ISJ_E10value_typeEPSK_NS1_7vsmem_tEENKUlT_SI_SJ_SK_E_clIPiSD_S10_SD_EESH_SX_SI_SJ_SK_EUlSX_E_NS1_11comp_targetILNS1_3genE5ELNS1_11target_archE942ELNS1_3gpuE9ELNS1_3repE0EEENS1_48merge_mergepath_partition_config_static_selectorELNS0_4arch9wavefront6targetE1EEEvSJ_
		.amdhsa_group_segment_fixed_size 0
		.amdhsa_private_segment_fixed_size 0
		.amdhsa_kernarg_size 40
		.amdhsa_user_sgpr_count 2
		.amdhsa_user_sgpr_dispatch_ptr 0
		.amdhsa_user_sgpr_queue_ptr 0
		.amdhsa_user_sgpr_kernarg_segment_ptr 1
		.amdhsa_user_sgpr_dispatch_id 0
		.amdhsa_user_sgpr_kernarg_preload_length 0
		.amdhsa_user_sgpr_kernarg_preload_offset 0
		.amdhsa_user_sgpr_private_segment_size 0
		.amdhsa_uses_dynamic_stack 0
		.amdhsa_enable_private_segment 0
		.amdhsa_system_sgpr_workgroup_id_x 1
		.amdhsa_system_sgpr_workgroup_id_y 0
		.amdhsa_system_sgpr_workgroup_id_z 0
		.amdhsa_system_sgpr_workgroup_info 0
		.amdhsa_system_vgpr_workitem_id 0
		.amdhsa_next_free_vgpr 1
		.amdhsa_next_free_sgpr 0
		.amdhsa_accum_offset 4
		.amdhsa_reserve_vcc 0
		.amdhsa_float_round_mode_32 0
		.amdhsa_float_round_mode_16_64 0
		.amdhsa_float_denorm_mode_32 3
		.amdhsa_float_denorm_mode_16_64 3
		.amdhsa_dx10_clamp 1
		.amdhsa_ieee_mode 1
		.amdhsa_fp16_overflow 0
		.amdhsa_tg_split 0
		.amdhsa_exception_fp_ieee_invalid_op 0
		.amdhsa_exception_fp_denorm_src 0
		.amdhsa_exception_fp_ieee_div_zero 0
		.amdhsa_exception_fp_ieee_overflow 0
		.amdhsa_exception_fp_ieee_underflow 0
		.amdhsa_exception_fp_ieee_inexact 0
		.amdhsa_exception_int_div_zero 0
	.end_amdhsa_kernel
	.section	.text._ZN7rocprim17ROCPRIM_400000_NS6detail17trampoline_kernelINS0_14default_configENS1_38merge_sort_block_merge_config_selectorIiiEEZZNS1_27merge_sort_block_merge_implIS3_N6thrust23THRUST_200600_302600_NS6detail15normal_iteratorINS8_10device_ptrIiEEEESD_jNS1_19radix_merge_compareILb0ELb1EiNS0_19identity_decomposerEEEEE10hipError_tT0_T1_T2_jT3_P12ihipStream_tbPNSt15iterator_traitsISI_E10value_typeEPNSO_ISJ_E10value_typeEPSK_NS1_7vsmem_tEENKUlT_SI_SJ_SK_E_clIPiSD_S10_SD_EESH_SX_SI_SJ_SK_EUlSX_E_NS1_11comp_targetILNS1_3genE5ELNS1_11target_archE942ELNS1_3gpuE9ELNS1_3repE0EEENS1_48merge_mergepath_partition_config_static_selectorELNS0_4arch9wavefront6targetE1EEEvSJ_,"axG",@progbits,_ZN7rocprim17ROCPRIM_400000_NS6detail17trampoline_kernelINS0_14default_configENS1_38merge_sort_block_merge_config_selectorIiiEEZZNS1_27merge_sort_block_merge_implIS3_N6thrust23THRUST_200600_302600_NS6detail15normal_iteratorINS8_10device_ptrIiEEEESD_jNS1_19radix_merge_compareILb0ELb1EiNS0_19identity_decomposerEEEEE10hipError_tT0_T1_T2_jT3_P12ihipStream_tbPNSt15iterator_traitsISI_E10value_typeEPNSO_ISJ_E10value_typeEPSK_NS1_7vsmem_tEENKUlT_SI_SJ_SK_E_clIPiSD_S10_SD_EESH_SX_SI_SJ_SK_EUlSX_E_NS1_11comp_targetILNS1_3genE5ELNS1_11target_archE942ELNS1_3gpuE9ELNS1_3repE0EEENS1_48merge_mergepath_partition_config_static_selectorELNS0_4arch9wavefront6targetE1EEEvSJ_,comdat
.Lfunc_end1346:
	.size	_ZN7rocprim17ROCPRIM_400000_NS6detail17trampoline_kernelINS0_14default_configENS1_38merge_sort_block_merge_config_selectorIiiEEZZNS1_27merge_sort_block_merge_implIS3_N6thrust23THRUST_200600_302600_NS6detail15normal_iteratorINS8_10device_ptrIiEEEESD_jNS1_19radix_merge_compareILb0ELb1EiNS0_19identity_decomposerEEEEE10hipError_tT0_T1_T2_jT3_P12ihipStream_tbPNSt15iterator_traitsISI_E10value_typeEPNSO_ISJ_E10value_typeEPSK_NS1_7vsmem_tEENKUlT_SI_SJ_SK_E_clIPiSD_S10_SD_EESH_SX_SI_SJ_SK_EUlSX_E_NS1_11comp_targetILNS1_3genE5ELNS1_11target_archE942ELNS1_3gpuE9ELNS1_3repE0EEENS1_48merge_mergepath_partition_config_static_selectorELNS0_4arch9wavefront6targetE1EEEvSJ_, .Lfunc_end1346-_ZN7rocprim17ROCPRIM_400000_NS6detail17trampoline_kernelINS0_14default_configENS1_38merge_sort_block_merge_config_selectorIiiEEZZNS1_27merge_sort_block_merge_implIS3_N6thrust23THRUST_200600_302600_NS6detail15normal_iteratorINS8_10device_ptrIiEEEESD_jNS1_19radix_merge_compareILb0ELb1EiNS0_19identity_decomposerEEEEE10hipError_tT0_T1_T2_jT3_P12ihipStream_tbPNSt15iterator_traitsISI_E10value_typeEPNSO_ISJ_E10value_typeEPSK_NS1_7vsmem_tEENKUlT_SI_SJ_SK_E_clIPiSD_S10_SD_EESH_SX_SI_SJ_SK_EUlSX_E_NS1_11comp_targetILNS1_3genE5ELNS1_11target_archE942ELNS1_3gpuE9ELNS1_3repE0EEENS1_48merge_mergepath_partition_config_static_selectorELNS0_4arch9wavefront6targetE1EEEvSJ_
                                        ; -- End function
	.set _ZN7rocprim17ROCPRIM_400000_NS6detail17trampoline_kernelINS0_14default_configENS1_38merge_sort_block_merge_config_selectorIiiEEZZNS1_27merge_sort_block_merge_implIS3_N6thrust23THRUST_200600_302600_NS6detail15normal_iteratorINS8_10device_ptrIiEEEESD_jNS1_19radix_merge_compareILb0ELb1EiNS0_19identity_decomposerEEEEE10hipError_tT0_T1_T2_jT3_P12ihipStream_tbPNSt15iterator_traitsISI_E10value_typeEPNSO_ISJ_E10value_typeEPSK_NS1_7vsmem_tEENKUlT_SI_SJ_SK_E_clIPiSD_S10_SD_EESH_SX_SI_SJ_SK_EUlSX_E_NS1_11comp_targetILNS1_3genE5ELNS1_11target_archE942ELNS1_3gpuE9ELNS1_3repE0EEENS1_48merge_mergepath_partition_config_static_selectorELNS0_4arch9wavefront6targetE1EEEvSJ_.num_vgpr, 0
	.set _ZN7rocprim17ROCPRIM_400000_NS6detail17trampoline_kernelINS0_14default_configENS1_38merge_sort_block_merge_config_selectorIiiEEZZNS1_27merge_sort_block_merge_implIS3_N6thrust23THRUST_200600_302600_NS6detail15normal_iteratorINS8_10device_ptrIiEEEESD_jNS1_19radix_merge_compareILb0ELb1EiNS0_19identity_decomposerEEEEE10hipError_tT0_T1_T2_jT3_P12ihipStream_tbPNSt15iterator_traitsISI_E10value_typeEPNSO_ISJ_E10value_typeEPSK_NS1_7vsmem_tEENKUlT_SI_SJ_SK_E_clIPiSD_S10_SD_EESH_SX_SI_SJ_SK_EUlSX_E_NS1_11comp_targetILNS1_3genE5ELNS1_11target_archE942ELNS1_3gpuE9ELNS1_3repE0EEENS1_48merge_mergepath_partition_config_static_selectorELNS0_4arch9wavefront6targetE1EEEvSJ_.num_agpr, 0
	.set _ZN7rocprim17ROCPRIM_400000_NS6detail17trampoline_kernelINS0_14default_configENS1_38merge_sort_block_merge_config_selectorIiiEEZZNS1_27merge_sort_block_merge_implIS3_N6thrust23THRUST_200600_302600_NS6detail15normal_iteratorINS8_10device_ptrIiEEEESD_jNS1_19radix_merge_compareILb0ELb1EiNS0_19identity_decomposerEEEEE10hipError_tT0_T1_T2_jT3_P12ihipStream_tbPNSt15iterator_traitsISI_E10value_typeEPNSO_ISJ_E10value_typeEPSK_NS1_7vsmem_tEENKUlT_SI_SJ_SK_E_clIPiSD_S10_SD_EESH_SX_SI_SJ_SK_EUlSX_E_NS1_11comp_targetILNS1_3genE5ELNS1_11target_archE942ELNS1_3gpuE9ELNS1_3repE0EEENS1_48merge_mergepath_partition_config_static_selectorELNS0_4arch9wavefront6targetE1EEEvSJ_.numbered_sgpr, 0
	.set _ZN7rocprim17ROCPRIM_400000_NS6detail17trampoline_kernelINS0_14default_configENS1_38merge_sort_block_merge_config_selectorIiiEEZZNS1_27merge_sort_block_merge_implIS3_N6thrust23THRUST_200600_302600_NS6detail15normal_iteratorINS8_10device_ptrIiEEEESD_jNS1_19radix_merge_compareILb0ELb1EiNS0_19identity_decomposerEEEEE10hipError_tT0_T1_T2_jT3_P12ihipStream_tbPNSt15iterator_traitsISI_E10value_typeEPNSO_ISJ_E10value_typeEPSK_NS1_7vsmem_tEENKUlT_SI_SJ_SK_E_clIPiSD_S10_SD_EESH_SX_SI_SJ_SK_EUlSX_E_NS1_11comp_targetILNS1_3genE5ELNS1_11target_archE942ELNS1_3gpuE9ELNS1_3repE0EEENS1_48merge_mergepath_partition_config_static_selectorELNS0_4arch9wavefront6targetE1EEEvSJ_.num_named_barrier, 0
	.set _ZN7rocprim17ROCPRIM_400000_NS6detail17trampoline_kernelINS0_14default_configENS1_38merge_sort_block_merge_config_selectorIiiEEZZNS1_27merge_sort_block_merge_implIS3_N6thrust23THRUST_200600_302600_NS6detail15normal_iteratorINS8_10device_ptrIiEEEESD_jNS1_19radix_merge_compareILb0ELb1EiNS0_19identity_decomposerEEEEE10hipError_tT0_T1_T2_jT3_P12ihipStream_tbPNSt15iterator_traitsISI_E10value_typeEPNSO_ISJ_E10value_typeEPSK_NS1_7vsmem_tEENKUlT_SI_SJ_SK_E_clIPiSD_S10_SD_EESH_SX_SI_SJ_SK_EUlSX_E_NS1_11comp_targetILNS1_3genE5ELNS1_11target_archE942ELNS1_3gpuE9ELNS1_3repE0EEENS1_48merge_mergepath_partition_config_static_selectorELNS0_4arch9wavefront6targetE1EEEvSJ_.private_seg_size, 0
	.set _ZN7rocprim17ROCPRIM_400000_NS6detail17trampoline_kernelINS0_14default_configENS1_38merge_sort_block_merge_config_selectorIiiEEZZNS1_27merge_sort_block_merge_implIS3_N6thrust23THRUST_200600_302600_NS6detail15normal_iteratorINS8_10device_ptrIiEEEESD_jNS1_19radix_merge_compareILb0ELb1EiNS0_19identity_decomposerEEEEE10hipError_tT0_T1_T2_jT3_P12ihipStream_tbPNSt15iterator_traitsISI_E10value_typeEPNSO_ISJ_E10value_typeEPSK_NS1_7vsmem_tEENKUlT_SI_SJ_SK_E_clIPiSD_S10_SD_EESH_SX_SI_SJ_SK_EUlSX_E_NS1_11comp_targetILNS1_3genE5ELNS1_11target_archE942ELNS1_3gpuE9ELNS1_3repE0EEENS1_48merge_mergepath_partition_config_static_selectorELNS0_4arch9wavefront6targetE1EEEvSJ_.uses_vcc, 0
	.set _ZN7rocprim17ROCPRIM_400000_NS6detail17trampoline_kernelINS0_14default_configENS1_38merge_sort_block_merge_config_selectorIiiEEZZNS1_27merge_sort_block_merge_implIS3_N6thrust23THRUST_200600_302600_NS6detail15normal_iteratorINS8_10device_ptrIiEEEESD_jNS1_19radix_merge_compareILb0ELb1EiNS0_19identity_decomposerEEEEE10hipError_tT0_T1_T2_jT3_P12ihipStream_tbPNSt15iterator_traitsISI_E10value_typeEPNSO_ISJ_E10value_typeEPSK_NS1_7vsmem_tEENKUlT_SI_SJ_SK_E_clIPiSD_S10_SD_EESH_SX_SI_SJ_SK_EUlSX_E_NS1_11comp_targetILNS1_3genE5ELNS1_11target_archE942ELNS1_3gpuE9ELNS1_3repE0EEENS1_48merge_mergepath_partition_config_static_selectorELNS0_4arch9wavefront6targetE1EEEvSJ_.uses_flat_scratch, 0
	.set _ZN7rocprim17ROCPRIM_400000_NS6detail17trampoline_kernelINS0_14default_configENS1_38merge_sort_block_merge_config_selectorIiiEEZZNS1_27merge_sort_block_merge_implIS3_N6thrust23THRUST_200600_302600_NS6detail15normal_iteratorINS8_10device_ptrIiEEEESD_jNS1_19radix_merge_compareILb0ELb1EiNS0_19identity_decomposerEEEEE10hipError_tT0_T1_T2_jT3_P12ihipStream_tbPNSt15iterator_traitsISI_E10value_typeEPNSO_ISJ_E10value_typeEPSK_NS1_7vsmem_tEENKUlT_SI_SJ_SK_E_clIPiSD_S10_SD_EESH_SX_SI_SJ_SK_EUlSX_E_NS1_11comp_targetILNS1_3genE5ELNS1_11target_archE942ELNS1_3gpuE9ELNS1_3repE0EEENS1_48merge_mergepath_partition_config_static_selectorELNS0_4arch9wavefront6targetE1EEEvSJ_.has_dyn_sized_stack, 0
	.set _ZN7rocprim17ROCPRIM_400000_NS6detail17trampoline_kernelINS0_14default_configENS1_38merge_sort_block_merge_config_selectorIiiEEZZNS1_27merge_sort_block_merge_implIS3_N6thrust23THRUST_200600_302600_NS6detail15normal_iteratorINS8_10device_ptrIiEEEESD_jNS1_19radix_merge_compareILb0ELb1EiNS0_19identity_decomposerEEEEE10hipError_tT0_T1_T2_jT3_P12ihipStream_tbPNSt15iterator_traitsISI_E10value_typeEPNSO_ISJ_E10value_typeEPSK_NS1_7vsmem_tEENKUlT_SI_SJ_SK_E_clIPiSD_S10_SD_EESH_SX_SI_SJ_SK_EUlSX_E_NS1_11comp_targetILNS1_3genE5ELNS1_11target_archE942ELNS1_3gpuE9ELNS1_3repE0EEENS1_48merge_mergepath_partition_config_static_selectorELNS0_4arch9wavefront6targetE1EEEvSJ_.has_recursion, 0
	.set _ZN7rocprim17ROCPRIM_400000_NS6detail17trampoline_kernelINS0_14default_configENS1_38merge_sort_block_merge_config_selectorIiiEEZZNS1_27merge_sort_block_merge_implIS3_N6thrust23THRUST_200600_302600_NS6detail15normal_iteratorINS8_10device_ptrIiEEEESD_jNS1_19radix_merge_compareILb0ELb1EiNS0_19identity_decomposerEEEEE10hipError_tT0_T1_T2_jT3_P12ihipStream_tbPNSt15iterator_traitsISI_E10value_typeEPNSO_ISJ_E10value_typeEPSK_NS1_7vsmem_tEENKUlT_SI_SJ_SK_E_clIPiSD_S10_SD_EESH_SX_SI_SJ_SK_EUlSX_E_NS1_11comp_targetILNS1_3genE5ELNS1_11target_archE942ELNS1_3gpuE9ELNS1_3repE0EEENS1_48merge_mergepath_partition_config_static_selectorELNS0_4arch9wavefront6targetE1EEEvSJ_.has_indirect_call, 0
	.section	.AMDGPU.csdata,"",@progbits
; Kernel info:
; codeLenInByte = 0
; TotalNumSgprs: 6
; NumVgprs: 0
; NumAgprs: 0
; TotalNumVgprs: 0
; ScratchSize: 0
; MemoryBound: 0
; FloatMode: 240
; IeeeMode: 1
; LDSByteSize: 0 bytes/workgroup (compile time only)
; SGPRBlocks: 0
; VGPRBlocks: 0
; NumSGPRsForWavesPerEU: 6
; NumVGPRsForWavesPerEU: 1
; AccumOffset: 4
; Occupancy: 8
; WaveLimiterHint : 0
; COMPUTE_PGM_RSRC2:SCRATCH_EN: 0
; COMPUTE_PGM_RSRC2:USER_SGPR: 2
; COMPUTE_PGM_RSRC2:TRAP_HANDLER: 0
; COMPUTE_PGM_RSRC2:TGID_X_EN: 1
; COMPUTE_PGM_RSRC2:TGID_Y_EN: 0
; COMPUTE_PGM_RSRC2:TGID_Z_EN: 0
; COMPUTE_PGM_RSRC2:TIDIG_COMP_CNT: 0
; COMPUTE_PGM_RSRC3_GFX90A:ACCUM_OFFSET: 0
; COMPUTE_PGM_RSRC3_GFX90A:TG_SPLIT: 0
	.section	.text._ZN7rocprim17ROCPRIM_400000_NS6detail17trampoline_kernelINS0_14default_configENS1_38merge_sort_block_merge_config_selectorIiiEEZZNS1_27merge_sort_block_merge_implIS3_N6thrust23THRUST_200600_302600_NS6detail15normal_iteratorINS8_10device_ptrIiEEEESD_jNS1_19radix_merge_compareILb0ELb1EiNS0_19identity_decomposerEEEEE10hipError_tT0_T1_T2_jT3_P12ihipStream_tbPNSt15iterator_traitsISI_E10value_typeEPNSO_ISJ_E10value_typeEPSK_NS1_7vsmem_tEENKUlT_SI_SJ_SK_E_clIPiSD_S10_SD_EESH_SX_SI_SJ_SK_EUlSX_E_NS1_11comp_targetILNS1_3genE4ELNS1_11target_archE910ELNS1_3gpuE8ELNS1_3repE0EEENS1_48merge_mergepath_partition_config_static_selectorELNS0_4arch9wavefront6targetE1EEEvSJ_,"axG",@progbits,_ZN7rocprim17ROCPRIM_400000_NS6detail17trampoline_kernelINS0_14default_configENS1_38merge_sort_block_merge_config_selectorIiiEEZZNS1_27merge_sort_block_merge_implIS3_N6thrust23THRUST_200600_302600_NS6detail15normal_iteratorINS8_10device_ptrIiEEEESD_jNS1_19radix_merge_compareILb0ELb1EiNS0_19identity_decomposerEEEEE10hipError_tT0_T1_T2_jT3_P12ihipStream_tbPNSt15iterator_traitsISI_E10value_typeEPNSO_ISJ_E10value_typeEPSK_NS1_7vsmem_tEENKUlT_SI_SJ_SK_E_clIPiSD_S10_SD_EESH_SX_SI_SJ_SK_EUlSX_E_NS1_11comp_targetILNS1_3genE4ELNS1_11target_archE910ELNS1_3gpuE8ELNS1_3repE0EEENS1_48merge_mergepath_partition_config_static_selectorELNS0_4arch9wavefront6targetE1EEEvSJ_,comdat
	.protected	_ZN7rocprim17ROCPRIM_400000_NS6detail17trampoline_kernelINS0_14default_configENS1_38merge_sort_block_merge_config_selectorIiiEEZZNS1_27merge_sort_block_merge_implIS3_N6thrust23THRUST_200600_302600_NS6detail15normal_iteratorINS8_10device_ptrIiEEEESD_jNS1_19radix_merge_compareILb0ELb1EiNS0_19identity_decomposerEEEEE10hipError_tT0_T1_T2_jT3_P12ihipStream_tbPNSt15iterator_traitsISI_E10value_typeEPNSO_ISJ_E10value_typeEPSK_NS1_7vsmem_tEENKUlT_SI_SJ_SK_E_clIPiSD_S10_SD_EESH_SX_SI_SJ_SK_EUlSX_E_NS1_11comp_targetILNS1_3genE4ELNS1_11target_archE910ELNS1_3gpuE8ELNS1_3repE0EEENS1_48merge_mergepath_partition_config_static_selectorELNS0_4arch9wavefront6targetE1EEEvSJ_ ; -- Begin function _ZN7rocprim17ROCPRIM_400000_NS6detail17trampoline_kernelINS0_14default_configENS1_38merge_sort_block_merge_config_selectorIiiEEZZNS1_27merge_sort_block_merge_implIS3_N6thrust23THRUST_200600_302600_NS6detail15normal_iteratorINS8_10device_ptrIiEEEESD_jNS1_19radix_merge_compareILb0ELb1EiNS0_19identity_decomposerEEEEE10hipError_tT0_T1_T2_jT3_P12ihipStream_tbPNSt15iterator_traitsISI_E10value_typeEPNSO_ISJ_E10value_typeEPSK_NS1_7vsmem_tEENKUlT_SI_SJ_SK_E_clIPiSD_S10_SD_EESH_SX_SI_SJ_SK_EUlSX_E_NS1_11comp_targetILNS1_3genE4ELNS1_11target_archE910ELNS1_3gpuE8ELNS1_3repE0EEENS1_48merge_mergepath_partition_config_static_selectorELNS0_4arch9wavefront6targetE1EEEvSJ_
	.globl	_ZN7rocprim17ROCPRIM_400000_NS6detail17trampoline_kernelINS0_14default_configENS1_38merge_sort_block_merge_config_selectorIiiEEZZNS1_27merge_sort_block_merge_implIS3_N6thrust23THRUST_200600_302600_NS6detail15normal_iteratorINS8_10device_ptrIiEEEESD_jNS1_19radix_merge_compareILb0ELb1EiNS0_19identity_decomposerEEEEE10hipError_tT0_T1_T2_jT3_P12ihipStream_tbPNSt15iterator_traitsISI_E10value_typeEPNSO_ISJ_E10value_typeEPSK_NS1_7vsmem_tEENKUlT_SI_SJ_SK_E_clIPiSD_S10_SD_EESH_SX_SI_SJ_SK_EUlSX_E_NS1_11comp_targetILNS1_3genE4ELNS1_11target_archE910ELNS1_3gpuE8ELNS1_3repE0EEENS1_48merge_mergepath_partition_config_static_selectorELNS0_4arch9wavefront6targetE1EEEvSJ_
	.p2align	8
	.type	_ZN7rocprim17ROCPRIM_400000_NS6detail17trampoline_kernelINS0_14default_configENS1_38merge_sort_block_merge_config_selectorIiiEEZZNS1_27merge_sort_block_merge_implIS3_N6thrust23THRUST_200600_302600_NS6detail15normal_iteratorINS8_10device_ptrIiEEEESD_jNS1_19radix_merge_compareILb0ELb1EiNS0_19identity_decomposerEEEEE10hipError_tT0_T1_T2_jT3_P12ihipStream_tbPNSt15iterator_traitsISI_E10value_typeEPNSO_ISJ_E10value_typeEPSK_NS1_7vsmem_tEENKUlT_SI_SJ_SK_E_clIPiSD_S10_SD_EESH_SX_SI_SJ_SK_EUlSX_E_NS1_11comp_targetILNS1_3genE4ELNS1_11target_archE910ELNS1_3gpuE8ELNS1_3repE0EEENS1_48merge_mergepath_partition_config_static_selectorELNS0_4arch9wavefront6targetE1EEEvSJ_,@function
_ZN7rocprim17ROCPRIM_400000_NS6detail17trampoline_kernelINS0_14default_configENS1_38merge_sort_block_merge_config_selectorIiiEEZZNS1_27merge_sort_block_merge_implIS3_N6thrust23THRUST_200600_302600_NS6detail15normal_iteratorINS8_10device_ptrIiEEEESD_jNS1_19radix_merge_compareILb0ELb1EiNS0_19identity_decomposerEEEEE10hipError_tT0_T1_T2_jT3_P12ihipStream_tbPNSt15iterator_traitsISI_E10value_typeEPNSO_ISJ_E10value_typeEPSK_NS1_7vsmem_tEENKUlT_SI_SJ_SK_E_clIPiSD_S10_SD_EESH_SX_SI_SJ_SK_EUlSX_E_NS1_11comp_targetILNS1_3genE4ELNS1_11target_archE910ELNS1_3gpuE8ELNS1_3repE0EEENS1_48merge_mergepath_partition_config_static_selectorELNS0_4arch9wavefront6targetE1EEEvSJ_: ; @_ZN7rocprim17ROCPRIM_400000_NS6detail17trampoline_kernelINS0_14default_configENS1_38merge_sort_block_merge_config_selectorIiiEEZZNS1_27merge_sort_block_merge_implIS3_N6thrust23THRUST_200600_302600_NS6detail15normal_iteratorINS8_10device_ptrIiEEEESD_jNS1_19radix_merge_compareILb0ELb1EiNS0_19identity_decomposerEEEEE10hipError_tT0_T1_T2_jT3_P12ihipStream_tbPNSt15iterator_traitsISI_E10value_typeEPNSO_ISJ_E10value_typeEPSK_NS1_7vsmem_tEENKUlT_SI_SJ_SK_E_clIPiSD_S10_SD_EESH_SX_SI_SJ_SK_EUlSX_E_NS1_11comp_targetILNS1_3genE4ELNS1_11target_archE910ELNS1_3gpuE8ELNS1_3repE0EEENS1_48merge_mergepath_partition_config_static_selectorELNS0_4arch9wavefront6targetE1EEEvSJ_
; %bb.0:
	.section	.rodata,"a",@progbits
	.p2align	6, 0x0
	.amdhsa_kernel _ZN7rocprim17ROCPRIM_400000_NS6detail17trampoline_kernelINS0_14default_configENS1_38merge_sort_block_merge_config_selectorIiiEEZZNS1_27merge_sort_block_merge_implIS3_N6thrust23THRUST_200600_302600_NS6detail15normal_iteratorINS8_10device_ptrIiEEEESD_jNS1_19radix_merge_compareILb0ELb1EiNS0_19identity_decomposerEEEEE10hipError_tT0_T1_T2_jT3_P12ihipStream_tbPNSt15iterator_traitsISI_E10value_typeEPNSO_ISJ_E10value_typeEPSK_NS1_7vsmem_tEENKUlT_SI_SJ_SK_E_clIPiSD_S10_SD_EESH_SX_SI_SJ_SK_EUlSX_E_NS1_11comp_targetILNS1_3genE4ELNS1_11target_archE910ELNS1_3gpuE8ELNS1_3repE0EEENS1_48merge_mergepath_partition_config_static_selectorELNS0_4arch9wavefront6targetE1EEEvSJ_
		.amdhsa_group_segment_fixed_size 0
		.amdhsa_private_segment_fixed_size 0
		.amdhsa_kernarg_size 40
		.amdhsa_user_sgpr_count 2
		.amdhsa_user_sgpr_dispatch_ptr 0
		.amdhsa_user_sgpr_queue_ptr 0
		.amdhsa_user_sgpr_kernarg_segment_ptr 1
		.amdhsa_user_sgpr_dispatch_id 0
		.amdhsa_user_sgpr_kernarg_preload_length 0
		.amdhsa_user_sgpr_kernarg_preload_offset 0
		.amdhsa_user_sgpr_private_segment_size 0
		.amdhsa_uses_dynamic_stack 0
		.amdhsa_enable_private_segment 0
		.amdhsa_system_sgpr_workgroup_id_x 1
		.amdhsa_system_sgpr_workgroup_id_y 0
		.amdhsa_system_sgpr_workgroup_id_z 0
		.amdhsa_system_sgpr_workgroup_info 0
		.amdhsa_system_vgpr_workitem_id 0
		.amdhsa_next_free_vgpr 1
		.amdhsa_next_free_sgpr 0
		.amdhsa_accum_offset 4
		.amdhsa_reserve_vcc 0
		.amdhsa_float_round_mode_32 0
		.amdhsa_float_round_mode_16_64 0
		.amdhsa_float_denorm_mode_32 3
		.amdhsa_float_denorm_mode_16_64 3
		.amdhsa_dx10_clamp 1
		.amdhsa_ieee_mode 1
		.amdhsa_fp16_overflow 0
		.amdhsa_tg_split 0
		.amdhsa_exception_fp_ieee_invalid_op 0
		.amdhsa_exception_fp_denorm_src 0
		.amdhsa_exception_fp_ieee_div_zero 0
		.amdhsa_exception_fp_ieee_overflow 0
		.amdhsa_exception_fp_ieee_underflow 0
		.amdhsa_exception_fp_ieee_inexact 0
		.amdhsa_exception_int_div_zero 0
	.end_amdhsa_kernel
	.section	.text._ZN7rocprim17ROCPRIM_400000_NS6detail17trampoline_kernelINS0_14default_configENS1_38merge_sort_block_merge_config_selectorIiiEEZZNS1_27merge_sort_block_merge_implIS3_N6thrust23THRUST_200600_302600_NS6detail15normal_iteratorINS8_10device_ptrIiEEEESD_jNS1_19radix_merge_compareILb0ELb1EiNS0_19identity_decomposerEEEEE10hipError_tT0_T1_T2_jT3_P12ihipStream_tbPNSt15iterator_traitsISI_E10value_typeEPNSO_ISJ_E10value_typeEPSK_NS1_7vsmem_tEENKUlT_SI_SJ_SK_E_clIPiSD_S10_SD_EESH_SX_SI_SJ_SK_EUlSX_E_NS1_11comp_targetILNS1_3genE4ELNS1_11target_archE910ELNS1_3gpuE8ELNS1_3repE0EEENS1_48merge_mergepath_partition_config_static_selectorELNS0_4arch9wavefront6targetE1EEEvSJ_,"axG",@progbits,_ZN7rocprim17ROCPRIM_400000_NS6detail17trampoline_kernelINS0_14default_configENS1_38merge_sort_block_merge_config_selectorIiiEEZZNS1_27merge_sort_block_merge_implIS3_N6thrust23THRUST_200600_302600_NS6detail15normal_iteratorINS8_10device_ptrIiEEEESD_jNS1_19radix_merge_compareILb0ELb1EiNS0_19identity_decomposerEEEEE10hipError_tT0_T1_T2_jT3_P12ihipStream_tbPNSt15iterator_traitsISI_E10value_typeEPNSO_ISJ_E10value_typeEPSK_NS1_7vsmem_tEENKUlT_SI_SJ_SK_E_clIPiSD_S10_SD_EESH_SX_SI_SJ_SK_EUlSX_E_NS1_11comp_targetILNS1_3genE4ELNS1_11target_archE910ELNS1_3gpuE8ELNS1_3repE0EEENS1_48merge_mergepath_partition_config_static_selectorELNS0_4arch9wavefront6targetE1EEEvSJ_,comdat
.Lfunc_end1347:
	.size	_ZN7rocprim17ROCPRIM_400000_NS6detail17trampoline_kernelINS0_14default_configENS1_38merge_sort_block_merge_config_selectorIiiEEZZNS1_27merge_sort_block_merge_implIS3_N6thrust23THRUST_200600_302600_NS6detail15normal_iteratorINS8_10device_ptrIiEEEESD_jNS1_19radix_merge_compareILb0ELb1EiNS0_19identity_decomposerEEEEE10hipError_tT0_T1_T2_jT3_P12ihipStream_tbPNSt15iterator_traitsISI_E10value_typeEPNSO_ISJ_E10value_typeEPSK_NS1_7vsmem_tEENKUlT_SI_SJ_SK_E_clIPiSD_S10_SD_EESH_SX_SI_SJ_SK_EUlSX_E_NS1_11comp_targetILNS1_3genE4ELNS1_11target_archE910ELNS1_3gpuE8ELNS1_3repE0EEENS1_48merge_mergepath_partition_config_static_selectorELNS0_4arch9wavefront6targetE1EEEvSJ_, .Lfunc_end1347-_ZN7rocprim17ROCPRIM_400000_NS6detail17trampoline_kernelINS0_14default_configENS1_38merge_sort_block_merge_config_selectorIiiEEZZNS1_27merge_sort_block_merge_implIS3_N6thrust23THRUST_200600_302600_NS6detail15normal_iteratorINS8_10device_ptrIiEEEESD_jNS1_19radix_merge_compareILb0ELb1EiNS0_19identity_decomposerEEEEE10hipError_tT0_T1_T2_jT3_P12ihipStream_tbPNSt15iterator_traitsISI_E10value_typeEPNSO_ISJ_E10value_typeEPSK_NS1_7vsmem_tEENKUlT_SI_SJ_SK_E_clIPiSD_S10_SD_EESH_SX_SI_SJ_SK_EUlSX_E_NS1_11comp_targetILNS1_3genE4ELNS1_11target_archE910ELNS1_3gpuE8ELNS1_3repE0EEENS1_48merge_mergepath_partition_config_static_selectorELNS0_4arch9wavefront6targetE1EEEvSJ_
                                        ; -- End function
	.set _ZN7rocprim17ROCPRIM_400000_NS6detail17trampoline_kernelINS0_14default_configENS1_38merge_sort_block_merge_config_selectorIiiEEZZNS1_27merge_sort_block_merge_implIS3_N6thrust23THRUST_200600_302600_NS6detail15normal_iteratorINS8_10device_ptrIiEEEESD_jNS1_19radix_merge_compareILb0ELb1EiNS0_19identity_decomposerEEEEE10hipError_tT0_T1_T2_jT3_P12ihipStream_tbPNSt15iterator_traitsISI_E10value_typeEPNSO_ISJ_E10value_typeEPSK_NS1_7vsmem_tEENKUlT_SI_SJ_SK_E_clIPiSD_S10_SD_EESH_SX_SI_SJ_SK_EUlSX_E_NS1_11comp_targetILNS1_3genE4ELNS1_11target_archE910ELNS1_3gpuE8ELNS1_3repE0EEENS1_48merge_mergepath_partition_config_static_selectorELNS0_4arch9wavefront6targetE1EEEvSJ_.num_vgpr, 0
	.set _ZN7rocprim17ROCPRIM_400000_NS6detail17trampoline_kernelINS0_14default_configENS1_38merge_sort_block_merge_config_selectorIiiEEZZNS1_27merge_sort_block_merge_implIS3_N6thrust23THRUST_200600_302600_NS6detail15normal_iteratorINS8_10device_ptrIiEEEESD_jNS1_19radix_merge_compareILb0ELb1EiNS0_19identity_decomposerEEEEE10hipError_tT0_T1_T2_jT3_P12ihipStream_tbPNSt15iterator_traitsISI_E10value_typeEPNSO_ISJ_E10value_typeEPSK_NS1_7vsmem_tEENKUlT_SI_SJ_SK_E_clIPiSD_S10_SD_EESH_SX_SI_SJ_SK_EUlSX_E_NS1_11comp_targetILNS1_3genE4ELNS1_11target_archE910ELNS1_3gpuE8ELNS1_3repE0EEENS1_48merge_mergepath_partition_config_static_selectorELNS0_4arch9wavefront6targetE1EEEvSJ_.num_agpr, 0
	.set _ZN7rocprim17ROCPRIM_400000_NS6detail17trampoline_kernelINS0_14default_configENS1_38merge_sort_block_merge_config_selectorIiiEEZZNS1_27merge_sort_block_merge_implIS3_N6thrust23THRUST_200600_302600_NS6detail15normal_iteratorINS8_10device_ptrIiEEEESD_jNS1_19radix_merge_compareILb0ELb1EiNS0_19identity_decomposerEEEEE10hipError_tT0_T1_T2_jT3_P12ihipStream_tbPNSt15iterator_traitsISI_E10value_typeEPNSO_ISJ_E10value_typeEPSK_NS1_7vsmem_tEENKUlT_SI_SJ_SK_E_clIPiSD_S10_SD_EESH_SX_SI_SJ_SK_EUlSX_E_NS1_11comp_targetILNS1_3genE4ELNS1_11target_archE910ELNS1_3gpuE8ELNS1_3repE0EEENS1_48merge_mergepath_partition_config_static_selectorELNS0_4arch9wavefront6targetE1EEEvSJ_.numbered_sgpr, 0
	.set _ZN7rocprim17ROCPRIM_400000_NS6detail17trampoline_kernelINS0_14default_configENS1_38merge_sort_block_merge_config_selectorIiiEEZZNS1_27merge_sort_block_merge_implIS3_N6thrust23THRUST_200600_302600_NS6detail15normal_iteratorINS8_10device_ptrIiEEEESD_jNS1_19radix_merge_compareILb0ELb1EiNS0_19identity_decomposerEEEEE10hipError_tT0_T1_T2_jT3_P12ihipStream_tbPNSt15iterator_traitsISI_E10value_typeEPNSO_ISJ_E10value_typeEPSK_NS1_7vsmem_tEENKUlT_SI_SJ_SK_E_clIPiSD_S10_SD_EESH_SX_SI_SJ_SK_EUlSX_E_NS1_11comp_targetILNS1_3genE4ELNS1_11target_archE910ELNS1_3gpuE8ELNS1_3repE0EEENS1_48merge_mergepath_partition_config_static_selectorELNS0_4arch9wavefront6targetE1EEEvSJ_.num_named_barrier, 0
	.set _ZN7rocprim17ROCPRIM_400000_NS6detail17trampoline_kernelINS0_14default_configENS1_38merge_sort_block_merge_config_selectorIiiEEZZNS1_27merge_sort_block_merge_implIS3_N6thrust23THRUST_200600_302600_NS6detail15normal_iteratorINS8_10device_ptrIiEEEESD_jNS1_19radix_merge_compareILb0ELb1EiNS0_19identity_decomposerEEEEE10hipError_tT0_T1_T2_jT3_P12ihipStream_tbPNSt15iterator_traitsISI_E10value_typeEPNSO_ISJ_E10value_typeEPSK_NS1_7vsmem_tEENKUlT_SI_SJ_SK_E_clIPiSD_S10_SD_EESH_SX_SI_SJ_SK_EUlSX_E_NS1_11comp_targetILNS1_3genE4ELNS1_11target_archE910ELNS1_3gpuE8ELNS1_3repE0EEENS1_48merge_mergepath_partition_config_static_selectorELNS0_4arch9wavefront6targetE1EEEvSJ_.private_seg_size, 0
	.set _ZN7rocprim17ROCPRIM_400000_NS6detail17trampoline_kernelINS0_14default_configENS1_38merge_sort_block_merge_config_selectorIiiEEZZNS1_27merge_sort_block_merge_implIS3_N6thrust23THRUST_200600_302600_NS6detail15normal_iteratorINS8_10device_ptrIiEEEESD_jNS1_19radix_merge_compareILb0ELb1EiNS0_19identity_decomposerEEEEE10hipError_tT0_T1_T2_jT3_P12ihipStream_tbPNSt15iterator_traitsISI_E10value_typeEPNSO_ISJ_E10value_typeEPSK_NS1_7vsmem_tEENKUlT_SI_SJ_SK_E_clIPiSD_S10_SD_EESH_SX_SI_SJ_SK_EUlSX_E_NS1_11comp_targetILNS1_3genE4ELNS1_11target_archE910ELNS1_3gpuE8ELNS1_3repE0EEENS1_48merge_mergepath_partition_config_static_selectorELNS0_4arch9wavefront6targetE1EEEvSJ_.uses_vcc, 0
	.set _ZN7rocprim17ROCPRIM_400000_NS6detail17trampoline_kernelINS0_14default_configENS1_38merge_sort_block_merge_config_selectorIiiEEZZNS1_27merge_sort_block_merge_implIS3_N6thrust23THRUST_200600_302600_NS6detail15normal_iteratorINS8_10device_ptrIiEEEESD_jNS1_19radix_merge_compareILb0ELb1EiNS0_19identity_decomposerEEEEE10hipError_tT0_T1_T2_jT3_P12ihipStream_tbPNSt15iterator_traitsISI_E10value_typeEPNSO_ISJ_E10value_typeEPSK_NS1_7vsmem_tEENKUlT_SI_SJ_SK_E_clIPiSD_S10_SD_EESH_SX_SI_SJ_SK_EUlSX_E_NS1_11comp_targetILNS1_3genE4ELNS1_11target_archE910ELNS1_3gpuE8ELNS1_3repE0EEENS1_48merge_mergepath_partition_config_static_selectorELNS0_4arch9wavefront6targetE1EEEvSJ_.uses_flat_scratch, 0
	.set _ZN7rocprim17ROCPRIM_400000_NS6detail17trampoline_kernelINS0_14default_configENS1_38merge_sort_block_merge_config_selectorIiiEEZZNS1_27merge_sort_block_merge_implIS3_N6thrust23THRUST_200600_302600_NS6detail15normal_iteratorINS8_10device_ptrIiEEEESD_jNS1_19radix_merge_compareILb0ELb1EiNS0_19identity_decomposerEEEEE10hipError_tT0_T1_T2_jT3_P12ihipStream_tbPNSt15iterator_traitsISI_E10value_typeEPNSO_ISJ_E10value_typeEPSK_NS1_7vsmem_tEENKUlT_SI_SJ_SK_E_clIPiSD_S10_SD_EESH_SX_SI_SJ_SK_EUlSX_E_NS1_11comp_targetILNS1_3genE4ELNS1_11target_archE910ELNS1_3gpuE8ELNS1_3repE0EEENS1_48merge_mergepath_partition_config_static_selectorELNS0_4arch9wavefront6targetE1EEEvSJ_.has_dyn_sized_stack, 0
	.set _ZN7rocprim17ROCPRIM_400000_NS6detail17trampoline_kernelINS0_14default_configENS1_38merge_sort_block_merge_config_selectorIiiEEZZNS1_27merge_sort_block_merge_implIS3_N6thrust23THRUST_200600_302600_NS6detail15normal_iteratorINS8_10device_ptrIiEEEESD_jNS1_19radix_merge_compareILb0ELb1EiNS0_19identity_decomposerEEEEE10hipError_tT0_T1_T2_jT3_P12ihipStream_tbPNSt15iterator_traitsISI_E10value_typeEPNSO_ISJ_E10value_typeEPSK_NS1_7vsmem_tEENKUlT_SI_SJ_SK_E_clIPiSD_S10_SD_EESH_SX_SI_SJ_SK_EUlSX_E_NS1_11comp_targetILNS1_3genE4ELNS1_11target_archE910ELNS1_3gpuE8ELNS1_3repE0EEENS1_48merge_mergepath_partition_config_static_selectorELNS0_4arch9wavefront6targetE1EEEvSJ_.has_recursion, 0
	.set _ZN7rocprim17ROCPRIM_400000_NS6detail17trampoline_kernelINS0_14default_configENS1_38merge_sort_block_merge_config_selectorIiiEEZZNS1_27merge_sort_block_merge_implIS3_N6thrust23THRUST_200600_302600_NS6detail15normal_iteratorINS8_10device_ptrIiEEEESD_jNS1_19radix_merge_compareILb0ELb1EiNS0_19identity_decomposerEEEEE10hipError_tT0_T1_T2_jT3_P12ihipStream_tbPNSt15iterator_traitsISI_E10value_typeEPNSO_ISJ_E10value_typeEPSK_NS1_7vsmem_tEENKUlT_SI_SJ_SK_E_clIPiSD_S10_SD_EESH_SX_SI_SJ_SK_EUlSX_E_NS1_11comp_targetILNS1_3genE4ELNS1_11target_archE910ELNS1_3gpuE8ELNS1_3repE0EEENS1_48merge_mergepath_partition_config_static_selectorELNS0_4arch9wavefront6targetE1EEEvSJ_.has_indirect_call, 0
	.section	.AMDGPU.csdata,"",@progbits
; Kernel info:
; codeLenInByte = 0
; TotalNumSgprs: 6
; NumVgprs: 0
; NumAgprs: 0
; TotalNumVgprs: 0
; ScratchSize: 0
; MemoryBound: 0
; FloatMode: 240
; IeeeMode: 1
; LDSByteSize: 0 bytes/workgroup (compile time only)
; SGPRBlocks: 0
; VGPRBlocks: 0
; NumSGPRsForWavesPerEU: 6
; NumVGPRsForWavesPerEU: 1
; AccumOffset: 4
; Occupancy: 8
; WaveLimiterHint : 0
; COMPUTE_PGM_RSRC2:SCRATCH_EN: 0
; COMPUTE_PGM_RSRC2:USER_SGPR: 2
; COMPUTE_PGM_RSRC2:TRAP_HANDLER: 0
; COMPUTE_PGM_RSRC2:TGID_X_EN: 1
; COMPUTE_PGM_RSRC2:TGID_Y_EN: 0
; COMPUTE_PGM_RSRC2:TGID_Z_EN: 0
; COMPUTE_PGM_RSRC2:TIDIG_COMP_CNT: 0
; COMPUTE_PGM_RSRC3_GFX90A:ACCUM_OFFSET: 0
; COMPUTE_PGM_RSRC3_GFX90A:TG_SPLIT: 0
	.section	.text._ZN7rocprim17ROCPRIM_400000_NS6detail17trampoline_kernelINS0_14default_configENS1_38merge_sort_block_merge_config_selectorIiiEEZZNS1_27merge_sort_block_merge_implIS3_N6thrust23THRUST_200600_302600_NS6detail15normal_iteratorINS8_10device_ptrIiEEEESD_jNS1_19radix_merge_compareILb0ELb1EiNS0_19identity_decomposerEEEEE10hipError_tT0_T1_T2_jT3_P12ihipStream_tbPNSt15iterator_traitsISI_E10value_typeEPNSO_ISJ_E10value_typeEPSK_NS1_7vsmem_tEENKUlT_SI_SJ_SK_E_clIPiSD_S10_SD_EESH_SX_SI_SJ_SK_EUlSX_E_NS1_11comp_targetILNS1_3genE3ELNS1_11target_archE908ELNS1_3gpuE7ELNS1_3repE0EEENS1_48merge_mergepath_partition_config_static_selectorELNS0_4arch9wavefront6targetE1EEEvSJ_,"axG",@progbits,_ZN7rocprim17ROCPRIM_400000_NS6detail17trampoline_kernelINS0_14default_configENS1_38merge_sort_block_merge_config_selectorIiiEEZZNS1_27merge_sort_block_merge_implIS3_N6thrust23THRUST_200600_302600_NS6detail15normal_iteratorINS8_10device_ptrIiEEEESD_jNS1_19radix_merge_compareILb0ELb1EiNS0_19identity_decomposerEEEEE10hipError_tT0_T1_T2_jT3_P12ihipStream_tbPNSt15iterator_traitsISI_E10value_typeEPNSO_ISJ_E10value_typeEPSK_NS1_7vsmem_tEENKUlT_SI_SJ_SK_E_clIPiSD_S10_SD_EESH_SX_SI_SJ_SK_EUlSX_E_NS1_11comp_targetILNS1_3genE3ELNS1_11target_archE908ELNS1_3gpuE7ELNS1_3repE0EEENS1_48merge_mergepath_partition_config_static_selectorELNS0_4arch9wavefront6targetE1EEEvSJ_,comdat
	.protected	_ZN7rocprim17ROCPRIM_400000_NS6detail17trampoline_kernelINS0_14default_configENS1_38merge_sort_block_merge_config_selectorIiiEEZZNS1_27merge_sort_block_merge_implIS3_N6thrust23THRUST_200600_302600_NS6detail15normal_iteratorINS8_10device_ptrIiEEEESD_jNS1_19radix_merge_compareILb0ELb1EiNS0_19identity_decomposerEEEEE10hipError_tT0_T1_T2_jT3_P12ihipStream_tbPNSt15iterator_traitsISI_E10value_typeEPNSO_ISJ_E10value_typeEPSK_NS1_7vsmem_tEENKUlT_SI_SJ_SK_E_clIPiSD_S10_SD_EESH_SX_SI_SJ_SK_EUlSX_E_NS1_11comp_targetILNS1_3genE3ELNS1_11target_archE908ELNS1_3gpuE7ELNS1_3repE0EEENS1_48merge_mergepath_partition_config_static_selectorELNS0_4arch9wavefront6targetE1EEEvSJ_ ; -- Begin function _ZN7rocprim17ROCPRIM_400000_NS6detail17trampoline_kernelINS0_14default_configENS1_38merge_sort_block_merge_config_selectorIiiEEZZNS1_27merge_sort_block_merge_implIS3_N6thrust23THRUST_200600_302600_NS6detail15normal_iteratorINS8_10device_ptrIiEEEESD_jNS1_19radix_merge_compareILb0ELb1EiNS0_19identity_decomposerEEEEE10hipError_tT0_T1_T2_jT3_P12ihipStream_tbPNSt15iterator_traitsISI_E10value_typeEPNSO_ISJ_E10value_typeEPSK_NS1_7vsmem_tEENKUlT_SI_SJ_SK_E_clIPiSD_S10_SD_EESH_SX_SI_SJ_SK_EUlSX_E_NS1_11comp_targetILNS1_3genE3ELNS1_11target_archE908ELNS1_3gpuE7ELNS1_3repE0EEENS1_48merge_mergepath_partition_config_static_selectorELNS0_4arch9wavefront6targetE1EEEvSJ_
	.globl	_ZN7rocprim17ROCPRIM_400000_NS6detail17trampoline_kernelINS0_14default_configENS1_38merge_sort_block_merge_config_selectorIiiEEZZNS1_27merge_sort_block_merge_implIS3_N6thrust23THRUST_200600_302600_NS6detail15normal_iteratorINS8_10device_ptrIiEEEESD_jNS1_19radix_merge_compareILb0ELb1EiNS0_19identity_decomposerEEEEE10hipError_tT0_T1_T2_jT3_P12ihipStream_tbPNSt15iterator_traitsISI_E10value_typeEPNSO_ISJ_E10value_typeEPSK_NS1_7vsmem_tEENKUlT_SI_SJ_SK_E_clIPiSD_S10_SD_EESH_SX_SI_SJ_SK_EUlSX_E_NS1_11comp_targetILNS1_3genE3ELNS1_11target_archE908ELNS1_3gpuE7ELNS1_3repE0EEENS1_48merge_mergepath_partition_config_static_selectorELNS0_4arch9wavefront6targetE1EEEvSJ_
	.p2align	8
	.type	_ZN7rocprim17ROCPRIM_400000_NS6detail17trampoline_kernelINS0_14default_configENS1_38merge_sort_block_merge_config_selectorIiiEEZZNS1_27merge_sort_block_merge_implIS3_N6thrust23THRUST_200600_302600_NS6detail15normal_iteratorINS8_10device_ptrIiEEEESD_jNS1_19radix_merge_compareILb0ELb1EiNS0_19identity_decomposerEEEEE10hipError_tT0_T1_T2_jT3_P12ihipStream_tbPNSt15iterator_traitsISI_E10value_typeEPNSO_ISJ_E10value_typeEPSK_NS1_7vsmem_tEENKUlT_SI_SJ_SK_E_clIPiSD_S10_SD_EESH_SX_SI_SJ_SK_EUlSX_E_NS1_11comp_targetILNS1_3genE3ELNS1_11target_archE908ELNS1_3gpuE7ELNS1_3repE0EEENS1_48merge_mergepath_partition_config_static_selectorELNS0_4arch9wavefront6targetE1EEEvSJ_,@function
_ZN7rocprim17ROCPRIM_400000_NS6detail17trampoline_kernelINS0_14default_configENS1_38merge_sort_block_merge_config_selectorIiiEEZZNS1_27merge_sort_block_merge_implIS3_N6thrust23THRUST_200600_302600_NS6detail15normal_iteratorINS8_10device_ptrIiEEEESD_jNS1_19radix_merge_compareILb0ELb1EiNS0_19identity_decomposerEEEEE10hipError_tT0_T1_T2_jT3_P12ihipStream_tbPNSt15iterator_traitsISI_E10value_typeEPNSO_ISJ_E10value_typeEPSK_NS1_7vsmem_tEENKUlT_SI_SJ_SK_E_clIPiSD_S10_SD_EESH_SX_SI_SJ_SK_EUlSX_E_NS1_11comp_targetILNS1_3genE3ELNS1_11target_archE908ELNS1_3gpuE7ELNS1_3repE0EEENS1_48merge_mergepath_partition_config_static_selectorELNS0_4arch9wavefront6targetE1EEEvSJ_: ; @_ZN7rocprim17ROCPRIM_400000_NS6detail17trampoline_kernelINS0_14default_configENS1_38merge_sort_block_merge_config_selectorIiiEEZZNS1_27merge_sort_block_merge_implIS3_N6thrust23THRUST_200600_302600_NS6detail15normal_iteratorINS8_10device_ptrIiEEEESD_jNS1_19radix_merge_compareILb0ELb1EiNS0_19identity_decomposerEEEEE10hipError_tT0_T1_T2_jT3_P12ihipStream_tbPNSt15iterator_traitsISI_E10value_typeEPNSO_ISJ_E10value_typeEPSK_NS1_7vsmem_tEENKUlT_SI_SJ_SK_E_clIPiSD_S10_SD_EESH_SX_SI_SJ_SK_EUlSX_E_NS1_11comp_targetILNS1_3genE3ELNS1_11target_archE908ELNS1_3gpuE7ELNS1_3repE0EEENS1_48merge_mergepath_partition_config_static_selectorELNS0_4arch9wavefront6targetE1EEEvSJ_
; %bb.0:
	.section	.rodata,"a",@progbits
	.p2align	6, 0x0
	.amdhsa_kernel _ZN7rocprim17ROCPRIM_400000_NS6detail17trampoline_kernelINS0_14default_configENS1_38merge_sort_block_merge_config_selectorIiiEEZZNS1_27merge_sort_block_merge_implIS3_N6thrust23THRUST_200600_302600_NS6detail15normal_iteratorINS8_10device_ptrIiEEEESD_jNS1_19radix_merge_compareILb0ELb1EiNS0_19identity_decomposerEEEEE10hipError_tT0_T1_T2_jT3_P12ihipStream_tbPNSt15iterator_traitsISI_E10value_typeEPNSO_ISJ_E10value_typeEPSK_NS1_7vsmem_tEENKUlT_SI_SJ_SK_E_clIPiSD_S10_SD_EESH_SX_SI_SJ_SK_EUlSX_E_NS1_11comp_targetILNS1_3genE3ELNS1_11target_archE908ELNS1_3gpuE7ELNS1_3repE0EEENS1_48merge_mergepath_partition_config_static_selectorELNS0_4arch9wavefront6targetE1EEEvSJ_
		.amdhsa_group_segment_fixed_size 0
		.amdhsa_private_segment_fixed_size 0
		.amdhsa_kernarg_size 40
		.amdhsa_user_sgpr_count 2
		.amdhsa_user_sgpr_dispatch_ptr 0
		.amdhsa_user_sgpr_queue_ptr 0
		.amdhsa_user_sgpr_kernarg_segment_ptr 1
		.amdhsa_user_sgpr_dispatch_id 0
		.amdhsa_user_sgpr_kernarg_preload_length 0
		.amdhsa_user_sgpr_kernarg_preload_offset 0
		.amdhsa_user_sgpr_private_segment_size 0
		.amdhsa_uses_dynamic_stack 0
		.amdhsa_enable_private_segment 0
		.amdhsa_system_sgpr_workgroup_id_x 1
		.amdhsa_system_sgpr_workgroup_id_y 0
		.amdhsa_system_sgpr_workgroup_id_z 0
		.amdhsa_system_sgpr_workgroup_info 0
		.amdhsa_system_vgpr_workitem_id 0
		.amdhsa_next_free_vgpr 1
		.amdhsa_next_free_sgpr 0
		.amdhsa_accum_offset 4
		.amdhsa_reserve_vcc 0
		.amdhsa_float_round_mode_32 0
		.amdhsa_float_round_mode_16_64 0
		.amdhsa_float_denorm_mode_32 3
		.amdhsa_float_denorm_mode_16_64 3
		.amdhsa_dx10_clamp 1
		.amdhsa_ieee_mode 1
		.amdhsa_fp16_overflow 0
		.amdhsa_tg_split 0
		.amdhsa_exception_fp_ieee_invalid_op 0
		.amdhsa_exception_fp_denorm_src 0
		.amdhsa_exception_fp_ieee_div_zero 0
		.amdhsa_exception_fp_ieee_overflow 0
		.amdhsa_exception_fp_ieee_underflow 0
		.amdhsa_exception_fp_ieee_inexact 0
		.amdhsa_exception_int_div_zero 0
	.end_amdhsa_kernel
	.section	.text._ZN7rocprim17ROCPRIM_400000_NS6detail17trampoline_kernelINS0_14default_configENS1_38merge_sort_block_merge_config_selectorIiiEEZZNS1_27merge_sort_block_merge_implIS3_N6thrust23THRUST_200600_302600_NS6detail15normal_iteratorINS8_10device_ptrIiEEEESD_jNS1_19radix_merge_compareILb0ELb1EiNS0_19identity_decomposerEEEEE10hipError_tT0_T1_T2_jT3_P12ihipStream_tbPNSt15iterator_traitsISI_E10value_typeEPNSO_ISJ_E10value_typeEPSK_NS1_7vsmem_tEENKUlT_SI_SJ_SK_E_clIPiSD_S10_SD_EESH_SX_SI_SJ_SK_EUlSX_E_NS1_11comp_targetILNS1_3genE3ELNS1_11target_archE908ELNS1_3gpuE7ELNS1_3repE0EEENS1_48merge_mergepath_partition_config_static_selectorELNS0_4arch9wavefront6targetE1EEEvSJ_,"axG",@progbits,_ZN7rocprim17ROCPRIM_400000_NS6detail17trampoline_kernelINS0_14default_configENS1_38merge_sort_block_merge_config_selectorIiiEEZZNS1_27merge_sort_block_merge_implIS3_N6thrust23THRUST_200600_302600_NS6detail15normal_iteratorINS8_10device_ptrIiEEEESD_jNS1_19radix_merge_compareILb0ELb1EiNS0_19identity_decomposerEEEEE10hipError_tT0_T1_T2_jT3_P12ihipStream_tbPNSt15iterator_traitsISI_E10value_typeEPNSO_ISJ_E10value_typeEPSK_NS1_7vsmem_tEENKUlT_SI_SJ_SK_E_clIPiSD_S10_SD_EESH_SX_SI_SJ_SK_EUlSX_E_NS1_11comp_targetILNS1_3genE3ELNS1_11target_archE908ELNS1_3gpuE7ELNS1_3repE0EEENS1_48merge_mergepath_partition_config_static_selectorELNS0_4arch9wavefront6targetE1EEEvSJ_,comdat
.Lfunc_end1348:
	.size	_ZN7rocprim17ROCPRIM_400000_NS6detail17trampoline_kernelINS0_14default_configENS1_38merge_sort_block_merge_config_selectorIiiEEZZNS1_27merge_sort_block_merge_implIS3_N6thrust23THRUST_200600_302600_NS6detail15normal_iteratorINS8_10device_ptrIiEEEESD_jNS1_19radix_merge_compareILb0ELb1EiNS0_19identity_decomposerEEEEE10hipError_tT0_T1_T2_jT3_P12ihipStream_tbPNSt15iterator_traitsISI_E10value_typeEPNSO_ISJ_E10value_typeEPSK_NS1_7vsmem_tEENKUlT_SI_SJ_SK_E_clIPiSD_S10_SD_EESH_SX_SI_SJ_SK_EUlSX_E_NS1_11comp_targetILNS1_3genE3ELNS1_11target_archE908ELNS1_3gpuE7ELNS1_3repE0EEENS1_48merge_mergepath_partition_config_static_selectorELNS0_4arch9wavefront6targetE1EEEvSJ_, .Lfunc_end1348-_ZN7rocprim17ROCPRIM_400000_NS6detail17trampoline_kernelINS0_14default_configENS1_38merge_sort_block_merge_config_selectorIiiEEZZNS1_27merge_sort_block_merge_implIS3_N6thrust23THRUST_200600_302600_NS6detail15normal_iteratorINS8_10device_ptrIiEEEESD_jNS1_19radix_merge_compareILb0ELb1EiNS0_19identity_decomposerEEEEE10hipError_tT0_T1_T2_jT3_P12ihipStream_tbPNSt15iterator_traitsISI_E10value_typeEPNSO_ISJ_E10value_typeEPSK_NS1_7vsmem_tEENKUlT_SI_SJ_SK_E_clIPiSD_S10_SD_EESH_SX_SI_SJ_SK_EUlSX_E_NS1_11comp_targetILNS1_3genE3ELNS1_11target_archE908ELNS1_3gpuE7ELNS1_3repE0EEENS1_48merge_mergepath_partition_config_static_selectorELNS0_4arch9wavefront6targetE1EEEvSJ_
                                        ; -- End function
	.set _ZN7rocprim17ROCPRIM_400000_NS6detail17trampoline_kernelINS0_14default_configENS1_38merge_sort_block_merge_config_selectorIiiEEZZNS1_27merge_sort_block_merge_implIS3_N6thrust23THRUST_200600_302600_NS6detail15normal_iteratorINS8_10device_ptrIiEEEESD_jNS1_19radix_merge_compareILb0ELb1EiNS0_19identity_decomposerEEEEE10hipError_tT0_T1_T2_jT3_P12ihipStream_tbPNSt15iterator_traitsISI_E10value_typeEPNSO_ISJ_E10value_typeEPSK_NS1_7vsmem_tEENKUlT_SI_SJ_SK_E_clIPiSD_S10_SD_EESH_SX_SI_SJ_SK_EUlSX_E_NS1_11comp_targetILNS1_3genE3ELNS1_11target_archE908ELNS1_3gpuE7ELNS1_3repE0EEENS1_48merge_mergepath_partition_config_static_selectorELNS0_4arch9wavefront6targetE1EEEvSJ_.num_vgpr, 0
	.set _ZN7rocprim17ROCPRIM_400000_NS6detail17trampoline_kernelINS0_14default_configENS1_38merge_sort_block_merge_config_selectorIiiEEZZNS1_27merge_sort_block_merge_implIS3_N6thrust23THRUST_200600_302600_NS6detail15normal_iteratorINS8_10device_ptrIiEEEESD_jNS1_19radix_merge_compareILb0ELb1EiNS0_19identity_decomposerEEEEE10hipError_tT0_T1_T2_jT3_P12ihipStream_tbPNSt15iterator_traitsISI_E10value_typeEPNSO_ISJ_E10value_typeEPSK_NS1_7vsmem_tEENKUlT_SI_SJ_SK_E_clIPiSD_S10_SD_EESH_SX_SI_SJ_SK_EUlSX_E_NS1_11comp_targetILNS1_3genE3ELNS1_11target_archE908ELNS1_3gpuE7ELNS1_3repE0EEENS1_48merge_mergepath_partition_config_static_selectorELNS0_4arch9wavefront6targetE1EEEvSJ_.num_agpr, 0
	.set _ZN7rocprim17ROCPRIM_400000_NS6detail17trampoline_kernelINS0_14default_configENS1_38merge_sort_block_merge_config_selectorIiiEEZZNS1_27merge_sort_block_merge_implIS3_N6thrust23THRUST_200600_302600_NS6detail15normal_iteratorINS8_10device_ptrIiEEEESD_jNS1_19radix_merge_compareILb0ELb1EiNS0_19identity_decomposerEEEEE10hipError_tT0_T1_T2_jT3_P12ihipStream_tbPNSt15iterator_traitsISI_E10value_typeEPNSO_ISJ_E10value_typeEPSK_NS1_7vsmem_tEENKUlT_SI_SJ_SK_E_clIPiSD_S10_SD_EESH_SX_SI_SJ_SK_EUlSX_E_NS1_11comp_targetILNS1_3genE3ELNS1_11target_archE908ELNS1_3gpuE7ELNS1_3repE0EEENS1_48merge_mergepath_partition_config_static_selectorELNS0_4arch9wavefront6targetE1EEEvSJ_.numbered_sgpr, 0
	.set _ZN7rocprim17ROCPRIM_400000_NS6detail17trampoline_kernelINS0_14default_configENS1_38merge_sort_block_merge_config_selectorIiiEEZZNS1_27merge_sort_block_merge_implIS3_N6thrust23THRUST_200600_302600_NS6detail15normal_iteratorINS8_10device_ptrIiEEEESD_jNS1_19radix_merge_compareILb0ELb1EiNS0_19identity_decomposerEEEEE10hipError_tT0_T1_T2_jT3_P12ihipStream_tbPNSt15iterator_traitsISI_E10value_typeEPNSO_ISJ_E10value_typeEPSK_NS1_7vsmem_tEENKUlT_SI_SJ_SK_E_clIPiSD_S10_SD_EESH_SX_SI_SJ_SK_EUlSX_E_NS1_11comp_targetILNS1_3genE3ELNS1_11target_archE908ELNS1_3gpuE7ELNS1_3repE0EEENS1_48merge_mergepath_partition_config_static_selectorELNS0_4arch9wavefront6targetE1EEEvSJ_.num_named_barrier, 0
	.set _ZN7rocprim17ROCPRIM_400000_NS6detail17trampoline_kernelINS0_14default_configENS1_38merge_sort_block_merge_config_selectorIiiEEZZNS1_27merge_sort_block_merge_implIS3_N6thrust23THRUST_200600_302600_NS6detail15normal_iteratorINS8_10device_ptrIiEEEESD_jNS1_19radix_merge_compareILb0ELb1EiNS0_19identity_decomposerEEEEE10hipError_tT0_T1_T2_jT3_P12ihipStream_tbPNSt15iterator_traitsISI_E10value_typeEPNSO_ISJ_E10value_typeEPSK_NS1_7vsmem_tEENKUlT_SI_SJ_SK_E_clIPiSD_S10_SD_EESH_SX_SI_SJ_SK_EUlSX_E_NS1_11comp_targetILNS1_3genE3ELNS1_11target_archE908ELNS1_3gpuE7ELNS1_3repE0EEENS1_48merge_mergepath_partition_config_static_selectorELNS0_4arch9wavefront6targetE1EEEvSJ_.private_seg_size, 0
	.set _ZN7rocprim17ROCPRIM_400000_NS6detail17trampoline_kernelINS0_14default_configENS1_38merge_sort_block_merge_config_selectorIiiEEZZNS1_27merge_sort_block_merge_implIS3_N6thrust23THRUST_200600_302600_NS6detail15normal_iteratorINS8_10device_ptrIiEEEESD_jNS1_19radix_merge_compareILb0ELb1EiNS0_19identity_decomposerEEEEE10hipError_tT0_T1_T2_jT3_P12ihipStream_tbPNSt15iterator_traitsISI_E10value_typeEPNSO_ISJ_E10value_typeEPSK_NS1_7vsmem_tEENKUlT_SI_SJ_SK_E_clIPiSD_S10_SD_EESH_SX_SI_SJ_SK_EUlSX_E_NS1_11comp_targetILNS1_3genE3ELNS1_11target_archE908ELNS1_3gpuE7ELNS1_3repE0EEENS1_48merge_mergepath_partition_config_static_selectorELNS0_4arch9wavefront6targetE1EEEvSJ_.uses_vcc, 0
	.set _ZN7rocprim17ROCPRIM_400000_NS6detail17trampoline_kernelINS0_14default_configENS1_38merge_sort_block_merge_config_selectorIiiEEZZNS1_27merge_sort_block_merge_implIS3_N6thrust23THRUST_200600_302600_NS6detail15normal_iteratorINS8_10device_ptrIiEEEESD_jNS1_19radix_merge_compareILb0ELb1EiNS0_19identity_decomposerEEEEE10hipError_tT0_T1_T2_jT3_P12ihipStream_tbPNSt15iterator_traitsISI_E10value_typeEPNSO_ISJ_E10value_typeEPSK_NS1_7vsmem_tEENKUlT_SI_SJ_SK_E_clIPiSD_S10_SD_EESH_SX_SI_SJ_SK_EUlSX_E_NS1_11comp_targetILNS1_3genE3ELNS1_11target_archE908ELNS1_3gpuE7ELNS1_3repE0EEENS1_48merge_mergepath_partition_config_static_selectorELNS0_4arch9wavefront6targetE1EEEvSJ_.uses_flat_scratch, 0
	.set _ZN7rocprim17ROCPRIM_400000_NS6detail17trampoline_kernelINS0_14default_configENS1_38merge_sort_block_merge_config_selectorIiiEEZZNS1_27merge_sort_block_merge_implIS3_N6thrust23THRUST_200600_302600_NS6detail15normal_iteratorINS8_10device_ptrIiEEEESD_jNS1_19radix_merge_compareILb0ELb1EiNS0_19identity_decomposerEEEEE10hipError_tT0_T1_T2_jT3_P12ihipStream_tbPNSt15iterator_traitsISI_E10value_typeEPNSO_ISJ_E10value_typeEPSK_NS1_7vsmem_tEENKUlT_SI_SJ_SK_E_clIPiSD_S10_SD_EESH_SX_SI_SJ_SK_EUlSX_E_NS1_11comp_targetILNS1_3genE3ELNS1_11target_archE908ELNS1_3gpuE7ELNS1_3repE0EEENS1_48merge_mergepath_partition_config_static_selectorELNS0_4arch9wavefront6targetE1EEEvSJ_.has_dyn_sized_stack, 0
	.set _ZN7rocprim17ROCPRIM_400000_NS6detail17trampoline_kernelINS0_14default_configENS1_38merge_sort_block_merge_config_selectorIiiEEZZNS1_27merge_sort_block_merge_implIS3_N6thrust23THRUST_200600_302600_NS6detail15normal_iteratorINS8_10device_ptrIiEEEESD_jNS1_19radix_merge_compareILb0ELb1EiNS0_19identity_decomposerEEEEE10hipError_tT0_T1_T2_jT3_P12ihipStream_tbPNSt15iterator_traitsISI_E10value_typeEPNSO_ISJ_E10value_typeEPSK_NS1_7vsmem_tEENKUlT_SI_SJ_SK_E_clIPiSD_S10_SD_EESH_SX_SI_SJ_SK_EUlSX_E_NS1_11comp_targetILNS1_3genE3ELNS1_11target_archE908ELNS1_3gpuE7ELNS1_3repE0EEENS1_48merge_mergepath_partition_config_static_selectorELNS0_4arch9wavefront6targetE1EEEvSJ_.has_recursion, 0
	.set _ZN7rocprim17ROCPRIM_400000_NS6detail17trampoline_kernelINS0_14default_configENS1_38merge_sort_block_merge_config_selectorIiiEEZZNS1_27merge_sort_block_merge_implIS3_N6thrust23THRUST_200600_302600_NS6detail15normal_iteratorINS8_10device_ptrIiEEEESD_jNS1_19radix_merge_compareILb0ELb1EiNS0_19identity_decomposerEEEEE10hipError_tT0_T1_T2_jT3_P12ihipStream_tbPNSt15iterator_traitsISI_E10value_typeEPNSO_ISJ_E10value_typeEPSK_NS1_7vsmem_tEENKUlT_SI_SJ_SK_E_clIPiSD_S10_SD_EESH_SX_SI_SJ_SK_EUlSX_E_NS1_11comp_targetILNS1_3genE3ELNS1_11target_archE908ELNS1_3gpuE7ELNS1_3repE0EEENS1_48merge_mergepath_partition_config_static_selectorELNS0_4arch9wavefront6targetE1EEEvSJ_.has_indirect_call, 0
	.section	.AMDGPU.csdata,"",@progbits
; Kernel info:
; codeLenInByte = 0
; TotalNumSgprs: 6
; NumVgprs: 0
; NumAgprs: 0
; TotalNumVgprs: 0
; ScratchSize: 0
; MemoryBound: 0
; FloatMode: 240
; IeeeMode: 1
; LDSByteSize: 0 bytes/workgroup (compile time only)
; SGPRBlocks: 0
; VGPRBlocks: 0
; NumSGPRsForWavesPerEU: 6
; NumVGPRsForWavesPerEU: 1
; AccumOffset: 4
; Occupancy: 8
; WaveLimiterHint : 0
; COMPUTE_PGM_RSRC2:SCRATCH_EN: 0
; COMPUTE_PGM_RSRC2:USER_SGPR: 2
; COMPUTE_PGM_RSRC2:TRAP_HANDLER: 0
; COMPUTE_PGM_RSRC2:TGID_X_EN: 1
; COMPUTE_PGM_RSRC2:TGID_Y_EN: 0
; COMPUTE_PGM_RSRC2:TGID_Z_EN: 0
; COMPUTE_PGM_RSRC2:TIDIG_COMP_CNT: 0
; COMPUTE_PGM_RSRC3_GFX90A:ACCUM_OFFSET: 0
; COMPUTE_PGM_RSRC3_GFX90A:TG_SPLIT: 0
	.section	.text._ZN7rocprim17ROCPRIM_400000_NS6detail17trampoline_kernelINS0_14default_configENS1_38merge_sort_block_merge_config_selectorIiiEEZZNS1_27merge_sort_block_merge_implIS3_N6thrust23THRUST_200600_302600_NS6detail15normal_iteratorINS8_10device_ptrIiEEEESD_jNS1_19radix_merge_compareILb0ELb1EiNS0_19identity_decomposerEEEEE10hipError_tT0_T1_T2_jT3_P12ihipStream_tbPNSt15iterator_traitsISI_E10value_typeEPNSO_ISJ_E10value_typeEPSK_NS1_7vsmem_tEENKUlT_SI_SJ_SK_E_clIPiSD_S10_SD_EESH_SX_SI_SJ_SK_EUlSX_E_NS1_11comp_targetILNS1_3genE2ELNS1_11target_archE906ELNS1_3gpuE6ELNS1_3repE0EEENS1_48merge_mergepath_partition_config_static_selectorELNS0_4arch9wavefront6targetE1EEEvSJ_,"axG",@progbits,_ZN7rocprim17ROCPRIM_400000_NS6detail17trampoline_kernelINS0_14default_configENS1_38merge_sort_block_merge_config_selectorIiiEEZZNS1_27merge_sort_block_merge_implIS3_N6thrust23THRUST_200600_302600_NS6detail15normal_iteratorINS8_10device_ptrIiEEEESD_jNS1_19radix_merge_compareILb0ELb1EiNS0_19identity_decomposerEEEEE10hipError_tT0_T1_T2_jT3_P12ihipStream_tbPNSt15iterator_traitsISI_E10value_typeEPNSO_ISJ_E10value_typeEPSK_NS1_7vsmem_tEENKUlT_SI_SJ_SK_E_clIPiSD_S10_SD_EESH_SX_SI_SJ_SK_EUlSX_E_NS1_11comp_targetILNS1_3genE2ELNS1_11target_archE906ELNS1_3gpuE6ELNS1_3repE0EEENS1_48merge_mergepath_partition_config_static_selectorELNS0_4arch9wavefront6targetE1EEEvSJ_,comdat
	.protected	_ZN7rocprim17ROCPRIM_400000_NS6detail17trampoline_kernelINS0_14default_configENS1_38merge_sort_block_merge_config_selectorIiiEEZZNS1_27merge_sort_block_merge_implIS3_N6thrust23THRUST_200600_302600_NS6detail15normal_iteratorINS8_10device_ptrIiEEEESD_jNS1_19radix_merge_compareILb0ELb1EiNS0_19identity_decomposerEEEEE10hipError_tT0_T1_T2_jT3_P12ihipStream_tbPNSt15iterator_traitsISI_E10value_typeEPNSO_ISJ_E10value_typeEPSK_NS1_7vsmem_tEENKUlT_SI_SJ_SK_E_clIPiSD_S10_SD_EESH_SX_SI_SJ_SK_EUlSX_E_NS1_11comp_targetILNS1_3genE2ELNS1_11target_archE906ELNS1_3gpuE6ELNS1_3repE0EEENS1_48merge_mergepath_partition_config_static_selectorELNS0_4arch9wavefront6targetE1EEEvSJ_ ; -- Begin function _ZN7rocprim17ROCPRIM_400000_NS6detail17trampoline_kernelINS0_14default_configENS1_38merge_sort_block_merge_config_selectorIiiEEZZNS1_27merge_sort_block_merge_implIS3_N6thrust23THRUST_200600_302600_NS6detail15normal_iteratorINS8_10device_ptrIiEEEESD_jNS1_19radix_merge_compareILb0ELb1EiNS0_19identity_decomposerEEEEE10hipError_tT0_T1_T2_jT3_P12ihipStream_tbPNSt15iterator_traitsISI_E10value_typeEPNSO_ISJ_E10value_typeEPSK_NS1_7vsmem_tEENKUlT_SI_SJ_SK_E_clIPiSD_S10_SD_EESH_SX_SI_SJ_SK_EUlSX_E_NS1_11comp_targetILNS1_3genE2ELNS1_11target_archE906ELNS1_3gpuE6ELNS1_3repE0EEENS1_48merge_mergepath_partition_config_static_selectorELNS0_4arch9wavefront6targetE1EEEvSJ_
	.globl	_ZN7rocprim17ROCPRIM_400000_NS6detail17trampoline_kernelINS0_14default_configENS1_38merge_sort_block_merge_config_selectorIiiEEZZNS1_27merge_sort_block_merge_implIS3_N6thrust23THRUST_200600_302600_NS6detail15normal_iteratorINS8_10device_ptrIiEEEESD_jNS1_19radix_merge_compareILb0ELb1EiNS0_19identity_decomposerEEEEE10hipError_tT0_T1_T2_jT3_P12ihipStream_tbPNSt15iterator_traitsISI_E10value_typeEPNSO_ISJ_E10value_typeEPSK_NS1_7vsmem_tEENKUlT_SI_SJ_SK_E_clIPiSD_S10_SD_EESH_SX_SI_SJ_SK_EUlSX_E_NS1_11comp_targetILNS1_3genE2ELNS1_11target_archE906ELNS1_3gpuE6ELNS1_3repE0EEENS1_48merge_mergepath_partition_config_static_selectorELNS0_4arch9wavefront6targetE1EEEvSJ_
	.p2align	8
	.type	_ZN7rocprim17ROCPRIM_400000_NS6detail17trampoline_kernelINS0_14default_configENS1_38merge_sort_block_merge_config_selectorIiiEEZZNS1_27merge_sort_block_merge_implIS3_N6thrust23THRUST_200600_302600_NS6detail15normal_iteratorINS8_10device_ptrIiEEEESD_jNS1_19radix_merge_compareILb0ELb1EiNS0_19identity_decomposerEEEEE10hipError_tT0_T1_T2_jT3_P12ihipStream_tbPNSt15iterator_traitsISI_E10value_typeEPNSO_ISJ_E10value_typeEPSK_NS1_7vsmem_tEENKUlT_SI_SJ_SK_E_clIPiSD_S10_SD_EESH_SX_SI_SJ_SK_EUlSX_E_NS1_11comp_targetILNS1_3genE2ELNS1_11target_archE906ELNS1_3gpuE6ELNS1_3repE0EEENS1_48merge_mergepath_partition_config_static_selectorELNS0_4arch9wavefront6targetE1EEEvSJ_,@function
_ZN7rocprim17ROCPRIM_400000_NS6detail17trampoline_kernelINS0_14default_configENS1_38merge_sort_block_merge_config_selectorIiiEEZZNS1_27merge_sort_block_merge_implIS3_N6thrust23THRUST_200600_302600_NS6detail15normal_iteratorINS8_10device_ptrIiEEEESD_jNS1_19radix_merge_compareILb0ELb1EiNS0_19identity_decomposerEEEEE10hipError_tT0_T1_T2_jT3_P12ihipStream_tbPNSt15iterator_traitsISI_E10value_typeEPNSO_ISJ_E10value_typeEPSK_NS1_7vsmem_tEENKUlT_SI_SJ_SK_E_clIPiSD_S10_SD_EESH_SX_SI_SJ_SK_EUlSX_E_NS1_11comp_targetILNS1_3genE2ELNS1_11target_archE906ELNS1_3gpuE6ELNS1_3repE0EEENS1_48merge_mergepath_partition_config_static_selectorELNS0_4arch9wavefront6targetE1EEEvSJ_: ; @_ZN7rocprim17ROCPRIM_400000_NS6detail17trampoline_kernelINS0_14default_configENS1_38merge_sort_block_merge_config_selectorIiiEEZZNS1_27merge_sort_block_merge_implIS3_N6thrust23THRUST_200600_302600_NS6detail15normal_iteratorINS8_10device_ptrIiEEEESD_jNS1_19radix_merge_compareILb0ELb1EiNS0_19identity_decomposerEEEEE10hipError_tT0_T1_T2_jT3_P12ihipStream_tbPNSt15iterator_traitsISI_E10value_typeEPNSO_ISJ_E10value_typeEPSK_NS1_7vsmem_tEENKUlT_SI_SJ_SK_E_clIPiSD_S10_SD_EESH_SX_SI_SJ_SK_EUlSX_E_NS1_11comp_targetILNS1_3genE2ELNS1_11target_archE906ELNS1_3gpuE6ELNS1_3repE0EEENS1_48merge_mergepath_partition_config_static_selectorELNS0_4arch9wavefront6targetE1EEEvSJ_
; %bb.0:
	.section	.rodata,"a",@progbits
	.p2align	6, 0x0
	.amdhsa_kernel _ZN7rocprim17ROCPRIM_400000_NS6detail17trampoline_kernelINS0_14default_configENS1_38merge_sort_block_merge_config_selectorIiiEEZZNS1_27merge_sort_block_merge_implIS3_N6thrust23THRUST_200600_302600_NS6detail15normal_iteratorINS8_10device_ptrIiEEEESD_jNS1_19radix_merge_compareILb0ELb1EiNS0_19identity_decomposerEEEEE10hipError_tT0_T1_T2_jT3_P12ihipStream_tbPNSt15iterator_traitsISI_E10value_typeEPNSO_ISJ_E10value_typeEPSK_NS1_7vsmem_tEENKUlT_SI_SJ_SK_E_clIPiSD_S10_SD_EESH_SX_SI_SJ_SK_EUlSX_E_NS1_11comp_targetILNS1_3genE2ELNS1_11target_archE906ELNS1_3gpuE6ELNS1_3repE0EEENS1_48merge_mergepath_partition_config_static_selectorELNS0_4arch9wavefront6targetE1EEEvSJ_
		.amdhsa_group_segment_fixed_size 0
		.amdhsa_private_segment_fixed_size 0
		.amdhsa_kernarg_size 40
		.amdhsa_user_sgpr_count 2
		.amdhsa_user_sgpr_dispatch_ptr 0
		.amdhsa_user_sgpr_queue_ptr 0
		.amdhsa_user_sgpr_kernarg_segment_ptr 1
		.amdhsa_user_sgpr_dispatch_id 0
		.amdhsa_user_sgpr_kernarg_preload_length 0
		.amdhsa_user_sgpr_kernarg_preload_offset 0
		.amdhsa_user_sgpr_private_segment_size 0
		.amdhsa_uses_dynamic_stack 0
		.amdhsa_enable_private_segment 0
		.amdhsa_system_sgpr_workgroup_id_x 1
		.amdhsa_system_sgpr_workgroup_id_y 0
		.amdhsa_system_sgpr_workgroup_id_z 0
		.amdhsa_system_sgpr_workgroup_info 0
		.amdhsa_system_vgpr_workitem_id 0
		.amdhsa_next_free_vgpr 1
		.amdhsa_next_free_sgpr 0
		.amdhsa_accum_offset 4
		.amdhsa_reserve_vcc 0
		.amdhsa_float_round_mode_32 0
		.amdhsa_float_round_mode_16_64 0
		.amdhsa_float_denorm_mode_32 3
		.amdhsa_float_denorm_mode_16_64 3
		.amdhsa_dx10_clamp 1
		.amdhsa_ieee_mode 1
		.amdhsa_fp16_overflow 0
		.amdhsa_tg_split 0
		.amdhsa_exception_fp_ieee_invalid_op 0
		.amdhsa_exception_fp_denorm_src 0
		.amdhsa_exception_fp_ieee_div_zero 0
		.amdhsa_exception_fp_ieee_overflow 0
		.amdhsa_exception_fp_ieee_underflow 0
		.amdhsa_exception_fp_ieee_inexact 0
		.amdhsa_exception_int_div_zero 0
	.end_amdhsa_kernel
	.section	.text._ZN7rocprim17ROCPRIM_400000_NS6detail17trampoline_kernelINS0_14default_configENS1_38merge_sort_block_merge_config_selectorIiiEEZZNS1_27merge_sort_block_merge_implIS3_N6thrust23THRUST_200600_302600_NS6detail15normal_iteratorINS8_10device_ptrIiEEEESD_jNS1_19radix_merge_compareILb0ELb1EiNS0_19identity_decomposerEEEEE10hipError_tT0_T1_T2_jT3_P12ihipStream_tbPNSt15iterator_traitsISI_E10value_typeEPNSO_ISJ_E10value_typeEPSK_NS1_7vsmem_tEENKUlT_SI_SJ_SK_E_clIPiSD_S10_SD_EESH_SX_SI_SJ_SK_EUlSX_E_NS1_11comp_targetILNS1_3genE2ELNS1_11target_archE906ELNS1_3gpuE6ELNS1_3repE0EEENS1_48merge_mergepath_partition_config_static_selectorELNS0_4arch9wavefront6targetE1EEEvSJ_,"axG",@progbits,_ZN7rocprim17ROCPRIM_400000_NS6detail17trampoline_kernelINS0_14default_configENS1_38merge_sort_block_merge_config_selectorIiiEEZZNS1_27merge_sort_block_merge_implIS3_N6thrust23THRUST_200600_302600_NS6detail15normal_iteratorINS8_10device_ptrIiEEEESD_jNS1_19radix_merge_compareILb0ELb1EiNS0_19identity_decomposerEEEEE10hipError_tT0_T1_T2_jT3_P12ihipStream_tbPNSt15iterator_traitsISI_E10value_typeEPNSO_ISJ_E10value_typeEPSK_NS1_7vsmem_tEENKUlT_SI_SJ_SK_E_clIPiSD_S10_SD_EESH_SX_SI_SJ_SK_EUlSX_E_NS1_11comp_targetILNS1_3genE2ELNS1_11target_archE906ELNS1_3gpuE6ELNS1_3repE0EEENS1_48merge_mergepath_partition_config_static_selectorELNS0_4arch9wavefront6targetE1EEEvSJ_,comdat
.Lfunc_end1349:
	.size	_ZN7rocprim17ROCPRIM_400000_NS6detail17trampoline_kernelINS0_14default_configENS1_38merge_sort_block_merge_config_selectorIiiEEZZNS1_27merge_sort_block_merge_implIS3_N6thrust23THRUST_200600_302600_NS6detail15normal_iteratorINS8_10device_ptrIiEEEESD_jNS1_19radix_merge_compareILb0ELb1EiNS0_19identity_decomposerEEEEE10hipError_tT0_T1_T2_jT3_P12ihipStream_tbPNSt15iterator_traitsISI_E10value_typeEPNSO_ISJ_E10value_typeEPSK_NS1_7vsmem_tEENKUlT_SI_SJ_SK_E_clIPiSD_S10_SD_EESH_SX_SI_SJ_SK_EUlSX_E_NS1_11comp_targetILNS1_3genE2ELNS1_11target_archE906ELNS1_3gpuE6ELNS1_3repE0EEENS1_48merge_mergepath_partition_config_static_selectorELNS0_4arch9wavefront6targetE1EEEvSJ_, .Lfunc_end1349-_ZN7rocprim17ROCPRIM_400000_NS6detail17trampoline_kernelINS0_14default_configENS1_38merge_sort_block_merge_config_selectorIiiEEZZNS1_27merge_sort_block_merge_implIS3_N6thrust23THRUST_200600_302600_NS6detail15normal_iteratorINS8_10device_ptrIiEEEESD_jNS1_19radix_merge_compareILb0ELb1EiNS0_19identity_decomposerEEEEE10hipError_tT0_T1_T2_jT3_P12ihipStream_tbPNSt15iterator_traitsISI_E10value_typeEPNSO_ISJ_E10value_typeEPSK_NS1_7vsmem_tEENKUlT_SI_SJ_SK_E_clIPiSD_S10_SD_EESH_SX_SI_SJ_SK_EUlSX_E_NS1_11comp_targetILNS1_3genE2ELNS1_11target_archE906ELNS1_3gpuE6ELNS1_3repE0EEENS1_48merge_mergepath_partition_config_static_selectorELNS0_4arch9wavefront6targetE1EEEvSJ_
                                        ; -- End function
	.set _ZN7rocprim17ROCPRIM_400000_NS6detail17trampoline_kernelINS0_14default_configENS1_38merge_sort_block_merge_config_selectorIiiEEZZNS1_27merge_sort_block_merge_implIS3_N6thrust23THRUST_200600_302600_NS6detail15normal_iteratorINS8_10device_ptrIiEEEESD_jNS1_19radix_merge_compareILb0ELb1EiNS0_19identity_decomposerEEEEE10hipError_tT0_T1_T2_jT3_P12ihipStream_tbPNSt15iterator_traitsISI_E10value_typeEPNSO_ISJ_E10value_typeEPSK_NS1_7vsmem_tEENKUlT_SI_SJ_SK_E_clIPiSD_S10_SD_EESH_SX_SI_SJ_SK_EUlSX_E_NS1_11comp_targetILNS1_3genE2ELNS1_11target_archE906ELNS1_3gpuE6ELNS1_3repE0EEENS1_48merge_mergepath_partition_config_static_selectorELNS0_4arch9wavefront6targetE1EEEvSJ_.num_vgpr, 0
	.set _ZN7rocprim17ROCPRIM_400000_NS6detail17trampoline_kernelINS0_14default_configENS1_38merge_sort_block_merge_config_selectorIiiEEZZNS1_27merge_sort_block_merge_implIS3_N6thrust23THRUST_200600_302600_NS6detail15normal_iteratorINS8_10device_ptrIiEEEESD_jNS1_19radix_merge_compareILb0ELb1EiNS0_19identity_decomposerEEEEE10hipError_tT0_T1_T2_jT3_P12ihipStream_tbPNSt15iterator_traitsISI_E10value_typeEPNSO_ISJ_E10value_typeEPSK_NS1_7vsmem_tEENKUlT_SI_SJ_SK_E_clIPiSD_S10_SD_EESH_SX_SI_SJ_SK_EUlSX_E_NS1_11comp_targetILNS1_3genE2ELNS1_11target_archE906ELNS1_3gpuE6ELNS1_3repE0EEENS1_48merge_mergepath_partition_config_static_selectorELNS0_4arch9wavefront6targetE1EEEvSJ_.num_agpr, 0
	.set _ZN7rocprim17ROCPRIM_400000_NS6detail17trampoline_kernelINS0_14default_configENS1_38merge_sort_block_merge_config_selectorIiiEEZZNS1_27merge_sort_block_merge_implIS3_N6thrust23THRUST_200600_302600_NS6detail15normal_iteratorINS8_10device_ptrIiEEEESD_jNS1_19radix_merge_compareILb0ELb1EiNS0_19identity_decomposerEEEEE10hipError_tT0_T1_T2_jT3_P12ihipStream_tbPNSt15iterator_traitsISI_E10value_typeEPNSO_ISJ_E10value_typeEPSK_NS1_7vsmem_tEENKUlT_SI_SJ_SK_E_clIPiSD_S10_SD_EESH_SX_SI_SJ_SK_EUlSX_E_NS1_11comp_targetILNS1_3genE2ELNS1_11target_archE906ELNS1_3gpuE6ELNS1_3repE0EEENS1_48merge_mergepath_partition_config_static_selectorELNS0_4arch9wavefront6targetE1EEEvSJ_.numbered_sgpr, 0
	.set _ZN7rocprim17ROCPRIM_400000_NS6detail17trampoline_kernelINS0_14default_configENS1_38merge_sort_block_merge_config_selectorIiiEEZZNS1_27merge_sort_block_merge_implIS3_N6thrust23THRUST_200600_302600_NS6detail15normal_iteratorINS8_10device_ptrIiEEEESD_jNS1_19radix_merge_compareILb0ELb1EiNS0_19identity_decomposerEEEEE10hipError_tT0_T1_T2_jT3_P12ihipStream_tbPNSt15iterator_traitsISI_E10value_typeEPNSO_ISJ_E10value_typeEPSK_NS1_7vsmem_tEENKUlT_SI_SJ_SK_E_clIPiSD_S10_SD_EESH_SX_SI_SJ_SK_EUlSX_E_NS1_11comp_targetILNS1_3genE2ELNS1_11target_archE906ELNS1_3gpuE6ELNS1_3repE0EEENS1_48merge_mergepath_partition_config_static_selectorELNS0_4arch9wavefront6targetE1EEEvSJ_.num_named_barrier, 0
	.set _ZN7rocprim17ROCPRIM_400000_NS6detail17trampoline_kernelINS0_14default_configENS1_38merge_sort_block_merge_config_selectorIiiEEZZNS1_27merge_sort_block_merge_implIS3_N6thrust23THRUST_200600_302600_NS6detail15normal_iteratorINS8_10device_ptrIiEEEESD_jNS1_19radix_merge_compareILb0ELb1EiNS0_19identity_decomposerEEEEE10hipError_tT0_T1_T2_jT3_P12ihipStream_tbPNSt15iterator_traitsISI_E10value_typeEPNSO_ISJ_E10value_typeEPSK_NS1_7vsmem_tEENKUlT_SI_SJ_SK_E_clIPiSD_S10_SD_EESH_SX_SI_SJ_SK_EUlSX_E_NS1_11comp_targetILNS1_3genE2ELNS1_11target_archE906ELNS1_3gpuE6ELNS1_3repE0EEENS1_48merge_mergepath_partition_config_static_selectorELNS0_4arch9wavefront6targetE1EEEvSJ_.private_seg_size, 0
	.set _ZN7rocprim17ROCPRIM_400000_NS6detail17trampoline_kernelINS0_14default_configENS1_38merge_sort_block_merge_config_selectorIiiEEZZNS1_27merge_sort_block_merge_implIS3_N6thrust23THRUST_200600_302600_NS6detail15normal_iteratorINS8_10device_ptrIiEEEESD_jNS1_19radix_merge_compareILb0ELb1EiNS0_19identity_decomposerEEEEE10hipError_tT0_T1_T2_jT3_P12ihipStream_tbPNSt15iterator_traitsISI_E10value_typeEPNSO_ISJ_E10value_typeEPSK_NS1_7vsmem_tEENKUlT_SI_SJ_SK_E_clIPiSD_S10_SD_EESH_SX_SI_SJ_SK_EUlSX_E_NS1_11comp_targetILNS1_3genE2ELNS1_11target_archE906ELNS1_3gpuE6ELNS1_3repE0EEENS1_48merge_mergepath_partition_config_static_selectorELNS0_4arch9wavefront6targetE1EEEvSJ_.uses_vcc, 0
	.set _ZN7rocprim17ROCPRIM_400000_NS6detail17trampoline_kernelINS0_14default_configENS1_38merge_sort_block_merge_config_selectorIiiEEZZNS1_27merge_sort_block_merge_implIS3_N6thrust23THRUST_200600_302600_NS6detail15normal_iteratorINS8_10device_ptrIiEEEESD_jNS1_19radix_merge_compareILb0ELb1EiNS0_19identity_decomposerEEEEE10hipError_tT0_T1_T2_jT3_P12ihipStream_tbPNSt15iterator_traitsISI_E10value_typeEPNSO_ISJ_E10value_typeEPSK_NS1_7vsmem_tEENKUlT_SI_SJ_SK_E_clIPiSD_S10_SD_EESH_SX_SI_SJ_SK_EUlSX_E_NS1_11comp_targetILNS1_3genE2ELNS1_11target_archE906ELNS1_3gpuE6ELNS1_3repE0EEENS1_48merge_mergepath_partition_config_static_selectorELNS0_4arch9wavefront6targetE1EEEvSJ_.uses_flat_scratch, 0
	.set _ZN7rocprim17ROCPRIM_400000_NS6detail17trampoline_kernelINS0_14default_configENS1_38merge_sort_block_merge_config_selectorIiiEEZZNS1_27merge_sort_block_merge_implIS3_N6thrust23THRUST_200600_302600_NS6detail15normal_iteratorINS8_10device_ptrIiEEEESD_jNS1_19radix_merge_compareILb0ELb1EiNS0_19identity_decomposerEEEEE10hipError_tT0_T1_T2_jT3_P12ihipStream_tbPNSt15iterator_traitsISI_E10value_typeEPNSO_ISJ_E10value_typeEPSK_NS1_7vsmem_tEENKUlT_SI_SJ_SK_E_clIPiSD_S10_SD_EESH_SX_SI_SJ_SK_EUlSX_E_NS1_11comp_targetILNS1_3genE2ELNS1_11target_archE906ELNS1_3gpuE6ELNS1_3repE0EEENS1_48merge_mergepath_partition_config_static_selectorELNS0_4arch9wavefront6targetE1EEEvSJ_.has_dyn_sized_stack, 0
	.set _ZN7rocprim17ROCPRIM_400000_NS6detail17trampoline_kernelINS0_14default_configENS1_38merge_sort_block_merge_config_selectorIiiEEZZNS1_27merge_sort_block_merge_implIS3_N6thrust23THRUST_200600_302600_NS6detail15normal_iteratorINS8_10device_ptrIiEEEESD_jNS1_19radix_merge_compareILb0ELb1EiNS0_19identity_decomposerEEEEE10hipError_tT0_T1_T2_jT3_P12ihipStream_tbPNSt15iterator_traitsISI_E10value_typeEPNSO_ISJ_E10value_typeEPSK_NS1_7vsmem_tEENKUlT_SI_SJ_SK_E_clIPiSD_S10_SD_EESH_SX_SI_SJ_SK_EUlSX_E_NS1_11comp_targetILNS1_3genE2ELNS1_11target_archE906ELNS1_3gpuE6ELNS1_3repE0EEENS1_48merge_mergepath_partition_config_static_selectorELNS0_4arch9wavefront6targetE1EEEvSJ_.has_recursion, 0
	.set _ZN7rocprim17ROCPRIM_400000_NS6detail17trampoline_kernelINS0_14default_configENS1_38merge_sort_block_merge_config_selectorIiiEEZZNS1_27merge_sort_block_merge_implIS3_N6thrust23THRUST_200600_302600_NS6detail15normal_iteratorINS8_10device_ptrIiEEEESD_jNS1_19radix_merge_compareILb0ELb1EiNS0_19identity_decomposerEEEEE10hipError_tT0_T1_T2_jT3_P12ihipStream_tbPNSt15iterator_traitsISI_E10value_typeEPNSO_ISJ_E10value_typeEPSK_NS1_7vsmem_tEENKUlT_SI_SJ_SK_E_clIPiSD_S10_SD_EESH_SX_SI_SJ_SK_EUlSX_E_NS1_11comp_targetILNS1_3genE2ELNS1_11target_archE906ELNS1_3gpuE6ELNS1_3repE0EEENS1_48merge_mergepath_partition_config_static_selectorELNS0_4arch9wavefront6targetE1EEEvSJ_.has_indirect_call, 0
	.section	.AMDGPU.csdata,"",@progbits
; Kernel info:
; codeLenInByte = 0
; TotalNumSgprs: 6
; NumVgprs: 0
; NumAgprs: 0
; TotalNumVgprs: 0
; ScratchSize: 0
; MemoryBound: 0
; FloatMode: 240
; IeeeMode: 1
; LDSByteSize: 0 bytes/workgroup (compile time only)
; SGPRBlocks: 0
; VGPRBlocks: 0
; NumSGPRsForWavesPerEU: 6
; NumVGPRsForWavesPerEU: 1
; AccumOffset: 4
; Occupancy: 8
; WaveLimiterHint : 0
; COMPUTE_PGM_RSRC2:SCRATCH_EN: 0
; COMPUTE_PGM_RSRC2:USER_SGPR: 2
; COMPUTE_PGM_RSRC2:TRAP_HANDLER: 0
; COMPUTE_PGM_RSRC2:TGID_X_EN: 1
; COMPUTE_PGM_RSRC2:TGID_Y_EN: 0
; COMPUTE_PGM_RSRC2:TGID_Z_EN: 0
; COMPUTE_PGM_RSRC2:TIDIG_COMP_CNT: 0
; COMPUTE_PGM_RSRC3_GFX90A:ACCUM_OFFSET: 0
; COMPUTE_PGM_RSRC3_GFX90A:TG_SPLIT: 0
	.section	.text._ZN7rocprim17ROCPRIM_400000_NS6detail17trampoline_kernelINS0_14default_configENS1_38merge_sort_block_merge_config_selectorIiiEEZZNS1_27merge_sort_block_merge_implIS3_N6thrust23THRUST_200600_302600_NS6detail15normal_iteratorINS8_10device_ptrIiEEEESD_jNS1_19radix_merge_compareILb0ELb1EiNS0_19identity_decomposerEEEEE10hipError_tT0_T1_T2_jT3_P12ihipStream_tbPNSt15iterator_traitsISI_E10value_typeEPNSO_ISJ_E10value_typeEPSK_NS1_7vsmem_tEENKUlT_SI_SJ_SK_E_clIPiSD_S10_SD_EESH_SX_SI_SJ_SK_EUlSX_E_NS1_11comp_targetILNS1_3genE9ELNS1_11target_archE1100ELNS1_3gpuE3ELNS1_3repE0EEENS1_48merge_mergepath_partition_config_static_selectorELNS0_4arch9wavefront6targetE1EEEvSJ_,"axG",@progbits,_ZN7rocprim17ROCPRIM_400000_NS6detail17trampoline_kernelINS0_14default_configENS1_38merge_sort_block_merge_config_selectorIiiEEZZNS1_27merge_sort_block_merge_implIS3_N6thrust23THRUST_200600_302600_NS6detail15normal_iteratorINS8_10device_ptrIiEEEESD_jNS1_19radix_merge_compareILb0ELb1EiNS0_19identity_decomposerEEEEE10hipError_tT0_T1_T2_jT3_P12ihipStream_tbPNSt15iterator_traitsISI_E10value_typeEPNSO_ISJ_E10value_typeEPSK_NS1_7vsmem_tEENKUlT_SI_SJ_SK_E_clIPiSD_S10_SD_EESH_SX_SI_SJ_SK_EUlSX_E_NS1_11comp_targetILNS1_3genE9ELNS1_11target_archE1100ELNS1_3gpuE3ELNS1_3repE0EEENS1_48merge_mergepath_partition_config_static_selectorELNS0_4arch9wavefront6targetE1EEEvSJ_,comdat
	.protected	_ZN7rocprim17ROCPRIM_400000_NS6detail17trampoline_kernelINS0_14default_configENS1_38merge_sort_block_merge_config_selectorIiiEEZZNS1_27merge_sort_block_merge_implIS3_N6thrust23THRUST_200600_302600_NS6detail15normal_iteratorINS8_10device_ptrIiEEEESD_jNS1_19radix_merge_compareILb0ELb1EiNS0_19identity_decomposerEEEEE10hipError_tT0_T1_T2_jT3_P12ihipStream_tbPNSt15iterator_traitsISI_E10value_typeEPNSO_ISJ_E10value_typeEPSK_NS1_7vsmem_tEENKUlT_SI_SJ_SK_E_clIPiSD_S10_SD_EESH_SX_SI_SJ_SK_EUlSX_E_NS1_11comp_targetILNS1_3genE9ELNS1_11target_archE1100ELNS1_3gpuE3ELNS1_3repE0EEENS1_48merge_mergepath_partition_config_static_selectorELNS0_4arch9wavefront6targetE1EEEvSJ_ ; -- Begin function _ZN7rocprim17ROCPRIM_400000_NS6detail17trampoline_kernelINS0_14default_configENS1_38merge_sort_block_merge_config_selectorIiiEEZZNS1_27merge_sort_block_merge_implIS3_N6thrust23THRUST_200600_302600_NS6detail15normal_iteratorINS8_10device_ptrIiEEEESD_jNS1_19radix_merge_compareILb0ELb1EiNS0_19identity_decomposerEEEEE10hipError_tT0_T1_T2_jT3_P12ihipStream_tbPNSt15iterator_traitsISI_E10value_typeEPNSO_ISJ_E10value_typeEPSK_NS1_7vsmem_tEENKUlT_SI_SJ_SK_E_clIPiSD_S10_SD_EESH_SX_SI_SJ_SK_EUlSX_E_NS1_11comp_targetILNS1_3genE9ELNS1_11target_archE1100ELNS1_3gpuE3ELNS1_3repE0EEENS1_48merge_mergepath_partition_config_static_selectorELNS0_4arch9wavefront6targetE1EEEvSJ_
	.globl	_ZN7rocprim17ROCPRIM_400000_NS6detail17trampoline_kernelINS0_14default_configENS1_38merge_sort_block_merge_config_selectorIiiEEZZNS1_27merge_sort_block_merge_implIS3_N6thrust23THRUST_200600_302600_NS6detail15normal_iteratorINS8_10device_ptrIiEEEESD_jNS1_19radix_merge_compareILb0ELb1EiNS0_19identity_decomposerEEEEE10hipError_tT0_T1_T2_jT3_P12ihipStream_tbPNSt15iterator_traitsISI_E10value_typeEPNSO_ISJ_E10value_typeEPSK_NS1_7vsmem_tEENKUlT_SI_SJ_SK_E_clIPiSD_S10_SD_EESH_SX_SI_SJ_SK_EUlSX_E_NS1_11comp_targetILNS1_3genE9ELNS1_11target_archE1100ELNS1_3gpuE3ELNS1_3repE0EEENS1_48merge_mergepath_partition_config_static_selectorELNS0_4arch9wavefront6targetE1EEEvSJ_
	.p2align	8
	.type	_ZN7rocprim17ROCPRIM_400000_NS6detail17trampoline_kernelINS0_14default_configENS1_38merge_sort_block_merge_config_selectorIiiEEZZNS1_27merge_sort_block_merge_implIS3_N6thrust23THRUST_200600_302600_NS6detail15normal_iteratorINS8_10device_ptrIiEEEESD_jNS1_19radix_merge_compareILb0ELb1EiNS0_19identity_decomposerEEEEE10hipError_tT0_T1_T2_jT3_P12ihipStream_tbPNSt15iterator_traitsISI_E10value_typeEPNSO_ISJ_E10value_typeEPSK_NS1_7vsmem_tEENKUlT_SI_SJ_SK_E_clIPiSD_S10_SD_EESH_SX_SI_SJ_SK_EUlSX_E_NS1_11comp_targetILNS1_3genE9ELNS1_11target_archE1100ELNS1_3gpuE3ELNS1_3repE0EEENS1_48merge_mergepath_partition_config_static_selectorELNS0_4arch9wavefront6targetE1EEEvSJ_,@function
_ZN7rocprim17ROCPRIM_400000_NS6detail17trampoline_kernelINS0_14default_configENS1_38merge_sort_block_merge_config_selectorIiiEEZZNS1_27merge_sort_block_merge_implIS3_N6thrust23THRUST_200600_302600_NS6detail15normal_iteratorINS8_10device_ptrIiEEEESD_jNS1_19radix_merge_compareILb0ELb1EiNS0_19identity_decomposerEEEEE10hipError_tT0_T1_T2_jT3_P12ihipStream_tbPNSt15iterator_traitsISI_E10value_typeEPNSO_ISJ_E10value_typeEPSK_NS1_7vsmem_tEENKUlT_SI_SJ_SK_E_clIPiSD_S10_SD_EESH_SX_SI_SJ_SK_EUlSX_E_NS1_11comp_targetILNS1_3genE9ELNS1_11target_archE1100ELNS1_3gpuE3ELNS1_3repE0EEENS1_48merge_mergepath_partition_config_static_selectorELNS0_4arch9wavefront6targetE1EEEvSJ_: ; @_ZN7rocprim17ROCPRIM_400000_NS6detail17trampoline_kernelINS0_14default_configENS1_38merge_sort_block_merge_config_selectorIiiEEZZNS1_27merge_sort_block_merge_implIS3_N6thrust23THRUST_200600_302600_NS6detail15normal_iteratorINS8_10device_ptrIiEEEESD_jNS1_19radix_merge_compareILb0ELb1EiNS0_19identity_decomposerEEEEE10hipError_tT0_T1_T2_jT3_P12ihipStream_tbPNSt15iterator_traitsISI_E10value_typeEPNSO_ISJ_E10value_typeEPSK_NS1_7vsmem_tEENKUlT_SI_SJ_SK_E_clIPiSD_S10_SD_EESH_SX_SI_SJ_SK_EUlSX_E_NS1_11comp_targetILNS1_3genE9ELNS1_11target_archE1100ELNS1_3gpuE3ELNS1_3repE0EEENS1_48merge_mergepath_partition_config_static_selectorELNS0_4arch9wavefront6targetE1EEEvSJ_
; %bb.0:
	.section	.rodata,"a",@progbits
	.p2align	6, 0x0
	.amdhsa_kernel _ZN7rocprim17ROCPRIM_400000_NS6detail17trampoline_kernelINS0_14default_configENS1_38merge_sort_block_merge_config_selectorIiiEEZZNS1_27merge_sort_block_merge_implIS3_N6thrust23THRUST_200600_302600_NS6detail15normal_iteratorINS8_10device_ptrIiEEEESD_jNS1_19radix_merge_compareILb0ELb1EiNS0_19identity_decomposerEEEEE10hipError_tT0_T1_T2_jT3_P12ihipStream_tbPNSt15iterator_traitsISI_E10value_typeEPNSO_ISJ_E10value_typeEPSK_NS1_7vsmem_tEENKUlT_SI_SJ_SK_E_clIPiSD_S10_SD_EESH_SX_SI_SJ_SK_EUlSX_E_NS1_11comp_targetILNS1_3genE9ELNS1_11target_archE1100ELNS1_3gpuE3ELNS1_3repE0EEENS1_48merge_mergepath_partition_config_static_selectorELNS0_4arch9wavefront6targetE1EEEvSJ_
		.amdhsa_group_segment_fixed_size 0
		.amdhsa_private_segment_fixed_size 0
		.amdhsa_kernarg_size 40
		.amdhsa_user_sgpr_count 2
		.amdhsa_user_sgpr_dispatch_ptr 0
		.amdhsa_user_sgpr_queue_ptr 0
		.amdhsa_user_sgpr_kernarg_segment_ptr 1
		.amdhsa_user_sgpr_dispatch_id 0
		.amdhsa_user_sgpr_kernarg_preload_length 0
		.amdhsa_user_sgpr_kernarg_preload_offset 0
		.amdhsa_user_sgpr_private_segment_size 0
		.amdhsa_uses_dynamic_stack 0
		.amdhsa_enable_private_segment 0
		.amdhsa_system_sgpr_workgroup_id_x 1
		.amdhsa_system_sgpr_workgroup_id_y 0
		.amdhsa_system_sgpr_workgroup_id_z 0
		.amdhsa_system_sgpr_workgroup_info 0
		.amdhsa_system_vgpr_workitem_id 0
		.amdhsa_next_free_vgpr 1
		.amdhsa_next_free_sgpr 0
		.amdhsa_accum_offset 4
		.amdhsa_reserve_vcc 0
		.amdhsa_float_round_mode_32 0
		.amdhsa_float_round_mode_16_64 0
		.amdhsa_float_denorm_mode_32 3
		.amdhsa_float_denorm_mode_16_64 3
		.amdhsa_dx10_clamp 1
		.amdhsa_ieee_mode 1
		.amdhsa_fp16_overflow 0
		.amdhsa_tg_split 0
		.amdhsa_exception_fp_ieee_invalid_op 0
		.amdhsa_exception_fp_denorm_src 0
		.amdhsa_exception_fp_ieee_div_zero 0
		.amdhsa_exception_fp_ieee_overflow 0
		.amdhsa_exception_fp_ieee_underflow 0
		.amdhsa_exception_fp_ieee_inexact 0
		.amdhsa_exception_int_div_zero 0
	.end_amdhsa_kernel
	.section	.text._ZN7rocprim17ROCPRIM_400000_NS6detail17trampoline_kernelINS0_14default_configENS1_38merge_sort_block_merge_config_selectorIiiEEZZNS1_27merge_sort_block_merge_implIS3_N6thrust23THRUST_200600_302600_NS6detail15normal_iteratorINS8_10device_ptrIiEEEESD_jNS1_19radix_merge_compareILb0ELb1EiNS0_19identity_decomposerEEEEE10hipError_tT0_T1_T2_jT3_P12ihipStream_tbPNSt15iterator_traitsISI_E10value_typeEPNSO_ISJ_E10value_typeEPSK_NS1_7vsmem_tEENKUlT_SI_SJ_SK_E_clIPiSD_S10_SD_EESH_SX_SI_SJ_SK_EUlSX_E_NS1_11comp_targetILNS1_3genE9ELNS1_11target_archE1100ELNS1_3gpuE3ELNS1_3repE0EEENS1_48merge_mergepath_partition_config_static_selectorELNS0_4arch9wavefront6targetE1EEEvSJ_,"axG",@progbits,_ZN7rocprim17ROCPRIM_400000_NS6detail17trampoline_kernelINS0_14default_configENS1_38merge_sort_block_merge_config_selectorIiiEEZZNS1_27merge_sort_block_merge_implIS3_N6thrust23THRUST_200600_302600_NS6detail15normal_iteratorINS8_10device_ptrIiEEEESD_jNS1_19radix_merge_compareILb0ELb1EiNS0_19identity_decomposerEEEEE10hipError_tT0_T1_T2_jT3_P12ihipStream_tbPNSt15iterator_traitsISI_E10value_typeEPNSO_ISJ_E10value_typeEPSK_NS1_7vsmem_tEENKUlT_SI_SJ_SK_E_clIPiSD_S10_SD_EESH_SX_SI_SJ_SK_EUlSX_E_NS1_11comp_targetILNS1_3genE9ELNS1_11target_archE1100ELNS1_3gpuE3ELNS1_3repE0EEENS1_48merge_mergepath_partition_config_static_selectorELNS0_4arch9wavefront6targetE1EEEvSJ_,comdat
.Lfunc_end1350:
	.size	_ZN7rocprim17ROCPRIM_400000_NS6detail17trampoline_kernelINS0_14default_configENS1_38merge_sort_block_merge_config_selectorIiiEEZZNS1_27merge_sort_block_merge_implIS3_N6thrust23THRUST_200600_302600_NS6detail15normal_iteratorINS8_10device_ptrIiEEEESD_jNS1_19radix_merge_compareILb0ELb1EiNS0_19identity_decomposerEEEEE10hipError_tT0_T1_T2_jT3_P12ihipStream_tbPNSt15iterator_traitsISI_E10value_typeEPNSO_ISJ_E10value_typeEPSK_NS1_7vsmem_tEENKUlT_SI_SJ_SK_E_clIPiSD_S10_SD_EESH_SX_SI_SJ_SK_EUlSX_E_NS1_11comp_targetILNS1_3genE9ELNS1_11target_archE1100ELNS1_3gpuE3ELNS1_3repE0EEENS1_48merge_mergepath_partition_config_static_selectorELNS0_4arch9wavefront6targetE1EEEvSJ_, .Lfunc_end1350-_ZN7rocprim17ROCPRIM_400000_NS6detail17trampoline_kernelINS0_14default_configENS1_38merge_sort_block_merge_config_selectorIiiEEZZNS1_27merge_sort_block_merge_implIS3_N6thrust23THRUST_200600_302600_NS6detail15normal_iteratorINS8_10device_ptrIiEEEESD_jNS1_19radix_merge_compareILb0ELb1EiNS0_19identity_decomposerEEEEE10hipError_tT0_T1_T2_jT3_P12ihipStream_tbPNSt15iterator_traitsISI_E10value_typeEPNSO_ISJ_E10value_typeEPSK_NS1_7vsmem_tEENKUlT_SI_SJ_SK_E_clIPiSD_S10_SD_EESH_SX_SI_SJ_SK_EUlSX_E_NS1_11comp_targetILNS1_3genE9ELNS1_11target_archE1100ELNS1_3gpuE3ELNS1_3repE0EEENS1_48merge_mergepath_partition_config_static_selectorELNS0_4arch9wavefront6targetE1EEEvSJ_
                                        ; -- End function
	.set _ZN7rocprim17ROCPRIM_400000_NS6detail17trampoline_kernelINS0_14default_configENS1_38merge_sort_block_merge_config_selectorIiiEEZZNS1_27merge_sort_block_merge_implIS3_N6thrust23THRUST_200600_302600_NS6detail15normal_iteratorINS8_10device_ptrIiEEEESD_jNS1_19radix_merge_compareILb0ELb1EiNS0_19identity_decomposerEEEEE10hipError_tT0_T1_T2_jT3_P12ihipStream_tbPNSt15iterator_traitsISI_E10value_typeEPNSO_ISJ_E10value_typeEPSK_NS1_7vsmem_tEENKUlT_SI_SJ_SK_E_clIPiSD_S10_SD_EESH_SX_SI_SJ_SK_EUlSX_E_NS1_11comp_targetILNS1_3genE9ELNS1_11target_archE1100ELNS1_3gpuE3ELNS1_3repE0EEENS1_48merge_mergepath_partition_config_static_selectorELNS0_4arch9wavefront6targetE1EEEvSJ_.num_vgpr, 0
	.set _ZN7rocprim17ROCPRIM_400000_NS6detail17trampoline_kernelINS0_14default_configENS1_38merge_sort_block_merge_config_selectorIiiEEZZNS1_27merge_sort_block_merge_implIS3_N6thrust23THRUST_200600_302600_NS6detail15normal_iteratorINS8_10device_ptrIiEEEESD_jNS1_19radix_merge_compareILb0ELb1EiNS0_19identity_decomposerEEEEE10hipError_tT0_T1_T2_jT3_P12ihipStream_tbPNSt15iterator_traitsISI_E10value_typeEPNSO_ISJ_E10value_typeEPSK_NS1_7vsmem_tEENKUlT_SI_SJ_SK_E_clIPiSD_S10_SD_EESH_SX_SI_SJ_SK_EUlSX_E_NS1_11comp_targetILNS1_3genE9ELNS1_11target_archE1100ELNS1_3gpuE3ELNS1_3repE0EEENS1_48merge_mergepath_partition_config_static_selectorELNS0_4arch9wavefront6targetE1EEEvSJ_.num_agpr, 0
	.set _ZN7rocprim17ROCPRIM_400000_NS6detail17trampoline_kernelINS0_14default_configENS1_38merge_sort_block_merge_config_selectorIiiEEZZNS1_27merge_sort_block_merge_implIS3_N6thrust23THRUST_200600_302600_NS6detail15normal_iteratorINS8_10device_ptrIiEEEESD_jNS1_19radix_merge_compareILb0ELb1EiNS0_19identity_decomposerEEEEE10hipError_tT0_T1_T2_jT3_P12ihipStream_tbPNSt15iterator_traitsISI_E10value_typeEPNSO_ISJ_E10value_typeEPSK_NS1_7vsmem_tEENKUlT_SI_SJ_SK_E_clIPiSD_S10_SD_EESH_SX_SI_SJ_SK_EUlSX_E_NS1_11comp_targetILNS1_3genE9ELNS1_11target_archE1100ELNS1_3gpuE3ELNS1_3repE0EEENS1_48merge_mergepath_partition_config_static_selectorELNS0_4arch9wavefront6targetE1EEEvSJ_.numbered_sgpr, 0
	.set _ZN7rocprim17ROCPRIM_400000_NS6detail17trampoline_kernelINS0_14default_configENS1_38merge_sort_block_merge_config_selectorIiiEEZZNS1_27merge_sort_block_merge_implIS3_N6thrust23THRUST_200600_302600_NS6detail15normal_iteratorINS8_10device_ptrIiEEEESD_jNS1_19radix_merge_compareILb0ELb1EiNS0_19identity_decomposerEEEEE10hipError_tT0_T1_T2_jT3_P12ihipStream_tbPNSt15iterator_traitsISI_E10value_typeEPNSO_ISJ_E10value_typeEPSK_NS1_7vsmem_tEENKUlT_SI_SJ_SK_E_clIPiSD_S10_SD_EESH_SX_SI_SJ_SK_EUlSX_E_NS1_11comp_targetILNS1_3genE9ELNS1_11target_archE1100ELNS1_3gpuE3ELNS1_3repE0EEENS1_48merge_mergepath_partition_config_static_selectorELNS0_4arch9wavefront6targetE1EEEvSJ_.num_named_barrier, 0
	.set _ZN7rocprim17ROCPRIM_400000_NS6detail17trampoline_kernelINS0_14default_configENS1_38merge_sort_block_merge_config_selectorIiiEEZZNS1_27merge_sort_block_merge_implIS3_N6thrust23THRUST_200600_302600_NS6detail15normal_iteratorINS8_10device_ptrIiEEEESD_jNS1_19radix_merge_compareILb0ELb1EiNS0_19identity_decomposerEEEEE10hipError_tT0_T1_T2_jT3_P12ihipStream_tbPNSt15iterator_traitsISI_E10value_typeEPNSO_ISJ_E10value_typeEPSK_NS1_7vsmem_tEENKUlT_SI_SJ_SK_E_clIPiSD_S10_SD_EESH_SX_SI_SJ_SK_EUlSX_E_NS1_11comp_targetILNS1_3genE9ELNS1_11target_archE1100ELNS1_3gpuE3ELNS1_3repE0EEENS1_48merge_mergepath_partition_config_static_selectorELNS0_4arch9wavefront6targetE1EEEvSJ_.private_seg_size, 0
	.set _ZN7rocprim17ROCPRIM_400000_NS6detail17trampoline_kernelINS0_14default_configENS1_38merge_sort_block_merge_config_selectorIiiEEZZNS1_27merge_sort_block_merge_implIS3_N6thrust23THRUST_200600_302600_NS6detail15normal_iteratorINS8_10device_ptrIiEEEESD_jNS1_19radix_merge_compareILb0ELb1EiNS0_19identity_decomposerEEEEE10hipError_tT0_T1_T2_jT3_P12ihipStream_tbPNSt15iterator_traitsISI_E10value_typeEPNSO_ISJ_E10value_typeEPSK_NS1_7vsmem_tEENKUlT_SI_SJ_SK_E_clIPiSD_S10_SD_EESH_SX_SI_SJ_SK_EUlSX_E_NS1_11comp_targetILNS1_3genE9ELNS1_11target_archE1100ELNS1_3gpuE3ELNS1_3repE0EEENS1_48merge_mergepath_partition_config_static_selectorELNS0_4arch9wavefront6targetE1EEEvSJ_.uses_vcc, 0
	.set _ZN7rocprim17ROCPRIM_400000_NS6detail17trampoline_kernelINS0_14default_configENS1_38merge_sort_block_merge_config_selectorIiiEEZZNS1_27merge_sort_block_merge_implIS3_N6thrust23THRUST_200600_302600_NS6detail15normal_iteratorINS8_10device_ptrIiEEEESD_jNS1_19radix_merge_compareILb0ELb1EiNS0_19identity_decomposerEEEEE10hipError_tT0_T1_T2_jT3_P12ihipStream_tbPNSt15iterator_traitsISI_E10value_typeEPNSO_ISJ_E10value_typeEPSK_NS1_7vsmem_tEENKUlT_SI_SJ_SK_E_clIPiSD_S10_SD_EESH_SX_SI_SJ_SK_EUlSX_E_NS1_11comp_targetILNS1_3genE9ELNS1_11target_archE1100ELNS1_3gpuE3ELNS1_3repE0EEENS1_48merge_mergepath_partition_config_static_selectorELNS0_4arch9wavefront6targetE1EEEvSJ_.uses_flat_scratch, 0
	.set _ZN7rocprim17ROCPRIM_400000_NS6detail17trampoline_kernelINS0_14default_configENS1_38merge_sort_block_merge_config_selectorIiiEEZZNS1_27merge_sort_block_merge_implIS3_N6thrust23THRUST_200600_302600_NS6detail15normal_iteratorINS8_10device_ptrIiEEEESD_jNS1_19radix_merge_compareILb0ELb1EiNS0_19identity_decomposerEEEEE10hipError_tT0_T1_T2_jT3_P12ihipStream_tbPNSt15iterator_traitsISI_E10value_typeEPNSO_ISJ_E10value_typeEPSK_NS1_7vsmem_tEENKUlT_SI_SJ_SK_E_clIPiSD_S10_SD_EESH_SX_SI_SJ_SK_EUlSX_E_NS1_11comp_targetILNS1_3genE9ELNS1_11target_archE1100ELNS1_3gpuE3ELNS1_3repE0EEENS1_48merge_mergepath_partition_config_static_selectorELNS0_4arch9wavefront6targetE1EEEvSJ_.has_dyn_sized_stack, 0
	.set _ZN7rocprim17ROCPRIM_400000_NS6detail17trampoline_kernelINS0_14default_configENS1_38merge_sort_block_merge_config_selectorIiiEEZZNS1_27merge_sort_block_merge_implIS3_N6thrust23THRUST_200600_302600_NS6detail15normal_iteratorINS8_10device_ptrIiEEEESD_jNS1_19radix_merge_compareILb0ELb1EiNS0_19identity_decomposerEEEEE10hipError_tT0_T1_T2_jT3_P12ihipStream_tbPNSt15iterator_traitsISI_E10value_typeEPNSO_ISJ_E10value_typeEPSK_NS1_7vsmem_tEENKUlT_SI_SJ_SK_E_clIPiSD_S10_SD_EESH_SX_SI_SJ_SK_EUlSX_E_NS1_11comp_targetILNS1_3genE9ELNS1_11target_archE1100ELNS1_3gpuE3ELNS1_3repE0EEENS1_48merge_mergepath_partition_config_static_selectorELNS0_4arch9wavefront6targetE1EEEvSJ_.has_recursion, 0
	.set _ZN7rocprim17ROCPRIM_400000_NS6detail17trampoline_kernelINS0_14default_configENS1_38merge_sort_block_merge_config_selectorIiiEEZZNS1_27merge_sort_block_merge_implIS3_N6thrust23THRUST_200600_302600_NS6detail15normal_iteratorINS8_10device_ptrIiEEEESD_jNS1_19radix_merge_compareILb0ELb1EiNS0_19identity_decomposerEEEEE10hipError_tT0_T1_T2_jT3_P12ihipStream_tbPNSt15iterator_traitsISI_E10value_typeEPNSO_ISJ_E10value_typeEPSK_NS1_7vsmem_tEENKUlT_SI_SJ_SK_E_clIPiSD_S10_SD_EESH_SX_SI_SJ_SK_EUlSX_E_NS1_11comp_targetILNS1_3genE9ELNS1_11target_archE1100ELNS1_3gpuE3ELNS1_3repE0EEENS1_48merge_mergepath_partition_config_static_selectorELNS0_4arch9wavefront6targetE1EEEvSJ_.has_indirect_call, 0
	.section	.AMDGPU.csdata,"",@progbits
; Kernel info:
; codeLenInByte = 0
; TotalNumSgprs: 6
; NumVgprs: 0
; NumAgprs: 0
; TotalNumVgprs: 0
; ScratchSize: 0
; MemoryBound: 0
; FloatMode: 240
; IeeeMode: 1
; LDSByteSize: 0 bytes/workgroup (compile time only)
; SGPRBlocks: 0
; VGPRBlocks: 0
; NumSGPRsForWavesPerEU: 6
; NumVGPRsForWavesPerEU: 1
; AccumOffset: 4
; Occupancy: 8
; WaveLimiterHint : 0
; COMPUTE_PGM_RSRC2:SCRATCH_EN: 0
; COMPUTE_PGM_RSRC2:USER_SGPR: 2
; COMPUTE_PGM_RSRC2:TRAP_HANDLER: 0
; COMPUTE_PGM_RSRC2:TGID_X_EN: 1
; COMPUTE_PGM_RSRC2:TGID_Y_EN: 0
; COMPUTE_PGM_RSRC2:TGID_Z_EN: 0
; COMPUTE_PGM_RSRC2:TIDIG_COMP_CNT: 0
; COMPUTE_PGM_RSRC3_GFX90A:ACCUM_OFFSET: 0
; COMPUTE_PGM_RSRC3_GFX90A:TG_SPLIT: 0
	.section	.text._ZN7rocprim17ROCPRIM_400000_NS6detail17trampoline_kernelINS0_14default_configENS1_38merge_sort_block_merge_config_selectorIiiEEZZNS1_27merge_sort_block_merge_implIS3_N6thrust23THRUST_200600_302600_NS6detail15normal_iteratorINS8_10device_ptrIiEEEESD_jNS1_19radix_merge_compareILb0ELb1EiNS0_19identity_decomposerEEEEE10hipError_tT0_T1_T2_jT3_P12ihipStream_tbPNSt15iterator_traitsISI_E10value_typeEPNSO_ISJ_E10value_typeEPSK_NS1_7vsmem_tEENKUlT_SI_SJ_SK_E_clIPiSD_S10_SD_EESH_SX_SI_SJ_SK_EUlSX_E_NS1_11comp_targetILNS1_3genE8ELNS1_11target_archE1030ELNS1_3gpuE2ELNS1_3repE0EEENS1_48merge_mergepath_partition_config_static_selectorELNS0_4arch9wavefront6targetE1EEEvSJ_,"axG",@progbits,_ZN7rocprim17ROCPRIM_400000_NS6detail17trampoline_kernelINS0_14default_configENS1_38merge_sort_block_merge_config_selectorIiiEEZZNS1_27merge_sort_block_merge_implIS3_N6thrust23THRUST_200600_302600_NS6detail15normal_iteratorINS8_10device_ptrIiEEEESD_jNS1_19radix_merge_compareILb0ELb1EiNS0_19identity_decomposerEEEEE10hipError_tT0_T1_T2_jT3_P12ihipStream_tbPNSt15iterator_traitsISI_E10value_typeEPNSO_ISJ_E10value_typeEPSK_NS1_7vsmem_tEENKUlT_SI_SJ_SK_E_clIPiSD_S10_SD_EESH_SX_SI_SJ_SK_EUlSX_E_NS1_11comp_targetILNS1_3genE8ELNS1_11target_archE1030ELNS1_3gpuE2ELNS1_3repE0EEENS1_48merge_mergepath_partition_config_static_selectorELNS0_4arch9wavefront6targetE1EEEvSJ_,comdat
	.protected	_ZN7rocprim17ROCPRIM_400000_NS6detail17trampoline_kernelINS0_14default_configENS1_38merge_sort_block_merge_config_selectorIiiEEZZNS1_27merge_sort_block_merge_implIS3_N6thrust23THRUST_200600_302600_NS6detail15normal_iteratorINS8_10device_ptrIiEEEESD_jNS1_19radix_merge_compareILb0ELb1EiNS0_19identity_decomposerEEEEE10hipError_tT0_T1_T2_jT3_P12ihipStream_tbPNSt15iterator_traitsISI_E10value_typeEPNSO_ISJ_E10value_typeEPSK_NS1_7vsmem_tEENKUlT_SI_SJ_SK_E_clIPiSD_S10_SD_EESH_SX_SI_SJ_SK_EUlSX_E_NS1_11comp_targetILNS1_3genE8ELNS1_11target_archE1030ELNS1_3gpuE2ELNS1_3repE0EEENS1_48merge_mergepath_partition_config_static_selectorELNS0_4arch9wavefront6targetE1EEEvSJ_ ; -- Begin function _ZN7rocprim17ROCPRIM_400000_NS6detail17trampoline_kernelINS0_14default_configENS1_38merge_sort_block_merge_config_selectorIiiEEZZNS1_27merge_sort_block_merge_implIS3_N6thrust23THRUST_200600_302600_NS6detail15normal_iteratorINS8_10device_ptrIiEEEESD_jNS1_19radix_merge_compareILb0ELb1EiNS0_19identity_decomposerEEEEE10hipError_tT0_T1_T2_jT3_P12ihipStream_tbPNSt15iterator_traitsISI_E10value_typeEPNSO_ISJ_E10value_typeEPSK_NS1_7vsmem_tEENKUlT_SI_SJ_SK_E_clIPiSD_S10_SD_EESH_SX_SI_SJ_SK_EUlSX_E_NS1_11comp_targetILNS1_3genE8ELNS1_11target_archE1030ELNS1_3gpuE2ELNS1_3repE0EEENS1_48merge_mergepath_partition_config_static_selectorELNS0_4arch9wavefront6targetE1EEEvSJ_
	.globl	_ZN7rocprim17ROCPRIM_400000_NS6detail17trampoline_kernelINS0_14default_configENS1_38merge_sort_block_merge_config_selectorIiiEEZZNS1_27merge_sort_block_merge_implIS3_N6thrust23THRUST_200600_302600_NS6detail15normal_iteratorINS8_10device_ptrIiEEEESD_jNS1_19radix_merge_compareILb0ELb1EiNS0_19identity_decomposerEEEEE10hipError_tT0_T1_T2_jT3_P12ihipStream_tbPNSt15iterator_traitsISI_E10value_typeEPNSO_ISJ_E10value_typeEPSK_NS1_7vsmem_tEENKUlT_SI_SJ_SK_E_clIPiSD_S10_SD_EESH_SX_SI_SJ_SK_EUlSX_E_NS1_11comp_targetILNS1_3genE8ELNS1_11target_archE1030ELNS1_3gpuE2ELNS1_3repE0EEENS1_48merge_mergepath_partition_config_static_selectorELNS0_4arch9wavefront6targetE1EEEvSJ_
	.p2align	8
	.type	_ZN7rocprim17ROCPRIM_400000_NS6detail17trampoline_kernelINS0_14default_configENS1_38merge_sort_block_merge_config_selectorIiiEEZZNS1_27merge_sort_block_merge_implIS3_N6thrust23THRUST_200600_302600_NS6detail15normal_iteratorINS8_10device_ptrIiEEEESD_jNS1_19radix_merge_compareILb0ELb1EiNS0_19identity_decomposerEEEEE10hipError_tT0_T1_T2_jT3_P12ihipStream_tbPNSt15iterator_traitsISI_E10value_typeEPNSO_ISJ_E10value_typeEPSK_NS1_7vsmem_tEENKUlT_SI_SJ_SK_E_clIPiSD_S10_SD_EESH_SX_SI_SJ_SK_EUlSX_E_NS1_11comp_targetILNS1_3genE8ELNS1_11target_archE1030ELNS1_3gpuE2ELNS1_3repE0EEENS1_48merge_mergepath_partition_config_static_selectorELNS0_4arch9wavefront6targetE1EEEvSJ_,@function
_ZN7rocprim17ROCPRIM_400000_NS6detail17trampoline_kernelINS0_14default_configENS1_38merge_sort_block_merge_config_selectorIiiEEZZNS1_27merge_sort_block_merge_implIS3_N6thrust23THRUST_200600_302600_NS6detail15normal_iteratorINS8_10device_ptrIiEEEESD_jNS1_19radix_merge_compareILb0ELb1EiNS0_19identity_decomposerEEEEE10hipError_tT0_T1_T2_jT3_P12ihipStream_tbPNSt15iterator_traitsISI_E10value_typeEPNSO_ISJ_E10value_typeEPSK_NS1_7vsmem_tEENKUlT_SI_SJ_SK_E_clIPiSD_S10_SD_EESH_SX_SI_SJ_SK_EUlSX_E_NS1_11comp_targetILNS1_3genE8ELNS1_11target_archE1030ELNS1_3gpuE2ELNS1_3repE0EEENS1_48merge_mergepath_partition_config_static_selectorELNS0_4arch9wavefront6targetE1EEEvSJ_: ; @_ZN7rocprim17ROCPRIM_400000_NS6detail17trampoline_kernelINS0_14default_configENS1_38merge_sort_block_merge_config_selectorIiiEEZZNS1_27merge_sort_block_merge_implIS3_N6thrust23THRUST_200600_302600_NS6detail15normal_iteratorINS8_10device_ptrIiEEEESD_jNS1_19radix_merge_compareILb0ELb1EiNS0_19identity_decomposerEEEEE10hipError_tT0_T1_T2_jT3_P12ihipStream_tbPNSt15iterator_traitsISI_E10value_typeEPNSO_ISJ_E10value_typeEPSK_NS1_7vsmem_tEENKUlT_SI_SJ_SK_E_clIPiSD_S10_SD_EESH_SX_SI_SJ_SK_EUlSX_E_NS1_11comp_targetILNS1_3genE8ELNS1_11target_archE1030ELNS1_3gpuE2ELNS1_3repE0EEENS1_48merge_mergepath_partition_config_static_selectorELNS0_4arch9wavefront6targetE1EEEvSJ_
; %bb.0:
	.section	.rodata,"a",@progbits
	.p2align	6, 0x0
	.amdhsa_kernel _ZN7rocprim17ROCPRIM_400000_NS6detail17trampoline_kernelINS0_14default_configENS1_38merge_sort_block_merge_config_selectorIiiEEZZNS1_27merge_sort_block_merge_implIS3_N6thrust23THRUST_200600_302600_NS6detail15normal_iteratorINS8_10device_ptrIiEEEESD_jNS1_19radix_merge_compareILb0ELb1EiNS0_19identity_decomposerEEEEE10hipError_tT0_T1_T2_jT3_P12ihipStream_tbPNSt15iterator_traitsISI_E10value_typeEPNSO_ISJ_E10value_typeEPSK_NS1_7vsmem_tEENKUlT_SI_SJ_SK_E_clIPiSD_S10_SD_EESH_SX_SI_SJ_SK_EUlSX_E_NS1_11comp_targetILNS1_3genE8ELNS1_11target_archE1030ELNS1_3gpuE2ELNS1_3repE0EEENS1_48merge_mergepath_partition_config_static_selectorELNS0_4arch9wavefront6targetE1EEEvSJ_
		.amdhsa_group_segment_fixed_size 0
		.amdhsa_private_segment_fixed_size 0
		.amdhsa_kernarg_size 40
		.amdhsa_user_sgpr_count 2
		.amdhsa_user_sgpr_dispatch_ptr 0
		.amdhsa_user_sgpr_queue_ptr 0
		.amdhsa_user_sgpr_kernarg_segment_ptr 1
		.amdhsa_user_sgpr_dispatch_id 0
		.amdhsa_user_sgpr_kernarg_preload_length 0
		.amdhsa_user_sgpr_kernarg_preload_offset 0
		.amdhsa_user_sgpr_private_segment_size 0
		.amdhsa_uses_dynamic_stack 0
		.amdhsa_enable_private_segment 0
		.amdhsa_system_sgpr_workgroup_id_x 1
		.amdhsa_system_sgpr_workgroup_id_y 0
		.amdhsa_system_sgpr_workgroup_id_z 0
		.amdhsa_system_sgpr_workgroup_info 0
		.amdhsa_system_vgpr_workitem_id 0
		.amdhsa_next_free_vgpr 1
		.amdhsa_next_free_sgpr 0
		.amdhsa_accum_offset 4
		.amdhsa_reserve_vcc 0
		.amdhsa_float_round_mode_32 0
		.amdhsa_float_round_mode_16_64 0
		.amdhsa_float_denorm_mode_32 3
		.amdhsa_float_denorm_mode_16_64 3
		.amdhsa_dx10_clamp 1
		.amdhsa_ieee_mode 1
		.amdhsa_fp16_overflow 0
		.amdhsa_tg_split 0
		.amdhsa_exception_fp_ieee_invalid_op 0
		.amdhsa_exception_fp_denorm_src 0
		.amdhsa_exception_fp_ieee_div_zero 0
		.amdhsa_exception_fp_ieee_overflow 0
		.amdhsa_exception_fp_ieee_underflow 0
		.amdhsa_exception_fp_ieee_inexact 0
		.amdhsa_exception_int_div_zero 0
	.end_amdhsa_kernel
	.section	.text._ZN7rocprim17ROCPRIM_400000_NS6detail17trampoline_kernelINS0_14default_configENS1_38merge_sort_block_merge_config_selectorIiiEEZZNS1_27merge_sort_block_merge_implIS3_N6thrust23THRUST_200600_302600_NS6detail15normal_iteratorINS8_10device_ptrIiEEEESD_jNS1_19radix_merge_compareILb0ELb1EiNS0_19identity_decomposerEEEEE10hipError_tT0_T1_T2_jT3_P12ihipStream_tbPNSt15iterator_traitsISI_E10value_typeEPNSO_ISJ_E10value_typeEPSK_NS1_7vsmem_tEENKUlT_SI_SJ_SK_E_clIPiSD_S10_SD_EESH_SX_SI_SJ_SK_EUlSX_E_NS1_11comp_targetILNS1_3genE8ELNS1_11target_archE1030ELNS1_3gpuE2ELNS1_3repE0EEENS1_48merge_mergepath_partition_config_static_selectorELNS0_4arch9wavefront6targetE1EEEvSJ_,"axG",@progbits,_ZN7rocprim17ROCPRIM_400000_NS6detail17trampoline_kernelINS0_14default_configENS1_38merge_sort_block_merge_config_selectorIiiEEZZNS1_27merge_sort_block_merge_implIS3_N6thrust23THRUST_200600_302600_NS6detail15normal_iteratorINS8_10device_ptrIiEEEESD_jNS1_19radix_merge_compareILb0ELb1EiNS0_19identity_decomposerEEEEE10hipError_tT0_T1_T2_jT3_P12ihipStream_tbPNSt15iterator_traitsISI_E10value_typeEPNSO_ISJ_E10value_typeEPSK_NS1_7vsmem_tEENKUlT_SI_SJ_SK_E_clIPiSD_S10_SD_EESH_SX_SI_SJ_SK_EUlSX_E_NS1_11comp_targetILNS1_3genE8ELNS1_11target_archE1030ELNS1_3gpuE2ELNS1_3repE0EEENS1_48merge_mergepath_partition_config_static_selectorELNS0_4arch9wavefront6targetE1EEEvSJ_,comdat
.Lfunc_end1351:
	.size	_ZN7rocprim17ROCPRIM_400000_NS6detail17trampoline_kernelINS0_14default_configENS1_38merge_sort_block_merge_config_selectorIiiEEZZNS1_27merge_sort_block_merge_implIS3_N6thrust23THRUST_200600_302600_NS6detail15normal_iteratorINS8_10device_ptrIiEEEESD_jNS1_19radix_merge_compareILb0ELb1EiNS0_19identity_decomposerEEEEE10hipError_tT0_T1_T2_jT3_P12ihipStream_tbPNSt15iterator_traitsISI_E10value_typeEPNSO_ISJ_E10value_typeEPSK_NS1_7vsmem_tEENKUlT_SI_SJ_SK_E_clIPiSD_S10_SD_EESH_SX_SI_SJ_SK_EUlSX_E_NS1_11comp_targetILNS1_3genE8ELNS1_11target_archE1030ELNS1_3gpuE2ELNS1_3repE0EEENS1_48merge_mergepath_partition_config_static_selectorELNS0_4arch9wavefront6targetE1EEEvSJ_, .Lfunc_end1351-_ZN7rocprim17ROCPRIM_400000_NS6detail17trampoline_kernelINS0_14default_configENS1_38merge_sort_block_merge_config_selectorIiiEEZZNS1_27merge_sort_block_merge_implIS3_N6thrust23THRUST_200600_302600_NS6detail15normal_iteratorINS8_10device_ptrIiEEEESD_jNS1_19radix_merge_compareILb0ELb1EiNS0_19identity_decomposerEEEEE10hipError_tT0_T1_T2_jT3_P12ihipStream_tbPNSt15iterator_traitsISI_E10value_typeEPNSO_ISJ_E10value_typeEPSK_NS1_7vsmem_tEENKUlT_SI_SJ_SK_E_clIPiSD_S10_SD_EESH_SX_SI_SJ_SK_EUlSX_E_NS1_11comp_targetILNS1_3genE8ELNS1_11target_archE1030ELNS1_3gpuE2ELNS1_3repE0EEENS1_48merge_mergepath_partition_config_static_selectorELNS0_4arch9wavefront6targetE1EEEvSJ_
                                        ; -- End function
	.set _ZN7rocprim17ROCPRIM_400000_NS6detail17trampoline_kernelINS0_14default_configENS1_38merge_sort_block_merge_config_selectorIiiEEZZNS1_27merge_sort_block_merge_implIS3_N6thrust23THRUST_200600_302600_NS6detail15normal_iteratorINS8_10device_ptrIiEEEESD_jNS1_19radix_merge_compareILb0ELb1EiNS0_19identity_decomposerEEEEE10hipError_tT0_T1_T2_jT3_P12ihipStream_tbPNSt15iterator_traitsISI_E10value_typeEPNSO_ISJ_E10value_typeEPSK_NS1_7vsmem_tEENKUlT_SI_SJ_SK_E_clIPiSD_S10_SD_EESH_SX_SI_SJ_SK_EUlSX_E_NS1_11comp_targetILNS1_3genE8ELNS1_11target_archE1030ELNS1_3gpuE2ELNS1_3repE0EEENS1_48merge_mergepath_partition_config_static_selectorELNS0_4arch9wavefront6targetE1EEEvSJ_.num_vgpr, 0
	.set _ZN7rocprim17ROCPRIM_400000_NS6detail17trampoline_kernelINS0_14default_configENS1_38merge_sort_block_merge_config_selectorIiiEEZZNS1_27merge_sort_block_merge_implIS3_N6thrust23THRUST_200600_302600_NS6detail15normal_iteratorINS8_10device_ptrIiEEEESD_jNS1_19radix_merge_compareILb0ELb1EiNS0_19identity_decomposerEEEEE10hipError_tT0_T1_T2_jT3_P12ihipStream_tbPNSt15iterator_traitsISI_E10value_typeEPNSO_ISJ_E10value_typeEPSK_NS1_7vsmem_tEENKUlT_SI_SJ_SK_E_clIPiSD_S10_SD_EESH_SX_SI_SJ_SK_EUlSX_E_NS1_11comp_targetILNS1_3genE8ELNS1_11target_archE1030ELNS1_3gpuE2ELNS1_3repE0EEENS1_48merge_mergepath_partition_config_static_selectorELNS0_4arch9wavefront6targetE1EEEvSJ_.num_agpr, 0
	.set _ZN7rocprim17ROCPRIM_400000_NS6detail17trampoline_kernelINS0_14default_configENS1_38merge_sort_block_merge_config_selectorIiiEEZZNS1_27merge_sort_block_merge_implIS3_N6thrust23THRUST_200600_302600_NS6detail15normal_iteratorINS8_10device_ptrIiEEEESD_jNS1_19radix_merge_compareILb0ELb1EiNS0_19identity_decomposerEEEEE10hipError_tT0_T1_T2_jT3_P12ihipStream_tbPNSt15iterator_traitsISI_E10value_typeEPNSO_ISJ_E10value_typeEPSK_NS1_7vsmem_tEENKUlT_SI_SJ_SK_E_clIPiSD_S10_SD_EESH_SX_SI_SJ_SK_EUlSX_E_NS1_11comp_targetILNS1_3genE8ELNS1_11target_archE1030ELNS1_3gpuE2ELNS1_3repE0EEENS1_48merge_mergepath_partition_config_static_selectorELNS0_4arch9wavefront6targetE1EEEvSJ_.numbered_sgpr, 0
	.set _ZN7rocprim17ROCPRIM_400000_NS6detail17trampoline_kernelINS0_14default_configENS1_38merge_sort_block_merge_config_selectorIiiEEZZNS1_27merge_sort_block_merge_implIS3_N6thrust23THRUST_200600_302600_NS6detail15normal_iteratorINS8_10device_ptrIiEEEESD_jNS1_19radix_merge_compareILb0ELb1EiNS0_19identity_decomposerEEEEE10hipError_tT0_T1_T2_jT3_P12ihipStream_tbPNSt15iterator_traitsISI_E10value_typeEPNSO_ISJ_E10value_typeEPSK_NS1_7vsmem_tEENKUlT_SI_SJ_SK_E_clIPiSD_S10_SD_EESH_SX_SI_SJ_SK_EUlSX_E_NS1_11comp_targetILNS1_3genE8ELNS1_11target_archE1030ELNS1_3gpuE2ELNS1_3repE0EEENS1_48merge_mergepath_partition_config_static_selectorELNS0_4arch9wavefront6targetE1EEEvSJ_.num_named_barrier, 0
	.set _ZN7rocprim17ROCPRIM_400000_NS6detail17trampoline_kernelINS0_14default_configENS1_38merge_sort_block_merge_config_selectorIiiEEZZNS1_27merge_sort_block_merge_implIS3_N6thrust23THRUST_200600_302600_NS6detail15normal_iteratorINS8_10device_ptrIiEEEESD_jNS1_19radix_merge_compareILb0ELb1EiNS0_19identity_decomposerEEEEE10hipError_tT0_T1_T2_jT3_P12ihipStream_tbPNSt15iterator_traitsISI_E10value_typeEPNSO_ISJ_E10value_typeEPSK_NS1_7vsmem_tEENKUlT_SI_SJ_SK_E_clIPiSD_S10_SD_EESH_SX_SI_SJ_SK_EUlSX_E_NS1_11comp_targetILNS1_3genE8ELNS1_11target_archE1030ELNS1_3gpuE2ELNS1_3repE0EEENS1_48merge_mergepath_partition_config_static_selectorELNS0_4arch9wavefront6targetE1EEEvSJ_.private_seg_size, 0
	.set _ZN7rocprim17ROCPRIM_400000_NS6detail17trampoline_kernelINS0_14default_configENS1_38merge_sort_block_merge_config_selectorIiiEEZZNS1_27merge_sort_block_merge_implIS3_N6thrust23THRUST_200600_302600_NS6detail15normal_iteratorINS8_10device_ptrIiEEEESD_jNS1_19radix_merge_compareILb0ELb1EiNS0_19identity_decomposerEEEEE10hipError_tT0_T1_T2_jT3_P12ihipStream_tbPNSt15iterator_traitsISI_E10value_typeEPNSO_ISJ_E10value_typeEPSK_NS1_7vsmem_tEENKUlT_SI_SJ_SK_E_clIPiSD_S10_SD_EESH_SX_SI_SJ_SK_EUlSX_E_NS1_11comp_targetILNS1_3genE8ELNS1_11target_archE1030ELNS1_3gpuE2ELNS1_3repE0EEENS1_48merge_mergepath_partition_config_static_selectorELNS0_4arch9wavefront6targetE1EEEvSJ_.uses_vcc, 0
	.set _ZN7rocprim17ROCPRIM_400000_NS6detail17trampoline_kernelINS0_14default_configENS1_38merge_sort_block_merge_config_selectorIiiEEZZNS1_27merge_sort_block_merge_implIS3_N6thrust23THRUST_200600_302600_NS6detail15normal_iteratorINS8_10device_ptrIiEEEESD_jNS1_19radix_merge_compareILb0ELb1EiNS0_19identity_decomposerEEEEE10hipError_tT0_T1_T2_jT3_P12ihipStream_tbPNSt15iterator_traitsISI_E10value_typeEPNSO_ISJ_E10value_typeEPSK_NS1_7vsmem_tEENKUlT_SI_SJ_SK_E_clIPiSD_S10_SD_EESH_SX_SI_SJ_SK_EUlSX_E_NS1_11comp_targetILNS1_3genE8ELNS1_11target_archE1030ELNS1_3gpuE2ELNS1_3repE0EEENS1_48merge_mergepath_partition_config_static_selectorELNS0_4arch9wavefront6targetE1EEEvSJ_.uses_flat_scratch, 0
	.set _ZN7rocprim17ROCPRIM_400000_NS6detail17trampoline_kernelINS0_14default_configENS1_38merge_sort_block_merge_config_selectorIiiEEZZNS1_27merge_sort_block_merge_implIS3_N6thrust23THRUST_200600_302600_NS6detail15normal_iteratorINS8_10device_ptrIiEEEESD_jNS1_19radix_merge_compareILb0ELb1EiNS0_19identity_decomposerEEEEE10hipError_tT0_T1_T2_jT3_P12ihipStream_tbPNSt15iterator_traitsISI_E10value_typeEPNSO_ISJ_E10value_typeEPSK_NS1_7vsmem_tEENKUlT_SI_SJ_SK_E_clIPiSD_S10_SD_EESH_SX_SI_SJ_SK_EUlSX_E_NS1_11comp_targetILNS1_3genE8ELNS1_11target_archE1030ELNS1_3gpuE2ELNS1_3repE0EEENS1_48merge_mergepath_partition_config_static_selectorELNS0_4arch9wavefront6targetE1EEEvSJ_.has_dyn_sized_stack, 0
	.set _ZN7rocprim17ROCPRIM_400000_NS6detail17trampoline_kernelINS0_14default_configENS1_38merge_sort_block_merge_config_selectorIiiEEZZNS1_27merge_sort_block_merge_implIS3_N6thrust23THRUST_200600_302600_NS6detail15normal_iteratorINS8_10device_ptrIiEEEESD_jNS1_19radix_merge_compareILb0ELb1EiNS0_19identity_decomposerEEEEE10hipError_tT0_T1_T2_jT3_P12ihipStream_tbPNSt15iterator_traitsISI_E10value_typeEPNSO_ISJ_E10value_typeEPSK_NS1_7vsmem_tEENKUlT_SI_SJ_SK_E_clIPiSD_S10_SD_EESH_SX_SI_SJ_SK_EUlSX_E_NS1_11comp_targetILNS1_3genE8ELNS1_11target_archE1030ELNS1_3gpuE2ELNS1_3repE0EEENS1_48merge_mergepath_partition_config_static_selectorELNS0_4arch9wavefront6targetE1EEEvSJ_.has_recursion, 0
	.set _ZN7rocprim17ROCPRIM_400000_NS6detail17trampoline_kernelINS0_14default_configENS1_38merge_sort_block_merge_config_selectorIiiEEZZNS1_27merge_sort_block_merge_implIS3_N6thrust23THRUST_200600_302600_NS6detail15normal_iteratorINS8_10device_ptrIiEEEESD_jNS1_19radix_merge_compareILb0ELb1EiNS0_19identity_decomposerEEEEE10hipError_tT0_T1_T2_jT3_P12ihipStream_tbPNSt15iterator_traitsISI_E10value_typeEPNSO_ISJ_E10value_typeEPSK_NS1_7vsmem_tEENKUlT_SI_SJ_SK_E_clIPiSD_S10_SD_EESH_SX_SI_SJ_SK_EUlSX_E_NS1_11comp_targetILNS1_3genE8ELNS1_11target_archE1030ELNS1_3gpuE2ELNS1_3repE0EEENS1_48merge_mergepath_partition_config_static_selectorELNS0_4arch9wavefront6targetE1EEEvSJ_.has_indirect_call, 0
	.section	.AMDGPU.csdata,"",@progbits
; Kernel info:
; codeLenInByte = 0
; TotalNumSgprs: 6
; NumVgprs: 0
; NumAgprs: 0
; TotalNumVgprs: 0
; ScratchSize: 0
; MemoryBound: 0
; FloatMode: 240
; IeeeMode: 1
; LDSByteSize: 0 bytes/workgroup (compile time only)
; SGPRBlocks: 0
; VGPRBlocks: 0
; NumSGPRsForWavesPerEU: 6
; NumVGPRsForWavesPerEU: 1
; AccumOffset: 4
; Occupancy: 8
; WaveLimiterHint : 0
; COMPUTE_PGM_RSRC2:SCRATCH_EN: 0
; COMPUTE_PGM_RSRC2:USER_SGPR: 2
; COMPUTE_PGM_RSRC2:TRAP_HANDLER: 0
; COMPUTE_PGM_RSRC2:TGID_X_EN: 1
; COMPUTE_PGM_RSRC2:TGID_Y_EN: 0
; COMPUTE_PGM_RSRC2:TGID_Z_EN: 0
; COMPUTE_PGM_RSRC2:TIDIG_COMP_CNT: 0
; COMPUTE_PGM_RSRC3_GFX90A:ACCUM_OFFSET: 0
; COMPUTE_PGM_RSRC3_GFX90A:TG_SPLIT: 0
	.section	.text._ZN7rocprim17ROCPRIM_400000_NS6detail17trampoline_kernelINS0_14default_configENS1_38merge_sort_block_merge_config_selectorIiiEEZZNS1_27merge_sort_block_merge_implIS3_N6thrust23THRUST_200600_302600_NS6detail15normal_iteratorINS8_10device_ptrIiEEEESD_jNS1_19radix_merge_compareILb0ELb1EiNS0_19identity_decomposerEEEEE10hipError_tT0_T1_T2_jT3_P12ihipStream_tbPNSt15iterator_traitsISI_E10value_typeEPNSO_ISJ_E10value_typeEPSK_NS1_7vsmem_tEENKUlT_SI_SJ_SK_E_clIPiSD_S10_SD_EESH_SX_SI_SJ_SK_EUlSX_E0_NS1_11comp_targetILNS1_3genE0ELNS1_11target_archE4294967295ELNS1_3gpuE0ELNS1_3repE0EEENS1_38merge_mergepath_config_static_selectorELNS0_4arch9wavefront6targetE1EEEvSJ_,"axG",@progbits,_ZN7rocprim17ROCPRIM_400000_NS6detail17trampoline_kernelINS0_14default_configENS1_38merge_sort_block_merge_config_selectorIiiEEZZNS1_27merge_sort_block_merge_implIS3_N6thrust23THRUST_200600_302600_NS6detail15normal_iteratorINS8_10device_ptrIiEEEESD_jNS1_19radix_merge_compareILb0ELb1EiNS0_19identity_decomposerEEEEE10hipError_tT0_T1_T2_jT3_P12ihipStream_tbPNSt15iterator_traitsISI_E10value_typeEPNSO_ISJ_E10value_typeEPSK_NS1_7vsmem_tEENKUlT_SI_SJ_SK_E_clIPiSD_S10_SD_EESH_SX_SI_SJ_SK_EUlSX_E0_NS1_11comp_targetILNS1_3genE0ELNS1_11target_archE4294967295ELNS1_3gpuE0ELNS1_3repE0EEENS1_38merge_mergepath_config_static_selectorELNS0_4arch9wavefront6targetE1EEEvSJ_,comdat
	.protected	_ZN7rocprim17ROCPRIM_400000_NS6detail17trampoline_kernelINS0_14default_configENS1_38merge_sort_block_merge_config_selectorIiiEEZZNS1_27merge_sort_block_merge_implIS3_N6thrust23THRUST_200600_302600_NS6detail15normal_iteratorINS8_10device_ptrIiEEEESD_jNS1_19radix_merge_compareILb0ELb1EiNS0_19identity_decomposerEEEEE10hipError_tT0_T1_T2_jT3_P12ihipStream_tbPNSt15iterator_traitsISI_E10value_typeEPNSO_ISJ_E10value_typeEPSK_NS1_7vsmem_tEENKUlT_SI_SJ_SK_E_clIPiSD_S10_SD_EESH_SX_SI_SJ_SK_EUlSX_E0_NS1_11comp_targetILNS1_3genE0ELNS1_11target_archE4294967295ELNS1_3gpuE0ELNS1_3repE0EEENS1_38merge_mergepath_config_static_selectorELNS0_4arch9wavefront6targetE1EEEvSJ_ ; -- Begin function _ZN7rocprim17ROCPRIM_400000_NS6detail17trampoline_kernelINS0_14default_configENS1_38merge_sort_block_merge_config_selectorIiiEEZZNS1_27merge_sort_block_merge_implIS3_N6thrust23THRUST_200600_302600_NS6detail15normal_iteratorINS8_10device_ptrIiEEEESD_jNS1_19radix_merge_compareILb0ELb1EiNS0_19identity_decomposerEEEEE10hipError_tT0_T1_T2_jT3_P12ihipStream_tbPNSt15iterator_traitsISI_E10value_typeEPNSO_ISJ_E10value_typeEPSK_NS1_7vsmem_tEENKUlT_SI_SJ_SK_E_clIPiSD_S10_SD_EESH_SX_SI_SJ_SK_EUlSX_E0_NS1_11comp_targetILNS1_3genE0ELNS1_11target_archE4294967295ELNS1_3gpuE0ELNS1_3repE0EEENS1_38merge_mergepath_config_static_selectorELNS0_4arch9wavefront6targetE1EEEvSJ_
	.globl	_ZN7rocprim17ROCPRIM_400000_NS6detail17trampoline_kernelINS0_14default_configENS1_38merge_sort_block_merge_config_selectorIiiEEZZNS1_27merge_sort_block_merge_implIS3_N6thrust23THRUST_200600_302600_NS6detail15normal_iteratorINS8_10device_ptrIiEEEESD_jNS1_19radix_merge_compareILb0ELb1EiNS0_19identity_decomposerEEEEE10hipError_tT0_T1_T2_jT3_P12ihipStream_tbPNSt15iterator_traitsISI_E10value_typeEPNSO_ISJ_E10value_typeEPSK_NS1_7vsmem_tEENKUlT_SI_SJ_SK_E_clIPiSD_S10_SD_EESH_SX_SI_SJ_SK_EUlSX_E0_NS1_11comp_targetILNS1_3genE0ELNS1_11target_archE4294967295ELNS1_3gpuE0ELNS1_3repE0EEENS1_38merge_mergepath_config_static_selectorELNS0_4arch9wavefront6targetE1EEEvSJ_
	.p2align	8
	.type	_ZN7rocprim17ROCPRIM_400000_NS6detail17trampoline_kernelINS0_14default_configENS1_38merge_sort_block_merge_config_selectorIiiEEZZNS1_27merge_sort_block_merge_implIS3_N6thrust23THRUST_200600_302600_NS6detail15normal_iteratorINS8_10device_ptrIiEEEESD_jNS1_19radix_merge_compareILb0ELb1EiNS0_19identity_decomposerEEEEE10hipError_tT0_T1_T2_jT3_P12ihipStream_tbPNSt15iterator_traitsISI_E10value_typeEPNSO_ISJ_E10value_typeEPSK_NS1_7vsmem_tEENKUlT_SI_SJ_SK_E_clIPiSD_S10_SD_EESH_SX_SI_SJ_SK_EUlSX_E0_NS1_11comp_targetILNS1_3genE0ELNS1_11target_archE4294967295ELNS1_3gpuE0ELNS1_3repE0EEENS1_38merge_mergepath_config_static_selectorELNS0_4arch9wavefront6targetE1EEEvSJ_,@function
_ZN7rocprim17ROCPRIM_400000_NS6detail17trampoline_kernelINS0_14default_configENS1_38merge_sort_block_merge_config_selectorIiiEEZZNS1_27merge_sort_block_merge_implIS3_N6thrust23THRUST_200600_302600_NS6detail15normal_iteratorINS8_10device_ptrIiEEEESD_jNS1_19radix_merge_compareILb0ELb1EiNS0_19identity_decomposerEEEEE10hipError_tT0_T1_T2_jT3_P12ihipStream_tbPNSt15iterator_traitsISI_E10value_typeEPNSO_ISJ_E10value_typeEPSK_NS1_7vsmem_tEENKUlT_SI_SJ_SK_E_clIPiSD_S10_SD_EESH_SX_SI_SJ_SK_EUlSX_E0_NS1_11comp_targetILNS1_3genE0ELNS1_11target_archE4294967295ELNS1_3gpuE0ELNS1_3repE0EEENS1_38merge_mergepath_config_static_selectorELNS0_4arch9wavefront6targetE1EEEvSJ_: ; @_ZN7rocprim17ROCPRIM_400000_NS6detail17trampoline_kernelINS0_14default_configENS1_38merge_sort_block_merge_config_selectorIiiEEZZNS1_27merge_sort_block_merge_implIS3_N6thrust23THRUST_200600_302600_NS6detail15normal_iteratorINS8_10device_ptrIiEEEESD_jNS1_19radix_merge_compareILb0ELb1EiNS0_19identity_decomposerEEEEE10hipError_tT0_T1_T2_jT3_P12ihipStream_tbPNSt15iterator_traitsISI_E10value_typeEPNSO_ISJ_E10value_typeEPSK_NS1_7vsmem_tEENKUlT_SI_SJ_SK_E_clIPiSD_S10_SD_EESH_SX_SI_SJ_SK_EUlSX_E0_NS1_11comp_targetILNS1_3genE0ELNS1_11target_archE4294967295ELNS1_3gpuE0ELNS1_3repE0EEENS1_38merge_mergepath_config_static_selectorELNS0_4arch9wavefront6targetE1EEEvSJ_
; %bb.0:
	s_load_dwordx2 s[28:29], s[0:1], 0x40
	s_load_dwordx2 s[16:17], s[0:1], 0x30
	s_add_u32 s24, s0, 64
	s_addc_u32 s25, s1, 0
	s_waitcnt lgkmcnt(0)
	s_mul_i32 s4, s29, s4
	s_add_i32 s3, s4, s3
	s_mul_i32 s3, s3, s28
	s_add_i32 s26, s3, s2
	s_cmp_ge_u32 s26, s16
	s_cbranch_scc1 .LBB1352_46
; %bb.1:
	s_load_dwordx8 s[8:15], s[0:1], 0x10
	s_load_dwordx2 s[20:21], s[0:1], 0x8
	s_load_dwordx2 s[4:5], s[0:1], 0x38
	s_mov_b32 s27, 0
	s_mov_b32 s23, s27
	s_waitcnt lgkmcnt(0)
	s_lshr_b32 s30, s14, 10
	s_cmp_lg_u32 s26, s30
	s_cselect_b64 s[18:19], -1, 0
	s_lshl_b64 s[0:1], s[26:27], 2
	s_add_u32 s0, s4, s0
	s_addc_u32 s1, s5, s1
	s_load_dwordx2 s[4:5], s[0:1], 0x0
	s_lshr_b32 s0, s15, 9
	s_and_b32 s0, s0, 0x7ffffe
	s_sub_i32 s0, 0, s0
	s_and_b32 s1, s26, s0
	s_lshl_b32 s3, s1, 10
	s_lshl_b32 s16, s26, 10
	;; [unrolled: 1-line block ×3, first 2 shown]
	s_sub_i32 s6, s16, s3
	s_add_i32 s1, s1, s15
	s_add_i32 s6, s1, s6
	s_waitcnt lgkmcnt(0)
	s_sub_i32 s7, s6, s4
	s_sub_i32 s6, s6, s5
	;; [unrolled: 1-line block ×3, first 2 shown]
	s_min_u32 s22, s14, s7
	s_addk_i32 s6, 0x400
	s_or_b32 s0, s26, s0
	s_min_u32 s3, s14, s1
	s_add_i32 s1, s1, s15
	s_cmp_eq_u32 s0, -1
	s_cselect_b32 s0, s1, s6
	s_cselect_b32 s1, s3, s5
	s_mov_b32 s5, s27
	s_min_u32 s29, s0, s14
	s_sub_i32 s15, s1, s4
	s_lshl_b64 s[0:1], s[4:5], 2
	s_add_u32 s6, s20, s0
	s_addc_u32 s7, s21, s1
	s_lshl_b64 s[4:5], s[22:23], 2
	s_add_u32 s20, s20, s4
	s_addc_u32 s21, s21, s5
	s_cmp_lt_u32 s2, s28
	v_mov_b32_e32 v11, 0
	s_cselect_b32 s2, 12, 18
	global_load_dword v1, v11, s[24:25] offset:14
	s_add_u32 s2, s24, s2
	s_addc_u32 s3, s25, 0
	global_load_ushort v2, v11, s[2:3]
	s_cmp_eq_u32 s26, s30
	v_lshlrev_b32_e32 v10, 2, v0
	s_waitcnt vmcnt(1)
	v_lshrrev_b32_e32 v3, 16, v1
	v_and_b32_e32 v1, 0xffff, v1
	v_mul_lo_u32 v1, v1, v3
	s_waitcnt vmcnt(0)
	v_mul_lo_u32 v1, v1, v2
	v_add_u32_e32 v14, v1, v0
	v_add_u32_e32 v12, v14, v1
	s_cbranch_scc1 .LBB1352_3
; %bb.2:
	v_subrev_co_u32_e32 v4, vcc, s15, v0
	v_mov_b32_e32 v5, v11
	v_lshl_add_u64 v[2:3], s[6:7], 0, v[10:11]
	v_lshl_add_u64 v[4:5], v[4:5], 2, s[20:21]
	v_cndmask_b32_e32 v3, v5, v3, vcc
	v_cndmask_b32_e32 v2, v4, v2, vcc
	global_load_dword v2, v[2:3], off
	v_mov_b32_e32 v15, v11
	v_subrev_co_u32_e32 v6, vcc, s15, v14
	v_mov_b32_e32 v7, v11
	v_lshl_add_u64 v[4:5], v[14:15], 2, s[6:7]
	v_lshl_add_u64 v[6:7], v[6:7], 2, s[20:21]
	v_cndmask_b32_e32 v5, v7, v5, vcc
	v_cndmask_b32_e32 v4, v6, v4, vcc
	v_mov_b32_e32 v13, v11
	v_subrev_co_u32_e32 v6, vcc, s15, v12
	v_mov_b32_e32 v7, v11
	global_load_dword v3, v[4:5], off
	v_lshl_add_u64 v[4:5], v[12:13], 2, s[6:7]
	v_lshl_add_u64 v[6:7], v[6:7], 2, s[20:21]
	v_cndmask_b32_e32 v5, v7, v5, vcc
	v_cndmask_b32_e32 v4, v6, v4, vcc
	global_load_dword v4, v[4:5], off
	v_add_u32_e32 v6, v12, v1
	s_mov_b64 s[2:3], -1
	s_sub_i32 s24, s29, s22
	s_cbranch_execz .LBB1352_4
	s_branch .LBB1352_9
.LBB1352_3:
	s_mov_b64 s[2:3], 0
                                        ; implicit-def: $vgpr6
                                        ; implicit-def: $vgpr2_vgpr3_vgpr4_vgpr5
	s_sub_i32 s24, s29, s22
.LBB1352_4:
	s_add_i32 s22, s24, s15
	s_waitcnt vmcnt(2)
	v_mov_b32_e32 v2, 0
	v_cmp_gt_u32_e32 vcc, s22, v0
	s_waitcnt vmcnt(1)
	v_mov_b32_e32 v3, v2
	s_waitcnt vmcnt(0)
	v_mov_b32_e32 v4, v2
	v_mov_b32_e32 v5, v2
	s_and_saveexec_b64 s[2:3], vcc
	s_cbranch_execnz .LBB1352_47
; %bb.5:
	s_or_b64 exec, exec, s[2:3]
	v_cmp_gt_u32_e32 vcc, s22, v14
	s_and_saveexec_b64 s[2:3], vcc
	s_cbranch_execnz .LBB1352_48
.LBB1352_6:
	s_or_b64 exec, exec, s[2:3]
	v_cmp_gt_u32_e32 vcc, s22, v12
	s_and_saveexec_b64 s[2:3], vcc
	s_cbranch_execz .LBB1352_8
.LBB1352_7:
	v_mov_b32_e32 v13, 0
	v_subrev_co_u32_e32 v8, vcc, s15, v12
	v_mov_b32_e32 v9, v13
	v_lshl_add_u64 v[6:7], v[12:13], 2, s[6:7]
	v_lshl_add_u64 v[8:9], v[8:9], 2, s[20:21]
	v_cndmask_b32_e32 v7, v9, v7, vcc
	v_cndmask_b32_e32 v6, v8, v6, vcc
	global_load_dword v4, v[6:7], off
.LBB1352_8:
	s_or_b64 exec, exec, s[2:3]
	v_add_u32_e32 v6, v12, v1
	v_cmp_gt_u32_e64 s[2:3], s22, v6
.LBB1352_9:
	s_and_saveexec_b64 s[22:23], s[2:3]
	s_cbranch_execz .LBB1352_11
; %bb.10:
	v_mov_b32_e32 v7, 0
	v_lshl_add_u64 v[8:9], v[6:7], 2, s[6:7]
	v_subrev_co_u32_e32 v6, vcc, s15, v6
	v_lshl_add_u64 v[6:7], v[6:7], 2, s[20:21]
	s_nop 0
	v_cndmask_b32_e32 v7, v7, v9, vcc
	v_cndmask_b32_e32 v6, v6, v8, vcc
	global_load_dword v5, v[6:7], off
.LBB1352_11:
	s_or_b64 exec, exec, s[22:23]
	s_add_u32 s0, s10, s0
	s_addc_u32 s1, s11, s1
	s_add_u32 s2, s10, s4
	v_mov_b32_e32 v11, 0
	s_addc_u32 s3, s11, s5
	s_andn2_b64 vcc, exec, s[18:19]
	s_waitcnt vmcnt(0)
	ds_write2st64_b32 v10, v2, v3 offset1:4
	ds_write2st64_b32 v10, v4, v5 offset0:8 offset1:12
	s_cbranch_vccnz .LBB1352_13
; %bb.12:
	v_subrev_co_u32_e32 v8, vcc, s15, v0
	v_mov_b32_e32 v9, v11
	v_lshl_add_u64 v[6:7], s[0:1], 0, v[10:11]
	v_lshl_add_u64 v[8:9], v[8:9], 2, s[2:3]
	v_cndmask_b32_e32 v7, v9, v7, vcc
	v_cndmask_b32_e32 v6, v8, v6, vcc
	v_mov_b32_e32 v15, v11
	v_subrev_co_u32_e32 v16, vcc, s15, v14
	v_mov_b32_e32 v17, v11
	v_lshl_add_u64 v[8:9], v[14:15], 2, s[0:1]
	v_lshl_add_u64 v[16:17], v[16:17], 2, s[2:3]
	v_cndmask_b32_e32 v9, v17, v9, vcc
	v_cndmask_b32_e32 v8, v16, v8, vcc
	v_mov_b32_e32 v13, v11
	v_subrev_co_u32_e32 v16, vcc, s15, v12
	v_mov_b32_e32 v17, v11
	global_load_dword v6, v[6:7], off
	v_lshl_add_u64 v[16:17], v[16:17], 2, s[2:3]
	global_load_dword v7, v[8:9], off
	v_lshl_add_u64 v[8:9], v[12:13], 2, s[0:1]
	v_cndmask_b32_e32 v9, v17, v9, vcc
	v_cndmask_b32_e32 v8, v16, v8, vcc
	v_add_u32_e32 v16, v12, v1
	v_mov_b32_e32 v17, v11
	v_lshl_add_u64 v[18:19], v[16:17], 2, s[0:1]
	v_subrev_co_u32_e32 v16, vcc, s15, v16
	v_lshl_add_u64 v[16:17], v[16:17], 2, s[2:3]
	s_nop 0
	v_cndmask_b32_e32 v17, v17, v19, vcc
	v_cndmask_b32_e32 v16, v16, v18, vcc
	global_load_dword v8, v[8:9], off
	s_add_i32 s20, s24, s15
	global_load_dword v9, v[16:17], off
	s_cbranch_execz .LBB1352_14
	s_branch .LBB1352_21
.LBB1352_13:
                                        ; implicit-def: $vgpr6_vgpr7_vgpr8_vgpr9
                                        ; implicit-def: $sgpr20
.LBB1352_14:
	s_add_i32 s20, s24, s15
	s_waitcnt vmcnt(3)
	v_mov_b32_e32 v6, 0
	v_cmp_gt_u32_e32 vcc, s20, v0
	s_waitcnt vmcnt(2)
	v_mov_b32_e32 v7, v6
	s_waitcnt vmcnt(1)
	v_mov_b32_e32 v8, v6
	;; [unrolled: 2-line block ×3, first 2 shown]
	s_and_saveexec_b64 s[4:5], vcc
	s_cbranch_execnz .LBB1352_49
; %bb.15:
	s_or_b64 exec, exec, s[4:5]
	v_cmp_gt_u32_e32 vcc, s20, v14
	s_and_saveexec_b64 s[4:5], vcc
	s_cbranch_execnz .LBB1352_50
.LBB1352_16:
	s_or_b64 exec, exec, s[4:5]
	v_cmp_gt_u32_e32 vcc, s20, v12
	s_and_saveexec_b64 s[4:5], vcc
	s_cbranch_execz .LBB1352_18
.LBB1352_17:
	v_mov_b32_e32 v13, 0
	v_subrev_co_u32_e32 v16, vcc, s15, v12
	v_mov_b32_e32 v17, v13
	v_lshl_add_u64 v[14:15], v[12:13], 2, s[0:1]
	v_lshl_add_u64 v[16:17], v[16:17], 2, s[2:3]
	v_cndmask_b32_e32 v15, v17, v15, vcc
	v_cndmask_b32_e32 v14, v16, v14, vcc
	global_load_dword v8, v[14:15], off
.LBB1352_18:
	s_or_b64 exec, exec, s[4:5]
	v_add_u32_e32 v12, v12, v1
	v_cmp_gt_u32_e32 vcc, s20, v12
	s_and_saveexec_b64 s[4:5], vcc
	s_cbranch_execz .LBB1352_20
; %bb.19:
	v_mov_b32_e32 v13, 0
	v_lshl_add_u64 v[14:15], v[12:13], 2, s[0:1]
	v_subrev_co_u32_e32 v12, vcc, s15, v12
	v_lshl_add_u64 v[12:13], v[12:13], 2, s[2:3]
	s_nop 0
	v_cndmask_b32_e32 v13, v13, v15, vcc
	v_cndmask_b32_e32 v12, v12, v14, vcc
	global_load_dword v9, v[12:13], off
.LBB1352_20:
	s_or_b64 exec, exec, s[4:5]
.LBB1352_21:
	v_min_u32_e32 v11, s20, v10
	v_sub_u32_e64 v1, v11, s24 clamp
	v_min_u32_e32 v12, s15, v11
	v_cmp_lt_u32_e32 vcc, v1, v12
	s_waitcnt lgkmcnt(0)
	s_barrier
	s_and_saveexec_b64 s[0:1], vcc
	s_cbranch_execz .LBB1352_25
; %bb.22:
	v_lshlrev_b32_e32 v13, 2, v11
	v_lshl_add_u32 v13, s15, 2, v13
	s_mov_b64 s[2:3], 0
.LBB1352_23:                            ; =>This Inner Loop Header: Depth=1
	v_add_u32_e32 v14, v12, v1
	v_lshrrev_b32_e32 v14, 1, v14
	v_not_b32_e32 v15, v14
	v_lshlrev_b32_e32 v16, 2, v14
	v_lshl_add_u32 v15, v15, 2, v13
	ds_read_b32 v16, v16
	ds_read_b32 v15, v15
	v_add_u32_e32 v17, 1, v14
	s_waitcnt lgkmcnt(1)
	v_and_b32_e32 v16, s17, v16
	s_waitcnt lgkmcnt(0)
	v_and_b32_e32 v15, s17, v15
	v_cmp_gt_i32_e32 vcc, v16, v15
	s_nop 1
	v_cndmask_b32_e32 v12, v12, v14, vcc
	v_cndmask_b32_e32 v1, v17, v1, vcc
	v_cmp_ge_u32_e32 vcc, v1, v12
	s_or_b64 s[2:3], vcc, s[2:3]
	s_andn2_b64 exec, exec, s[2:3]
	s_cbranch_execnz .LBB1352_23
; %bb.24:
	s_or_b64 exec, exec, s[2:3]
.LBB1352_25:
	s_or_b64 exec, exec, s[0:1]
	v_sub_u32_e32 v11, v11, v1
	v_add_u32_e32 v14, s15, v11
	v_cmp_ge_u32_e32 vcc, s15, v1
	v_cmp_ge_u32_e64 s[0:1], s20, v14
	s_or_b64 s[0:1], vcc, s[0:1]
	v_mov_b32_e32 v15, 0
	v_mov_b32_e32 v13, 0
	v_mov_b32_e32 v12, 0
	v_mov_b32_e32 v11, 0
	s_and_saveexec_b64 s[10:11], s[0:1]
	s_cbranch_execz .LBB1352_31
; %bb.26:
	v_cmp_gt_u32_e32 vcc, s15, v1
                                        ; implicit-def: $vgpr2
	s_and_saveexec_b64 s[0:1], vcc
; %bb.27:
	v_lshlrev_b32_e32 v2, 2, v1
	ds_read_b32 v2, v2
; %bb.28:
	s_or_b64 exec, exec, s[0:1]
	v_cmp_le_u32_e64 s[0:1], s20, v14
	v_cmp_gt_u32_e64 s[2:3], s20, v14
                                        ; implicit-def: $vgpr3
	s_and_saveexec_b64 s[4:5], s[2:3]
; %bb.29:
	v_lshlrev_b32_e32 v3, 2, v14
	ds_read_b32 v3, v3
; %bb.30:
	s_or_b64 exec, exec, s[4:5]
	s_waitcnt lgkmcnt(0)
	v_and_b32_e32 v4, s17, v3
	v_and_b32_e32 v5, s17, v2
	v_cmp_le_i32_e64 s[2:3], v5, v4
	s_and_b64 s[2:3], vcc, s[2:3]
	s_or_b64 vcc, s[0:1], s[2:3]
	v_mov_b32_e32 v4, s20
	v_mov_b32_e32 v5, s15
	v_cndmask_b32_e32 v11, v14, v1, vcc
	v_cndmask_b32_e32 v12, v4, v5, vcc
	v_add_u32_e32 v13, 1, v11
	v_add_u32_e32 v12, -1, v12
	v_min_u32_e32 v12, v13, v12
	v_lshlrev_b32_e32 v12, 2, v12
	ds_read_b32 v12, v12
	v_cndmask_b32_e32 v14, v13, v14, vcc
	v_cndmask_b32_e32 v1, v1, v13, vcc
	v_cmp_gt_u32_e64 s[2:3], s15, v1
	v_cmp_le_u32_e64 s[0:1], s20, v14
	s_waitcnt lgkmcnt(0)
	v_cndmask_b32_e32 v15, v12, v3, vcc
	v_cndmask_b32_e32 v16, v2, v12, vcc
	v_and_b32_e32 v12, s17, v15
	v_and_b32_e32 v13, s17, v16
	v_cmp_le_i32_e64 s[4:5], v13, v12
	s_and_b64 s[2:3], s[2:3], s[4:5]
	s_or_b64 s[0:1], s[0:1], s[2:3]
	v_cndmask_b32_e64 v12, v14, v1, s[0:1]
	v_cndmask_b32_e64 v13, v4, v5, s[0:1]
	v_add_u32_e32 v17, 1, v12
	v_add_u32_e32 v13, -1, v13
	v_min_u32_e32 v13, v17, v13
	v_lshlrev_b32_e32 v13, 2, v13
	ds_read_b32 v13, v13
	v_cndmask_b32_e64 v14, v17, v14, s[0:1]
	v_cndmask_b32_e64 v1, v1, v17, s[0:1]
	v_cmp_gt_u32_e64 s[4:5], s15, v1
	v_cmp_le_u32_e64 s[2:3], s20, v14
	s_waitcnt lgkmcnt(0)
	v_cndmask_b32_e64 v18, v13, v15, s[0:1]
	v_cndmask_b32_e64 v19, v16, v13, s[0:1]
	v_and_b32_e32 v13, s17, v18
	v_and_b32_e32 v17, s17, v19
	v_cmp_le_i32_e64 s[6:7], v17, v13
	s_and_b64 s[4:5], s[4:5], s[6:7]
	s_or_b64 s[2:3], s[2:3], s[4:5]
	v_cndmask_b32_e64 v13, v14, v1, s[2:3]
	v_cndmask_b32_e64 v4, v4, v5, s[2:3]
	v_add_u32_e32 v5, 1, v13
	v_add_u32_e32 v4, -1, v4
	v_min_u32_e32 v4, v5, v4
	v_lshlrev_b32_e32 v4, 2, v4
	ds_read_b32 v17, v4
	v_cndmask_b32_e32 v2, v3, v2, vcc
	v_cndmask_b32_e64 v3, v15, v16, s[0:1]
	v_cndmask_b32_e64 v14, v5, v14, s[2:3]
	v_cndmask_b32_e64 v1, v1, v5, s[2:3]
	s_waitcnt lgkmcnt(0)
	v_cndmask_b32_e64 v16, v17, v18, s[2:3]
	v_cndmask_b32_e64 v17, v19, v17, s[2:3]
	v_and_b32_e32 v5, s17, v16
	v_and_b32_e32 v15, s17, v17
	v_cndmask_b32_e64 v4, v18, v19, s[2:3]
	v_cmp_gt_u32_e64 s[0:1], s15, v1
	v_cmp_le_i32_e64 s[2:3], v15, v5
	v_cmp_le_u32_e32 vcc, s20, v14
	s_and_b64 s[0:1], s[0:1], s[2:3]
	s_or_b64 vcc, vcc, s[0:1]
	v_cndmask_b32_e32 v15, v14, v1, vcc
	v_cndmask_b32_e32 v5, v16, v17, vcc
.LBB1352_31:
	s_or_b64 exec, exec, s[10:11]
	s_barrier
	s_waitcnt vmcnt(0)
	ds_write2st64_b32 v10, v6, v7 offset1:4
	ds_write2st64_b32 v10, v8, v9 offset0:8 offset1:12
	v_lshlrev_b32_e32 v1, 2, v11
	v_lshrrev_b32_e32 v11, 3, v0
	v_lshlrev_b32_e32 v9, 2, v10
	v_lshlrev_b32_e32 v6, 2, v12
	v_lshlrev_b32_e32 v7, 2, v13
	v_lshlrev_b32_e32 v8, 2, v15
	v_lshl_add_u32 v9, v11, 2, v9
	s_waitcnt lgkmcnt(0)
	s_barrier
	ds_read_b32 v1, v1
	ds_read_b32 v6, v6
	;; [unrolled: 1-line block ×4, first 2 shown]
	s_waitcnt lgkmcnt(0)
	s_barrier
	s_barrier
	ds_write2_b32 v9, v2, v3 offset1:1
	ds_write2_b32 v9, v4, v5 offset0:2 offset1:3
	v_and_b32_e32 v2, 28, v11
	v_or_b32_e32 v16, 0x100, v0
	v_add_u32_e32 v4, v2, v10
	v_lshrrev_b32_e32 v2, 3, v16
	v_and_b32_e32 v2, 60, v2
	v_or_b32_e32 v15, 0x200, v0
	s_mov_b32 s17, 0
	v_add_u32_e32 v5, v2, v10
	v_lshrrev_b32_e32 v2, 3, v15
	s_lshl_b64 s[4:5], s[16:17], 2
	v_and_b32_e32 v2, 0x5c, v2
	v_or_b32_e32 v14, 0x300, v0
	s_add_u32 s0, s8, s4
	v_add_u32_e32 v12, v2, v10
	v_lshrrev_b32_e32 v2, 3, v14
	s_addc_u32 s1, s9, s5
	v_and_b32_e32 v2, 0x7c, v2
	v_mov_b32_e32 v11, 0
	v_add_u32_e32 v13, v2, v10
	v_lshl_add_u64 v[2:3], s[0:1], 0, v[10:11]
	s_and_b64 vcc, exec, s[18:19]
	s_waitcnt lgkmcnt(0)
	s_cbranch_vccz .LBB1352_33
; %bb.32:
	s_barrier
	ds_read_b32 v11, v4
	ds_read_b32 v17, v5 offset:1024
	ds_read_b32 v18, v12 offset:2048
	;; [unrolled: 1-line block ×3, first 2 shown]
	s_add_u32 s0, s12, s4
	s_addc_u32 s1, s13, s5
	s_waitcnt lgkmcnt(3)
	global_store_dword v[2:3], v11, off
	s_waitcnt lgkmcnt(2)
	global_store_dword v[2:3], v17, off offset:1024
	s_waitcnt lgkmcnt(1)
	global_store_dword v[2:3], v18, off offset:2048
	;; [unrolled: 2-line block ×3, first 2 shown]
	s_barrier
	ds_write2_b32 v9, v1, v6 offset1:1
	ds_write2_b32 v9, v7, v8 offset0:2 offset1:3
	s_waitcnt lgkmcnt(0)
	s_barrier
	ds_read_b32 v11, v4
	ds_read_b32 v18, v5 offset:1024
	ds_read_b32 v19, v12 offset:2048
	ds_read_b32 v17, v13 offset:3072
	s_waitcnt lgkmcnt(3)
	global_store_dword v10, v11, s[0:1]
	s_waitcnt lgkmcnt(2)
	global_store_dword v10, v18, s[0:1] offset:1024
	s_waitcnt lgkmcnt(1)
	global_store_dword v10, v19, s[0:1] offset:2048
	s_mov_b64 s[6:7], -1
	s_cbranch_execz .LBB1352_34
	s_branch .LBB1352_44
.LBB1352_33:
	s_mov_b64 s[6:7], 0
                                        ; implicit-def: $vgpr17
.LBB1352_34:
	s_barrier
	s_waitcnt lgkmcnt(0)
	ds_read_b32 v18, v5 offset:1024
	ds_read_b32 v17, v12 offset:2048
	;; [unrolled: 1-line block ×3, first 2 shown]
	s_sub_i32 s8, s14, s16
	v_cmp_gt_u32_e32 vcc, s8, v0
	s_and_saveexec_b64 s[0:1], vcc
	s_cbranch_execnz .LBB1352_51
; %bb.35:
	s_or_b64 exec, exec, s[0:1]
	v_cmp_gt_u32_e64 s[0:1], s8, v16
	s_and_saveexec_b64 s[2:3], s[0:1]
	s_cbranch_execnz .LBB1352_52
.LBB1352_36:
	s_or_b64 exec, exec, s[2:3]
	v_cmp_gt_u32_e64 s[2:3], s8, v15
	s_and_saveexec_b64 s[6:7], s[2:3]
	s_cbranch_execnz .LBB1352_53
.LBB1352_37:
	s_or_b64 exec, exec, s[6:7]
	v_cmp_gt_u32_e64 s[6:7], s8, v14
	s_and_saveexec_b64 s[8:9], s[6:7]
	s_cbranch_execz .LBB1352_39
.LBB1352_38:
	s_waitcnt lgkmcnt(0)
	global_store_dword v[2:3], v11, off offset:3072
.LBB1352_39:
	s_or_b64 exec, exec, s[8:9]
	s_waitcnt lgkmcnt(0)
	s_barrier
	ds_write2_b32 v9, v1, v6 offset1:1
	ds_write2_b32 v9, v7, v8 offset0:2 offset1:3
	s_waitcnt lgkmcnt(0)
	s_barrier
	ds_read_b32 v3, v5 offset:1024
	ds_read_b32 v2, v12 offset:2048
	;; [unrolled: 1-line block ×3, first 2 shown]
	s_add_u32 s8, s12, s4
	s_addc_u32 s9, s13, s5
	v_mov_b32_e32 v11, 0
	v_lshl_add_u64 v[0:1], s[8:9], 0, v[10:11]
	s_and_saveexec_b64 s[8:9], vcc
	s_cbranch_execnz .LBB1352_54
; %bb.40:
	s_or_b64 exec, exec, s[8:9]
	s_and_saveexec_b64 s[8:9], s[0:1]
	s_cbranch_execnz .LBB1352_55
.LBB1352_41:
	s_or_b64 exec, exec, s[8:9]
	s_and_saveexec_b64 s[0:1], s[2:3]
	s_cbranch_execz .LBB1352_43
.LBB1352_42:
	s_waitcnt lgkmcnt(1)
	global_store_dword v[0:1], v2, off offset:2048
.LBB1352_43:
	s_or_b64 exec, exec, s[0:1]
.LBB1352_44:
	s_and_saveexec_b64 s[0:1], s[6:7]
	s_cbranch_execz .LBB1352_46
; %bb.45:
	s_add_u32 s0, s12, s4
	s_addc_u32 s1, s13, s5
	s_waitcnt lgkmcnt(0)
	global_store_dword v10, v17, s[0:1] offset:3072
.LBB1352_46:
	s_endpgm
.LBB1352_47:
	v_mov_b32_e32 v11, v2
	v_subrev_co_u32_e32 v6, vcc, s15, v0
	v_mov_b32_e32 v7, v2
	v_lshl_add_u64 v[4:5], s[6:7], 0, v[10:11]
	v_lshl_add_u64 v[6:7], v[6:7], 2, s[20:21]
	v_cndmask_b32_e32 v5, v7, v5, vcc
	v_cndmask_b32_e32 v4, v6, v4, vcc
	global_load_dword v4, v[4:5], off
	v_mov_b32_e32 v5, v2
	v_mov_b32_e32 v6, v2
	;; [unrolled: 1-line block ×3, first 2 shown]
	s_waitcnt vmcnt(0)
	v_mov_b64_e32 v[2:3], v[4:5]
	v_mov_b64_e32 v[4:5], v[6:7]
	s_or_b64 exec, exec, s[2:3]
	v_cmp_gt_u32_e32 vcc, s22, v14
	s_and_saveexec_b64 s[2:3], vcc
	s_cbranch_execz .LBB1352_6
.LBB1352_48:
	v_mov_b32_e32 v15, 0
	v_subrev_co_u32_e32 v8, vcc, s15, v14
	v_mov_b32_e32 v9, v15
	v_lshl_add_u64 v[6:7], v[14:15], 2, s[6:7]
	v_lshl_add_u64 v[8:9], v[8:9], 2, s[20:21]
	v_cndmask_b32_e32 v7, v9, v7, vcc
	v_cndmask_b32_e32 v6, v8, v6, vcc
	global_load_dword v3, v[6:7], off
	s_or_b64 exec, exec, s[2:3]
	v_cmp_gt_u32_e32 vcc, s22, v12
	s_and_saveexec_b64 s[2:3], vcc
	s_cbranch_execnz .LBB1352_7
	s_branch .LBB1352_8
.LBB1352_49:
	v_mov_b32_e32 v11, v6
	v_subrev_co_u32_e32 v16, vcc, s15, v0
	v_mov_b32_e32 v17, v6
	v_lshl_add_u64 v[8:9], s[0:1], 0, v[10:11]
	v_lshl_add_u64 v[16:17], v[16:17], 2, s[2:3]
	v_cndmask_b32_e32 v9, v17, v9, vcc
	v_cndmask_b32_e32 v8, v16, v8, vcc
	global_load_dword v16, v[8:9], off
	v_mov_b32_e32 v17, v6
	v_mov_b32_e32 v18, v6
	;; [unrolled: 1-line block ×3, first 2 shown]
	s_waitcnt vmcnt(0)
	v_mov_b64_e32 v[6:7], v[16:17]
	v_mov_b64_e32 v[8:9], v[18:19]
	s_or_b64 exec, exec, s[4:5]
	v_cmp_gt_u32_e32 vcc, s20, v14
	s_and_saveexec_b64 s[4:5], vcc
	s_cbranch_execz .LBB1352_16
.LBB1352_50:
	v_mov_b32_e32 v15, 0
	v_lshl_add_u64 v[16:17], v[14:15], 2, s[0:1]
	v_subrev_co_u32_e32 v14, vcc, s15, v14
	v_lshl_add_u64 v[14:15], v[14:15], 2, s[2:3]
	s_nop 0
	v_cndmask_b32_e32 v15, v15, v17, vcc
	v_cndmask_b32_e32 v14, v14, v16, vcc
	global_load_dword v7, v[14:15], off
	s_or_b64 exec, exec, s[4:5]
	v_cmp_gt_u32_e32 vcc, s20, v12
	s_and_saveexec_b64 s[4:5], vcc
	s_cbranch_execnz .LBB1352_17
	s_branch .LBB1352_18
.LBB1352_51:
	ds_read_b32 v0, v4
	s_waitcnt lgkmcnt(0)
	global_store_dword v[2:3], v0, off
	s_or_b64 exec, exec, s[0:1]
	v_cmp_gt_u32_e64 s[0:1], s8, v16
	s_and_saveexec_b64 s[2:3], s[0:1]
	s_cbranch_execz .LBB1352_36
.LBB1352_52:
	s_waitcnt lgkmcnt(2)
	global_store_dword v[2:3], v18, off offset:1024
	s_or_b64 exec, exec, s[2:3]
	v_cmp_gt_u32_e64 s[2:3], s8, v15
	s_and_saveexec_b64 s[6:7], s[2:3]
	s_cbranch_execz .LBB1352_37
.LBB1352_53:
	s_waitcnt lgkmcnt(1)
	global_store_dword v[2:3], v17, off offset:2048
	s_or_b64 exec, exec, s[6:7]
	v_cmp_gt_u32_e64 s[6:7], s8, v14
	s_and_saveexec_b64 s[8:9], s[6:7]
	s_cbranch_execnz .LBB1352_38
	s_branch .LBB1352_39
.LBB1352_54:
	ds_read_b32 v4, v4
	s_waitcnt lgkmcnt(0)
	global_store_dword v[0:1], v4, off
	s_or_b64 exec, exec, s[8:9]
	s_and_saveexec_b64 s[8:9], s[0:1]
	s_cbranch_execz .LBB1352_41
.LBB1352_55:
	s_waitcnt lgkmcnt(2)
	global_store_dword v[0:1], v3, off offset:1024
	s_or_b64 exec, exec, s[8:9]
	s_and_saveexec_b64 s[0:1], s[2:3]
	s_cbranch_execnz .LBB1352_42
	s_branch .LBB1352_43
	.section	.rodata,"a",@progbits
	.p2align	6, 0x0
	.amdhsa_kernel _ZN7rocprim17ROCPRIM_400000_NS6detail17trampoline_kernelINS0_14default_configENS1_38merge_sort_block_merge_config_selectorIiiEEZZNS1_27merge_sort_block_merge_implIS3_N6thrust23THRUST_200600_302600_NS6detail15normal_iteratorINS8_10device_ptrIiEEEESD_jNS1_19radix_merge_compareILb0ELb1EiNS0_19identity_decomposerEEEEE10hipError_tT0_T1_T2_jT3_P12ihipStream_tbPNSt15iterator_traitsISI_E10value_typeEPNSO_ISJ_E10value_typeEPSK_NS1_7vsmem_tEENKUlT_SI_SJ_SK_E_clIPiSD_S10_SD_EESH_SX_SI_SJ_SK_EUlSX_E0_NS1_11comp_targetILNS1_3genE0ELNS1_11target_archE4294967295ELNS1_3gpuE0ELNS1_3repE0EEENS1_38merge_mergepath_config_static_selectorELNS0_4arch9wavefront6targetE1EEEvSJ_
		.amdhsa_group_segment_fixed_size 4224
		.amdhsa_private_segment_fixed_size 0
		.amdhsa_kernarg_size 320
		.amdhsa_user_sgpr_count 2
		.amdhsa_user_sgpr_dispatch_ptr 0
		.amdhsa_user_sgpr_queue_ptr 0
		.amdhsa_user_sgpr_kernarg_segment_ptr 1
		.amdhsa_user_sgpr_dispatch_id 0
		.amdhsa_user_sgpr_kernarg_preload_length 0
		.amdhsa_user_sgpr_kernarg_preload_offset 0
		.amdhsa_user_sgpr_private_segment_size 0
		.amdhsa_uses_dynamic_stack 0
		.amdhsa_enable_private_segment 0
		.amdhsa_system_sgpr_workgroup_id_x 1
		.amdhsa_system_sgpr_workgroup_id_y 1
		.amdhsa_system_sgpr_workgroup_id_z 1
		.amdhsa_system_sgpr_workgroup_info 0
		.amdhsa_system_vgpr_workitem_id 0
		.amdhsa_next_free_vgpr 20
		.amdhsa_next_free_sgpr 31
		.amdhsa_accum_offset 20
		.amdhsa_reserve_vcc 1
		.amdhsa_float_round_mode_32 0
		.amdhsa_float_round_mode_16_64 0
		.amdhsa_float_denorm_mode_32 3
		.amdhsa_float_denorm_mode_16_64 3
		.amdhsa_dx10_clamp 1
		.amdhsa_ieee_mode 1
		.amdhsa_fp16_overflow 0
		.amdhsa_tg_split 0
		.amdhsa_exception_fp_ieee_invalid_op 0
		.amdhsa_exception_fp_denorm_src 0
		.amdhsa_exception_fp_ieee_div_zero 0
		.amdhsa_exception_fp_ieee_overflow 0
		.amdhsa_exception_fp_ieee_underflow 0
		.amdhsa_exception_fp_ieee_inexact 0
		.amdhsa_exception_int_div_zero 0
	.end_amdhsa_kernel
	.section	.text._ZN7rocprim17ROCPRIM_400000_NS6detail17trampoline_kernelINS0_14default_configENS1_38merge_sort_block_merge_config_selectorIiiEEZZNS1_27merge_sort_block_merge_implIS3_N6thrust23THRUST_200600_302600_NS6detail15normal_iteratorINS8_10device_ptrIiEEEESD_jNS1_19radix_merge_compareILb0ELb1EiNS0_19identity_decomposerEEEEE10hipError_tT0_T1_T2_jT3_P12ihipStream_tbPNSt15iterator_traitsISI_E10value_typeEPNSO_ISJ_E10value_typeEPSK_NS1_7vsmem_tEENKUlT_SI_SJ_SK_E_clIPiSD_S10_SD_EESH_SX_SI_SJ_SK_EUlSX_E0_NS1_11comp_targetILNS1_3genE0ELNS1_11target_archE4294967295ELNS1_3gpuE0ELNS1_3repE0EEENS1_38merge_mergepath_config_static_selectorELNS0_4arch9wavefront6targetE1EEEvSJ_,"axG",@progbits,_ZN7rocprim17ROCPRIM_400000_NS6detail17trampoline_kernelINS0_14default_configENS1_38merge_sort_block_merge_config_selectorIiiEEZZNS1_27merge_sort_block_merge_implIS3_N6thrust23THRUST_200600_302600_NS6detail15normal_iteratorINS8_10device_ptrIiEEEESD_jNS1_19radix_merge_compareILb0ELb1EiNS0_19identity_decomposerEEEEE10hipError_tT0_T1_T2_jT3_P12ihipStream_tbPNSt15iterator_traitsISI_E10value_typeEPNSO_ISJ_E10value_typeEPSK_NS1_7vsmem_tEENKUlT_SI_SJ_SK_E_clIPiSD_S10_SD_EESH_SX_SI_SJ_SK_EUlSX_E0_NS1_11comp_targetILNS1_3genE0ELNS1_11target_archE4294967295ELNS1_3gpuE0ELNS1_3repE0EEENS1_38merge_mergepath_config_static_selectorELNS0_4arch9wavefront6targetE1EEEvSJ_,comdat
.Lfunc_end1352:
	.size	_ZN7rocprim17ROCPRIM_400000_NS6detail17trampoline_kernelINS0_14default_configENS1_38merge_sort_block_merge_config_selectorIiiEEZZNS1_27merge_sort_block_merge_implIS3_N6thrust23THRUST_200600_302600_NS6detail15normal_iteratorINS8_10device_ptrIiEEEESD_jNS1_19radix_merge_compareILb0ELb1EiNS0_19identity_decomposerEEEEE10hipError_tT0_T1_T2_jT3_P12ihipStream_tbPNSt15iterator_traitsISI_E10value_typeEPNSO_ISJ_E10value_typeEPSK_NS1_7vsmem_tEENKUlT_SI_SJ_SK_E_clIPiSD_S10_SD_EESH_SX_SI_SJ_SK_EUlSX_E0_NS1_11comp_targetILNS1_3genE0ELNS1_11target_archE4294967295ELNS1_3gpuE0ELNS1_3repE0EEENS1_38merge_mergepath_config_static_selectorELNS0_4arch9wavefront6targetE1EEEvSJ_, .Lfunc_end1352-_ZN7rocprim17ROCPRIM_400000_NS6detail17trampoline_kernelINS0_14default_configENS1_38merge_sort_block_merge_config_selectorIiiEEZZNS1_27merge_sort_block_merge_implIS3_N6thrust23THRUST_200600_302600_NS6detail15normal_iteratorINS8_10device_ptrIiEEEESD_jNS1_19radix_merge_compareILb0ELb1EiNS0_19identity_decomposerEEEEE10hipError_tT0_T1_T2_jT3_P12ihipStream_tbPNSt15iterator_traitsISI_E10value_typeEPNSO_ISJ_E10value_typeEPSK_NS1_7vsmem_tEENKUlT_SI_SJ_SK_E_clIPiSD_S10_SD_EESH_SX_SI_SJ_SK_EUlSX_E0_NS1_11comp_targetILNS1_3genE0ELNS1_11target_archE4294967295ELNS1_3gpuE0ELNS1_3repE0EEENS1_38merge_mergepath_config_static_selectorELNS0_4arch9wavefront6targetE1EEEvSJ_
                                        ; -- End function
	.set _ZN7rocprim17ROCPRIM_400000_NS6detail17trampoline_kernelINS0_14default_configENS1_38merge_sort_block_merge_config_selectorIiiEEZZNS1_27merge_sort_block_merge_implIS3_N6thrust23THRUST_200600_302600_NS6detail15normal_iteratorINS8_10device_ptrIiEEEESD_jNS1_19radix_merge_compareILb0ELb1EiNS0_19identity_decomposerEEEEE10hipError_tT0_T1_T2_jT3_P12ihipStream_tbPNSt15iterator_traitsISI_E10value_typeEPNSO_ISJ_E10value_typeEPSK_NS1_7vsmem_tEENKUlT_SI_SJ_SK_E_clIPiSD_S10_SD_EESH_SX_SI_SJ_SK_EUlSX_E0_NS1_11comp_targetILNS1_3genE0ELNS1_11target_archE4294967295ELNS1_3gpuE0ELNS1_3repE0EEENS1_38merge_mergepath_config_static_selectorELNS0_4arch9wavefront6targetE1EEEvSJ_.num_vgpr, 20
	.set _ZN7rocprim17ROCPRIM_400000_NS6detail17trampoline_kernelINS0_14default_configENS1_38merge_sort_block_merge_config_selectorIiiEEZZNS1_27merge_sort_block_merge_implIS3_N6thrust23THRUST_200600_302600_NS6detail15normal_iteratorINS8_10device_ptrIiEEEESD_jNS1_19radix_merge_compareILb0ELb1EiNS0_19identity_decomposerEEEEE10hipError_tT0_T1_T2_jT3_P12ihipStream_tbPNSt15iterator_traitsISI_E10value_typeEPNSO_ISJ_E10value_typeEPSK_NS1_7vsmem_tEENKUlT_SI_SJ_SK_E_clIPiSD_S10_SD_EESH_SX_SI_SJ_SK_EUlSX_E0_NS1_11comp_targetILNS1_3genE0ELNS1_11target_archE4294967295ELNS1_3gpuE0ELNS1_3repE0EEENS1_38merge_mergepath_config_static_selectorELNS0_4arch9wavefront6targetE1EEEvSJ_.num_agpr, 0
	.set _ZN7rocprim17ROCPRIM_400000_NS6detail17trampoline_kernelINS0_14default_configENS1_38merge_sort_block_merge_config_selectorIiiEEZZNS1_27merge_sort_block_merge_implIS3_N6thrust23THRUST_200600_302600_NS6detail15normal_iteratorINS8_10device_ptrIiEEEESD_jNS1_19radix_merge_compareILb0ELb1EiNS0_19identity_decomposerEEEEE10hipError_tT0_T1_T2_jT3_P12ihipStream_tbPNSt15iterator_traitsISI_E10value_typeEPNSO_ISJ_E10value_typeEPSK_NS1_7vsmem_tEENKUlT_SI_SJ_SK_E_clIPiSD_S10_SD_EESH_SX_SI_SJ_SK_EUlSX_E0_NS1_11comp_targetILNS1_3genE0ELNS1_11target_archE4294967295ELNS1_3gpuE0ELNS1_3repE0EEENS1_38merge_mergepath_config_static_selectorELNS0_4arch9wavefront6targetE1EEEvSJ_.numbered_sgpr, 31
	.set _ZN7rocprim17ROCPRIM_400000_NS6detail17trampoline_kernelINS0_14default_configENS1_38merge_sort_block_merge_config_selectorIiiEEZZNS1_27merge_sort_block_merge_implIS3_N6thrust23THRUST_200600_302600_NS6detail15normal_iteratorINS8_10device_ptrIiEEEESD_jNS1_19radix_merge_compareILb0ELb1EiNS0_19identity_decomposerEEEEE10hipError_tT0_T1_T2_jT3_P12ihipStream_tbPNSt15iterator_traitsISI_E10value_typeEPNSO_ISJ_E10value_typeEPSK_NS1_7vsmem_tEENKUlT_SI_SJ_SK_E_clIPiSD_S10_SD_EESH_SX_SI_SJ_SK_EUlSX_E0_NS1_11comp_targetILNS1_3genE0ELNS1_11target_archE4294967295ELNS1_3gpuE0ELNS1_3repE0EEENS1_38merge_mergepath_config_static_selectorELNS0_4arch9wavefront6targetE1EEEvSJ_.num_named_barrier, 0
	.set _ZN7rocprim17ROCPRIM_400000_NS6detail17trampoline_kernelINS0_14default_configENS1_38merge_sort_block_merge_config_selectorIiiEEZZNS1_27merge_sort_block_merge_implIS3_N6thrust23THRUST_200600_302600_NS6detail15normal_iteratorINS8_10device_ptrIiEEEESD_jNS1_19radix_merge_compareILb0ELb1EiNS0_19identity_decomposerEEEEE10hipError_tT0_T1_T2_jT3_P12ihipStream_tbPNSt15iterator_traitsISI_E10value_typeEPNSO_ISJ_E10value_typeEPSK_NS1_7vsmem_tEENKUlT_SI_SJ_SK_E_clIPiSD_S10_SD_EESH_SX_SI_SJ_SK_EUlSX_E0_NS1_11comp_targetILNS1_3genE0ELNS1_11target_archE4294967295ELNS1_3gpuE0ELNS1_3repE0EEENS1_38merge_mergepath_config_static_selectorELNS0_4arch9wavefront6targetE1EEEvSJ_.private_seg_size, 0
	.set _ZN7rocprim17ROCPRIM_400000_NS6detail17trampoline_kernelINS0_14default_configENS1_38merge_sort_block_merge_config_selectorIiiEEZZNS1_27merge_sort_block_merge_implIS3_N6thrust23THRUST_200600_302600_NS6detail15normal_iteratorINS8_10device_ptrIiEEEESD_jNS1_19radix_merge_compareILb0ELb1EiNS0_19identity_decomposerEEEEE10hipError_tT0_T1_T2_jT3_P12ihipStream_tbPNSt15iterator_traitsISI_E10value_typeEPNSO_ISJ_E10value_typeEPSK_NS1_7vsmem_tEENKUlT_SI_SJ_SK_E_clIPiSD_S10_SD_EESH_SX_SI_SJ_SK_EUlSX_E0_NS1_11comp_targetILNS1_3genE0ELNS1_11target_archE4294967295ELNS1_3gpuE0ELNS1_3repE0EEENS1_38merge_mergepath_config_static_selectorELNS0_4arch9wavefront6targetE1EEEvSJ_.uses_vcc, 1
	.set _ZN7rocprim17ROCPRIM_400000_NS6detail17trampoline_kernelINS0_14default_configENS1_38merge_sort_block_merge_config_selectorIiiEEZZNS1_27merge_sort_block_merge_implIS3_N6thrust23THRUST_200600_302600_NS6detail15normal_iteratorINS8_10device_ptrIiEEEESD_jNS1_19radix_merge_compareILb0ELb1EiNS0_19identity_decomposerEEEEE10hipError_tT0_T1_T2_jT3_P12ihipStream_tbPNSt15iterator_traitsISI_E10value_typeEPNSO_ISJ_E10value_typeEPSK_NS1_7vsmem_tEENKUlT_SI_SJ_SK_E_clIPiSD_S10_SD_EESH_SX_SI_SJ_SK_EUlSX_E0_NS1_11comp_targetILNS1_3genE0ELNS1_11target_archE4294967295ELNS1_3gpuE0ELNS1_3repE0EEENS1_38merge_mergepath_config_static_selectorELNS0_4arch9wavefront6targetE1EEEvSJ_.uses_flat_scratch, 0
	.set _ZN7rocprim17ROCPRIM_400000_NS6detail17trampoline_kernelINS0_14default_configENS1_38merge_sort_block_merge_config_selectorIiiEEZZNS1_27merge_sort_block_merge_implIS3_N6thrust23THRUST_200600_302600_NS6detail15normal_iteratorINS8_10device_ptrIiEEEESD_jNS1_19radix_merge_compareILb0ELb1EiNS0_19identity_decomposerEEEEE10hipError_tT0_T1_T2_jT3_P12ihipStream_tbPNSt15iterator_traitsISI_E10value_typeEPNSO_ISJ_E10value_typeEPSK_NS1_7vsmem_tEENKUlT_SI_SJ_SK_E_clIPiSD_S10_SD_EESH_SX_SI_SJ_SK_EUlSX_E0_NS1_11comp_targetILNS1_3genE0ELNS1_11target_archE4294967295ELNS1_3gpuE0ELNS1_3repE0EEENS1_38merge_mergepath_config_static_selectorELNS0_4arch9wavefront6targetE1EEEvSJ_.has_dyn_sized_stack, 0
	.set _ZN7rocprim17ROCPRIM_400000_NS6detail17trampoline_kernelINS0_14default_configENS1_38merge_sort_block_merge_config_selectorIiiEEZZNS1_27merge_sort_block_merge_implIS3_N6thrust23THRUST_200600_302600_NS6detail15normal_iteratorINS8_10device_ptrIiEEEESD_jNS1_19radix_merge_compareILb0ELb1EiNS0_19identity_decomposerEEEEE10hipError_tT0_T1_T2_jT3_P12ihipStream_tbPNSt15iterator_traitsISI_E10value_typeEPNSO_ISJ_E10value_typeEPSK_NS1_7vsmem_tEENKUlT_SI_SJ_SK_E_clIPiSD_S10_SD_EESH_SX_SI_SJ_SK_EUlSX_E0_NS1_11comp_targetILNS1_3genE0ELNS1_11target_archE4294967295ELNS1_3gpuE0ELNS1_3repE0EEENS1_38merge_mergepath_config_static_selectorELNS0_4arch9wavefront6targetE1EEEvSJ_.has_recursion, 0
	.set _ZN7rocprim17ROCPRIM_400000_NS6detail17trampoline_kernelINS0_14default_configENS1_38merge_sort_block_merge_config_selectorIiiEEZZNS1_27merge_sort_block_merge_implIS3_N6thrust23THRUST_200600_302600_NS6detail15normal_iteratorINS8_10device_ptrIiEEEESD_jNS1_19radix_merge_compareILb0ELb1EiNS0_19identity_decomposerEEEEE10hipError_tT0_T1_T2_jT3_P12ihipStream_tbPNSt15iterator_traitsISI_E10value_typeEPNSO_ISJ_E10value_typeEPSK_NS1_7vsmem_tEENKUlT_SI_SJ_SK_E_clIPiSD_S10_SD_EESH_SX_SI_SJ_SK_EUlSX_E0_NS1_11comp_targetILNS1_3genE0ELNS1_11target_archE4294967295ELNS1_3gpuE0ELNS1_3repE0EEENS1_38merge_mergepath_config_static_selectorELNS0_4arch9wavefront6targetE1EEEvSJ_.has_indirect_call, 0
	.section	.AMDGPU.csdata,"",@progbits
; Kernel info:
; codeLenInByte = 2952
; TotalNumSgprs: 37
; NumVgprs: 20
; NumAgprs: 0
; TotalNumVgprs: 20
; ScratchSize: 0
; MemoryBound: 0
; FloatMode: 240
; IeeeMode: 1
; LDSByteSize: 4224 bytes/workgroup (compile time only)
; SGPRBlocks: 4
; VGPRBlocks: 2
; NumSGPRsForWavesPerEU: 37
; NumVGPRsForWavesPerEU: 20
; AccumOffset: 20
; Occupancy: 8
; WaveLimiterHint : 1
; COMPUTE_PGM_RSRC2:SCRATCH_EN: 0
; COMPUTE_PGM_RSRC2:USER_SGPR: 2
; COMPUTE_PGM_RSRC2:TRAP_HANDLER: 0
; COMPUTE_PGM_RSRC2:TGID_X_EN: 1
; COMPUTE_PGM_RSRC2:TGID_Y_EN: 1
; COMPUTE_PGM_RSRC2:TGID_Z_EN: 1
; COMPUTE_PGM_RSRC2:TIDIG_COMP_CNT: 0
; COMPUTE_PGM_RSRC3_GFX90A:ACCUM_OFFSET: 4
; COMPUTE_PGM_RSRC3_GFX90A:TG_SPLIT: 0
	.section	.text._ZN7rocprim17ROCPRIM_400000_NS6detail17trampoline_kernelINS0_14default_configENS1_38merge_sort_block_merge_config_selectorIiiEEZZNS1_27merge_sort_block_merge_implIS3_N6thrust23THRUST_200600_302600_NS6detail15normal_iteratorINS8_10device_ptrIiEEEESD_jNS1_19radix_merge_compareILb0ELb1EiNS0_19identity_decomposerEEEEE10hipError_tT0_T1_T2_jT3_P12ihipStream_tbPNSt15iterator_traitsISI_E10value_typeEPNSO_ISJ_E10value_typeEPSK_NS1_7vsmem_tEENKUlT_SI_SJ_SK_E_clIPiSD_S10_SD_EESH_SX_SI_SJ_SK_EUlSX_E0_NS1_11comp_targetILNS1_3genE10ELNS1_11target_archE1201ELNS1_3gpuE5ELNS1_3repE0EEENS1_38merge_mergepath_config_static_selectorELNS0_4arch9wavefront6targetE1EEEvSJ_,"axG",@progbits,_ZN7rocprim17ROCPRIM_400000_NS6detail17trampoline_kernelINS0_14default_configENS1_38merge_sort_block_merge_config_selectorIiiEEZZNS1_27merge_sort_block_merge_implIS3_N6thrust23THRUST_200600_302600_NS6detail15normal_iteratorINS8_10device_ptrIiEEEESD_jNS1_19radix_merge_compareILb0ELb1EiNS0_19identity_decomposerEEEEE10hipError_tT0_T1_T2_jT3_P12ihipStream_tbPNSt15iterator_traitsISI_E10value_typeEPNSO_ISJ_E10value_typeEPSK_NS1_7vsmem_tEENKUlT_SI_SJ_SK_E_clIPiSD_S10_SD_EESH_SX_SI_SJ_SK_EUlSX_E0_NS1_11comp_targetILNS1_3genE10ELNS1_11target_archE1201ELNS1_3gpuE5ELNS1_3repE0EEENS1_38merge_mergepath_config_static_selectorELNS0_4arch9wavefront6targetE1EEEvSJ_,comdat
	.protected	_ZN7rocprim17ROCPRIM_400000_NS6detail17trampoline_kernelINS0_14default_configENS1_38merge_sort_block_merge_config_selectorIiiEEZZNS1_27merge_sort_block_merge_implIS3_N6thrust23THRUST_200600_302600_NS6detail15normal_iteratorINS8_10device_ptrIiEEEESD_jNS1_19radix_merge_compareILb0ELb1EiNS0_19identity_decomposerEEEEE10hipError_tT0_T1_T2_jT3_P12ihipStream_tbPNSt15iterator_traitsISI_E10value_typeEPNSO_ISJ_E10value_typeEPSK_NS1_7vsmem_tEENKUlT_SI_SJ_SK_E_clIPiSD_S10_SD_EESH_SX_SI_SJ_SK_EUlSX_E0_NS1_11comp_targetILNS1_3genE10ELNS1_11target_archE1201ELNS1_3gpuE5ELNS1_3repE0EEENS1_38merge_mergepath_config_static_selectorELNS0_4arch9wavefront6targetE1EEEvSJ_ ; -- Begin function _ZN7rocprim17ROCPRIM_400000_NS6detail17trampoline_kernelINS0_14default_configENS1_38merge_sort_block_merge_config_selectorIiiEEZZNS1_27merge_sort_block_merge_implIS3_N6thrust23THRUST_200600_302600_NS6detail15normal_iteratorINS8_10device_ptrIiEEEESD_jNS1_19radix_merge_compareILb0ELb1EiNS0_19identity_decomposerEEEEE10hipError_tT0_T1_T2_jT3_P12ihipStream_tbPNSt15iterator_traitsISI_E10value_typeEPNSO_ISJ_E10value_typeEPSK_NS1_7vsmem_tEENKUlT_SI_SJ_SK_E_clIPiSD_S10_SD_EESH_SX_SI_SJ_SK_EUlSX_E0_NS1_11comp_targetILNS1_3genE10ELNS1_11target_archE1201ELNS1_3gpuE5ELNS1_3repE0EEENS1_38merge_mergepath_config_static_selectorELNS0_4arch9wavefront6targetE1EEEvSJ_
	.globl	_ZN7rocprim17ROCPRIM_400000_NS6detail17trampoline_kernelINS0_14default_configENS1_38merge_sort_block_merge_config_selectorIiiEEZZNS1_27merge_sort_block_merge_implIS3_N6thrust23THRUST_200600_302600_NS6detail15normal_iteratorINS8_10device_ptrIiEEEESD_jNS1_19radix_merge_compareILb0ELb1EiNS0_19identity_decomposerEEEEE10hipError_tT0_T1_T2_jT3_P12ihipStream_tbPNSt15iterator_traitsISI_E10value_typeEPNSO_ISJ_E10value_typeEPSK_NS1_7vsmem_tEENKUlT_SI_SJ_SK_E_clIPiSD_S10_SD_EESH_SX_SI_SJ_SK_EUlSX_E0_NS1_11comp_targetILNS1_3genE10ELNS1_11target_archE1201ELNS1_3gpuE5ELNS1_3repE0EEENS1_38merge_mergepath_config_static_selectorELNS0_4arch9wavefront6targetE1EEEvSJ_
	.p2align	8
	.type	_ZN7rocprim17ROCPRIM_400000_NS6detail17trampoline_kernelINS0_14default_configENS1_38merge_sort_block_merge_config_selectorIiiEEZZNS1_27merge_sort_block_merge_implIS3_N6thrust23THRUST_200600_302600_NS6detail15normal_iteratorINS8_10device_ptrIiEEEESD_jNS1_19radix_merge_compareILb0ELb1EiNS0_19identity_decomposerEEEEE10hipError_tT0_T1_T2_jT3_P12ihipStream_tbPNSt15iterator_traitsISI_E10value_typeEPNSO_ISJ_E10value_typeEPSK_NS1_7vsmem_tEENKUlT_SI_SJ_SK_E_clIPiSD_S10_SD_EESH_SX_SI_SJ_SK_EUlSX_E0_NS1_11comp_targetILNS1_3genE10ELNS1_11target_archE1201ELNS1_3gpuE5ELNS1_3repE0EEENS1_38merge_mergepath_config_static_selectorELNS0_4arch9wavefront6targetE1EEEvSJ_,@function
_ZN7rocprim17ROCPRIM_400000_NS6detail17trampoline_kernelINS0_14default_configENS1_38merge_sort_block_merge_config_selectorIiiEEZZNS1_27merge_sort_block_merge_implIS3_N6thrust23THRUST_200600_302600_NS6detail15normal_iteratorINS8_10device_ptrIiEEEESD_jNS1_19radix_merge_compareILb0ELb1EiNS0_19identity_decomposerEEEEE10hipError_tT0_T1_T2_jT3_P12ihipStream_tbPNSt15iterator_traitsISI_E10value_typeEPNSO_ISJ_E10value_typeEPSK_NS1_7vsmem_tEENKUlT_SI_SJ_SK_E_clIPiSD_S10_SD_EESH_SX_SI_SJ_SK_EUlSX_E0_NS1_11comp_targetILNS1_3genE10ELNS1_11target_archE1201ELNS1_3gpuE5ELNS1_3repE0EEENS1_38merge_mergepath_config_static_selectorELNS0_4arch9wavefront6targetE1EEEvSJ_: ; @_ZN7rocprim17ROCPRIM_400000_NS6detail17trampoline_kernelINS0_14default_configENS1_38merge_sort_block_merge_config_selectorIiiEEZZNS1_27merge_sort_block_merge_implIS3_N6thrust23THRUST_200600_302600_NS6detail15normal_iteratorINS8_10device_ptrIiEEEESD_jNS1_19radix_merge_compareILb0ELb1EiNS0_19identity_decomposerEEEEE10hipError_tT0_T1_T2_jT3_P12ihipStream_tbPNSt15iterator_traitsISI_E10value_typeEPNSO_ISJ_E10value_typeEPSK_NS1_7vsmem_tEENKUlT_SI_SJ_SK_E_clIPiSD_S10_SD_EESH_SX_SI_SJ_SK_EUlSX_E0_NS1_11comp_targetILNS1_3genE10ELNS1_11target_archE1201ELNS1_3gpuE5ELNS1_3repE0EEENS1_38merge_mergepath_config_static_selectorELNS0_4arch9wavefront6targetE1EEEvSJ_
; %bb.0:
	.section	.rodata,"a",@progbits
	.p2align	6, 0x0
	.amdhsa_kernel _ZN7rocprim17ROCPRIM_400000_NS6detail17trampoline_kernelINS0_14default_configENS1_38merge_sort_block_merge_config_selectorIiiEEZZNS1_27merge_sort_block_merge_implIS3_N6thrust23THRUST_200600_302600_NS6detail15normal_iteratorINS8_10device_ptrIiEEEESD_jNS1_19radix_merge_compareILb0ELb1EiNS0_19identity_decomposerEEEEE10hipError_tT0_T1_T2_jT3_P12ihipStream_tbPNSt15iterator_traitsISI_E10value_typeEPNSO_ISJ_E10value_typeEPSK_NS1_7vsmem_tEENKUlT_SI_SJ_SK_E_clIPiSD_S10_SD_EESH_SX_SI_SJ_SK_EUlSX_E0_NS1_11comp_targetILNS1_3genE10ELNS1_11target_archE1201ELNS1_3gpuE5ELNS1_3repE0EEENS1_38merge_mergepath_config_static_selectorELNS0_4arch9wavefront6targetE1EEEvSJ_
		.amdhsa_group_segment_fixed_size 0
		.amdhsa_private_segment_fixed_size 0
		.amdhsa_kernarg_size 64
		.amdhsa_user_sgpr_count 2
		.amdhsa_user_sgpr_dispatch_ptr 0
		.amdhsa_user_sgpr_queue_ptr 0
		.amdhsa_user_sgpr_kernarg_segment_ptr 1
		.amdhsa_user_sgpr_dispatch_id 0
		.amdhsa_user_sgpr_kernarg_preload_length 0
		.amdhsa_user_sgpr_kernarg_preload_offset 0
		.amdhsa_user_sgpr_private_segment_size 0
		.amdhsa_uses_dynamic_stack 0
		.amdhsa_enable_private_segment 0
		.amdhsa_system_sgpr_workgroup_id_x 1
		.amdhsa_system_sgpr_workgroup_id_y 0
		.amdhsa_system_sgpr_workgroup_id_z 0
		.amdhsa_system_sgpr_workgroup_info 0
		.amdhsa_system_vgpr_workitem_id 0
		.amdhsa_next_free_vgpr 1
		.amdhsa_next_free_sgpr 0
		.amdhsa_accum_offset 4
		.amdhsa_reserve_vcc 0
		.amdhsa_float_round_mode_32 0
		.amdhsa_float_round_mode_16_64 0
		.amdhsa_float_denorm_mode_32 3
		.amdhsa_float_denorm_mode_16_64 3
		.amdhsa_dx10_clamp 1
		.amdhsa_ieee_mode 1
		.amdhsa_fp16_overflow 0
		.amdhsa_tg_split 0
		.amdhsa_exception_fp_ieee_invalid_op 0
		.amdhsa_exception_fp_denorm_src 0
		.amdhsa_exception_fp_ieee_div_zero 0
		.amdhsa_exception_fp_ieee_overflow 0
		.amdhsa_exception_fp_ieee_underflow 0
		.amdhsa_exception_fp_ieee_inexact 0
		.amdhsa_exception_int_div_zero 0
	.end_amdhsa_kernel
	.section	.text._ZN7rocprim17ROCPRIM_400000_NS6detail17trampoline_kernelINS0_14default_configENS1_38merge_sort_block_merge_config_selectorIiiEEZZNS1_27merge_sort_block_merge_implIS3_N6thrust23THRUST_200600_302600_NS6detail15normal_iteratorINS8_10device_ptrIiEEEESD_jNS1_19radix_merge_compareILb0ELb1EiNS0_19identity_decomposerEEEEE10hipError_tT0_T1_T2_jT3_P12ihipStream_tbPNSt15iterator_traitsISI_E10value_typeEPNSO_ISJ_E10value_typeEPSK_NS1_7vsmem_tEENKUlT_SI_SJ_SK_E_clIPiSD_S10_SD_EESH_SX_SI_SJ_SK_EUlSX_E0_NS1_11comp_targetILNS1_3genE10ELNS1_11target_archE1201ELNS1_3gpuE5ELNS1_3repE0EEENS1_38merge_mergepath_config_static_selectorELNS0_4arch9wavefront6targetE1EEEvSJ_,"axG",@progbits,_ZN7rocprim17ROCPRIM_400000_NS6detail17trampoline_kernelINS0_14default_configENS1_38merge_sort_block_merge_config_selectorIiiEEZZNS1_27merge_sort_block_merge_implIS3_N6thrust23THRUST_200600_302600_NS6detail15normal_iteratorINS8_10device_ptrIiEEEESD_jNS1_19radix_merge_compareILb0ELb1EiNS0_19identity_decomposerEEEEE10hipError_tT0_T1_T2_jT3_P12ihipStream_tbPNSt15iterator_traitsISI_E10value_typeEPNSO_ISJ_E10value_typeEPSK_NS1_7vsmem_tEENKUlT_SI_SJ_SK_E_clIPiSD_S10_SD_EESH_SX_SI_SJ_SK_EUlSX_E0_NS1_11comp_targetILNS1_3genE10ELNS1_11target_archE1201ELNS1_3gpuE5ELNS1_3repE0EEENS1_38merge_mergepath_config_static_selectorELNS0_4arch9wavefront6targetE1EEEvSJ_,comdat
.Lfunc_end1353:
	.size	_ZN7rocprim17ROCPRIM_400000_NS6detail17trampoline_kernelINS0_14default_configENS1_38merge_sort_block_merge_config_selectorIiiEEZZNS1_27merge_sort_block_merge_implIS3_N6thrust23THRUST_200600_302600_NS6detail15normal_iteratorINS8_10device_ptrIiEEEESD_jNS1_19radix_merge_compareILb0ELb1EiNS0_19identity_decomposerEEEEE10hipError_tT0_T1_T2_jT3_P12ihipStream_tbPNSt15iterator_traitsISI_E10value_typeEPNSO_ISJ_E10value_typeEPSK_NS1_7vsmem_tEENKUlT_SI_SJ_SK_E_clIPiSD_S10_SD_EESH_SX_SI_SJ_SK_EUlSX_E0_NS1_11comp_targetILNS1_3genE10ELNS1_11target_archE1201ELNS1_3gpuE5ELNS1_3repE0EEENS1_38merge_mergepath_config_static_selectorELNS0_4arch9wavefront6targetE1EEEvSJ_, .Lfunc_end1353-_ZN7rocprim17ROCPRIM_400000_NS6detail17trampoline_kernelINS0_14default_configENS1_38merge_sort_block_merge_config_selectorIiiEEZZNS1_27merge_sort_block_merge_implIS3_N6thrust23THRUST_200600_302600_NS6detail15normal_iteratorINS8_10device_ptrIiEEEESD_jNS1_19radix_merge_compareILb0ELb1EiNS0_19identity_decomposerEEEEE10hipError_tT0_T1_T2_jT3_P12ihipStream_tbPNSt15iterator_traitsISI_E10value_typeEPNSO_ISJ_E10value_typeEPSK_NS1_7vsmem_tEENKUlT_SI_SJ_SK_E_clIPiSD_S10_SD_EESH_SX_SI_SJ_SK_EUlSX_E0_NS1_11comp_targetILNS1_3genE10ELNS1_11target_archE1201ELNS1_3gpuE5ELNS1_3repE0EEENS1_38merge_mergepath_config_static_selectorELNS0_4arch9wavefront6targetE1EEEvSJ_
                                        ; -- End function
	.set _ZN7rocprim17ROCPRIM_400000_NS6detail17trampoline_kernelINS0_14default_configENS1_38merge_sort_block_merge_config_selectorIiiEEZZNS1_27merge_sort_block_merge_implIS3_N6thrust23THRUST_200600_302600_NS6detail15normal_iteratorINS8_10device_ptrIiEEEESD_jNS1_19radix_merge_compareILb0ELb1EiNS0_19identity_decomposerEEEEE10hipError_tT0_T1_T2_jT3_P12ihipStream_tbPNSt15iterator_traitsISI_E10value_typeEPNSO_ISJ_E10value_typeEPSK_NS1_7vsmem_tEENKUlT_SI_SJ_SK_E_clIPiSD_S10_SD_EESH_SX_SI_SJ_SK_EUlSX_E0_NS1_11comp_targetILNS1_3genE10ELNS1_11target_archE1201ELNS1_3gpuE5ELNS1_3repE0EEENS1_38merge_mergepath_config_static_selectorELNS0_4arch9wavefront6targetE1EEEvSJ_.num_vgpr, 0
	.set _ZN7rocprim17ROCPRIM_400000_NS6detail17trampoline_kernelINS0_14default_configENS1_38merge_sort_block_merge_config_selectorIiiEEZZNS1_27merge_sort_block_merge_implIS3_N6thrust23THRUST_200600_302600_NS6detail15normal_iteratorINS8_10device_ptrIiEEEESD_jNS1_19radix_merge_compareILb0ELb1EiNS0_19identity_decomposerEEEEE10hipError_tT0_T1_T2_jT3_P12ihipStream_tbPNSt15iterator_traitsISI_E10value_typeEPNSO_ISJ_E10value_typeEPSK_NS1_7vsmem_tEENKUlT_SI_SJ_SK_E_clIPiSD_S10_SD_EESH_SX_SI_SJ_SK_EUlSX_E0_NS1_11comp_targetILNS1_3genE10ELNS1_11target_archE1201ELNS1_3gpuE5ELNS1_3repE0EEENS1_38merge_mergepath_config_static_selectorELNS0_4arch9wavefront6targetE1EEEvSJ_.num_agpr, 0
	.set _ZN7rocprim17ROCPRIM_400000_NS6detail17trampoline_kernelINS0_14default_configENS1_38merge_sort_block_merge_config_selectorIiiEEZZNS1_27merge_sort_block_merge_implIS3_N6thrust23THRUST_200600_302600_NS6detail15normal_iteratorINS8_10device_ptrIiEEEESD_jNS1_19radix_merge_compareILb0ELb1EiNS0_19identity_decomposerEEEEE10hipError_tT0_T1_T2_jT3_P12ihipStream_tbPNSt15iterator_traitsISI_E10value_typeEPNSO_ISJ_E10value_typeEPSK_NS1_7vsmem_tEENKUlT_SI_SJ_SK_E_clIPiSD_S10_SD_EESH_SX_SI_SJ_SK_EUlSX_E0_NS1_11comp_targetILNS1_3genE10ELNS1_11target_archE1201ELNS1_3gpuE5ELNS1_3repE0EEENS1_38merge_mergepath_config_static_selectorELNS0_4arch9wavefront6targetE1EEEvSJ_.numbered_sgpr, 0
	.set _ZN7rocprim17ROCPRIM_400000_NS6detail17trampoline_kernelINS0_14default_configENS1_38merge_sort_block_merge_config_selectorIiiEEZZNS1_27merge_sort_block_merge_implIS3_N6thrust23THRUST_200600_302600_NS6detail15normal_iteratorINS8_10device_ptrIiEEEESD_jNS1_19radix_merge_compareILb0ELb1EiNS0_19identity_decomposerEEEEE10hipError_tT0_T1_T2_jT3_P12ihipStream_tbPNSt15iterator_traitsISI_E10value_typeEPNSO_ISJ_E10value_typeEPSK_NS1_7vsmem_tEENKUlT_SI_SJ_SK_E_clIPiSD_S10_SD_EESH_SX_SI_SJ_SK_EUlSX_E0_NS1_11comp_targetILNS1_3genE10ELNS1_11target_archE1201ELNS1_3gpuE5ELNS1_3repE0EEENS1_38merge_mergepath_config_static_selectorELNS0_4arch9wavefront6targetE1EEEvSJ_.num_named_barrier, 0
	.set _ZN7rocprim17ROCPRIM_400000_NS6detail17trampoline_kernelINS0_14default_configENS1_38merge_sort_block_merge_config_selectorIiiEEZZNS1_27merge_sort_block_merge_implIS3_N6thrust23THRUST_200600_302600_NS6detail15normal_iteratorINS8_10device_ptrIiEEEESD_jNS1_19radix_merge_compareILb0ELb1EiNS0_19identity_decomposerEEEEE10hipError_tT0_T1_T2_jT3_P12ihipStream_tbPNSt15iterator_traitsISI_E10value_typeEPNSO_ISJ_E10value_typeEPSK_NS1_7vsmem_tEENKUlT_SI_SJ_SK_E_clIPiSD_S10_SD_EESH_SX_SI_SJ_SK_EUlSX_E0_NS1_11comp_targetILNS1_3genE10ELNS1_11target_archE1201ELNS1_3gpuE5ELNS1_3repE0EEENS1_38merge_mergepath_config_static_selectorELNS0_4arch9wavefront6targetE1EEEvSJ_.private_seg_size, 0
	.set _ZN7rocprim17ROCPRIM_400000_NS6detail17trampoline_kernelINS0_14default_configENS1_38merge_sort_block_merge_config_selectorIiiEEZZNS1_27merge_sort_block_merge_implIS3_N6thrust23THRUST_200600_302600_NS6detail15normal_iteratorINS8_10device_ptrIiEEEESD_jNS1_19radix_merge_compareILb0ELb1EiNS0_19identity_decomposerEEEEE10hipError_tT0_T1_T2_jT3_P12ihipStream_tbPNSt15iterator_traitsISI_E10value_typeEPNSO_ISJ_E10value_typeEPSK_NS1_7vsmem_tEENKUlT_SI_SJ_SK_E_clIPiSD_S10_SD_EESH_SX_SI_SJ_SK_EUlSX_E0_NS1_11comp_targetILNS1_3genE10ELNS1_11target_archE1201ELNS1_3gpuE5ELNS1_3repE0EEENS1_38merge_mergepath_config_static_selectorELNS0_4arch9wavefront6targetE1EEEvSJ_.uses_vcc, 0
	.set _ZN7rocprim17ROCPRIM_400000_NS6detail17trampoline_kernelINS0_14default_configENS1_38merge_sort_block_merge_config_selectorIiiEEZZNS1_27merge_sort_block_merge_implIS3_N6thrust23THRUST_200600_302600_NS6detail15normal_iteratorINS8_10device_ptrIiEEEESD_jNS1_19radix_merge_compareILb0ELb1EiNS0_19identity_decomposerEEEEE10hipError_tT0_T1_T2_jT3_P12ihipStream_tbPNSt15iterator_traitsISI_E10value_typeEPNSO_ISJ_E10value_typeEPSK_NS1_7vsmem_tEENKUlT_SI_SJ_SK_E_clIPiSD_S10_SD_EESH_SX_SI_SJ_SK_EUlSX_E0_NS1_11comp_targetILNS1_3genE10ELNS1_11target_archE1201ELNS1_3gpuE5ELNS1_3repE0EEENS1_38merge_mergepath_config_static_selectorELNS0_4arch9wavefront6targetE1EEEvSJ_.uses_flat_scratch, 0
	.set _ZN7rocprim17ROCPRIM_400000_NS6detail17trampoline_kernelINS0_14default_configENS1_38merge_sort_block_merge_config_selectorIiiEEZZNS1_27merge_sort_block_merge_implIS3_N6thrust23THRUST_200600_302600_NS6detail15normal_iteratorINS8_10device_ptrIiEEEESD_jNS1_19radix_merge_compareILb0ELb1EiNS0_19identity_decomposerEEEEE10hipError_tT0_T1_T2_jT3_P12ihipStream_tbPNSt15iterator_traitsISI_E10value_typeEPNSO_ISJ_E10value_typeEPSK_NS1_7vsmem_tEENKUlT_SI_SJ_SK_E_clIPiSD_S10_SD_EESH_SX_SI_SJ_SK_EUlSX_E0_NS1_11comp_targetILNS1_3genE10ELNS1_11target_archE1201ELNS1_3gpuE5ELNS1_3repE0EEENS1_38merge_mergepath_config_static_selectorELNS0_4arch9wavefront6targetE1EEEvSJ_.has_dyn_sized_stack, 0
	.set _ZN7rocprim17ROCPRIM_400000_NS6detail17trampoline_kernelINS0_14default_configENS1_38merge_sort_block_merge_config_selectorIiiEEZZNS1_27merge_sort_block_merge_implIS3_N6thrust23THRUST_200600_302600_NS6detail15normal_iteratorINS8_10device_ptrIiEEEESD_jNS1_19radix_merge_compareILb0ELb1EiNS0_19identity_decomposerEEEEE10hipError_tT0_T1_T2_jT3_P12ihipStream_tbPNSt15iterator_traitsISI_E10value_typeEPNSO_ISJ_E10value_typeEPSK_NS1_7vsmem_tEENKUlT_SI_SJ_SK_E_clIPiSD_S10_SD_EESH_SX_SI_SJ_SK_EUlSX_E0_NS1_11comp_targetILNS1_3genE10ELNS1_11target_archE1201ELNS1_3gpuE5ELNS1_3repE0EEENS1_38merge_mergepath_config_static_selectorELNS0_4arch9wavefront6targetE1EEEvSJ_.has_recursion, 0
	.set _ZN7rocprim17ROCPRIM_400000_NS6detail17trampoline_kernelINS0_14default_configENS1_38merge_sort_block_merge_config_selectorIiiEEZZNS1_27merge_sort_block_merge_implIS3_N6thrust23THRUST_200600_302600_NS6detail15normal_iteratorINS8_10device_ptrIiEEEESD_jNS1_19radix_merge_compareILb0ELb1EiNS0_19identity_decomposerEEEEE10hipError_tT0_T1_T2_jT3_P12ihipStream_tbPNSt15iterator_traitsISI_E10value_typeEPNSO_ISJ_E10value_typeEPSK_NS1_7vsmem_tEENKUlT_SI_SJ_SK_E_clIPiSD_S10_SD_EESH_SX_SI_SJ_SK_EUlSX_E0_NS1_11comp_targetILNS1_3genE10ELNS1_11target_archE1201ELNS1_3gpuE5ELNS1_3repE0EEENS1_38merge_mergepath_config_static_selectorELNS0_4arch9wavefront6targetE1EEEvSJ_.has_indirect_call, 0
	.section	.AMDGPU.csdata,"",@progbits
; Kernel info:
; codeLenInByte = 0
; TotalNumSgprs: 6
; NumVgprs: 0
; NumAgprs: 0
; TotalNumVgprs: 0
; ScratchSize: 0
; MemoryBound: 0
; FloatMode: 240
; IeeeMode: 1
; LDSByteSize: 0 bytes/workgroup (compile time only)
; SGPRBlocks: 0
; VGPRBlocks: 0
; NumSGPRsForWavesPerEU: 6
; NumVGPRsForWavesPerEU: 1
; AccumOffset: 4
; Occupancy: 8
; WaveLimiterHint : 0
; COMPUTE_PGM_RSRC2:SCRATCH_EN: 0
; COMPUTE_PGM_RSRC2:USER_SGPR: 2
; COMPUTE_PGM_RSRC2:TRAP_HANDLER: 0
; COMPUTE_PGM_RSRC2:TGID_X_EN: 1
; COMPUTE_PGM_RSRC2:TGID_Y_EN: 0
; COMPUTE_PGM_RSRC2:TGID_Z_EN: 0
; COMPUTE_PGM_RSRC2:TIDIG_COMP_CNT: 0
; COMPUTE_PGM_RSRC3_GFX90A:ACCUM_OFFSET: 0
; COMPUTE_PGM_RSRC3_GFX90A:TG_SPLIT: 0
	.section	.text._ZN7rocprim17ROCPRIM_400000_NS6detail17trampoline_kernelINS0_14default_configENS1_38merge_sort_block_merge_config_selectorIiiEEZZNS1_27merge_sort_block_merge_implIS3_N6thrust23THRUST_200600_302600_NS6detail15normal_iteratorINS8_10device_ptrIiEEEESD_jNS1_19radix_merge_compareILb0ELb1EiNS0_19identity_decomposerEEEEE10hipError_tT0_T1_T2_jT3_P12ihipStream_tbPNSt15iterator_traitsISI_E10value_typeEPNSO_ISJ_E10value_typeEPSK_NS1_7vsmem_tEENKUlT_SI_SJ_SK_E_clIPiSD_S10_SD_EESH_SX_SI_SJ_SK_EUlSX_E0_NS1_11comp_targetILNS1_3genE5ELNS1_11target_archE942ELNS1_3gpuE9ELNS1_3repE0EEENS1_38merge_mergepath_config_static_selectorELNS0_4arch9wavefront6targetE1EEEvSJ_,"axG",@progbits,_ZN7rocprim17ROCPRIM_400000_NS6detail17trampoline_kernelINS0_14default_configENS1_38merge_sort_block_merge_config_selectorIiiEEZZNS1_27merge_sort_block_merge_implIS3_N6thrust23THRUST_200600_302600_NS6detail15normal_iteratorINS8_10device_ptrIiEEEESD_jNS1_19radix_merge_compareILb0ELb1EiNS0_19identity_decomposerEEEEE10hipError_tT0_T1_T2_jT3_P12ihipStream_tbPNSt15iterator_traitsISI_E10value_typeEPNSO_ISJ_E10value_typeEPSK_NS1_7vsmem_tEENKUlT_SI_SJ_SK_E_clIPiSD_S10_SD_EESH_SX_SI_SJ_SK_EUlSX_E0_NS1_11comp_targetILNS1_3genE5ELNS1_11target_archE942ELNS1_3gpuE9ELNS1_3repE0EEENS1_38merge_mergepath_config_static_selectorELNS0_4arch9wavefront6targetE1EEEvSJ_,comdat
	.protected	_ZN7rocprim17ROCPRIM_400000_NS6detail17trampoline_kernelINS0_14default_configENS1_38merge_sort_block_merge_config_selectorIiiEEZZNS1_27merge_sort_block_merge_implIS3_N6thrust23THRUST_200600_302600_NS6detail15normal_iteratorINS8_10device_ptrIiEEEESD_jNS1_19radix_merge_compareILb0ELb1EiNS0_19identity_decomposerEEEEE10hipError_tT0_T1_T2_jT3_P12ihipStream_tbPNSt15iterator_traitsISI_E10value_typeEPNSO_ISJ_E10value_typeEPSK_NS1_7vsmem_tEENKUlT_SI_SJ_SK_E_clIPiSD_S10_SD_EESH_SX_SI_SJ_SK_EUlSX_E0_NS1_11comp_targetILNS1_3genE5ELNS1_11target_archE942ELNS1_3gpuE9ELNS1_3repE0EEENS1_38merge_mergepath_config_static_selectorELNS0_4arch9wavefront6targetE1EEEvSJ_ ; -- Begin function _ZN7rocprim17ROCPRIM_400000_NS6detail17trampoline_kernelINS0_14default_configENS1_38merge_sort_block_merge_config_selectorIiiEEZZNS1_27merge_sort_block_merge_implIS3_N6thrust23THRUST_200600_302600_NS6detail15normal_iteratorINS8_10device_ptrIiEEEESD_jNS1_19radix_merge_compareILb0ELb1EiNS0_19identity_decomposerEEEEE10hipError_tT0_T1_T2_jT3_P12ihipStream_tbPNSt15iterator_traitsISI_E10value_typeEPNSO_ISJ_E10value_typeEPSK_NS1_7vsmem_tEENKUlT_SI_SJ_SK_E_clIPiSD_S10_SD_EESH_SX_SI_SJ_SK_EUlSX_E0_NS1_11comp_targetILNS1_3genE5ELNS1_11target_archE942ELNS1_3gpuE9ELNS1_3repE0EEENS1_38merge_mergepath_config_static_selectorELNS0_4arch9wavefront6targetE1EEEvSJ_
	.globl	_ZN7rocprim17ROCPRIM_400000_NS6detail17trampoline_kernelINS0_14default_configENS1_38merge_sort_block_merge_config_selectorIiiEEZZNS1_27merge_sort_block_merge_implIS3_N6thrust23THRUST_200600_302600_NS6detail15normal_iteratorINS8_10device_ptrIiEEEESD_jNS1_19radix_merge_compareILb0ELb1EiNS0_19identity_decomposerEEEEE10hipError_tT0_T1_T2_jT3_P12ihipStream_tbPNSt15iterator_traitsISI_E10value_typeEPNSO_ISJ_E10value_typeEPSK_NS1_7vsmem_tEENKUlT_SI_SJ_SK_E_clIPiSD_S10_SD_EESH_SX_SI_SJ_SK_EUlSX_E0_NS1_11comp_targetILNS1_3genE5ELNS1_11target_archE942ELNS1_3gpuE9ELNS1_3repE0EEENS1_38merge_mergepath_config_static_selectorELNS0_4arch9wavefront6targetE1EEEvSJ_
	.p2align	8
	.type	_ZN7rocprim17ROCPRIM_400000_NS6detail17trampoline_kernelINS0_14default_configENS1_38merge_sort_block_merge_config_selectorIiiEEZZNS1_27merge_sort_block_merge_implIS3_N6thrust23THRUST_200600_302600_NS6detail15normal_iteratorINS8_10device_ptrIiEEEESD_jNS1_19radix_merge_compareILb0ELb1EiNS0_19identity_decomposerEEEEE10hipError_tT0_T1_T2_jT3_P12ihipStream_tbPNSt15iterator_traitsISI_E10value_typeEPNSO_ISJ_E10value_typeEPSK_NS1_7vsmem_tEENKUlT_SI_SJ_SK_E_clIPiSD_S10_SD_EESH_SX_SI_SJ_SK_EUlSX_E0_NS1_11comp_targetILNS1_3genE5ELNS1_11target_archE942ELNS1_3gpuE9ELNS1_3repE0EEENS1_38merge_mergepath_config_static_selectorELNS0_4arch9wavefront6targetE1EEEvSJ_,@function
_ZN7rocprim17ROCPRIM_400000_NS6detail17trampoline_kernelINS0_14default_configENS1_38merge_sort_block_merge_config_selectorIiiEEZZNS1_27merge_sort_block_merge_implIS3_N6thrust23THRUST_200600_302600_NS6detail15normal_iteratorINS8_10device_ptrIiEEEESD_jNS1_19radix_merge_compareILb0ELb1EiNS0_19identity_decomposerEEEEE10hipError_tT0_T1_T2_jT3_P12ihipStream_tbPNSt15iterator_traitsISI_E10value_typeEPNSO_ISJ_E10value_typeEPSK_NS1_7vsmem_tEENKUlT_SI_SJ_SK_E_clIPiSD_S10_SD_EESH_SX_SI_SJ_SK_EUlSX_E0_NS1_11comp_targetILNS1_3genE5ELNS1_11target_archE942ELNS1_3gpuE9ELNS1_3repE0EEENS1_38merge_mergepath_config_static_selectorELNS0_4arch9wavefront6targetE1EEEvSJ_: ; @_ZN7rocprim17ROCPRIM_400000_NS6detail17trampoline_kernelINS0_14default_configENS1_38merge_sort_block_merge_config_selectorIiiEEZZNS1_27merge_sort_block_merge_implIS3_N6thrust23THRUST_200600_302600_NS6detail15normal_iteratorINS8_10device_ptrIiEEEESD_jNS1_19radix_merge_compareILb0ELb1EiNS0_19identity_decomposerEEEEE10hipError_tT0_T1_T2_jT3_P12ihipStream_tbPNSt15iterator_traitsISI_E10value_typeEPNSO_ISJ_E10value_typeEPSK_NS1_7vsmem_tEENKUlT_SI_SJ_SK_E_clIPiSD_S10_SD_EESH_SX_SI_SJ_SK_EUlSX_E0_NS1_11comp_targetILNS1_3genE5ELNS1_11target_archE942ELNS1_3gpuE9ELNS1_3repE0EEENS1_38merge_mergepath_config_static_selectorELNS0_4arch9wavefront6targetE1EEEvSJ_
; %bb.0:
	.section	.rodata,"a",@progbits
	.p2align	6, 0x0
	.amdhsa_kernel _ZN7rocprim17ROCPRIM_400000_NS6detail17trampoline_kernelINS0_14default_configENS1_38merge_sort_block_merge_config_selectorIiiEEZZNS1_27merge_sort_block_merge_implIS3_N6thrust23THRUST_200600_302600_NS6detail15normal_iteratorINS8_10device_ptrIiEEEESD_jNS1_19radix_merge_compareILb0ELb1EiNS0_19identity_decomposerEEEEE10hipError_tT0_T1_T2_jT3_P12ihipStream_tbPNSt15iterator_traitsISI_E10value_typeEPNSO_ISJ_E10value_typeEPSK_NS1_7vsmem_tEENKUlT_SI_SJ_SK_E_clIPiSD_S10_SD_EESH_SX_SI_SJ_SK_EUlSX_E0_NS1_11comp_targetILNS1_3genE5ELNS1_11target_archE942ELNS1_3gpuE9ELNS1_3repE0EEENS1_38merge_mergepath_config_static_selectorELNS0_4arch9wavefront6targetE1EEEvSJ_
		.amdhsa_group_segment_fixed_size 0
		.amdhsa_private_segment_fixed_size 0
		.amdhsa_kernarg_size 64
		.amdhsa_user_sgpr_count 2
		.amdhsa_user_sgpr_dispatch_ptr 0
		.amdhsa_user_sgpr_queue_ptr 0
		.amdhsa_user_sgpr_kernarg_segment_ptr 1
		.amdhsa_user_sgpr_dispatch_id 0
		.amdhsa_user_sgpr_kernarg_preload_length 0
		.amdhsa_user_sgpr_kernarg_preload_offset 0
		.amdhsa_user_sgpr_private_segment_size 0
		.amdhsa_uses_dynamic_stack 0
		.amdhsa_enable_private_segment 0
		.amdhsa_system_sgpr_workgroup_id_x 1
		.amdhsa_system_sgpr_workgroup_id_y 0
		.amdhsa_system_sgpr_workgroup_id_z 0
		.amdhsa_system_sgpr_workgroup_info 0
		.amdhsa_system_vgpr_workitem_id 0
		.amdhsa_next_free_vgpr 1
		.amdhsa_next_free_sgpr 0
		.amdhsa_accum_offset 4
		.amdhsa_reserve_vcc 0
		.amdhsa_float_round_mode_32 0
		.amdhsa_float_round_mode_16_64 0
		.amdhsa_float_denorm_mode_32 3
		.amdhsa_float_denorm_mode_16_64 3
		.amdhsa_dx10_clamp 1
		.amdhsa_ieee_mode 1
		.amdhsa_fp16_overflow 0
		.amdhsa_tg_split 0
		.amdhsa_exception_fp_ieee_invalid_op 0
		.amdhsa_exception_fp_denorm_src 0
		.amdhsa_exception_fp_ieee_div_zero 0
		.amdhsa_exception_fp_ieee_overflow 0
		.amdhsa_exception_fp_ieee_underflow 0
		.amdhsa_exception_fp_ieee_inexact 0
		.amdhsa_exception_int_div_zero 0
	.end_amdhsa_kernel
	.section	.text._ZN7rocprim17ROCPRIM_400000_NS6detail17trampoline_kernelINS0_14default_configENS1_38merge_sort_block_merge_config_selectorIiiEEZZNS1_27merge_sort_block_merge_implIS3_N6thrust23THRUST_200600_302600_NS6detail15normal_iteratorINS8_10device_ptrIiEEEESD_jNS1_19radix_merge_compareILb0ELb1EiNS0_19identity_decomposerEEEEE10hipError_tT0_T1_T2_jT3_P12ihipStream_tbPNSt15iterator_traitsISI_E10value_typeEPNSO_ISJ_E10value_typeEPSK_NS1_7vsmem_tEENKUlT_SI_SJ_SK_E_clIPiSD_S10_SD_EESH_SX_SI_SJ_SK_EUlSX_E0_NS1_11comp_targetILNS1_3genE5ELNS1_11target_archE942ELNS1_3gpuE9ELNS1_3repE0EEENS1_38merge_mergepath_config_static_selectorELNS0_4arch9wavefront6targetE1EEEvSJ_,"axG",@progbits,_ZN7rocprim17ROCPRIM_400000_NS6detail17trampoline_kernelINS0_14default_configENS1_38merge_sort_block_merge_config_selectorIiiEEZZNS1_27merge_sort_block_merge_implIS3_N6thrust23THRUST_200600_302600_NS6detail15normal_iteratorINS8_10device_ptrIiEEEESD_jNS1_19radix_merge_compareILb0ELb1EiNS0_19identity_decomposerEEEEE10hipError_tT0_T1_T2_jT3_P12ihipStream_tbPNSt15iterator_traitsISI_E10value_typeEPNSO_ISJ_E10value_typeEPSK_NS1_7vsmem_tEENKUlT_SI_SJ_SK_E_clIPiSD_S10_SD_EESH_SX_SI_SJ_SK_EUlSX_E0_NS1_11comp_targetILNS1_3genE5ELNS1_11target_archE942ELNS1_3gpuE9ELNS1_3repE0EEENS1_38merge_mergepath_config_static_selectorELNS0_4arch9wavefront6targetE1EEEvSJ_,comdat
.Lfunc_end1354:
	.size	_ZN7rocprim17ROCPRIM_400000_NS6detail17trampoline_kernelINS0_14default_configENS1_38merge_sort_block_merge_config_selectorIiiEEZZNS1_27merge_sort_block_merge_implIS3_N6thrust23THRUST_200600_302600_NS6detail15normal_iteratorINS8_10device_ptrIiEEEESD_jNS1_19radix_merge_compareILb0ELb1EiNS0_19identity_decomposerEEEEE10hipError_tT0_T1_T2_jT3_P12ihipStream_tbPNSt15iterator_traitsISI_E10value_typeEPNSO_ISJ_E10value_typeEPSK_NS1_7vsmem_tEENKUlT_SI_SJ_SK_E_clIPiSD_S10_SD_EESH_SX_SI_SJ_SK_EUlSX_E0_NS1_11comp_targetILNS1_3genE5ELNS1_11target_archE942ELNS1_3gpuE9ELNS1_3repE0EEENS1_38merge_mergepath_config_static_selectorELNS0_4arch9wavefront6targetE1EEEvSJ_, .Lfunc_end1354-_ZN7rocprim17ROCPRIM_400000_NS6detail17trampoline_kernelINS0_14default_configENS1_38merge_sort_block_merge_config_selectorIiiEEZZNS1_27merge_sort_block_merge_implIS3_N6thrust23THRUST_200600_302600_NS6detail15normal_iteratorINS8_10device_ptrIiEEEESD_jNS1_19radix_merge_compareILb0ELb1EiNS0_19identity_decomposerEEEEE10hipError_tT0_T1_T2_jT3_P12ihipStream_tbPNSt15iterator_traitsISI_E10value_typeEPNSO_ISJ_E10value_typeEPSK_NS1_7vsmem_tEENKUlT_SI_SJ_SK_E_clIPiSD_S10_SD_EESH_SX_SI_SJ_SK_EUlSX_E0_NS1_11comp_targetILNS1_3genE5ELNS1_11target_archE942ELNS1_3gpuE9ELNS1_3repE0EEENS1_38merge_mergepath_config_static_selectorELNS0_4arch9wavefront6targetE1EEEvSJ_
                                        ; -- End function
	.set _ZN7rocprim17ROCPRIM_400000_NS6detail17trampoline_kernelINS0_14default_configENS1_38merge_sort_block_merge_config_selectorIiiEEZZNS1_27merge_sort_block_merge_implIS3_N6thrust23THRUST_200600_302600_NS6detail15normal_iteratorINS8_10device_ptrIiEEEESD_jNS1_19radix_merge_compareILb0ELb1EiNS0_19identity_decomposerEEEEE10hipError_tT0_T1_T2_jT3_P12ihipStream_tbPNSt15iterator_traitsISI_E10value_typeEPNSO_ISJ_E10value_typeEPSK_NS1_7vsmem_tEENKUlT_SI_SJ_SK_E_clIPiSD_S10_SD_EESH_SX_SI_SJ_SK_EUlSX_E0_NS1_11comp_targetILNS1_3genE5ELNS1_11target_archE942ELNS1_3gpuE9ELNS1_3repE0EEENS1_38merge_mergepath_config_static_selectorELNS0_4arch9wavefront6targetE1EEEvSJ_.num_vgpr, 0
	.set _ZN7rocprim17ROCPRIM_400000_NS6detail17trampoline_kernelINS0_14default_configENS1_38merge_sort_block_merge_config_selectorIiiEEZZNS1_27merge_sort_block_merge_implIS3_N6thrust23THRUST_200600_302600_NS6detail15normal_iteratorINS8_10device_ptrIiEEEESD_jNS1_19radix_merge_compareILb0ELb1EiNS0_19identity_decomposerEEEEE10hipError_tT0_T1_T2_jT3_P12ihipStream_tbPNSt15iterator_traitsISI_E10value_typeEPNSO_ISJ_E10value_typeEPSK_NS1_7vsmem_tEENKUlT_SI_SJ_SK_E_clIPiSD_S10_SD_EESH_SX_SI_SJ_SK_EUlSX_E0_NS1_11comp_targetILNS1_3genE5ELNS1_11target_archE942ELNS1_3gpuE9ELNS1_3repE0EEENS1_38merge_mergepath_config_static_selectorELNS0_4arch9wavefront6targetE1EEEvSJ_.num_agpr, 0
	.set _ZN7rocprim17ROCPRIM_400000_NS6detail17trampoline_kernelINS0_14default_configENS1_38merge_sort_block_merge_config_selectorIiiEEZZNS1_27merge_sort_block_merge_implIS3_N6thrust23THRUST_200600_302600_NS6detail15normal_iteratorINS8_10device_ptrIiEEEESD_jNS1_19radix_merge_compareILb0ELb1EiNS0_19identity_decomposerEEEEE10hipError_tT0_T1_T2_jT3_P12ihipStream_tbPNSt15iterator_traitsISI_E10value_typeEPNSO_ISJ_E10value_typeEPSK_NS1_7vsmem_tEENKUlT_SI_SJ_SK_E_clIPiSD_S10_SD_EESH_SX_SI_SJ_SK_EUlSX_E0_NS1_11comp_targetILNS1_3genE5ELNS1_11target_archE942ELNS1_3gpuE9ELNS1_3repE0EEENS1_38merge_mergepath_config_static_selectorELNS0_4arch9wavefront6targetE1EEEvSJ_.numbered_sgpr, 0
	.set _ZN7rocprim17ROCPRIM_400000_NS6detail17trampoline_kernelINS0_14default_configENS1_38merge_sort_block_merge_config_selectorIiiEEZZNS1_27merge_sort_block_merge_implIS3_N6thrust23THRUST_200600_302600_NS6detail15normal_iteratorINS8_10device_ptrIiEEEESD_jNS1_19radix_merge_compareILb0ELb1EiNS0_19identity_decomposerEEEEE10hipError_tT0_T1_T2_jT3_P12ihipStream_tbPNSt15iterator_traitsISI_E10value_typeEPNSO_ISJ_E10value_typeEPSK_NS1_7vsmem_tEENKUlT_SI_SJ_SK_E_clIPiSD_S10_SD_EESH_SX_SI_SJ_SK_EUlSX_E0_NS1_11comp_targetILNS1_3genE5ELNS1_11target_archE942ELNS1_3gpuE9ELNS1_3repE0EEENS1_38merge_mergepath_config_static_selectorELNS0_4arch9wavefront6targetE1EEEvSJ_.num_named_barrier, 0
	.set _ZN7rocprim17ROCPRIM_400000_NS6detail17trampoline_kernelINS0_14default_configENS1_38merge_sort_block_merge_config_selectorIiiEEZZNS1_27merge_sort_block_merge_implIS3_N6thrust23THRUST_200600_302600_NS6detail15normal_iteratorINS8_10device_ptrIiEEEESD_jNS1_19radix_merge_compareILb0ELb1EiNS0_19identity_decomposerEEEEE10hipError_tT0_T1_T2_jT3_P12ihipStream_tbPNSt15iterator_traitsISI_E10value_typeEPNSO_ISJ_E10value_typeEPSK_NS1_7vsmem_tEENKUlT_SI_SJ_SK_E_clIPiSD_S10_SD_EESH_SX_SI_SJ_SK_EUlSX_E0_NS1_11comp_targetILNS1_3genE5ELNS1_11target_archE942ELNS1_3gpuE9ELNS1_3repE0EEENS1_38merge_mergepath_config_static_selectorELNS0_4arch9wavefront6targetE1EEEvSJ_.private_seg_size, 0
	.set _ZN7rocprim17ROCPRIM_400000_NS6detail17trampoline_kernelINS0_14default_configENS1_38merge_sort_block_merge_config_selectorIiiEEZZNS1_27merge_sort_block_merge_implIS3_N6thrust23THRUST_200600_302600_NS6detail15normal_iteratorINS8_10device_ptrIiEEEESD_jNS1_19radix_merge_compareILb0ELb1EiNS0_19identity_decomposerEEEEE10hipError_tT0_T1_T2_jT3_P12ihipStream_tbPNSt15iterator_traitsISI_E10value_typeEPNSO_ISJ_E10value_typeEPSK_NS1_7vsmem_tEENKUlT_SI_SJ_SK_E_clIPiSD_S10_SD_EESH_SX_SI_SJ_SK_EUlSX_E0_NS1_11comp_targetILNS1_3genE5ELNS1_11target_archE942ELNS1_3gpuE9ELNS1_3repE0EEENS1_38merge_mergepath_config_static_selectorELNS0_4arch9wavefront6targetE1EEEvSJ_.uses_vcc, 0
	.set _ZN7rocprim17ROCPRIM_400000_NS6detail17trampoline_kernelINS0_14default_configENS1_38merge_sort_block_merge_config_selectorIiiEEZZNS1_27merge_sort_block_merge_implIS3_N6thrust23THRUST_200600_302600_NS6detail15normal_iteratorINS8_10device_ptrIiEEEESD_jNS1_19radix_merge_compareILb0ELb1EiNS0_19identity_decomposerEEEEE10hipError_tT0_T1_T2_jT3_P12ihipStream_tbPNSt15iterator_traitsISI_E10value_typeEPNSO_ISJ_E10value_typeEPSK_NS1_7vsmem_tEENKUlT_SI_SJ_SK_E_clIPiSD_S10_SD_EESH_SX_SI_SJ_SK_EUlSX_E0_NS1_11comp_targetILNS1_3genE5ELNS1_11target_archE942ELNS1_3gpuE9ELNS1_3repE0EEENS1_38merge_mergepath_config_static_selectorELNS0_4arch9wavefront6targetE1EEEvSJ_.uses_flat_scratch, 0
	.set _ZN7rocprim17ROCPRIM_400000_NS6detail17trampoline_kernelINS0_14default_configENS1_38merge_sort_block_merge_config_selectorIiiEEZZNS1_27merge_sort_block_merge_implIS3_N6thrust23THRUST_200600_302600_NS6detail15normal_iteratorINS8_10device_ptrIiEEEESD_jNS1_19radix_merge_compareILb0ELb1EiNS0_19identity_decomposerEEEEE10hipError_tT0_T1_T2_jT3_P12ihipStream_tbPNSt15iterator_traitsISI_E10value_typeEPNSO_ISJ_E10value_typeEPSK_NS1_7vsmem_tEENKUlT_SI_SJ_SK_E_clIPiSD_S10_SD_EESH_SX_SI_SJ_SK_EUlSX_E0_NS1_11comp_targetILNS1_3genE5ELNS1_11target_archE942ELNS1_3gpuE9ELNS1_3repE0EEENS1_38merge_mergepath_config_static_selectorELNS0_4arch9wavefront6targetE1EEEvSJ_.has_dyn_sized_stack, 0
	.set _ZN7rocprim17ROCPRIM_400000_NS6detail17trampoline_kernelINS0_14default_configENS1_38merge_sort_block_merge_config_selectorIiiEEZZNS1_27merge_sort_block_merge_implIS3_N6thrust23THRUST_200600_302600_NS6detail15normal_iteratorINS8_10device_ptrIiEEEESD_jNS1_19radix_merge_compareILb0ELb1EiNS0_19identity_decomposerEEEEE10hipError_tT0_T1_T2_jT3_P12ihipStream_tbPNSt15iterator_traitsISI_E10value_typeEPNSO_ISJ_E10value_typeEPSK_NS1_7vsmem_tEENKUlT_SI_SJ_SK_E_clIPiSD_S10_SD_EESH_SX_SI_SJ_SK_EUlSX_E0_NS1_11comp_targetILNS1_3genE5ELNS1_11target_archE942ELNS1_3gpuE9ELNS1_3repE0EEENS1_38merge_mergepath_config_static_selectorELNS0_4arch9wavefront6targetE1EEEvSJ_.has_recursion, 0
	.set _ZN7rocprim17ROCPRIM_400000_NS6detail17trampoline_kernelINS0_14default_configENS1_38merge_sort_block_merge_config_selectorIiiEEZZNS1_27merge_sort_block_merge_implIS3_N6thrust23THRUST_200600_302600_NS6detail15normal_iteratorINS8_10device_ptrIiEEEESD_jNS1_19radix_merge_compareILb0ELb1EiNS0_19identity_decomposerEEEEE10hipError_tT0_T1_T2_jT3_P12ihipStream_tbPNSt15iterator_traitsISI_E10value_typeEPNSO_ISJ_E10value_typeEPSK_NS1_7vsmem_tEENKUlT_SI_SJ_SK_E_clIPiSD_S10_SD_EESH_SX_SI_SJ_SK_EUlSX_E0_NS1_11comp_targetILNS1_3genE5ELNS1_11target_archE942ELNS1_3gpuE9ELNS1_3repE0EEENS1_38merge_mergepath_config_static_selectorELNS0_4arch9wavefront6targetE1EEEvSJ_.has_indirect_call, 0
	.section	.AMDGPU.csdata,"",@progbits
; Kernel info:
; codeLenInByte = 0
; TotalNumSgprs: 6
; NumVgprs: 0
; NumAgprs: 0
; TotalNumVgprs: 0
; ScratchSize: 0
; MemoryBound: 0
; FloatMode: 240
; IeeeMode: 1
; LDSByteSize: 0 bytes/workgroup (compile time only)
; SGPRBlocks: 0
; VGPRBlocks: 0
; NumSGPRsForWavesPerEU: 6
; NumVGPRsForWavesPerEU: 1
; AccumOffset: 4
; Occupancy: 8
; WaveLimiterHint : 0
; COMPUTE_PGM_RSRC2:SCRATCH_EN: 0
; COMPUTE_PGM_RSRC2:USER_SGPR: 2
; COMPUTE_PGM_RSRC2:TRAP_HANDLER: 0
; COMPUTE_PGM_RSRC2:TGID_X_EN: 1
; COMPUTE_PGM_RSRC2:TGID_Y_EN: 0
; COMPUTE_PGM_RSRC2:TGID_Z_EN: 0
; COMPUTE_PGM_RSRC2:TIDIG_COMP_CNT: 0
; COMPUTE_PGM_RSRC3_GFX90A:ACCUM_OFFSET: 0
; COMPUTE_PGM_RSRC3_GFX90A:TG_SPLIT: 0
	.section	.text._ZN7rocprim17ROCPRIM_400000_NS6detail17trampoline_kernelINS0_14default_configENS1_38merge_sort_block_merge_config_selectorIiiEEZZNS1_27merge_sort_block_merge_implIS3_N6thrust23THRUST_200600_302600_NS6detail15normal_iteratorINS8_10device_ptrIiEEEESD_jNS1_19radix_merge_compareILb0ELb1EiNS0_19identity_decomposerEEEEE10hipError_tT0_T1_T2_jT3_P12ihipStream_tbPNSt15iterator_traitsISI_E10value_typeEPNSO_ISJ_E10value_typeEPSK_NS1_7vsmem_tEENKUlT_SI_SJ_SK_E_clIPiSD_S10_SD_EESH_SX_SI_SJ_SK_EUlSX_E0_NS1_11comp_targetILNS1_3genE4ELNS1_11target_archE910ELNS1_3gpuE8ELNS1_3repE0EEENS1_38merge_mergepath_config_static_selectorELNS0_4arch9wavefront6targetE1EEEvSJ_,"axG",@progbits,_ZN7rocprim17ROCPRIM_400000_NS6detail17trampoline_kernelINS0_14default_configENS1_38merge_sort_block_merge_config_selectorIiiEEZZNS1_27merge_sort_block_merge_implIS3_N6thrust23THRUST_200600_302600_NS6detail15normal_iteratorINS8_10device_ptrIiEEEESD_jNS1_19radix_merge_compareILb0ELb1EiNS0_19identity_decomposerEEEEE10hipError_tT0_T1_T2_jT3_P12ihipStream_tbPNSt15iterator_traitsISI_E10value_typeEPNSO_ISJ_E10value_typeEPSK_NS1_7vsmem_tEENKUlT_SI_SJ_SK_E_clIPiSD_S10_SD_EESH_SX_SI_SJ_SK_EUlSX_E0_NS1_11comp_targetILNS1_3genE4ELNS1_11target_archE910ELNS1_3gpuE8ELNS1_3repE0EEENS1_38merge_mergepath_config_static_selectorELNS0_4arch9wavefront6targetE1EEEvSJ_,comdat
	.protected	_ZN7rocprim17ROCPRIM_400000_NS6detail17trampoline_kernelINS0_14default_configENS1_38merge_sort_block_merge_config_selectorIiiEEZZNS1_27merge_sort_block_merge_implIS3_N6thrust23THRUST_200600_302600_NS6detail15normal_iteratorINS8_10device_ptrIiEEEESD_jNS1_19radix_merge_compareILb0ELb1EiNS0_19identity_decomposerEEEEE10hipError_tT0_T1_T2_jT3_P12ihipStream_tbPNSt15iterator_traitsISI_E10value_typeEPNSO_ISJ_E10value_typeEPSK_NS1_7vsmem_tEENKUlT_SI_SJ_SK_E_clIPiSD_S10_SD_EESH_SX_SI_SJ_SK_EUlSX_E0_NS1_11comp_targetILNS1_3genE4ELNS1_11target_archE910ELNS1_3gpuE8ELNS1_3repE0EEENS1_38merge_mergepath_config_static_selectorELNS0_4arch9wavefront6targetE1EEEvSJ_ ; -- Begin function _ZN7rocprim17ROCPRIM_400000_NS6detail17trampoline_kernelINS0_14default_configENS1_38merge_sort_block_merge_config_selectorIiiEEZZNS1_27merge_sort_block_merge_implIS3_N6thrust23THRUST_200600_302600_NS6detail15normal_iteratorINS8_10device_ptrIiEEEESD_jNS1_19radix_merge_compareILb0ELb1EiNS0_19identity_decomposerEEEEE10hipError_tT0_T1_T2_jT3_P12ihipStream_tbPNSt15iterator_traitsISI_E10value_typeEPNSO_ISJ_E10value_typeEPSK_NS1_7vsmem_tEENKUlT_SI_SJ_SK_E_clIPiSD_S10_SD_EESH_SX_SI_SJ_SK_EUlSX_E0_NS1_11comp_targetILNS1_3genE4ELNS1_11target_archE910ELNS1_3gpuE8ELNS1_3repE0EEENS1_38merge_mergepath_config_static_selectorELNS0_4arch9wavefront6targetE1EEEvSJ_
	.globl	_ZN7rocprim17ROCPRIM_400000_NS6detail17trampoline_kernelINS0_14default_configENS1_38merge_sort_block_merge_config_selectorIiiEEZZNS1_27merge_sort_block_merge_implIS3_N6thrust23THRUST_200600_302600_NS6detail15normal_iteratorINS8_10device_ptrIiEEEESD_jNS1_19radix_merge_compareILb0ELb1EiNS0_19identity_decomposerEEEEE10hipError_tT0_T1_T2_jT3_P12ihipStream_tbPNSt15iterator_traitsISI_E10value_typeEPNSO_ISJ_E10value_typeEPSK_NS1_7vsmem_tEENKUlT_SI_SJ_SK_E_clIPiSD_S10_SD_EESH_SX_SI_SJ_SK_EUlSX_E0_NS1_11comp_targetILNS1_3genE4ELNS1_11target_archE910ELNS1_3gpuE8ELNS1_3repE0EEENS1_38merge_mergepath_config_static_selectorELNS0_4arch9wavefront6targetE1EEEvSJ_
	.p2align	8
	.type	_ZN7rocprim17ROCPRIM_400000_NS6detail17trampoline_kernelINS0_14default_configENS1_38merge_sort_block_merge_config_selectorIiiEEZZNS1_27merge_sort_block_merge_implIS3_N6thrust23THRUST_200600_302600_NS6detail15normal_iteratorINS8_10device_ptrIiEEEESD_jNS1_19radix_merge_compareILb0ELb1EiNS0_19identity_decomposerEEEEE10hipError_tT0_T1_T2_jT3_P12ihipStream_tbPNSt15iterator_traitsISI_E10value_typeEPNSO_ISJ_E10value_typeEPSK_NS1_7vsmem_tEENKUlT_SI_SJ_SK_E_clIPiSD_S10_SD_EESH_SX_SI_SJ_SK_EUlSX_E0_NS1_11comp_targetILNS1_3genE4ELNS1_11target_archE910ELNS1_3gpuE8ELNS1_3repE0EEENS1_38merge_mergepath_config_static_selectorELNS0_4arch9wavefront6targetE1EEEvSJ_,@function
_ZN7rocprim17ROCPRIM_400000_NS6detail17trampoline_kernelINS0_14default_configENS1_38merge_sort_block_merge_config_selectorIiiEEZZNS1_27merge_sort_block_merge_implIS3_N6thrust23THRUST_200600_302600_NS6detail15normal_iteratorINS8_10device_ptrIiEEEESD_jNS1_19radix_merge_compareILb0ELb1EiNS0_19identity_decomposerEEEEE10hipError_tT0_T1_T2_jT3_P12ihipStream_tbPNSt15iterator_traitsISI_E10value_typeEPNSO_ISJ_E10value_typeEPSK_NS1_7vsmem_tEENKUlT_SI_SJ_SK_E_clIPiSD_S10_SD_EESH_SX_SI_SJ_SK_EUlSX_E0_NS1_11comp_targetILNS1_3genE4ELNS1_11target_archE910ELNS1_3gpuE8ELNS1_3repE0EEENS1_38merge_mergepath_config_static_selectorELNS0_4arch9wavefront6targetE1EEEvSJ_: ; @_ZN7rocprim17ROCPRIM_400000_NS6detail17trampoline_kernelINS0_14default_configENS1_38merge_sort_block_merge_config_selectorIiiEEZZNS1_27merge_sort_block_merge_implIS3_N6thrust23THRUST_200600_302600_NS6detail15normal_iteratorINS8_10device_ptrIiEEEESD_jNS1_19radix_merge_compareILb0ELb1EiNS0_19identity_decomposerEEEEE10hipError_tT0_T1_T2_jT3_P12ihipStream_tbPNSt15iterator_traitsISI_E10value_typeEPNSO_ISJ_E10value_typeEPSK_NS1_7vsmem_tEENKUlT_SI_SJ_SK_E_clIPiSD_S10_SD_EESH_SX_SI_SJ_SK_EUlSX_E0_NS1_11comp_targetILNS1_3genE4ELNS1_11target_archE910ELNS1_3gpuE8ELNS1_3repE0EEENS1_38merge_mergepath_config_static_selectorELNS0_4arch9wavefront6targetE1EEEvSJ_
; %bb.0:
	.section	.rodata,"a",@progbits
	.p2align	6, 0x0
	.amdhsa_kernel _ZN7rocprim17ROCPRIM_400000_NS6detail17trampoline_kernelINS0_14default_configENS1_38merge_sort_block_merge_config_selectorIiiEEZZNS1_27merge_sort_block_merge_implIS3_N6thrust23THRUST_200600_302600_NS6detail15normal_iteratorINS8_10device_ptrIiEEEESD_jNS1_19radix_merge_compareILb0ELb1EiNS0_19identity_decomposerEEEEE10hipError_tT0_T1_T2_jT3_P12ihipStream_tbPNSt15iterator_traitsISI_E10value_typeEPNSO_ISJ_E10value_typeEPSK_NS1_7vsmem_tEENKUlT_SI_SJ_SK_E_clIPiSD_S10_SD_EESH_SX_SI_SJ_SK_EUlSX_E0_NS1_11comp_targetILNS1_3genE4ELNS1_11target_archE910ELNS1_3gpuE8ELNS1_3repE0EEENS1_38merge_mergepath_config_static_selectorELNS0_4arch9wavefront6targetE1EEEvSJ_
		.amdhsa_group_segment_fixed_size 0
		.amdhsa_private_segment_fixed_size 0
		.amdhsa_kernarg_size 64
		.amdhsa_user_sgpr_count 2
		.amdhsa_user_sgpr_dispatch_ptr 0
		.amdhsa_user_sgpr_queue_ptr 0
		.amdhsa_user_sgpr_kernarg_segment_ptr 1
		.amdhsa_user_sgpr_dispatch_id 0
		.amdhsa_user_sgpr_kernarg_preload_length 0
		.amdhsa_user_sgpr_kernarg_preload_offset 0
		.amdhsa_user_sgpr_private_segment_size 0
		.amdhsa_uses_dynamic_stack 0
		.amdhsa_enable_private_segment 0
		.amdhsa_system_sgpr_workgroup_id_x 1
		.amdhsa_system_sgpr_workgroup_id_y 0
		.amdhsa_system_sgpr_workgroup_id_z 0
		.amdhsa_system_sgpr_workgroup_info 0
		.amdhsa_system_vgpr_workitem_id 0
		.amdhsa_next_free_vgpr 1
		.amdhsa_next_free_sgpr 0
		.amdhsa_accum_offset 4
		.amdhsa_reserve_vcc 0
		.amdhsa_float_round_mode_32 0
		.amdhsa_float_round_mode_16_64 0
		.amdhsa_float_denorm_mode_32 3
		.amdhsa_float_denorm_mode_16_64 3
		.amdhsa_dx10_clamp 1
		.amdhsa_ieee_mode 1
		.amdhsa_fp16_overflow 0
		.amdhsa_tg_split 0
		.amdhsa_exception_fp_ieee_invalid_op 0
		.amdhsa_exception_fp_denorm_src 0
		.amdhsa_exception_fp_ieee_div_zero 0
		.amdhsa_exception_fp_ieee_overflow 0
		.amdhsa_exception_fp_ieee_underflow 0
		.amdhsa_exception_fp_ieee_inexact 0
		.amdhsa_exception_int_div_zero 0
	.end_amdhsa_kernel
	.section	.text._ZN7rocprim17ROCPRIM_400000_NS6detail17trampoline_kernelINS0_14default_configENS1_38merge_sort_block_merge_config_selectorIiiEEZZNS1_27merge_sort_block_merge_implIS3_N6thrust23THRUST_200600_302600_NS6detail15normal_iteratorINS8_10device_ptrIiEEEESD_jNS1_19radix_merge_compareILb0ELb1EiNS0_19identity_decomposerEEEEE10hipError_tT0_T1_T2_jT3_P12ihipStream_tbPNSt15iterator_traitsISI_E10value_typeEPNSO_ISJ_E10value_typeEPSK_NS1_7vsmem_tEENKUlT_SI_SJ_SK_E_clIPiSD_S10_SD_EESH_SX_SI_SJ_SK_EUlSX_E0_NS1_11comp_targetILNS1_3genE4ELNS1_11target_archE910ELNS1_3gpuE8ELNS1_3repE0EEENS1_38merge_mergepath_config_static_selectorELNS0_4arch9wavefront6targetE1EEEvSJ_,"axG",@progbits,_ZN7rocprim17ROCPRIM_400000_NS6detail17trampoline_kernelINS0_14default_configENS1_38merge_sort_block_merge_config_selectorIiiEEZZNS1_27merge_sort_block_merge_implIS3_N6thrust23THRUST_200600_302600_NS6detail15normal_iteratorINS8_10device_ptrIiEEEESD_jNS1_19radix_merge_compareILb0ELb1EiNS0_19identity_decomposerEEEEE10hipError_tT0_T1_T2_jT3_P12ihipStream_tbPNSt15iterator_traitsISI_E10value_typeEPNSO_ISJ_E10value_typeEPSK_NS1_7vsmem_tEENKUlT_SI_SJ_SK_E_clIPiSD_S10_SD_EESH_SX_SI_SJ_SK_EUlSX_E0_NS1_11comp_targetILNS1_3genE4ELNS1_11target_archE910ELNS1_3gpuE8ELNS1_3repE0EEENS1_38merge_mergepath_config_static_selectorELNS0_4arch9wavefront6targetE1EEEvSJ_,comdat
.Lfunc_end1355:
	.size	_ZN7rocprim17ROCPRIM_400000_NS6detail17trampoline_kernelINS0_14default_configENS1_38merge_sort_block_merge_config_selectorIiiEEZZNS1_27merge_sort_block_merge_implIS3_N6thrust23THRUST_200600_302600_NS6detail15normal_iteratorINS8_10device_ptrIiEEEESD_jNS1_19radix_merge_compareILb0ELb1EiNS0_19identity_decomposerEEEEE10hipError_tT0_T1_T2_jT3_P12ihipStream_tbPNSt15iterator_traitsISI_E10value_typeEPNSO_ISJ_E10value_typeEPSK_NS1_7vsmem_tEENKUlT_SI_SJ_SK_E_clIPiSD_S10_SD_EESH_SX_SI_SJ_SK_EUlSX_E0_NS1_11comp_targetILNS1_3genE4ELNS1_11target_archE910ELNS1_3gpuE8ELNS1_3repE0EEENS1_38merge_mergepath_config_static_selectorELNS0_4arch9wavefront6targetE1EEEvSJ_, .Lfunc_end1355-_ZN7rocprim17ROCPRIM_400000_NS6detail17trampoline_kernelINS0_14default_configENS1_38merge_sort_block_merge_config_selectorIiiEEZZNS1_27merge_sort_block_merge_implIS3_N6thrust23THRUST_200600_302600_NS6detail15normal_iteratorINS8_10device_ptrIiEEEESD_jNS1_19radix_merge_compareILb0ELb1EiNS0_19identity_decomposerEEEEE10hipError_tT0_T1_T2_jT3_P12ihipStream_tbPNSt15iterator_traitsISI_E10value_typeEPNSO_ISJ_E10value_typeEPSK_NS1_7vsmem_tEENKUlT_SI_SJ_SK_E_clIPiSD_S10_SD_EESH_SX_SI_SJ_SK_EUlSX_E0_NS1_11comp_targetILNS1_3genE4ELNS1_11target_archE910ELNS1_3gpuE8ELNS1_3repE0EEENS1_38merge_mergepath_config_static_selectorELNS0_4arch9wavefront6targetE1EEEvSJ_
                                        ; -- End function
	.set _ZN7rocprim17ROCPRIM_400000_NS6detail17trampoline_kernelINS0_14default_configENS1_38merge_sort_block_merge_config_selectorIiiEEZZNS1_27merge_sort_block_merge_implIS3_N6thrust23THRUST_200600_302600_NS6detail15normal_iteratorINS8_10device_ptrIiEEEESD_jNS1_19radix_merge_compareILb0ELb1EiNS0_19identity_decomposerEEEEE10hipError_tT0_T1_T2_jT3_P12ihipStream_tbPNSt15iterator_traitsISI_E10value_typeEPNSO_ISJ_E10value_typeEPSK_NS1_7vsmem_tEENKUlT_SI_SJ_SK_E_clIPiSD_S10_SD_EESH_SX_SI_SJ_SK_EUlSX_E0_NS1_11comp_targetILNS1_3genE4ELNS1_11target_archE910ELNS1_3gpuE8ELNS1_3repE0EEENS1_38merge_mergepath_config_static_selectorELNS0_4arch9wavefront6targetE1EEEvSJ_.num_vgpr, 0
	.set _ZN7rocprim17ROCPRIM_400000_NS6detail17trampoline_kernelINS0_14default_configENS1_38merge_sort_block_merge_config_selectorIiiEEZZNS1_27merge_sort_block_merge_implIS3_N6thrust23THRUST_200600_302600_NS6detail15normal_iteratorINS8_10device_ptrIiEEEESD_jNS1_19radix_merge_compareILb0ELb1EiNS0_19identity_decomposerEEEEE10hipError_tT0_T1_T2_jT3_P12ihipStream_tbPNSt15iterator_traitsISI_E10value_typeEPNSO_ISJ_E10value_typeEPSK_NS1_7vsmem_tEENKUlT_SI_SJ_SK_E_clIPiSD_S10_SD_EESH_SX_SI_SJ_SK_EUlSX_E0_NS1_11comp_targetILNS1_3genE4ELNS1_11target_archE910ELNS1_3gpuE8ELNS1_3repE0EEENS1_38merge_mergepath_config_static_selectorELNS0_4arch9wavefront6targetE1EEEvSJ_.num_agpr, 0
	.set _ZN7rocprim17ROCPRIM_400000_NS6detail17trampoline_kernelINS0_14default_configENS1_38merge_sort_block_merge_config_selectorIiiEEZZNS1_27merge_sort_block_merge_implIS3_N6thrust23THRUST_200600_302600_NS6detail15normal_iteratorINS8_10device_ptrIiEEEESD_jNS1_19radix_merge_compareILb0ELb1EiNS0_19identity_decomposerEEEEE10hipError_tT0_T1_T2_jT3_P12ihipStream_tbPNSt15iterator_traitsISI_E10value_typeEPNSO_ISJ_E10value_typeEPSK_NS1_7vsmem_tEENKUlT_SI_SJ_SK_E_clIPiSD_S10_SD_EESH_SX_SI_SJ_SK_EUlSX_E0_NS1_11comp_targetILNS1_3genE4ELNS1_11target_archE910ELNS1_3gpuE8ELNS1_3repE0EEENS1_38merge_mergepath_config_static_selectorELNS0_4arch9wavefront6targetE1EEEvSJ_.numbered_sgpr, 0
	.set _ZN7rocprim17ROCPRIM_400000_NS6detail17trampoline_kernelINS0_14default_configENS1_38merge_sort_block_merge_config_selectorIiiEEZZNS1_27merge_sort_block_merge_implIS3_N6thrust23THRUST_200600_302600_NS6detail15normal_iteratorINS8_10device_ptrIiEEEESD_jNS1_19radix_merge_compareILb0ELb1EiNS0_19identity_decomposerEEEEE10hipError_tT0_T1_T2_jT3_P12ihipStream_tbPNSt15iterator_traitsISI_E10value_typeEPNSO_ISJ_E10value_typeEPSK_NS1_7vsmem_tEENKUlT_SI_SJ_SK_E_clIPiSD_S10_SD_EESH_SX_SI_SJ_SK_EUlSX_E0_NS1_11comp_targetILNS1_3genE4ELNS1_11target_archE910ELNS1_3gpuE8ELNS1_3repE0EEENS1_38merge_mergepath_config_static_selectorELNS0_4arch9wavefront6targetE1EEEvSJ_.num_named_barrier, 0
	.set _ZN7rocprim17ROCPRIM_400000_NS6detail17trampoline_kernelINS0_14default_configENS1_38merge_sort_block_merge_config_selectorIiiEEZZNS1_27merge_sort_block_merge_implIS3_N6thrust23THRUST_200600_302600_NS6detail15normal_iteratorINS8_10device_ptrIiEEEESD_jNS1_19radix_merge_compareILb0ELb1EiNS0_19identity_decomposerEEEEE10hipError_tT0_T1_T2_jT3_P12ihipStream_tbPNSt15iterator_traitsISI_E10value_typeEPNSO_ISJ_E10value_typeEPSK_NS1_7vsmem_tEENKUlT_SI_SJ_SK_E_clIPiSD_S10_SD_EESH_SX_SI_SJ_SK_EUlSX_E0_NS1_11comp_targetILNS1_3genE4ELNS1_11target_archE910ELNS1_3gpuE8ELNS1_3repE0EEENS1_38merge_mergepath_config_static_selectorELNS0_4arch9wavefront6targetE1EEEvSJ_.private_seg_size, 0
	.set _ZN7rocprim17ROCPRIM_400000_NS6detail17trampoline_kernelINS0_14default_configENS1_38merge_sort_block_merge_config_selectorIiiEEZZNS1_27merge_sort_block_merge_implIS3_N6thrust23THRUST_200600_302600_NS6detail15normal_iteratorINS8_10device_ptrIiEEEESD_jNS1_19radix_merge_compareILb0ELb1EiNS0_19identity_decomposerEEEEE10hipError_tT0_T1_T2_jT3_P12ihipStream_tbPNSt15iterator_traitsISI_E10value_typeEPNSO_ISJ_E10value_typeEPSK_NS1_7vsmem_tEENKUlT_SI_SJ_SK_E_clIPiSD_S10_SD_EESH_SX_SI_SJ_SK_EUlSX_E0_NS1_11comp_targetILNS1_3genE4ELNS1_11target_archE910ELNS1_3gpuE8ELNS1_3repE0EEENS1_38merge_mergepath_config_static_selectorELNS0_4arch9wavefront6targetE1EEEvSJ_.uses_vcc, 0
	.set _ZN7rocprim17ROCPRIM_400000_NS6detail17trampoline_kernelINS0_14default_configENS1_38merge_sort_block_merge_config_selectorIiiEEZZNS1_27merge_sort_block_merge_implIS3_N6thrust23THRUST_200600_302600_NS6detail15normal_iteratorINS8_10device_ptrIiEEEESD_jNS1_19radix_merge_compareILb0ELb1EiNS0_19identity_decomposerEEEEE10hipError_tT0_T1_T2_jT3_P12ihipStream_tbPNSt15iterator_traitsISI_E10value_typeEPNSO_ISJ_E10value_typeEPSK_NS1_7vsmem_tEENKUlT_SI_SJ_SK_E_clIPiSD_S10_SD_EESH_SX_SI_SJ_SK_EUlSX_E0_NS1_11comp_targetILNS1_3genE4ELNS1_11target_archE910ELNS1_3gpuE8ELNS1_3repE0EEENS1_38merge_mergepath_config_static_selectorELNS0_4arch9wavefront6targetE1EEEvSJ_.uses_flat_scratch, 0
	.set _ZN7rocprim17ROCPRIM_400000_NS6detail17trampoline_kernelINS0_14default_configENS1_38merge_sort_block_merge_config_selectorIiiEEZZNS1_27merge_sort_block_merge_implIS3_N6thrust23THRUST_200600_302600_NS6detail15normal_iteratorINS8_10device_ptrIiEEEESD_jNS1_19radix_merge_compareILb0ELb1EiNS0_19identity_decomposerEEEEE10hipError_tT0_T1_T2_jT3_P12ihipStream_tbPNSt15iterator_traitsISI_E10value_typeEPNSO_ISJ_E10value_typeEPSK_NS1_7vsmem_tEENKUlT_SI_SJ_SK_E_clIPiSD_S10_SD_EESH_SX_SI_SJ_SK_EUlSX_E0_NS1_11comp_targetILNS1_3genE4ELNS1_11target_archE910ELNS1_3gpuE8ELNS1_3repE0EEENS1_38merge_mergepath_config_static_selectorELNS0_4arch9wavefront6targetE1EEEvSJ_.has_dyn_sized_stack, 0
	.set _ZN7rocprim17ROCPRIM_400000_NS6detail17trampoline_kernelINS0_14default_configENS1_38merge_sort_block_merge_config_selectorIiiEEZZNS1_27merge_sort_block_merge_implIS3_N6thrust23THRUST_200600_302600_NS6detail15normal_iteratorINS8_10device_ptrIiEEEESD_jNS1_19radix_merge_compareILb0ELb1EiNS0_19identity_decomposerEEEEE10hipError_tT0_T1_T2_jT3_P12ihipStream_tbPNSt15iterator_traitsISI_E10value_typeEPNSO_ISJ_E10value_typeEPSK_NS1_7vsmem_tEENKUlT_SI_SJ_SK_E_clIPiSD_S10_SD_EESH_SX_SI_SJ_SK_EUlSX_E0_NS1_11comp_targetILNS1_3genE4ELNS1_11target_archE910ELNS1_3gpuE8ELNS1_3repE0EEENS1_38merge_mergepath_config_static_selectorELNS0_4arch9wavefront6targetE1EEEvSJ_.has_recursion, 0
	.set _ZN7rocprim17ROCPRIM_400000_NS6detail17trampoline_kernelINS0_14default_configENS1_38merge_sort_block_merge_config_selectorIiiEEZZNS1_27merge_sort_block_merge_implIS3_N6thrust23THRUST_200600_302600_NS6detail15normal_iteratorINS8_10device_ptrIiEEEESD_jNS1_19radix_merge_compareILb0ELb1EiNS0_19identity_decomposerEEEEE10hipError_tT0_T1_T2_jT3_P12ihipStream_tbPNSt15iterator_traitsISI_E10value_typeEPNSO_ISJ_E10value_typeEPSK_NS1_7vsmem_tEENKUlT_SI_SJ_SK_E_clIPiSD_S10_SD_EESH_SX_SI_SJ_SK_EUlSX_E0_NS1_11comp_targetILNS1_3genE4ELNS1_11target_archE910ELNS1_3gpuE8ELNS1_3repE0EEENS1_38merge_mergepath_config_static_selectorELNS0_4arch9wavefront6targetE1EEEvSJ_.has_indirect_call, 0
	.section	.AMDGPU.csdata,"",@progbits
; Kernel info:
; codeLenInByte = 0
; TotalNumSgprs: 6
; NumVgprs: 0
; NumAgprs: 0
; TotalNumVgprs: 0
; ScratchSize: 0
; MemoryBound: 0
; FloatMode: 240
; IeeeMode: 1
; LDSByteSize: 0 bytes/workgroup (compile time only)
; SGPRBlocks: 0
; VGPRBlocks: 0
; NumSGPRsForWavesPerEU: 6
; NumVGPRsForWavesPerEU: 1
; AccumOffset: 4
; Occupancy: 8
; WaveLimiterHint : 0
; COMPUTE_PGM_RSRC2:SCRATCH_EN: 0
; COMPUTE_PGM_RSRC2:USER_SGPR: 2
; COMPUTE_PGM_RSRC2:TRAP_HANDLER: 0
; COMPUTE_PGM_RSRC2:TGID_X_EN: 1
; COMPUTE_PGM_RSRC2:TGID_Y_EN: 0
; COMPUTE_PGM_RSRC2:TGID_Z_EN: 0
; COMPUTE_PGM_RSRC2:TIDIG_COMP_CNT: 0
; COMPUTE_PGM_RSRC3_GFX90A:ACCUM_OFFSET: 0
; COMPUTE_PGM_RSRC3_GFX90A:TG_SPLIT: 0
	.section	.text._ZN7rocprim17ROCPRIM_400000_NS6detail17trampoline_kernelINS0_14default_configENS1_38merge_sort_block_merge_config_selectorIiiEEZZNS1_27merge_sort_block_merge_implIS3_N6thrust23THRUST_200600_302600_NS6detail15normal_iteratorINS8_10device_ptrIiEEEESD_jNS1_19radix_merge_compareILb0ELb1EiNS0_19identity_decomposerEEEEE10hipError_tT0_T1_T2_jT3_P12ihipStream_tbPNSt15iterator_traitsISI_E10value_typeEPNSO_ISJ_E10value_typeEPSK_NS1_7vsmem_tEENKUlT_SI_SJ_SK_E_clIPiSD_S10_SD_EESH_SX_SI_SJ_SK_EUlSX_E0_NS1_11comp_targetILNS1_3genE3ELNS1_11target_archE908ELNS1_3gpuE7ELNS1_3repE0EEENS1_38merge_mergepath_config_static_selectorELNS0_4arch9wavefront6targetE1EEEvSJ_,"axG",@progbits,_ZN7rocprim17ROCPRIM_400000_NS6detail17trampoline_kernelINS0_14default_configENS1_38merge_sort_block_merge_config_selectorIiiEEZZNS1_27merge_sort_block_merge_implIS3_N6thrust23THRUST_200600_302600_NS6detail15normal_iteratorINS8_10device_ptrIiEEEESD_jNS1_19radix_merge_compareILb0ELb1EiNS0_19identity_decomposerEEEEE10hipError_tT0_T1_T2_jT3_P12ihipStream_tbPNSt15iterator_traitsISI_E10value_typeEPNSO_ISJ_E10value_typeEPSK_NS1_7vsmem_tEENKUlT_SI_SJ_SK_E_clIPiSD_S10_SD_EESH_SX_SI_SJ_SK_EUlSX_E0_NS1_11comp_targetILNS1_3genE3ELNS1_11target_archE908ELNS1_3gpuE7ELNS1_3repE0EEENS1_38merge_mergepath_config_static_selectorELNS0_4arch9wavefront6targetE1EEEvSJ_,comdat
	.protected	_ZN7rocprim17ROCPRIM_400000_NS6detail17trampoline_kernelINS0_14default_configENS1_38merge_sort_block_merge_config_selectorIiiEEZZNS1_27merge_sort_block_merge_implIS3_N6thrust23THRUST_200600_302600_NS6detail15normal_iteratorINS8_10device_ptrIiEEEESD_jNS1_19radix_merge_compareILb0ELb1EiNS0_19identity_decomposerEEEEE10hipError_tT0_T1_T2_jT3_P12ihipStream_tbPNSt15iterator_traitsISI_E10value_typeEPNSO_ISJ_E10value_typeEPSK_NS1_7vsmem_tEENKUlT_SI_SJ_SK_E_clIPiSD_S10_SD_EESH_SX_SI_SJ_SK_EUlSX_E0_NS1_11comp_targetILNS1_3genE3ELNS1_11target_archE908ELNS1_3gpuE7ELNS1_3repE0EEENS1_38merge_mergepath_config_static_selectorELNS0_4arch9wavefront6targetE1EEEvSJ_ ; -- Begin function _ZN7rocprim17ROCPRIM_400000_NS6detail17trampoline_kernelINS0_14default_configENS1_38merge_sort_block_merge_config_selectorIiiEEZZNS1_27merge_sort_block_merge_implIS3_N6thrust23THRUST_200600_302600_NS6detail15normal_iteratorINS8_10device_ptrIiEEEESD_jNS1_19radix_merge_compareILb0ELb1EiNS0_19identity_decomposerEEEEE10hipError_tT0_T1_T2_jT3_P12ihipStream_tbPNSt15iterator_traitsISI_E10value_typeEPNSO_ISJ_E10value_typeEPSK_NS1_7vsmem_tEENKUlT_SI_SJ_SK_E_clIPiSD_S10_SD_EESH_SX_SI_SJ_SK_EUlSX_E0_NS1_11comp_targetILNS1_3genE3ELNS1_11target_archE908ELNS1_3gpuE7ELNS1_3repE0EEENS1_38merge_mergepath_config_static_selectorELNS0_4arch9wavefront6targetE1EEEvSJ_
	.globl	_ZN7rocprim17ROCPRIM_400000_NS6detail17trampoline_kernelINS0_14default_configENS1_38merge_sort_block_merge_config_selectorIiiEEZZNS1_27merge_sort_block_merge_implIS3_N6thrust23THRUST_200600_302600_NS6detail15normal_iteratorINS8_10device_ptrIiEEEESD_jNS1_19radix_merge_compareILb0ELb1EiNS0_19identity_decomposerEEEEE10hipError_tT0_T1_T2_jT3_P12ihipStream_tbPNSt15iterator_traitsISI_E10value_typeEPNSO_ISJ_E10value_typeEPSK_NS1_7vsmem_tEENKUlT_SI_SJ_SK_E_clIPiSD_S10_SD_EESH_SX_SI_SJ_SK_EUlSX_E0_NS1_11comp_targetILNS1_3genE3ELNS1_11target_archE908ELNS1_3gpuE7ELNS1_3repE0EEENS1_38merge_mergepath_config_static_selectorELNS0_4arch9wavefront6targetE1EEEvSJ_
	.p2align	8
	.type	_ZN7rocprim17ROCPRIM_400000_NS6detail17trampoline_kernelINS0_14default_configENS1_38merge_sort_block_merge_config_selectorIiiEEZZNS1_27merge_sort_block_merge_implIS3_N6thrust23THRUST_200600_302600_NS6detail15normal_iteratorINS8_10device_ptrIiEEEESD_jNS1_19radix_merge_compareILb0ELb1EiNS0_19identity_decomposerEEEEE10hipError_tT0_T1_T2_jT3_P12ihipStream_tbPNSt15iterator_traitsISI_E10value_typeEPNSO_ISJ_E10value_typeEPSK_NS1_7vsmem_tEENKUlT_SI_SJ_SK_E_clIPiSD_S10_SD_EESH_SX_SI_SJ_SK_EUlSX_E0_NS1_11comp_targetILNS1_3genE3ELNS1_11target_archE908ELNS1_3gpuE7ELNS1_3repE0EEENS1_38merge_mergepath_config_static_selectorELNS0_4arch9wavefront6targetE1EEEvSJ_,@function
_ZN7rocprim17ROCPRIM_400000_NS6detail17trampoline_kernelINS0_14default_configENS1_38merge_sort_block_merge_config_selectorIiiEEZZNS1_27merge_sort_block_merge_implIS3_N6thrust23THRUST_200600_302600_NS6detail15normal_iteratorINS8_10device_ptrIiEEEESD_jNS1_19radix_merge_compareILb0ELb1EiNS0_19identity_decomposerEEEEE10hipError_tT0_T1_T2_jT3_P12ihipStream_tbPNSt15iterator_traitsISI_E10value_typeEPNSO_ISJ_E10value_typeEPSK_NS1_7vsmem_tEENKUlT_SI_SJ_SK_E_clIPiSD_S10_SD_EESH_SX_SI_SJ_SK_EUlSX_E0_NS1_11comp_targetILNS1_3genE3ELNS1_11target_archE908ELNS1_3gpuE7ELNS1_3repE0EEENS1_38merge_mergepath_config_static_selectorELNS0_4arch9wavefront6targetE1EEEvSJ_: ; @_ZN7rocprim17ROCPRIM_400000_NS6detail17trampoline_kernelINS0_14default_configENS1_38merge_sort_block_merge_config_selectorIiiEEZZNS1_27merge_sort_block_merge_implIS3_N6thrust23THRUST_200600_302600_NS6detail15normal_iteratorINS8_10device_ptrIiEEEESD_jNS1_19radix_merge_compareILb0ELb1EiNS0_19identity_decomposerEEEEE10hipError_tT0_T1_T2_jT3_P12ihipStream_tbPNSt15iterator_traitsISI_E10value_typeEPNSO_ISJ_E10value_typeEPSK_NS1_7vsmem_tEENKUlT_SI_SJ_SK_E_clIPiSD_S10_SD_EESH_SX_SI_SJ_SK_EUlSX_E0_NS1_11comp_targetILNS1_3genE3ELNS1_11target_archE908ELNS1_3gpuE7ELNS1_3repE0EEENS1_38merge_mergepath_config_static_selectorELNS0_4arch9wavefront6targetE1EEEvSJ_
; %bb.0:
	.section	.rodata,"a",@progbits
	.p2align	6, 0x0
	.amdhsa_kernel _ZN7rocprim17ROCPRIM_400000_NS6detail17trampoline_kernelINS0_14default_configENS1_38merge_sort_block_merge_config_selectorIiiEEZZNS1_27merge_sort_block_merge_implIS3_N6thrust23THRUST_200600_302600_NS6detail15normal_iteratorINS8_10device_ptrIiEEEESD_jNS1_19radix_merge_compareILb0ELb1EiNS0_19identity_decomposerEEEEE10hipError_tT0_T1_T2_jT3_P12ihipStream_tbPNSt15iterator_traitsISI_E10value_typeEPNSO_ISJ_E10value_typeEPSK_NS1_7vsmem_tEENKUlT_SI_SJ_SK_E_clIPiSD_S10_SD_EESH_SX_SI_SJ_SK_EUlSX_E0_NS1_11comp_targetILNS1_3genE3ELNS1_11target_archE908ELNS1_3gpuE7ELNS1_3repE0EEENS1_38merge_mergepath_config_static_selectorELNS0_4arch9wavefront6targetE1EEEvSJ_
		.amdhsa_group_segment_fixed_size 0
		.amdhsa_private_segment_fixed_size 0
		.amdhsa_kernarg_size 64
		.amdhsa_user_sgpr_count 2
		.amdhsa_user_sgpr_dispatch_ptr 0
		.amdhsa_user_sgpr_queue_ptr 0
		.amdhsa_user_sgpr_kernarg_segment_ptr 1
		.amdhsa_user_sgpr_dispatch_id 0
		.amdhsa_user_sgpr_kernarg_preload_length 0
		.amdhsa_user_sgpr_kernarg_preload_offset 0
		.amdhsa_user_sgpr_private_segment_size 0
		.amdhsa_uses_dynamic_stack 0
		.amdhsa_enable_private_segment 0
		.amdhsa_system_sgpr_workgroup_id_x 1
		.amdhsa_system_sgpr_workgroup_id_y 0
		.amdhsa_system_sgpr_workgroup_id_z 0
		.amdhsa_system_sgpr_workgroup_info 0
		.amdhsa_system_vgpr_workitem_id 0
		.amdhsa_next_free_vgpr 1
		.amdhsa_next_free_sgpr 0
		.amdhsa_accum_offset 4
		.amdhsa_reserve_vcc 0
		.amdhsa_float_round_mode_32 0
		.amdhsa_float_round_mode_16_64 0
		.amdhsa_float_denorm_mode_32 3
		.amdhsa_float_denorm_mode_16_64 3
		.amdhsa_dx10_clamp 1
		.amdhsa_ieee_mode 1
		.amdhsa_fp16_overflow 0
		.amdhsa_tg_split 0
		.amdhsa_exception_fp_ieee_invalid_op 0
		.amdhsa_exception_fp_denorm_src 0
		.amdhsa_exception_fp_ieee_div_zero 0
		.amdhsa_exception_fp_ieee_overflow 0
		.amdhsa_exception_fp_ieee_underflow 0
		.amdhsa_exception_fp_ieee_inexact 0
		.amdhsa_exception_int_div_zero 0
	.end_amdhsa_kernel
	.section	.text._ZN7rocprim17ROCPRIM_400000_NS6detail17trampoline_kernelINS0_14default_configENS1_38merge_sort_block_merge_config_selectorIiiEEZZNS1_27merge_sort_block_merge_implIS3_N6thrust23THRUST_200600_302600_NS6detail15normal_iteratorINS8_10device_ptrIiEEEESD_jNS1_19radix_merge_compareILb0ELb1EiNS0_19identity_decomposerEEEEE10hipError_tT0_T1_T2_jT3_P12ihipStream_tbPNSt15iterator_traitsISI_E10value_typeEPNSO_ISJ_E10value_typeEPSK_NS1_7vsmem_tEENKUlT_SI_SJ_SK_E_clIPiSD_S10_SD_EESH_SX_SI_SJ_SK_EUlSX_E0_NS1_11comp_targetILNS1_3genE3ELNS1_11target_archE908ELNS1_3gpuE7ELNS1_3repE0EEENS1_38merge_mergepath_config_static_selectorELNS0_4arch9wavefront6targetE1EEEvSJ_,"axG",@progbits,_ZN7rocprim17ROCPRIM_400000_NS6detail17trampoline_kernelINS0_14default_configENS1_38merge_sort_block_merge_config_selectorIiiEEZZNS1_27merge_sort_block_merge_implIS3_N6thrust23THRUST_200600_302600_NS6detail15normal_iteratorINS8_10device_ptrIiEEEESD_jNS1_19radix_merge_compareILb0ELb1EiNS0_19identity_decomposerEEEEE10hipError_tT0_T1_T2_jT3_P12ihipStream_tbPNSt15iterator_traitsISI_E10value_typeEPNSO_ISJ_E10value_typeEPSK_NS1_7vsmem_tEENKUlT_SI_SJ_SK_E_clIPiSD_S10_SD_EESH_SX_SI_SJ_SK_EUlSX_E0_NS1_11comp_targetILNS1_3genE3ELNS1_11target_archE908ELNS1_3gpuE7ELNS1_3repE0EEENS1_38merge_mergepath_config_static_selectorELNS0_4arch9wavefront6targetE1EEEvSJ_,comdat
.Lfunc_end1356:
	.size	_ZN7rocprim17ROCPRIM_400000_NS6detail17trampoline_kernelINS0_14default_configENS1_38merge_sort_block_merge_config_selectorIiiEEZZNS1_27merge_sort_block_merge_implIS3_N6thrust23THRUST_200600_302600_NS6detail15normal_iteratorINS8_10device_ptrIiEEEESD_jNS1_19radix_merge_compareILb0ELb1EiNS0_19identity_decomposerEEEEE10hipError_tT0_T1_T2_jT3_P12ihipStream_tbPNSt15iterator_traitsISI_E10value_typeEPNSO_ISJ_E10value_typeEPSK_NS1_7vsmem_tEENKUlT_SI_SJ_SK_E_clIPiSD_S10_SD_EESH_SX_SI_SJ_SK_EUlSX_E0_NS1_11comp_targetILNS1_3genE3ELNS1_11target_archE908ELNS1_3gpuE7ELNS1_3repE0EEENS1_38merge_mergepath_config_static_selectorELNS0_4arch9wavefront6targetE1EEEvSJ_, .Lfunc_end1356-_ZN7rocprim17ROCPRIM_400000_NS6detail17trampoline_kernelINS0_14default_configENS1_38merge_sort_block_merge_config_selectorIiiEEZZNS1_27merge_sort_block_merge_implIS3_N6thrust23THRUST_200600_302600_NS6detail15normal_iteratorINS8_10device_ptrIiEEEESD_jNS1_19radix_merge_compareILb0ELb1EiNS0_19identity_decomposerEEEEE10hipError_tT0_T1_T2_jT3_P12ihipStream_tbPNSt15iterator_traitsISI_E10value_typeEPNSO_ISJ_E10value_typeEPSK_NS1_7vsmem_tEENKUlT_SI_SJ_SK_E_clIPiSD_S10_SD_EESH_SX_SI_SJ_SK_EUlSX_E0_NS1_11comp_targetILNS1_3genE3ELNS1_11target_archE908ELNS1_3gpuE7ELNS1_3repE0EEENS1_38merge_mergepath_config_static_selectorELNS0_4arch9wavefront6targetE1EEEvSJ_
                                        ; -- End function
	.set _ZN7rocprim17ROCPRIM_400000_NS6detail17trampoline_kernelINS0_14default_configENS1_38merge_sort_block_merge_config_selectorIiiEEZZNS1_27merge_sort_block_merge_implIS3_N6thrust23THRUST_200600_302600_NS6detail15normal_iteratorINS8_10device_ptrIiEEEESD_jNS1_19radix_merge_compareILb0ELb1EiNS0_19identity_decomposerEEEEE10hipError_tT0_T1_T2_jT3_P12ihipStream_tbPNSt15iterator_traitsISI_E10value_typeEPNSO_ISJ_E10value_typeEPSK_NS1_7vsmem_tEENKUlT_SI_SJ_SK_E_clIPiSD_S10_SD_EESH_SX_SI_SJ_SK_EUlSX_E0_NS1_11comp_targetILNS1_3genE3ELNS1_11target_archE908ELNS1_3gpuE7ELNS1_3repE0EEENS1_38merge_mergepath_config_static_selectorELNS0_4arch9wavefront6targetE1EEEvSJ_.num_vgpr, 0
	.set _ZN7rocprim17ROCPRIM_400000_NS6detail17trampoline_kernelINS0_14default_configENS1_38merge_sort_block_merge_config_selectorIiiEEZZNS1_27merge_sort_block_merge_implIS3_N6thrust23THRUST_200600_302600_NS6detail15normal_iteratorINS8_10device_ptrIiEEEESD_jNS1_19radix_merge_compareILb0ELb1EiNS0_19identity_decomposerEEEEE10hipError_tT0_T1_T2_jT3_P12ihipStream_tbPNSt15iterator_traitsISI_E10value_typeEPNSO_ISJ_E10value_typeEPSK_NS1_7vsmem_tEENKUlT_SI_SJ_SK_E_clIPiSD_S10_SD_EESH_SX_SI_SJ_SK_EUlSX_E0_NS1_11comp_targetILNS1_3genE3ELNS1_11target_archE908ELNS1_3gpuE7ELNS1_3repE0EEENS1_38merge_mergepath_config_static_selectorELNS0_4arch9wavefront6targetE1EEEvSJ_.num_agpr, 0
	.set _ZN7rocprim17ROCPRIM_400000_NS6detail17trampoline_kernelINS0_14default_configENS1_38merge_sort_block_merge_config_selectorIiiEEZZNS1_27merge_sort_block_merge_implIS3_N6thrust23THRUST_200600_302600_NS6detail15normal_iteratorINS8_10device_ptrIiEEEESD_jNS1_19radix_merge_compareILb0ELb1EiNS0_19identity_decomposerEEEEE10hipError_tT0_T1_T2_jT3_P12ihipStream_tbPNSt15iterator_traitsISI_E10value_typeEPNSO_ISJ_E10value_typeEPSK_NS1_7vsmem_tEENKUlT_SI_SJ_SK_E_clIPiSD_S10_SD_EESH_SX_SI_SJ_SK_EUlSX_E0_NS1_11comp_targetILNS1_3genE3ELNS1_11target_archE908ELNS1_3gpuE7ELNS1_3repE0EEENS1_38merge_mergepath_config_static_selectorELNS0_4arch9wavefront6targetE1EEEvSJ_.numbered_sgpr, 0
	.set _ZN7rocprim17ROCPRIM_400000_NS6detail17trampoline_kernelINS0_14default_configENS1_38merge_sort_block_merge_config_selectorIiiEEZZNS1_27merge_sort_block_merge_implIS3_N6thrust23THRUST_200600_302600_NS6detail15normal_iteratorINS8_10device_ptrIiEEEESD_jNS1_19radix_merge_compareILb0ELb1EiNS0_19identity_decomposerEEEEE10hipError_tT0_T1_T2_jT3_P12ihipStream_tbPNSt15iterator_traitsISI_E10value_typeEPNSO_ISJ_E10value_typeEPSK_NS1_7vsmem_tEENKUlT_SI_SJ_SK_E_clIPiSD_S10_SD_EESH_SX_SI_SJ_SK_EUlSX_E0_NS1_11comp_targetILNS1_3genE3ELNS1_11target_archE908ELNS1_3gpuE7ELNS1_3repE0EEENS1_38merge_mergepath_config_static_selectorELNS0_4arch9wavefront6targetE1EEEvSJ_.num_named_barrier, 0
	.set _ZN7rocprim17ROCPRIM_400000_NS6detail17trampoline_kernelINS0_14default_configENS1_38merge_sort_block_merge_config_selectorIiiEEZZNS1_27merge_sort_block_merge_implIS3_N6thrust23THRUST_200600_302600_NS6detail15normal_iteratorINS8_10device_ptrIiEEEESD_jNS1_19radix_merge_compareILb0ELb1EiNS0_19identity_decomposerEEEEE10hipError_tT0_T1_T2_jT3_P12ihipStream_tbPNSt15iterator_traitsISI_E10value_typeEPNSO_ISJ_E10value_typeEPSK_NS1_7vsmem_tEENKUlT_SI_SJ_SK_E_clIPiSD_S10_SD_EESH_SX_SI_SJ_SK_EUlSX_E0_NS1_11comp_targetILNS1_3genE3ELNS1_11target_archE908ELNS1_3gpuE7ELNS1_3repE0EEENS1_38merge_mergepath_config_static_selectorELNS0_4arch9wavefront6targetE1EEEvSJ_.private_seg_size, 0
	.set _ZN7rocprim17ROCPRIM_400000_NS6detail17trampoline_kernelINS0_14default_configENS1_38merge_sort_block_merge_config_selectorIiiEEZZNS1_27merge_sort_block_merge_implIS3_N6thrust23THRUST_200600_302600_NS6detail15normal_iteratorINS8_10device_ptrIiEEEESD_jNS1_19radix_merge_compareILb0ELb1EiNS0_19identity_decomposerEEEEE10hipError_tT0_T1_T2_jT3_P12ihipStream_tbPNSt15iterator_traitsISI_E10value_typeEPNSO_ISJ_E10value_typeEPSK_NS1_7vsmem_tEENKUlT_SI_SJ_SK_E_clIPiSD_S10_SD_EESH_SX_SI_SJ_SK_EUlSX_E0_NS1_11comp_targetILNS1_3genE3ELNS1_11target_archE908ELNS1_3gpuE7ELNS1_3repE0EEENS1_38merge_mergepath_config_static_selectorELNS0_4arch9wavefront6targetE1EEEvSJ_.uses_vcc, 0
	.set _ZN7rocprim17ROCPRIM_400000_NS6detail17trampoline_kernelINS0_14default_configENS1_38merge_sort_block_merge_config_selectorIiiEEZZNS1_27merge_sort_block_merge_implIS3_N6thrust23THRUST_200600_302600_NS6detail15normal_iteratorINS8_10device_ptrIiEEEESD_jNS1_19radix_merge_compareILb0ELb1EiNS0_19identity_decomposerEEEEE10hipError_tT0_T1_T2_jT3_P12ihipStream_tbPNSt15iterator_traitsISI_E10value_typeEPNSO_ISJ_E10value_typeEPSK_NS1_7vsmem_tEENKUlT_SI_SJ_SK_E_clIPiSD_S10_SD_EESH_SX_SI_SJ_SK_EUlSX_E0_NS1_11comp_targetILNS1_3genE3ELNS1_11target_archE908ELNS1_3gpuE7ELNS1_3repE0EEENS1_38merge_mergepath_config_static_selectorELNS0_4arch9wavefront6targetE1EEEvSJ_.uses_flat_scratch, 0
	.set _ZN7rocprim17ROCPRIM_400000_NS6detail17trampoline_kernelINS0_14default_configENS1_38merge_sort_block_merge_config_selectorIiiEEZZNS1_27merge_sort_block_merge_implIS3_N6thrust23THRUST_200600_302600_NS6detail15normal_iteratorINS8_10device_ptrIiEEEESD_jNS1_19radix_merge_compareILb0ELb1EiNS0_19identity_decomposerEEEEE10hipError_tT0_T1_T2_jT3_P12ihipStream_tbPNSt15iterator_traitsISI_E10value_typeEPNSO_ISJ_E10value_typeEPSK_NS1_7vsmem_tEENKUlT_SI_SJ_SK_E_clIPiSD_S10_SD_EESH_SX_SI_SJ_SK_EUlSX_E0_NS1_11comp_targetILNS1_3genE3ELNS1_11target_archE908ELNS1_3gpuE7ELNS1_3repE0EEENS1_38merge_mergepath_config_static_selectorELNS0_4arch9wavefront6targetE1EEEvSJ_.has_dyn_sized_stack, 0
	.set _ZN7rocprim17ROCPRIM_400000_NS6detail17trampoline_kernelINS0_14default_configENS1_38merge_sort_block_merge_config_selectorIiiEEZZNS1_27merge_sort_block_merge_implIS3_N6thrust23THRUST_200600_302600_NS6detail15normal_iteratorINS8_10device_ptrIiEEEESD_jNS1_19radix_merge_compareILb0ELb1EiNS0_19identity_decomposerEEEEE10hipError_tT0_T1_T2_jT3_P12ihipStream_tbPNSt15iterator_traitsISI_E10value_typeEPNSO_ISJ_E10value_typeEPSK_NS1_7vsmem_tEENKUlT_SI_SJ_SK_E_clIPiSD_S10_SD_EESH_SX_SI_SJ_SK_EUlSX_E0_NS1_11comp_targetILNS1_3genE3ELNS1_11target_archE908ELNS1_3gpuE7ELNS1_3repE0EEENS1_38merge_mergepath_config_static_selectorELNS0_4arch9wavefront6targetE1EEEvSJ_.has_recursion, 0
	.set _ZN7rocprim17ROCPRIM_400000_NS6detail17trampoline_kernelINS0_14default_configENS1_38merge_sort_block_merge_config_selectorIiiEEZZNS1_27merge_sort_block_merge_implIS3_N6thrust23THRUST_200600_302600_NS6detail15normal_iteratorINS8_10device_ptrIiEEEESD_jNS1_19radix_merge_compareILb0ELb1EiNS0_19identity_decomposerEEEEE10hipError_tT0_T1_T2_jT3_P12ihipStream_tbPNSt15iterator_traitsISI_E10value_typeEPNSO_ISJ_E10value_typeEPSK_NS1_7vsmem_tEENKUlT_SI_SJ_SK_E_clIPiSD_S10_SD_EESH_SX_SI_SJ_SK_EUlSX_E0_NS1_11comp_targetILNS1_3genE3ELNS1_11target_archE908ELNS1_3gpuE7ELNS1_3repE0EEENS1_38merge_mergepath_config_static_selectorELNS0_4arch9wavefront6targetE1EEEvSJ_.has_indirect_call, 0
	.section	.AMDGPU.csdata,"",@progbits
; Kernel info:
; codeLenInByte = 0
; TotalNumSgprs: 6
; NumVgprs: 0
; NumAgprs: 0
; TotalNumVgprs: 0
; ScratchSize: 0
; MemoryBound: 0
; FloatMode: 240
; IeeeMode: 1
; LDSByteSize: 0 bytes/workgroup (compile time only)
; SGPRBlocks: 0
; VGPRBlocks: 0
; NumSGPRsForWavesPerEU: 6
; NumVGPRsForWavesPerEU: 1
; AccumOffset: 4
; Occupancy: 8
; WaveLimiterHint : 0
; COMPUTE_PGM_RSRC2:SCRATCH_EN: 0
; COMPUTE_PGM_RSRC2:USER_SGPR: 2
; COMPUTE_PGM_RSRC2:TRAP_HANDLER: 0
; COMPUTE_PGM_RSRC2:TGID_X_EN: 1
; COMPUTE_PGM_RSRC2:TGID_Y_EN: 0
; COMPUTE_PGM_RSRC2:TGID_Z_EN: 0
; COMPUTE_PGM_RSRC2:TIDIG_COMP_CNT: 0
; COMPUTE_PGM_RSRC3_GFX90A:ACCUM_OFFSET: 0
; COMPUTE_PGM_RSRC3_GFX90A:TG_SPLIT: 0
	.section	.text._ZN7rocprim17ROCPRIM_400000_NS6detail17trampoline_kernelINS0_14default_configENS1_38merge_sort_block_merge_config_selectorIiiEEZZNS1_27merge_sort_block_merge_implIS3_N6thrust23THRUST_200600_302600_NS6detail15normal_iteratorINS8_10device_ptrIiEEEESD_jNS1_19radix_merge_compareILb0ELb1EiNS0_19identity_decomposerEEEEE10hipError_tT0_T1_T2_jT3_P12ihipStream_tbPNSt15iterator_traitsISI_E10value_typeEPNSO_ISJ_E10value_typeEPSK_NS1_7vsmem_tEENKUlT_SI_SJ_SK_E_clIPiSD_S10_SD_EESH_SX_SI_SJ_SK_EUlSX_E0_NS1_11comp_targetILNS1_3genE2ELNS1_11target_archE906ELNS1_3gpuE6ELNS1_3repE0EEENS1_38merge_mergepath_config_static_selectorELNS0_4arch9wavefront6targetE1EEEvSJ_,"axG",@progbits,_ZN7rocprim17ROCPRIM_400000_NS6detail17trampoline_kernelINS0_14default_configENS1_38merge_sort_block_merge_config_selectorIiiEEZZNS1_27merge_sort_block_merge_implIS3_N6thrust23THRUST_200600_302600_NS6detail15normal_iteratorINS8_10device_ptrIiEEEESD_jNS1_19radix_merge_compareILb0ELb1EiNS0_19identity_decomposerEEEEE10hipError_tT0_T1_T2_jT3_P12ihipStream_tbPNSt15iterator_traitsISI_E10value_typeEPNSO_ISJ_E10value_typeEPSK_NS1_7vsmem_tEENKUlT_SI_SJ_SK_E_clIPiSD_S10_SD_EESH_SX_SI_SJ_SK_EUlSX_E0_NS1_11comp_targetILNS1_3genE2ELNS1_11target_archE906ELNS1_3gpuE6ELNS1_3repE0EEENS1_38merge_mergepath_config_static_selectorELNS0_4arch9wavefront6targetE1EEEvSJ_,comdat
	.protected	_ZN7rocprim17ROCPRIM_400000_NS6detail17trampoline_kernelINS0_14default_configENS1_38merge_sort_block_merge_config_selectorIiiEEZZNS1_27merge_sort_block_merge_implIS3_N6thrust23THRUST_200600_302600_NS6detail15normal_iteratorINS8_10device_ptrIiEEEESD_jNS1_19radix_merge_compareILb0ELb1EiNS0_19identity_decomposerEEEEE10hipError_tT0_T1_T2_jT3_P12ihipStream_tbPNSt15iterator_traitsISI_E10value_typeEPNSO_ISJ_E10value_typeEPSK_NS1_7vsmem_tEENKUlT_SI_SJ_SK_E_clIPiSD_S10_SD_EESH_SX_SI_SJ_SK_EUlSX_E0_NS1_11comp_targetILNS1_3genE2ELNS1_11target_archE906ELNS1_3gpuE6ELNS1_3repE0EEENS1_38merge_mergepath_config_static_selectorELNS0_4arch9wavefront6targetE1EEEvSJ_ ; -- Begin function _ZN7rocprim17ROCPRIM_400000_NS6detail17trampoline_kernelINS0_14default_configENS1_38merge_sort_block_merge_config_selectorIiiEEZZNS1_27merge_sort_block_merge_implIS3_N6thrust23THRUST_200600_302600_NS6detail15normal_iteratorINS8_10device_ptrIiEEEESD_jNS1_19radix_merge_compareILb0ELb1EiNS0_19identity_decomposerEEEEE10hipError_tT0_T1_T2_jT3_P12ihipStream_tbPNSt15iterator_traitsISI_E10value_typeEPNSO_ISJ_E10value_typeEPSK_NS1_7vsmem_tEENKUlT_SI_SJ_SK_E_clIPiSD_S10_SD_EESH_SX_SI_SJ_SK_EUlSX_E0_NS1_11comp_targetILNS1_3genE2ELNS1_11target_archE906ELNS1_3gpuE6ELNS1_3repE0EEENS1_38merge_mergepath_config_static_selectorELNS0_4arch9wavefront6targetE1EEEvSJ_
	.globl	_ZN7rocprim17ROCPRIM_400000_NS6detail17trampoline_kernelINS0_14default_configENS1_38merge_sort_block_merge_config_selectorIiiEEZZNS1_27merge_sort_block_merge_implIS3_N6thrust23THRUST_200600_302600_NS6detail15normal_iteratorINS8_10device_ptrIiEEEESD_jNS1_19radix_merge_compareILb0ELb1EiNS0_19identity_decomposerEEEEE10hipError_tT0_T1_T2_jT3_P12ihipStream_tbPNSt15iterator_traitsISI_E10value_typeEPNSO_ISJ_E10value_typeEPSK_NS1_7vsmem_tEENKUlT_SI_SJ_SK_E_clIPiSD_S10_SD_EESH_SX_SI_SJ_SK_EUlSX_E0_NS1_11comp_targetILNS1_3genE2ELNS1_11target_archE906ELNS1_3gpuE6ELNS1_3repE0EEENS1_38merge_mergepath_config_static_selectorELNS0_4arch9wavefront6targetE1EEEvSJ_
	.p2align	8
	.type	_ZN7rocprim17ROCPRIM_400000_NS6detail17trampoline_kernelINS0_14default_configENS1_38merge_sort_block_merge_config_selectorIiiEEZZNS1_27merge_sort_block_merge_implIS3_N6thrust23THRUST_200600_302600_NS6detail15normal_iteratorINS8_10device_ptrIiEEEESD_jNS1_19radix_merge_compareILb0ELb1EiNS0_19identity_decomposerEEEEE10hipError_tT0_T1_T2_jT3_P12ihipStream_tbPNSt15iterator_traitsISI_E10value_typeEPNSO_ISJ_E10value_typeEPSK_NS1_7vsmem_tEENKUlT_SI_SJ_SK_E_clIPiSD_S10_SD_EESH_SX_SI_SJ_SK_EUlSX_E0_NS1_11comp_targetILNS1_3genE2ELNS1_11target_archE906ELNS1_3gpuE6ELNS1_3repE0EEENS1_38merge_mergepath_config_static_selectorELNS0_4arch9wavefront6targetE1EEEvSJ_,@function
_ZN7rocprim17ROCPRIM_400000_NS6detail17trampoline_kernelINS0_14default_configENS1_38merge_sort_block_merge_config_selectorIiiEEZZNS1_27merge_sort_block_merge_implIS3_N6thrust23THRUST_200600_302600_NS6detail15normal_iteratorINS8_10device_ptrIiEEEESD_jNS1_19radix_merge_compareILb0ELb1EiNS0_19identity_decomposerEEEEE10hipError_tT0_T1_T2_jT3_P12ihipStream_tbPNSt15iterator_traitsISI_E10value_typeEPNSO_ISJ_E10value_typeEPSK_NS1_7vsmem_tEENKUlT_SI_SJ_SK_E_clIPiSD_S10_SD_EESH_SX_SI_SJ_SK_EUlSX_E0_NS1_11comp_targetILNS1_3genE2ELNS1_11target_archE906ELNS1_3gpuE6ELNS1_3repE0EEENS1_38merge_mergepath_config_static_selectorELNS0_4arch9wavefront6targetE1EEEvSJ_: ; @_ZN7rocprim17ROCPRIM_400000_NS6detail17trampoline_kernelINS0_14default_configENS1_38merge_sort_block_merge_config_selectorIiiEEZZNS1_27merge_sort_block_merge_implIS3_N6thrust23THRUST_200600_302600_NS6detail15normal_iteratorINS8_10device_ptrIiEEEESD_jNS1_19radix_merge_compareILb0ELb1EiNS0_19identity_decomposerEEEEE10hipError_tT0_T1_T2_jT3_P12ihipStream_tbPNSt15iterator_traitsISI_E10value_typeEPNSO_ISJ_E10value_typeEPSK_NS1_7vsmem_tEENKUlT_SI_SJ_SK_E_clIPiSD_S10_SD_EESH_SX_SI_SJ_SK_EUlSX_E0_NS1_11comp_targetILNS1_3genE2ELNS1_11target_archE906ELNS1_3gpuE6ELNS1_3repE0EEENS1_38merge_mergepath_config_static_selectorELNS0_4arch9wavefront6targetE1EEEvSJ_
; %bb.0:
	.section	.rodata,"a",@progbits
	.p2align	6, 0x0
	.amdhsa_kernel _ZN7rocprim17ROCPRIM_400000_NS6detail17trampoline_kernelINS0_14default_configENS1_38merge_sort_block_merge_config_selectorIiiEEZZNS1_27merge_sort_block_merge_implIS3_N6thrust23THRUST_200600_302600_NS6detail15normal_iteratorINS8_10device_ptrIiEEEESD_jNS1_19radix_merge_compareILb0ELb1EiNS0_19identity_decomposerEEEEE10hipError_tT0_T1_T2_jT3_P12ihipStream_tbPNSt15iterator_traitsISI_E10value_typeEPNSO_ISJ_E10value_typeEPSK_NS1_7vsmem_tEENKUlT_SI_SJ_SK_E_clIPiSD_S10_SD_EESH_SX_SI_SJ_SK_EUlSX_E0_NS1_11comp_targetILNS1_3genE2ELNS1_11target_archE906ELNS1_3gpuE6ELNS1_3repE0EEENS1_38merge_mergepath_config_static_selectorELNS0_4arch9wavefront6targetE1EEEvSJ_
		.amdhsa_group_segment_fixed_size 0
		.amdhsa_private_segment_fixed_size 0
		.amdhsa_kernarg_size 64
		.amdhsa_user_sgpr_count 2
		.amdhsa_user_sgpr_dispatch_ptr 0
		.amdhsa_user_sgpr_queue_ptr 0
		.amdhsa_user_sgpr_kernarg_segment_ptr 1
		.amdhsa_user_sgpr_dispatch_id 0
		.amdhsa_user_sgpr_kernarg_preload_length 0
		.amdhsa_user_sgpr_kernarg_preload_offset 0
		.amdhsa_user_sgpr_private_segment_size 0
		.amdhsa_uses_dynamic_stack 0
		.amdhsa_enable_private_segment 0
		.amdhsa_system_sgpr_workgroup_id_x 1
		.amdhsa_system_sgpr_workgroup_id_y 0
		.amdhsa_system_sgpr_workgroup_id_z 0
		.amdhsa_system_sgpr_workgroup_info 0
		.amdhsa_system_vgpr_workitem_id 0
		.amdhsa_next_free_vgpr 1
		.amdhsa_next_free_sgpr 0
		.amdhsa_accum_offset 4
		.amdhsa_reserve_vcc 0
		.amdhsa_float_round_mode_32 0
		.amdhsa_float_round_mode_16_64 0
		.amdhsa_float_denorm_mode_32 3
		.amdhsa_float_denorm_mode_16_64 3
		.amdhsa_dx10_clamp 1
		.amdhsa_ieee_mode 1
		.amdhsa_fp16_overflow 0
		.amdhsa_tg_split 0
		.amdhsa_exception_fp_ieee_invalid_op 0
		.amdhsa_exception_fp_denorm_src 0
		.amdhsa_exception_fp_ieee_div_zero 0
		.amdhsa_exception_fp_ieee_overflow 0
		.amdhsa_exception_fp_ieee_underflow 0
		.amdhsa_exception_fp_ieee_inexact 0
		.amdhsa_exception_int_div_zero 0
	.end_amdhsa_kernel
	.section	.text._ZN7rocprim17ROCPRIM_400000_NS6detail17trampoline_kernelINS0_14default_configENS1_38merge_sort_block_merge_config_selectorIiiEEZZNS1_27merge_sort_block_merge_implIS3_N6thrust23THRUST_200600_302600_NS6detail15normal_iteratorINS8_10device_ptrIiEEEESD_jNS1_19radix_merge_compareILb0ELb1EiNS0_19identity_decomposerEEEEE10hipError_tT0_T1_T2_jT3_P12ihipStream_tbPNSt15iterator_traitsISI_E10value_typeEPNSO_ISJ_E10value_typeEPSK_NS1_7vsmem_tEENKUlT_SI_SJ_SK_E_clIPiSD_S10_SD_EESH_SX_SI_SJ_SK_EUlSX_E0_NS1_11comp_targetILNS1_3genE2ELNS1_11target_archE906ELNS1_3gpuE6ELNS1_3repE0EEENS1_38merge_mergepath_config_static_selectorELNS0_4arch9wavefront6targetE1EEEvSJ_,"axG",@progbits,_ZN7rocprim17ROCPRIM_400000_NS6detail17trampoline_kernelINS0_14default_configENS1_38merge_sort_block_merge_config_selectorIiiEEZZNS1_27merge_sort_block_merge_implIS3_N6thrust23THRUST_200600_302600_NS6detail15normal_iteratorINS8_10device_ptrIiEEEESD_jNS1_19radix_merge_compareILb0ELb1EiNS0_19identity_decomposerEEEEE10hipError_tT0_T1_T2_jT3_P12ihipStream_tbPNSt15iterator_traitsISI_E10value_typeEPNSO_ISJ_E10value_typeEPSK_NS1_7vsmem_tEENKUlT_SI_SJ_SK_E_clIPiSD_S10_SD_EESH_SX_SI_SJ_SK_EUlSX_E0_NS1_11comp_targetILNS1_3genE2ELNS1_11target_archE906ELNS1_3gpuE6ELNS1_3repE0EEENS1_38merge_mergepath_config_static_selectorELNS0_4arch9wavefront6targetE1EEEvSJ_,comdat
.Lfunc_end1357:
	.size	_ZN7rocprim17ROCPRIM_400000_NS6detail17trampoline_kernelINS0_14default_configENS1_38merge_sort_block_merge_config_selectorIiiEEZZNS1_27merge_sort_block_merge_implIS3_N6thrust23THRUST_200600_302600_NS6detail15normal_iteratorINS8_10device_ptrIiEEEESD_jNS1_19radix_merge_compareILb0ELb1EiNS0_19identity_decomposerEEEEE10hipError_tT0_T1_T2_jT3_P12ihipStream_tbPNSt15iterator_traitsISI_E10value_typeEPNSO_ISJ_E10value_typeEPSK_NS1_7vsmem_tEENKUlT_SI_SJ_SK_E_clIPiSD_S10_SD_EESH_SX_SI_SJ_SK_EUlSX_E0_NS1_11comp_targetILNS1_3genE2ELNS1_11target_archE906ELNS1_3gpuE6ELNS1_3repE0EEENS1_38merge_mergepath_config_static_selectorELNS0_4arch9wavefront6targetE1EEEvSJ_, .Lfunc_end1357-_ZN7rocprim17ROCPRIM_400000_NS6detail17trampoline_kernelINS0_14default_configENS1_38merge_sort_block_merge_config_selectorIiiEEZZNS1_27merge_sort_block_merge_implIS3_N6thrust23THRUST_200600_302600_NS6detail15normal_iteratorINS8_10device_ptrIiEEEESD_jNS1_19radix_merge_compareILb0ELb1EiNS0_19identity_decomposerEEEEE10hipError_tT0_T1_T2_jT3_P12ihipStream_tbPNSt15iterator_traitsISI_E10value_typeEPNSO_ISJ_E10value_typeEPSK_NS1_7vsmem_tEENKUlT_SI_SJ_SK_E_clIPiSD_S10_SD_EESH_SX_SI_SJ_SK_EUlSX_E0_NS1_11comp_targetILNS1_3genE2ELNS1_11target_archE906ELNS1_3gpuE6ELNS1_3repE0EEENS1_38merge_mergepath_config_static_selectorELNS0_4arch9wavefront6targetE1EEEvSJ_
                                        ; -- End function
	.set _ZN7rocprim17ROCPRIM_400000_NS6detail17trampoline_kernelINS0_14default_configENS1_38merge_sort_block_merge_config_selectorIiiEEZZNS1_27merge_sort_block_merge_implIS3_N6thrust23THRUST_200600_302600_NS6detail15normal_iteratorINS8_10device_ptrIiEEEESD_jNS1_19radix_merge_compareILb0ELb1EiNS0_19identity_decomposerEEEEE10hipError_tT0_T1_T2_jT3_P12ihipStream_tbPNSt15iterator_traitsISI_E10value_typeEPNSO_ISJ_E10value_typeEPSK_NS1_7vsmem_tEENKUlT_SI_SJ_SK_E_clIPiSD_S10_SD_EESH_SX_SI_SJ_SK_EUlSX_E0_NS1_11comp_targetILNS1_3genE2ELNS1_11target_archE906ELNS1_3gpuE6ELNS1_3repE0EEENS1_38merge_mergepath_config_static_selectorELNS0_4arch9wavefront6targetE1EEEvSJ_.num_vgpr, 0
	.set _ZN7rocprim17ROCPRIM_400000_NS6detail17trampoline_kernelINS0_14default_configENS1_38merge_sort_block_merge_config_selectorIiiEEZZNS1_27merge_sort_block_merge_implIS3_N6thrust23THRUST_200600_302600_NS6detail15normal_iteratorINS8_10device_ptrIiEEEESD_jNS1_19radix_merge_compareILb0ELb1EiNS0_19identity_decomposerEEEEE10hipError_tT0_T1_T2_jT3_P12ihipStream_tbPNSt15iterator_traitsISI_E10value_typeEPNSO_ISJ_E10value_typeEPSK_NS1_7vsmem_tEENKUlT_SI_SJ_SK_E_clIPiSD_S10_SD_EESH_SX_SI_SJ_SK_EUlSX_E0_NS1_11comp_targetILNS1_3genE2ELNS1_11target_archE906ELNS1_3gpuE6ELNS1_3repE0EEENS1_38merge_mergepath_config_static_selectorELNS0_4arch9wavefront6targetE1EEEvSJ_.num_agpr, 0
	.set _ZN7rocprim17ROCPRIM_400000_NS6detail17trampoline_kernelINS0_14default_configENS1_38merge_sort_block_merge_config_selectorIiiEEZZNS1_27merge_sort_block_merge_implIS3_N6thrust23THRUST_200600_302600_NS6detail15normal_iteratorINS8_10device_ptrIiEEEESD_jNS1_19radix_merge_compareILb0ELb1EiNS0_19identity_decomposerEEEEE10hipError_tT0_T1_T2_jT3_P12ihipStream_tbPNSt15iterator_traitsISI_E10value_typeEPNSO_ISJ_E10value_typeEPSK_NS1_7vsmem_tEENKUlT_SI_SJ_SK_E_clIPiSD_S10_SD_EESH_SX_SI_SJ_SK_EUlSX_E0_NS1_11comp_targetILNS1_3genE2ELNS1_11target_archE906ELNS1_3gpuE6ELNS1_3repE0EEENS1_38merge_mergepath_config_static_selectorELNS0_4arch9wavefront6targetE1EEEvSJ_.numbered_sgpr, 0
	.set _ZN7rocprim17ROCPRIM_400000_NS6detail17trampoline_kernelINS0_14default_configENS1_38merge_sort_block_merge_config_selectorIiiEEZZNS1_27merge_sort_block_merge_implIS3_N6thrust23THRUST_200600_302600_NS6detail15normal_iteratorINS8_10device_ptrIiEEEESD_jNS1_19radix_merge_compareILb0ELb1EiNS0_19identity_decomposerEEEEE10hipError_tT0_T1_T2_jT3_P12ihipStream_tbPNSt15iterator_traitsISI_E10value_typeEPNSO_ISJ_E10value_typeEPSK_NS1_7vsmem_tEENKUlT_SI_SJ_SK_E_clIPiSD_S10_SD_EESH_SX_SI_SJ_SK_EUlSX_E0_NS1_11comp_targetILNS1_3genE2ELNS1_11target_archE906ELNS1_3gpuE6ELNS1_3repE0EEENS1_38merge_mergepath_config_static_selectorELNS0_4arch9wavefront6targetE1EEEvSJ_.num_named_barrier, 0
	.set _ZN7rocprim17ROCPRIM_400000_NS6detail17trampoline_kernelINS0_14default_configENS1_38merge_sort_block_merge_config_selectorIiiEEZZNS1_27merge_sort_block_merge_implIS3_N6thrust23THRUST_200600_302600_NS6detail15normal_iteratorINS8_10device_ptrIiEEEESD_jNS1_19radix_merge_compareILb0ELb1EiNS0_19identity_decomposerEEEEE10hipError_tT0_T1_T2_jT3_P12ihipStream_tbPNSt15iterator_traitsISI_E10value_typeEPNSO_ISJ_E10value_typeEPSK_NS1_7vsmem_tEENKUlT_SI_SJ_SK_E_clIPiSD_S10_SD_EESH_SX_SI_SJ_SK_EUlSX_E0_NS1_11comp_targetILNS1_3genE2ELNS1_11target_archE906ELNS1_3gpuE6ELNS1_3repE0EEENS1_38merge_mergepath_config_static_selectorELNS0_4arch9wavefront6targetE1EEEvSJ_.private_seg_size, 0
	.set _ZN7rocprim17ROCPRIM_400000_NS6detail17trampoline_kernelINS0_14default_configENS1_38merge_sort_block_merge_config_selectorIiiEEZZNS1_27merge_sort_block_merge_implIS3_N6thrust23THRUST_200600_302600_NS6detail15normal_iteratorINS8_10device_ptrIiEEEESD_jNS1_19radix_merge_compareILb0ELb1EiNS0_19identity_decomposerEEEEE10hipError_tT0_T1_T2_jT3_P12ihipStream_tbPNSt15iterator_traitsISI_E10value_typeEPNSO_ISJ_E10value_typeEPSK_NS1_7vsmem_tEENKUlT_SI_SJ_SK_E_clIPiSD_S10_SD_EESH_SX_SI_SJ_SK_EUlSX_E0_NS1_11comp_targetILNS1_3genE2ELNS1_11target_archE906ELNS1_3gpuE6ELNS1_3repE0EEENS1_38merge_mergepath_config_static_selectorELNS0_4arch9wavefront6targetE1EEEvSJ_.uses_vcc, 0
	.set _ZN7rocprim17ROCPRIM_400000_NS6detail17trampoline_kernelINS0_14default_configENS1_38merge_sort_block_merge_config_selectorIiiEEZZNS1_27merge_sort_block_merge_implIS3_N6thrust23THRUST_200600_302600_NS6detail15normal_iteratorINS8_10device_ptrIiEEEESD_jNS1_19radix_merge_compareILb0ELb1EiNS0_19identity_decomposerEEEEE10hipError_tT0_T1_T2_jT3_P12ihipStream_tbPNSt15iterator_traitsISI_E10value_typeEPNSO_ISJ_E10value_typeEPSK_NS1_7vsmem_tEENKUlT_SI_SJ_SK_E_clIPiSD_S10_SD_EESH_SX_SI_SJ_SK_EUlSX_E0_NS1_11comp_targetILNS1_3genE2ELNS1_11target_archE906ELNS1_3gpuE6ELNS1_3repE0EEENS1_38merge_mergepath_config_static_selectorELNS0_4arch9wavefront6targetE1EEEvSJ_.uses_flat_scratch, 0
	.set _ZN7rocprim17ROCPRIM_400000_NS6detail17trampoline_kernelINS0_14default_configENS1_38merge_sort_block_merge_config_selectorIiiEEZZNS1_27merge_sort_block_merge_implIS3_N6thrust23THRUST_200600_302600_NS6detail15normal_iteratorINS8_10device_ptrIiEEEESD_jNS1_19radix_merge_compareILb0ELb1EiNS0_19identity_decomposerEEEEE10hipError_tT0_T1_T2_jT3_P12ihipStream_tbPNSt15iterator_traitsISI_E10value_typeEPNSO_ISJ_E10value_typeEPSK_NS1_7vsmem_tEENKUlT_SI_SJ_SK_E_clIPiSD_S10_SD_EESH_SX_SI_SJ_SK_EUlSX_E0_NS1_11comp_targetILNS1_3genE2ELNS1_11target_archE906ELNS1_3gpuE6ELNS1_3repE0EEENS1_38merge_mergepath_config_static_selectorELNS0_4arch9wavefront6targetE1EEEvSJ_.has_dyn_sized_stack, 0
	.set _ZN7rocprim17ROCPRIM_400000_NS6detail17trampoline_kernelINS0_14default_configENS1_38merge_sort_block_merge_config_selectorIiiEEZZNS1_27merge_sort_block_merge_implIS3_N6thrust23THRUST_200600_302600_NS6detail15normal_iteratorINS8_10device_ptrIiEEEESD_jNS1_19radix_merge_compareILb0ELb1EiNS0_19identity_decomposerEEEEE10hipError_tT0_T1_T2_jT3_P12ihipStream_tbPNSt15iterator_traitsISI_E10value_typeEPNSO_ISJ_E10value_typeEPSK_NS1_7vsmem_tEENKUlT_SI_SJ_SK_E_clIPiSD_S10_SD_EESH_SX_SI_SJ_SK_EUlSX_E0_NS1_11comp_targetILNS1_3genE2ELNS1_11target_archE906ELNS1_3gpuE6ELNS1_3repE0EEENS1_38merge_mergepath_config_static_selectorELNS0_4arch9wavefront6targetE1EEEvSJ_.has_recursion, 0
	.set _ZN7rocprim17ROCPRIM_400000_NS6detail17trampoline_kernelINS0_14default_configENS1_38merge_sort_block_merge_config_selectorIiiEEZZNS1_27merge_sort_block_merge_implIS3_N6thrust23THRUST_200600_302600_NS6detail15normal_iteratorINS8_10device_ptrIiEEEESD_jNS1_19radix_merge_compareILb0ELb1EiNS0_19identity_decomposerEEEEE10hipError_tT0_T1_T2_jT3_P12ihipStream_tbPNSt15iterator_traitsISI_E10value_typeEPNSO_ISJ_E10value_typeEPSK_NS1_7vsmem_tEENKUlT_SI_SJ_SK_E_clIPiSD_S10_SD_EESH_SX_SI_SJ_SK_EUlSX_E0_NS1_11comp_targetILNS1_3genE2ELNS1_11target_archE906ELNS1_3gpuE6ELNS1_3repE0EEENS1_38merge_mergepath_config_static_selectorELNS0_4arch9wavefront6targetE1EEEvSJ_.has_indirect_call, 0
	.section	.AMDGPU.csdata,"",@progbits
; Kernel info:
; codeLenInByte = 0
; TotalNumSgprs: 6
; NumVgprs: 0
; NumAgprs: 0
; TotalNumVgprs: 0
; ScratchSize: 0
; MemoryBound: 0
; FloatMode: 240
; IeeeMode: 1
; LDSByteSize: 0 bytes/workgroup (compile time only)
; SGPRBlocks: 0
; VGPRBlocks: 0
; NumSGPRsForWavesPerEU: 6
; NumVGPRsForWavesPerEU: 1
; AccumOffset: 4
; Occupancy: 8
; WaveLimiterHint : 0
; COMPUTE_PGM_RSRC2:SCRATCH_EN: 0
; COMPUTE_PGM_RSRC2:USER_SGPR: 2
; COMPUTE_PGM_RSRC2:TRAP_HANDLER: 0
; COMPUTE_PGM_RSRC2:TGID_X_EN: 1
; COMPUTE_PGM_RSRC2:TGID_Y_EN: 0
; COMPUTE_PGM_RSRC2:TGID_Z_EN: 0
; COMPUTE_PGM_RSRC2:TIDIG_COMP_CNT: 0
; COMPUTE_PGM_RSRC3_GFX90A:ACCUM_OFFSET: 0
; COMPUTE_PGM_RSRC3_GFX90A:TG_SPLIT: 0
	.section	.text._ZN7rocprim17ROCPRIM_400000_NS6detail17trampoline_kernelINS0_14default_configENS1_38merge_sort_block_merge_config_selectorIiiEEZZNS1_27merge_sort_block_merge_implIS3_N6thrust23THRUST_200600_302600_NS6detail15normal_iteratorINS8_10device_ptrIiEEEESD_jNS1_19radix_merge_compareILb0ELb1EiNS0_19identity_decomposerEEEEE10hipError_tT0_T1_T2_jT3_P12ihipStream_tbPNSt15iterator_traitsISI_E10value_typeEPNSO_ISJ_E10value_typeEPSK_NS1_7vsmem_tEENKUlT_SI_SJ_SK_E_clIPiSD_S10_SD_EESH_SX_SI_SJ_SK_EUlSX_E0_NS1_11comp_targetILNS1_3genE9ELNS1_11target_archE1100ELNS1_3gpuE3ELNS1_3repE0EEENS1_38merge_mergepath_config_static_selectorELNS0_4arch9wavefront6targetE1EEEvSJ_,"axG",@progbits,_ZN7rocprim17ROCPRIM_400000_NS6detail17trampoline_kernelINS0_14default_configENS1_38merge_sort_block_merge_config_selectorIiiEEZZNS1_27merge_sort_block_merge_implIS3_N6thrust23THRUST_200600_302600_NS6detail15normal_iteratorINS8_10device_ptrIiEEEESD_jNS1_19radix_merge_compareILb0ELb1EiNS0_19identity_decomposerEEEEE10hipError_tT0_T1_T2_jT3_P12ihipStream_tbPNSt15iterator_traitsISI_E10value_typeEPNSO_ISJ_E10value_typeEPSK_NS1_7vsmem_tEENKUlT_SI_SJ_SK_E_clIPiSD_S10_SD_EESH_SX_SI_SJ_SK_EUlSX_E0_NS1_11comp_targetILNS1_3genE9ELNS1_11target_archE1100ELNS1_3gpuE3ELNS1_3repE0EEENS1_38merge_mergepath_config_static_selectorELNS0_4arch9wavefront6targetE1EEEvSJ_,comdat
	.protected	_ZN7rocprim17ROCPRIM_400000_NS6detail17trampoline_kernelINS0_14default_configENS1_38merge_sort_block_merge_config_selectorIiiEEZZNS1_27merge_sort_block_merge_implIS3_N6thrust23THRUST_200600_302600_NS6detail15normal_iteratorINS8_10device_ptrIiEEEESD_jNS1_19radix_merge_compareILb0ELb1EiNS0_19identity_decomposerEEEEE10hipError_tT0_T1_T2_jT3_P12ihipStream_tbPNSt15iterator_traitsISI_E10value_typeEPNSO_ISJ_E10value_typeEPSK_NS1_7vsmem_tEENKUlT_SI_SJ_SK_E_clIPiSD_S10_SD_EESH_SX_SI_SJ_SK_EUlSX_E0_NS1_11comp_targetILNS1_3genE9ELNS1_11target_archE1100ELNS1_3gpuE3ELNS1_3repE0EEENS1_38merge_mergepath_config_static_selectorELNS0_4arch9wavefront6targetE1EEEvSJ_ ; -- Begin function _ZN7rocprim17ROCPRIM_400000_NS6detail17trampoline_kernelINS0_14default_configENS1_38merge_sort_block_merge_config_selectorIiiEEZZNS1_27merge_sort_block_merge_implIS3_N6thrust23THRUST_200600_302600_NS6detail15normal_iteratorINS8_10device_ptrIiEEEESD_jNS1_19radix_merge_compareILb0ELb1EiNS0_19identity_decomposerEEEEE10hipError_tT0_T1_T2_jT3_P12ihipStream_tbPNSt15iterator_traitsISI_E10value_typeEPNSO_ISJ_E10value_typeEPSK_NS1_7vsmem_tEENKUlT_SI_SJ_SK_E_clIPiSD_S10_SD_EESH_SX_SI_SJ_SK_EUlSX_E0_NS1_11comp_targetILNS1_3genE9ELNS1_11target_archE1100ELNS1_3gpuE3ELNS1_3repE0EEENS1_38merge_mergepath_config_static_selectorELNS0_4arch9wavefront6targetE1EEEvSJ_
	.globl	_ZN7rocprim17ROCPRIM_400000_NS6detail17trampoline_kernelINS0_14default_configENS1_38merge_sort_block_merge_config_selectorIiiEEZZNS1_27merge_sort_block_merge_implIS3_N6thrust23THRUST_200600_302600_NS6detail15normal_iteratorINS8_10device_ptrIiEEEESD_jNS1_19radix_merge_compareILb0ELb1EiNS0_19identity_decomposerEEEEE10hipError_tT0_T1_T2_jT3_P12ihipStream_tbPNSt15iterator_traitsISI_E10value_typeEPNSO_ISJ_E10value_typeEPSK_NS1_7vsmem_tEENKUlT_SI_SJ_SK_E_clIPiSD_S10_SD_EESH_SX_SI_SJ_SK_EUlSX_E0_NS1_11comp_targetILNS1_3genE9ELNS1_11target_archE1100ELNS1_3gpuE3ELNS1_3repE0EEENS1_38merge_mergepath_config_static_selectorELNS0_4arch9wavefront6targetE1EEEvSJ_
	.p2align	8
	.type	_ZN7rocprim17ROCPRIM_400000_NS6detail17trampoline_kernelINS0_14default_configENS1_38merge_sort_block_merge_config_selectorIiiEEZZNS1_27merge_sort_block_merge_implIS3_N6thrust23THRUST_200600_302600_NS6detail15normal_iteratorINS8_10device_ptrIiEEEESD_jNS1_19radix_merge_compareILb0ELb1EiNS0_19identity_decomposerEEEEE10hipError_tT0_T1_T2_jT3_P12ihipStream_tbPNSt15iterator_traitsISI_E10value_typeEPNSO_ISJ_E10value_typeEPSK_NS1_7vsmem_tEENKUlT_SI_SJ_SK_E_clIPiSD_S10_SD_EESH_SX_SI_SJ_SK_EUlSX_E0_NS1_11comp_targetILNS1_3genE9ELNS1_11target_archE1100ELNS1_3gpuE3ELNS1_3repE0EEENS1_38merge_mergepath_config_static_selectorELNS0_4arch9wavefront6targetE1EEEvSJ_,@function
_ZN7rocprim17ROCPRIM_400000_NS6detail17trampoline_kernelINS0_14default_configENS1_38merge_sort_block_merge_config_selectorIiiEEZZNS1_27merge_sort_block_merge_implIS3_N6thrust23THRUST_200600_302600_NS6detail15normal_iteratorINS8_10device_ptrIiEEEESD_jNS1_19radix_merge_compareILb0ELb1EiNS0_19identity_decomposerEEEEE10hipError_tT0_T1_T2_jT3_P12ihipStream_tbPNSt15iterator_traitsISI_E10value_typeEPNSO_ISJ_E10value_typeEPSK_NS1_7vsmem_tEENKUlT_SI_SJ_SK_E_clIPiSD_S10_SD_EESH_SX_SI_SJ_SK_EUlSX_E0_NS1_11comp_targetILNS1_3genE9ELNS1_11target_archE1100ELNS1_3gpuE3ELNS1_3repE0EEENS1_38merge_mergepath_config_static_selectorELNS0_4arch9wavefront6targetE1EEEvSJ_: ; @_ZN7rocprim17ROCPRIM_400000_NS6detail17trampoline_kernelINS0_14default_configENS1_38merge_sort_block_merge_config_selectorIiiEEZZNS1_27merge_sort_block_merge_implIS3_N6thrust23THRUST_200600_302600_NS6detail15normal_iteratorINS8_10device_ptrIiEEEESD_jNS1_19radix_merge_compareILb0ELb1EiNS0_19identity_decomposerEEEEE10hipError_tT0_T1_T2_jT3_P12ihipStream_tbPNSt15iterator_traitsISI_E10value_typeEPNSO_ISJ_E10value_typeEPSK_NS1_7vsmem_tEENKUlT_SI_SJ_SK_E_clIPiSD_S10_SD_EESH_SX_SI_SJ_SK_EUlSX_E0_NS1_11comp_targetILNS1_3genE9ELNS1_11target_archE1100ELNS1_3gpuE3ELNS1_3repE0EEENS1_38merge_mergepath_config_static_selectorELNS0_4arch9wavefront6targetE1EEEvSJ_
; %bb.0:
	.section	.rodata,"a",@progbits
	.p2align	6, 0x0
	.amdhsa_kernel _ZN7rocprim17ROCPRIM_400000_NS6detail17trampoline_kernelINS0_14default_configENS1_38merge_sort_block_merge_config_selectorIiiEEZZNS1_27merge_sort_block_merge_implIS3_N6thrust23THRUST_200600_302600_NS6detail15normal_iteratorINS8_10device_ptrIiEEEESD_jNS1_19radix_merge_compareILb0ELb1EiNS0_19identity_decomposerEEEEE10hipError_tT0_T1_T2_jT3_P12ihipStream_tbPNSt15iterator_traitsISI_E10value_typeEPNSO_ISJ_E10value_typeEPSK_NS1_7vsmem_tEENKUlT_SI_SJ_SK_E_clIPiSD_S10_SD_EESH_SX_SI_SJ_SK_EUlSX_E0_NS1_11comp_targetILNS1_3genE9ELNS1_11target_archE1100ELNS1_3gpuE3ELNS1_3repE0EEENS1_38merge_mergepath_config_static_selectorELNS0_4arch9wavefront6targetE1EEEvSJ_
		.amdhsa_group_segment_fixed_size 0
		.amdhsa_private_segment_fixed_size 0
		.amdhsa_kernarg_size 64
		.amdhsa_user_sgpr_count 2
		.amdhsa_user_sgpr_dispatch_ptr 0
		.amdhsa_user_sgpr_queue_ptr 0
		.amdhsa_user_sgpr_kernarg_segment_ptr 1
		.amdhsa_user_sgpr_dispatch_id 0
		.amdhsa_user_sgpr_kernarg_preload_length 0
		.amdhsa_user_sgpr_kernarg_preload_offset 0
		.amdhsa_user_sgpr_private_segment_size 0
		.amdhsa_uses_dynamic_stack 0
		.amdhsa_enable_private_segment 0
		.amdhsa_system_sgpr_workgroup_id_x 1
		.amdhsa_system_sgpr_workgroup_id_y 0
		.amdhsa_system_sgpr_workgroup_id_z 0
		.amdhsa_system_sgpr_workgroup_info 0
		.amdhsa_system_vgpr_workitem_id 0
		.amdhsa_next_free_vgpr 1
		.amdhsa_next_free_sgpr 0
		.amdhsa_accum_offset 4
		.amdhsa_reserve_vcc 0
		.amdhsa_float_round_mode_32 0
		.amdhsa_float_round_mode_16_64 0
		.amdhsa_float_denorm_mode_32 3
		.amdhsa_float_denorm_mode_16_64 3
		.amdhsa_dx10_clamp 1
		.amdhsa_ieee_mode 1
		.amdhsa_fp16_overflow 0
		.amdhsa_tg_split 0
		.amdhsa_exception_fp_ieee_invalid_op 0
		.amdhsa_exception_fp_denorm_src 0
		.amdhsa_exception_fp_ieee_div_zero 0
		.amdhsa_exception_fp_ieee_overflow 0
		.amdhsa_exception_fp_ieee_underflow 0
		.amdhsa_exception_fp_ieee_inexact 0
		.amdhsa_exception_int_div_zero 0
	.end_amdhsa_kernel
	.section	.text._ZN7rocprim17ROCPRIM_400000_NS6detail17trampoline_kernelINS0_14default_configENS1_38merge_sort_block_merge_config_selectorIiiEEZZNS1_27merge_sort_block_merge_implIS3_N6thrust23THRUST_200600_302600_NS6detail15normal_iteratorINS8_10device_ptrIiEEEESD_jNS1_19radix_merge_compareILb0ELb1EiNS0_19identity_decomposerEEEEE10hipError_tT0_T1_T2_jT3_P12ihipStream_tbPNSt15iterator_traitsISI_E10value_typeEPNSO_ISJ_E10value_typeEPSK_NS1_7vsmem_tEENKUlT_SI_SJ_SK_E_clIPiSD_S10_SD_EESH_SX_SI_SJ_SK_EUlSX_E0_NS1_11comp_targetILNS1_3genE9ELNS1_11target_archE1100ELNS1_3gpuE3ELNS1_3repE0EEENS1_38merge_mergepath_config_static_selectorELNS0_4arch9wavefront6targetE1EEEvSJ_,"axG",@progbits,_ZN7rocprim17ROCPRIM_400000_NS6detail17trampoline_kernelINS0_14default_configENS1_38merge_sort_block_merge_config_selectorIiiEEZZNS1_27merge_sort_block_merge_implIS3_N6thrust23THRUST_200600_302600_NS6detail15normal_iteratorINS8_10device_ptrIiEEEESD_jNS1_19radix_merge_compareILb0ELb1EiNS0_19identity_decomposerEEEEE10hipError_tT0_T1_T2_jT3_P12ihipStream_tbPNSt15iterator_traitsISI_E10value_typeEPNSO_ISJ_E10value_typeEPSK_NS1_7vsmem_tEENKUlT_SI_SJ_SK_E_clIPiSD_S10_SD_EESH_SX_SI_SJ_SK_EUlSX_E0_NS1_11comp_targetILNS1_3genE9ELNS1_11target_archE1100ELNS1_3gpuE3ELNS1_3repE0EEENS1_38merge_mergepath_config_static_selectorELNS0_4arch9wavefront6targetE1EEEvSJ_,comdat
.Lfunc_end1358:
	.size	_ZN7rocprim17ROCPRIM_400000_NS6detail17trampoline_kernelINS0_14default_configENS1_38merge_sort_block_merge_config_selectorIiiEEZZNS1_27merge_sort_block_merge_implIS3_N6thrust23THRUST_200600_302600_NS6detail15normal_iteratorINS8_10device_ptrIiEEEESD_jNS1_19radix_merge_compareILb0ELb1EiNS0_19identity_decomposerEEEEE10hipError_tT0_T1_T2_jT3_P12ihipStream_tbPNSt15iterator_traitsISI_E10value_typeEPNSO_ISJ_E10value_typeEPSK_NS1_7vsmem_tEENKUlT_SI_SJ_SK_E_clIPiSD_S10_SD_EESH_SX_SI_SJ_SK_EUlSX_E0_NS1_11comp_targetILNS1_3genE9ELNS1_11target_archE1100ELNS1_3gpuE3ELNS1_3repE0EEENS1_38merge_mergepath_config_static_selectorELNS0_4arch9wavefront6targetE1EEEvSJ_, .Lfunc_end1358-_ZN7rocprim17ROCPRIM_400000_NS6detail17trampoline_kernelINS0_14default_configENS1_38merge_sort_block_merge_config_selectorIiiEEZZNS1_27merge_sort_block_merge_implIS3_N6thrust23THRUST_200600_302600_NS6detail15normal_iteratorINS8_10device_ptrIiEEEESD_jNS1_19radix_merge_compareILb0ELb1EiNS0_19identity_decomposerEEEEE10hipError_tT0_T1_T2_jT3_P12ihipStream_tbPNSt15iterator_traitsISI_E10value_typeEPNSO_ISJ_E10value_typeEPSK_NS1_7vsmem_tEENKUlT_SI_SJ_SK_E_clIPiSD_S10_SD_EESH_SX_SI_SJ_SK_EUlSX_E0_NS1_11comp_targetILNS1_3genE9ELNS1_11target_archE1100ELNS1_3gpuE3ELNS1_3repE0EEENS1_38merge_mergepath_config_static_selectorELNS0_4arch9wavefront6targetE1EEEvSJ_
                                        ; -- End function
	.set _ZN7rocprim17ROCPRIM_400000_NS6detail17trampoline_kernelINS0_14default_configENS1_38merge_sort_block_merge_config_selectorIiiEEZZNS1_27merge_sort_block_merge_implIS3_N6thrust23THRUST_200600_302600_NS6detail15normal_iteratorINS8_10device_ptrIiEEEESD_jNS1_19radix_merge_compareILb0ELb1EiNS0_19identity_decomposerEEEEE10hipError_tT0_T1_T2_jT3_P12ihipStream_tbPNSt15iterator_traitsISI_E10value_typeEPNSO_ISJ_E10value_typeEPSK_NS1_7vsmem_tEENKUlT_SI_SJ_SK_E_clIPiSD_S10_SD_EESH_SX_SI_SJ_SK_EUlSX_E0_NS1_11comp_targetILNS1_3genE9ELNS1_11target_archE1100ELNS1_3gpuE3ELNS1_3repE0EEENS1_38merge_mergepath_config_static_selectorELNS0_4arch9wavefront6targetE1EEEvSJ_.num_vgpr, 0
	.set _ZN7rocprim17ROCPRIM_400000_NS6detail17trampoline_kernelINS0_14default_configENS1_38merge_sort_block_merge_config_selectorIiiEEZZNS1_27merge_sort_block_merge_implIS3_N6thrust23THRUST_200600_302600_NS6detail15normal_iteratorINS8_10device_ptrIiEEEESD_jNS1_19radix_merge_compareILb0ELb1EiNS0_19identity_decomposerEEEEE10hipError_tT0_T1_T2_jT3_P12ihipStream_tbPNSt15iterator_traitsISI_E10value_typeEPNSO_ISJ_E10value_typeEPSK_NS1_7vsmem_tEENKUlT_SI_SJ_SK_E_clIPiSD_S10_SD_EESH_SX_SI_SJ_SK_EUlSX_E0_NS1_11comp_targetILNS1_3genE9ELNS1_11target_archE1100ELNS1_3gpuE3ELNS1_3repE0EEENS1_38merge_mergepath_config_static_selectorELNS0_4arch9wavefront6targetE1EEEvSJ_.num_agpr, 0
	.set _ZN7rocprim17ROCPRIM_400000_NS6detail17trampoline_kernelINS0_14default_configENS1_38merge_sort_block_merge_config_selectorIiiEEZZNS1_27merge_sort_block_merge_implIS3_N6thrust23THRUST_200600_302600_NS6detail15normal_iteratorINS8_10device_ptrIiEEEESD_jNS1_19radix_merge_compareILb0ELb1EiNS0_19identity_decomposerEEEEE10hipError_tT0_T1_T2_jT3_P12ihipStream_tbPNSt15iterator_traitsISI_E10value_typeEPNSO_ISJ_E10value_typeEPSK_NS1_7vsmem_tEENKUlT_SI_SJ_SK_E_clIPiSD_S10_SD_EESH_SX_SI_SJ_SK_EUlSX_E0_NS1_11comp_targetILNS1_3genE9ELNS1_11target_archE1100ELNS1_3gpuE3ELNS1_3repE0EEENS1_38merge_mergepath_config_static_selectorELNS0_4arch9wavefront6targetE1EEEvSJ_.numbered_sgpr, 0
	.set _ZN7rocprim17ROCPRIM_400000_NS6detail17trampoline_kernelINS0_14default_configENS1_38merge_sort_block_merge_config_selectorIiiEEZZNS1_27merge_sort_block_merge_implIS3_N6thrust23THRUST_200600_302600_NS6detail15normal_iteratorINS8_10device_ptrIiEEEESD_jNS1_19radix_merge_compareILb0ELb1EiNS0_19identity_decomposerEEEEE10hipError_tT0_T1_T2_jT3_P12ihipStream_tbPNSt15iterator_traitsISI_E10value_typeEPNSO_ISJ_E10value_typeEPSK_NS1_7vsmem_tEENKUlT_SI_SJ_SK_E_clIPiSD_S10_SD_EESH_SX_SI_SJ_SK_EUlSX_E0_NS1_11comp_targetILNS1_3genE9ELNS1_11target_archE1100ELNS1_3gpuE3ELNS1_3repE0EEENS1_38merge_mergepath_config_static_selectorELNS0_4arch9wavefront6targetE1EEEvSJ_.num_named_barrier, 0
	.set _ZN7rocprim17ROCPRIM_400000_NS6detail17trampoline_kernelINS0_14default_configENS1_38merge_sort_block_merge_config_selectorIiiEEZZNS1_27merge_sort_block_merge_implIS3_N6thrust23THRUST_200600_302600_NS6detail15normal_iteratorINS8_10device_ptrIiEEEESD_jNS1_19radix_merge_compareILb0ELb1EiNS0_19identity_decomposerEEEEE10hipError_tT0_T1_T2_jT3_P12ihipStream_tbPNSt15iterator_traitsISI_E10value_typeEPNSO_ISJ_E10value_typeEPSK_NS1_7vsmem_tEENKUlT_SI_SJ_SK_E_clIPiSD_S10_SD_EESH_SX_SI_SJ_SK_EUlSX_E0_NS1_11comp_targetILNS1_3genE9ELNS1_11target_archE1100ELNS1_3gpuE3ELNS1_3repE0EEENS1_38merge_mergepath_config_static_selectorELNS0_4arch9wavefront6targetE1EEEvSJ_.private_seg_size, 0
	.set _ZN7rocprim17ROCPRIM_400000_NS6detail17trampoline_kernelINS0_14default_configENS1_38merge_sort_block_merge_config_selectorIiiEEZZNS1_27merge_sort_block_merge_implIS3_N6thrust23THRUST_200600_302600_NS6detail15normal_iteratorINS8_10device_ptrIiEEEESD_jNS1_19radix_merge_compareILb0ELb1EiNS0_19identity_decomposerEEEEE10hipError_tT0_T1_T2_jT3_P12ihipStream_tbPNSt15iterator_traitsISI_E10value_typeEPNSO_ISJ_E10value_typeEPSK_NS1_7vsmem_tEENKUlT_SI_SJ_SK_E_clIPiSD_S10_SD_EESH_SX_SI_SJ_SK_EUlSX_E0_NS1_11comp_targetILNS1_3genE9ELNS1_11target_archE1100ELNS1_3gpuE3ELNS1_3repE0EEENS1_38merge_mergepath_config_static_selectorELNS0_4arch9wavefront6targetE1EEEvSJ_.uses_vcc, 0
	.set _ZN7rocprim17ROCPRIM_400000_NS6detail17trampoline_kernelINS0_14default_configENS1_38merge_sort_block_merge_config_selectorIiiEEZZNS1_27merge_sort_block_merge_implIS3_N6thrust23THRUST_200600_302600_NS6detail15normal_iteratorINS8_10device_ptrIiEEEESD_jNS1_19radix_merge_compareILb0ELb1EiNS0_19identity_decomposerEEEEE10hipError_tT0_T1_T2_jT3_P12ihipStream_tbPNSt15iterator_traitsISI_E10value_typeEPNSO_ISJ_E10value_typeEPSK_NS1_7vsmem_tEENKUlT_SI_SJ_SK_E_clIPiSD_S10_SD_EESH_SX_SI_SJ_SK_EUlSX_E0_NS1_11comp_targetILNS1_3genE9ELNS1_11target_archE1100ELNS1_3gpuE3ELNS1_3repE0EEENS1_38merge_mergepath_config_static_selectorELNS0_4arch9wavefront6targetE1EEEvSJ_.uses_flat_scratch, 0
	.set _ZN7rocprim17ROCPRIM_400000_NS6detail17trampoline_kernelINS0_14default_configENS1_38merge_sort_block_merge_config_selectorIiiEEZZNS1_27merge_sort_block_merge_implIS3_N6thrust23THRUST_200600_302600_NS6detail15normal_iteratorINS8_10device_ptrIiEEEESD_jNS1_19radix_merge_compareILb0ELb1EiNS0_19identity_decomposerEEEEE10hipError_tT0_T1_T2_jT3_P12ihipStream_tbPNSt15iterator_traitsISI_E10value_typeEPNSO_ISJ_E10value_typeEPSK_NS1_7vsmem_tEENKUlT_SI_SJ_SK_E_clIPiSD_S10_SD_EESH_SX_SI_SJ_SK_EUlSX_E0_NS1_11comp_targetILNS1_3genE9ELNS1_11target_archE1100ELNS1_3gpuE3ELNS1_3repE0EEENS1_38merge_mergepath_config_static_selectorELNS0_4arch9wavefront6targetE1EEEvSJ_.has_dyn_sized_stack, 0
	.set _ZN7rocprim17ROCPRIM_400000_NS6detail17trampoline_kernelINS0_14default_configENS1_38merge_sort_block_merge_config_selectorIiiEEZZNS1_27merge_sort_block_merge_implIS3_N6thrust23THRUST_200600_302600_NS6detail15normal_iteratorINS8_10device_ptrIiEEEESD_jNS1_19radix_merge_compareILb0ELb1EiNS0_19identity_decomposerEEEEE10hipError_tT0_T1_T2_jT3_P12ihipStream_tbPNSt15iterator_traitsISI_E10value_typeEPNSO_ISJ_E10value_typeEPSK_NS1_7vsmem_tEENKUlT_SI_SJ_SK_E_clIPiSD_S10_SD_EESH_SX_SI_SJ_SK_EUlSX_E0_NS1_11comp_targetILNS1_3genE9ELNS1_11target_archE1100ELNS1_3gpuE3ELNS1_3repE0EEENS1_38merge_mergepath_config_static_selectorELNS0_4arch9wavefront6targetE1EEEvSJ_.has_recursion, 0
	.set _ZN7rocprim17ROCPRIM_400000_NS6detail17trampoline_kernelINS0_14default_configENS1_38merge_sort_block_merge_config_selectorIiiEEZZNS1_27merge_sort_block_merge_implIS3_N6thrust23THRUST_200600_302600_NS6detail15normal_iteratorINS8_10device_ptrIiEEEESD_jNS1_19radix_merge_compareILb0ELb1EiNS0_19identity_decomposerEEEEE10hipError_tT0_T1_T2_jT3_P12ihipStream_tbPNSt15iterator_traitsISI_E10value_typeEPNSO_ISJ_E10value_typeEPSK_NS1_7vsmem_tEENKUlT_SI_SJ_SK_E_clIPiSD_S10_SD_EESH_SX_SI_SJ_SK_EUlSX_E0_NS1_11comp_targetILNS1_3genE9ELNS1_11target_archE1100ELNS1_3gpuE3ELNS1_3repE0EEENS1_38merge_mergepath_config_static_selectorELNS0_4arch9wavefront6targetE1EEEvSJ_.has_indirect_call, 0
	.section	.AMDGPU.csdata,"",@progbits
; Kernel info:
; codeLenInByte = 0
; TotalNumSgprs: 6
; NumVgprs: 0
; NumAgprs: 0
; TotalNumVgprs: 0
; ScratchSize: 0
; MemoryBound: 0
; FloatMode: 240
; IeeeMode: 1
; LDSByteSize: 0 bytes/workgroup (compile time only)
; SGPRBlocks: 0
; VGPRBlocks: 0
; NumSGPRsForWavesPerEU: 6
; NumVGPRsForWavesPerEU: 1
; AccumOffset: 4
; Occupancy: 8
; WaveLimiterHint : 0
; COMPUTE_PGM_RSRC2:SCRATCH_EN: 0
; COMPUTE_PGM_RSRC2:USER_SGPR: 2
; COMPUTE_PGM_RSRC2:TRAP_HANDLER: 0
; COMPUTE_PGM_RSRC2:TGID_X_EN: 1
; COMPUTE_PGM_RSRC2:TGID_Y_EN: 0
; COMPUTE_PGM_RSRC2:TGID_Z_EN: 0
; COMPUTE_PGM_RSRC2:TIDIG_COMP_CNT: 0
; COMPUTE_PGM_RSRC3_GFX90A:ACCUM_OFFSET: 0
; COMPUTE_PGM_RSRC3_GFX90A:TG_SPLIT: 0
	.section	.text._ZN7rocprim17ROCPRIM_400000_NS6detail17trampoline_kernelINS0_14default_configENS1_38merge_sort_block_merge_config_selectorIiiEEZZNS1_27merge_sort_block_merge_implIS3_N6thrust23THRUST_200600_302600_NS6detail15normal_iteratorINS8_10device_ptrIiEEEESD_jNS1_19radix_merge_compareILb0ELb1EiNS0_19identity_decomposerEEEEE10hipError_tT0_T1_T2_jT3_P12ihipStream_tbPNSt15iterator_traitsISI_E10value_typeEPNSO_ISJ_E10value_typeEPSK_NS1_7vsmem_tEENKUlT_SI_SJ_SK_E_clIPiSD_S10_SD_EESH_SX_SI_SJ_SK_EUlSX_E0_NS1_11comp_targetILNS1_3genE8ELNS1_11target_archE1030ELNS1_3gpuE2ELNS1_3repE0EEENS1_38merge_mergepath_config_static_selectorELNS0_4arch9wavefront6targetE1EEEvSJ_,"axG",@progbits,_ZN7rocprim17ROCPRIM_400000_NS6detail17trampoline_kernelINS0_14default_configENS1_38merge_sort_block_merge_config_selectorIiiEEZZNS1_27merge_sort_block_merge_implIS3_N6thrust23THRUST_200600_302600_NS6detail15normal_iteratorINS8_10device_ptrIiEEEESD_jNS1_19radix_merge_compareILb0ELb1EiNS0_19identity_decomposerEEEEE10hipError_tT0_T1_T2_jT3_P12ihipStream_tbPNSt15iterator_traitsISI_E10value_typeEPNSO_ISJ_E10value_typeEPSK_NS1_7vsmem_tEENKUlT_SI_SJ_SK_E_clIPiSD_S10_SD_EESH_SX_SI_SJ_SK_EUlSX_E0_NS1_11comp_targetILNS1_3genE8ELNS1_11target_archE1030ELNS1_3gpuE2ELNS1_3repE0EEENS1_38merge_mergepath_config_static_selectorELNS0_4arch9wavefront6targetE1EEEvSJ_,comdat
	.protected	_ZN7rocprim17ROCPRIM_400000_NS6detail17trampoline_kernelINS0_14default_configENS1_38merge_sort_block_merge_config_selectorIiiEEZZNS1_27merge_sort_block_merge_implIS3_N6thrust23THRUST_200600_302600_NS6detail15normal_iteratorINS8_10device_ptrIiEEEESD_jNS1_19radix_merge_compareILb0ELb1EiNS0_19identity_decomposerEEEEE10hipError_tT0_T1_T2_jT3_P12ihipStream_tbPNSt15iterator_traitsISI_E10value_typeEPNSO_ISJ_E10value_typeEPSK_NS1_7vsmem_tEENKUlT_SI_SJ_SK_E_clIPiSD_S10_SD_EESH_SX_SI_SJ_SK_EUlSX_E0_NS1_11comp_targetILNS1_3genE8ELNS1_11target_archE1030ELNS1_3gpuE2ELNS1_3repE0EEENS1_38merge_mergepath_config_static_selectorELNS0_4arch9wavefront6targetE1EEEvSJ_ ; -- Begin function _ZN7rocprim17ROCPRIM_400000_NS6detail17trampoline_kernelINS0_14default_configENS1_38merge_sort_block_merge_config_selectorIiiEEZZNS1_27merge_sort_block_merge_implIS3_N6thrust23THRUST_200600_302600_NS6detail15normal_iteratorINS8_10device_ptrIiEEEESD_jNS1_19radix_merge_compareILb0ELb1EiNS0_19identity_decomposerEEEEE10hipError_tT0_T1_T2_jT3_P12ihipStream_tbPNSt15iterator_traitsISI_E10value_typeEPNSO_ISJ_E10value_typeEPSK_NS1_7vsmem_tEENKUlT_SI_SJ_SK_E_clIPiSD_S10_SD_EESH_SX_SI_SJ_SK_EUlSX_E0_NS1_11comp_targetILNS1_3genE8ELNS1_11target_archE1030ELNS1_3gpuE2ELNS1_3repE0EEENS1_38merge_mergepath_config_static_selectorELNS0_4arch9wavefront6targetE1EEEvSJ_
	.globl	_ZN7rocprim17ROCPRIM_400000_NS6detail17trampoline_kernelINS0_14default_configENS1_38merge_sort_block_merge_config_selectorIiiEEZZNS1_27merge_sort_block_merge_implIS3_N6thrust23THRUST_200600_302600_NS6detail15normal_iteratorINS8_10device_ptrIiEEEESD_jNS1_19radix_merge_compareILb0ELb1EiNS0_19identity_decomposerEEEEE10hipError_tT0_T1_T2_jT3_P12ihipStream_tbPNSt15iterator_traitsISI_E10value_typeEPNSO_ISJ_E10value_typeEPSK_NS1_7vsmem_tEENKUlT_SI_SJ_SK_E_clIPiSD_S10_SD_EESH_SX_SI_SJ_SK_EUlSX_E0_NS1_11comp_targetILNS1_3genE8ELNS1_11target_archE1030ELNS1_3gpuE2ELNS1_3repE0EEENS1_38merge_mergepath_config_static_selectorELNS0_4arch9wavefront6targetE1EEEvSJ_
	.p2align	8
	.type	_ZN7rocprim17ROCPRIM_400000_NS6detail17trampoline_kernelINS0_14default_configENS1_38merge_sort_block_merge_config_selectorIiiEEZZNS1_27merge_sort_block_merge_implIS3_N6thrust23THRUST_200600_302600_NS6detail15normal_iteratorINS8_10device_ptrIiEEEESD_jNS1_19radix_merge_compareILb0ELb1EiNS0_19identity_decomposerEEEEE10hipError_tT0_T1_T2_jT3_P12ihipStream_tbPNSt15iterator_traitsISI_E10value_typeEPNSO_ISJ_E10value_typeEPSK_NS1_7vsmem_tEENKUlT_SI_SJ_SK_E_clIPiSD_S10_SD_EESH_SX_SI_SJ_SK_EUlSX_E0_NS1_11comp_targetILNS1_3genE8ELNS1_11target_archE1030ELNS1_3gpuE2ELNS1_3repE0EEENS1_38merge_mergepath_config_static_selectorELNS0_4arch9wavefront6targetE1EEEvSJ_,@function
_ZN7rocprim17ROCPRIM_400000_NS6detail17trampoline_kernelINS0_14default_configENS1_38merge_sort_block_merge_config_selectorIiiEEZZNS1_27merge_sort_block_merge_implIS3_N6thrust23THRUST_200600_302600_NS6detail15normal_iteratorINS8_10device_ptrIiEEEESD_jNS1_19radix_merge_compareILb0ELb1EiNS0_19identity_decomposerEEEEE10hipError_tT0_T1_T2_jT3_P12ihipStream_tbPNSt15iterator_traitsISI_E10value_typeEPNSO_ISJ_E10value_typeEPSK_NS1_7vsmem_tEENKUlT_SI_SJ_SK_E_clIPiSD_S10_SD_EESH_SX_SI_SJ_SK_EUlSX_E0_NS1_11comp_targetILNS1_3genE8ELNS1_11target_archE1030ELNS1_3gpuE2ELNS1_3repE0EEENS1_38merge_mergepath_config_static_selectorELNS0_4arch9wavefront6targetE1EEEvSJ_: ; @_ZN7rocprim17ROCPRIM_400000_NS6detail17trampoline_kernelINS0_14default_configENS1_38merge_sort_block_merge_config_selectorIiiEEZZNS1_27merge_sort_block_merge_implIS3_N6thrust23THRUST_200600_302600_NS6detail15normal_iteratorINS8_10device_ptrIiEEEESD_jNS1_19radix_merge_compareILb0ELb1EiNS0_19identity_decomposerEEEEE10hipError_tT0_T1_T2_jT3_P12ihipStream_tbPNSt15iterator_traitsISI_E10value_typeEPNSO_ISJ_E10value_typeEPSK_NS1_7vsmem_tEENKUlT_SI_SJ_SK_E_clIPiSD_S10_SD_EESH_SX_SI_SJ_SK_EUlSX_E0_NS1_11comp_targetILNS1_3genE8ELNS1_11target_archE1030ELNS1_3gpuE2ELNS1_3repE0EEENS1_38merge_mergepath_config_static_selectorELNS0_4arch9wavefront6targetE1EEEvSJ_
; %bb.0:
	.section	.rodata,"a",@progbits
	.p2align	6, 0x0
	.amdhsa_kernel _ZN7rocprim17ROCPRIM_400000_NS6detail17trampoline_kernelINS0_14default_configENS1_38merge_sort_block_merge_config_selectorIiiEEZZNS1_27merge_sort_block_merge_implIS3_N6thrust23THRUST_200600_302600_NS6detail15normal_iteratorINS8_10device_ptrIiEEEESD_jNS1_19radix_merge_compareILb0ELb1EiNS0_19identity_decomposerEEEEE10hipError_tT0_T1_T2_jT3_P12ihipStream_tbPNSt15iterator_traitsISI_E10value_typeEPNSO_ISJ_E10value_typeEPSK_NS1_7vsmem_tEENKUlT_SI_SJ_SK_E_clIPiSD_S10_SD_EESH_SX_SI_SJ_SK_EUlSX_E0_NS1_11comp_targetILNS1_3genE8ELNS1_11target_archE1030ELNS1_3gpuE2ELNS1_3repE0EEENS1_38merge_mergepath_config_static_selectorELNS0_4arch9wavefront6targetE1EEEvSJ_
		.amdhsa_group_segment_fixed_size 0
		.amdhsa_private_segment_fixed_size 0
		.amdhsa_kernarg_size 64
		.amdhsa_user_sgpr_count 2
		.amdhsa_user_sgpr_dispatch_ptr 0
		.amdhsa_user_sgpr_queue_ptr 0
		.amdhsa_user_sgpr_kernarg_segment_ptr 1
		.amdhsa_user_sgpr_dispatch_id 0
		.amdhsa_user_sgpr_kernarg_preload_length 0
		.amdhsa_user_sgpr_kernarg_preload_offset 0
		.amdhsa_user_sgpr_private_segment_size 0
		.amdhsa_uses_dynamic_stack 0
		.amdhsa_enable_private_segment 0
		.amdhsa_system_sgpr_workgroup_id_x 1
		.amdhsa_system_sgpr_workgroup_id_y 0
		.amdhsa_system_sgpr_workgroup_id_z 0
		.amdhsa_system_sgpr_workgroup_info 0
		.amdhsa_system_vgpr_workitem_id 0
		.amdhsa_next_free_vgpr 1
		.amdhsa_next_free_sgpr 0
		.amdhsa_accum_offset 4
		.amdhsa_reserve_vcc 0
		.amdhsa_float_round_mode_32 0
		.amdhsa_float_round_mode_16_64 0
		.amdhsa_float_denorm_mode_32 3
		.amdhsa_float_denorm_mode_16_64 3
		.amdhsa_dx10_clamp 1
		.amdhsa_ieee_mode 1
		.amdhsa_fp16_overflow 0
		.amdhsa_tg_split 0
		.amdhsa_exception_fp_ieee_invalid_op 0
		.amdhsa_exception_fp_denorm_src 0
		.amdhsa_exception_fp_ieee_div_zero 0
		.amdhsa_exception_fp_ieee_overflow 0
		.amdhsa_exception_fp_ieee_underflow 0
		.amdhsa_exception_fp_ieee_inexact 0
		.amdhsa_exception_int_div_zero 0
	.end_amdhsa_kernel
	.section	.text._ZN7rocprim17ROCPRIM_400000_NS6detail17trampoline_kernelINS0_14default_configENS1_38merge_sort_block_merge_config_selectorIiiEEZZNS1_27merge_sort_block_merge_implIS3_N6thrust23THRUST_200600_302600_NS6detail15normal_iteratorINS8_10device_ptrIiEEEESD_jNS1_19radix_merge_compareILb0ELb1EiNS0_19identity_decomposerEEEEE10hipError_tT0_T1_T2_jT3_P12ihipStream_tbPNSt15iterator_traitsISI_E10value_typeEPNSO_ISJ_E10value_typeEPSK_NS1_7vsmem_tEENKUlT_SI_SJ_SK_E_clIPiSD_S10_SD_EESH_SX_SI_SJ_SK_EUlSX_E0_NS1_11comp_targetILNS1_3genE8ELNS1_11target_archE1030ELNS1_3gpuE2ELNS1_3repE0EEENS1_38merge_mergepath_config_static_selectorELNS0_4arch9wavefront6targetE1EEEvSJ_,"axG",@progbits,_ZN7rocprim17ROCPRIM_400000_NS6detail17trampoline_kernelINS0_14default_configENS1_38merge_sort_block_merge_config_selectorIiiEEZZNS1_27merge_sort_block_merge_implIS3_N6thrust23THRUST_200600_302600_NS6detail15normal_iteratorINS8_10device_ptrIiEEEESD_jNS1_19radix_merge_compareILb0ELb1EiNS0_19identity_decomposerEEEEE10hipError_tT0_T1_T2_jT3_P12ihipStream_tbPNSt15iterator_traitsISI_E10value_typeEPNSO_ISJ_E10value_typeEPSK_NS1_7vsmem_tEENKUlT_SI_SJ_SK_E_clIPiSD_S10_SD_EESH_SX_SI_SJ_SK_EUlSX_E0_NS1_11comp_targetILNS1_3genE8ELNS1_11target_archE1030ELNS1_3gpuE2ELNS1_3repE0EEENS1_38merge_mergepath_config_static_selectorELNS0_4arch9wavefront6targetE1EEEvSJ_,comdat
.Lfunc_end1359:
	.size	_ZN7rocprim17ROCPRIM_400000_NS6detail17trampoline_kernelINS0_14default_configENS1_38merge_sort_block_merge_config_selectorIiiEEZZNS1_27merge_sort_block_merge_implIS3_N6thrust23THRUST_200600_302600_NS6detail15normal_iteratorINS8_10device_ptrIiEEEESD_jNS1_19radix_merge_compareILb0ELb1EiNS0_19identity_decomposerEEEEE10hipError_tT0_T1_T2_jT3_P12ihipStream_tbPNSt15iterator_traitsISI_E10value_typeEPNSO_ISJ_E10value_typeEPSK_NS1_7vsmem_tEENKUlT_SI_SJ_SK_E_clIPiSD_S10_SD_EESH_SX_SI_SJ_SK_EUlSX_E0_NS1_11comp_targetILNS1_3genE8ELNS1_11target_archE1030ELNS1_3gpuE2ELNS1_3repE0EEENS1_38merge_mergepath_config_static_selectorELNS0_4arch9wavefront6targetE1EEEvSJ_, .Lfunc_end1359-_ZN7rocprim17ROCPRIM_400000_NS6detail17trampoline_kernelINS0_14default_configENS1_38merge_sort_block_merge_config_selectorIiiEEZZNS1_27merge_sort_block_merge_implIS3_N6thrust23THRUST_200600_302600_NS6detail15normal_iteratorINS8_10device_ptrIiEEEESD_jNS1_19radix_merge_compareILb0ELb1EiNS0_19identity_decomposerEEEEE10hipError_tT0_T1_T2_jT3_P12ihipStream_tbPNSt15iterator_traitsISI_E10value_typeEPNSO_ISJ_E10value_typeEPSK_NS1_7vsmem_tEENKUlT_SI_SJ_SK_E_clIPiSD_S10_SD_EESH_SX_SI_SJ_SK_EUlSX_E0_NS1_11comp_targetILNS1_3genE8ELNS1_11target_archE1030ELNS1_3gpuE2ELNS1_3repE0EEENS1_38merge_mergepath_config_static_selectorELNS0_4arch9wavefront6targetE1EEEvSJ_
                                        ; -- End function
	.set _ZN7rocprim17ROCPRIM_400000_NS6detail17trampoline_kernelINS0_14default_configENS1_38merge_sort_block_merge_config_selectorIiiEEZZNS1_27merge_sort_block_merge_implIS3_N6thrust23THRUST_200600_302600_NS6detail15normal_iteratorINS8_10device_ptrIiEEEESD_jNS1_19radix_merge_compareILb0ELb1EiNS0_19identity_decomposerEEEEE10hipError_tT0_T1_T2_jT3_P12ihipStream_tbPNSt15iterator_traitsISI_E10value_typeEPNSO_ISJ_E10value_typeEPSK_NS1_7vsmem_tEENKUlT_SI_SJ_SK_E_clIPiSD_S10_SD_EESH_SX_SI_SJ_SK_EUlSX_E0_NS1_11comp_targetILNS1_3genE8ELNS1_11target_archE1030ELNS1_3gpuE2ELNS1_3repE0EEENS1_38merge_mergepath_config_static_selectorELNS0_4arch9wavefront6targetE1EEEvSJ_.num_vgpr, 0
	.set _ZN7rocprim17ROCPRIM_400000_NS6detail17trampoline_kernelINS0_14default_configENS1_38merge_sort_block_merge_config_selectorIiiEEZZNS1_27merge_sort_block_merge_implIS3_N6thrust23THRUST_200600_302600_NS6detail15normal_iteratorINS8_10device_ptrIiEEEESD_jNS1_19radix_merge_compareILb0ELb1EiNS0_19identity_decomposerEEEEE10hipError_tT0_T1_T2_jT3_P12ihipStream_tbPNSt15iterator_traitsISI_E10value_typeEPNSO_ISJ_E10value_typeEPSK_NS1_7vsmem_tEENKUlT_SI_SJ_SK_E_clIPiSD_S10_SD_EESH_SX_SI_SJ_SK_EUlSX_E0_NS1_11comp_targetILNS1_3genE8ELNS1_11target_archE1030ELNS1_3gpuE2ELNS1_3repE0EEENS1_38merge_mergepath_config_static_selectorELNS0_4arch9wavefront6targetE1EEEvSJ_.num_agpr, 0
	.set _ZN7rocprim17ROCPRIM_400000_NS6detail17trampoline_kernelINS0_14default_configENS1_38merge_sort_block_merge_config_selectorIiiEEZZNS1_27merge_sort_block_merge_implIS3_N6thrust23THRUST_200600_302600_NS6detail15normal_iteratorINS8_10device_ptrIiEEEESD_jNS1_19radix_merge_compareILb0ELb1EiNS0_19identity_decomposerEEEEE10hipError_tT0_T1_T2_jT3_P12ihipStream_tbPNSt15iterator_traitsISI_E10value_typeEPNSO_ISJ_E10value_typeEPSK_NS1_7vsmem_tEENKUlT_SI_SJ_SK_E_clIPiSD_S10_SD_EESH_SX_SI_SJ_SK_EUlSX_E0_NS1_11comp_targetILNS1_3genE8ELNS1_11target_archE1030ELNS1_3gpuE2ELNS1_3repE0EEENS1_38merge_mergepath_config_static_selectorELNS0_4arch9wavefront6targetE1EEEvSJ_.numbered_sgpr, 0
	.set _ZN7rocprim17ROCPRIM_400000_NS6detail17trampoline_kernelINS0_14default_configENS1_38merge_sort_block_merge_config_selectorIiiEEZZNS1_27merge_sort_block_merge_implIS3_N6thrust23THRUST_200600_302600_NS6detail15normal_iteratorINS8_10device_ptrIiEEEESD_jNS1_19radix_merge_compareILb0ELb1EiNS0_19identity_decomposerEEEEE10hipError_tT0_T1_T2_jT3_P12ihipStream_tbPNSt15iterator_traitsISI_E10value_typeEPNSO_ISJ_E10value_typeEPSK_NS1_7vsmem_tEENKUlT_SI_SJ_SK_E_clIPiSD_S10_SD_EESH_SX_SI_SJ_SK_EUlSX_E0_NS1_11comp_targetILNS1_3genE8ELNS1_11target_archE1030ELNS1_3gpuE2ELNS1_3repE0EEENS1_38merge_mergepath_config_static_selectorELNS0_4arch9wavefront6targetE1EEEvSJ_.num_named_barrier, 0
	.set _ZN7rocprim17ROCPRIM_400000_NS6detail17trampoline_kernelINS0_14default_configENS1_38merge_sort_block_merge_config_selectorIiiEEZZNS1_27merge_sort_block_merge_implIS3_N6thrust23THRUST_200600_302600_NS6detail15normal_iteratorINS8_10device_ptrIiEEEESD_jNS1_19radix_merge_compareILb0ELb1EiNS0_19identity_decomposerEEEEE10hipError_tT0_T1_T2_jT3_P12ihipStream_tbPNSt15iterator_traitsISI_E10value_typeEPNSO_ISJ_E10value_typeEPSK_NS1_7vsmem_tEENKUlT_SI_SJ_SK_E_clIPiSD_S10_SD_EESH_SX_SI_SJ_SK_EUlSX_E0_NS1_11comp_targetILNS1_3genE8ELNS1_11target_archE1030ELNS1_3gpuE2ELNS1_3repE0EEENS1_38merge_mergepath_config_static_selectorELNS0_4arch9wavefront6targetE1EEEvSJ_.private_seg_size, 0
	.set _ZN7rocprim17ROCPRIM_400000_NS6detail17trampoline_kernelINS0_14default_configENS1_38merge_sort_block_merge_config_selectorIiiEEZZNS1_27merge_sort_block_merge_implIS3_N6thrust23THRUST_200600_302600_NS6detail15normal_iteratorINS8_10device_ptrIiEEEESD_jNS1_19radix_merge_compareILb0ELb1EiNS0_19identity_decomposerEEEEE10hipError_tT0_T1_T2_jT3_P12ihipStream_tbPNSt15iterator_traitsISI_E10value_typeEPNSO_ISJ_E10value_typeEPSK_NS1_7vsmem_tEENKUlT_SI_SJ_SK_E_clIPiSD_S10_SD_EESH_SX_SI_SJ_SK_EUlSX_E0_NS1_11comp_targetILNS1_3genE8ELNS1_11target_archE1030ELNS1_3gpuE2ELNS1_3repE0EEENS1_38merge_mergepath_config_static_selectorELNS0_4arch9wavefront6targetE1EEEvSJ_.uses_vcc, 0
	.set _ZN7rocprim17ROCPRIM_400000_NS6detail17trampoline_kernelINS0_14default_configENS1_38merge_sort_block_merge_config_selectorIiiEEZZNS1_27merge_sort_block_merge_implIS3_N6thrust23THRUST_200600_302600_NS6detail15normal_iteratorINS8_10device_ptrIiEEEESD_jNS1_19radix_merge_compareILb0ELb1EiNS0_19identity_decomposerEEEEE10hipError_tT0_T1_T2_jT3_P12ihipStream_tbPNSt15iterator_traitsISI_E10value_typeEPNSO_ISJ_E10value_typeEPSK_NS1_7vsmem_tEENKUlT_SI_SJ_SK_E_clIPiSD_S10_SD_EESH_SX_SI_SJ_SK_EUlSX_E0_NS1_11comp_targetILNS1_3genE8ELNS1_11target_archE1030ELNS1_3gpuE2ELNS1_3repE0EEENS1_38merge_mergepath_config_static_selectorELNS0_4arch9wavefront6targetE1EEEvSJ_.uses_flat_scratch, 0
	.set _ZN7rocprim17ROCPRIM_400000_NS6detail17trampoline_kernelINS0_14default_configENS1_38merge_sort_block_merge_config_selectorIiiEEZZNS1_27merge_sort_block_merge_implIS3_N6thrust23THRUST_200600_302600_NS6detail15normal_iteratorINS8_10device_ptrIiEEEESD_jNS1_19radix_merge_compareILb0ELb1EiNS0_19identity_decomposerEEEEE10hipError_tT0_T1_T2_jT3_P12ihipStream_tbPNSt15iterator_traitsISI_E10value_typeEPNSO_ISJ_E10value_typeEPSK_NS1_7vsmem_tEENKUlT_SI_SJ_SK_E_clIPiSD_S10_SD_EESH_SX_SI_SJ_SK_EUlSX_E0_NS1_11comp_targetILNS1_3genE8ELNS1_11target_archE1030ELNS1_3gpuE2ELNS1_3repE0EEENS1_38merge_mergepath_config_static_selectorELNS0_4arch9wavefront6targetE1EEEvSJ_.has_dyn_sized_stack, 0
	.set _ZN7rocprim17ROCPRIM_400000_NS6detail17trampoline_kernelINS0_14default_configENS1_38merge_sort_block_merge_config_selectorIiiEEZZNS1_27merge_sort_block_merge_implIS3_N6thrust23THRUST_200600_302600_NS6detail15normal_iteratorINS8_10device_ptrIiEEEESD_jNS1_19radix_merge_compareILb0ELb1EiNS0_19identity_decomposerEEEEE10hipError_tT0_T1_T2_jT3_P12ihipStream_tbPNSt15iterator_traitsISI_E10value_typeEPNSO_ISJ_E10value_typeEPSK_NS1_7vsmem_tEENKUlT_SI_SJ_SK_E_clIPiSD_S10_SD_EESH_SX_SI_SJ_SK_EUlSX_E0_NS1_11comp_targetILNS1_3genE8ELNS1_11target_archE1030ELNS1_3gpuE2ELNS1_3repE0EEENS1_38merge_mergepath_config_static_selectorELNS0_4arch9wavefront6targetE1EEEvSJ_.has_recursion, 0
	.set _ZN7rocprim17ROCPRIM_400000_NS6detail17trampoline_kernelINS0_14default_configENS1_38merge_sort_block_merge_config_selectorIiiEEZZNS1_27merge_sort_block_merge_implIS3_N6thrust23THRUST_200600_302600_NS6detail15normal_iteratorINS8_10device_ptrIiEEEESD_jNS1_19radix_merge_compareILb0ELb1EiNS0_19identity_decomposerEEEEE10hipError_tT0_T1_T2_jT3_P12ihipStream_tbPNSt15iterator_traitsISI_E10value_typeEPNSO_ISJ_E10value_typeEPSK_NS1_7vsmem_tEENKUlT_SI_SJ_SK_E_clIPiSD_S10_SD_EESH_SX_SI_SJ_SK_EUlSX_E0_NS1_11comp_targetILNS1_3genE8ELNS1_11target_archE1030ELNS1_3gpuE2ELNS1_3repE0EEENS1_38merge_mergepath_config_static_selectorELNS0_4arch9wavefront6targetE1EEEvSJ_.has_indirect_call, 0
	.section	.AMDGPU.csdata,"",@progbits
; Kernel info:
; codeLenInByte = 0
; TotalNumSgprs: 6
; NumVgprs: 0
; NumAgprs: 0
; TotalNumVgprs: 0
; ScratchSize: 0
; MemoryBound: 0
; FloatMode: 240
; IeeeMode: 1
; LDSByteSize: 0 bytes/workgroup (compile time only)
; SGPRBlocks: 0
; VGPRBlocks: 0
; NumSGPRsForWavesPerEU: 6
; NumVGPRsForWavesPerEU: 1
; AccumOffset: 4
; Occupancy: 8
; WaveLimiterHint : 0
; COMPUTE_PGM_RSRC2:SCRATCH_EN: 0
; COMPUTE_PGM_RSRC2:USER_SGPR: 2
; COMPUTE_PGM_RSRC2:TRAP_HANDLER: 0
; COMPUTE_PGM_RSRC2:TGID_X_EN: 1
; COMPUTE_PGM_RSRC2:TGID_Y_EN: 0
; COMPUTE_PGM_RSRC2:TGID_Z_EN: 0
; COMPUTE_PGM_RSRC2:TIDIG_COMP_CNT: 0
; COMPUTE_PGM_RSRC3_GFX90A:ACCUM_OFFSET: 0
; COMPUTE_PGM_RSRC3_GFX90A:TG_SPLIT: 0
	.section	.text._ZN7rocprim17ROCPRIM_400000_NS6detail17trampoline_kernelINS0_14default_configENS1_38merge_sort_block_merge_config_selectorIiiEEZZNS1_27merge_sort_block_merge_implIS3_N6thrust23THRUST_200600_302600_NS6detail15normal_iteratorINS8_10device_ptrIiEEEESD_jNS1_19radix_merge_compareILb0ELb1EiNS0_19identity_decomposerEEEEE10hipError_tT0_T1_T2_jT3_P12ihipStream_tbPNSt15iterator_traitsISI_E10value_typeEPNSO_ISJ_E10value_typeEPSK_NS1_7vsmem_tEENKUlT_SI_SJ_SK_E_clIPiSD_S10_SD_EESH_SX_SI_SJ_SK_EUlSX_E1_NS1_11comp_targetILNS1_3genE0ELNS1_11target_archE4294967295ELNS1_3gpuE0ELNS1_3repE0EEENS1_36merge_oddeven_config_static_selectorELNS0_4arch9wavefront6targetE1EEEvSJ_,"axG",@progbits,_ZN7rocprim17ROCPRIM_400000_NS6detail17trampoline_kernelINS0_14default_configENS1_38merge_sort_block_merge_config_selectorIiiEEZZNS1_27merge_sort_block_merge_implIS3_N6thrust23THRUST_200600_302600_NS6detail15normal_iteratorINS8_10device_ptrIiEEEESD_jNS1_19radix_merge_compareILb0ELb1EiNS0_19identity_decomposerEEEEE10hipError_tT0_T1_T2_jT3_P12ihipStream_tbPNSt15iterator_traitsISI_E10value_typeEPNSO_ISJ_E10value_typeEPSK_NS1_7vsmem_tEENKUlT_SI_SJ_SK_E_clIPiSD_S10_SD_EESH_SX_SI_SJ_SK_EUlSX_E1_NS1_11comp_targetILNS1_3genE0ELNS1_11target_archE4294967295ELNS1_3gpuE0ELNS1_3repE0EEENS1_36merge_oddeven_config_static_selectorELNS0_4arch9wavefront6targetE1EEEvSJ_,comdat
	.protected	_ZN7rocprim17ROCPRIM_400000_NS6detail17trampoline_kernelINS0_14default_configENS1_38merge_sort_block_merge_config_selectorIiiEEZZNS1_27merge_sort_block_merge_implIS3_N6thrust23THRUST_200600_302600_NS6detail15normal_iteratorINS8_10device_ptrIiEEEESD_jNS1_19radix_merge_compareILb0ELb1EiNS0_19identity_decomposerEEEEE10hipError_tT0_T1_T2_jT3_P12ihipStream_tbPNSt15iterator_traitsISI_E10value_typeEPNSO_ISJ_E10value_typeEPSK_NS1_7vsmem_tEENKUlT_SI_SJ_SK_E_clIPiSD_S10_SD_EESH_SX_SI_SJ_SK_EUlSX_E1_NS1_11comp_targetILNS1_3genE0ELNS1_11target_archE4294967295ELNS1_3gpuE0ELNS1_3repE0EEENS1_36merge_oddeven_config_static_selectorELNS0_4arch9wavefront6targetE1EEEvSJ_ ; -- Begin function _ZN7rocprim17ROCPRIM_400000_NS6detail17trampoline_kernelINS0_14default_configENS1_38merge_sort_block_merge_config_selectorIiiEEZZNS1_27merge_sort_block_merge_implIS3_N6thrust23THRUST_200600_302600_NS6detail15normal_iteratorINS8_10device_ptrIiEEEESD_jNS1_19radix_merge_compareILb0ELb1EiNS0_19identity_decomposerEEEEE10hipError_tT0_T1_T2_jT3_P12ihipStream_tbPNSt15iterator_traitsISI_E10value_typeEPNSO_ISJ_E10value_typeEPSK_NS1_7vsmem_tEENKUlT_SI_SJ_SK_E_clIPiSD_S10_SD_EESH_SX_SI_SJ_SK_EUlSX_E1_NS1_11comp_targetILNS1_3genE0ELNS1_11target_archE4294967295ELNS1_3gpuE0ELNS1_3repE0EEENS1_36merge_oddeven_config_static_selectorELNS0_4arch9wavefront6targetE1EEEvSJ_
	.globl	_ZN7rocprim17ROCPRIM_400000_NS6detail17trampoline_kernelINS0_14default_configENS1_38merge_sort_block_merge_config_selectorIiiEEZZNS1_27merge_sort_block_merge_implIS3_N6thrust23THRUST_200600_302600_NS6detail15normal_iteratorINS8_10device_ptrIiEEEESD_jNS1_19radix_merge_compareILb0ELb1EiNS0_19identity_decomposerEEEEE10hipError_tT0_T1_T2_jT3_P12ihipStream_tbPNSt15iterator_traitsISI_E10value_typeEPNSO_ISJ_E10value_typeEPSK_NS1_7vsmem_tEENKUlT_SI_SJ_SK_E_clIPiSD_S10_SD_EESH_SX_SI_SJ_SK_EUlSX_E1_NS1_11comp_targetILNS1_3genE0ELNS1_11target_archE4294967295ELNS1_3gpuE0ELNS1_3repE0EEENS1_36merge_oddeven_config_static_selectorELNS0_4arch9wavefront6targetE1EEEvSJ_
	.p2align	8
	.type	_ZN7rocprim17ROCPRIM_400000_NS6detail17trampoline_kernelINS0_14default_configENS1_38merge_sort_block_merge_config_selectorIiiEEZZNS1_27merge_sort_block_merge_implIS3_N6thrust23THRUST_200600_302600_NS6detail15normal_iteratorINS8_10device_ptrIiEEEESD_jNS1_19radix_merge_compareILb0ELb1EiNS0_19identity_decomposerEEEEE10hipError_tT0_T1_T2_jT3_P12ihipStream_tbPNSt15iterator_traitsISI_E10value_typeEPNSO_ISJ_E10value_typeEPSK_NS1_7vsmem_tEENKUlT_SI_SJ_SK_E_clIPiSD_S10_SD_EESH_SX_SI_SJ_SK_EUlSX_E1_NS1_11comp_targetILNS1_3genE0ELNS1_11target_archE4294967295ELNS1_3gpuE0ELNS1_3repE0EEENS1_36merge_oddeven_config_static_selectorELNS0_4arch9wavefront6targetE1EEEvSJ_,@function
_ZN7rocprim17ROCPRIM_400000_NS6detail17trampoline_kernelINS0_14default_configENS1_38merge_sort_block_merge_config_selectorIiiEEZZNS1_27merge_sort_block_merge_implIS3_N6thrust23THRUST_200600_302600_NS6detail15normal_iteratorINS8_10device_ptrIiEEEESD_jNS1_19radix_merge_compareILb0ELb1EiNS0_19identity_decomposerEEEEE10hipError_tT0_T1_T2_jT3_P12ihipStream_tbPNSt15iterator_traitsISI_E10value_typeEPNSO_ISJ_E10value_typeEPSK_NS1_7vsmem_tEENKUlT_SI_SJ_SK_E_clIPiSD_S10_SD_EESH_SX_SI_SJ_SK_EUlSX_E1_NS1_11comp_targetILNS1_3genE0ELNS1_11target_archE4294967295ELNS1_3gpuE0ELNS1_3repE0EEENS1_36merge_oddeven_config_static_selectorELNS0_4arch9wavefront6targetE1EEEvSJ_: ; @_ZN7rocprim17ROCPRIM_400000_NS6detail17trampoline_kernelINS0_14default_configENS1_38merge_sort_block_merge_config_selectorIiiEEZZNS1_27merge_sort_block_merge_implIS3_N6thrust23THRUST_200600_302600_NS6detail15normal_iteratorINS8_10device_ptrIiEEEESD_jNS1_19radix_merge_compareILb0ELb1EiNS0_19identity_decomposerEEEEE10hipError_tT0_T1_T2_jT3_P12ihipStream_tbPNSt15iterator_traitsISI_E10value_typeEPNSO_ISJ_E10value_typeEPSK_NS1_7vsmem_tEENKUlT_SI_SJ_SK_E_clIPiSD_S10_SD_EESH_SX_SI_SJ_SK_EUlSX_E1_NS1_11comp_targetILNS1_3genE0ELNS1_11target_archE4294967295ELNS1_3gpuE0ELNS1_3repE0EEENS1_36merge_oddeven_config_static_selectorELNS0_4arch9wavefront6targetE1EEEvSJ_
; %bb.0:
	s_load_dword s20, s[0:1], 0x20
	s_waitcnt lgkmcnt(0)
	s_lshr_b32 s3, s20, 8
	s_cmp_eq_u32 s2, s3
	s_cselect_b64 s[16:17], -1, 0
	s_cmp_lg_u32 s2, s3
	s_cselect_b64 s[4:5], -1, 0
	s_lshl_b32 s18, s2, 8
	s_sub_i32 s3, s20, s18
	v_cmp_gt_u32_e64 s[6:7], s3, v0
	s_or_b64 s[4:5], s[4:5], s[6:7]
	s_and_saveexec_b64 s[8:9], s[4:5]
	s_cbranch_execz .LBB1360_24
; %bb.1:
	s_load_dwordx8 s[8:15], s[0:1], 0x0
	s_mov_b32 s19, 0
	s_lshl_b64 s[4:5], s[18:19], 2
	v_lshlrev_b32_e32 v1, 2, v0
	s_load_dword s19, s[0:1], 0x24
	s_waitcnt lgkmcnt(0)
	s_add_u32 s22, s8, s4
	s_addc_u32 s23, s9, s5
	s_add_u32 s4, s12, s4
	s_addc_u32 s5, s13, s5
	global_load_dword v2, v1, s[4:5]
	global_load_dword v3, v1, s[22:23]
	s_lshr_b32 s3, s19, 8
	s_sub_i32 s4, 0, s3
	s_and_b32 s2, s2, s4
	s_and_b32 s3, s2, s3
	s_lshl_b32 s21, s2, 8
	s_sub_i32 s12, 0, s19
	s_cmp_eq_u32 s3, 0
	s_cselect_b64 s[4:5], -1, 0
	s_and_b64 s[2:3], s[4:5], exec
	s_cselect_b32 s12, s19, s12
	s_add_i32 s12, s12, s21
	s_mov_b64 s[2:3], -1
	s_cmp_gt_u32 s20, s12
	v_add_u32_e32 v0, s18, v0
	s_cbranch_scc1 .LBB1360_9
; %bb.2:
	s_and_b64 vcc, exec, s[16:17]
	s_cbranch_vccz .LBB1360_6
; %bb.3:
	v_cmp_gt_u32_e32 vcc, s20, v0
	s_and_saveexec_b64 s[2:3], vcc
	s_cbranch_execz .LBB1360_5
; %bb.4:
	v_mov_b32_e32 v1, 0
	v_lshlrev_b64 v[4:5], 2, v[0:1]
	v_lshl_add_u64 v[6:7], s[10:11], 0, v[4:5]
	v_lshl_add_u64 v[4:5], s[14:15], 0, v[4:5]
	s_waitcnt vmcnt(0)
	global_store_dword v[6:7], v3, off
	global_store_dword v[4:5], v2, off
.LBB1360_5:
	s_or_b64 exec, exec, s[2:3]
	s_mov_b64 s[2:3], 0
.LBB1360_6:
	s_andn2_b64 vcc, exec, s[2:3]
	s_cbranch_vccnz .LBB1360_8
; %bb.7:
	v_mov_b32_e32 v1, 0
	v_lshlrev_b64 v[4:5], 2, v[0:1]
	v_lshl_add_u64 v[6:7], s[10:11], 0, v[4:5]
	v_lshl_add_u64 v[4:5], s[14:15], 0, v[4:5]
	s_waitcnt vmcnt(0)
	global_store_dword v[6:7], v3, off
	global_store_dword v[4:5], v2, off
.LBB1360_8:
	s_mov_b64 s[2:3], 0
.LBB1360_9:
	s_andn2_b64 vcc, exec, s[2:3]
	s_cbranch_vccnz .LBB1360_24
; %bb.10:
	s_load_dword s13, s[0:1], 0x28
	s_min_u32 s18, s12, s20
	s_add_i32 s0, s18, s19
	s_min_u32 s19, s0, s20
	s_min_u32 s0, s21, s18
	s_add_i32 s21, s21, s18
	v_subrev_u32_e32 v0, s21, v0
	v_add_u32_e32 v4, s0, v0
	s_waitcnt vmcnt(0) lgkmcnt(0)
	v_and_b32_e32 v5, s13, v3
	s_mov_b64 s[0:1], -1
	s_and_b64 vcc, exec, s[16:17]
	s_cbranch_vccz .LBB1360_18
; %bb.11:
	s_and_saveexec_b64 s[0:1], s[6:7]
	s_cbranch_execz .LBB1360_17
; %bb.12:
	s_cmp_ge_u32 s12, s19
	v_mov_b32_e32 v6, s18
	s_cbranch_scc1 .LBB1360_16
; %bb.13:
	s_mov_b64 s[2:3], 0
	v_mov_b32_e32 v7, s19
	v_mov_b32_e32 v6, s18
	;; [unrolled: 1-line block ×3, first 2 shown]
.LBB1360_14:                            ; =>This Inner Loop Header: Depth=1
	v_add_u32_e32 v0, v6, v7
	v_lshrrev_b32_e32 v0, 1, v0
	v_lshl_add_u64 v[8:9], v[0:1], 2, s[8:9]
	global_load_dword v8, v[8:9], off
	v_add_u32_e32 v9, 1, v0
	s_waitcnt vmcnt(0)
	v_and_b32_e32 v8, s13, v8
	v_cmp_gt_i32_e32 vcc, v5, v8
	s_nop 1
	v_cndmask_b32_e64 v10, 0, 1, vcc
	v_cmp_le_i32_e32 vcc, v8, v5
	s_nop 1
	v_cndmask_b32_e64 v8, 0, 1, vcc
	v_cndmask_b32_e64 v8, v8, v10, s[4:5]
	v_and_b32_e32 v8, 1, v8
	v_cmp_eq_u32_e32 vcc, 1, v8
	s_nop 1
	v_cndmask_b32_e32 v7, v0, v7, vcc
	v_cndmask_b32_e32 v6, v6, v9, vcc
	v_cmp_ge_u32_e32 vcc, v6, v7
	s_or_b64 s[2:3], vcc, s[2:3]
	s_andn2_b64 exec, exec, s[2:3]
	s_cbranch_execnz .LBB1360_14
; %bb.15:
	s_or_b64 exec, exec, s[2:3]
.LBB1360_16:
	v_add_u32_e32 v0, v6, v4
	v_mov_b32_e32 v1, 0
	v_lshlrev_b64 v[0:1], 2, v[0:1]
	v_lshl_add_u64 v[6:7], s[10:11], 0, v[0:1]
	v_lshl_add_u64 v[0:1], s[14:15], 0, v[0:1]
	global_store_dword v[6:7], v3, off
	global_store_dword v[0:1], v2, off
.LBB1360_17:
	s_or_b64 exec, exec, s[0:1]
	s_mov_b64 s[0:1], 0
.LBB1360_18:
	s_andn2_b64 vcc, exec, s[0:1]
	s_cbranch_vccnz .LBB1360_24
; %bb.19:
	s_cmp_ge_u32 s12, s19
	v_mov_b32_e32 v6, s18
	s_cbranch_scc1 .LBB1360_23
; %bb.20:
	s_mov_b64 s[0:1], 0
	v_mov_b32_e32 v7, s19
	v_mov_b32_e32 v6, s18
	v_mov_b32_e32 v1, 0
.LBB1360_21:                            ; =>This Inner Loop Header: Depth=1
	v_add_u32_e32 v0, v6, v7
	v_lshrrev_b32_e32 v0, 1, v0
	v_lshl_add_u64 v[8:9], v[0:1], 2, s[8:9]
	global_load_dword v8, v[8:9], off
	v_add_u32_e32 v9, 1, v0
	s_waitcnt vmcnt(0)
	v_and_b32_e32 v8, s13, v8
	v_cmp_gt_i32_e32 vcc, v5, v8
	s_nop 1
	v_cndmask_b32_e64 v10, 0, 1, vcc
	v_cmp_le_i32_e32 vcc, v8, v5
	s_nop 1
	v_cndmask_b32_e64 v8, 0, 1, vcc
	v_cndmask_b32_e64 v8, v8, v10, s[4:5]
	v_and_b32_e32 v8, 1, v8
	v_cmp_eq_u32_e32 vcc, 1, v8
	s_nop 1
	v_cndmask_b32_e32 v7, v0, v7, vcc
	v_cndmask_b32_e32 v6, v6, v9, vcc
	v_cmp_ge_u32_e32 vcc, v6, v7
	s_or_b64 s[0:1], vcc, s[0:1]
	s_andn2_b64 exec, exec, s[0:1]
	s_cbranch_execnz .LBB1360_21
; %bb.22:
	s_or_b64 exec, exec, s[0:1]
.LBB1360_23:
	v_add_u32_e32 v0, v6, v4
	v_mov_b32_e32 v1, 0
	v_lshlrev_b64 v[0:1], 2, v[0:1]
	v_lshl_add_u64 v[4:5], s[10:11], 0, v[0:1]
	v_lshl_add_u64 v[0:1], s[14:15], 0, v[0:1]
	global_store_dword v[4:5], v3, off
	global_store_dword v[0:1], v2, off
.LBB1360_24:
	s_endpgm
	.section	.rodata,"a",@progbits
	.p2align	6, 0x0
	.amdhsa_kernel _ZN7rocprim17ROCPRIM_400000_NS6detail17trampoline_kernelINS0_14default_configENS1_38merge_sort_block_merge_config_selectorIiiEEZZNS1_27merge_sort_block_merge_implIS3_N6thrust23THRUST_200600_302600_NS6detail15normal_iteratorINS8_10device_ptrIiEEEESD_jNS1_19radix_merge_compareILb0ELb1EiNS0_19identity_decomposerEEEEE10hipError_tT0_T1_T2_jT3_P12ihipStream_tbPNSt15iterator_traitsISI_E10value_typeEPNSO_ISJ_E10value_typeEPSK_NS1_7vsmem_tEENKUlT_SI_SJ_SK_E_clIPiSD_S10_SD_EESH_SX_SI_SJ_SK_EUlSX_E1_NS1_11comp_targetILNS1_3genE0ELNS1_11target_archE4294967295ELNS1_3gpuE0ELNS1_3repE0EEENS1_36merge_oddeven_config_static_selectorELNS0_4arch9wavefront6targetE1EEEvSJ_
		.amdhsa_group_segment_fixed_size 0
		.amdhsa_private_segment_fixed_size 0
		.amdhsa_kernarg_size 48
		.amdhsa_user_sgpr_count 2
		.amdhsa_user_sgpr_dispatch_ptr 0
		.amdhsa_user_sgpr_queue_ptr 0
		.amdhsa_user_sgpr_kernarg_segment_ptr 1
		.amdhsa_user_sgpr_dispatch_id 0
		.amdhsa_user_sgpr_kernarg_preload_length 0
		.amdhsa_user_sgpr_kernarg_preload_offset 0
		.amdhsa_user_sgpr_private_segment_size 0
		.amdhsa_uses_dynamic_stack 0
		.amdhsa_enable_private_segment 0
		.amdhsa_system_sgpr_workgroup_id_x 1
		.amdhsa_system_sgpr_workgroup_id_y 0
		.amdhsa_system_sgpr_workgroup_id_z 0
		.amdhsa_system_sgpr_workgroup_info 0
		.amdhsa_system_vgpr_workitem_id 0
		.amdhsa_next_free_vgpr 11
		.amdhsa_next_free_sgpr 24
		.amdhsa_accum_offset 12
		.amdhsa_reserve_vcc 1
		.amdhsa_float_round_mode_32 0
		.amdhsa_float_round_mode_16_64 0
		.amdhsa_float_denorm_mode_32 3
		.amdhsa_float_denorm_mode_16_64 3
		.amdhsa_dx10_clamp 1
		.amdhsa_ieee_mode 1
		.amdhsa_fp16_overflow 0
		.amdhsa_tg_split 0
		.amdhsa_exception_fp_ieee_invalid_op 0
		.amdhsa_exception_fp_denorm_src 0
		.amdhsa_exception_fp_ieee_div_zero 0
		.amdhsa_exception_fp_ieee_overflow 0
		.amdhsa_exception_fp_ieee_underflow 0
		.amdhsa_exception_fp_ieee_inexact 0
		.amdhsa_exception_int_div_zero 0
	.end_amdhsa_kernel
	.section	.text._ZN7rocprim17ROCPRIM_400000_NS6detail17trampoline_kernelINS0_14default_configENS1_38merge_sort_block_merge_config_selectorIiiEEZZNS1_27merge_sort_block_merge_implIS3_N6thrust23THRUST_200600_302600_NS6detail15normal_iteratorINS8_10device_ptrIiEEEESD_jNS1_19radix_merge_compareILb0ELb1EiNS0_19identity_decomposerEEEEE10hipError_tT0_T1_T2_jT3_P12ihipStream_tbPNSt15iterator_traitsISI_E10value_typeEPNSO_ISJ_E10value_typeEPSK_NS1_7vsmem_tEENKUlT_SI_SJ_SK_E_clIPiSD_S10_SD_EESH_SX_SI_SJ_SK_EUlSX_E1_NS1_11comp_targetILNS1_3genE0ELNS1_11target_archE4294967295ELNS1_3gpuE0ELNS1_3repE0EEENS1_36merge_oddeven_config_static_selectorELNS0_4arch9wavefront6targetE1EEEvSJ_,"axG",@progbits,_ZN7rocprim17ROCPRIM_400000_NS6detail17trampoline_kernelINS0_14default_configENS1_38merge_sort_block_merge_config_selectorIiiEEZZNS1_27merge_sort_block_merge_implIS3_N6thrust23THRUST_200600_302600_NS6detail15normal_iteratorINS8_10device_ptrIiEEEESD_jNS1_19radix_merge_compareILb0ELb1EiNS0_19identity_decomposerEEEEE10hipError_tT0_T1_T2_jT3_P12ihipStream_tbPNSt15iterator_traitsISI_E10value_typeEPNSO_ISJ_E10value_typeEPSK_NS1_7vsmem_tEENKUlT_SI_SJ_SK_E_clIPiSD_S10_SD_EESH_SX_SI_SJ_SK_EUlSX_E1_NS1_11comp_targetILNS1_3genE0ELNS1_11target_archE4294967295ELNS1_3gpuE0ELNS1_3repE0EEENS1_36merge_oddeven_config_static_selectorELNS0_4arch9wavefront6targetE1EEEvSJ_,comdat
.Lfunc_end1360:
	.size	_ZN7rocprim17ROCPRIM_400000_NS6detail17trampoline_kernelINS0_14default_configENS1_38merge_sort_block_merge_config_selectorIiiEEZZNS1_27merge_sort_block_merge_implIS3_N6thrust23THRUST_200600_302600_NS6detail15normal_iteratorINS8_10device_ptrIiEEEESD_jNS1_19radix_merge_compareILb0ELb1EiNS0_19identity_decomposerEEEEE10hipError_tT0_T1_T2_jT3_P12ihipStream_tbPNSt15iterator_traitsISI_E10value_typeEPNSO_ISJ_E10value_typeEPSK_NS1_7vsmem_tEENKUlT_SI_SJ_SK_E_clIPiSD_S10_SD_EESH_SX_SI_SJ_SK_EUlSX_E1_NS1_11comp_targetILNS1_3genE0ELNS1_11target_archE4294967295ELNS1_3gpuE0ELNS1_3repE0EEENS1_36merge_oddeven_config_static_selectorELNS0_4arch9wavefront6targetE1EEEvSJ_, .Lfunc_end1360-_ZN7rocprim17ROCPRIM_400000_NS6detail17trampoline_kernelINS0_14default_configENS1_38merge_sort_block_merge_config_selectorIiiEEZZNS1_27merge_sort_block_merge_implIS3_N6thrust23THRUST_200600_302600_NS6detail15normal_iteratorINS8_10device_ptrIiEEEESD_jNS1_19radix_merge_compareILb0ELb1EiNS0_19identity_decomposerEEEEE10hipError_tT0_T1_T2_jT3_P12ihipStream_tbPNSt15iterator_traitsISI_E10value_typeEPNSO_ISJ_E10value_typeEPSK_NS1_7vsmem_tEENKUlT_SI_SJ_SK_E_clIPiSD_S10_SD_EESH_SX_SI_SJ_SK_EUlSX_E1_NS1_11comp_targetILNS1_3genE0ELNS1_11target_archE4294967295ELNS1_3gpuE0ELNS1_3repE0EEENS1_36merge_oddeven_config_static_selectorELNS0_4arch9wavefront6targetE1EEEvSJ_
                                        ; -- End function
	.set _ZN7rocprim17ROCPRIM_400000_NS6detail17trampoline_kernelINS0_14default_configENS1_38merge_sort_block_merge_config_selectorIiiEEZZNS1_27merge_sort_block_merge_implIS3_N6thrust23THRUST_200600_302600_NS6detail15normal_iteratorINS8_10device_ptrIiEEEESD_jNS1_19radix_merge_compareILb0ELb1EiNS0_19identity_decomposerEEEEE10hipError_tT0_T1_T2_jT3_P12ihipStream_tbPNSt15iterator_traitsISI_E10value_typeEPNSO_ISJ_E10value_typeEPSK_NS1_7vsmem_tEENKUlT_SI_SJ_SK_E_clIPiSD_S10_SD_EESH_SX_SI_SJ_SK_EUlSX_E1_NS1_11comp_targetILNS1_3genE0ELNS1_11target_archE4294967295ELNS1_3gpuE0ELNS1_3repE0EEENS1_36merge_oddeven_config_static_selectorELNS0_4arch9wavefront6targetE1EEEvSJ_.num_vgpr, 11
	.set _ZN7rocprim17ROCPRIM_400000_NS6detail17trampoline_kernelINS0_14default_configENS1_38merge_sort_block_merge_config_selectorIiiEEZZNS1_27merge_sort_block_merge_implIS3_N6thrust23THRUST_200600_302600_NS6detail15normal_iteratorINS8_10device_ptrIiEEEESD_jNS1_19radix_merge_compareILb0ELb1EiNS0_19identity_decomposerEEEEE10hipError_tT0_T1_T2_jT3_P12ihipStream_tbPNSt15iterator_traitsISI_E10value_typeEPNSO_ISJ_E10value_typeEPSK_NS1_7vsmem_tEENKUlT_SI_SJ_SK_E_clIPiSD_S10_SD_EESH_SX_SI_SJ_SK_EUlSX_E1_NS1_11comp_targetILNS1_3genE0ELNS1_11target_archE4294967295ELNS1_3gpuE0ELNS1_3repE0EEENS1_36merge_oddeven_config_static_selectorELNS0_4arch9wavefront6targetE1EEEvSJ_.num_agpr, 0
	.set _ZN7rocprim17ROCPRIM_400000_NS6detail17trampoline_kernelINS0_14default_configENS1_38merge_sort_block_merge_config_selectorIiiEEZZNS1_27merge_sort_block_merge_implIS3_N6thrust23THRUST_200600_302600_NS6detail15normal_iteratorINS8_10device_ptrIiEEEESD_jNS1_19radix_merge_compareILb0ELb1EiNS0_19identity_decomposerEEEEE10hipError_tT0_T1_T2_jT3_P12ihipStream_tbPNSt15iterator_traitsISI_E10value_typeEPNSO_ISJ_E10value_typeEPSK_NS1_7vsmem_tEENKUlT_SI_SJ_SK_E_clIPiSD_S10_SD_EESH_SX_SI_SJ_SK_EUlSX_E1_NS1_11comp_targetILNS1_3genE0ELNS1_11target_archE4294967295ELNS1_3gpuE0ELNS1_3repE0EEENS1_36merge_oddeven_config_static_selectorELNS0_4arch9wavefront6targetE1EEEvSJ_.numbered_sgpr, 24
	.set _ZN7rocprim17ROCPRIM_400000_NS6detail17trampoline_kernelINS0_14default_configENS1_38merge_sort_block_merge_config_selectorIiiEEZZNS1_27merge_sort_block_merge_implIS3_N6thrust23THRUST_200600_302600_NS6detail15normal_iteratorINS8_10device_ptrIiEEEESD_jNS1_19radix_merge_compareILb0ELb1EiNS0_19identity_decomposerEEEEE10hipError_tT0_T1_T2_jT3_P12ihipStream_tbPNSt15iterator_traitsISI_E10value_typeEPNSO_ISJ_E10value_typeEPSK_NS1_7vsmem_tEENKUlT_SI_SJ_SK_E_clIPiSD_S10_SD_EESH_SX_SI_SJ_SK_EUlSX_E1_NS1_11comp_targetILNS1_3genE0ELNS1_11target_archE4294967295ELNS1_3gpuE0ELNS1_3repE0EEENS1_36merge_oddeven_config_static_selectorELNS0_4arch9wavefront6targetE1EEEvSJ_.num_named_barrier, 0
	.set _ZN7rocprim17ROCPRIM_400000_NS6detail17trampoline_kernelINS0_14default_configENS1_38merge_sort_block_merge_config_selectorIiiEEZZNS1_27merge_sort_block_merge_implIS3_N6thrust23THRUST_200600_302600_NS6detail15normal_iteratorINS8_10device_ptrIiEEEESD_jNS1_19radix_merge_compareILb0ELb1EiNS0_19identity_decomposerEEEEE10hipError_tT0_T1_T2_jT3_P12ihipStream_tbPNSt15iterator_traitsISI_E10value_typeEPNSO_ISJ_E10value_typeEPSK_NS1_7vsmem_tEENKUlT_SI_SJ_SK_E_clIPiSD_S10_SD_EESH_SX_SI_SJ_SK_EUlSX_E1_NS1_11comp_targetILNS1_3genE0ELNS1_11target_archE4294967295ELNS1_3gpuE0ELNS1_3repE0EEENS1_36merge_oddeven_config_static_selectorELNS0_4arch9wavefront6targetE1EEEvSJ_.private_seg_size, 0
	.set _ZN7rocprim17ROCPRIM_400000_NS6detail17trampoline_kernelINS0_14default_configENS1_38merge_sort_block_merge_config_selectorIiiEEZZNS1_27merge_sort_block_merge_implIS3_N6thrust23THRUST_200600_302600_NS6detail15normal_iteratorINS8_10device_ptrIiEEEESD_jNS1_19radix_merge_compareILb0ELb1EiNS0_19identity_decomposerEEEEE10hipError_tT0_T1_T2_jT3_P12ihipStream_tbPNSt15iterator_traitsISI_E10value_typeEPNSO_ISJ_E10value_typeEPSK_NS1_7vsmem_tEENKUlT_SI_SJ_SK_E_clIPiSD_S10_SD_EESH_SX_SI_SJ_SK_EUlSX_E1_NS1_11comp_targetILNS1_3genE0ELNS1_11target_archE4294967295ELNS1_3gpuE0ELNS1_3repE0EEENS1_36merge_oddeven_config_static_selectorELNS0_4arch9wavefront6targetE1EEEvSJ_.uses_vcc, 1
	.set _ZN7rocprim17ROCPRIM_400000_NS6detail17trampoline_kernelINS0_14default_configENS1_38merge_sort_block_merge_config_selectorIiiEEZZNS1_27merge_sort_block_merge_implIS3_N6thrust23THRUST_200600_302600_NS6detail15normal_iteratorINS8_10device_ptrIiEEEESD_jNS1_19radix_merge_compareILb0ELb1EiNS0_19identity_decomposerEEEEE10hipError_tT0_T1_T2_jT3_P12ihipStream_tbPNSt15iterator_traitsISI_E10value_typeEPNSO_ISJ_E10value_typeEPSK_NS1_7vsmem_tEENKUlT_SI_SJ_SK_E_clIPiSD_S10_SD_EESH_SX_SI_SJ_SK_EUlSX_E1_NS1_11comp_targetILNS1_3genE0ELNS1_11target_archE4294967295ELNS1_3gpuE0ELNS1_3repE0EEENS1_36merge_oddeven_config_static_selectorELNS0_4arch9wavefront6targetE1EEEvSJ_.uses_flat_scratch, 0
	.set _ZN7rocprim17ROCPRIM_400000_NS6detail17trampoline_kernelINS0_14default_configENS1_38merge_sort_block_merge_config_selectorIiiEEZZNS1_27merge_sort_block_merge_implIS3_N6thrust23THRUST_200600_302600_NS6detail15normal_iteratorINS8_10device_ptrIiEEEESD_jNS1_19radix_merge_compareILb0ELb1EiNS0_19identity_decomposerEEEEE10hipError_tT0_T1_T2_jT3_P12ihipStream_tbPNSt15iterator_traitsISI_E10value_typeEPNSO_ISJ_E10value_typeEPSK_NS1_7vsmem_tEENKUlT_SI_SJ_SK_E_clIPiSD_S10_SD_EESH_SX_SI_SJ_SK_EUlSX_E1_NS1_11comp_targetILNS1_3genE0ELNS1_11target_archE4294967295ELNS1_3gpuE0ELNS1_3repE0EEENS1_36merge_oddeven_config_static_selectorELNS0_4arch9wavefront6targetE1EEEvSJ_.has_dyn_sized_stack, 0
	.set _ZN7rocprim17ROCPRIM_400000_NS6detail17trampoline_kernelINS0_14default_configENS1_38merge_sort_block_merge_config_selectorIiiEEZZNS1_27merge_sort_block_merge_implIS3_N6thrust23THRUST_200600_302600_NS6detail15normal_iteratorINS8_10device_ptrIiEEEESD_jNS1_19radix_merge_compareILb0ELb1EiNS0_19identity_decomposerEEEEE10hipError_tT0_T1_T2_jT3_P12ihipStream_tbPNSt15iterator_traitsISI_E10value_typeEPNSO_ISJ_E10value_typeEPSK_NS1_7vsmem_tEENKUlT_SI_SJ_SK_E_clIPiSD_S10_SD_EESH_SX_SI_SJ_SK_EUlSX_E1_NS1_11comp_targetILNS1_3genE0ELNS1_11target_archE4294967295ELNS1_3gpuE0ELNS1_3repE0EEENS1_36merge_oddeven_config_static_selectorELNS0_4arch9wavefront6targetE1EEEvSJ_.has_recursion, 0
	.set _ZN7rocprim17ROCPRIM_400000_NS6detail17trampoline_kernelINS0_14default_configENS1_38merge_sort_block_merge_config_selectorIiiEEZZNS1_27merge_sort_block_merge_implIS3_N6thrust23THRUST_200600_302600_NS6detail15normal_iteratorINS8_10device_ptrIiEEEESD_jNS1_19radix_merge_compareILb0ELb1EiNS0_19identity_decomposerEEEEE10hipError_tT0_T1_T2_jT3_P12ihipStream_tbPNSt15iterator_traitsISI_E10value_typeEPNSO_ISJ_E10value_typeEPSK_NS1_7vsmem_tEENKUlT_SI_SJ_SK_E_clIPiSD_S10_SD_EESH_SX_SI_SJ_SK_EUlSX_E1_NS1_11comp_targetILNS1_3genE0ELNS1_11target_archE4294967295ELNS1_3gpuE0ELNS1_3repE0EEENS1_36merge_oddeven_config_static_selectorELNS0_4arch9wavefront6targetE1EEEvSJ_.has_indirect_call, 0
	.section	.AMDGPU.csdata,"",@progbits
; Kernel info:
; codeLenInByte = 796
; TotalNumSgprs: 30
; NumVgprs: 11
; NumAgprs: 0
; TotalNumVgprs: 11
; ScratchSize: 0
; MemoryBound: 0
; FloatMode: 240
; IeeeMode: 1
; LDSByteSize: 0 bytes/workgroup (compile time only)
; SGPRBlocks: 3
; VGPRBlocks: 1
; NumSGPRsForWavesPerEU: 30
; NumVGPRsForWavesPerEU: 11
; AccumOffset: 12
; Occupancy: 8
; WaveLimiterHint : 0
; COMPUTE_PGM_RSRC2:SCRATCH_EN: 0
; COMPUTE_PGM_RSRC2:USER_SGPR: 2
; COMPUTE_PGM_RSRC2:TRAP_HANDLER: 0
; COMPUTE_PGM_RSRC2:TGID_X_EN: 1
; COMPUTE_PGM_RSRC2:TGID_Y_EN: 0
; COMPUTE_PGM_RSRC2:TGID_Z_EN: 0
; COMPUTE_PGM_RSRC2:TIDIG_COMP_CNT: 0
; COMPUTE_PGM_RSRC3_GFX90A:ACCUM_OFFSET: 2
; COMPUTE_PGM_RSRC3_GFX90A:TG_SPLIT: 0
	.section	.text._ZN7rocprim17ROCPRIM_400000_NS6detail17trampoline_kernelINS0_14default_configENS1_38merge_sort_block_merge_config_selectorIiiEEZZNS1_27merge_sort_block_merge_implIS3_N6thrust23THRUST_200600_302600_NS6detail15normal_iteratorINS8_10device_ptrIiEEEESD_jNS1_19radix_merge_compareILb0ELb1EiNS0_19identity_decomposerEEEEE10hipError_tT0_T1_T2_jT3_P12ihipStream_tbPNSt15iterator_traitsISI_E10value_typeEPNSO_ISJ_E10value_typeEPSK_NS1_7vsmem_tEENKUlT_SI_SJ_SK_E_clIPiSD_S10_SD_EESH_SX_SI_SJ_SK_EUlSX_E1_NS1_11comp_targetILNS1_3genE10ELNS1_11target_archE1201ELNS1_3gpuE5ELNS1_3repE0EEENS1_36merge_oddeven_config_static_selectorELNS0_4arch9wavefront6targetE1EEEvSJ_,"axG",@progbits,_ZN7rocprim17ROCPRIM_400000_NS6detail17trampoline_kernelINS0_14default_configENS1_38merge_sort_block_merge_config_selectorIiiEEZZNS1_27merge_sort_block_merge_implIS3_N6thrust23THRUST_200600_302600_NS6detail15normal_iteratorINS8_10device_ptrIiEEEESD_jNS1_19radix_merge_compareILb0ELb1EiNS0_19identity_decomposerEEEEE10hipError_tT0_T1_T2_jT3_P12ihipStream_tbPNSt15iterator_traitsISI_E10value_typeEPNSO_ISJ_E10value_typeEPSK_NS1_7vsmem_tEENKUlT_SI_SJ_SK_E_clIPiSD_S10_SD_EESH_SX_SI_SJ_SK_EUlSX_E1_NS1_11comp_targetILNS1_3genE10ELNS1_11target_archE1201ELNS1_3gpuE5ELNS1_3repE0EEENS1_36merge_oddeven_config_static_selectorELNS0_4arch9wavefront6targetE1EEEvSJ_,comdat
	.protected	_ZN7rocprim17ROCPRIM_400000_NS6detail17trampoline_kernelINS0_14default_configENS1_38merge_sort_block_merge_config_selectorIiiEEZZNS1_27merge_sort_block_merge_implIS3_N6thrust23THRUST_200600_302600_NS6detail15normal_iteratorINS8_10device_ptrIiEEEESD_jNS1_19radix_merge_compareILb0ELb1EiNS0_19identity_decomposerEEEEE10hipError_tT0_T1_T2_jT3_P12ihipStream_tbPNSt15iterator_traitsISI_E10value_typeEPNSO_ISJ_E10value_typeEPSK_NS1_7vsmem_tEENKUlT_SI_SJ_SK_E_clIPiSD_S10_SD_EESH_SX_SI_SJ_SK_EUlSX_E1_NS1_11comp_targetILNS1_3genE10ELNS1_11target_archE1201ELNS1_3gpuE5ELNS1_3repE0EEENS1_36merge_oddeven_config_static_selectorELNS0_4arch9wavefront6targetE1EEEvSJ_ ; -- Begin function _ZN7rocprim17ROCPRIM_400000_NS6detail17trampoline_kernelINS0_14default_configENS1_38merge_sort_block_merge_config_selectorIiiEEZZNS1_27merge_sort_block_merge_implIS3_N6thrust23THRUST_200600_302600_NS6detail15normal_iteratorINS8_10device_ptrIiEEEESD_jNS1_19radix_merge_compareILb0ELb1EiNS0_19identity_decomposerEEEEE10hipError_tT0_T1_T2_jT3_P12ihipStream_tbPNSt15iterator_traitsISI_E10value_typeEPNSO_ISJ_E10value_typeEPSK_NS1_7vsmem_tEENKUlT_SI_SJ_SK_E_clIPiSD_S10_SD_EESH_SX_SI_SJ_SK_EUlSX_E1_NS1_11comp_targetILNS1_3genE10ELNS1_11target_archE1201ELNS1_3gpuE5ELNS1_3repE0EEENS1_36merge_oddeven_config_static_selectorELNS0_4arch9wavefront6targetE1EEEvSJ_
	.globl	_ZN7rocprim17ROCPRIM_400000_NS6detail17trampoline_kernelINS0_14default_configENS1_38merge_sort_block_merge_config_selectorIiiEEZZNS1_27merge_sort_block_merge_implIS3_N6thrust23THRUST_200600_302600_NS6detail15normal_iteratorINS8_10device_ptrIiEEEESD_jNS1_19radix_merge_compareILb0ELb1EiNS0_19identity_decomposerEEEEE10hipError_tT0_T1_T2_jT3_P12ihipStream_tbPNSt15iterator_traitsISI_E10value_typeEPNSO_ISJ_E10value_typeEPSK_NS1_7vsmem_tEENKUlT_SI_SJ_SK_E_clIPiSD_S10_SD_EESH_SX_SI_SJ_SK_EUlSX_E1_NS1_11comp_targetILNS1_3genE10ELNS1_11target_archE1201ELNS1_3gpuE5ELNS1_3repE0EEENS1_36merge_oddeven_config_static_selectorELNS0_4arch9wavefront6targetE1EEEvSJ_
	.p2align	8
	.type	_ZN7rocprim17ROCPRIM_400000_NS6detail17trampoline_kernelINS0_14default_configENS1_38merge_sort_block_merge_config_selectorIiiEEZZNS1_27merge_sort_block_merge_implIS3_N6thrust23THRUST_200600_302600_NS6detail15normal_iteratorINS8_10device_ptrIiEEEESD_jNS1_19radix_merge_compareILb0ELb1EiNS0_19identity_decomposerEEEEE10hipError_tT0_T1_T2_jT3_P12ihipStream_tbPNSt15iterator_traitsISI_E10value_typeEPNSO_ISJ_E10value_typeEPSK_NS1_7vsmem_tEENKUlT_SI_SJ_SK_E_clIPiSD_S10_SD_EESH_SX_SI_SJ_SK_EUlSX_E1_NS1_11comp_targetILNS1_3genE10ELNS1_11target_archE1201ELNS1_3gpuE5ELNS1_3repE0EEENS1_36merge_oddeven_config_static_selectorELNS0_4arch9wavefront6targetE1EEEvSJ_,@function
_ZN7rocprim17ROCPRIM_400000_NS6detail17trampoline_kernelINS0_14default_configENS1_38merge_sort_block_merge_config_selectorIiiEEZZNS1_27merge_sort_block_merge_implIS3_N6thrust23THRUST_200600_302600_NS6detail15normal_iteratorINS8_10device_ptrIiEEEESD_jNS1_19radix_merge_compareILb0ELb1EiNS0_19identity_decomposerEEEEE10hipError_tT0_T1_T2_jT3_P12ihipStream_tbPNSt15iterator_traitsISI_E10value_typeEPNSO_ISJ_E10value_typeEPSK_NS1_7vsmem_tEENKUlT_SI_SJ_SK_E_clIPiSD_S10_SD_EESH_SX_SI_SJ_SK_EUlSX_E1_NS1_11comp_targetILNS1_3genE10ELNS1_11target_archE1201ELNS1_3gpuE5ELNS1_3repE0EEENS1_36merge_oddeven_config_static_selectorELNS0_4arch9wavefront6targetE1EEEvSJ_: ; @_ZN7rocprim17ROCPRIM_400000_NS6detail17trampoline_kernelINS0_14default_configENS1_38merge_sort_block_merge_config_selectorIiiEEZZNS1_27merge_sort_block_merge_implIS3_N6thrust23THRUST_200600_302600_NS6detail15normal_iteratorINS8_10device_ptrIiEEEESD_jNS1_19radix_merge_compareILb0ELb1EiNS0_19identity_decomposerEEEEE10hipError_tT0_T1_T2_jT3_P12ihipStream_tbPNSt15iterator_traitsISI_E10value_typeEPNSO_ISJ_E10value_typeEPSK_NS1_7vsmem_tEENKUlT_SI_SJ_SK_E_clIPiSD_S10_SD_EESH_SX_SI_SJ_SK_EUlSX_E1_NS1_11comp_targetILNS1_3genE10ELNS1_11target_archE1201ELNS1_3gpuE5ELNS1_3repE0EEENS1_36merge_oddeven_config_static_selectorELNS0_4arch9wavefront6targetE1EEEvSJ_
; %bb.0:
	.section	.rodata,"a",@progbits
	.p2align	6, 0x0
	.amdhsa_kernel _ZN7rocprim17ROCPRIM_400000_NS6detail17trampoline_kernelINS0_14default_configENS1_38merge_sort_block_merge_config_selectorIiiEEZZNS1_27merge_sort_block_merge_implIS3_N6thrust23THRUST_200600_302600_NS6detail15normal_iteratorINS8_10device_ptrIiEEEESD_jNS1_19radix_merge_compareILb0ELb1EiNS0_19identity_decomposerEEEEE10hipError_tT0_T1_T2_jT3_P12ihipStream_tbPNSt15iterator_traitsISI_E10value_typeEPNSO_ISJ_E10value_typeEPSK_NS1_7vsmem_tEENKUlT_SI_SJ_SK_E_clIPiSD_S10_SD_EESH_SX_SI_SJ_SK_EUlSX_E1_NS1_11comp_targetILNS1_3genE10ELNS1_11target_archE1201ELNS1_3gpuE5ELNS1_3repE0EEENS1_36merge_oddeven_config_static_selectorELNS0_4arch9wavefront6targetE1EEEvSJ_
		.amdhsa_group_segment_fixed_size 0
		.amdhsa_private_segment_fixed_size 0
		.amdhsa_kernarg_size 48
		.amdhsa_user_sgpr_count 2
		.amdhsa_user_sgpr_dispatch_ptr 0
		.amdhsa_user_sgpr_queue_ptr 0
		.amdhsa_user_sgpr_kernarg_segment_ptr 1
		.amdhsa_user_sgpr_dispatch_id 0
		.amdhsa_user_sgpr_kernarg_preload_length 0
		.amdhsa_user_sgpr_kernarg_preload_offset 0
		.amdhsa_user_sgpr_private_segment_size 0
		.amdhsa_uses_dynamic_stack 0
		.amdhsa_enable_private_segment 0
		.amdhsa_system_sgpr_workgroup_id_x 1
		.amdhsa_system_sgpr_workgroup_id_y 0
		.amdhsa_system_sgpr_workgroup_id_z 0
		.amdhsa_system_sgpr_workgroup_info 0
		.amdhsa_system_vgpr_workitem_id 0
		.amdhsa_next_free_vgpr 1
		.amdhsa_next_free_sgpr 0
		.amdhsa_accum_offset 4
		.amdhsa_reserve_vcc 0
		.amdhsa_float_round_mode_32 0
		.amdhsa_float_round_mode_16_64 0
		.amdhsa_float_denorm_mode_32 3
		.amdhsa_float_denorm_mode_16_64 3
		.amdhsa_dx10_clamp 1
		.amdhsa_ieee_mode 1
		.amdhsa_fp16_overflow 0
		.amdhsa_tg_split 0
		.amdhsa_exception_fp_ieee_invalid_op 0
		.amdhsa_exception_fp_denorm_src 0
		.amdhsa_exception_fp_ieee_div_zero 0
		.amdhsa_exception_fp_ieee_overflow 0
		.amdhsa_exception_fp_ieee_underflow 0
		.amdhsa_exception_fp_ieee_inexact 0
		.amdhsa_exception_int_div_zero 0
	.end_amdhsa_kernel
	.section	.text._ZN7rocprim17ROCPRIM_400000_NS6detail17trampoline_kernelINS0_14default_configENS1_38merge_sort_block_merge_config_selectorIiiEEZZNS1_27merge_sort_block_merge_implIS3_N6thrust23THRUST_200600_302600_NS6detail15normal_iteratorINS8_10device_ptrIiEEEESD_jNS1_19radix_merge_compareILb0ELb1EiNS0_19identity_decomposerEEEEE10hipError_tT0_T1_T2_jT3_P12ihipStream_tbPNSt15iterator_traitsISI_E10value_typeEPNSO_ISJ_E10value_typeEPSK_NS1_7vsmem_tEENKUlT_SI_SJ_SK_E_clIPiSD_S10_SD_EESH_SX_SI_SJ_SK_EUlSX_E1_NS1_11comp_targetILNS1_3genE10ELNS1_11target_archE1201ELNS1_3gpuE5ELNS1_3repE0EEENS1_36merge_oddeven_config_static_selectorELNS0_4arch9wavefront6targetE1EEEvSJ_,"axG",@progbits,_ZN7rocprim17ROCPRIM_400000_NS6detail17trampoline_kernelINS0_14default_configENS1_38merge_sort_block_merge_config_selectorIiiEEZZNS1_27merge_sort_block_merge_implIS3_N6thrust23THRUST_200600_302600_NS6detail15normal_iteratorINS8_10device_ptrIiEEEESD_jNS1_19radix_merge_compareILb0ELb1EiNS0_19identity_decomposerEEEEE10hipError_tT0_T1_T2_jT3_P12ihipStream_tbPNSt15iterator_traitsISI_E10value_typeEPNSO_ISJ_E10value_typeEPSK_NS1_7vsmem_tEENKUlT_SI_SJ_SK_E_clIPiSD_S10_SD_EESH_SX_SI_SJ_SK_EUlSX_E1_NS1_11comp_targetILNS1_3genE10ELNS1_11target_archE1201ELNS1_3gpuE5ELNS1_3repE0EEENS1_36merge_oddeven_config_static_selectorELNS0_4arch9wavefront6targetE1EEEvSJ_,comdat
.Lfunc_end1361:
	.size	_ZN7rocprim17ROCPRIM_400000_NS6detail17trampoline_kernelINS0_14default_configENS1_38merge_sort_block_merge_config_selectorIiiEEZZNS1_27merge_sort_block_merge_implIS3_N6thrust23THRUST_200600_302600_NS6detail15normal_iteratorINS8_10device_ptrIiEEEESD_jNS1_19radix_merge_compareILb0ELb1EiNS0_19identity_decomposerEEEEE10hipError_tT0_T1_T2_jT3_P12ihipStream_tbPNSt15iterator_traitsISI_E10value_typeEPNSO_ISJ_E10value_typeEPSK_NS1_7vsmem_tEENKUlT_SI_SJ_SK_E_clIPiSD_S10_SD_EESH_SX_SI_SJ_SK_EUlSX_E1_NS1_11comp_targetILNS1_3genE10ELNS1_11target_archE1201ELNS1_3gpuE5ELNS1_3repE0EEENS1_36merge_oddeven_config_static_selectorELNS0_4arch9wavefront6targetE1EEEvSJ_, .Lfunc_end1361-_ZN7rocprim17ROCPRIM_400000_NS6detail17trampoline_kernelINS0_14default_configENS1_38merge_sort_block_merge_config_selectorIiiEEZZNS1_27merge_sort_block_merge_implIS3_N6thrust23THRUST_200600_302600_NS6detail15normal_iteratorINS8_10device_ptrIiEEEESD_jNS1_19radix_merge_compareILb0ELb1EiNS0_19identity_decomposerEEEEE10hipError_tT0_T1_T2_jT3_P12ihipStream_tbPNSt15iterator_traitsISI_E10value_typeEPNSO_ISJ_E10value_typeEPSK_NS1_7vsmem_tEENKUlT_SI_SJ_SK_E_clIPiSD_S10_SD_EESH_SX_SI_SJ_SK_EUlSX_E1_NS1_11comp_targetILNS1_3genE10ELNS1_11target_archE1201ELNS1_3gpuE5ELNS1_3repE0EEENS1_36merge_oddeven_config_static_selectorELNS0_4arch9wavefront6targetE1EEEvSJ_
                                        ; -- End function
	.set _ZN7rocprim17ROCPRIM_400000_NS6detail17trampoline_kernelINS0_14default_configENS1_38merge_sort_block_merge_config_selectorIiiEEZZNS1_27merge_sort_block_merge_implIS3_N6thrust23THRUST_200600_302600_NS6detail15normal_iteratorINS8_10device_ptrIiEEEESD_jNS1_19radix_merge_compareILb0ELb1EiNS0_19identity_decomposerEEEEE10hipError_tT0_T1_T2_jT3_P12ihipStream_tbPNSt15iterator_traitsISI_E10value_typeEPNSO_ISJ_E10value_typeEPSK_NS1_7vsmem_tEENKUlT_SI_SJ_SK_E_clIPiSD_S10_SD_EESH_SX_SI_SJ_SK_EUlSX_E1_NS1_11comp_targetILNS1_3genE10ELNS1_11target_archE1201ELNS1_3gpuE5ELNS1_3repE0EEENS1_36merge_oddeven_config_static_selectorELNS0_4arch9wavefront6targetE1EEEvSJ_.num_vgpr, 0
	.set _ZN7rocprim17ROCPRIM_400000_NS6detail17trampoline_kernelINS0_14default_configENS1_38merge_sort_block_merge_config_selectorIiiEEZZNS1_27merge_sort_block_merge_implIS3_N6thrust23THRUST_200600_302600_NS6detail15normal_iteratorINS8_10device_ptrIiEEEESD_jNS1_19radix_merge_compareILb0ELb1EiNS0_19identity_decomposerEEEEE10hipError_tT0_T1_T2_jT3_P12ihipStream_tbPNSt15iterator_traitsISI_E10value_typeEPNSO_ISJ_E10value_typeEPSK_NS1_7vsmem_tEENKUlT_SI_SJ_SK_E_clIPiSD_S10_SD_EESH_SX_SI_SJ_SK_EUlSX_E1_NS1_11comp_targetILNS1_3genE10ELNS1_11target_archE1201ELNS1_3gpuE5ELNS1_3repE0EEENS1_36merge_oddeven_config_static_selectorELNS0_4arch9wavefront6targetE1EEEvSJ_.num_agpr, 0
	.set _ZN7rocprim17ROCPRIM_400000_NS6detail17trampoline_kernelINS0_14default_configENS1_38merge_sort_block_merge_config_selectorIiiEEZZNS1_27merge_sort_block_merge_implIS3_N6thrust23THRUST_200600_302600_NS6detail15normal_iteratorINS8_10device_ptrIiEEEESD_jNS1_19radix_merge_compareILb0ELb1EiNS0_19identity_decomposerEEEEE10hipError_tT0_T1_T2_jT3_P12ihipStream_tbPNSt15iterator_traitsISI_E10value_typeEPNSO_ISJ_E10value_typeEPSK_NS1_7vsmem_tEENKUlT_SI_SJ_SK_E_clIPiSD_S10_SD_EESH_SX_SI_SJ_SK_EUlSX_E1_NS1_11comp_targetILNS1_3genE10ELNS1_11target_archE1201ELNS1_3gpuE5ELNS1_3repE0EEENS1_36merge_oddeven_config_static_selectorELNS0_4arch9wavefront6targetE1EEEvSJ_.numbered_sgpr, 0
	.set _ZN7rocprim17ROCPRIM_400000_NS6detail17trampoline_kernelINS0_14default_configENS1_38merge_sort_block_merge_config_selectorIiiEEZZNS1_27merge_sort_block_merge_implIS3_N6thrust23THRUST_200600_302600_NS6detail15normal_iteratorINS8_10device_ptrIiEEEESD_jNS1_19radix_merge_compareILb0ELb1EiNS0_19identity_decomposerEEEEE10hipError_tT0_T1_T2_jT3_P12ihipStream_tbPNSt15iterator_traitsISI_E10value_typeEPNSO_ISJ_E10value_typeEPSK_NS1_7vsmem_tEENKUlT_SI_SJ_SK_E_clIPiSD_S10_SD_EESH_SX_SI_SJ_SK_EUlSX_E1_NS1_11comp_targetILNS1_3genE10ELNS1_11target_archE1201ELNS1_3gpuE5ELNS1_3repE0EEENS1_36merge_oddeven_config_static_selectorELNS0_4arch9wavefront6targetE1EEEvSJ_.num_named_barrier, 0
	.set _ZN7rocprim17ROCPRIM_400000_NS6detail17trampoline_kernelINS0_14default_configENS1_38merge_sort_block_merge_config_selectorIiiEEZZNS1_27merge_sort_block_merge_implIS3_N6thrust23THRUST_200600_302600_NS6detail15normal_iteratorINS8_10device_ptrIiEEEESD_jNS1_19radix_merge_compareILb0ELb1EiNS0_19identity_decomposerEEEEE10hipError_tT0_T1_T2_jT3_P12ihipStream_tbPNSt15iterator_traitsISI_E10value_typeEPNSO_ISJ_E10value_typeEPSK_NS1_7vsmem_tEENKUlT_SI_SJ_SK_E_clIPiSD_S10_SD_EESH_SX_SI_SJ_SK_EUlSX_E1_NS1_11comp_targetILNS1_3genE10ELNS1_11target_archE1201ELNS1_3gpuE5ELNS1_3repE0EEENS1_36merge_oddeven_config_static_selectorELNS0_4arch9wavefront6targetE1EEEvSJ_.private_seg_size, 0
	.set _ZN7rocprim17ROCPRIM_400000_NS6detail17trampoline_kernelINS0_14default_configENS1_38merge_sort_block_merge_config_selectorIiiEEZZNS1_27merge_sort_block_merge_implIS3_N6thrust23THRUST_200600_302600_NS6detail15normal_iteratorINS8_10device_ptrIiEEEESD_jNS1_19radix_merge_compareILb0ELb1EiNS0_19identity_decomposerEEEEE10hipError_tT0_T1_T2_jT3_P12ihipStream_tbPNSt15iterator_traitsISI_E10value_typeEPNSO_ISJ_E10value_typeEPSK_NS1_7vsmem_tEENKUlT_SI_SJ_SK_E_clIPiSD_S10_SD_EESH_SX_SI_SJ_SK_EUlSX_E1_NS1_11comp_targetILNS1_3genE10ELNS1_11target_archE1201ELNS1_3gpuE5ELNS1_3repE0EEENS1_36merge_oddeven_config_static_selectorELNS0_4arch9wavefront6targetE1EEEvSJ_.uses_vcc, 0
	.set _ZN7rocprim17ROCPRIM_400000_NS6detail17trampoline_kernelINS0_14default_configENS1_38merge_sort_block_merge_config_selectorIiiEEZZNS1_27merge_sort_block_merge_implIS3_N6thrust23THRUST_200600_302600_NS6detail15normal_iteratorINS8_10device_ptrIiEEEESD_jNS1_19radix_merge_compareILb0ELb1EiNS0_19identity_decomposerEEEEE10hipError_tT0_T1_T2_jT3_P12ihipStream_tbPNSt15iterator_traitsISI_E10value_typeEPNSO_ISJ_E10value_typeEPSK_NS1_7vsmem_tEENKUlT_SI_SJ_SK_E_clIPiSD_S10_SD_EESH_SX_SI_SJ_SK_EUlSX_E1_NS1_11comp_targetILNS1_3genE10ELNS1_11target_archE1201ELNS1_3gpuE5ELNS1_3repE0EEENS1_36merge_oddeven_config_static_selectorELNS0_4arch9wavefront6targetE1EEEvSJ_.uses_flat_scratch, 0
	.set _ZN7rocprim17ROCPRIM_400000_NS6detail17trampoline_kernelINS0_14default_configENS1_38merge_sort_block_merge_config_selectorIiiEEZZNS1_27merge_sort_block_merge_implIS3_N6thrust23THRUST_200600_302600_NS6detail15normal_iteratorINS8_10device_ptrIiEEEESD_jNS1_19radix_merge_compareILb0ELb1EiNS0_19identity_decomposerEEEEE10hipError_tT0_T1_T2_jT3_P12ihipStream_tbPNSt15iterator_traitsISI_E10value_typeEPNSO_ISJ_E10value_typeEPSK_NS1_7vsmem_tEENKUlT_SI_SJ_SK_E_clIPiSD_S10_SD_EESH_SX_SI_SJ_SK_EUlSX_E1_NS1_11comp_targetILNS1_3genE10ELNS1_11target_archE1201ELNS1_3gpuE5ELNS1_3repE0EEENS1_36merge_oddeven_config_static_selectorELNS0_4arch9wavefront6targetE1EEEvSJ_.has_dyn_sized_stack, 0
	.set _ZN7rocprim17ROCPRIM_400000_NS6detail17trampoline_kernelINS0_14default_configENS1_38merge_sort_block_merge_config_selectorIiiEEZZNS1_27merge_sort_block_merge_implIS3_N6thrust23THRUST_200600_302600_NS6detail15normal_iteratorINS8_10device_ptrIiEEEESD_jNS1_19radix_merge_compareILb0ELb1EiNS0_19identity_decomposerEEEEE10hipError_tT0_T1_T2_jT3_P12ihipStream_tbPNSt15iterator_traitsISI_E10value_typeEPNSO_ISJ_E10value_typeEPSK_NS1_7vsmem_tEENKUlT_SI_SJ_SK_E_clIPiSD_S10_SD_EESH_SX_SI_SJ_SK_EUlSX_E1_NS1_11comp_targetILNS1_3genE10ELNS1_11target_archE1201ELNS1_3gpuE5ELNS1_3repE0EEENS1_36merge_oddeven_config_static_selectorELNS0_4arch9wavefront6targetE1EEEvSJ_.has_recursion, 0
	.set _ZN7rocprim17ROCPRIM_400000_NS6detail17trampoline_kernelINS0_14default_configENS1_38merge_sort_block_merge_config_selectorIiiEEZZNS1_27merge_sort_block_merge_implIS3_N6thrust23THRUST_200600_302600_NS6detail15normal_iteratorINS8_10device_ptrIiEEEESD_jNS1_19radix_merge_compareILb0ELb1EiNS0_19identity_decomposerEEEEE10hipError_tT0_T1_T2_jT3_P12ihipStream_tbPNSt15iterator_traitsISI_E10value_typeEPNSO_ISJ_E10value_typeEPSK_NS1_7vsmem_tEENKUlT_SI_SJ_SK_E_clIPiSD_S10_SD_EESH_SX_SI_SJ_SK_EUlSX_E1_NS1_11comp_targetILNS1_3genE10ELNS1_11target_archE1201ELNS1_3gpuE5ELNS1_3repE0EEENS1_36merge_oddeven_config_static_selectorELNS0_4arch9wavefront6targetE1EEEvSJ_.has_indirect_call, 0
	.section	.AMDGPU.csdata,"",@progbits
; Kernel info:
; codeLenInByte = 0
; TotalNumSgprs: 6
; NumVgprs: 0
; NumAgprs: 0
; TotalNumVgprs: 0
; ScratchSize: 0
; MemoryBound: 0
; FloatMode: 240
; IeeeMode: 1
; LDSByteSize: 0 bytes/workgroup (compile time only)
; SGPRBlocks: 0
; VGPRBlocks: 0
; NumSGPRsForWavesPerEU: 6
; NumVGPRsForWavesPerEU: 1
; AccumOffset: 4
; Occupancy: 8
; WaveLimiterHint : 0
; COMPUTE_PGM_RSRC2:SCRATCH_EN: 0
; COMPUTE_PGM_RSRC2:USER_SGPR: 2
; COMPUTE_PGM_RSRC2:TRAP_HANDLER: 0
; COMPUTE_PGM_RSRC2:TGID_X_EN: 1
; COMPUTE_PGM_RSRC2:TGID_Y_EN: 0
; COMPUTE_PGM_RSRC2:TGID_Z_EN: 0
; COMPUTE_PGM_RSRC2:TIDIG_COMP_CNT: 0
; COMPUTE_PGM_RSRC3_GFX90A:ACCUM_OFFSET: 0
; COMPUTE_PGM_RSRC3_GFX90A:TG_SPLIT: 0
	.section	.text._ZN7rocprim17ROCPRIM_400000_NS6detail17trampoline_kernelINS0_14default_configENS1_38merge_sort_block_merge_config_selectorIiiEEZZNS1_27merge_sort_block_merge_implIS3_N6thrust23THRUST_200600_302600_NS6detail15normal_iteratorINS8_10device_ptrIiEEEESD_jNS1_19radix_merge_compareILb0ELb1EiNS0_19identity_decomposerEEEEE10hipError_tT0_T1_T2_jT3_P12ihipStream_tbPNSt15iterator_traitsISI_E10value_typeEPNSO_ISJ_E10value_typeEPSK_NS1_7vsmem_tEENKUlT_SI_SJ_SK_E_clIPiSD_S10_SD_EESH_SX_SI_SJ_SK_EUlSX_E1_NS1_11comp_targetILNS1_3genE5ELNS1_11target_archE942ELNS1_3gpuE9ELNS1_3repE0EEENS1_36merge_oddeven_config_static_selectorELNS0_4arch9wavefront6targetE1EEEvSJ_,"axG",@progbits,_ZN7rocprim17ROCPRIM_400000_NS6detail17trampoline_kernelINS0_14default_configENS1_38merge_sort_block_merge_config_selectorIiiEEZZNS1_27merge_sort_block_merge_implIS3_N6thrust23THRUST_200600_302600_NS6detail15normal_iteratorINS8_10device_ptrIiEEEESD_jNS1_19radix_merge_compareILb0ELb1EiNS0_19identity_decomposerEEEEE10hipError_tT0_T1_T2_jT3_P12ihipStream_tbPNSt15iterator_traitsISI_E10value_typeEPNSO_ISJ_E10value_typeEPSK_NS1_7vsmem_tEENKUlT_SI_SJ_SK_E_clIPiSD_S10_SD_EESH_SX_SI_SJ_SK_EUlSX_E1_NS1_11comp_targetILNS1_3genE5ELNS1_11target_archE942ELNS1_3gpuE9ELNS1_3repE0EEENS1_36merge_oddeven_config_static_selectorELNS0_4arch9wavefront6targetE1EEEvSJ_,comdat
	.protected	_ZN7rocprim17ROCPRIM_400000_NS6detail17trampoline_kernelINS0_14default_configENS1_38merge_sort_block_merge_config_selectorIiiEEZZNS1_27merge_sort_block_merge_implIS3_N6thrust23THRUST_200600_302600_NS6detail15normal_iteratorINS8_10device_ptrIiEEEESD_jNS1_19radix_merge_compareILb0ELb1EiNS0_19identity_decomposerEEEEE10hipError_tT0_T1_T2_jT3_P12ihipStream_tbPNSt15iterator_traitsISI_E10value_typeEPNSO_ISJ_E10value_typeEPSK_NS1_7vsmem_tEENKUlT_SI_SJ_SK_E_clIPiSD_S10_SD_EESH_SX_SI_SJ_SK_EUlSX_E1_NS1_11comp_targetILNS1_3genE5ELNS1_11target_archE942ELNS1_3gpuE9ELNS1_3repE0EEENS1_36merge_oddeven_config_static_selectorELNS0_4arch9wavefront6targetE1EEEvSJ_ ; -- Begin function _ZN7rocprim17ROCPRIM_400000_NS6detail17trampoline_kernelINS0_14default_configENS1_38merge_sort_block_merge_config_selectorIiiEEZZNS1_27merge_sort_block_merge_implIS3_N6thrust23THRUST_200600_302600_NS6detail15normal_iteratorINS8_10device_ptrIiEEEESD_jNS1_19radix_merge_compareILb0ELb1EiNS0_19identity_decomposerEEEEE10hipError_tT0_T1_T2_jT3_P12ihipStream_tbPNSt15iterator_traitsISI_E10value_typeEPNSO_ISJ_E10value_typeEPSK_NS1_7vsmem_tEENKUlT_SI_SJ_SK_E_clIPiSD_S10_SD_EESH_SX_SI_SJ_SK_EUlSX_E1_NS1_11comp_targetILNS1_3genE5ELNS1_11target_archE942ELNS1_3gpuE9ELNS1_3repE0EEENS1_36merge_oddeven_config_static_selectorELNS0_4arch9wavefront6targetE1EEEvSJ_
	.globl	_ZN7rocprim17ROCPRIM_400000_NS6detail17trampoline_kernelINS0_14default_configENS1_38merge_sort_block_merge_config_selectorIiiEEZZNS1_27merge_sort_block_merge_implIS3_N6thrust23THRUST_200600_302600_NS6detail15normal_iteratorINS8_10device_ptrIiEEEESD_jNS1_19radix_merge_compareILb0ELb1EiNS0_19identity_decomposerEEEEE10hipError_tT0_T1_T2_jT3_P12ihipStream_tbPNSt15iterator_traitsISI_E10value_typeEPNSO_ISJ_E10value_typeEPSK_NS1_7vsmem_tEENKUlT_SI_SJ_SK_E_clIPiSD_S10_SD_EESH_SX_SI_SJ_SK_EUlSX_E1_NS1_11comp_targetILNS1_3genE5ELNS1_11target_archE942ELNS1_3gpuE9ELNS1_3repE0EEENS1_36merge_oddeven_config_static_selectorELNS0_4arch9wavefront6targetE1EEEvSJ_
	.p2align	8
	.type	_ZN7rocprim17ROCPRIM_400000_NS6detail17trampoline_kernelINS0_14default_configENS1_38merge_sort_block_merge_config_selectorIiiEEZZNS1_27merge_sort_block_merge_implIS3_N6thrust23THRUST_200600_302600_NS6detail15normal_iteratorINS8_10device_ptrIiEEEESD_jNS1_19radix_merge_compareILb0ELb1EiNS0_19identity_decomposerEEEEE10hipError_tT0_T1_T2_jT3_P12ihipStream_tbPNSt15iterator_traitsISI_E10value_typeEPNSO_ISJ_E10value_typeEPSK_NS1_7vsmem_tEENKUlT_SI_SJ_SK_E_clIPiSD_S10_SD_EESH_SX_SI_SJ_SK_EUlSX_E1_NS1_11comp_targetILNS1_3genE5ELNS1_11target_archE942ELNS1_3gpuE9ELNS1_3repE0EEENS1_36merge_oddeven_config_static_selectorELNS0_4arch9wavefront6targetE1EEEvSJ_,@function
_ZN7rocprim17ROCPRIM_400000_NS6detail17trampoline_kernelINS0_14default_configENS1_38merge_sort_block_merge_config_selectorIiiEEZZNS1_27merge_sort_block_merge_implIS3_N6thrust23THRUST_200600_302600_NS6detail15normal_iteratorINS8_10device_ptrIiEEEESD_jNS1_19radix_merge_compareILb0ELb1EiNS0_19identity_decomposerEEEEE10hipError_tT0_T1_T2_jT3_P12ihipStream_tbPNSt15iterator_traitsISI_E10value_typeEPNSO_ISJ_E10value_typeEPSK_NS1_7vsmem_tEENKUlT_SI_SJ_SK_E_clIPiSD_S10_SD_EESH_SX_SI_SJ_SK_EUlSX_E1_NS1_11comp_targetILNS1_3genE5ELNS1_11target_archE942ELNS1_3gpuE9ELNS1_3repE0EEENS1_36merge_oddeven_config_static_selectorELNS0_4arch9wavefront6targetE1EEEvSJ_: ; @_ZN7rocprim17ROCPRIM_400000_NS6detail17trampoline_kernelINS0_14default_configENS1_38merge_sort_block_merge_config_selectorIiiEEZZNS1_27merge_sort_block_merge_implIS3_N6thrust23THRUST_200600_302600_NS6detail15normal_iteratorINS8_10device_ptrIiEEEESD_jNS1_19radix_merge_compareILb0ELb1EiNS0_19identity_decomposerEEEEE10hipError_tT0_T1_T2_jT3_P12ihipStream_tbPNSt15iterator_traitsISI_E10value_typeEPNSO_ISJ_E10value_typeEPSK_NS1_7vsmem_tEENKUlT_SI_SJ_SK_E_clIPiSD_S10_SD_EESH_SX_SI_SJ_SK_EUlSX_E1_NS1_11comp_targetILNS1_3genE5ELNS1_11target_archE942ELNS1_3gpuE9ELNS1_3repE0EEENS1_36merge_oddeven_config_static_selectorELNS0_4arch9wavefront6targetE1EEEvSJ_
; %bb.0:
	.section	.rodata,"a",@progbits
	.p2align	6, 0x0
	.amdhsa_kernel _ZN7rocprim17ROCPRIM_400000_NS6detail17trampoline_kernelINS0_14default_configENS1_38merge_sort_block_merge_config_selectorIiiEEZZNS1_27merge_sort_block_merge_implIS3_N6thrust23THRUST_200600_302600_NS6detail15normal_iteratorINS8_10device_ptrIiEEEESD_jNS1_19radix_merge_compareILb0ELb1EiNS0_19identity_decomposerEEEEE10hipError_tT0_T1_T2_jT3_P12ihipStream_tbPNSt15iterator_traitsISI_E10value_typeEPNSO_ISJ_E10value_typeEPSK_NS1_7vsmem_tEENKUlT_SI_SJ_SK_E_clIPiSD_S10_SD_EESH_SX_SI_SJ_SK_EUlSX_E1_NS1_11comp_targetILNS1_3genE5ELNS1_11target_archE942ELNS1_3gpuE9ELNS1_3repE0EEENS1_36merge_oddeven_config_static_selectorELNS0_4arch9wavefront6targetE1EEEvSJ_
		.amdhsa_group_segment_fixed_size 0
		.amdhsa_private_segment_fixed_size 0
		.amdhsa_kernarg_size 48
		.amdhsa_user_sgpr_count 2
		.amdhsa_user_sgpr_dispatch_ptr 0
		.amdhsa_user_sgpr_queue_ptr 0
		.amdhsa_user_sgpr_kernarg_segment_ptr 1
		.amdhsa_user_sgpr_dispatch_id 0
		.amdhsa_user_sgpr_kernarg_preload_length 0
		.amdhsa_user_sgpr_kernarg_preload_offset 0
		.amdhsa_user_sgpr_private_segment_size 0
		.amdhsa_uses_dynamic_stack 0
		.amdhsa_enable_private_segment 0
		.amdhsa_system_sgpr_workgroup_id_x 1
		.amdhsa_system_sgpr_workgroup_id_y 0
		.amdhsa_system_sgpr_workgroup_id_z 0
		.amdhsa_system_sgpr_workgroup_info 0
		.amdhsa_system_vgpr_workitem_id 0
		.amdhsa_next_free_vgpr 1
		.amdhsa_next_free_sgpr 0
		.amdhsa_accum_offset 4
		.amdhsa_reserve_vcc 0
		.amdhsa_float_round_mode_32 0
		.amdhsa_float_round_mode_16_64 0
		.amdhsa_float_denorm_mode_32 3
		.amdhsa_float_denorm_mode_16_64 3
		.amdhsa_dx10_clamp 1
		.amdhsa_ieee_mode 1
		.amdhsa_fp16_overflow 0
		.amdhsa_tg_split 0
		.amdhsa_exception_fp_ieee_invalid_op 0
		.amdhsa_exception_fp_denorm_src 0
		.amdhsa_exception_fp_ieee_div_zero 0
		.amdhsa_exception_fp_ieee_overflow 0
		.amdhsa_exception_fp_ieee_underflow 0
		.amdhsa_exception_fp_ieee_inexact 0
		.amdhsa_exception_int_div_zero 0
	.end_amdhsa_kernel
	.section	.text._ZN7rocprim17ROCPRIM_400000_NS6detail17trampoline_kernelINS0_14default_configENS1_38merge_sort_block_merge_config_selectorIiiEEZZNS1_27merge_sort_block_merge_implIS3_N6thrust23THRUST_200600_302600_NS6detail15normal_iteratorINS8_10device_ptrIiEEEESD_jNS1_19radix_merge_compareILb0ELb1EiNS0_19identity_decomposerEEEEE10hipError_tT0_T1_T2_jT3_P12ihipStream_tbPNSt15iterator_traitsISI_E10value_typeEPNSO_ISJ_E10value_typeEPSK_NS1_7vsmem_tEENKUlT_SI_SJ_SK_E_clIPiSD_S10_SD_EESH_SX_SI_SJ_SK_EUlSX_E1_NS1_11comp_targetILNS1_3genE5ELNS1_11target_archE942ELNS1_3gpuE9ELNS1_3repE0EEENS1_36merge_oddeven_config_static_selectorELNS0_4arch9wavefront6targetE1EEEvSJ_,"axG",@progbits,_ZN7rocprim17ROCPRIM_400000_NS6detail17trampoline_kernelINS0_14default_configENS1_38merge_sort_block_merge_config_selectorIiiEEZZNS1_27merge_sort_block_merge_implIS3_N6thrust23THRUST_200600_302600_NS6detail15normal_iteratorINS8_10device_ptrIiEEEESD_jNS1_19radix_merge_compareILb0ELb1EiNS0_19identity_decomposerEEEEE10hipError_tT0_T1_T2_jT3_P12ihipStream_tbPNSt15iterator_traitsISI_E10value_typeEPNSO_ISJ_E10value_typeEPSK_NS1_7vsmem_tEENKUlT_SI_SJ_SK_E_clIPiSD_S10_SD_EESH_SX_SI_SJ_SK_EUlSX_E1_NS1_11comp_targetILNS1_3genE5ELNS1_11target_archE942ELNS1_3gpuE9ELNS1_3repE0EEENS1_36merge_oddeven_config_static_selectorELNS0_4arch9wavefront6targetE1EEEvSJ_,comdat
.Lfunc_end1362:
	.size	_ZN7rocprim17ROCPRIM_400000_NS6detail17trampoline_kernelINS0_14default_configENS1_38merge_sort_block_merge_config_selectorIiiEEZZNS1_27merge_sort_block_merge_implIS3_N6thrust23THRUST_200600_302600_NS6detail15normal_iteratorINS8_10device_ptrIiEEEESD_jNS1_19radix_merge_compareILb0ELb1EiNS0_19identity_decomposerEEEEE10hipError_tT0_T1_T2_jT3_P12ihipStream_tbPNSt15iterator_traitsISI_E10value_typeEPNSO_ISJ_E10value_typeEPSK_NS1_7vsmem_tEENKUlT_SI_SJ_SK_E_clIPiSD_S10_SD_EESH_SX_SI_SJ_SK_EUlSX_E1_NS1_11comp_targetILNS1_3genE5ELNS1_11target_archE942ELNS1_3gpuE9ELNS1_3repE0EEENS1_36merge_oddeven_config_static_selectorELNS0_4arch9wavefront6targetE1EEEvSJ_, .Lfunc_end1362-_ZN7rocprim17ROCPRIM_400000_NS6detail17trampoline_kernelINS0_14default_configENS1_38merge_sort_block_merge_config_selectorIiiEEZZNS1_27merge_sort_block_merge_implIS3_N6thrust23THRUST_200600_302600_NS6detail15normal_iteratorINS8_10device_ptrIiEEEESD_jNS1_19radix_merge_compareILb0ELb1EiNS0_19identity_decomposerEEEEE10hipError_tT0_T1_T2_jT3_P12ihipStream_tbPNSt15iterator_traitsISI_E10value_typeEPNSO_ISJ_E10value_typeEPSK_NS1_7vsmem_tEENKUlT_SI_SJ_SK_E_clIPiSD_S10_SD_EESH_SX_SI_SJ_SK_EUlSX_E1_NS1_11comp_targetILNS1_3genE5ELNS1_11target_archE942ELNS1_3gpuE9ELNS1_3repE0EEENS1_36merge_oddeven_config_static_selectorELNS0_4arch9wavefront6targetE1EEEvSJ_
                                        ; -- End function
	.set _ZN7rocprim17ROCPRIM_400000_NS6detail17trampoline_kernelINS0_14default_configENS1_38merge_sort_block_merge_config_selectorIiiEEZZNS1_27merge_sort_block_merge_implIS3_N6thrust23THRUST_200600_302600_NS6detail15normal_iteratorINS8_10device_ptrIiEEEESD_jNS1_19radix_merge_compareILb0ELb1EiNS0_19identity_decomposerEEEEE10hipError_tT0_T1_T2_jT3_P12ihipStream_tbPNSt15iterator_traitsISI_E10value_typeEPNSO_ISJ_E10value_typeEPSK_NS1_7vsmem_tEENKUlT_SI_SJ_SK_E_clIPiSD_S10_SD_EESH_SX_SI_SJ_SK_EUlSX_E1_NS1_11comp_targetILNS1_3genE5ELNS1_11target_archE942ELNS1_3gpuE9ELNS1_3repE0EEENS1_36merge_oddeven_config_static_selectorELNS0_4arch9wavefront6targetE1EEEvSJ_.num_vgpr, 0
	.set _ZN7rocprim17ROCPRIM_400000_NS6detail17trampoline_kernelINS0_14default_configENS1_38merge_sort_block_merge_config_selectorIiiEEZZNS1_27merge_sort_block_merge_implIS3_N6thrust23THRUST_200600_302600_NS6detail15normal_iteratorINS8_10device_ptrIiEEEESD_jNS1_19radix_merge_compareILb0ELb1EiNS0_19identity_decomposerEEEEE10hipError_tT0_T1_T2_jT3_P12ihipStream_tbPNSt15iterator_traitsISI_E10value_typeEPNSO_ISJ_E10value_typeEPSK_NS1_7vsmem_tEENKUlT_SI_SJ_SK_E_clIPiSD_S10_SD_EESH_SX_SI_SJ_SK_EUlSX_E1_NS1_11comp_targetILNS1_3genE5ELNS1_11target_archE942ELNS1_3gpuE9ELNS1_3repE0EEENS1_36merge_oddeven_config_static_selectorELNS0_4arch9wavefront6targetE1EEEvSJ_.num_agpr, 0
	.set _ZN7rocprim17ROCPRIM_400000_NS6detail17trampoline_kernelINS0_14default_configENS1_38merge_sort_block_merge_config_selectorIiiEEZZNS1_27merge_sort_block_merge_implIS3_N6thrust23THRUST_200600_302600_NS6detail15normal_iteratorINS8_10device_ptrIiEEEESD_jNS1_19radix_merge_compareILb0ELb1EiNS0_19identity_decomposerEEEEE10hipError_tT0_T1_T2_jT3_P12ihipStream_tbPNSt15iterator_traitsISI_E10value_typeEPNSO_ISJ_E10value_typeEPSK_NS1_7vsmem_tEENKUlT_SI_SJ_SK_E_clIPiSD_S10_SD_EESH_SX_SI_SJ_SK_EUlSX_E1_NS1_11comp_targetILNS1_3genE5ELNS1_11target_archE942ELNS1_3gpuE9ELNS1_3repE0EEENS1_36merge_oddeven_config_static_selectorELNS0_4arch9wavefront6targetE1EEEvSJ_.numbered_sgpr, 0
	.set _ZN7rocprim17ROCPRIM_400000_NS6detail17trampoline_kernelINS0_14default_configENS1_38merge_sort_block_merge_config_selectorIiiEEZZNS1_27merge_sort_block_merge_implIS3_N6thrust23THRUST_200600_302600_NS6detail15normal_iteratorINS8_10device_ptrIiEEEESD_jNS1_19radix_merge_compareILb0ELb1EiNS0_19identity_decomposerEEEEE10hipError_tT0_T1_T2_jT3_P12ihipStream_tbPNSt15iterator_traitsISI_E10value_typeEPNSO_ISJ_E10value_typeEPSK_NS1_7vsmem_tEENKUlT_SI_SJ_SK_E_clIPiSD_S10_SD_EESH_SX_SI_SJ_SK_EUlSX_E1_NS1_11comp_targetILNS1_3genE5ELNS1_11target_archE942ELNS1_3gpuE9ELNS1_3repE0EEENS1_36merge_oddeven_config_static_selectorELNS0_4arch9wavefront6targetE1EEEvSJ_.num_named_barrier, 0
	.set _ZN7rocprim17ROCPRIM_400000_NS6detail17trampoline_kernelINS0_14default_configENS1_38merge_sort_block_merge_config_selectorIiiEEZZNS1_27merge_sort_block_merge_implIS3_N6thrust23THRUST_200600_302600_NS6detail15normal_iteratorINS8_10device_ptrIiEEEESD_jNS1_19radix_merge_compareILb0ELb1EiNS0_19identity_decomposerEEEEE10hipError_tT0_T1_T2_jT3_P12ihipStream_tbPNSt15iterator_traitsISI_E10value_typeEPNSO_ISJ_E10value_typeEPSK_NS1_7vsmem_tEENKUlT_SI_SJ_SK_E_clIPiSD_S10_SD_EESH_SX_SI_SJ_SK_EUlSX_E1_NS1_11comp_targetILNS1_3genE5ELNS1_11target_archE942ELNS1_3gpuE9ELNS1_3repE0EEENS1_36merge_oddeven_config_static_selectorELNS0_4arch9wavefront6targetE1EEEvSJ_.private_seg_size, 0
	.set _ZN7rocprim17ROCPRIM_400000_NS6detail17trampoline_kernelINS0_14default_configENS1_38merge_sort_block_merge_config_selectorIiiEEZZNS1_27merge_sort_block_merge_implIS3_N6thrust23THRUST_200600_302600_NS6detail15normal_iteratorINS8_10device_ptrIiEEEESD_jNS1_19radix_merge_compareILb0ELb1EiNS0_19identity_decomposerEEEEE10hipError_tT0_T1_T2_jT3_P12ihipStream_tbPNSt15iterator_traitsISI_E10value_typeEPNSO_ISJ_E10value_typeEPSK_NS1_7vsmem_tEENKUlT_SI_SJ_SK_E_clIPiSD_S10_SD_EESH_SX_SI_SJ_SK_EUlSX_E1_NS1_11comp_targetILNS1_3genE5ELNS1_11target_archE942ELNS1_3gpuE9ELNS1_3repE0EEENS1_36merge_oddeven_config_static_selectorELNS0_4arch9wavefront6targetE1EEEvSJ_.uses_vcc, 0
	.set _ZN7rocprim17ROCPRIM_400000_NS6detail17trampoline_kernelINS0_14default_configENS1_38merge_sort_block_merge_config_selectorIiiEEZZNS1_27merge_sort_block_merge_implIS3_N6thrust23THRUST_200600_302600_NS6detail15normal_iteratorINS8_10device_ptrIiEEEESD_jNS1_19radix_merge_compareILb0ELb1EiNS0_19identity_decomposerEEEEE10hipError_tT0_T1_T2_jT3_P12ihipStream_tbPNSt15iterator_traitsISI_E10value_typeEPNSO_ISJ_E10value_typeEPSK_NS1_7vsmem_tEENKUlT_SI_SJ_SK_E_clIPiSD_S10_SD_EESH_SX_SI_SJ_SK_EUlSX_E1_NS1_11comp_targetILNS1_3genE5ELNS1_11target_archE942ELNS1_3gpuE9ELNS1_3repE0EEENS1_36merge_oddeven_config_static_selectorELNS0_4arch9wavefront6targetE1EEEvSJ_.uses_flat_scratch, 0
	.set _ZN7rocprim17ROCPRIM_400000_NS6detail17trampoline_kernelINS0_14default_configENS1_38merge_sort_block_merge_config_selectorIiiEEZZNS1_27merge_sort_block_merge_implIS3_N6thrust23THRUST_200600_302600_NS6detail15normal_iteratorINS8_10device_ptrIiEEEESD_jNS1_19radix_merge_compareILb0ELb1EiNS0_19identity_decomposerEEEEE10hipError_tT0_T1_T2_jT3_P12ihipStream_tbPNSt15iterator_traitsISI_E10value_typeEPNSO_ISJ_E10value_typeEPSK_NS1_7vsmem_tEENKUlT_SI_SJ_SK_E_clIPiSD_S10_SD_EESH_SX_SI_SJ_SK_EUlSX_E1_NS1_11comp_targetILNS1_3genE5ELNS1_11target_archE942ELNS1_3gpuE9ELNS1_3repE0EEENS1_36merge_oddeven_config_static_selectorELNS0_4arch9wavefront6targetE1EEEvSJ_.has_dyn_sized_stack, 0
	.set _ZN7rocprim17ROCPRIM_400000_NS6detail17trampoline_kernelINS0_14default_configENS1_38merge_sort_block_merge_config_selectorIiiEEZZNS1_27merge_sort_block_merge_implIS3_N6thrust23THRUST_200600_302600_NS6detail15normal_iteratorINS8_10device_ptrIiEEEESD_jNS1_19radix_merge_compareILb0ELb1EiNS0_19identity_decomposerEEEEE10hipError_tT0_T1_T2_jT3_P12ihipStream_tbPNSt15iterator_traitsISI_E10value_typeEPNSO_ISJ_E10value_typeEPSK_NS1_7vsmem_tEENKUlT_SI_SJ_SK_E_clIPiSD_S10_SD_EESH_SX_SI_SJ_SK_EUlSX_E1_NS1_11comp_targetILNS1_3genE5ELNS1_11target_archE942ELNS1_3gpuE9ELNS1_3repE0EEENS1_36merge_oddeven_config_static_selectorELNS0_4arch9wavefront6targetE1EEEvSJ_.has_recursion, 0
	.set _ZN7rocprim17ROCPRIM_400000_NS6detail17trampoline_kernelINS0_14default_configENS1_38merge_sort_block_merge_config_selectorIiiEEZZNS1_27merge_sort_block_merge_implIS3_N6thrust23THRUST_200600_302600_NS6detail15normal_iteratorINS8_10device_ptrIiEEEESD_jNS1_19radix_merge_compareILb0ELb1EiNS0_19identity_decomposerEEEEE10hipError_tT0_T1_T2_jT3_P12ihipStream_tbPNSt15iterator_traitsISI_E10value_typeEPNSO_ISJ_E10value_typeEPSK_NS1_7vsmem_tEENKUlT_SI_SJ_SK_E_clIPiSD_S10_SD_EESH_SX_SI_SJ_SK_EUlSX_E1_NS1_11comp_targetILNS1_3genE5ELNS1_11target_archE942ELNS1_3gpuE9ELNS1_3repE0EEENS1_36merge_oddeven_config_static_selectorELNS0_4arch9wavefront6targetE1EEEvSJ_.has_indirect_call, 0
	.section	.AMDGPU.csdata,"",@progbits
; Kernel info:
; codeLenInByte = 0
; TotalNumSgprs: 6
; NumVgprs: 0
; NumAgprs: 0
; TotalNumVgprs: 0
; ScratchSize: 0
; MemoryBound: 0
; FloatMode: 240
; IeeeMode: 1
; LDSByteSize: 0 bytes/workgroup (compile time only)
; SGPRBlocks: 0
; VGPRBlocks: 0
; NumSGPRsForWavesPerEU: 6
; NumVGPRsForWavesPerEU: 1
; AccumOffset: 4
; Occupancy: 8
; WaveLimiterHint : 0
; COMPUTE_PGM_RSRC2:SCRATCH_EN: 0
; COMPUTE_PGM_RSRC2:USER_SGPR: 2
; COMPUTE_PGM_RSRC2:TRAP_HANDLER: 0
; COMPUTE_PGM_RSRC2:TGID_X_EN: 1
; COMPUTE_PGM_RSRC2:TGID_Y_EN: 0
; COMPUTE_PGM_RSRC2:TGID_Z_EN: 0
; COMPUTE_PGM_RSRC2:TIDIG_COMP_CNT: 0
; COMPUTE_PGM_RSRC3_GFX90A:ACCUM_OFFSET: 0
; COMPUTE_PGM_RSRC3_GFX90A:TG_SPLIT: 0
	.section	.text._ZN7rocprim17ROCPRIM_400000_NS6detail17trampoline_kernelINS0_14default_configENS1_38merge_sort_block_merge_config_selectorIiiEEZZNS1_27merge_sort_block_merge_implIS3_N6thrust23THRUST_200600_302600_NS6detail15normal_iteratorINS8_10device_ptrIiEEEESD_jNS1_19radix_merge_compareILb0ELb1EiNS0_19identity_decomposerEEEEE10hipError_tT0_T1_T2_jT3_P12ihipStream_tbPNSt15iterator_traitsISI_E10value_typeEPNSO_ISJ_E10value_typeEPSK_NS1_7vsmem_tEENKUlT_SI_SJ_SK_E_clIPiSD_S10_SD_EESH_SX_SI_SJ_SK_EUlSX_E1_NS1_11comp_targetILNS1_3genE4ELNS1_11target_archE910ELNS1_3gpuE8ELNS1_3repE0EEENS1_36merge_oddeven_config_static_selectorELNS0_4arch9wavefront6targetE1EEEvSJ_,"axG",@progbits,_ZN7rocprim17ROCPRIM_400000_NS6detail17trampoline_kernelINS0_14default_configENS1_38merge_sort_block_merge_config_selectorIiiEEZZNS1_27merge_sort_block_merge_implIS3_N6thrust23THRUST_200600_302600_NS6detail15normal_iteratorINS8_10device_ptrIiEEEESD_jNS1_19radix_merge_compareILb0ELb1EiNS0_19identity_decomposerEEEEE10hipError_tT0_T1_T2_jT3_P12ihipStream_tbPNSt15iterator_traitsISI_E10value_typeEPNSO_ISJ_E10value_typeEPSK_NS1_7vsmem_tEENKUlT_SI_SJ_SK_E_clIPiSD_S10_SD_EESH_SX_SI_SJ_SK_EUlSX_E1_NS1_11comp_targetILNS1_3genE4ELNS1_11target_archE910ELNS1_3gpuE8ELNS1_3repE0EEENS1_36merge_oddeven_config_static_selectorELNS0_4arch9wavefront6targetE1EEEvSJ_,comdat
	.protected	_ZN7rocprim17ROCPRIM_400000_NS6detail17trampoline_kernelINS0_14default_configENS1_38merge_sort_block_merge_config_selectorIiiEEZZNS1_27merge_sort_block_merge_implIS3_N6thrust23THRUST_200600_302600_NS6detail15normal_iteratorINS8_10device_ptrIiEEEESD_jNS1_19radix_merge_compareILb0ELb1EiNS0_19identity_decomposerEEEEE10hipError_tT0_T1_T2_jT3_P12ihipStream_tbPNSt15iterator_traitsISI_E10value_typeEPNSO_ISJ_E10value_typeEPSK_NS1_7vsmem_tEENKUlT_SI_SJ_SK_E_clIPiSD_S10_SD_EESH_SX_SI_SJ_SK_EUlSX_E1_NS1_11comp_targetILNS1_3genE4ELNS1_11target_archE910ELNS1_3gpuE8ELNS1_3repE0EEENS1_36merge_oddeven_config_static_selectorELNS0_4arch9wavefront6targetE1EEEvSJ_ ; -- Begin function _ZN7rocprim17ROCPRIM_400000_NS6detail17trampoline_kernelINS0_14default_configENS1_38merge_sort_block_merge_config_selectorIiiEEZZNS1_27merge_sort_block_merge_implIS3_N6thrust23THRUST_200600_302600_NS6detail15normal_iteratorINS8_10device_ptrIiEEEESD_jNS1_19radix_merge_compareILb0ELb1EiNS0_19identity_decomposerEEEEE10hipError_tT0_T1_T2_jT3_P12ihipStream_tbPNSt15iterator_traitsISI_E10value_typeEPNSO_ISJ_E10value_typeEPSK_NS1_7vsmem_tEENKUlT_SI_SJ_SK_E_clIPiSD_S10_SD_EESH_SX_SI_SJ_SK_EUlSX_E1_NS1_11comp_targetILNS1_3genE4ELNS1_11target_archE910ELNS1_3gpuE8ELNS1_3repE0EEENS1_36merge_oddeven_config_static_selectorELNS0_4arch9wavefront6targetE1EEEvSJ_
	.globl	_ZN7rocprim17ROCPRIM_400000_NS6detail17trampoline_kernelINS0_14default_configENS1_38merge_sort_block_merge_config_selectorIiiEEZZNS1_27merge_sort_block_merge_implIS3_N6thrust23THRUST_200600_302600_NS6detail15normal_iteratorINS8_10device_ptrIiEEEESD_jNS1_19radix_merge_compareILb0ELb1EiNS0_19identity_decomposerEEEEE10hipError_tT0_T1_T2_jT3_P12ihipStream_tbPNSt15iterator_traitsISI_E10value_typeEPNSO_ISJ_E10value_typeEPSK_NS1_7vsmem_tEENKUlT_SI_SJ_SK_E_clIPiSD_S10_SD_EESH_SX_SI_SJ_SK_EUlSX_E1_NS1_11comp_targetILNS1_3genE4ELNS1_11target_archE910ELNS1_3gpuE8ELNS1_3repE0EEENS1_36merge_oddeven_config_static_selectorELNS0_4arch9wavefront6targetE1EEEvSJ_
	.p2align	8
	.type	_ZN7rocprim17ROCPRIM_400000_NS6detail17trampoline_kernelINS0_14default_configENS1_38merge_sort_block_merge_config_selectorIiiEEZZNS1_27merge_sort_block_merge_implIS3_N6thrust23THRUST_200600_302600_NS6detail15normal_iteratorINS8_10device_ptrIiEEEESD_jNS1_19radix_merge_compareILb0ELb1EiNS0_19identity_decomposerEEEEE10hipError_tT0_T1_T2_jT3_P12ihipStream_tbPNSt15iterator_traitsISI_E10value_typeEPNSO_ISJ_E10value_typeEPSK_NS1_7vsmem_tEENKUlT_SI_SJ_SK_E_clIPiSD_S10_SD_EESH_SX_SI_SJ_SK_EUlSX_E1_NS1_11comp_targetILNS1_3genE4ELNS1_11target_archE910ELNS1_3gpuE8ELNS1_3repE0EEENS1_36merge_oddeven_config_static_selectorELNS0_4arch9wavefront6targetE1EEEvSJ_,@function
_ZN7rocprim17ROCPRIM_400000_NS6detail17trampoline_kernelINS0_14default_configENS1_38merge_sort_block_merge_config_selectorIiiEEZZNS1_27merge_sort_block_merge_implIS3_N6thrust23THRUST_200600_302600_NS6detail15normal_iteratorINS8_10device_ptrIiEEEESD_jNS1_19radix_merge_compareILb0ELb1EiNS0_19identity_decomposerEEEEE10hipError_tT0_T1_T2_jT3_P12ihipStream_tbPNSt15iterator_traitsISI_E10value_typeEPNSO_ISJ_E10value_typeEPSK_NS1_7vsmem_tEENKUlT_SI_SJ_SK_E_clIPiSD_S10_SD_EESH_SX_SI_SJ_SK_EUlSX_E1_NS1_11comp_targetILNS1_3genE4ELNS1_11target_archE910ELNS1_3gpuE8ELNS1_3repE0EEENS1_36merge_oddeven_config_static_selectorELNS0_4arch9wavefront6targetE1EEEvSJ_: ; @_ZN7rocprim17ROCPRIM_400000_NS6detail17trampoline_kernelINS0_14default_configENS1_38merge_sort_block_merge_config_selectorIiiEEZZNS1_27merge_sort_block_merge_implIS3_N6thrust23THRUST_200600_302600_NS6detail15normal_iteratorINS8_10device_ptrIiEEEESD_jNS1_19radix_merge_compareILb0ELb1EiNS0_19identity_decomposerEEEEE10hipError_tT0_T1_T2_jT3_P12ihipStream_tbPNSt15iterator_traitsISI_E10value_typeEPNSO_ISJ_E10value_typeEPSK_NS1_7vsmem_tEENKUlT_SI_SJ_SK_E_clIPiSD_S10_SD_EESH_SX_SI_SJ_SK_EUlSX_E1_NS1_11comp_targetILNS1_3genE4ELNS1_11target_archE910ELNS1_3gpuE8ELNS1_3repE0EEENS1_36merge_oddeven_config_static_selectorELNS0_4arch9wavefront6targetE1EEEvSJ_
; %bb.0:
	.section	.rodata,"a",@progbits
	.p2align	6, 0x0
	.amdhsa_kernel _ZN7rocprim17ROCPRIM_400000_NS6detail17trampoline_kernelINS0_14default_configENS1_38merge_sort_block_merge_config_selectorIiiEEZZNS1_27merge_sort_block_merge_implIS3_N6thrust23THRUST_200600_302600_NS6detail15normal_iteratorINS8_10device_ptrIiEEEESD_jNS1_19radix_merge_compareILb0ELb1EiNS0_19identity_decomposerEEEEE10hipError_tT0_T1_T2_jT3_P12ihipStream_tbPNSt15iterator_traitsISI_E10value_typeEPNSO_ISJ_E10value_typeEPSK_NS1_7vsmem_tEENKUlT_SI_SJ_SK_E_clIPiSD_S10_SD_EESH_SX_SI_SJ_SK_EUlSX_E1_NS1_11comp_targetILNS1_3genE4ELNS1_11target_archE910ELNS1_3gpuE8ELNS1_3repE0EEENS1_36merge_oddeven_config_static_selectorELNS0_4arch9wavefront6targetE1EEEvSJ_
		.amdhsa_group_segment_fixed_size 0
		.amdhsa_private_segment_fixed_size 0
		.amdhsa_kernarg_size 48
		.amdhsa_user_sgpr_count 2
		.amdhsa_user_sgpr_dispatch_ptr 0
		.amdhsa_user_sgpr_queue_ptr 0
		.amdhsa_user_sgpr_kernarg_segment_ptr 1
		.amdhsa_user_sgpr_dispatch_id 0
		.amdhsa_user_sgpr_kernarg_preload_length 0
		.amdhsa_user_sgpr_kernarg_preload_offset 0
		.amdhsa_user_sgpr_private_segment_size 0
		.amdhsa_uses_dynamic_stack 0
		.amdhsa_enable_private_segment 0
		.amdhsa_system_sgpr_workgroup_id_x 1
		.amdhsa_system_sgpr_workgroup_id_y 0
		.amdhsa_system_sgpr_workgroup_id_z 0
		.amdhsa_system_sgpr_workgroup_info 0
		.amdhsa_system_vgpr_workitem_id 0
		.amdhsa_next_free_vgpr 1
		.amdhsa_next_free_sgpr 0
		.amdhsa_accum_offset 4
		.amdhsa_reserve_vcc 0
		.amdhsa_float_round_mode_32 0
		.amdhsa_float_round_mode_16_64 0
		.amdhsa_float_denorm_mode_32 3
		.amdhsa_float_denorm_mode_16_64 3
		.amdhsa_dx10_clamp 1
		.amdhsa_ieee_mode 1
		.amdhsa_fp16_overflow 0
		.amdhsa_tg_split 0
		.amdhsa_exception_fp_ieee_invalid_op 0
		.amdhsa_exception_fp_denorm_src 0
		.amdhsa_exception_fp_ieee_div_zero 0
		.amdhsa_exception_fp_ieee_overflow 0
		.amdhsa_exception_fp_ieee_underflow 0
		.amdhsa_exception_fp_ieee_inexact 0
		.amdhsa_exception_int_div_zero 0
	.end_amdhsa_kernel
	.section	.text._ZN7rocprim17ROCPRIM_400000_NS6detail17trampoline_kernelINS0_14default_configENS1_38merge_sort_block_merge_config_selectorIiiEEZZNS1_27merge_sort_block_merge_implIS3_N6thrust23THRUST_200600_302600_NS6detail15normal_iteratorINS8_10device_ptrIiEEEESD_jNS1_19radix_merge_compareILb0ELb1EiNS0_19identity_decomposerEEEEE10hipError_tT0_T1_T2_jT3_P12ihipStream_tbPNSt15iterator_traitsISI_E10value_typeEPNSO_ISJ_E10value_typeEPSK_NS1_7vsmem_tEENKUlT_SI_SJ_SK_E_clIPiSD_S10_SD_EESH_SX_SI_SJ_SK_EUlSX_E1_NS1_11comp_targetILNS1_3genE4ELNS1_11target_archE910ELNS1_3gpuE8ELNS1_3repE0EEENS1_36merge_oddeven_config_static_selectorELNS0_4arch9wavefront6targetE1EEEvSJ_,"axG",@progbits,_ZN7rocprim17ROCPRIM_400000_NS6detail17trampoline_kernelINS0_14default_configENS1_38merge_sort_block_merge_config_selectorIiiEEZZNS1_27merge_sort_block_merge_implIS3_N6thrust23THRUST_200600_302600_NS6detail15normal_iteratorINS8_10device_ptrIiEEEESD_jNS1_19radix_merge_compareILb0ELb1EiNS0_19identity_decomposerEEEEE10hipError_tT0_T1_T2_jT3_P12ihipStream_tbPNSt15iterator_traitsISI_E10value_typeEPNSO_ISJ_E10value_typeEPSK_NS1_7vsmem_tEENKUlT_SI_SJ_SK_E_clIPiSD_S10_SD_EESH_SX_SI_SJ_SK_EUlSX_E1_NS1_11comp_targetILNS1_3genE4ELNS1_11target_archE910ELNS1_3gpuE8ELNS1_3repE0EEENS1_36merge_oddeven_config_static_selectorELNS0_4arch9wavefront6targetE1EEEvSJ_,comdat
.Lfunc_end1363:
	.size	_ZN7rocprim17ROCPRIM_400000_NS6detail17trampoline_kernelINS0_14default_configENS1_38merge_sort_block_merge_config_selectorIiiEEZZNS1_27merge_sort_block_merge_implIS3_N6thrust23THRUST_200600_302600_NS6detail15normal_iteratorINS8_10device_ptrIiEEEESD_jNS1_19radix_merge_compareILb0ELb1EiNS0_19identity_decomposerEEEEE10hipError_tT0_T1_T2_jT3_P12ihipStream_tbPNSt15iterator_traitsISI_E10value_typeEPNSO_ISJ_E10value_typeEPSK_NS1_7vsmem_tEENKUlT_SI_SJ_SK_E_clIPiSD_S10_SD_EESH_SX_SI_SJ_SK_EUlSX_E1_NS1_11comp_targetILNS1_3genE4ELNS1_11target_archE910ELNS1_3gpuE8ELNS1_3repE0EEENS1_36merge_oddeven_config_static_selectorELNS0_4arch9wavefront6targetE1EEEvSJ_, .Lfunc_end1363-_ZN7rocprim17ROCPRIM_400000_NS6detail17trampoline_kernelINS0_14default_configENS1_38merge_sort_block_merge_config_selectorIiiEEZZNS1_27merge_sort_block_merge_implIS3_N6thrust23THRUST_200600_302600_NS6detail15normal_iteratorINS8_10device_ptrIiEEEESD_jNS1_19radix_merge_compareILb0ELb1EiNS0_19identity_decomposerEEEEE10hipError_tT0_T1_T2_jT3_P12ihipStream_tbPNSt15iterator_traitsISI_E10value_typeEPNSO_ISJ_E10value_typeEPSK_NS1_7vsmem_tEENKUlT_SI_SJ_SK_E_clIPiSD_S10_SD_EESH_SX_SI_SJ_SK_EUlSX_E1_NS1_11comp_targetILNS1_3genE4ELNS1_11target_archE910ELNS1_3gpuE8ELNS1_3repE0EEENS1_36merge_oddeven_config_static_selectorELNS0_4arch9wavefront6targetE1EEEvSJ_
                                        ; -- End function
	.set _ZN7rocprim17ROCPRIM_400000_NS6detail17trampoline_kernelINS0_14default_configENS1_38merge_sort_block_merge_config_selectorIiiEEZZNS1_27merge_sort_block_merge_implIS3_N6thrust23THRUST_200600_302600_NS6detail15normal_iteratorINS8_10device_ptrIiEEEESD_jNS1_19radix_merge_compareILb0ELb1EiNS0_19identity_decomposerEEEEE10hipError_tT0_T1_T2_jT3_P12ihipStream_tbPNSt15iterator_traitsISI_E10value_typeEPNSO_ISJ_E10value_typeEPSK_NS1_7vsmem_tEENKUlT_SI_SJ_SK_E_clIPiSD_S10_SD_EESH_SX_SI_SJ_SK_EUlSX_E1_NS1_11comp_targetILNS1_3genE4ELNS1_11target_archE910ELNS1_3gpuE8ELNS1_3repE0EEENS1_36merge_oddeven_config_static_selectorELNS0_4arch9wavefront6targetE1EEEvSJ_.num_vgpr, 0
	.set _ZN7rocprim17ROCPRIM_400000_NS6detail17trampoline_kernelINS0_14default_configENS1_38merge_sort_block_merge_config_selectorIiiEEZZNS1_27merge_sort_block_merge_implIS3_N6thrust23THRUST_200600_302600_NS6detail15normal_iteratorINS8_10device_ptrIiEEEESD_jNS1_19radix_merge_compareILb0ELb1EiNS0_19identity_decomposerEEEEE10hipError_tT0_T1_T2_jT3_P12ihipStream_tbPNSt15iterator_traitsISI_E10value_typeEPNSO_ISJ_E10value_typeEPSK_NS1_7vsmem_tEENKUlT_SI_SJ_SK_E_clIPiSD_S10_SD_EESH_SX_SI_SJ_SK_EUlSX_E1_NS1_11comp_targetILNS1_3genE4ELNS1_11target_archE910ELNS1_3gpuE8ELNS1_3repE0EEENS1_36merge_oddeven_config_static_selectorELNS0_4arch9wavefront6targetE1EEEvSJ_.num_agpr, 0
	.set _ZN7rocprim17ROCPRIM_400000_NS6detail17trampoline_kernelINS0_14default_configENS1_38merge_sort_block_merge_config_selectorIiiEEZZNS1_27merge_sort_block_merge_implIS3_N6thrust23THRUST_200600_302600_NS6detail15normal_iteratorINS8_10device_ptrIiEEEESD_jNS1_19radix_merge_compareILb0ELb1EiNS0_19identity_decomposerEEEEE10hipError_tT0_T1_T2_jT3_P12ihipStream_tbPNSt15iterator_traitsISI_E10value_typeEPNSO_ISJ_E10value_typeEPSK_NS1_7vsmem_tEENKUlT_SI_SJ_SK_E_clIPiSD_S10_SD_EESH_SX_SI_SJ_SK_EUlSX_E1_NS1_11comp_targetILNS1_3genE4ELNS1_11target_archE910ELNS1_3gpuE8ELNS1_3repE0EEENS1_36merge_oddeven_config_static_selectorELNS0_4arch9wavefront6targetE1EEEvSJ_.numbered_sgpr, 0
	.set _ZN7rocprim17ROCPRIM_400000_NS6detail17trampoline_kernelINS0_14default_configENS1_38merge_sort_block_merge_config_selectorIiiEEZZNS1_27merge_sort_block_merge_implIS3_N6thrust23THRUST_200600_302600_NS6detail15normal_iteratorINS8_10device_ptrIiEEEESD_jNS1_19radix_merge_compareILb0ELb1EiNS0_19identity_decomposerEEEEE10hipError_tT0_T1_T2_jT3_P12ihipStream_tbPNSt15iterator_traitsISI_E10value_typeEPNSO_ISJ_E10value_typeEPSK_NS1_7vsmem_tEENKUlT_SI_SJ_SK_E_clIPiSD_S10_SD_EESH_SX_SI_SJ_SK_EUlSX_E1_NS1_11comp_targetILNS1_3genE4ELNS1_11target_archE910ELNS1_3gpuE8ELNS1_3repE0EEENS1_36merge_oddeven_config_static_selectorELNS0_4arch9wavefront6targetE1EEEvSJ_.num_named_barrier, 0
	.set _ZN7rocprim17ROCPRIM_400000_NS6detail17trampoline_kernelINS0_14default_configENS1_38merge_sort_block_merge_config_selectorIiiEEZZNS1_27merge_sort_block_merge_implIS3_N6thrust23THRUST_200600_302600_NS6detail15normal_iteratorINS8_10device_ptrIiEEEESD_jNS1_19radix_merge_compareILb0ELb1EiNS0_19identity_decomposerEEEEE10hipError_tT0_T1_T2_jT3_P12ihipStream_tbPNSt15iterator_traitsISI_E10value_typeEPNSO_ISJ_E10value_typeEPSK_NS1_7vsmem_tEENKUlT_SI_SJ_SK_E_clIPiSD_S10_SD_EESH_SX_SI_SJ_SK_EUlSX_E1_NS1_11comp_targetILNS1_3genE4ELNS1_11target_archE910ELNS1_3gpuE8ELNS1_3repE0EEENS1_36merge_oddeven_config_static_selectorELNS0_4arch9wavefront6targetE1EEEvSJ_.private_seg_size, 0
	.set _ZN7rocprim17ROCPRIM_400000_NS6detail17trampoline_kernelINS0_14default_configENS1_38merge_sort_block_merge_config_selectorIiiEEZZNS1_27merge_sort_block_merge_implIS3_N6thrust23THRUST_200600_302600_NS6detail15normal_iteratorINS8_10device_ptrIiEEEESD_jNS1_19radix_merge_compareILb0ELb1EiNS0_19identity_decomposerEEEEE10hipError_tT0_T1_T2_jT3_P12ihipStream_tbPNSt15iterator_traitsISI_E10value_typeEPNSO_ISJ_E10value_typeEPSK_NS1_7vsmem_tEENKUlT_SI_SJ_SK_E_clIPiSD_S10_SD_EESH_SX_SI_SJ_SK_EUlSX_E1_NS1_11comp_targetILNS1_3genE4ELNS1_11target_archE910ELNS1_3gpuE8ELNS1_3repE0EEENS1_36merge_oddeven_config_static_selectorELNS0_4arch9wavefront6targetE1EEEvSJ_.uses_vcc, 0
	.set _ZN7rocprim17ROCPRIM_400000_NS6detail17trampoline_kernelINS0_14default_configENS1_38merge_sort_block_merge_config_selectorIiiEEZZNS1_27merge_sort_block_merge_implIS3_N6thrust23THRUST_200600_302600_NS6detail15normal_iteratorINS8_10device_ptrIiEEEESD_jNS1_19radix_merge_compareILb0ELb1EiNS0_19identity_decomposerEEEEE10hipError_tT0_T1_T2_jT3_P12ihipStream_tbPNSt15iterator_traitsISI_E10value_typeEPNSO_ISJ_E10value_typeEPSK_NS1_7vsmem_tEENKUlT_SI_SJ_SK_E_clIPiSD_S10_SD_EESH_SX_SI_SJ_SK_EUlSX_E1_NS1_11comp_targetILNS1_3genE4ELNS1_11target_archE910ELNS1_3gpuE8ELNS1_3repE0EEENS1_36merge_oddeven_config_static_selectorELNS0_4arch9wavefront6targetE1EEEvSJ_.uses_flat_scratch, 0
	.set _ZN7rocprim17ROCPRIM_400000_NS6detail17trampoline_kernelINS0_14default_configENS1_38merge_sort_block_merge_config_selectorIiiEEZZNS1_27merge_sort_block_merge_implIS3_N6thrust23THRUST_200600_302600_NS6detail15normal_iteratorINS8_10device_ptrIiEEEESD_jNS1_19radix_merge_compareILb0ELb1EiNS0_19identity_decomposerEEEEE10hipError_tT0_T1_T2_jT3_P12ihipStream_tbPNSt15iterator_traitsISI_E10value_typeEPNSO_ISJ_E10value_typeEPSK_NS1_7vsmem_tEENKUlT_SI_SJ_SK_E_clIPiSD_S10_SD_EESH_SX_SI_SJ_SK_EUlSX_E1_NS1_11comp_targetILNS1_3genE4ELNS1_11target_archE910ELNS1_3gpuE8ELNS1_3repE0EEENS1_36merge_oddeven_config_static_selectorELNS0_4arch9wavefront6targetE1EEEvSJ_.has_dyn_sized_stack, 0
	.set _ZN7rocprim17ROCPRIM_400000_NS6detail17trampoline_kernelINS0_14default_configENS1_38merge_sort_block_merge_config_selectorIiiEEZZNS1_27merge_sort_block_merge_implIS3_N6thrust23THRUST_200600_302600_NS6detail15normal_iteratorINS8_10device_ptrIiEEEESD_jNS1_19radix_merge_compareILb0ELb1EiNS0_19identity_decomposerEEEEE10hipError_tT0_T1_T2_jT3_P12ihipStream_tbPNSt15iterator_traitsISI_E10value_typeEPNSO_ISJ_E10value_typeEPSK_NS1_7vsmem_tEENKUlT_SI_SJ_SK_E_clIPiSD_S10_SD_EESH_SX_SI_SJ_SK_EUlSX_E1_NS1_11comp_targetILNS1_3genE4ELNS1_11target_archE910ELNS1_3gpuE8ELNS1_3repE0EEENS1_36merge_oddeven_config_static_selectorELNS0_4arch9wavefront6targetE1EEEvSJ_.has_recursion, 0
	.set _ZN7rocprim17ROCPRIM_400000_NS6detail17trampoline_kernelINS0_14default_configENS1_38merge_sort_block_merge_config_selectorIiiEEZZNS1_27merge_sort_block_merge_implIS3_N6thrust23THRUST_200600_302600_NS6detail15normal_iteratorINS8_10device_ptrIiEEEESD_jNS1_19radix_merge_compareILb0ELb1EiNS0_19identity_decomposerEEEEE10hipError_tT0_T1_T2_jT3_P12ihipStream_tbPNSt15iterator_traitsISI_E10value_typeEPNSO_ISJ_E10value_typeEPSK_NS1_7vsmem_tEENKUlT_SI_SJ_SK_E_clIPiSD_S10_SD_EESH_SX_SI_SJ_SK_EUlSX_E1_NS1_11comp_targetILNS1_3genE4ELNS1_11target_archE910ELNS1_3gpuE8ELNS1_3repE0EEENS1_36merge_oddeven_config_static_selectorELNS0_4arch9wavefront6targetE1EEEvSJ_.has_indirect_call, 0
	.section	.AMDGPU.csdata,"",@progbits
; Kernel info:
; codeLenInByte = 0
; TotalNumSgprs: 6
; NumVgprs: 0
; NumAgprs: 0
; TotalNumVgprs: 0
; ScratchSize: 0
; MemoryBound: 0
; FloatMode: 240
; IeeeMode: 1
; LDSByteSize: 0 bytes/workgroup (compile time only)
; SGPRBlocks: 0
; VGPRBlocks: 0
; NumSGPRsForWavesPerEU: 6
; NumVGPRsForWavesPerEU: 1
; AccumOffset: 4
; Occupancy: 8
; WaveLimiterHint : 0
; COMPUTE_PGM_RSRC2:SCRATCH_EN: 0
; COMPUTE_PGM_RSRC2:USER_SGPR: 2
; COMPUTE_PGM_RSRC2:TRAP_HANDLER: 0
; COMPUTE_PGM_RSRC2:TGID_X_EN: 1
; COMPUTE_PGM_RSRC2:TGID_Y_EN: 0
; COMPUTE_PGM_RSRC2:TGID_Z_EN: 0
; COMPUTE_PGM_RSRC2:TIDIG_COMP_CNT: 0
; COMPUTE_PGM_RSRC3_GFX90A:ACCUM_OFFSET: 0
; COMPUTE_PGM_RSRC3_GFX90A:TG_SPLIT: 0
	.section	.text._ZN7rocprim17ROCPRIM_400000_NS6detail17trampoline_kernelINS0_14default_configENS1_38merge_sort_block_merge_config_selectorIiiEEZZNS1_27merge_sort_block_merge_implIS3_N6thrust23THRUST_200600_302600_NS6detail15normal_iteratorINS8_10device_ptrIiEEEESD_jNS1_19radix_merge_compareILb0ELb1EiNS0_19identity_decomposerEEEEE10hipError_tT0_T1_T2_jT3_P12ihipStream_tbPNSt15iterator_traitsISI_E10value_typeEPNSO_ISJ_E10value_typeEPSK_NS1_7vsmem_tEENKUlT_SI_SJ_SK_E_clIPiSD_S10_SD_EESH_SX_SI_SJ_SK_EUlSX_E1_NS1_11comp_targetILNS1_3genE3ELNS1_11target_archE908ELNS1_3gpuE7ELNS1_3repE0EEENS1_36merge_oddeven_config_static_selectorELNS0_4arch9wavefront6targetE1EEEvSJ_,"axG",@progbits,_ZN7rocprim17ROCPRIM_400000_NS6detail17trampoline_kernelINS0_14default_configENS1_38merge_sort_block_merge_config_selectorIiiEEZZNS1_27merge_sort_block_merge_implIS3_N6thrust23THRUST_200600_302600_NS6detail15normal_iteratorINS8_10device_ptrIiEEEESD_jNS1_19radix_merge_compareILb0ELb1EiNS0_19identity_decomposerEEEEE10hipError_tT0_T1_T2_jT3_P12ihipStream_tbPNSt15iterator_traitsISI_E10value_typeEPNSO_ISJ_E10value_typeEPSK_NS1_7vsmem_tEENKUlT_SI_SJ_SK_E_clIPiSD_S10_SD_EESH_SX_SI_SJ_SK_EUlSX_E1_NS1_11comp_targetILNS1_3genE3ELNS1_11target_archE908ELNS1_3gpuE7ELNS1_3repE0EEENS1_36merge_oddeven_config_static_selectorELNS0_4arch9wavefront6targetE1EEEvSJ_,comdat
	.protected	_ZN7rocprim17ROCPRIM_400000_NS6detail17trampoline_kernelINS0_14default_configENS1_38merge_sort_block_merge_config_selectorIiiEEZZNS1_27merge_sort_block_merge_implIS3_N6thrust23THRUST_200600_302600_NS6detail15normal_iteratorINS8_10device_ptrIiEEEESD_jNS1_19radix_merge_compareILb0ELb1EiNS0_19identity_decomposerEEEEE10hipError_tT0_T1_T2_jT3_P12ihipStream_tbPNSt15iterator_traitsISI_E10value_typeEPNSO_ISJ_E10value_typeEPSK_NS1_7vsmem_tEENKUlT_SI_SJ_SK_E_clIPiSD_S10_SD_EESH_SX_SI_SJ_SK_EUlSX_E1_NS1_11comp_targetILNS1_3genE3ELNS1_11target_archE908ELNS1_3gpuE7ELNS1_3repE0EEENS1_36merge_oddeven_config_static_selectorELNS0_4arch9wavefront6targetE1EEEvSJ_ ; -- Begin function _ZN7rocprim17ROCPRIM_400000_NS6detail17trampoline_kernelINS0_14default_configENS1_38merge_sort_block_merge_config_selectorIiiEEZZNS1_27merge_sort_block_merge_implIS3_N6thrust23THRUST_200600_302600_NS6detail15normal_iteratorINS8_10device_ptrIiEEEESD_jNS1_19radix_merge_compareILb0ELb1EiNS0_19identity_decomposerEEEEE10hipError_tT0_T1_T2_jT3_P12ihipStream_tbPNSt15iterator_traitsISI_E10value_typeEPNSO_ISJ_E10value_typeEPSK_NS1_7vsmem_tEENKUlT_SI_SJ_SK_E_clIPiSD_S10_SD_EESH_SX_SI_SJ_SK_EUlSX_E1_NS1_11comp_targetILNS1_3genE3ELNS1_11target_archE908ELNS1_3gpuE7ELNS1_3repE0EEENS1_36merge_oddeven_config_static_selectorELNS0_4arch9wavefront6targetE1EEEvSJ_
	.globl	_ZN7rocprim17ROCPRIM_400000_NS6detail17trampoline_kernelINS0_14default_configENS1_38merge_sort_block_merge_config_selectorIiiEEZZNS1_27merge_sort_block_merge_implIS3_N6thrust23THRUST_200600_302600_NS6detail15normal_iteratorINS8_10device_ptrIiEEEESD_jNS1_19radix_merge_compareILb0ELb1EiNS0_19identity_decomposerEEEEE10hipError_tT0_T1_T2_jT3_P12ihipStream_tbPNSt15iterator_traitsISI_E10value_typeEPNSO_ISJ_E10value_typeEPSK_NS1_7vsmem_tEENKUlT_SI_SJ_SK_E_clIPiSD_S10_SD_EESH_SX_SI_SJ_SK_EUlSX_E1_NS1_11comp_targetILNS1_3genE3ELNS1_11target_archE908ELNS1_3gpuE7ELNS1_3repE0EEENS1_36merge_oddeven_config_static_selectorELNS0_4arch9wavefront6targetE1EEEvSJ_
	.p2align	8
	.type	_ZN7rocprim17ROCPRIM_400000_NS6detail17trampoline_kernelINS0_14default_configENS1_38merge_sort_block_merge_config_selectorIiiEEZZNS1_27merge_sort_block_merge_implIS3_N6thrust23THRUST_200600_302600_NS6detail15normal_iteratorINS8_10device_ptrIiEEEESD_jNS1_19radix_merge_compareILb0ELb1EiNS0_19identity_decomposerEEEEE10hipError_tT0_T1_T2_jT3_P12ihipStream_tbPNSt15iterator_traitsISI_E10value_typeEPNSO_ISJ_E10value_typeEPSK_NS1_7vsmem_tEENKUlT_SI_SJ_SK_E_clIPiSD_S10_SD_EESH_SX_SI_SJ_SK_EUlSX_E1_NS1_11comp_targetILNS1_3genE3ELNS1_11target_archE908ELNS1_3gpuE7ELNS1_3repE0EEENS1_36merge_oddeven_config_static_selectorELNS0_4arch9wavefront6targetE1EEEvSJ_,@function
_ZN7rocprim17ROCPRIM_400000_NS6detail17trampoline_kernelINS0_14default_configENS1_38merge_sort_block_merge_config_selectorIiiEEZZNS1_27merge_sort_block_merge_implIS3_N6thrust23THRUST_200600_302600_NS6detail15normal_iteratorINS8_10device_ptrIiEEEESD_jNS1_19radix_merge_compareILb0ELb1EiNS0_19identity_decomposerEEEEE10hipError_tT0_T1_T2_jT3_P12ihipStream_tbPNSt15iterator_traitsISI_E10value_typeEPNSO_ISJ_E10value_typeEPSK_NS1_7vsmem_tEENKUlT_SI_SJ_SK_E_clIPiSD_S10_SD_EESH_SX_SI_SJ_SK_EUlSX_E1_NS1_11comp_targetILNS1_3genE3ELNS1_11target_archE908ELNS1_3gpuE7ELNS1_3repE0EEENS1_36merge_oddeven_config_static_selectorELNS0_4arch9wavefront6targetE1EEEvSJ_: ; @_ZN7rocprim17ROCPRIM_400000_NS6detail17trampoline_kernelINS0_14default_configENS1_38merge_sort_block_merge_config_selectorIiiEEZZNS1_27merge_sort_block_merge_implIS3_N6thrust23THRUST_200600_302600_NS6detail15normal_iteratorINS8_10device_ptrIiEEEESD_jNS1_19radix_merge_compareILb0ELb1EiNS0_19identity_decomposerEEEEE10hipError_tT0_T1_T2_jT3_P12ihipStream_tbPNSt15iterator_traitsISI_E10value_typeEPNSO_ISJ_E10value_typeEPSK_NS1_7vsmem_tEENKUlT_SI_SJ_SK_E_clIPiSD_S10_SD_EESH_SX_SI_SJ_SK_EUlSX_E1_NS1_11comp_targetILNS1_3genE3ELNS1_11target_archE908ELNS1_3gpuE7ELNS1_3repE0EEENS1_36merge_oddeven_config_static_selectorELNS0_4arch9wavefront6targetE1EEEvSJ_
; %bb.0:
	.section	.rodata,"a",@progbits
	.p2align	6, 0x0
	.amdhsa_kernel _ZN7rocprim17ROCPRIM_400000_NS6detail17trampoline_kernelINS0_14default_configENS1_38merge_sort_block_merge_config_selectorIiiEEZZNS1_27merge_sort_block_merge_implIS3_N6thrust23THRUST_200600_302600_NS6detail15normal_iteratorINS8_10device_ptrIiEEEESD_jNS1_19radix_merge_compareILb0ELb1EiNS0_19identity_decomposerEEEEE10hipError_tT0_T1_T2_jT3_P12ihipStream_tbPNSt15iterator_traitsISI_E10value_typeEPNSO_ISJ_E10value_typeEPSK_NS1_7vsmem_tEENKUlT_SI_SJ_SK_E_clIPiSD_S10_SD_EESH_SX_SI_SJ_SK_EUlSX_E1_NS1_11comp_targetILNS1_3genE3ELNS1_11target_archE908ELNS1_3gpuE7ELNS1_3repE0EEENS1_36merge_oddeven_config_static_selectorELNS0_4arch9wavefront6targetE1EEEvSJ_
		.amdhsa_group_segment_fixed_size 0
		.amdhsa_private_segment_fixed_size 0
		.amdhsa_kernarg_size 48
		.amdhsa_user_sgpr_count 2
		.amdhsa_user_sgpr_dispatch_ptr 0
		.amdhsa_user_sgpr_queue_ptr 0
		.amdhsa_user_sgpr_kernarg_segment_ptr 1
		.amdhsa_user_sgpr_dispatch_id 0
		.amdhsa_user_sgpr_kernarg_preload_length 0
		.amdhsa_user_sgpr_kernarg_preload_offset 0
		.amdhsa_user_sgpr_private_segment_size 0
		.amdhsa_uses_dynamic_stack 0
		.amdhsa_enable_private_segment 0
		.amdhsa_system_sgpr_workgroup_id_x 1
		.amdhsa_system_sgpr_workgroup_id_y 0
		.amdhsa_system_sgpr_workgroup_id_z 0
		.amdhsa_system_sgpr_workgroup_info 0
		.amdhsa_system_vgpr_workitem_id 0
		.amdhsa_next_free_vgpr 1
		.amdhsa_next_free_sgpr 0
		.amdhsa_accum_offset 4
		.amdhsa_reserve_vcc 0
		.amdhsa_float_round_mode_32 0
		.amdhsa_float_round_mode_16_64 0
		.amdhsa_float_denorm_mode_32 3
		.amdhsa_float_denorm_mode_16_64 3
		.amdhsa_dx10_clamp 1
		.amdhsa_ieee_mode 1
		.amdhsa_fp16_overflow 0
		.amdhsa_tg_split 0
		.amdhsa_exception_fp_ieee_invalid_op 0
		.amdhsa_exception_fp_denorm_src 0
		.amdhsa_exception_fp_ieee_div_zero 0
		.amdhsa_exception_fp_ieee_overflow 0
		.amdhsa_exception_fp_ieee_underflow 0
		.amdhsa_exception_fp_ieee_inexact 0
		.amdhsa_exception_int_div_zero 0
	.end_amdhsa_kernel
	.section	.text._ZN7rocprim17ROCPRIM_400000_NS6detail17trampoline_kernelINS0_14default_configENS1_38merge_sort_block_merge_config_selectorIiiEEZZNS1_27merge_sort_block_merge_implIS3_N6thrust23THRUST_200600_302600_NS6detail15normal_iteratorINS8_10device_ptrIiEEEESD_jNS1_19radix_merge_compareILb0ELb1EiNS0_19identity_decomposerEEEEE10hipError_tT0_T1_T2_jT3_P12ihipStream_tbPNSt15iterator_traitsISI_E10value_typeEPNSO_ISJ_E10value_typeEPSK_NS1_7vsmem_tEENKUlT_SI_SJ_SK_E_clIPiSD_S10_SD_EESH_SX_SI_SJ_SK_EUlSX_E1_NS1_11comp_targetILNS1_3genE3ELNS1_11target_archE908ELNS1_3gpuE7ELNS1_3repE0EEENS1_36merge_oddeven_config_static_selectorELNS0_4arch9wavefront6targetE1EEEvSJ_,"axG",@progbits,_ZN7rocprim17ROCPRIM_400000_NS6detail17trampoline_kernelINS0_14default_configENS1_38merge_sort_block_merge_config_selectorIiiEEZZNS1_27merge_sort_block_merge_implIS3_N6thrust23THRUST_200600_302600_NS6detail15normal_iteratorINS8_10device_ptrIiEEEESD_jNS1_19radix_merge_compareILb0ELb1EiNS0_19identity_decomposerEEEEE10hipError_tT0_T1_T2_jT3_P12ihipStream_tbPNSt15iterator_traitsISI_E10value_typeEPNSO_ISJ_E10value_typeEPSK_NS1_7vsmem_tEENKUlT_SI_SJ_SK_E_clIPiSD_S10_SD_EESH_SX_SI_SJ_SK_EUlSX_E1_NS1_11comp_targetILNS1_3genE3ELNS1_11target_archE908ELNS1_3gpuE7ELNS1_3repE0EEENS1_36merge_oddeven_config_static_selectorELNS0_4arch9wavefront6targetE1EEEvSJ_,comdat
.Lfunc_end1364:
	.size	_ZN7rocprim17ROCPRIM_400000_NS6detail17trampoline_kernelINS0_14default_configENS1_38merge_sort_block_merge_config_selectorIiiEEZZNS1_27merge_sort_block_merge_implIS3_N6thrust23THRUST_200600_302600_NS6detail15normal_iteratorINS8_10device_ptrIiEEEESD_jNS1_19radix_merge_compareILb0ELb1EiNS0_19identity_decomposerEEEEE10hipError_tT0_T1_T2_jT3_P12ihipStream_tbPNSt15iterator_traitsISI_E10value_typeEPNSO_ISJ_E10value_typeEPSK_NS1_7vsmem_tEENKUlT_SI_SJ_SK_E_clIPiSD_S10_SD_EESH_SX_SI_SJ_SK_EUlSX_E1_NS1_11comp_targetILNS1_3genE3ELNS1_11target_archE908ELNS1_3gpuE7ELNS1_3repE0EEENS1_36merge_oddeven_config_static_selectorELNS0_4arch9wavefront6targetE1EEEvSJ_, .Lfunc_end1364-_ZN7rocprim17ROCPRIM_400000_NS6detail17trampoline_kernelINS0_14default_configENS1_38merge_sort_block_merge_config_selectorIiiEEZZNS1_27merge_sort_block_merge_implIS3_N6thrust23THRUST_200600_302600_NS6detail15normal_iteratorINS8_10device_ptrIiEEEESD_jNS1_19radix_merge_compareILb0ELb1EiNS0_19identity_decomposerEEEEE10hipError_tT0_T1_T2_jT3_P12ihipStream_tbPNSt15iterator_traitsISI_E10value_typeEPNSO_ISJ_E10value_typeEPSK_NS1_7vsmem_tEENKUlT_SI_SJ_SK_E_clIPiSD_S10_SD_EESH_SX_SI_SJ_SK_EUlSX_E1_NS1_11comp_targetILNS1_3genE3ELNS1_11target_archE908ELNS1_3gpuE7ELNS1_3repE0EEENS1_36merge_oddeven_config_static_selectorELNS0_4arch9wavefront6targetE1EEEvSJ_
                                        ; -- End function
	.set _ZN7rocprim17ROCPRIM_400000_NS6detail17trampoline_kernelINS0_14default_configENS1_38merge_sort_block_merge_config_selectorIiiEEZZNS1_27merge_sort_block_merge_implIS3_N6thrust23THRUST_200600_302600_NS6detail15normal_iteratorINS8_10device_ptrIiEEEESD_jNS1_19radix_merge_compareILb0ELb1EiNS0_19identity_decomposerEEEEE10hipError_tT0_T1_T2_jT3_P12ihipStream_tbPNSt15iterator_traitsISI_E10value_typeEPNSO_ISJ_E10value_typeEPSK_NS1_7vsmem_tEENKUlT_SI_SJ_SK_E_clIPiSD_S10_SD_EESH_SX_SI_SJ_SK_EUlSX_E1_NS1_11comp_targetILNS1_3genE3ELNS1_11target_archE908ELNS1_3gpuE7ELNS1_3repE0EEENS1_36merge_oddeven_config_static_selectorELNS0_4arch9wavefront6targetE1EEEvSJ_.num_vgpr, 0
	.set _ZN7rocprim17ROCPRIM_400000_NS6detail17trampoline_kernelINS0_14default_configENS1_38merge_sort_block_merge_config_selectorIiiEEZZNS1_27merge_sort_block_merge_implIS3_N6thrust23THRUST_200600_302600_NS6detail15normal_iteratorINS8_10device_ptrIiEEEESD_jNS1_19radix_merge_compareILb0ELb1EiNS0_19identity_decomposerEEEEE10hipError_tT0_T1_T2_jT3_P12ihipStream_tbPNSt15iterator_traitsISI_E10value_typeEPNSO_ISJ_E10value_typeEPSK_NS1_7vsmem_tEENKUlT_SI_SJ_SK_E_clIPiSD_S10_SD_EESH_SX_SI_SJ_SK_EUlSX_E1_NS1_11comp_targetILNS1_3genE3ELNS1_11target_archE908ELNS1_3gpuE7ELNS1_3repE0EEENS1_36merge_oddeven_config_static_selectorELNS0_4arch9wavefront6targetE1EEEvSJ_.num_agpr, 0
	.set _ZN7rocprim17ROCPRIM_400000_NS6detail17trampoline_kernelINS0_14default_configENS1_38merge_sort_block_merge_config_selectorIiiEEZZNS1_27merge_sort_block_merge_implIS3_N6thrust23THRUST_200600_302600_NS6detail15normal_iteratorINS8_10device_ptrIiEEEESD_jNS1_19radix_merge_compareILb0ELb1EiNS0_19identity_decomposerEEEEE10hipError_tT0_T1_T2_jT3_P12ihipStream_tbPNSt15iterator_traitsISI_E10value_typeEPNSO_ISJ_E10value_typeEPSK_NS1_7vsmem_tEENKUlT_SI_SJ_SK_E_clIPiSD_S10_SD_EESH_SX_SI_SJ_SK_EUlSX_E1_NS1_11comp_targetILNS1_3genE3ELNS1_11target_archE908ELNS1_3gpuE7ELNS1_3repE0EEENS1_36merge_oddeven_config_static_selectorELNS0_4arch9wavefront6targetE1EEEvSJ_.numbered_sgpr, 0
	.set _ZN7rocprim17ROCPRIM_400000_NS6detail17trampoline_kernelINS0_14default_configENS1_38merge_sort_block_merge_config_selectorIiiEEZZNS1_27merge_sort_block_merge_implIS3_N6thrust23THRUST_200600_302600_NS6detail15normal_iteratorINS8_10device_ptrIiEEEESD_jNS1_19radix_merge_compareILb0ELb1EiNS0_19identity_decomposerEEEEE10hipError_tT0_T1_T2_jT3_P12ihipStream_tbPNSt15iterator_traitsISI_E10value_typeEPNSO_ISJ_E10value_typeEPSK_NS1_7vsmem_tEENKUlT_SI_SJ_SK_E_clIPiSD_S10_SD_EESH_SX_SI_SJ_SK_EUlSX_E1_NS1_11comp_targetILNS1_3genE3ELNS1_11target_archE908ELNS1_3gpuE7ELNS1_3repE0EEENS1_36merge_oddeven_config_static_selectorELNS0_4arch9wavefront6targetE1EEEvSJ_.num_named_barrier, 0
	.set _ZN7rocprim17ROCPRIM_400000_NS6detail17trampoline_kernelINS0_14default_configENS1_38merge_sort_block_merge_config_selectorIiiEEZZNS1_27merge_sort_block_merge_implIS3_N6thrust23THRUST_200600_302600_NS6detail15normal_iteratorINS8_10device_ptrIiEEEESD_jNS1_19radix_merge_compareILb0ELb1EiNS0_19identity_decomposerEEEEE10hipError_tT0_T1_T2_jT3_P12ihipStream_tbPNSt15iterator_traitsISI_E10value_typeEPNSO_ISJ_E10value_typeEPSK_NS1_7vsmem_tEENKUlT_SI_SJ_SK_E_clIPiSD_S10_SD_EESH_SX_SI_SJ_SK_EUlSX_E1_NS1_11comp_targetILNS1_3genE3ELNS1_11target_archE908ELNS1_3gpuE7ELNS1_3repE0EEENS1_36merge_oddeven_config_static_selectorELNS0_4arch9wavefront6targetE1EEEvSJ_.private_seg_size, 0
	.set _ZN7rocprim17ROCPRIM_400000_NS6detail17trampoline_kernelINS0_14default_configENS1_38merge_sort_block_merge_config_selectorIiiEEZZNS1_27merge_sort_block_merge_implIS3_N6thrust23THRUST_200600_302600_NS6detail15normal_iteratorINS8_10device_ptrIiEEEESD_jNS1_19radix_merge_compareILb0ELb1EiNS0_19identity_decomposerEEEEE10hipError_tT0_T1_T2_jT3_P12ihipStream_tbPNSt15iterator_traitsISI_E10value_typeEPNSO_ISJ_E10value_typeEPSK_NS1_7vsmem_tEENKUlT_SI_SJ_SK_E_clIPiSD_S10_SD_EESH_SX_SI_SJ_SK_EUlSX_E1_NS1_11comp_targetILNS1_3genE3ELNS1_11target_archE908ELNS1_3gpuE7ELNS1_3repE0EEENS1_36merge_oddeven_config_static_selectorELNS0_4arch9wavefront6targetE1EEEvSJ_.uses_vcc, 0
	.set _ZN7rocprim17ROCPRIM_400000_NS6detail17trampoline_kernelINS0_14default_configENS1_38merge_sort_block_merge_config_selectorIiiEEZZNS1_27merge_sort_block_merge_implIS3_N6thrust23THRUST_200600_302600_NS6detail15normal_iteratorINS8_10device_ptrIiEEEESD_jNS1_19radix_merge_compareILb0ELb1EiNS0_19identity_decomposerEEEEE10hipError_tT0_T1_T2_jT3_P12ihipStream_tbPNSt15iterator_traitsISI_E10value_typeEPNSO_ISJ_E10value_typeEPSK_NS1_7vsmem_tEENKUlT_SI_SJ_SK_E_clIPiSD_S10_SD_EESH_SX_SI_SJ_SK_EUlSX_E1_NS1_11comp_targetILNS1_3genE3ELNS1_11target_archE908ELNS1_3gpuE7ELNS1_3repE0EEENS1_36merge_oddeven_config_static_selectorELNS0_4arch9wavefront6targetE1EEEvSJ_.uses_flat_scratch, 0
	.set _ZN7rocprim17ROCPRIM_400000_NS6detail17trampoline_kernelINS0_14default_configENS1_38merge_sort_block_merge_config_selectorIiiEEZZNS1_27merge_sort_block_merge_implIS3_N6thrust23THRUST_200600_302600_NS6detail15normal_iteratorINS8_10device_ptrIiEEEESD_jNS1_19radix_merge_compareILb0ELb1EiNS0_19identity_decomposerEEEEE10hipError_tT0_T1_T2_jT3_P12ihipStream_tbPNSt15iterator_traitsISI_E10value_typeEPNSO_ISJ_E10value_typeEPSK_NS1_7vsmem_tEENKUlT_SI_SJ_SK_E_clIPiSD_S10_SD_EESH_SX_SI_SJ_SK_EUlSX_E1_NS1_11comp_targetILNS1_3genE3ELNS1_11target_archE908ELNS1_3gpuE7ELNS1_3repE0EEENS1_36merge_oddeven_config_static_selectorELNS0_4arch9wavefront6targetE1EEEvSJ_.has_dyn_sized_stack, 0
	.set _ZN7rocprim17ROCPRIM_400000_NS6detail17trampoline_kernelINS0_14default_configENS1_38merge_sort_block_merge_config_selectorIiiEEZZNS1_27merge_sort_block_merge_implIS3_N6thrust23THRUST_200600_302600_NS6detail15normal_iteratorINS8_10device_ptrIiEEEESD_jNS1_19radix_merge_compareILb0ELb1EiNS0_19identity_decomposerEEEEE10hipError_tT0_T1_T2_jT3_P12ihipStream_tbPNSt15iterator_traitsISI_E10value_typeEPNSO_ISJ_E10value_typeEPSK_NS1_7vsmem_tEENKUlT_SI_SJ_SK_E_clIPiSD_S10_SD_EESH_SX_SI_SJ_SK_EUlSX_E1_NS1_11comp_targetILNS1_3genE3ELNS1_11target_archE908ELNS1_3gpuE7ELNS1_3repE0EEENS1_36merge_oddeven_config_static_selectorELNS0_4arch9wavefront6targetE1EEEvSJ_.has_recursion, 0
	.set _ZN7rocprim17ROCPRIM_400000_NS6detail17trampoline_kernelINS0_14default_configENS1_38merge_sort_block_merge_config_selectorIiiEEZZNS1_27merge_sort_block_merge_implIS3_N6thrust23THRUST_200600_302600_NS6detail15normal_iteratorINS8_10device_ptrIiEEEESD_jNS1_19radix_merge_compareILb0ELb1EiNS0_19identity_decomposerEEEEE10hipError_tT0_T1_T2_jT3_P12ihipStream_tbPNSt15iterator_traitsISI_E10value_typeEPNSO_ISJ_E10value_typeEPSK_NS1_7vsmem_tEENKUlT_SI_SJ_SK_E_clIPiSD_S10_SD_EESH_SX_SI_SJ_SK_EUlSX_E1_NS1_11comp_targetILNS1_3genE3ELNS1_11target_archE908ELNS1_3gpuE7ELNS1_3repE0EEENS1_36merge_oddeven_config_static_selectorELNS0_4arch9wavefront6targetE1EEEvSJ_.has_indirect_call, 0
	.section	.AMDGPU.csdata,"",@progbits
; Kernel info:
; codeLenInByte = 0
; TotalNumSgprs: 6
; NumVgprs: 0
; NumAgprs: 0
; TotalNumVgprs: 0
; ScratchSize: 0
; MemoryBound: 0
; FloatMode: 240
; IeeeMode: 1
; LDSByteSize: 0 bytes/workgroup (compile time only)
; SGPRBlocks: 0
; VGPRBlocks: 0
; NumSGPRsForWavesPerEU: 6
; NumVGPRsForWavesPerEU: 1
; AccumOffset: 4
; Occupancy: 8
; WaveLimiterHint : 0
; COMPUTE_PGM_RSRC2:SCRATCH_EN: 0
; COMPUTE_PGM_RSRC2:USER_SGPR: 2
; COMPUTE_PGM_RSRC2:TRAP_HANDLER: 0
; COMPUTE_PGM_RSRC2:TGID_X_EN: 1
; COMPUTE_PGM_RSRC2:TGID_Y_EN: 0
; COMPUTE_PGM_RSRC2:TGID_Z_EN: 0
; COMPUTE_PGM_RSRC2:TIDIG_COMP_CNT: 0
; COMPUTE_PGM_RSRC3_GFX90A:ACCUM_OFFSET: 0
; COMPUTE_PGM_RSRC3_GFX90A:TG_SPLIT: 0
	.section	.text._ZN7rocprim17ROCPRIM_400000_NS6detail17trampoline_kernelINS0_14default_configENS1_38merge_sort_block_merge_config_selectorIiiEEZZNS1_27merge_sort_block_merge_implIS3_N6thrust23THRUST_200600_302600_NS6detail15normal_iteratorINS8_10device_ptrIiEEEESD_jNS1_19radix_merge_compareILb0ELb1EiNS0_19identity_decomposerEEEEE10hipError_tT0_T1_T2_jT3_P12ihipStream_tbPNSt15iterator_traitsISI_E10value_typeEPNSO_ISJ_E10value_typeEPSK_NS1_7vsmem_tEENKUlT_SI_SJ_SK_E_clIPiSD_S10_SD_EESH_SX_SI_SJ_SK_EUlSX_E1_NS1_11comp_targetILNS1_3genE2ELNS1_11target_archE906ELNS1_3gpuE6ELNS1_3repE0EEENS1_36merge_oddeven_config_static_selectorELNS0_4arch9wavefront6targetE1EEEvSJ_,"axG",@progbits,_ZN7rocprim17ROCPRIM_400000_NS6detail17trampoline_kernelINS0_14default_configENS1_38merge_sort_block_merge_config_selectorIiiEEZZNS1_27merge_sort_block_merge_implIS3_N6thrust23THRUST_200600_302600_NS6detail15normal_iteratorINS8_10device_ptrIiEEEESD_jNS1_19radix_merge_compareILb0ELb1EiNS0_19identity_decomposerEEEEE10hipError_tT0_T1_T2_jT3_P12ihipStream_tbPNSt15iterator_traitsISI_E10value_typeEPNSO_ISJ_E10value_typeEPSK_NS1_7vsmem_tEENKUlT_SI_SJ_SK_E_clIPiSD_S10_SD_EESH_SX_SI_SJ_SK_EUlSX_E1_NS1_11comp_targetILNS1_3genE2ELNS1_11target_archE906ELNS1_3gpuE6ELNS1_3repE0EEENS1_36merge_oddeven_config_static_selectorELNS0_4arch9wavefront6targetE1EEEvSJ_,comdat
	.protected	_ZN7rocprim17ROCPRIM_400000_NS6detail17trampoline_kernelINS0_14default_configENS1_38merge_sort_block_merge_config_selectorIiiEEZZNS1_27merge_sort_block_merge_implIS3_N6thrust23THRUST_200600_302600_NS6detail15normal_iteratorINS8_10device_ptrIiEEEESD_jNS1_19radix_merge_compareILb0ELb1EiNS0_19identity_decomposerEEEEE10hipError_tT0_T1_T2_jT3_P12ihipStream_tbPNSt15iterator_traitsISI_E10value_typeEPNSO_ISJ_E10value_typeEPSK_NS1_7vsmem_tEENKUlT_SI_SJ_SK_E_clIPiSD_S10_SD_EESH_SX_SI_SJ_SK_EUlSX_E1_NS1_11comp_targetILNS1_3genE2ELNS1_11target_archE906ELNS1_3gpuE6ELNS1_3repE0EEENS1_36merge_oddeven_config_static_selectorELNS0_4arch9wavefront6targetE1EEEvSJ_ ; -- Begin function _ZN7rocprim17ROCPRIM_400000_NS6detail17trampoline_kernelINS0_14default_configENS1_38merge_sort_block_merge_config_selectorIiiEEZZNS1_27merge_sort_block_merge_implIS3_N6thrust23THRUST_200600_302600_NS6detail15normal_iteratorINS8_10device_ptrIiEEEESD_jNS1_19radix_merge_compareILb0ELb1EiNS0_19identity_decomposerEEEEE10hipError_tT0_T1_T2_jT3_P12ihipStream_tbPNSt15iterator_traitsISI_E10value_typeEPNSO_ISJ_E10value_typeEPSK_NS1_7vsmem_tEENKUlT_SI_SJ_SK_E_clIPiSD_S10_SD_EESH_SX_SI_SJ_SK_EUlSX_E1_NS1_11comp_targetILNS1_3genE2ELNS1_11target_archE906ELNS1_3gpuE6ELNS1_3repE0EEENS1_36merge_oddeven_config_static_selectorELNS0_4arch9wavefront6targetE1EEEvSJ_
	.globl	_ZN7rocprim17ROCPRIM_400000_NS6detail17trampoline_kernelINS0_14default_configENS1_38merge_sort_block_merge_config_selectorIiiEEZZNS1_27merge_sort_block_merge_implIS3_N6thrust23THRUST_200600_302600_NS6detail15normal_iteratorINS8_10device_ptrIiEEEESD_jNS1_19radix_merge_compareILb0ELb1EiNS0_19identity_decomposerEEEEE10hipError_tT0_T1_T2_jT3_P12ihipStream_tbPNSt15iterator_traitsISI_E10value_typeEPNSO_ISJ_E10value_typeEPSK_NS1_7vsmem_tEENKUlT_SI_SJ_SK_E_clIPiSD_S10_SD_EESH_SX_SI_SJ_SK_EUlSX_E1_NS1_11comp_targetILNS1_3genE2ELNS1_11target_archE906ELNS1_3gpuE6ELNS1_3repE0EEENS1_36merge_oddeven_config_static_selectorELNS0_4arch9wavefront6targetE1EEEvSJ_
	.p2align	8
	.type	_ZN7rocprim17ROCPRIM_400000_NS6detail17trampoline_kernelINS0_14default_configENS1_38merge_sort_block_merge_config_selectorIiiEEZZNS1_27merge_sort_block_merge_implIS3_N6thrust23THRUST_200600_302600_NS6detail15normal_iteratorINS8_10device_ptrIiEEEESD_jNS1_19radix_merge_compareILb0ELb1EiNS0_19identity_decomposerEEEEE10hipError_tT0_T1_T2_jT3_P12ihipStream_tbPNSt15iterator_traitsISI_E10value_typeEPNSO_ISJ_E10value_typeEPSK_NS1_7vsmem_tEENKUlT_SI_SJ_SK_E_clIPiSD_S10_SD_EESH_SX_SI_SJ_SK_EUlSX_E1_NS1_11comp_targetILNS1_3genE2ELNS1_11target_archE906ELNS1_3gpuE6ELNS1_3repE0EEENS1_36merge_oddeven_config_static_selectorELNS0_4arch9wavefront6targetE1EEEvSJ_,@function
_ZN7rocprim17ROCPRIM_400000_NS6detail17trampoline_kernelINS0_14default_configENS1_38merge_sort_block_merge_config_selectorIiiEEZZNS1_27merge_sort_block_merge_implIS3_N6thrust23THRUST_200600_302600_NS6detail15normal_iteratorINS8_10device_ptrIiEEEESD_jNS1_19radix_merge_compareILb0ELb1EiNS0_19identity_decomposerEEEEE10hipError_tT0_T1_T2_jT3_P12ihipStream_tbPNSt15iterator_traitsISI_E10value_typeEPNSO_ISJ_E10value_typeEPSK_NS1_7vsmem_tEENKUlT_SI_SJ_SK_E_clIPiSD_S10_SD_EESH_SX_SI_SJ_SK_EUlSX_E1_NS1_11comp_targetILNS1_3genE2ELNS1_11target_archE906ELNS1_3gpuE6ELNS1_3repE0EEENS1_36merge_oddeven_config_static_selectorELNS0_4arch9wavefront6targetE1EEEvSJ_: ; @_ZN7rocprim17ROCPRIM_400000_NS6detail17trampoline_kernelINS0_14default_configENS1_38merge_sort_block_merge_config_selectorIiiEEZZNS1_27merge_sort_block_merge_implIS3_N6thrust23THRUST_200600_302600_NS6detail15normal_iteratorINS8_10device_ptrIiEEEESD_jNS1_19radix_merge_compareILb0ELb1EiNS0_19identity_decomposerEEEEE10hipError_tT0_T1_T2_jT3_P12ihipStream_tbPNSt15iterator_traitsISI_E10value_typeEPNSO_ISJ_E10value_typeEPSK_NS1_7vsmem_tEENKUlT_SI_SJ_SK_E_clIPiSD_S10_SD_EESH_SX_SI_SJ_SK_EUlSX_E1_NS1_11comp_targetILNS1_3genE2ELNS1_11target_archE906ELNS1_3gpuE6ELNS1_3repE0EEENS1_36merge_oddeven_config_static_selectorELNS0_4arch9wavefront6targetE1EEEvSJ_
; %bb.0:
	.section	.rodata,"a",@progbits
	.p2align	6, 0x0
	.amdhsa_kernel _ZN7rocprim17ROCPRIM_400000_NS6detail17trampoline_kernelINS0_14default_configENS1_38merge_sort_block_merge_config_selectorIiiEEZZNS1_27merge_sort_block_merge_implIS3_N6thrust23THRUST_200600_302600_NS6detail15normal_iteratorINS8_10device_ptrIiEEEESD_jNS1_19radix_merge_compareILb0ELb1EiNS0_19identity_decomposerEEEEE10hipError_tT0_T1_T2_jT3_P12ihipStream_tbPNSt15iterator_traitsISI_E10value_typeEPNSO_ISJ_E10value_typeEPSK_NS1_7vsmem_tEENKUlT_SI_SJ_SK_E_clIPiSD_S10_SD_EESH_SX_SI_SJ_SK_EUlSX_E1_NS1_11comp_targetILNS1_3genE2ELNS1_11target_archE906ELNS1_3gpuE6ELNS1_3repE0EEENS1_36merge_oddeven_config_static_selectorELNS0_4arch9wavefront6targetE1EEEvSJ_
		.amdhsa_group_segment_fixed_size 0
		.amdhsa_private_segment_fixed_size 0
		.amdhsa_kernarg_size 48
		.amdhsa_user_sgpr_count 2
		.amdhsa_user_sgpr_dispatch_ptr 0
		.amdhsa_user_sgpr_queue_ptr 0
		.amdhsa_user_sgpr_kernarg_segment_ptr 1
		.amdhsa_user_sgpr_dispatch_id 0
		.amdhsa_user_sgpr_kernarg_preload_length 0
		.amdhsa_user_sgpr_kernarg_preload_offset 0
		.amdhsa_user_sgpr_private_segment_size 0
		.amdhsa_uses_dynamic_stack 0
		.amdhsa_enable_private_segment 0
		.amdhsa_system_sgpr_workgroup_id_x 1
		.amdhsa_system_sgpr_workgroup_id_y 0
		.amdhsa_system_sgpr_workgroup_id_z 0
		.amdhsa_system_sgpr_workgroup_info 0
		.amdhsa_system_vgpr_workitem_id 0
		.amdhsa_next_free_vgpr 1
		.amdhsa_next_free_sgpr 0
		.amdhsa_accum_offset 4
		.amdhsa_reserve_vcc 0
		.amdhsa_float_round_mode_32 0
		.amdhsa_float_round_mode_16_64 0
		.amdhsa_float_denorm_mode_32 3
		.amdhsa_float_denorm_mode_16_64 3
		.amdhsa_dx10_clamp 1
		.amdhsa_ieee_mode 1
		.amdhsa_fp16_overflow 0
		.amdhsa_tg_split 0
		.amdhsa_exception_fp_ieee_invalid_op 0
		.amdhsa_exception_fp_denorm_src 0
		.amdhsa_exception_fp_ieee_div_zero 0
		.amdhsa_exception_fp_ieee_overflow 0
		.amdhsa_exception_fp_ieee_underflow 0
		.amdhsa_exception_fp_ieee_inexact 0
		.amdhsa_exception_int_div_zero 0
	.end_amdhsa_kernel
	.section	.text._ZN7rocprim17ROCPRIM_400000_NS6detail17trampoline_kernelINS0_14default_configENS1_38merge_sort_block_merge_config_selectorIiiEEZZNS1_27merge_sort_block_merge_implIS3_N6thrust23THRUST_200600_302600_NS6detail15normal_iteratorINS8_10device_ptrIiEEEESD_jNS1_19radix_merge_compareILb0ELb1EiNS0_19identity_decomposerEEEEE10hipError_tT0_T1_T2_jT3_P12ihipStream_tbPNSt15iterator_traitsISI_E10value_typeEPNSO_ISJ_E10value_typeEPSK_NS1_7vsmem_tEENKUlT_SI_SJ_SK_E_clIPiSD_S10_SD_EESH_SX_SI_SJ_SK_EUlSX_E1_NS1_11comp_targetILNS1_3genE2ELNS1_11target_archE906ELNS1_3gpuE6ELNS1_3repE0EEENS1_36merge_oddeven_config_static_selectorELNS0_4arch9wavefront6targetE1EEEvSJ_,"axG",@progbits,_ZN7rocprim17ROCPRIM_400000_NS6detail17trampoline_kernelINS0_14default_configENS1_38merge_sort_block_merge_config_selectorIiiEEZZNS1_27merge_sort_block_merge_implIS3_N6thrust23THRUST_200600_302600_NS6detail15normal_iteratorINS8_10device_ptrIiEEEESD_jNS1_19radix_merge_compareILb0ELb1EiNS0_19identity_decomposerEEEEE10hipError_tT0_T1_T2_jT3_P12ihipStream_tbPNSt15iterator_traitsISI_E10value_typeEPNSO_ISJ_E10value_typeEPSK_NS1_7vsmem_tEENKUlT_SI_SJ_SK_E_clIPiSD_S10_SD_EESH_SX_SI_SJ_SK_EUlSX_E1_NS1_11comp_targetILNS1_3genE2ELNS1_11target_archE906ELNS1_3gpuE6ELNS1_3repE0EEENS1_36merge_oddeven_config_static_selectorELNS0_4arch9wavefront6targetE1EEEvSJ_,comdat
.Lfunc_end1365:
	.size	_ZN7rocprim17ROCPRIM_400000_NS6detail17trampoline_kernelINS0_14default_configENS1_38merge_sort_block_merge_config_selectorIiiEEZZNS1_27merge_sort_block_merge_implIS3_N6thrust23THRUST_200600_302600_NS6detail15normal_iteratorINS8_10device_ptrIiEEEESD_jNS1_19radix_merge_compareILb0ELb1EiNS0_19identity_decomposerEEEEE10hipError_tT0_T1_T2_jT3_P12ihipStream_tbPNSt15iterator_traitsISI_E10value_typeEPNSO_ISJ_E10value_typeEPSK_NS1_7vsmem_tEENKUlT_SI_SJ_SK_E_clIPiSD_S10_SD_EESH_SX_SI_SJ_SK_EUlSX_E1_NS1_11comp_targetILNS1_3genE2ELNS1_11target_archE906ELNS1_3gpuE6ELNS1_3repE0EEENS1_36merge_oddeven_config_static_selectorELNS0_4arch9wavefront6targetE1EEEvSJ_, .Lfunc_end1365-_ZN7rocprim17ROCPRIM_400000_NS6detail17trampoline_kernelINS0_14default_configENS1_38merge_sort_block_merge_config_selectorIiiEEZZNS1_27merge_sort_block_merge_implIS3_N6thrust23THRUST_200600_302600_NS6detail15normal_iteratorINS8_10device_ptrIiEEEESD_jNS1_19radix_merge_compareILb0ELb1EiNS0_19identity_decomposerEEEEE10hipError_tT0_T1_T2_jT3_P12ihipStream_tbPNSt15iterator_traitsISI_E10value_typeEPNSO_ISJ_E10value_typeEPSK_NS1_7vsmem_tEENKUlT_SI_SJ_SK_E_clIPiSD_S10_SD_EESH_SX_SI_SJ_SK_EUlSX_E1_NS1_11comp_targetILNS1_3genE2ELNS1_11target_archE906ELNS1_3gpuE6ELNS1_3repE0EEENS1_36merge_oddeven_config_static_selectorELNS0_4arch9wavefront6targetE1EEEvSJ_
                                        ; -- End function
	.set _ZN7rocprim17ROCPRIM_400000_NS6detail17trampoline_kernelINS0_14default_configENS1_38merge_sort_block_merge_config_selectorIiiEEZZNS1_27merge_sort_block_merge_implIS3_N6thrust23THRUST_200600_302600_NS6detail15normal_iteratorINS8_10device_ptrIiEEEESD_jNS1_19radix_merge_compareILb0ELb1EiNS0_19identity_decomposerEEEEE10hipError_tT0_T1_T2_jT3_P12ihipStream_tbPNSt15iterator_traitsISI_E10value_typeEPNSO_ISJ_E10value_typeEPSK_NS1_7vsmem_tEENKUlT_SI_SJ_SK_E_clIPiSD_S10_SD_EESH_SX_SI_SJ_SK_EUlSX_E1_NS1_11comp_targetILNS1_3genE2ELNS1_11target_archE906ELNS1_3gpuE6ELNS1_3repE0EEENS1_36merge_oddeven_config_static_selectorELNS0_4arch9wavefront6targetE1EEEvSJ_.num_vgpr, 0
	.set _ZN7rocprim17ROCPRIM_400000_NS6detail17trampoline_kernelINS0_14default_configENS1_38merge_sort_block_merge_config_selectorIiiEEZZNS1_27merge_sort_block_merge_implIS3_N6thrust23THRUST_200600_302600_NS6detail15normal_iteratorINS8_10device_ptrIiEEEESD_jNS1_19radix_merge_compareILb0ELb1EiNS0_19identity_decomposerEEEEE10hipError_tT0_T1_T2_jT3_P12ihipStream_tbPNSt15iterator_traitsISI_E10value_typeEPNSO_ISJ_E10value_typeEPSK_NS1_7vsmem_tEENKUlT_SI_SJ_SK_E_clIPiSD_S10_SD_EESH_SX_SI_SJ_SK_EUlSX_E1_NS1_11comp_targetILNS1_3genE2ELNS1_11target_archE906ELNS1_3gpuE6ELNS1_3repE0EEENS1_36merge_oddeven_config_static_selectorELNS0_4arch9wavefront6targetE1EEEvSJ_.num_agpr, 0
	.set _ZN7rocprim17ROCPRIM_400000_NS6detail17trampoline_kernelINS0_14default_configENS1_38merge_sort_block_merge_config_selectorIiiEEZZNS1_27merge_sort_block_merge_implIS3_N6thrust23THRUST_200600_302600_NS6detail15normal_iteratorINS8_10device_ptrIiEEEESD_jNS1_19radix_merge_compareILb0ELb1EiNS0_19identity_decomposerEEEEE10hipError_tT0_T1_T2_jT3_P12ihipStream_tbPNSt15iterator_traitsISI_E10value_typeEPNSO_ISJ_E10value_typeEPSK_NS1_7vsmem_tEENKUlT_SI_SJ_SK_E_clIPiSD_S10_SD_EESH_SX_SI_SJ_SK_EUlSX_E1_NS1_11comp_targetILNS1_3genE2ELNS1_11target_archE906ELNS1_3gpuE6ELNS1_3repE0EEENS1_36merge_oddeven_config_static_selectorELNS0_4arch9wavefront6targetE1EEEvSJ_.numbered_sgpr, 0
	.set _ZN7rocprim17ROCPRIM_400000_NS6detail17trampoline_kernelINS0_14default_configENS1_38merge_sort_block_merge_config_selectorIiiEEZZNS1_27merge_sort_block_merge_implIS3_N6thrust23THRUST_200600_302600_NS6detail15normal_iteratorINS8_10device_ptrIiEEEESD_jNS1_19radix_merge_compareILb0ELb1EiNS0_19identity_decomposerEEEEE10hipError_tT0_T1_T2_jT3_P12ihipStream_tbPNSt15iterator_traitsISI_E10value_typeEPNSO_ISJ_E10value_typeEPSK_NS1_7vsmem_tEENKUlT_SI_SJ_SK_E_clIPiSD_S10_SD_EESH_SX_SI_SJ_SK_EUlSX_E1_NS1_11comp_targetILNS1_3genE2ELNS1_11target_archE906ELNS1_3gpuE6ELNS1_3repE0EEENS1_36merge_oddeven_config_static_selectorELNS0_4arch9wavefront6targetE1EEEvSJ_.num_named_barrier, 0
	.set _ZN7rocprim17ROCPRIM_400000_NS6detail17trampoline_kernelINS0_14default_configENS1_38merge_sort_block_merge_config_selectorIiiEEZZNS1_27merge_sort_block_merge_implIS3_N6thrust23THRUST_200600_302600_NS6detail15normal_iteratorINS8_10device_ptrIiEEEESD_jNS1_19radix_merge_compareILb0ELb1EiNS0_19identity_decomposerEEEEE10hipError_tT0_T1_T2_jT3_P12ihipStream_tbPNSt15iterator_traitsISI_E10value_typeEPNSO_ISJ_E10value_typeEPSK_NS1_7vsmem_tEENKUlT_SI_SJ_SK_E_clIPiSD_S10_SD_EESH_SX_SI_SJ_SK_EUlSX_E1_NS1_11comp_targetILNS1_3genE2ELNS1_11target_archE906ELNS1_3gpuE6ELNS1_3repE0EEENS1_36merge_oddeven_config_static_selectorELNS0_4arch9wavefront6targetE1EEEvSJ_.private_seg_size, 0
	.set _ZN7rocprim17ROCPRIM_400000_NS6detail17trampoline_kernelINS0_14default_configENS1_38merge_sort_block_merge_config_selectorIiiEEZZNS1_27merge_sort_block_merge_implIS3_N6thrust23THRUST_200600_302600_NS6detail15normal_iteratorINS8_10device_ptrIiEEEESD_jNS1_19radix_merge_compareILb0ELb1EiNS0_19identity_decomposerEEEEE10hipError_tT0_T1_T2_jT3_P12ihipStream_tbPNSt15iterator_traitsISI_E10value_typeEPNSO_ISJ_E10value_typeEPSK_NS1_7vsmem_tEENKUlT_SI_SJ_SK_E_clIPiSD_S10_SD_EESH_SX_SI_SJ_SK_EUlSX_E1_NS1_11comp_targetILNS1_3genE2ELNS1_11target_archE906ELNS1_3gpuE6ELNS1_3repE0EEENS1_36merge_oddeven_config_static_selectorELNS0_4arch9wavefront6targetE1EEEvSJ_.uses_vcc, 0
	.set _ZN7rocprim17ROCPRIM_400000_NS6detail17trampoline_kernelINS0_14default_configENS1_38merge_sort_block_merge_config_selectorIiiEEZZNS1_27merge_sort_block_merge_implIS3_N6thrust23THRUST_200600_302600_NS6detail15normal_iteratorINS8_10device_ptrIiEEEESD_jNS1_19radix_merge_compareILb0ELb1EiNS0_19identity_decomposerEEEEE10hipError_tT0_T1_T2_jT3_P12ihipStream_tbPNSt15iterator_traitsISI_E10value_typeEPNSO_ISJ_E10value_typeEPSK_NS1_7vsmem_tEENKUlT_SI_SJ_SK_E_clIPiSD_S10_SD_EESH_SX_SI_SJ_SK_EUlSX_E1_NS1_11comp_targetILNS1_3genE2ELNS1_11target_archE906ELNS1_3gpuE6ELNS1_3repE0EEENS1_36merge_oddeven_config_static_selectorELNS0_4arch9wavefront6targetE1EEEvSJ_.uses_flat_scratch, 0
	.set _ZN7rocprim17ROCPRIM_400000_NS6detail17trampoline_kernelINS0_14default_configENS1_38merge_sort_block_merge_config_selectorIiiEEZZNS1_27merge_sort_block_merge_implIS3_N6thrust23THRUST_200600_302600_NS6detail15normal_iteratorINS8_10device_ptrIiEEEESD_jNS1_19radix_merge_compareILb0ELb1EiNS0_19identity_decomposerEEEEE10hipError_tT0_T1_T2_jT3_P12ihipStream_tbPNSt15iterator_traitsISI_E10value_typeEPNSO_ISJ_E10value_typeEPSK_NS1_7vsmem_tEENKUlT_SI_SJ_SK_E_clIPiSD_S10_SD_EESH_SX_SI_SJ_SK_EUlSX_E1_NS1_11comp_targetILNS1_3genE2ELNS1_11target_archE906ELNS1_3gpuE6ELNS1_3repE0EEENS1_36merge_oddeven_config_static_selectorELNS0_4arch9wavefront6targetE1EEEvSJ_.has_dyn_sized_stack, 0
	.set _ZN7rocprim17ROCPRIM_400000_NS6detail17trampoline_kernelINS0_14default_configENS1_38merge_sort_block_merge_config_selectorIiiEEZZNS1_27merge_sort_block_merge_implIS3_N6thrust23THRUST_200600_302600_NS6detail15normal_iteratorINS8_10device_ptrIiEEEESD_jNS1_19radix_merge_compareILb0ELb1EiNS0_19identity_decomposerEEEEE10hipError_tT0_T1_T2_jT3_P12ihipStream_tbPNSt15iterator_traitsISI_E10value_typeEPNSO_ISJ_E10value_typeEPSK_NS1_7vsmem_tEENKUlT_SI_SJ_SK_E_clIPiSD_S10_SD_EESH_SX_SI_SJ_SK_EUlSX_E1_NS1_11comp_targetILNS1_3genE2ELNS1_11target_archE906ELNS1_3gpuE6ELNS1_3repE0EEENS1_36merge_oddeven_config_static_selectorELNS0_4arch9wavefront6targetE1EEEvSJ_.has_recursion, 0
	.set _ZN7rocprim17ROCPRIM_400000_NS6detail17trampoline_kernelINS0_14default_configENS1_38merge_sort_block_merge_config_selectorIiiEEZZNS1_27merge_sort_block_merge_implIS3_N6thrust23THRUST_200600_302600_NS6detail15normal_iteratorINS8_10device_ptrIiEEEESD_jNS1_19radix_merge_compareILb0ELb1EiNS0_19identity_decomposerEEEEE10hipError_tT0_T1_T2_jT3_P12ihipStream_tbPNSt15iterator_traitsISI_E10value_typeEPNSO_ISJ_E10value_typeEPSK_NS1_7vsmem_tEENKUlT_SI_SJ_SK_E_clIPiSD_S10_SD_EESH_SX_SI_SJ_SK_EUlSX_E1_NS1_11comp_targetILNS1_3genE2ELNS1_11target_archE906ELNS1_3gpuE6ELNS1_3repE0EEENS1_36merge_oddeven_config_static_selectorELNS0_4arch9wavefront6targetE1EEEvSJ_.has_indirect_call, 0
	.section	.AMDGPU.csdata,"",@progbits
; Kernel info:
; codeLenInByte = 0
; TotalNumSgprs: 6
; NumVgprs: 0
; NumAgprs: 0
; TotalNumVgprs: 0
; ScratchSize: 0
; MemoryBound: 0
; FloatMode: 240
; IeeeMode: 1
; LDSByteSize: 0 bytes/workgroup (compile time only)
; SGPRBlocks: 0
; VGPRBlocks: 0
; NumSGPRsForWavesPerEU: 6
; NumVGPRsForWavesPerEU: 1
; AccumOffset: 4
; Occupancy: 8
; WaveLimiterHint : 0
; COMPUTE_PGM_RSRC2:SCRATCH_EN: 0
; COMPUTE_PGM_RSRC2:USER_SGPR: 2
; COMPUTE_PGM_RSRC2:TRAP_HANDLER: 0
; COMPUTE_PGM_RSRC2:TGID_X_EN: 1
; COMPUTE_PGM_RSRC2:TGID_Y_EN: 0
; COMPUTE_PGM_RSRC2:TGID_Z_EN: 0
; COMPUTE_PGM_RSRC2:TIDIG_COMP_CNT: 0
; COMPUTE_PGM_RSRC3_GFX90A:ACCUM_OFFSET: 0
; COMPUTE_PGM_RSRC3_GFX90A:TG_SPLIT: 0
	.section	.text._ZN7rocprim17ROCPRIM_400000_NS6detail17trampoline_kernelINS0_14default_configENS1_38merge_sort_block_merge_config_selectorIiiEEZZNS1_27merge_sort_block_merge_implIS3_N6thrust23THRUST_200600_302600_NS6detail15normal_iteratorINS8_10device_ptrIiEEEESD_jNS1_19radix_merge_compareILb0ELb1EiNS0_19identity_decomposerEEEEE10hipError_tT0_T1_T2_jT3_P12ihipStream_tbPNSt15iterator_traitsISI_E10value_typeEPNSO_ISJ_E10value_typeEPSK_NS1_7vsmem_tEENKUlT_SI_SJ_SK_E_clIPiSD_S10_SD_EESH_SX_SI_SJ_SK_EUlSX_E1_NS1_11comp_targetILNS1_3genE9ELNS1_11target_archE1100ELNS1_3gpuE3ELNS1_3repE0EEENS1_36merge_oddeven_config_static_selectorELNS0_4arch9wavefront6targetE1EEEvSJ_,"axG",@progbits,_ZN7rocprim17ROCPRIM_400000_NS6detail17trampoline_kernelINS0_14default_configENS1_38merge_sort_block_merge_config_selectorIiiEEZZNS1_27merge_sort_block_merge_implIS3_N6thrust23THRUST_200600_302600_NS6detail15normal_iteratorINS8_10device_ptrIiEEEESD_jNS1_19radix_merge_compareILb0ELb1EiNS0_19identity_decomposerEEEEE10hipError_tT0_T1_T2_jT3_P12ihipStream_tbPNSt15iterator_traitsISI_E10value_typeEPNSO_ISJ_E10value_typeEPSK_NS1_7vsmem_tEENKUlT_SI_SJ_SK_E_clIPiSD_S10_SD_EESH_SX_SI_SJ_SK_EUlSX_E1_NS1_11comp_targetILNS1_3genE9ELNS1_11target_archE1100ELNS1_3gpuE3ELNS1_3repE0EEENS1_36merge_oddeven_config_static_selectorELNS0_4arch9wavefront6targetE1EEEvSJ_,comdat
	.protected	_ZN7rocprim17ROCPRIM_400000_NS6detail17trampoline_kernelINS0_14default_configENS1_38merge_sort_block_merge_config_selectorIiiEEZZNS1_27merge_sort_block_merge_implIS3_N6thrust23THRUST_200600_302600_NS6detail15normal_iteratorINS8_10device_ptrIiEEEESD_jNS1_19radix_merge_compareILb0ELb1EiNS0_19identity_decomposerEEEEE10hipError_tT0_T1_T2_jT3_P12ihipStream_tbPNSt15iterator_traitsISI_E10value_typeEPNSO_ISJ_E10value_typeEPSK_NS1_7vsmem_tEENKUlT_SI_SJ_SK_E_clIPiSD_S10_SD_EESH_SX_SI_SJ_SK_EUlSX_E1_NS1_11comp_targetILNS1_3genE9ELNS1_11target_archE1100ELNS1_3gpuE3ELNS1_3repE0EEENS1_36merge_oddeven_config_static_selectorELNS0_4arch9wavefront6targetE1EEEvSJ_ ; -- Begin function _ZN7rocprim17ROCPRIM_400000_NS6detail17trampoline_kernelINS0_14default_configENS1_38merge_sort_block_merge_config_selectorIiiEEZZNS1_27merge_sort_block_merge_implIS3_N6thrust23THRUST_200600_302600_NS6detail15normal_iteratorINS8_10device_ptrIiEEEESD_jNS1_19radix_merge_compareILb0ELb1EiNS0_19identity_decomposerEEEEE10hipError_tT0_T1_T2_jT3_P12ihipStream_tbPNSt15iterator_traitsISI_E10value_typeEPNSO_ISJ_E10value_typeEPSK_NS1_7vsmem_tEENKUlT_SI_SJ_SK_E_clIPiSD_S10_SD_EESH_SX_SI_SJ_SK_EUlSX_E1_NS1_11comp_targetILNS1_3genE9ELNS1_11target_archE1100ELNS1_3gpuE3ELNS1_3repE0EEENS1_36merge_oddeven_config_static_selectorELNS0_4arch9wavefront6targetE1EEEvSJ_
	.globl	_ZN7rocprim17ROCPRIM_400000_NS6detail17trampoline_kernelINS0_14default_configENS1_38merge_sort_block_merge_config_selectorIiiEEZZNS1_27merge_sort_block_merge_implIS3_N6thrust23THRUST_200600_302600_NS6detail15normal_iteratorINS8_10device_ptrIiEEEESD_jNS1_19radix_merge_compareILb0ELb1EiNS0_19identity_decomposerEEEEE10hipError_tT0_T1_T2_jT3_P12ihipStream_tbPNSt15iterator_traitsISI_E10value_typeEPNSO_ISJ_E10value_typeEPSK_NS1_7vsmem_tEENKUlT_SI_SJ_SK_E_clIPiSD_S10_SD_EESH_SX_SI_SJ_SK_EUlSX_E1_NS1_11comp_targetILNS1_3genE9ELNS1_11target_archE1100ELNS1_3gpuE3ELNS1_3repE0EEENS1_36merge_oddeven_config_static_selectorELNS0_4arch9wavefront6targetE1EEEvSJ_
	.p2align	8
	.type	_ZN7rocprim17ROCPRIM_400000_NS6detail17trampoline_kernelINS0_14default_configENS1_38merge_sort_block_merge_config_selectorIiiEEZZNS1_27merge_sort_block_merge_implIS3_N6thrust23THRUST_200600_302600_NS6detail15normal_iteratorINS8_10device_ptrIiEEEESD_jNS1_19radix_merge_compareILb0ELb1EiNS0_19identity_decomposerEEEEE10hipError_tT0_T1_T2_jT3_P12ihipStream_tbPNSt15iterator_traitsISI_E10value_typeEPNSO_ISJ_E10value_typeEPSK_NS1_7vsmem_tEENKUlT_SI_SJ_SK_E_clIPiSD_S10_SD_EESH_SX_SI_SJ_SK_EUlSX_E1_NS1_11comp_targetILNS1_3genE9ELNS1_11target_archE1100ELNS1_3gpuE3ELNS1_3repE0EEENS1_36merge_oddeven_config_static_selectorELNS0_4arch9wavefront6targetE1EEEvSJ_,@function
_ZN7rocprim17ROCPRIM_400000_NS6detail17trampoline_kernelINS0_14default_configENS1_38merge_sort_block_merge_config_selectorIiiEEZZNS1_27merge_sort_block_merge_implIS3_N6thrust23THRUST_200600_302600_NS6detail15normal_iteratorINS8_10device_ptrIiEEEESD_jNS1_19radix_merge_compareILb0ELb1EiNS0_19identity_decomposerEEEEE10hipError_tT0_T1_T2_jT3_P12ihipStream_tbPNSt15iterator_traitsISI_E10value_typeEPNSO_ISJ_E10value_typeEPSK_NS1_7vsmem_tEENKUlT_SI_SJ_SK_E_clIPiSD_S10_SD_EESH_SX_SI_SJ_SK_EUlSX_E1_NS1_11comp_targetILNS1_3genE9ELNS1_11target_archE1100ELNS1_3gpuE3ELNS1_3repE0EEENS1_36merge_oddeven_config_static_selectorELNS0_4arch9wavefront6targetE1EEEvSJ_: ; @_ZN7rocprim17ROCPRIM_400000_NS6detail17trampoline_kernelINS0_14default_configENS1_38merge_sort_block_merge_config_selectorIiiEEZZNS1_27merge_sort_block_merge_implIS3_N6thrust23THRUST_200600_302600_NS6detail15normal_iteratorINS8_10device_ptrIiEEEESD_jNS1_19radix_merge_compareILb0ELb1EiNS0_19identity_decomposerEEEEE10hipError_tT0_T1_T2_jT3_P12ihipStream_tbPNSt15iterator_traitsISI_E10value_typeEPNSO_ISJ_E10value_typeEPSK_NS1_7vsmem_tEENKUlT_SI_SJ_SK_E_clIPiSD_S10_SD_EESH_SX_SI_SJ_SK_EUlSX_E1_NS1_11comp_targetILNS1_3genE9ELNS1_11target_archE1100ELNS1_3gpuE3ELNS1_3repE0EEENS1_36merge_oddeven_config_static_selectorELNS0_4arch9wavefront6targetE1EEEvSJ_
; %bb.0:
	.section	.rodata,"a",@progbits
	.p2align	6, 0x0
	.amdhsa_kernel _ZN7rocprim17ROCPRIM_400000_NS6detail17trampoline_kernelINS0_14default_configENS1_38merge_sort_block_merge_config_selectorIiiEEZZNS1_27merge_sort_block_merge_implIS3_N6thrust23THRUST_200600_302600_NS6detail15normal_iteratorINS8_10device_ptrIiEEEESD_jNS1_19radix_merge_compareILb0ELb1EiNS0_19identity_decomposerEEEEE10hipError_tT0_T1_T2_jT3_P12ihipStream_tbPNSt15iterator_traitsISI_E10value_typeEPNSO_ISJ_E10value_typeEPSK_NS1_7vsmem_tEENKUlT_SI_SJ_SK_E_clIPiSD_S10_SD_EESH_SX_SI_SJ_SK_EUlSX_E1_NS1_11comp_targetILNS1_3genE9ELNS1_11target_archE1100ELNS1_3gpuE3ELNS1_3repE0EEENS1_36merge_oddeven_config_static_selectorELNS0_4arch9wavefront6targetE1EEEvSJ_
		.amdhsa_group_segment_fixed_size 0
		.amdhsa_private_segment_fixed_size 0
		.amdhsa_kernarg_size 48
		.amdhsa_user_sgpr_count 2
		.amdhsa_user_sgpr_dispatch_ptr 0
		.amdhsa_user_sgpr_queue_ptr 0
		.amdhsa_user_sgpr_kernarg_segment_ptr 1
		.amdhsa_user_sgpr_dispatch_id 0
		.amdhsa_user_sgpr_kernarg_preload_length 0
		.amdhsa_user_sgpr_kernarg_preload_offset 0
		.amdhsa_user_sgpr_private_segment_size 0
		.amdhsa_uses_dynamic_stack 0
		.amdhsa_enable_private_segment 0
		.amdhsa_system_sgpr_workgroup_id_x 1
		.amdhsa_system_sgpr_workgroup_id_y 0
		.amdhsa_system_sgpr_workgroup_id_z 0
		.amdhsa_system_sgpr_workgroup_info 0
		.amdhsa_system_vgpr_workitem_id 0
		.amdhsa_next_free_vgpr 1
		.amdhsa_next_free_sgpr 0
		.amdhsa_accum_offset 4
		.amdhsa_reserve_vcc 0
		.amdhsa_float_round_mode_32 0
		.amdhsa_float_round_mode_16_64 0
		.amdhsa_float_denorm_mode_32 3
		.amdhsa_float_denorm_mode_16_64 3
		.amdhsa_dx10_clamp 1
		.amdhsa_ieee_mode 1
		.amdhsa_fp16_overflow 0
		.amdhsa_tg_split 0
		.amdhsa_exception_fp_ieee_invalid_op 0
		.amdhsa_exception_fp_denorm_src 0
		.amdhsa_exception_fp_ieee_div_zero 0
		.amdhsa_exception_fp_ieee_overflow 0
		.amdhsa_exception_fp_ieee_underflow 0
		.amdhsa_exception_fp_ieee_inexact 0
		.amdhsa_exception_int_div_zero 0
	.end_amdhsa_kernel
	.section	.text._ZN7rocprim17ROCPRIM_400000_NS6detail17trampoline_kernelINS0_14default_configENS1_38merge_sort_block_merge_config_selectorIiiEEZZNS1_27merge_sort_block_merge_implIS3_N6thrust23THRUST_200600_302600_NS6detail15normal_iteratorINS8_10device_ptrIiEEEESD_jNS1_19radix_merge_compareILb0ELb1EiNS0_19identity_decomposerEEEEE10hipError_tT0_T1_T2_jT3_P12ihipStream_tbPNSt15iterator_traitsISI_E10value_typeEPNSO_ISJ_E10value_typeEPSK_NS1_7vsmem_tEENKUlT_SI_SJ_SK_E_clIPiSD_S10_SD_EESH_SX_SI_SJ_SK_EUlSX_E1_NS1_11comp_targetILNS1_3genE9ELNS1_11target_archE1100ELNS1_3gpuE3ELNS1_3repE0EEENS1_36merge_oddeven_config_static_selectorELNS0_4arch9wavefront6targetE1EEEvSJ_,"axG",@progbits,_ZN7rocprim17ROCPRIM_400000_NS6detail17trampoline_kernelINS0_14default_configENS1_38merge_sort_block_merge_config_selectorIiiEEZZNS1_27merge_sort_block_merge_implIS3_N6thrust23THRUST_200600_302600_NS6detail15normal_iteratorINS8_10device_ptrIiEEEESD_jNS1_19radix_merge_compareILb0ELb1EiNS0_19identity_decomposerEEEEE10hipError_tT0_T1_T2_jT3_P12ihipStream_tbPNSt15iterator_traitsISI_E10value_typeEPNSO_ISJ_E10value_typeEPSK_NS1_7vsmem_tEENKUlT_SI_SJ_SK_E_clIPiSD_S10_SD_EESH_SX_SI_SJ_SK_EUlSX_E1_NS1_11comp_targetILNS1_3genE9ELNS1_11target_archE1100ELNS1_3gpuE3ELNS1_3repE0EEENS1_36merge_oddeven_config_static_selectorELNS0_4arch9wavefront6targetE1EEEvSJ_,comdat
.Lfunc_end1366:
	.size	_ZN7rocprim17ROCPRIM_400000_NS6detail17trampoline_kernelINS0_14default_configENS1_38merge_sort_block_merge_config_selectorIiiEEZZNS1_27merge_sort_block_merge_implIS3_N6thrust23THRUST_200600_302600_NS6detail15normal_iteratorINS8_10device_ptrIiEEEESD_jNS1_19radix_merge_compareILb0ELb1EiNS0_19identity_decomposerEEEEE10hipError_tT0_T1_T2_jT3_P12ihipStream_tbPNSt15iterator_traitsISI_E10value_typeEPNSO_ISJ_E10value_typeEPSK_NS1_7vsmem_tEENKUlT_SI_SJ_SK_E_clIPiSD_S10_SD_EESH_SX_SI_SJ_SK_EUlSX_E1_NS1_11comp_targetILNS1_3genE9ELNS1_11target_archE1100ELNS1_3gpuE3ELNS1_3repE0EEENS1_36merge_oddeven_config_static_selectorELNS0_4arch9wavefront6targetE1EEEvSJ_, .Lfunc_end1366-_ZN7rocprim17ROCPRIM_400000_NS6detail17trampoline_kernelINS0_14default_configENS1_38merge_sort_block_merge_config_selectorIiiEEZZNS1_27merge_sort_block_merge_implIS3_N6thrust23THRUST_200600_302600_NS6detail15normal_iteratorINS8_10device_ptrIiEEEESD_jNS1_19radix_merge_compareILb0ELb1EiNS0_19identity_decomposerEEEEE10hipError_tT0_T1_T2_jT3_P12ihipStream_tbPNSt15iterator_traitsISI_E10value_typeEPNSO_ISJ_E10value_typeEPSK_NS1_7vsmem_tEENKUlT_SI_SJ_SK_E_clIPiSD_S10_SD_EESH_SX_SI_SJ_SK_EUlSX_E1_NS1_11comp_targetILNS1_3genE9ELNS1_11target_archE1100ELNS1_3gpuE3ELNS1_3repE0EEENS1_36merge_oddeven_config_static_selectorELNS0_4arch9wavefront6targetE1EEEvSJ_
                                        ; -- End function
	.set _ZN7rocprim17ROCPRIM_400000_NS6detail17trampoline_kernelINS0_14default_configENS1_38merge_sort_block_merge_config_selectorIiiEEZZNS1_27merge_sort_block_merge_implIS3_N6thrust23THRUST_200600_302600_NS6detail15normal_iteratorINS8_10device_ptrIiEEEESD_jNS1_19radix_merge_compareILb0ELb1EiNS0_19identity_decomposerEEEEE10hipError_tT0_T1_T2_jT3_P12ihipStream_tbPNSt15iterator_traitsISI_E10value_typeEPNSO_ISJ_E10value_typeEPSK_NS1_7vsmem_tEENKUlT_SI_SJ_SK_E_clIPiSD_S10_SD_EESH_SX_SI_SJ_SK_EUlSX_E1_NS1_11comp_targetILNS1_3genE9ELNS1_11target_archE1100ELNS1_3gpuE3ELNS1_3repE0EEENS1_36merge_oddeven_config_static_selectorELNS0_4arch9wavefront6targetE1EEEvSJ_.num_vgpr, 0
	.set _ZN7rocprim17ROCPRIM_400000_NS6detail17trampoline_kernelINS0_14default_configENS1_38merge_sort_block_merge_config_selectorIiiEEZZNS1_27merge_sort_block_merge_implIS3_N6thrust23THRUST_200600_302600_NS6detail15normal_iteratorINS8_10device_ptrIiEEEESD_jNS1_19radix_merge_compareILb0ELb1EiNS0_19identity_decomposerEEEEE10hipError_tT0_T1_T2_jT3_P12ihipStream_tbPNSt15iterator_traitsISI_E10value_typeEPNSO_ISJ_E10value_typeEPSK_NS1_7vsmem_tEENKUlT_SI_SJ_SK_E_clIPiSD_S10_SD_EESH_SX_SI_SJ_SK_EUlSX_E1_NS1_11comp_targetILNS1_3genE9ELNS1_11target_archE1100ELNS1_3gpuE3ELNS1_3repE0EEENS1_36merge_oddeven_config_static_selectorELNS0_4arch9wavefront6targetE1EEEvSJ_.num_agpr, 0
	.set _ZN7rocprim17ROCPRIM_400000_NS6detail17trampoline_kernelINS0_14default_configENS1_38merge_sort_block_merge_config_selectorIiiEEZZNS1_27merge_sort_block_merge_implIS3_N6thrust23THRUST_200600_302600_NS6detail15normal_iteratorINS8_10device_ptrIiEEEESD_jNS1_19radix_merge_compareILb0ELb1EiNS0_19identity_decomposerEEEEE10hipError_tT0_T1_T2_jT3_P12ihipStream_tbPNSt15iterator_traitsISI_E10value_typeEPNSO_ISJ_E10value_typeEPSK_NS1_7vsmem_tEENKUlT_SI_SJ_SK_E_clIPiSD_S10_SD_EESH_SX_SI_SJ_SK_EUlSX_E1_NS1_11comp_targetILNS1_3genE9ELNS1_11target_archE1100ELNS1_3gpuE3ELNS1_3repE0EEENS1_36merge_oddeven_config_static_selectorELNS0_4arch9wavefront6targetE1EEEvSJ_.numbered_sgpr, 0
	.set _ZN7rocprim17ROCPRIM_400000_NS6detail17trampoline_kernelINS0_14default_configENS1_38merge_sort_block_merge_config_selectorIiiEEZZNS1_27merge_sort_block_merge_implIS3_N6thrust23THRUST_200600_302600_NS6detail15normal_iteratorINS8_10device_ptrIiEEEESD_jNS1_19radix_merge_compareILb0ELb1EiNS0_19identity_decomposerEEEEE10hipError_tT0_T1_T2_jT3_P12ihipStream_tbPNSt15iterator_traitsISI_E10value_typeEPNSO_ISJ_E10value_typeEPSK_NS1_7vsmem_tEENKUlT_SI_SJ_SK_E_clIPiSD_S10_SD_EESH_SX_SI_SJ_SK_EUlSX_E1_NS1_11comp_targetILNS1_3genE9ELNS1_11target_archE1100ELNS1_3gpuE3ELNS1_3repE0EEENS1_36merge_oddeven_config_static_selectorELNS0_4arch9wavefront6targetE1EEEvSJ_.num_named_barrier, 0
	.set _ZN7rocprim17ROCPRIM_400000_NS6detail17trampoline_kernelINS0_14default_configENS1_38merge_sort_block_merge_config_selectorIiiEEZZNS1_27merge_sort_block_merge_implIS3_N6thrust23THRUST_200600_302600_NS6detail15normal_iteratorINS8_10device_ptrIiEEEESD_jNS1_19radix_merge_compareILb0ELb1EiNS0_19identity_decomposerEEEEE10hipError_tT0_T1_T2_jT3_P12ihipStream_tbPNSt15iterator_traitsISI_E10value_typeEPNSO_ISJ_E10value_typeEPSK_NS1_7vsmem_tEENKUlT_SI_SJ_SK_E_clIPiSD_S10_SD_EESH_SX_SI_SJ_SK_EUlSX_E1_NS1_11comp_targetILNS1_3genE9ELNS1_11target_archE1100ELNS1_3gpuE3ELNS1_3repE0EEENS1_36merge_oddeven_config_static_selectorELNS0_4arch9wavefront6targetE1EEEvSJ_.private_seg_size, 0
	.set _ZN7rocprim17ROCPRIM_400000_NS6detail17trampoline_kernelINS0_14default_configENS1_38merge_sort_block_merge_config_selectorIiiEEZZNS1_27merge_sort_block_merge_implIS3_N6thrust23THRUST_200600_302600_NS6detail15normal_iteratorINS8_10device_ptrIiEEEESD_jNS1_19radix_merge_compareILb0ELb1EiNS0_19identity_decomposerEEEEE10hipError_tT0_T1_T2_jT3_P12ihipStream_tbPNSt15iterator_traitsISI_E10value_typeEPNSO_ISJ_E10value_typeEPSK_NS1_7vsmem_tEENKUlT_SI_SJ_SK_E_clIPiSD_S10_SD_EESH_SX_SI_SJ_SK_EUlSX_E1_NS1_11comp_targetILNS1_3genE9ELNS1_11target_archE1100ELNS1_3gpuE3ELNS1_3repE0EEENS1_36merge_oddeven_config_static_selectorELNS0_4arch9wavefront6targetE1EEEvSJ_.uses_vcc, 0
	.set _ZN7rocprim17ROCPRIM_400000_NS6detail17trampoline_kernelINS0_14default_configENS1_38merge_sort_block_merge_config_selectorIiiEEZZNS1_27merge_sort_block_merge_implIS3_N6thrust23THRUST_200600_302600_NS6detail15normal_iteratorINS8_10device_ptrIiEEEESD_jNS1_19radix_merge_compareILb0ELb1EiNS0_19identity_decomposerEEEEE10hipError_tT0_T1_T2_jT3_P12ihipStream_tbPNSt15iterator_traitsISI_E10value_typeEPNSO_ISJ_E10value_typeEPSK_NS1_7vsmem_tEENKUlT_SI_SJ_SK_E_clIPiSD_S10_SD_EESH_SX_SI_SJ_SK_EUlSX_E1_NS1_11comp_targetILNS1_3genE9ELNS1_11target_archE1100ELNS1_3gpuE3ELNS1_3repE0EEENS1_36merge_oddeven_config_static_selectorELNS0_4arch9wavefront6targetE1EEEvSJ_.uses_flat_scratch, 0
	.set _ZN7rocprim17ROCPRIM_400000_NS6detail17trampoline_kernelINS0_14default_configENS1_38merge_sort_block_merge_config_selectorIiiEEZZNS1_27merge_sort_block_merge_implIS3_N6thrust23THRUST_200600_302600_NS6detail15normal_iteratorINS8_10device_ptrIiEEEESD_jNS1_19radix_merge_compareILb0ELb1EiNS0_19identity_decomposerEEEEE10hipError_tT0_T1_T2_jT3_P12ihipStream_tbPNSt15iterator_traitsISI_E10value_typeEPNSO_ISJ_E10value_typeEPSK_NS1_7vsmem_tEENKUlT_SI_SJ_SK_E_clIPiSD_S10_SD_EESH_SX_SI_SJ_SK_EUlSX_E1_NS1_11comp_targetILNS1_3genE9ELNS1_11target_archE1100ELNS1_3gpuE3ELNS1_3repE0EEENS1_36merge_oddeven_config_static_selectorELNS0_4arch9wavefront6targetE1EEEvSJ_.has_dyn_sized_stack, 0
	.set _ZN7rocprim17ROCPRIM_400000_NS6detail17trampoline_kernelINS0_14default_configENS1_38merge_sort_block_merge_config_selectorIiiEEZZNS1_27merge_sort_block_merge_implIS3_N6thrust23THRUST_200600_302600_NS6detail15normal_iteratorINS8_10device_ptrIiEEEESD_jNS1_19radix_merge_compareILb0ELb1EiNS0_19identity_decomposerEEEEE10hipError_tT0_T1_T2_jT3_P12ihipStream_tbPNSt15iterator_traitsISI_E10value_typeEPNSO_ISJ_E10value_typeEPSK_NS1_7vsmem_tEENKUlT_SI_SJ_SK_E_clIPiSD_S10_SD_EESH_SX_SI_SJ_SK_EUlSX_E1_NS1_11comp_targetILNS1_3genE9ELNS1_11target_archE1100ELNS1_3gpuE3ELNS1_3repE0EEENS1_36merge_oddeven_config_static_selectorELNS0_4arch9wavefront6targetE1EEEvSJ_.has_recursion, 0
	.set _ZN7rocprim17ROCPRIM_400000_NS6detail17trampoline_kernelINS0_14default_configENS1_38merge_sort_block_merge_config_selectorIiiEEZZNS1_27merge_sort_block_merge_implIS3_N6thrust23THRUST_200600_302600_NS6detail15normal_iteratorINS8_10device_ptrIiEEEESD_jNS1_19radix_merge_compareILb0ELb1EiNS0_19identity_decomposerEEEEE10hipError_tT0_T1_T2_jT3_P12ihipStream_tbPNSt15iterator_traitsISI_E10value_typeEPNSO_ISJ_E10value_typeEPSK_NS1_7vsmem_tEENKUlT_SI_SJ_SK_E_clIPiSD_S10_SD_EESH_SX_SI_SJ_SK_EUlSX_E1_NS1_11comp_targetILNS1_3genE9ELNS1_11target_archE1100ELNS1_3gpuE3ELNS1_3repE0EEENS1_36merge_oddeven_config_static_selectorELNS0_4arch9wavefront6targetE1EEEvSJ_.has_indirect_call, 0
	.section	.AMDGPU.csdata,"",@progbits
; Kernel info:
; codeLenInByte = 0
; TotalNumSgprs: 6
; NumVgprs: 0
; NumAgprs: 0
; TotalNumVgprs: 0
; ScratchSize: 0
; MemoryBound: 0
; FloatMode: 240
; IeeeMode: 1
; LDSByteSize: 0 bytes/workgroup (compile time only)
; SGPRBlocks: 0
; VGPRBlocks: 0
; NumSGPRsForWavesPerEU: 6
; NumVGPRsForWavesPerEU: 1
; AccumOffset: 4
; Occupancy: 8
; WaveLimiterHint : 0
; COMPUTE_PGM_RSRC2:SCRATCH_EN: 0
; COMPUTE_PGM_RSRC2:USER_SGPR: 2
; COMPUTE_PGM_RSRC2:TRAP_HANDLER: 0
; COMPUTE_PGM_RSRC2:TGID_X_EN: 1
; COMPUTE_PGM_RSRC2:TGID_Y_EN: 0
; COMPUTE_PGM_RSRC2:TGID_Z_EN: 0
; COMPUTE_PGM_RSRC2:TIDIG_COMP_CNT: 0
; COMPUTE_PGM_RSRC3_GFX90A:ACCUM_OFFSET: 0
; COMPUTE_PGM_RSRC3_GFX90A:TG_SPLIT: 0
	.section	.text._ZN7rocprim17ROCPRIM_400000_NS6detail17trampoline_kernelINS0_14default_configENS1_38merge_sort_block_merge_config_selectorIiiEEZZNS1_27merge_sort_block_merge_implIS3_N6thrust23THRUST_200600_302600_NS6detail15normal_iteratorINS8_10device_ptrIiEEEESD_jNS1_19radix_merge_compareILb0ELb1EiNS0_19identity_decomposerEEEEE10hipError_tT0_T1_T2_jT3_P12ihipStream_tbPNSt15iterator_traitsISI_E10value_typeEPNSO_ISJ_E10value_typeEPSK_NS1_7vsmem_tEENKUlT_SI_SJ_SK_E_clIPiSD_S10_SD_EESH_SX_SI_SJ_SK_EUlSX_E1_NS1_11comp_targetILNS1_3genE8ELNS1_11target_archE1030ELNS1_3gpuE2ELNS1_3repE0EEENS1_36merge_oddeven_config_static_selectorELNS0_4arch9wavefront6targetE1EEEvSJ_,"axG",@progbits,_ZN7rocprim17ROCPRIM_400000_NS6detail17trampoline_kernelINS0_14default_configENS1_38merge_sort_block_merge_config_selectorIiiEEZZNS1_27merge_sort_block_merge_implIS3_N6thrust23THRUST_200600_302600_NS6detail15normal_iteratorINS8_10device_ptrIiEEEESD_jNS1_19radix_merge_compareILb0ELb1EiNS0_19identity_decomposerEEEEE10hipError_tT0_T1_T2_jT3_P12ihipStream_tbPNSt15iterator_traitsISI_E10value_typeEPNSO_ISJ_E10value_typeEPSK_NS1_7vsmem_tEENKUlT_SI_SJ_SK_E_clIPiSD_S10_SD_EESH_SX_SI_SJ_SK_EUlSX_E1_NS1_11comp_targetILNS1_3genE8ELNS1_11target_archE1030ELNS1_3gpuE2ELNS1_3repE0EEENS1_36merge_oddeven_config_static_selectorELNS0_4arch9wavefront6targetE1EEEvSJ_,comdat
	.protected	_ZN7rocprim17ROCPRIM_400000_NS6detail17trampoline_kernelINS0_14default_configENS1_38merge_sort_block_merge_config_selectorIiiEEZZNS1_27merge_sort_block_merge_implIS3_N6thrust23THRUST_200600_302600_NS6detail15normal_iteratorINS8_10device_ptrIiEEEESD_jNS1_19radix_merge_compareILb0ELb1EiNS0_19identity_decomposerEEEEE10hipError_tT0_T1_T2_jT3_P12ihipStream_tbPNSt15iterator_traitsISI_E10value_typeEPNSO_ISJ_E10value_typeEPSK_NS1_7vsmem_tEENKUlT_SI_SJ_SK_E_clIPiSD_S10_SD_EESH_SX_SI_SJ_SK_EUlSX_E1_NS1_11comp_targetILNS1_3genE8ELNS1_11target_archE1030ELNS1_3gpuE2ELNS1_3repE0EEENS1_36merge_oddeven_config_static_selectorELNS0_4arch9wavefront6targetE1EEEvSJ_ ; -- Begin function _ZN7rocprim17ROCPRIM_400000_NS6detail17trampoline_kernelINS0_14default_configENS1_38merge_sort_block_merge_config_selectorIiiEEZZNS1_27merge_sort_block_merge_implIS3_N6thrust23THRUST_200600_302600_NS6detail15normal_iteratorINS8_10device_ptrIiEEEESD_jNS1_19radix_merge_compareILb0ELb1EiNS0_19identity_decomposerEEEEE10hipError_tT0_T1_T2_jT3_P12ihipStream_tbPNSt15iterator_traitsISI_E10value_typeEPNSO_ISJ_E10value_typeEPSK_NS1_7vsmem_tEENKUlT_SI_SJ_SK_E_clIPiSD_S10_SD_EESH_SX_SI_SJ_SK_EUlSX_E1_NS1_11comp_targetILNS1_3genE8ELNS1_11target_archE1030ELNS1_3gpuE2ELNS1_3repE0EEENS1_36merge_oddeven_config_static_selectorELNS0_4arch9wavefront6targetE1EEEvSJ_
	.globl	_ZN7rocprim17ROCPRIM_400000_NS6detail17trampoline_kernelINS0_14default_configENS1_38merge_sort_block_merge_config_selectorIiiEEZZNS1_27merge_sort_block_merge_implIS3_N6thrust23THRUST_200600_302600_NS6detail15normal_iteratorINS8_10device_ptrIiEEEESD_jNS1_19radix_merge_compareILb0ELb1EiNS0_19identity_decomposerEEEEE10hipError_tT0_T1_T2_jT3_P12ihipStream_tbPNSt15iterator_traitsISI_E10value_typeEPNSO_ISJ_E10value_typeEPSK_NS1_7vsmem_tEENKUlT_SI_SJ_SK_E_clIPiSD_S10_SD_EESH_SX_SI_SJ_SK_EUlSX_E1_NS1_11comp_targetILNS1_3genE8ELNS1_11target_archE1030ELNS1_3gpuE2ELNS1_3repE0EEENS1_36merge_oddeven_config_static_selectorELNS0_4arch9wavefront6targetE1EEEvSJ_
	.p2align	8
	.type	_ZN7rocprim17ROCPRIM_400000_NS6detail17trampoline_kernelINS0_14default_configENS1_38merge_sort_block_merge_config_selectorIiiEEZZNS1_27merge_sort_block_merge_implIS3_N6thrust23THRUST_200600_302600_NS6detail15normal_iteratorINS8_10device_ptrIiEEEESD_jNS1_19radix_merge_compareILb0ELb1EiNS0_19identity_decomposerEEEEE10hipError_tT0_T1_T2_jT3_P12ihipStream_tbPNSt15iterator_traitsISI_E10value_typeEPNSO_ISJ_E10value_typeEPSK_NS1_7vsmem_tEENKUlT_SI_SJ_SK_E_clIPiSD_S10_SD_EESH_SX_SI_SJ_SK_EUlSX_E1_NS1_11comp_targetILNS1_3genE8ELNS1_11target_archE1030ELNS1_3gpuE2ELNS1_3repE0EEENS1_36merge_oddeven_config_static_selectorELNS0_4arch9wavefront6targetE1EEEvSJ_,@function
_ZN7rocprim17ROCPRIM_400000_NS6detail17trampoline_kernelINS0_14default_configENS1_38merge_sort_block_merge_config_selectorIiiEEZZNS1_27merge_sort_block_merge_implIS3_N6thrust23THRUST_200600_302600_NS6detail15normal_iteratorINS8_10device_ptrIiEEEESD_jNS1_19radix_merge_compareILb0ELb1EiNS0_19identity_decomposerEEEEE10hipError_tT0_T1_T2_jT3_P12ihipStream_tbPNSt15iterator_traitsISI_E10value_typeEPNSO_ISJ_E10value_typeEPSK_NS1_7vsmem_tEENKUlT_SI_SJ_SK_E_clIPiSD_S10_SD_EESH_SX_SI_SJ_SK_EUlSX_E1_NS1_11comp_targetILNS1_3genE8ELNS1_11target_archE1030ELNS1_3gpuE2ELNS1_3repE0EEENS1_36merge_oddeven_config_static_selectorELNS0_4arch9wavefront6targetE1EEEvSJ_: ; @_ZN7rocprim17ROCPRIM_400000_NS6detail17trampoline_kernelINS0_14default_configENS1_38merge_sort_block_merge_config_selectorIiiEEZZNS1_27merge_sort_block_merge_implIS3_N6thrust23THRUST_200600_302600_NS6detail15normal_iteratorINS8_10device_ptrIiEEEESD_jNS1_19radix_merge_compareILb0ELb1EiNS0_19identity_decomposerEEEEE10hipError_tT0_T1_T2_jT3_P12ihipStream_tbPNSt15iterator_traitsISI_E10value_typeEPNSO_ISJ_E10value_typeEPSK_NS1_7vsmem_tEENKUlT_SI_SJ_SK_E_clIPiSD_S10_SD_EESH_SX_SI_SJ_SK_EUlSX_E1_NS1_11comp_targetILNS1_3genE8ELNS1_11target_archE1030ELNS1_3gpuE2ELNS1_3repE0EEENS1_36merge_oddeven_config_static_selectorELNS0_4arch9wavefront6targetE1EEEvSJ_
; %bb.0:
	.section	.rodata,"a",@progbits
	.p2align	6, 0x0
	.amdhsa_kernel _ZN7rocprim17ROCPRIM_400000_NS6detail17trampoline_kernelINS0_14default_configENS1_38merge_sort_block_merge_config_selectorIiiEEZZNS1_27merge_sort_block_merge_implIS3_N6thrust23THRUST_200600_302600_NS6detail15normal_iteratorINS8_10device_ptrIiEEEESD_jNS1_19radix_merge_compareILb0ELb1EiNS0_19identity_decomposerEEEEE10hipError_tT0_T1_T2_jT3_P12ihipStream_tbPNSt15iterator_traitsISI_E10value_typeEPNSO_ISJ_E10value_typeEPSK_NS1_7vsmem_tEENKUlT_SI_SJ_SK_E_clIPiSD_S10_SD_EESH_SX_SI_SJ_SK_EUlSX_E1_NS1_11comp_targetILNS1_3genE8ELNS1_11target_archE1030ELNS1_3gpuE2ELNS1_3repE0EEENS1_36merge_oddeven_config_static_selectorELNS0_4arch9wavefront6targetE1EEEvSJ_
		.amdhsa_group_segment_fixed_size 0
		.amdhsa_private_segment_fixed_size 0
		.amdhsa_kernarg_size 48
		.amdhsa_user_sgpr_count 2
		.amdhsa_user_sgpr_dispatch_ptr 0
		.amdhsa_user_sgpr_queue_ptr 0
		.amdhsa_user_sgpr_kernarg_segment_ptr 1
		.amdhsa_user_sgpr_dispatch_id 0
		.amdhsa_user_sgpr_kernarg_preload_length 0
		.amdhsa_user_sgpr_kernarg_preload_offset 0
		.amdhsa_user_sgpr_private_segment_size 0
		.amdhsa_uses_dynamic_stack 0
		.amdhsa_enable_private_segment 0
		.amdhsa_system_sgpr_workgroup_id_x 1
		.amdhsa_system_sgpr_workgroup_id_y 0
		.amdhsa_system_sgpr_workgroup_id_z 0
		.amdhsa_system_sgpr_workgroup_info 0
		.amdhsa_system_vgpr_workitem_id 0
		.amdhsa_next_free_vgpr 1
		.amdhsa_next_free_sgpr 0
		.amdhsa_accum_offset 4
		.amdhsa_reserve_vcc 0
		.amdhsa_float_round_mode_32 0
		.amdhsa_float_round_mode_16_64 0
		.amdhsa_float_denorm_mode_32 3
		.amdhsa_float_denorm_mode_16_64 3
		.amdhsa_dx10_clamp 1
		.amdhsa_ieee_mode 1
		.amdhsa_fp16_overflow 0
		.amdhsa_tg_split 0
		.amdhsa_exception_fp_ieee_invalid_op 0
		.amdhsa_exception_fp_denorm_src 0
		.amdhsa_exception_fp_ieee_div_zero 0
		.amdhsa_exception_fp_ieee_overflow 0
		.amdhsa_exception_fp_ieee_underflow 0
		.amdhsa_exception_fp_ieee_inexact 0
		.amdhsa_exception_int_div_zero 0
	.end_amdhsa_kernel
	.section	.text._ZN7rocprim17ROCPRIM_400000_NS6detail17trampoline_kernelINS0_14default_configENS1_38merge_sort_block_merge_config_selectorIiiEEZZNS1_27merge_sort_block_merge_implIS3_N6thrust23THRUST_200600_302600_NS6detail15normal_iteratorINS8_10device_ptrIiEEEESD_jNS1_19radix_merge_compareILb0ELb1EiNS0_19identity_decomposerEEEEE10hipError_tT0_T1_T2_jT3_P12ihipStream_tbPNSt15iterator_traitsISI_E10value_typeEPNSO_ISJ_E10value_typeEPSK_NS1_7vsmem_tEENKUlT_SI_SJ_SK_E_clIPiSD_S10_SD_EESH_SX_SI_SJ_SK_EUlSX_E1_NS1_11comp_targetILNS1_3genE8ELNS1_11target_archE1030ELNS1_3gpuE2ELNS1_3repE0EEENS1_36merge_oddeven_config_static_selectorELNS0_4arch9wavefront6targetE1EEEvSJ_,"axG",@progbits,_ZN7rocprim17ROCPRIM_400000_NS6detail17trampoline_kernelINS0_14default_configENS1_38merge_sort_block_merge_config_selectorIiiEEZZNS1_27merge_sort_block_merge_implIS3_N6thrust23THRUST_200600_302600_NS6detail15normal_iteratorINS8_10device_ptrIiEEEESD_jNS1_19radix_merge_compareILb0ELb1EiNS0_19identity_decomposerEEEEE10hipError_tT0_T1_T2_jT3_P12ihipStream_tbPNSt15iterator_traitsISI_E10value_typeEPNSO_ISJ_E10value_typeEPSK_NS1_7vsmem_tEENKUlT_SI_SJ_SK_E_clIPiSD_S10_SD_EESH_SX_SI_SJ_SK_EUlSX_E1_NS1_11comp_targetILNS1_3genE8ELNS1_11target_archE1030ELNS1_3gpuE2ELNS1_3repE0EEENS1_36merge_oddeven_config_static_selectorELNS0_4arch9wavefront6targetE1EEEvSJ_,comdat
.Lfunc_end1367:
	.size	_ZN7rocprim17ROCPRIM_400000_NS6detail17trampoline_kernelINS0_14default_configENS1_38merge_sort_block_merge_config_selectorIiiEEZZNS1_27merge_sort_block_merge_implIS3_N6thrust23THRUST_200600_302600_NS6detail15normal_iteratorINS8_10device_ptrIiEEEESD_jNS1_19radix_merge_compareILb0ELb1EiNS0_19identity_decomposerEEEEE10hipError_tT0_T1_T2_jT3_P12ihipStream_tbPNSt15iterator_traitsISI_E10value_typeEPNSO_ISJ_E10value_typeEPSK_NS1_7vsmem_tEENKUlT_SI_SJ_SK_E_clIPiSD_S10_SD_EESH_SX_SI_SJ_SK_EUlSX_E1_NS1_11comp_targetILNS1_3genE8ELNS1_11target_archE1030ELNS1_3gpuE2ELNS1_3repE0EEENS1_36merge_oddeven_config_static_selectorELNS0_4arch9wavefront6targetE1EEEvSJ_, .Lfunc_end1367-_ZN7rocprim17ROCPRIM_400000_NS6detail17trampoline_kernelINS0_14default_configENS1_38merge_sort_block_merge_config_selectorIiiEEZZNS1_27merge_sort_block_merge_implIS3_N6thrust23THRUST_200600_302600_NS6detail15normal_iteratorINS8_10device_ptrIiEEEESD_jNS1_19radix_merge_compareILb0ELb1EiNS0_19identity_decomposerEEEEE10hipError_tT0_T1_T2_jT3_P12ihipStream_tbPNSt15iterator_traitsISI_E10value_typeEPNSO_ISJ_E10value_typeEPSK_NS1_7vsmem_tEENKUlT_SI_SJ_SK_E_clIPiSD_S10_SD_EESH_SX_SI_SJ_SK_EUlSX_E1_NS1_11comp_targetILNS1_3genE8ELNS1_11target_archE1030ELNS1_3gpuE2ELNS1_3repE0EEENS1_36merge_oddeven_config_static_selectorELNS0_4arch9wavefront6targetE1EEEvSJ_
                                        ; -- End function
	.set _ZN7rocprim17ROCPRIM_400000_NS6detail17trampoline_kernelINS0_14default_configENS1_38merge_sort_block_merge_config_selectorIiiEEZZNS1_27merge_sort_block_merge_implIS3_N6thrust23THRUST_200600_302600_NS6detail15normal_iteratorINS8_10device_ptrIiEEEESD_jNS1_19radix_merge_compareILb0ELb1EiNS0_19identity_decomposerEEEEE10hipError_tT0_T1_T2_jT3_P12ihipStream_tbPNSt15iterator_traitsISI_E10value_typeEPNSO_ISJ_E10value_typeEPSK_NS1_7vsmem_tEENKUlT_SI_SJ_SK_E_clIPiSD_S10_SD_EESH_SX_SI_SJ_SK_EUlSX_E1_NS1_11comp_targetILNS1_3genE8ELNS1_11target_archE1030ELNS1_3gpuE2ELNS1_3repE0EEENS1_36merge_oddeven_config_static_selectorELNS0_4arch9wavefront6targetE1EEEvSJ_.num_vgpr, 0
	.set _ZN7rocprim17ROCPRIM_400000_NS6detail17trampoline_kernelINS0_14default_configENS1_38merge_sort_block_merge_config_selectorIiiEEZZNS1_27merge_sort_block_merge_implIS3_N6thrust23THRUST_200600_302600_NS6detail15normal_iteratorINS8_10device_ptrIiEEEESD_jNS1_19radix_merge_compareILb0ELb1EiNS0_19identity_decomposerEEEEE10hipError_tT0_T1_T2_jT3_P12ihipStream_tbPNSt15iterator_traitsISI_E10value_typeEPNSO_ISJ_E10value_typeEPSK_NS1_7vsmem_tEENKUlT_SI_SJ_SK_E_clIPiSD_S10_SD_EESH_SX_SI_SJ_SK_EUlSX_E1_NS1_11comp_targetILNS1_3genE8ELNS1_11target_archE1030ELNS1_3gpuE2ELNS1_3repE0EEENS1_36merge_oddeven_config_static_selectorELNS0_4arch9wavefront6targetE1EEEvSJ_.num_agpr, 0
	.set _ZN7rocprim17ROCPRIM_400000_NS6detail17trampoline_kernelINS0_14default_configENS1_38merge_sort_block_merge_config_selectorIiiEEZZNS1_27merge_sort_block_merge_implIS3_N6thrust23THRUST_200600_302600_NS6detail15normal_iteratorINS8_10device_ptrIiEEEESD_jNS1_19radix_merge_compareILb0ELb1EiNS0_19identity_decomposerEEEEE10hipError_tT0_T1_T2_jT3_P12ihipStream_tbPNSt15iterator_traitsISI_E10value_typeEPNSO_ISJ_E10value_typeEPSK_NS1_7vsmem_tEENKUlT_SI_SJ_SK_E_clIPiSD_S10_SD_EESH_SX_SI_SJ_SK_EUlSX_E1_NS1_11comp_targetILNS1_3genE8ELNS1_11target_archE1030ELNS1_3gpuE2ELNS1_3repE0EEENS1_36merge_oddeven_config_static_selectorELNS0_4arch9wavefront6targetE1EEEvSJ_.numbered_sgpr, 0
	.set _ZN7rocprim17ROCPRIM_400000_NS6detail17trampoline_kernelINS0_14default_configENS1_38merge_sort_block_merge_config_selectorIiiEEZZNS1_27merge_sort_block_merge_implIS3_N6thrust23THRUST_200600_302600_NS6detail15normal_iteratorINS8_10device_ptrIiEEEESD_jNS1_19radix_merge_compareILb0ELb1EiNS0_19identity_decomposerEEEEE10hipError_tT0_T1_T2_jT3_P12ihipStream_tbPNSt15iterator_traitsISI_E10value_typeEPNSO_ISJ_E10value_typeEPSK_NS1_7vsmem_tEENKUlT_SI_SJ_SK_E_clIPiSD_S10_SD_EESH_SX_SI_SJ_SK_EUlSX_E1_NS1_11comp_targetILNS1_3genE8ELNS1_11target_archE1030ELNS1_3gpuE2ELNS1_3repE0EEENS1_36merge_oddeven_config_static_selectorELNS0_4arch9wavefront6targetE1EEEvSJ_.num_named_barrier, 0
	.set _ZN7rocprim17ROCPRIM_400000_NS6detail17trampoline_kernelINS0_14default_configENS1_38merge_sort_block_merge_config_selectorIiiEEZZNS1_27merge_sort_block_merge_implIS3_N6thrust23THRUST_200600_302600_NS6detail15normal_iteratorINS8_10device_ptrIiEEEESD_jNS1_19radix_merge_compareILb0ELb1EiNS0_19identity_decomposerEEEEE10hipError_tT0_T1_T2_jT3_P12ihipStream_tbPNSt15iterator_traitsISI_E10value_typeEPNSO_ISJ_E10value_typeEPSK_NS1_7vsmem_tEENKUlT_SI_SJ_SK_E_clIPiSD_S10_SD_EESH_SX_SI_SJ_SK_EUlSX_E1_NS1_11comp_targetILNS1_3genE8ELNS1_11target_archE1030ELNS1_3gpuE2ELNS1_3repE0EEENS1_36merge_oddeven_config_static_selectorELNS0_4arch9wavefront6targetE1EEEvSJ_.private_seg_size, 0
	.set _ZN7rocprim17ROCPRIM_400000_NS6detail17trampoline_kernelINS0_14default_configENS1_38merge_sort_block_merge_config_selectorIiiEEZZNS1_27merge_sort_block_merge_implIS3_N6thrust23THRUST_200600_302600_NS6detail15normal_iteratorINS8_10device_ptrIiEEEESD_jNS1_19radix_merge_compareILb0ELb1EiNS0_19identity_decomposerEEEEE10hipError_tT0_T1_T2_jT3_P12ihipStream_tbPNSt15iterator_traitsISI_E10value_typeEPNSO_ISJ_E10value_typeEPSK_NS1_7vsmem_tEENKUlT_SI_SJ_SK_E_clIPiSD_S10_SD_EESH_SX_SI_SJ_SK_EUlSX_E1_NS1_11comp_targetILNS1_3genE8ELNS1_11target_archE1030ELNS1_3gpuE2ELNS1_3repE0EEENS1_36merge_oddeven_config_static_selectorELNS0_4arch9wavefront6targetE1EEEvSJ_.uses_vcc, 0
	.set _ZN7rocprim17ROCPRIM_400000_NS6detail17trampoline_kernelINS0_14default_configENS1_38merge_sort_block_merge_config_selectorIiiEEZZNS1_27merge_sort_block_merge_implIS3_N6thrust23THRUST_200600_302600_NS6detail15normal_iteratorINS8_10device_ptrIiEEEESD_jNS1_19radix_merge_compareILb0ELb1EiNS0_19identity_decomposerEEEEE10hipError_tT0_T1_T2_jT3_P12ihipStream_tbPNSt15iterator_traitsISI_E10value_typeEPNSO_ISJ_E10value_typeEPSK_NS1_7vsmem_tEENKUlT_SI_SJ_SK_E_clIPiSD_S10_SD_EESH_SX_SI_SJ_SK_EUlSX_E1_NS1_11comp_targetILNS1_3genE8ELNS1_11target_archE1030ELNS1_3gpuE2ELNS1_3repE0EEENS1_36merge_oddeven_config_static_selectorELNS0_4arch9wavefront6targetE1EEEvSJ_.uses_flat_scratch, 0
	.set _ZN7rocprim17ROCPRIM_400000_NS6detail17trampoline_kernelINS0_14default_configENS1_38merge_sort_block_merge_config_selectorIiiEEZZNS1_27merge_sort_block_merge_implIS3_N6thrust23THRUST_200600_302600_NS6detail15normal_iteratorINS8_10device_ptrIiEEEESD_jNS1_19radix_merge_compareILb0ELb1EiNS0_19identity_decomposerEEEEE10hipError_tT0_T1_T2_jT3_P12ihipStream_tbPNSt15iterator_traitsISI_E10value_typeEPNSO_ISJ_E10value_typeEPSK_NS1_7vsmem_tEENKUlT_SI_SJ_SK_E_clIPiSD_S10_SD_EESH_SX_SI_SJ_SK_EUlSX_E1_NS1_11comp_targetILNS1_3genE8ELNS1_11target_archE1030ELNS1_3gpuE2ELNS1_3repE0EEENS1_36merge_oddeven_config_static_selectorELNS0_4arch9wavefront6targetE1EEEvSJ_.has_dyn_sized_stack, 0
	.set _ZN7rocprim17ROCPRIM_400000_NS6detail17trampoline_kernelINS0_14default_configENS1_38merge_sort_block_merge_config_selectorIiiEEZZNS1_27merge_sort_block_merge_implIS3_N6thrust23THRUST_200600_302600_NS6detail15normal_iteratorINS8_10device_ptrIiEEEESD_jNS1_19radix_merge_compareILb0ELb1EiNS0_19identity_decomposerEEEEE10hipError_tT0_T1_T2_jT3_P12ihipStream_tbPNSt15iterator_traitsISI_E10value_typeEPNSO_ISJ_E10value_typeEPSK_NS1_7vsmem_tEENKUlT_SI_SJ_SK_E_clIPiSD_S10_SD_EESH_SX_SI_SJ_SK_EUlSX_E1_NS1_11comp_targetILNS1_3genE8ELNS1_11target_archE1030ELNS1_3gpuE2ELNS1_3repE0EEENS1_36merge_oddeven_config_static_selectorELNS0_4arch9wavefront6targetE1EEEvSJ_.has_recursion, 0
	.set _ZN7rocprim17ROCPRIM_400000_NS6detail17trampoline_kernelINS0_14default_configENS1_38merge_sort_block_merge_config_selectorIiiEEZZNS1_27merge_sort_block_merge_implIS3_N6thrust23THRUST_200600_302600_NS6detail15normal_iteratorINS8_10device_ptrIiEEEESD_jNS1_19radix_merge_compareILb0ELb1EiNS0_19identity_decomposerEEEEE10hipError_tT0_T1_T2_jT3_P12ihipStream_tbPNSt15iterator_traitsISI_E10value_typeEPNSO_ISJ_E10value_typeEPSK_NS1_7vsmem_tEENKUlT_SI_SJ_SK_E_clIPiSD_S10_SD_EESH_SX_SI_SJ_SK_EUlSX_E1_NS1_11comp_targetILNS1_3genE8ELNS1_11target_archE1030ELNS1_3gpuE2ELNS1_3repE0EEENS1_36merge_oddeven_config_static_selectorELNS0_4arch9wavefront6targetE1EEEvSJ_.has_indirect_call, 0
	.section	.AMDGPU.csdata,"",@progbits
; Kernel info:
; codeLenInByte = 0
; TotalNumSgprs: 6
; NumVgprs: 0
; NumAgprs: 0
; TotalNumVgprs: 0
; ScratchSize: 0
; MemoryBound: 0
; FloatMode: 240
; IeeeMode: 1
; LDSByteSize: 0 bytes/workgroup (compile time only)
; SGPRBlocks: 0
; VGPRBlocks: 0
; NumSGPRsForWavesPerEU: 6
; NumVGPRsForWavesPerEU: 1
; AccumOffset: 4
; Occupancy: 8
; WaveLimiterHint : 0
; COMPUTE_PGM_RSRC2:SCRATCH_EN: 0
; COMPUTE_PGM_RSRC2:USER_SGPR: 2
; COMPUTE_PGM_RSRC2:TRAP_HANDLER: 0
; COMPUTE_PGM_RSRC2:TGID_X_EN: 1
; COMPUTE_PGM_RSRC2:TGID_Y_EN: 0
; COMPUTE_PGM_RSRC2:TGID_Z_EN: 0
; COMPUTE_PGM_RSRC2:TIDIG_COMP_CNT: 0
; COMPUTE_PGM_RSRC3_GFX90A:ACCUM_OFFSET: 0
; COMPUTE_PGM_RSRC3_GFX90A:TG_SPLIT: 0
	.section	.text._ZN7rocprim17ROCPRIM_400000_NS6detail17trampoline_kernelINS0_14default_configENS1_38merge_sort_block_merge_config_selectorIiiEEZZNS1_27merge_sort_block_merge_implIS3_N6thrust23THRUST_200600_302600_NS6detail15normal_iteratorINS8_10device_ptrIiEEEESD_jNS1_19radix_merge_compareILb0ELb1EiNS0_19identity_decomposerEEEEE10hipError_tT0_T1_T2_jT3_P12ihipStream_tbPNSt15iterator_traitsISI_E10value_typeEPNSO_ISJ_E10value_typeEPSK_NS1_7vsmem_tEENKUlT_SI_SJ_SK_E_clISD_PiSD_S10_EESH_SX_SI_SJ_SK_EUlSX_E_NS1_11comp_targetILNS1_3genE0ELNS1_11target_archE4294967295ELNS1_3gpuE0ELNS1_3repE0EEENS1_48merge_mergepath_partition_config_static_selectorELNS0_4arch9wavefront6targetE1EEEvSJ_,"axG",@progbits,_ZN7rocprim17ROCPRIM_400000_NS6detail17trampoline_kernelINS0_14default_configENS1_38merge_sort_block_merge_config_selectorIiiEEZZNS1_27merge_sort_block_merge_implIS3_N6thrust23THRUST_200600_302600_NS6detail15normal_iteratorINS8_10device_ptrIiEEEESD_jNS1_19radix_merge_compareILb0ELb1EiNS0_19identity_decomposerEEEEE10hipError_tT0_T1_T2_jT3_P12ihipStream_tbPNSt15iterator_traitsISI_E10value_typeEPNSO_ISJ_E10value_typeEPSK_NS1_7vsmem_tEENKUlT_SI_SJ_SK_E_clISD_PiSD_S10_EESH_SX_SI_SJ_SK_EUlSX_E_NS1_11comp_targetILNS1_3genE0ELNS1_11target_archE4294967295ELNS1_3gpuE0ELNS1_3repE0EEENS1_48merge_mergepath_partition_config_static_selectorELNS0_4arch9wavefront6targetE1EEEvSJ_,comdat
	.protected	_ZN7rocprim17ROCPRIM_400000_NS6detail17trampoline_kernelINS0_14default_configENS1_38merge_sort_block_merge_config_selectorIiiEEZZNS1_27merge_sort_block_merge_implIS3_N6thrust23THRUST_200600_302600_NS6detail15normal_iteratorINS8_10device_ptrIiEEEESD_jNS1_19radix_merge_compareILb0ELb1EiNS0_19identity_decomposerEEEEE10hipError_tT0_T1_T2_jT3_P12ihipStream_tbPNSt15iterator_traitsISI_E10value_typeEPNSO_ISJ_E10value_typeEPSK_NS1_7vsmem_tEENKUlT_SI_SJ_SK_E_clISD_PiSD_S10_EESH_SX_SI_SJ_SK_EUlSX_E_NS1_11comp_targetILNS1_3genE0ELNS1_11target_archE4294967295ELNS1_3gpuE0ELNS1_3repE0EEENS1_48merge_mergepath_partition_config_static_selectorELNS0_4arch9wavefront6targetE1EEEvSJ_ ; -- Begin function _ZN7rocprim17ROCPRIM_400000_NS6detail17trampoline_kernelINS0_14default_configENS1_38merge_sort_block_merge_config_selectorIiiEEZZNS1_27merge_sort_block_merge_implIS3_N6thrust23THRUST_200600_302600_NS6detail15normal_iteratorINS8_10device_ptrIiEEEESD_jNS1_19radix_merge_compareILb0ELb1EiNS0_19identity_decomposerEEEEE10hipError_tT0_T1_T2_jT3_P12ihipStream_tbPNSt15iterator_traitsISI_E10value_typeEPNSO_ISJ_E10value_typeEPSK_NS1_7vsmem_tEENKUlT_SI_SJ_SK_E_clISD_PiSD_S10_EESH_SX_SI_SJ_SK_EUlSX_E_NS1_11comp_targetILNS1_3genE0ELNS1_11target_archE4294967295ELNS1_3gpuE0ELNS1_3repE0EEENS1_48merge_mergepath_partition_config_static_selectorELNS0_4arch9wavefront6targetE1EEEvSJ_
	.globl	_ZN7rocprim17ROCPRIM_400000_NS6detail17trampoline_kernelINS0_14default_configENS1_38merge_sort_block_merge_config_selectorIiiEEZZNS1_27merge_sort_block_merge_implIS3_N6thrust23THRUST_200600_302600_NS6detail15normal_iteratorINS8_10device_ptrIiEEEESD_jNS1_19radix_merge_compareILb0ELb1EiNS0_19identity_decomposerEEEEE10hipError_tT0_T1_T2_jT3_P12ihipStream_tbPNSt15iterator_traitsISI_E10value_typeEPNSO_ISJ_E10value_typeEPSK_NS1_7vsmem_tEENKUlT_SI_SJ_SK_E_clISD_PiSD_S10_EESH_SX_SI_SJ_SK_EUlSX_E_NS1_11comp_targetILNS1_3genE0ELNS1_11target_archE4294967295ELNS1_3gpuE0ELNS1_3repE0EEENS1_48merge_mergepath_partition_config_static_selectorELNS0_4arch9wavefront6targetE1EEEvSJ_
	.p2align	8
	.type	_ZN7rocprim17ROCPRIM_400000_NS6detail17trampoline_kernelINS0_14default_configENS1_38merge_sort_block_merge_config_selectorIiiEEZZNS1_27merge_sort_block_merge_implIS3_N6thrust23THRUST_200600_302600_NS6detail15normal_iteratorINS8_10device_ptrIiEEEESD_jNS1_19radix_merge_compareILb0ELb1EiNS0_19identity_decomposerEEEEE10hipError_tT0_T1_T2_jT3_P12ihipStream_tbPNSt15iterator_traitsISI_E10value_typeEPNSO_ISJ_E10value_typeEPSK_NS1_7vsmem_tEENKUlT_SI_SJ_SK_E_clISD_PiSD_S10_EESH_SX_SI_SJ_SK_EUlSX_E_NS1_11comp_targetILNS1_3genE0ELNS1_11target_archE4294967295ELNS1_3gpuE0ELNS1_3repE0EEENS1_48merge_mergepath_partition_config_static_selectorELNS0_4arch9wavefront6targetE1EEEvSJ_,@function
_ZN7rocprim17ROCPRIM_400000_NS6detail17trampoline_kernelINS0_14default_configENS1_38merge_sort_block_merge_config_selectorIiiEEZZNS1_27merge_sort_block_merge_implIS3_N6thrust23THRUST_200600_302600_NS6detail15normal_iteratorINS8_10device_ptrIiEEEESD_jNS1_19radix_merge_compareILb0ELb1EiNS0_19identity_decomposerEEEEE10hipError_tT0_T1_T2_jT3_P12ihipStream_tbPNSt15iterator_traitsISI_E10value_typeEPNSO_ISJ_E10value_typeEPSK_NS1_7vsmem_tEENKUlT_SI_SJ_SK_E_clISD_PiSD_S10_EESH_SX_SI_SJ_SK_EUlSX_E_NS1_11comp_targetILNS1_3genE0ELNS1_11target_archE4294967295ELNS1_3gpuE0ELNS1_3repE0EEENS1_48merge_mergepath_partition_config_static_selectorELNS0_4arch9wavefront6targetE1EEEvSJ_: ; @_ZN7rocprim17ROCPRIM_400000_NS6detail17trampoline_kernelINS0_14default_configENS1_38merge_sort_block_merge_config_selectorIiiEEZZNS1_27merge_sort_block_merge_implIS3_N6thrust23THRUST_200600_302600_NS6detail15normal_iteratorINS8_10device_ptrIiEEEESD_jNS1_19radix_merge_compareILb0ELb1EiNS0_19identity_decomposerEEEEE10hipError_tT0_T1_T2_jT3_P12ihipStream_tbPNSt15iterator_traitsISI_E10value_typeEPNSO_ISJ_E10value_typeEPSK_NS1_7vsmem_tEENKUlT_SI_SJ_SK_E_clISD_PiSD_S10_EESH_SX_SI_SJ_SK_EUlSX_E_NS1_11comp_targetILNS1_3genE0ELNS1_11target_archE4294967295ELNS1_3gpuE0ELNS1_3repE0EEENS1_48merge_mergepath_partition_config_static_selectorELNS0_4arch9wavefront6targetE1EEEvSJ_
; %bb.0:
	s_load_dword s3, s[0:1], 0x0
	v_lshl_or_b32 v0, s2, 7, v0
	s_waitcnt lgkmcnt(0)
	v_cmp_gt_u32_e32 vcc, s3, v0
	s_and_saveexec_b64 s[2:3], vcc
	s_cbranch_execz .LBB1368_6
; %bb.1:
	s_load_dwordx2 s[4:5], s[0:1], 0x4
	s_load_dwordx2 s[2:3], s[0:1], 0x20
	s_waitcnt lgkmcnt(0)
	s_lshr_b32 s6, s4, 9
	s_and_b32 s6, s6, 0x7ffffe
	s_add_i32 s7, s6, -1
	s_sub_i32 s6, 0, s6
	v_and_b32_e32 v1, s6, v0
	v_lshlrev_b32_e32 v1, 10, v1
	v_min_u32_e32 v2, s5, v1
	v_add_u32_e32 v1, s4, v1
	v_min_u32_e32 v4, s5, v1
	v_add_u32_e32 v1, s4, v4
	v_and_b32_e32 v3, s7, v0
	v_min_u32_e32 v1, s5, v1
	v_sub_u32_e32 v5, v1, v2
	v_lshlrev_b32_e32 v3, 10, v3
	v_min_u32_e32 v10, v5, v3
	v_sub_u32_e32 v3, v4, v2
	v_sub_u32_e32 v1, v1, v4
	v_sub_u32_e64 v1, v10, v1 clamp
	v_min_u32_e32 v11, v10, v3
	v_cmp_lt_u32_e32 vcc, v1, v11
	s_and_saveexec_b64 s[4:5], vcc
	s_cbranch_execz .LBB1368_5
; %bb.2:
	s_load_dwordx2 s[8:9], s[0:1], 0x10
	s_load_dword s6, s[0:1], 0x18
	v_mov_b32_e32 v5, 0
	v_mov_b32_e32 v3, v5
	s_mov_b64 s[0:1], 0
	s_waitcnt lgkmcnt(0)
	v_lshl_add_u64 v[6:7], v[2:3], 2, s[8:9]
	v_lshl_add_u64 v[8:9], v[4:5], 2, s[8:9]
.LBB1368_3:                             ; =>This Inner Loop Header: Depth=1
	v_add_u32_e32 v3, v11, v1
	v_lshrrev_b32_e32 v4, 1, v3
	v_mov_b32_e32 v13, v5
	v_xad_u32 v12, v4, -1, v10
	v_lshl_add_u64 v[14:15], v[4:5], 2, v[6:7]
	v_lshl_add_u64 v[12:13], v[12:13], 2, v[8:9]
	flat_load_dword v3, v[14:15]
	flat_load_dword v16, v[12:13]
	v_add_u32_e32 v12, 1, v4
	s_waitcnt vmcnt(0) lgkmcnt(0)
	v_and_b32_e32 v3, s6, v3
	v_and_b32_e32 v13, s6, v16
	v_cmp_gt_i32_e32 vcc, v3, v13
	s_nop 1
	v_cndmask_b32_e32 v11, v11, v4, vcc
	v_cndmask_b32_e32 v1, v12, v1, vcc
	v_cmp_ge_u32_e32 vcc, v1, v11
	s_or_b64 s[0:1], vcc, s[0:1]
	s_andn2_b64 exec, exec, s[0:1]
	s_cbranch_execnz .LBB1368_3
; %bb.4:
	s_or_b64 exec, exec, s[0:1]
.LBB1368_5:
	s_or_b64 exec, exec, s[4:5]
	v_add_u32_e32 v2, v1, v2
	v_mov_b32_e32 v1, 0
	v_lshl_add_u64 v[0:1], v[0:1], 2, s[2:3]
	global_store_dword v[0:1], v2, off
.LBB1368_6:
	s_endpgm
	.section	.rodata,"a",@progbits
	.p2align	6, 0x0
	.amdhsa_kernel _ZN7rocprim17ROCPRIM_400000_NS6detail17trampoline_kernelINS0_14default_configENS1_38merge_sort_block_merge_config_selectorIiiEEZZNS1_27merge_sort_block_merge_implIS3_N6thrust23THRUST_200600_302600_NS6detail15normal_iteratorINS8_10device_ptrIiEEEESD_jNS1_19radix_merge_compareILb0ELb1EiNS0_19identity_decomposerEEEEE10hipError_tT0_T1_T2_jT3_P12ihipStream_tbPNSt15iterator_traitsISI_E10value_typeEPNSO_ISJ_E10value_typeEPSK_NS1_7vsmem_tEENKUlT_SI_SJ_SK_E_clISD_PiSD_S10_EESH_SX_SI_SJ_SK_EUlSX_E_NS1_11comp_targetILNS1_3genE0ELNS1_11target_archE4294967295ELNS1_3gpuE0ELNS1_3repE0EEENS1_48merge_mergepath_partition_config_static_selectorELNS0_4arch9wavefront6targetE1EEEvSJ_
		.amdhsa_group_segment_fixed_size 0
		.amdhsa_private_segment_fixed_size 0
		.amdhsa_kernarg_size 40
		.amdhsa_user_sgpr_count 2
		.amdhsa_user_sgpr_dispatch_ptr 0
		.amdhsa_user_sgpr_queue_ptr 0
		.amdhsa_user_sgpr_kernarg_segment_ptr 1
		.amdhsa_user_sgpr_dispatch_id 0
		.amdhsa_user_sgpr_kernarg_preload_length 0
		.amdhsa_user_sgpr_kernarg_preload_offset 0
		.amdhsa_user_sgpr_private_segment_size 0
		.amdhsa_uses_dynamic_stack 0
		.amdhsa_enable_private_segment 0
		.amdhsa_system_sgpr_workgroup_id_x 1
		.amdhsa_system_sgpr_workgroup_id_y 0
		.amdhsa_system_sgpr_workgroup_id_z 0
		.amdhsa_system_sgpr_workgroup_info 0
		.amdhsa_system_vgpr_workitem_id 0
		.amdhsa_next_free_vgpr 17
		.amdhsa_next_free_sgpr 10
		.amdhsa_accum_offset 20
		.amdhsa_reserve_vcc 1
		.amdhsa_float_round_mode_32 0
		.amdhsa_float_round_mode_16_64 0
		.amdhsa_float_denorm_mode_32 3
		.amdhsa_float_denorm_mode_16_64 3
		.amdhsa_dx10_clamp 1
		.amdhsa_ieee_mode 1
		.amdhsa_fp16_overflow 0
		.amdhsa_tg_split 0
		.amdhsa_exception_fp_ieee_invalid_op 0
		.amdhsa_exception_fp_denorm_src 0
		.amdhsa_exception_fp_ieee_div_zero 0
		.amdhsa_exception_fp_ieee_overflow 0
		.amdhsa_exception_fp_ieee_underflow 0
		.amdhsa_exception_fp_ieee_inexact 0
		.amdhsa_exception_int_div_zero 0
	.end_amdhsa_kernel
	.section	.text._ZN7rocprim17ROCPRIM_400000_NS6detail17trampoline_kernelINS0_14default_configENS1_38merge_sort_block_merge_config_selectorIiiEEZZNS1_27merge_sort_block_merge_implIS3_N6thrust23THRUST_200600_302600_NS6detail15normal_iteratorINS8_10device_ptrIiEEEESD_jNS1_19radix_merge_compareILb0ELb1EiNS0_19identity_decomposerEEEEE10hipError_tT0_T1_T2_jT3_P12ihipStream_tbPNSt15iterator_traitsISI_E10value_typeEPNSO_ISJ_E10value_typeEPSK_NS1_7vsmem_tEENKUlT_SI_SJ_SK_E_clISD_PiSD_S10_EESH_SX_SI_SJ_SK_EUlSX_E_NS1_11comp_targetILNS1_3genE0ELNS1_11target_archE4294967295ELNS1_3gpuE0ELNS1_3repE0EEENS1_48merge_mergepath_partition_config_static_selectorELNS0_4arch9wavefront6targetE1EEEvSJ_,"axG",@progbits,_ZN7rocprim17ROCPRIM_400000_NS6detail17trampoline_kernelINS0_14default_configENS1_38merge_sort_block_merge_config_selectorIiiEEZZNS1_27merge_sort_block_merge_implIS3_N6thrust23THRUST_200600_302600_NS6detail15normal_iteratorINS8_10device_ptrIiEEEESD_jNS1_19radix_merge_compareILb0ELb1EiNS0_19identity_decomposerEEEEE10hipError_tT0_T1_T2_jT3_P12ihipStream_tbPNSt15iterator_traitsISI_E10value_typeEPNSO_ISJ_E10value_typeEPSK_NS1_7vsmem_tEENKUlT_SI_SJ_SK_E_clISD_PiSD_S10_EESH_SX_SI_SJ_SK_EUlSX_E_NS1_11comp_targetILNS1_3genE0ELNS1_11target_archE4294967295ELNS1_3gpuE0ELNS1_3repE0EEENS1_48merge_mergepath_partition_config_static_selectorELNS0_4arch9wavefront6targetE1EEEvSJ_,comdat
.Lfunc_end1368:
	.size	_ZN7rocprim17ROCPRIM_400000_NS6detail17trampoline_kernelINS0_14default_configENS1_38merge_sort_block_merge_config_selectorIiiEEZZNS1_27merge_sort_block_merge_implIS3_N6thrust23THRUST_200600_302600_NS6detail15normal_iteratorINS8_10device_ptrIiEEEESD_jNS1_19radix_merge_compareILb0ELb1EiNS0_19identity_decomposerEEEEE10hipError_tT0_T1_T2_jT3_P12ihipStream_tbPNSt15iterator_traitsISI_E10value_typeEPNSO_ISJ_E10value_typeEPSK_NS1_7vsmem_tEENKUlT_SI_SJ_SK_E_clISD_PiSD_S10_EESH_SX_SI_SJ_SK_EUlSX_E_NS1_11comp_targetILNS1_3genE0ELNS1_11target_archE4294967295ELNS1_3gpuE0ELNS1_3repE0EEENS1_48merge_mergepath_partition_config_static_selectorELNS0_4arch9wavefront6targetE1EEEvSJ_, .Lfunc_end1368-_ZN7rocprim17ROCPRIM_400000_NS6detail17trampoline_kernelINS0_14default_configENS1_38merge_sort_block_merge_config_selectorIiiEEZZNS1_27merge_sort_block_merge_implIS3_N6thrust23THRUST_200600_302600_NS6detail15normal_iteratorINS8_10device_ptrIiEEEESD_jNS1_19radix_merge_compareILb0ELb1EiNS0_19identity_decomposerEEEEE10hipError_tT0_T1_T2_jT3_P12ihipStream_tbPNSt15iterator_traitsISI_E10value_typeEPNSO_ISJ_E10value_typeEPSK_NS1_7vsmem_tEENKUlT_SI_SJ_SK_E_clISD_PiSD_S10_EESH_SX_SI_SJ_SK_EUlSX_E_NS1_11comp_targetILNS1_3genE0ELNS1_11target_archE4294967295ELNS1_3gpuE0ELNS1_3repE0EEENS1_48merge_mergepath_partition_config_static_selectorELNS0_4arch9wavefront6targetE1EEEvSJ_
                                        ; -- End function
	.set _ZN7rocprim17ROCPRIM_400000_NS6detail17trampoline_kernelINS0_14default_configENS1_38merge_sort_block_merge_config_selectorIiiEEZZNS1_27merge_sort_block_merge_implIS3_N6thrust23THRUST_200600_302600_NS6detail15normal_iteratorINS8_10device_ptrIiEEEESD_jNS1_19radix_merge_compareILb0ELb1EiNS0_19identity_decomposerEEEEE10hipError_tT0_T1_T2_jT3_P12ihipStream_tbPNSt15iterator_traitsISI_E10value_typeEPNSO_ISJ_E10value_typeEPSK_NS1_7vsmem_tEENKUlT_SI_SJ_SK_E_clISD_PiSD_S10_EESH_SX_SI_SJ_SK_EUlSX_E_NS1_11comp_targetILNS1_3genE0ELNS1_11target_archE4294967295ELNS1_3gpuE0ELNS1_3repE0EEENS1_48merge_mergepath_partition_config_static_selectorELNS0_4arch9wavefront6targetE1EEEvSJ_.num_vgpr, 17
	.set _ZN7rocprim17ROCPRIM_400000_NS6detail17trampoline_kernelINS0_14default_configENS1_38merge_sort_block_merge_config_selectorIiiEEZZNS1_27merge_sort_block_merge_implIS3_N6thrust23THRUST_200600_302600_NS6detail15normal_iteratorINS8_10device_ptrIiEEEESD_jNS1_19radix_merge_compareILb0ELb1EiNS0_19identity_decomposerEEEEE10hipError_tT0_T1_T2_jT3_P12ihipStream_tbPNSt15iterator_traitsISI_E10value_typeEPNSO_ISJ_E10value_typeEPSK_NS1_7vsmem_tEENKUlT_SI_SJ_SK_E_clISD_PiSD_S10_EESH_SX_SI_SJ_SK_EUlSX_E_NS1_11comp_targetILNS1_3genE0ELNS1_11target_archE4294967295ELNS1_3gpuE0ELNS1_3repE0EEENS1_48merge_mergepath_partition_config_static_selectorELNS0_4arch9wavefront6targetE1EEEvSJ_.num_agpr, 0
	.set _ZN7rocprim17ROCPRIM_400000_NS6detail17trampoline_kernelINS0_14default_configENS1_38merge_sort_block_merge_config_selectorIiiEEZZNS1_27merge_sort_block_merge_implIS3_N6thrust23THRUST_200600_302600_NS6detail15normal_iteratorINS8_10device_ptrIiEEEESD_jNS1_19radix_merge_compareILb0ELb1EiNS0_19identity_decomposerEEEEE10hipError_tT0_T1_T2_jT3_P12ihipStream_tbPNSt15iterator_traitsISI_E10value_typeEPNSO_ISJ_E10value_typeEPSK_NS1_7vsmem_tEENKUlT_SI_SJ_SK_E_clISD_PiSD_S10_EESH_SX_SI_SJ_SK_EUlSX_E_NS1_11comp_targetILNS1_3genE0ELNS1_11target_archE4294967295ELNS1_3gpuE0ELNS1_3repE0EEENS1_48merge_mergepath_partition_config_static_selectorELNS0_4arch9wavefront6targetE1EEEvSJ_.numbered_sgpr, 10
	.set _ZN7rocprim17ROCPRIM_400000_NS6detail17trampoline_kernelINS0_14default_configENS1_38merge_sort_block_merge_config_selectorIiiEEZZNS1_27merge_sort_block_merge_implIS3_N6thrust23THRUST_200600_302600_NS6detail15normal_iteratorINS8_10device_ptrIiEEEESD_jNS1_19radix_merge_compareILb0ELb1EiNS0_19identity_decomposerEEEEE10hipError_tT0_T1_T2_jT3_P12ihipStream_tbPNSt15iterator_traitsISI_E10value_typeEPNSO_ISJ_E10value_typeEPSK_NS1_7vsmem_tEENKUlT_SI_SJ_SK_E_clISD_PiSD_S10_EESH_SX_SI_SJ_SK_EUlSX_E_NS1_11comp_targetILNS1_3genE0ELNS1_11target_archE4294967295ELNS1_3gpuE0ELNS1_3repE0EEENS1_48merge_mergepath_partition_config_static_selectorELNS0_4arch9wavefront6targetE1EEEvSJ_.num_named_barrier, 0
	.set _ZN7rocprim17ROCPRIM_400000_NS6detail17trampoline_kernelINS0_14default_configENS1_38merge_sort_block_merge_config_selectorIiiEEZZNS1_27merge_sort_block_merge_implIS3_N6thrust23THRUST_200600_302600_NS6detail15normal_iteratorINS8_10device_ptrIiEEEESD_jNS1_19radix_merge_compareILb0ELb1EiNS0_19identity_decomposerEEEEE10hipError_tT0_T1_T2_jT3_P12ihipStream_tbPNSt15iterator_traitsISI_E10value_typeEPNSO_ISJ_E10value_typeEPSK_NS1_7vsmem_tEENKUlT_SI_SJ_SK_E_clISD_PiSD_S10_EESH_SX_SI_SJ_SK_EUlSX_E_NS1_11comp_targetILNS1_3genE0ELNS1_11target_archE4294967295ELNS1_3gpuE0ELNS1_3repE0EEENS1_48merge_mergepath_partition_config_static_selectorELNS0_4arch9wavefront6targetE1EEEvSJ_.private_seg_size, 0
	.set _ZN7rocprim17ROCPRIM_400000_NS6detail17trampoline_kernelINS0_14default_configENS1_38merge_sort_block_merge_config_selectorIiiEEZZNS1_27merge_sort_block_merge_implIS3_N6thrust23THRUST_200600_302600_NS6detail15normal_iteratorINS8_10device_ptrIiEEEESD_jNS1_19radix_merge_compareILb0ELb1EiNS0_19identity_decomposerEEEEE10hipError_tT0_T1_T2_jT3_P12ihipStream_tbPNSt15iterator_traitsISI_E10value_typeEPNSO_ISJ_E10value_typeEPSK_NS1_7vsmem_tEENKUlT_SI_SJ_SK_E_clISD_PiSD_S10_EESH_SX_SI_SJ_SK_EUlSX_E_NS1_11comp_targetILNS1_3genE0ELNS1_11target_archE4294967295ELNS1_3gpuE0ELNS1_3repE0EEENS1_48merge_mergepath_partition_config_static_selectorELNS0_4arch9wavefront6targetE1EEEvSJ_.uses_vcc, 1
	.set _ZN7rocprim17ROCPRIM_400000_NS6detail17trampoline_kernelINS0_14default_configENS1_38merge_sort_block_merge_config_selectorIiiEEZZNS1_27merge_sort_block_merge_implIS3_N6thrust23THRUST_200600_302600_NS6detail15normal_iteratorINS8_10device_ptrIiEEEESD_jNS1_19radix_merge_compareILb0ELb1EiNS0_19identity_decomposerEEEEE10hipError_tT0_T1_T2_jT3_P12ihipStream_tbPNSt15iterator_traitsISI_E10value_typeEPNSO_ISJ_E10value_typeEPSK_NS1_7vsmem_tEENKUlT_SI_SJ_SK_E_clISD_PiSD_S10_EESH_SX_SI_SJ_SK_EUlSX_E_NS1_11comp_targetILNS1_3genE0ELNS1_11target_archE4294967295ELNS1_3gpuE0ELNS1_3repE0EEENS1_48merge_mergepath_partition_config_static_selectorELNS0_4arch9wavefront6targetE1EEEvSJ_.uses_flat_scratch, 0
	.set _ZN7rocprim17ROCPRIM_400000_NS6detail17trampoline_kernelINS0_14default_configENS1_38merge_sort_block_merge_config_selectorIiiEEZZNS1_27merge_sort_block_merge_implIS3_N6thrust23THRUST_200600_302600_NS6detail15normal_iteratorINS8_10device_ptrIiEEEESD_jNS1_19radix_merge_compareILb0ELb1EiNS0_19identity_decomposerEEEEE10hipError_tT0_T1_T2_jT3_P12ihipStream_tbPNSt15iterator_traitsISI_E10value_typeEPNSO_ISJ_E10value_typeEPSK_NS1_7vsmem_tEENKUlT_SI_SJ_SK_E_clISD_PiSD_S10_EESH_SX_SI_SJ_SK_EUlSX_E_NS1_11comp_targetILNS1_3genE0ELNS1_11target_archE4294967295ELNS1_3gpuE0ELNS1_3repE0EEENS1_48merge_mergepath_partition_config_static_selectorELNS0_4arch9wavefront6targetE1EEEvSJ_.has_dyn_sized_stack, 0
	.set _ZN7rocprim17ROCPRIM_400000_NS6detail17trampoline_kernelINS0_14default_configENS1_38merge_sort_block_merge_config_selectorIiiEEZZNS1_27merge_sort_block_merge_implIS3_N6thrust23THRUST_200600_302600_NS6detail15normal_iteratorINS8_10device_ptrIiEEEESD_jNS1_19radix_merge_compareILb0ELb1EiNS0_19identity_decomposerEEEEE10hipError_tT0_T1_T2_jT3_P12ihipStream_tbPNSt15iterator_traitsISI_E10value_typeEPNSO_ISJ_E10value_typeEPSK_NS1_7vsmem_tEENKUlT_SI_SJ_SK_E_clISD_PiSD_S10_EESH_SX_SI_SJ_SK_EUlSX_E_NS1_11comp_targetILNS1_3genE0ELNS1_11target_archE4294967295ELNS1_3gpuE0ELNS1_3repE0EEENS1_48merge_mergepath_partition_config_static_selectorELNS0_4arch9wavefront6targetE1EEEvSJ_.has_recursion, 0
	.set _ZN7rocprim17ROCPRIM_400000_NS6detail17trampoline_kernelINS0_14default_configENS1_38merge_sort_block_merge_config_selectorIiiEEZZNS1_27merge_sort_block_merge_implIS3_N6thrust23THRUST_200600_302600_NS6detail15normal_iteratorINS8_10device_ptrIiEEEESD_jNS1_19radix_merge_compareILb0ELb1EiNS0_19identity_decomposerEEEEE10hipError_tT0_T1_T2_jT3_P12ihipStream_tbPNSt15iterator_traitsISI_E10value_typeEPNSO_ISJ_E10value_typeEPSK_NS1_7vsmem_tEENKUlT_SI_SJ_SK_E_clISD_PiSD_S10_EESH_SX_SI_SJ_SK_EUlSX_E_NS1_11comp_targetILNS1_3genE0ELNS1_11target_archE4294967295ELNS1_3gpuE0ELNS1_3repE0EEENS1_48merge_mergepath_partition_config_static_selectorELNS0_4arch9wavefront6targetE1EEEvSJ_.has_indirect_call, 0
	.section	.AMDGPU.csdata,"",@progbits
; Kernel info:
; codeLenInByte = 332
; TotalNumSgprs: 16
; NumVgprs: 17
; NumAgprs: 0
; TotalNumVgprs: 17
; ScratchSize: 0
; MemoryBound: 0
; FloatMode: 240
; IeeeMode: 1
; LDSByteSize: 0 bytes/workgroup (compile time only)
; SGPRBlocks: 1
; VGPRBlocks: 2
; NumSGPRsForWavesPerEU: 16
; NumVGPRsForWavesPerEU: 17
; AccumOffset: 20
; Occupancy: 8
; WaveLimiterHint : 0
; COMPUTE_PGM_RSRC2:SCRATCH_EN: 0
; COMPUTE_PGM_RSRC2:USER_SGPR: 2
; COMPUTE_PGM_RSRC2:TRAP_HANDLER: 0
; COMPUTE_PGM_RSRC2:TGID_X_EN: 1
; COMPUTE_PGM_RSRC2:TGID_Y_EN: 0
; COMPUTE_PGM_RSRC2:TGID_Z_EN: 0
; COMPUTE_PGM_RSRC2:TIDIG_COMP_CNT: 0
; COMPUTE_PGM_RSRC3_GFX90A:ACCUM_OFFSET: 4
; COMPUTE_PGM_RSRC3_GFX90A:TG_SPLIT: 0
	.section	.text._ZN7rocprim17ROCPRIM_400000_NS6detail17trampoline_kernelINS0_14default_configENS1_38merge_sort_block_merge_config_selectorIiiEEZZNS1_27merge_sort_block_merge_implIS3_N6thrust23THRUST_200600_302600_NS6detail15normal_iteratorINS8_10device_ptrIiEEEESD_jNS1_19radix_merge_compareILb0ELb1EiNS0_19identity_decomposerEEEEE10hipError_tT0_T1_T2_jT3_P12ihipStream_tbPNSt15iterator_traitsISI_E10value_typeEPNSO_ISJ_E10value_typeEPSK_NS1_7vsmem_tEENKUlT_SI_SJ_SK_E_clISD_PiSD_S10_EESH_SX_SI_SJ_SK_EUlSX_E_NS1_11comp_targetILNS1_3genE10ELNS1_11target_archE1201ELNS1_3gpuE5ELNS1_3repE0EEENS1_48merge_mergepath_partition_config_static_selectorELNS0_4arch9wavefront6targetE1EEEvSJ_,"axG",@progbits,_ZN7rocprim17ROCPRIM_400000_NS6detail17trampoline_kernelINS0_14default_configENS1_38merge_sort_block_merge_config_selectorIiiEEZZNS1_27merge_sort_block_merge_implIS3_N6thrust23THRUST_200600_302600_NS6detail15normal_iteratorINS8_10device_ptrIiEEEESD_jNS1_19radix_merge_compareILb0ELb1EiNS0_19identity_decomposerEEEEE10hipError_tT0_T1_T2_jT3_P12ihipStream_tbPNSt15iterator_traitsISI_E10value_typeEPNSO_ISJ_E10value_typeEPSK_NS1_7vsmem_tEENKUlT_SI_SJ_SK_E_clISD_PiSD_S10_EESH_SX_SI_SJ_SK_EUlSX_E_NS1_11comp_targetILNS1_3genE10ELNS1_11target_archE1201ELNS1_3gpuE5ELNS1_3repE0EEENS1_48merge_mergepath_partition_config_static_selectorELNS0_4arch9wavefront6targetE1EEEvSJ_,comdat
	.protected	_ZN7rocprim17ROCPRIM_400000_NS6detail17trampoline_kernelINS0_14default_configENS1_38merge_sort_block_merge_config_selectorIiiEEZZNS1_27merge_sort_block_merge_implIS3_N6thrust23THRUST_200600_302600_NS6detail15normal_iteratorINS8_10device_ptrIiEEEESD_jNS1_19radix_merge_compareILb0ELb1EiNS0_19identity_decomposerEEEEE10hipError_tT0_T1_T2_jT3_P12ihipStream_tbPNSt15iterator_traitsISI_E10value_typeEPNSO_ISJ_E10value_typeEPSK_NS1_7vsmem_tEENKUlT_SI_SJ_SK_E_clISD_PiSD_S10_EESH_SX_SI_SJ_SK_EUlSX_E_NS1_11comp_targetILNS1_3genE10ELNS1_11target_archE1201ELNS1_3gpuE5ELNS1_3repE0EEENS1_48merge_mergepath_partition_config_static_selectorELNS0_4arch9wavefront6targetE1EEEvSJ_ ; -- Begin function _ZN7rocprim17ROCPRIM_400000_NS6detail17trampoline_kernelINS0_14default_configENS1_38merge_sort_block_merge_config_selectorIiiEEZZNS1_27merge_sort_block_merge_implIS3_N6thrust23THRUST_200600_302600_NS6detail15normal_iteratorINS8_10device_ptrIiEEEESD_jNS1_19radix_merge_compareILb0ELb1EiNS0_19identity_decomposerEEEEE10hipError_tT0_T1_T2_jT3_P12ihipStream_tbPNSt15iterator_traitsISI_E10value_typeEPNSO_ISJ_E10value_typeEPSK_NS1_7vsmem_tEENKUlT_SI_SJ_SK_E_clISD_PiSD_S10_EESH_SX_SI_SJ_SK_EUlSX_E_NS1_11comp_targetILNS1_3genE10ELNS1_11target_archE1201ELNS1_3gpuE5ELNS1_3repE0EEENS1_48merge_mergepath_partition_config_static_selectorELNS0_4arch9wavefront6targetE1EEEvSJ_
	.globl	_ZN7rocprim17ROCPRIM_400000_NS6detail17trampoline_kernelINS0_14default_configENS1_38merge_sort_block_merge_config_selectorIiiEEZZNS1_27merge_sort_block_merge_implIS3_N6thrust23THRUST_200600_302600_NS6detail15normal_iteratorINS8_10device_ptrIiEEEESD_jNS1_19radix_merge_compareILb0ELb1EiNS0_19identity_decomposerEEEEE10hipError_tT0_T1_T2_jT3_P12ihipStream_tbPNSt15iterator_traitsISI_E10value_typeEPNSO_ISJ_E10value_typeEPSK_NS1_7vsmem_tEENKUlT_SI_SJ_SK_E_clISD_PiSD_S10_EESH_SX_SI_SJ_SK_EUlSX_E_NS1_11comp_targetILNS1_3genE10ELNS1_11target_archE1201ELNS1_3gpuE5ELNS1_3repE0EEENS1_48merge_mergepath_partition_config_static_selectorELNS0_4arch9wavefront6targetE1EEEvSJ_
	.p2align	8
	.type	_ZN7rocprim17ROCPRIM_400000_NS6detail17trampoline_kernelINS0_14default_configENS1_38merge_sort_block_merge_config_selectorIiiEEZZNS1_27merge_sort_block_merge_implIS3_N6thrust23THRUST_200600_302600_NS6detail15normal_iteratorINS8_10device_ptrIiEEEESD_jNS1_19radix_merge_compareILb0ELb1EiNS0_19identity_decomposerEEEEE10hipError_tT0_T1_T2_jT3_P12ihipStream_tbPNSt15iterator_traitsISI_E10value_typeEPNSO_ISJ_E10value_typeEPSK_NS1_7vsmem_tEENKUlT_SI_SJ_SK_E_clISD_PiSD_S10_EESH_SX_SI_SJ_SK_EUlSX_E_NS1_11comp_targetILNS1_3genE10ELNS1_11target_archE1201ELNS1_3gpuE5ELNS1_3repE0EEENS1_48merge_mergepath_partition_config_static_selectorELNS0_4arch9wavefront6targetE1EEEvSJ_,@function
_ZN7rocprim17ROCPRIM_400000_NS6detail17trampoline_kernelINS0_14default_configENS1_38merge_sort_block_merge_config_selectorIiiEEZZNS1_27merge_sort_block_merge_implIS3_N6thrust23THRUST_200600_302600_NS6detail15normal_iteratorINS8_10device_ptrIiEEEESD_jNS1_19radix_merge_compareILb0ELb1EiNS0_19identity_decomposerEEEEE10hipError_tT0_T1_T2_jT3_P12ihipStream_tbPNSt15iterator_traitsISI_E10value_typeEPNSO_ISJ_E10value_typeEPSK_NS1_7vsmem_tEENKUlT_SI_SJ_SK_E_clISD_PiSD_S10_EESH_SX_SI_SJ_SK_EUlSX_E_NS1_11comp_targetILNS1_3genE10ELNS1_11target_archE1201ELNS1_3gpuE5ELNS1_3repE0EEENS1_48merge_mergepath_partition_config_static_selectorELNS0_4arch9wavefront6targetE1EEEvSJ_: ; @_ZN7rocprim17ROCPRIM_400000_NS6detail17trampoline_kernelINS0_14default_configENS1_38merge_sort_block_merge_config_selectorIiiEEZZNS1_27merge_sort_block_merge_implIS3_N6thrust23THRUST_200600_302600_NS6detail15normal_iteratorINS8_10device_ptrIiEEEESD_jNS1_19radix_merge_compareILb0ELb1EiNS0_19identity_decomposerEEEEE10hipError_tT0_T1_T2_jT3_P12ihipStream_tbPNSt15iterator_traitsISI_E10value_typeEPNSO_ISJ_E10value_typeEPSK_NS1_7vsmem_tEENKUlT_SI_SJ_SK_E_clISD_PiSD_S10_EESH_SX_SI_SJ_SK_EUlSX_E_NS1_11comp_targetILNS1_3genE10ELNS1_11target_archE1201ELNS1_3gpuE5ELNS1_3repE0EEENS1_48merge_mergepath_partition_config_static_selectorELNS0_4arch9wavefront6targetE1EEEvSJ_
; %bb.0:
	.section	.rodata,"a",@progbits
	.p2align	6, 0x0
	.amdhsa_kernel _ZN7rocprim17ROCPRIM_400000_NS6detail17trampoline_kernelINS0_14default_configENS1_38merge_sort_block_merge_config_selectorIiiEEZZNS1_27merge_sort_block_merge_implIS3_N6thrust23THRUST_200600_302600_NS6detail15normal_iteratorINS8_10device_ptrIiEEEESD_jNS1_19radix_merge_compareILb0ELb1EiNS0_19identity_decomposerEEEEE10hipError_tT0_T1_T2_jT3_P12ihipStream_tbPNSt15iterator_traitsISI_E10value_typeEPNSO_ISJ_E10value_typeEPSK_NS1_7vsmem_tEENKUlT_SI_SJ_SK_E_clISD_PiSD_S10_EESH_SX_SI_SJ_SK_EUlSX_E_NS1_11comp_targetILNS1_3genE10ELNS1_11target_archE1201ELNS1_3gpuE5ELNS1_3repE0EEENS1_48merge_mergepath_partition_config_static_selectorELNS0_4arch9wavefront6targetE1EEEvSJ_
		.amdhsa_group_segment_fixed_size 0
		.amdhsa_private_segment_fixed_size 0
		.amdhsa_kernarg_size 40
		.amdhsa_user_sgpr_count 2
		.amdhsa_user_sgpr_dispatch_ptr 0
		.amdhsa_user_sgpr_queue_ptr 0
		.amdhsa_user_sgpr_kernarg_segment_ptr 1
		.amdhsa_user_sgpr_dispatch_id 0
		.amdhsa_user_sgpr_kernarg_preload_length 0
		.amdhsa_user_sgpr_kernarg_preload_offset 0
		.amdhsa_user_sgpr_private_segment_size 0
		.amdhsa_uses_dynamic_stack 0
		.amdhsa_enable_private_segment 0
		.amdhsa_system_sgpr_workgroup_id_x 1
		.amdhsa_system_sgpr_workgroup_id_y 0
		.amdhsa_system_sgpr_workgroup_id_z 0
		.amdhsa_system_sgpr_workgroup_info 0
		.amdhsa_system_vgpr_workitem_id 0
		.amdhsa_next_free_vgpr 1
		.amdhsa_next_free_sgpr 0
		.amdhsa_accum_offset 4
		.amdhsa_reserve_vcc 0
		.amdhsa_float_round_mode_32 0
		.amdhsa_float_round_mode_16_64 0
		.amdhsa_float_denorm_mode_32 3
		.amdhsa_float_denorm_mode_16_64 3
		.amdhsa_dx10_clamp 1
		.amdhsa_ieee_mode 1
		.amdhsa_fp16_overflow 0
		.amdhsa_tg_split 0
		.amdhsa_exception_fp_ieee_invalid_op 0
		.amdhsa_exception_fp_denorm_src 0
		.amdhsa_exception_fp_ieee_div_zero 0
		.amdhsa_exception_fp_ieee_overflow 0
		.amdhsa_exception_fp_ieee_underflow 0
		.amdhsa_exception_fp_ieee_inexact 0
		.amdhsa_exception_int_div_zero 0
	.end_amdhsa_kernel
	.section	.text._ZN7rocprim17ROCPRIM_400000_NS6detail17trampoline_kernelINS0_14default_configENS1_38merge_sort_block_merge_config_selectorIiiEEZZNS1_27merge_sort_block_merge_implIS3_N6thrust23THRUST_200600_302600_NS6detail15normal_iteratorINS8_10device_ptrIiEEEESD_jNS1_19radix_merge_compareILb0ELb1EiNS0_19identity_decomposerEEEEE10hipError_tT0_T1_T2_jT3_P12ihipStream_tbPNSt15iterator_traitsISI_E10value_typeEPNSO_ISJ_E10value_typeEPSK_NS1_7vsmem_tEENKUlT_SI_SJ_SK_E_clISD_PiSD_S10_EESH_SX_SI_SJ_SK_EUlSX_E_NS1_11comp_targetILNS1_3genE10ELNS1_11target_archE1201ELNS1_3gpuE5ELNS1_3repE0EEENS1_48merge_mergepath_partition_config_static_selectorELNS0_4arch9wavefront6targetE1EEEvSJ_,"axG",@progbits,_ZN7rocprim17ROCPRIM_400000_NS6detail17trampoline_kernelINS0_14default_configENS1_38merge_sort_block_merge_config_selectorIiiEEZZNS1_27merge_sort_block_merge_implIS3_N6thrust23THRUST_200600_302600_NS6detail15normal_iteratorINS8_10device_ptrIiEEEESD_jNS1_19radix_merge_compareILb0ELb1EiNS0_19identity_decomposerEEEEE10hipError_tT0_T1_T2_jT3_P12ihipStream_tbPNSt15iterator_traitsISI_E10value_typeEPNSO_ISJ_E10value_typeEPSK_NS1_7vsmem_tEENKUlT_SI_SJ_SK_E_clISD_PiSD_S10_EESH_SX_SI_SJ_SK_EUlSX_E_NS1_11comp_targetILNS1_3genE10ELNS1_11target_archE1201ELNS1_3gpuE5ELNS1_3repE0EEENS1_48merge_mergepath_partition_config_static_selectorELNS0_4arch9wavefront6targetE1EEEvSJ_,comdat
.Lfunc_end1369:
	.size	_ZN7rocprim17ROCPRIM_400000_NS6detail17trampoline_kernelINS0_14default_configENS1_38merge_sort_block_merge_config_selectorIiiEEZZNS1_27merge_sort_block_merge_implIS3_N6thrust23THRUST_200600_302600_NS6detail15normal_iteratorINS8_10device_ptrIiEEEESD_jNS1_19radix_merge_compareILb0ELb1EiNS0_19identity_decomposerEEEEE10hipError_tT0_T1_T2_jT3_P12ihipStream_tbPNSt15iterator_traitsISI_E10value_typeEPNSO_ISJ_E10value_typeEPSK_NS1_7vsmem_tEENKUlT_SI_SJ_SK_E_clISD_PiSD_S10_EESH_SX_SI_SJ_SK_EUlSX_E_NS1_11comp_targetILNS1_3genE10ELNS1_11target_archE1201ELNS1_3gpuE5ELNS1_3repE0EEENS1_48merge_mergepath_partition_config_static_selectorELNS0_4arch9wavefront6targetE1EEEvSJ_, .Lfunc_end1369-_ZN7rocprim17ROCPRIM_400000_NS6detail17trampoline_kernelINS0_14default_configENS1_38merge_sort_block_merge_config_selectorIiiEEZZNS1_27merge_sort_block_merge_implIS3_N6thrust23THRUST_200600_302600_NS6detail15normal_iteratorINS8_10device_ptrIiEEEESD_jNS1_19radix_merge_compareILb0ELb1EiNS0_19identity_decomposerEEEEE10hipError_tT0_T1_T2_jT3_P12ihipStream_tbPNSt15iterator_traitsISI_E10value_typeEPNSO_ISJ_E10value_typeEPSK_NS1_7vsmem_tEENKUlT_SI_SJ_SK_E_clISD_PiSD_S10_EESH_SX_SI_SJ_SK_EUlSX_E_NS1_11comp_targetILNS1_3genE10ELNS1_11target_archE1201ELNS1_3gpuE5ELNS1_3repE0EEENS1_48merge_mergepath_partition_config_static_selectorELNS0_4arch9wavefront6targetE1EEEvSJ_
                                        ; -- End function
	.set _ZN7rocprim17ROCPRIM_400000_NS6detail17trampoline_kernelINS0_14default_configENS1_38merge_sort_block_merge_config_selectorIiiEEZZNS1_27merge_sort_block_merge_implIS3_N6thrust23THRUST_200600_302600_NS6detail15normal_iteratorINS8_10device_ptrIiEEEESD_jNS1_19radix_merge_compareILb0ELb1EiNS0_19identity_decomposerEEEEE10hipError_tT0_T1_T2_jT3_P12ihipStream_tbPNSt15iterator_traitsISI_E10value_typeEPNSO_ISJ_E10value_typeEPSK_NS1_7vsmem_tEENKUlT_SI_SJ_SK_E_clISD_PiSD_S10_EESH_SX_SI_SJ_SK_EUlSX_E_NS1_11comp_targetILNS1_3genE10ELNS1_11target_archE1201ELNS1_3gpuE5ELNS1_3repE0EEENS1_48merge_mergepath_partition_config_static_selectorELNS0_4arch9wavefront6targetE1EEEvSJ_.num_vgpr, 0
	.set _ZN7rocprim17ROCPRIM_400000_NS6detail17trampoline_kernelINS0_14default_configENS1_38merge_sort_block_merge_config_selectorIiiEEZZNS1_27merge_sort_block_merge_implIS3_N6thrust23THRUST_200600_302600_NS6detail15normal_iteratorINS8_10device_ptrIiEEEESD_jNS1_19radix_merge_compareILb0ELb1EiNS0_19identity_decomposerEEEEE10hipError_tT0_T1_T2_jT3_P12ihipStream_tbPNSt15iterator_traitsISI_E10value_typeEPNSO_ISJ_E10value_typeEPSK_NS1_7vsmem_tEENKUlT_SI_SJ_SK_E_clISD_PiSD_S10_EESH_SX_SI_SJ_SK_EUlSX_E_NS1_11comp_targetILNS1_3genE10ELNS1_11target_archE1201ELNS1_3gpuE5ELNS1_3repE0EEENS1_48merge_mergepath_partition_config_static_selectorELNS0_4arch9wavefront6targetE1EEEvSJ_.num_agpr, 0
	.set _ZN7rocprim17ROCPRIM_400000_NS6detail17trampoline_kernelINS0_14default_configENS1_38merge_sort_block_merge_config_selectorIiiEEZZNS1_27merge_sort_block_merge_implIS3_N6thrust23THRUST_200600_302600_NS6detail15normal_iteratorINS8_10device_ptrIiEEEESD_jNS1_19radix_merge_compareILb0ELb1EiNS0_19identity_decomposerEEEEE10hipError_tT0_T1_T2_jT3_P12ihipStream_tbPNSt15iterator_traitsISI_E10value_typeEPNSO_ISJ_E10value_typeEPSK_NS1_7vsmem_tEENKUlT_SI_SJ_SK_E_clISD_PiSD_S10_EESH_SX_SI_SJ_SK_EUlSX_E_NS1_11comp_targetILNS1_3genE10ELNS1_11target_archE1201ELNS1_3gpuE5ELNS1_3repE0EEENS1_48merge_mergepath_partition_config_static_selectorELNS0_4arch9wavefront6targetE1EEEvSJ_.numbered_sgpr, 0
	.set _ZN7rocprim17ROCPRIM_400000_NS6detail17trampoline_kernelINS0_14default_configENS1_38merge_sort_block_merge_config_selectorIiiEEZZNS1_27merge_sort_block_merge_implIS3_N6thrust23THRUST_200600_302600_NS6detail15normal_iteratorINS8_10device_ptrIiEEEESD_jNS1_19radix_merge_compareILb0ELb1EiNS0_19identity_decomposerEEEEE10hipError_tT0_T1_T2_jT3_P12ihipStream_tbPNSt15iterator_traitsISI_E10value_typeEPNSO_ISJ_E10value_typeEPSK_NS1_7vsmem_tEENKUlT_SI_SJ_SK_E_clISD_PiSD_S10_EESH_SX_SI_SJ_SK_EUlSX_E_NS1_11comp_targetILNS1_3genE10ELNS1_11target_archE1201ELNS1_3gpuE5ELNS1_3repE0EEENS1_48merge_mergepath_partition_config_static_selectorELNS0_4arch9wavefront6targetE1EEEvSJ_.num_named_barrier, 0
	.set _ZN7rocprim17ROCPRIM_400000_NS6detail17trampoline_kernelINS0_14default_configENS1_38merge_sort_block_merge_config_selectorIiiEEZZNS1_27merge_sort_block_merge_implIS3_N6thrust23THRUST_200600_302600_NS6detail15normal_iteratorINS8_10device_ptrIiEEEESD_jNS1_19radix_merge_compareILb0ELb1EiNS0_19identity_decomposerEEEEE10hipError_tT0_T1_T2_jT3_P12ihipStream_tbPNSt15iterator_traitsISI_E10value_typeEPNSO_ISJ_E10value_typeEPSK_NS1_7vsmem_tEENKUlT_SI_SJ_SK_E_clISD_PiSD_S10_EESH_SX_SI_SJ_SK_EUlSX_E_NS1_11comp_targetILNS1_3genE10ELNS1_11target_archE1201ELNS1_3gpuE5ELNS1_3repE0EEENS1_48merge_mergepath_partition_config_static_selectorELNS0_4arch9wavefront6targetE1EEEvSJ_.private_seg_size, 0
	.set _ZN7rocprim17ROCPRIM_400000_NS6detail17trampoline_kernelINS0_14default_configENS1_38merge_sort_block_merge_config_selectorIiiEEZZNS1_27merge_sort_block_merge_implIS3_N6thrust23THRUST_200600_302600_NS6detail15normal_iteratorINS8_10device_ptrIiEEEESD_jNS1_19radix_merge_compareILb0ELb1EiNS0_19identity_decomposerEEEEE10hipError_tT0_T1_T2_jT3_P12ihipStream_tbPNSt15iterator_traitsISI_E10value_typeEPNSO_ISJ_E10value_typeEPSK_NS1_7vsmem_tEENKUlT_SI_SJ_SK_E_clISD_PiSD_S10_EESH_SX_SI_SJ_SK_EUlSX_E_NS1_11comp_targetILNS1_3genE10ELNS1_11target_archE1201ELNS1_3gpuE5ELNS1_3repE0EEENS1_48merge_mergepath_partition_config_static_selectorELNS0_4arch9wavefront6targetE1EEEvSJ_.uses_vcc, 0
	.set _ZN7rocprim17ROCPRIM_400000_NS6detail17trampoline_kernelINS0_14default_configENS1_38merge_sort_block_merge_config_selectorIiiEEZZNS1_27merge_sort_block_merge_implIS3_N6thrust23THRUST_200600_302600_NS6detail15normal_iteratorINS8_10device_ptrIiEEEESD_jNS1_19radix_merge_compareILb0ELb1EiNS0_19identity_decomposerEEEEE10hipError_tT0_T1_T2_jT3_P12ihipStream_tbPNSt15iterator_traitsISI_E10value_typeEPNSO_ISJ_E10value_typeEPSK_NS1_7vsmem_tEENKUlT_SI_SJ_SK_E_clISD_PiSD_S10_EESH_SX_SI_SJ_SK_EUlSX_E_NS1_11comp_targetILNS1_3genE10ELNS1_11target_archE1201ELNS1_3gpuE5ELNS1_3repE0EEENS1_48merge_mergepath_partition_config_static_selectorELNS0_4arch9wavefront6targetE1EEEvSJ_.uses_flat_scratch, 0
	.set _ZN7rocprim17ROCPRIM_400000_NS6detail17trampoline_kernelINS0_14default_configENS1_38merge_sort_block_merge_config_selectorIiiEEZZNS1_27merge_sort_block_merge_implIS3_N6thrust23THRUST_200600_302600_NS6detail15normal_iteratorINS8_10device_ptrIiEEEESD_jNS1_19radix_merge_compareILb0ELb1EiNS0_19identity_decomposerEEEEE10hipError_tT0_T1_T2_jT3_P12ihipStream_tbPNSt15iterator_traitsISI_E10value_typeEPNSO_ISJ_E10value_typeEPSK_NS1_7vsmem_tEENKUlT_SI_SJ_SK_E_clISD_PiSD_S10_EESH_SX_SI_SJ_SK_EUlSX_E_NS1_11comp_targetILNS1_3genE10ELNS1_11target_archE1201ELNS1_3gpuE5ELNS1_3repE0EEENS1_48merge_mergepath_partition_config_static_selectorELNS0_4arch9wavefront6targetE1EEEvSJ_.has_dyn_sized_stack, 0
	.set _ZN7rocprim17ROCPRIM_400000_NS6detail17trampoline_kernelINS0_14default_configENS1_38merge_sort_block_merge_config_selectorIiiEEZZNS1_27merge_sort_block_merge_implIS3_N6thrust23THRUST_200600_302600_NS6detail15normal_iteratorINS8_10device_ptrIiEEEESD_jNS1_19radix_merge_compareILb0ELb1EiNS0_19identity_decomposerEEEEE10hipError_tT0_T1_T2_jT3_P12ihipStream_tbPNSt15iterator_traitsISI_E10value_typeEPNSO_ISJ_E10value_typeEPSK_NS1_7vsmem_tEENKUlT_SI_SJ_SK_E_clISD_PiSD_S10_EESH_SX_SI_SJ_SK_EUlSX_E_NS1_11comp_targetILNS1_3genE10ELNS1_11target_archE1201ELNS1_3gpuE5ELNS1_3repE0EEENS1_48merge_mergepath_partition_config_static_selectorELNS0_4arch9wavefront6targetE1EEEvSJ_.has_recursion, 0
	.set _ZN7rocprim17ROCPRIM_400000_NS6detail17trampoline_kernelINS0_14default_configENS1_38merge_sort_block_merge_config_selectorIiiEEZZNS1_27merge_sort_block_merge_implIS3_N6thrust23THRUST_200600_302600_NS6detail15normal_iteratorINS8_10device_ptrIiEEEESD_jNS1_19radix_merge_compareILb0ELb1EiNS0_19identity_decomposerEEEEE10hipError_tT0_T1_T2_jT3_P12ihipStream_tbPNSt15iterator_traitsISI_E10value_typeEPNSO_ISJ_E10value_typeEPSK_NS1_7vsmem_tEENKUlT_SI_SJ_SK_E_clISD_PiSD_S10_EESH_SX_SI_SJ_SK_EUlSX_E_NS1_11comp_targetILNS1_3genE10ELNS1_11target_archE1201ELNS1_3gpuE5ELNS1_3repE0EEENS1_48merge_mergepath_partition_config_static_selectorELNS0_4arch9wavefront6targetE1EEEvSJ_.has_indirect_call, 0
	.section	.AMDGPU.csdata,"",@progbits
; Kernel info:
; codeLenInByte = 0
; TotalNumSgprs: 6
; NumVgprs: 0
; NumAgprs: 0
; TotalNumVgprs: 0
; ScratchSize: 0
; MemoryBound: 0
; FloatMode: 240
; IeeeMode: 1
; LDSByteSize: 0 bytes/workgroup (compile time only)
; SGPRBlocks: 0
; VGPRBlocks: 0
; NumSGPRsForWavesPerEU: 6
; NumVGPRsForWavesPerEU: 1
; AccumOffset: 4
; Occupancy: 8
; WaveLimiterHint : 0
; COMPUTE_PGM_RSRC2:SCRATCH_EN: 0
; COMPUTE_PGM_RSRC2:USER_SGPR: 2
; COMPUTE_PGM_RSRC2:TRAP_HANDLER: 0
; COMPUTE_PGM_RSRC2:TGID_X_EN: 1
; COMPUTE_PGM_RSRC2:TGID_Y_EN: 0
; COMPUTE_PGM_RSRC2:TGID_Z_EN: 0
; COMPUTE_PGM_RSRC2:TIDIG_COMP_CNT: 0
; COMPUTE_PGM_RSRC3_GFX90A:ACCUM_OFFSET: 0
; COMPUTE_PGM_RSRC3_GFX90A:TG_SPLIT: 0
	.section	.text._ZN7rocprim17ROCPRIM_400000_NS6detail17trampoline_kernelINS0_14default_configENS1_38merge_sort_block_merge_config_selectorIiiEEZZNS1_27merge_sort_block_merge_implIS3_N6thrust23THRUST_200600_302600_NS6detail15normal_iteratorINS8_10device_ptrIiEEEESD_jNS1_19radix_merge_compareILb0ELb1EiNS0_19identity_decomposerEEEEE10hipError_tT0_T1_T2_jT3_P12ihipStream_tbPNSt15iterator_traitsISI_E10value_typeEPNSO_ISJ_E10value_typeEPSK_NS1_7vsmem_tEENKUlT_SI_SJ_SK_E_clISD_PiSD_S10_EESH_SX_SI_SJ_SK_EUlSX_E_NS1_11comp_targetILNS1_3genE5ELNS1_11target_archE942ELNS1_3gpuE9ELNS1_3repE0EEENS1_48merge_mergepath_partition_config_static_selectorELNS0_4arch9wavefront6targetE1EEEvSJ_,"axG",@progbits,_ZN7rocprim17ROCPRIM_400000_NS6detail17trampoline_kernelINS0_14default_configENS1_38merge_sort_block_merge_config_selectorIiiEEZZNS1_27merge_sort_block_merge_implIS3_N6thrust23THRUST_200600_302600_NS6detail15normal_iteratorINS8_10device_ptrIiEEEESD_jNS1_19radix_merge_compareILb0ELb1EiNS0_19identity_decomposerEEEEE10hipError_tT0_T1_T2_jT3_P12ihipStream_tbPNSt15iterator_traitsISI_E10value_typeEPNSO_ISJ_E10value_typeEPSK_NS1_7vsmem_tEENKUlT_SI_SJ_SK_E_clISD_PiSD_S10_EESH_SX_SI_SJ_SK_EUlSX_E_NS1_11comp_targetILNS1_3genE5ELNS1_11target_archE942ELNS1_3gpuE9ELNS1_3repE0EEENS1_48merge_mergepath_partition_config_static_selectorELNS0_4arch9wavefront6targetE1EEEvSJ_,comdat
	.protected	_ZN7rocprim17ROCPRIM_400000_NS6detail17trampoline_kernelINS0_14default_configENS1_38merge_sort_block_merge_config_selectorIiiEEZZNS1_27merge_sort_block_merge_implIS3_N6thrust23THRUST_200600_302600_NS6detail15normal_iteratorINS8_10device_ptrIiEEEESD_jNS1_19radix_merge_compareILb0ELb1EiNS0_19identity_decomposerEEEEE10hipError_tT0_T1_T2_jT3_P12ihipStream_tbPNSt15iterator_traitsISI_E10value_typeEPNSO_ISJ_E10value_typeEPSK_NS1_7vsmem_tEENKUlT_SI_SJ_SK_E_clISD_PiSD_S10_EESH_SX_SI_SJ_SK_EUlSX_E_NS1_11comp_targetILNS1_3genE5ELNS1_11target_archE942ELNS1_3gpuE9ELNS1_3repE0EEENS1_48merge_mergepath_partition_config_static_selectorELNS0_4arch9wavefront6targetE1EEEvSJ_ ; -- Begin function _ZN7rocprim17ROCPRIM_400000_NS6detail17trampoline_kernelINS0_14default_configENS1_38merge_sort_block_merge_config_selectorIiiEEZZNS1_27merge_sort_block_merge_implIS3_N6thrust23THRUST_200600_302600_NS6detail15normal_iteratorINS8_10device_ptrIiEEEESD_jNS1_19radix_merge_compareILb0ELb1EiNS0_19identity_decomposerEEEEE10hipError_tT0_T1_T2_jT3_P12ihipStream_tbPNSt15iterator_traitsISI_E10value_typeEPNSO_ISJ_E10value_typeEPSK_NS1_7vsmem_tEENKUlT_SI_SJ_SK_E_clISD_PiSD_S10_EESH_SX_SI_SJ_SK_EUlSX_E_NS1_11comp_targetILNS1_3genE5ELNS1_11target_archE942ELNS1_3gpuE9ELNS1_3repE0EEENS1_48merge_mergepath_partition_config_static_selectorELNS0_4arch9wavefront6targetE1EEEvSJ_
	.globl	_ZN7rocprim17ROCPRIM_400000_NS6detail17trampoline_kernelINS0_14default_configENS1_38merge_sort_block_merge_config_selectorIiiEEZZNS1_27merge_sort_block_merge_implIS3_N6thrust23THRUST_200600_302600_NS6detail15normal_iteratorINS8_10device_ptrIiEEEESD_jNS1_19radix_merge_compareILb0ELb1EiNS0_19identity_decomposerEEEEE10hipError_tT0_T1_T2_jT3_P12ihipStream_tbPNSt15iterator_traitsISI_E10value_typeEPNSO_ISJ_E10value_typeEPSK_NS1_7vsmem_tEENKUlT_SI_SJ_SK_E_clISD_PiSD_S10_EESH_SX_SI_SJ_SK_EUlSX_E_NS1_11comp_targetILNS1_3genE5ELNS1_11target_archE942ELNS1_3gpuE9ELNS1_3repE0EEENS1_48merge_mergepath_partition_config_static_selectorELNS0_4arch9wavefront6targetE1EEEvSJ_
	.p2align	8
	.type	_ZN7rocprim17ROCPRIM_400000_NS6detail17trampoline_kernelINS0_14default_configENS1_38merge_sort_block_merge_config_selectorIiiEEZZNS1_27merge_sort_block_merge_implIS3_N6thrust23THRUST_200600_302600_NS6detail15normal_iteratorINS8_10device_ptrIiEEEESD_jNS1_19radix_merge_compareILb0ELb1EiNS0_19identity_decomposerEEEEE10hipError_tT0_T1_T2_jT3_P12ihipStream_tbPNSt15iterator_traitsISI_E10value_typeEPNSO_ISJ_E10value_typeEPSK_NS1_7vsmem_tEENKUlT_SI_SJ_SK_E_clISD_PiSD_S10_EESH_SX_SI_SJ_SK_EUlSX_E_NS1_11comp_targetILNS1_3genE5ELNS1_11target_archE942ELNS1_3gpuE9ELNS1_3repE0EEENS1_48merge_mergepath_partition_config_static_selectorELNS0_4arch9wavefront6targetE1EEEvSJ_,@function
_ZN7rocprim17ROCPRIM_400000_NS6detail17trampoline_kernelINS0_14default_configENS1_38merge_sort_block_merge_config_selectorIiiEEZZNS1_27merge_sort_block_merge_implIS3_N6thrust23THRUST_200600_302600_NS6detail15normal_iteratorINS8_10device_ptrIiEEEESD_jNS1_19radix_merge_compareILb0ELb1EiNS0_19identity_decomposerEEEEE10hipError_tT0_T1_T2_jT3_P12ihipStream_tbPNSt15iterator_traitsISI_E10value_typeEPNSO_ISJ_E10value_typeEPSK_NS1_7vsmem_tEENKUlT_SI_SJ_SK_E_clISD_PiSD_S10_EESH_SX_SI_SJ_SK_EUlSX_E_NS1_11comp_targetILNS1_3genE5ELNS1_11target_archE942ELNS1_3gpuE9ELNS1_3repE0EEENS1_48merge_mergepath_partition_config_static_selectorELNS0_4arch9wavefront6targetE1EEEvSJ_: ; @_ZN7rocprim17ROCPRIM_400000_NS6detail17trampoline_kernelINS0_14default_configENS1_38merge_sort_block_merge_config_selectorIiiEEZZNS1_27merge_sort_block_merge_implIS3_N6thrust23THRUST_200600_302600_NS6detail15normal_iteratorINS8_10device_ptrIiEEEESD_jNS1_19radix_merge_compareILb0ELb1EiNS0_19identity_decomposerEEEEE10hipError_tT0_T1_T2_jT3_P12ihipStream_tbPNSt15iterator_traitsISI_E10value_typeEPNSO_ISJ_E10value_typeEPSK_NS1_7vsmem_tEENKUlT_SI_SJ_SK_E_clISD_PiSD_S10_EESH_SX_SI_SJ_SK_EUlSX_E_NS1_11comp_targetILNS1_3genE5ELNS1_11target_archE942ELNS1_3gpuE9ELNS1_3repE0EEENS1_48merge_mergepath_partition_config_static_selectorELNS0_4arch9wavefront6targetE1EEEvSJ_
; %bb.0:
	.section	.rodata,"a",@progbits
	.p2align	6, 0x0
	.amdhsa_kernel _ZN7rocprim17ROCPRIM_400000_NS6detail17trampoline_kernelINS0_14default_configENS1_38merge_sort_block_merge_config_selectorIiiEEZZNS1_27merge_sort_block_merge_implIS3_N6thrust23THRUST_200600_302600_NS6detail15normal_iteratorINS8_10device_ptrIiEEEESD_jNS1_19radix_merge_compareILb0ELb1EiNS0_19identity_decomposerEEEEE10hipError_tT0_T1_T2_jT3_P12ihipStream_tbPNSt15iterator_traitsISI_E10value_typeEPNSO_ISJ_E10value_typeEPSK_NS1_7vsmem_tEENKUlT_SI_SJ_SK_E_clISD_PiSD_S10_EESH_SX_SI_SJ_SK_EUlSX_E_NS1_11comp_targetILNS1_3genE5ELNS1_11target_archE942ELNS1_3gpuE9ELNS1_3repE0EEENS1_48merge_mergepath_partition_config_static_selectorELNS0_4arch9wavefront6targetE1EEEvSJ_
		.amdhsa_group_segment_fixed_size 0
		.amdhsa_private_segment_fixed_size 0
		.amdhsa_kernarg_size 40
		.amdhsa_user_sgpr_count 2
		.amdhsa_user_sgpr_dispatch_ptr 0
		.amdhsa_user_sgpr_queue_ptr 0
		.amdhsa_user_sgpr_kernarg_segment_ptr 1
		.amdhsa_user_sgpr_dispatch_id 0
		.amdhsa_user_sgpr_kernarg_preload_length 0
		.amdhsa_user_sgpr_kernarg_preload_offset 0
		.amdhsa_user_sgpr_private_segment_size 0
		.amdhsa_uses_dynamic_stack 0
		.amdhsa_enable_private_segment 0
		.amdhsa_system_sgpr_workgroup_id_x 1
		.amdhsa_system_sgpr_workgroup_id_y 0
		.amdhsa_system_sgpr_workgroup_id_z 0
		.amdhsa_system_sgpr_workgroup_info 0
		.amdhsa_system_vgpr_workitem_id 0
		.amdhsa_next_free_vgpr 1
		.amdhsa_next_free_sgpr 0
		.amdhsa_accum_offset 4
		.amdhsa_reserve_vcc 0
		.amdhsa_float_round_mode_32 0
		.amdhsa_float_round_mode_16_64 0
		.amdhsa_float_denorm_mode_32 3
		.amdhsa_float_denorm_mode_16_64 3
		.amdhsa_dx10_clamp 1
		.amdhsa_ieee_mode 1
		.amdhsa_fp16_overflow 0
		.amdhsa_tg_split 0
		.amdhsa_exception_fp_ieee_invalid_op 0
		.amdhsa_exception_fp_denorm_src 0
		.amdhsa_exception_fp_ieee_div_zero 0
		.amdhsa_exception_fp_ieee_overflow 0
		.amdhsa_exception_fp_ieee_underflow 0
		.amdhsa_exception_fp_ieee_inexact 0
		.amdhsa_exception_int_div_zero 0
	.end_amdhsa_kernel
	.section	.text._ZN7rocprim17ROCPRIM_400000_NS6detail17trampoline_kernelINS0_14default_configENS1_38merge_sort_block_merge_config_selectorIiiEEZZNS1_27merge_sort_block_merge_implIS3_N6thrust23THRUST_200600_302600_NS6detail15normal_iteratorINS8_10device_ptrIiEEEESD_jNS1_19radix_merge_compareILb0ELb1EiNS0_19identity_decomposerEEEEE10hipError_tT0_T1_T2_jT3_P12ihipStream_tbPNSt15iterator_traitsISI_E10value_typeEPNSO_ISJ_E10value_typeEPSK_NS1_7vsmem_tEENKUlT_SI_SJ_SK_E_clISD_PiSD_S10_EESH_SX_SI_SJ_SK_EUlSX_E_NS1_11comp_targetILNS1_3genE5ELNS1_11target_archE942ELNS1_3gpuE9ELNS1_3repE0EEENS1_48merge_mergepath_partition_config_static_selectorELNS0_4arch9wavefront6targetE1EEEvSJ_,"axG",@progbits,_ZN7rocprim17ROCPRIM_400000_NS6detail17trampoline_kernelINS0_14default_configENS1_38merge_sort_block_merge_config_selectorIiiEEZZNS1_27merge_sort_block_merge_implIS3_N6thrust23THRUST_200600_302600_NS6detail15normal_iteratorINS8_10device_ptrIiEEEESD_jNS1_19radix_merge_compareILb0ELb1EiNS0_19identity_decomposerEEEEE10hipError_tT0_T1_T2_jT3_P12ihipStream_tbPNSt15iterator_traitsISI_E10value_typeEPNSO_ISJ_E10value_typeEPSK_NS1_7vsmem_tEENKUlT_SI_SJ_SK_E_clISD_PiSD_S10_EESH_SX_SI_SJ_SK_EUlSX_E_NS1_11comp_targetILNS1_3genE5ELNS1_11target_archE942ELNS1_3gpuE9ELNS1_3repE0EEENS1_48merge_mergepath_partition_config_static_selectorELNS0_4arch9wavefront6targetE1EEEvSJ_,comdat
.Lfunc_end1370:
	.size	_ZN7rocprim17ROCPRIM_400000_NS6detail17trampoline_kernelINS0_14default_configENS1_38merge_sort_block_merge_config_selectorIiiEEZZNS1_27merge_sort_block_merge_implIS3_N6thrust23THRUST_200600_302600_NS6detail15normal_iteratorINS8_10device_ptrIiEEEESD_jNS1_19radix_merge_compareILb0ELb1EiNS0_19identity_decomposerEEEEE10hipError_tT0_T1_T2_jT3_P12ihipStream_tbPNSt15iterator_traitsISI_E10value_typeEPNSO_ISJ_E10value_typeEPSK_NS1_7vsmem_tEENKUlT_SI_SJ_SK_E_clISD_PiSD_S10_EESH_SX_SI_SJ_SK_EUlSX_E_NS1_11comp_targetILNS1_3genE5ELNS1_11target_archE942ELNS1_3gpuE9ELNS1_3repE0EEENS1_48merge_mergepath_partition_config_static_selectorELNS0_4arch9wavefront6targetE1EEEvSJ_, .Lfunc_end1370-_ZN7rocprim17ROCPRIM_400000_NS6detail17trampoline_kernelINS0_14default_configENS1_38merge_sort_block_merge_config_selectorIiiEEZZNS1_27merge_sort_block_merge_implIS3_N6thrust23THRUST_200600_302600_NS6detail15normal_iteratorINS8_10device_ptrIiEEEESD_jNS1_19radix_merge_compareILb0ELb1EiNS0_19identity_decomposerEEEEE10hipError_tT0_T1_T2_jT3_P12ihipStream_tbPNSt15iterator_traitsISI_E10value_typeEPNSO_ISJ_E10value_typeEPSK_NS1_7vsmem_tEENKUlT_SI_SJ_SK_E_clISD_PiSD_S10_EESH_SX_SI_SJ_SK_EUlSX_E_NS1_11comp_targetILNS1_3genE5ELNS1_11target_archE942ELNS1_3gpuE9ELNS1_3repE0EEENS1_48merge_mergepath_partition_config_static_selectorELNS0_4arch9wavefront6targetE1EEEvSJ_
                                        ; -- End function
	.set _ZN7rocprim17ROCPRIM_400000_NS6detail17trampoline_kernelINS0_14default_configENS1_38merge_sort_block_merge_config_selectorIiiEEZZNS1_27merge_sort_block_merge_implIS3_N6thrust23THRUST_200600_302600_NS6detail15normal_iteratorINS8_10device_ptrIiEEEESD_jNS1_19radix_merge_compareILb0ELb1EiNS0_19identity_decomposerEEEEE10hipError_tT0_T1_T2_jT3_P12ihipStream_tbPNSt15iterator_traitsISI_E10value_typeEPNSO_ISJ_E10value_typeEPSK_NS1_7vsmem_tEENKUlT_SI_SJ_SK_E_clISD_PiSD_S10_EESH_SX_SI_SJ_SK_EUlSX_E_NS1_11comp_targetILNS1_3genE5ELNS1_11target_archE942ELNS1_3gpuE9ELNS1_3repE0EEENS1_48merge_mergepath_partition_config_static_selectorELNS0_4arch9wavefront6targetE1EEEvSJ_.num_vgpr, 0
	.set _ZN7rocprim17ROCPRIM_400000_NS6detail17trampoline_kernelINS0_14default_configENS1_38merge_sort_block_merge_config_selectorIiiEEZZNS1_27merge_sort_block_merge_implIS3_N6thrust23THRUST_200600_302600_NS6detail15normal_iteratorINS8_10device_ptrIiEEEESD_jNS1_19radix_merge_compareILb0ELb1EiNS0_19identity_decomposerEEEEE10hipError_tT0_T1_T2_jT3_P12ihipStream_tbPNSt15iterator_traitsISI_E10value_typeEPNSO_ISJ_E10value_typeEPSK_NS1_7vsmem_tEENKUlT_SI_SJ_SK_E_clISD_PiSD_S10_EESH_SX_SI_SJ_SK_EUlSX_E_NS1_11comp_targetILNS1_3genE5ELNS1_11target_archE942ELNS1_3gpuE9ELNS1_3repE0EEENS1_48merge_mergepath_partition_config_static_selectorELNS0_4arch9wavefront6targetE1EEEvSJ_.num_agpr, 0
	.set _ZN7rocprim17ROCPRIM_400000_NS6detail17trampoline_kernelINS0_14default_configENS1_38merge_sort_block_merge_config_selectorIiiEEZZNS1_27merge_sort_block_merge_implIS3_N6thrust23THRUST_200600_302600_NS6detail15normal_iteratorINS8_10device_ptrIiEEEESD_jNS1_19radix_merge_compareILb0ELb1EiNS0_19identity_decomposerEEEEE10hipError_tT0_T1_T2_jT3_P12ihipStream_tbPNSt15iterator_traitsISI_E10value_typeEPNSO_ISJ_E10value_typeEPSK_NS1_7vsmem_tEENKUlT_SI_SJ_SK_E_clISD_PiSD_S10_EESH_SX_SI_SJ_SK_EUlSX_E_NS1_11comp_targetILNS1_3genE5ELNS1_11target_archE942ELNS1_3gpuE9ELNS1_3repE0EEENS1_48merge_mergepath_partition_config_static_selectorELNS0_4arch9wavefront6targetE1EEEvSJ_.numbered_sgpr, 0
	.set _ZN7rocprim17ROCPRIM_400000_NS6detail17trampoline_kernelINS0_14default_configENS1_38merge_sort_block_merge_config_selectorIiiEEZZNS1_27merge_sort_block_merge_implIS3_N6thrust23THRUST_200600_302600_NS6detail15normal_iteratorINS8_10device_ptrIiEEEESD_jNS1_19radix_merge_compareILb0ELb1EiNS0_19identity_decomposerEEEEE10hipError_tT0_T1_T2_jT3_P12ihipStream_tbPNSt15iterator_traitsISI_E10value_typeEPNSO_ISJ_E10value_typeEPSK_NS1_7vsmem_tEENKUlT_SI_SJ_SK_E_clISD_PiSD_S10_EESH_SX_SI_SJ_SK_EUlSX_E_NS1_11comp_targetILNS1_3genE5ELNS1_11target_archE942ELNS1_3gpuE9ELNS1_3repE0EEENS1_48merge_mergepath_partition_config_static_selectorELNS0_4arch9wavefront6targetE1EEEvSJ_.num_named_barrier, 0
	.set _ZN7rocprim17ROCPRIM_400000_NS6detail17trampoline_kernelINS0_14default_configENS1_38merge_sort_block_merge_config_selectorIiiEEZZNS1_27merge_sort_block_merge_implIS3_N6thrust23THRUST_200600_302600_NS6detail15normal_iteratorINS8_10device_ptrIiEEEESD_jNS1_19radix_merge_compareILb0ELb1EiNS0_19identity_decomposerEEEEE10hipError_tT0_T1_T2_jT3_P12ihipStream_tbPNSt15iterator_traitsISI_E10value_typeEPNSO_ISJ_E10value_typeEPSK_NS1_7vsmem_tEENKUlT_SI_SJ_SK_E_clISD_PiSD_S10_EESH_SX_SI_SJ_SK_EUlSX_E_NS1_11comp_targetILNS1_3genE5ELNS1_11target_archE942ELNS1_3gpuE9ELNS1_3repE0EEENS1_48merge_mergepath_partition_config_static_selectorELNS0_4arch9wavefront6targetE1EEEvSJ_.private_seg_size, 0
	.set _ZN7rocprim17ROCPRIM_400000_NS6detail17trampoline_kernelINS0_14default_configENS1_38merge_sort_block_merge_config_selectorIiiEEZZNS1_27merge_sort_block_merge_implIS3_N6thrust23THRUST_200600_302600_NS6detail15normal_iteratorINS8_10device_ptrIiEEEESD_jNS1_19radix_merge_compareILb0ELb1EiNS0_19identity_decomposerEEEEE10hipError_tT0_T1_T2_jT3_P12ihipStream_tbPNSt15iterator_traitsISI_E10value_typeEPNSO_ISJ_E10value_typeEPSK_NS1_7vsmem_tEENKUlT_SI_SJ_SK_E_clISD_PiSD_S10_EESH_SX_SI_SJ_SK_EUlSX_E_NS1_11comp_targetILNS1_3genE5ELNS1_11target_archE942ELNS1_3gpuE9ELNS1_3repE0EEENS1_48merge_mergepath_partition_config_static_selectorELNS0_4arch9wavefront6targetE1EEEvSJ_.uses_vcc, 0
	.set _ZN7rocprim17ROCPRIM_400000_NS6detail17trampoline_kernelINS0_14default_configENS1_38merge_sort_block_merge_config_selectorIiiEEZZNS1_27merge_sort_block_merge_implIS3_N6thrust23THRUST_200600_302600_NS6detail15normal_iteratorINS8_10device_ptrIiEEEESD_jNS1_19radix_merge_compareILb0ELb1EiNS0_19identity_decomposerEEEEE10hipError_tT0_T1_T2_jT3_P12ihipStream_tbPNSt15iterator_traitsISI_E10value_typeEPNSO_ISJ_E10value_typeEPSK_NS1_7vsmem_tEENKUlT_SI_SJ_SK_E_clISD_PiSD_S10_EESH_SX_SI_SJ_SK_EUlSX_E_NS1_11comp_targetILNS1_3genE5ELNS1_11target_archE942ELNS1_3gpuE9ELNS1_3repE0EEENS1_48merge_mergepath_partition_config_static_selectorELNS0_4arch9wavefront6targetE1EEEvSJ_.uses_flat_scratch, 0
	.set _ZN7rocprim17ROCPRIM_400000_NS6detail17trampoline_kernelINS0_14default_configENS1_38merge_sort_block_merge_config_selectorIiiEEZZNS1_27merge_sort_block_merge_implIS3_N6thrust23THRUST_200600_302600_NS6detail15normal_iteratorINS8_10device_ptrIiEEEESD_jNS1_19radix_merge_compareILb0ELb1EiNS0_19identity_decomposerEEEEE10hipError_tT0_T1_T2_jT3_P12ihipStream_tbPNSt15iterator_traitsISI_E10value_typeEPNSO_ISJ_E10value_typeEPSK_NS1_7vsmem_tEENKUlT_SI_SJ_SK_E_clISD_PiSD_S10_EESH_SX_SI_SJ_SK_EUlSX_E_NS1_11comp_targetILNS1_3genE5ELNS1_11target_archE942ELNS1_3gpuE9ELNS1_3repE0EEENS1_48merge_mergepath_partition_config_static_selectorELNS0_4arch9wavefront6targetE1EEEvSJ_.has_dyn_sized_stack, 0
	.set _ZN7rocprim17ROCPRIM_400000_NS6detail17trampoline_kernelINS0_14default_configENS1_38merge_sort_block_merge_config_selectorIiiEEZZNS1_27merge_sort_block_merge_implIS3_N6thrust23THRUST_200600_302600_NS6detail15normal_iteratorINS8_10device_ptrIiEEEESD_jNS1_19radix_merge_compareILb0ELb1EiNS0_19identity_decomposerEEEEE10hipError_tT0_T1_T2_jT3_P12ihipStream_tbPNSt15iterator_traitsISI_E10value_typeEPNSO_ISJ_E10value_typeEPSK_NS1_7vsmem_tEENKUlT_SI_SJ_SK_E_clISD_PiSD_S10_EESH_SX_SI_SJ_SK_EUlSX_E_NS1_11comp_targetILNS1_3genE5ELNS1_11target_archE942ELNS1_3gpuE9ELNS1_3repE0EEENS1_48merge_mergepath_partition_config_static_selectorELNS0_4arch9wavefront6targetE1EEEvSJ_.has_recursion, 0
	.set _ZN7rocprim17ROCPRIM_400000_NS6detail17trampoline_kernelINS0_14default_configENS1_38merge_sort_block_merge_config_selectorIiiEEZZNS1_27merge_sort_block_merge_implIS3_N6thrust23THRUST_200600_302600_NS6detail15normal_iteratorINS8_10device_ptrIiEEEESD_jNS1_19radix_merge_compareILb0ELb1EiNS0_19identity_decomposerEEEEE10hipError_tT0_T1_T2_jT3_P12ihipStream_tbPNSt15iterator_traitsISI_E10value_typeEPNSO_ISJ_E10value_typeEPSK_NS1_7vsmem_tEENKUlT_SI_SJ_SK_E_clISD_PiSD_S10_EESH_SX_SI_SJ_SK_EUlSX_E_NS1_11comp_targetILNS1_3genE5ELNS1_11target_archE942ELNS1_3gpuE9ELNS1_3repE0EEENS1_48merge_mergepath_partition_config_static_selectorELNS0_4arch9wavefront6targetE1EEEvSJ_.has_indirect_call, 0
	.section	.AMDGPU.csdata,"",@progbits
; Kernel info:
; codeLenInByte = 0
; TotalNumSgprs: 6
; NumVgprs: 0
; NumAgprs: 0
; TotalNumVgprs: 0
; ScratchSize: 0
; MemoryBound: 0
; FloatMode: 240
; IeeeMode: 1
; LDSByteSize: 0 bytes/workgroup (compile time only)
; SGPRBlocks: 0
; VGPRBlocks: 0
; NumSGPRsForWavesPerEU: 6
; NumVGPRsForWavesPerEU: 1
; AccumOffset: 4
; Occupancy: 8
; WaveLimiterHint : 0
; COMPUTE_PGM_RSRC2:SCRATCH_EN: 0
; COMPUTE_PGM_RSRC2:USER_SGPR: 2
; COMPUTE_PGM_RSRC2:TRAP_HANDLER: 0
; COMPUTE_PGM_RSRC2:TGID_X_EN: 1
; COMPUTE_PGM_RSRC2:TGID_Y_EN: 0
; COMPUTE_PGM_RSRC2:TGID_Z_EN: 0
; COMPUTE_PGM_RSRC2:TIDIG_COMP_CNT: 0
; COMPUTE_PGM_RSRC3_GFX90A:ACCUM_OFFSET: 0
; COMPUTE_PGM_RSRC3_GFX90A:TG_SPLIT: 0
	.section	.text._ZN7rocprim17ROCPRIM_400000_NS6detail17trampoline_kernelINS0_14default_configENS1_38merge_sort_block_merge_config_selectorIiiEEZZNS1_27merge_sort_block_merge_implIS3_N6thrust23THRUST_200600_302600_NS6detail15normal_iteratorINS8_10device_ptrIiEEEESD_jNS1_19radix_merge_compareILb0ELb1EiNS0_19identity_decomposerEEEEE10hipError_tT0_T1_T2_jT3_P12ihipStream_tbPNSt15iterator_traitsISI_E10value_typeEPNSO_ISJ_E10value_typeEPSK_NS1_7vsmem_tEENKUlT_SI_SJ_SK_E_clISD_PiSD_S10_EESH_SX_SI_SJ_SK_EUlSX_E_NS1_11comp_targetILNS1_3genE4ELNS1_11target_archE910ELNS1_3gpuE8ELNS1_3repE0EEENS1_48merge_mergepath_partition_config_static_selectorELNS0_4arch9wavefront6targetE1EEEvSJ_,"axG",@progbits,_ZN7rocprim17ROCPRIM_400000_NS6detail17trampoline_kernelINS0_14default_configENS1_38merge_sort_block_merge_config_selectorIiiEEZZNS1_27merge_sort_block_merge_implIS3_N6thrust23THRUST_200600_302600_NS6detail15normal_iteratorINS8_10device_ptrIiEEEESD_jNS1_19radix_merge_compareILb0ELb1EiNS0_19identity_decomposerEEEEE10hipError_tT0_T1_T2_jT3_P12ihipStream_tbPNSt15iterator_traitsISI_E10value_typeEPNSO_ISJ_E10value_typeEPSK_NS1_7vsmem_tEENKUlT_SI_SJ_SK_E_clISD_PiSD_S10_EESH_SX_SI_SJ_SK_EUlSX_E_NS1_11comp_targetILNS1_3genE4ELNS1_11target_archE910ELNS1_3gpuE8ELNS1_3repE0EEENS1_48merge_mergepath_partition_config_static_selectorELNS0_4arch9wavefront6targetE1EEEvSJ_,comdat
	.protected	_ZN7rocprim17ROCPRIM_400000_NS6detail17trampoline_kernelINS0_14default_configENS1_38merge_sort_block_merge_config_selectorIiiEEZZNS1_27merge_sort_block_merge_implIS3_N6thrust23THRUST_200600_302600_NS6detail15normal_iteratorINS8_10device_ptrIiEEEESD_jNS1_19radix_merge_compareILb0ELb1EiNS0_19identity_decomposerEEEEE10hipError_tT0_T1_T2_jT3_P12ihipStream_tbPNSt15iterator_traitsISI_E10value_typeEPNSO_ISJ_E10value_typeEPSK_NS1_7vsmem_tEENKUlT_SI_SJ_SK_E_clISD_PiSD_S10_EESH_SX_SI_SJ_SK_EUlSX_E_NS1_11comp_targetILNS1_3genE4ELNS1_11target_archE910ELNS1_3gpuE8ELNS1_3repE0EEENS1_48merge_mergepath_partition_config_static_selectorELNS0_4arch9wavefront6targetE1EEEvSJ_ ; -- Begin function _ZN7rocprim17ROCPRIM_400000_NS6detail17trampoline_kernelINS0_14default_configENS1_38merge_sort_block_merge_config_selectorIiiEEZZNS1_27merge_sort_block_merge_implIS3_N6thrust23THRUST_200600_302600_NS6detail15normal_iteratorINS8_10device_ptrIiEEEESD_jNS1_19radix_merge_compareILb0ELb1EiNS0_19identity_decomposerEEEEE10hipError_tT0_T1_T2_jT3_P12ihipStream_tbPNSt15iterator_traitsISI_E10value_typeEPNSO_ISJ_E10value_typeEPSK_NS1_7vsmem_tEENKUlT_SI_SJ_SK_E_clISD_PiSD_S10_EESH_SX_SI_SJ_SK_EUlSX_E_NS1_11comp_targetILNS1_3genE4ELNS1_11target_archE910ELNS1_3gpuE8ELNS1_3repE0EEENS1_48merge_mergepath_partition_config_static_selectorELNS0_4arch9wavefront6targetE1EEEvSJ_
	.globl	_ZN7rocprim17ROCPRIM_400000_NS6detail17trampoline_kernelINS0_14default_configENS1_38merge_sort_block_merge_config_selectorIiiEEZZNS1_27merge_sort_block_merge_implIS3_N6thrust23THRUST_200600_302600_NS6detail15normal_iteratorINS8_10device_ptrIiEEEESD_jNS1_19radix_merge_compareILb0ELb1EiNS0_19identity_decomposerEEEEE10hipError_tT0_T1_T2_jT3_P12ihipStream_tbPNSt15iterator_traitsISI_E10value_typeEPNSO_ISJ_E10value_typeEPSK_NS1_7vsmem_tEENKUlT_SI_SJ_SK_E_clISD_PiSD_S10_EESH_SX_SI_SJ_SK_EUlSX_E_NS1_11comp_targetILNS1_3genE4ELNS1_11target_archE910ELNS1_3gpuE8ELNS1_3repE0EEENS1_48merge_mergepath_partition_config_static_selectorELNS0_4arch9wavefront6targetE1EEEvSJ_
	.p2align	8
	.type	_ZN7rocprim17ROCPRIM_400000_NS6detail17trampoline_kernelINS0_14default_configENS1_38merge_sort_block_merge_config_selectorIiiEEZZNS1_27merge_sort_block_merge_implIS3_N6thrust23THRUST_200600_302600_NS6detail15normal_iteratorINS8_10device_ptrIiEEEESD_jNS1_19radix_merge_compareILb0ELb1EiNS0_19identity_decomposerEEEEE10hipError_tT0_T1_T2_jT3_P12ihipStream_tbPNSt15iterator_traitsISI_E10value_typeEPNSO_ISJ_E10value_typeEPSK_NS1_7vsmem_tEENKUlT_SI_SJ_SK_E_clISD_PiSD_S10_EESH_SX_SI_SJ_SK_EUlSX_E_NS1_11comp_targetILNS1_3genE4ELNS1_11target_archE910ELNS1_3gpuE8ELNS1_3repE0EEENS1_48merge_mergepath_partition_config_static_selectorELNS0_4arch9wavefront6targetE1EEEvSJ_,@function
_ZN7rocprim17ROCPRIM_400000_NS6detail17trampoline_kernelINS0_14default_configENS1_38merge_sort_block_merge_config_selectorIiiEEZZNS1_27merge_sort_block_merge_implIS3_N6thrust23THRUST_200600_302600_NS6detail15normal_iteratorINS8_10device_ptrIiEEEESD_jNS1_19radix_merge_compareILb0ELb1EiNS0_19identity_decomposerEEEEE10hipError_tT0_T1_T2_jT3_P12ihipStream_tbPNSt15iterator_traitsISI_E10value_typeEPNSO_ISJ_E10value_typeEPSK_NS1_7vsmem_tEENKUlT_SI_SJ_SK_E_clISD_PiSD_S10_EESH_SX_SI_SJ_SK_EUlSX_E_NS1_11comp_targetILNS1_3genE4ELNS1_11target_archE910ELNS1_3gpuE8ELNS1_3repE0EEENS1_48merge_mergepath_partition_config_static_selectorELNS0_4arch9wavefront6targetE1EEEvSJ_: ; @_ZN7rocprim17ROCPRIM_400000_NS6detail17trampoline_kernelINS0_14default_configENS1_38merge_sort_block_merge_config_selectorIiiEEZZNS1_27merge_sort_block_merge_implIS3_N6thrust23THRUST_200600_302600_NS6detail15normal_iteratorINS8_10device_ptrIiEEEESD_jNS1_19radix_merge_compareILb0ELb1EiNS0_19identity_decomposerEEEEE10hipError_tT0_T1_T2_jT3_P12ihipStream_tbPNSt15iterator_traitsISI_E10value_typeEPNSO_ISJ_E10value_typeEPSK_NS1_7vsmem_tEENKUlT_SI_SJ_SK_E_clISD_PiSD_S10_EESH_SX_SI_SJ_SK_EUlSX_E_NS1_11comp_targetILNS1_3genE4ELNS1_11target_archE910ELNS1_3gpuE8ELNS1_3repE0EEENS1_48merge_mergepath_partition_config_static_selectorELNS0_4arch9wavefront6targetE1EEEvSJ_
; %bb.0:
	.section	.rodata,"a",@progbits
	.p2align	6, 0x0
	.amdhsa_kernel _ZN7rocprim17ROCPRIM_400000_NS6detail17trampoline_kernelINS0_14default_configENS1_38merge_sort_block_merge_config_selectorIiiEEZZNS1_27merge_sort_block_merge_implIS3_N6thrust23THRUST_200600_302600_NS6detail15normal_iteratorINS8_10device_ptrIiEEEESD_jNS1_19radix_merge_compareILb0ELb1EiNS0_19identity_decomposerEEEEE10hipError_tT0_T1_T2_jT3_P12ihipStream_tbPNSt15iterator_traitsISI_E10value_typeEPNSO_ISJ_E10value_typeEPSK_NS1_7vsmem_tEENKUlT_SI_SJ_SK_E_clISD_PiSD_S10_EESH_SX_SI_SJ_SK_EUlSX_E_NS1_11comp_targetILNS1_3genE4ELNS1_11target_archE910ELNS1_3gpuE8ELNS1_3repE0EEENS1_48merge_mergepath_partition_config_static_selectorELNS0_4arch9wavefront6targetE1EEEvSJ_
		.amdhsa_group_segment_fixed_size 0
		.amdhsa_private_segment_fixed_size 0
		.amdhsa_kernarg_size 40
		.amdhsa_user_sgpr_count 2
		.amdhsa_user_sgpr_dispatch_ptr 0
		.amdhsa_user_sgpr_queue_ptr 0
		.amdhsa_user_sgpr_kernarg_segment_ptr 1
		.amdhsa_user_sgpr_dispatch_id 0
		.amdhsa_user_sgpr_kernarg_preload_length 0
		.amdhsa_user_sgpr_kernarg_preload_offset 0
		.amdhsa_user_sgpr_private_segment_size 0
		.amdhsa_uses_dynamic_stack 0
		.amdhsa_enable_private_segment 0
		.amdhsa_system_sgpr_workgroup_id_x 1
		.amdhsa_system_sgpr_workgroup_id_y 0
		.amdhsa_system_sgpr_workgroup_id_z 0
		.amdhsa_system_sgpr_workgroup_info 0
		.amdhsa_system_vgpr_workitem_id 0
		.amdhsa_next_free_vgpr 1
		.amdhsa_next_free_sgpr 0
		.amdhsa_accum_offset 4
		.amdhsa_reserve_vcc 0
		.amdhsa_float_round_mode_32 0
		.amdhsa_float_round_mode_16_64 0
		.amdhsa_float_denorm_mode_32 3
		.amdhsa_float_denorm_mode_16_64 3
		.amdhsa_dx10_clamp 1
		.amdhsa_ieee_mode 1
		.amdhsa_fp16_overflow 0
		.amdhsa_tg_split 0
		.amdhsa_exception_fp_ieee_invalid_op 0
		.amdhsa_exception_fp_denorm_src 0
		.amdhsa_exception_fp_ieee_div_zero 0
		.amdhsa_exception_fp_ieee_overflow 0
		.amdhsa_exception_fp_ieee_underflow 0
		.amdhsa_exception_fp_ieee_inexact 0
		.amdhsa_exception_int_div_zero 0
	.end_amdhsa_kernel
	.section	.text._ZN7rocprim17ROCPRIM_400000_NS6detail17trampoline_kernelINS0_14default_configENS1_38merge_sort_block_merge_config_selectorIiiEEZZNS1_27merge_sort_block_merge_implIS3_N6thrust23THRUST_200600_302600_NS6detail15normal_iteratorINS8_10device_ptrIiEEEESD_jNS1_19radix_merge_compareILb0ELb1EiNS0_19identity_decomposerEEEEE10hipError_tT0_T1_T2_jT3_P12ihipStream_tbPNSt15iterator_traitsISI_E10value_typeEPNSO_ISJ_E10value_typeEPSK_NS1_7vsmem_tEENKUlT_SI_SJ_SK_E_clISD_PiSD_S10_EESH_SX_SI_SJ_SK_EUlSX_E_NS1_11comp_targetILNS1_3genE4ELNS1_11target_archE910ELNS1_3gpuE8ELNS1_3repE0EEENS1_48merge_mergepath_partition_config_static_selectorELNS0_4arch9wavefront6targetE1EEEvSJ_,"axG",@progbits,_ZN7rocprim17ROCPRIM_400000_NS6detail17trampoline_kernelINS0_14default_configENS1_38merge_sort_block_merge_config_selectorIiiEEZZNS1_27merge_sort_block_merge_implIS3_N6thrust23THRUST_200600_302600_NS6detail15normal_iteratorINS8_10device_ptrIiEEEESD_jNS1_19radix_merge_compareILb0ELb1EiNS0_19identity_decomposerEEEEE10hipError_tT0_T1_T2_jT3_P12ihipStream_tbPNSt15iterator_traitsISI_E10value_typeEPNSO_ISJ_E10value_typeEPSK_NS1_7vsmem_tEENKUlT_SI_SJ_SK_E_clISD_PiSD_S10_EESH_SX_SI_SJ_SK_EUlSX_E_NS1_11comp_targetILNS1_3genE4ELNS1_11target_archE910ELNS1_3gpuE8ELNS1_3repE0EEENS1_48merge_mergepath_partition_config_static_selectorELNS0_4arch9wavefront6targetE1EEEvSJ_,comdat
.Lfunc_end1371:
	.size	_ZN7rocprim17ROCPRIM_400000_NS6detail17trampoline_kernelINS0_14default_configENS1_38merge_sort_block_merge_config_selectorIiiEEZZNS1_27merge_sort_block_merge_implIS3_N6thrust23THRUST_200600_302600_NS6detail15normal_iteratorINS8_10device_ptrIiEEEESD_jNS1_19radix_merge_compareILb0ELb1EiNS0_19identity_decomposerEEEEE10hipError_tT0_T1_T2_jT3_P12ihipStream_tbPNSt15iterator_traitsISI_E10value_typeEPNSO_ISJ_E10value_typeEPSK_NS1_7vsmem_tEENKUlT_SI_SJ_SK_E_clISD_PiSD_S10_EESH_SX_SI_SJ_SK_EUlSX_E_NS1_11comp_targetILNS1_3genE4ELNS1_11target_archE910ELNS1_3gpuE8ELNS1_3repE0EEENS1_48merge_mergepath_partition_config_static_selectorELNS0_4arch9wavefront6targetE1EEEvSJ_, .Lfunc_end1371-_ZN7rocprim17ROCPRIM_400000_NS6detail17trampoline_kernelINS0_14default_configENS1_38merge_sort_block_merge_config_selectorIiiEEZZNS1_27merge_sort_block_merge_implIS3_N6thrust23THRUST_200600_302600_NS6detail15normal_iteratorINS8_10device_ptrIiEEEESD_jNS1_19radix_merge_compareILb0ELb1EiNS0_19identity_decomposerEEEEE10hipError_tT0_T1_T2_jT3_P12ihipStream_tbPNSt15iterator_traitsISI_E10value_typeEPNSO_ISJ_E10value_typeEPSK_NS1_7vsmem_tEENKUlT_SI_SJ_SK_E_clISD_PiSD_S10_EESH_SX_SI_SJ_SK_EUlSX_E_NS1_11comp_targetILNS1_3genE4ELNS1_11target_archE910ELNS1_3gpuE8ELNS1_3repE0EEENS1_48merge_mergepath_partition_config_static_selectorELNS0_4arch9wavefront6targetE1EEEvSJ_
                                        ; -- End function
	.set _ZN7rocprim17ROCPRIM_400000_NS6detail17trampoline_kernelINS0_14default_configENS1_38merge_sort_block_merge_config_selectorIiiEEZZNS1_27merge_sort_block_merge_implIS3_N6thrust23THRUST_200600_302600_NS6detail15normal_iteratorINS8_10device_ptrIiEEEESD_jNS1_19radix_merge_compareILb0ELb1EiNS0_19identity_decomposerEEEEE10hipError_tT0_T1_T2_jT3_P12ihipStream_tbPNSt15iterator_traitsISI_E10value_typeEPNSO_ISJ_E10value_typeEPSK_NS1_7vsmem_tEENKUlT_SI_SJ_SK_E_clISD_PiSD_S10_EESH_SX_SI_SJ_SK_EUlSX_E_NS1_11comp_targetILNS1_3genE4ELNS1_11target_archE910ELNS1_3gpuE8ELNS1_3repE0EEENS1_48merge_mergepath_partition_config_static_selectorELNS0_4arch9wavefront6targetE1EEEvSJ_.num_vgpr, 0
	.set _ZN7rocprim17ROCPRIM_400000_NS6detail17trampoline_kernelINS0_14default_configENS1_38merge_sort_block_merge_config_selectorIiiEEZZNS1_27merge_sort_block_merge_implIS3_N6thrust23THRUST_200600_302600_NS6detail15normal_iteratorINS8_10device_ptrIiEEEESD_jNS1_19radix_merge_compareILb0ELb1EiNS0_19identity_decomposerEEEEE10hipError_tT0_T1_T2_jT3_P12ihipStream_tbPNSt15iterator_traitsISI_E10value_typeEPNSO_ISJ_E10value_typeEPSK_NS1_7vsmem_tEENKUlT_SI_SJ_SK_E_clISD_PiSD_S10_EESH_SX_SI_SJ_SK_EUlSX_E_NS1_11comp_targetILNS1_3genE4ELNS1_11target_archE910ELNS1_3gpuE8ELNS1_3repE0EEENS1_48merge_mergepath_partition_config_static_selectorELNS0_4arch9wavefront6targetE1EEEvSJ_.num_agpr, 0
	.set _ZN7rocprim17ROCPRIM_400000_NS6detail17trampoline_kernelINS0_14default_configENS1_38merge_sort_block_merge_config_selectorIiiEEZZNS1_27merge_sort_block_merge_implIS3_N6thrust23THRUST_200600_302600_NS6detail15normal_iteratorINS8_10device_ptrIiEEEESD_jNS1_19radix_merge_compareILb0ELb1EiNS0_19identity_decomposerEEEEE10hipError_tT0_T1_T2_jT3_P12ihipStream_tbPNSt15iterator_traitsISI_E10value_typeEPNSO_ISJ_E10value_typeEPSK_NS1_7vsmem_tEENKUlT_SI_SJ_SK_E_clISD_PiSD_S10_EESH_SX_SI_SJ_SK_EUlSX_E_NS1_11comp_targetILNS1_3genE4ELNS1_11target_archE910ELNS1_3gpuE8ELNS1_3repE0EEENS1_48merge_mergepath_partition_config_static_selectorELNS0_4arch9wavefront6targetE1EEEvSJ_.numbered_sgpr, 0
	.set _ZN7rocprim17ROCPRIM_400000_NS6detail17trampoline_kernelINS0_14default_configENS1_38merge_sort_block_merge_config_selectorIiiEEZZNS1_27merge_sort_block_merge_implIS3_N6thrust23THRUST_200600_302600_NS6detail15normal_iteratorINS8_10device_ptrIiEEEESD_jNS1_19radix_merge_compareILb0ELb1EiNS0_19identity_decomposerEEEEE10hipError_tT0_T1_T2_jT3_P12ihipStream_tbPNSt15iterator_traitsISI_E10value_typeEPNSO_ISJ_E10value_typeEPSK_NS1_7vsmem_tEENKUlT_SI_SJ_SK_E_clISD_PiSD_S10_EESH_SX_SI_SJ_SK_EUlSX_E_NS1_11comp_targetILNS1_3genE4ELNS1_11target_archE910ELNS1_3gpuE8ELNS1_3repE0EEENS1_48merge_mergepath_partition_config_static_selectorELNS0_4arch9wavefront6targetE1EEEvSJ_.num_named_barrier, 0
	.set _ZN7rocprim17ROCPRIM_400000_NS6detail17trampoline_kernelINS0_14default_configENS1_38merge_sort_block_merge_config_selectorIiiEEZZNS1_27merge_sort_block_merge_implIS3_N6thrust23THRUST_200600_302600_NS6detail15normal_iteratorINS8_10device_ptrIiEEEESD_jNS1_19radix_merge_compareILb0ELb1EiNS0_19identity_decomposerEEEEE10hipError_tT0_T1_T2_jT3_P12ihipStream_tbPNSt15iterator_traitsISI_E10value_typeEPNSO_ISJ_E10value_typeEPSK_NS1_7vsmem_tEENKUlT_SI_SJ_SK_E_clISD_PiSD_S10_EESH_SX_SI_SJ_SK_EUlSX_E_NS1_11comp_targetILNS1_3genE4ELNS1_11target_archE910ELNS1_3gpuE8ELNS1_3repE0EEENS1_48merge_mergepath_partition_config_static_selectorELNS0_4arch9wavefront6targetE1EEEvSJ_.private_seg_size, 0
	.set _ZN7rocprim17ROCPRIM_400000_NS6detail17trampoline_kernelINS0_14default_configENS1_38merge_sort_block_merge_config_selectorIiiEEZZNS1_27merge_sort_block_merge_implIS3_N6thrust23THRUST_200600_302600_NS6detail15normal_iteratorINS8_10device_ptrIiEEEESD_jNS1_19radix_merge_compareILb0ELb1EiNS0_19identity_decomposerEEEEE10hipError_tT0_T1_T2_jT3_P12ihipStream_tbPNSt15iterator_traitsISI_E10value_typeEPNSO_ISJ_E10value_typeEPSK_NS1_7vsmem_tEENKUlT_SI_SJ_SK_E_clISD_PiSD_S10_EESH_SX_SI_SJ_SK_EUlSX_E_NS1_11comp_targetILNS1_3genE4ELNS1_11target_archE910ELNS1_3gpuE8ELNS1_3repE0EEENS1_48merge_mergepath_partition_config_static_selectorELNS0_4arch9wavefront6targetE1EEEvSJ_.uses_vcc, 0
	.set _ZN7rocprim17ROCPRIM_400000_NS6detail17trampoline_kernelINS0_14default_configENS1_38merge_sort_block_merge_config_selectorIiiEEZZNS1_27merge_sort_block_merge_implIS3_N6thrust23THRUST_200600_302600_NS6detail15normal_iteratorINS8_10device_ptrIiEEEESD_jNS1_19radix_merge_compareILb0ELb1EiNS0_19identity_decomposerEEEEE10hipError_tT0_T1_T2_jT3_P12ihipStream_tbPNSt15iterator_traitsISI_E10value_typeEPNSO_ISJ_E10value_typeEPSK_NS1_7vsmem_tEENKUlT_SI_SJ_SK_E_clISD_PiSD_S10_EESH_SX_SI_SJ_SK_EUlSX_E_NS1_11comp_targetILNS1_3genE4ELNS1_11target_archE910ELNS1_3gpuE8ELNS1_3repE0EEENS1_48merge_mergepath_partition_config_static_selectorELNS0_4arch9wavefront6targetE1EEEvSJ_.uses_flat_scratch, 0
	.set _ZN7rocprim17ROCPRIM_400000_NS6detail17trampoline_kernelINS0_14default_configENS1_38merge_sort_block_merge_config_selectorIiiEEZZNS1_27merge_sort_block_merge_implIS3_N6thrust23THRUST_200600_302600_NS6detail15normal_iteratorINS8_10device_ptrIiEEEESD_jNS1_19radix_merge_compareILb0ELb1EiNS0_19identity_decomposerEEEEE10hipError_tT0_T1_T2_jT3_P12ihipStream_tbPNSt15iterator_traitsISI_E10value_typeEPNSO_ISJ_E10value_typeEPSK_NS1_7vsmem_tEENKUlT_SI_SJ_SK_E_clISD_PiSD_S10_EESH_SX_SI_SJ_SK_EUlSX_E_NS1_11comp_targetILNS1_3genE4ELNS1_11target_archE910ELNS1_3gpuE8ELNS1_3repE0EEENS1_48merge_mergepath_partition_config_static_selectorELNS0_4arch9wavefront6targetE1EEEvSJ_.has_dyn_sized_stack, 0
	.set _ZN7rocprim17ROCPRIM_400000_NS6detail17trampoline_kernelINS0_14default_configENS1_38merge_sort_block_merge_config_selectorIiiEEZZNS1_27merge_sort_block_merge_implIS3_N6thrust23THRUST_200600_302600_NS6detail15normal_iteratorINS8_10device_ptrIiEEEESD_jNS1_19radix_merge_compareILb0ELb1EiNS0_19identity_decomposerEEEEE10hipError_tT0_T1_T2_jT3_P12ihipStream_tbPNSt15iterator_traitsISI_E10value_typeEPNSO_ISJ_E10value_typeEPSK_NS1_7vsmem_tEENKUlT_SI_SJ_SK_E_clISD_PiSD_S10_EESH_SX_SI_SJ_SK_EUlSX_E_NS1_11comp_targetILNS1_3genE4ELNS1_11target_archE910ELNS1_3gpuE8ELNS1_3repE0EEENS1_48merge_mergepath_partition_config_static_selectorELNS0_4arch9wavefront6targetE1EEEvSJ_.has_recursion, 0
	.set _ZN7rocprim17ROCPRIM_400000_NS6detail17trampoline_kernelINS0_14default_configENS1_38merge_sort_block_merge_config_selectorIiiEEZZNS1_27merge_sort_block_merge_implIS3_N6thrust23THRUST_200600_302600_NS6detail15normal_iteratorINS8_10device_ptrIiEEEESD_jNS1_19radix_merge_compareILb0ELb1EiNS0_19identity_decomposerEEEEE10hipError_tT0_T1_T2_jT3_P12ihipStream_tbPNSt15iterator_traitsISI_E10value_typeEPNSO_ISJ_E10value_typeEPSK_NS1_7vsmem_tEENKUlT_SI_SJ_SK_E_clISD_PiSD_S10_EESH_SX_SI_SJ_SK_EUlSX_E_NS1_11comp_targetILNS1_3genE4ELNS1_11target_archE910ELNS1_3gpuE8ELNS1_3repE0EEENS1_48merge_mergepath_partition_config_static_selectorELNS0_4arch9wavefront6targetE1EEEvSJ_.has_indirect_call, 0
	.section	.AMDGPU.csdata,"",@progbits
; Kernel info:
; codeLenInByte = 0
; TotalNumSgprs: 6
; NumVgprs: 0
; NumAgprs: 0
; TotalNumVgprs: 0
; ScratchSize: 0
; MemoryBound: 0
; FloatMode: 240
; IeeeMode: 1
; LDSByteSize: 0 bytes/workgroup (compile time only)
; SGPRBlocks: 0
; VGPRBlocks: 0
; NumSGPRsForWavesPerEU: 6
; NumVGPRsForWavesPerEU: 1
; AccumOffset: 4
; Occupancy: 8
; WaveLimiterHint : 0
; COMPUTE_PGM_RSRC2:SCRATCH_EN: 0
; COMPUTE_PGM_RSRC2:USER_SGPR: 2
; COMPUTE_PGM_RSRC2:TRAP_HANDLER: 0
; COMPUTE_PGM_RSRC2:TGID_X_EN: 1
; COMPUTE_PGM_RSRC2:TGID_Y_EN: 0
; COMPUTE_PGM_RSRC2:TGID_Z_EN: 0
; COMPUTE_PGM_RSRC2:TIDIG_COMP_CNT: 0
; COMPUTE_PGM_RSRC3_GFX90A:ACCUM_OFFSET: 0
; COMPUTE_PGM_RSRC3_GFX90A:TG_SPLIT: 0
	.section	.text._ZN7rocprim17ROCPRIM_400000_NS6detail17trampoline_kernelINS0_14default_configENS1_38merge_sort_block_merge_config_selectorIiiEEZZNS1_27merge_sort_block_merge_implIS3_N6thrust23THRUST_200600_302600_NS6detail15normal_iteratorINS8_10device_ptrIiEEEESD_jNS1_19radix_merge_compareILb0ELb1EiNS0_19identity_decomposerEEEEE10hipError_tT0_T1_T2_jT3_P12ihipStream_tbPNSt15iterator_traitsISI_E10value_typeEPNSO_ISJ_E10value_typeEPSK_NS1_7vsmem_tEENKUlT_SI_SJ_SK_E_clISD_PiSD_S10_EESH_SX_SI_SJ_SK_EUlSX_E_NS1_11comp_targetILNS1_3genE3ELNS1_11target_archE908ELNS1_3gpuE7ELNS1_3repE0EEENS1_48merge_mergepath_partition_config_static_selectorELNS0_4arch9wavefront6targetE1EEEvSJ_,"axG",@progbits,_ZN7rocprim17ROCPRIM_400000_NS6detail17trampoline_kernelINS0_14default_configENS1_38merge_sort_block_merge_config_selectorIiiEEZZNS1_27merge_sort_block_merge_implIS3_N6thrust23THRUST_200600_302600_NS6detail15normal_iteratorINS8_10device_ptrIiEEEESD_jNS1_19radix_merge_compareILb0ELb1EiNS0_19identity_decomposerEEEEE10hipError_tT0_T1_T2_jT3_P12ihipStream_tbPNSt15iterator_traitsISI_E10value_typeEPNSO_ISJ_E10value_typeEPSK_NS1_7vsmem_tEENKUlT_SI_SJ_SK_E_clISD_PiSD_S10_EESH_SX_SI_SJ_SK_EUlSX_E_NS1_11comp_targetILNS1_3genE3ELNS1_11target_archE908ELNS1_3gpuE7ELNS1_3repE0EEENS1_48merge_mergepath_partition_config_static_selectorELNS0_4arch9wavefront6targetE1EEEvSJ_,comdat
	.protected	_ZN7rocprim17ROCPRIM_400000_NS6detail17trampoline_kernelINS0_14default_configENS1_38merge_sort_block_merge_config_selectorIiiEEZZNS1_27merge_sort_block_merge_implIS3_N6thrust23THRUST_200600_302600_NS6detail15normal_iteratorINS8_10device_ptrIiEEEESD_jNS1_19radix_merge_compareILb0ELb1EiNS0_19identity_decomposerEEEEE10hipError_tT0_T1_T2_jT3_P12ihipStream_tbPNSt15iterator_traitsISI_E10value_typeEPNSO_ISJ_E10value_typeEPSK_NS1_7vsmem_tEENKUlT_SI_SJ_SK_E_clISD_PiSD_S10_EESH_SX_SI_SJ_SK_EUlSX_E_NS1_11comp_targetILNS1_3genE3ELNS1_11target_archE908ELNS1_3gpuE7ELNS1_3repE0EEENS1_48merge_mergepath_partition_config_static_selectorELNS0_4arch9wavefront6targetE1EEEvSJ_ ; -- Begin function _ZN7rocprim17ROCPRIM_400000_NS6detail17trampoline_kernelINS0_14default_configENS1_38merge_sort_block_merge_config_selectorIiiEEZZNS1_27merge_sort_block_merge_implIS3_N6thrust23THRUST_200600_302600_NS6detail15normal_iteratorINS8_10device_ptrIiEEEESD_jNS1_19radix_merge_compareILb0ELb1EiNS0_19identity_decomposerEEEEE10hipError_tT0_T1_T2_jT3_P12ihipStream_tbPNSt15iterator_traitsISI_E10value_typeEPNSO_ISJ_E10value_typeEPSK_NS1_7vsmem_tEENKUlT_SI_SJ_SK_E_clISD_PiSD_S10_EESH_SX_SI_SJ_SK_EUlSX_E_NS1_11comp_targetILNS1_3genE3ELNS1_11target_archE908ELNS1_3gpuE7ELNS1_3repE0EEENS1_48merge_mergepath_partition_config_static_selectorELNS0_4arch9wavefront6targetE1EEEvSJ_
	.globl	_ZN7rocprim17ROCPRIM_400000_NS6detail17trampoline_kernelINS0_14default_configENS1_38merge_sort_block_merge_config_selectorIiiEEZZNS1_27merge_sort_block_merge_implIS3_N6thrust23THRUST_200600_302600_NS6detail15normal_iteratorINS8_10device_ptrIiEEEESD_jNS1_19radix_merge_compareILb0ELb1EiNS0_19identity_decomposerEEEEE10hipError_tT0_T1_T2_jT3_P12ihipStream_tbPNSt15iterator_traitsISI_E10value_typeEPNSO_ISJ_E10value_typeEPSK_NS1_7vsmem_tEENKUlT_SI_SJ_SK_E_clISD_PiSD_S10_EESH_SX_SI_SJ_SK_EUlSX_E_NS1_11comp_targetILNS1_3genE3ELNS1_11target_archE908ELNS1_3gpuE7ELNS1_3repE0EEENS1_48merge_mergepath_partition_config_static_selectorELNS0_4arch9wavefront6targetE1EEEvSJ_
	.p2align	8
	.type	_ZN7rocprim17ROCPRIM_400000_NS6detail17trampoline_kernelINS0_14default_configENS1_38merge_sort_block_merge_config_selectorIiiEEZZNS1_27merge_sort_block_merge_implIS3_N6thrust23THRUST_200600_302600_NS6detail15normal_iteratorINS8_10device_ptrIiEEEESD_jNS1_19radix_merge_compareILb0ELb1EiNS0_19identity_decomposerEEEEE10hipError_tT0_T1_T2_jT3_P12ihipStream_tbPNSt15iterator_traitsISI_E10value_typeEPNSO_ISJ_E10value_typeEPSK_NS1_7vsmem_tEENKUlT_SI_SJ_SK_E_clISD_PiSD_S10_EESH_SX_SI_SJ_SK_EUlSX_E_NS1_11comp_targetILNS1_3genE3ELNS1_11target_archE908ELNS1_3gpuE7ELNS1_3repE0EEENS1_48merge_mergepath_partition_config_static_selectorELNS0_4arch9wavefront6targetE1EEEvSJ_,@function
_ZN7rocprim17ROCPRIM_400000_NS6detail17trampoline_kernelINS0_14default_configENS1_38merge_sort_block_merge_config_selectorIiiEEZZNS1_27merge_sort_block_merge_implIS3_N6thrust23THRUST_200600_302600_NS6detail15normal_iteratorINS8_10device_ptrIiEEEESD_jNS1_19radix_merge_compareILb0ELb1EiNS0_19identity_decomposerEEEEE10hipError_tT0_T1_T2_jT3_P12ihipStream_tbPNSt15iterator_traitsISI_E10value_typeEPNSO_ISJ_E10value_typeEPSK_NS1_7vsmem_tEENKUlT_SI_SJ_SK_E_clISD_PiSD_S10_EESH_SX_SI_SJ_SK_EUlSX_E_NS1_11comp_targetILNS1_3genE3ELNS1_11target_archE908ELNS1_3gpuE7ELNS1_3repE0EEENS1_48merge_mergepath_partition_config_static_selectorELNS0_4arch9wavefront6targetE1EEEvSJ_: ; @_ZN7rocprim17ROCPRIM_400000_NS6detail17trampoline_kernelINS0_14default_configENS1_38merge_sort_block_merge_config_selectorIiiEEZZNS1_27merge_sort_block_merge_implIS3_N6thrust23THRUST_200600_302600_NS6detail15normal_iteratorINS8_10device_ptrIiEEEESD_jNS1_19radix_merge_compareILb0ELb1EiNS0_19identity_decomposerEEEEE10hipError_tT0_T1_T2_jT3_P12ihipStream_tbPNSt15iterator_traitsISI_E10value_typeEPNSO_ISJ_E10value_typeEPSK_NS1_7vsmem_tEENKUlT_SI_SJ_SK_E_clISD_PiSD_S10_EESH_SX_SI_SJ_SK_EUlSX_E_NS1_11comp_targetILNS1_3genE3ELNS1_11target_archE908ELNS1_3gpuE7ELNS1_3repE0EEENS1_48merge_mergepath_partition_config_static_selectorELNS0_4arch9wavefront6targetE1EEEvSJ_
; %bb.0:
	.section	.rodata,"a",@progbits
	.p2align	6, 0x0
	.amdhsa_kernel _ZN7rocprim17ROCPRIM_400000_NS6detail17trampoline_kernelINS0_14default_configENS1_38merge_sort_block_merge_config_selectorIiiEEZZNS1_27merge_sort_block_merge_implIS3_N6thrust23THRUST_200600_302600_NS6detail15normal_iteratorINS8_10device_ptrIiEEEESD_jNS1_19radix_merge_compareILb0ELb1EiNS0_19identity_decomposerEEEEE10hipError_tT0_T1_T2_jT3_P12ihipStream_tbPNSt15iterator_traitsISI_E10value_typeEPNSO_ISJ_E10value_typeEPSK_NS1_7vsmem_tEENKUlT_SI_SJ_SK_E_clISD_PiSD_S10_EESH_SX_SI_SJ_SK_EUlSX_E_NS1_11comp_targetILNS1_3genE3ELNS1_11target_archE908ELNS1_3gpuE7ELNS1_3repE0EEENS1_48merge_mergepath_partition_config_static_selectorELNS0_4arch9wavefront6targetE1EEEvSJ_
		.amdhsa_group_segment_fixed_size 0
		.amdhsa_private_segment_fixed_size 0
		.amdhsa_kernarg_size 40
		.amdhsa_user_sgpr_count 2
		.amdhsa_user_sgpr_dispatch_ptr 0
		.amdhsa_user_sgpr_queue_ptr 0
		.amdhsa_user_sgpr_kernarg_segment_ptr 1
		.amdhsa_user_sgpr_dispatch_id 0
		.amdhsa_user_sgpr_kernarg_preload_length 0
		.amdhsa_user_sgpr_kernarg_preload_offset 0
		.amdhsa_user_sgpr_private_segment_size 0
		.amdhsa_uses_dynamic_stack 0
		.amdhsa_enable_private_segment 0
		.amdhsa_system_sgpr_workgroup_id_x 1
		.amdhsa_system_sgpr_workgroup_id_y 0
		.amdhsa_system_sgpr_workgroup_id_z 0
		.amdhsa_system_sgpr_workgroup_info 0
		.amdhsa_system_vgpr_workitem_id 0
		.amdhsa_next_free_vgpr 1
		.amdhsa_next_free_sgpr 0
		.amdhsa_accum_offset 4
		.amdhsa_reserve_vcc 0
		.amdhsa_float_round_mode_32 0
		.amdhsa_float_round_mode_16_64 0
		.amdhsa_float_denorm_mode_32 3
		.amdhsa_float_denorm_mode_16_64 3
		.amdhsa_dx10_clamp 1
		.amdhsa_ieee_mode 1
		.amdhsa_fp16_overflow 0
		.amdhsa_tg_split 0
		.amdhsa_exception_fp_ieee_invalid_op 0
		.amdhsa_exception_fp_denorm_src 0
		.amdhsa_exception_fp_ieee_div_zero 0
		.amdhsa_exception_fp_ieee_overflow 0
		.amdhsa_exception_fp_ieee_underflow 0
		.amdhsa_exception_fp_ieee_inexact 0
		.amdhsa_exception_int_div_zero 0
	.end_amdhsa_kernel
	.section	.text._ZN7rocprim17ROCPRIM_400000_NS6detail17trampoline_kernelINS0_14default_configENS1_38merge_sort_block_merge_config_selectorIiiEEZZNS1_27merge_sort_block_merge_implIS3_N6thrust23THRUST_200600_302600_NS6detail15normal_iteratorINS8_10device_ptrIiEEEESD_jNS1_19radix_merge_compareILb0ELb1EiNS0_19identity_decomposerEEEEE10hipError_tT0_T1_T2_jT3_P12ihipStream_tbPNSt15iterator_traitsISI_E10value_typeEPNSO_ISJ_E10value_typeEPSK_NS1_7vsmem_tEENKUlT_SI_SJ_SK_E_clISD_PiSD_S10_EESH_SX_SI_SJ_SK_EUlSX_E_NS1_11comp_targetILNS1_3genE3ELNS1_11target_archE908ELNS1_3gpuE7ELNS1_3repE0EEENS1_48merge_mergepath_partition_config_static_selectorELNS0_4arch9wavefront6targetE1EEEvSJ_,"axG",@progbits,_ZN7rocprim17ROCPRIM_400000_NS6detail17trampoline_kernelINS0_14default_configENS1_38merge_sort_block_merge_config_selectorIiiEEZZNS1_27merge_sort_block_merge_implIS3_N6thrust23THRUST_200600_302600_NS6detail15normal_iteratorINS8_10device_ptrIiEEEESD_jNS1_19radix_merge_compareILb0ELb1EiNS0_19identity_decomposerEEEEE10hipError_tT0_T1_T2_jT3_P12ihipStream_tbPNSt15iterator_traitsISI_E10value_typeEPNSO_ISJ_E10value_typeEPSK_NS1_7vsmem_tEENKUlT_SI_SJ_SK_E_clISD_PiSD_S10_EESH_SX_SI_SJ_SK_EUlSX_E_NS1_11comp_targetILNS1_3genE3ELNS1_11target_archE908ELNS1_3gpuE7ELNS1_3repE0EEENS1_48merge_mergepath_partition_config_static_selectorELNS0_4arch9wavefront6targetE1EEEvSJ_,comdat
.Lfunc_end1372:
	.size	_ZN7rocprim17ROCPRIM_400000_NS6detail17trampoline_kernelINS0_14default_configENS1_38merge_sort_block_merge_config_selectorIiiEEZZNS1_27merge_sort_block_merge_implIS3_N6thrust23THRUST_200600_302600_NS6detail15normal_iteratorINS8_10device_ptrIiEEEESD_jNS1_19radix_merge_compareILb0ELb1EiNS0_19identity_decomposerEEEEE10hipError_tT0_T1_T2_jT3_P12ihipStream_tbPNSt15iterator_traitsISI_E10value_typeEPNSO_ISJ_E10value_typeEPSK_NS1_7vsmem_tEENKUlT_SI_SJ_SK_E_clISD_PiSD_S10_EESH_SX_SI_SJ_SK_EUlSX_E_NS1_11comp_targetILNS1_3genE3ELNS1_11target_archE908ELNS1_3gpuE7ELNS1_3repE0EEENS1_48merge_mergepath_partition_config_static_selectorELNS0_4arch9wavefront6targetE1EEEvSJ_, .Lfunc_end1372-_ZN7rocprim17ROCPRIM_400000_NS6detail17trampoline_kernelINS0_14default_configENS1_38merge_sort_block_merge_config_selectorIiiEEZZNS1_27merge_sort_block_merge_implIS3_N6thrust23THRUST_200600_302600_NS6detail15normal_iteratorINS8_10device_ptrIiEEEESD_jNS1_19radix_merge_compareILb0ELb1EiNS0_19identity_decomposerEEEEE10hipError_tT0_T1_T2_jT3_P12ihipStream_tbPNSt15iterator_traitsISI_E10value_typeEPNSO_ISJ_E10value_typeEPSK_NS1_7vsmem_tEENKUlT_SI_SJ_SK_E_clISD_PiSD_S10_EESH_SX_SI_SJ_SK_EUlSX_E_NS1_11comp_targetILNS1_3genE3ELNS1_11target_archE908ELNS1_3gpuE7ELNS1_3repE0EEENS1_48merge_mergepath_partition_config_static_selectorELNS0_4arch9wavefront6targetE1EEEvSJ_
                                        ; -- End function
	.set _ZN7rocprim17ROCPRIM_400000_NS6detail17trampoline_kernelINS0_14default_configENS1_38merge_sort_block_merge_config_selectorIiiEEZZNS1_27merge_sort_block_merge_implIS3_N6thrust23THRUST_200600_302600_NS6detail15normal_iteratorINS8_10device_ptrIiEEEESD_jNS1_19radix_merge_compareILb0ELb1EiNS0_19identity_decomposerEEEEE10hipError_tT0_T1_T2_jT3_P12ihipStream_tbPNSt15iterator_traitsISI_E10value_typeEPNSO_ISJ_E10value_typeEPSK_NS1_7vsmem_tEENKUlT_SI_SJ_SK_E_clISD_PiSD_S10_EESH_SX_SI_SJ_SK_EUlSX_E_NS1_11comp_targetILNS1_3genE3ELNS1_11target_archE908ELNS1_3gpuE7ELNS1_3repE0EEENS1_48merge_mergepath_partition_config_static_selectorELNS0_4arch9wavefront6targetE1EEEvSJ_.num_vgpr, 0
	.set _ZN7rocprim17ROCPRIM_400000_NS6detail17trampoline_kernelINS0_14default_configENS1_38merge_sort_block_merge_config_selectorIiiEEZZNS1_27merge_sort_block_merge_implIS3_N6thrust23THRUST_200600_302600_NS6detail15normal_iteratorINS8_10device_ptrIiEEEESD_jNS1_19radix_merge_compareILb0ELb1EiNS0_19identity_decomposerEEEEE10hipError_tT0_T1_T2_jT3_P12ihipStream_tbPNSt15iterator_traitsISI_E10value_typeEPNSO_ISJ_E10value_typeEPSK_NS1_7vsmem_tEENKUlT_SI_SJ_SK_E_clISD_PiSD_S10_EESH_SX_SI_SJ_SK_EUlSX_E_NS1_11comp_targetILNS1_3genE3ELNS1_11target_archE908ELNS1_3gpuE7ELNS1_3repE0EEENS1_48merge_mergepath_partition_config_static_selectorELNS0_4arch9wavefront6targetE1EEEvSJ_.num_agpr, 0
	.set _ZN7rocprim17ROCPRIM_400000_NS6detail17trampoline_kernelINS0_14default_configENS1_38merge_sort_block_merge_config_selectorIiiEEZZNS1_27merge_sort_block_merge_implIS3_N6thrust23THRUST_200600_302600_NS6detail15normal_iteratorINS8_10device_ptrIiEEEESD_jNS1_19radix_merge_compareILb0ELb1EiNS0_19identity_decomposerEEEEE10hipError_tT0_T1_T2_jT3_P12ihipStream_tbPNSt15iterator_traitsISI_E10value_typeEPNSO_ISJ_E10value_typeEPSK_NS1_7vsmem_tEENKUlT_SI_SJ_SK_E_clISD_PiSD_S10_EESH_SX_SI_SJ_SK_EUlSX_E_NS1_11comp_targetILNS1_3genE3ELNS1_11target_archE908ELNS1_3gpuE7ELNS1_3repE0EEENS1_48merge_mergepath_partition_config_static_selectorELNS0_4arch9wavefront6targetE1EEEvSJ_.numbered_sgpr, 0
	.set _ZN7rocprim17ROCPRIM_400000_NS6detail17trampoline_kernelINS0_14default_configENS1_38merge_sort_block_merge_config_selectorIiiEEZZNS1_27merge_sort_block_merge_implIS3_N6thrust23THRUST_200600_302600_NS6detail15normal_iteratorINS8_10device_ptrIiEEEESD_jNS1_19radix_merge_compareILb0ELb1EiNS0_19identity_decomposerEEEEE10hipError_tT0_T1_T2_jT3_P12ihipStream_tbPNSt15iterator_traitsISI_E10value_typeEPNSO_ISJ_E10value_typeEPSK_NS1_7vsmem_tEENKUlT_SI_SJ_SK_E_clISD_PiSD_S10_EESH_SX_SI_SJ_SK_EUlSX_E_NS1_11comp_targetILNS1_3genE3ELNS1_11target_archE908ELNS1_3gpuE7ELNS1_3repE0EEENS1_48merge_mergepath_partition_config_static_selectorELNS0_4arch9wavefront6targetE1EEEvSJ_.num_named_barrier, 0
	.set _ZN7rocprim17ROCPRIM_400000_NS6detail17trampoline_kernelINS0_14default_configENS1_38merge_sort_block_merge_config_selectorIiiEEZZNS1_27merge_sort_block_merge_implIS3_N6thrust23THRUST_200600_302600_NS6detail15normal_iteratorINS8_10device_ptrIiEEEESD_jNS1_19radix_merge_compareILb0ELb1EiNS0_19identity_decomposerEEEEE10hipError_tT0_T1_T2_jT3_P12ihipStream_tbPNSt15iterator_traitsISI_E10value_typeEPNSO_ISJ_E10value_typeEPSK_NS1_7vsmem_tEENKUlT_SI_SJ_SK_E_clISD_PiSD_S10_EESH_SX_SI_SJ_SK_EUlSX_E_NS1_11comp_targetILNS1_3genE3ELNS1_11target_archE908ELNS1_3gpuE7ELNS1_3repE0EEENS1_48merge_mergepath_partition_config_static_selectorELNS0_4arch9wavefront6targetE1EEEvSJ_.private_seg_size, 0
	.set _ZN7rocprim17ROCPRIM_400000_NS6detail17trampoline_kernelINS0_14default_configENS1_38merge_sort_block_merge_config_selectorIiiEEZZNS1_27merge_sort_block_merge_implIS3_N6thrust23THRUST_200600_302600_NS6detail15normal_iteratorINS8_10device_ptrIiEEEESD_jNS1_19radix_merge_compareILb0ELb1EiNS0_19identity_decomposerEEEEE10hipError_tT0_T1_T2_jT3_P12ihipStream_tbPNSt15iterator_traitsISI_E10value_typeEPNSO_ISJ_E10value_typeEPSK_NS1_7vsmem_tEENKUlT_SI_SJ_SK_E_clISD_PiSD_S10_EESH_SX_SI_SJ_SK_EUlSX_E_NS1_11comp_targetILNS1_3genE3ELNS1_11target_archE908ELNS1_3gpuE7ELNS1_3repE0EEENS1_48merge_mergepath_partition_config_static_selectorELNS0_4arch9wavefront6targetE1EEEvSJ_.uses_vcc, 0
	.set _ZN7rocprim17ROCPRIM_400000_NS6detail17trampoline_kernelINS0_14default_configENS1_38merge_sort_block_merge_config_selectorIiiEEZZNS1_27merge_sort_block_merge_implIS3_N6thrust23THRUST_200600_302600_NS6detail15normal_iteratorINS8_10device_ptrIiEEEESD_jNS1_19radix_merge_compareILb0ELb1EiNS0_19identity_decomposerEEEEE10hipError_tT0_T1_T2_jT3_P12ihipStream_tbPNSt15iterator_traitsISI_E10value_typeEPNSO_ISJ_E10value_typeEPSK_NS1_7vsmem_tEENKUlT_SI_SJ_SK_E_clISD_PiSD_S10_EESH_SX_SI_SJ_SK_EUlSX_E_NS1_11comp_targetILNS1_3genE3ELNS1_11target_archE908ELNS1_3gpuE7ELNS1_3repE0EEENS1_48merge_mergepath_partition_config_static_selectorELNS0_4arch9wavefront6targetE1EEEvSJ_.uses_flat_scratch, 0
	.set _ZN7rocprim17ROCPRIM_400000_NS6detail17trampoline_kernelINS0_14default_configENS1_38merge_sort_block_merge_config_selectorIiiEEZZNS1_27merge_sort_block_merge_implIS3_N6thrust23THRUST_200600_302600_NS6detail15normal_iteratorINS8_10device_ptrIiEEEESD_jNS1_19radix_merge_compareILb0ELb1EiNS0_19identity_decomposerEEEEE10hipError_tT0_T1_T2_jT3_P12ihipStream_tbPNSt15iterator_traitsISI_E10value_typeEPNSO_ISJ_E10value_typeEPSK_NS1_7vsmem_tEENKUlT_SI_SJ_SK_E_clISD_PiSD_S10_EESH_SX_SI_SJ_SK_EUlSX_E_NS1_11comp_targetILNS1_3genE3ELNS1_11target_archE908ELNS1_3gpuE7ELNS1_3repE0EEENS1_48merge_mergepath_partition_config_static_selectorELNS0_4arch9wavefront6targetE1EEEvSJ_.has_dyn_sized_stack, 0
	.set _ZN7rocprim17ROCPRIM_400000_NS6detail17trampoline_kernelINS0_14default_configENS1_38merge_sort_block_merge_config_selectorIiiEEZZNS1_27merge_sort_block_merge_implIS3_N6thrust23THRUST_200600_302600_NS6detail15normal_iteratorINS8_10device_ptrIiEEEESD_jNS1_19radix_merge_compareILb0ELb1EiNS0_19identity_decomposerEEEEE10hipError_tT0_T1_T2_jT3_P12ihipStream_tbPNSt15iterator_traitsISI_E10value_typeEPNSO_ISJ_E10value_typeEPSK_NS1_7vsmem_tEENKUlT_SI_SJ_SK_E_clISD_PiSD_S10_EESH_SX_SI_SJ_SK_EUlSX_E_NS1_11comp_targetILNS1_3genE3ELNS1_11target_archE908ELNS1_3gpuE7ELNS1_3repE0EEENS1_48merge_mergepath_partition_config_static_selectorELNS0_4arch9wavefront6targetE1EEEvSJ_.has_recursion, 0
	.set _ZN7rocprim17ROCPRIM_400000_NS6detail17trampoline_kernelINS0_14default_configENS1_38merge_sort_block_merge_config_selectorIiiEEZZNS1_27merge_sort_block_merge_implIS3_N6thrust23THRUST_200600_302600_NS6detail15normal_iteratorINS8_10device_ptrIiEEEESD_jNS1_19radix_merge_compareILb0ELb1EiNS0_19identity_decomposerEEEEE10hipError_tT0_T1_T2_jT3_P12ihipStream_tbPNSt15iterator_traitsISI_E10value_typeEPNSO_ISJ_E10value_typeEPSK_NS1_7vsmem_tEENKUlT_SI_SJ_SK_E_clISD_PiSD_S10_EESH_SX_SI_SJ_SK_EUlSX_E_NS1_11comp_targetILNS1_3genE3ELNS1_11target_archE908ELNS1_3gpuE7ELNS1_3repE0EEENS1_48merge_mergepath_partition_config_static_selectorELNS0_4arch9wavefront6targetE1EEEvSJ_.has_indirect_call, 0
	.section	.AMDGPU.csdata,"",@progbits
; Kernel info:
; codeLenInByte = 0
; TotalNumSgprs: 6
; NumVgprs: 0
; NumAgprs: 0
; TotalNumVgprs: 0
; ScratchSize: 0
; MemoryBound: 0
; FloatMode: 240
; IeeeMode: 1
; LDSByteSize: 0 bytes/workgroup (compile time only)
; SGPRBlocks: 0
; VGPRBlocks: 0
; NumSGPRsForWavesPerEU: 6
; NumVGPRsForWavesPerEU: 1
; AccumOffset: 4
; Occupancy: 8
; WaveLimiterHint : 0
; COMPUTE_PGM_RSRC2:SCRATCH_EN: 0
; COMPUTE_PGM_RSRC2:USER_SGPR: 2
; COMPUTE_PGM_RSRC2:TRAP_HANDLER: 0
; COMPUTE_PGM_RSRC2:TGID_X_EN: 1
; COMPUTE_PGM_RSRC2:TGID_Y_EN: 0
; COMPUTE_PGM_RSRC2:TGID_Z_EN: 0
; COMPUTE_PGM_RSRC2:TIDIG_COMP_CNT: 0
; COMPUTE_PGM_RSRC3_GFX90A:ACCUM_OFFSET: 0
; COMPUTE_PGM_RSRC3_GFX90A:TG_SPLIT: 0
	.section	.text._ZN7rocprim17ROCPRIM_400000_NS6detail17trampoline_kernelINS0_14default_configENS1_38merge_sort_block_merge_config_selectorIiiEEZZNS1_27merge_sort_block_merge_implIS3_N6thrust23THRUST_200600_302600_NS6detail15normal_iteratorINS8_10device_ptrIiEEEESD_jNS1_19radix_merge_compareILb0ELb1EiNS0_19identity_decomposerEEEEE10hipError_tT0_T1_T2_jT3_P12ihipStream_tbPNSt15iterator_traitsISI_E10value_typeEPNSO_ISJ_E10value_typeEPSK_NS1_7vsmem_tEENKUlT_SI_SJ_SK_E_clISD_PiSD_S10_EESH_SX_SI_SJ_SK_EUlSX_E_NS1_11comp_targetILNS1_3genE2ELNS1_11target_archE906ELNS1_3gpuE6ELNS1_3repE0EEENS1_48merge_mergepath_partition_config_static_selectorELNS0_4arch9wavefront6targetE1EEEvSJ_,"axG",@progbits,_ZN7rocprim17ROCPRIM_400000_NS6detail17trampoline_kernelINS0_14default_configENS1_38merge_sort_block_merge_config_selectorIiiEEZZNS1_27merge_sort_block_merge_implIS3_N6thrust23THRUST_200600_302600_NS6detail15normal_iteratorINS8_10device_ptrIiEEEESD_jNS1_19radix_merge_compareILb0ELb1EiNS0_19identity_decomposerEEEEE10hipError_tT0_T1_T2_jT3_P12ihipStream_tbPNSt15iterator_traitsISI_E10value_typeEPNSO_ISJ_E10value_typeEPSK_NS1_7vsmem_tEENKUlT_SI_SJ_SK_E_clISD_PiSD_S10_EESH_SX_SI_SJ_SK_EUlSX_E_NS1_11comp_targetILNS1_3genE2ELNS1_11target_archE906ELNS1_3gpuE6ELNS1_3repE0EEENS1_48merge_mergepath_partition_config_static_selectorELNS0_4arch9wavefront6targetE1EEEvSJ_,comdat
	.protected	_ZN7rocprim17ROCPRIM_400000_NS6detail17trampoline_kernelINS0_14default_configENS1_38merge_sort_block_merge_config_selectorIiiEEZZNS1_27merge_sort_block_merge_implIS3_N6thrust23THRUST_200600_302600_NS6detail15normal_iteratorINS8_10device_ptrIiEEEESD_jNS1_19radix_merge_compareILb0ELb1EiNS0_19identity_decomposerEEEEE10hipError_tT0_T1_T2_jT3_P12ihipStream_tbPNSt15iterator_traitsISI_E10value_typeEPNSO_ISJ_E10value_typeEPSK_NS1_7vsmem_tEENKUlT_SI_SJ_SK_E_clISD_PiSD_S10_EESH_SX_SI_SJ_SK_EUlSX_E_NS1_11comp_targetILNS1_3genE2ELNS1_11target_archE906ELNS1_3gpuE6ELNS1_3repE0EEENS1_48merge_mergepath_partition_config_static_selectorELNS0_4arch9wavefront6targetE1EEEvSJ_ ; -- Begin function _ZN7rocprim17ROCPRIM_400000_NS6detail17trampoline_kernelINS0_14default_configENS1_38merge_sort_block_merge_config_selectorIiiEEZZNS1_27merge_sort_block_merge_implIS3_N6thrust23THRUST_200600_302600_NS6detail15normal_iteratorINS8_10device_ptrIiEEEESD_jNS1_19radix_merge_compareILb0ELb1EiNS0_19identity_decomposerEEEEE10hipError_tT0_T1_T2_jT3_P12ihipStream_tbPNSt15iterator_traitsISI_E10value_typeEPNSO_ISJ_E10value_typeEPSK_NS1_7vsmem_tEENKUlT_SI_SJ_SK_E_clISD_PiSD_S10_EESH_SX_SI_SJ_SK_EUlSX_E_NS1_11comp_targetILNS1_3genE2ELNS1_11target_archE906ELNS1_3gpuE6ELNS1_3repE0EEENS1_48merge_mergepath_partition_config_static_selectorELNS0_4arch9wavefront6targetE1EEEvSJ_
	.globl	_ZN7rocprim17ROCPRIM_400000_NS6detail17trampoline_kernelINS0_14default_configENS1_38merge_sort_block_merge_config_selectorIiiEEZZNS1_27merge_sort_block_merge_implIS3_N6thrust23THRUST_200600_302600_NS6detail15normal_iteratorINS8_10device_ptrIiEEEESD_jNS1_19radix_merge_compareILb0ELb1EiNS0_19identity_decomposerEEEEE10hipError_tT0_T1_T2_jT3_P12ihipStream_tbPNSt15iterator_traitsISI_E10value_typeEPNSO_ISJ_E10value_typeEPSK_NS1_7vsmem_tEENKUlT_SI_SJ_SK_E_clISD_PiSD_S10_EESH_SX_SI_SJ_SK_EUlSX_E_NS1_11comp_targetILNS1_3genE2ELNS1_11target_archE906ELNS1_3gpuE6ELNS1_3repE0EEENS1_48merge_mergepath_partition_config_static_selectorELNS0_4arch9wavefront6targetE1EEEvSJ_
	.p2align	8
	.type	_ZN7rocprim17ROCPRIM_400000_NS6detail17trampoline_kernelINS0_14default_configENS1_38merge_sort_block_merge_config_selectorIiiEEZZNS1_27merge_sort_block_merge_implIS3_N6thrust23THRUST_200600_302600_NS6detail15normal_iteratorINS8_10device_ptrIiEEEESD_jNS1_19radix_merge_compareILb0ELb1EiNS0_19identity_decomposerEEEEE10hipError_tT0_T1_T2_jT3_P12ihipStream_tbPNSt15iterator_traitsISI_E10value_typeEPNSO_ISJ_E10value_typeEPSK_NS1_7vsmem_tEENKUlT_SI_SJ_SK_E_clISD_PiSD_S10_EESH_SX_SI_SJ_SK_EUlSX_E_NS1_11comp_targetILNS1_3genE2ELNS1_11target_archE906ELNS1_3gpuE6ELNS1_3repE0EEENS1_48merge_mergepath_partition_config_static_selectorELNS0_4arch9wavefront6targetE1EEEvSJ_,@function
_ZN7rocprim17ROCPRIM_400000_NS6detail17trampoline_kernelINS0_14default_configENS1_38merge_sort_block_merge_config_selectorIiiEEZZNS1_27merge_sort_block_merge_implIS3_N6thrust23THRUST_200600_302600_NS6detail15normal_iteratorINS8_10device_ptrIiEEEESD_jNS1_19radix_merge_compareILb0ELb1EiNS0_19identity_decomposerEEEEE10hipError_tT0_T1_T2_jT3_P12ihipStream_tbPNSt15iterator_traitsISI_E10value_typeEPNSO_ISJ_E10value_typeEPSK_NS1_7vsmem_tEENKUlT_SI_SJ_SK_E_clISD_PiSD_S10_EESH_SX_SI_SJ_SK_EUlSX_E_NS1_11comp_targetILNS1_3genE2ELNS1_11target_archE906ELNS1_3gpuE6ELNS1_3repE0EEENS1_48merge_mergepath_partition_config_static_selectorELNS0_4arch9wavefront6targetE1EEEvSJ_: ; @_ZN7rocprim17ROCPRIM_400000_NS6detail17trampoline_kernelINS0_14default_configENS1_38merge_sort_block_merge_config_selectorIiiEEZZNS1_27merge_sort_block_merge_implIS3_N6thrust23THRUST_200600_302600_NS6detail15normal_iteratorINS8_10device_ptrIiEEEESD_jNS1_19radix_merge_compareILb0ELb1EiNS0_19identity_decomposerEEEEE10hipError_tT0_T1_T2_jT3_P12ihipStream_tbPNSt15iterator_traitsISI_E10value_typeEPNSO_ISJ_E10value_typeEPSK_NS1_7vsmem_tEENKUlT_SI_SJ_SK_E_clISD_PiSD_S10_EESH_SX_SI_SJ_SK_EUlSX_E_NS1_11comp_targetILNS1_3genE2ELNS1_11target_archE906ELNS1_3gpuE6ELNS1_3repE0EEENS1_48merge_mergepath_partition_config_static_selectorELNS0_4arch9wavefront6targetE1EEEvSJ_
; %bb.0:
	.section	.rodata,"a",@progbits
	.p2align	6, 0x0
	.amdhsa_kernel _ZN7rocprim17ROCPRIM_400000_NS6detail17trampoline_kernelINS0_14default_configENS1_38merge_sort_block_merge_config_selectorIiiEEZZNS1_27merge_sort_block_merge_implIS3_N6thrust23THRUST_200600_302600_NS6detail15normal_iteratorINS8_10device_ptrIiEEEESD_jNS1_19radix_merge_compareILb0ELb1EiNS0_19identity_decomposerEEEEE10hipError_tT0_T1_T2_jT3_P12ihipStream_tbPNSt15iterator_traitsISI_E10value_typeEPNSO_ISJ_E10value_typeEPSK_NS1_7vsmem_tEENKUlT_SI_SJ_SK_E_clISD_PiSD_S10_EESH_SX_SI_SJ_SK_EUlSX_E_NS1_11comp_targetILNS1_3genE2ELNS1_11target_archE906ELNS1_3gpuE6ELNS1_3repE0EEENS1_48merge_mergepath_partition_config_static_selectorELNS0_4arch9wavefront6targetE1EEEvSJ_
		.amdhsa_group_segment_fixed_size 0
		.amdhsa_private_segment_fixed_size 0
		.amdhsa_kernarg_size 40
		.amdhsa_user_sgpr_count 2
		.amdhsa_user_sgpr_dispatch_ptr 0
		.amdhsa_user_sgpr_queue_ptr 0
		.amdhsa_user_sgpr_kernarg_segment_ptr 1
		.amdhsa_user_sgpr_dispatch_id 0
		.amdhsa_user_sgpr_kernarg_preload_length 0
		.amdhsa_user_sgpr_kernarg_preload_offset 0
		.amdhsa_user_sgpr_private_segment_size 0
		.amdhsa_uses_dynamic_stack 0
		.amdhsa_enable_private_segment 0
		.amdhsa_system_sgpr_workgroup_id_x 1
		.amdhsa_system_sgpr_workgroup_id_y 0
		.amdhsa_system_sgpr_workgroup_id_z 0
		.amdhsa_system_sgpr_workgroup_info 0
		.amdhsa_system_vgpr_workitem_id 0
		.amdhsa_next_free_vgpr 1
		.amdhsa_next_free_sgpr 0
		.amdhsa_accum_offset 4
		.amdhsa_reserve_vcc 0
		.amdhsa_float_round_mode_32 0
		.amdhsa_float_round_mode_16_64 0
		.amdhsa_float_denorm_mode_32 3
		.amdhsa_float_denorm_mode_16_64 3
		.amdhsa_dx10_clamp 1
		.amdhsa_ieee_mode 1
		.amdhsa_fp16_overflow 0
		.amdhsa_tg_split 0
		.amdhsa_exception_fp_ieee_invalid_op 0
		.amdhsa_exception_fp_denorm_src 0
		.amdhsa_exception_fp_ieee_div_zero 0
		.amdhsa_exception_fp_ieee_overflow 0
		.amdhsa_exception_fp_ieee_underflow 0
		.amdhsa_exception_fp_ieee_inexact 0
		.amdhsa_exception_int_div_zero 0
	.end_amdhsa_kernel
	.section	.text._ZN7rocprim17ROCPRIM_400000_NS6detail17trampoline_kernelINS0_14default_configENS1_38merge_sort_block_merge_config_selectorIiiEEZZNS1_27merge_sort_block_merge_implIS3_N6thrust23THRUST_200600_302600_NS6detail15normal_iteratorINS8_10device_ptrIiEEEESD_jNS1_19radix_merge_compareILb0ELb1EiNS0_19identity_decomposerEEEEE10hipError_tT0_T1_T2_jT3_P12ihipStream_tbPNSt15iterator_traitsISI_E10value_typeEPNSO_ISJ_E10value_typeEPSK_NS1_7vsmem_tEENKUlT_SI_SJ_SK_E_clISD_PiSD_S10_EESH_SX_SI_SJ_SK_EUlSX_E_NS1_11comp_targetILNS1_3genE2ELNS1_11target_archE906ELNS1_3gpuE6ELNS1_3repE0EEENS1_48merge_mergepath_partition_config_static_selectorELNS0_4arch9wavefront6targetE1EEEvSJ_,"axG",@progbits,_ZN7rocprim17ROCPRIM_400000_NS6detail17trampoline_kernelINS0_14default_configENS1_38merge_sort_block_merge_config_selectorIiiEEZZNS1_27merge_sort_block_merge_implIS3_N6thrust23THRUST_200600_302600_NS6detail15normal_iteratorINS8_10device_ptrIiEEEESD_jNS1_19radix_merge_compareILb0ELb1EiNS0_19identity_decomposerEEEEE10hipError_tT0_T1_T2_jT3_P12ihipStream_tbPNSt15iterator_traitsISI_E10value_typeEPNSO_ISJ_E10value_typeEPSK_NS1_7vsmem_tEENKUlT_SI_SJ_SK_E_clISD_PiSD_S10_EESH_SX_SI_SJ_SK_EUlSX_E_NS1_11comp_targetILNS1_3genE2ELNS1_11target_archE906ELNS1_3gpuE6ELNS1_3repE0EEENS1_48merge_mergepath_partition_config_static_selectorELNS0_4arch9wavefront6targetE1EEEvSJ_,comdat
.Lfunc_end1373:
	.size	_ZN7rocprim17ROCPRIM_400000_NS6detail17trampoline_kernelINS0_14default_configENS1_38merge_sort_block_merge_config_selectorIiiEEZZNS1_27merge_sort_block_merge_implIS3_N6thrust23THRUST_200600_302600_NS6detail15normal_iteratorINS8_10device_ptrIiEEEESD_jNS1_19radix_merge_compareILb0ELb1EiNS0_19identity_decomposerEEEEE10hipError_tT0_T1_T2_jT3_P12ihipStream_tbPNSt15iterator_traitsISI_E10value_typeEPNSO_ISJ_E10value_typeEPSK_NS1_7vsmem_tEENKUlT_SI_SJ_SK_E_clISD_PiSD_S10_EESH_SX_SI_SJ_SK_EUlSX_E_NS1_11comp_targetILNS1_3genE2ELNS1_11target_archE906ELNS1_3gpuE6ELNS1_3repE0EEENS1_48merge_mergepath_partition_config_static_selectorELNS0_4arch9wavefront6targetE1EEEvSJ_, .Lfunc_end1373-_ZN7rocprim17ROCPRIM_400000_NS6detail17trampoline_kernelINS0_14default_configENS1_38merge_sort_block_merge_config_selectorIiiEEZZNS1_27merge_sort_block_merge_implIS3_N6thrust23THRUST_200600_302600_NS6detail15normal_iteratorINS8_10device_ptrIiEEEESD_jNS1_19radix_merge_compareILb0ELb1EiNS0_19identity_decomposerEEEEE10hipError_tT0_T1_T2_jT3_P12ihipStream_tbPNSt15iterator_traitsISI_E10value_typeEPNSO_ISJ_E10value_typeEPSK_NS1_7vsmem_tEENKUlT_SI_SJ_SK_E_clISD_PiSD_S10_EESH_SX_SI_SJ_SK_EUlSX_E_NS1_11comp_targetILNS1_3genE2ELNS1_11target_archE906ELNS1_3gpuE6ELNS1_3repE0EEENS1_48merge_mergepath_partition_config_static_selectorELNS0_4arch9wavefront6targetE1EEEvSJ_
                                        ; -- End function
	.set _ZN7rocprim17ROCPRIM_400000_NS6detail17trampoline_kernelINS0_14default_configENS1_38merge_sort_block_merge_config_selectorIiiEEZZNS1_27merge_sort_block_merge_implIS3_N6thrust23THRUST_200600_302600_NS6detail15normal_iteratorINS8_10device_ptrIiEEEESD_jNS1_19radix_merge_compareILb0ELb1EiNS0_19identity_decomposerEEEEE10hipError_tT0_T1_T2_jT3_P12ihipStream_tbPNSt15iterator_traitsISI_E10value_typeEPNSO_ISJ_E10value_typeEPSK_NS1_7vsmem_tEENKUlT_SI_SJ_SK_E_clISD_PiSD_S10_EESH_SX_SI_SJ_SK_EUlSX_E_NS1_11comp_targetILNS1_3genE2ELNS1_11target_archE906ELNS1_3gpuE6ELNS1_3repE0EEENS1_48merge_mergepath_partition_config_static_selectorELNS0_4arch9wavefront6targetE1EEEvSJ_.num_vgpr, 0
	.set _ZN7rocprim17ROCPRIM_400000_NS6detail17trampoline_kernelINS0_14default_configENS1_38merge_sort_block_merge_config_selectorIiiEEZZNS1_27merge_sort_block_merge_implIS3_N6thrust23THRUST_200600_302600_NS6detail15normal_iteratorINS8_10device_ptrIiEEEESD_jNS1_19radix_merge_compareILb0ELb1EiNS0_19identity_decomposerEEEEE10hipError_tT0_T1_T2_jT3_P12ihipStream_tbPNSt15iterator_traitsISI_E10value_typeEPNSO_ISJ_E10value_typeEPSK_NS1_7vsmem_tEENKUlT_SI_SJ_SK_E_clISD_PiSD_S10_EESH_SX_SI_SJ_SK_EUlSX_E_NS1_11comp_targetILNS1_3genE2ELNS1_11target_archE906ELNS1_3gpuE6ELNS1_3repE0EEENS1_48merge_mergepath_partition_config_static_selectorELNS0_4arch9wavefront6targetE1EEEvSJ_.num_agpr, 0
	.set _ZN7rocprim17ROCPRIM_400000_NS6detail17trampoline_kernelINS0_14default_configENS1_38merge_sort_block_merge_config_selectorIiiEEZZNS1_27merge_sort_block_merge_implIS3_N6thrust23THRUST_200600_302600_NS6detail15normal_iteratorINS8_10device_ptrIiEEEESD_jNS1_19radix_merge_compareILb0ELb1EiNS0_19identity_decomposerEEEEE10hipError_tT0_T1_T2_jT3_P12ihipStream_tbPNSt15iterator_traitsISI_E10value_typeEPNSO_ISJ_E10value_typeEPSK_NS1_7vsmem_tEENKUlT_SI_SJ_SK_E_clISD_PiSD_S10_EESH_SX_SI_SJ_SK_EUlSX_E_NS1_11comp_targetILNS1_3genE2ELNS1_11target_archE906ELNS1_3gpuE6ELNS1_3repE0EEENS1_48merge_mergepath_partition_config_static_selectorELNS0_4arch9wavefront6targetE1EEEvSJ_.numbered_sgpr, 0
	.set _ZN7rocprim17ROCPRIM_400000_NS6detail17trampoline_kernelINS0_14default_configENS1_38merge_sort_block_merge_config_selectorIiiEEZZNS1_27merge_sort_block_merge_implIS3_N6thrust23THRUST_200600_302600_NS6detail15normal_iteratorINS8_10device_ptrIiEEEESD_jNS1_19radix_merge_compareILb0ELb1EiNS0_19identity_decomposerEEEEE10hipError_tT0_T1_T2_jT3_P12ihipStream_tbPNSt15iterator_traitsISI_E10value_typeEPNSO_ISJ_E10value_typeEPSK_NS1_7vsmem_tEENKUlT_SI_SJ_SK_E_clISD_PiSD_S10_EESH_SX_SI_SJ_SK_EUlSX_E_NS1_11comp_targetILNS1_3genE2ELNS1_11target_archE906ELNS1_3gpuE6ELNS1_3repE0EEENS1_48merge_mergepath_partition_config_static_selectorELNS0_4arch9wavefront6targetE1EEEvSJ_.num_named_barrier, 0
	.set _ZN7rocprim17ROCPRIM_400000_NS6detail17trampoline_kernelINS0_14default_configENS1_38merge_sort_block_merge_config_selectorIiiEEZZNS1_27merge_sort_block_merge_implIS3_N6thrust23THRUST_200600_302600_NS6detail15normal_iteratorINS8_10device_ptrIiEEEESD_jNS1_19radix_merge_compareILb0ELb1EiNS0_19identity_decomposerEEEEE10hipError_tT0_T1_T2_jT3_P12ihipStream_tbPNSt15iterator_traitsISI_E10value_typeEPNSO_ISJ_E10value_typeEPSK_NS1_7vsmem_tEENKUlT_SI_SJ_SK_E_clISD_PiSD_S10_EESH_SX_SI_SJ_SK_EUlSX_E_NS1_11comp_targetILNS1_3genE2ELNS1_11target_archE906ELNS1_3gpuE6ELNS1_3repE0EEENS1_48merge_mergepath_partition_config_static_selectorELNS0_4arch9wavefront6targetE1EEEvSJ_.private_seg_size, 0
	.set _ZN7rocprim17ROCPRIM_400000_NS6detail17trampoline_kernelINS0_14default_configENS1_38merge_sort_block_merge_config_selectorIiiEEZZNS1_27merge_sort_block_merge_implIS3_N6thrust23THRUST_200600_302600_NS6detail15normal_iteratorINS8_10device_ptrIiEEEESD_jNS1_19radix_merge_compareILb0ELb1EiNS0_19identity_decomposerEEEEE10hipError_tT0_T1_T2_jT3_P12ihipStream_tbPNSt15iterator_traitsISI_E10value_typeEPNSO_ISJ_E10value_typeEPSK_NS1_7vsmem_tEENKUlT_SI_SJ_SK_E_clISD_PiSD_S10_EESH_SX_SI_SJ_SK_EUlSX_E_NS1_11comp_targetILNS1_3genE2ELNS1_11target_archE906ELNS1_3gpuE6ELNS1_3repE0EEENS1_48merge_mergepath_partition_config_static_selectorELNS0_4arch9wavefront6targetE1EEEvSJ_.uses_vcc, 0
	.set _ZN7rocprim17ROCPRIM_400000_NS6detail17trampoline_kernelINS0_14default_configENS1_38merge_sort_block_merge_config_selectorIiiEEZZNS1_27merge_sort_block_merge_implIS3_N6thrust23THRUST_200600_302600_NS6detail15normal_iteratorINS8_10device_ptrIiEEEESD_jNS1_19radix_merge_compareILb0ELb1EiNS0_19identity_decomposerEEEEE10hipError_tT0_T1_T2_jT3_P12ihipStream_tbPNSt15iterator_traitsISI_E10value_typeEPNSO_ISJ_E10value_typeEPSK_NS1_7vsmem_tEENKUlT_SI_SJ_SK_E_clISD_PiSD_S10_EESH_SX_SI_SJ_SK_EUlSX_E_NS1_11comp_targetILNS1_3genE2ELNS1_11target_archE906ELNS1_3gpuE6ELNS1_3repE0EEENS1_48merge_mergepath_partition_config_static_selectorELNS0_4arch9wavefront6targetE1EEEvSJ_.uses_flat_scratch, 0
	.set _ZN7rocprim17ROCPRIM_400000_NS6detail17trampoline_kernelINS0_14default_configENS1_38merge_sort_block_merge_config_selectorIiiEEZZNS1_27merge_sort_block_merge_implIS3_N6thrust23THRUST_200600_302600_NS6detail15normal_iteratorINS8_10device_ptrIiEEEESD_jNS1_19radix_merge_compareILb0ELb1EiNS0_19identity_decomposerEEEEE10hipError_tT0_T1_T2_jT3_P12ihipStream_tbPNSt15iterator_traitsISI_E10value_typeEPNSO_ISJ_E10value_typeEPSK_NS1_7vsmem_tEENKUlT_SI_SJ_SK_E_clISD_PiSD_S10_EESH_SX_SI_SJ_SK_EUlSX_E_NS1_11comp_targetILNS1_3genE2ELNS1_11target_archE906ELNS1_3gpuE6ELNS1_3repE0EEENS1_48merge_mergepath_partition_config_static_selectorELNS0_4arch9wavefront6targetE1EEEvSJ_.has_dyn_sized_stack, 0
	.set _ZN7rocprim17ROCPRIM_400000_NS6detail17trampoline_kernelINS0_14default_configENS1_38merge_sort_block_merge_config_selectorIiiEEZZNS1_27merge_sort_block_merge_implIS3_N6thrust23THRUST_200600_302600_NS6detail15normal_iteratorINS8_10device_ptrIiEEEESD_jNS1_19radix_merge_compareILb0ELb1EiNS0_19identity_decomposerEEEEE10hipError_tT0_T1_T2_jT3_P12ihipStream_tbPNSt15iterator_traitsISI_E10value_typeEPNSO_ISJ_E10value_typeEPSK_NS1_7vsmem_tEENKUlT_SI_SJ_SK_E_clISD_PiSD_S10_EESH_SX_SI_SJ_SK_EUlSX_E_NS1_11comp_targetILNS1_3genE2ELNS1_11target_archE906ELNS1_3gpuE6ELNS1_3repE0EEENS1_48merge_mergepath_partition_config_static_selectorELNS0_4arch9wavefront6targetE1EEEvSJ_.has_recursion, 0
	.set _ZN7rocprim17ROCPRIM_400000_NS6detail17trampoline_kernelINS0_14default_configENS1_38merge_sort_block_merge_config_selectorIiiEEZZNS1_27merge_sort_block_merge_implIS3_N6thrust23THRUST_200600_302600_NS6detail15normal_iteratorINS8_10device_ptrIiEEEESD_jNS1_19radix_merge_compareILb0ELb1EiNS0_19identity_decomposerEEEEE10hipError_tT0_T1_T2_jT3_P12ihipStream_tbPNSt15iterator_traitsISI_E10value_typeEPNSO_ISJ_E10value_typeEPSK_NS1_7vsmem_tEENKUlT_SI_SJ_SK_E_clISD_PiSD_S10_EESH_SX_SI_SJ_SK_EUlSX_E_NS1_11comp_targetILNS1_3genE2ELNS1_11target_archE906ELNS1_3gpuE6ELNS1_3repE0EEENS1_48merge_mergepath_partition_config_static_selectorELNS0_4arch9wavefront6targetE1EEEvSJ_.has_indirect_call, 0
	.section	.AMDGPU.csdata,"",@progbits
; Kernel info:
; codeLenInByte = 0
; TotalNumSgprs: 6
; NumVgprs: 0
; NumAgprs: 0
; TotalNumVgprs: 0
; ScratchSize: 0
; MemoryBound: 0
; FloatMode: 240
; IeeeMode: 1
; LDSByteSize: 0 bytes/workgroup (compile time only)
; SGPRBlocks: 0
; VGPRBlocks: 0
; NumSGPRsForWavesPerEU: 6
; NumVGPRsForWavesPerEU: 1
; AccumOffset: 4
; Occupancy: 8
; WaveLimiterHint : 0
; COMPUTE_PGM_RSRC2:SCRATCH_EN: 0
; COMPUTE_PGM_RSRC2:USER_SGPR: 2
; COMPUTE_PGM_RSRC2:TRAP_HANDLER: 0
; COMPUTE_PGM_RSRC2:TGID_X_EN: 1
; COMPUTE_PGM_RSRC2:TGID_Y_EN: 0
; COMPUTE_PGM_RSRC2:TGID_Z_EN: 0
; COMPUTE_PGM_RSRC2:TIDIG_COMP_CNT: 0
; COMPUTE_PGM_RSRC3_GFX90A:ACCUM_OFFSET: 0
; COMPUTE_PGM_RSRC3_GFX90A:TG_SPLIT: 0
	.section	.text._ZN7rocprim17ROCPRIM_400000_NS6detail17trampoline_kernelINS0_14default_configENS1_38merge_sort_block_merge_config_selectorIiiEEZZNS1_27merge_sort_block_merge_implIS3_N6thrust23THRUST_200600_302600_NS6detail15normal_iteratorINS8_10device_ptrIiEEEESD_jNS1_19radix_merge_compareILb0ELb1EiNS0_19identity_decomposerEEEEE10hipError_tT0_T1_T2_jT3_P12ihipStream_tbPNSt15iterator_traitsISI_E10value_typeEPNSO_ISJ_E10value_typeEPSK_NS1_7vsmem_tEENKUlT_SI_SJ_SK_E_clISD_PiSD_S10_EESH_SX_SI_SJ_SK_EUlSX_E_NS1_11comp_targetILNS1_3genE9ELNS1_11target_archE1100ELNS1_3gpuE3ELNS1_3repE0EEENS1_48merge_mergepath_partition_config_static_selectorELNS0_4arch9wavefront6targetE1EEEvSJ_,"axG",@progbits,_ZN7rocprim17ROCPRIM_400000_NS6detail17trampoline_kernelINS0_14default_configENS1_38merge_sort_block_merge_config_selectorIiiEEZZNS1_27merge_sort_block_merge_implIS3_N6thrust23THRUST_200600_302600_NS6detail15normal_iteratorINS8_10device_ptrIiEEEESD_jNS1_19radix_merge_compareILb0ELb1EiNS0_19identity_decomposerEEEEE10hipError_tT0_T1_T2_jT3_P12ihipStream_tbPNSt15iterator_traitsISI_E10value_typeEPNSO_ISJ_E10value_typeEPSK_NS1_7vsmem_tEENKUlT_SI_SJ_SK_E_clISD_PiSD_S10_EESH_SX_SI_SJ_SK_EUlSX_E_NS1_11comp_targetILNS1_3genE9ELNS1_11target_archE1100ELNS1_3gpuE3ELNS1_3repE0EEENS1_48merge_mergepath_partition_config_static_selectorELNS0_4arch9wavefront6targetE1EEEvSJ_,comdat
	.protected	_ZN7rocprim17ROCPRIM_400000_NS6detail17trampoline_kernelINS0_14default_configENS1_38merge_sort_block_merge_config_selectorIiiEEZZNS1_27merge_sort_block_merge_implIS3_N6thrust23THRUST_200600_302600_NS6detail15normal_iteratorINS8_10device_ptrIiEEEESD_jNS1_19radix_merge_compareILb0ELb1EiNS0_19identity_decomposerEEEEE10hipError_tT0_T1_T2_jT3_P12ihipStream_tbPNSt15iterator_traitsISI_E10value_typeEPNSO_ISJ_E10value_typeEPSK_NS1_7vsmem_tEENKUlT_SI_SJ_SK_E_clISD_PiSD_S10_EESH_SX_SI_SJ_SK_EUlSX_E_NS1_11comp_targetILNS1_3genE9ELNS1_11target_archE1100ELNS1_3gpuE3ELNS1_3repE0EEENS1_48merge_mergepath_partition_config_static_selectorELNS0_4arch9wavefront6targetE1EEEvSJ_ ; -- Begin function _ZN7rocprim17ROCPRIM_400000_NS6detail17trampoline_kernelINS0_14default_configENS1_38merge_sort_block_merge_config_selectorIiiEEZZNS1_27merge_sort_block_merge_implIS3_N6thrust23THRUST_200600_302600_NS6detail15normal_iteratorINS8_10device_ptrIiEEEESD_jNS1_19radix_merge_compareILb0ELb1EiNS0_19identity_decomposerEEEEE10hipError_tT0_T1_T2_jT3_P12ihipStream_tbPNSt15iterator_traitsISI_E10value_typeEPNSO_ISJ_E10value_typeEPSK_NS1_7vsmem_tEENKUlT_SI_SJ_SK_E_clISD_PiSD_S10_EESH_SX_SI_SJ_SK_EUlSX_E_NS1_11comp_targetILNS1_3genE9ELNS1_11target_archE1100ELNS1_3gpuE3ELNS1_3repE0EEENS1_48merge_mergepath_partition_config_static_selectorELNS0_4arch9wavefront6targetE1EEEvSJ_
	.globl	_ZN7rocprim17ROCPRIM_400000_NS6detail17trampoline_kernelINS0_14default_configENS1_38merge_sort_block_merge_config_selectorIiiEEZZNS1_27merge_sort_block_merge_implIS3_N6thrust23THRUST_200600_302600_NS6detail15normal_iteratorINS8_10device_ptrIiEEEESD_jNS1_19radix_merge_compareILb0ELb1EiNS0_19identity_decomposerEEEEE10hipError_tT0_T1_T2_jT3_P12ihipStream_tbPNSt15iterator_traitsISI_E10value_typeEPNSO_ISJ_E10value_typeEPSK_NS1_7vsmem_tEENKUlT_SI_SJ_SK_E_clISD_PiSD_S10_EESH_SX_SI_SJ_SK_EUlSX_E_NS1_11comp_targetILNS1_3genE9ELNS1_11target_archE1100ELNS1_3gpuE3ELNS1_3repE0EEENS1_48merge_mergepath_partition_config_static_selectorELNS0_4arch9wavefront6targetE1EEEvSJ_
	.p2align	8
	.type	_ZN7rocprim17ROCPRIM_400000_NS6detail17trampoline_kernelINS0_14default_configENS1_38merge_sort_block_merge_config_selectorIiiEEZZNS1_27merge_sort_block_merge_implIS3_N6thrust23THRUST_200600_302600_NS6detail15normal_iteratorINS8_10device_ptrIiEEEESD_jNS1_19radix_merge_compareILb0ELb1EiNS0_19identity_decomposerEEEEE10hipError_tT0_T1_T2_jT3_P12ihipStream_tbPNSt15iterator_traitsISI_E10value_typeEPNSO_ISJ_E10value_typeEPSK_NS1_7vsmem_tEENKUlT_SI_SJ_SK_E_clISD_PiSD_S10_EESH_SX_SI_SJ_SK_EUlSX_E_NS1_11comp_targetILNS1_3genE9ELNS1_11target_archE1100ELNS1_3gpuE3ELNS1_3repE0EEENS1_48merge_mergepath_partition_config_static_selectorELNS0_4arch9wavefront6targetE1EEEvSJ_,@function
_ZN7rocprim17ROCPRIM_400000_NS6detail17trampoline_kernelINS0_14default_configENS1_38merge_sort_block_merge_config_selectorIiiEEZZNS1_27merge_sort_block_merge_implIS3_N6thrust23THRUST_200600_302600_NS6detail15normal_iteratorINS8_10device_ptrIiEEEESD_jNS1_19radix_merge_compareILb0ELb1EiNS0_19identity_decomposerEEEEE10hipError_tT0_T1_T2_jT3_P12ihipStream_tbPNSt15iterator_traitsISI_E10value_typeEPNSO_ISJ_E10value_typeEPSK_NS1_7vsmem_tEENKUlT_SI_SJ_SK_E_clISD_PiSD_S10_EESH_SX_SI_SJ_SK_EUlSX_E_NS1_11comp_targetILNS1_3genE9ELNS1_11target_archE1100ELNS1_3gpuE3ELNS1_3repE0EEENS1_48merge_mergepath_partition_config_static_selectorELNS0_4arch9wavefront6targetE1EEEvSJ_: ; @_ZN7rocprim17ROCPRIM_400000_NS6detail17trampoline_kernelINS0_14default_configENS1_38merge_sort_block_merge_config_selectorIiiEEZZNS1_27merge_sort_block_merge_implIS3_N6thrust23THRUST_200600_302600_NS6detail15normal_iteratorINS8_10device_ptrIiEEEESD_jNS1_19radix_merge_compareILb0ELb1EiNS0_19identity_decomposerEEEEE10hipError_tT0_T1_T2_jT3_P12ihipStream_tbPNSt15iterator_traitsISI_E10value_typeEPNSO_ISJ_E10value_typeEPSK_NS1_7vsmem_tEENKUlT_SI_SJ_SK_E_clISD_PiSD_S10_EESH_SX_SI_SJ_SK_EUlSX_E_NS1_11comp_targetILNS1_3genE9ELNS1_11target_archE1100ELNS1_3gpuE3ELNS1_3repE0EEENS1_48merge_mergepath_partition_config_static_selectorELNS0_4arch9wavefront6targetE1EEEvSJ_
; %bb.0:
	.section	.rodata,"a",@progbits
	.p2align	6, 0x0
	.amdhsa_kernel _ZN7rocprim17ROCPRIM_400000_NS6detail17trampoline_kernelINS0_14default_configENS1_38merge_sort_block_merge_config_selectorIiiEEZZNS1_27merge_sort_block_merge_implIS3_N6thrust23THRUST_200600_302600_NS6detail15normal_iteratorINS8_10device_ptrIiEEEESD_jNS1_19radix_merge_compareILb0ELb1EiNS0_19identity_decomposerEEEEE10hipError_tT0_T1_T2_jT3_P12ihipStream_tbPNSt15iterator_traitsISI_E10value_typeEPNSO_ISJ_E10value_typeEPSK_NS1_7vsmem_tEENKUlT_SI_SJ_SK_E_clISD_PiSD_S10_EESH_SX_SI_SJ_SK_EUlSX_E_NS1_11comp_targetILNS1_3genE9ELNS1_11target_archE1100ELNS1_3gpuE3ELNS1_3repE0EEENS1_48merge_mergepath_partition_config_static_selectorELNS0_4arch9wavefront6targetE1EEEvSJ_
		.amdhsa_group_segment_fixed_size 0
		.amdhsa_private_segment_fixed_size 0
		.amdhsa_kernarg_size 40
		.amdhsa_user_sgpr_count 2
		.amdhsa_user_sgpr_dispatch_ptr 0
		.amdhsa_user_sgpr_queue_ptr 0
		.amdhsa_user_sgpr_kernarg_segment_ptr 1
		.amdhsa_user_sgpr_dispatch_id 0
		.amdhsa_user_sgpr_kernarg_preload_length 0
		.amdhsa_user_sgpr_kernarg_preload_offset 0
		.amdhsa_user_sgpr_private_segment_size 0
		.amdhsa_uses_dynamic_stack 0
		.amdhsa_enable_private_segment 0
		.amdhsa_system_sgpr_workgroup_id_x 1
		.amdhsa_system_sgpr_workgroup_id_y 0
		.amdhsa_system_sgpr_workgroup_id_z 0
		.amdhsa_system_sgpr_workgroup_info 0
		.amdhsa_system_vgpr_workitem_id 0
		.amdhsa_next_free_vgpr 1
		.amdhsa_next_free_sgpr 0
		.amdhsa_accum_offset 4
		.amdhsa_reserve_vcc 0
		.amdhsa_float_round_mode_32 0
		.amdhsa_float_round_mode_16_64 0
		.amdhsa_float_denorm_mode_32 3
		.amdhsa_float_denorm_mode_16_64 3
		.amdhsa_dx10_clamp 1
		.amdhsa_ieee_mode 1
		.amdhsa_fp16_overflow 0
		.amdhsa_tg_split 0
		.amdhsa_exception_fp_ieee_invalid_op 0
		.amdhsa_exception_fp_denorm_src 0
		.amdhsa_exception_fp_ieee_div_zero 0
		.amdhsa_exception_fp_ieee_overflow 0
		.amdhsa_exception_fp_ieee_underflow 0
		.amdhsa_exception_fp_ieee_inexact 0
		.amdhsa_exception_int_div_zero 0
	.end_amdhsa_kernel
	.section	.text._ZN7rocprim17ROCPRIM_400000_NS6detail17trampoline_kernelINS0_14default_configENS1_38merge_sort_block_merge_config_selectorIiiEEZZNS1_27merge_sort_block_merge_implIS3_N6thrust23THRUST_200600_302600_NS6detail15normal_iteratorINS8_10device_ptrIiEEEESD_jNS1_19radix_merge_compareILb0ELb1EiNS0_19identity_decomposerEEEEE10hipError_tT0_T1_T2_jT3_P12ihipStream_tbPNSt15iterator_traitsISI_E10value_typeEPNSO_ISJ_E10value_typeEPSK_NS1_7vsmem_tEENKUlT_SI_SJ_SK_E_clISD_PiSD_S10_EESH_SX_SI_SJ_SK_EUlSX_E_NS1_11comp_targetILNS1_3genE9ELNS1_11target_archE1100ELNS1_3gpuE3ELNS1_3repE0EEENS1_48merge_mergepath_partition_config_static_selectorELNS0_4arch9wavefront6targetE1EEEvSJ_,"axG",@progbits,_ZN7rocprim17ROCPRIM_400000_NS6detail17trampoline_kernelINS0_14default_configENS1_38merge_sort_block_merge_config_selectorIiiEEZZNS1_27merge_sort_block_merge_implIS3_N6thrust23THRUST_200600_302600_NS6detail15normal_iteratorINS8_10device_ptrIiEEEESD_jNS1_19radix_merge_compareILb0ELb1EiNS0_19identity_decomposerEEEEE10hipError_tT0_T1_T2_jT3_P12ihipStream_tbPNSt15iterator_traitsISI_E10value_typeEPNSO_ISJ_E10value_typeEPSK_NS1_7vsmem_tEENKUlT_SI_SJ_SK_E_clISD_PiSD_S10_EESH_SX_SI_SJ_SK_EUlSX_E_NS1_11comp_targetILNS1_3genE9ELNS1_11target_archE1100ELNS1_3gpuE3ELNS1_3repE0EEENS1_48merge_mergepath_partition_config_static_selectorELNS0_4arch9wavefront6targetE1EEEvSJ_,comdat
.Lfunc_end1374:
	.size	_ZN7rocprim17ROCPRIM_400000_NS6detail17trampoline_kernelINS0_14default_configENS1_38merge_sort_block_merge_config_selectorIiiEEZZNS1_27merge_sort_block_merge_implIS3_N6thrust23THRUST_200600_302600_NS6detail15normal_iteratorINS8_10device_ptrIiEEEESD_jNS1_19radix_merge_compareILb0ELb1EiNS0_19identity_decomposerEEEEE10hipError_tT0_T1_T2_jT3_P12ihipStream_tbPNSt15iterator_traitsISI_E10value_typeEPNSO_ISJ_E10value_typeEPSK_NS1_7vsmem_tEENKUlT_SI_SJ_SK_E_clISD_PiSD_S10_EESH_SX_SI_SJ_SK_EUlSX_E_NS1_11comp_targetILNS1_3genE9ELNS1_11target_archE1100ELNS1_3gpuE3ELNS1_3repE0EEENS1_48merge_mergepath_partition_config_static_selectorELNS0_4arch9wavefront6targetE1EEEvSJ_, .Lfunc_end1374-_ZN7rocprim17ROCPRIM_400000_NS6detail17trampoline_kernelINS0_14default_configENS1_38merge_sort_block_merge_config_selectorIiiEEZZNS1_27merge_sort_block_merge_implIS3_N6thrust23THRUST_200600_302600_NS6detail15normal_iteratorINS8_10device_ptrIiEEEESD_jNS1_19radix_merge_compareILb0ELb1EiNS0_19identity_decomposerEEEEE10hipError_tT0_T1_T2_jT3_P12ihipStream_tbPNSt15iterator_traitsISI_E10value_typeEPNSO_ISJ_E10value_typeEPSK_NS1_7vsmem_tEENKUlT_SI_SJ_SK_E_clISD_PiSD_S10_EESH_SX_SI_SJ_SK_EUlSX_E_NS1_11comp_targetILNS1_3genE9ELNS1_11target_archE1100ELNS1_3gpuE3ELNS1_3repE0EEENS1_48merge_mergepath_partition_config_static_selectorELNS0_4arch9wavefront6targetE1EEEvSJ_
                                        ; -- End function
	.set _ZN7rocprim17ROCPRIM_400000_NS6detail17trampoline_kernelINS0_14default_configENS1_38merge_sort_block_merge_config_selectorIiiEEZZNS1_27merge_sort_block_merge_implIS3_N6thrust23THRUST_200600_302600_NS6detail15normal_iteratorINS8_10device_ptrIiEEEESD_jNS1_19radix_merge_compareILb0ELb1EiNS0_19identity_decomposerEEEEE10hipError_tT0_T1_T2_jT3_P12ihipStream_tbPNSt15iterator_traitsISI_E10value_typeEPNSO_ISJ_E10value_typeEPSK_NS1_7vsmem_tEENKUlT_SI_SJ_SK_E_clISD_PiSD_S10_EESH_SX_SI_SJ_SK_EUlSX_E_NS1_11comp_targetILNS1_3genE9ELNS1_11target_archE1100ELNS1_3gpuE3ELNS1_3repE0EEENS1_48merge_mergepath_partition_config_static_selectorELNS0_4arch9wavefront6targetE1EEEvSJ_.num_vgpr, 0
	.set _ZN7rocprim17ROCPRIM_400000_NS6detail17trampoline_kernelINS0_14default_configENS1_38merge_sort_block_merge_config_selectorIiiEEZZNS1_27merge_sort_block_merge_implIS3_N6thrust23THRUST_200600_302600_NS6detail15normal_iteratorINS8_10device_ptrIiEEEESD_jNS1_19radix_merge_compareILb0ELb1EiNS0_19identity_decomposerEEEEE10hipError_tT0_T1_T2_jT3_P12ihipStream_tbPNSt15iterator_traitsISI_E10value_typeEPNSO_ISJ_E10value_typeEPSK_NS1_7vsmem_tEENKUlT_SI_SJ_SK_E_clISD_PiSD_S10_EESH_SX_SI_SJ_SK_EUlSX_E_NS1_11comp_targetILNS1_3genE9ELNS1_11target_archE1100ELNS1_3gpuE3ELNS1_3repE0EEENS1_48merge_mergepath_partition_config_static_selectorELNS0_4arch9wavefront6targetE1EEEvSJ_.num_agpr, 0
	.set _ZN7rocprim17ROCPRIM_400000_NS6detail17trampoline_kernelINS0_14default_configENS1_38merge_sort_block_merge_config_selectorIiiEEZZNS1_27merge_sort_block_merge_implIS3_N6thrust23THRUST_200600_302600_NS6detail15normal_iteratorINS8_10device_ptrIiEEEESD_jNS1_19radix_merge_compareILb0ELb1EiNS0_19identity_decomposerEEEEE10hipError_tT0_T1_T2_jT3_P12ihipStream_tbPNSt15iterator_traitsISI_E10value_typeEPNSO_ISJ_E10value_typeEPSK_NS1_7vsmem_tEENKUlT_SI_SJ_SK_E_clISD_PiSD_S10_EESH_SX_SI_SJ_SK_EUlSX_E_NS1_11comp_targetILNS1_3genE9ELNS1_11target_archE1100ELNS1_3gpuE3ELNS1_3repE0EEENS1_48merge_mergepath_partition_config_static_selectorELNS0_4arch9wavefront6targetE1EEEvSJ_.numbered_sgpr, 0
	.set _ZN7rocprim17ROCPRIM_400000_NS6detail17trampoline_kernelINS0_14default_configENS1_38merge_sort_block_merge_config_selectorIiiEEZZNS1_27merge_sort_block_merge_implIS3_N6thrust23THRUST_200600_302600_NS6detail15normal_iteratorINS8_10device_ptrIiEEEESD_jNS1_19radix_merge_compareILb0ELb1EiNS0_19identity_decomposerEEEEE10hipError_tT0_T1_T2_jT3_P12ihipStream_tbPNSt15iterator_traitsISI_E10value_typeEPNSO_ISJ_E10value_typeEPSK_NS1_7vsmem_tEENKUlT_SI_SJ_SK_E_clISD_PiSD_S10_EESH_SX_SI_SJ_SK_EUlSX_E_NS1_11comp_targetILNS1_3genE9ELNS1_11target_archE1100ELNS1_3gpuE3ELNS1_3repE0EEENS1_48merge_mergepath_partition_config_static_selectorELNS0_4arch9wavefront6targetE1EEEvSJ_.num_named_barrier, 0
	.set _ZN7rocprim17ROCPRIM_400000_NS6detail17trampoline_kernelINS0_14default_configENS1_38merge_sort_block_merge_config_selectorIiiEEZZNS1_27merge_sort_block_merge_implIS3_N6thrust23THRUST_200600_302600_NS6detail15normal_iteratorINS8_10device_ptrIiEEEESD_jNS1_19radix_merge_compareILb0ELb1EiNS0_19identity_decomposerEEEEE10hipError_tT0_T1_T2_jT3_P12ihipStream_tbPNSt15iterator_traitsISI_E10value_typeEPNSO_ISJ_E10value_typeEPSK_NS1_7vsmem_tEENKUlT_SI_SJ_SK_E_clISD_PiSD_S10_EESH_SX_SI_SJ_SK_EUlSX_E_NS1_11comp_targetILNS1_3genE9ELNS1_11target_archE1100ELNS1_3gpuE3ELNS1_3repE0EEENS1_48merge_mergepath_partition_config_static_selectorELNS0_4arch9wavefront6targetE1EEEvSJ_.private_seg_size, 0
	.set _ZN7rocprim17ROCPRIM_400000_NS6detail17trampoline_kernelINS0_14default_configENS1_38merge_sort_block_merge_config_selectorIiiEEZZNS1_27merge_sort_block_merge_implIS3_N6thrust23THRUST_200600_302600_NS6detail15normal_iteratorINS8_10device_ptrIiEEEESD_jNS1_19radix_merge_compareILb0ELb1EiNS0_19identity_decomposerEEEEE10hipError_tT0_T1_T2_jT3_P12ihipStream_tbPNSt15iterator_traitsISI_E10value_typeEPNSO_ISJ_E10value_typeEPSK_NS1_7vsmem_tEENKUlT_SI_SJ_SK_E_clISD_PiSD_S10_EESH_SX_SI_SJ_SK_EUlSX_E_NS1_11comp_targetILNS1_3genE9ELNS1_11target_archE1100ELNS1_3gpuE3ELNS1_3repE0EEENS1_48merge_mergepath_partition_config_static_selectorELNS0_4arch9wavefront6targetE1EEEvSJ_.uses_vcc, 0
	.set _ZN7rocprim17ROCPRIM_400000_NS6detail17trampoline_kernelINS0_14default_configENS1_38merge_sort_block_merge_config_selectorIiiEEZZNS1_27merge_sort_block_merge_implIS3_N6thrust23THRUST_200600_302600_NS6detail15normal_iteratorINS8_10device_ptrIiEEEESD_jNS1_19radix_merge_compareILb0ELb1EiNS0_19identity_decomposerEEEEE10hipError_tT0_T1_T2_jT3_P12ihipStream_tbPNSt15iterator_traitsISI_E10value_typeEPNSO_ISJ_E10value_typeEPSK_NS1_7vsmem_tEENKUlT_SI_SJ_SK_E_clISD_PiSD_S10_EESH_SX_SI_SJ_SK_EUlSX_E_NS1_11comp_targetILNS1_3genE9ELNS1_11target_archE1100ELNS1_3gpuE3ELNS1_3repE0EEENS1_48merge_mergepath_partition_config_static_selectorELNS0_4arch9wavefront6targetE1EEEvSJ_.uses_flat_scratch, 0
	.set _ZN7rocprim17ROCPRIM_400000_NS6detail17trampoline_kernelINS0_14default_configENS1_38merge_sort_block_merge_config_selectorIiiEEZZNS1_27merge_sort_block_merge_implIS3_N6thrust23THRUST_200600_302600_NS6detail15normal_iteratorINS8_10device_ptrIiEEEESD_jNS1_19radix_merge_compareILb0ELb1EiNS0_19identity_decomposerEEEEE10hipError_tT0_T1_T2_jT3_P12ihipStream_tbPNSt15iterator_traitsISI_E10value_typeEPNSO_ISJ_E10value_typeEPSK_NS1_7vsmem_tEENKUlT_SI_SJ_SK_E_clISD_PiSD_S10_EESH_SX_SI_SJ_SK_EUlSX_E_NS1_11comp_targetILNS1_3genE9ELNS1_11target_archE1100ELNS1_3gpuE3ELNS1_3repE0EEENS1_48merge_mergepath_partition_config_static_selectorELNS0_4arch9wavefront6targetE1EEEvSJ_.has_dyn_sized_stack, 0
	.set _ZN7rocprim17ROCPRIM_400000_NS6detail17trampoline_kernelINS0_14default_configENS1_38merge_sort_block_merge_config_selectorIiiEEZZNS1_27merge_sort_block_merge_implIS3_N6thrust23THRUST_200600_302600_NS6detail15normal_iteratorINS8_10device_ptrIiEEEESD_jNS1_19radix_merge_compareILb0ELb1EiNS0_19identity_decomposerEEEEE10hipError_tT0_T1_T2_jT3_P12ihipStream_tbPNSt15iterator_traitsISI_E10value_typeEPNSO_ISJ_E10value_typeEPSK_NS1_7vsmem_tEENKUlT_SI_SJ_SK_E_clISD_PiSD_S10_EESH_SX_SI_SJ_SK_EUlSX_E_NS1_11comp_targetILNS1_3genE9ELNS1_11target_archE1100ELNS1_3gpuE3ELNS1_3repE0EEENS1_48merge_mergepath_partition_config_static_selectorELNS0_4arch9wavefront6targetE1EEEvSJ_.has_recursion, 0
	.set _ZN7rocprim17ROCPRIM_400000_NS6detail17trampoline_kernelINS0_14default_configENS1_38merge_sort_block_merge_config_selectorIiiEEZZNS1_27merge_sort_block_merge_implIS3_N6thrust23THRUST_200600_302600_NS6detail15normal_iteratorINS8_10device_ptrIiEEEESD_jNS1_19radix_merge_compareILb0ELb1EiNS0_19identity_decomposerEEEEE10hipError_tT0_T1_T2_jT3_P12ihipStream_tbPNSt15iterator_traitsISI_E10value_typeEPNSO_ISJ_E10value_typeEPSK_NS1_7vsmem_tEENKUlT_SI_SJ_SK_E_clISD_PiSD_S10_EESH_SX_SI_SJ_SK_EUlSX_E_NS1_11comp_targetILNS1_3genE9ELNS1_11target_archE1100ELNS1_3gpuE3ELNS1_3repE0EEENS1_48merge_mergepath_partition_config_static_selectorELNS0_4arch9wavefront6targetE1EEEvSJ_.has_indirect_call, 0
	.section	.AMDGPU.csdata,"",@progbits
; Kernel info:
; codeLenInByte = 0
; TotalNumSgprs: 6
; NumVgprs: 0
; NumAgprs: 0
; TotalNumVgprs: 0
; ScratchSize: 0
; MemoryBound: 0
; FloatMode: 240
; IeeeMode: 1
; LDSByteSize: 0 bytes/workgroup (compile time only)
; SGPRBlocks: 0
; VGPRBlocks: 0
; NumSGPRsForWavesPerEU: 6
; NumVGPRsForWavesPerEU: 1
; AccumOffset: 4
; Occupancy: 8
; WaveLimiterHint : 0
; COMPUTE_PGM_RSRC2:SCRATCH_EN: 0
; COMPUTE_PGM_RSRC2:USER_SGPR: 2
; COMPUTE_PGM_RSRC2:TRAP_HANDLER: 0
; COMPUTE_PGM_RSRC2:TGID_X_EN: 1
; COMPUTE_PGM_RSRC2:TGID_Y_EN: 0
; COMPUTE_PGM_RSRC2:TGID_Z_EN: 0
; COMPUTE_PGM_RSRC2:TIDIG_COMP_CNT: 0
; COMPUTE_PGM_RSRC3_GFX90A:ACCUM_OFFSET: 0
; COMPUTE_PGM_RSRC3_GFX90A:TG_SPLIT: 0
	.section	.text._ZN7rocprim17ROCPRIM_400000_NS6detail17trampoline_kernelINS0_14default_configENS1_38merge_sort_block_merge_config_selectorIiiEEZZNS1_27merge_sort_block_merge_implIS3_N6thrust23THRUST_200600_302600_NS6detail15normal_iteratorINS8_10device_ptrIiEEEESD_jNS1_19radix_merge_compareILb0ELb1EiNS0_19identity_decomposerEEEEE10hipError_tT0_T1_T2_jT3_P12ihipStream_tbPNSt15iterator_traitsISI_E10value_typeEPNSO_ISJ_E10value_typeEPSK_NS1_7vsmem_tEENKUlT_SI_SJ_SK_E_clISD_PiSD_S10_EESH_SX_SI_SJ_SK_EUlSX_E_NS1_11comp_targetILNS1_3genE8ELNS1_11target_archE1030ELNS1_3gpuE2ELNS1_3repE0EEENS1_48merge_mergepath_partition_config_static_selectorELNS0_4arch9wavefront6targetE1EEEvSJ_,"axG",@progbits,_ZN7rocprim17ROCPRIM_400000_NS6detail17trampoline_kernelINS0_14default_configENS1_38merge_sort_block_merge_config_selectorIiiEEZZNS1_27merge_sort_block_merge_implIS3_N6thrust23THRUST_200600_302600_NS6detail15normal_iteratorINS8_10device_ptrIiEEEESD_jNS1_19radix_merge_compareILb0ELb1EiNS0_19identity_decomposerEEEEE10hipError_tT0_T1_T2_jT3_P12ihipStream_tbPNSt15iterator_traitsISI_E10value_typeEPNSO_ISJ_E10value_typeEPSK_NS1_7vsmem_tEENKUlT_SI_SJ_SK_E_clISD_PiSD_S10_EESH_SX_SI_SJ_SK_EUlSX_E_NS1_11comp_targetILNS1_3genE8ELNS1_11target_archE1030ELNS1_3gpuE2ELNS1_3repE0EEENS1_48merge_mergepath_partition_config_static_selectorELNS0_4arch9wavefront6targetE1EEEvSJ_,comdat
	.protected	_ZN7rocprim17ROCPRIM_400000_NS6detail17trampoline_kernelINS0_14default_configENS1_38merge_sort_block_merge_config_selectorIiiEEZZNS1_27merge_sort_block_merge_implIS3_N6thrust23THRUST_200600_302600_NS6detail15normal_iteratorINS8_10device_ptrIiEEEESD_jNS1_19radix_merge_compareILb0ELb1EiNS0_19identity_decomposerEEEEE10hipError_tT0_T1_T2_jT3_P12ihipStream_tbPNSt15iterator_traitsISI_E10value_typeEPNSO_ISJ_E10value_typeEPSK_NS1_7vsmem_tEENKUlT_SI_SJ_SK_E_clISD_PiSD_S10_EESH_SX_SI_SJ_SK_EUlSX_E_NS1_11comp_targetILNS1_3genE8ELNS1_11target_archE1030ELNS1_3gpuE2ELNS1_3repE0EEENS1_48merge_mergepath_partition_config_static_selectorELNS0_4arch9wavefront6targetE1EEEvSJ_ ; -- Begin function _ZN7rocprim17ROCPRIM_400000_NS6detail17trampoline_kernelINS0_14default_configENS1_38merge_sort_block_merge_config_selectorIiiEEZZNS1_27merge_sort_block_merge_implIS3_N6thrust23THRUST_200600_302600_NS6detail15normal_iteratorINS8_10device_ptrIiEEEESD_jNS1_19radix_merge_compareILb0ELb1EiNS0_19identity_decomposerEEEEE10hipError_tT0_T1_T2_jT3_P12ihipStream_tbPNSt15iterator_traitsISI_E10value_typeEPNSO_ISJ_E10value_typeEPSK_NS1_7vsmem_tEENKUlT_SI_SJ_SK_E_clISD_PiSD_S10_EESH_SX_SI_SJ_SK_EUlSX_E_NS1_11comp_targetILNS1_3genE8ELNS1_11target_archE1030ELNS1_3gpuE2ELNS1_3repE0EEENS1_48merge_mergepath_partition_config_static_selectorELNS0_4arch9wavefront6targetE1EEEvSJ_
	.globl	_ZN7rocprim17ROCPRIM_400000_NS6detail17trampoline_kernelINS0_14default_configENS1_38merge_sort_block_merge_config_selectorIiiEEZZNS1_27merge_sort_block_merge_implIS3_N6thrust23THRUST_200600_302600_NS6detail15normal_iteratorINS8_10device_ptrIiEEEESD_jNS1_19radix_merge_compareILb0ELb1EiNS0_19identity_decomposerEEEEE10hipError_tT0_T1_T2_jT3_P12ihipStream_tbPNSt15iterator_traitsISI_E10value_typeEPNSO_ISJ_E10value_typeEPSK_NS1_7vsmem_tEENKUlT_SI_SJ_SK_E_clISD_PiSD_S10_EESH_SX_SI_SJ_SK_EUlSX_E_NS1_11comp_targetILNS1_3genE8ELNS1_11target_archE1030ELNS1_3gpuE2ELNS1_3repE0EEENS1_48merge_mergepath_partition_config_static_selectorELNS0_4arch9wavefront6targetE1EEEvSJ_
	.p2align	8
	.type	_ZN7rocprim17ROCPRIM_400000_NS6detail17trampoline_kernelINS0_14default_configENS1_38merge_sort_block_merge_config_selectorIiiEEZZNS1_27merge_sort_block_merge_implIS3_N6thrust23THRUST_200600_302600_NS6detail15normal_iteratorINS8_10device_ptrIiEEEESD_jNS1_19radix_merge_compareILb0ELb1EiNS0_19identity_decomposerEEEEE10hipError_tT0_T1_T2_jT3_P12ihipStream_tbPNSt15iterator_traitsISI_E10value_typeEPNSO_ISJ_E10value_typeEPSK_NS1_7vsmem_tEENKUlT_SI_SJ_SK_E_clISD_PiSD_S10_EESH_SX_SI_SJ_SK_EUlSX_E_NS1_11comp_targetILNS1_3genE8ELNS1_11target_archE1030ELNS1_3gpuE2ELNS1_3repE0EEENS1_48merge_mergepath_partition_config_static_selectorELNS0_4arch9wavefront6targetE1EEEvSJ_,@function
_ZN7rocprim17ROCPRIM_400000_NS6detail17trampoline_kernelINS0_14default_configENS1_38merge_sort_block_merge_config_selectorIiiEEZZNS1_27merge_sort_block_merge_implIS3_N6thrust23THRUST_200600_302600_NS6detail15normal_iteratorINS8_10device_ptrIiEEEESD_jNS1_19radix_merge_compareILb0ELb1EiNS0_19identity_decomposerEEEEE10hipError_tT0_T1_T2_jT3_P12ihipStream_tbPNSt15iterator_traitsISI_E10value_typeEPNSO_ISJ_E10value_typeEPSK_NS1_7vsmem_tEENKUlT_SI_SJ_SK_E_clISD_PiSD_S10_EESH_SX_SI_SJ_SK_EUlSX_E_NS1_11comp_targetILNS1_3genE8ELNS1_11target_archE1030ELNS1_3gpuE2ELNS1_3repE0EEENS1_48merge_mergepath_partition_config_static_selectorELNS0_4arch9wavefront6targetE1EEEvSJ_: ; @_ZN7rocprim17ROCPRIM_400000_NS6detail17trampoline_kernelINS0_14default_configENS1_38merge_sort_block_merge_config_selectorIiiEEZZNS1_27merge_sort_block_merge_implIS3_N6thrust23THRUST_200600_302600_NS6detail15normal_iteratorINS8_10device_ptrIiEEEESD_jNS1_19radix_merge_compareILb0ELb1EiNS0_19identity_decomposerEEEEE10hipError_tT0_T1_T2_jT3_P12ihipStream_tbPNSt15iterator_traitsISI_E10value_typeEPNSO_ISJ_E10value_typeEPSK_NS1_7vsmem_tEENKUlT_SI_SJ_SK_E_clISD_PiSD_S10_EESH_SX_SI_SJ_SK_EUlSX_E_NS1_11comp_targetILNS1_3genE8ELNS1_11target_archE1030ELNS1_3gpuE2ELNS1_3repE0EEENS1_48merge_mergepath_partition_config_static_selectorELNS0_4arch9wavefront6targetE1EEEvSJ_
; %bb.0:
	.section	.rodata,"a",@progbits
	.p2align	6, 0x0
	.amdhsa_kernel _ZN7rocprim17ROCPRIM_400000_NS6detail17trampoline_kernelINS0_14default_configENS1_38merge_sort_block_merge_config_selectorIiiEEZZNS1_27merge_sort_block_merge_implIS3_N6thrust23THRUST_200600_302600_NS6detail15normal_iteratorINS8_10device_ptrIiEEEESD_jNS1_19radix_merge_compareILb0ELb1EiNS0_19identity_decomposerEEEEE10hipError_tT0_T1_T2_jT3_P12ihipStream_tbPNSt15iterator_traitsISI_E10value_typeEPNSO_ISJ_E10value_typeEPSK_NS1_7vsmem_tEENKUlT_SI_SJ_SK_E_clISD_PiSD_S10_EESH_SX_SI_SJ_SK_EUlSX_E_NS1_11comp_targetILNS1_3genE8ELNS1_11target_archE1030ELNS1_3gpuE2ELNS1_3repE0EEENS1_48merge_mergepath_partition_config_static_selectorELNS0_4arch9wavefront6targetE1EEEvSJ_
		.amdhsa_group_segment_fixed_size 0
		.amdhsa_private_segment_fixed_size 0
		.amdhsa_kernarg_size 40
		.amdhsa_user_sgpr_count 2
		.amdhsa_user_sgpr_dispatch_ptr 0
		.amdhsa_user_sgpr_queue_ptr 0
		.amdhsa_user_sgpr_kernarg_segment_ptr 1
		.amdhsa_user_sgpr_dispatch_id 0
		.amdhsa_user_sgpr_kernarg_preload_length 0
		.amdhsa_user_sgpr_kernarg_preload_offset 0
		.amdhsa_user_sgpr_private_segment_size 0
		.amdhsa_uses_dynamic_stack 0
		.amdhsa_enable_private_segment 0
		.amdhsa_system_sgpr_workgroup_id_x 1
		.amdhsa_system_sgpr_workgroup_id_y 0
		.amdhsa_system_sgpr_workgroup_id_z 0
		.amdhsa_system_sgpr_workgroup_info 0
		.amdhsa_system_vgpr_workitem_id 0
		.amdhsa_next_free_vgpr 1
		.amdhsa_next_free_sgpr 0
		.amdhsa_accum_offset 4
		.amdhsa_reserve_vcc 0
		.amdhsa_float_round_mode_32 0
		.amdhsa_float_round_mode_16_64 0
		.amdhsa_float_denorm_mode_32 3
		.amdhsa_float_denorm_mode_16_64 3
		.amdhsa_dx10_clamp 1
		.amdhsa_ieee_mode 1
		.amdhsa_fp16_overflow 0
		.amdhsa_tg_split 0
		.amdhsa_exception_fp_ieee_invalid_op 0
		.amdhsa_exception_fp_denorm_src 0
		.amdhsa_exception_fp_ieee_div_zero 0
		.amdhsa_exception_fp_ieee_overflow 0
		.amdhsa_exception_fp_ieee_underflow 0
		.amdhsa_exception_fp_ieee_inexact 0
		.amdhsa_exception_int_div_zero 0
	.end_amdhsa_kernel
	.section	.text._ZN7rocprim17ROCPRIM_400000_NS6detail17trampoline_kernelINS0_14default_configENS1_38merge_sort_block_merge_config_selectorIiiEEZZNS1_27merge_sort_block_merge_implIS3_N6thrust23THRUST_200600_302600_NS6detail15normal_iteratorINS8_10device_ptrIiEEEESD_jNS1_19radix_merge_compareILb0ELb1EiNS0_19identity_decomposerEEEEE10hipError_tT0_T1_T2_jT3_P12ihipStream_tbPNSt15iterator_traitsISI_E10value_typeEPNSO_ISJ_E10value_typeEPSK_NS1_7vsmem_tEENKUlT_SI_SJ_SK_E_clISD_PiSD_S10_EESH_SX_SI_SJ_SK_EUlSX_E_NS1_11comp_targetILNS1_3genE8ELNS1_11target_archE1030ELNS1_3gpuE2ELNS1_3repE0EEENS1_48merge_mergepath_partition_config_static_selectorELNS0_4arch9wavefront6targetE1EEEvSJ_,"axG",@progbits,_ZN7rocprim17ROCPRIM_400000_NS6detail17trampoline_kernelINS0_14default_configENS1_38merge_sort_block_merge_config_selectorIiiEEZZNS1_27merge_sort_block_merge_implIS3_N6thrust23THRUST_200600_302600_NS6detail15normal_iteratorINS8_10device_ptrIiEEEESD_jNS1_19radix_merge_compareILb0ELb1EiNS0_19identity_decomposerEEEEE10hipError_tT0_T1_T2_jT3_P12ihipStream_tbPNSt15iterator_traitsISI_E10value_typeEPNSO_ISJ_E10value_typeEPSK_NS1_7vsmem_tEENKUlT_SI_SJ_SK_E_clISD_PiSD_S10_EESH_SX_SI_SJ_SK_EUlSX_E_NS1_11comp_targetILNS1_3genE8ELNS1_11target_archE1030ELNS1_3gpuE2ELNS1_3repE0EEENS1_48merge_mergepath_partition_config_static_selectorELNS0_4arch9wavefront6targetE1EEEvSJ_,comdat
.Lfunc_end1375:
	.size	_ZN7rocprim17ROCPRIM_400000_NS6detail17trampoline_kernelINS0_14default_configENS1_38merge_sort_block_merge_config_selectorIiiEEZZNS1_27merge_sort_block_merge_implIS3_N6thrust23THRUST_200600_302600_NS6detail15normal_iteratorINS8_10device_ptrIiEEEESD_jNS1_19radix_merge_compareILb0ELb1EiNS0_19identity_decomposerEEEEE10hipError_tT0_T1_T2_jT3_P12ihipStream_tbPNSt15iterator_traitsISI_E10value_typeEPNSO_ISJ_E10value_typeEPSK_NS1_7vsmem_tEENKUlT_SI_SJ_SK_E_clISD_PiSD_S10_EESH_SX_SI_SJ_SK_EUlSX_E_NS1_11comp_targetILNS1_3genE8ELNS1_11target_archE1030ELNS1_3gpuE2ELNS1_3repE0EEENS1_48merge_mergepath_partition_config_static_selectorELNS0_4arch9wavefront6targetE1EEEvSJ_, .Lfunc_end1375-_ZN7rocprim17ROCPRIM_400000_NS6detail17trampoline_kernelINS0_14default_configENS1_38merge_sort_block_merge_config_selectorIiiEEZZNS1_27merge_sort_block_merge_implIS3_N6thrust23THRUST_200600_302600_NS6detail15normal_iteratorINS8_10device_ptrIiEEEESD_jNS1_19radix_merge_compareILb0ELb1EiNS0_19identity_decomposerEEEEE10hipError_tT0_T1_T2_jT3_P12ihipStream_tbPNSt15iterator_traitsISI_E10value_typeEPNSO_ISJ_E10value_typeEPSK_NS1_7vsmem_tEENKUlT_SI_SJ_SK_E_clISD_PiSD_S10_EESH_SX_SI_SJ_SK_EUlSX_E_NS1_11comp_targetILNS1_3genE8ELNS1_11target_archE1030ELNS1_3gpuE2ELNS1_3repE0EEENS1_48merge_mergepath_partition_config_static_selectorELNS0_4arch9wavefront6targetE1EEEvSJ_
                                        ; -- End function
	.set _ZN7rocprim17ROCPRIM_400000_NS6detail17trampoline_kernelINS0_14default_configENS1_38merge_sort_block_merge_config_selectorIiiEEZZNS1_27merge_sort_block_merge_implIS3_N6thrust23THRUST_200600_302600_NS6detail15normal_iteratorINS8_10device_ptrIiEEEESD_jNS1_19radix_merge_compareILb0ELb1EiNS0_19identity_decomposerEEEEE10hipError_tT0_T1_T2_jT3_P12ihipStream_tbPNSt15iterator_traitsISI_E10value_typeEPNSO_ISJ_E10value_typeEPSK_NS1_7vsmem_tEENKUlT_SI_SJ_SK_E_clISD_PiSD_S10_EESH_SX_SI_SJ_SK_EUlSX_E_NS1_11comp_targetILNS1_3genE8ELNS1_11target_archE1030ELNS1_3gpuE2ELNS1_3repE0EEENS1_48merge_mergepath_partition_config_static_selectorELNS0_4arch9wavefront6targetE1EEEvSJ_.num_vgpr, 0
	.set _ZN7rocprim17ROCPRIM_400000_NS6detail17trampoline_kernelINS0_14default_configENS1_38merge_sort_block_merge_config_selectorIiiEEZZNS1_27merge_sort_block_merge_implIS3_N6thrust23THRUST_200600_302600_NS6detail15normal_iteratorINS8_10device_ptrIiEEEESD_jNS1_19radix_merge_compareILb0ELb1EiNS0_19identity_decomposerEEEEE10hipError_tT0_T1_T2_jT3_P12ihipStream_tbPNSt15iterator_traitsISI_E10value_typeEPNSO_ISJ_E10value_typeEPSK_NS1_7vsmem_tEENKUlT_SI_SJ_SK_E_clISD_PiSD_S10_EESH_SX_SI_SJ_SK_EUlSX_E_NS1_11comp_targetILNS1_3genE8ELNS1_11target_archE1030ELNS1_3gpuE2ELNS1_3repE0EEENS1_48merge_mergepath_partition_config_static_selectorELNS0_4arch9wavefront6targetE1EEEvSJ_.num_agpr, 0
	.set _ZN7rocprim17ROCPRIM_400000_NS6detail17trampoline_kernelINS0_14default_configENS1_38merge_sort_block_merge_config_selectorIiiEEZZNS1_27merge_sort_block_merge_implIS3_N6thrust23THRUST_200600_302600_NS6detail15normal_iteratorINS8_10device_ptrIiEEEESD_jNS1_19radix_merge_compareILb0ELb1EiNS0_19identity_decomposerEEEEE10hipError_tT0_T1_T2_jT3_P12ihipStream_tbPNSt15iterator_traitsISI_E10value_typeEPNSO_ISJ_E10value_typeEPSK_NS1_7vsmem_tEENKUlT_SI_SJ_SK_E_clISD_PiSD_S10_EESH_SX_SI_SJ_SK_EUlSX_E_NS1_11comp_targetILNS1_3genE8ELNS1_11target_archE1030ELNS1_3gpuE2ELNS1_3repE0EEENS1_48merge_mergepath_partition_config_static_selectorELNS0_4arch9wavefront6targetE1EEEvSJ_.numbered_sgpr, 0
	.set _ZN7rocprim17ROCPRIM_400000_NS6detail17trampoline_kernelINS0_14default_configENS1_38merge_sort_block_merge_config_selectorIiiEEZZNS1_27merge_sort_block_merge_implIS3_N6thrust23THRUST_200600_302600_NS6detail15normal_iteratorINS8_10device_ptrIiEEEESD_jNS1_19radix_merge_compareILb0ELb1EiNS0_19identity_decomposerEEEEE10hipError_tT0_T1_T2_jT3_P12ihipStream_tbPNSt15iterator_traitsISI_E10value_typeEPNSO_ISJ_E10value_typeEPSK_NS1_7vsmem_tEENKUlT_SI_SJ_SK_E_clISD_PiSD_S10_EESH_SX_SI_SJ_SK_EUlSX_E_NS1_11comp_targetILNS1_3genE8ELNS1_11target_archE1030ELNS1_3gpuE2ELNS1_3repE0EEENS1_48merge_mergepath_partition_config_static_selectorELNS0_4arch9wavefront6targetE1EEEvSJ_.num_named_barrier, 0
	.set _ZN7rocprim17ROCPRIM_400000_NS6detail17trampoline_kernelINS0_14default_configENS1_38merge_sort_block_merge_config_selectorIiiEEZZNS1_27merge_sort_block_merge_implIS3_N6thrust23THRUST_200600_302600_NS6detail15normal_iteratorINS8_10device_ptrIiEEEESD_jNS1_19radix_merge_compareILb0ELb1EiNS0_19identity_decomposerEEEEE10hipError_tT0_T1_T2_jT3_P12ihipStream_tbPNSt15iterator_traitsISI_E10value_typeEPNSO_ISJ_E10value_typeEPSK_NS1_7vsmem_tEENKUlT_SI_SJ_SK_E_clISD_PiSD_S10_EESH_SX_SI_SJ_SK_EUlSX_E_NS1_11comp_targetILNS1_3genE8ELNS1_11target_archE1030ELNS1_3gpuE2ELNS1_3repE0EEENS1_48merge_mergepath_partition_config_static_selectorELNS0_4arch9wavefront6targetE1EEEvSJ_.private_seg_size, 0
	.set _ZN7rocprim17ROCPRIM_400000_NS6detail17trampoline_kernelINS0_14default_configENS1_38merge_sort_block_merge_config_selectorIiiEEZZNS1_27merge_sort_block_merge_implIS3_N6thrust23THRUST_200600_302600_NS6detail15normal_iteratorINS8_10device_ptrIiEEEESD_jNS1_19radix_merge_compareILb0ELb1EiNS0_19identity_decomposerEEEEE10hipError_tT0_T1_T2_jT3_P12ihipStream_tbPNSt15iterator_traitsISI_E10value_typeEPNSO_ISJ_E10value_typeEPSK_NS1_7vsmem_tEENKUlT_SI_SJ_SK_E_clISD_PiSD_S10_EESH_SX_SI_SJ_SK_EUlSX_E_NS1_11comp_targetILNS1_3genE8ELNS1_11target_archE1030ELNS1_3gpuE2ELNS1_3repE0EEENS1_48merge_mergepath_partition_config_static_selectorELNS0_4arch9wavefront6targetE1EEEvSJ_.uses_vcc, 0
	.set _ZN7rocprim17ROCPRIM_400000_NS6detail17trampoline_kernelINS0_14default_configENS1_38merge_sort_block_merge_config_selectorIiiEEZZNS1_27merge_sort_block_merge_implIS3_N6thrust23THRUST_200600_302600_NS6detail15normal_iteratorINS8_10device_ptrIiEEEESD_jNS1_19radix_merge_compareILb0ELb1EiNS0_19identity_decomposerEEEEE10hipError_tT0_T1_T2_jT3_P12ihipStream_tbPNSt15iterator_traitsISI_E10value_typeEPNSO_ISJ_E10value_typeEPSK_NS1_7vsmem_tEENKUlT_SI_SJ_SK_E_clISD_PiSD_S10_EESH_SX_SI_SJ_SK_EUlSX_E_NS1_11comp_targetILNS1_3genE8ELNS1_11target_archE1030ELNS1_3gpuE2ELNS1_3repE0EEENS1_48merge_mergepath_partition_config_static_selectorELNS0_4arch9wavefront6targetE1EEEvSJ_.uses_flat_scratch, 0
	.set _ZN7rocprim17ROCPRIM_400000_NS6detail17trampoline_kernelINS0_14default_configENS1_38merge_sort_block_merge_config_selectorIiiEEZZNS1_27merge_sort_block_merge_implIS3_N6thrust23THRUST_200600_302600_NS6detail15normal_iteratorINS8_10device_ptrIiEEEESD_jNS1_19radix_merge_compareILb0ELb1EiNS0_19identity_decomposerEEEEE10hipError_tT0_T1_T2_jT3_P12ihipStream_tbPNSt15iterator_traitsISI_E10value_typeEPNSO_ISJ_E10value_typeEPSK_NS1_7vsmem_tEENKUlT_SI_SJ_SK_E_clISD_PiSD_S10_EESH_SX_SI_SJ_SK_EUlSX_E_NS1_11comp_targetILNS1_3genE8ELNS1_11target_archE1030ELNS1_3gpuE2ELNS1_3repE0EEENS1_48merge_mergepath_partition_config_static_selectorELNS0_4arch9wavefront6targetE1EEEvSJ_.has_dyn_sized_stack, 0
	.set _ZN7rocprim17ROCPRIM_400000_NS6detail17trampoline_kernelINS0_14default_configENS1_38merge_sort_block_merge_config_selectorIiiEEZZNS1_27merge_sort_block_merge_implIS3_N6thrust23THRUST_200600_302600_NS6detail15normal_iteratorINS8_10device_ptrIiEEEESD_jNS1_19radix_merge_compareILb0ELb1EiNS0_19identity_decomposerEEEEE10hipError_tT0_T1_T2_jT3_P12ihipStream_tbPNSt15iterator_traitsISI_E10value_typeEPNSO_ISJ_E10value_typeEPSK_NS1_7vsmem_tEENKUlT_SI_SJ_SK_E_clISD_PiSD_S10_EESH_SX_SI_SJ_SK_EUlSX_E_NS1_11comp_targetILNS1_3genE8ELNS1_11target_archE1030ELNS1_3gpuE2ELNS1_3repE0EEENS1_48merge_mergepath_partition_config_static_selectorELNS0_4arch9wavefront6targetE1EEEvSJ_.has_recursion, 0
	.set _ZN7rocprim17ROCPRIM_400000_NS6detail17trampoline_kernelINS0_14default_configENS1_38merge_sort_block_merge_config_selectorIiiEEZZNS1_27merge_sort_block_merge_implIS3_N6thrust23THRUST_200600_302600_NS6detail15normal_iteratorINS8_10device_ptrIiEEEESD_jNS1_19radix_merge_compareILb0ELb1EiNS0_19identity_decomposerEEEEE10hipError_tT0_T1_T2_jT3_P12ihipStream_tbPNSt15iterator_traitsISI_E10value_typeEPNSO_ISJ_E10value_typeEPSK_NS1_7vsmem_tEENKUlT_SI_SJ_SK_E_clISD_PiSD_S10_EESH_SX_SI_SJ_SK_EUlSX_E_NS1_11comp_targetILNS1_3genE8ELNS1_11target_archE1030ELNS1_3gpuE2ELNS1_3repE0EEENS1_48merge_mergepath_partition_config_static_selectorELNS0_4arch9wavefront6targetE1EEEvSJ_.has_indirect_call, 0
	.section	.AMDGPU.csdata,"",@progbits
; Kernel info:
; codeLenInByte = 0
; TotalNumSgprs: 6
; NumVgprs: 0
; NumAgprs: 0
; TotalNumVgprs: 0
; ScratchSize: 0
; MemoryBound: 0
; FloatMode: 240
; IeeeMode: 1
; LDSByteSize: 0 bytes/workgroup (compile time only)
; SGPRBlocks: 0
; VGPRBlocks: 0
; NumSGPRsForWavesPerEU: 6
; NumVGPRsForWavesPerEU: 1
; AccumOffset: 4
; Occupancy: 8
; WaveLimiterHint : 0
; COMPUTE_PGM_RSRC2:SCRATCH_EN: 0
; COMPUTE_PGM_RSRC2:USER_SGPR: 2
; COMPUTE_PGM_RSRC2:TRAP_HANDLER: 0
; COMPUTE_PGM_RSRC2:TGID_X_EN: 1
; COMPUTE_PGM_RSRC2:TGID_Y_EN: 0
; COMPUTE_PGM_RSRC2:TGID_Z_EN: 0
; COMPUTE_PGM_RSRC2:TIDIG_COMP_CNT: 0
; COMPUTE_PGM_RSRC3_GFX90A:ACCUM_OFFSET: 0
; COMPUTE_PGM_RSRC3_GFX90A:TG_SPLIT: 0
	.section	.text._ZN7rocprim17ROCPRIM_400000_NS6detail17trampoline_kernelINS0_14default_configENS1_38merge_sort_block_merge_config_selectorIiiEEZZNS1_27merge_sort_block_merge_implIS3_N6thrust23THRUST_200600_302600_NS6detail15normal_iteratorINS8_10device_ptrIiEEEESD_jNS1_19radix_merge_compareILb0ELb1EiNS0_19identity_decomposerEEEEE10hipError_tT0_T1_T2_jT3_P12ihipStream_tbPNSt15iterator_traitsISI_E10value_typeEPNSO_ISJ_E10value_typeEPSK_NS1_7vsmem_tEENKUlT_SI_SJ_SK_E_clISD_PiSD_S10_EESH_SX_SI_SJ_SK_EUlSX_E0_NS1_11comp_targetILNS1_3genE0ELNS1_11target_archE4294967295ELNS1_3gpuE0ELNS1_3repE0EEENS1_38merge_mergepath_config_static_selectorELNS0_4arch9wavefront6targetE1EEEvSJ_,"axG",@progbits,_ZN7rocprim17ROCPRIM_400000_NS6detail17trampoline_kernelINS0_14default_configENS1_38merge_sort_block_merge_config_selectorIiiEEZZNS1_27merge_sort_block_merge_implIS3_N6thrust23THRUST_200600_302600_NS6detail15normal_iteratorINS8_10device_ptrIiEEEESD_jNS1_19radix_merge_compareILb0ELb1EiNS0_19identity_decomposerEEEEE10hipError_tT0_T1_T2_jT3_P12ihipStream_tbPNSt15iterator_traitsISI_E10value_typeEPNSO_ISJ_E10value_typeEPSK_NS1_7vsmem_tEENKUlT_SI_SJ_SK_E_clISD_PiSD_S10_EESH_SX_SI_SJ_SK_EUlSX_E0_NS1_11comp_targetILNS1_3genE0ELNS1_11target_archE4294967295ELNS1_3gpuE0ELNS1_3repE0EEENS1_38merge_mergepath_config_static_selectorELNS0_4arch9wavefront6targetE1EEEvSJ_,comdat
	.protected	_ZN7rocprim17ROCPRIM_400000_NS6detail17trampoline_kernelINS0_14default_configENS1_38merge_sort_block_merge_config_selectorIiiEEZZNS1_27merge_sort_block_merge_implIS3_N6thrust23THRUST_200600_302600_NS6detail15normal_iteratorINS8_10device_ptrIiEEEESD_jNS1_19radix_merge_compareILb0ELb1EiNS0_19identity_decomposerEEEEE10hipError_tT0_T1_T2_jT3_P12ihipStream_tbPNSt15iterator_traitsISI_E10value_typeEPNSO_ISJ_E10value_typeEPSK_NS1_7vsmem_tEENKUlT_SI_SJ_SK_E_clISD_PiSD_S10_EESH_SX_SI_SJ_SK_EUlSX_E0_NS1_11comp_targetILNS1_3genE0ELNS1_11target_archE4294967295ELNS1_3gpuE0ELNS1_3repE0EEENS1_38merge_mergepath_config_static_selectorELNS0_4arch9wavefront6targetE1EEEvSJ_ ; -- Begin function _ZN7rocprim17ROCPRIM_400000_NS6detail17trampoline_kernelINS0_14default_configENS1_38merge_sort_block_merge_config_selectorIiiEEZZNS1_27merge_sort_block_merge_implIS3_N6thrust23THRUST_200600_302600_NS6detail15normal_iteratorINS8_10device_ptrIiEEEESD_jNS1_19radix_merge_compareILb0ELb1EiNS0_19identity_decomposerEEEEE10hipError_tT0_T1_T2_jT3_P12ihipStream_tbPNSt15iterator_traitsISI_E10value_typeEPNSO_ISJ_E10value_typeEPSK_NS1_7vsmem_tEENKUlT_SI_SJ_SK_E_clISD_PiSD_S10_EESH_SX_SI_SJ_SK_EUlSX_E0_NS1_11comp_targetILNS1_3genE0ELNS1_11target_archE4294967295ELNS1_3gpuE0ELNS1_3repE0EEENS1_38merge_mergepath_config_static_selectorELNS0_4arch9wavefront6targetE1EEEvSJ_
	.globl	_ZN7rocprim17ROCPRIM_400000_NS6detail17trampoline_kernelINS0_14default_configENS1_38merge_sort_block_merge_config_selectorIiiEEZZNS1_27merge_sort_block_merge_implIS3_N6thrust23THRUST_200600_302600_NS6detail15normal_iteratorINS8_10device_ptrIiEEEESD_jNS1_19radix_merge_compareILb0ELb1EiNS0_19identity_decomposerEEEEE10hipError_tT0_T1_T2_jT3_P12ihipStream_tbPNSt15iterator_traitsISI_E10value_typeEPNSO_ISJ_E10value_typeEPSK_NS1_7vsmem_tEENKUlT_SI_SJ_SK_E_clISD_PiSD_S10_EESH_SX_SI_SJ_SK_EUlSX_E0_NS1_11comp_targetILNS1_3genE0ELNS1_11target_archE4294967295ELNS1_3gpuE0ELNS1_3repE0EEENS1_38merge_mergepath_config_static_selectorELNS0_4arch9wavefront6targetE1EEEvSJ_
	.p2align	8
	.type	_ZN7rocprim17ROCPRIM_400000_NS6detail17trampoline_kernelINS0_14default_configENS1_38merge_sort_block_merge_config_selectorIiiEEZZNS1_27merge_sort_block_merge_implIS3_N6thrust23THRUST_200600_302600_NS6detail15normal_iteratorINS8_10device_ptrIiEEEESD_jNS1_19radix_merge_compareILb0ELb1EiNS0_19identity_decomposerEEEEE10hipError_tT0_T1_T2_jT3_P12ihipStream_tbPNSt15iterator_traitsISI_E10value_typeEPNSO_ISJ_E10value_typeEPSK_NS1_7vsmem_tEENKUlT_SI_SJ_SK_E_clISD_PiSD_S10_EESH_SX_SI_SJ_SK_EUlSX_E0_NS1_11comp_targetILNS1_3genE0ELNS1_11target_archE4294967295ELNS1_3gpuE0ELNS1_3repE0EEENS1_38merge_mergepath_config_static_selectorELNS0_4arch9wavefront6targetE1EEEvSJ_,@function
_ZN7rocprim17ROCPRIM_400000_NS6detail17trampoline_kernelINS0_14default_configENS1_38merge_sort_block_merge_config_selectorIiiEEZZNS1_27merge_sort_block_merge_implIS3_N6thrust23THRUST_200600_302600_NS6detail15normal_iteratorINS8_10device_ptrIiEEEESD_jNS1_19radix_merge_compareILb0ELb1EiNS0_19identity_decomposerEEEEE10hipError_tT0_T1_T2_jT3_P12ihipStream_tbPNSt15iterator_traitsISI_E10value_typeEPNSO_ISJ_E10value_typeEPSK_NS1_7vsmem_tEENKUlT_SI_SJ_SK_E_clISD_PiSD_S10_EESH_SX_SI_SJ_SK_EUlSX_E0_NS1_11comp_targetILNS1_3genE0ELNS1_11target_archE4294967295ELNS1_3gpuE0ELNS1_3repE0EEENS1_38merge_mergepath_config_static_selectorELNS0_4arch9wavefront6targetE1EEEvSJ_: ; @_ZN7rocprim17ROCPRIM_400000_NS6detail17trampoline_kernelINS0_14default_configENS1_38merge_sort_block_merge_config_selectorIiiEEZZNS1_27merge_sort_block_merge_implIS3_N6thrust23THRUST_200600_302600_NS6detail15normal_iteratorINS8_10device_ptrIiEEEESD_jNS1_19radix_merge_compareILb0ELb1EiNS0_19identity_decomposerEEEEE10hipError_tT0_T1_T2_jT3_P12ihipStream_tbPNSt15iterator_traitsISI_E10value_typeEPNSO_ISJ_E10value_typeEPSK_NS1_7vsmem_tEENKUlT_SI_SJ_SK_E_clISD_PiSD_S10_EESH_SX_SI_SJ_SK_EUlSX_E0_NS1_11comp_targetILNS1_3genE0ELNS1_11target_archE4294967295ELNS1_3gpuE0ELNS1_3repE0EEENS1_38merge_mergepath_config_static_selectorELNS0_4arch9wavefront6targetE1EEEvSJ_
; %bb.0:
	s_load_dwordx2 s[28:29], s[0:1], 0x40
	s_load_dwordx2 s[16:17], s[0:1], 0x30
	s_add_u32 s24, s0, 64
	s_addc_u32 s25, s1, 0
	s_waitcnt lgkmcnt(0)
	s_mul_i32 s4, s29, s4
	s_add_i32 s3, s4, s3
	s_mul_i32 s3, s3, s28
	s_add_i32 s26, s3, s2
	s_cmp_ge_u32 s26, s16
	s_cbranch_scc1 .LBB1376_46
; %bb.1:
	s_load_dwordx8 s[8:15], s[0:1], 0x10
	s_load_dwordx2 s[20:21], s[0:1], 0x8
	s_load_dwordx2 s[4:5], s[0:1], 0x38
	s_mov_b32 s27, 0
	s_mov_b32 s23, s27
	s_waitcnt lgkmcnt(0)
	s_lshr_b32 s30, s14, 10
	s_cmp_lg_u32 s26, s30
	s_cselect_b64 s[18:19], -1, 0
	s_lshl_b64 s[0:1], s[26:27], 2
	s_add_u32 s0, s4, s0
	s_addc_u32 s1, s5, s1
	s_load_dwordx2 s[4:5], s[0:1], 0x0
	s_lshr_b32 s0, s15, 9
	s_and_b32 s0, s0, 0x7ffffe
	s_sub_i32 s0, 0, s0
	s_and_b32 s1, s26, s0
	s_lshl_b32 s3, s1, 10
	s_lshl_b32 s16, s26, 10
	;; [unrolled: 1-line block ×3, first 2 shown]
	s_sub_i32 s6, s16, s3
	s_add_i32 s1, s1, s15
	s_add_i32 s6, s1, s6
	s_waitcnt lgkmcnt(0)
	s_sub_i32 s7, s6, s4
	s_sub_i32 s6, s6, s5
	;; [unrolled: 1-line block ×3, first 2 shown]
	s_min_u32 s22, s14, s7
	s_addk_i32 s6, 0x400
	s_or_b32 s0, s26, s0
	s_min_u32 s3, s14, s1
	s_add_i32 s1, s1, s15
	s_cmp_eq_u32 s0, -1
	s_cselect_b32 s0, s1, s6
	s_cselect_b32 s1, s3, s5
	s_mov_b32 s5, s27
	s_min_u32 s29, s0, s14
	s_sub_i32 s15, s1, s4
	s_lshl_b64 s[0:1], s[4:5], 2
	s_add_u32 s6, s20, s0
	s_addc_u32 s7, s21, s1
	s_lshl_b64 s[4:5], s[22:23], 2
	s_add_u32 s20, s20, s4
	s_addc_u32 s21, s21, s5
	s_cmp_lt_u32 s2, s28
	v_mov_b32_e32 v5, 0
	s_cselect_b32 s2, 12, 18
	global_load_dword v1, v5, s[24:25] offset:14
	s_add_u32 s2, s24, s2
	s_addc_u32 s3, s25, 0
	global_load_ushort v2, v5, s[2:3]
	s_cmp_eq_u32 s26, s30
	v_lshlrev_b32_e32 v10, 2, v0
	s_waitcnt vmcnt(1)
	v_lshrrev_b32_e32 v3, 16, v1
	v_and_b32_e32 v1, 0xffff, v1
	v_mul_lo_u32 v1, v1, v3
	s_waitcnt vmcnt(0)
	v_mul_lo_u32 v1, v1, v2
	v_add_u32_e32 v14, v1, v0
	v_add_u32_e32 v12, v14, v1
	s_cbranch_scc1 .LBB1376_3
; %bb.2:
	v_mov_b32_e32 v11, v5
	v_subrev_co_u32_e32 v4, vcc, s15, v0
	v_lshl_add_u64 v[2:3], s[6:7], 0, v[10:11]
	v_lshl_add_u64 v[6:7], v[4:5], 2, s[20:21]
	v_cndmask_b32_e32 v3, v7, v3, vcc
	v_cndmask_b32_e32 v2, v6, v2, vcc
	v_mov_b32_e32 v15, v5
	v_subrev_co_u32_e32 v4, vcc, s15, v14
	v_lshl_add_u64 v[6:7], v[14:15], 2, s[6:7]
	v_lshl_add_u64 v[8:9], v[4:5], 2, s[20:21]
	v_cndmask_b32_e32 v7, v9, v7, vcc
	v_cndmask_b32_e32 v6, v8, v6, vcc
	v_mov_b32_e32 v13, v5
	v_subrev_co_u32_e32 v4, vcc, s15, v12
	global_load_dword v2, v[2:3], off
	v_lshl_add_u64 v[8:9], v[4:5], 2, s[20:21]
	global_load_dword v3, v[6:7], off
	v_lshl_add_u64 v[6:7], v[12:13], 2, s[6:7]
	v_cndmask_b32_e32 v7, v9, v7, vcc
	v_cndmask_b32_e32 v6, v8, v6, vcc
	global_load_dword v4, v[6:7], off
	v_add_u32_e32 v6, v12, v1
	s_mov_b64 s[2:3], -1
	s_sub_i32 s24, s29, s22
	s_cbranch_execz .LBB1376_4
	s_branch .LBB1376_9
.LBB1376_3:
	s_mov_b64 s[2:3], 0
                                        ; implicit-def: $vgpr6
                                        ; implicit-def: $vgpr2_vgpr3_vgpr4_vgpr5
	s_sub_i32 s24, s29, s22
.LBB1376_4:
	s_add_i32 s22, s24, s15
	s_waitcnt vmcnt(2)
	v_mov_b32_e32 v2, 0
	v_cmp_gt_u32_e32 vcc, s22, v0
	s_waitcnt vmcnt(1)
	v_mov_b32_e32 v3, v2
	s_waitcnt vmcnt(0)
	v_mov_b32_e32 v4, v2
	v_mov_b32_e32 v5, v2
	s_and_saveexec_b64 s[2:3], vcc
	s_cbranch_execnz .LBB1376_47
; %bb.5:
	s_or_b64 exec, exec, s[2:3]
	v_cmp_gt_u32_e32 vcc, s22, v14
	s_and_saveexec_b64 s[2:3], vcc
	s_cbranch_execnz .LBB1376_48
.LBB1376_6:
	s_or_b64 exec, exec, s[2:3]
	v_cmp_gt_u32_e32 vcc, s22, v12
	s_and_saveexec_b64 s[2:3], vcc
	s_cbranch_execz .LBB1376_8
.LBB1376_7:
	v_mov_b32_e32 v13, 0
	v_subrev_co_u32_e32 v8, vcc, s15, v12
	v_mov_b32_e32 v9, v13
	v_lshl_add_u64 v[6:7], v[12:13], 2, s[6:7]
	v_lshl_add_u64 v[8:9], v[8:9], 2, s[20:21]
	v_cndmask_b32_e32 v7, v9, v7, vcc
	v_cndmask_b32_e32 v6, v8, v6, vcc
	global_load_dword v4, v[6:7], off
.LBB1376_8:
	s_or_b64 exec, exec, s[2:3]
	v_add_u32_e32 v6, v12, v1
	v_cmp_gt_u32_e64 s[2:3], s22, v6
.LBB1376_9:
	s_and_saveexec_b64 s[22:23], s[2:3]
	s_cbranch_execz .LBB1376_11
; %bb.10:
	v_mov_b32_e32 v9, 0
	v_mov_b32_e32 v7, v9
	v_subrev_co_u32_e32 v8, vcc, s15, v6
	v_lshl_add_u64 v[16:17], v[6:7], 2, s[6:7]
	v_lshl_add_u64 v[6:7], v[8:9], 2, s[20:21]
	v_cndmask_b32_e32 v7, v7, v17, vcc
	v_cndmask_b32_e32 v6, v6, v16, vcc
	global_load_dword v5, v[6:7], off
.LBB1376_11:
	s_or_b64 exec, exec, s[22:23]
	s_add_u32 s0, s10, s0
	s_addc_u32 s1, s11, s1
	s_add_u32 s2, s10, s4
	v_mov_b32_e32 v9, 0
	s_addc_u32 s3, s11, s5
	s_andn2_b64 vcc, exec, s[18:19]
	s_waitcnt vmcnt(0)
	ds_write2st64_b32 v10, v2, v3 offset1:4
	ds_write2st64_b32 v10, v4, v5 offset0:8 offset1:12
	s_cbranch_vccnz .LBB1376_13
; %bb.12:
	v_mov_b32_e32 v11, v9
	v_subrev_co_u32_e32 v8, vcc, s15, v0
	v_lshl_add_u64 v[6:7], s[0:1], 0, v[10:11]
	v_lshl_add_u64 v[16:17], v[8:9], 2, s[2:3]
	v_cndmask_b32_e32 v7, v17, v7, vcc
	v_cndmask_b32_e32 v6, v16, v6, vcc
	v_mov_b32_e32 v15, v9
	v_subrev_co_u32_e32 v8, vcc, s15, v14
	v_lshl_add_u64 v[16:17], v[14:15], 2, s[0:1]
	v_lshl_add_u64 v[18:19], v[8:9], 2, s[2:3]
	v_cndmask_b32_e32 v17, v19, v17, vcc
	v_cndmask_b32_e32 v16, v18, v16, vcc
	v_mov_b32_e32 v13, v9
	v_subrev_co_u32_e32 v8, vcc, s15, v12
	global_load_dword v6, v[6:7], off
	v_lshl_add_u64 v[18:19], v[8:9], 2, s[2:3]
	global_load_dword v7, v[16:17], off
	v_lshl_add_u64 v[16:17], v[12:13], 2, s[0:1]
	v_cndmask_b32_e32 v17, v19, v17, vcc
	v_cndmask_b32_e32 v16, v18, v16, vcc
	global_load_dword v8, v[16:17], off
	s_add_i32 s10, s24, s15
	v_add_u32_e32 v16, v12, v1
	s_mov_b64 s[4:5], -1
	v_mov_b32_e32 v11, s10
	s_cbranch_execz .LBB1376_14
	s_branch .LBB1376_19
.LBB1376_13:
	s_mov_b64 s[4:5], 0
                                        ; implicit-def: $vgpr16
                                        ; implicit-def: $vgpr6_vgpr7_vgpr8_vgpr9
                                        ; implicit-def: $vgpr11
.LBB1376_14:
	s_add_i32 s6, s24, s15
	s_waitcnt vmcnt(2)
	v_mov_b32_e32 v6, 0
	v_cmp_gt_u32_e32 vcc, s6, v0
	s_waitcnt vmcnt(1)
	v_mov_b32_e32 v7, v6
	s_waitcnt vmcnt(0)
	v_mov_b32_e32 v8, v6
	v_mov_b32_e32 v9, v6
	s_and_saveexec_b64 s[4:5], vcc
	s_cbranch_execnz .LBB1376_49
; %bb.15:
	s_or_b64 exec, exec, s[4:5]
	v_cmp_gt_u32_e32 vcc, s6, v14
	s_and_saveexec_b64 s[4:5], vcc
	s_cbranch_execnz .LBB1376_50
.LBB1376_16:
	s_or_b64 exec, exec, s[4:5]
	v_cmp_gt_u32_e32 vcc, s6, v12
	s_and_saveexec_b64 s[4:5], vcc
	s_cbranch_execz .LBB1376_18
.LBB1376_17:
	v_mov_b32_e32 v13, 0
	v_subrev_co_u32_e32 v16, vcc, s15, v12
	v_mov_b32_e32 v17, v13
	v_lshl_add_u64 v[14:15], v[12:13], 2, s[0:1]
	v_lshl_add_u64 v[16:17], v[16:17], 2, s[2:3]
	v_cndmask_b32_e32 v15, v17, v15, vcc
	v_cndmask_b32_e32 v14, v16, v14, vcc
	global_load_dword v8, v[14:15], off
.LBB1376_18:
	s_or_b64 exec, exec, s[4:5]
	v_add_u32_e32 v16, v12, v1
	v_cmp_gt_u32_e64 s[4:5], s6, v16
	v_mov_b32_e32 v11, s6
.LBB1376_19:
	s_and_saveexec_b64 s[6:7], s[4:5]
	s_cbranch_execz .LBB1376_21
; %bb.20:
	v_mov_b32_e32 v13, 0
	v_mov_b32_e32 v17, v13
	v_subrev_co_u32_e32 v12, vcc, s15, v16
	v_lshl_add_u64 v[14:15], v[16:17], 2, s[0:1]
	v_lshl_add_u64 v[12:13], v[12:13], 2, s[2:3]
	v_cndmask_b32_e32 v13, v13, v15, vcc
	v_cndmask_b32_e32 v12, v12, v14, vcc
	global_load_dword v9, v[12:13], off
.LBB1376_21:
	s_or_b64 exec, exec, s[6:7]
	v_min_u32_e32 v12, v11, v10
	v_sub_u32_e64 v1, v12, s24 clamp
	v_min_u32_e32 v13, s15, v12
	v_cmp_lt_u32_e32 vcc, v1, v13
	s_waitcnt lgkmcnt(0)
	s_barrier
	s_and_saveexec_b64 s[0:1], vcc
	s_cbranch_execz .LBB1376_25
; %bb.22:
	v_lshlrev_b32_e32 v14, 2, v12
	v_lshl_add_u32 v14, s15, 2, v14
	s_mov_b64 s[2:3], 0
.LBB1376_23:                            ; =>This Inner Loop Header: Depth=1
	v_add_u32_e32 v15, v13, v1
	v_lshrrev_b32_e32 v15, 1, v15
	v_not_b32_e32 v16, v15
	v_lshlrev_b32_e32 v17, 2, v15
	v_lshl_add_u32 v16, v16, 2, v14
	ds_read_b32 v17, v17
	ds_read_b32 v16, v16
	v_add_u32_e32 v18, 1, v15
	s_waitcnt lgkmcnt(1)
	v_and_b32_e32 v17, s17, v17
	s_waitcnt lgkmcnt(0)
	v_and_b32_e32 v16, s17, v16
	v_cmp_gt_i32_e32 vcc, v17, v16
	s_nop 1
	v_cndmask_b32_e32 v13, v13, v15, vcc
	v_cndmask_b32_e32 v1, v18, v1, vcc
	v_cmp_ge_u32_e32 vcc, v1, v13
	s_or_b64 s[2:3], vcc, s[2:3]
	s_andn2_b64 exec, exec, s[2:3]
	s_cbranch_execnz .LBB1376_23
; %bb.24:
	s_or_b64 exec, exec, s[2:3]
.LBB1376_25:
	s_or_b64 exec, exec, s[0:1]
	v_sub_u32_e32 v12, v12, v1
	v_add_u32_e32 v15, s15, v12
	v_cmp_ge_u32_e32 vcc, s15, v1
	v_cmp_le_u32_e64 s[0:1], v15, v11
	s_or_b64 s[0:1], vcc, s[0:1]
	v_mov_b32_e32 v16, 0
	v_mov_b32_e32 v14, 0
	;; [unrolled: 1-line block ×4, first 2 shown]
	s_and_saveexec_b64 s[10:11], s[0:1]
	s_cbranch_execz .LBB1376_31
; %bb.26:
	v_cmp_gt_u32_e32 vcc, s15, v1
                                        ; implicit-def: $vgpr2
	s_and_saveexec_b64 s[0:1], vcc
; %bb.27:
	v_lshlrev_b32_e32 v2, 2, v1
	ds_read_b32 v2, v2
; %bb.28:
	s_or_b64 exec, exec, s[0:1]
	v_cmp_ge_u32_e64 s[0:1], v15, v11
	v_cmp_lt_u32_e64 s[2:3], v15, v11
                                        ; implicit-def: $vgpr3
	s_and_saveexec_b64 s[4:5], s[2:3]
; %bb.29:
	v_lshlrev_b32_e32 v3, 2, v15
	ds_read_b32 v3, v3
; %bb.30:
	s_or_b64 exec, exec, s[4:5]
	s_waitcnt lgkmcnt(0)
	v_and_b32_e32 v4, s17, v3
	v_and_b32_e32 v5, s17, v2
	v_cmp_le_i32_e64 s[2:3], v5, v4
	s_and_b64 s[2:3], vcc, s[2:3]
	s_or_b64 vcc, s[0:1], s[2:3]
	v_mov_b32_e32 v4, s15
	v_cndmask_b32_e32 v12, v15, v1, vcc
	v_cndmask_b32_e32 v5, v11, v4, vcc
	v_add_u32_e32 v13, 1, v12
	v_add_u32_e32 v5, -1, v5
	v_min_u32_e32 v5, v13, v5
	v_lshlrev_b32_e32 v5, 2, v5
	ds_read_b32 v5, v5
	v_cndmask_b32_e32 v14, v13, v15, vcc
	v_cndmask_b32_e32 v1, v1, v13, vcc
	v_cmp_gt_u32_e64 s[2:3], s15, v1
	v_cmp_ge_u32_e64 s[0:1], v14, v11
	s_waitcnt lgkmcnt(0)
	v_cndmask_b32_e32 v16, v5, v3, vcc
	v_cndmask_b32_e32 v5, v2, v5, vcc
	v_and_b32_e32 v13, s17, v16
	v_and_b32_e32 v15, s17, v5
	v_cmp_le_i32_e64 s[4:5], v15, v13
	s_and_b64 s[2:3], s[2:3], s[4:5]
	s_or_b64 s[0:1], s[0:1], s[2:3]
	v_cndmask_b32_e64 v13, v14, v1, s[0:1]
	v_cndmask_b32_e64 v15, v11, v4, s[0:1]
	v_add_u32_e32 v17, 1, v13
	v_add_u32_e32 v15, -1, v15
	v_min_u32_e32 v15, v17, v15
	v_lshlrev_b32_e32 v15, 2, v15
	ds_read_b32 v15, v15
	v_cndmask_b32_e64 v19, v17, v14, s[0:1]
	v_cndmask_b32_e64 v1, v1, v17, s[0:1]
	v_cmp_gt_u32_e64 s[4:5], s15, v1
	v_cmp_ge_u32_e64 s[2:3], v19, v11
	s_waitcnt lgkmcnt(0)
	v_cndmask_b32_e64 v18, v15, v16, s[0:1]
	v_cndmask_b32_e64 v15, v5, v15, s[0:1]
	v_and_b32_e32 v14, s17, v18
	v_and_b32_e32 v17, s17, v15
	v_cmp_le_i32_e64 s[6:7], v17, v14
	s_and_b64 s[4:5], s[4:5], s[6:7]
	s_or_b64 s[2:3], s[2:3], s[4:5]
	v_cndmask_b32_e64 v14, v19, v1, s[2:3]
	v_cndmask_b32_e64 v4, v11, v4, s[2:3]
	v_add_u32_e32 v17, 1, v14
	v_add_u32_e32 v4, -1, v4
	v_min_u32_e32 v4, v17, v4
	v_lshlrev_b32_e32 v4, 2, v4
	ds_read_b32 v20, v4
	v_cndmask_b32_e32 v2, v3, v2, vcc
	v_cndmask_b32_e64 v3, v16, v5, s[0:1]
	v_cndmask_b32_e64 v4, v18, v15, s[2:3]
	;; [unrolled: 1-line block ×3, first 2 shown]
	s_waitcnt lgkmcnt(0)
	v_cndmask_b32_e64 v5, v20, v18, s[2:3]
	v_cndmask_b32_e64 v15, v15, v20, s[2:3]
	;; [unrolled: 1-line block ×3, first 2 shown]
	v_cmp_ge_u32_e32 vcc, v16, v11
	v_and_b32_e32 v11, s17, v5
	v_and_b32_e32 v17, s17, v15
	v_cmp_gt_u32_e64 s[0:1], s15, v1
	v_cmp_le_i32_e64 s[2:3], v17, v11
	s_and_b64 s[0:1], s[0:1], s[2:3]
	s_or_b64 vcc, vcc, s[0:1]
	v_cndmask_b32_e32 v16, v16, v1, vcc
	v_cndmask_b32_e32 v5, v5, v15, vcc
.LBB1376_31:
	s_or_b64 exec, exec, s[10:11]
	s_barrier
	s_waitcnt vmcnt(0)
	ds_write2st64_b32 v10, v6, v7 offset1:4
	ds_write2st64_b32 v10, v8, v9 offset0:8 offset1:12
	v_lshrrev_b32_e32 v11, 3, v0
	v_lshlrev_b32_e32 v9, 2, v10
	v_lshlrev_b32_e32 v1, 2, v12
	;; [unrolled: 1-line block ×5, first 2 shown]
	v_lshl_add_u32 v9, v11, 2, v9
	s_waitcnt lgkmcnt(0)
	s_barrier
	ds_read_b32 v1, v1
	ds_read_b32 v6, v6
	ds_read_b32 v7, v7
	ds_read_b32 v8, v8
	s_waitcnt lgkmcnt(0)
	s_barrier
	s_barrier
	ds_write2_b32 v9, v2, v3 offset1:1
	ds_write2_b32 v9, v4, v5 offset0:2 offset1:3
	v_and_b32_e32 v2, 28, v11
	v_or_b32_e32 v16, 0x100, v0
	v_add_u32_e32 v4, v2, v10
	v_lshrrev_b32_e32 v2, 3, v16
	v_and_b32_e32 v2, 60, v2
	v_or_b32_e32 v15, 0x200, v0
	s_mov_b32 s17, 0
	v_add_u32_e32 v5, v2, v10
	v_lshrrev_b32_e32 v2, 3, v15
	s_lshl_b64 s[4:5], s[16:17], 2
	v_and_b32_e32 v2, 0x5c, v2
	v_or_b32_e32 v14, 0x300, v0
	s_add_u32 s0, s8, s4
	v_add_u32_e32 v12, v2, v10
	v_lshrrev_b32_e32 v2, 3, v14
	s_addc_u32 s1, s9, s5
	v_and_b32_e32 v2, 0x7c, v2
	v_mov_b32_e32 v11, 0
	v_add_u32_e32 v13, v2, v10
	v_lshl_add_u64 v[2:3], s[0:1], 0, v[10:11]
	s_and_b64 vcc, exec, s[18:19]
	s_waitcnt lgkmcnt(0)
	s_cbranch_vccz .LBB1376_33
; %bb.32:
	s_barrier
	ds_read_b32 v11, v4
	ds_read_b32 v17, v5 offset:1024
	ds_read_b32 v18, v12 offset:2048
	ds_read_b32 v19, v13 offset:3072
	s_add_u32 s0, s12, s4
	s_addc_u32 s1, s13, s5
	s_waitcnt lgkmcnt(3)
	global_store_dword v[2:3], v11, off
	s_waitcnt lgkmcnt(2)
	global_store_dword v[2:3], v17, off offset:1024
	s_waitcnt lgkmcnt(1)
	global_store_dword v[2:3], v18, off offset:2048
	;; [unrolled: 2-line block ×3, first 2 shown]
	s_barrier
	ds_write2_b32 v9, v1, v6 offset1:1
	ds_write2_b32 v9, v7, v8 offset0:2 offset1:3
	s_waitcnt lgkmcnt(0)
	s_barrier
	ds_read_b32 v11, v4
	ds_read_b32 v18, v5 offset:1024
	ds_read_b32 v19, v12 offset:2048
	;; [unrolled: 1-line block ×3, first 2 shown]
	s_waitcnt lgkmcnt(3)
	global_store_dword v10, v11, s[0:1]
	s_waitcnt lgkmcnt(2)
	global_store_dword v10, v18, s[0:1] offset:1024
	s_waitcnt lgkmcnt(1)
	global_store_dword v10, v19, s[0:1] offset:2048
	s_mov_b64 s[6:7], -1
	s_cbranch_execz .LBB1376_34
	s_branch .LBB1376_44
.LBB1376_33:
	s_mov_b64 s[6:7], 0
                                        ; implicit-def: $vgpr17
.LBB1376_34:
	s_barrier
	s_waitcnt lgkmcnt(0)
	ds_read_b32 v18, v5 offset:1024
	ds_read_b32 v17, v12 offset:2048
	;; [unrolled: 1-line block ×3, first 2 shown]
	s_sub_i32 s8, s14, s16
	v_cmp_gt_u32_e32 vcc, s8, v0
	s_and_saveexec_b64 s[0:1], vcc
	s_cbranch_execnz .LBB1376_51
; %bb.35:
	s_or_b64 exec, exec, s[0:1]
	v_cmp_gt_u32_e64 s[0:1], s8, v16
	s_and_saveexec_b64 s[2:3], s[0:1]
	s_cbranch_execnz .LBB1376_52
.LBB1376_36:
	s_or_b64 exec, exec, s[2:3]
	v_cmp_gt_u32_e64 s[2:3], s8, v15
	s_and_saveexec_b64 s[6:7], s[2:3]
	s_cbranch_execnz .LBB1376_53
.LBB1376_37:
	s_or_b64 exec, exec, s[6:7]
	v_cmp_gt_u32_e64 s[6:7], s8, v14
	s_and_saveexec_b64 s[8:9], s[6:7]
	s_cbranch_execz .LBB1376_39
.LBB1376_38:
	s_waitcnt lgkmcnt(0)
	global_store_dword v[2:3], v11, off offset:3072
.LBB1376_39:
	s_or_b64 exec, exec, s[8:9]
	s_waitcnt lgkmcnt(0)
	s_barrier
	ds_write2_b32 v9, v1, v6 offset1:1
	ds_write2_b32 v9, v7, v8 offset0:2 offset1:3
	s_waitcnt lgkmcnt(0)
	s_barrier
	ds_read_b32 v3, v5 offset:1024
	ds_read_b32 v2, v12 offset:2048
	;; [unrolled: 1-line block ×3, first 2 shown]
	s_add_u32 s8, s12, s4
	s_addc_u32 s9, s13, s5
	v_mov_b32_e32 v11, 0
	v_lshl_add_u64 v[0:1], s[8:9], 0, v[10:11]
	s_and_saveexec_b64 s[8:9], vcc
	s_cbranch_execnz .LBB1376_54
; %bb.40:
	s_or_b64 exec, exec, s[8:9]
	s_and_saveexec_b64 s[8:9], s[0:1]
	s_cbranch_execnz .LBB1376_55
.LBB1376_41:
	s_or_b64 exec, exec, s[8:9]
	s_and_saveexec_b64 s[0:1], s[2:3]
	s_cbranch_execz .LBB1376_43
.LBB1376_42:
	s_waitcnt lgkmcnt(1)
	global_store_dword v[0:1], v2, off offset:2048
.LBB1376_43:
	s_or_b64 exec, exec, s[0:1]
.LBB1376_44:
	s_and_saveexec_b64 s[0:1], s[6:7]
	s_cbranch_execz .LBB1376_46
; %bb.45:
	s_add_u32 s0, s12, s4
	s_addc_u32 s1, s13, s5
	s_waitcnt lgkmcnt(0)
	global_store_dword v10, v17, s[0:1] offset:3072
.LBB1376_46:
	s_endpgm
.LBB1376_47:
	v_mov_b32_e32 v11, v2
	v_subrev_co_u32_e32 v6, vcc, s15, v0
	v_mov_b32_e32 v7, v2
	v_lshl_add_u64 v[4:5], s[6:7], 0, v[10:11]
	v_lshl_add_u64 v[6:7], v[6:7], 2, s[20:21]
	v_cndmask_b32_e32 v5, v7, v5, vcc
	v_cndmask_b32_e32 v4, v6, v4, vcc
	global_load_dword v4, v[4:5], off
	v_mov_b32_e32 v5, v2
	v_mov_b32_e32 v6, v2
	;; [unrolled: 1-line block ×3, first 2 shown]
	s_waitcnt vmcnt(0)
	v_mov_b64_e32 v[2:3], v[4:5]
	v_mov_b64_e32 v[4:5], v[6:7]
	s_or_b64 exec, exec, s[2:3]
	v_cmp_gt_u32_e32 vcc, s22, v14
	s_and_saveexec_b64 s[2:3], vcc
	s_cbranch_execz .LBB1376_6
.LBB1376_48:
	v_mov_b32_e32 v15, 0
	v_subrev_co_u32_e32 v8, vcc, s15, v14
	v_mov_b32_e32 v9, v15
	v_lshl_add_u64 v[6:7], v[14:15], 2, s[6:7]
	v_lshl_add_u64 v[8:9], v[8:9], 2, s[20:21]
	v_cndmask_b32_e32 v7, v9, v7, vcc
	v_cndmask_b32_e32 v6, v8, v6, vcc
	global_load_dword v3, v[6:7], off
	s_or_b64 exec, exec, s[2:3]
	v_cmp_gt_u32_e32 vcc, s22, v12
	s_and_saveexec_b64 s[2:3], vcc
	s_cbranch_execnz .LBB1376_7
	s_branch .LBB1376_8
.LBB1376_49:
	v_mov_b32_e32 v11, v6
	v_subrev_co_u32_e32 v16, vcc, s15, v0
	v_mov_b32_e32 v17, v6
	v_lshl_add_u64 v[8:9], s[0:1], 0, v[10:11]
	v_lshl_add_u64 v[16:17], v[16:17], 2, s[2:3]
	v_cndmask_b32_e32 v9, v17, v9, vcc
	v_cndmask_b32_e32 v8, v16, v8, vcc
	global_load_dword v16, v[8:9], off
	v_mov_b32_e32 v17, v6
	v_mov_b32_e32 v18, v6
	;; [unrolled: 1-line block ×3, first 2 shown]
	s_waitcnt vmcnt(0)
	v_mov_b64_e32 v[6:7], v[16:17]
	v_mov_b64_e32 v[8:9], v[18:19]
	s_or_b64 exec, exec, s[4:5]
	v_cmp_gt_u32_e32 vcc, s6, v14
	s_and_saveexec_b64 s[4:5], vcc
	s_cbranch_execz .LBB1376_16
.LBB1376_50:
	v_mov_b32_e32 v15, 0
	v_lshl_add_u64 v[16:17], v[14:15], 2, s[0:1]
	v_subrev_co_u32_e32 v14, vcc, s15, v14
	v_lshl_add_u64 v[14:15], v[14:15], 2, s[2:3]
	s_nop 0
	v_cndmask_b32_e32 v15, v15, v17, vcc
	v_cndmask_b32_e32 v14, v14, v16, vcc
	global_load_dword v7, v[14:15], off
	s_or_b64 exec, exec, s[4:5]
	v_cmp_gt_u32_e32 vcc, s6, v12
	s_and_saveexec_b64 s[4:5], vcc
	s_cbranch_execnz .LBB1376_17
	s_branch .LBB1376_18
.LBB1376_51:
	ds_read_b32 v0, v4
	s_waitcnt lgkmcnt(0)
	global_store_dword v[2:3], v0, off
	s_or_b64 exec, exec, s[0:1]
	v_cmp_gt_u32_e64 s[0:1], s8, v16
	s_and_saveexec_b64 s[2:3], s[0:1]
	s_cbranch_execz .LBB1376_36
.LBB1376_52:
	s_waitcnt lgkmcnt(2)
	global_store_dword v[2:3], v18, off offset:1024
	s_or_b64 exec, exec, s[2:3]
	v_cmp_gt_u32_e64 s[2:3], s8, v15
	s_and_saveexec_b64 s[6:7], s[2:3]
	s_cbranch_execz .LBB1376_37
.LBB1376_53:
	s_waitcnt lgkmcnt(1)
	global_store_dword v[2:3], v17, off offset:2048
	s_or_b64 exec, exec, s[6:7]
	v_cmp_gt_u32_e64 s[6:7], s8, v14
	s_and_saveexec_b64 s[8:9], s[6:7]
	s_cbranch_execnz .LBB1376_38
	s_branch .LBB1376_39
.LBB1376_54:
	ds_read_b32 v4, v4
	s_waitcnt lgkmcnt(0)
	global_store_dword v[0:1], v4, off
	s_or_b64 exec, exec, s[8:9]
	s_and_saveexec_b64 s[8:9], s[0:1]
	s_cbranch_execz .LBB1376_41
.LBB1376_55:
	s_waitcnt lgkmcnt(2)
	global_store_dword v[0:1], v3, off offset:1024
	s_or_b64 exec, exec, s[8:9]
	s_and_saveexec_b64 s[0:1], s[2:3]
	s_cbranch_execnz .LBB1376_42
	s_branch .LBB1376_43
	.section	.rodata,"a",@progbits
	.p2align	6, 0x0
	.amdhsa_kernel _ZN7rocprim17ROCPRIM_400000_NS6detail17trampoline_kernelINS0_14default_configENS1_38merge_sort_block_merge_config_selectorIiiEEZZNS1_27merge_sort_block_merge_implIS3_N6thrust23THRUST_200600_302600_NS6detail15normal_iteratorINS8_10device_ptrIiEEEESD_jNS1_19radix_merge_compareILb0ELb1EiNS0_19identity_decomposerEEEEE10hipError_tT0_T1_T2_jT3_P12ihipStream_tbPNSt15iterator_traitsISI_E10value_typeEPNSO_ISJ_E10value_typeEPSK_NS1_7vsmem_tEENKUlT_SI_SJ_SK_E_clISD_PiSD_S10_EESH_SX_SI_SJ_SK_EUlSX_E0_NS1_11comp_targetILNS1_3genE0ELNS1_11target_archE4294967295ELNS1_3gpuE0ELNS1_3repE0EEENS1_38merge_mergepath_config_static_selectorELNS0_4arch9wavefront6targetE1EEEvSJ_
		.amdhsa_group_segment_fixed_size 4224
		.amdhsa_private_segment_fixed_size 0
		.amdhsa_kernarg_size 320
		.amdhsa_user_sgpr_count 2
		.amdhsa_user_sgpr_dispatch_ptr 0
		.amdhsa_user_sgpr_queue_ptr 0
		.amdhsa_user_sgpr_kernarg_segment_ptr 1
		.amdhsa_user_sgpr_dispatch_id 0
		.amdhsa_user_sgpr_kernarg_preload_length 0
		.amdhsa_user_sgpr_kernarg_preload_offset 0
		.amdhsa_user_sgpr_private_segment_size 0
		.amdhsa_uses_dynamic_stack 0
		.amdhsa_enable_private_segment 0
		.amdhsa_system_sgpr_workgroup_id_x 1
		.amdhsa_system_sgpr_workgroup_id_y 1
		.amdhsa_system_sgpr_workgroup_id_z 1
		.amdhsa_system_sgpr_workgroup_info 0
		.amdhsa_system_vgpr_workitem_id 0
		.amdhsa_next_free_vgpr 21
		.amdhsa_next_free_sgpr 31
		.amdhsa_accum_offset 24
		.amdhsa_reserve_vcc 1
		.amdhsa_float_round_mode_32 0
		.amdhsa_float_round_mode_16_64 0
		.amdhsa_float_denorm_mode_32 3
		.amdhsa_float_denorm_mode_16_64 3
		.amdhsa_dx10_clamp 1
		.amdhsa_ieee_mode 1
		.amdhsa_fp16_overflow 0
		.amdhsa_tg_split 0
		.amdhsa_exception_fp_ieee_invalid_op 0
		.amdhsa_exception_fp_denorm_src 0
		.amdhsa_exception_fp_ieee_div_zero 0
		.amdhsa_exception_fp_ieee_overflow 0
		.amdhsa_exception_fp_ieee_underflow 0
		.amdhsa_exception_fp_ieee_inexact 0
		.amdhsa_exception_int_div_zero 0
	.end_amdhsa_kernel
	.section	.text._ZN7rocprim17ROCPRIM_400000_NS6detail17trampoline_kernelINS0_14default_configENS1_38merge_sort_block_merge_config_selectorIiiEEZZNS1_27merge_sort_block_merge_implIS3_N6thrust23THRUST_200600_302600_NS6detail15normal_iteratorINS8_10device_ptrIiEEEESD_jNS1_19radix_merge_compareILb0ELb1EiNS0_19identity_decomposerEEEEE10hipError_tT0_T1_T2_jT3_P12ihipStream_tbPNSt15iterator_traitsISI_E10value_typeEPNSO_ISJ_E10value_typeEPSK_NS1_7vsmem_tEENKUlT_SI_SJ_SK_E_clISD_PiSD_S10_EESH_SX_SI_SJ_SK_EUlSX_E0_NS1_11comp_targetILNS1_3genE0ELNS1_11target_archE4294967295ELNS1_3gpuE0ELNS1_3repE0EEENS1_38merge_mergepath_config_static_selectorELNS0_4arch9wavefront6targetE1EEEvSJ_,"axG",@progbits,_ZN7rocprim17ROCPRIM_400000_NS6detail17trampoline_kernelINS0_14default_configENS1_38merge_sort_block_merge_config_selectorIiiEEZZNS1_27merge_sort_block_merge_implIS3_N6thrust23THRUST_200600_302600_NS6detail15normal_iteratorINS8_10device_ptrIiEEEESD_jNS1_19radix_merge_compareILb0ELb1EiNS0_19identity_decomposerEEEEE10hipError_tT0_T1_T2_jT3_P12ihipStream_tbPNSt15iterator_traitsISI_E10value_typeEPNSO_ISJ_E10value_typeEPSK_NS1_7vsmem_tEENKUlT_SI_SJ_SK_E_clISD_PiSD_S10_EESH_SX_SI_SJ_SK_EUlSX_E0_NS1_11comp_targetILNS1_3genE0ELNS1_11target_archE4294967295ELNS1_3gpuE0ELNS1_3repE0EEENS1_38merge_mergepath_config_static_selectorELNS0_4arch9wavefront6targetE1EEEvSJ_,comdat
.Lfunc_end1376:
	.size	_ZN7rocprim17ROCPRIM_400000_NS6detail17trampoline_kernelINS0_14default_configENS1_38merge_sort_block_merge_config_selectorIiiEEZZNS1_27merge_sort_block_merge_implIS3_N6thrust23THRUST_200600_302600_NS6detail15normal_iteratorINS8_10device_ptrIiEEEESD_jNS1_19radix_merge_compareILb0ELb1EiNS0_19identity_decomposerEEEEE10hipError_tT0_T1_T2_jT3_P12ihipStream_tbPNSt15iterator_traitsISI_E10value_typeEPNSO_ISJ_E10value_typeEPSK_NS1_7vsmem_tEENKUlT_SI_SJ_SK_E_clISD_PiSD_S10_EESH_SX_SI_SJ_SK_EUlSX_E0_NS1_11comp_targetILNS1_3genE0ELNS1_11target_archE4294967295ELNS1_3gpuE0ELNS1_3repE0EEENS1_38merge_mergepath_config_static_selectorELNS0_4arch9wavefront6targetE1EEEvSJ_, .Lfunc_end1376-_ZN7rocprim17ROCPRIM_400000_NS6detail17trampoline_kernelINS0_14default_configENS1_38merge_sort_block_merge_config_selectorIiiEEZZNS1_27merge_sort_block_merge_implIS3_N6thrust23THRUST_200600_302600_NS6detail15normal_iteratorINS8_10device_ptrIiEEEESD_jNS1_19radix_merge_compareILb0ELb1EiNS0_19identity_decomposerEEEEE10hipError_tT0_T1_T2_jT3_P12ihipStream_tbPNSt15iterator_traitsISI_E10value_typeEPNSO_ISJ_E10value_typeEPSK_NS1_7vsmem_tEENKUlT_SI_SJ_SK_E_clISD_PiSD_S10_EESH_SX_SI_SJ_SK_EUlSX_E0_NS1_11comp_targetILNS1_3genE0ELNS1_11target_archE4294967295ELNS1_3gpuE0ELNS1_3repE0EEENS1_38merge_mergepath_config_static_selectorELNS0_4arch9wavefront6targetE1EEEvSJ_
                                        ; -- End function
	.set _ZN7rocprim17ROCPRIM_400000_NS6detail17trampoline_kernelINS0_14default_configENS1_38merge_sort_block_merge_config_selectorIiiEEZZNS1_27merge_sort_block_merge_implIS3_N6thrust23THRUST_200600_302600_NS6detail15normal_iteratorINS8_10device_ptrIiEEEESD_jNS1_19radix_merge_compareILb0ELb1EiNS0_19identity_decomposerEEEEE10hipError_tT0_T1_T2_jT3_P12ihipStream_tbPNSt15iterator_traitsISI_E10value_typeEPNSO_ISJ_E10value_typeEPSK_NS1_7vsmem_tEENKUlT_SI_SJ_SK_E_clISD_PiSD_S10_EESH_SX_SI_SJ_SK_EUlSX_E0_NS1_11comp_targetILNS1_3genE0ELNS1_11target_archE4294967295ELNS1_3gpuE0ELNS1_3repE0EEENS1_38merge_mergepath_config_static_selectorELNS0_4arch9wavefront6targetE1EEEvSJ_.num_vgpr, 21
	.set _ZN7rocprim17ROCPRIM_400000_NS6detail17trampoline_kernelINS0_14default_configENS1_38merge_sort_block_merge_config_selectorIiiEEZZNS1_27merge_sort_block_merge_implIS3_N6thrust23THRUST_200600_302600_NS6detail15normal_iteratorINS8_10device_ptrIiEEEESD_jNS1_19radix_merge_compareILb0ELb1EiNS0_19identity_decomposerEEEEE10hipError_tT0_T1_T2_jT3_P12ihipStream_tbPNSt15iterator_traitsISI_E10value_typeEPNSO_ISJ_E10value_typeEPSK_NS1_7vsmem_tEENKUlT_SI_SJ_SK_E_clISD_PiSD_S10_EESH_SX_SI_SJ_SK_EUlSX_E0_NS1_11comp_targetILNS1_3genE0ELNS1_11target_archE4294967295ELNS1_3gpuE0ELNS1_3repE0EEENS1_38merge_mergepath_config_static_selectorELNS0_4arch9wavefront6targetE1EEEvSJ_.num_agpr, 0
	.set _ZN7rocprim17ROCPRIM_400000_NS6detail17trampoline_kernelINS0_14default_configENS1_38merge_sort_block_merge_config_selectorIiiEEZZNS1_27merge_sort_block_merge_implIS3_N6thrust23THRUST_200600_302600_NS6detail15normal_iteratorINS8_10device_ptrIiEEEESD_jNS1_19radix_merge_compareILb0ELb1EiNS0_19identity_decomposerEEEEE10hipError_tT0_T1_T2_jT3_P12ihipStream_tbPNSt15iterator_traitsISI_E10value_typeEPNSO_ISJ_E10value_typeEPSK_NS1_7vsmem_tEENKUlT_SI_SJ_SK_E_clISD_PiSD_S10_EESH_SX_SI_SJ_SK_EUlSX_E0_NS1_11comp_targetILNS1_3genE0ELNS1_11target_archE4294967295ELNS1_3gpuE0ELNS1_3repE0EEENS1_38merge_mergepath_config_static_selectorELNS0_4arch9wavefront6targetE1EEEvSJ_.numbered_sgpr, 31
	.set _ZN7rocprim17ROCPRIM_400000_NS6detail17trampoline_kernelINS0_14default_configENS1_38merge_sort_block_merge_config_selectorIiiEEZZNS1_27merge_sort_block_merge_implIS3_N6thrust23THRUST_200600_302600_NS6detail15normal_iteratorINS8_10device_ptrIiEEEESD_jNS1_19radix_merge_compareILb0ELb1EiNS0_19identity_decomposerEEEEE10hipError_tT0_T1_T2_jT3_P12ihipStream_tbPNSt15iterator_traitsISI_E10value_typeEPNSO_ISJ_E10value_typeEPSK_NS1_7vsmem_tEENKUlT_SI_SJ_SK_E_clISD_PiSD_S10_EESH_SX_SI_SJ_SK_EUlSX_E0_NS1_11comp_targetILNS1_3genE0ELNS1_11target_archE4294967295ELNS1_3gpuE0ELNS1_3repE0EEENS1_38merge_mergepath_config_static_selectorELNS0_4arch9wavefront6targetE1EEEvSJ_.num_named_barrier, 0
	.set _ZN7rocprim17ROCPRIM_400000_NS6detail17trampoline_kernelINS0_14default_configENS1_38merge_sort_block_merge_config_selectorIiiEEZZNS1_27merge_sort_block_merge_implIS3_N6thrust23THRUST_200600_302600_NS6detail15normal_iteratorINS8_10device_ptrIiEEEESD_jNS1_19radix_merge_compareILb0ELb1EiNS0_19identity_decomposerEEEEE10hipError_tT0_T1_T2_jT3_P12ihipStream_tbPNSt15iterator_traitsISI_E10value_typeEPNSO_ISJ_E10value_typeEPSK_NS1_7vsmem_tEENKUlT_SI_SJ_SK_E_clISD_PiSD_S10_EESH_SX_SI_SJ_SK_EUlSX_E0_NS1_11comp_targetILNS1_3genE0ELNS1_11target_archE4294967295ELNS1_3gpuE0ELNS1_3repE0EEENS1_38merge_mergepath_config_static_selectorELNS0_4arch9wavefront6targetE1EEEvSJ_.private_seg_size, 0
	.set _ZN7rocprim17ROCPRIM_400000_NS6detail17trampoline_kernelINS0_14default_configENS1_38merge_sort_block_merge_config_selectorIiiEEZZNS1_27merge_sort_block_merge_implIS3_N6thrust23THRUST_200600_302600_NS6detail15normal_iteratorINS8_10device_ptrIiEEEESD_jNS1_19radix_merge_compareILb0ELb1EiNS0_19identity_decomposerEEEEE10hipError_tT0_T1_T2_jT3_P12ihipStream_tbPNSt15iterator_traitsISI_E10value_typeEPNSO_ISJ_E10value_typeEPSK_NS1_7vsmem_tEENKUlT_SI_SJ_SK_E_clISD_PiSD_S10_EESH_SX_SI_SJ_SK_EUlSX_E0_NS1_11comp_targetILNS1_3genE0ELNS1_11target_archE4294967295ELNS1_3gpuE0ELNS1_3repE0EEENS1_38merge_mergepath_config_static_selectorELNS0_4arch9wavefront6targetE1EEEvSJ_.uses_vcc, 1
	.set _ZN7rocprim17ROCPRIM_400000_NS6detail17trampoline_kernelINS0_14default_configENS1_38merge_sort_block_merge_config_selectorIiiEEZZNS1_27merge_sort_block_merge_implIS3_N6thrust23THRUST_200600_302600_NS6detail15normal_iteratorINS8_10device_ptrIiEEEESD_jNS1_19radix_merge_compareILb0ELb1EiNS0_19identity_decomposerEEEEE10hipError_tT0_T1_T2_jT3_P12ihipStream_tbPNSt15iterator_traitsISI_E10value_typeEPNSO_ISJ_E10value_typeEPSK_NS1_7vsmem_tEENKUlT_SI_SJ_SK_E_clISD_PiSD_S10_EESH_SX_SI_SJ_SK_EUlSX_E0_NS1_11comp_targetILNS1_3genE0ELNS1_11target_archE4294967295ELNS1_3gpuE0ELNS1_3repE0EEENS1_38merge_mergepath_config_static_selectorELNS0_4arch9wavefront6targetE1EEEvSJ_.uses_flat_scratch, 0
	.set _ZN7rocprim17ROCPRIM_400000_NS6detail17trampoline_kernelINS0_14default_configENS1_38merge_sort_block_merge_config_selectorIiiEEZZNS1_27merge_sort_block_merge_implIS3_N6thrust23THRUST_200600_302600_NS6detail15normal_iteratorINS8_10device_ptrIiEEEESD_jNS1_19radix_merge_compareILb0ELb1EiNS0_19identity_decomposerEEEEE10hipError_tT0_T1_T2_jT3_P12ihipStream_tbPNSt15iterator_traitsISI_E10value_typeEPNSO_ISJ_E10value_typeEPSK_NS1_7vsmem_tEENKUlT_SI_SJ_SK_E_clISD_PiSD_S10_EESH_SX_SI_SJ_SK_EUlSX_E0_NS1_11comp_targetILNS1_3genE0ELNS1_11target_archE4294967295ELNS1_3gpuE0ELNS1_3repE0EEENS1_38merge_mergepath_config_static_selectorELNS0_4arch9wavefront6targetE1EEEvSJ_.has_dyn_sized_stack, 0
	.set _ZN7rocprim17ROCPRIM_400000_NS6detail17trampoline_kernelINS0_14default_configENS1_38merge_sort_block_merge_config_selectorIiiEEZZNS1_27merge_sort_block_merge_implIS3_N6thrust23THRUST_200600_302600_NS6detail15normal_iteratorINS8_10device_ptrIiEEEESD_jNS1_19radix_merge_compareILb0ELb1EiNS0_19identity_decomposerEEEEE10hipError_tT0_T1_T2_jT3_P12ihipStream_tbPNSt15iterator_traitsISI_E10value_typeEPNSO_ISJ_E10value_typeEPSK_NS1_7vsmem_tEENKUlT_SI_SJ_SK_E_clISD_PiSD_S10_EESH_SX_SI_SJ_SK_EUlSX_E0_NS1_11comp_targetILNS1_3genE0ELNS1_11target_archE4294967295ELNS1_3gpuE0ELNS1_3repE0EEENS1_38merge_mergepath_config_static_selectorELNS0_4arch9wavefront6targetE1EEEvSJ_.has_recursion, 0
	.set _ZN7rocprim17ROCPRIM_400000_NS6detail17trampoline_kernelINS0_14default_configENS1_38merge_sort_block_merge_config_selectorIiiEEZZNS1_27merge_sort_block_merge_implIS3_N6thrust23THRUST_200600_302600_NS6detail15normal_iteratorINS8_10device_ptrIiEEEESD_jNS1_19radix_merge_compareILb0ELb1EiNS0_19identity_decomposerEEEEE10hipError_tT0_T1_T2_jT3_P12ihipStream_tbPNSt15iterator_traitsISI_E10value_typeEPNSO_ISJ_E10value_typeEPSK_NS1_7vsmem_tEENKUlT_SI_SJ_SK_E_clISD_PiSD_S10_EESH_SX_SI_SJ_SK_EUlSX_E0_NS1_11comp_targetILNS1_3genE0ELNS1_11target_archE4294967295ELNS1_3gpuE0ELNS1_3repE0EEENS1_38merge_mergepath_config_static_selectorELNS0_4arch9wavefront6targetE1EEEvSJ_.has_indirect_call, 0
	.section	.AMDGPU.csdata,"",@progbits
; Kernel info:
; codeLenInByte = 2904
; TotalNumSgprs: 37
; NumVgprs: 21
; NumAgprs: 0
; TotalNumVgprs: 21
; ScratchSize: 0
; MemoryBound: 0
; FloatMode: 240
; IeeeMode: 1
; LDSByteSize: 4224 bytes/workgroup (compile time only)
; SGPRBlocks: 4
; VGPRBlocks: 2
; NumSGPRsForWavesPerEU: 37
; NumVGPRsForWavesPerEU: 21
; AccumOffset: 24
; Occupancy: 8
; WaveLimiterHint : 1
; COMPUTE_PGM_RSRC2:SCRATCH_EN: 0
; COMPUTE_PGM_RSRC2:USER_SGPR: 2
; COMPUTE_PGM_RSRC2:TRAP_HANDLER: 0
; COMPUTE_PGM_RSRC2:TGID_X_EN: 1
; COMPUTE_PGM_RSRC2:TGID_Y_EN: 1
; COMPUTE_PGM_RSRC2:TGID_Z_EN: 1
; COMPUTE_PGM_RSRC2:TIDIG_COMP_CNT: 0
; COMPUTE_PGM_RSRC3_GFX90A:ACCUM_OFFSET: 5
; COMPUTE_PGM_RSRC3_GFX90A:TG_SPLIT: 0
	.section	.text._ZN7rocprim17ROCPRIM_400000_NS6detail17trampoline_kernelINS0_14default_configENS1_38merge_sort_block_merge_config_selectorIiiEEZZNS1_27merge_sort_block_merge_implIS3_N6thrust23THRUST_200600_302600_NS6detail15normal_iteratorINS8_10device_ptrIiEEEESD_jNS1_19radix_merge_compareILb0ELb1EiNS0_19identity_decomposerEEEEE10hipError_tT0_T1_T2_jT3_P12ihipStream_tbPNSt15iterator_traitsISI_E10value_typeEPNSO_ISJ_E10value_typeEPSK_NS1_7vsmem_tEENKUlT_SI_SJ_SK_E_clISD_PiSD_S10_EESH_SX_SI_SJ_SK_EUlSX_E0_NS1_11comp_targetILNS1_3genE10ELNS1_11target_archE1201ELNS1_3gpuE5ELNS1_3repE0EEENS1_38merge_mergepath_config_static_selectorELNS0_4arch9wavefront6targetE1EEEvSJ_,"axG",@progbits,_ZN7rocprim17ROCPRIM_400000_NS6detail17trampoline_kernelINS0_14default_configENS1_38merge_sort_block_merge_config_selectorIiiEEZZNS1_27merge_sort_block_merge_implIS3_N6thrust23THRUST_200600_302600_NS6detail15normal_iteratorINS8_10device_ptrIiEEEESD_jNS1_19radix_merge_compareILb0ELb1EiNS0_19identity_decomposerEEEEE10hipError_tT0_T1_T2_jT3_P12ihipStream_tbPNSt15iterator_traitsISI_E10value_typeEPNSO_ISJ_E10value_typeEPSK_NS1_7vsmem_tEENKUlT_SI_SJ_SK_E_clISD_PiSD_S10_EESH_SX_SI_SJ_SK_EUlSX_E0_NS1_11comp_targetILNS1_3genE10ELNS1_11target_archE1201ELNS1_3gpuE5ELNS1_3repE0EEENS1_38merge_mergepath_config_static_selectorELNS0_4arch9wavefront6targetE1EEEvSJ_,comdat
	.protected	_ZN7rocprim17ROCPRIM_400000_NS6detail17trampoline_kernelINS0_14default_configENS1_38merge_sort_block_merge_config_selectorIiiEEZZNS1_27merge_sort_block_merge_implIS3_N6thrust23THRUST_200600_302600_NS6detail15normal_iteratorINS8_10device_ptrIiEEEESD_jNS1_19radix_merge_compareILb0ELb1EiNS0_19identity_decomposerEEEEE10hipError_tT0_T1_T2_jT3_P12ihipStream_tbPNSt15iterator_traitsISI_E10value_typeEPNSO_ISJ_E10value_typeEPSK_NS1_7vsmem_tEENKUlT_SI_SJ_SK_E_clISD_PiSD_S10_EESH_SX_SI_SJ_SK_EUlSX_E0_NS1_11comp_targetILNS1_3genE10ELNS1_11target_archE1201ELNS1_3gpuE5ELNS1_3repE0EEENS1_38merge_mergepath_config_static_selectorELNS0_4arch9wavefront6targetE1EEEvSJ_ ; -- Begin function _ZN7rocprim17ROCPRIM_400000_NS6detail17trampoline_kernelINS0_14default_configENS1_38merge_sort_block_merge_config_selectorIiiEEZZNS1_27merge_sort_block_merge_implIS3_N6thrust23THRUST_200600_302600_NS6detail15normal_iteratorINS8_10device_ptrIiEEEESD_jNS1_19radix_merge_compareILb0ELb1EiNS0_19identity_decomposerEEEEE10hipError_tT0_T1_T2_jT3_P12ihipStream_tbPNSt15iterator_traitsISI_E10value_typeEPNSO_ISJ_E10value_typeEPSK_NS1_7vsmem_tEENKUlT_SI_SJ_SK_E_clISD_PiSD_S10_EESH_SX_SI_SJ_SK_EUlSX_E0_NS1_11comp_targetILNS1_3genE10ELNS1_11target_archE1201ELNS1_3gpuE5ELNS1_3repE0EEENS1_38merge_mergepath_config_static_selectorELNS0_4arch9wavefront6targetE1EEEvSJ_
	.globl	_ZN7rocprim17ROCPRIM_400000_NS6detail17trampoline_kernelINS0_14default_configENS1_38merge_sort_block_merge_config_selectorIiiEEZZNS1_27merge_sort_block_merge_implIS3_N6thrust23THRUST_200600_302600_NS6detail15normal_iteratorINS8_10device_ptrIiEEEESD_jNS1_19radix_merge_compareILb0ELb1EiNS0_19identity_decomposerEEEEE10hipError_tT0_T1_T2_jT3_P12ihipStream_tbPNSt15iterator_traitsISI_E10value_typeEPNSO_ISJ_E10value_typeEPSK_NS1_7vsmem_tEENKUlT_SI_SJ_SK_E_clISD_PiSD_S10_EESH_SX_SI_SJ_SK_EUlSX_E0_NS1_11comp_targetILNS1_3genE10ELNS1_11target_archE1201ELNS1_3gpuE5ELNS1_3repE0EEENS1_38merge_mergepath_config_static_selectorELNS0_4arch9wavefront6targetE1EEEvSJ_
	.p2align	8
	.type	_ZN7rocprim17ROCPRIM_400000_NS6detail17trampoline_kernelINS0_14default_configENS1_38merge_sort_block_merge_config_selectorIiiEEZZNS1_27merge_sort_block_merge_implIS3_N6thrust23THRUST_200600_302600_NS6detail15normal_iteratorINS8_10device_ptrIiEEEESD_jNS1_19radix_merge_compareILb0ELb1EiNS0_19identity_decomposerEEEEE10hipError_tT0_T1_T2_jT3_P12ihipStream_tbPNSt15iterator_traitsISI_E10value_typeEPNSO_ISJ_E10value_typeEPSK_NS1_7vsmem_tEENKUlT_SI_SJ_SK_E_clISD_PiSD_S10_EESH_SX_SI_SJ_SK_EUlSX_E0_NS1_11comp_targetILNS1_3genE10ELNS1_11target_archE1201ELNS1_3gpuE5ELNS1_3repE0EEENS1_38merge_mergepath_config_static_selectorELNS0_4arch9wavefront6targetE1EEEvSJ_,@function
_ZN7rocprim17ROCPRIM_400000_NS6detail17trampoline_kernelINS0_14default_configENS1_38merge_sort_block_merge_config_selectorIiiEEZZNS1_27merge_sort_block_merge_implIS3_N6thrust23THRUST_200600_302600_NS6detail15normal_iteratorINS8_10device_ptrIiEEEESD_jNS1_19radix_merge_compareILb0ELb1EiNS0_19identity_decomposerEEEEE10hipError_tT0_T1_T2_jT3_P12ihipStream_tbPNSt15iterator_traitsISI_E10value_typeEPNSO_ISJ_E10value_typeEPSK_NS1_7vsmem_tEENKUlT_SI_SJ_SK_E_clISD_PiSD_S10_EESH_SX_SI_SJ_SK_EUlSX_E0_NS1_11comp_targetILNS1_3genE10ELNS1_11target_archE1201ELNS1_3gpuE5ELNS1_3repE0EEENS1_38merge_mergepath_config_static_selectorELNS0_4arch9wavefront6targetE1EEEvSJ_: ; @_ZN7rocprim17ROCPRIM_400000_NS6detail17trampoline_kernelINS0_14default_configENS1_38merge_sort_block_merge_config_selectorIiiEEZZNS1_27merge_sort_block_merge_implIS3_N6thrust23THRUST_200600_302600_NS6detail15normal_iteratorINS8_10device_ptrIiEEEESD_jNS1_19radix_merge_compareILb0ELb1EiNS0_19identity_decomposerEEEEE10hipError_tT0_T1_T2_jT3_P12ihipStream_tbPNSt15iterator_traitsISI_E10value_typeEPNSO_ISJ_E10value_typeEPSK_NS1_7vsmem_tEENKUlT_SI_SJ_SK_E_clISD_PiSD_S10_EESH_SX_SI_SJ_SK_EUlSX_E0_NS1_11comp_targetILNS1_3genE10ELNS1_11target_archE1201ELNS1_3gpuE5ELNS1_3repE0EEENS1_38merge_mergepath_config_static_selectorELNS0_4arch9wavefront6targetE1EEEvSJ_
; %bb.0:
	.section	.rodata,"a",@progbits
	.p2align	6, 0x0
	.amdhsa_kernel _ZN7rocprim17ROCPRIM_400000_NS6detail17trampoline_kernelINS0_14default_configENS1_38merge_sort_block_merge_config_selectorIiiEEZZNS1_27merge_sort_block_merge_implIS3_N6thrust23THRUST_200600_302600_NS6detail15normal_iteratorINS8_10device_ptrIiEEEESD_jNS1_19radix_merge_compareILb0ELb1EiNS0_19identity_decomposerEEEEE10hipError_tT0_T1_T2_jT3_P12ihipStream_tbPNSt15iterator_traitsISI_E10value_typeEPNSO_ISJ_E10value_typeEPSK_NS1_7vsmem_tEENKUlT_SI_SJ_SK_E_clISD_PiSD_S10_EESH_SX_SI_SJ_SK_EUlSX_E0_NS1_11comp_targetILNS1_3genE10ELNS1_11target_archE1201ELNS1_3gpuE5ELNS1_3repE0EEENS1_38merge_mergepath_config_static_selectorELNS0_4arch9wavefront6targetE1EEEvSJ_
		.amdhsa_group_segment_fixed_size 0
		.amdhsa_private_segment_fixed_size 0
		.amdhsa_kernarg_size 64
		.amdhsa_user_sgpr_count 2
		.amdhsa_user_sgpr_dispatch_ptr 0
		.amdhsa_user_sgpr_queue_ptr 0
		.amdhsa_user_sgpr_kernarg_segment_ptr 1
		.amdhsa_user_sgpr_dispatch_id 0
		.amdhsa_user_sgpr_kernarg_preload_length 0
		.amdhsa_user_sgpr_kernarg_preload_offset 0
		.amdhsa_user_sgpr_private_segment_size 0
		.amdhsa_uses_dynamic_stack 0
		.amdhsa_enable_private_segment 0
		.amdhsa_system_sgpr_workgroup_id_x 1
		.amdhsa_system_sgpr_workgroup_id_y 0
		.amdhsa_system_sgpr_workgroup_id_z 0
		.amdhsa_system_sgpr_workgroup_info 0
		.amdhsa_system_vgpr_workitem_id 0
		.amdhsa_next_free_vgpr 1
		.amdhsa_next_free_sgpr 0
		.amdhsa_accum_offset 4
		.amdhsa_reserve_vcc 0
		.amdhsa_float_round_mode_32 0
		.amdhsa_float_round_mode_16_64 0
		.amdhsa_float_denorm_mode_32 3
		.amdhsa_float_denorm_mode_16_64 3
		.amdhsa_dx10_clamp 1
		.amdhsa_ieee_mode 1
		.amdhsa_fp16_overflow 0
		.amdhsa_tg_split 0
		.amdhsa_exception_fp_ieee_invalid_op 0
		.amdhsa_exception_fp_denorm_src 0
		.amdhsa_exception_fp_ieee_div_zero 0
		.amdhsa_exception_fp_ieee_overflow 0
		.amdhsa_exception_fp_ieee_underflow 0
		.amdhsa_exception_fp_ieee_inexact 0
		.amdhsa_exception_int_div_zero 0
	.end_amdhsa_kernel
	.section	.text._ZN7rocprim17ROCPRIM_400000_NS6detail17trampoline_kernelINS0_14default_configENS1_38merge_sort_block_merge_config_selectorIiiEEZZNS1_27merge_sort_block_merge_implIS3_N6thrust23THRUST_200600_302600_NS6detail15normal_iteratorINS8_10device_ptrIiEEEESD_jNS1_19radix_merge_compareILb0ELb1EiNS0_19identity_decomposerEEEEE10hipError_tT0_T1_T2_jT3_P12ihipStream_tbPNSt15iterator_traitsISI_E10value_typeEPNSO_ISJ_E10value_typeEPSK_NS1_7vsmem_tEENKUlT_SI_SJ_SK_E_clISD_PiSD_S10_EESH_SX_SI_SJ_SK_EUlSX_E0_NS1_11comp_targetILNS1_3genE10ELNS1_11target_archE1201ELNS1_3gpuE5ELNS1_3repE0EEENS1_38merge_mergepath_config_static_selectorELNS0_4arch9wavefront6targetE1EEEvSJ_,"axG",@progbits,_ZN7rocprim17ROCPRIM_400000_NS6detail17trampoline_kernelINS0_14default_configENS1_38merge_sort_block_merge_config_selectorIiiEEZZNS1_27merge_sort_block_merge_implIS3_N6thrust23THRUST_200600_302600_NS6detail15normal_iteratorINS8_10device_ptrIiEEEESD_jNS1_19radix_merge_compareILb0ELb1EiNS0_19identity_decomposerEEEEE10hipError_tT0_T1_T2_jT3_P12ihipStream_tbPNSt15iterator_traitsISI_E10value_typeEPNSO_ISJ_E10value_typeEPSK_NS1_7vsmem_tEENKUlT_SI_SJ_SK_E_clISD_PiSD_S10_EESH_SX_SI_SJ_SK_EUlSX_E0_NS1_11comp_targetILNS1_3genE10ELNS1_11target_archE1201ELNS1_3gpuE5ELNS1_3repE0EEENS1_38merge_mergepath_config_static_selectorELNS0_4arch9wavefront6targetE1EEEvSJ_,comdat
.Lfunc_end1377:
	.size	_ZN7rocprim17ROCPRIM_400000_NS6detail17trampoline_kernelINS0_14default_configENS1_38merge_sort_block_merge_config_selectorIiiEEZZNS1_27merge_sort_block_merge_implIS3_N6thrust23THRUST_200600_302600_NS6detail15normal_iteratorINS8_10device_ptrIiEEEESD_jNS1_19radix_merge_compareILb0ELb1EiNS0_19identity_decomposerEEEEE10hipError_tT0_T1_T2_jT3_P12ihipStream_tbPNSt15iterator_traitsISI_E10value_typeEPNSO_ISJ_E10value_typeEPSK_NS1_7vsmem_tEENKUlT_SI_SJ_SK_E_clISD_PiSD_S10_EESH_SX_SI_SJ_SK_EUlSX_E0_NS1_11comp_targetILNS1_3genE10ELNS1_11target_archE1201ELNS1_3gpuE5ELNS1_3repE0EEENS1_38merge_mergepath_config_static_selectorELNS0_4arch9wavefront6targetE1EEEvSJ_, .Lfunc_end1377-_ZN7rocprim17ROCPRIM_400000_NS6detail17trampoline_kernelINS0_14default_configENS1_38merge_sort_block_merge_config_selectorIiiEEZZNS1_27merge_sort_block_merge_implIS3_N6thrust23THRUST_200600_302600_NS6detail15normal_iteratorINS8_10device_ptrIiEEEESD_jNS1_19radix_merge_compareILb0ELb1EiNS0_19identity_decomposerEEEEE10hipError_tT0_T1_T2_jT3_P12ihipStream_tbPNSt15iterator_traitsISI_E10value_typeEPNSO_ISJ_E10value_typeEPSK_NS1_7vsmem_tEENKUlT_SI_SJ_SK_E_clISD_PiSD_S10_EESH_SX_SI_SJ_SK_EUlSX_E0_NS1_11comp_targetILNS1_3genE10ELNS1_11target_archE1201ELNS1_3gpuE5ELNS1_3repE0EEENS1_38merge_mergepath_config_static_selectorELNS0_4arch9wavefront6targetE1EEEvSJ_
                                        ; -- End function
	.set _ZN7rocprim17ROCPRIM_400000_NS6detail17trampoline_kernelINS0_14default_configENS1_38merge_sort_block_merge_config_selectorIiiEEZZNS1_27merge_sort_block_merge_implIS3_N6thrust23THRUST_200600_302600_NS6detail15normal_iteratorINS8_10device_ptrIiEEEESD_jNS1_19radix_merge_compareILb0ELb1EiNS0_19identity_decomposerEEEEE10hipError_tT0_T1_T2_jT3_P12ihipStream_tbPNSt15iterator_traitsISI_E10value_typeEPNSO_ISJ_E10value_typeEPSK_NS1_7vsmem_tEENKUlT_SI_SJ_SK_E_clISD_PiSD_S10_EESH_SX_SI_SJ_SK_EUlSX_E0_NS1_11comp_targetILNS1_3genE10ELNS1_11target_archE1201ELNS1_3gpuE5ELNS1_3repE0EEENS1_38merge_mergepath_config_static_selectorELNS0_4arch9wavefront6targetE1EEEvSJ_.num_vgpr, 0
	.set _ZN7rocprim17ROCPRIM_400000_NS6detail17trampoline_kernelINS0_14default_configENS1_38merge_sort_block_merge_config_selectorIiiEEZZNS1_27merge_sort_block_merge_implIS3_N6thrust23THRUST_200600_302600_NS6detail15normal_iteratorINS8_10device_ptrIiEEEESD_jNS1_19radix_merge_compareILb0ELb1EiNS0_19identity_decomposerEEEEE10hipError_tT0_T1_T2_jT3_P12ihipStream_tbPNSt15iterator_traitsISI_E10value_typeEPNSO_ISJ_E10value_typeEPSK_NS1_7vsmem_tEENKUlT_SI_SJ_SK_E_clISD_PiSD_S10_EESH_SX_SI_SJ_SK_EUlSX_E0_NS1_11comp_targetILNS1_3genE10ELNS1_11target_archE1201ELNS1_3gpuE5ELNS1_3repE0EEENS1_38merge_mergepath_config_static_selectorELNS0_4arch9wavefront6targetE1EEEvSJ_.num_agpr, 0
	.set _ZN7rocprim17ROCPRIM_400000_NS6detail17trampoline_kernelINS0_14default_configENS1_38merge_sort_block_merge_config_selectorIiiEEZZNS1_27merge_sort_block_merge_implIS3_N6thrust23THRUST_200600_302600_NS6detail15normal_iteratorINS8_10device_ptrIiEEEESD_jNS1_19radix_merge_compareILb0ELb1EiNS0_19identity_decomposerEEEEE10hipError_tT0_T1_T2_jT3_P12ihipStream_tbPNSt15iterator_traitsISI_E10value_typeEPNSO_ISJ_E10value_typeEPSK_NS1_7vsmem_tEENKUlT_SI_SJ_SK_E_clISD_PiSD_S10_EESH_SX_SI_SJ_SK_EUlSX_E0_NS1_11comp_targetILNS1_3genE10ELNS1_11target_archE1201ELNS1_3gpuE5ELNS1_3repE0EEENS1_38merge_mergepath_config_static_selectorELNS0_4arch9wavefront6targetE1EEEvSJ_.numbered_sgpr, 0
	.set _ZN7rocprim17ROCPRIM_400000_NS6detail17trampoline_kernelINS0_14default_configENS1_38merge_sort_block_merge_config_selectorIiiEEZZNS1_27merge_sort_block_merge_implIS3_N6thrust23THRUST_200600_302600_NS6detail15normal_iteratorINS8_10device_ptrIiEEEESD_jNS1_19radix_merge_compareILb0ELb1EiNS0_19identity_decomposerEEEEE10hipError_tT0_T1_T2_jT3_P12ihipStream_tbPNSt15iterator_traitsISI_E10value_typeEPNSO_ISJ_E10value_typeEPSK_NS1_7vsmem_tEENKUlT_SI_SJ_SK_E_clISD_PiSD_S10_EESH_SX_SI_SJ_SK_EUlSX_E0_NS1_11comp_targetILNS1_3genE10ELNS1_11target_archE1201ELNS1_3gpuE5ELNS1_3repE0EEENS1_38merge_mergepath_config_static_selectorELNS0_4arch9wavefront6targetE1EEEvSJ_.num_named_barrier, 0
	.set _ZN7rocprim17ROCPRIM_400000_NS6detail17trampoline_kernelINS0_14default_configENS1_38merge_sort_block_merge_config_selectorIiiEEZZNS1_27merge_sort_block_merge_implIS3_N6thrust23THRUST_200600_302600_NS6detail15normal_iteratorINS8_10device_ptrIiEEEESD_jNS1_19radix_merge_compareILb0ELb1EiNS0_19identity_decomposerEEEEE10hipError_tT0_T1_T2_jT3_P12ihipStream_tbPNSt15iterator_traitsISI_E10value_typeEPNSO_ISJ_E10value_typeEPSK_NS1_7vsmem_tEENKUlT_SI_SJ_SK_E_clISD_PiSD_S10_EESH_SX_SI_SJ_SK_EUlSX_E0_NS1_11comp_targetILNS1_3genE10ELNS1_11target_archE1201ELNS1_3gpuE5ELNS1_3repE0EEENS1_38merge_mergepath_config_static_selectorELNS0_4arch9wavefront6targetE1EEEvSJ_.private_seg_size, 0
	.set _ZN7rocprim17ROCPRIM_400000_NS6detail17trampoline_kernelINS0_14default_configENS1_38merge_sort_block_merge_config_selectorIiiEEZZNS1_27merge_sort_block_merge_implIS3_N6thrust23THRUST_200600_302600_NS6detail15normal_iteratorINS8_10device_ptrIiEEEESD_jNS1_19radix_merge_compareILb0ELb1EiNS0_19identity_decomposerEEEEE10hipError_tT0_T1_T2_jT3_P12ihipStream_tbPNSt15iterator_traitsISI_E10value_typeEPNSO_ISJ_E10value_typeEPSK_NS1_7vsmem_tEENKUlT_SI_SJ_SK_E_clISD_PiSD_S10_EESH_SX_SI_SJ_SK_EUlSX_E0_NS1_11comp_targetILNS1_3genE10ELNS1_11target_archE1201ELNS1_3gpuE5ELNS1_3repE0EEENS1_38merge_mergepath_config_static_selectorELNS0_4arch9wavefront6targetE1EEEvSJ_.uses_vcc, 0
	.set _ZN7rocprim17ROCPRIM_400000_NS6detail17trampoline_kernelINS0_14default_configENS1_38merge_sort_block_merge_config_selectorIiiEEZZNS1_27merge_sort_block_merge_implIS3_N6thrust23THRUST_200600_302600_NS6detail15normal_iteratorINS8_10device_ptrIiEEEESD_jNS1_19radix_merge_compareILb0ELb1EiNS0_19identity_decomposerEEEEE10hipError_tT0_T1_T2_jT3_P12ihipStream_tbPNSt15iterator_traitsISI_E10value_typeEPNSO_ISJ_E10value_typeEPSK_NS1_7vsmem_tEENKUlT_SI_SJ_SK_E_clISD_PiSD_S10_EESH_SX_SI_SJ_SK_EUlSX_E0_NS1_11comp_targetILNS1_3genE10ELNS1_11target_archE1201ELNS1_3gpuE5ELNS1_3repE0EEENS1_38merge_mergepath_config_static_selectorELNS0_4arch9wavefront6targetE1EEEvSJ_.uses_flat_scratch, 0
	.set _ZN7rocprim17ROCPRIM_400000_NS6detail17trampoline_kernelINS0_14default_configENS1_38merge_sort_block_merge_config_selectorIiiEEZZNS1_27merge_sort_block_merge_implIS3_N6thrust23THRUST_200600_302600_NS6detail15normal_iteratorINS8_10device_ptrIiEEEESD_jNS1_19radix_merge_compareILb0ELb1EiNS0_19identity_decomposerEEEEE10hipError_tT0_T1_T2_jT3_P12ihipStream_tbPNSt15iterator_traitsISI_E10value_typeEPNSO_ISJ_E10value_typeEPSK_NS1_7vsmem_tEENKUlT_SI_SJ_SK_E_clISD_PiSD_S10_EESH_SX_SI_SJ_SK_EUlSX_E0_NS1_11comp_targetILNS1_3genE10ELNS1_11target_archE1201ELNS1_3gpuE5ELNS1_3repE0EEENS1_38merge_mergepath_config_static_selectorELNS0_4arch9wavefront6targetE1EEEvSJ_.has_dyn_sized_stack, 0
	.set _ZN7rocprim17ROCPRIM_400000_NS6detail17trampoline_kernelINS0_14default_configENS1_38merge_sort_block_merge_config_selectorIiiEEZZNS1_27merge_sort_block_merge_implIS3_N6thrust23THRUST_200600_302600_NS6detail15normal_iteratorINS8_10device_ptrIiEEEESD_jNS1_19radix_merge_compareILb0ELb1EiNS0_19identity_decomposerEEEEE10hipError_tT0_T1_T2_jT3_P12ihipStream_tbPNSt15iterator_traitsISI_E10value_typeEPNSO_ISJ_E10value_typeEPSK_NS1_7vsmem_tEENKUlT_SI_SJ_SK_E_clISD_PiSD_S10_EESH_SX_SI_SJ_SK_EUlSX_E0_NS1_11comp_targetILNS1_3genE10ELNS1_11target_archE1201ELNS1_3gpuE5ELNS1_3repE0EEENS1_38merge_mergepath_config_static_selectorELNS0_4arch9wavefront6targetE1EEEvSJ_.has_recursion, 0
	.set _ZN7rocprim17ROCPRIM_400000_NS6detail17trampoline_kernelINS0_14default_configENS1_38merge_sort_block_merge_config_selectorIiiEEZZNS1_27merge_sort_block_merge_implIS3_N6thrust23THRUST_200600_302600_NS6detail15normal_iteratorINS8_10device_ptrIiEEEESD_jNS1_19radix_merge_compareILb0ELb1EiNS0_19identity_decomposerEEEEE10hipError_tT0_T1_T2_jT3_P12ihipStream_tbPNSt15iterator_traitsISI_E10value_typeEPNSO_ISJ_E10value_typeEPSK_NS1_7vsmem_tEENKUlT_SI_SJ_SK_E_clISD_PiSD_S10_EESH_SX_SI_SJ_SK_EUlSX_E0_NS1_11comp_targetILNS1_3genE10ELNS1_11target_archE1201ELNS1_3gpuE5ELNS1_3repE0EEENS1_38merge_mergepath_config_static_selectorELNS0_4arch9wavefront6targetE1EEEvSJ_.has_indirect_call, 0
	.section	.AMDGPU.csdata,"",@progbits
; Kernel info:
; codeLenInByte = 0
; TotalNumSgprs: 6
; NumVgprs: 0
; NumAgprs: 0
; TotalNumVgprs: 0
; ScratchSize: 0
; MemoryBound: 0
; FloatMode: 240
; IeeeMode: 1
; LDSByteSize: 0 bytes/workgroup (compile time only)
; SGPRBlocks: 0
; VGPRBlocks: 0
; NumSGPRsForWavesPerEU: 6
; NumVGPRsForWavesPerEU: 1
; AccumOffset: 4
; Occupancy: 8
; WaveLimiterHint : 0
; COMPUTE_PGM_RSRC2:SCRATCH_EN: 0
; COMPUTE_PGM_RSRC2:USER_SGPR: 2
; COMPUTE_PGM_RSRC2:TRAP_HANDLER: 0
; COMPUTE_PGM_RSRC2:TGID_X_EN: 1
; COMPUTE_PGM_RSRC2:TGID_Y_EN: 0
; COMPUTE_PGM_RSRC2:TGID_Z_EN: 0
; COMPUTE_PGM_RSRC2:TIDIG_COMP_CNT: 0
; COMPUTE_PGM_RSRC3_GFX90A:ACCUM_OFFSET: 0
; COMPUTE_PGM_RSRC3_GFX90A:TG_SPLIT: 0
	.section	.text._ZN7rocprim17ROCPRIM_400000_NS6detail17trampoline_kernelINS0_14default_configENS1_38merge_sort_block_merge_config_selectorIiiEEZZNS1_27merge_sort_block_merge_implIS3_N6thrust23THRUST_200600_302600_NS6detail15normal_iteratorINS8_10device_ptrIiEEEESD_jNS1_19radix_merge_compareILb0ELb1EiNS0_19identity_decomposerEEEEE10hipError_tT0_T1_T2_jT3_P12ihipStream_tbPNSt15iterator_traitsISI_E10value_typeEPNSO_ISJ_E10value_typeEPSK_NS1_7vsmem_tEENKUlT_SI_SJ_SK_E_clISD_PiSD_S10_EESH_SX_SI_SJ_SK_EUlSX_E0_NS1_11comp_targetILNS1_3genE5ELNS1_11target_archE942ELNS1_3gpuE9ELNS1_3repE0EEENS1_38merge_mergepath_config_static_selectorELNS0_4arch9wavefront6targetE1EEEvSJ_,"axG",@progbits,_ZN7rocprim17ROCPRIM_400000_NS6detail17trampoline_kernelINS0_14default_configENS1_38merge_sort_block_merge_config_selectorIiiEEZZNS1_27merge_sort_block_merge_implIS3_N6thrust23THRUST_200600_302600_NS6detail15normal_iteratorINS8_10device_ptrIiEEEESD_jNS1_19radix_merge_compareILb0ELb1EiNS0_19identity_decomposerEEEEE10hipError_tT0_T1_T2_jT3_P12ihipStream_tbPNSt15iterator_traitsISI_E10value_typeEPNSO_ISJ_E10value_typeEPSK_NS1_7vsmem_tEENKUlT_SI_SJ_SK_E_clISD_PiSD_S10_EESH_SX_SI_SJ_SK_EUlSX_E0_NS1_11comp_targetILNS1_3genE5ELNS1_11target_archE942ELNS1_3gpuE9ELNS1_3repE0EEENS1_38merge_mergepath_config_static_selectorELNS0_4arch9wavefront6targetE1EEEvSJ_,comdat
	.protected	_ZN7rocprim17ROCPRIM_400000_NS6detail17trampoline_kernelINS0_14default_configENS1_38merge_sort_block_merge_config_selectorIiiEEZZNS1_27merge_sort_block_merge_implIS3_N6thrust23THRUST_200600_302600_NS6detail15normal_iteratorINS8_10device_ptrIiEEEESD_jNS1_19radix_merge_compareILb0ELb1EiNS0_19identity_decomposerEEEEE10hipError_tT0_T1_T2_jT3_P12ihipStream_tbPNSt15iterator_traitsISI_E10value_typeEPNSO_ISJ_E10value_typeEPSK_NS1_7vsmem_tEENKUlT_SI_SJ_SK_E_clISD_PiSD_S10_EESH_SX_SI_SJ_SK_EUlSX_E0_NS1_11comp_targetILNS1_3genE5ELNS1_11target_archE942ELNS1_3gpuE9ELNS1_3repE0EEENS1_38merge_mergepath_config_static_selectorELNS0_4arch9wavefront6targetE1EEEvSJ_ ; -- Begin function _ZN7rocprim17ROCPRIM_400000_NS6detail17trampoline_kernelINS0_14default_configENS1_38merge_sort_block_merge_config_selectorIiiEEZZNS1_27merge_sort_block_merge_implIS3_N6thrust23THRUST_200600_302600_NS6detail15normal_iteratorINS8_10device_ptrIiEEEESD_jNS1_19radix_merge_compareILb0ELb1EiNS0_19identity_decomposerEEEEE10hipError_tT0_T1_T2_jT3_P12ihipStream_tbPNSt15iterator_traitsISI_E10value_typeEPNSO_ISJ_E10value_typeEPSK_NS1_7vsmem_tEENKUlT_SI_SJ_SK_E_clISD_PiSD_S10_EESH_SX_SI_SJ_SK_EUlSX_E0_NS1_11comp_targetILNS1_3genE5ELNS1_11target_archE942ELNS1_3gpuE9ELNS1_3repE0EEENS1_38merge_mergepath_config_static_selectorELNS0_4arch9wavefront6targetE1EEEvSJ_
	.globl	_ZN7rocprim17ROCPRIM_400000_NS6detail17trampoline_kernelINS0_14default_configENS1_38merge_sort_block_merge_config_selectorIiiEEZZNS1_27merge_sort_block_merge_implIS3_N6thrust23THRUST_200600_302600_NS6detail15normal_iteratorINS8_10device_ptrIiEEEESD_jNS1_19radix_merge_compareILb0ELb1EiNS0_19identity_decomposerEEEEE10hipError_tT0_T1_T2_jT3_P12ihipStream_tbPNSt15iterator_traitsISI_E10value_typeEPNSO_ISJ_E10value_typeEPSK_NS1_7vsmem_tEENKUlT_SI_SJ_SK_E_clISD_PiSD_S10_EESH_SX_SI_SJ_SK_EUlSX_E0_NS1_11comp_targetILNS1_3genE5ELNS1_11target_archE942ELNS1_3gpuE9ELNS1_3repE0EEENS1_38merge_mergepath_config_static_selectorELNS0_4arch9wavefront6targetE1EEEvSJ_
	.p2align	8
	.type	_ZN7rocprim17ROCPRIM_400000_NS6detail17trampoline_kernelINS0_14default_configENS1_38merge_sort_block_merge_config_selectorIiiEEZZNS1_27merge_sort_block_merge_implIS3_N6thrust23THRUST_200600_302600_NS6detail15normal_iteratorINS8_10device_ptrIiEEEESD_jNS1_19radix_merge_compareILb0ELb1EiNS0_19identity_decomposerEEEEE10hipError_tT0_T1_T2_jT3_P12ihipStream_tbPNSt15iterator_traitsISI_E10value_typeEPNSO_ISJ_E10value_typeEPSK_NS1_7vsmem_tEENKUlT_SI_SJ_SK_E_clISD_PiSD_S10_EESH_SX_SI_SJ_SK_EUlSX_E0_NS1_11comp_targetILNS1_3genE5ELNS1_11target_archE942ELNS1_3gpuE9ELNS1_3repE0EEENS1_38merge_mergepath_config_static_selectorELNS0_4arch9wavefront6targetE1EEEvSJ_,@function
_ZN7rocprim17ROCPRIM_400000_NS6detail17trampoline_kernelINS0_14default_configENS1_38merge_sort_block_merge_config_selectorIiiEEZZNS1_27merge_sort_block_merge_implIS3_N6thrust23THRUST_200600_302600_NS6detail15normal_iteratorINS8_10device_ptrIiEEEESD_jNS1_19radix_merge_compareILb0ELb1EiNS0_19identity_decomposerEEEEE10hipError_tT0_T1_T2_jT3_P12ihipStream_tbPNSt15iterator_traitsISI_E10value_typeEPNSO_ISJ_E10value_typeEPSK_NS1_7vsmem_tEENKUlT_SI_SJ_SK_E_clISD_PiSD_S10_EESH_SX_SI_SJ_SK_EUlSX_E0_NS1_11comp_targetILNS1_3genE5ELNS1_11target_archE942ELNS1_3gpuE9ELNS1_3repE0EEENS1_38merge_mergepath_config_static_selectorELNS0_4arch9wavefront6targetE1EEEvSJ_: ; @_ZN7rocprim17ROCPRIM_400000_NS6detail17trampoline_kernelINS0_14default_configENS1_38merge_sort_block_merge_config_selectorIiiEEZZNS1_27merge_sort_block_merge_implIS3_N6thrust23THRUST_200600_302600_NS6detail15normal_iteratorINS8_10device_ptrIiEEEESD_jNS1_19radix_merge_compareILb0ELb1EiNS0_19identity_decomposerEEEEE10hipError_tT0_T1_T2_jT3_P12ihipStream_tbPNSt15iterator_traitsISI_E10value_typeEPNSO_ISJ_E10value_typeEPSK_NS1_7vsmem_tEENKUlT_SI_SJ_SK_E_clISD_PiSD_S10_EESH_SX_SI_SJ_SK_EUlSX_E0_NS1_11comp_targetILNS1_3genE5ELNS1_11target_archE942ELNS1_3gpuE9ELNS1_3repE0EEENS1_38merge_mergepath_config_static_selectorELNS0_4arch9wavefront6targetE1EEEvSJ_
; %bb.0:
	.section	.rodata,"a",@progbits
	.p2align	6, 0x0
	.amdhsa_kernel _ZN7rocprim17ROCPRIM_400000_NS6detail17trampoline_kernelINS0_14default_configENS1_38merge_sort_block_merge_config_selectorIiiEEZZNS1_27merge_sort_block_merge_implIS3_N6thrust23THRUST_200600_302600_NS6detail15normal_iteratorINS8_10device_ptrIiEEEESD_jNS1_19radix_merge_compareILb0ELb1EiNS0_19identity_decomposerEEEEE10hipError_tT0_T1_T2_jT3_P12ihipStream_tbPNSt15iterator_traitsISI_E10value_typeEPNSO_ISJ_E10value_typeEPSK_NS1_7vsmem_tEENKUlT_SI_SJ_SK_E_clISD_PiSD_S10_EESH_SX_SI_SJ_SK_EUlSX_E0_NS1_11comp_targetILNS1_3genE5ELNS1_11target_archE942ELNS1_3gpuE9ELNS1_3repE0EEENS1_38merge_mergepath_config_static_selectorELNS0_4arch9wavefront6targetE1EEEvSJ_
		.amdhsa_group_segment_fixed_size 0
		.amdhsa_private_segment_fixed_size 0
		.amdhsa_kernarg_size 64
		.amdhsa_user_sgpr_count 2
		.amdhsa_user_sgpr_dispatch_ptr 0
		.amdhsa_user_sgpr_queue_ptr 0
		.amdhsa_user_sgpr_kernarg_segment_ptr 1
		.amdhsa_user_sgpr_dispatch_id 0
		.amdhsa_user_sgpr_kernarg_preload_length 0
		.amdhsa_user_sgpr_kernarg_preload_offset 0
		.amdhsa_user_sgpr_private_segment_size 0
		.amdhsa_uses_dynamic_stack 0
		.amdhsa_enable_private_segment 0
		.amdhsa_system_sgpr_workgroup_id_x 1
		.amdhsa_system_sgpr_workgroup_id_y 0
		.amdhsa_system_sgpr_workgroup_id_z 0
		.amdhsa_system_sgpr_workgroup_info 0
		.amdhsa_system_vgpr_workitem_id 0
		.amdhsa_next_free_vgpr 1
		.amdhsa_next_free_sgpr 0
		.amdhsa_accum_offset 4
		.amdhsa_reserve_vcc 0
		.amdhsa_float_round_mode_32 0
		.amdhsa_float_round_mode_16_64 0
		.amdhsa_float_denorm_mode_32 3
		.amdhsa_float_denorm_mode_16_64 3
		.amdhsa_dx10_clamp 1
		.amdhsa_ieee_mode 1
		.amdhsa_fp16_overflow 0
		.amdhsa_tg_split 0
		.amdhsa_exception_fp_ieee_invalid_op 0
		.amdhsa_exception_fp_denorm_src 0
		.amdhsa_exception_fp_ieee_div_zero 0
		.amdhsa_exception_fp_ieee_overflow 0
		.amdhsa_exception_fp_ieee_underflow 0
		.amdhsa_exception_fp_ieee_inexact 0
		.amdhsa_exception_int_div_zero 0
	.end_amdhsa_kernel
	.section	.text._ZN7rocprim17ROCPRIM_400000_NS6detail17trampoline_kernelINS0_14default_configENS1_38merge_sort_block_merge_config_selectorIiiEEZZNS1_27merge_sort_block_merge_implIS3_N6thrust23THRUST_200600_302600_NS6detail15normal_iteratorINS8_10device_ptrIiEEEESD_jNS1_19radix_merge_compareILb0ELb1EiNS0_19identity_decomposerEEEEE10hipError_tT0_T1_T2_jT3_P12ihipStream_tbPNSt15iterator_traitsISI_E10value_typeEPNSO_ISJ_E10value_typeEPSK_NS1_7vsmem_tEENKUlT_SI_SJ_SK_E_clISD_PiSD_S10_EESH_SX_SI_SJ_SK_EUlSX_E0_NS1_11comp_targetILNS1_3genE5ELNS1_11target_archE942ELNS1_3gpuE9ELNS1_3repE0EEENS1_38merge_mergepath_config_static_selectorELNS0_4arch9wavefront6targetE1EEEvSJ_,"axG",@progbits,_ZN7rocprim17ROCPRIM_400000_NS6detail17trampoline_kernelINS0_14default_configENS1_38merge_sort_block_merge_config_selectorIiiEEZZNS1_27merge_sort_block_merge_implIS3_N6thrust23THRUST_200600_302600_NS6detail15normal_iteratorINS8_10device_ptrIiEEEESD_jNS1_19radix_merge_compareILb0ELb1EiNS0_19identity_decomposerEEEEE10hipError_tT0_T1_T2_jT3_P12ihipStream_tbPNSt15iterator_traitsISI_E10value_typeEPNSO_ISJ_E10value_typeEPSK_NS1_7vsmem_tEENKUlT_SI_SJ_SK_E_clISD_PiSD_S10_EESH_SX_SI_SJ_SK_EUlSX_E0_NS1_11comp_targetILNS1_3genE5ELNS1_11target_archE942ELNS1_3gpuE9ELNS1_3repE0EEENS1_38merge_mergepath_config_static_selectorELNS0_4arch9wavefront6targetE1EEEvSJ_,comdat
.Lfunc_end1378:
	.size	_ZN7rocprim17ROCPRIM_400000_NS6detail17trampoline_kernelINS0_14default_configENS1_38merge_sort_block_merge_config_selectorIiiEEZZNS1_27merge_sort_block_merge_implIS3_N6thrust23THRUST_200600_302600_NS6detail15normal_iteratorINS8_10device_ptrIiEEEESD_jNS1_19radix_merge_compareILb0ELb1EiNS0_19identity_decomposerEEEEE10hipError_tT0_T1_T2_jT3_P12ihipStream_tbPNSt15iterator_traitsISI_E10value_typeEPNSO_ISJ_E10value_typeEPSK_NS1_7vsmem_tEENKUlT_SI_SJ_SK_E_clISD_PiSD_S10_EESH_SX_SI_SJ_SK_EUlSX_E0_NS1_11comp_targetILNS1_3genE5ELNS1_11target_archE942ELNS1_3gpuE9ELNS1_3repE0EEENS1_38merge_mergepath_config_static_selectorELNS0_4arch9wavefront6targetE1EEEvSJ_, .Lfunc_end1378-_ZN7rocprim17ROCPRIM_400000_NS6detail17trampoline_kernelINS0_14default_configENS1_38merge_sort_block_merge_config_selectorIiiEEZZNS1_27merge_sort_block_merge_implIS3_N6thrust23THRUST_200600_302600_NS6detail15normal_iteratorINS8_10device_ptrIiEEEESD_jNS1_19radix_merge_compareILb0ELb1EiNS0_19identity_decomposerEEEEE10hipError_tT0_T1_T2_jT3_P12ihipStream_tbPNSt15iterator_traitsISI_E10value_typeEPNSO_ISJ_E10value_typeEPSK_NS1_7vsmem_tEENKUlT_SI_SJ_SK_E_clISD_PiSD_S10_EESH_SX_SI_SJ_SK_EUlSX_E0_NS1_11comp_targetILNS1_3genE5ELNS1_11target_archE942ELNS1_3gpuE9ELNS1_3repE0EEENS1_38merge_mergepath_config_static_selectorELNS0_4arch9wavefront6targetE1EEEvSJ_
                                        ; -- End function
	.set _ZN7rocprim17ROCPRIM_400000_NS6detail17trampoline_kernelINS0_14default_configENS1_38merge_sort_block_merge_config_selectorIiiEEZZNS1_27merge_sort_block_merge_implIS3_N6thrust23THRUST_200600_302600_NS6detail15normal_iteratorINS8_10device_ptrIiEEEESD_jNS1_19radix_merge_compareILb0ELb1EiNS0_19identity_decomposerEEEEE10hipError_tT0_T1_T2_jT3_P12ihipStream_tbPNSt15iterator_traitsISI_E10value_typeEPNSO_ISJ_E10value_typeEPSK_NS1_7vsmem_tEENKUlT_SI_SJ_SK_E_clISD_PiSD_S10_EESH_SX_SI_SJ_SK_EUlSX_E0_NS1_11comp_targetILNS1_3genE5ELNS1_11target_archE942ELNS1_3gpuE9ELNS1_3repE0EEENS1_38merge_mergepath_config_static_selectorELNS0_4arch9wavefront6targetE1EEEvSJ_.num_vgpr, 0
	.set _ZN7rocprim17ROCPRIM_400000_NS6detail17trampoline_kernelINS0_14default_configENS1_38merge_sort_block_merge_config_selectorIiiEEZZNS1_27merge_sort_block_merge_implIS3_N6thrust23THRUST_200600_302600_NS6detail15normal_iteratorINS8_10device_ptrIiEEEESD_jNS1_19radix_merge_compareILb0ELb1EiNS0_19identity_decomposerEEEEE10hipError_tT0_T1_T2_jT3_P12ihipStream_tbPNSt15iterator_traitsISI_E10value_typeEPNSO_ISJ_E10value_typeEPSK_NS1_7vsmem_tEENKUlT_SI_SJ_SK_E_clISD_PiSD_S10_EESH_SX_SI_SJ_SK_EUlSX_E0_NS1_11comp_targetILNS1_3genE5ELNS1_11target_archE942ELNS1_3gpuE9ELNS1_3repE0EEENS1_38merge_mergepath_config_static_selectorELNS0_4arch9wavefront6targetE1EEEvSJ_.num_agpr, 0
	.set _ZN7rocprim17ROCPRIM_400000_NS6detail17trampoline_kernelINS0_14default_configENS1_38merge_sort_block_merge_config_selectorIiiEEZZNS1_27merge_sort_block_merge_implIS3_N6thrust23THRUST_200600_302600_NS6detail15normal_iteratorINS8_10device_ptrIiEEEESD_jNS1_19radix_merge_compareILb0ELb1EiNS0_19identity_decomposerEEEEE10hipError_tT0_T1_T2_jT3_P12ihipStream_tbPNSt15iterator_traitsISI_E10value_typeEPNSO_ISJ_E10value_typeEPSK_NS1_7vsmem_tEENKUlT_SI_SJ_SK_E_clISD_PiSD_S10_EESH_SX_SI_SJ_SK_EUlSX_E0_NS1_11comp_targetILNS1_3genE5ELNS1_11target_archE942ELNS1_3gpuE9ELNS1_3repE0EEENS1_38merge_mergepath_config_static_selectorELNS0_4arch9wavefront6targetE1EEEvSJ_.numbered_sgpr, 0
	.set _ZN7rocprim17ROCPRIM_400000_NS6detail17trampoline_kernelINS0_14default_configENS1_38merge_sort_block_merge_config_selectorIiiEEZZNS1_27merge_sort_block_merge_implIS3_N6thrust23THRUST_200600_302600_NS6detail15normal_iteratorINS8_10device_ptrIiEEEESD_jNS1_19radix_merge_compareILb0ELb1EiNS0_19identity_decomposerEEEEE10hipError_tT0_T1_T2_jT3_P12ihipStream_tbPNSt15iterator_traitsISI_E10value_typeEPNSO_ISJ_E10value_typeEPSK_NS1_7vsmem_tEENKUlT_SI_SJ_SK_E_clISD_PiSD_S10_EESH_SX_SI_SJ_SK_EUlSX_E0_NS1_11comp_targetILNS1_3genE5ELNS1_11target_archE942ELNS1_3gpuE9ELNS1_3repE0EEENS1_38merge_mergepath_config_static_selectorELNS0_4arch9wavefront6targetE1EEEvSJ_.num_named_barrier, 0
	.set _ZN7rocprim17ROCPRIM_400000_NS6detail17trampoline_kernelINS0_14default_configENS1_38merge_sort_block_merge_config_selectorIiiEEZZNS1_27merge_sort_block_merge_implIS3_N6thrust23THRUST_200600_302600_NS6detail15normal_iteratorINS8_10device_ptrIiEEEESD_jNS1_19radix_merge_compareILb0ELb1EiNS0_19identity_decomposerEEEEE10hipError_tT0_T1_T2_jT3_P12ihipStream_tbPNSt15iterator_traitsISI_E10value_typeEPNSO_ISJ_E10value_typeEPSK_NS1_7vsmem_tEENKUlT_SI_SJ_SK_E_clISD_PiSD_S10_EESH_SX_SI_SJ_SK_EUlSX_E0_NS1_11comp_targetILNS1_3genE5ELNS1_11target_archE942ELNS1_3gpuE9ELNS1_3repE0EEENS1_38merge_mergepath_config_static_selectorELNS0_4arch9wavefront6targetE1EEEvSJ_.private_seg_size, 0
	.set _ZN7rocprim17ROCPRIM_400000_NS6detail17trampoline_kernelINS0_14default_configENS1_38merge_sort_block_merge_config_selectorIiiEEZZNS1_27merge_sort_block_merge_implIS3_N6thrust23THRUST_200600_302600_NS6detail15normal_iteratorINS8_10device_ptrIiEEEESD_jNS1_19radix_merge_compareILb0ELb1EiNS0_19identity_decomposerEEEEE10hipError_tT0_T1_T2_jT3_P12ihipStream_tbPNSt15iterator_traitsISI_E10value_typeEPNSO_ISJ_E10value_typeEPSK_NS1_7vsmem_tEENKUlT_SI_SJ_SK_E_clISD_PiSD_S10_EESH_SX_SI_SJ_SK_EUlSX_E0_NS1_11comp_targetILNS1_3genE5ELNS1_11target_archE942ELNS1_3gpuE9ELNS1_3repE0EEENS1_38merge_mergepath_config_static_selectorELNS0_4arch9wavefront6targetE1EEEvSJ_.uses_vcc, 0
	.set _ZN7rocprim17ROCPRIM_400000_NS6detail17trampoline_kernelINS0_14default_configENS1_38merge_sort_block_merge_config_selectorIiiEEZZNS1_27merge_sort_block_merge_implIS3_N6thrust23THRUST_200600_302600_NS6detail15normal_iteratorINS8_10device_ptrIiEEEESD_jNS1_19radix_merge_compareILb0ELb1EiNS0_19identity_decomposerEEEEE10hipError_tT0_T1_T2_jT3_P12ihipStream_tbPNSt15iterator_traitsISI_E10value_typeEPNSO_ISJ_E10value_typeEPSK_NS1_7vsmem_tEENKUlT_SI_SJ_SK_E_clISD_PiSD_S10_EESH_SX_SI_SJ_SK_EUlSX_E0_NS1_11comp_targetILNS1_3genE5ELNS1_11target_archE942ELNS1_3gpuE9ELNS1_3repE0EEENS1_38merge_mergepath_config_static_selectorELNS0_4arch9wavefront6targetE1EEEvSJ_.uses_flat_scratch, 0
	.set _ZN7rocprim17ROCPRIM_400000_NS6detail17trampoline_kernelINS0_14default_configENS1_38merge_sort_block_merge_config_selectorIiiEEZZNS1_27merge_sort_block_merge_implIS3_N6thrust23THRUST_200600_302600_NS6detail15normal_iteratorINS8_10device_ptrIiEEEESD_jNS1_19radix_merge_compareILb0ELb1EiNS0_19identity_decomposerEEEEE10hipError_tT0_T1_T2_jT3_P12ihipStream_tbPNSt15iterator_traitsISI_E10value_typeEPNSO_ISJ_E10value_typeEPSK_NS1_7vsmem_tEENKUlT_SI_SJ_SK_E_clISD_PiSD_S10_EESH_SX_SI_SJ_SK_EUlSX_E0_NS1_11comp_targetILNS1_3genE5ELNS1_11target_archE942ELNS1_3gpuE9ELNS1_3repE0EEENS1_38merge_mergepath_config_static_selectorELNS0_4arch9wavefront6targetE1EEEvSJ_.has_dyn_sized_stack, 0
	.set _ZN7rocprim17ROCPRIM_400000_NS6detail17trampoline_kernelINS0_14default_configENS1_38merge_sort_block_merge_config_selectorIiiEEZZNS1_27merge_sort_block_merge_implIS3_N6thrust23THRUST_200600_302600_NS6detail15normal_iteratorINS8_10device_ptrIiEEEESD_jNS1_19radix_merge_compareILb0ELb1EiNS0_19identity_decomposerEEEEE10hipError_tT0_T1_T2_jT3_P12ihipStream_tbPNSt15iterator_traitsISI_E10value_typeEPNSO_ISJ_E10value_typeEPSK_NS1_7vsmem_tEENKUlT_SI_SJ_SK_E_clISD_PiSD_S10_EESH_SX_SI_SJ_SK_EUlSX_E0_NS1_11comp_targetILNS1_3genE5ELNS1_11target_archE942ELNS1_3gpuE9ELNS1_3repE0EEENS1_38merge_mergepath_config_static_selectorELNS0_4arch9wavefront6targetE1EEEvSJ_.has_recursion, 0
	.set _ZN7rocprim17ROCPRIM_400000_NS6detail17trampoline_kernelINS0_14default_configENS1_38merge_sort_block_merge_config_selectorIiiEEZZNS1_27merge_sort_block_merge_implIS3_N6thrust23THRUST_200600_302600_NS6detail15normal_iteratorINS8_10device_ptrIiEEEESD_jNS1_19radix_merge_compareILb0ELb1EiNS0_19identity_decomposerEEEEE10hipError_tT0_T1_T2_jT3_P12ihipStream_tbPNSt15iterator_traitsISI_E10value_typeEPNSO_ISJ_E10value_typeEPSK_NS1_7vsmem_tEENKUlT_SI_SJ_SK_E_clISD_PiSD_S10_EESH_SX_SI_SJ_SK_EUlSX_E0_NS1_11comp_targetILNS1_3genE5ELNS1_11target_archE942ELNS1_3gpuE9ELNS1_3repE0EEENS1_38merge_mergepath_config_static_selectorELNS0_4arch9wavefront6targetE1EEEvSJ_.has_indirect_call, 0
	.section	.AMDGPU.csdata,"",@progbits
; Kernel info:
; codeLenInByte = 0
; TotalNumSgprs: 6
; NumVgprs: 0
; NumAgprs: 0
; TotalNumVgprs: 0
; ScratchSize: 0
; MemoryBound: 0
; FloatMode: 240
; IeeeMode: 1
; LDSByteSize: 0 bytes/workgroup (compile time only)
; SGPRBlocks: 0
; VGPRBlocks: 0
; NumSGPRsForWavesPerEU: 6
; NumVGPRsForWavesPerEU: 1
; AccumOffset: 4
; Occupancy: 8
; WaveLimiterHint : 0
; COMPUTE_PGM_RSRC2:SCRATCH_EN: 0
; COMPUTE_PGM_RSRC2:USER_SGPR: 2
; COMPUTE_PGM_RSRC2:TRAP_HANDLER: 0
; COMPUTE_PGM_RSRC2:TGID_X_EN: 1
; COMPUTE_PGM_RSRC2:TGID_Y_EN: 0
; COMPUTE_PGM_RSRC2:TGID_Z_EN: 0
; COMPUTE_PGM_RSRC2:TIDIG_COMP_CNT: 0
; COMPUTE_PGM_RSRC3_GFX90A:ACCUM_OFFSET: 0
; COMPUTE_PGM_RSRC3_GFX90A:TG_SPLIT: 0
	.section	.text._ZN7rocprim17ROCPRIM_400000_NS6detail17trampoline_kernelINS0_14default_configENS1_38merge_sort_block_merge_config_selectorIiiEEZZNS1_27merge_sort_block_merge_implIS3_N6thrust23THRUST_200600_302600_NS6detail15normal_iteratorINS8_10device_ptrIiEEEESD_jNS1_19radix_merge_compareILb0ELb1EiNS0_19identity_decomposerEEEEE10hipError_tT0_T1_T2_jT3_P12ihipStream_tbPNSt15iterator_traitsISI_E10value_typeEPNSO_ISJ_E10value_typeEPSK_NS1_7vsmem_tEENKUlT_SI_SJ_SK_E_clISD_PiSD_S10_EESH_SX_SI_SJ_SK_EUlSX_E0_NS1_11comp_targetILNS1_3genE4ELNS1_11target_archE910ELNS1_3gpuE8ELNS1_3repE0EEENS1_38merge_mergepath_config_static_selectorELNS0_4arch9wavefront6targetE1EEEvSJ_,"axG",@progbits,_ZN7rocprim17ROCPRIM_400000_NS6detail17trampoline_kernelINS0_14default_configENS1_38merge_sort_block_merge_config_selectorIiiEEZZNS1_27merge_sort_block_merge_implIS3_N6thrust23THRUST_200600_302600_NS6detail15normal_iteratorINS8_10device_ptrIiEEEESD_jNS1_19radix_merge_compareILb0ELb1EiNS0_19identity_decomposerEEEEE10hipError_tT0_T1_T2_jT3_P12ihipStream_tbPNSt15iterator_traitsISI_E10value_typeEPNSO_ISJ_E10value_typeEPSK_NS1_7vsmem_tEENKUlT_SI_SJ_SK_E_clISD_PiSD_S10_EESH_SX_SI_SJ_SK_EUlSX_E0_NS1_11comp_targetILNS1_3genE4ELNS1_11target_archE910ELNS1_3gpuE8ELNS1_3repE0EEENS1_38merge_mergepath_config_static_selectorELNS0_4arch9wavefront6targetE1EEEvSJ_,comdat
	.protected	_ZN7rocprim17ROCPRIM_400000_NS6detail17trampoline_kernelINS0_14default_configENS1_38merge_sort_block_merge_config_selectorIiiEEZZNS1_27merge_sort_block_merge_implIS3_N6thrust23THRUST_200600_302600_NS6detail15normal_iteratorINS8_10device_ptrIiEEEESD_jNS1_19radix_merge_compareILb0ELb1EiNS0_19identity_decomposerEEEEE10hipError_tT0_T1_T2_jT3_P12ihipStream_tbPNSt15iterator_traitsISI_E10value_typeEPNSO_ISJ_E10value_typeEPSK_NS1_7vsmem_tEENKUlT_SI_SJ_SK_E_clISD_PiSD_S10_EESH_SX_SI_SJ_SK_EUlSX_E0_NS1_11comp_targetILNS1_3genE4ELNS1_11target_archE910ELNS1_3gpuE8ELNS1_3repE0EEENS1_38merge_mergepath_config_static_selectorELNS0_4arch9wavefront6targetE1EEEvSJ_ ; -- Begin function _ZN7rocprim17ROCPRIM_400000_NS6detail17trampoline_kernelINS0_14default_configENS1_38merge_sort_block_merge_config_selectorIiiEEZZNS1_27merge_sort_block_merge_implIS3_N6thrust23THRUST_200600_302600_NS6detail15normal_iteratorINS8_10device_ptrIiEEEESD_jNS1_19radix_merge_compareILb0ELb1EiNS0_19identity_decomposerEEEEE10hipError_tT0_T1_T2_jT3_P12ihipStream_tbPNSt15iterator_traitsISI_E10value_typeEPNSO_ISJ_E10value_typeEPSK_NS1_7vsmem_tEENKUlT_SI_SJ_SK_E_clISD_PiSD_S10_EESH_SX_SI_SJ_SK_EUlSX_E0_NS1_11comp_targetILNS1_3genE4ELNS1_11target_archE910ELNS1_3gpuE8ELNS1_3repE0EEENS1_38merge_mergepath_config_static_selectorELNS0_4arch9wavefront6targetE1EEEvSJ_
	.globl	_ZN7rocprim17ROCPRIM_400000_NS6detail17trampoline_kernelINS0_14default_configENS1_38merge_sort_block_merge_config_selectorIiiEEZZNS1_27merge_sort_block_merge_implIS3_N6thrust23THRUST_200600_302600_NS6detail15normal_iteratorINS8_10device_ptrIiEEEESD_jNS1_19radix_merge_compareILb0ELb1EiNS0_19identity_decomposerEEEEE10hipError_tT0_T1_T2_jT3_P12ihipStream_tbPNSt15iterator_traitsISI_E10value_typeEPNSO_ISJ_E10value_typeEPSK_NS1_7vsmem_tEENKUlT_SI_SJ_SK_E_clISD_PiSD_S10_EESH_SX_SI_SJ_SK_EUlSX_E0_NS1_11comp_targetILNS1_3genE4ELNS1_11target_archE910ELNS1_3gpuE8ELNS1_3repE0EEENS1_38merge_mergepath_config_static_selectorELNS0_4arch9wavefront6targetE1EEEvSJ_
	.p2align	8
	.type	_ZN7rocprim17ROCPRIM_400000_NS6detail17trampoline_kernelINS0_14default_configENS1_38merge_sort_block_merge_config_selectorIiiEEZZNS1_27merge_sort_block_merge_implIS3_N6thrust23THRUST_200600_302600_NS6detail15normal_iteratorINS8_10device_ptrIiEEEESD_jNS1_19radix_merge_compareILb0ELb1EiNS0_19identity_decomposerEEEEE10hipError_tT0_T1_T2_jT3_P12ihipStream_tbPNSt15iterator_traitsISI_E10value_typeEPNSO_ISJ_E10value_typeEPSK_NS1_7vsmem_tEENKUlT_SI_SJ_SK_E_clISD_PiSD_S10_EESH_SX_SI_SJ_SK_EUlSX_E0_NS1_11comp_targetILNS1_3genE4ELNS1_11target_archE910ELNS1_3gpuE8ELNS1_3repE0EEENS1_38merge_mergepath_config_static_selectorELNS0_4arch9wavefront6targetE1EEEvSJ_,@function
_ZN7rocprim17ROCPRIM_400000_NS6detail17trampoline_kernelINS0_14default_configENS1_38merge_sort_block_merge_config_selectorIiiEEZZNS1_27merge_sort_block_merge_implIS3_N6thrust23THRUST_200600_302600_NS6detail15normal_iteratorINS8_10device_ptrIiEEEESD_jNS1_19radix_merge_compareILb0ELb1EiNS0_19identity_decomposerEEEEE10hipError_tT0_T1_T2_jT3_P12ihipStream_tbPNSt15iterator_traitsISI_E10value_typeEPNSO_ISJ_E10value_typeEPSK_NS1_7vsmem_tEENKUlT_SI_SJ_SK_E_clISD_PiSD_S10_EESH_SX_SI_SJ_SK_EUlSX_E0_NS1_11comp_targetILNS1_3genE4ELNS1_11target_archE910ELNS1_3gpuE8ELNS1_3repE0EEENS1_38merge_mergepath_config_static_selectorELNS0_4arch9wavefront6targetE1EEEvSJ_: ; @_ZN7rocprim17ROCPRIM_400000_NS6detail17trampoline_kernelINS0_14default_configENS1_38merge_sort_block_merge_config_selectorIiiEEZZNS1_27merge_sort_block_merge_implIS3_N6thrust23THRUST_200600_302600_NS6detail15normal_iteratorINS8_10device_ptrIiEEEESD_jNS1_19radix_merge_compareILb0ELb1EiNS0_19identity_decomposerEEEEE10hipError_tT0_T1_T2_jT3_P12ihipStream_tbPNSt15iterator_traitsISI_E10value_typeEPNSO_ISJ_E10value_typeEPSK_NS1_7vsmem_tEENKUlT_SI_SJ_SK_E_clISD_PiSD_S10_EESH_SX_SI_SJ_SK_EUlSX_E0_NS1_11comp_targetILNS1_3genE4ELNS1_11target_archE910ELNS1_3gpuE8ELNS1_3repE0EEENS1_38merge_mergepath_config_static_selectorELNS0_4arch9wavefront6targetE1EEEvSJ_
; %bb.0:
	.section	.rodata,"a",@progbits
	.p2align	6, 0x0
	.amdhsa_kernel _ZN7rocprim17ROCPRIM_400000_NS6detail17trampoline_kernelINS0_14default_configENS1_38merge_sort_block_merge_config_selectorIiiEEZZNS1_27merge_sort_block_merge_implIS3_N6thrust23THRUST_200600_302600_NS6detail15normal_iteratorINS8_10device_ptrIiEEEESD_jNS1_19radix_merge_compareILb0ELb1EiNS0_19identity_decomposerEEEEE10hipError_tT0_T1_T2_jT3_P12ihipStream_tbPNSt15iterator_traitsISI_E10value_typeEPNSO_ISJ_E10value_typeEPSK_NS1_7vsmem_tEENKUlT_SI_SJ_SK_E_clISD_PiSD_S10_EESH_SX_SI_SJ_SK_EUlSX_E0_NS1_11comp_targetILNS1_3genE4ELNS1_11target_archE910ELNS1_3gpuE8ELNS1_3repE0EEENS1_38merge_mergepath_config_static_selectorELNS0_4arch9wavefront6targetE1EEEvSJ_
		.amdhsa_group_segment_fixed_size 0
		.amdhsa_private_segment_fixed_size 0
		.amdhsa_kernarg_size 64
		.amdhsa_user_sgpr_count 2
		.amdhsa_user_sgpr_dispatch_ptr 0
		.amdhsa_user_sgpr_queue_ptr 0
		.amdhsa_user_sgpr_kernarg_segment_ptr 1
		.amdhsa_user_sgpr_dispatch_id 0
		.amdhsa_user_sgpr_kernarg_preload_length 0
		.amdhsa_user_sgpr_kernarg_preload_offset 0
		.amdhsa_user_sgpr_private_segment_size 0
		.amdhsa_uses_dynamic_stack 0
		.amdhsa_enable_private_segment 0
		.amdhsa_system_sgpr_workgroup_id_x 1
		.amdhsa_system_sgpr_workgroup_id_y 0
		.amdhsa_system_sgpr_workgroup_id_z 0
		.amdhsa_system_sgpr_workgroup_info 0
		.amdhsa_system_vgpr_workitem_id 0
		.amdhsa_next_free_vgpr 1
		.amdhsa_next_free_sgpr 0
		.amdhsa_accum_offset 4
		.amdhsa_reserve_vcc 0
		.amdhsa_float_round_mode_32 0
		.amdhsa_float_round_mode_16_64 0
		.amdhsa_float_denorm_mode_32 3
		.amdhsa_float_denorm_mode_16_64 3
		.amdhsa_dx10_clamp 1
		.amdhsa_ieee_mode 1
		.amdhsa_fp16_overflow 0
		.amdhsa_tg_split 0
		.amdhsa_exception_fp_ieee_invalid_op 0
		.amdhsa_exception_fp_denorm_src 0
		.amdhsa_exception_fp_ieee_div_zero 0
		.amdhsa_exception_fp_ieee_overflow 0
		.amdhsa_exception_fp_ieee_underflow 0
		.amdhsa_exception_fp_ieee_inexact 0
		.amdhsa_exception_int_div_zero 0
	.end_amdhsa_kernel
	.section	.text._ZN7rocprim17ROCPRIM_400000_NS6detail17trampoline_kernelINS0_14default_configENS1_38merge_sort_block_merge_config_selectorIiiEEZZNS1_27merge_sort_block_merge_implIS3_N6thrust23THRUST_200600_302600_NS6detail15normal_iteratorINS8_10device_ptrIiEEEESD_jNS1_19radix_merge_compareILb0ELb1EiNS0_19identity_decomposerEEEEE10hipError_tT0_T1_T2_jT3_P12ihipStream_tbPNSt15iterator_traitsISI_E10value_typeEPNSO_ISJ_E10value_typeEPSK_NS1_7vsmem_tEENKUlT_SI_SJ_SK_E_clISD_PiSD_S10_EESH_SX_SI_SJ_SK_EUlSX_E0_NS1_11comp_targetILNS1_3genE4ELNS1_11target_archE910ELNS1_3gpuE8ELNS1_3repE0EEENS1_38merge_mergepath_config_static_selectorELNS0_4arch9wavefront6targetE1EEEvSJ_,"axG",@progbits,_ZN7rocprim17ROCPRIM_400000_NS6detail17trampoline_kernelINS0_14default_configENS1_38merge_sort_block_merge_config_selectorIiiEEZZNS1_27merge_sort_block_merge_implIS3_N6thrust23THRUST_200600_302600_NS6detail15normal_iteratorINS8_10device_ptrIiEEEESD_jNS1_19radix_merge_compareILb0ELb1EiNS0_19identity_decomposerEEEEE10hipError_tT0_T1_T2_jT3_P12ihipStream_tbPNSt15iterator_traitsISI_E10value_typeEPNSO_ISJ_E10value_typeEPSK_NS1_7vsmem_tEENKUlT_SI_SJ_SK_E_clISD_PiSD_S10_EESH_SX_SI_SJ_SK_EUlSX_E0_NS1_11comp_targetILNS1_3genE4ELNS1_11target_archE910ELNS1_3gpuE8ELNS1_3repE0EEENS1_38merge_mergepath_config_static_selectorELNS0_4arch9wavefront6targetE1EEEvSJ_,comdat
.Lfunc_end1379:
	.size	_ZN7rocprim17ROCPRIM_400000_NS6detail17trampoline_kernelINS0_14default_configENS1_38merge_sort_block_merge_config_selectorIiiEEZZNS1_27merge_sort_block_merge_implIS3_N6thrust23THRUST_200600_302600_NS6detail15normal_iteratorINS8_10device_ptrIiEEEESD_jNS1_19radix_merge_compareILb0ELb1EiNS0_19identity_decomposerEEEEE10hipError_tT0_T1_T2_jT3_P12ihipStream_tbPNSt15iterator_traitsISI_E10value_typeEPNSO_ISJ_E10value_typeEPSK_NS1_7vsmem_tEENKUlT_SI_SJ_SK_E_clISD_PiSD_S10_EESH_SX_SI_SJ_SK_EUlSX_E0_NS1_11comp_targetILNS1_3genE4ELNS1_11target_archE910ELNS1_3gpuE8ELNS1_3repE0EEENS1_38merge_mergepath_config_static_selectorELNS0_4arch9wavefront6targetE1EEEvSJ_, .Lfunc_end1379-_ZN7rocprim17ROCPRIM_400000_NS6detail17trampoline_kernelINS0_14default_configENS1_38merge_sort_block_merge_config_selectorIiiEEZZNS1_27merge_sort_block_merge_implIS3_N6thrust23THRUST_200600_302600_NS6detail15normal_iteratorINS8_10device_ptrIiEEEESD_jNS1_19radix_merge_compareILb0ELb1EiNS0_19identity_decomposerEEEEE10hipError_tT0_T1_T2_jT3_P12ihipStream_tbPNSt15iterator_traitsISI_E10value_typeEPNSO_ISJ_E10value_typeEPSK_NS1_7vsmem_tEENKUlT_SI_SJ_SK_E_clISD_PiSD_S10_EESH_SX_SI_SJ_SK_EUlSX_E0_NS1_11comp_targetILNS1_3genE4ELNS1_11target_archE910ELNS1_3gpuE8ELNS1_3repE0EEENS1_38merge_mergepath_config_static_selectorELNS0_4arch9wavefront6targetE1EEEvSJ_
                                        ; -- End function
	.set _ZN7rocprim17ROCPRIM_400000_NS6detail17trampoline_kernelINS0_14default_configENS1_38merge_sort_block_merge_config_selectorIiiEEZZNS1_27merge_sort_block_merge_implIS3_N6thrust23THRUST_200600_302600_NS6detail15normal_iteratorINS8_10device_ptrIiEEEESD_jNS1_19radix_merge_compareILb0ELb1EiNS0_19identity_decomposerEEEEE10hipError_tT0_T1_T2_jT3_P12ihipStream_tbPNSt15iterator_traitsISI_E10value_typeEPNSO_ISJ_E10value_typeEPSK_NS1_7vsmem_tEENKUlT_SI_SJ_SK_E_clISD_PiSD_S10_EESH_SX_SI_SJ_SK_EUlSX_E0_NS1_11comp_targetILNS1_3genE4ELNS1_11target_archE910ELNS1_3gpuE8ELNS1_3repE0EEENS1_38merge_mergepath_config_static_selectorELNS0_4arch9wavefront6targetE1EEEvSJ_.num_vgpr, 0
	.set _ZN7rocprim17ROCPRIM_400000_NS6detail17trampoline_kernelINS0_14default_configENS1_38merge_sort_block_merge_config_selectorIiiEEZZNS1_27merge_sort_block_merge_implIS3_N6thrust23THRUST_200600_302600_NS6detail15normal_iteratorINS8_10device_ptrIiEEEESD_jNS1_19radix_merge_compareILb0ELb1EiNS0_19identity_decomposerEEEEE10hipError_tT0_T1_T2_jT3_P12ihipStream_tbPNSt15iterator_traitsISI_E10value_typeEPNSO_ISJ_E10value_typeEPSK_NS1_7vsmem_tEENKUlT_SI_SJ_SK_E_clISD_PiSD_S10_EESH_SX_SI_SJ_SK_EUlSX_E0_NS1_11comp_targetILNS1_3genE4ELNS1_11target_archE910ELNS1_3gpuE8ELNS1_3repE0EEENS1_38merge_mergepath_config_static_selectorELNS0_4arch9wavefront6targetE1EEEvSJ_.num_agpr, 0
	.set _ZN7rocprim17ROCPRIM_400000_NS6detail17trampoline_kernelINS0_14default_configENS1_38merge_sort_block_merge_config_selectorIiiEEZZNS1_27merge_sort_block_merge_implIS3_N6thrust23THRUST_200600_302600_NS6detail15normal_iteratorINS8_10device_ptrIiEEEESD_jNS1_19radix_merge_compareILb0ELb1EiNS0_19identity_decomposerEEEEE10hipError_tT0_T1_T2_jT3_P12ihipStream_tbPNSt15iterator_traitsISI_E10value_typeEPNSO_ISJ_E10value_typeEPSK_NS1_7vsmem_tEENKUlT_SI_SJ_SK_E_clISD_PiSD_S10_EESH_SX_SI_SJ_SK_EUlSX_E0_NS1_11comp_targetILNS1_3genE4ELNS1_11target_archE910ELNS1_3gpuE8ELNS1_3repE0EEENS1_38merge_mergepath_config_static_selectorELNS0_4arch9wavefront6targetE1EEEvSJ_.numbered_sgpr, 0
	.set _ZN7rocprim17ROCPRIM_400000_NS6detail17trampoline_kernelINS0_14default_configENS1_38merge_sort_block_merge_config_selectorIiiEEZZNS1_27merge_sort_block_merge_implIS3_N6thrust23THRUST_200600_302600_NS6detail15normal_iteratorINS8_10device_ptrIiEEEESD_jNS1_19radix_merge_compareILb0ELb1EiNS0_19identity_decomposerEEEEE10hipError_tT0_T1_T2_jT3_P12ihipStream_tbPNSt15iterator_traitsISI_E10value_typeEPNSO_ISJ_E10value_typeEPSK_NS1_7vsmem_tEENKUlT_SI_SJ_SK_E_clISD_PiSD_S10_EESH_SX_SI_SJ_SK_EUlSX_E0_NS1_11comp_targetILNS1_3genE4ELNS1_11target_archE910ELNS1_3gpuE8ELNS1_3repE0EEENS1_38merge_mergepath_config_static_selectorELNS0_4arch9wavefront6targetE1EEEvSJ_.num_named_barrier, 0
	.set _ZN7rocprim17ROCPRIM_400000_NS6detail17trampoline_kernelINS0_14default_configENS1_38merge_sort_block_merge_config_selectorIiiEEZZNS1_27merge_sort_block_merge_implIS3_N6thrust23THRUST_200600_302600_NS6detail15normal_iteratorINS8_10device_ptrIiEEEESD_jNS1_19radix_merge_compareILb0ELb1EiNS0_19identity_decomposerEEEEE10hipError_tT0_T1_T2_jT3_P12ihipStream_tbPNSt15iterator_traitsISI_E10value_typeEPNSO_ISJ_E10value_typeEPSK_NS1_7vsmem_tEENKUlT_SI_SJ_SK_E_clISD_PiSD_S10_EESH_SX_SI_SJ_SK_EUlSX_E0_NS1_11comp_targetILNS1_3genE4ELNS1_11target_archE910ELNS1_3gpuE8ELNS1_3repE0EEENS1_38merge_mergepath_config_static_selectorELNS0_4arch9wavefront6targetE1EEEvSJ_.private_seg_size, 0
	.set _ZN7rocprim17ROCPRIM_400000_NS6detail17trampoline_kernelINS0_14default_configENS1_38merge_sort_block_merge_config_selectorIiiEEZZNS1_27merge_sort_block_merge_implIS3_N6thrust23THRUST_200600_302600_NS6detail15normal_iteratorINS8_10device_ptrIiEEEESD_jNS1_19radix_merge_compareILb0ELb1EiNS0_19identity_decomposerEEEEE10hipError_tT0_T1_T2_jT3_P12ihipStream_tbPNSt15iterator_traitsISI_E10value_typeEPNSO_ISJ_E10value_typeEPSK_NS1_7vsmem_tEENKUlT_SI_SJ_SK_E_clISD_PiSD_S10_EESH_SX_SI_SJ_SK_EUlSX_E0_NS1_11comp_targetILNS1_3genE4ELNS1_11target_archE910ELNS1_3gpuE8ELNS1_3repE0EEENS1_38merge_mergepath_config_static_selectorELNS0_4arch9wavefront6targetE1EEEvSJ_.uses_vcc, 0
	.set _ZN7rocprim17ROCPRIM_400000_NS6detail17trampoline_kernelINS0_14default_configENS1_38merge_sort_block_merge_config_selectorIiiEEZZNS1_27merge_sort_block_merge_implIS3_N6thrust23THRUST_200600_302600_NS6detail15normal_iteratorINS8_10device_ptrIiEEEESD_jNS1_19radix_merge_compareILb0ELb1EiNS0_19identity_decomposerEEEEE10hipError_tT0_T1_T2_jT3_P12ihipStream_tbPNSt15iterator_traitsISI_E10value_typeEPNSO_ISJ_E10value_typeEPSK_NS1_7vsmem_tEENKUlT_SI_SJ_SK_E_clISD_PiSD_S10_EESH_SX_SI_SJ_SK_EUlSX_E0_NS1_11comp_targetILNS1_3genE4ELNS1_11target_archE910ELNS1_3gpuE8ELNS1_3repE0EEENS1_38merge_mergepath_config_static_selectorELNS0_4arch9wavefront6targetE1EEEvSJ_.uses_flat_scratch, 0
	.set _ZN7rocprim17ROCPRIM_400000_NS6detail17trampoline_kernelINS0_14default_configENS1_38merge_sort_block_merge_config_selectorIiiEEZZNS1_27merge_sort_block_merge_implIS3_N6thrust23THRUST_200600_302600_NS6detail15normal_iteratorINS8_10device_ptrIiEEEESD_jNS1_19radix_merge_compareILb0ELb1EiNS0_19identity_decomposerEEEEE10hipError_tT0_T1_T2_jT3_P12ihipStream_tbPNSt15iterator_traitsISI_E10value_typeEPNSO_ISJ_E10value_typeEPSK_NS1_7vsmem_tEENKUlT_SI_SJ_SK_E_clISD_PiSD_S10_EESH_SX_SI_SJ_SK_EUlSX_E0_NS1_11comp_targetILNS1_3genE4ELNS1_11target_archE910ELNS1_3gpuE8ELNS1_3repE0EEENS1_38merge_mergepath_config_static_selectorELNS0_4arch9wavefront6targetE1EEEvSJ_.has_dyn_sized_stack, 0
	.set _ZN7rocprim17ROCPRIM_400000_NS6detail17trampoline_kernelINS0_14default_configENS1_38merge_sort_block_merge_config_selectorIiiEEZZNS1_27merge_sort_block_merge_implIS3_N6thrust23THRUST_200600_302600_NS6detail15normal_iteratorINS8_10device_ptrIiEEEESD_jNS1_19radix_merge_compareILb0ELb1EiNS0_19identity_decomposerEEEEE10hipError_tT0_T1_T2_jT3_P12ihipStream_tbPNSt15iterator_traitsISI_E10value_typeEPNSO_ISJ_E10value_typeEPSK_NS1_7vsmem_tEENKUlT_SI_SJ_SK_E_clISD_PiSD_S10_EESH_SX_SI_SJ_SK_EUlSX_E0_NS1_11comp_targetILNS1_3genE4ELNS1_11target_archE910ELNS1_3gpuE8ELNS1_3repE0EEENS1_38merge_mergepath_config_static_selectorELNS0_4arch9wavefront6targetE1EEEvSJ_.has_recursion, 0
	.set _ZN7rocprim17ROCPRIM_400000_NS6detail17trampoline_kernelINS0_14default_configENS1_38merge_sort_block_merge_config_selectorIiiEEZZNS1_27merge_sort_block_merge_implIS3_N6thrust23THRUST_200600_302600_NS6detail15normal_iteratorINS8_10device_ptrIiEEEESD_jNS1_19radix_merge_compareILb0ELb1EiNS0_19identity_decomposerEEEEE10hipError_tT0_T1_T2_jT3_P12ihipStream_tbPNSt15iterator_traitsISI_E10value_typeEPNSO_ISJ_E10value_typeEPSK_NS1_7vsmem_tEENKUlT_SI_SJ_SK_E_clISD_PiSD_S10_EESH_SX_SI_SJ_SK_EUlSX_E0_NS1_11comp_targetILNS1_3genE4ELNS1_11target_archE910ELNS1_3gpuE8ELNS1_3repE0EEENS1_38merge_mergepath_config_static_selectorELNS0_4arch9wavefront6targetE1EEEvSJ_.has_indirect_call, 0
	.section	.AMDGPU.csdata,"",@progbits
; Kernel info:
; codeLenInByte = 0
; TotalNumSgprs: 6
; NumVgprs: 0
; NumAgprs: 0
; TotalNumVgprs: 0
; ScratchSize: 0
; MemoryBound: 0
; FloatMode: 240
; IeeeMode: 1
; LDSByteSize: 0 bytes/workgroup (compile time only)
; SGPRBlocks: 0
; VGPRBlocks: 0
; NumSGPRsForWavesPerEU: 6
; NumVGPRsForWavesPerEU: 1
; AccumOffset: 4
; Occupancy: 8
; WaveLimiterHint : 0
; COMPUTE_PGM_RSRC2:SCRATCH_EN: 0
; COMPUTE_PGM_RSRC2:USER_SGPR: 2
; COMPUTE_PGM_RSRC2:TRAP_HANDLER: 0
; COMPUTE_PGM_RSRC2:TGID_X_EN: 1
; COMPUTE_PGM_RSRC2:TGID_Y_EN: 0
; COMPUTE_PGM_RSRC2:TGID_Z_EN: 0
; COMPUTE_PGM_RSRC2:TIDIG_COMP_CNT: 0
; COMPUTE_PGM_RSRC3_GFX90A:ACCUM_OFFSET: 0
; COMPUTE_PGM_RSRC3_GFX90A:TG_SPLIT: 0
	.section	.text._ZN7rocprim17ROCPRIM_400000_NS6detail17trampoline_kernelINS0_14default_configENS1_38merge_sort_block_merge_config_selectorIiiEEZZNS1_27merge_sort_block_merge_implIS3_N6thrust23THRUST_200600_302600_NS6detail15normal_iteratorINS8_10device_ptrIiEEEESD_jNS1_19radix_merge_compareILb0ELb1EiNS0_19identity_decomposerEEEEE10hipError_tT0_T1_T2_jT3_P12ihipStream_tbPNSt15iterator_traitsISI_E10value_typeEPNSO_ISJ_E10value_typeEPSK_NS1_7vsmem_tEENKUlT_SI_SJ_SK_E_clISD_PiSD_S10_EESH_SX_SI_SJ_SK_EUlSX_E0_NS1_11comp_targetILNS1_3genE3ELNS1_11target_archE908ELNS1_3gpuE7ELNS1_3repE0EEENS1_38merge_mergepath_config_static_selectorELNS0_4arch9wavefront6targetE1EEEvSJ_,"axG",@progbits,_ZN7rocprim17ROCPRIM_400000_NS6detail17trampoline_kernelINS0_14default_configENS1_38merge_sort_block_merge_config_selectorIiiEEZZNS1_27merge_sort_block_merge_implIS3_N6thrust23THRUST_200600_302600_NS6detail15normal_iteratorINS8_10device_ptrIiEEEESD_jNS1_19radix_merge_compareILb0ELb1EiNS0_19identity_decomposerEEEEE10hipError_tT0_T1_T2_jT3_P12ihipStream_tbPNSt15iterator_traitsISI_E10value_typeEPNSO_ISJ_E10value_typeEPSK_NS1_7vsmem_tEENKUlT_SI_SJ_SK_E_clISD_PiSD_S10_EESH_SX_SI_SJ_SK_EUlSX_E0_NS1_11comp_targetILNS1_3genE3ELNS1_11target_archE908ELNS1_3gpuE7ELNS1_3repE0EEENS1_38merge_mergepath_config_static_selectorELNS0_4arch9wavefront6targetE1EEEvSJ_,comdat
	.protected	_ZN7rocprim17ROCPRIM_400000_NS6detail17trampoline_kernelINS0_14default_configENS1_38merge_sort_block_merge_config_selectorIiiEEZZNS1_27merge_sort_block_merge_implIS3_N6thrust23THRUST_200600_302600_NS6detail15normal_iteratorINS8_10device_ptrIiEEEESD_jNS1_19radix_merge_compareILb0ELb1EiNS0_19identity_decomposerEEEEE10hipError_tT0_T1_T2_jT3_P12ihipStream_tbPNSt15iterator_traitsISI_E10value_typeEPNSO_ISJ_E10value_typeEPSK_NS1_7vsmem_tEENKUlT_SI_SJ_SK_E_clISD_PiSD_S10_EESH_SX_SI_SJ_SK_EUlSX_E0_NS1_11comp_targetILNS1_3genE3ELNS1_11target_archE908ELNS1_3gpuE7ELNS1_3repE0EEENS1_38merge_mergepath_config_static_selectorELNS0_4arch9wavefront6targetE1EEEvSJ_ ; -- Begin function _ZN7rocprim17ROCPRIM_400000_NS6detail17trampoline_kernelINS0_14default_configENS1_38merge_sort_block_merge_config_selectorIiiEEZZNS1_27merge_sort_block_merge_implIS3_N6thrust23THRUST_200600_302600_NS6detail15normal_iteratorINS8_10device_ptrIiEEEESD_jNS1_19radix_merge_compareILb0ELb1EiNS0_19identity_decomposerEEEEE10hipError_tT0_T1_T2_jT3_P12ihipStream_tbPNSt15iterator_traitsISI_E10value_typeEPNSO_ISJ_E10value_typeEPSK_NS1_7vsmem_tEENKUlT_SI_SJ_SK_E_clISD_PiSD_S10_EESH_SX_SI_SJ_SK_EUlSX_E0_NS1_11comp_targetILNS1_3genE3ELNS1_11target_archE908ELNS1_3gpuE7ELNS1_3repE0EEENS1_38merge_mergepath_config_static_selectorELNS0_4arch9wavefront6targetE1EEEvSJ_
	.globl	_ZN7rocprim17ROCPRIM_400000_NS6detail17trampoline_kernelINS0_14default_configENS1_38merge_sort_block_merge_config_selectorIiiEEZZNS1_27merge_sort_block_merge_implIS3_N6thrust23THRUST_200600_302600_NS6detail15normal_iteratorINS8_10device_ptrIiEEEESD_jNS1_19radix_merge_compareILb0ELb1EiNS0_19identity_decomposerEEEEE10hipError_tT0_T1_T2_jT3_P12ihipStream_tbPNSt15iterator_traitsISI_E10value_typeEPNSO_ISJ_E10value_typeEPSK_NS1_7vsmem_tEENKUlT_SI_SJ_SK_E_clISD_PiSD_S10_EESH_SX_SI_SJ_SK_EUlSX_E0_NS1_11comp_targetILNS1_3genE3ELNS1_11target_archE908ELNS1_3gpuE7ELNS1_3repE0EEENS1_38merge_mergepath_config_static_selectorELNS0_4arch9wavefront6targetE1EEEvSJ_
	.p2align	8
	.type	_ZN7rocprim17ROCPRIM_400000_NS6detail17trampoline_kernelINS0_14default_configENS1_38merge_sort_block_merge_config_selectorIiiEEZZNS1_27merge_sort_block_merge_implIS3_N6thrust23THRUST_200600_302600_NS6detail15normal_iteratorINS8_10device_ptrIiEEEESD_jNS1_19radix_merge_compareILb0ELb1EiNS0_19identity_decomposerEEEEE10hipError_tT0_T1_T2_jT3_P12ihipStream_tbPNSt15iterator_traitsISI_E10value_typeEPNSO_ISJ_E10value_typeEPSK_NS1_7vsmem_tEENKUlT_SI_SJ_SK_E_clISD_PiSD_S10_EESH_SX_SI_SJ_SK_EUlSX_E0_NS1_11comp_targetILNS1_3genE3ELNS1_11target_archE908ELNS1_3gpuE7ELNS1_3repE0EEENS1_38merge_mergepath_config_static_selectorELNS0_4arch9wavefront6targetE1EEEvSJ_,@function
_ZN7rocprim17ROCPRIM_400000_NS6detail17trampoline_kernelINS0_14default_configENS1_38merge_sort_block_merge_config_selectorIiiEEZZNS1_27merge_sort_block_merge_implIS3_N6thrust23THRUST_200600_302600_NS6detail15normal_iteratorINS8_10device_ptrIiEEEESD_jNS1_19radix_merge_compareILb0ELb1EiNS0_19identity_decomposerEEEEE10hipError_tT0_T1_T2_jT3_P12ihipStream_tbPNSt15iterator_traitsISI_E10value_typeEPNSO_ISJ_E10value_typeEPSK_NS1_7vsmem_tEENKUlT_SI_SJ_SK_E_clISD_PiSD_S10_EESH_SX_SI_SJ_SK_EUlSX_E0_NS1_11comp_targetILNS1_3genE3ELNS1_11target_archE908ELNS1_3gpuE7ELNS1_3repE0EEENS1_38merge_mergepath_config_static_selectorELNS0_4arch9wavefront6targetE1EEEvSJ_: ; @_ZN7rocprim17ROCPRIM_400000_NS6detail17trampoline_kernelINS0_14default_configENS1_38merge_sort_block_merge_config_selectorIiiEEZZNS1_27merge_sort_block_merge_implIS3_N6thrust23THRUST_200600_302600_NS6detail15normal_iteratorINS8_10device_ptrIiEEEESD_jNS1_19radix_merge_compareILb0ELb1EiNS0_19identity_decomposerEEEEE10hipError_tT0_T1_T2_jT3_P12ihipStream_tbPNSt15iterator_traitsISI_E10value_typeEPNSO_ISJ_E10value_typeEPSK_NS1_7vsmem_tEENKUlT_SI_SJ_SK_E_clISD_PiSD_S10_EESH_SX_SI_SJ_SK_EUlSX_E0_NS1_11comp_targetILNS1_3genE3ELNS1_11target_archE908ELNS1_3gpuE7ELNS1_3repE0EEENS1_38merge_mergepath_config_static_selectorELNS0_4arch9wavefront6targetE1EEEvSJ_
; %bb.0:
	.section	.rodata,"a",@progbits
	.p2align	6, 0x0
	.amdhsa_kernel _ZN7rocprim17ROCPRIM_400000_NS6detail17trampoline_kernelINS0_14default_configENS1_38merge_sort_block_merge_config_selectorIiiEEZZNS1_27merge_sort_block_merge_implIS3_N6thrust23THRUST_200600_302600_NS6detail15normal_iteratorINS8_10device_ptrIiEEEESD_jNS1_19radix_merge_compareILb0ELb1EiNS0_19identity_decomposerEEEEE10hipError_tT0_T1_T2_jT3_P12ihipStream_tbPNSt15iterator_traitsISI_E10value_typeEPNSO_ISJ_E10value_typeEPSK_NS1_7vsmem_tEENKUlT_SI_SJ_SK_E_clISD_PiSD_S10_EESH_SX_SI_SJ_SK_EUlSX_E0_NS1_11comp_targetILNS1_3genE3ELNS1_11target_archE908ELNS1_3gpuE7ELNS1_3repE0EEENS1_38merge_mergepath_config_static_selectorELNS0_4arch9wavefront6targetE1EEEvSJ_
		.amdhsa_group_segment_fixed_size 0
		.amdhsa_private_segment_fixed_size 0
		.amdhsa_kernarg_size 64
		.amdhsa_user_sgpr_count 2
		.amdhsa_user_sgpr_dispatch_ptr 0
		.amdhsa_user_sgpr_queue_ptr 0
		.amdhsa_user_sgpr_kernarg_segment_ptr 1
		.amdhsa_user_sgpr_dispatch_id 0
		.amdhsa_user_sgpr_kernarg_preload_length 0
		.amdhsa_user_sgpr_kernarg_preload_offset 0
		.amdhsa_user_sgpr_private_segment_size 0
		.amdhsa_uses_dynamic_stack 0
		.amdhsa_enable_private_segment 0
		.amdhsa_system_sgpr_workgroup_id_x 1
		.amdhsa_system_sgpr_workgroup_id_y 0
		.amdhsa_system_sgpr_workgroup_id_z 0
		.amdhsa_system_sgpr_workgroup_info 0
		.amdhsa_system_vgpr_workitem_id 0
		.amdhsa_next_free_vgpr 1
		.amdhsa_next_free_sgpr 0
		.amdhsa_accum_offset 4
		.amdhsa_reserve_vcc 0
		.amdhsa_float_round_mode_32 0
		.amdhsa_float_round_mode_16_64 0
		.amdhsa_float_denorm_mode_32 3
		.amdhsa_float_denorm_mode_16_64 3
		.amdhsa_dx10_clamp 1
		.amdhsa_ieee_mode 1
		.amdhsa_fp16_overflow 0
		.amdhsa_tg_split 0
		.amdhsa_exception_fp_ieee_invalid_op 0
		.amdhsa_exception_fp_denorm_src 0
		.amdhsa_exception_fp_ieee_div_zero 0
		.amdhsa_exception_fp_ieee_overflow 0
		.amdhsa_exception_fp_ieee_underflow 0
		.amdhsa_exception_fp_ieee_inexact 0
		.amdhsa_exception_int_div_zero 0
	.end_amdhsa_kernel
	.section	.text._ZN7rocprim17ROCPRIM_400000_NS6detail17trampoline_kernelINS0_14default_configENS1_38merge_sort_block_merge_config_selectorIiiEEZZNS1_27merge_sort_block_merge_implIS3_N6thrust23THRUST_200600_302600_NS6detail15normal_iteratorINS8_10device_ptrIiEEEESD_jNS1_19radix_merge_compareILb0ELb1EiNS0_19identity_decomposerEEEEE10hipError_tT0_T1_T2_jT3_P12ihipStream_tbPNSt15iterator_traitsISI_E10value_typeEPNSO_ISJ_E10value_typeEPSK_NS1_7vsmem_tEENKUlT_SI_SJ_SK_E_clISD_PiSD_S10_EESH_SX_SI_SJ_SK_EUlSX_E0_NS1_11comp_targetILNS1_3genE3ELNS1_11target_archE908ELNS1_3gpuE7ELNS1_3repE0EEENS1_38merge_mergepath_config_static_selectorELNS0_4arch9wavefront6targetE1EEEvSJ_,"axG",@progbits,_ZN7rocprim17ROCPRIM_400000_NS6detail17trampoline_kernelINS0_14default_configENS1_38merge_sort_block_merge_config_selectorIiiEEZZNS1_27merge_sort_block_merge_implIS3_N6thrust23THRUST_200600_302600_NS6detail15normal_iteratorINS8_10device_ptrIiEEEESD_jNS1_19radix_merge_compareILb0ELb1EiNS0_19identity_decomposerEEEEE10hipError_tT0_T1_T2_jT3_P12ihipStream_tbPNSt15iterator_traitsISI_E10value_typeEPNSO_ISJ_E10value_typeEPSK_NS1_7vsmem_tEENKUlT_SI_SJ_SK_E_clISD_PiSD_S10_EESH_SX_SI_SJ_SK_EUlSX_E0_NS1_11comp_targetILNS1_3genE3ELNS1_11target_archE908ELNS1_3gpuE7ELNS1_3repE0EEENS1_38merge_mergepath_config_static_selectorELNS0_4arch9wavefront6targetE1EEEvSJ_,comdat
.Lfunc_end1380:
	.size	_ZN7rocprim17ROCPRIM_400000_NS6detail17trampoline_kernelINS0_14default_configENS1_38merge_sort_block_merge_config_selectorIiiEEZZNS1_27merge_sort_block_merge_implIS3_N6thrust23THRUST_200600_302600_NS6detail15normal_iteratorINS8_10device_ptrIiEEEESD_jNS1_19radix_merge_compareILb0ELb1EiNS0_19identity_decomposerEEEEE10hipError_tT0_T1_T2_jT3_P12ihipStream_tbPNSt15iterator_traitsISI_E10value_typeEPNSO_ISJ_E10value_typeEPSK_NS1_7vsmem_tEENKUlT_SI_SJ_SK_E_clISD_PiSD_S10_EESH_SX_SI_SJ_SK_EUlSX_E0_NS1_11comp_targetILNS1_3genE3ELNS1_11target_archE908ELNS1_3gpuE7ELNS1_3repE0EEENS1_38merge_mergepath_config_static_selectorELNS0_4arch9wavefront6targetE1EEEvSJ_, .Lfunc_end1380-_ZN7rocprim17ROCPRIM_400000_NS6detail17trampoline_kernelINS0_14default_configENS1_38merge_sort_block_merge_config_selectorIiiEEZZNS1_27merge_sort_block_merge_implIS3_N6thrust23THRUST_200600_302600_NS6detail15normal_iteratorINS8_10device_ptrIiEEEESD_jNS1_19radix_merge_compareILb0ELb1EiNS0_19identity_decomposerEEEEE10hipError_tT0_T1_T2_jT3_P12ihipStream_tbPNSt15iterator_traitsISI_E10value_typeEPNSO_ISJ_E10value_typeEPSK_NS1_7vsmem_tEENKUlT_SI_SJ_SK_E_clISD_PiSD_S10_EESH_SX_SI_SJ_SK_EUlSX_E0_NS1_11comp_targetILNS1_3genE3ELNS1_11target_archE908ELNS1_3gpuE7ELNS1_3repE0EEENS1_38merge_mergepath_config_static_selectorELNS0_4arch9wavefront6targetE1EEEvSJ_
                                        ; -- End function
	.set _ZN7rocprim17ROCPRIM_400000_NS6detail17trampoline_kernelINS0_14default_configENS1_38merge_sort_block_merge_config_selectorIiiEEZZNS1_27merge_sort_block_merge_implIS3_N6thrust23THRUST_200600_302600_NS6detail15normal_iteratorINS8_10device_ptrIiEEEESD_jNS1_19radix_merge_compareILb0ELb1EiNS0_19identity_decomposerEEEEE10hipError_tT0_T1_T2_jT3_P12ihipStream_tbPNSt15iterator_traitsISI_E10value_typeEPNSO_ISJ_E10value_typeEPSK_NS1_7vsmem_tEENKUlT_SI_SJ_SK_E_clISD_PiSD_S10_EESH_SX_SI_SJ_SK_EUlSX_E0_NS1_11comp_targetILNS1_3genE3ELNS1_11target_archE908ELNS1_3gpuE7ELNS1_3repE0EEENS1_38merge_mergepath_config_static_selectorELNS0_4arch9wavefront6targetE1EEEvSJ_.num_vgpr, 0
	.set _ZN7rocprim17ROCPRIM_400000_NS6detail17trampoline_kernelINS0_14default_configENS1_38merge_sort_block_merge_config_selectorIiiEEZZNS1_27merge_sort_block_merge_implIS3_N6thrust23THRUST_200600_302600_NS6detail15normal_iteratorINS8_10device_ptrIiEEEESD_jNS1_19radix_merge_compareILb0ELb1EiNS0_19identity_decomposerEEEEE10hipError_tT0_T1_T2_jT3_P12ihipStream_tbPNSt15iterator_traitsISI_E10value_typeEPNSO_ISJ_E10value_typeEPSK_NS1_7vsmem_tEENKUlT_SI_SJ_SK_E_clISD_PiSD_S10_EESH_SX_SI_SJ_SK_EUlSX_E0_NS1_11comp_targetILNS1_3genE3ELNS1_11target_archE908ELNS1_3gpuE7ELNS1_3repE0EEENS1_38merge_mergepath_config_static_selectorELNS0_4arch9wavefront6targetE1EEEvSJ_.num_agpr, 0
	.set _ZN7rocprim17ROCPRIM_400000_NS6detail17trampoline_kernelINS0_14default_configENS1_38merge_sort_block_merge_config_selectorIiiEEZZNS1_27merge_sort_block_merge_implIS3_N6thrust23THRUST_200600_302600_NS6detail15normal_iteratorINS8_10device_ptrIiEEEESD_jNS1_19radix_merge_compareILb0ELb1EiNS0_19identity_decomposerEEEEE10hipError_tT0_T1_T2_jT3_P12ihipStream_tbPNSt15iterator_traitsISI_E10value_typeEPNSO_ISJ_E10value_typeEPSK_NS1_7vsmem_tEENKUlT_SI_SJ_SK_E_clISD_PiSD_S10_EESH_SX_SI_SJ_SK_EUlSX_E0_NS1_11comp_targetILNS1_3genE3ELNS1_11target_archE908ELNS1_3gpuE7ELNS1_3repE0EEENS1_38merge_mergepath_config_static_selectorELNS0_4arch9wavefront6targetE1EEEvSJ_.numbered_sgpr, 0
	.set _ZN7rocprim17ROCPRIM_400000_NS6detail17trampoline_kernelINS0_14default_configENS1_38merge_sort_block_merge_config_selectorIiiEEZZNS1_27merge_sort_block_merge_implIS3_N6thrust23THRUST_200600_302600_NS6detail15normal_iteratorINS8_10device_ptrIiEEEESD_jNS1_19radix_merge_compareILb0ELb1EiNS0_19identity_decomposerEEEEE10hipError_tT0_T1_T2_jT3_P12ihipStream_tbPNSt15iterator_traitsISI_E10value_typeEPNSO_ISJ_E10value_typeEPSK_NS1_7vsmem_tEENKUlT_SI_SJ_SK_E_clISD_PiSD_S10_EESH_SX_SI_SJ_SK_EUlSX_E0_NS1_11comp_targetILNS1_3genE3ELNS1_11target_archE908ELNS1_3gpuE7ELNS1_3repE0EEENS1_38merge_mergepath_config_static_selectorELNS0_4arch9wavefront6targetE1EEEvSJ_.num_named_barrier, 0
	.set _ZN7rocprim17ROCPRIM_400000_NS6detail17trampoline_kernelINS0_14default_configENS1_38merge_sort_block_merge_config_selectorIiiEEZZNS1_27merge_sort_block_merge_implIS3_N6thrust23THRUST_200600_302600_NS6detail15normal_iteratorINS8_10device_ptrIiEEEESD_jNS1_19radix_merge_compareILb0ELb1EiNS0_19identity_decomposerEEEEE10hipError_tT0_T1_T2_jT3_P12ihipStream_tbPNSt15iterator_traitsISI_E10value_typeEPNSO_ISJ_E10value_typeEPSK_NS1_7vsmem_tEENKUlT_SI_SJ_SK_E_clISD_PiSD_S10_EESH_SX_SI_SJ_SK_EUlSX_E0_NS1_11comp_targetILNS1_3genE3ELNS1_11target_archE908ELNS1_3gpuE7ELNS1_3repE0EEENS1_38merge_mergepath_config_static_selectorELNS0_4arch9wavefront6targetE1EEEvSJ_.private_seg_size, 0
	.set _ZN7rocprim17ROCPRIM_400000_NS6detail17trampoline_kernelINS0_14default_configENS1_38merge_sort_block_merge_config_selectorIiiEEZZNS1_27merge_sort_block_merge_implIS3_N6thrust23THRUST_200600_302600_NS6detail15normal_iteratorINS8_10device_ptrIiEEEESD_jNS1_19radix_merge_compareILb0ELb1EiNS0_19identity_decomposerEEEEE10hipError_tT0_T1_T2_jT3_P12ihipStream_tbPNSt15iterator_traitsISI_E10value_typeEPNSO_ISJ_E10value_typeEPSK_NS1_7vsmem_tEENKUlT_SI_SJ_SK_E_clISD_PiSD_S10_EESH_SX_SI_SJ_SK_EUlSX_E0_NS1_11comp_targetILNS1_3genE3ELNS1_11target_archE908ELNS1_3gpuE7ELNS1_3repE0EEENS1_38merge_mergepath_config_static_selectorELNS0_4arch9wavefront6targetE1EEEvSJ_.uses_vcc, 0
	.set _ZN7rocprim17ROCPRIM_400000_NS6detail17trampoline_kernelINS0_14default_configENS1_38merge_sort_block_merge_config_selectorIiiEEZZNS1_27merge_sort_block_merge_implIS3_N6thrust23THRUST_200600_302600_NS6detail15normal_iteratorINS8_10device_ptrIiEEEESD_jNS1_19radix_merge_compareILb0ELb1EiNS0_19identity_decomposerEEEEE10hipError_tT0_T1_T2_jT3_P12ihipStream_tbPNSt15iterator_traitsISI_E10value_typeEPNSO_ISJ_E10value_typeEPSK_NS1_7vsmem_tEENKUlT_SI_SJ_SK_E_clISD_PiSD_S10_EESH_SX_SI_SJ_SK_EUlSX_E0_NS1_11comp_targetILNS1_3genE3ELNS1_11target_archE908ELNS1_3gpuE7ELNS1_3repE0EEENS1_38merge_mergepath_config_static_selectorELNS0_4arch9wavefront6targetE1EEEvSJ_.uses_flat_scratch, 0
	.set _ZN7rocprim17ROCPRIM_400000_NS6detail17trampoline_kernelINS0_14default_configENS1_38merge_sort_block_merge_config_selectorIiiEEZZNS1_27merge_sort_block_merge_implIS3_N6thrust23THRUST_200600_302600_NS6detail15normal_iteratorINS8_10device_ptrIiEEEESD_jNS1_19radix_merge_compareILb0ELb1EiNS0_19identity_decomposerEEEEE10hipError_tT0_T1_T2_jT3_P12ihipStream_tbPNSt15iterator_traitsISI_E10value_typeEPNSO_ISJ_E10value_typeEPSK_NS1_7vsmem_tEENKUlT_SI_SJ_SK_E_clISD_PiSD_S10_EESH_SX_SI_SJ_SK_EUlSX_E0_NS1_11comp_targetILNS1_3genE3ELNS1_11target_archE908ELNS1_3gpuE7ELNS1_3repE0EEENS1_38merge_mergepath_config_static_selectorELNS0_4arch9wavefront6targetE1EEEvSJ_.has_dyn_sized_stack, 0
	.set _ZN7rocprim17ROCPRIM_400000_NS6detail17trampoline_kernelINS0_14default_configENS1_38merge_sort_block_merge_config_selectorIiiEEZZNS1_27merge_sort_block_merge_implIS3_N6thrust23THRUST_200600_302600_NS6detail15normal_iteratorINS8_10device_ptrIiEEEESD_jNS1_19radix_merge_compareILb0ELb1EiNS0_19identity_decomposerEEEEE10hipError_tT0_T1_T2_jT3_P12ihipStream_tbPNSt15iterator_traitsISI_E10value_typeEPNSO_ISJ_E10value_typeEPSK_NS1_7vsmem_tEENKUlT_SI_SJ_SK_E_clISD_PiSD_S10_EESH_SX_SI_SJ_SK_EUlSX_E0_NS1_11comp_targetILNS1_3genE3ELNS1_11target_archE908ELNS1_3gpuE7ELNS1_3repE0EEENS1_38merge_mergepath_config_static_selectorELNS0_4arch9wavefront6targetE1EEEvSJ_.has_recursion, 0
	.set _ZN7rocprim17ROCPRIM_400000_NS6detail17trampoline_kernelINS0_14default_configENS1_38merge_sort_block_merge_config_selectorIiiEEZZNS1_27merge_sort_block_merge_implIS3_N6thrust23THRUST_200600_302600_NS6detail15normal_iteratorINS8_10device_ptrIiEEEESD_jNS1_19radix_merge_compareILb0ELb1EiNS0_19identity_decomposerEEEEE10hipError_tT0_T1_T2_jT3_P12ihipStream_tbPNSt15iterator_traitsISI_E10value_typeEPNSO_ISJ_E10value_typeEPSK_NS1_7vsmem_tEENKUlT_SI_SJ_SK_E_clISD_PiSD_S10_EESH_SX_SI_SJ_SK_EUlSX_E0_NS1_11comp_targetILNS1_3genE3ELNS1_11target_archE908ELNS1_3gpuE7ELNS1_3repE0EEENS1_38merge_mergepath_config_static_selectorELNS0_4arch9wavefront6targetE1EEEvSJ_.has_indirect_call, 0
	.section	.AMDGPU.csdata,"",@progbits
; Kernel info:
; codeLenInByte = 0
; TotalNumSgprs: 6
; NumVgprs: 0
; NumAgprs: 0
; TotalNumVgprs: 0
; ScratchSize: 0
; MemoryBound: 0
; FloatMode: 240
; IeeeMode: 1
; LDSByteSize: 0 bytes/workgroup (compile time only)
; SGPRBlocks: 0
; VGPRBlocks: 0
; NumSGPRsForWavesPerEU: 6
; NumVGPRsForWavesPerEU: 1
; AccumOffset: 4
; Occupancy: 8
; WaveLimiterHint : 0
; COMPUTE_PGM_RSRC2:SCRATCH_EN: 0
; COMPUTE_PGM_RSRC2:USER_SGPR: 2
; COMPUTE_PGM_RSRC2:TRAP_HANDLER: 0
; COMPUTE_PGM_RSRC2:TGID_X_EN: 1
; COMPUTE_PGM_RSRC2:TGID_Y_EN: 0
; COMPUTE_PGM_RSRC2:TGID_Z_EN: 0
; COMPUTE_PGM_RSRC2:TIDIG_COMP_CNT: 0
; COMPUTE_PGM_RSRC3_GFX90A:ACCUM_OFFSET: 0
; COMPUTE_PGM_RSRC3_GFX90A:TG_SPLIT: 0
	.section	.text._ZN7rocprim17ROCPRIM_400000_NS6detail17trampoline_kernelINS0_14default_configENS1_38merge_sort_block_merge_config_selectorIiiEEZZNS1_27merge_sort_block_merge_implIS3_N6thrust23THRUST_200600_302600_NS6detail15normal_iteratorINS8_10device_ptrIiEEEESD_jNS1_19radix_merge_compareILb0ELb1EiNS0_19identity_decomposerEEEEE10hipError_tT0_T1_T2_jT3_P12ihipStream_tbPNSt15iterator_traitsISI_E10value_typeEPNSO_ISJ_E10value_typeEPSK_NS1_7vsmem_tEENKUlT_SI_SJ_SK_E_clISD_PiSD_S10_EESH_SX_SI_SJ_SK_EUlSX_E0_NS1_11comp_targetILNS1_3genE2ELNS1_11target_archE906ELNS1_3gpuE6ELNS1_3repE0EEENS1_38merge_mergepath_config_static_selectorELNS0_4arch9wavefront6targetE1EEEvSJ_,"axG",@progbits,_ZN7rocprim17ROCPRIM_400000_NS6detail17trampoline_kernelINS0_14default_configENS1_38merge_sort_block_merge_config_selectorIiiEEZZNS1_27merge_sort_block_merge_implIS3_N6thrust23THRUST_200600_302600_NS6detail15normal_iteratorINS8_10device_ptrIiEEEESD_jNS1_19radix_merge_compareILb0ELb1EiNS0_19identity_decomposerEEEEE10hipError_tT0_T1_T2_jT3_P12ihipStream_tbPNSt15iterator_traitsISI_E10value_typeEPNSO_ISJ_E10value_typeEPSK_NS1_7vsmem_tEENKUlT_SI_SJ_SK_E_clISD_PiSD_S10_EESH_SX_SI_SJ_SK_EUlSX_E0_NS1_11comp_targetILNS1_3genE2ELNS1_11target_archE906ELNS1_3gpuE6ELNS1_3repE0EEENS1_38merge_mergepath_config_static_selectorELNS0_4arch9wavefront6targetE1EEEvSJ_,comdat
	.protected	_ZN7rocprim17ROCPRIM_400000_NS6detail17trampoline_kernelINS0_14default_configENS1_38merge_sort_block_merge_config_selectorIiiEEZZNS1_27merge_sort_block_merge_implIS3_N6thrust23THRUST_200600_302600_NS6detail15normal_iteratorINS8_10device_ptrIiEEEESD_jNS1_19radix_merge_compareILb0ELb1EiNS0_19identity_decomposerEEEEE10hipError_tT0_T1_T2_jT3_P12ihipStream_tbPNSt15iterator_traitsISI_E10value_typeEPNSO_ISJ_E10value_typeEPSK_NS1_7vsmem_tEENKUlT_SI_SJ_SK_E_clISD_PiSD_S10_EESH_SX_SI_SJ_SK_EUlSX_E0_NS1_11comp_targetILNS1_3genE2ELNS1_11target_archE906ELNS1_3gpuE6ELNS1_3repE0EEENS1_38merge_mergepath_config_static_selectorELNS0_4arch9wavefront6targetE1EEEvSJ_ ; -- Begin function _ZN7rocprim17ROCPRIM_400000_NS6detail17trampoline_kernelINS0_14default_configENS1_38merge_sort_block_merge_config_selectorIiiEEZZNS1_27merge_sort_block_merge_implIS3_N6thrust23THRUST_200600_302600_NS6detail15normal_iteratorINS8_10device_ptrIiEEEESD_jNS1_19radix_merge_compareILb0ELb1EiNS0_19identity_decomposerEEEEE10hipError_tT0_T1_T2_jT3_P12ihipStream_tbPNSt15iterator_traitsISI_E10value_typeEPNSO_ISJ_E10value_typeEPSK_NS1_7vsmem_tEENKUlT_SI_SJ_SK_E_clISD_PiSD_S10_EESH_SX_SI_SJ_SK_EUlSX_E0_NS1_11comp_targetILNS1_3genE2ELNS1_11target_archE906ELNS1_3gpuE6ELNS1_3repE0EEENS1_38merge_mergepath_config_static_selectorELNS0_4arch9wavefront6targetE1EEEvSJ_
	.globl	_ZN7rocprim17ROCPRIM_400000_NS6detail17trampoline_kernelINS0_14default_configENS1_38merge_sort_block_merge_config_selectorIiiEEZZNS1_27merge_sort_block_merge_implIS3_N6thrust23THRUST_200600_302600_NS6detail15normal_iteratorINS8_10device_ptrIiEEEESD_jNS1_19radix_merge_compareILb0ELb1EiNS0_19identity_decomposerEEEEE10hipError_tT0_T1_T2_jT3_P12ihipStream_tbPNSt15iterator_traitsISI_E10value_typeEPNSO_ISJ_E10value_typeEPSK_NS1_7vsmem_tEENKUlT_SI_SJ_SK_E_clISD_PiSD_S10_EESH_SX_SI_SJ_SK_EUlSX_E0_NS1_11comp_targetILNS1_3genE2ELNS1_11target_archE906ELNS1_3gpuE6ELNS1_3repE0EEENS1_38merge_mergepath_config_static_selectorELNS0_4arch9wavefront6targetE1EEEvSJ_
	.p2align	8
	.type	_ZN7rocprim17ROCPRIM_400000_NS6detail17trampoline_kernelINS0_14default_configENS1_38merge_sort_block_merge_config_selectorIiiEEZZNS1_27merge_sort_block_merge_implIS3_N6thrust23THRUST_200600_302600_NS6detail15normal_iteratorINS8_10device_ptrIiEEEESD_jNS1_19radix_merge_compareILb0ELb1EiNS0_19identity_decomposerEEEEE10hipError_tT0_T1_T2_jT3_P12ihipStream_tbPNSt15iterator_traitsISI_E10value_typeEPNSO_ISJ_E10value_typeEPSK_NS1_7vsmem_tEENKUlT_SI_SJ_SK_E_clISD_PiSD_S10_EESH_SX_SI_SJ_SK_EUlSX_E0_NS1_11comp_targetILNS1_3genE2ELNS1_11target_archE906ELNS1_3gpuE6ELNS1_3repE0EEENS1_38merge_mergepath_config_static_selectorELNS0_4arch9wavefront6targetE1EEEvSJ_,@function
_ZN7rocprim17ROCPRIM_400000_NS6detail17trampoline_kernelINS0_14default_configENS1_38merge_sort_block_merge_config_selectorIiiEEZZNS1_27merge_sort_block_merge_implIS3_N6thrust23THRUST_200600_302600_NS6detail15normal_iteratorINS8_10device_ptrIiEEEESD_jNS1_19radix_merge_compareILb0ELb1EiNS0_19identity_decomposerEEEEE10hipError_tT0_T1_T2_jT3_P12ihipStream_tbPNSt15iterator_traitsISI_E10value_typeEPNSO_ISJ_E10value_typeEPSK_NS1_7vsmem_tEENKUlT_SI_SJ_SK_E_clISD_PiSD_S10_EESH_SX_SI_SJ_SK_EUlSX_E0_NS1_11comp_targetILNS1_3genE2ELNS1_11target_archE906ELNS1_3gpuE6ELNS1_3repE0EEENS1_38merge_mergepath_config_static_selectorELNS0_4arch9wavefront6targetE1EEEvSJ_: ; @_ZN7rocprim17ROCPRIM_400000_NS6detail17trampoline_kernelINS0_14default_configENS1_38merge_sort_block_merge_config_selectorIiiEEZZNS1_27merge_sort_block_merge_implIS3_N6thrust23THRUST_200600_302600_NS6detail15normal_iteratorINS8_10device_ptrIiEEEESD_jNS1_19radix_merge_compareILb0ELb1EiNS0_19identity_decomposerEEEEE10hipError_tT0_T1_T2_jT3_P12ihipStream_tbPNSt15iterator_traitsISI_E10value_typeEPNSO_ISJ_E10value_typeEPSK_NS1_7vsmem_tEENKUlT_SI_SJ_SK_E_clISD_PiSD_S10_EESH_SX_SI_SJ_SK_EUlSX_E0_NS1_11comp_targetILNS1_3genE2ELNS1_11target_archE906ELNS1_3gpuE6ELNS1_3repE0EEENS1_38merge_mergepath_config_static_selectorELNS0_4arch9wavefront6targetE1EEEvSJ_
; %bb.0:
	.section	.rodata,"a",@progbits
	.p2align	6, 0x0
	.amdhsa_kernel _ZN7rocprim17ROCPRIM_400000_NS6detail17trampoline_kernelINS0_14default_configENS1_38merge_sort_block_merge_config_selectorIiiEEZZNS1_27merge_sort_block_merge_implIS3_N6thrust23THRUST_200600_302600_NS6detail15normal_iteratorINS8_10device_ptrIiEEEESD_jNS1_19radix_merge_compareILb0ELb1EiNS0_19identity_decomposerEEEEE10hipError_tT0_T1_T2_jT3_P12ihipStream_tbPNSt15iterator_traitsISI_E10value_typeEPNSO_ISJ_E10value_typeEPSK_NS1_7vsmem_tEENKUlT_SI_SJ_SK_E_clISD_PiSD_S10_EESH_SX_SI_SJ_SK_EUlSX_E0_NS1_11comp_targetILNS1_3genE2ELNS1_11target_archE906ELNS1_3gpuE6ELNS1_3repE0EEENS1_38merge_mergepath_config_static_selectorELNS0_4arch9wavefront6targetE1EEEvSJ_
		.amdhsa_group_segment_fixed_size 0
		.amdhsa_private_segment_fixed_size 0
		.amdhsa_kernarg_size 64
		.amdhsa_user_sgpr_count 2
		.amdhsa_user_sgpr_dispatch_ptr 0
		.amdhsa_user_sgpr_queue_ptr 0
		.amdhsa_user_sgpr_kernarg_segment_ptr 1
		.amdhsa_user_sgpr_dispatch_id 0
		.amdhsa_user_sgpr_kernarg_preload_length 0
		.amdhsa_user_sgpr_kernarg_preload_offset 0
		.amdhsa_user_sgpr_private_segment_size 0
		.amdhsa_uses_dynamic_stack 0
		.amdhsa_enable_private_segment 0
		.amdhsa_system_sgpr_workgroup_id_x 1
		.amdhsa_system_sgpr_workgroup_id_y 0
		.amdhsa_system_sgpr_workgroup_id_z 0
		.amdhsa_system_sgpr_workgroup_info 0
		.amdhsa_system_vgpr_workitem_id 0
		.amdhsa_next_free_vgpr 1
		.amdhsa_next_free_sgpr 0
		.amdhsa_accum_offset 4
		.amdhsa_reserve_vcc 0
		.amdhsa_float_round_mode_32 0
		.amdhsa_float_round_mode_16_64 0
		.amdhsa_float_denorm_mode_32 3
		.amdhsa_float_denorm_mode_16_64 3
		.amdhsa_dx10_clamp 1
		.amdhsa_ieee_mode 1
		.amdhsa_fp16_overflow 0
		.amdhsa_tg_split 0
		.amdhsa_exception_fp_ieee_invalid_op 0
		.amdhsa_exception_fp_denorm_src 0
		.amdhsa_exception_fp_ieee_div_zero 0
		.amdhsa_exception_fp_ieee_overflow 0
		.amdhsa_exception_fp_ieee_underflow 0
		.amdhsa_exception_fp_ieee_inexact 0
		.amdhsa_exception_int_div_zero 0
	.end_amdhsa_kernel
	.section	.text._ZN7rocprim17ROCPRIM_400000_NS6detail17trampoline_kernelINS0_14default_configENS1_38merge_sort_block_merge_config_selectorIiiEEZZNS1_27merge_sort_block_merge_implIS3_N6thrust23THRUST_200600_302600_NS6detail15normal_iteratorINS8_10device_ptrIiEEEESD_jNS1_19radix_merge_compareILb0ELb1EiNS0_19identity_decomposerEEEEE10hipError_tT0_T1_T2_jT3_P12ihipStream_tbPNSt15iterator_traitsISI_E10value_typeEPNSO_ISJ_E10value_typeEPSK_NS1_7vsmem_tEENKUlT_SI_SJ_SK_E_clISD_PiSD_S10_EESH_SX_SI_SJ_SK_EUlSX_E0_NS1_11comp_targetILNS1_3genE2ELNS1_11target_archE906ELNS1_3gpuE6ELNS1_3repE0EEENS1_38merge_mergepath_config_static_selectorELNS0_4arch9wavefront6targetE1EEEvSJ_,"axG",@progbits,_ZN7rocprim17ROCPRIM_400000_NS6detail17trampoline_kernelINS0_14default_configENS1_38merge_sort_block_merge_config_selectorIiiEEZZNS1_27merge_sort_block_merge_implIS3_N6thrust23THRUST_200600_302600_NS6detail15normal_iteratorINS8_10device_ptrIiEEEESD_jNS1_19radix_merge_compareILb0ELb1EiNS0_19identity_decomposerEEEEE10hipError_tT0_T1_T2_jT3_P12ihipStream_tbPNSt15iterator_traitsISI_E10value_typeEPNSO_ISJ_E10value_typeEPSK_NS1_7vsmem_tEENKUlT_SI_SJ_SK_E_clISD_PiSD_S10_EESH_SX_SI_SJ_SK_EUlSX_E0_NS1_11comp_targetILNS1_3genE2ELNS1_11target_archE906ELNS1_3gpuE6ELNS1_3repE0EEENS1_38merge_mergepath_config_static_selectorELNS0_4arch9wavefront6targetE1EEEvSJ_,comdat
.Lfunc_end1381:
	.size	_ZN7rocprim17ROCPRIM_400000_NS6detail17trampoline_kernelINS0_14default_configENS1_38merge_sort_block_merge_config_selectorIiiEEZZNS1_27merge_sort_block_merge_implIS3_N6thrust23THRUST_200600_302600_NS6detail15normal_iteratorINS8_10device_ptrIiEEEESD_jNS1_19radix_merge_compareILb0ELb1EiNS0_19identity_decomposerEEEEE10hipError_tT0_T1_T2_jT3_P12ihipStream_tbPNSt15iterator_traitsISI_E10value_typeEPNSO_ISJ_E10value_typeEPSK_NS1_7vsmem_tEENKUlT_SI_SJ_SK_E_clISD_PiSD_S10_EESH_SX_SI_SJ_SK_EUlSX_E0_NS1_11comp_targetILNS1_3genE2ELNS1_11target_archE906ELNS1_3gpuE6ELNS1_3repE0EEENS1_38merge_mergepath_config_static_selectorELNS0_4arch9wavefront6targetE1EEEvSJ_, .Lfunc_end1381-_ZN7rocprim17ROCPRIM_400000_NS6detail17trampoline_kernelINS0_14default_configENS1_38merge_sort_block_merge_config_selectorIiiEEZZNS1_27merge_sort_block_merge_implIS3_N6thrust23THRUST_200600_302600_NS6detail15normal_iteratorINS8_10device_ptrIiEEEESD_jNS1_19radix_merge_compareILb0ELb1EiNS0_19identity_decomposerEEEEE10hipError_tT0_T1_T2_jT3_P12ihipStream_tbPNSt15iterator_traitsISI_E10value_typeEPNSO_ISJ_E10value_typeEPSK_NS1_7vsmem_tEENKUlT_SI_SJ_SK_E_clISD_PiSD_S10_EESH_SX_SI_SJ_SK_EUlSX_E0_NS1_11comp_targetILNS1_3genE2ELNS1_11target_archE906ELNS1_3gpuE6ELNS1_3repE0EEENS1_38merge_mergepath_config_static_selectorELNS0_4arch9wavefront6targetE1EEEvSJ_
                                        ; -- End function
	.set _ZN7rocprim17ROCPRIM_400000_NS6detail17trampoline_kernelINS0_14default_configENS1_38merge_sort_block_merge_config_selectorIiiEEZZNS1_27merge_sort_block_merge_implIS3_N6thrust23THRUST_200600_302600_NS6detail15normal_iteratorINS8_10device_ptrIiEEEESD_jNS1_19radix_merge_compareILb0ELb1EiNS0_19identity_decomposerEEEEE10hipError_tT0_T1_T2_jT3_P12ihipStream_tbPNSt15iterator_traitsISI_E10value_typeEPNSO_ISJ_E10value_typeEPSK_NS1_7vsmem_tEENKUlT_SI_SJ_SK_E_clISD_PiSD_S10_EESH_SX_SI_SJ_SK_EUlSX_E0_NS1_11comp_targetILNS1_3genE2ELNS1_11target_archE906ELNS1_3gpuE6ELNS1_3repE0EEENS1_38merge_mergepath_config_static_selectorELNS0_4arch9wavefront6targetE1EEEvSJ_.num_vgpr, 0
	.set _ZN7rocprim17ROCPRIM_400000_NS6detail17trampoline_kernelINS0_14default_configENS1_38merge_sort_block_merge_config_selectorIiiEEZZNS1_27merge_sort_block_merge_implIS3_N6thrust23THRUST_200600_302600_NS6detail15normal_iteratorINS8_10device_ptrIiEEEESD_jNS1_19radix_merge_compareILb0ELb1EiNS0_19identity_decomposerEEEEE10hipError_tT0_T1_T2_jT3_P12ihipStream_tbPNSt15iterator_traitsISI_E10value_typeEPNSO_ISJ_E10value_typeEPSK_NS1_7vsmem_tEENKUlT_SI_SJ_SK_E_clISD_PiSD_S10_EESH_SX_SI_SJ_SK_EUlSX_E0_NS1_11comp_targetILNS1_3genE2ELNS1_11target_archE906ELNS1_3gpuE6ELNS1_3repE0EEENS1_38merge_mergepath_config_static_selectorELNS0_4arch9wavefront6targetE1EEEvSJ_.num_agpr, 0
	.set _ZN7rocprim17ROCPRIM_400000_NS6detail17trampoline_kernelINS0_14default_configENS1_38merge_sort_block_merge_config_selectorIiiEEZZNS1_27merge_sort_block_merge_implIS3_N6thrust23THRUST_200600_302600_NS6detail15normal_iteratorINS8_10device_ptrIiEEEESD_jNS1_19radix_merge_compareILb0ELb1EiNS0_19identity_decomposerEEEEE10hipError_tT0_T1_T2_jT3_P12ihipStream_tbPNSt15iterator_traitsISI_E10value_typeEPNSO_ISJ_E10value_typeEPSK_NS1_7vsmem_tEENKUlT_SI_SJ_SK_E_clISD_PiSD_S10_EESH_SX_SI_SJ_SK_EUlSX_E0_NS1_11comp_targetILNS1_3genE2ELNS1_11target_archE906ELNS1_3gpuE6ELNS1_3repE0EEENS1_38merge_mergepath_config_static_selectorELNS0_4arch9wavefront6targetE1EEEvSJ_.numbered_sgpr, 0
	.set _ZN7rocprim17ROCPRIM_400000_NS6detail17trampoline_kernelINS0_14default_configENS1_38merge_sort_block_merge_config_selectorIiiEEZZNS1_27merge_sort_block_merge_implIS3_N6thrust23THRUST_200600_302600_NS6detail15normal_iteratorINS8_10device_ptrIiEEEESD_jNS1_19radix_merge_compareILb0ELb1EiNS0_19identity_decomposerEEEEE10hipError_tT0_T1_T2_jT3_P12ihipStream_tbPNSt15iterator_traitsISI_E10value_typeEPNSO_ISJ_E10value_typeEPSK_NS1_7vsmem_tEENKUlT_SI_SJ_SK_E_clISD_PiSD_S10_EESH_SX_SI_SJ_SK_EUlSX_E0_NS1_11comp_targetILNS1_3genE2ELNS1_11target_archE906ELNS1_3gpuE6ELNS1_3repE0EEENS1_38merge_mergepath_config_static_selectorELNS0_4arch9wavefront6targetE1EEEvSJ_.num_named_barrier, 0
	.set _ZN7rocprim17ROCPRIM_400000_NS6detail17trampoline_kernelINS0_14default_configENS1_38merge_sort_block_merge_config_selectorIiiEEZZNS1_27merge_sort_block_merge_implIS3_N6thrust23THRUST_200600_302600_NS6detail15normal_iteratorINS8_10device_ptrIiEEEESD_jNS1_19radix_merge_compareILb0ELb1EiNS0_19identity_decomposerEEEEE10hipError_tT0_T1_T2_jT3_P12ihipStream_tbPNSt15iterator_traitsISI_E10value_typeEPNSO_ISJ_E10value_typeEPSK_NS1_7vsmem_tEENKUlT_SI_SJ_SK_E_clISD_PiSD_S10_EESH_SX_SI_SJ_SK_EUlSX_E0_NS1_11comp_targetILNS1_3genE2ELNS1_11target_archE906ELNS1_3gpuE6ELNS1_3repE0EEENS1_38merge_mergepath_config_static_selectorELNS0_4arch9wavefront6targetE1EEEvSJ_.private_seg_size, 0
	.set _ZN7rocprim17ROCPRIM_400000_NS6detail17trampoline_kernelINS0_14default_configENS1_38merge_sort_block_merge_config_selectorIiiEEZZNS1_27merge_sort_block_merge_implIS3_N6thrust23THRUST_200600_302600_NS6detail15normal_iteratorINS8_10device_ptrIiEEEESD_jNS1_19radix_merge_compareILb0ELb1EiNS0_19identity_decomposerEEEEE10hipError_tT0_T1_T2_jT3_P12ihipStream_tbPNSt15iterator_traitsISI_E10value_typeEPNSO_ISJ_E10value_typeEPSK_NS1_7vsmem_tEENKUlT_SI_SJ_SK_E_clISD_PiSD_S10_EESH_SX_SI_SJ_SK_EUlSX_E0_NS1_11comp_targetILNS1_3genE2ELNS1_11target_archE906ELNS1_3gpuE6ELNS1_3repE0EEENS1_38merge_mergepath_config_static_selectorELNS0_4arch9wavefront6targetE1EEEvSJ_.uses_vcc, 0
	.set _ZN7rocprim17ROCPRIM_400000_NS6detail17trampoline_kernelINS0_14default_configENS1_38merge_sort_block_merge_config_selectorIiiEEZZNS1_27merge_sort_block_merge_implIS3_N6thrust23THRUST_200600_302600_NS6detail15normal_iteratorINS8_10device_ptrIiEEEESD_jNS1_19radix_merge_compareILb0ELb1EiNS0_19identity_decomposerEEEEE10hipError_tT0_T1_T2_jT3_P12ihipStream_tbPNSt15iterator_traitsISI_E10value_typeEPNSO_ISJ_E10value_typeEPSK_NS1_7vsmem_tEENKUlT_SI_SJ_SK_E_clISD_PiSD_S10_EESH_SX_SI_SJ_SK_EUlSX_E0_NS1_11comp_targetILNS1_3genE2ELNS1_11target_archE906ELNS1_3gpuE6ELNS1_3repE0EEENS1_38merge_mergepath_config_static_selectorELNS0_4arch9wavefront6targetE1EEEvSJ_.uses_flat_scratch, 0
	.set _ZN7rocprim17ROCPRIM_400000_NS6detail17trampoline_kernelINS0_14default_configENS1_38merge_sort_block_merge_config_selectorIiiEEZZNS1_27merge_sort_block_merge_implIS3_N6thrust23THRUST_200600_302600_NS6detail15normal_iteratorINS8_10device_ptrIiEEEESD_jNS1_19radix_merge_compareILb0ELb1EiNS0_19identity_decomposerEEEEE10hipError_tT0_T1_T2_jT3_P12ihipStream_tbPNSt15iterator_traitsISI_E10value_typeEPNSO_ISJ_E10value_typeEPSK_NS1_7vsmem_tEENKUlT_SI_SJ_SK_E_clISD_PiSD_S10_EESH_SX_SI_SJ_SK_EUlSX_E0_NS1_11comp_targetILNS1_3genE2ELNS1_11target_archE906ELNS1_3gpuE6ELNS1_3repE0EEENS1_38merge_mergepath_config_static_selectorELNS0_4arch9wavefront6targetE1EEEvSJ_.has_dyn_sized_stack, 0
	.set _ZN7rocprim17ROCPRIM_400000_NS6detail17trampoline_kernelINS0_14default_configENS1_38merge_sort_block_merge_config_selectorIiiEEZZNS1_27merge_sort_block_merge_implIS3_N6thrust23THRUST_200600_302600_NS6detail15normal_iteratorINS8_10device_ptrIiEEEESD_jNS1_19radix_merge_compareILb0ELb1EiNS0_19identity_decomposerEEEEE10hipError_tT0_T1_T2_jT3_P12ihipStream_tbPNSt15iterator_traitsISI_E10value_typeEPNSO_ISJ_E10value_typeEPSK_NS1_7vsmem_tEENKUlT_SI_SJ_SK_E_clISD_PiSD_S10_EESH_SX_SI_SJ_SK_EUlSX_E0_NS1_11comp_targetILNS1_3genE2ELNS1_11target_archE906ELNS1_3gpuE6ELNS1_3repE0EEENS1_38merge_mergepath_config_static_selectorELNS0_4arch9wavefront6targetE1EEEvSJ_.has_recursion, 0
	.set _ZN7rocprim17ROCPRIM_400000_NS6detail17trampoline_kernelINS0_14default_configENS1_38merge_sort_block_merge_config_selectorIiiEEZZNS1_27merge_sort_block_merge_implIS3_N6thrust23THRUST_200600_302600_NS6detail15normal_iteratorINS8_10device_ptrIiEEEESD_jNS1_19radix_merge_compareILb0ELb1EiNS0_19identity_decomposerEEEEE10hipError_tT0_T1_T2_jT3_P12ihipStream_tbPNSt15iterator_traitsISI_E10value_typeEPNSO_ISJ_E10value_typeEPSK_NS1_7vsmem_tEENKUlT_SI_SJ_SK_E_clISD_PiSD_S10_EESH_SX_SI_SJ_SK_EUlSX_E0_NS1_11comp_targetILNS1_3genE2ELNS1_11target_archE906ELNS1_3gpuE6ELNS1_3repE0EEENS1_38merge_mergepath_config_static_selectorELNS0_4arch9wavefront6targetE1EEEvSJ_.has_indirect_call, 0
	.section	.AMDGPU.csdata,"",@progbits
; Kernel info:
; codeLenInByte = 0
; TotalNumSgprs: 6
; NumVgprs: 0
; NumAgprs: 0
; TotalNumVgprs: 0
; ScratchSize: 0
; MemoryBound: 0
; FloatMode: 240
; IeeeMode: 1
; LDSByteSize: 0 bytes/workgroup (compile time only)
; SGPRBlocks: 0
; VGPRBlocks: 0
; NumSGPRsForWavesPerEU: 6
; NumVGPRsForWavesPerEU: 1
; AccumOffset: 4
; Occupancy: 8
; WaveLimiterHint : 0
; COMPUTE_PGM_RSRC2:SCRATCH_EN: 0
; COMPUTE_PGM_RSRC2:USER_SGPR: 2
; COMPUTE_PGM_RSRC2:TRAP_HANDLER: 0
; COMPUTE_PGM_RSRC2:TGID_X_EN: 1
; COMPUTE_PGM_RSRC2:TGID_Y_EN: 0
; COMPUTE_PGM_RSRC2:TGID_Z_EN: 0
; COMPUTE_PGM_RSRC2:TIDIG_COMP_CNT: 0
; COMPUTE_PGM_RSRC3_GFX90A:ACCUM_OFFSET: 0
; COMPUTE_PGM_RSRC3_GFX90A:TG_SPLIT: 0
	.section	.text._ZN7rocprim17ROCPRIM_400000_NS6detail17trampoline_kernelINS0_14default_configENS1_38merge_sort_block_merge_config_selectorIiiEEZZNS1_27merge_sort_block_merge_implIS3_N6thrust23THRUST_200600_302600_NS6detail15normal_iteratorINS8_10device_ptrIiEEEESD_jNS1_19radix_merge_compareILb0ELb1EiNS0_19identity_decomposerEEEEE10hipError_tT0_T1_T2_jT3_P12ihipStream_tbPNSt15iterator_traitsISI_E10value_typeEPNSO_ISJ_E10value_typeEPSK_NS1_7vsmem_tEENKUlT_SI_SJ_SK_E_clISD_PiSD_S10_EESH_SX_SI_SJ_SK_EUlSX_E0_NS1_11comp_targetILNS1_3genE9ELNS1_11target_archE1100ELNS1_3gpuE3ELNS1_3repE0EEENS1_38merge_mergepath_config_static_selectorELNS0_4arch9wavefront6targetE1EEEvSJ_,"axG",@progbits,_ZN7rocprim17ROCPRIM_400000_NS6detail17trampoline_kernelINS0_14default_configENS1_38merge_sort_block_merge_config_selectorIiiEEZZNS1_27merge_sort_block_merge_implIS3_N6thrust23THRUST_200600_302600_NS6detail15normal_iteratorINS8_10device_ptrIiEEEESD_jNS1_19radix_merge_compareILb0ELb1EiNS0_19identity_decomposerEEEEE10hipError_tT0_T1_T2_jT3_P12ihipStream_tbPNSt15iterator_traitsISI_E10value_typeEPNSO_ISJ_E10value_typeEPSK_NS1_7vsmem_tEENKUlT_SI_SJ_SK_E_clISD_PiSD_S10_EESH_SX_SI_SJ_SK_EUlSX_E0_NS1_11comp_targetILNS1_3genE9ELNS1_11target_archE1100ELNS1_3gpuE3ELNS1_3repE0EEENS1_38merge_mergepath_config_static_selectorELNS0_4arch9wavefront6targetE1EEEvSJ_,comdat
	.protected	_ZN7rocprim17ROCPRIM_400000_NS6detail17trampoline_kernelINS0_14default_configENS1_38merge_sort_block_merge_config_selectorIiiEEZZNS1_27merge_sort_block_merge_implIS3_N6thrust23THRUST_200600_302600_NS6detail15normal_iteratorINS8_10device_ptrIiEEEESD_jNS1_19radix_merge_compareILb0ELb1EiNS0_19identity_decomposerEEEEE10hipError_tT0_T1_T2_jT3_P12ihipStream_tbPNSt15iterator_traitsISI_E10value_typeEPNSO_ISJ_E10value_typeEPSK_NS1_7vsmem_tEENKUlT_SI_SJ_SK_E_clISD_PiSD_S10_EESH_SX_SI_SJ_SK_EUlSX_E0_NS1_11comp_targetILNS1_3genE9ELNS1_11target_archE1100ELNS1_3gpuE3ELNS1_3repE0EEENS1_38merge_mergepath_config_static_selectorELNS0_4arch9wavefront6targetE1EEEvSJ_ ; -- Begin function _ZN7rocprim17ROCPRIM_400000_NS6detail17trampoline_kernelINS0_14default_configENS1_38merge_sort_block_merge_config_selectorIiiEEZZNS1_27merge_sort_block_merge_implIS3_N6thrust23THRUST_200600_302600_NS6detail15normal_iteratorINS8_10device_ptrIiEEEESD_jNS1_19radix_merge_compareILb0ELb1EiNS0_19identity_decomposerEEEEE10hipError_tT0_T1_T2_jT3_P12ihipStream_tbPNSt15iterator_traitsISI_E10value_typeEPNSO_ISJ_E10value_typeEPSK_NS1_7vsmem_tEENKUlT_SI_SJ_SK_E_clISD_PiSD_S10_EESH_SX_SI_SJ_SK_EUlSX_E0_NS1_11comp_targetILNS1_3genE9ELNS1_11target_archE1100ELNS1_3gpuE3ELNS1_3repE0EEENS1_38merge_mergepath_config_static_selectorELNS0_4arch9wavefront6targetE1EEEvSJ_
	.globl	_ZN7rocprim17ROCPRIM_400000_NS6detail17trampoline_kernelINS0_14default_configENS1_38merge_sort_block_merge_config_selectorIiiEEZZNS1_27merge_sort_block_merge_implIS3_N6thrust23THRUST_200600_302600_NS6detail15normal_iteratorINS8_10device_ptrIiEEEESD_jNS1_19radix_merge_compareILb0ELb1EiNS0_19identity_decomposerEEEEE10hipError_tT0_T1_T2_jT3_P12ihipStream_tbPNSt15iterator_traitsISI_E10value_typeEPNSO_ISJ_E10value_typeEPSK_NS1_7vsmem_tEENKUlT_SI_SJ_SK_E_clISD_PiSD_S10_EESH_SX_SI_SJ_SK_EUlSX_E0_NS1_11comp_targetILNS1_3genE9ELNS1_11target_archE1100ELNS1_3gpuE3ELNS1_3repE0EEENS1_38merge_mergepath_config_static_selectorELNS0_4arch9wavefront6targetE1EEEvSJ_
	.p2align	8
	.type	_ZN7rocprim17ROCPRIM_400000_NS6detail17trampoline_kernelINS0_14default_configENS1_38merge_sort_block_merge_config_selectorIiiEEZZNS1_27merge_sort_block_merge_implIS3_N6thrust23THRUST_200600_302600_NS6detail15normal_iteratorINS8_10device_ptrIiEEEESD_jNS1_19radix_merge_compareILb0ELb1EiNS0_19identity_decomposerEEEEE10hipError_tT0_T1_T2_jT3_P12ihipStream_tbPNSt15iterator_traitsISI_E10value_typeEPNSO_ISJ_E10value_typeEPSK_NS1_7vsmem_tEENKUlT_SI_SJ_SK_E_clISD_PiSD_S10_EESH_SX_SI_SJ_SK_EUlSX_E0_NS1_11comp_targetILNS1_3genE9ELNS1_11target_archE1100ELNS1_3gpuE3ELNS1_3repE0EEENS1_38merge_mergepath_config_static_selectorELNS0_4arch9wavefront6targetE1EEEvSJ_,@function
_ZN7rocprim17ROCPRIM_400000_NS6detail17trampoline_kernelINS0_14default_configENS1_38merge_sort_block_merge_config_selectorIiiEEZZNS1_27merge_sort_block_merge_implIS3_N6thrust23THRUST_200600_302600_NS6detail15normal_iteratorINS8_10device_ptrIiEEEESD_jNS1_19radix_merge_compareILb0ELb1EiNS0_19identity_decomposerEEEEE10hipError_tT0_T1_T2_jT3_P12ihipStream_tbPNSt15iterator_traitsISI_E10value_typeEPNSO_ISJ_E10value_typeEPSK_NS1_7vsmem_tEENKUlT_SI_SJ_SK_E_clISD_PiSD_S10_EESH_SX_SI_SJ_SK_EUlSX_E0_NS1_11comp_targetILNS1_3genE9ELNS1_11target_archE1100ELNS1_3gpuE3ELNS1_3repE0EEENS1_38merge_mergepath_config_static_selectorELNS0_4arch9wavefront6targetE1EEEvSJ_: ; @_ZN7rocprim17ROCPRIM_400000_NS6detail17trampoline_kernelINS0_14default_configENS1_38merge_sort_block_merge_config_selectorIiiEEZZNS1_27merge_sort_block_merge_implIS3_N6thrust23THRUST_200600_302600_NS6detail15normal_iteratorINS8_10device_ptrIiEEEESD_jNS1_19radix_merge_compareILb0ELb1EiNS0_19identity_decomposerEEEEE10hipError_tT0_T1_T2_jT3_P12ihipStream_tbPNSt15iterator_traitsISI_E10value_typeEPNSO_ISJ_E10value_typeEPSK_NS1_7vsmem_tEENKUlT_SI_SJ_SK_E_clISD_PiSD_S10_EESH_SX_SI_SJ_SK_EUlSX_E0_NS1_11comp_targetILNS1_3genE9ELNS1_11target_archE1100ELNS1_3gpuE3ELNS1_3repE0EEENS1_38merge_mergepath_config_static_selectorELNS0_4arch9wavefront6targetE1EEEvSJ_
; %bb.0:
	.section	.rodata,"a",@progbits
	.p2align	6, 0x0
	.amdhsa_kernel _ZN7rocprim17ROCPRIM_400000_NS6detail17trampoline_kernelINS0_14default_configENS1_38merge_sort_block_merge_config_selectorIiiEEZZNS1_27merge_sort_block_merge_implIS3_N6thrust23THRUST_200600_302600_NS6detail15normal_iteratorINS8_10device_ptrIiEEEESD_jNS1_19radix_merge_compareILb0ELb1EiNS0_19identity_decomposerEEEEE10hipError_tT0_T1_T2_jT3_P12ihipStream_tbPNSt15iterator_traitsISI_E10value_typeEPNSO_ISJ_E10value_typeEPSK_NS1_7vsmem_tEENKUlT_SI_SJ_SK_E_clISD_PiSD_S10_EESH_SX_SI_SJ_SK_EUlSX_E0_NS1_11comp_targetILNS1_3genE9ELNS1_11target_archE1100ELNS1_3gpuE3ELNS1_3repE0EEENS1_38merge_mergepath_config_static_selectorELNS0_4arch9wavefront6targetE1EEEvSJ_
		.amdhsa_group_segment_fixed_size 0
		.amdhsa_private_segment_fixed_size 0
		.amdhsa_kernarg_size 64
		.amdhsa_user_sgpr_count 2
		.amdhsa_user_sgpr_dispatch_ptr 0
		.amdhsa_user_sgpr_queue_ptr 0
		.amdhsa_user_sgpr_kernarg_segment_ptr 1
		.amdhsa_user_sgpr_dispatch_id 0
		.amdhsa_user_sgpr_kernarg_preload_length 0
		.amdhsa_user_sgpr_kernarg_preload_offset 0
		.amdhsa_user_sgpr_private_segment_size 0
		.amdhsa_uses_dynamic_stack 0
		.amdhsa_enable_private_segment 0
		.amdhsa_system_sgpr_workgroup_id_x 1
		.amdhsa_system_sgpr_workgroup_id_y 0
		.amdhsa_system_sgpr_workgroup_id_z 0
		.amdhsa_system_sgpr_workgroup_info 0
		.amdhsa_system_vgpr_workitem_id 0
		.amdhsa_next_free_vgpr 1
		.amdhsa_next_free_sgpr 0
		.amdhsa_accum_offset 4
		.amdhsa_reserve_vcc 0
		.amdhsa_float_round_mode_32 0
		.amdhsa_float_round_mode_16_64 0
		.amdhsa_float_denorm_mode_32 3
		.amdhsa_float_denorm_mode_16_64 3
		.amdhsa_dx10_clamp 1
		.amdhsa_ieee_mode 1
		.amdhsa_fp16_overflow 0
		.amdhsa_tg_split 0
		.amdhsa_exception_fp_ieee_invalid_op 0
		.amdhsa_exception_fp_denorm_src 0
		.amdhsa_exception_fp_ieee_div_zero 0
		.amdhsa_exception_fp_ieee_overflow 0
		.amdhsa_exception_fp_ieee_underflow 0
		.amdhsa_exception_fp_ieee_inexact 0
		.amdhsa_exception_int_div_zero 0
	.end_amdhsa_kernel
	.section	.text._ZN7rocprim17ROCPRIM_400000_NS6detail17trampoline_kernelINS0_14default_configENS1_38merge_sort_block_merge_config_selectorIiiEEZZNS1_27merge_sort_block_merge_implIS3_N6thrust23THRUST_200600_302600_NS6detail15normal_iteratorINS8_10device_ptrIiEEEESD_jNS1_19radix_merge_compareILb0ELb1EiNS0_19identity_decomposerEEEEE10hipError_tT0_T1_T2_jT3_P12ihipStream_tbPNSt15iterator_traitsISI_E10value_typeEPNSO_ISJ_E10value_typeEPSK_NS1_7vsmem_tEENKUlT_SI_SJ_SK_E_clISD_PiSD_S10_EESH_SX_SI_SJ_SK_EUlSX_E0_NS1_11comp_targetILNS1_3genE9ELNS1_11target_archE1100ELNS1_3gpuE3ELNS1_3repE0EEENS1_38merge_mergepath_config_static_selectorELNS0_4arch9wavefront6targetE1EEEvSJ_,"axG",@progbits,_ZN7rocprim17ROCPRIM_400000_NS6detail17trampoline_kernelINS0_14default_configENS1_38merge_sort_block_merge_config_selectorIiiEEZZNS1_27merge_sort_block_merge_implIS3_N6thrust23THRUST_200600_302600_NS6detail15normal_iteratorINS8_10device_ptrIiEEEESD_jNS1_19radix_merge_compareILb0ELb1EiNS0_19identity_decomposerEEEEE10hipError_tT0_T1_T2_jT3_P12ihipStream_tbPNSt15iterator_traitsISI_E10value_typeEPNSO_ISJ_E10value_typeEPSK_NS1_7vsmem_tEENKUlT_SI_SJ_SK_E_clISD_PiSD_S10_EESH_SX_SI_SJ_SK_EUlSX_E0_NS1_11comp_targetILNS1_3genE9ELNS1_11target_archE1100ELNS1_3gpuE3ELNS1_3repE0EEENS1_38merge_mergepath_config_static_selectorELNS0_4arch9wavefront6targetE1EEEvSJ_,comdat
.Lfunc_end1382:
	.size	_ZN7rocprim17ROCPRIM_400000_NS6detail17trampoline_kernelINS0_14default_configENS1_38merge_sort_block_merge_config_selectorIiiEEZZNS1_27merge_sort_block_merge_implIS3_N6thrust23THRUST_200600_302600_NS6detail15normal_iteratorINS8_10device_ptrIiEEEESD_jNS1_19radix_merge_compareILb0ELb1EiNS0_19identity_decomposerEEEEE10hipError_tT0_T1_T2_jT3_P12ihipStream_tbPNSt15iterator_traitsISI_E10value_typeEPNSO_ISJ_E10value_typeEPSK_NS1_7vsmem_tEENKUlT_SI_SJ_SK_E_clISD_PiSD_S10_EESH_SX_SI_SJ_SK_EUlSX_E0_NS1_11comp_targetILNS1_3genE9ELNS1_11target_archE1100ELNS1_3gpuE3ELNS1_3repE0EEENS1_38merge_mergepath_config_static_selectorELNS0_4arch9wavefront6targetE1EEEvSJ_, .Lfunc_end1382-_ZN7rocprim17ROCPRIM_400000_NS6detail17trampoline_kernelINS0_14default_configENS1_38merge_sort_block_merge_config_selectorIiiEEZZNS1_27merge_sort_block_merge_implIS3_N6thrust23THRUST_200600_302600_NS6detail15normal_iteratorINS8_10device_ptrIiEEEESD_jNS1_19radix_merge_compareILb0ELb1EiNS0_19identity_decomposerEEEEE10hipError_tT0_T1_T2_jT3_P12ihipStream_tbPNSt15iterator_traitsISI_E10value_typeEPNSO_ISJ_E10value_typeEPSK_NS1_7vsmem_tEENKUlT_SI_SJ_SK_E_clISD_PiSD_S10_EESH_SX_SI_SJ_SK_EUlSX_E0_NS1_11comp_targetILNS1_3genE9ELNS1_11target_archE1100ELNS1_3gpuE3ELNS1_3repE0EEENS1_38merge_mergepath_config_static_selectorELNS0_4arch9wavefront6targetE1EEEvSJ_
                                        ; -- End function
	.set _ZN7rocprim17ROCPRIM_400000_NS6detail17trampoline_kernelINS0_14default_configENS1_38merge_sort_block_merge_config_selectorIiiEEZZNS1_27merge_sort_block_merge_implIS3_N6thrust23THRUST_200600_302600_NS6detail15normal_iteratorINS8_10device_ptrIiEEEESD_jNS1_19radix_merge_compareILb0ELb1EiNS0_19identity_decomposerEEEEE10hipError_tT0_T1_T2_jT3_P12ihipStream_tbPNSt15iterator_traitsISI_E10value_typeEPNSO_ISJ_E10value_typeEPSK_NS1_7vsmem_tEENKUlT_SI_SJ_SK_E_clISD_PiSD_S10_EESH_SX_SI_SJ_SK_EUlSX_E0_NS1_11comp_targetILNS1_3genE9ELNS1_11target_archE1100ELNS1_3gpuE3ELNS1_3repE0EEENS1_38merge_mergepath_config_static_selectorELNS0_4arch9wavefront6targetE1EEEvSJ_.num_vgpr, 0
	.set _ZN7rocprim17ROCPRIM_400000_NS6detail17trampoline_kernelINS0_14default_configENS1_38merge_sort_block_merge_config_selectorIiiEEZZNS1_27merge_sort_block_merge_implIS3_N6thrust23THRUST_200600_302600_NS6detail15normal_iteratorINS8_10device_ptrIiEEEESD_jNS1_19radix_merge_compareILb0ELb1EiNS0_19identity_decomposerEEEEE10hipError_tT0_T1_T2_jT3_P12ihipStream_tbPNSt15iterator_traitsISI_E10value_typeEPNSO_ISJ_E10value_typeEPSK_NS1_7vsmem_tEENKUlT_SI_SJ_SK_E_clISD_PiSD_S10_EESH_SX_SI_SJ_SK_EUlSX_E0_NS1_11comp_targetILNS1_3genE9ELNS1_11target_archE1100ELNS1_3gpuE3ELNS1_3repE0EEENS1_38merge_mergepath_config_static_selectorELNS0_4arch9wavefront6targetE1EEEvSJ_.num_agpr, 0
	.set _ZN7rocprim17ROCPRIM_400000_NS6detail17trampoline_kernelINS0_14default_configENS1_38merge_sort_block_merge_config_selectorIiiEEZZNS1_27merge_sort_block_merge_implIS3_N6thrust23THRUST_200600_302600_NS6detail15normal_iteratorINS8_10device_ptrIiEEEESD_jNS1_19radix_merge_compareILb0ELb1EiNS0_19identity_decomposerEEEEE10hipError_tT0_T1_T2_jT3_P12ihipStream_tbPNSt15iterator_traitsISI_E10value_typeEPNSO_ISJ_E10value_typeEPSK_NS1_7vsmem_tEENKUlT_SI_SJ_SK_E_clISD_PiSD_S10_EESH_SX_SI_SJ_SK_EUlSX_E0_NS1_11comp_targetILNS1_3genE9ELNS1_11target_archE1100ELNS1_3gpuE3ELNS1_3repE0EEENS1_38merge_mergepath_config_static_selectorELNS0_4arch9wavefront6targetE1EEEvSJ_.numbered_sgpr, 0
	.set _ZN7rocprim17ROCPRIM_400000_NS6detail17trampoline_kernelINS0_14default_configENS1_38merge_sort_block_merge_config_selectorIiiEEZZNS1_27merge_sort_block_merge_implIS3_N6thrust23THRUST_200600_302600_NS6detail15normal_iteratorINS8_10device_ptrIiEEEESD_jNS1_19radix_merge_compareILb0ELb1EiNS0_19identity_decomposerEEEEE10hipError_tT0_T1_T2_jT3_P12ihipStream_tbPNSt15iterator_traitsISI_E10value_typeEPNSO_ISJ_E10value_typeEPSK_NS1_7vsmem_tEENKUlT_SI_SJ_SK_E_clISD_PiSD_S10_EESH_SX_SI_SJ_SK_EUlSX_E0_NS1_11comp_targetILNS1_3genE9ELNS1_11target_archE1100ELNS1_3gpuE3ELNS1_3repE0EEENS1_38merge_mergepath_config_static_selectorELNS0_4arch9wavefront6targetE1EEEvSJ_.num_named_barrier, 0
	.set _ZN7rocprim17ROCPRIM_400000_NS6detail17trampoline_kernelINS0_14default_configENS1_38merge_sort_block_merge_config_selectorIiiEEZZNS1_27merge_sort_block_merge_implIS3_N6thrust23THRUST_200600_302600_NS6detail15normal_iteratorINS8_10device_ptrIiEEEESD_jNS1_19radix_merge_compareILb0ELb1EiNS0_19identity_decomposerEEEEE10hipError_tT0_T1_T2_jT3_P12ihipStream_tbPNSt15iterator_traitsISI_E10value_typeEPNSO_ISJ_E10value_typeEPSK_NS1_7vsmem_tEENKUlT_SI_SJ_SK_E_clISD_PiSD_S10_EESH_SX_SI_SJ_SK_EUlSX_E0_NS1_11comp_targetILNS1_3genE9ELNS1_11target_archE1100ELNS1_3gpuE3ELNS1_3repE0EEENS1_38merge_mergepath_config_static_selectorELNS0_4arch9wavefront6targetE1EEEvSJ_.private_seg_size, 0
	.set _ZN7rocprim17ROCPRIM_400000_NS6detail17trampoline_kernelINS0_14default_configENS1_38merge_sort_block_merge_config_selectorIiiEEZZNS1_27merge_sort_block_merge_implIS3_N6thrust23THRUST_200600_302600_NS6detail15normal_iteratorINS8_10device_ptrIiEEEESD_jNS1_19radix_merge_compareILb0ELb1EiNS0_19identity_decomposerEEEEE10hipError_tT0_T1_T2_jT3_P12ihipStream_tbPNSt15iterator_traitsISI_E10value_typeEPNSO_ISJ_E10value_typeEPSK_NS1_7vsmem_tEENKUlT_SI_SJ_SK_E_clISD_PiSD_S10_EESH_SX_SI_SJ_SK_EUlSX_E0_NS1_11comp_targetILNS1_3genE9ELNS1_11target_archE1100ELNS1_3gpuE3ELNS1_3repE0EEENS1_38merge_mergepath_config_static_selectorELNS0_4arch9wavefront6targetE1EEEvSJ_.uses_vcc, 0
	.set _ZN7rocprim17ROCPRIM_400000_NS6detail17trampoline_kernelINS0_14default_configENS1_38merge_sort_block_merge_config_selectorIiiEEZZNS1_27merge_sort_block_merge_implIS3_N6thrust23THRUST_200600_302600_NS6detail15normal_iteratorINS8_10device_ptrIiEEEESD_jNS1_19radix_merge_compareILb0ELb1EiNS0_19identity_decomposerEEEEE10hipError_tT0_T1_T2_jT3_P12ihipStream_tbPNSt15iterator_traitsISI_E10value_typeEPNSO_ISJ_E10value_typeEPSK_NS1_7vsmem_tEENKUlT_SI_SJ_SK_E_clISD_PiSD_S10_EESH_SX_SI_SJ_SK_EUlSX_E0_NS1_11comp_targetILNS1_3genE9ELNS1_11target_archE1100ELNS1_3gpuE3ELNS1_3repE0EEENS1_38merge_mergepath_config_static_selectorELNS0_4arch9wavefront6targetE1EEEvSJ_.uses_flat_scratch, 0
	.set _ZN7rocprim17ROCPRIM_400000_NS6detail17trampoline_kernelINS0_14default_configENS1_38merge_sort_block_merge_config_selectorIiiEEZZNS1_27merge_sort_block_merge_implIS3_N6thrust23THRUST_200600_302600_NS6detail15normal_iteratorINS8_10device_ptrIiEEEESD_jNS1_19radix_merge_compareILb0ELb1EiNS0_19identity_decomposerEEEEE10hipError_tT0_T1_T2_jT3_P12ihipStream_tbPNSt15iterator_traitsISI_E10value_typeEPNSO_ISJ_E10value_typeEPSK_NS1_7vsmem_tEENKUlT_SI_SJ_SK_E_clISD_PiSD_S10_EESH_SX_SI_SJ_SK_EUlSX_E0_NS1_11comp_targetILNS1_3genE9ELNS1_11target_archE1100ELNS1_3gpuE3ELNS1_3repE0EEENS1_38merge_mergepath_config_static_selectorELNS0_4arch9wavefront6targetE1EEEvSJ_.has_dyn_sized_stack, 0
	.set _ZN7rocprim17ROCPRIM_400000_NS6detail17trampoline_kernelINS0_14default_configENS1_38merge_sort_block_merge_config_selectorIiiEEZZNS1_27merge_sort_block_merge_implIS3_N6thrust23THRUST_200600_302600_NS6detail15normal_iteratorINS8_10device_ptrIiEEEESD_jNS1_19radix_merge_compareILb0ELb1EiNS0_19identity_decomposerEEEEE10hipError_tT0_T1_T2_jT3_P12ihipStream_tbPNSt15iterator_traitsISI_E10value_typeEPNSO_ISJ_E10value_typeEPSK_NS1_7vsmem_tEENKUlT_SI_SJ_SK_E_clISD_PiSD_S10_EESH_SX_SI_SJ_SK_EUlSX_E0_NS1_11comp_targetILNS1_3genE9ELNS1_11target_archE1100ELNS1_3gpuE3ELNS1_3repE0EEENS1_38merge_mergepath_config_static_selectorELNS0_4arch9wavefront6targetE1EEEvSJ_.has_recursion, 0
	.set _ZN7rocprim17ROCPRIM_400000_NS6detail17trampoline_kernelINS0_14default_configENS1_38merge_sort_block_merge_config_selectorIiiEEZZNS1_27merge_sort_block_merge_implIS3_N6thrust23THRUST_200600_302600_NS6detail15normal_iteratorINS8_10device_ptrIiEEEESD_jNS1_19radix_merge_compareILb0ELb1EiNS0_19identity_decomposerEEEEE10hipError_tT0_T1_T2_jT3_P12ihipStream_tbPNSt15iterator_traitsISI_E10value_typeEPNSO_ISJ_E10value_typeEPSK_NS1_7vsmem_tEENKUlT_SI_SJ_SK_E_clISD_PiSD_S10_EESH_SX_SI_SJ_SK_EUlSX_E0_NS1_11comp_targetILNS1_3genE9ELNS1_11target_archE1100ELNS1_3gpuE3ELNS1_3repE0EEENS1_38merge_mergepath_config_static_selectorELNS0_4arch9wavefront6targetE1EEEvSJ_.has_indirect_call, 0
	.section	.AMDGPU.csdata,"",@progbits
; Kernel info:
; codeLenInByte = 0
; TotalNumSgprs: 6
; NumVgprs: 0
; NumAgprs: 0
; TotalNumVgprs: 0
; ScratchSize: 0
; MemoryBound: 0
; FloatMode: 240
; IeeeMode: 1
; LDSByteSize: 0 bytes/workgroup (compile time only)
; SGPRBlocks: 0
; VGPRBlocks: 0
; NumSGPRsForWavesPerEU: 6
; NumVGPRsForWavesPerEU: 1
; AccumOffset: 4
; Occupancy: 8
; WaveLimiterHint : 0
; COMPUTE_PGM_RSRC2:SCRATCH_EN: 0
; COMPUTE_PGM_RSRC2:USER_SGPR: 2
; COMPUTE_PGM_RSRC2:TRAP_HANDLER: 0
; COMPUTE_PGM_RSRC2:TGID_X_EN: 1
; COMPUTE_PGM_RSRC2:TGID_Y_EN: 0
; COMPUTE_PGM_RSRC2:TGID_Z_EN: 0
; COMPUTE_PGM_RSRC2:TIDIG_COMP_CNT: 0
; COMPUTE_PGM_RSRC3_GFX90A:ACCUM_OFFSET: 0
; COMPUTE_PGM_RSRC3_GFX90A:TG_SPLIT: 0
	.section	.text._ZN7rocprim17ROCPRIM_400000_NS6detail17trampoline_kernelINS0_14default_configENS1_38merge_sort_block_merge_config_selectorIiiEEZZNS1_27merge_sort_block_merge_implIS3_N6thrust23THRUST_200600_302600_NS6detail15normal_iteratorINS8_10device_ptrIiEEEESD_jNS1_19radix_merge_compareILb0ELb1EiNS0_19identity_decomposerEEEEE10hipError_tT0_T1_T2_jT3_P12ihipStream_tbPNSt15iterator_traitsISI_E10value_typeEPNSO_ISJ_E10value_typeEPSK_NS1_7vsmem_tEENKUlT_SI_SJ_SK_E_clISD_PiSD_S10_EESH_SX_SI_SJ_SK_EUlSX_E0_NS1_11comp_targetILNS1_3genE8ELNS1_11target_archE1030ELNS1_3gpuE2ELNS1_3repE0EEENS1_38merge_mergepath_config_static_selectorELNS0_4arch9wavefront6targetE1EEEvSJ_,"axG",@progbits,_ZN7rocprim17ROCPRIM_400000_NS6detail17trampoline_kernelINS0_14default_configENS1_38merge_sort_block_merge_config_selectorIiiEEZZNS1_27merge_sort_block_merge_implIS3_N6thrust23THRUST_200600_302600_NS6detail15normal_iteratorINS8_10device_ptrIiEEEESD_jNS1_19radix_merge_compareILb0ELb1EiNS0_19identity_decomposerEEEEE10hipError_tT0_T1_T2_jT3_P12ihipStream_tbPNSt15iterator_traitsISI_E10value_typeEPNSO_ISJ_E10value_typeEPSK_NS1_7vsmem_tEENKUlT_SI_SJ_SK_E_clISD_PiSD_S10_EESH_SX_SI_SJ_SK_EUlSX_E0_NS1_11comp_targetILNS1_3genE8ELNS1_11target_archE1030ELNS1_3gpuE2ELNS1_3repE0EEENS1_38merge_mergepath_config_static_selectorELNS0_4arch9wavefront6targetE1EEEvSJ_,comdat
	.protected	_ZN7rocprim17ROCPRIM_400000_NS6detail17trampoline_kernelINS0_14default_configENS1_38merge_sort_block_merge_config_selectorIiiEEZZNS1_27merge_sort_block_merge_implIS3_N6thrust23THRUST_200600_302600_NS6detail15normal_iteratorINS8_10device_ptrIiEEEESD_jNS1_19radix_merge_compareILb0ELb1EiNS0_19identity_decomposerEEEEE10hipError_tT0_T1_T2_jT3_P12ihipStream_tbPNSt15iterator_traitsISI_E10value_typeEPNSO_ISJ_E10value_typeEPSK_NS1_7vsmem_tEENKUlT_SI_SJ_SK_E_clISD_PiSD_S10_EESH_SX_SI_SJ_SK_EUlSX_E0_NS1_11comp_targetILNS1_3genE8ELNS1_11target_archE1030ELNS1_3gpuE2ELNS1_3repE0EEENS1_38merge_mergepath_config_static_selectorELNS0_4arch9wavefront6targetE1EEEvSJ_ ; -- Begin function _ZN7rocprim17ROCPRIM_400000_NS6detail17trampoline_kernelINS0_14default_configENS1_38merge_sort_block_merge_config_selectorIiiEEZZNS1_27merge_sort_block_merge_implIS3_N6thrust23THRUST_200600_302600_NS6detail15normal_iteratorINS8_10device_ptrIiEEEESD_jNS1_19radix_merge_compareILb0ELb1EiNS0_19identity_decomposerEEEEE10hipError_tT0_T1_T2_jT3_P12ihipStream_tbPNSt15iterator_traitsISI_E10value_typeEPNSO_ISJ_E10value_typeEPSK_NS1_7vsmem_tEENKUlT_SI_SJ_SK_E_clISD_PiSD_S10_EESH_SX_SI_SJ_SK_EUlSX_E0_NS1_11comp_targetILNS1_3genE8ELNS1_11target_archE1030ELNS1_3gpuE2ELNS1_3repE0EEENS1_38merge_mergepath_config_static_selectorELNS0_4arch9wavefront6targetE1EEEvSJ_
	.globl	_ZN7rocprim17ROCPRIM_400000_NS6detail17trampoline_kernelINS0_14default_configENS1_38merge_sort_block_merge_config_selectorIiiEEZZNS1_27merge_sort_block_merge_implIS3_N6thrust23THRUST_200600_302600_NS6detail15normal_iteratorINS8_10device_ptrIiEEEESD_jNS1_19radix_merge_compareILb0ELb1EiNS0_19identity_decomposerEEEEE10hipError_tT0_T1_T2_jT3_P12ihipStream_tbPNSt15iterator_traitsISI_E10value_typeEPNSO_ISJ_E10value_typeEPSK_NS1_7vsmem_tEENKUlT_SI_SJ_SK_E_clISD_PiSD_S10_EESH_SX_SI_SJ_SK_EUlSX_E0_NS1_11comp_targetILNS1_3genE8ELNS1_11target_archE1030ELNS1_3gpuE2ELNS1_3repE0EEENS1_38merge_mergepath_config_static_selectorELNS0_4arch9wavefront6targetE1EEEvSJ_
	.p2align	8
	.type	_ZN7rocprim17ROCPRIM_400000_NS6detail17trampoline_kernelINS0_14default_configENS1_38merge_sort_block_merge_config_selectorIiiEEZZNS1_27merge_sort_block_merge_implIS3_N6thrust23THRUST_200600_302600_NS6detail15normal_iteratorINS8_10device_ptrIiEEEESD_jNS1_19radix_merge_compareILb0ELb1EiNS0_19identity_decomposerEEEEE10hipError_tT0_T1_T2_jT3_P12ihipStream_tbPNSt15iterator_traitsISI_E10value_typeEPNSO_ISJ_E10value_typeEPSK_NS1_7vsmem_tEENKUlT_SI_SJ_SK_E_clISD_PiSD_S10_EESH_SX_SI_SJ_SK_EUlSX_E0_NS1_11comp_targetILNS1_3genE8ELNS1_11target_archE1030ELNS1_3gpuE2ELNS1_3repE0EEENS1_38merge_mergepath_config_static_selectorELNS0_4arch9wavefront6targetE1EEEvSJ_,@function
_ZN7rocprim17ROCPRIM_400000_NS6detail17trampoline_kernelINS0_14default_configENS1_38merge_sort_block_merge_config_selectorIiiEEZZNS1_27merge_sort_block_merge_implIS3_N6thrust23THRUST_200600_302600_NS6detail15normal_iteratorINS8_10device_ptrIiEEEESD_jNS1_19radix_merge_compareILb0ELb1EiNS0_19identity_decomposerEEEEE10hipError_tT0_T1_T2_jT3_P12ihipStream_tbPNSt15iterator_traitsISI_E10value_typeEPNSO_ISJ_E10value_typeEPSK_NS1_7vsmem_tEENKUlT_SI_SJ_SK_E_clISD_PiSD_S10_EESH_SX_SI_SJ_SK_EUlSX_E0_NS1_11comp_targetILNS1_3genE8ELNS1_11target_archE1030ELNS1_3gpuE2ELNS1_3repE0EEENS1_38merge_mergepath_config_static_selectorELNS0_4arch9wavefront6targetE1EEEvSJ_: ; @_ZN7rocprim17ROCPRIM_400000_NS6detail17trampoline_kernelINS0_14default_configENS1_38merge_sort_block_merge_config_selectorIiiEEZZNS1_27merge_sort_block_merge_implIS3_N6thrust23THRUST_200600_302600_NS6detail15normal_iteratorINS8_10device_ptrIiEEEESD_jNS1_19radix_merge_compareILb0ELb1EiNS0_19identity_decomposerEEEEE10hipError_tT0_T1_T2_jT3_P12ihipStream_tbPNSt15iterator_traitsISI_E10value_typeEPNSO_ISJ_E10value_typeEPSK_NS1_7vsmem_tEENKUlT_SI_SJ_SK_E_clISD_PiSD_S10_EESH_SX_SI_SJ_SK_EUlSX_E0_NS1_11comp_targetILNS1_3genE8ELNS1_11target_archE1030ELNS1_3gpuE2ELNS1_3repE0EEENS1_38merge_mergepath_config_static_selectorELNS0_4arch9wavefront6targetE1EEEvSJ_
; %bb.0:
	.section	.rodata,"a",@progbits
	.p2align	6, 0x0
	.amdhsa_kernel _ZN7rocprim17ROCPRIM_400000_NS6detail17trampoline_kernelINS0_14default_configENS1_38merge_sort_block_merge_config_selectorIiiEEZZNS1_27merge_sort_block_merge_implIS3_N6thrust23THRUST_200600_302600_NS6detail15normal_iteratorINS8_10device_ptrIiEEEESD_jNS1_19radix_merge_compareILb0ELb1EiNS0_19identity_decomposerEEEEE10hipError_tT0_T1_T2_jT3_P12ihipStream_tbPNSt15iterator_traitsISI_E10value_typeEPNSO_ISJ_E10value_typeEPSK_NS1_7vsmem_tEENKUlT_SI_SJ_SK_E_clISD_PiSD_S10_EESH_SX_SI_SJ_SK_EUlSX_E0_NS1_11comp_targetILNS1_3genE8ELNS1_11target_archE1030ELNS1_3gpuE2ELNS1_3repE0EEENS1_38merge_mergepath_config_static_selectorELNS0_4arch9wavefront6targetE1EEEvSJ_
		.amdhsa_group_segment_fixed_size 0
		.amdhsa_private_segment_fixed_size 0
		.amdhsa_kernarg_size 64
		.amdhsa_user_sgpr_count 2
		.amdhsa_user_sgpr_dispatch_ptr 0
		.amdhsa_user_sgpr_queue_ptr 0
		.amdhsa_user_sgpr_kernarg_segment_ptr 1
		.amdhsa_user_sgpr_dispatch_id 0
		.amdhsa_user_sgpr_kernarg_preload_length 0
		.amdhsa_user_sgpr_kernarg_preload_offset 0
		.amdhsa_user_sgpr_private_segment_size 0
		.amdhsa_uses_dynamic_stack 0
		.amdhsa_enable_private_segment 0
		.amdhsa_system_sgpr_workgroup_id_x 1
		.amdhsa_system_sgpr_workgroup_id_y 0
		.amdhsa_system_sgpr_workgroup_id_z 0
		.amdhsa_system_sgpr_workgroup_info 0
		.amdhsa_system_vgpr_workitem_id 0
		.amdhsa_next_free_vgpr 1
		.amdhsa_next_free_sgpr 0
		.amdhsa_accum_offset 4
		.amdhsa_reserve_vcc 0
		.amdhsa_float_round_mode_32 0
		.amdhsa_float_round_mode_16_64 0
		.amdhsa_float_denorm_mode_32 3
		.amdhsa_float_denorm_mode_16_64 3
		.amdhsa_dx10_clamp 1
		.amdhsa_ieee_mode 1
		.amdhsa_fp16_overflow 0
		.amdhsa_tg_split 0
		.amdhsa_exception_fp_ieee_invalid_op 0
		.amdhsa_exception_fp_denorm_src 0
		.amdhsa_exception_fp_ieee_div_zero 0
		.amdhsa_exception_fp_ieee_overflow 0
		.amdhsa_exception_fp_ieee_underflow 0
		.amdhsa_exception_fp_ieee_inexact 0
		.amdhsa_exception_int_div_zero 0
	.end_amdhsa_kernel
	.section	.text._ZN7rocprim17ROCPRIM_400000_NS6detail17trampoline_kernelINS0_14default_configENS1_38merge_sort_block_merge_config_selectorIiiEEZZNS1_27merge_sort_block_merge_implIS3_N6thrust23THRUST_200600_302600_NS6detail15normal_iteratorINS8_10device_ptrIiEEEESD_jNS1_19radix_merge_compareILb0ELb1EiNS0_19identity_decomposerEEEEE10hipError_tT0_T1_T2_jT3_P12ihipStream_tbPNSt15iterator_traitsISI_E10value_typeEPNSO_ISJ_E10value_typeEPSK_NS1_7vsmem_tEENKUlT_SI_SJ_SK_E_clISD_PiSD_S10_EESH_SX_SI_SJ_SK_EUlSX_E0_NS1_11comp_targetILNS1_3genE8ELNS1_11target_archE1030ELNS1_3gpuE2ELNS1_3repE0EEENS1_38merge_mergepath_config_static_selectorELNS0_4arch9wavefront6targetE1EEEvSJ_,"axG",@progbits,_ZN7rocprim17ROCPRIM_400000_NS6detail17trampoline_kernelINS0_14default_configENS1_38merge_sort_block_merge_config_selectorIiiEEZZNS1_27merge_sort_block_merge_implIS3_N6thrust23THRUST_200600_302600_NS6detail15normal_iteratorINS8_10device_ptrIiEEEESD_jNS1_19radix_merge_compareILb0ELb1EiNS0_19identity_decomposerEEEEE10hipError_tT0_T1_T2_jT3_P12ihipStream_tbPNSt15iterator_traitsISI_E10value_typeEPNSO_ISJ_E10value_typeEPSK_NS1_7vsmem_tEENKUlT_SI_SJ_SK_E_clISD_PiSD_S10_EESH_SX_SI_SJ_SK_EUlSX_E0_NS1_11comp_targetILNS1_3genE8ELNS1_11target_archE1030ELNS1_3gpuE2ELNS1_3repE0EEENS1_38merge_mergepath_config_static_selectorELNS0_4arch9wavefront6targetE1EEEvSJ_,comdat
.Lfunc_end1383:
	.size	_ZN7rocprim17ROCPRIM_400000_NS6detail17trampoline_kernelINS0_14default_configENS1_38merge_sort_block_merge_config_selectorIiiEEZZNS1_27merge_sort_block_merge_implIS3_N6thrust23THRUST_200600_302600_NS6detail15normal_iteratorINS8_10device_ptrIiEEEESD_jNS1_19radix_merge_compareILb0ELb1EiNS0_19identity_decomposerEEEEE10hipError_tT0_T1_T2_jT3_P12ihipStream_tbPNSt15iterator_traitsISI_E10value_typeEPNSO_ISJ_E10value_typeEPSK_NS1_7vsmem_tEENKUlT_SI_SJ_SK_E_clISD_PiSD_S10_EESH_SX_SI_SJ_SK_EUlSX_E0_NS1_11comp_targetILNS1_3genE8ELNS1_11target_archE1030ELNS1_3gpuE2ELNS1_3repE0EEENS1_38merge_mergepath_config_static_selectorELNS0_4arch9wavefront6targetE1EEEvSJ_, .Lfunc_end1383-_ZN7rocprim17ROCPRIM_400000_NS6detail17trampoline_kernelINS0_14default_configENS1_38merge_sort_block_merge_config_selectorIiiEEZZNS1_27merge_sort_block_merge_implIS3_N6thrust23THRUST_200600_302600_NS6detail15normal_iteratorINS8_10device_ptrIiEEEESD_jNS1_19radix_merge_compareILb0ELb1EiNS0_19identity_decomposerEEEEE10hipError_tT0_T1_T2_jT3_P12ihipStream_tbPNSt15iterator_traitsISI_E10value_typeEPNSO_ISJ_E10value_typeEPSK_NS1_7vsmem_tEENKUlT_SI_SJ_SK_E_clISD_PiSD_S10_EESH_SX_SI_SJ_SK_EUlSX_E0_NS1_11comp_targetILNS1_3genE8ELNS1_11target_archE1030ELNS1_3gpuE2ELNS1_3repE0EEENS1_38merge_mergepath_config_static_selectorELNS0_4arch9wavefront6targetE1EEEvSJ_
                                        ; -- End function
	.set _ZN7rocprim17ROCPRIM_400000_NS6detail17trampoline_kernelINS0_14default_configENS1_38merge_sort_block_merge_config_selectorIiiEEZZNS1_27merge_sort_block_merge_implIS3_N6thrust23THRUST_200600_302600_NS6detail15normal_iteratorINS8_10device_ptrIiEEEESD_jNS1_19radix_merge_compareILb0ELb1EiNS0_19identity_decomposerEEEEE10hipError_tT0_T1_T2_jT3_P12ihipStream_tbPNSt15iterator_traitsISI_E10value_typeEPNSO_ISJ_E10value_typeEPSK_NS1_7vsmem_tEENKUlT_SI_SJ_SK_E_clISD_PiSD_S10_EESH_SX_SI_SJ_SK_EUlSX_E0_NS1_11comp_targetILNS1_3genE8ELNS1_11target_archE1030ELNS1_3gpuE2ELNS1_3repE0EEENS1_38merge_mergepath_config_static_selectorELNS0_4arch9wavefront6targetE1EEEvSJ_.num_vgpr, 0
	.set _ZN7rocprim17ROCPRIM_400000_NS6detail17trampoline_kernelINS0_14default_configENS1_38merge_sort_block_merge_config_selectorIiiEEZZNS1_27merge_sort_block_merge_implIS3_N6thrust23THRUST_200600_302600_NS6detail15normal_iteratorINS8_10device_ptrIiEEEESD_jNS1_19radix_merge_compareILb0ELb1EiNS0_19identity_decomposerEEEEE10hipError_tT0_T1_T2_jT3_P12ihipStream_tbPNSt15iterator_traitsISI_E10value_typeEPNSO_ISJ_E10value_typeEPSK_NS1_7vsmem_tEENKUlT_SI_SJ_SK_E_clISD_PiSD_S10_EESH_SX_SI_SJ_SK_EUlSX_E0_NS1_11comp_targetILNS1_3genE8ELNS1_11target_archE1030ELNS1_3gpuE2ELNS1_3repE0EEENS1_38merge_mergepath_config_static_selectorELNS0_4arch9wavefront6targetE1EEEvSJ_.num_agpr, 0
	.set _ZN7rocprim17ROCPRIM_400000_NS6detail17trampoline_kernelINS0_14default_configENS1_38merge_sort_block_merge_config_selectorIiiEEZZNS1_27merge_sort_block_merge_implIS3_N6thrust23THRUST_200600_302600_NS6detail15normal_iteratorINS8_10device_ptrIiEEEESD_jNS1_19radix_merge_compareILb0ELb1EiNS0_19identity_decomposerEEEEE10hipError_tT0_T1_T2_jT3_P12ihipStream_tbPNSt15iterator_traitsISI_E10value_typeEPNSO_ISJ_E10value_typeEPSK_NS1_7vsmem_tEENKUlT_SI_SJ_SK_E_clISD_PiSD_S10_EESH_SX_SI_SJ_SK_EUlSX_E0_NS1_11comp_targetILNS1_3genE8ELNS1_11target_archE1030ELNS1_3gpuE2ELNS1_3repE0EEENS1_38merge_mergepath_config_static_selectorELNS0_4arch9wavefront6targetE1EEEvSJ_.numbered_sgpr, 0
	.set _ZN7rocprim17ROCPRIM_400000_NS6detail17trampoline_kernelINS0_14default_configENS1_38merge_sort_block_merge_config_selectorIiiEEZZNS1_27merge_sort_block_merge_implIS3_N6thrust23THRUST_200600_302600_NS6detail15normal_iteratorINS8_10device_ptrIiEEEESD_jNS1_19radix_merge_compareILb0ELb1EiNS0_19identity_decomposerEEEEE10hipError_tT0_T1_T2_jT3_P12ihipStream_tbPNSt15iterator_traitsISI_E10value_typeEPNSO_ISJ_E10value_typeEPSK_NS1_7vsmem_tEENKUlT_SI_SJ_SK_E_clISD_PiSD_S10_EESH_SX_SI_SJ_SK_EUlSX_E0_NS1_11comp_targetILNS1_3genE8ELNS1_11target_archE1030ELNS1_3gpuE2ELNS1_3repE0EEENS1_38merge_mergepath_config_static_selectorELNS0_4arch9wavefront6targetE1EEEvSJ_.num_named_barrier, 0
	.set _ZN7rocprim17ROCPRIM_400000_NS6detail17trampoline_kernelINS0_14default_configENS1_38merge_sort_block_merge_config_selectorIiiEEZZNS1_27merge_sort_block_merge_implIS3_N6thrust23THRUST_200600_302600_NS6detail15normal_iteratorINS8_10device_ptrIiEEEESD_jNS1_19radix_merge_compareILb0ELb1EiNS0_19identity_decomposerEEEEE10hipError_tT0_T1_T2_jT3_P12ihipStream_tbPNSt15iterator_traitsISI_E10value_typeEPNSO_ISJ_E10value_typeEPSK_NS1_7vsmem_tEENKUlT_SI_SJ_SK_E_clISD_PiSD_S10_EESH_SX_SI_SJ_SK_EUlSX_E0_NS1_11comp_targetILNS1_3genE8ELNS1_11target_archE1030ELNS1_3gpuE2ELNS1_3repE0EEENS1_38merge_mergepath_config_static_selectorELNS0_4arch9wavefront6targetE1EEEvSJ_.private_seg_size, 0
	.set _ZN7rocprim17ROCPRIM_400000_NS6detail17trampoline_kernelINS0_14default_configENS1_38merge_sort_block_merge_config_selectorIiiEEZZNS1_27merge_sort_block_merge_implIS3_N6thrust23THRUST_200600_302600_NS6detail15normal_iteratorINS8_10device_ptrIiEEEESD_jNS1_19radix_merge_compareILb0ELb1EiNS0_19identity_decomposerEEEEE10hipError_tT0_T1_T2_jT3_P12ihipStream_tbPNSt15iterator_traitsISI_E10value_typeEPNSO_ISJ_E10value_typeEPSK_NS1_7vsmem_tEENKUlT_SI_SJ_SK_E_clISD_PiSD_S10_EESH_SX_SI_SJ_SK_EUlSX_E0_NS1_11comp_targetILNS1_3genE8ELNS1_11target_archE1030ELNS1_3gpuE2ELNS1_3repE0EEENS1_38merge_mergepath_config_static_selectorELNS0_4arch9wavefront6targetE1EEEvSJ_.uses_vcc, 0
	.set _ZN7rocprim17ROCPRIM_400000_NS6detail17trampoline_kernelINS0_14default_configENS1_38merge_sort_block_merge_config_selectorIiiEEZZNS1_27merge_sort_block_merge_implIS3_N6thrust23THRUST_200600_302600_NS6detail15normal_iteratorINS8_10device_ptrIiEEEESD_jNS1_19radix_merge_compareILb0ELb1EiNS0_19identity_decomposerEEEEE10hipError_tT0_T1_T2_jT3_P12ihipStream_tbPNSt15iterator_traitsISI_E10value_typeEPNSO_ISJ_E10value_typeEPSK_NS1_7vsmem_tEENKUlT_SI_SJ_SK_E_clISD_PiSD_S10_EESH_SX_SI_SJ_SK_EUlSX_E0_NS1_11comp_targetILNS1_3genE8ELNS1_11target_archE1030ELNS1_3gpuE2ELNS1_3repE0EEENS1_38merge_mergepath_config_static_selectorELNS0_4arch9wavefront6targetE1EEEvSJ_.uses_flat_scratch, 0
	.set _ZN7rocprim17ROCPRIM_400000_NS6detail17trampoline_kernelINS0_14default_configENS1_38merge_sort_block_merge_config_selectorIiiEEZZNS1_27merge_sort_block_merge_implIS3_N6thrust23THRUST_200600_302600_NS6detail15normal_iteratorINS8_10device_ptrIiEEEESD_jNS1_19radix_merge_compareILb0ELb1EiNS0_19identity_decomposerEEEEE10hipError_tT0_T1_T2_jT3_P12ihipStream_tbPNSt15iterator_traitsISI_E10value_typeEPNSO_ISJ_E10value_typeEPSK_NS1_7vsmem_tEENKUlT_SI_SJ_SK_E_clISD_PiSD_S10_EESH_SX_SI_SJ_SK_EUlSX_E0_NS1_11comp_targetILNS1_3genE8ELNS1_11target_archE1030ELNS1_3gpuE2ELNS1_3repE0EEENS1_38merge_mergepath_config_static_selectorELNS0_4arch9wavefront6targetE1EEEvSJ_.has_dyn_sized_stack, 0
	.set _ZN7rocprim17ROCPRIM_400000_NS6detail17trampoline_kernelINS0_14default_configENS1_38merge_sort_block_merge_config_selectorIiiEEZZNS1_27merge_sort_block_merge_implIS3_N6thrust23THRUST_200600_302600_NS6detail15normal_iteratorINS8_10device_ptrIiEEEESD_jNS1_19radix_merge_compareILb0ELb1EiNS0_19identity_decomposerEEEEE10hipError_tT0_T1_T2_jT3_P12ihipStream_tbPNSt15iterator_traitsISI_E10value_typeEPNSO_ISJ_E10value_typeEPSK_NS1_7vsmem_tEENKUlT_SI_SJ_SK_E_clISD_PiSD_S10_EESH_SX_SI_SJ_SK_EUlSX_E0_NS1_11comp_targetILNS1_3genE8ELNS1_11target_archE1030ELNS1_3gpuE2ELNS1_3repE0EEENS1_38merge_mergepath_config_static_selectorELNS0_4arch9wavefront6targetE1EEEvSJ_.has_recursion, 0
	.set _ZN7rocprim17ROCPRIM_400000_NS6detail17trampoline_kernelINS0_14default_configENS1_38merge_sort_block_merge_config_selectorIiiEEZZNS1_27merge_sort_block_merge_implIS3_N6thrust23THRUST_200600_302600_NS6detail15normal_iteratorINS8_10device_ptrIiEEEESD_jNS1_19radix_merge_compareILb0ELb1EiNS0_19identity_decomposerEEEEE10hipError_tT0_T1_T2_jT3_P12ihipStream_tbPNSt15iterator_traitsISI_E10value_typeEPNSO_ISJ_E10value_typeEPSK_NS1_7vsmem_tEENKUlT_SI_SJ_SK_E_clISD_PiSD_S10_EESH_SX_SI_SJ_SK_EUlSX_E0_NS1_11comp_targetILNS1_3genE8ELNS1_11target_archE1030ELNS1_3gpuE2ELNS1_3repE0EEENS1_38merge_mergepath_config_static_selectorELNS0_4arch9wavefront6targetE1EEEvSJ_.has_indirect_call, 0
	.section	.AMDGPU.csdata,"",@progbits
; Kernel info:
; codeLenInByte = 0
; TotalNumSgprs: 6
; NumVgprs: 0
; NumAgprs: 0
; TotalNumVgprs: 0
; ScratchSize: 0
; MemoryBound: 0
; FloatMode: 240
; IeeeMode: 1
; LDSByteSize: 0 bytes/workgroup (compile time only)
; SGPRBlocks: 0
; VGPRBlocks: 0
; NumSGPRsForWavesPerEU: 6
; NumVGPRsForWavesPerEU: 1
; AccumOffset: 4
; Occupancy: 8
; WaveLimiterHint : 0
; COMPUTE_PGM_RSRC2:SCRATCH_EN: 0
; COMPUTE_PGM_RSRC2:USER_SGPR: 2
; COMPUTE_PGM_RSRC2:TRAP_HANDLER: 0
; COMPUTE_PGM_RSRC2:TGID_X_EN: 1
; COMPUTE_PGM_RSRC2:TGID_Y_EN: 0
; COMPUTE_PGM_RSRC2:TGID_Z_EN: 0
; COMPUTE_PGM_RSRC2:TIDIG_COMP_CNT: 0
; COMPUTE_PGM_RSRC3_GFX90A:ACCUM_OFFSET: 0
; COMPUTE_PGM_RSRC3_GFX90A:TG_SPLIT: 0
	.section	.text._ZN7rocprim17ROCPRIM_400000_NS6detail17trampoline_kernelINS0_14default_configENS1_38merge_sort_block_merge_config_selectorIiiEEZZNS1_27merge_sort_block_merge_implIS3_N6thrust23THRUST_200600_302600_NS6detail15normal_iteratorINS8_10device_ptrIiEEEESD_jNS1_19radix_merge_compareILb0ELb1EiNS0_19identity_decomposerEEEEE10hipError_tT0_T1_T2_jT3_P12ihipStream_tbPNSt15iterator_traitsISI_E10value_typeEPNSO_ISJ_E10value_typeEPSK_NS1_7vsmem_tEENKUlT_SI_SJ_SK_E_clISD_PiSD_S10_EESH_SX_SI_SJ_SK_EUlSX_E1_NS1_11comp_targetILNS1_3genE0ELNS1_11target_archE4294967295ELNS1_3gpuE0ELNS1_3repE0EEENS1_36merge_oddeven_config_static_selectorELNS0_4arch9wavefront6targetE1EEEvSJ_,"axG",@progbits,_ZN7rocprim17ROCPRIM_400000_NS6detail17trampoline_kernelINS0_14default_configENS1_38merge_sort_block_merge_config_selectorIiiEEZZNS1_27merge_sort_block_merge_implIS3_N6thrust23THRUST_200600_302600_NS6detail15normal_iteratorINS8_10device_ptrIiEEEESD_jNS1_19radix_merge_compareILb0ELb1EiNS0_19identity_decomposerEEEEE10hipError_tT0_T1_T2_jT3_P12ihipStream_tbPNSt15iterator_traitsISI_E10value_typeEPNSO_ISJ_E10value_typeEPSK_NS1_7vsmem_tEENKUlT_SI_SJ_SK_E_clISD_PiSD_S10_EESH_SX_SI_SJ_SK_EUlSX_E1_NS1_11comp_targetILNS1_3genE0ELNS1_11target_archE4294967295ELNS1_3gpuE0ELNS1_3repE0EEENS1_36merge_oddeven_config_static_selectorELNS0_4arch9wavefront6targetE1EEEvSJ_,comdat
	.protected	_ZN7rocprim17ROCPRIM_400000_NS6detail17trampoline_kernelINS0_14default_configENS1_38merge_sort_block_merge_config_selectorIiiEEZZNS1_27merge_sort_block_merge_implIS3_N6thrust23THRUST_200600_302600_NS6detail15normal_iteratorINS8_10device_ptrIiEEEESD_jNS1_19radix_merge_compareILb0ELb1EiNS0_19identity_decomposerEEEEE10hipError_tT0_T1_T2_jT3_P12ihipStream_tbPNSt15iterator_traitsISI_E10value_typeEPNSO_ISJ_E10value_typeEPSK_NS1_7vsmem_tEENKUlT_SI_SJ_SK_E_clISD_PiSD_S10_EESH_SX_SI_SJ_SK_EUlSX_E1_NS1_11comp_targetILNS1_3genE0ELNS1_11target_archE4294967295ELNS1_3gpuE0ELNS1_3repE0EEENS1_36merge_oddeven_config_static_selectorELNS0_4arch9wavefront6targetE1EEEvSJ_ ; -- Begin function _ZN7rocprim17ROCPRIM_400000_NS6detail17trampoline_kernelINS0_14default_configENS1_38merge_sort_block_merge_config_selectorIiiEEZZNS1_27merge_sort_block_merge_implIS3_N6thrust23THRUST_200600_302600_NS6detail15normal_iteratorINS8_10device_ptrIiEEEESD_jNS1_19radix_merge_compareILb0ELb1EiNS0_19identity_decomposerEEEEE10hipError_tT0_T1_T2_jT3_P12ihipStream_tbPNSt15iterator_traitsISI_E10value_typeEPNSO_ISJ_E10value_typeEPSK_NS1_7vsmem_tEENKUlT_SI_SJ_SK_E_clISD_PiSD_S10_EESH_SX_SI_SJ_SK_EUlSX_E1_NS1_11comp_targetILNS1_3genE0ELNS1_11target_archE4294967295ELNS1_3gpuE0ELNS1_3repE0EEENS1_36merge_oddeven_config_static_selectorELNS0_4arch9wavefront6targetE1EEEvSJ_
	.globl	_ZN7rocprim17ROCPRIM_400000_NS6detail17trampoline_kernelINS0_14default_configENS1_38merge_sort_block_merge_config_selectorIiiEEZZNS1_27merge_sort_block_merge_implIS3_N6thrust23THRUST_200600_302600_NS6detail15normal_iteratorINS8_10device_ptrIiEEEESD_jNS1_19radix_merge_compareILb0ELb1EiNS0_19identity_decomposerEEEEE10hipError_tT0_T1_T2_jT3_P12ihipStream_tbPNSt15iterator_traitsISI_E10value_typeEPNSO_ISJ_E10value_typeEPSK_NS1_7vsmem_tEENKUlT_SI_SJ_SK_E_clISD_PiSD_S10_EESH_SX_SI_SJ_SK_EUlSX_E1_NS1_11comp_targetILNS1_3genE0ELNS1_11target_archE4294967295ELNS1_3gpuE0ELNS1_3repE0EEENS1_36merge_oddeven_config_static_selectorELNS0_4arch9wavefront6targetE1EEEvSJ_
	.p2align	8
	.type	_ZN7rocprim17ROCPRIM_400000_NS6detail17trampoline_kernelINS0_14default_configENS1_38merge_sort_block_merge_config_selectorIiiEEZZNS1_27merge_sort_block_merge_implIS3_N6thrust23THRUST_200600_302600_NS6detail15normal_iteratorINS8_10device_ptrIiEEEESD_jNS1_19radix_merge_compareILb0ELb1EiNS0_19identity_decomposerEEEEE10hipError_tT0_T1_T2_jT3_P12ihipStream_tbPNSt15iterator_traitsISI_E10value_typeEPNSO_ISJ_E10value_typeEPSK_NS1_7vsmem_tEENKUlT_SI_SJ_SK_E_clISD_PiSD_S10_EESH_SX_SI_SJ_SK_EUlSX_E1_NS1_11comp_targetILNS1_3genE0ELNS1_11target_archE4294967295ELNS1_3gpuE0ELNS1_3repE0EEENS1_36merge_oddeven_config_static_selectorELNS0_4arch9wavefront6targetE1EEEvSJ_,@function
_ZN7rocprim17ROCPRIM_400000_NS6detail17trampoline_kernelINS0_14default_configENS1_38merge_sort_block_merge_config_selectorIiiEEZZNS1_27merge_sort_block_merge_implIS3_N6thrust23THRUST_200600_302600_NS6detail15normal_iteratorINS8_10device_ptrIiEEEESD_jNS1_19radix_merge_compareILb0ELb1EiNS0_19identity_decomposerEEEEE10hipError_tT0_T1_T2_jT3_P12ihipStream_tbPNSt15iterator_traitsISI_E10value_typeEPNSO_ISJ_E10value_typeEPSK_NS1_7vsmem_tEENKUlT_SI_SJ_SK_E_clISD_PiSD_S10_EESH_SX_SI_SJ_SK_EUlSX_E1_NS1_11comp_targetILNS1_3genE0ELNS1_11target_archE4294967295ELNS1_3gpuE0ELNS1_3repE0EEENS1_36merge_oddeven_config_static_selectorELNS0_4arch9wavefront6targetE1EEEvSJ_: ; @_ZN7rocprim17ROCPRIM_400000_NS6detail17trampoline_kernelINS0_14default_configENS1_38merge_sort_block_merge_config_selectorIiiEEZZNS1_27merge_sort_block_merge_implIS3_N6thrust23THRUST_200600_302600_NS6detail15normal_iteratorINS8_10device_ptrIiEEEESD_jNS1_19radix_merge_compareILb0ELb1EiNS0_19identity_decomposerEEEEE10hipError_tT0_T1_T2_jT3_P12ihipStream_tbPNSt15iterator_traitsISI_E10value_typeEPNSO_ISJ_E10value_typeEPSK_NS1_7vsmem_tEENKUlT_SI_SJ_SK_E_clISD_PiSD_S10_EESH_SX_SI_SJ_SK_EUlSX_E1_NS1_11comp_targetILNS1_3genE0ELNS1_11target_archE4294967295ELNS1_3gpuE0ELNS1_3repE0EEENS1_36merge_oddeven_config_static_selectorELNS0_4arch9wavefront6targetE1EEEvSJ_
; %bb.0:
	s_load_dword s20, s[0:1], 0x20
	s_waitcnt lgkmcnt(0)
	s_lshr_b32 s3, s20, 8
	s_cmp_eq_u32 s2, s3
	s_cselect_b64 s[16:17], -1, 0
	s_cmp_lg_u32 s2, s3
	s_cselect_b64 s[4:5], -1, 0
	s_lshl_b32 s18, s2, 8
	s_sub_i32 s3, s20, s18
	v_cmp_gt_u32_e64 s[6:7], s3, v0
	s_or_b64 s[4:5], s[4:5], s[6:7]
	s_and_saveexec_b64 s[8:9], s[4:5]
	s_cbranch_execz .LBB1384_24
; %bb.1:
	s_load_dwordx8 s[8:15], s[0:1], 0x0
	s_mov_b32 s19, 0
	s_lshl_b64 s[4:5], s[18:19], 2
	v_lshlrev_b32_e32 v1, 2, v0
	s_load_dword s19, s[0:1], 0x24
	s_waitcnt lgkmcnt(0)
	s_add_u32 s22, s8, s4
	s_addc_u32 s23, s9, s5
	s_add_u32 s4, s12, s4
	s_addc_u32 s5, s13, s5
	global_load_dword v2, v1, s[4:5]
	global_load_dword v3, v1, s[22:23]
	s_lshr_b32 s3, s19, 8
	s_sub_i32 s4, 0, s3
	s_and_b32 s2, s2, s4
	s_and_b32 s3, s2, s3
	s_lshl_b32 s21, s2, 8
	s_sub_i32 s12, 0, s19
	s_cmp_eq_u32 s3, 0
	s_cselect_b64 s[4:5], -1, 0
	s_and_b64 s[2:3], s[4:5], exec
	s_cselect_b32 s12, s19, s12
	s_add_i32 s12, s12, s21
	s_mov_b64 s[2:3], -1
	s_cmp_gt_u32 s20, s12
	v_add_u32_e32 v0, s18, v0
	s_cbranch_scc1 .LBB1384_9
; %bb.2:
	s_and_b64 vcc, exec, s[16:17]
	s_cbranch_vccz .LBB1384_6
; %bb.3:
	v_cmp_gt_u32_e32 vcc, s20, v0
	s_and_saveexec_b64 s[2:3], vcc
	s_cbranch_execz .LBB1384_5
; %bb.4:
	v_mov_b32_e32 v1, 0
	v_lshlrev_b64 v[4:5], 2, v[0:1]
	v_lshl_add_u64 v[6:7], s[10:11], 0, v[4:5]
	v_lshl_add_u64 v[4:5], s[14:15], 0, v[4:5]
	s_waitcnt vmcnt(0)
	global_store_dword v[6:7], v3, off
	global_store_dword v[4:5], v2, off
.LBB1384_5:
	s_or_b64 exec, exec, s[2:3]
	s_mov_b64 s[2:3], 0
.LBB1384_6:
	s_andn2_b64 vcc, exec, s[2:3]
	s_cbranch_vccnz .LBB1384_8
; %bb.7:
	v_mov_b32_e32 v1, 0
	v_lshlrev_b64 v[4:5], 2, v[0:1]
	v_lshl_add_u64 v[6:7], s[10:11], 0, v[4:5]
	v_lshl_add_u64 v[4:5], s[14:15], 0, v[4:5]
	s_waitcnt vmcnt(0)
	global_store_dword v[6:7], v3, off
	global_store_dword v[4:5], v2, off
.LBB1384_8:
	s_mov_b64 s[2:3], 0
.LBB1384_9:
	s_andn2_b64 vcc, exec, s[2:3]
	s_cbranch_vccnz .LBB1384_24
; %bb.10:
	s_load_dword s13, s[0:1], 0x28
	s_min_u32 s18, s12, s20
	s_add_i32 s0, s18, s19
	s_min_u32 s19, s0, s20
	s_min_u32 s0, s21, s18
	s_add_i32 s21, s21, s18
	v_subrev_u32_e32 v0, s21, v0
	v_add_u32_e32 v4, s0, v0
	s_waitcnt vmcnt(0) lgkmcnt(0)
	v_and_b32_e32 v5, s13, v3
	s_mov_b64 s[0:1], -1
	s_and_b64 vcc, exec, s[16:17]
	s_cbranch_vccz .LBB1384_18
; %bb.11:
	s_and_saveexec_b64 s[0:1], s[6:7]
	s_cbranch_execz .LBB1384_17
; %bb.12:
	s_cmp_ge_u32 s12, s19
	v_mov_b32_e32 v6, s18
	s_cbranch_scc1 .LBB1384_16
; %bb.13:
	s_mov_b64 s[2:3], 0
	v_mov_b32_e32 v7, s19
	v_mov_b32_e32 v6, s18
	;; [unrolled: 1-line block ×3, first 2 shown]
.LBB1384_14:                            ; =>This Inner Loop Header: Depth=1
	v_add_u32_e32 v0, v6, v7
	v_lshrrev_b32_e32 v0, 1, v0
	v_lshl_add_u64 v[8:9], v[0:1], 2, s[8:9]
	global_load_dword v8, v[8:9], off
	v_add_u32_e32 v9, 1, v0
	s_waitcnt vmcnt(0)
	v_and_b32_e32 v8, s13, v8
	v_cmp_gt_i32_e32 vcc, v5, v8
	s_nop 1
	v_cndmask_b32_e64 v10, 0, 1, vcc
	v_cmp_le_i32_e32 vcc, v8, v5
	s_nop 1
	v_cndmask_b32_e64 v8, 0, 1, vcc
	v_cndmask_b32_e64 v8, v8, v10, s[4:5]
	v_and_b32_e32 v8, 1, v8
	v_cmp_eq_u32_e32 vcc, 1, v8
	s_nop 1
	v_cndmask_b32_e32 v7, v0, v7, vcc
	v_cndmask_b32_e32 v6, v6, v9, vcc
	v_cmp_ge_u32_e32 vcc, v6, v7
	s_or_b64 s[2:3], vcc, s[2:3]
	s_andn2_b64 exec, exec, s[2:3]
	s_cbranch_execnz .LBB1384_14
; %bb.15:
	s_or_b64 exec, exec, s[2:3]
.LBB1384_16:
	v_add_u32_e32 v0, v6, v4
	v_mov_b32_e32 v1, 0
	v_lshlrev_b64 v[0:1], 2, v[0:1]
	v_lshl_add_u64 v[6:7], s[10:11], 0, v[0:1]
	v_lshl_add_u64 v[0:1], s[14:15], 0, v[0:1]
	global_store_dword v[6:7], v3, off
	global_store_dword v[0:1], v2, off
.LBB1384_17:
	s_or_b64 exec, exec, s[0:1]
	s_mov_b64 s[0:1], 0
.LBB1384_18:
	s_andn2_b64 vcc, exec, s[0:1]
	s_cbranch_vccnz .LBB1384_24
; %bb.19:
	s_cmp_ge_u32 s12, s19
	v_mov_b32_e32 v6, s18
	s_cbranch_scc1 .LBB1384_23
; %bb.20:
	s_mov_b64 s[0:1], 0
	v_mov_b32_e32 v7, s19
	v_mov_b32_e32 v6, s18
	;; [unrolled: 1-line block ×3, first 2 shown]
.LBB1384_21:                            ; =>This Inner Loop Header: Depth=1
	v_add_u32_e32 v0, v6, v7
	v_lshrrev_b32_e32 v0, 1, v0
	v_lshl_add_u64 v[8:9], v[0:1], 2, s[8:9]
	global_load_dword v8, v[8:9], off
	v_add_u32_e32 v9, 1, v0
	s_waitcnt vmcnt(0)
	v_and_b32_e32 v8, s13, v8
	v_cmp_gt_i32_e32 vcc, v5, v8
	s_nop 1
	v_cndmask_b32_e64 v10, 0, 1, vcc
	v_cmp_le_i32_e32 vcc, v8, v5
	s_nop 1
	v_cndmask_b32_e64 v8, 0, 1, vcc
	v_cndmask_b32_e64 v8, v8, v10, s[4:5]
	v_and_b32_e32 v8, 1, v8
	v_cmp_eq_u32_e32 vcc, 1, v8
	s_nop 1
	v_cndmask_b32_e32 v7, v0, v7, vcc
	v_cndmask_b32_e32 v6, v6, v9, vcc
	v_cmp_ge_u32_e32 vcc, v6, v7
	s_or_b64 s[0:1], vcc, s[0:1]
	s_andn2_b64 exec, exec, s[0:1]
	s_cbranch_execnz .LBB1384_21
; %bb.22:
	s_or_b64 exec, exec, s[0:1]
.LBB1384_23:
	v_add_u32_e32 v0, v6, v4
	v_mov_b32_e32 v1, 0
	v_lshlrev_b64 v[0:1], 2, v[0:1]
	v_lshl_add_u64 v[4:5], s[10:11], 0, v[0:1]
	v_lshl_add_u64 v[0:1], s[14:15], 0, v[0:1]
	global_store_dword v[4:5], v3, off
	global_store_dword v[0:1], v2, off
.LBB1384_24:
	s_endpgm
	.section	.rodata,"a",@progbits
	.p2align	6, 0x0
	.amdhsa_kernel _ZN7rocprim17ROCPRIM_400000_NS6detail17trampoline_kernelINS0_14default_configENS1_38merge_sort_block_merge_config_selectorIiiEEZZNS1_27merge_sort_block_merge_implIS3_N6thrust23THRUST_200600_302600_NS6detail15normal_iteratorINS8_10device_ptrIiEEEESD_jNS1_19radix_merge_compareILb0ELb1EiNS0_19identity_decomposerEEEEE10hipError_tT0_T1_T2_jT3_P12ihipStream_tbPNSt15iterator_traitsISI_E10value_typeEPNSO_ISJ_E10value_typeEPSK_NS1_7vsmem_tEENKUlT_SI_SJ_SK_E_clISD_PiSD_S10_EESH_SX_SI_SJ_SK_EUlSX_E1_NS1_11comp_targetILNS1_3genE0ELNS1_11target_archE4294967295ELNS1_3gpuE0ELNS1_3repE0EEENS1_36merge_oddeven_config_static_selectorELNS0_4arch9wavefront6targetE1EEEvSJ_
		.amdhsa_group_segment_fixed_size 0
		.amdhsa_private_segment_fixed_size 0
		.amdhsa_kernarg_size 48
		.amdhsa_user_sgpr_count 2
		.amdhsa_user_sgpr_dispatch_ptr 0
		.amdhsa_user_sgpr_queue_ptr 0
		.amdhsa_user_sgpr_kernarg_segment_ptr 1
		.amdhsa_user_sgpr_dispatch_id 0
		.amdhsa_user_sgpr_kernarg_preload_length 0
		.amdhsa_user_sgpr_kernarg_preload_offset 0
		.amdhsa_user_sgpr_private_segment_size 0
		.amdhsa_uses_dynamic_stack 0
		.amdhsa_enable_private_segment 0
		.amdhsa_system_sgpr_workgroup_id_x 1
		.amdhsa_system_sgpr_workgroup_id_y 0
		.amdhsa_system_sgpr_workgroup_id_z 0
		.amdhsa_system_sgpr_workgroup_info 0
		.amdhsa_system_vgpr_workitem_id 0
		.amdhsa_next_free_vgpr 11
		.amdhsa_next_free_sgpr 24
		.amdhsa_accum_offset 12
		.amdhsa_reserve_vcc 1
		.amdhsa_float_round_mode_32 0
		.amdhsa_float_round_mode_16_64 0
		.amdhsa_float_denorm_mode_32 3
		.amdhsa_float_denorm_mode_16_64 3
		.amdhsa_dx10_clamp 1
		.amdhsa_ieee_mode 1
		.amdhsa_fp16_overflow 0
		.amdhsa_tg_split 0
		.amdhsa_exception_fp_ieee_invalid_op 0
		.amdhsa_exception_fp_denorm_src 0
		.amdhsa_exception_fp_ieee_div_zero 0
		.amdhsa_exception_fp_ieee_overflow 0
		.amdhsa_exception_fp_ieee_underflow 0
		.amdhsa_exception_fp_ieee_inexact 0
		.amdhsa_exception_int_div_zero 0
	.end_amdhsa_kernel
	.section	.text._ZN7rocprim17ROCPRIM_400000_NS6detail17trampoline_kernelINS0_14default_configENS1_38merge_sort_block_merge_config_selectorIiiEEZZNS1_27merge_sort_block_merge_implIS3_N6thrust23THRUST_200600_302600_NS6detail15normal_iteratorINS8_10device_ptrIiEEEESD_jNS1_19radix_merge_compareILb0ELb1EiNS0_19identity_decomposerEEEEE10hipError_tT0_T1_T2_jT3_P12ihipStream_tbPNSt15iterator_traitsISI_E10value_typeEPNSO_ISJ_E10value_typeEPSK_NS1_7vsmem_tEENKUlT_SI_SJ_SK_E_clISD_PiSD_S10_EESH_SX_SI_SJ_SK_EUlSX_E1_NS1_11comp_targetILNS1_3genE0ELNS1_11target_archE4294967295ELNS1_3gpuE0ELNS1_3repE0EEENS1_36merge_oddeven_config_static_selectorELNS0_4arch9wavefront6targetE1EEEvSJ_,"axG",@progbits,_ZN7rocprim17ROCPRIM_400000_NS6detail17trampoline_kernelINS0_14default_configENS1_38merge_sort_block_merge_config_selectorIiiEEZZNS1_27merge_sort_block_merge_implIS3_N6thrust23THRUST_200600_302600_NS6detail15normal_iteratorINS8_10device_ptrIiEEEESD_jNS1_19radix_merge_compareILb0ELb1EiNS0_19identity_decomposerEEEEE10hipError_tT0_T1_T2_jT3_P12ihipStream_tbPNSt15iterator_traitsISI_E10value_typeEPNSO_ISJ_E10value_typeEPSK_NS1_7vsmem_tEENKUlT_SI_SJ_SK_E_clISD_PiSD_S10_EESH_SX_SI_SJ_SK_EUlSX_E1_NS1_11comp_targetILNS1_3genE0ELNS1_11target_archE4294967295ELNS1_3gpuE0ELNS1_3repE0EEENS1_36merge_oddeven_config_static_selectorELNS0_4arch9wavefront6targetE1EEEvSJ_,comdat
.Lfunc_end1384:
	.size	_ZN7rocprim17ROCPRIM_400000_NS6detail17trampoline_kernelINS0_14default_configENS1_38merge_sort_block_merge_config_selectorIiiEEZZNS1_27merge_sort_block_merge_implIS3_N6thrust23THRUST_200600_302600_NS6detail15normal_iteratorINS8_10device_ptrIiEEEESD_jNS1_19radix_merge_compareILb0ELb1EiNS0_19identity_decomposerEEEEE10hipError_tT0_T1_T2_jT3_P12ihipStream_tbPNSt15iterator_traitsISI_E10value_typeEPNSO_ISJ_E10value_typeEPSK_NS1_7vsmem_tEENKUlT_SI_SJ_SK_E_clISD_PiSD_S10_EESH_SX_SI_SJ_SK_EUlSX_E1_NS1_11comp_targetILNS1_3genE0ELNS1_11target_archE4294967295ELNS1_3gpuE0ELNS1_3repE0EEENS1_36merge_oddeven_config_static_selectorELNS0_4arch9wavefront6targetE1EEEvSJ_, .Lfunc_end1384-_ZN7rocprim17ROCPRIM_400000_NS6detail17trampoline_kernelINS0_14default_configENS1_38merge_sort_block_merge_config_selectorIiiEEZZNS1_27merge_sort_block_merge_implIS3_N6thrust23THRUST_200600_302600_NS6detail15normal_iteratorINS8_10device_ptrIiEEEESD_jNS1_19radix_merge_compareILb0ELb1EiNS0_19identity_decomposerEEEEE10hipError_tT0_T1_T2_jT3_P12ihipStream_tbPNSt15iterator_traitsISI_E10value_typeEPNSO_ISJ_E10value_typeEPSK_NS1_7vsmem_tEENKUlT_SI_SJ_SK_E_clISD_PiSD_S10_EESH_SX_SI_SJ_SK_EUlSX_E1_NS1_11comp_targetILNS1_3genE0ELNS1_11target_archE4294967295ELNS1_3gpuE0ELNS1_3repE0EEENS1_36merge_oddeven_config_static_selectorELNS0_4arch9wavefront6targetE1EEEvSJ_
                                        ; -- End function
	.set _ZN7rocprim17ROCPRIM_400000_NS6detail17trampoline_kernelINS0_14default_configENS1_38merge_sort_block_merge_config_selectorIiiEEZZNS1_27merge_sort_block_merge_implIS3_N6thrust23THRUST_200600_302600_NS6detail15normal_iteratorINS8_10device_ptrIiEEEESD_jNS1_19radix_merge_compareILb0ELb1EiNS0_19identity_decomposerEEEEE10hipError_tT0_T1_T2_jT3_P12ihipStream_tbPNSt15iterator_traitsISI_E10value_typeEPNSO_ISJ_E10value_typeEPSK_NS1_7vsmem_tEENKUlT_SI_SJ_SK_E_clISD_PiSD_S10_EESH_SX_SI_SJ_SK_EUlSX_E1_NS1_11comp_targetILNS1_3genE0ELNS1_11target_archE4294967295ELNS1_3gpuE0ELNS1_3repE0EEENS1_36merge_oddeven_config_static_selectorELNS0_4arch9wavefront6targetE1EEEvSJ_.num_vgpr, 11
	.set _ZN7rocprim17ROCPRIM_400000_NS6detail17trampoline_kernelINS0_14default_configENS1_38merge_sort_block_merge_config_selectorIiiEEZZNS1_27merge_sort_block_merge_implIS3_N6thrust23THRUST_200600_302600_NS6detail15normal_iteratorINS8_10device_ptrIiEEEESD_jNS1_19radix_merge_compareILb0ELb1EiNS0_19identity_decomposerEEEEE10hipError_tT0_T1_T2_jT3_P12ihipStream_tbPNSt15iterator_traitsISI_E10value_typeEPNSO_ISJ_E10value_typeEPSK_NS1_7vsmem_tEENKUlT_SI_SJ_SK_E_clISD_PiSD_S10_EESH_SX_SI_SJ_SK_EUlSX_E1_NS1_11comp_targetILNS1_3genE0ELNS1_11target_archE4294967295ELNS1_3gpuE0ELNS1_3repE0EEENS1_36merge_oddeven_config_static_selectorELNS0_4arch9wavefront6targetE1EEEvSJ_.num_agpr, 0
	.set _ZN7rocprim17ROCPRIM_400000_NS6detail17trampoline_kernelINS0_14default_configENS1_38merge_sort_block_merge_config_selectorIiiEEZZNS1_27merge_sort_block_merge_implIS3_N6thrust23THRUST_200600_302600_NS6detail15normal_iteratorINS8_10device_ptrIiEEEESD_jNS1_19radix_merge_compareILb0ELb1EiNS0_19identity_decomposerEEEEE10hipError_tT0_T1_T2_jT3_P12ihipStream_tbPNSt15iterator_traitsISI_E10value_typeEPNSO_ISJ_E10value_typeEPSK_NS1_7vsmem_tEENKUlT_SI_SJ_SK_E_clISD_PiSD_S10_EESH_SX_SI_SJ_SK_EUlSX_E1_NS1_11comp_targetILNS1_3genE0ELNS1_11target_archE4294967295ELNS1_3gpuE0ELNS1_3repE0EEENS1_36merge_oddeven_config_static_selectorELNS0_4arch9wavefront6targetE1EEEvSJ_.numbered_sgpr, 24
	.set _ZN7rocprim17ROCPRIM_400000_NS6detail17trampoline_kernelINS0_14default_configENS1_38merge_sort_block_merge_config_selectorIiiEEZZNS1_27merge_sort_block_merge_implIS3_N6thrust23THRUST_200600_302600_NS6detail15normal_iteratorINS8_10device_ptrIiEEEESD_jNS1_19radix_merge_compareILb0ELb1EiNS0_19identity_decomposerEEEEE10hipError_tT0_T1_T2_jT3_P12ihipStream_tbPNSt15iterator_traitsISI_E10value_typeEPNSO_ISJ_E10value_typeEPSK_NS1_7vsmem_tEENKUlT_SI_SJ_SK_E_clISD_PiSD_S10_EESH_SX_SI_SJ_SK_EUlSX_E1_NS1_11comp_targetILNS1_3genE0ELNS1_11target_archE4294967295ELNS1_3gpuE0ELNS1_3repE0EEENS1_36merge_oddeven_config_static_selectorELNS0_4arch9wavefront6targetE1EEEvSJ_.num_named_barrier, 0
	.set _ZN7rocprim17ROCPRIM_400000_NS6detail17trampoline_kernelINS0_14default_configENS1_38merge_sort_block_merge_config_selectorIiiEEZZNS1_27merge_sort_block_merge_implIS3_N6thrust23THRUST_200600_302600_NS6detail15normal_iteratorINS8_10device_ptrIiEEEESD_jNS1_19radix_merge_compareILb0ELb1EiNS0_19identity_decomposerEEEEE10hipError_tT0_T1_T2_jT3_P12ihipStream_tbPNSt15iterator_traitsISI_E10value_typeEPNSO_ISJ_E10value_typeEPSK_NS1_7vsmem_tEENKUlT_SI_SJ_SK_E_clISD_PiSD_S10_EESH_SX_SI_SJ_SK_EUlSX_E1_NS1_11comp_targetILNS1_3genE0ELNS1_11target_archE4294967295ELNS1_3gpuE0ELNS1_3repE0EEENS1_36merge_oddeven_config_static_selectorELNS0_4arch9wavefront6targetE1EEEvSJ_.private_seg_size, 0
	.set _ZN7rocprim17ROCPRIM_400000_NS6detail17trampoline_kernelINS0_14default_configENS1_38merge_sort_block_merge_config_selectorIiiEEZZNS1_27merge_sort_block_merge_implIS3_N6thrust23THRUST_200600_302600_NS6detail15normal_iteratorINS8_10device_ptrIiEEEESD_jNS1_19radix_merge_compareILb0ELb1EiNS0_19identity_decomposerEEEEE10hipError_tT0_T1_T2_jT3_P12ihipStream_tbPNSt15iterator_traitsISI_E10value_typeEPNSO_ISJ_E10value_typeEPSK_NS1_7vsmem_tEENKUlT_SI_SJ_SK_E_clISD_PiSD_S10_EESH_SX_SI_SJ_SK_EUlSX_E1_NS1_11comp_targetILNS1_3genE0ELNS1_11target_archE4294967295ELNS1_3gpuE0ELNS1_3repE0EEENS1_36merge_oddeven_config_static_selectorELNS0_4arch9wavefront6targetE1EEEvSJ_.uses_vcc, 1
	.set _ZN7rocprim17ROCPRIM_400000_NS6detail17trampoline_kernelINS0_14default_configENS1_38merge_sort_block_merge_config_selectorIiiEEZZNS1_27merge_sort_block_merge_implIS3_N6thrust23THRUST_200600_302600_NS6detail15normal_iteratorINS8_10device_ptrIiEEEESD_jNS1_19radix_merge_compareILb0ELb1EiNS0_19identity_decomposerEEEEE10hipError_tT0_T1_T2_jT3_P12ihipStream_tbPNSt15iterator_traitsISI_E10value_typeEPNSO_ISJ_E10value_typeEPSK_NS1_7vsmem_tEENKUlT_SI_SJ_SK_E_clISD_PiSD_S10_EESH_SX_SI_SJ_SK_EUlSX_E1_NS1_11comp_targetILNS1_3genE0ELNS1_11target_archE4294967295ELNS1_3gpuE0ELNS1_3repE0EEENS1_36merge_oddeven_config_static_selectorELNS0_4arch9wavefront6targetE1EEEvSJ_.uses_flat_scratch, 0
	.set _ZN7rocprim17ROCPRIM_400000_NS6detail17trampoline_kernelINS0_14default_configENS1_38merge_sort_block_merge_config_selectorIiiEEZZNS1_27merge_sort_block_merge_implIS3_N6thrust23THRUST_200600_302600_NS6detail15normal_iteratorINS8_10device_ptrIiEEEESD_jNS1_19radix_merge_compareILb0ELb1EiNS0_19identity_decomposerEEEEE10hipError_tT0_T1_T2_jT3_P12ihipStream_tbPNSt15iterator_traitsISI_E10value_typeEPNSO_ISJ_E10value_typeEPSK_NS1_7vsmem_tEENKUlT_SI_SJ_SK_E_clISD_PiSD_S10_EESH_SX_SI_SJ_SK_EUlSX_E1_NS1_11comp_targetILNS1_3genE0ELNS1_11target_archE4294967295ELNS1_3gpuE0ELNS1_3repE0EEENS1_36merge_oddeven_config_static_selectorELNS0_4arch9wavefront6targetE1EEEvSJ_.has_dyn_sized_stack, 0
	.set _ZN7rocprim17ROCPRIM_400000_NS6detail17trampoline_kernelINS0_14default_configENS1_38merge_sort_block_merge_config_selectorIiiEEZZNS1_27merge_sort_block_merge_implIS3_N6thrust23THRUST_200600_302600_NS6detail15normal_iteratorINS8_10device_ptrIiEEEESD_jNS1_19radix_merge_compareILb0ELb1EiNS0_19identity_decomposerEEEEE10hipError_tT0_T1_T2_jT3_P12ihipStream_tbPNSt15iterator_traitsISI_E10value_typeEPNSO_ISJ_E10value_typeEPSK_NS1_7vsmem_tEENKUlT_SI_SJ_SK_E_clISD_PiSD_S10_EESH_SX_SI_SJ_SK_EUlSX_E1_NS1_11comp_targetILNS1_3genE0ELNS1_11target_archE4294967295ELNS1_3gpuE0ELNS1_3repE0EEENS1_36merge_oddeven_config_static_selectorELNS0_4arch9wavefront6targetE1EEEvSJ_.has_recursion, 0
	.set _ZN7rocprim17ROCPRIM_400000_NS6detail17trampoline_kernelINS0_14default_configENS1_38merge_sort_block_merge_config_selectorIiiEEZZNS1_27merge_sort_block_merge_implIS3_N6thrust23THRUST_200600_302600_NS6detail15normal_iteratorINS8_10device_ptrIiEEEESD_jNS1_19radix_merge_compareILb0ELb1EiNS0_19identity_decomposerEEEEE10hipError_tT0_T1_T2_jT3_P12ihipStream_tbPNSt15iterator_traitsISI_E10value_typeEPNSO_ISJ_E10value_typeEPSK_NS1_7vsmem_tEENKUlT_SI_SJ_SK_E_clISD_PiSD_S10_EESH_SX_SI_SJ_SK_EUlSX_E1_NS1_11comp_targetILNS1_3genE0ELNS1_11target_archE4294967295ELNS1_3gpuE0ELNS1_3repE0EEENS1_36merge_oddeven_config_static_selectorELNS0_4arch9wavefront6targetE1EEEvSJ_.has_indirect_call, 0
	.section	.AMDGPU.csdata,"",@progbits
; Kernel info:
; codeLenInByte = 796
; TotalNumSgprs: 30
; NumVgprs: 11
; NumAgprs: 0
; TotalNumVgprs: 11
; ScratchSize: 0
; MemoryBound: 0
; FloatMode: 240
; IeeeMode: 1
; LDSByteSize: 0 bytes/workgroup (compile time only)
; SGPRBlocks: 3
; VGPRBlocks: 1
; NumSGPRsForWavesPerEU: 30
; NumVGPRsForWavesPerEU: 11
; AccumOffset: 12
; Occupancy: 8
; WaveLimiterHint : 0
; COMPUTE_PGM_RSRC2:SCRATCH_EN: 0
; COMPUTE_PGM_RSRC2:USER_SGPR: 2
; COMPUTE_PGM_RSRC2:TRAP_HANDLER: 0
; COMPUTE_PGM_RSRC2:TGID_X_EN: 1
; COMPUTE_PGM_RSRC2:TGID_Y_EN: 0
; COMPUTE_PGM_RSRC2:TGID_Z_EN: 0
; COMPUTE_PGM_RSRC2:TIDIG_COMP_CNT: 0
; COMPUTE_PGM_RSRC3_GFX90A:ACCUM_OFFSET: 2
; COMPUTE_PGM_RSRC3_GFX90A:TG_SPLIT: 0
	.section	.text._ZN7rocprim17ROCPRIM_400000_NS6detail17trampoline_kernelINS0_14default_configENS1_38merge_sort_block_merge_config_selectorIiiEEZZNS1_27merge_sort_block_merge_implIS3_N6thrust23THRUST_200600_302600_NS6detail15normal_iteratorINS8_10device_ptrIiEEEESD_jNS1_19radix_merge_compareILb0ELb1EiNS0_19identity_decomposerEEEEE10hipError_tT0_T1_T2_jT3_P12ihipStream_tbPNSt15iterator_traitsISI_E10value_typeEPNSO_ISJ_E10value_typeEPSK_NS1_7vsmem_tEENKUlT_SI_SJ_SK_E_clISD_PiSD_S10_EESH_SX_SI_SJ_SK_EUlSX_E1_NS1_11comp_targetILNS1_3genE10ELNS1_11target_archE1201ELNS1_3gpuE5ELNS1_3repE0EEENS1_36merge_oddeven_config_static_selectorELNS0_4arch9wavefront6targetE1EEEvSJ_,"axG",@progbits,_ZN7rocprim17ROCPRIM_400000_NS6detail17trampoline_kernelINS0_14default_configENS1_38merge_sort_block_merge_config_selectorIiiEEZZNS1_27merge_sort_block_merge_implIS3_N6thrust23THRUST_200600_302600_NS6detail15normal_iteratorINS8_10device_ptrIiEEEESD_jNS1_19radix_merge_compareILb0ELb1EiNS0_19identity_decomposerEEEEE10hipError_tT0_T1_T2_jT3_P12ihipStream_tbPNSt15iterator_traitsISI_E10value_typeEPNSO_ISJ_E10value_typeEPSK_NS1_7vsmem_tEENKUlT_SI_SJ_SK_E_clISD_PiSD_S10_EESH_SX_SI_SJ_SK_EUlSX_E1_NS1_11comp_targetILNS1_3genE10ELNS1_11target_archE1201ELNS1_3gpuE5ELNS1_3repE0EEENS1_36merge_oddeven_config_static_selectorELNS0_4arch9wavefront6targetE1EEEvSJ_,comdat
	.protected	_ZN7rocprim17ROCPRIM_400000_NS6detail17trampoline_kernelINS0_14default_configENS1_38merge_sort_block_merge_config_selectorIiiEEZZNS1_27merge_sort_block_merge_implIS3_N6thrust23THRUST_200600_302600_NS6detail15normal_iteratorINS8_10device_ptrIiEEEESD_jNS1_19radix_merge_compareILb0ELb1EiNS0_19identity_decomposerEEEEE10hipError_tT0_T1_T2_jT3_P12ihipStream_tbPNSt15iterator_traitsISI_E10value_typeEPNSO_ISJ_E10value_typeEPSK_NS1_7vsmem_tEENKUlT_SI_SJ_SK_E_clISD_PiSD_S10_EESH_SX_SI_SJ_SK_EUlSX_E1_NS1_11comp_targetILNS1_3genE10ELNS1_11target_archE1201ELNS1_3gpuE5ELNS1_3repE0EEENS1_36merge_oddeven_config_static_selectorELNS0_4arch9wavefront6targetE1EEEvSJ_ ; -- Begin function _ZN7rocprim17ROCPRIM_400000_NS6detail17trampoline_kernelINS0_14default_configENS1_38merge_sort_block_merge_config_selectorIiiEEZZNS1_27merge_sort_block_merge_implIS3_N6thrust23THRUST_200600_302600_NS6detail15normal_iteratorINS8_10device_ptrIiEEEESD_jNS1_19radix_merge_compareILb0ELb1EiNS0_19identity_decomposerEEEEE10hipError_tT0_T1_T2_jT3_P12ihipStream_tbPNSt15iterator_traitsISI_E10value_typeEPNSO_ISJ_E10value_typeEPSK_NS1_7vsmem_tEENKUlT_SI_SJ_SK_E_clISD_PiSD_S10_EESH_SX_SI_SJ_SK_EUlSX_E1_NS1_11comp_targetILNS1_3genE10ELNS1_11target_archE1201ELNS1_3gpuE5ELNS1_3repE0EEENS1_36merge_oddeven_config_static_selectorELNS0_4arch9wavefront6targetE1EEEvSJ_
	.globl	_ZN7rocprim17ROCPRIM_400000_NS6detail17trampoline_kernelINS0_14default_configENS1_38merge_sort_block_merge_config_selectorIiiEEZZNS1_27merge_sort_block_merge_implIS3_N6thrust23THRUST_200600_302600_NS6detail15normal_iteratorINS8_10device_ptrIiEEEESD_jNS1_19radix_merge_compareILb0ELb1EiNS0_19identity_decomposerEEEEE10hipError_tT0_T1_T2_jT3_P12ihipStream_tbPNSt15iterator_traitsISI_E10value_typeEPNSO_ISJ_E10value_typeEPSK_NS1_7vsmem_tEENKUlT_SI_SJ_SK_E_clISD_PiSD_S10_EESH_SX_SI_SJ_SK_EUlSX_E1_NS1_11comp_targetILNS1_3genE10ELNS1_11target_archE1201ELNS1_3gpuE5ELNS1_3repE0EEENS1_36merge_oddeven_config_static_selectorELNS0_4arch9wavefront6targetE1EEEvSJ_
	.p2align	8
	.type	_ZN7rocprim17ROCPRIM_400000_NS6detail17trampoline_kernelINS0_14default_configENS1_38merge_sort_block_merge_config_selectorIiiEEZZNS1_27merge_sort_block_merge_implIS3_N6thrust23THRUST_200600_302600_NS6detail15normal_iteratorINS8_10device_ptrIiEEEESD_jNS1_19radix_merge_compareILb0ELb1EiNS0_19identity_decomposerEEEEE10hipError_tT0_T1_T2_jT3_P12ihipStream_tbPNSt15iterator_traitsISI_E10value_typeEPNSO_ISJ_E10value_typeEPSK_NS1_7vsmem_tEENKUlT_SI_SJ_SK_E_clISD_PiSD_S10_EESH_SX_SI_SJ_SK_EUlSX_E1_NS1_11comp_targetILNS1_3genE10ELNS1_11target_archE1201ELNS1_3gpuE5ELNS1_3repE0EEENS1_36merge_oddeven_config_static_selectorELNS0_4arch9wavefront6targetE1EEEvSJ_,@function
_ZN7rocprim17ROCPRIM_400000_NS6detail17trampoline_kernelINS0_14default_configENS1_38merge_sort_block_merge_config_selectorIiiEEZZNS1_27merge_sort_block_merge_implIS3_N6thrust23THRUST_200600_302600_NS6detail15normal_iteratorINS8_10device_ptrIiEEEESD_jNS1_19radix_merge_compareILb0ELb1EiNS0_19identity_decomposerEEEEE10hipError_tT0_T1_T2_jT3_P12ihipStream_tbPNSt15iterator_traitsISI_E10value_typeEPNSO_ISJ_E10value_typeEPSK_NS1_7vsmem_tEENKUlT_SI_SJ_SK_E_clISD_PiSD_S10_EESH_SX_SI_SJ_SK_EUlSX_E1_NS1_11comp_targetILNS1_3genE10ELNS1_11target_archE1201ELNS1_3gpuE5ELNS1_3repE0EEENS1_36merge_oddeven_config_static_selectorELNS0_4arch9wavefront6targetE1EEEvSJ_: ; @_ZN7rocprim17ROCPRIM_400000_NS6detail17trampoline_kernelINS0_14default_configENS1_38merge_sort_block_merge_config_selectorIiiEEZZNS1_27merge_sort_block_merge_implIS3_N6thrust23THRUST_200600_302600_NS6detail15normal_iteratorINS8_10device_ptrIiEEEESD_jNS1_19radix_merge_compareILb0ELb1EiNS0_19identity_decomposerEEEEE10hipError_tT0_T1_T2_jT3_P12ihipStream_tbPNSt15iterator_traitsISI_E10value_typeEPNSO_ISJ_E10value_typeEPSK_NS1_7vsmem_tEENKUlT_SI_SJ_SK_E_clISD_PiSD_S10_EESH_SX_SI_SJ_SK_EUlSX_E1_NS1_11comp_targetILNS1_3genE10ELNS1_11target_archE1201ELNS1_3gpuE5ELNS1_3repE0EEENS1_36merge_oddeven_config_static_selectorELNS0_4arch9wavefront6targetE1EEEvSJ_
; %bb.0:
	.section	.rodata,"a",@progbits
	.p2align	6, 0x0
	.amdhsa_kernel _ZN7rocprim17ROCPRIM_400000_NS6detail17trampoline_kernelINS0_14default_configENS1_38merge_sort_block_merge_config_selectorIiiEEZZNS1_27merge_sort_block_merge_implIS3_N6thrust23THRUST_200600_302600_NS6detail15normal_iteratorINS8_10device_ptrIiEEEESD_jNS1_19radix_merge_compareILb0ELb1EiNS0_19identity_decomposerEEEEE10hipError_tT0_T1_T2_jT3_P12ihipStream_tbPNSt15iterator_traitsISI_E10value_typeEPNSO_ISJ_E10value_typeEPSK_NS1_7vsmem_tEENKUlT_SI_SJ_SK_E_clISD_PiSD_S10_EESH_SX_SI_SJ_SK_EUlSX_E1_NS1_11comp_targetILNS1_3genE10ELNS1_11target_archE1201ELNS1_3gpuE5ELNS1_3repE0EEENS1_36merge_oddeven_config_static_selectorELNS0_4arch9wavefront6targetE1EEEvSJ_
		.amdhsa_group_segment_fixed_size 0
		.amdhsa_private_segment_fixed_size 0
		.amdhsa_kernarg_size 48
		.amdhsa_user_sgpr_count 2
		.amdhsa_user_sgpr_dispatch_ptr 0
		.amdhsa_user_sgpr_queue_ptr 0
		.amdhsa_user_sgpr_kernarg_segment_ptr 1
		.amdhsa_user_sgpr_dispatch_id 0
		.amdhsa_user_sgpr_kernarg_preload_length 0
		.amdhsa_user_sgpr_kernarg_preload_offset 0
		.amdhsa_user_sgpr_private_segment_size 0
		.amdhsa_uses_dynamic_stack 0
		.amdhsa_enable_private_segment 0
		.amdhsa_system_sgpr_workgroup_id_x 1
		.amdhsa_system_sgpr_workgroup_id_y 0
		.amdhsa_system_sgpr_workgroup_id_z 0
		.amdhsa_system_sgpr_workgroup_info 0
		.amdhsa_system_vgpr_workitem_id 0
		.amdhsa_next_free_vgpr 1
		.amdhsa_next_free_sgpr 0
		.amdhsa_accum_offset 4
		.amdhsa_reserve_vcc 0
		.amdhsa_float_round_mode_32 0
		.amdhsa_float_round_mode_16_64 0
		.amdhsa_float_denorm_mode_32 3
		.amdhsa_float_denorm_mode_16_64 3
		.amdhsa_dx10_clamp 1
		.amdhsa_ieee_mode 1
		.amdhsa_fp16_overflow 0
		.amdhsa_tg_split 0
		.amdhsa_exception_fp_ieee_invalid_op 0
		.amdhsa_exception_fp_denorm_src 0
		.amdhsa_exception_fp_ieee_div_zero 0
		.amdhsa_exception_fp_ieee_overflow 0
		.amdhsa_exception_fp_ieee_underflow 0
		.amdhsa_exception_fp_ieee_inexact 0
		.amdhsa_exception_int_div_zero 0
	.end_amdhsa_kernel
	.section	.text._ZN7rocprim17ROCPRIM_400000_NS6detail17trampoline_kernelINS0_14default_configENS1_38merge_sort_block_merge_config_selectorIiiEEZZNS1_27merge_sort_block_merge_implIS3_N6thrust23THRUST_200600_302600_NS6detail15normal_iteratorINS8_10device_ptrIiEEEESD_jNS1_19radix_merge_compareILb0ELb1EiNS0_19identity_decomposerEEEEE10hipError_tT0_T1_T2_jT3_P12ihipStream_tbPNSt15iterator_traitsISI_E10value_typeEPNSO_ISJ_E10value_typeEPSK_NS1_7vsmem_tEENKUlT_SI_SJ_SK_E_clISD_PiSD_S10_EESH_SX_SI_SJ_SK_EUlSX_E1_NS1_11comp_targetILNS1_3genE10ELNS1_11target_archE1201ELNS1_3gpuE5ELNS1_3repE0EEENS1_36merge_oddeven_config_static_selectorELNS0_4arch9wavefront6targetE1EEEvSJ_,"axG",@progbits,_ZN7rocprim17ROCPRIM_400000_NS6detail17trampoline_kernelINS0_14default_configENS1_38merge_sort_block_merge_config_selectorIiiEEZZNS1_27merge_sort_block_merge_implIS3_N6thrust23THRUST_200600_302600_NS6detail15normal_iteratorINS8_10device_ptrIiEEEESD_jNS1_19radix_merge_compareILb0ELb1EiNS0_19identity_decomposerEEEEE10hipError_tT0_T1_T2_jT3_P12ihipStream_tbPNSt15iterator_traitsISI_E10value_typeEPNSO_ISJ_E10value_typeEPSK_NS1_7vsmem_tEENKUlT_SI_SJ_SK_E_clISD_PiSD_S10_EESH_SX_SI_SJ_SK_EUlSX_E1_NS1_11comp_targetILNS1_3genE10ELNS1_11target_archE1201ELNS1_3gpuE5ELNS1_3repE0EEENS1_36merge_oddeven_config_static_selectorELNS0_4arch9wavefront6targetE1EEEvSJ_,comdat
.Lfunc_end1385:
	.size	_ZN7rocprim17ROCPRIM_400000_NS6detail17trampoline_kernelINS0_14default_configENS1_38merge_sort_block_merge_config_selectorIiiEEZZNS1_27merge_sort_block_merge_implIS3_N6thrust23THRUST_200600_302600_NS6detail15normal_iteratorINS8_10device_ptrIiEEEESD_jNS1_19radix_merge_compareILb0ELb1EiNS0_19identity_decomposerEEEEE10hipError_tT0_T1_T2_jT3_P12ihipStream_tbPNSt15iterator_traitsISI_E10value_typeEPNSO_ISJ_E10value_typeEPSK_NS1_7vsmem_tEENKUlT_SI_SJ_SK_E_clISD_PiSD_S10_EESH_SX_SI_SJ_SK_EUlSX_E1_NS1_11comp_targetILNS1_3genE10ELNS1_11target_archE1201ELNS1_3gpuE5ELNS1_3repE0EEENS1_36merge_oddeven_config_static_selectorELNS0_4arch9wavefront6targetE1EEEvSJ_, .Lfunc_end1385-_ZN7rocprim17ROCPRIM_400000_NS6detail17trampoline_kernelINS0_14default_configENS1_38merge_sort_block_merge_config_selectorIiiEEZZNS1_27merge_sort_block_merge_implIS3_N6thrust23THRUST_200600_302600_NS6detail15normal_iteratorINS8_10device_ptrIiEEEESD_jNS1_19radix_merge_compareILb0ELb1EiNS0_19identity_decomposerEEEEE10hipError_tT0_T1_T2_jT3_P12ihipStream_tbPNSt15iterator_traitsISI_E10value_typeEPNSO_ISJ_E10value_typeEPSK_NS1_7vsmem_tEENKUlT_SI_SJ_SK_E_clISD_PiSD_S10_EESH_SX_SI_SJ_SK_EUlSX_E1_NS1_11comp_targetILNS1_3genE10ELNS1_11target_archE1201ELNS1_3gpuE5ELNS1_3repE0EEENS1_36merge_oddeven_config_static_selectorELNS0_4arch9wavefront6targetE1EEEvSJ_
                                        ; -- End function
	.set _ZN7rocprim17ROCPRIM_400000_NS6detail17trampoline_kernelINS0_14default_configENS1_38merge_sort_block_merge_config_selectorIiiEEZZNS1_27merge_sort_block_merge_implIS3_N6thrust23THRUST_200600_302600_NS6detail15normal_iteratorINS8_10device_ptrIiEEEESD_jNS1_19radix_merge_compareILb0ELb1EiNS0_19identity_decomposerEEEEE10hipError_tT0_T1_T2_jT3_P12ihipStream_tbPNSt15iterator_traitsISI_E10value_typeEPNSO_ISJ_E10value_typeEPSK_NS1_7vsmem_tEENKUlT_SI_SJ_SK_E_clISD_PiSD_S10_EESH_SX_SI_SJ_SK_EUlSX_E1_NS1_11comp_targetILNS1_3genE10ELNS1_11target_archE1201ELNS1_3gpuE5ELNS1_3repE0EEENS1_36merge_oddeven_config_static_selectorELNS0_4arch9wavefront6targetE1EEEvSJ_.num_vgpr, 0
	.set _ZN7rocprim17ROCPRIM_400000_NS6detail17trampoline_kernelINS0_14default_configENS1_38merge_sort_block_merge_config_selectorIiiEEZZNS1_27merge_sort_block_merge_implIS3_N6thrust23THRUST_200600_302600_NS6detail15normal_iteratorINS8_10device_ptrIiEEEESD_jNS1_19radix_merge_compareILb0ELb1EiNS0_19identity_decomposerEEEEE10hipError_tT0_T1_T2_jT3_P12ihipStream_tbPNSt15iterator_traitsISI_E10value_typeEPNSO_ISJ_E10value_typeEPSK_NS1_7vsmem_tEENKUlT_SI_SJ_SK_E_clISD_PiSD_S10_EESH_SX_SI_SJ_SK_EUlSX_E1_NS1_11comp_targetILNS1_3genE10ELNS1_11target_archE1201ELNS1_3gpuE5ELNS1_3repE0EEENS1_36merge_oddeven_config_static_selectorELNS0_4arch9wavefront6targetE1EEEvSJ_.num_agpr, 0
	.set _ZN7rocprim17ROCPRIM_400000_NS6detail17trampoline_kernelINS0_14default_configENS1_38merge_sort_block_merge_config_selectorIiiEEZZNS1_27merge_sort_block_merge_implIS3_N6thrust23THRUST_200600_302600_NS6detail15normal_iteratorINS8_10device_ptrIiEEEESD_jNS1_19radix_merge_compareILb0ELb1EiNS0_19identity_decomposerEEEEE10hipError_tT0_T1_T2_jT3_P12ihipStream_tbPNSt15iterator_traitsISI_E10value_typeEPNSO_ISJ_E10value_typeEPSK_NS1_7vsmem_tEENKUlT_SI_SJ_SK_E_clISD_PiSD_S10_EESH_SX_SI_SJ_SK_EUlSX_E1_NS1_11comp_targetILNS1_3genE10ELNS1_11target_archE1201ELNS1_3gpuE5ELNS1_3repE0EEENS1_36merge_oddeven_config_static_selectorELNS0_4arch9wavefront6targetE1EEEvSJ_.numbered_sgpr, 0
	.set _ZN7rocprim17ROCPRIM_400000_NS6detail17trampoline_kernelINS0_14default_configENS1_38merge_sort_block_merge_config_selectorIiiEEZZNS1_27merge_sort_block_merge_implIS3_N6thrust23THRUST_200600_302600_NS6detail15normal_iteratorINS8_10device_ptrIiEEEESD_jNS1_19radix_merge_compareILb0ELb1EiNS0_19identity_decomposerEEEEE10hipError_tT0_T1_T2_jT3_P12ihipStream_tbPNSt15iterator_traitsISI_E10value_typeEPNSO_ISJ_E10value_typeEPSK_NS1_7vsmem_tEENKUlT_SI_SJ_SK_E_clISD_PiSD_S10_EESH_SX_SI_SJ_SK_EUlSX_E1_NS1_11comp_targetILNS1_3genE10ELNS1_11target_archE1201ELNS1_3gpuE5ELNS1_3repE0EEENS1_36merge_oddeven_config_static_selectorELNS0_4arch9wavefront6targetE1EEEvSJ_.num_named_barrier, 0
	.set _ZN7rocprim17ROCPRIM_400000_NS6detail17trampoline_kernelINS0_14default_configENS1_38merge_sort_block_merge_config_selectorIiiEEZZNS1_27merge_sort_block_merge_implIS3_N6thrust23THRUST_200600_302600_NS6detail15normal_iteratorINS8_10device_ptrIiEEEESD_jNS1_19radix_merge_compareILb0ELb1EiNS0_19identity_decomposerEEEEE10hipError_tT0_T1_T2_jT3_P12ihipStream_tbPNSt15iterator_traitsISI_E10value_typeEPNSO_ISJ_E10value_typeEPSK_NS1_7vsmem_tEENKUlT_SI_SJ_SK_E_clISD_PiSD_S10_EESH_SX_SI_SJ_SK_EUlSX_E1_NS1_11comp_targetILNS1_3genE10ELNS1_11target_archE1201ELNS1_3gpuE5ELNS1_3repE0EEENS1_36merge_oddeven_config_static_selectorELNS0_4arch9wavefront6targetE1EEEvSJ_.private_seg_size, 0
	.set _ZN7rocprim17ROCPRIM_400000_NS6detail17trampoline_kernelINS0_14default_configENS1_38merge_sort_block_merge_config_selectorIiiEEZZNS1_27merge_sort_block_merge_implIS3_N6thrust23THRUST_200600_302600_NS6detail15normal_iteratorINS8_10device_ptrIiEEEESD_jNS1_19radix_merge_compareILb0ELb1EiNS0_19identity_decomposerEEEEE10hipError_tT0_T1_T2_jT3_P12ihipStream_tbPNSt15iterator_traitsISI_E10value_typeEPNSO_ISJ_E10value_typeEPSK_NS1_7vsmem_tEENKUlT_SI_SJ_SK_E_clISD_PiSD_S10_EESH_SX_SI_SJ_SK_EUlSX_E1_NS1_11comp_targetILNS1_3genE10ELNS1_11target_archE1201ELNS1_3gpuE5ELNS1_3repE0EEENS1_36merge_oddeven_config_static_selectorELNS0_4arch9wavefront6targetE1EEEvSJ_.uses_vcc, 0
	.set _ZN7rocprim17ROCPRIM_400000_NS6detail17trampoline_kernelINS0_14default_configENS1_38merge_sort_block_merge_config_selectorIiiEEZZNS1_27merge_sort_block_merge_implIS3_N6thrust23THRUST_200600_302600_NS6detail15normal_iteratorINS8_10device_ptrIiEEEESD_jNS1_19radix_merge_compareILb0ELb1EiNS0_19identity_decomposerEEEEE10hipError_tT0_T1_T2_jT3_P12ihipStream_tbPNSt15iterator_traitsISI_E10value_typeEPNSO_ISJ_E10value_typeEPSK_NS1_7vsmem_tEENKUlT_SI_SJ_SK_E_clISD_PiSD_S10_EESH_SX_SI_SJ_SK_EUlSX_E1_NS1_11comp_targetILNS1_3genE10ELNS1_11target_archE1201ELNS1_3gpuE5ELNS1_3repE0EEENS1_36merge_oddeven_config_static_selectorELNS0_4arch9wavefront6targetE1EEEvSJ_.uses_flat_scratch, 0
	.set _ZN7rocprim17ROCPRIM_400000_NS6detail17trampoline_kernelINS0_14default_configENS1_38merge_sort_block_merge_config_selectorIiiEEZZNS1_27merge_sort_block_merge_implIS3_N6thrust23THRUST_200600_302600_NS6detail15normal_iteratorINS8_10device_ptrIiEEEESD_jNS1_19radix_merge_compareILb0ELb1EiNS0_19identity_decomposerEEEEE10hipError_tT0_T1_T2_jT3_P12ihipStream_tbPNSt15iterator_traitsISI_E10value_typeEPNSO_ISJ_E10value_typeEPSK_NS1_7vsmem_tEENKUlT_SI_SJ_SK_E_clISD_PiSD_S10_EESH_SX_SI_SJ_SK_EUlSX_E1_NS1_11comp_targetILNS1_3genE10ELNS1_11target_archE1201ELNS1_3gpuE5ELNS1_3repE0EEENS1_36merge_oddeven_config_static_selectorELNS0_4arch9wavefront6targetE1EEEvSJ_.has_dyn_sized_stack, 0
	.set _ZN7rocprim17ROCPRIM_400000_NS6detail17trampoline_kernelINS0_14default_configENS1_38merge_sort_block_merge_config_selectorIiiEEZZNS1_27merge_sort_block_merge_implIS3_N6thrust23THRUST_200600_302600_NS6detail15normal_iteratorINS8_10device_ptrIiEEEESD_jNS1_19radix_merge_compareILb0ELb1EiNS0_19identity_decomposerEEEEE10hipError_tT0_T1_T2_jT3_P12ihipStream_tbPNSt15iterator_traitsISI_E10value_typeEPNSO_ISJ_E10value_typeEPSK_NS1_7vsmem_tEENKUlT_SI_SJ_SK_E_clISD_PiSD_S10_EESH_SX_SI_SJ_SK_EUlSX_E1_NS1_11comp_targetILNS1_3genE10ELNS1_11target_archE1201ELNS1_3gpuE5ELNS1_3repE0EEENS1_36merge_oddeven_config_static_selectorELNS0_4arch9wavefront6targetE1EEEvSJ_.has_recursion, 0
	.set _ZN7rocprim17ROCPRIM_400000_NS6detail17trampoline_kernelINS0_14default_configENS1_38merge_sort_block_merge_config_selectorIiiEEZZNS1_27merge_sort_block_merge_implIS3_N6thrust23THRUST_200600_302600_NS6detail15normal_iteratorINS8_10device_ptrIiEEEESD_jNS1_19radix_merge_compareILb0ELb1EiNS0_19identity_decomposerEEEEE10hipError_tT0_T1_T2_jT3_P12ihipStream_tbPNSt15iterator_traitsISI_E10value_typeEPNSO_ISJ_E10value_typeEPSK_NS1_7vsmem_tEENKUlT_SI_SJ_SK_E_clISD_PiSD_S10_EESH_SX_SI_SJ_SK_EUlSX_E1_NS1_11comp_targetILNS1_3genE10ELNS1_11target_archE1201ELNS1_3gpuE5ELNS1_3repE0EEENS1_36merge_oddeven_config_static_selectorELNS0_4arch9wavefront6targetE1EEEvSJ_.has_indirect_call, 0
	.section	.AMDGPU.csdata,"",@progbits
; Kernel info:
; codeLenInByte = 0
; TotalNumSgprs: 6
; NumVgprs: 0
; NumAgprs: 0
; TotalNumVgprs: 0
; ScratchSize: 0
; MemoryBound: 0
; FloatMode: 240
; IeeeMode: 1
; LDSByteSize: 0 bytes/workgroup (compile time only)
; SGPRBlocks: 0
; VGPRBlocks: 0
; NumSGPRsForWavesPerEU: 6
; NumVGPRsForWavesPerEU: 1
; AccumOffset: 4
; Occupancy: 8
; WaveLimiterHint : 0
; COMPUTE_PGM_RSRC2:SCRATCH_EN: 0
; COMPUTE_PGM_RSRC2:USER_SGPR: 2
; COMPUTE_PGM_RSRC2:TRAP_HANDLER: 0
; COMPUTE_PGM_RSRC2:TGID_X_EN: 1
; COMPUTE_PGM_RSRC2:TGID_Y_EN: 0
; COMPUTE_PGM_RSRC2:TGID_Z_EN: 0
; COMPUTE_PGM_RSRC2:TIDIG_COMP_CNT: 0
; COMPUTE_PGM_RSRC3_GFX90A:ACCUM_OFFSET: 0
; COMPUTE_PGM_RSRC3_GFX90A:TG_SPLIT: 0
	.section	.text._ZN7rocprim17ROCPRIM_400000_NS6detail17trampoline_kernelINS0_14default_configENS1_38merge_sort_block_merge_config_selectorIiiEEZZNS1_27merge_sort_block_merge_implIS3_N6thrust23THRUST_200600_302600_NS6detail15normal_iteratorINS8_10device_ptrIiEEEESD_jNS1_19radix_merge_compareILb0ELb1EiNS0_19identity_decomposerEEEEE10hipError_tT0_T1_T2_jT3_P12ihipStream_tbPNSt15iterator_traitsISI_E10value_typeEPNSO_ISJ_E10value_typeEPSK_NS1_7vsmem_tEENKUlT_SI_SJ_SK_E_clISD_PiSD_S10_EESH_SX_SI_SJ_SK_EUlSX_E1_NS1_11comp_targetILNS1_3genE5ELNS1_11target_archE942ELNS1_3gpuE9ELNS1_3repE0EEENS1_36merge_oddeven_config_static_selectorELNS0_4arch9wavefront6targetE1EEEvSJ_,"axG",@progbits,_ZN7rocprim17ROCPRIM_400000_NS6detail17trampoline_kernelINS0_14default_configENS1_38merge_sort_block_merge_config_selectorIiiEEZZNS1_27merge_sort_block_merge_implIS3_N6thrust23THRUST_200600_302600_NS6detail15normal_iteratorINS8_10device_ptrIiEEEESD_jNS1_19radix_merge_compareILb0ELb1EiNS0_19identity_decomposerEEEEE10hipError_tT0_T1_T2_jT3_P12ihipStream_tbPNSt15iterator_traitsISI_E10value_typeEPNSO_ISJ_E10value_typeEPSK_NS1_7vsmem_tEENKUlT_SI_SJ_SK_E_clISD_PiSD_S10_EESH_SX_SI_SJ_SK_EUlSX_E1_NS1_11comp_targetILNS1_3genE5ELNS1_11target_archE942ELNS1_3gpuE9ELNS1_3repE0EEENS1_36merge_oddeven_config_static_selectorELNS0_4arch9wavefront6targetE1EEEvSJ_,comdat
	.protected	_ZN7rocprim17ROCPRIM_400000_NS6detail17trampoline_kernelINS0_14default_configENS1_38merge_sort_block_merge_config_selectorIiiEEZZNS1_27merge_sort_block_merge_implIS3_N6thrust23THRUST_200600_302600_NS6detail15normal_iteratorINS8_10device_ptrIiEEEESD_jNS1_19radix_merge_compareILb0ELb1EiNS0_19identity_decomposerEEEEE10hipError_tT0_T1_T2_jT3_P12ihipStream_tbPNSt15iterator_traitsISI_E10value_typeEPNSO_ISJ_E10value_typeEPSK_NS1_7vsmem_tEENKUlT_SI_SJ_SK_E_clISD_PiSD_S10_EESH_SX_SI_SJ_SK_EUlSX_E1_NS1_11comp_targetILNS1_3genE5ELNS1_11target_archE942ELNS1_3gpuE9ELNS1_3repE0EEENS1_36merge_oddeven_config_static_selectorELNS0_4arch9wavefront6targetE1EEEvSJ_ ; -- Begin function _ZN7rocprim17ROCPRIM_400000_NS6detail17trampoline_kernelINS0_14default_configENS1_38merge_sort_block_merge_config_selectorIiiEEZZNS1_27merge_sort_block_merge_implIS3_N6thrust23THRUST_200600_302600_NS6detail15normal_iteratorINS8_10device_ptrIiEEEESD_jNS1_19radix_merge_compareILb0ELb1EiNS0_19identity_decomposerEEEEE10hipError_tT0_T1_T2_jT3_P12ihipStream_tbPNSt15iterator_traitsISI_E10value_typeEPNSO_ISJ_E10value_typeEPSK_NS1_7vsmem_tEENKUlT_SI_SJ_SK_E_clISD_PiSD_S10_EESH_SX_SI_SJ_SK_EUlSX_E1_NS1_11comp_targetILNS1_3genE5ELNS1_11target_archE942ELNS1_3gpuE9ELNS1_3repE0EEENS1_36merge_oddeven_config_static_selectorELNS0_4arch9wavefront6targetE1EEEvSJ_
	.globl	_ZN7rocprim17ROCPRIM_400000_NS6detail17trampoline_kernelINS0_14default_configENS1_38merge_sort_block_merge_config_selectorIiiEEZZNS1_27merge_sort_block_merge_implIS3_N6thrust23THRUST_200600_302600_NS6detail15normal_iteratorINS8_10device_ptrIiEEEESD_jNS1_19radix_merge_compareILb0ELb1EiNS0_19identity_decomposerEEEEE10hipError_tT0_T1_T2_jT3_P12ihipStream_tbPNSt15iterator_traitsISI_E10value_typeEPNSO_ISJ_E10value_typeEPSK_NS1_7vsmem_tEENKUlT_SI_SJ_SK_E_clISD_PiSD_S10_EESH_SX_SI_SJ_SK_EUlSX_E1_NS1_11comp_targetILNS1_3genE5ELNS1_11target_archE942ELNS1_3gpuE9ELNS1_3repE0EEENS1_36merge_oddeven_config_static_selectorELNS0_4arch9wavefront6targetE1EEEvSJ_
	.p2align	8
	.type	_ZN7rocprim17ROCPRIM_400000_NS6detail17trampoline_kernelINS0_14default_configENS1_38merge_sort_block_merge_config_selectorIiiEEZZNS1_27merge_sort_block_merge_implIS3_N6thrust23THRUST_200600_302600_NS6detail15normal_iteratorINS8_10device_ptrIiEEEESD_jNS1_19radix_merge_compareILb0ELb1EiNS0_19identity_decomposerEEEEE10hipError_tT0_T1_T2_jT3_P12ihipStream_tbPNSt15iterator_traitsISI_E10value_typeEPNSO_ISJ_E10value_typeEPSK_NS1_7vsmem_tEENKUlT_SI_SJ_SK_E_clISD_PiSD_S10_EESH_SX_SI_SJ_SK_EUlSX_E1_NS1_11comp_targetILNS1_3genE5ELNS1_11target_archE942ELNS1_3gpuE9ELNS1_3repE0EEENS1_36merge_oddeven_config_static_selectorELNS0_4arch9wavefront6targetE1EEEvSJ_,@function
_ZN7rocprim17ROCPRIM_400000_NS6detail17trampoline_kernelINS0_14default_configENS1_38merge_sort_block_merge_config_selectorIiiEEZZNS1_27merge_sort_block_merge_implIS3_N6thrust23THRUST_200600_302600_NS6detail15normal_iteratorINS8_10device_ptrIiEEEESD_jNS1_19radix_merge_compareILb0ELb1EiNS0_19identity_decomposerEEEEE10hipError_tT0_T1_T2_jT3_P12ihipStream_tbPNSt15iterator_traitsISI_E10value_typeEPNSO_ISJ_E10value_typeEPSK_NS1_7vsmem_tEENKUlT_SI_SJ_SK_E_clISD_PiSD_S10_EESH_SX_SI_SJ_SK_EUlSX_E1_NS1_11comp_targetILNS1_3genE5ELNS1_11target_archE942ELNS1_3gpuE9ELNS1_3repE0EEENS1_36merge_oddeven_config_static_selectorELNS0_4arch9wavefront6targetE1EEEvSJ_: ; @_ZN7rocprim17ROCPRIM_400000_NS6detail17trampoline_kernelINS0_14default_configENS1_38merge_sort_block_merge_config_selectorIiiEEZZNS1_27merge_sort_block_merge_implIS3_N6thrust23THRUST_200600_302600_NS6detail15normal_iteratorINS8_10device_ptrIiEEEESD_jNS1_19radix_merge_compareILb0ELb1EiNS0_19identity_decomposerEEEEE10hipError_tT0_T1_T2_jT3_P12ihipStream_tbPNSt15iterator_traitsISI_E10value_typeEPNSO_ISJ_E10value_typeEPSK_NS1_7vsmem_tEENKUlT_SI_SJ_SK_E_clISD_PiSD_S10_EESH_SX_SI_SJ_SK_EUlSX_E1_NS1_11comp_targetILNS1_3genE5ELNS1_11target_archE942ELNS1_3gpuE9ELNS1_3repE0EEENS1_36merge_oddeven_config_static_selectorELNS0_4arch9wavefront6targetE1EEEvSJ_
; %bb.0:
	.section	.rodata,"a",@progbits
	.p2align	6, 0x0
	.amdhsa_kernel _ZN7rocprim17ROCPRIM_400000_NS6detail17trampoline_kernelINS0_14default_configENS1_38merge_sort_block_merge_config_selectorIiiEEZZNS1_27merge_sort_block_merge_implIS3_N6thrust23THRUST_200600_302600_NS6detail15normal_iteratorINS8_10device_ptrIiEEEESD_jNS1_19radix_merge_compareILb0ELb1EiNS0_19identity_decomposerEEEEE10hipError_tT0_T1_T2_jT3_P12ihipStream_tbPNSt15iterator_traitsISI_E10value_typeEPNSO_ISJ_E10value_typeEPSK_NS1_7vsmem_tEENKUlT_SI_SJ_SK_E_clISD_PiSD_S10_EESH_SX_SI_SJ_SK_EUlSX_E1_NS1_11comp_targetILNS1_3genE5ELNS1_11target_archE942ELNS1_3gpuE9ELNS1_3repE0EEENS1_36merge_oddeven_config_static_selectorELNS0_4arch9wavefront6targetE1EEEvSJ_
		.amdhsa_group_segment_fixed_size 0
		.amdhsa_private_segment_fixed_size 0
		.amdhsa_kernarg_size 48
		.amdhsa_user_sgpr_count 2
		.amdhsa_user_sgpr_dispatch_ptr 0
		.amdhsa_user_sgpr_queue_ptr 0
		.amdhsa_user_sgpr_kernarg_segment_ptr 1
		.amdhsa_user_sgpr_dispatch_id 0
		.amdhsa_user_sgpr_kernarg_preload_length 0
		.amdhsa_user_sgpr_kernarg_preload_offset 0
		.amdhsa_user_sgpr_private_segment_size 0
		.amdhsa_uses_dynamic_stack 0
		.amdhsa_enable_private_segment 0
		.amdhsa_system_sgpr_workgroup_id_x 1
		.amdhsa_system_sgpr_workgroup_id_y 0
		.amdhsa_system_sgpr_workgroup_id_z 0
		.amdhsa_system_sgpr_workgroup_info 0
		.amdhsa_system_vgpr_workitem_id 0
		.amdhsa_next_free_vgpr 1
		.amdhsa_next_free_sgpr 0
		.amdhsa_accum_offset 4
		.amdhsa_reserve_vcc 0
		.amdhsa_float_round_mode_32 0
		.amdhsa_float_round_mode_16_64 0
		.amdhsa_float_denorm_mode_32 3
		.amdhsa_float_denorm_mode_16_64 3
		.amdhsa_dx10_clamp 1
		.amdhsa_ieee_mode 1
		.amdhsa_fp16_overflow 0
		.amdhsa_tg_split 0
		.amdhsa_exception_fp_ieee_invalid_op 0
		.amdhsa_exception_fp_denorm_src 0
		.amdhsa_exception_fp_ieee_div_zero 0
		.amdhsa_exception_fp_ieee_overflow 0
		.amdhsa_exception_fp_ieee_underflow 0
		.amdhsa_exception_fp_ieee_inexact 0
		.amdhsa_exception_int_div_zero 0
	.end_amdhsa_kernel
	.section	.text._ZN7rocprim17ROCPRIM_400000_NS6detail17trampoline_kernelINS0_14default_configENS1_38merge_sort_block_merge_config_selectorIiiEEZZNS1_27merge_sort_block_merge_implIS3_N6thrust23THRUST_200600_302600_NS6detail15normal_iteratorINS8_10device_ptrIiEEEESD_jNS1_19radix_merge_compareILb0ELb1EiNS0_19identity_decomposerEEEEE10hipError_tT0_T1_T2_jT3_P12ihipStream_tbPNSt15iterator_traitsISI_E10value_typeEPNSO_ISJ_E10value_typeEPSK_NS1_7vsmem_tEENKUlT_SI_SJ_SK_E_clISD_PiSD_S10_EESH_SX_SI_SJ_SK_EUlSX_E1_NS1_11comp_targetILNS1_3genE5ELNS1_11target_archE942ELNS1_3gpuE9ELNS1_3repE0EEENS1_36merge_oddeven_config_static_selectorELNS0_4arch9wavefront6targetE1EEEvSJ_,"axG",@progbits,_ZN7rocprim17ROCPRIM_400000_NS6detail17trampoline_kernelINS0_14default_configENS1_38merge_sort_block_merge_config_selectorIiiEEZZNS1_27merge_sort_block_merge_implIS3_N6thrust23THRUST_200600_302600_NS6detail15normal_iteratorINS8_10device_ptrIiEEEESD_jNS1_19radix_merge_compareILb0ELb1EiNS0_19identity_decomposerEEEEE10hipError_tT0_T1_T2_jT3_P12ihipStream_tbPNSt15iterator_traitsISI_E10value_typeEPNSO_ISJ_E10value_typeEPSK_NS1_7vsmem_tEENKUlT_SI_SJ_SK_E_clISD_PiSD_S10_EESH_SX_SI_SJ_SK_EUlSX_E1_NS1_11comp_targetILNS1_3genE5ELNS1_11target_archE942ELNS1_3gpuE9ELNS1_3repE0EEENS1_36merge_oddeven_config_static_selectorELNS0_4arch9wavefront6targetE1EEEvSJ_,comdat
.Lfunc_end1386:
	.size	_ZN7rocprim17ROCPRIM_400000_NS6detail17trampoline_kernelINS0_14default_configENS1_38merge_sort_block_merge_config_selectorIiiEEZZNS1_27merge_sort_block_merge_implIS3_N6thrust23THRUST_200600_302600_NS6detail15normal_iteratorINS8_10device_ptrIiEEEESD_jNS1_19radix_merge_compareILb0ELb1EiNS0_19identity_decomposerEEEEE10hipError_tT0_T1_T2_jT3_P12ihipStream_tbPNSt15iterator_traitsISI_E10value_typeEPNSO_ISJ_E10value_typeEPSK_NS1_7vsmem_tEENKUlT_SI_SJ_SK_E_clISD_PiSD_S10_EESH_SX_SI_SJ_SK_EUlSX_E1_NS1_11comp_targetILNS1_3genE5ELNS1_11target_archE942ELNS1_3gpuE9ELNS1_3repE0EEENS1_36merge_oddeven_config_static_selectorELNS0_4arch9wavefront6targetE1EEEvSJ_, .Lfunc_end1386-_ZN7rocprim17ROCPRIM_400000_NS6detail17trampoline_kernelINS0_14default_configENS1_38merge_sort_block_merge_config_selectorIiiEEZZNS1_27merge_sort_block_merge_implIS3_N6thrust23THRUST_200600_302600_NS6detail15normal_iteratorINS8_10device_ptrIiEEEESD_jNS1_19radix_merge_compareILb0ELb1EiNS0_19identity_decomposerEEEEE10hipError_tT0_T1_T2_jT3_P12ihipStream_tbPNSt15iterator_traitsISI_E10value_typeEPNSO_ISJ_E10value_typeEPSK_NS1_7vsmem_tEENKUlT_SI_SJ_SK_E_clISD_PiSD_S10_EESH_SX_SI_SJ_SK_EUlSX_E1_NS1_11comp_targetILNS1_3genE5ELNS1_11target_archE942ELNS1_3gpuE9ELNS1_3repE0EEENS1_36merge_oddeven_config_static_selectorELNS0_4arch9wavefront6targetE1EEEvSJ_
                                        ; -- End function
	.set _ZN7rocprim17ROCPRIM_400000_NS6detail17trampoline_kernelINS0_14default_configENS1_38merge_sort_block_merge_config_selectorIiiEEZZNS1_27merge_sort_block_merge_implIS3_N6thrust23THRUST_200600_302600_NS6detail15normal_iteratorINS8_10device_ptrIiEEEESD_jNS1_19radix_merge_compareILb0ELb1EiNS0_19identity_decomposerEEEEE10hipError_tT0_T1_T2_jT3_P12ihipStream_tbPNSt15iterator_traitsISI_E10value_typeEPNSO_ISJ_E10value_typeEPSK_NS1_7vsmem_tEENKUlT_SI_SJ_SK_E_clISD_PiSD_S10_EESH_SX_SI_SJ_SK_EUlSX_E1_NS1_11comp_targetILNS1_3genE5ELNS1_11target_archE942ELNS1_3gpuE9ELNS1_3repE0EEENS1_36merge_oddeven_config_static_selectorELNS0_4arch9wavefront6targetE1EEEvSJ_.num_vgpr, 0
	.set _ZN7rocprim17ROCPRIM_400000_NS6detail17trampoline_kernelINS0_14default_configENS1_38merge_sort_block_merge_config_selectorIiiEEZZNS1_27merge_sort_block_merge_implIS3_N6thrust23THRUST_200600_302600_NS6detail15normal_iteratorINS8_10device_ptrIiEEEESD_jNS1_19radix_merge_compareILb0ELb1EiNS0_19identity_decomposerEEEEE10hipError_tT0_T1_T2_jT3_P12ihipStream_tbPNSt15iterator_traitsISI_E10value_typeEPNSO_ISJ_E10value_typeEPSK_NS1_7vsmem_tEENKUlT_SI_SJ_SK_E_clISD_PiSD_S10_EESH_SX_SI_SJ_SK_EUlSX_E1_NS1_11comp_targetILNS1_3genE5ELNS1_11target_archE942ELNS1_3gpuE9ELNS1_3repE0EEENS1_36merge_oddeven_config_static_selectorELNS0_4arch9wavefront6targetE1EEEvSJ_.num_agpr, 0
	.set _ZN7rocprim17ROCPRIM_400000_NS6detail17trampoline_kernelINS0_14default_configENS1_38merge_sort_block_merge_config_selectorIiiEEZZNS1_27merge_sort_block_merge_implIS3_N6thrust23THRUST_200600_302600_NS6detail15normal_iteratorINS8_10device_ptrIiEEEESD_jNS1_19radix_merge_compareILb0ELb1EiNS0_19identity_decomposerEEEEE10hipError_tT0_T1_T2_jT3_P12ihipStream_tbPNSt15iterator_traitsISI_E10value_typeEPNSO_ISJ_E10value_typeEPSK_NS1_7vsmem_tEENKUlT_SI_SJ_SK_E_clISD_PiSD_S10_EESH_SX_SI_SJ_SK_EUlSX_E1_NS1_11comp_targetILNS1_3genE5ELNS1_11target_archE942ELNS1_3gpuE9ELNS1_3repE0EEENS1_36merge_oddeven_config_static_selectorELNS0_4arch9wavefront6targetE1EEEvSJ_.numbered_sgpr, 0
	.set _ZN7rocprim17ROCPRIM_400000_NS6detail17trampoline_kernelINS0_14default_configENS1_38merge_sort_block_merge_config_selectorIiiEEZZNS1_27merge_sort_block_merge_implIS3_N6thrust23THRUST_200600_302600_NS6detail15normal_iteratorINS8_10device_ptrIiEEEESD_jNS1_19radix_merge_compareILb0ELb1EiNS0_19identity_decomposerEEEEE10hipError_tT0_T1_T2_jT3_P12ihipStream_tbPNSt15iterator_traitsISI_E10value_typeEPNSO_ISJ_E10value_typeEPSK_NS1_7vsmem_tEENKUlT_SI_SJ_SK_E_clISD_PiSD_S10_EESH_SX_SI_SJ_SK_EUlSX_E1_NS1_11comp_targetILNS1_3genE5ELNS1_11target_archE942ELNS1_3gpuE9ELNS1_3repE0EEENS1_36merge_oddeven_config_static_selectorELNS0_4arch9wavefront6targetE1EEEvSJ_.num_named_barrier, 0
	.set _ZN7rocprim17ROCPRIM_400000_NS6detail17trampoline_kernelINS0_14default_configENS1_38merge_sort_block_merge_config_selectorIiiEEZZNS1_27merge_sort_block_merge_implIS3_N6thrust23THRUST_200600_302600_NS6detail15normal_iteratorINS8_10device_ptrIiEEEESD_jNS1_19radix_merge_compareILb0ELb1EiNS0_19identity_decomposerEEEEE10hipError_tT0_T1_T2_jT3_P12ihipStream_tbPNSt15iterator_traitsISI_E10value_typeEPNSO_ISJ_E10value_typeEPSK_NS1_7vsmem_tEENKUlT_SI_SJ_SK_E_clISD_PiSD_S10_EESH_SX_SI_SJ_SK_EUlSX_E1_NS1_11comp_targetILNS1_3genE5ELNS1_11target_archE942ELNS1_3gpuE9ELNS1_3repE0EEENS1_36merge_oddeven_config_static_selectorELNS0_4arch9wavefront6targetE1EEEvSJ_.private_seg_size, 0
	.set _ZN7rocprim17ROCPRIM_400000_NS6detail17trampoline_kernelINS0_14default_configENS1_38merge_sort_block_merge_config_selectorIiiEEZZNS1_27merge_sort_block_merge_implIS3_N6thrust23THRUST_200600_302600_NS6detail15normal_iteratorINS8_10device_ptrIiEEEESD_jNS1_19radix_merge_compareILb0ELb1EiNS0_19identity_decomposerEEEEE10hipError_tT0_T1_T2_jT3_P12ihipStream_tbPNSt15iterator_traitsISI_E10value_typeEPNSO_ISJ_E10value_typeEPSK_NS1_7vsmem_tEENKUlT_SI_SJ_SK_E_clISD_PiSD_S10_EESH_SX_SI_SJ_SK_EUlSX_E1_NS1_11comp_targetILNS1_3genE5ELNS1_11target_archE942ELNS1_3gpuE9ELNS1_3repE0EEENS1_36merge_oddeven_config_static_selectorELNS0_4arch9wavefront6targetE1EEEvSJ_.uses_vcc, 0
	.set _ZN7rocprim17ROCPRIM_400000_NS6detail17trampoline_kernelINS0_14default_configENS1_38merge_sort_block_merge_config_selectorIiiEEZZNS1_27merge_sort_block_merge_implIS3_N6thrust23THRUST_200600_302600_NS6detail15normal_iteratorINS8_10device_ptrIiEEEESD_jNS1_19radix_merge_compareILb0ELb1EiNS0_19identity_decomposerEEEEE10hipError_tT0_T1_T2_jT3_P12ihipStream_tbPNSt15iterator_traitsISI_E10value_typeEPNSO_ISJ_E10value_typeEPSK_NS1_7vsmem_tEENKUlT_SI_SJ_SK_E_clISD_PiSD_S10_EESH_SX_SI_SJ_SK_EUlSX_E1_NS1_11comp_targetILNS1_3genE5ELNS1_11target_archE942ELNS1_3gpuE9ELNS1_3repE0EEENS1_36merge_oddeven_config_static_selectorELNS0_4arch9wavefront6targetE1EEEvSJ_.uses_flat_scratch, 0
	.set _ZN7rocprim17ROCPRIM_400000_NS6detail17trampoline_kernelINS0_14default_configENS1_38merge_sort_block_merge_config_selectorIiiEEZZNS1_27merge_sort_block_merge_implIS3_N6thrust23THRUST_200600_302600_NS6detail15normal_iteratorINS8_10device_ptrIiEEEESD_jNS1_19radix_merge_compareILb0ELb1EiNS0_19identity_decomposerEEEEE10hipError_tT0_T1_T2_jT3_P12ihipStream_tbPNSt15iterator_traitsISI_E10value_typeEPNSO_ISJ_E10value_typeEPSK_NS1_7vsmem_tEENKUlT_SI_SJ_SK_E_clISD_PiSD_S10_EESH_SX_SI_SJ_SK_EUlSX_E1_NS1_11comp_targetILNS1_3genE5ELNS1_11target_archE942ELNS1_3gpuE9ELNS1_3repE0EEENS1_36merge_oddeven_config_static_selectorELNS0_4arch9wavefront6targetE1EEEvSJ_.has_dyn_sized_stack, 0
	.set _ZN7rocprim17ROCPRIM_400000_NS6detail17trampoline_kernelINS0_14default_configENS1_38merge_sort_block_merge_config_selectorIiiEEZZNS1_27merge_sort_block_merge_implIS3_N6thrust23THRUST_200600_302600_NS6detail15normal_iteratorINS8_10device_ptrIiEEEESD_jNS1_19radix_merge_compareILb0ELb1EiNS0_19identity_decomposerEEEEE10hipError_tT0_T1_T2_jT3_P12ihipStream_tbPNSt15iterator_traitsISI_E10value_typeEPNSO_ISJ_E10value_typeEPSK_NS1_7vsmem_tEENKUlT_SI_SJ_SK_E_clISD_PiSD_S10_EESH_SX_SI_SJ_SK_EUlSX_E1_NS1_11comp_targetILNS1_3genE5ELNS1_11target_archE942ELNS1_3gpuE9ELNS1_3repE0EEENS1_36merge_oddeven_config_static_selectorELNS0_4arch9wavefront6targetE1EEEvSJ_.has_recursion, 0
	.set _ZN7rocprim17ROCPRIM_400000_NS6detail17trampoline_kernelINS0_14default_configENS1_38merge_sort_block_merge_config_selectorIiiEEZZNS1_27merge_sort_block_merge_implIS3_N6thrust23THRUST_200600_302600_NS6detail15normal_iteratorINS8_10device_ptrIiEEEESD_jNS1_19radix_merge_compareILb0ELb1EiNS0_19identity_decomposerEEEEE10hipError_tT0_T1_T2_jT3_P12ihipStream_tbPNSt15iterator_traitsISI_E10value_typeEPNSO_ISJ_E10value_typeEPSK_NS1_7vsmem_tEENKUlT_SI_SJ_SK_E_clISD_PiSD_S10_EESH_SX_SI_SJ_SK_EUlSX_E1_NS1_11comp_targetILNS1_3genE5ELNS1_11target_archE942ELNS1_3gpuE9ELNS1_3repE0EEENS1_36merge_oddeven_config_static_selectorELNS0_4arch9wavefront6targetE1EEEvSJ_.has_indirect_call, 0
	.section	.AMDGPU.csdata,"",@progbits
; Kernel info:
; codeLenInByte = 0
; TotalNumSgprs: 6
; NumVgprs: 0
; NumAgprs: 0
; TotalNumVgprs: 0
; ScratchSize: 0
; MemoryBound: 0
; FloatMode: 240
; IeeeMode: 1
; LDSByteSize: 0 bytes/workgroup (compile time only)
; SGPRBlocks: 0
; VGPRBlocks: 0
; NumSGPRsForWavesPerEU: 6
; NumVGPRsForWavesPerEU: 1
; AccumOffset: 4
; Occupancy: 8
; WaveLimiterHint : 0
; COMPUTE_PGM_RSRC2:SCRATCH_EN: 0
; COMPUTE_PGM_RSRC2:USER_SGPR: 2
; COMPUTE_PGM_RSRC2:TRAP_HANDLER: 0
; COMPUTE_PGM_RSRC2:TGID_X_EN: 1
; COMPUTE_PGM_RSRC2:TGID_Y_EN: 0
; COMPUTE_PGM_RSRC2:TGID_Z_EN: 0
; COMPUTE_PGM_RSRC2:TIDIG_COMP_CNT: 0
; COMPUTE_PGM_RSRC3_GFX90A:ACCUM_OFFSET: 0
; COMPUTE_PGM_RSRC3_GFX90A:TG_SPLIT: 0
	.section	.text._ZN7rocprim17ROCPRIM_400000_NS6detail17trampoline_kernelINS0_14default_configENS1_38merge_sort_block_merge_config_selectorIiiEEZZNS1_27merge_sort_block_merge_implIS3_N6thrust23THRUST_200600_302600_NS6detail15normal_iteratorINS8_10device_ptrIiEEEESD_jNS1_19radix_merge_compareILb0ELb1EiNS0_19identity_decomposerEEEEE10hipError_tT0_T1_T2_jT3_P12ihipStream_tbPNSt15iterator_traitsISI_E10value_typeEPNSO_ISJ_E10value_typeEPSK_NS1_7vsmem_tEENKUlT_SI_SJ_SK_E_clISD_PiSD_S10_EESH_SX_SI_SJ_SK_EUlSX_E1_NS1_11comp_targetILNS1_3genE4ELNS1_11target_archE910ELNS1_3gpuE8ELNS1_3repE0EEENS1_36merge_oddeven_config_static_selectorELNS0_4arch9wavefront6targetE1EEEvSJ_,"axG",@progbits,_ZN7rocprim17ROCPRIM_400000_NS6detail17trampoline_kernelINS0_14default_configENS1_38merge_sort_block_merge_config_selectorIiiEEZZNS1_27merge_sort_block_merge_implIS3_N6thrust23THRUST_200600_302600_NS6detail15normal_iteratorINS8_10device_ptrIiEEEESD_jNS1_19radix_merge_compareILb0ELb1EiNS0_19identity_decomposerEEEEE10hipError_tT0_T1_T2_jT3_P12ihipStream_tbPNSt15iterator_traitsISI_E10value_typeEPNSO_ISJ_E10value_typeEPSK_NS1_7vsmem_tEENKUlT_SI_SJ_SK_E_clISD_PiSD_S10_EESH_SX_SI_SJ_SK_EUlSX_E1_NS1_11comp_targetILNS1_3genE4ELNS1_11target_archE910ELNS1_3gpuE8ELNS1_3repE0EEENS1_36merge_oddeven_config_static_selectorELNS0_4arch9wavefront6targetE1EEEvSJ_,comdat
	.protected	_ZN7rocprim17ROCPRIM_400000_NS6detail17trampoline_kernelINS0_14default_configENS1_38merge_sort_block_merge_config_selectorIiiEEZZNS1_27merge_sort_block_merge_implIS3_N6thrust23THRUST_200600_302600_NS6detail15normal_iteratorINS8_10device_ptrIiEEEESD_jNS1_19radix_merge_compareILb0ELb1EiNS0_19identity_decomposerEEEEE10hipError_tT0_T1_T2_jT3_P12ihipStream_tbPNSt15iterator_traitsISI_E10value_typeEPNSO_ISJ_E10value_typeEPSK_NS1_7vsmem_tEENKUlT_SI_SJ_SK_E_clISD_PiSD_S10_EESH_SX_SI_SJ_SK_EUlSX_E1_NS1_11comp_targetILNS1_3genE4ELNS1_11target_archE910ELNS1_3gpuE8ELNS1_3repE0EEENS1_36merge_oddeven_config_static_selectorELNS0_4arch9wavefront6targetE1EEEvSJ_ ; -- Begin function _ZN7rocprim17ROCPRIM_400000_NS6detail17trampoline_kernelINS0_14default_configENS1_38merge_sort_block_merge_config_selectorIiiEEZZNS1_27merge_sort_block_merge_implIS3_N6thrust23THRUST_200600_302600_NS6detail15normal_iteratorINS8_10device_ptrIiEEEESD_jNS1_19radix_merge_compareILb0ELb1EiNS0_19identity_decomposerEEEEE10hipError_tT0_T1_T2_jT3_P12ihipStream_tbPNSt15iterator_traitsISI_E10value_typeEPNSO_ISJ_E10value_typeEPSK_NS1_7vsmem_tEENKUlT_SI_SJ_SK_E_clISD_PiSD_S10_EESH_SX_SI_SJ_SK_EUlSX_E1_NS1_11comp_targetILNS1_3genE4ELNS1_11target_archE910ELNS1_3gpuE8ELNS1_3repE0EEENS1_36merge_oddeven_config_static_selectorELNS0_4arch9wavefront6targetE1EEEvSJ_
	.globl	_ZN7rocprim17ROCPRIM_400000_NS6detail17trampoline_kernelINS0_14default_configENS1_38merge_sort_block_merge_config_selectorIiiEEZZNS1_27merge_sort_block_merge_implIS3_N6thrust23THRUST_200600_302600_NS6detail15normal_iteratorINS8_10device_ptrIiEEEESD_jNS1_19radix_merge_compareILb0ELb1EiNS0_19identity_decomposerEEEEE10hipError_tT0_T1_T2_jT3_P12ihipStream_tbPNSt15iterator_traitsISI_E10value_typeEPNSO_ISJ_E10value_typeEPSK_NS1_7vsmem_tEENKUlT_SI_SJ_SK_E_clISD_PiSD_S10_EESH_SX_SI_SJ_SK_EUlSX_E1_NS1_11comp_targetILNS1_3genE4ELNS1_11target_archE910ELNS1_3gpuE8ELNS1_3repE0EEENS1_36merge_oddeven_config_static_selectorELNS0_4arch9wavefront6targetE1EEEvSJ_
	.p2align	8
	.type	_ZN7rocprim17ROCPRIM_400000_NS6detail17trampoline_kernelINS0_14default_configENS1_38merge_sort_block_merge_config_selectorIiiEEZZNS1_27merge_sort_block_merge_implIS3_N6thrust23THRUST_200600_302600_NS6detail15normal_iteratorINS8_10device_ptrIiEEEESD_jNS1_19radix_merge_compareILb0ELb1EiNS0_19identity_decomposerEEEEE10hipError_tT0_T1_T2_jT3_P12ihipStream_tbPNSt15iterator_traitsISI_E10value_typeEPNSO_ISJ_E10value_typeEPSK_NS1_7vsmem_tEENKUlT_SI_SJ_SK_E_clISD_PiSD_S10_EESH_SX_SI_SJ_SK_EUlSX_E1_NS1_11comp_targetILNS1_3genE4ELNS1_11target_archE910ELNS1_3gpuE8ELNS1_3repE0EEENS1_36merge_oddeven_config_static_selectorELNS0_4arch9wavefront6targetE1EEEvSJ_,@function
_ZN7rocprim17ROCPRIM_400000_NS6detail17trampoline_kernelINS0_14default_configENS1_38merge_sort_block_merge_config_selectorIiiEEZZNS1_27merge_sort_block_merge_implIS3_N6thrust23THRUST_200600_302600_NS6detail15normal_iteratorINS8_10device_ptrIiEEEESD_jNS1_19radix_merge_compareILb0ELb1EiNS0_19identity_decomposerEEEEE10hipError_tT0_T1_T2_jT3_P12ihipStream_tbPNSt15iterator_traitsISI_E10value_typeEPNSO_ISJ_E10value_typeEPSK_NS1_7vsmem_tEENKUlT_SI_SJ_SK_E_clISD_PiSD_S10_EESH_SX_SI_SJ_SK_EUlSX_E1_NS1_11comp_targetILNS1_3genE4ELNS1_11target_archE910ELNS1_3gpuE8ELNS1_3repE0EEENS1_36merge_oddeven_config_static_selectorELNS0_4arch9wavefront6targetE1EEEvSJ_: ; @_ZN7rocprim17ROCPRIM_400000_NS6detail17trampoline_kernelINS0_14default_configENS1_38merge_sort_block_merge_config_selectorIiiEEZZNS1_27merge_sort_block_merge_implIS3_N6thrust23THRUST_200600_302600_NS6detail15normal_iteratorINS8_10device_ptrIiEEEESD_jNS1_19radix_merge_compareILb0ELb1EiNS0_19identity_decomposerEEEEE10hipError_tT0_T1_T2_jT3_P12ihipStream_tbPNSt15iterator_traitsISI_E10value_typeEPNSO_ISJ_E10value_typeEPSK_NS1_7vsmem_tEENKUlT_SI_SJ_SK_E_clISD_PiSD_S10_EESH_SX_SI_SJ_SK_EUlSX_E1_NS1_11comp_targetILNS1_3genE4ELNS1_11target_archE910ELNS1_3gpuE8ELNS1_3repE0EEENS1_36merge_oddeven_config_static_selectorELNS0_4arch9wavefront6targetE1EEEvSJ_
; %bb.0:
	.section	.rodata,"a",@progbits
	.p2align	6, 0x0
	.amdhsa_kernel _ZN7rocprim17ROCPRIM_400000_NS6detail17trampoline_kernelINS0_14default_configENS1_38merge_sort_block_merge_config_selectorIiiEEZZNS1_27merge_sort_block_merge_implIS3_N6thrust23THRUST_200600_302600_NS6detail15normal_iteratorINS8_10device_ptrIiEEEESD_jNS1_19radix_merge_compareILb0ELb1EiNS0_19identity_decomposerEEEEE10hipError_tT0_T1_T2_jT3_P12ihipStream_tbPNSt15iterator_traitsISI_E10value_typeEPNSO_ISJ_E10value_typeEPSK_NS1_7vsmem_tEENKUlT_SI_SJ_SK_E_clISD_PiSD_S10_EESH_SX_SI_SJ_SK_EUlSX_E1_NS1_11comp_targetILNS1_3genE4ELNS1_11target_archE910ELNS1_3gpuE8ELNS1_3repE0EEENS1_36merge_oddeven_config_static_selectorELNS0_4arch9wavefront6targetE1EEEvSJ_
		.amdhsa_group_segment_fixed_size 0
		.amdhsa_private_segment_fixed_size 0
		.amdhsa_kernarg_size 48
		.amdhsa_user_sgpr_count 2
		.amdhsa_user_sgpr_dispatch_ptr 0
		.amdhsa_user_sgpr_queue_ptr 0
		.amdhsa_user_sgpr_kernarg_segment_ptr 1
		.amdhsa_user_sgpr_dispatch_id 0
		.amdhsa_user_sgpr_kernarg_preload_length 0
		.amdhsa_user_sgpr_kernarg_preload_offset 0
		.amdhsa_user_sgpr_private_segment_size 0
		.amdhsa_uses_dynamic_stack 0
		.amdhsa_enable_private_segment 0
		.amdhsa_system_sgpr_workgroup_id_x 1
		.amdhsa_system_sgpr_workgroup_id_y 0
		.amdhsa_system_sgpr_workgroup_id_z 0
		.amdhsa_system_sgpr_workgroup_info 0
		.amdhsa_system_vgpr_workitem_id 0
		.amdhsa_next_free_vgpr 1
		.amdhsa_next_free_sgpr 0
		.amdhsa_accum_offset 4
		.amdhsa_reserve_vcc 0
		.amdhsa_float_round_mode_32 0
		.amdhsa_float_round_mode_16_64 0
		.amdhsa_float_denorm_mode_32 3
		.amdhsa_float_denorm_mode_16_64 3
		.amdhsa_dx10_clamp 1
		.amdhsa_ieee_mode 1
		.amdhsa_fp16_overflow 0
		.amdhsa_tg_split 0
		.amdhsa_exception_fp_ieee_invalid_op 0
		.amdhsa_exception_fp_denorm_src 0
		.amdhsa_exception_fp_ieee_div_zero 0
		.amdhsa_exception_fp_ieee_overflow 0
		.amdhsa_exception_fp_ieee_underflow 0
		.amdhsa_exception_fp_ieee_inexact 0
		.amdhsa_exception_int_div_zero 0
	.end_amdhsa_kernel
	.section	.text._ZN7rocprim17ROCPRIM_400000_NS6detail17trampoline_kernelINS0_14default_configENS1_38merge_sort_block_merge_config_selectorIiiEEZZNS1_27merge_sort_block_merge_implIS3_N6thrust23THRUST_200600_302600_NS6detail15normal_iteratorINS8_10device_ptrIiEEEESD_jNS1_19radix_merge_compareILb0ELb1EiNS0_19identity_decomposerEEEEE10hipError_tT0_T1_T2_jT3_P12ihipStream_tbPNSt15iterator_traitsISI_E10value_typeEPNSO_ISJ_E10value_typeEPSK_NS1_7vsmem_tEENKUlT_SI_SJ_SK_E_clISD_PiSD_S10_EESH_SX_SI_SJ_SK_EUlSX_E1_NS1_11comp_targetILNS1_3genE4ELNS1_11target_archE910ELNS1_3gpuE8ELNS1_3repE0EEENS1_36merge_oddeven_config_static_selectorELNS0_4arch9wavefront6targetE1EEEvSJ_,"axG",@progbits,_ZN7rocprim17ROCPRIM_400000_NS6detail17trampoline_kernelINS0_14default_configENS1_38merge_sort_block_merge_config_selectorIiiEEZZNS1_27merge_sort_block_merge_implIS3_N6thrust23THRUST_200600_302600_NS6detail15normal_iteratorINS8_10device_ptrIiEEEESD_jNS1_19radix_merge_compareILb0ELb1EiNS0_19identity_decomposerEEEEE10hipError_tT0_T1_T2_jT3_P12ihipStream_tbPNSt15iterator_traitsISI_E10value_typeEPNSO_ISJ_E10value_typeEPSK_NS1_7vsmem_tEENKUlT_SI_SJ_SK_E_clISD_PiSD_S10_EESH_SX_SI_SJ_SK_EUlSX_E1_NS1_11comp_targetILNS1_3genE4ELNS1_11target_archE910ELNS1_3gpuE8ELNS1_3repE0EEENS1_36merge_oddeven_config_static_selectorELNS0_4arch9wavefront6targetE1EEEvSJ_,comdat
.Lfunc_end1387:
	.size	_ZN7rocprim17ROCPRIM_400000_NS6detail17trampoline_kernelINS0_14default_configENS1_38merge_sort_block_merge_config_selectorIiiEEZZNS1_27merge_sort_block_merge_implIS3_N6thrust23THRUST_200600_302600_NS6detail15normal_iteratorINS8_10device_ptrIiEEEESD_jNS1_19radix_merge_compareILb0ELb1EiNS0_19identity_decomposerEEEEE10hipError_tT0_T1_T2_jT3_P12ihipStream_tbPNSt15iterator_traitsISI_E10value_typeEPNSO_ISJ_E10value_typeEPSK_NS1_7vsmem_tEENKUlT_SI_SJ_SK_E_clISD_PiSD_S10_EESH_SX_SI_SJ_SK_EUlSX_E1_NS1_11comp_targetILNS1_3genE4ELNS1_11target_archE910ELNS1_3gpuE8ELNS1_3repE0EEENS1_36merge_oddeven_config_static_selectorELNS0_4arch9wavefront6targetE1EEEvSJ_, .Lfunc_end1387-_ZN7rocprim17ROCPRIM_400000_NS6detail17trampoline_kernelINS0_14default_configENS1_38merge_sort_block_merge_config_selectorIiiEEZZNS1_27merge_sort_block_merge_implIS3_N6thrust23THRUST_200600_302600_NS6detail15normal_iteratorINS8_10device_ptrIiEEEESD_jNS1_19radix_merge_compareILb0ELb1EiNS0_19identity_decomposerEEEEE10hipError_tT0_T1_T2_jT3_P12ihipStream_tbPNSt15iterator_traitsISI_E10value_typeEPNSO_ISJ_E10value_typeEPSK_NS1_7vsmem_tEENKUlT_SI_SJ_SK_E_clISD_PiSD_S10_EESH_SX_SI_SJ_SK_EUlSX_E1_NS1_11comp_targetILNS1_3genE4ELNS1_11target_archE910ELNS1_3gpuE8ELNS1_3repE0EEENS1_36merge_oddeven_config_static_selectorELNS0_4arch9wavefront6targetE1EEEvSJ_
                                        ; -- End function
	.set _ZN7rocprim17ROCPRIM_400000_NS6detail17trampoline_kernelINS0_14default_configENS1_38merge_sort_block_merge_config_selectorIiiEEZZNS1_27merge_sort_block_merge_implIS3_N6thrust23THRUST_200600_302600_NS6detail15normal_iteratorINS8_10device_ptrIiEEEESD_jNS1_19radix_merge_compareILb0ELb1EiNS0_19identity_decomposerEEEEE10hipError_tT0_T1_T2_jT3_P12ihipStream_tbPNSt15iterator_traitsISI_E10value_typeEPNSO_ISJ_E10value_typeEPSK_NS1_7vsmem_tEENKUlT_SI_SJ_SK_E_clISD_PiSD_S10_EESH_SX_SI_SJ_SK_EUlSX_E1_NS1_11comp_targetILNS1_3genE4ELNS1_11target_archE910ELNS1_3gpuE8ELNS1_3repE0EEENS1_36merge_oddeven_config_static_selectorELNS0_4arch9wavefront6targetE1EEEvSJ_.num_vgpr, 0
	.set _ZN7rocprim17ROCPRIM_400000_NS6detail17trampoline_kernelINS0_14default_configENS1_38merge_sort_block_merge_config_selectorIiiEEZZNS1_27merge_sort_block_merge_implIS3_N6thrust23THRUST_200600_302600_NS6detail15normal_iteratorINS8_10device_ptrIiEEEESD_jNS1_19radix_merge_compareILb0ELb1EiNS0_19identity_decomposerEEEEE10hipError_tT0_T1_T2_jT3_P12ihipStream_tbPNSt15iterator_traitsISI_E10value_typeEPNSO_ISJ_E10value_typeEPSK_NS1_7vsmem_tEENKUlT_SI_SJ_SK_E_clISD_PiSD_S10_EESH_SX_SI_SJ_SK_EUlSX_E1_NS1_11comp_targetILNS1_3genE4ELNS1_11target_archE910ELNS1_3gpuE8ELNS1_3repE0EEENS1_36merge_oddeven_config_static_selectorELNS0_4arch9wavefront6targetE1EEEvSJ_.num_agpr, 0
	.set _ZN7rocprim17ROCPRIM_400000_NS6detail17trampoline_kernelINS0_14default_configENS1_38merge_sort_block_merge_config_selectorIiiEEZZNS1_27merge_sort_block_merge_implIS3_N6thrust23THRUST_200600_302600_NS6detail15normal_iteratorINS8_10device_ptrIiEEEESD_jNS1_19radix_merge_compareILb0ELb1EiNS0_19identity_decomposerEEEEE10hipError_tT0_T1_T2_jT3_P12ihipStream_tbPNSt15iterator_traitsISI_E10value_typeEPNSO_ISJ_E10value_typeEPSK_NS1_7vsmem_tEENKUlT_SI_SJ_SK_E_clISD_PiSD_S10_EESH_SX_SI_SJ_SK_EUlSX_E1_NS1_11comp_targetILNS1_3genE4ELNS1_11target_archE910ELNS1_3gpuE8ELNS1_3repE0EEENS1_36merge_oddeven_config_static_selectorELNS0_4arch9wavefront6targetE1EEEvSJ_.numbered_sgpr, 0
	.set _ZN7rocprim17ROCPRIM_400000_NS6detail17trampoline_kernelINS0_14default_configENS1_38merge_sort_block_merge_config_selectorIiiEEZZNS1_27merge_sort_block_merge_implIS3_N6thrust23THRUST_200600_302600_NS6detail15normal_iteratorINS8_10device_ptrIiEEEESD_jNS1_19radix_merge_compareILb0ELb1EiNS0_19identity_decomposerEEEEE10hipError_tT0_T1_T2_jT3_P12ihipStream_tbPNSt15iterator_traitsISI_E10value_typeEPNSO_ISJ_E10value_typeEPSK_NS1_7vsmem_tEENKUlT_SI_SJ_SK_E_clISD_PiSD_S10_EESH_SX_SI_SJ_SK_EUlSX_E1_NS1_11comp_targetILNS1_3genE4ELNS1_11target_archE910ELNS1_3gpuE8ELNS1_3repE0EEENS1_36merge_oddeven_config_static_selectorELNS0_4arch9wavefront6targetE1EEEvSJ_.num_named_barrier, 0
	.set _ZN7rocprim17ROCPRIM_400000_NS6detail17trampoline_kernelINS0_14default_configENS1_38merge_sort_block_merge_config_selectorIiiEEZZNS1_27merge_sort_block_merge_implIS3_N6thrust23THRUST_200600_302600_NS6detail15normal_iteratorINS8_10device_ptrIiEEEESD_jNS1_19radix_merge_compareILb0ELb1EiNS0_19identity_decomposerEEEEE10hipError_tT0_T1_T2_jT3_P12ihipStream_tbPNSt15iterator_traitsISI_E10value_typeEPNSO_ISJ_E10value_typeEPSK_NS1_7vsmem_tEENKUlT_SI_SJ_SK_E_clISD_PiSD_S10_EESH_SX_SI_SJ_SK_EUlSX_E1_NS1_11comp_targetILNS1_3genE4ELNS1_11target_archE910ELNS1_3gpuE8ELNS1_3repE0EEENS1_36merge_oddeven_config_static_selectorELNS0_4arch9wavefront6targetE1EEEvSJ_.private_seg_size, 0
	.set _ZN7rocprim17ROCPRIM_400000_NS6detail17trampoline_kernelINS0_14default_configENS1_38merge_sort_block_merge_config_selectorIiiEEZZNS1_27merge_sort_block_merge_implIS3_N6thrust23THRUST_200600_302600_NS6detail15normal_iteratorINS8_10device_ptrIiEEEESD_jNS1_19radix_merge_compareILb0ELb1EiNS0_19identity_decomposerEEEEE10hipError_tT0_T1_T2_jT3_P12ihipStream_tbPNSt15iterator_traitsISI_E10value_typeEPNSO_ISJ_E10value_typeEPSK_NS1_7vsmem_tEENKUlT_SI_SJ_SK_E_clISD_PiSD_S10_EESH_SX_SI_SJ_SK_EUlSX_E1_NS1_11comp_targetILNS1_3genE4ELNS1_11target_archE910ELNS1_3gpuE8ELNS1_3repE0EEENS1_36merge_oddeven_config_static_selectorELNS0_4arch9wavefront6targetE1EEEvSJ_.uses_vcc, 0
	.set _ZN7rocprim17ROCPRIM_400000_NS6detail17trampoline_kernelINS0_14default_configENS1_38merge_sort_block_merge_config_selectorIiiEEZZNS1_27merge_sort_block_merge_implIS3_N6thrust23THRUST_200600_302600_NS6detail15normal_iteratorINS8_10device_ptrIiEEEESD_jNS1_19radix_merge_compareILb0ELb1EiNS0_19identity_decomposerEEEEE10hipError_tT0_T1_T2_jT3_P12ihipStream_tbPNSt15iterator_traitsISI_E10value_typeEPNSO_ISJ_E10value_typeEPSK_NS1_7vsmem_tEENKUlT_SI_SJ_SK_E_clISD_PiSD_S10_EESH_SX_SI_SJ_SK_EUlSX_E1_NS1_11comp_targetILNS1_3genE4ELNS1_11target_archE910ELNS1_3gpuE8ELNS1_3repE0EEENS1_36merge_oddeven_config_static_selectorELNS0_4arch9wavefront6targetE1EEEvSJ_.uses_flat_scratch, 0
	.set _ZN7rocprim17ROCPRIM_400000_NS6detail17trampoline_kernelINS0_14default_configENS1_38merge_sort_block_merge_config_selectorIiiEEZZNS1_27merge_sort_block_merge_implIS3_N6thrust23THRUST_200600_302600_NS6detail15normal_iteratorINS8_10device_ptrIiEEEESD_jNS1_19radix_merge_compareILb0ELb1EiNS0_19identity_decomposerEEEEE10hipError_tT0_T1_T2_jT3_P12ihipStream_tbPNSt15iterator_traitsISI_E10value_typeEPNSO_ISJ_E10value_typeEPSK_NS1_7vsmem_tEENKUlT_SI_SJ_SK_E_clISD_PiSD_S10_EESH_SX_SI_SJ_SK_EUlSX_E1_NS1_11comp_targetILNS1_3genE4ELNS1_11target_archE910ELNS1_3gpuE8ELNS1_3repE0EEENS1_36merge_oddeven_config_static_selectorELNS0_4arch9wavefront6targetE1EEEvSJ_.has_dyn_sized_stack, 0
	.set _ZN7rocprim17ROCPRIM_400000_NS6detail17trampoline_kernelINS0_14default_configENS1_38merge_sort_block_merge_config_selectorIiiEEZZNS1_27merge_sort_block_merge_implIS3_N6thrust23THRUST_200600_302600_NS6detail15normal_iteratorINS8_10device_ptrIiEEEESD_jNS1_19radix_merge_compareILb0ELb1EiNS0_19identity_decomposerEEEEE10hipError_tT0_T1_T2_jT3_P12ihipStream_tbPNSt15iterator_traitsISI_E10value_typeEPNSO_ISJ_E10value_typeEPSK_NS1_7vsmem_tEENKUlT_SI_SJ_SK_E_clISD_PiSD_S10_EESH_SX_SI_SJ_SK_EUlSX_E1_NS1_11comp_targetILNS1_3genE4ELNS1_11target_archE910ELNS1_3gpuE8ELNS1_3repE0EEENS1_36merge_oddeven_config_static_selectorELNS0_4arch9wavefront6targetE1EEEvSJ_.has_recursion, 0
	.set _ZN7rocprim17ROCPRIM_400000_NS6detail17trampoline_kernelINS0_14default_configENS1_38merge_sort_block_merge_config_selectorIiiEEZZNS1_27merge_sort_block_merge_implIS3_N6thrust23THRUST_200600_302600_NS6detail15normal_iteratorINS8_10device_ptrIiEEEESD_jNS1_19radix_merge_compareILb0ELb1EiNS0_19identity_decomposerEEEEE10hipError_tT0_T1_T2_jT3_P12ihipStream_tbPNSt15iterator_traitsISI_E10value_typeEPNSO_ISJ_E10value_typeEPSK_NS1_7vsmem_tEENKUlT_SI_SJ_SK_E_clISD_PiSD_S10_EESH_SX_SI_SJ_SK_EUlSX_E1_NS1_11comp_targetILNS1_3genE4ELNS1_11target_archE910ELNS1_3gpuE8ELNS1_3repE0EEENS1_36merge_oddeven_config_static_selectorELNS0_4arch9wavefront6targetE1EEEvSJ_.has_indirect_call, 0
	.section	.AMDGPU.csdata,"",@progbits
; Kernel info:
; codeLenInByte = 0
; TotalNumSgprs: 6
; NumVgprs: 0
; NumAgprs: 0
; TotalNumVgprs: 0
; ScratchSize: 0
; MemoryBound: 0
; FloatMode: 240
; IeeeMode: 1
; LDSByteSize: 0 bytes/workgroup (compile time only)
; SGPRBlocks: 0
; VGPRBlocks: 0
; NumSGPRsForWavesPerEU: 6
; NumVGPRsForWavesPerEU: 1
; AccumOffset: 4
; Occupancy: 8
; WaveLimiterHint : 0
; COMPUTE_PGM_RSRC2:SCRATCH_EN: 0
; COMPUTE_PGM_RSRC2:USER_SGPR: 2
; COMPUTE_PGM_RSRC2:TRAP_HANDLER: 0
; COMPUTE_PGM_RSRC2:TGID_X_EN: 1
; COMPUTE_PGM_RSRC2:TGID_Y_EN: 0
; COMPUTE_PGM_RSRC2:TGID_Z_EN: 0
; COMPUTE_PGM_RSRC2:TIDIG_COMP_CNT: 0
; COMPUTE_PGM_RSRC3_GFX90A:ACCUM_OFFSET: 0
; COMPUTE_PGM_RSRC3_GFX90A:TG_SPLIT: 0
	.section	.text._ZN7rocprim17ROCPRIM_400000_NS6detail17trampoline_kernelINS0_14default_configENS1_38merge_sort_block_merge_config_selectorIiiEEZZNS1_27merge_sort_block_merge_implIS3_N6thrust23THRUST_200600_302600_NS6detail15normal_iteratorINS8_10device_ptrIiEEEESD_jNS1_19radix_merge_compareILb0ELb1EiNS0_19identity_decomposerEEEEE10hipError_tT0_T1_T2_jT3_P12ihipStream_tbPNSt15iterator_traitsISI_E10value_typeEPNSO_ISJ_E10value_typeEPSK_NS1_7vsmem_tEENKUlT_SI_SJ_SK_E_clISD_PiSD_S10_EESH_SX_SI_SJ_SK_EUlSX_E1_NS1_11comp_targetILNS1_3genE3ELNS1_11target_archE908ELNS1_3gpuE7ELNS1_3repE0EEENS1_36merge_oddeven_config_static_selectorELNS0_4arch9wavefront6targetE1EEEvSJ_,"axG",@progbits,_ZN7rocprim17ROCPRIM_400000_NS6detail17trampoline_kernelINS0_14default_configENS1_38merge_sort_block_merge_config_selectorIiiEEZZNS1_27merge_sort_block_merge_implIS3_N6thrust23THRUST_200600_302600_NS6detail15normal_iteratorINS8_10device_ptrIiEEEESD_jNS1_19radix_merge_compareILb0ELb1EiNS0_19identity_decomposerEEEEE10hipError_tT0_T1_T2_jT3_P12ihipStream_tbPNSt15iterator_traitsISI_E10value_typeEPNSO_ISJ_E10value_typeEPSK_NS1_7vsmem_tEENKUlT_SI_SJ_SK_E_clISD_PiSD_S10_EESH_SX_SI_SJ_SK_EUlSX_E1_NS1_11comp_targetILNS1_3genE3ELNS1_11target_archE908ELNS1_3gpuE7ELNS1_3repE0EEENS1_36merge_oddeven_config_static_selectorELNS0_4arch9wavefront6targetE1EEEvSJ_,comdat
	.protected	_ZN7rocprim17ROCPRIM_400000_NS6detail17trampoline_kernelINS0_14default_configENS1_38merge_sort_block_merge_config_selectorIiiEEZZNS1_27merge_sort_block_merge_implIS3_N6thrust23THRUST_200600_302600_NS6detail15normal_iteratorINS8_10device_ptrIiEEEESD_jNS1_19radix_merge_compareILb0ELb1EiNS0_19identity_decomposerEEEEE10hipError_tT0_T1_T2_jT3_P12ihipStream_tbPNSt15iterator_traitsISI_E10value_typeEPNSO_ISJ_E10value_typeEPSK_NS1_7vsmem_tEENKUlT_SI_SJ_SK_E_clISD_PiSD_S10_EESH_SX_SI_SJ_SK_EUlSX_E1_NS1_11comp_targetILNS1_3genE3ELNS1_11target_archE908ELNS1_3gpuE7ELNS1_3repE0EEENS1_36merge_oddeven_config_static_selectorELNS0_4arch9wavefront6targetE1EEEvSJ_ ; -- Begin function _ZN7rocprim17ROCPRIM_400000_NS6detail17trampoline_kernelINS0_14default_configENS1_38merge_sort_block_merge_config_selectorIiiEEZZNS1_27merge_sort_block_merge_implIS3_N6thrust23THRUST_200600_302600_NS6detail15normal_iteratorINS8_10device_ptrIiEEEESD_jNS1_19radix_merge_compareILb0ELb1EiNS0_19identity_decomposerEEEEE10hipError_tT0_T1_T2_jT3_P12ihipStream_tbPNSt15iterator_traitsISI_E10value_typeEPNSO_ISJ_E10value_typeEPSK_NS1_7vsmem_tEENKUlT_SI_SJ_SK_E_clISD_PiSD_S10_EESH_SX_SI_SJ_SK_EUlSX_E1_NS1_11comp_targetILNS1_3genE3ELNS1_11target_archE908ELNS1_3gpuE7ELNS1_3repE0EEENS1_36merge_oddeven_config_static_selectorELNS0_4arch9wavefront6targetE1EEEvSJ_
	.globl	_ZN7rocprim17ROCPRIM_400000_NS6detail17trampoline_kernelINS0_14default_configENS1_38merge_sort_block_merge_config_selectorIiiEEZZNS1_27merge_sort_block_merge_implIS3_N6thrust23THRUST_200600_302600_NS6detail15normal_iteratorINS8_10device_ptrIiEEEESD_jNS1_19radix_merge_compareILb0ELb1EiNS0_19identity_decomposerEEEEE10hipError_tT0_T1_T2_jT3_P12ihipStream_tbPNSt15iterator_traitsISI_E10value_typeEPNSO_ISJ_E10value_typeEPSK_NS1_7vsmem_tEENKUlT_SI_SJ_SK_E_clISD_PiSD_S10_EESH_SX_SI_SJ_SK_EUlSX_E1_NS1_11comp_targetILNS1_3genE3ELNS1_11target_archE908ELNS1_3gpuE7ELNS1_3repE0EEENS1_36merge_oddeven_config_static_selectorELNS0_4arch9wavefront6targetE1EEEvSJ_
	.p2align	8
	.type	_ZN7rocprim17ROCPRIM_400000_NS6detail17trampoline_kernelINS0_14default_configENS1_38merge_sort_block_merge_config_selectorIiiEEZZNS1_27merge_sort_block_merge_implIS3_N6thrust23THRUST_200600_302600_NS6detail15normal_iteratorINS8_10device_ptrIiEEEESD_jNS1_19radix_merge_compareILb0ELb1EiNS0_19identity_decomposerEEEEE10hipError_tT0_T1_T2_jT3_P12ihipStream_tbPNSt15iterator_traitsISI_E10value_typeEPNSO_ISJ_E10value_typeEPSK_NS1_7vsmem_tEENKUlT_SI_SJ_SK_E_clISD_PiSD_S10_EESH_SX_SI_SJ_SK_EUlSX_E1_NS1_11comp_targetILNS1_3genE3ELNS1_11target_archE908ELNS1_3gpuE7ELNS1_3repE0EEENS1_36merge_oddeven_config_static_selectorELNS0_4arch9wavefront6targetE1EEEvSJ_,@function
_ZN7rocprim17ROCPRIM_400000_NS6detail17trampoline_kernelINS0_14default_configENS1_38merge_sort_block_merge_config_selectorIiiEEZZNS1_27merge_sort_block_merge_implIS3_N6thrust23THRUST_200600_302600_NS6detail15normal_iteratorINS8_10device_ptrIiEEEESD_jNS1_19radix_merge_compareILb0ELb1EiNS0_19identity_decomposerEEEEE10hipError_tT0_T1_T2_jT3_P12ihipStream_tbPNSt15iterator_traitsISI_E10value_typeEPNSO_ISJ_E10value_typeEPSK_NS1_7vsmem_tEENKUlT_SI_SJ_SK_E_clISD_PiSD_S10_EESH_SX_SI_SJ_SK_EUlSX_E1_NS1_11comp_targetILNS1_3genE3ELNS1_11target_archE908ELNS1_3gpuE7ELNS1_3repE0EEENS1_36merge_oddeven_config_static_selectorELNS0_4arch9wavefront6targetE1EEEvSJ_: ; @_ZN7rocprim17ROCPRIM_400000_NS6detail17trampoline_kernelINS0_14default_configENS1_38merge_sort_block_merge_config_selectorIiiEEZZNS1_27merge_sort_block_merge_implIS3_N6thrust23THRUST_200600_302600_NS6detail15normal_iteratorINS8_10device_ptrIiEEEESD_jNS1_19radix_merge_compareILb0ELb1EiNS0_19identity_decomposerEEEEE10hipError_tT0_T1_T2_jT3_P12ihipStream_tbPNSt15iterator_traitsISI_E10value_typeEPNSO_ISJ_E10value_typeEPSK_NS1_7vsmem_tEENKUlT_SI_SJ_SK_E_clISD_PiSD_S10_EESH_SX_SI_SJ_SK_EUlSX_E1_NS1_11comp_targetILNS1_3genE3ELNS1_11target_archE908ELNS1_3gpuE7ELNS1_3repE0EEENS1_36merge_oddeven_config_static_selectorELNS0_4arch9wavefront6targetE1EEEvSJ_
; %bb.0:
	.section	.rodata,"a",@progbits
	.p2align	6, 0x0
	.amdhsa_kernel _ZN7rocprim17ROCPRIM_400000_NS6detail17trampoline_kernelINS0_14default_configENS1_38merge_sort_block_merge_config_selectorIiiEEZZNS1_27merge_sort_block_merge_implIS3_N6thrust23THRUST_200600_302600_NS6detail15normal_iteratorINS8_10device_ptrIiEEEESD_jNS1_19radix_merge_compareILb0ELb1EiNS0_19identity_decomposerEEEEE10hipError_tT0_T1_T2_jT3_P12ihipStream_tbPNSt15iterator_traitsISI_E10value_typeEPNSO_ISJ_E10value_typeEPSK_NS1_7vsmem_tEENKUlT_SI_SJ_SK_E_clISD_PiSD_S10_EESH_SX_SI_SJ_SK_EUlSX_E1_NS1_11comp_targetILNS1_3genE3ELNS1_11target_archE908ELNS1_3gpuE7ELNS1_3repE0EEENS1_36merge_oddeven_config_static_selectorELNS0_4arch9wavefront6targetE1EEEvSJ_
		.amdhsa_group_segment_fixed_size 0
		.amdhsa_private_segment_fixed_size 0
		.amdhsa_kernarg_size 48
		.amdhsa_user_sgpr_count 2
		.amdhsa_user_sgpr_dispatch_ptr 0
		.amdhsa_user_sgpr_queue_ptr 0
		.amdhsa_user_sgpr_kernarg_segment_ptr 1
		.amdhsa_user_sgpr_dispatch_id 0
		.amdhsa_user_sgpr_kernarg_preload_length 0
		.amdhsa_user_sgpr_kernarg_preload_offset 0
		.amdhsa_user_sgpr_private_segment_size 0
		.amdhsa_uses_dynamic_stack 0
		.amdhsa_enable_private_segment 0
		.amdhsa_system_sgpr_workgroup_id_x 1
		.amdhsa_system_sgpr_workgroup_id_y 0
		.amdhsa_system_sgpr_workgroup_id_z 0
		.amdhsa_system_sgpr_workgroup_info 0
		.amdhsa_system_vgpr_workitem_id 0
		.amdhsa_next_free_vgpr 1
		.amdhsa_next_free_sgpr 0
		.amdhsa_accum_offset 4
		.amdhsa_reserve_vcc 0
		.amdhsa_float_round_mode_32 0
		.amdhsa_float_round_mode_16_64 0
		.amdhsa_float_denorm_mode_32 3
		.amdhsa_float_denorm_mode_16_64 3
		.amdhsa_dx10_clamp 1
		.amdhsa_ieee_mode 1
		.amdhsa_fp16_overflow 0
		.amdhsa_tg_split 0
		.amdhsa_exception_fp_ieee_invalid_op 0
		.amdhsa_exception_fp_denorm_src 0
		.amdhsa_exception_fp_ieee_div_zero 0
		.amdhsa_exception_fp_ieee_overflow 0
		.amdhsa_exception_fp_ieee_underflow 0
		.amdhsa_exception_fp_ieee_inexact 0
		.amdhsa_exception_int_div_zero 0
	.end_amdhsa_kernel
	.section	.text._ZN7rocprim17ROCPRIM_400000_NS6detail17trampoline_kernelINS0_14default_configENS1_38merge_sort_block_merge_config_selectorIiiEEZZNS1_27merge_sort_block_merge_implIS3_N6thrust23THRUST_200600_302600_NS6detail15normal_iteratorINS8_10device_ptrIiEEEESD_jNS1_19radix_merge_compareILb0ELb1EiNS0_19identity_decomposerEEEEE10hipError_tT0_T1_T2_jT3_P12ihipStream_tbPNSt15iterator_traitsISI_E10value_typeEPNSO_ISJ_E10value_typeEPSK_NS1_7vsmem_tEENKUlT_SI_SJ_SK_E_clISD_PiSD_S10_EESH_SX_SI_SJ_SK_EUlSX_E1_NS1_11comp_targetILNS1_3genE3ELNS1_11target_archE908ELNS1_3gpuE7ELNS1_3repE0EEENS1_36merge_oddeven_config_static_selectorELNS0_4arch9wavefront6targetE1EEEvSJ_,"axG",@progbits,_ZN7rocprim17ROCPRIM_400000_NS6detail17trampoline_kernelINS0_14default_configENS1_38merge_sort_block_merge_config_selectorIiiEEZZNS1_27merge_sort_block_merge_implIS3_N6thrust23THRUST_200600_302600_NS6detail15normal_iteratorINS8_10device_ptrIiEEEESD_jNS1_19radix_merge_compareILb0ELb1EiNS0_19identity_decomposerEEEEE10hipError_tT0_T1_T2_jT3_P12ihipStream_tbPNSt15iterator_traitsISI_E10value_typeEPNSO_ISJ_E10value_typeEPSK_NS1_7vsmem_tEENKUlT_SI_SJ_SK_E_clISD_PiSD_S10_EESH_SX_SI_SJ_SK_EUlSX_E1_NS1_11comp_targetILNS1_3genE3ELNS1_11target_archE908ELNS1_3gpuE7ELNS1_3repE0EEENS1_36merge_oddeven_config_static_selectorELNS0_4arch9wavefront6targetE1EEEvSJ_,comdat
.Lfunc_end1388:
	.size	_ZN7rocprim17ROCPRIM_400000_NS6detail17trampoline_kernelINS0_14default_configENS1_38merge_sort_block_merge_config_selectorIiiEEZZNS1_27merge_sort_block_merge_implIS3_N6thrust23THRUST_200600_302600_NS6detail15normal_iteratorINS8_10device_ptrIiEEEESD_jNS1_19radix_merge_compareILb0ELb1EiNS0_19identity_decomposerEEEEE10hipError_tT0_T1_T2_jT3_P12ihipStream_tbPNSt15iterator_traitsISI_E10value_typeEPNSO_ISJ_E10value_typeEPSK_NS1_7vsmem_tEENKUlT_SI_SJ_SK_E_clISD_PiSD_S10_EESH_SX_SI_SJ_SK_EUlSX_E1_NS1_11comp_targetILNS1_3genE3ELNS1_11target_archE908ELNS1_3gpuE7ELNS1_3repE0EEENS1_36merge_oddeven_config_static_selectorELNS0_4arch9wavefront6targetE1EEEvSJ_, .Lfunc_end1388-_ZN7rocprim17ROCPRIM_400000_NS6detail17trampoline_kernelINS0_14default_configENS1_38merge_sort_block_merge_config_selectorIiiEEZZNS1_27merge_sort_block_merge_implIS3_N6thrust23THRUST_200600_302600_NS6detail15normal_iteratorINS8_10device_ptrIiEEEESD_jNS1_19radix_merge_compareILb0ELb1EiNS0_19identity_decomposerEEEEE10hipError_tT0_T1_T2_jT3_P12ihipStream_tbPNSt15iterator_traitsISI_E10value_typeEPNSO_ISJ_E10value_typeEPSK_NS1_7vsmem_tEENKUlT_SI_SJ_SK_E_clISD_PiSD_S10_EESH_SX_SI_SJ_SK_EUlSX_E1_NS1_11comp_targetILNS1_3genE3ELNS1_11target_archE908ELNS1_3gpuE7ELNS1_3repE0EEENS1_36merge_oddeven_config_static_selectorELNS0_4arch9wavefront6targetE1EEEvSJ_
                                        ; -- End function
	.set _ZN7rocprim17ROCPRIM_400000_NS6detail17trampoline_kernelINS0_14default_configENS1_38merge_sort_block_merge_config_selectorIiiEEZZNS1_27merge_sort_block_merge_implIS3_N6thrust23THRUST_200600_302600_NS6detail15normal_iteratorINS8_10device_ptrIiEEEESD_jNS1_19radix_merge_compareILb0ELb1EiNS0_19identity_decomposerEEEEE10hipError_tT0_T1_T2_jT3_P12ihipStream_tbPNSt15iterator_traitsISI_E10value_typeEPNSO_ISJ_E10value_typeEPSK_NS1_7vsmem_tEENKUlT_SI_SJ_SK_E_clISD_PiSD_S10_EESH_SX_SI_SJ_SK_EUlSX_E1_NS1_11comp_targetILNS1_3genE3ELNS1_11target_archE908ELNS1_3gpuE7ELNS1_3repE0EEENS1_36merge_oddeven_config_static_selectorELNS0_4arch9wavefront6targetE1EEEvSJ_.num_vgpr, 0
	.set _ZN7rocprim17ROCPRIM_400000_NS6detail17trampoline_kernelINS0_14default_configENS1_38merge_sort_block_merge_config_selectorIiiEEZZNS1_27merge_sort_block_merge_implIS3_N6thrust23THRUST_200600_302600_NS6detail15normal_iteratorINS8_10device_ptrIiEEEESD_jNS1_19radix_merge_compareILb0ELb1EiNS0_19identity_decomposerEEEEE10hipError_tT0_T1_T2_jT3_P12ihipStream_tbPNSt15iterator_traitsISI_E10value_typeEPNSO_ISJ_E10value_typeEPSK_NS1_7vsmem_tEENKUlT_SI_SJ_SK_E_clISD_PiSD_S10_EESH_SX_SI_SJ_SK_EUlSX_E1_NS1_11comp_targetILNS1_3genE3ELNS1_11target_archE908ELNS1_3gpuE7ELNS1_3repE0EEENS1_36merge_oddeven_config_static_selectorELNS0_4arch9wavefront6targetE1EEEvSJ_.num_agpr, 0
	.set _ZN7rocprim17ROCPRIM_400000_NS6detail17trampoline_kernelINS0_14default_configENS1_38merge_sort_block_merge_config_selectorIiiEEZZNS1_27merge_sort_block_merge_implIS3_N6thrust23THRUST_200600_302600_NS6detail15normal_iteratorINS8_10device_ptrIiEEEESD_jNS1_19radix_merge_compareILb0ELb1EiNS0_19identity_decomposerEEEEE10hipError_tT0_T1_T2_jT3_P12ihipStream_tbPNSt15iterator_traitsISI_E10value_typeEPNSO_ISJ_E10value_typeEPSK_NS1_7vsmem_tEENKUlT_SI_SJ_SK_E_clISD_PiSD_S10_EESH_SX_SI_SJ_SK_EUlSX_E1_NS1_11comp_targetILNS1_3genE3ELNS1_11target_archE908ELNS1_3gpuE7ELNS1_3repE0EEENS1_36merge_oddeven_config_static_selectorELNS0_4arch9wavefront6targetE1EEEvSJ_.numbered_sgpr, 0
	.set _ZN7rocprim17ROCPRIM_400000_NS6detail17trampoline_kernelINS0_14default_configENS1_38merge_sort_block_merge_config_selectorIiiEEZZNS1_27merge_sort_block_merge_implIS3_N6thrust23THRUST_200600_302600_NS6detail15normal_iteratorINS8_10device_ptrIiEEEESD_jNS1_19radix_merge_compareILb0ELb1EiNS0_19identity_decomposerEEEEE10hipError_tT0_T1_T2_jT3_P12ihipStream_tbPNSt15iterator_traitsISI_E10value_typeEPNSO_ISJ_E10value_typeEPSK_NS1_7vsmem_tEENKUlT_SI_SJ_SK_E_clISD_PiSD_S10_EESH_SX_SI_SJ_SK_EUlSX_E1_NS1_11comp_targetILNS1_3genE3ELNS1_11target_archE908ELNS1_3gpuE7ELNS1_3repE0EEENS1_36merge_oddeven_config_static_selectorELNS0_4arch9wavefront6targetE1EEEvSJ_.num_named_barrier, 0
	.set _ZN7rocprim17ROCPRIM_400000_NS6detail17trampoline_kernelINS0_14default_configENS1_38merge_sort_block_merge_config_selectorIiiEEZZNS1_27merge_sort_block_merge_implIS3_N6thrust23THRUST_200600_302600_NS6detail15normal_iteratorINS8_10device_ptrIiEEEESD_jNS1_19radix_merge_compareILb0ELb1EiNS0_19identity_decomposerEEEEE10hipError_tT0_T1_T2_jT3_P12ihipStream_tbPNSt15iterator_traitsISI_E10value_typeEPNSO_ISJ_E10value_typeEPSK_NS1_7vsmem_tEENKUlT_SI_SJ_SK_E_clISD_PiSD_S10_EESH_SX_SI_SJ_SK_EUlSX_E1_NS1_11comp_targetILNS1_3genE3ELNS1_11target_archE908ELNS1_3gpuE7ELNS1_3repE0EEENS1_36merge_oddeven_config_static_selectorELNS0_4arch9wavefront6targetE1EEEvSJ_.private_seg_size, 0
	.set _ZN7rocprim17ROCPRIM_400000_NS6detail17trampoline_kernelINS0_14default_configENS1_38merge_sort_block_merge_config_selectorIiiEEZZNS1_27merge_sort_block_merge_implIS3_N6thrust23THRUST_200600_302600_NS6detail15normal_iteratorINS8_10device_ptrIiEEEESD_jNS1_19radix_merge_compareILb0ELb1EiNS0_19identity_decomposerEEEEE10hipError_tT0_T1_T2_jT3_P12ihipStream_tbPNSt15iterator_traitsISI_E10value_typeEPNSO_ISJ_E10value_typeEPSK_NS1_7vsmem_tEENKUlT_SI_SJ_SK_E_clISD_PiSD_S10_EESH_SX_SI_SJ_SK_EUlSX_E1_NS1_11comp_targetILNS1_3genE3ELNS1_11target_archE908ELNS1_3gpuE7ELNS1_3repE0EEENS1_36merge_oddeven_config_static_selectorELNS0_4arch9wavefront6targetE1EEEvSJ_.uses_vcc, 0
	.set _ZN7rocprim17ROCPRIM_400000_NS6detail17trampoline_kernelINS0_14default_configENS1_38merge_sort_block_merge_config_selectorIiiEEZZNS1_27merge_sort_block_merge_implIS3_N6thrust23THRUST_200600_302600_NS6detail15normal_iteratorINS8_10device_ptrIiEEEESD_jNS1_19radix_merge_compareILb0ELb1EiNS0_19identity_decomposerEEEEE10hipError_tT0_T1_T2_jT3_P12ihipStream_tbPNSt15iterator_traitsISI_E10value_typeEPNSO_ISJ_E10value_typeEPSK_NS1_7vsmem_tEENKUlT_SI_SJ_SK_E_clISD_PiSD_S10_EESH_SX_SI_SJ_SK_EUlSX_E1_NS1_11comp_targetILNS1_3genE3ELNS1_11target_archE908ELNS1_3gpuE7ELNS1_3repE0EEENS1_36merge_oddeven_config_static_selectorELNS0_4arch9wavefront6targetE1EEEvSJ_.uses_flat_scratch, 0
	.set _ZN7rocprim17ROCPRIM_400000_NS6detail17trampoline_kernelINS0_14default_configENS1_38merge_sort_block_merge_config_selectorIiiEEZZNS1_27merge_sort_block_merge_implIS3_N6thrust23THRUST_200600_302600_NS6detail15normal_iteratorINS8_10device_ptrIiEEEESD_jNS1_19radix_merge_compareILb0ELb1EiNS0_19identity_decomposerEEEEE10hipError_tT0_T1_T2_jT3_P12ihipStream_tbPNSt15iterator_traitsISI_E10value_typeEPNSO_ISJ_E10value_typeEPSK_NS1_7vsmem_tEENKUlT_SI_SJ_SK_E_clISD_PiSD_S10_EESH_SX_SI_SJ_SK_EUlSX_E1_NS1_11comp_targetILNS1_3genE3ELNS1_11target_archE908ELNS1_3gpuE7ELNS1_3repE0EEENS1_36merge_oddeven_config_static_selectorELNS0_4arch9wavefront6targetE1EEEvSJ_.has_dyn_sized_stack, 0
	.set _ZN7rocprim17ROCPRIM_400000_NS6detail17trampoline_kernelINS0_14default_configENS1_38merge_sort_block_merge_config_selectorIiiEEZZNS1_27merge_sort_block_merge_implIS3_N6thrust23THRUST_200600_302600_NS6detail15normal_iteratorINS8_10device_ptrIiEEEESD_jNS1_19radix_merge_compareILb0ELb1EiNS0_19identity_decomposerEEEEE10hipError_tT0_T1_T2_jT3_P12ihipStream_tbPNSt15iterator_traitsISI_E10value_typeEPNSO_ISJ_E10value_typeEPSK_NS1_7vsmem_tEENKUlT_SI_SJ_SK_E_clISD_PiSD_S10_EESH_SX_SI_SJ_SK_EUlSX_E1_NS1_11comp_targetILNS1_3genE3ELNS1_11target_archE908ELNS1_3gpuE7ELNS1_3repE0EEENS1_36merge_oddeven_config_static_selectorELNS0_4arch9wavefront6targetE1EEEvSJ_.has_recursion, 0
	.set _ZN7rocprim17ROCPRIM_400000_NS6detail17trampoline_kernelINS0_14default_configENS1_38merge_sort_block_merge_config_selectorIiiEEZZNS1_27merge_sort_block_merge_implIS3_N6thrust23THRUST_200600_302600_NS6detail15normal_iteratorINS8_10device_ptrIiEEEESD_jNS1_19radix_merge_compareILb0ELb1EiNS0_19identity_decomposerEEEEE10hipError_tT0_T1_T2_jT3_P12ihipStream_tbPNSt15iterator_traitsISI_E10value_typeEPNSO_ISJ_E10value_typeEPSK_NS1_7vsmem_tEENKUlT_SI_SJ_SK_E_clISD_PiSD_S10_EESH_SX_SI_SJ_SK_EUlSX_E1_NS1_11comp_targetILNS1_3genE3ELNS1_11target_archE908ELNS1_3gpuE7ELNS1_3repE0EEENS1_36merge_oddeven_config_static_selectorELNS0_4arch9wavefront6targetE1EEEvSJ_.has_indirect_call, 0
	.section	.AMDGPU.csdata,"",@progbits
; Kernel info:
; codeLenInByte = 0
; TotalNumSgprs: 6
; NumVgprs: 0
; NumAgprs: 0
; TotalNumVgprs: 0
; ScratchSize: 0
; MemoryBound: 0
; FloatMode: 240
; IeeeMode: 1
; LDSByteSize: 0 bytes/workgroup (compile time only)
; SGPRBlocks: 0
; VGPRBlocks: 0
; NumSGPRsForWavesPerEU: 6
; NumVGPRsForWavesPerEU: 1
; AccumOffset: 4
; Occupancy: 8
; WaveLimiterHint : 0
; COMPUTE_PGM_RSRC2:SCRATCH_EN: 0
; COMPUTE_PGM_RSRC2:USER_SGPR: 2
; COMPUTE_PGM_RSRC2:TRAP_HANDLER: 0
; COMPUTE_PGM_RSRC2:TGID_X_EN: 1
; COMPUTE_PGM_RSRC2:TGID_Y_EN: 0
; COMPUTE_PGM_RSRC2:TGID_Z_EN: 0
; COMPUTE_PGM_RSRC2:TIDIG_COMP_CNT: 0
; COMPUTE_PGM_RSRC3_GFX90A:ACCUM_OFFSET: 0
; COMPUTE_PGM_RSRC3_GFX90A:TG_SPLIT: 0
	.section	.text._ZN7rocprim17ROCPRIM_400000_NS6detail17trampoline_kernelINS0_14default_configENS1_38merge_sort_block_merge_config_selectorIiiEEZZNS1_27merge_sort_block_merge_implIS3_N6thrust23THRUST_200600_302600_NS6detail15normal_iteratorINS8_10device_ptrIiEEEESD_jNS1_19radix_merge_compareILb0ELb1EiNS0_19identity_decomposerEEEEE10hipError_tT0_T1_T2_jT3_P12ihipStream_tbPNSt15iterator_traitsISI_E10value_typeEPNSO_ISJ_E10value_typeEPSK_NS1_7vsmem_tEENKUlT_SI_SJ_SK_E_clISD_PiSD_S10_EESH_SX_SI_SJ_SK_EUlSX_E1_NS1_11comp_targetILNS1_3genE2ELNS1_11target_archE906ELNS1_3gpuE6ELNS1_3repE0EEENS1_36merge_oddeven_config_static_selectorELNS0_4arch9wavefront6targetE1EEEvSJ_,"axG",@progbits,_ZN7rocprim17ROCPRIM_400000_NS6detail17trampoline_kernelINS0_14default_configENS1_38merge_sort_block_merge_config_selectorIiiEEZZNS1_27merge_sort_block_merge_implIS3_N6thrust23THRUST_200600_302600_NS6detail15normal_iteratorINS8_10device_ptrIiEEEESD_jNS1_19radix_merge_compareILb0ELb1EiNS0_19identity_decomposerEEEEE10hipError_tT0_T1_T2_jT3_P12ihipStream_tbPNSt15iterator_traitsISI_E10value_typeEPNSO_ISJ_E10value_typeEPSK_NS1_7vsmem_tEENKUlT_SI_SJ_SK_E_clISD_PiSD_S10_EESH_SX_SI_SJ_SK_EUlSX_E1_NS1_11comp_targetILNS1_3genE2ELNS1_11target_archE906ELNS1_3gpuE6ELNS1_3repE0EEENS1_36merge_oddeven_config_static_selectorELNS0_4arch9wavefront6targetE1EEEvSJ_,comdat
	.protected	_ZN7rocprim17ROCPRIM_400000_NS6detail17trampoline_kernelINS0_14default_configENS1_38merge_sort_block_merge_config_selectorIiiEEZZNS1_27merge_sort_block_merge_implIS3_N6thrust23THRUST_200600_302600_NS6detail15normal_iteratorINS8_10device_ptrIiEEEESD_jNS1_19radix_merge_compareILb0ELb1EiNS0_19identity_decomposerEEEEE10hipError_tT0_T1_T2_jT3_P12ihipStream_tbPNSt15iterator_traitsISI_E10value_typeEPNSO_ISJ_E10value_typeEPSK_NS1_7vsmem_tEENKUlT_SI_SJ_SK_E_clISD_PiSD_S10_EESH_SX_SI_SJ_SK_EUlSX_E1_NS1_11comp_targetILNS1_3genE2ELNS1_11target_archE906ELNS1_3gpuE6ELNS1_3repE0EEENS1_36merge_oddeven_config_static_selectorELNS0_4arch9wavefront6targetE1EEEvSJ_ ; -- Begin function _ZN7rocprim17ROCPRIM_400000_NS6detail17trampoline_kernelINS0_14default_configENS1_38merge_sort_block_merge_config_selectorIiiEEZZNS1_27merge_sort_block_merge_implIS3_N6thrust23THRUST_200600_302600_NS6detail15normal_iteratorINS8_10device_ptrIiEEEESD_jNS1_19radix_merge_compareILb0ELb1EiNS0_19identity_decomposerEEEEE10hipError_tT0_T1_T2_jT3_P12ihipStream_tbPNSt15iterator_traitsISI_E10value_typeEPNSO_ISJ_E10value_typeEPSK_NS1_7vsmem_tEENKUlT_SI_SJ_SK_E_clISD_PiSD_S10_EESH_SX_SI_SJ_SK_EUlSX_E1_NS1_11comp_targetILNS1_3genE2ELNS1_11target_archE906ELNS1_3gpuE6ELNS1_3repE0EEENS1_36merge_oddeven_config_static_selectorELNS0_4arch9wavefront6targetE1EEEvSJ_
	.globl	_ZN7rocprim17ROCPRIM_400000_NS6detail17trampoline_kernelINS0_14default_configENS1_38merge_sort_block_merge_config_selectorIiiEEZZNS1_27merge_sort_block_merge_implIS3_N6thrust23THRUST_200600_302600_NS6detail15normal_iteratorINS8_10device_ptrIiEEEESD_jNS1_19radix_merge_compareILb0ELb1EiNS0_19identity_decomposerEEEEE10hipError_tT0_T1_T2_jT3_P12ihipStream_tbPNSt15iterator_traitsISI_E10value_typeEPNSO_ISJ_E10value_typeEPSK_NS1_7vsmem_tEENKUlT_SI_SJ_SK_E_clISD_PiSD_S10_EESH_SX_SI_SJ_SK_EUlSX_E1_NS1_11comp_targetILNS1_3genE2ELNS1_11target_archE906ELNS1_3gpuE6ELNS1_3repE0EEENS1_36merge_oddeven_config_static_selectorELNS0_4arch9wavefront6targetE1EEEvSJ_
	.p2align	8
	.type	_ZN7rocprim17ROCPRIM_400000_NS6detail17trampoline_kernelINS0_14default_configENS1_38merge_sort_block_merge_config_selectorIiiEEZZNS1_27merge_sort_block_merge_implIS3_N6thrust23THRUST_200600_302600_NS6detail15normal_iteratorINS8_10device_ptrIiEEEESD_jNS1_19radix_merge_compareILb0ELb1EiNS0_19identity_decomposerEEEEE10hipError_tT0_T1_T2_jT3_P12ihipStream_tbPNSt15iterator_traitsISI_E10value_typeEPNSO_ISJ_E10value_typeEPSK_NS1_7vsmem_tEENKUlT_SI_SJ_SK_E_clISD_PiSD_S10_EESH_SX_SI_SJ_SK_EUlSX_E1_NS1_11comp_targetILNS1_3genE2ELNS1_11target_archE906ELNS1_3gpuE6ELNS1_3repE0EEENS1_36merge_oddeven_config_static_selectorELNS0_4arch9wavefront6targetE1EEEvSJ_,@function
_ZN7rocprim17ROCPRIM_400000_NS6detail17trampoline_kernelINS0_14default_configENS1_38merge_sort_block_merge_config_selectorIiiEEZZNS1_27merge_sort_block_merge_implIS3_N6thrust23THRUST_200600_302600_NS6detail15normal_iteratorINS8_10device_ptrIiEEEESD_jNS1_19radix_merge_compareILb0ELb1EiNS0_19identity_decomposerEEEEE10hipError_tT0_T1_T2_jT3_P12ihipStream_tbPNSt15iterator_traitsISI_E10value_typeEPNSO_ISJ_E10value_typeEPSK_NS1_7vsmem_tEENKUlT_SI_SJ_SK_E_clISD_PiSD_S10_EESH_SX_SI_SJ_SK_EUlSX_E1_NS1_11comp_targetILNS1_3genE2ELNS1_11target_archE906ELNS1_3gpuE6ELNS1_3repE0EEENS1_36merge_oddeven_config_static_selectorELNS0_4arch9wavefront6targetE1EEEvSJ_: ; @_ZN7rocprim17ROCPRIM_400000_NS6detail17trampoline_kernelINS0_14default_configENS1_38merge_sort_block_merge_config_selectorIiiEEZZNS1_27merge_sort_block_merge_implIS3_N6thrust23THRUST_200600_302600_NS6detail15normal_iteratorINS8_10device_ptrIiEEEESD_jNS1_19radix_merge_compareILb0ELb1EiNS0_19identity_decomposerEEEEE10hipError_tT0_T1_T2_jT3_P12ihipStream_tbPNSt15iterator_traitsISI_E10value_typeEPNSO_ISJ_E10value_typeEPSK_NS1_7vsmem_tEENKUlT_SI_SJ_SK_E_clISD_PiSD_S10_EESH_SX_SI_SJ_SK_EUlSX_E1_NS1_11comp_targetILNS1_3genE2ELNS1_11target_archE906ELNS1_3gpuE6ELNS1_3repE0EEENS1_36merge_oddeven_config_static_selectorELNS0_4arch9wavefront6targetE1EEEvSJ_
; %bb.0:
	.section	.rodata,"a",@progbits
	.p2align	6, 0x0
	.amdhsa_kernel _ZN7rocprim17ROCPRIM_400000_NS6detail17trampoline_kernelINS0_14default_configENS1_38merge_sort_block_merge_config_selectorIiiEEZZNS1_27merge_sort_block_merge_implIS3_N6thrust23THRUST_200600_302600_NS6detail15normal_iteratorINS8_10device_ptrIiEEEESD_jNS1_19radix_merge_compareILb0ELb1EiNS0_19identity_decomposerEEEEE10hipError_tT0_T1_T2_jT3_P12ihipStream_tbPNSt15iterator_traitsISI_E10value_typeEPNSO_ISJ_E10value_typeEPSK_NS1_7vsmem_tEENKUlT_SI_SJ_SK_E_clISD_PiSD_S10_EESH_SX_SI_SJ_SK_EUlSX_E1_NS1_11comp_targetILNS1_3genE2ELNS1_11target_archE906ELNS1_3gpuE6ELNS1_3repE0EEENS1_36merge_oddeven_config_static_selectorELNS0_4arch9wavefront6targetE1EEEvSJ_
		.amdhsa_group_segment_fixed_size 0
		.amdhsa_private_segment_fixed_size 0
		.amdhsa_kernarg_size 48
		.amdhsa_user_sgpr_count 2
		.amdhsa_user_sgpr_dispatch_ptr 0
		.amdhsa_user_sgpr_queue_ptr 0
		.amdhsa_user_sgpr_kernarg_segment_ptr 1
		.amdhsa_user_sgpr_dispatch_id 0
		.amdhsa_user_sgpr_kernarg_preload_length 0
		.amdhsa_user_sgpr_kernarg_preload_offset 0
		.amdhsa_user_sgpr_private_segment_size 0
		.amdhsa_uses_dynamic_stack 0
		.amdhsa_enable_private_segment 0
		.amdhsa_system_sgpr_workgroup_id_x 1
		.amdhsa_system_sgpr_workgroup_id_y 0
		.amdhsa_system_sgpr_workgroup_id_z 0
		.amdhsa_system_sgpr_workgroup_info 0
		.amdhsa_system_vgpr_workitem_id 0
		.amdhsa_next_free_vgpr 1
		.amdhsa_next_free_sgpr 0
		.amdhsa_accum_offset 4
		.amdhsa_reserve_vcc 0
		.amdhsa_float_round_mode_32 0
		.amdhsa_float_round_mode_16_64 0
		.amdhsa_float_denorm_mode_32 3
		.amdhsa_float_denorm_mode_16_64 3
		.amdhsa_dx10_clamp 1
		.amdhsa_ieee_mode 1
		.amdhsa_fp16_overflow 0
		.amdhsa_tg_split 0
		.amdhsa_exception_fp_ieee_invalid_op 0
		.amdhsa_exception_fp_denorm_src 0
		.amdhsa_exception_fp_ieee_div_zero 0
		.amdhsa_exception_fp_ieee_overflow 0
		.amdhsa_exception_fp_ieee_underflow 0
		.amdhsa_exception_fp_ieee_inexact 0
		.amdhsa_exception_int_div_zero 0
	.end_amdhsa_kernel
	.section	.text._ZN7rocprim17ROCPRIM_400000_NS6detail17trampoline_kernelINS0_14default_configENS1_38merge_sort_block_merge_config_selectorIiiEEZZNS1_27merge_sort_block_merge_implIS3_N6thrust23THRUST_200600_302600_NS6detail15normal_iteratorINS8_10device_ptrIiEEEESD_jNS1_19radix_merge_compareILb0ELb1EiNS0_19identity_decomposerEEEEE10hipError_tT0_T1_T2_jT3_P12ihipStream_tbPNSt15iterator_traitsISI_E10value_typeEPNSO_ISJ_E10value_typeEPSK_NS1_7vsmem_tEENKUlT_SI_SJ_SK_E_clISD_PiSD_S10_EESH_SX_SI_SJ_SK_EUlSX_E1_NS1_11comp_targetILNS1_3genE2ELNS1_11target_archE906ELNS1_3gpuE6ELNS1_3repE0EEENS1_36merge_oddeven_config_static_selectorELNS0_4arch9wavefront6targetE1EEEvSJ_,"axG",@progbits,_ZN7rocprim17ROCPRIM_400000_NS6detail17trampoline_kernelINS0_14default_configENS1_38merge_sort_block_merge_config_selectorIiiEEZZNS1_27merge_sort_block_merge_implIS3_N6thrust23THRUST_200600_302600_NS6detail15normal_iteratorINS8_10device_ptrIiEEEESD_jNS1_19radix_merge_compareILb0ELb1EiNS0_19identity_decomposerEEEEE10hipError_tT0_T1_T2_jT3_P12ihipStream_tbPNSt15iterator_traitsISI_E10value_typeEPNSO_ISJ_E10value_typeEPSK_NS1_7vsmem_tEENKUlT_SI_SJ_SK_E_clISD_PiSD_S10_EESH_SX_SI_SJ_SK_EUlSX_E1_NS1_11comp_targetILNS1_3genE2ELNS1_11target_archE906ELNS1_3gpuE6ELNS1_3repE0EEENS1_36merge_oddeven_config_static_selectorELNS0_4arch9wavefront6targetE1EEEvSJ_,comdat
.Lfunc_end1389:
	.size	_ZN7rocprim17ROCPRIM_400000_NS6detail17trampoline_kernelINS0_14default_configENS1_38merge_sort_block_merge_config_selectorIiiEEZZNS1_27merge_sort_block_merge_implIS3_N6thrust23THRUST_200600_302600_NS6detail15normal_iteratorINS8_10device_ptrIiEEEESD_jNS1_19radix_merge_compareILb0ELb1EiNS0_19identity_decomposerEEEEE10hipError_tT0_T1_T2_jT3_P12ihipStream_tbPNSt15iterator_traitsISI_E10value_typeEPNSO_ISJ_E10value_typeEPSK_NS1_7vsmem_tEENKUlT_SI_SJ_SK_E_clISD_PiSD_S10_EESH_SX_SI_SJ_SK_EUlSX_E1_NS1_11comp_targetILNS1_3genE2ELNS1_11target_archE906ELNS1_3gpuE6ELNS1_3repE0EEENS1_36merge_oddeven_config_static_selectorELNS0_4arch9wavefront6targetE1EEEvSJ_, .Lfunc_end1389-_ZN7rocprim17ROCPRIM_400000_NS6detail17trampoline_kernelINS0_14default_configENS1_38merge_sort_block_merge_config_selectorIiiEEZZNS1_27merge_sort_block_merge_implIS3_N6thrust23THRUST_200600_302600_NS6detail15normal_iteratorINS8_10device_ptrIiEEEESD_jNS1_19radix_merge_compareILb0ELb1EiNS0_19identity_decomposerEEEEE10hipError_tT0_T1_T2_jT3_P12ihipStream_tbPNSt15iterator_traitsISI_E10value_typeEPNSO_ISJ_E10value_typeEPSK_NS1_7vsmem_tEENKUlT_SI_SJ_SK_E_clISD_PiSD_S10_EESH_SX_SI_SJ_SK_EUlSX_E1_NS1_11comp_targetILNS1_3genE2ELNS1_11target_archE906ELNS1_3gpuE6ELNS1_3repE0EEENS1_36merge_oddeven_config_static_selectorELNS0_4arch9wavefront6targetE1EEEvSJ_
                                        ; -- End function
	.set _ZN7rocprim17ROCPRIM_400000_NS6detail17trampoline_kernelINS0_14default_configENS1_38merge_sort_block_merge_config_selectorIiiEEZZNS1_27merge_sort_block_merge_implIS3_N6thrust23THRUST_200600_302600_NS6detail15normal_iteratorINS8_10device_ptrIiEEEESD_jNS1_19radix_merge_compareILb0ELb1EiNS0_19identity_decomposerEEEEE10hipError_tT0_T1_T2_jT3_P12ihipStream_tbPNSt15iterator_traitsISI_E10value_typeEPNSO_ISJ_E10value_typeEPSK_NS1_7vsmem_tEENKUlT_SI_SJ_SK_E_clISD_PiSD_S10_EESH_SX_SI_SJ_SK_EUlSX_E1_NS1_11comp_targetILNS1_3genE2ELNS1_11target_archE906ELNS1_3gpuE6ELNS1_3repE0EEENS1_36merge_oddeven_config_static_selectorELNS0_4arch9wavefront6targetE1EEEvSJ_.num_vgpr, 0
	.set _ZN7rocprim17ROCPRIM_400000_NS6detail17trampoline_kernelINS0_14default_configENS1_38merge_sort_block_merge_config_selectorIiiEEZZNS1_27merge_sort_block_merge_implIS3_N6thrust23THRUST_200600_302600_NS6detail15normal_iteratorINS8_10device_ptrIiEEEESD_jNS1_19radix_merge_compareILb0ELb1EiNS0_19identity_decomposerEEEEE10hipError_tT0_T1_T2_jT3_P12ihipStream_tbPNSt15iterator_traitsISI_E10value_typeEPNSO_ISJ_E10value_typeEPSK_NS1_7vsmem_tEENKUlT_SI_SJ_SK_E_clISD_PiSD_S10_EESH_SX_SI_SJ_SK_EUlSX_E1_NS1_11comp_targetILNS1_3genE2ELNS1_11target_archE906ELNS1_3gpuE6ELNS1_3repE0EEENS1_36merge_oddeven_config_static_selectorELNS0_4arch9wavefront6targetE1EEEvSJ_.num_agpr, 0
	.set _ZN7rocprim17ROCPRIM_400000_NS6detail17trampoline_kernelINS0_14default_configENS1_38merge_sort_block_merge_config_selectorIiiEEZZNS1_27merge_sort_block_merge_implIS3_N6thrust23THRUST_200600_302600_NS6detail15normal_iteratorINS8_10device_ptrIiEEEESD_jNS1_19radix_merge_compareILb0ELb1EiNS0_19identity_decomposerEEEEE10hipError_tT0_T1_T2_jT3_P12ihipStream_tbPNSt15iterator_traitsISI_E10value_typeEPNSO_ISJ_E10value_typeEPSK_NS1_7vsmem_tEENKUlT_SI_SJ_SK_E_clISD_PiSD_S10_EESH_SX_SI_SJ_SK_EUlSX_E1_NS1_11comp_targetILNS1_3genE2ELNS1_11target_archE906ELNS1_3gpuE6ELNS1_3repE0EEENS1_36merge_oddeven_config_static_selectorELNS0_4arch9wavefront6targetE1EEEvSJ_.numbered_sgpr, 0
	.set _ZN7rocprim17ROCPRIM_400000_NS6detail17trampoline_kernelINS0_14default_configENS1_38merge_sort_block_merge_config_selectorIiiEEZZNS1_27merge_sort_block_merge_implIS3_N6thrust23THRUST_200600_302600_NS6detail15normal_iteratorINS8_10device_ptrIiEEEESD_jNS1_19radix_merge_compareILb0ELb1EiNS0_19identity_decomposerEEEEE10hipError_tT0_T1_T2_jT3_P12ihipStream_tbPNSt15iterator_traitsISI_E10value_typeEPNSO_ISJ_E10value_typeEPSK_NS1_7vsmem_tEENKUlT_SI_SJ_SK_E_clISD_PiSD_S10_EESH_SX_SI_SJ_SK_EUlSX_E1_NS1_11comp_targetILNS1_3genE2ELNS1_11target_archE906ELNS1_3gpuE6ELNS1_3repE0EEENS1_36merge_oddeven_config_static_selectorELNS0_4arch9wavefront6targetE1EEEvSJ_.num_named_barrier, 0
	.set _ZN7rocprim17ROCPRIM_400000_NS6detail17trampoline_kernelINS0_14default_configENS1_38merge_sort_block_merge_config_selectorIiiEEZZNS1_27merge_sort_block_merge_implIS3_N6thrust23THRUST_200600_302600_NS6detail15normal_iteratorINS8_10device_ptrIiEEEESD_jNS1_19radix_merge_compareILb0ELb1EiNS0_19identity_decomposerEEEEE10hipError_tT0_T1_T2_jT3_P12ihipStream_tbPNSt15iterator_traitsISI_E10value_typeEPNSO_ISJ_E10value_typeEPSK_NS1_7vsmem_tEENKUlT_SI_SJ_SK_E_clISD_PiSD_S10_EESH_SX_SI_SJ_SK_EUlSX_E1_NS1_11comp_targetILNS1_3genE2ELNS1_11target_archE906ELNS1_3gpuE6ELNS1_3repE0EEENS1_36merge_oddeven_config_static_selectorELNS0_4arch9wavefront6targetE1EEEvSJ_.private_seg_size, 0
	.set _ZN7rocprim17ROCPRIM_400000_NS6detail17trampoline_kernelINS0_14default_configENS1_38merge_sort_block_merge_config_selectorIiiEEZZNS1_27merge_sort_block_merge_implIS3_N6thrust23THRUST_200600_302600_NS6detail15normal_iteratorINS8_10device_ptrIiEEEESD_jNS1_19radix_merge_compareILb0ELb1EiNS0_19identity_decomposerEEEEE10hipError_tT0_T1_T2_jT3_P12ihipStream_tbPNSt15iterator_traitsISI_E10value_typeEPNSO_ISJ_E10value_typeEPSK_NS1_7vsmem_tEENKUlT_SI_SJ_SK_E_clISD_PiSD_S10_EESH_SX_SI_SJ_SK_EUlSX_E1_NS1_11comp_targetILNS1_3genE2ELNS1_11target_archE906ELNS1_3gpuE6ELNS1_3repE0EEENS1_36merge_oddeven_config_static_selectorELNS0_4arch9wavefront6targetE1EEEvSJ_.uses_vcc, 0
	.set _ZN7rocprim17ROCPRIM_400000_NS6detail17trampoline_kernelINS0_14default_configENS1_38merge_sort_block_merge_config_selectorIiiEEZZNS1_27merge_sort_block_merge_implIS3_N6thrust23THRUST_200600_302600_NS6detail15normal_iteratorINS8_10device_ptrIiEEEESD_jNS1_19radix_merge_compareILb0ELb1EiNS0_19identity_decomposerEEEEE10hipError_tT0_T1_T2_jT3_P12ihipStream_tbPNSt15iterator_traitsISI_E10value_typeEPNSO_ISJ_E10value_typeEPSK_NS1_7vsmem_tEENKUlT_SI_SJ_SK_E_clISD_PiSD_S10_EESH_SX_SI_SJ_SK_EUlSX_E1_NS1_11comp_targetILNS1_3genE2ELNS1_11target_archE906ELNS1_3gpuE6ELNS1_3repE0EEENS1_36merge_oddeven_config_static_selectorELNS0_4arch9wavefront6targetE1EEEvSJ_.uses_flat_scratch, 0
	.set _ZN7rocprim17ROCPRIM_400000_NS6detail17trampoline_kernelINS0_14default_configENS1_38merge_sort_block_merge_config_selectorIiiEEZZNS1_27merge_sort_block_merge_implIS3_N6thrust23THRUST_200600_302600_NS6detail15normal_iteratorINS8_10device_ptrIiEEEESD_jNS1_19radix_merge_compareILb0ELb1EiNS0_19identity_decomposerEEEEE10hipError_tT0_T1_T2_jT3_P12ihipStream_tbPNSt15iterator_traitsISI_E10value_typeEPNSO_ISJ_E10value_typeEPSK_NS1_7vsmem_tEENKUlT_SI_SJ_SK_E_clISD_PiSD_S10_EESH_SX_SI_SJ_SK_EUlSX_E1_NS1_11comp_targetILNS1_3genE2ELNS1_11target_archE906ELNS1_3gpuE6ELNS1_3repE0EEENS1_36merge_oddeven_config_static_selectorELNS0_4arch9wavefront6targetE1EEEvSJ_.has_dyn_sized_stack, 0
	.set _ZN7rocprim17ROCPRIM_400000_NS6detail17trampoline_kernelINS0_14default_configENS1_38merge_sort_block_merge_config_selectorIiiEEZZNS1_27merge_sort_block_merge_implIS3_N6thrust23THRUST_200600_302600_NS6detail15normal_iteratorINS8_10device_ptrIiEEEESD_jNS1_19radix_merge_compareILb0ELb1EiNS0_19identity_decomposerEEEEE10hipError_tT0_T1_T2_jT3_P12ihipStream_tbPNSt15iterator_traitsISI_E10value_typeEPNSO_ISJ_E10value_typeEPSK_NS1_7vsmem_tEENKUlT_SI_SJ_SK_E_clISD_PiSD_S10_EESH_SX_SI_SJ_SK_EUlSX_E1_NS1_11comp_targetILNS1_3genE2ELNS1_11target_archE906ELNS1_3gpuE6ELNS1_3repE0EEENS1_36merge_oddeven_config_static_selectorELNS0_4arch9wavefront6targetE1EEEvSJ_.has_recursion, 0
	.set _ZN7rocprim17ROCPRIM_400000_NS6detail17trampoline_kernelINS0_14default_configENS1_38merge_sort_block_merge_config_selectorIiiEEZZNS1_27merge_sort_block_merge_implIS3_N6thrust23THRUST_200600_302600_NS6detail15normal_iteratorINS8_10device_ptrIiEEEESD_jNS1_19radix_merge_compareILb0ELb1EiNS0_19identity_decomposerEEEEE10hipError_tT0_T1_T2_jT3_P12ihipStream_tbPNSt15iterator_traitsISI_E10value_typeEPNSO_ISJ_E10value_typeEPSK_NS1_7vsmem_tEENKUlT_SI_SJ_SK_E_clISD_PiSD_S10_EESH_SX_SI_SJ_SK_EUlSX_E1_NS1_11comp_targetILNS1_3genE2ELNS1_11target_archE906ELNS1_3gpuE6ELNS1_3repE0EEENS1_36merge_oddeven_config_static_selectorELNS0_4arch9wavefront6targetE1EEEvSJ_.has_indirect_call, 0
	.section	.AMDGPU.csdata,"",@progbits
; Kernel info:
; codeLenInByte = 0
; TotalNumSgprs: 6
; NumVgprs: 0
; NumAgprs: 0
; TotalNumVgprs: 0
; ScratchSize: 0
; MemoryBound: 0
; FloatMode: 240
; IeeeMode: 1
; LDSByteSize: 0 bytes/workgroup (compile time only)
; SGPRBlocks: 0
; VGPRBlocks: 0
; NumSGPRsForWavesPerEU: 6
; NumVGPRsForWavesPerEU: 1
; AccumOffset: 4
; Occupancy: 8
; WaveLimiterHint : 0
; COMPUTE_PGM_RSRC2:SCRATCH_EN: 0
; COMPUTE_PGM_RSRC2:USER_SGPR: 2
; COMPUTE_PGM_RSRC2:TRAP_HANDLER: 0
; COMPUTE_PGM_RSRC2:TGID_X_EN: 1
; COMPUTE_PGM_RSRC2:TGID_Y_EN: 0
; COMPUTE_PGM_RSRC2:TGID_Z_EN: 0
; COMPUTE_PGM_RSRC2:TIDIG_COMP_CNT: 0
; COMPUTE_PGM_RSRC3_GFX90A:ACCUM_OFFSET: 0
; COMPUTE_PGM_RSRC3_GFX90A:TG_SPLIT: 0
	.section	.text._ZN7rocprim17ROCPRIM_400000_NS6detail17trampoline_kernelINS0_14default_configENS1_38merge_sort_block_merge_config_selectorIiiEEZZNS1_27merge_sort_block_merge_implIS3_N6thrust23THRUST_200600_302600_NS6detail15normal_iteratorINS8_10device_ptrIiEEEESD_jNS1_19radix_merge_compareILb0ELb1EiNS0_19identity_decomposerEEEEE10hipError_tT0_T1_T2_jT3_P12ihipStream_tbPNSt15iterator_traitsISI_E10value_typeEPNSO_ISJ_E10value_typeEPSK_NS1_7vsmem_tEENKUlT_SI_SJ_SK_E_clISD_PiSD_S10_EESH_SX_SI_SJ_SK_EUlSX_E1_NS1_11comp_targetILNS1_3genE9ELNS1_11target_archE1100ELNS1_3gpuE3ELNS1_3repE0EEENS1_36merge_oddeven_config_static_selectorELNS0_4arch9wavefront6targetE1EEEvSJ_,"axG",@progbits,_ZN7rocprim17ROCPRIM_400000_NS6detail17trampoline_kernelINS0_14default_configENS1_38merge_sort_block_merge_config_selectorIiiEEZZNS1_27merge_sort_block_merge_implIS3_N6thrust23THRUST_200600_302600_NS6detail15normal_iteratorINS8_10device_ptrIiEEEESD_jNS1_19radix_merge_compareILb0ELb1EiNS0_19identity_decomposerEEEEE10hipError_tT0_T1_T2_jT3_P12ihipStream_tbPNSt15iterator_traitsISI_E10value_typeEPNSO_ISJ_E10value_typeEPSK_NS1_7vsmem_tEENKUlT_SI_SJ_SK_E_clISD_PiSD_S10_EESH_SX_SI_SJ_SK_EUlSX_E1_NS1_11comp_targetILNS1_3genE9ELNS1_11target_archE1100ELNS1_3gpuE3ELNS1_3repE0EEENS1_36merge_oddeven_config_static_selectorELNS0_4arch9wavefront6targetE1EEEvSJ_,comdat
	.protected	_ZN7rocprim17ROCPRIM_400000_NS6detail17trampoline_kernelINS0_14default_configENS1_38merge_sort_block_merge_config_selectorIiiEEZZNS1_27merge_sort_block_merge_implIS3_N6thrust23THRUST_200600_302600_NS6detail15normal_iteratorINS8_10device_ptrIiEEEESD_jNS1_19radix_merge_compareILb0ELb1EiNS0_19identity_decomposerEEEEE10hipError_tT0_T1_T2_jT3_P12ihipStream_tbPNSt15iterator_traitsISI_E10value_typeEPNSO_ISJ_E10value_typeEPSK_NS1_7vsmem_tEENKUlT_SI_SJ_SK_E_clISD_PiSD_S10_EESH_SX_SI_SJ_SK_EUlSX_E1_NS1_11comp_targetILNS1_3genE9ELNS1_11target_archE1100ELNS1_3gpuE3ELNS1_3repE0EEENS1_36merge_oddeven_config_static_selectorELNS0_4arch9wavefront6targetE1EEEvSJ_ ; -- Begin function _ZN7rocprim17ROCPRIM_400000_NS6detail17trampoline_kernelINS0_14default_configENS1_38merge_sort_block_merge_config_selectorIiiEEZZNS1_27merge_sort_block_merge_implIS3_N6thrust23THRUST_200600_302600_NS6detail15normal_iteratorINS8_10device_ptrIiEEEESD_jNS1_19radix_merge_compareILb0ELb1EiNS0_19identity_decomposerEEEEE10hipError_tT0_T1_T2_jT3_P12ihipStream_tbPNSt15iterator_traitsISI_E10value_typeEPNSO_ISJ_E10value_typeEPSK_NS1_7vsmem_tEENKUlT_SI_SJ_SK_E_clISD_PiSD_S10_EESH_SX_SI_SJ_SK_EUlSX_E1_NS1_11comp_targetILNS1_3genE9ELNS1_11target_archE1100ELNS1_3gpuE3ELNS1_3repE0EEENS1_36merge_oddeven_config_static_selectorELNS0_4arch9wavefront6targetE1EEEvSJ_
	.globl	_ZN7rocprim17ROCPRIM_400000_NS6detail17trampoline_kernelINS0_14default_configENS1_38merge_sort_block_merge_config_selectorIiiEEZZNS1_27merge_sort_block_merge_implIS3_N6thrust23THRUST_200600_302600_NS6detail15normal_iteratorINS8_10device_ptrIiEEEESD_jNS1_19radix_merge_compareILb0ELb1EiNS0_19identity_decomposerEEEEE10hipError_tT0_T1_T2_jT3_P12ihipStream_tbPNSt15iterator_traitsISI_E10value_typeEPNSO_ISJ_E10value_typeEPSK_NS1_7vsmem_tEENKUlT_SI_SJ_SK_E_clISD_PiSD_S10_EESH_SX_SI_SJ_SK_EUlSX_E1_NS1_11comp_targetILNS1_3genE9ELNS1_11target_archE1100ELNS1_3gpuE3ELNS1_3repE0EEENS1_36merge_oddeven_config_static_selectorELNS0_4arch9wavefront6targetE1EEEvSJ_
	.p2align	8
	.type	_ZN7rocprim17ROCPRIM_400000_NS6detail17trampoline_kernelINS0_14default_configENS1_38merge_sort_block_merge_config_selectorIiiEEZZNS1_27merge_sort_block_merge_implIS3_N6thrust23THRUST_200600_302600_NS6detail15normal_iteratorINS8_10device_ptrIiEEEESD_jNS1_19radix_merge_compareILb0ELb1EiNS0_19identity_decomposerEEEEE10hipError_tT0_T1_T2_jT3_P12ihipStream_tbPNSt15iterator_traitsISI_E10value_typeEPNSO_ISJ_E10value_typeEPSK_NS1_7vsmem_tEENKUlT_SI_SJ_SK_E_clISD_PiSD_S10_EESH_SX_SI_SJ_SK_EUlSX_E1_NS1_11comp_targetILNS1_3genE9ELNS1_11target_archE1100ELNS1_3gpuE3ELNS1_3repE0EEENS1_36merge_oddeven_config_static_selectorELNS0_4arch9wavefront6targetE1EEEvSJ_,@function
_ZN7rocprim17ROCPRIM_400000_NS6detail17trampoline_kernelINS0_14default_configENS1_38merge_sort_block_merge_config_selectorIiiEEZZNS1_27merge_sort_block_merge_implIS3_N6thrust23THRUST_200600_302600_NS6detail15normal_iteratorINS8_10device_ptrIiEEEESD_jNS1_19radix_merge_compareILb0ELb1EiNS0_19identity_decomposerEEEEE10hipError_tT0_T1_T2_jT3_P12ihipStream_tbPNSt15iterator_traitsISI_E10value_typeEPNSO_ISJ_E10value_typeEPSK_NS1_7vsmem_tEENKUlT_SI_SJ_SK_E_clISD_PiSD_S10_EESH_SX_SI_SJ_SK_EUlSX_E1_NS1_11comp_targetILNS1_3genE9ELNS1_11target_archE1100ELNS1_3gpuE3ELNS1_3repE0EEENS1_36merge_oddeven_config_static_selectorELNS0_4arch9wavefront6targetE1EEEvSJ_: ; @_ZN7rocprim17ROCPRIM_400000_NS6detail17trampoline_kernelINS0_14default_configENS1_38merge_sort_block_merge_config_selectorIiiEEZZNS1_27merge_sort_block_merge_implIS3_N6thrust23THRUST_200600_302600_NS6detail15normal_iteratorINS8_10device_ptrIiEEEESD_jNS1_19radix_merge_compareILb0ELb1EiNS0_19identity_decomposerEEEEE10hipError_tT0_T1_T2_jT3_P12ihipStream_tbPNSt15iterator_traitsISI_E10value_typeEPNSO_ISJ_E10value_typeEPSK_NS1_7vsmem_tEENKUlT_SI_SJ_SK_E_clISD_PiSD_S10_EESH_SX_SI_SJ_SK_EUlSX_E1_NS1_11comp_targetILNS1_3genE9ELNS1_11target_archE1100ELNS1_3gpuE3ELNS1_3repE0EEENS1_36merge_oddeven_config_static_selectorELNS0_4arch9wavefront6targetE1EEEvSJ_
; %bb.0:
	.section	.rodata,"a",@progbits
	.p2align	6, 0x0
	.amdhsa_kernel _ZN7rocprim17ROCPRIM_400000_NS6detail17trampoline_kernelINS0_14default_configENS1_38merge_sort_block_merge_config_selectorIiiEEZZNS1_27merge_sort_block_merge_implIS3_N6thrust23THRUST_200600_302600_NS6detail15normal_iteratorINS8_10device_ptrIiEEEESD_jNS1_19radix_merge_compareILb0ELb1EiNS0_19identity_decomposerEEEEE10hipError_tT0_T1_T2_jT3_P12ihipStream_tbPNSt15iterator_traitsISI_E10value_typeEPNSO_ISJ_E10value_typeEPSK_NS1_7vsmem_tEENKUlT_SI_SJ_SK_E_clISD_PiSD_S10_EESH_SX_SI_SJ_SK_EUlSX_E1_NS1_11comp_targetILNS1_3genE9ELNS1_11target_archE1100ELNS1_3gpuE3ELNS1_3repE0EEENS1_36merge_oddeven_config_static_selectorELNS0_4arch9wavefront6targetE1EEEvSJ_
		.amdhsa_group_segment_fixed_size 0
		.amdhsa_private_segment_fixed_size 0
		.amdhsa_kernarg_size 48
		.amdhsa_user_sgpr_count 2
		.amdhsa_user_sgpr_dispatch_ptr 0
		.amdhsa_user_sgpr_queue_ptr 0
		.amdhsa_user_sgpr_kernarg_segment_ptr 1
		.amdhsa_user_sgpr_dispatch_id 0
		.amdhsa_user_sgpr_kernarg_preload_length 0
		.amdhsa_user_sgpr_kernarg_preload_offset 0
		.amdhsa_user_sgpr_private_segment_size 0
		.amdhsa_uses_dynamic_stack 0
		.amdhsa_enable_private_segment 0
		.amdhsa_system_sgpr_workgroup_id_x 1
		.amdhsa_system_sgpr_workgroup_id_y 0
		.amdhsa_system_sgpr_workgroup_id_z 0
		.amdhsa_system_sgpr_workgroup_info 0
		.amdhsa_system_vgpr_workitem_id 0
		.amdhsa_next_free_vgpr 1
		.amdhsa_next_free_sgpr 0
		.amdhsa_accum_offset 4
		.amdhsa_reserve_vcc 0
		.amdhsa_float_round_mode_32 0
		.amdhsa_float_round_mode_16_64 0
		.amdhsa_float_denorm_mode_32 3
		.amdhsa_float_denorm_mode_16_64 3
		.amdhsa_dx10_clamp 1
		.amdhsa_ieee_mode 1
		.amdhsa_fp16_overflow 0
		.amdhsa_tg_split 0
		.amdhsa_exception_fp_ieee_invalid_op 0
		.amdhsa_exception_fp_denorm_src 0
		.amdhsa_exception_fp_ieee_div_zero 0
		.amdhsa_exception_fp_ieee_overflow 0
		.amdhsa_exception_fp_ieee_underflow 0
		.amdhsa_exception_fp_ieee_inexact 0
		.amdhsa_exception_int_div_zero 0
	.end_amdhsa_kernel
	.section	.text._ZN7rocprim17ROCPRIM_400000_NS6detail17trampoline_kernelINS0_14default_configENS1_38merge_sort_block_merge_config_selectorIiiEEZZNS1_27merge_sort_block_merge_implIS3_N6thrust23THRUST_200600_302600_NS6detail15normal_iteratorINS8_10device_ptrIiEEEESD_jNS1_19radix_merge_compareILb0ELb1EiNS0_19identity_decomposerEEEEE10hipError_tT0_T1_T2_jT3_P12ihipStream_tbPNSt15iterator_traitsISI_E10value_typeEPNSO_ISJ_E10value_typeEPSK_NS1_7vsmem_tEENKUlT_SI_SJ_SK_E_clISD_PiSD_S10_EESH_SX_SI_SJ_SK_EUlSX_E1_NS1_11comp_targetILNS1_3genE9ELNS1_11target_archE1100ELNS1_3gpuE3ELNS1_3repE0EEENS1_36merge_oddeven_config_static_selectorELNS0_4arch9wavefront6targetE1EEEvSJ_,"axG",@progbits,_ZN7rocprim17ROCPRIM_400000_NS6detail17trampoline_kernelINS0_14default_configENS1_38merge_sort_block_merge_config_selectorIiiEEZZNS1_27merge_sort_block_merge_implIS3_N6thrust23THRUST_200600_302600_NS6detail15normal_iteratorINS8_10device_ptrIiEEEESD_jNS1_19radix_merge_compareILb0ELb1EiNS0_19identity_decomposerEEEEE10hipError_tT0_T1_T2_jT3_P12ihipStream_tbPNSt15iterator_traitsISI_E10value_typeEPNSO_ISJ_E10value_typeEPSK_NS1_7vsmem_tEENKUlT_SI_SJ_SK_E_clISD_PiSD_S10_EESH_SX_SI_SJ_SK_EUlSX_E1_NS1_11comp_targetILNS1_3genE9ELNS1_11target_archE1100ELNS1_3gpuE3ELNS1_3repE0EEENS1_36merge_oddeven_config_static_selectorELNS0_4arch9wavefront6targetE1EEEvSJ_,comdat
.Lfunc_end1390:
	.size	_ZN7rocprim17ROCPRIM_400000_NS6detail17trampoline_kernelINS0_14default_configENS1_38merge_sort_block_merge_config_selectorIiiEEZZNS1_27merge_sort_block_merge_implIS3_N6thrust23THRUST_200600_302600_NS6detail15normal_iteratorINS8_10device_ptrIiEEEESD_jNS1_19radix_merge_compareILb0ELb1EiNS0_19identity_decomposerEEEEE10hipError_tT0_T1_T2_jT3_P12ihipStream_tbPNSt15iterator_traitsISI_E10value_typeEPNSO_ISJ_E10value_typeEPSK_NS1_7vsmem_tEENKUlT_SI_SJ_SK_E_clISD_PiSD_S10_EESH_SX_SI_SJ_SK_EUlSX_E1_NS1_11comp_targetILNS1_3genE9ELNS1_11target_archE1100ELNS1_3gpuE3ELNS1_3repE0EEENS1_36merge_oddeven_config_static_selectorELNS0_4arch9wavefront6targetE1EEEvSJ_, .Lfunc_end1390-_ZN7rocprim17ROCPRIM_400000_NS6detail17trampoline_kernelINS0_14default_configENS1_38merge_sort_block_merge_config_selectorIiiEEZZNS1_27merge_sort_block_merge_implIS3_N6thrust23THRUST_200600_302600_NS6detail15normal_iteratorINS8_10device_ptrIiEEEESD_jNS1_19radix_merge_compareILb0ELb1EiNS0_19identity_decomposerEEEEE10hipError_tT0_T1_T2_jT3_P12ihipStream_tbPNSt15iterator_traitsISI_E10value_typeEPNSO_ISJ_E10value_typeEPSK_NS1_7vsmem_tEENKUlT_SI_SJ_SK_E_clISD_PiSD_S10_EESH_SX_SI_SJ_SK_EUlSX_E1_NS1_11comp_targetILNS1_3genE9ELNS1_11target_archE1100ELNS1_3gpuE3ELNS1_3repE0EEENS1_36merge_oddeven_config_static_selectorELNS0_4arch9wavefront6targetE1EEEvSJ_
                                        ; -- End function
	.set _ZN7rocprim17ROCPRIM_400000_NS6detail17trampoline_kernelINS0_14default_configENS1_38merge_sort_block_merge_config_selectorIiiEEZZNS1_27merge_sort_block_merge_implIS3_N6thrust23THRUST_200600_302600_NS6detail15normal_iteratorINS8_10device_ptrIiEEEESD_jNS1_19radix_merge_compareILb0ELb1EiNS0_19identity_decomposerEEEEE10hipError_tT0_T1_T2_jT3_P12ihipStream_tbPNSt15iterator_traitsISI_E10value_typeEPNSO_ISJ_E10value_typeEPSK_NS1_7vsmem_tEENKUlT_SI_SJ_SK_E_clISD_PiSD_S10_EESH_SX_SI_SJ_SK_EUlSX_E1_NS1_11comp_targetILNS1_3genE9ELNS1_11target_archE1100ELNS1_3gpuE3ELNS1_3repE0EEENS1_36merge_oddeven_config_static_selectorELNS0_4arch9wavefront6targetE1EEEvSJ_.num_vgpr, 0
	.set _ZN7rocprim17ROCPRIM_400000_NS6detail17trampoline_kernelINS0_14default_configENS1_38merge_sort_block_merge_config_selectorIiiEEZZNS1_27merge_sort_block_merge_implIS3_N6thrust23THRUST_200600_302600_NS6detail15normal_iteratorINS8_10device_ptrIiEEEESD_jNS1_19radix_merge_compareILb0ELb1EiNS0_19identity_decomposerEEEEE10hipError_tT0_T1_T2_jT3_P12ihipStream_tbPNSt15iterator_traitsISI_E10value_typeEPNSO_ISJ_E10value_typeEPSK_NS1_7vsmem_tEENKUlT_SI_SJ_SK_E_clISD_PiSD_S10_EESH_SX_SI_SJ_SK_EUlSX_E1_NS1_11comp_targetILNS1_3genE9ELNS1_11target_archE1100ELNS1_3gpuE3ELNS1_3repE0EEENS1_36merge_oddeven_config_static_selectorELNS0_4arch9wavefront6targetE1EEEvSJ_.num_agpr, 0
	.set _ZN7rocprim17ROCPRIM_400000_NS6detail17trampoline_kernelINS0_14default_configENS1_38merge_sort_block_merge_config_selectorIiiEEZZNS1_27merge_sort_block_merge_implIS3_N6thrust23THRUST_200600_302600_NS6detail15normal_iteratorINS8_10device_ptrIiEEEESD_jNS1_19radix_merge_compareILb0ELb1EiNS0_19identity_decomposerEEEEE10hipError_tT0_T1_T2_jT3_P12ihipStream_tbPNSt15iterator_traitsISI_E10value_typeEPNSO_ISJ_E10value_typeEPSK_NS1_7vsmem_tEENKUlT_SI_SJ_SK_E_clISD_PiSD_S10_EESH_SX_SI_SJ_SK_EUlSX_E1_NS1_11comp_targetILNS1_3genE9ELNS1_11target_archE1100ELNS1_3gpuE3ELNS1_3repE0EEENS1_36merge_oddeven_config_static_selectorELNS0_4arch9wavefront6targetE1EEEvSJ_.numbered_sgpr, 0
	.set _ZN7rocprim17ROCPRIM_400000_NS6detail17trampoline_kernelINS0_14default_configENS1_38merge_sort_block_merge_config_selectorIiiEEZZNS1_27merge_sort_block_merge_implIS3_N6thrust23THRUST_200600_302600_NS6detail15normal_iteratorINS8_10device_ptrIiEEEESD_jNS1_19radix_merge_compareILb0ELb1EiNS0_19identity_decomposerEEEEE10hipError_tT0_T1_T2_jT3_P12ihipStream_tbPNSt15iterator_traitsISI_E10value_typeEPNSO_ISJ_E10value_typeEPSK_NS1_7vsmem_tEENKUlT_SI_SJ_SK_E_clISD_PiSD_S10_EESH_SX_SI_SJ_SK_EUlSX_E1_NS1_11comp_targetILNS1_3genE9ELNS1_11target_archE1100ELNS1_3gpuE3ELNS1_3repE0EEENS1_36merge_oddeven_config_static_selectorELNS0_4arch9wavefront6targetE1EEEvSJ_.num_named_barrier, 0
	.set _ZN7rocprim17ROCPRIM_400000_NS6detail17trampoline_kernelINS0_14default_configENS1_38merge_sort_block_merge_config_selectorIiiEEZZNS1_27merge_sort_block_merge_implIS3_N6thrust23THRUST_200600_302600_NS6detail15normal_iteratorINS8_10device_ptrIiEEEESD_jNS1_19radix_merge_compareILb0ELb1EiNS0_19identity_decomposerEEEEE10hipError_tT0_T1_T2_jT3_P12ihipStream_tbPNSt15iterator_traitsISI_E10value_typeEPNSO_ISJ_E10value_typeEPSK_NS1_7vsmem_tEENKUlT_SI_SJ_SK_E_clISD_PiSD_S10_EESH_SX_SI_SJ_SK_EUlSX_E1_NS1_11comp_targetILNS1_3genE9ELNS1_11target_archE1100ELNS1_3gpuE3ELNS1_3repE0EEENS1_36merge_oddeven_config_static_selectorELNS0_4arch9wavefront6targetE1EEEvSJ_.private_seg_size, 0
	.set _ZN7rocprim17ROCPRIM_400000_NS6detail17trampoline_kernelINS0_14default_configENS1_38merge_sort_block_merge_config_selectorIiiEEZZNS1_27merge_sort_block_merge_implIS3_N6thrust23THRUST_200600_302600_NS6detail15normal_iteratorINS8_10device_ptrIiEEEESD_jNS1_19radix_merge_compareILb0ELb1EiNS0_19identity_decomposerEEEEE10hipError_tT0_T1_T2_jT3_P12ihipStream_tbPNSt15iterator_traitsISI_E10value_typeEPNSO_ISJ_E10value_typeEPSK_NS1_7vsmem_tEENKUlT_SI_SJ_SK_E_clISD_PiSD_S10_EESH_SX_SI_SJ_SK_EUlSX_E1_NS1_11comp_targetILNS1_3genE9ELNS1_11target_archE1100ELNS1_3gpuE3ELNS1_3repE0EEENS1_36merge_oddeven_config_static_selectorELNS0_4arch9wavefront6targetE1EEEvSJ_.uses_vcc, 0
	.set _ZN7rocprim17ROCPRIM_400000_NS6detail17trampoline_kernelINS0_14default_configENS1_38merge_sort_block_merge_config_selectorIiiEEZZNS1_27merge_sort_block_merge_implIS3_N6thrust23THRUST_200600_302600_NS6detail15normal_iteratorINS8_10device_ptrIiEEEESD_jNS1_19radix_merge_compareILb0ELb1EiNS0_19identity_decomposerEEEEE10hipError_tT0_T1_T2_jT3_P12ihipStream_tbPNSt15iterator_traitsISI_E10value_typeEPNSO_ISJ_E10value_typeEPSK_NS1_7vsmem_tEENKUlT_SI_SJ_SK_E_clISD_PiSD_S10_EESH_SX_SI_SJ_SK_EUlSX_E1_NS1_11comp_targetILNS1_3genE9ELNS1_11target_archE1100ELNS1_3gpuE3ELNS1_3repE0EEENS1_36merge_oddeven_config_static_selectorELNS0_4arch9wavefront6targetE1EEEvSJ_.uses_flat_scratch, 0
	.set _ZN7rocprim17ROCPRIM_400000_NS6detail17trampoline_kernelINS0_14default_configENS1_38merge_sort_block_merge_config_selectorIiiEEZZNS1_27merge_sort_block_merge_implIS3_N6thrust23THRUST_200600_302600_NS6detail15normal_iteratorINS8_10device_ptrIiEEEESD_jNS1_19radix_merge_compareILb0ELb1EiNS0_19identity_decomposerEEEEE10hipError_tT0_T1_T2_jT3_P12ihipStream_tbPNSt15iterator_traitsISI_E10value_typeEPNSO_ISJ_E10value_typeEPSK_NS1_7vsmem_tEENKUlT_SI_SJ_SK_E_clISD_PiSD_S10_EESH_SX_SI_SJ_SK_EUlSX_E1_NS1_11comp_targetILNS1_3genE9ELNS1_11target_archE1100ELNS1_3gpuE3ELNS1_3repE0EEENS1_36merge_oddeven_config_static_selectorELNS0_4arch9wavefront6targetE1EEEvSJ_.has_dyn_sized_stack, 0
	.set _ZN7rocprim17ROCPRIM_400000_NS6detail17trampoline_kernelINS0_14default_configENS1_38merge_sort_block_merge_config_selectorIiiEEZZNS1_27merge_sort_block_merge_implIS3_N6thrust23THRUST_200600_302600_NS6detail15normal_iteratorINS8_10device_ptrIiEEEESD_jNS1_19radix_merge_compareILb0ELb1EiNS0_19identity_decomposerEEEEE10hipError_tT0_T1_T2_jT3_P12ihipStream_tbPNSt15iterator_traitsISI_E10value_typeEPNSO_ISJ_E10value_typeEPSK_NS1_7vsmem_tEENKUlT_SI_SJ_SK_E_clISD_PiSD_S10_EESH_SX_SI_SJ_SK_EUlSX_E1_NS1_11comp_targetILNS1_3genE9ELNS1_11target_archE1100ELNS1_3gpuE3ELNS1_3repE0EEENS1_36merge_oddeven_config_static_selectorELNS0_4arch9wavefront6targetE1EEEvSJ_.has_recursion, 0
	.set _ZN7rocprim17ROCPRIM_400000_NS6detail17trampoline_kernelINS0_14default_configENS1_38merge_sort_block_merge_config_selectorIiiEEZZNS1_27merge_sort_block_merge_implIS3_N6thrust23THRUST_200600_302600_NS6detail15normal_iteratorINS8_10device_ptrIiEEEESD_jNS1_19radix_merge_compareILb0ELb1EiNS0_19identity_decomposerEEEEE10hipError_tT0_T1_T2_jT3_P12ihipStream_tbPNSt15iterator_traitsISI_E10value_typeEPNSO_ISJ_E10value_typeEPSK_NS1_7vsmem_tEENKUlT_SI_SJ_SK_E_clISD_PiSD_S10_EESH_SX_SI_SJ_SK_EUlSX_E1_NS1_11comp_targetILNS1_3genE9ELNS1_11target_archE1100ELNS1_3gpuE3ELNS1_3repE0EEENS1_36merge_oddeven_config_static_selectorELNS0_4arch9wavefront6targetE1EEEvSJ_.has_indirect_call, 0
	.section	.AMDGPU.csdata,"",@progbits
; Kernel info:
; codeLenInByte = 0
; TotalNumSgprs: 6
; NumVgprs: 0
; NumAgprs: 0
; TotalNumVgprs: 0
; ScratchSize: 0
; MemoryBound: 0
; FloatMode: 240
; IeeeMode: 1
; LDSByteSize: 0 bytes/workgroup (compile time only)
; SGPRBlocks: 0
; VGPRBlocks: 0
; NumSGPRsForWavesPerEU: 6
; NumVGPRsForWavesPerEU: 1
; AccumOffset: 4
; Occupancy: 8
; WaveLimiterHint : 0
; COMPUTE_PGM_RSRC2:SCRATCH_EN: 0
; COMPUTE_PGM_RSRC2:USER_SGPR: 2
; COMPUTE_PGM_RSRC2:TRAP_HANDLER: 0
; COMPUTE_PGM_RSRC2:TGID_X_EN: 1
; COMPUTE_PGM_RSRC2:TGID_Y_EN: 0
; COMPUTE_PGM_RSRC2:TGID_Z_EN: 0
; COMPUTE_PGM_RSRC2:TIDIG_COMP_CNT: 0
; COMPUTE_PGM_RSRC3_GFX90A:ACCUM_OFFSET: 0
; COMPUTE_PGM_RSRC3_GFX90A:TG_SPLIT: 0
	.section	.text._ZN7rocprim17ROCPRIM_400000_NS6detail17trampoline_kernelINS0_14default_configENS1_38merge_sort_block_merge_config_selectorIiiEEZZNS1_27merge_sort_block_merge_implIS3_N6thrust23THRUST_200600_302600_NS6detail15normal_iteratorINS8_10device_ptrIiEEEESD_jNS1_19radix_merge_compareILb0ELb1EiNS0_19identity_decomposerEEEEE10hipError_tT0_T1_T2_jT3_P12ihipStream_tbPNSt15iterator_traitsISI_E10value_typeEPNSO_ISJ_E10value_typeEPSK_NS1_7vsmem_tEENKUlT_SI_SJ_SK_E_clISD_PiSD_S10_EESH_SX_SI_SJ_SK_EUlSX_E1_NS1_11comp_targetILNS1_3genE8ELNS1_11target_archE1030ELNS1_3gpuE2ELNS1_3repE0EEENS1_36merge_oddeven_config_static_selectorELNS0_4arch9wavefront6targetE1EEEvSJ_,"axG",@progbits,_ZN7rocprim17ROCPRIM_400000_NS6detail17trampoline_kernelINS0_14default_configENS1_38merge_sort_block_merge_config_selectorIiiEEZZNS1_27merge_sort_block_merge_implIS3_N6thrust23THRUST_200600_302600_NS6detail15normal_iteratorINS8_10device_ptrIiEEEESD_jNS1_19radix_merge_compareILb0ELb1EiNS0_19identity_decomposerEEEEE10hipError_tT0_T1_T2_jT3_P12ihipStream_tbPNSt15iterator_traitsISI_E10value_typeEPNSO_ISJ_E10value_typeEPSK_NS1_7vsmem_tEENKUlT_SI_SJ_SK_E_clISD_PiSD_S10_EESH_SX_SI_SJ_SK_EUlSX_E1_NS1_11comp_targetILNS1_3genE8ELNS1_11target_archE1030ELNS1_3gpuE2ELNS1_3repE0EEENS1_36merge_oddeven_config_static_selectorELNS0_4arch9wavefront6targetE1EEEvSJ_,comdat
	.protected	_ZN7rocprim17ROCPRIM_400000_NS6detail17trampoline_kernelINS0_14default_configENS1_38merge_sort_block_merge_config_selectorIiiEEZZNS1_27merge_sort_block_merge_implIS3_N6thrust23THRUST_200600_302600_NS6detail15normal_iteratorINS8_10device_ptrIiEEEESD_jNS1_19radix_merge_compareILb0ELb1EiNS0_19identity_decomposerEEEEE10hipError_tT0_T1_T2_jT3_P12ihipStream_tbPNSt15iterator_traitsISI_E10value_typeEPNSO_ISJ_E10value_typeEPSK_NS1_7vsmem_tEENKUlT_SI_SJ_SK_E_clISD_PiSD_S10_EESH_SX_SI_SJ_SK_EUlSX_E1_NS1_11comp_targetILNS1_3genE8ELNS1_11target_archE1030ELNS1_3gpuE2ELNS1_3repE0EEENS1_36merge_oddeven_config_static_selectorELNS0_4arch9wavefront6targetE1EEEvSJ_ ; -- Begin function _ZN7rocprim17ROCPRIM_400000_NS6detail17trampoline_kernelINS0_14default_configENS1_38merge_sort_block_merge_config_selectorIiiEEZZNS1_27merge_sort_block_merge_implIS3_N6thrust23THRUST_200600_302600_NS6detail15normal_iteratorINS8_10device_ptrIiEEEESD_jNS1_19radix_merge_compareILb0ELb1EiNS0_19identity_decomposerEEEEE10hipError_tT0_T1_T2_jT3_P12ihipStream_tbPNSt15iterator_traitsISI_E10value_typeEPNSO_ISJ_E10value_typeEPSK_NS1_7vsmem_tEENKUlT_SI_SJ_SK_E_clISD_PiSD_S10_EESH_SX_SI_SJ_SK_EUlSX_E1_NS1_11comp_targetILNS1_3genE8ELNS1_11target_archE1030ELNS1_3gpuE2ELNS1_3repE0EEENS1_36merge_oddeven_config_static_selectorELNS0_4arch9wavefront6targetE1EEEvSJ_
	.globl	_ZN7rocprim17ROCPRIM_400000_NS6detail17trampoline_kernelINS0_14default_configENS1_38merge_sort_block_merge_config_selectorIiiEEZZNS1_27merge_sort_block_merge_implIS3_N6thrust23THRUST_200600_302600_NS6detail15normal_iteratorINS8_10device_ptrIiEEEESD_jNS1_19radix_merge_compareILb0ELb1EiNS0_19identity_decomposerEEEEE10hipError_tT0_T1_T2_jT3_P12ihipStream_tbPNSt15iterator_traitsISI_E10value_typeEPNSO_ISJ_E10value_typeEPSK_NS1_7vsmem_tEENKUlT_SI_SJ_SK_E_clISD_PiSD_S10_EESH_SX_SI_SJ_SK_EUlSX_E1_NS1_11comp_targetILNS1_3genE8ELNS1_11target_archE1030ELNS1_3gpuE2ELNS1_3repE0EEENS1_36merge_oddeven_config_static_selectorELNS0_4arch9wavefront6targetE1EEEvSJ_
	.p2align	8
	.type	_ZN7rocprim17ROCPRIM_400000_NS6detail17trampoline_kernelINS0_14default_configENS1_38merge_sort_block_merge_config_selectorIiiEEZZNS1_27merge_sort_block_merge_implIS3_N6thrust23THRUST_200600_302600_NS6detail15normal_iteratorINS8_10device_ptrIiEEEESD_jNS1_19radix_merge_compareILb0ELb1EiNS0_19identity_decomposerEEEEE10hipError_tT0_T1_T2_jT3_P12ihipStream_tbPNSt15iterator_traitsISI_E10value_typeEPNSO_ISJ_E10value_typeEPSK_NS1_7vsmem_tEENKUlT_SI_SJ_SK_E_clISD_PiSD_S10_EESH_SX_SI_SJ_SK_EUlSX_E1_NS1_11comp_targetILNS1_3genE8ELNS1_11target_archE1030ELNS1_3gpuE2ELNS1_3repE0EEENS1_36merge_oddeven_config_static_selectorELNS0_4arch9wavefront6targetE1EEEvSJ_,@function
_ZN7rocprim17ROCPRIM_400000_NS6detail17trampoline_kernelINS0_14default_configENS1_38merge_sort_block_merge_config_selectorIiiEEZZNS1_27merge_sort_block_merge_implIS3_N6thrust23THRUST_200600_302600_NS6detail15normal_iteratorINS8_10device_ptrIiEEEESD_jNS1_19radix_merge_compareILb0ELb1EiNS0_19identity_decomposerEEEEE10hipError_tT0_T1_T2_jT3_P12ihipStream_tbPNSt15iterator_traitsISI_E10value_typeEPNSO_ISJ_E10value_typeEPSK_NS1_7vsmem_tEENKUlT_SI_SJ_SK_E_clISD_PiSD_S10_EESH_SX_SI_SJ_SK_EUlSX_E1_NS1_11comp_targetILNS1_3genE8ELNS1_11target_archE1030ELNS1_3gpuE2ELNS1_3repE0EEENS1_36merge_oddeven_config_static_selectorELNS0_4arch9wavefront6targetE1EEEvSJ_: ; @_ZN7rocprim17ROCPRIM_400000_NS6detail17trampoline_kernelINS0_14default_configENS1_38merge_sort_block_merge_config_selectorIiiEEZZNS1_27merge_sort_block_merge_implIS3_N6thrust23THRUST_200600_302600_NS6detail15normal_iteratorINS8_10device_ptrIiEEEESD_jNS1_19radix_merge_compareILb0ELb1EiNS0_19identity_decomposerEEEEE10hipError_tT0_T1_T2_jT3_P12ihipStream_tbPNSt15iterator_traitsISI_E10value_typeEPNSO_ISJ_E10value_typeEPSK_NS1_7vsmem_tEENKUlT_SI_SJ_SK_E_clISD_PiSD_S10_EESH_SX_SI_SJ_SK_EUlSX_E1_NS1_11comp_targetILNS1_3genE8ELNS1_11target_archE1030ELNS1_3gpuE2ELNS1_3repE0EEENS1_36merge_oddeven_config_static_selectorELNS0_4arch9wavefront6targetE1EEEvSJ_
; %bb.0:
	.section	.rodata,"a",@progbits
	.p2align	6, 0x0
	.amdhsa_kernel _ZN7rocprim17ROCPRIM_400000_NS6detail17trampoline_kernelINS0_14default_configENS1_38merge_sort_block_merge_config_selectorIiiEEZZNS1_27merge_sort_block_merge_implIS3_N6thrust23THRUST_200600_302600_NS6detail15normal_iteratorINS8_10device_ptrIiEEEESD_jNS1_19radix_merge_compareILb0ELb1EiNS0_19identity_decomposerEEEEE10hipError_tT0_T1_T2_jT3_P12ihipStream_tbPNSt15iterator_traitsISI_E10value_typeEPNSO_ISJ_E10value_typeEPSK_NS1_7vsmem_tEENKUlT_SI_SJ_SK_E_clISD_PiSD_S10_EESH_SX_SI_SJ_SK_EUlSX_E1_NS1_11comp_targetILNS1_3genE8ELNS1_11target_archE1030ELNS1_3gpuE2ELNS1_3repE0EEENS1_36merge_oddeven_config_static_selectorELNS0_4arch9wavefront6targetE1EEEvSJ_
		.amdhsa_group_segment_fixed_size 0
		.amdhsa_private_segment_fixed_size 0
		.amdhsa_kernarg_size 48
		.amdhsa_user_sgpr_count 2
		.amdhsa_user_sgpr_dispatch_ptr 0
		.amdhsa_user_sgpr_queue_ptr 0
		.amdhsa_user_sgpr_kernarg_segment_ptr 1
		.amdhsa_user_sgpr_dispatch_id 0
		.amdhsa_user_sgpr_kernarg_preload_length 0
		.amdhsa_user_sgpr_kernarg_preload_offset 0
		.amdhsa_user_sgpr_private_segment_size 0
		.amdhsa_uses_dynamic_stack 0
		.amdhsa_enable_private_segment 0
		.amdhsa_system_sgpr_workgroup_id_x 1
		.amdhsa_system_sgpr_workgroup_id_y 0
		.amdhsa_system_sgpr_workgroup_id_z 0
		.amdhsa_system_sgpr_workgroup_info 0
		.amdhsa_system_vgpr_workitem_id 0
		.amdhsa_next_free_vgpr 1
		.amdhsa_next_free_sgpr 0
		.amdhsa_accum_offset 4
		.amdhsa_reserve_vcc 0
		.amdhsa_float_round_mode_32 0
		.amdhsa_float_round_mode_16_64 0
		.amdhsa_float_denorm_mode_32 3
		.amdhsa_float_denorm_mode_16_64 3
		.amdhsa_dx10_clamp 1
		.amdhsa_ieee_mode 1
		.amdhsa_fp16_overflow 0
		.amdhsa_tg_split 0
		.amdhsa_exception_fp_ieee_invalid_op 0
		.amdhsa_exception_fp_denorm_src 0
		.amdhsa_exception_fp_ieee_div_zero 0
		.amdhsa_exception_fp_ieee_overflow 0
		.amdhsa_exception_fp_ieee_underflow 0
		.amdhsa_exception_fp_ieee_inexact 0
		.amdhsa_exception_int_div_zero 0
	.end_amdhsa_kernel
	.section	.text._ZN7rocprim17ROCPRIM_400000_NS6detail17trampoline_kernelINS0_14default_configENS1_38merge_sort_block_merge_config_selectorIiiEEZZNS1_27merge_sort_block_merge_implIS3_N6thrust23THRUST_200600_302600_NS6detail15normal_iteratorINS8_10device_ptrIiEEEESD_jNS1_19radix_merge_compareILb0ELb1EiNS0_19identity_decomposerEEEEE10hipError_tT0_T1_T2_jT3_P12ihipStream_tbPNSt15iterator_traitsISI_E10value_typeEPNSO_ISJ_E10value_typeEPSK_NS1_7vsmem_tEENKUlT_SI_SJ_SK_E_clISD_PiSD_S10_EESH_SX_SI_SJ_SK_EUlSX_E1_NS1_11comp_targetILNS1_3genE8ELNS1_11target_archE1030ELNS1_3gpuE2ELNS1_3repE0EEENS1_36merge_oddeven_config_static_selectorELNS0_4arch9wavefront6targetE1EEEvSJ_,"axG",@progbits,_ZN7rocprim17ROCPRIM_400000_NS6detail17trampoline_kernelINS0_14default_configENS1_38merge_sort_block_merge_config_selectorIiiEEZZNS1_27merge_sort_block_merge_implIS3_N6thrust23THRUST_200600_302600_NS6detail15normal_iteratorINS8_10device_ptrIiEEEESD_jNS1_19radix_merge_compareILb0ELb1EiNS0_19identity_decomposerEEEEE10hipError_tT0_T1_T2_jT3_P12ihipStream_tbPNSt15iterator_traitsISI_E10value_typeEPNSO_ISJ_E10value_typeEPSK_NS1_7vsmem_tEENKUlT_SI_SJ_SK_E_clISD_PiSD_S10_EESH_SX_SI_SJ_SK_EUlSX_E1_NS1_11comp_targetILNS1_3genE8ELNS1_11target_archE1030ELNS1_3gpuE2ELNS1_3repE0EEENS1_36merge_oddeven_config_static_selectorELNS0_4arch9wavefront6targetE1EEEvSJ_,comdat
.Lfunc_end1391:
	.size	_ZN7rocprim17ROCPRIM_400000_NS6detail17trampoline_kernelINS0_14default_configENS1_38merge_sort_block_merge_config_selectorIiiEEZZNS1_27merge_sort_block_merge_implIS3_N6thrust23THRUST_200600_302600_NS6detail15normal_iteratorINS8_10device_ptrIiEEEESD_jNS1_19radix_merge_compareILb0ELb1EiNS0_19identity_decomposerEEEEE10hipError_tT0_T1_T2_jT3_P12ihipStream_tbPNSt15iterator_traitsISI_E10value_typeEPNSO_ISJ_E10value_typeEPSK_NS1_7vsmem_tEENKUlT_SI_SJ_SK_E_clISD_PiSD_S10_EESH_SX_SI_SJ_SK_EUlSX_E1_NS1_11comp_targetILNS1_3genE8ELNS1_11target_archE1030ELNS1_3gpuE2ELNS1_3repE0EEENS1_36merge_oddeven_config_static_selectorELNS0_4arch9wavefront6targetE1EEEvSJ_, .Lfunc_end1391-_ZN7rocprim17ROCPRIM_400000_NS6detail17trampoline_kernelINS0_14default_configENS1_38merge_sort_block_merge_config_selectorIiiEEZZNS1_27merge_sort_block_merge_implIS3_N6thrust23THRUST_200600_302600_NS6detail15normal_iteratorINS8_10device_ptrIiEEEESD_jNS1_19radix_merge_compareILb0ELb1EiNS0_19identity_decomposerEEEEE10hipError_tT0_T1_T2_jT3_P12ihipStream_tbPNSt15iterator_traitsISI_E10value_typeEPNSO_ISJ_E10value_typeEPSK_NS1_7vsmem_tEENKUlT_SI_SJ_SK_E_clISD_PiSD_S10_EESH_SX_SI_SJ_SK_EUlSX_E1_NS1_11comp_targetILNS1_3genE8ELNS1_11target_archE1030ELNS1_3gpuE2ELNS1_3repE0EEENS1_36merge_oddeven_config_static_selectorELNS0_4arch9wavefront6targetE1EEEvSJ_
                                        ; -- End function
	.set _ZN7rocprim17ROCPRIM_400000_NS6detail17trampoline_kernelINS0_14default_configENS1_38merge_sort_block_merge_config_selectorIiiEEZZNS1_27merge_sort_block_merge_implIS3_N6thrust23THRUST_200600_302600_NS6detail15normal_iteratorINS8_10device_ptrIiEEEESD_jNS1_19radix_merge_compareILb0ELb1EiNS0_19identity_decomposerEEEEE10hipError_tT0_T1_T2_jT3_P12ihipStream_tbPNSt15iterator_traitsISI_E10value_typeEPNSO_ISJ_E10value_typeEPSK_NS1_7vsmem_tEENKUlT_SI_SJ_SK_E_clISD_PiSD_S10_EESH_SX_SI_SJ_SK_EUlSX_E1_NS1_11comp_targetILNS1_3genE8ELNS1_11target_archE1030ELNS1_3gpuE2ELNS1_3repE0EEENS1_36merge_oddeven_config_static_selectorELNS0_4arch9wavefront6targetE1EEEvSJ_.num_vgpr, 0
	.set _ZN7rocprim17ROCPRIM_400000_NS6detail17trampoline_kernelINS0_14default_configENS1_38merge_sort_block_merge_config_selectorIiiEEZZNS1_27merge_sort_block_merge_implIS3_N6thrust23THRUST_200600_302600_NS6detail15normal_iteratorINS8_10device_ptrIiEEEESD_jNS1_19radix_merge_compareILb0ELb1EiNS0_19identity_decomposerEEEEE10hipError_tT0_T1_T2_jT3_P12ihipStream_tbPNSt15iterator_traitsISI_E10value_typeEPNSO_ISJ_E10value_typeEPSK_NS1_7vsmem_tEENKUlT_SI_SJ_SK_E_clISD_PiSD_S10_EESH_SX_SI_SJ_SK_EUlSX_E1_NS1_11comp_targetILNS1_3genE8ELNS1_11target_archE1030ELNS1_3gpuE2ELNS1_3repE0EEENS1_36merge_oddeven_config_static_selectorELNS0_4arch9wavefront6targetE1EEEvSJ_.num_agpr, 0
	.set _ZN7rocprim17ROCPRIM_400000_NS6detail17trampoline_kernelINS0_14default_configENS1_38merge_sort_block_merge_config_selectorIiiEEZZNS1_27merge_sort_block_merge_implIS3_N6thrust23THRUST_200600_302600_NS6detail15normal_iteratorINS8_10device_ptrIiEEEESD_jNS1_19radix_merge_compareILb0ELb1EiNS0_19identity_decomposerEEEEE10hipError_tT0_T1_T2_jT3_P12ihipStream_tbPNSt15iterator_traitsISI_E10value_typeEPNSO_ISJ_E10value_typeEPSK_NS1_7vsmem_tEENKUlT_SI_SJ_SK_E_clISD_PiSD_S10_EESH_SX_SI_SJ_SK_EUlSX_E1_NS1_11comp_targetILNS1_3genE8ELNS1_11target_archE1030ELNS1_3gpuE2ELNS1_3repE0EEENS1_36merge_oddeven_config_static_selectorELNS0_4arch9wavefront6targetE1EEEvSJ_.numbered_sgpr, 0
	.set _ZN7rocprim17ROCPRIM_400000_NS6detail17trampoline_kernelINS0_14default_configENS1_38merge_sort_block_merge_config_selectorIiiEEZZNS1_27merge_sort_block_merge_implIS3_N6thrust23THRUST_200600_302600_NS6detail15normal_iteratorINS8_10device_ptrIiEEEESD_jNS1_19radix_merge_compareILb0ELb1EiNS0_19identity_decomposerEEEEE10hipError_tT0_T1_T2_jT3_P12ihipStream_tbPNSt15iterator_traitsISI_E10value_typeEPNSO_ISJ_E10value_typeEPSK_NS1_7vsmem_tEENKUlT_SI_SJ_SK_E_clISD_PiSD_S10_EESH_SX_SI_SJ_SK_EUlSX_E1_NS1_11comp_targetILNS1_3genE8ELNS1_11target_archE1030ELNS1_3gpuE2ELNS1_3repE0EEENS1_36merge_oddeven_config_static_selectorELNS0_4arch9wavefront6targetE1EEEvSJ_.num_named_barrier, 0
	.set _ZN7rocprim17ROCPRIM_400000_NS6detail17trampoline_kernelINS0_14default_configENS1_38merge_sort_block_merge_config_selectorIiiEEZZNS1_27merge_sort_block_merge_implIS3_N6thrust23THRUST_200600_302600_NS6detail15normal_iteratorINS8_10device_ptrIiEEEESD_jNS1_19radix_merge_compareILb0ELb1EiNS0_19identity_decomposerEEEEE10hipError_tT0_T1_T2_jT3_P12ihipStream_tbPNSt15iterator_traitsISI_E10value_typeEPNSO_ISJ_E10value_typeEPSK_NS1_7vsmem_tEENKUlT_SI_SJ_SK_E_clISD_PiSD_S10_EESH_SX_SI_SJ_SK_EUlSX_E1_NS1_11comp_targetILNS1_3genE8ELNS1_11target_archE1030ELNS1_3gpuE2ELNS1_3repE0EEENS1_36merge_oddeven_config_static_selectorELNS0_4arch9wavefront6targetE1EEEvSJ_.private_seg_size, 0
	.set _ZN7rocprim17ROCPRIM_400000_NS6detail17trampoline_kernelINS0_14default_configENS1_38merge_sort_block_merge_config_selectorIiiEEZZNS1_27merge_sort_block_merge_implIS3_N6thrust23THRUST_200600_302600_NS6detail15normal_iteratorINS8_10device_ptrIiEEEESD_jNS1_19radix_merge_compareILb0ELb1EiNS0_19identity_decomposerEEEEE10hipError_tT0_T1_T2_jT3_P12ihipStream_tbPNSt15iterator_traitsISI_E10value_typeEPNSO_ISJ_E10value_typeEPSK_NS1_7vsmem_tEENKUlT_SI_SJ_SK_E_clISD_PiSD_S10_EESH_SX_SI_SJ_SK_EUlSX_E1_NS1_11comp_targetILNS1_3genE8ELNS1_11target_archE1030ELNS1_3gpuE2ELNS1_3repE0EEENS1_36merge_oddeven_config_static_selectorELNS0_4arch9wavefront6targetE1EEEvSJ_.uses_vcc, 0
	.set _ZN7rocprim17ROCPRIM_400000_NS6detail17trampoline_kernelINS0_14default_configENS1_38merge_sort_block_merge_config_selectorIiiEEZZNS1_27merge_sort_block_merge_implIS3_N6thrust23THRUST_200600_302600_NS6detail15normal_iteratorINS8_10device_ptrIiEEEESD_jNS1_19radix_merge_compareILb0ELb1EiNS0_19identity_decomposerEEEEE10hipError_tT0_T1_T2_jT3_P12ihipStream_tbPNSt15iterator_traitsISI_E10value_typeEPNSO_ISJ_E10value_typeEPSK_NS1_7vsmem_tEENKUlT_SI_SJ_SK_E_clISD_PiSD_S10_EESH_SX_SI_SJ_SK_EUlSX_E1_NS1_11comp_targetILNS1_3genE8ELNS1_11target_archE1030ELNS1_3gpuE2ELNS1_3repE0EEENS1_36merge_oddeven_config_static_selectorELNS0_4arch9wavefront6targetE1EEEvSJ_.uses_flat_scratch, 0
	.set _ZN7rocprim17ROCPRIM_400000_NS6detail17trampoline_kernelINS0_14default_configENS1_38merge_sort_block_merge_config_selectorIiiEEZZNS1_27merge_sort_block_merge_implIS3_N6thrust23THRUST_200600_302600_NS6detail15normal_iteratorINS8_10device_ptrIiEEEESD_jNS1_19radix_merge_compareILb0ELb1EiNS0_19identity_decomposerEEEEE10hipError_tT0_T1_T2_jT3_P12ihipStream_tbPNSt15iterator_traitsISI_E10value_typeEPNSO_ISJ_E10value_typeEPSK_NS1_7vsmem_tEENKUlT_SI_SJ_SK_E_clISD_PiSD_S10_EESH_SX_SI_SJ_SK_EUlSX_E1_NS1_11comp_targetILNS1_3genE8ELNS1_11target_archE1030ELNS1_3gpuE2ELNS1_3repE0EEENS1_36merge_oddeven_config_static_selectorELNS0_4arch9wavefront6targetE1EEEvSJ_.has_dyn_sized_stack, 0
	.set _ZN7rocprim17ROCPRIM_400000_NS6detail17trampoline_kernelINS0_14default_configENS1_38merge_sort_block_merge_config_selectorIiiEEZZNS1_27merge_sort_block_merge_implIS3_N6thrust23THRUST_200600_302600_NS6detail15normal_iteratorINS8_10device_ptrIiEEEESD_jNS1_19radix_merge_compareILb0ELb1EiNS0_19identity_decomposerEEEEE10hipError_tT0_T1_T2_jT3_P12ihipStream_tbPNSt15iterator_traitsISI_E10value_typeEPNSO_ISJ_E10value_typeEPSK_NS1_7vsmem_tEENKUlT_SI_SJ_SK_E_clISD_PiSD_S10_EESH_SX_SI_SJ_SK_EUlSX_E1_NS1_11comp_targetILNS1_3genE8ELNS1_11target_archE1030ELNS1_3gpuE2ELNS1_3repE0EEENS1_36merge_oddeven_config_static_selectorELNS0_4arch9wavefront6targetE1EEEvSJ_.has_recursion, 0
	.set _ZN7rocprim17ROCPRIM_400000_NS6detail17trampoline_kernelINS0_14default_configENS1_38merge_sort_block_merge_config_selectorIiiEEZZNS1_27merge_sort_block_merge_implIS3_N6thrust23THRUST_200600_302600_NS6detail15normal_iteratorINS8_10device_ptrIiEEEESD_jNS1_19radix_merge_compareILb0ELb1EiNS0_19identity_decomposerEEEEE10hipError_tT0_T1_T2_jT3_P12ihipStream_tbPNSt15iterator_traitsISI_E10value_typeEPNSO_ISJ_E10value_typeEPSK_NS1_7vsmem_tEENKUlT_SI_SJ_SK_E_clISD_PiSD_S10_EESH_SX_SI_SJ_SK_EUlSX_E1_NS1_11comp_targetILNS1_3genE8ELNS1_11target_archE1030ELNS1_3gpuE2ELNS1_3repE0EEENS1_36merge_oddeven_config_static_selectorELNS0_4arch9wavefront6targetE1EEEvSJ_.has_indirect_call, 0
	.section	.AMDGPU.csdata,"",@progbits
; Kernel info:
; codeLenInByte = 0
; TotalNumSgprs: 6
; NumVgprs: 0
; NumAgprs: 0
; TotalNumVgprs: 0
; ScratchSize: 0
; MemoryBound: 0
; FloatMode: 240
; IeeeMode: 1
; LDSByteSize: 0 bytes/workgroup (compile time only)
; SGPRBlocks: 0
; VGPRBlocks: 0
; NumSGPRsForWavesPerEU: 6
; NumVGPRsForWavesPerEU: 1
; AccumOffset: 4
; Occupancy: 8
; WaveLimiterHint : 0
; COMPUTE_PGM_RSRC2:SCRATCH_EN: 0
; COMPUTE_PGM_RSRC2:USER_SGPR: 2
; COMPUTE_PGM_RSRC2:TRAP_HANDLER: 0
; COMPUTE_PGM_RSRC2:TGID_X_EN: 1
; COMPUTE_PGM_RSRC2:TGID_Y_EN: 0
; COMPUTE_PGM_RSRC2:TGID_Z_EN: 0
; COMPUTE_PGM_RSRC2:TIDIG_COMP_CNT: 0
; COMPUTE_PGM_RSRC3_GFX90A:ACCUM_OFFSET: 0
; COMPUTE_PGM_RSRC3_GFX90A:TG_SPLIT: 0
	.section	.text._ZN7rocprim17ROCPRIM_400000_NS6detail17trampoline_kernelINS0_14default_configENS1_35radix_sort_onesweep_config_selectorIiiEEZNS1_34radix_sort_onesweep_global_offsetsIS3_Lb0EN6thrust23THRUST_200600_302600_NS6detail15normal_iteratorINS8_10device_ptrIiEEEESD_jNS0_19identity_decomposerEEE10hipError_tT1_T2_PT3_SI_jT4_jjP12ihipStream_tbEUlT_E_NS1_11comp_targetILNS1_3genE0ELNS1_11target_archE4294967295ELNS1_3gpuE0ELNS1_3repE0EEENS1_52radix_sort_onesweep_histogram_config_static_selectorELNS0_4arch9wavefront6targetE1EEEvSG_,"axG",@progbits,_ZN7rocprim17ROCPRIM_400000_NS6detail17trampoline_kernelINS0_14default_configENS1_35radix_sort_onesweep_config_selectorIiiEEZNS1_34radix_sort_onesweep_global_offsetsIS3_Lb0EN6thrust23THRUST_200600_302600_NS6detail15normal_iteratorINS8_10device_ptrIiEEEESD_jNS0_19identity_decomposerEEE10hipError_tT1_T2_PT3_SI_jT4_jjP12ihipStream_tbEUlT_E_NS1_11comp_targetILNS1_3genE0ELNS1_11target_archE4294967295ELNS1_3gpuE0ELNS1_3repE0EEENS1_52radix_sort_onesweep_histogram_config_static_selectorELNS0_4arch9wavefront6targetE1EEEvSG_,comdat
	.protected	_ZN7rocprim17ROCPRIM_400000_NS6detail17trampoline_kernelINS0_14default_configENS1_35radix_sort_onesweep_config_selectorIiiEEZNS1_34radix_sort_onesweep_global_offsetsIS3_Lb0EN6thrust23THRUST_200600_302600_NS6detail15normal_iteratorINS8_10device_ptrIiEEEESD_jNS0_19identity_decomposerEEE10hipError_tT1_T2_PT3_SI_jT4_jjP12ihipStream_tbEUlT_E_NS1_11comp_targetILNS1_3genE0ELNS1_11target_archE4294967295ELNS1_3gpuE0ELNS1_3repE0EEENS1_52radix_sort_onesweep_histogram_config_static_selectorELNS0_4arch9wavefront6targetE1EEEvSG_ ; -- Begin function _ZN7rocprim17ROCPRIM_400000_NS6detail17trampoline_kernelINS0_14default_configENS1_35radix_sort_onesweep_config_selectorIiiEEZNS1_34radix_sort_onesweep_global_offsetsIS3_Lb0EN6thrust23THRUST_200600_302600_NS6detail15normal_iteratorINS8_10device_ptrIiEEEESD_jNS0_19identity_decomposerEEE10hipError_tT1_T2_PT3_SI_jT4_jjP12ihipStream_tbEUlT_E_NS1_11comp_targetILNS1_3genE0ELNS1_11target_archE4294967295ELNS1_3gpuE0ELNS1_3repE0EEENS1_52radix_sort_onesweep_histogram_config_static_selectorELNS0_4arch9wavefront6targetE1EEEvSG_
	.globl	_ZN7rocprim17ROCPRIM_400000_NS6detail17trampoline_kernelINS0_14default_configENS1_35radix_sort_onesweep_config_selectorIiiEEZNS1_34radix_sort_onesweep_global_offsetsIS3_Lb0EN6thrust23THRUST_200600_302600_NS6detail15normal_iteratorINS8_10device_ptrIiEEEESD_jNS0_19identity_decomposerEEE10hipError_tT1_T2_PT3_SI_jT4_jjP12ihipStream_tbEUlT_E_NS1_11comp_targetILNS1_3genE0ELNS1_11target_archE4294967295ELNS1_3gpuE0ELNS1_3repE0EEENS1_52radix_sort_onesweep_histogram_config_static_selectorELNS0_4arch9wavefront6targetE1EEEvSG_
	.p2align	8
	.type	_ZN7rocprim17ROCPRIM_400000_NS6detail17trampoline_kernelINS0_14default_configENS1_35radix_sort_onesweep_config_selectorIiiEEZNS1_34radix_sort_onesweep_global_offsetsIS3_Lb0EN6thrust23THRUST_200600_302600_NS6detail15normal_iteratorINS8_10device_ptrIiEEEESD_jNS0_19identity_decomposerEEE10hipError_tT1_T2_PT3_SI_jT4_jjP12ihipStream_tbEUlT_E_NS1_11comp_targetILNS1_3genE0ELNS1_11target_archE4294967295ELNS1_3gpuE0ELNS1_3repE0EEENS1_52radix_sort_onesweep_histogram_config_static_selectorELNS0_4arch9wavefront6targetE1EEEvSG_,@function
_ZN7rocprim17ROCPRIM_400000_NS6detail17trampoline_kernelINS0_14default_configENS1_35radix_sort_onesweep_config_selectorIiiEEZNS1_34radix_sort_onesweep_global_offsetsIS3_Lb0EN6thrust23THRUST_200600_302600_NS6detail15normal_iteratorINS8_10device_ptrIiEEEESD_jNS0_19identity_decomposerEEE10hipError_tT1_T2_PT3_SI_jT4_jjP12ihipStream_tbEUlT_E_NS1_11comp_targetILNS1_3genE0ELNS1_11target_archE4294967295ELNS1_3gpuE0ELNS1_3repE0EEENS1_52radix_sort_onesweep_histogram_config_static_selectorELNS0_4arch9wavefront6targetE1EEEvSG_: ; @_ZN7rocprim17ROCPRIM_400000_NS6detail17trampoline_kernelINS0_14default_configENS1_35radix_sort_onesweep_config_selectorIiiEEZNS1_34radix_sort_onesweep_global_offsetsIS3_Lb0EN6thrust23THRUST_200600_302600_NS6detail15normal_iteratorINS8_10device_ptrIiEEEESD_jNS0_19identity_decomposerEEE10hipError_tT1_T2_PT3_SI_jT4_jjP12ihipStream_tbEUlT_E_NS1_11comp_targetILNS1_3genE0ELNS1_11target_archE4294967295ELNS1_3gpuE0ELNS1_3repE0EEENS1_52radix_sort_onesweep_histogram_config_static_selectorELNS0_4arch9wavefront6targetE1EEEvSG_
; %bb.0:
	.section	.rodata,"a",@progbits
	.p2align	6, 0x0
	.amdhsa_kernel _ZN7rocprim17ROCPRIM_400000_NS6detail17trampoline_kernelINS0_14default_configENS1_35radix_sort_onesweep_config_selectorIiiEEZNS1_34radix_sort_onesweep_global_offsetsIS3_Lb0EN6thrust23THRUST_200600_302600_NS6detail15normal_iteratorINS8_10device_ptrIiEEEESD_jNS0_19identity_decomposerEEE10hipError_tT1_T2_PT3_SI_jT4_jjP12ihipStream_tbEUlT_E_NS1_11comp_targetILNS1_3genE0ELNS1_11target_archE4294967295ELNS1_3gpuE0ELNS1_3repE0EEENS1_52radix_sort_onesweep_histogram_config_static_selectorELNS0_4arch9wavefront6targetE1EEEvSG_
		.amdhsa_group_segment_fixed_size 0
		.amdhsa_private_segment_fixed_size 0
		.amdhsa_kernarg_size 40
		.amdhsa_user_sgpr_count 2
		.amdhsa_user_sgpr_dispatch_ptr 0
		.amdhsa_user_sgpr_queue_ptr 0
		.amdhsa_user_sgpr_kernarg_segment_ptr 1
		.amdhsa_user_sgpr_dispatch_id 0
		.amdhsa_user_sgpr_kernarg_preload_length 0
		.amdhsa_user_sgpr_kernarg_preload_offset 0
		.amdhsa_user_sgpr_private_segment_size 0
		.amdhsa_uses_dynamic_stack 0
		.amdhsa_enable_private_segment 0
		.amdhsa_system_sgpr_workgroup_id_x 1
		.amdhsa_system_sgpr_workgroup_id_y 0
		.amdhsa_system_sgpr_workgroup_id_z 0
		.amdhsa_system_sgpr_workgroup_info 0
		.amdhsa_system_vgpr_workitem_id 0
		.amdhsa_next_free_vgpr 1
		.amdhsa_next_free_sgpr 0
		.amdhsa_accum_offset 4
		.amdhsa_reserve_vcc 0
		.amdhsa_float_round_mode_32 0
		.amdhsa_float_round_mode_16_64 0
		.amdhsa_float_denorm_mode_32 3
		.amdhsa_float_denorm_mode_16_64 3
		.amdhsa_dx10_clamp 1
		.amdhsa_ieee_mode 1
		.amdhsa_fp16_overflow 0
		.amdhsa_tg_split 0
		.amdhsa_exception_fp_ieee_invalid_op 0
		.amdhsa_exception_fp_denorm_src 0
		.amdhsa_exception_fp_ieee_div_zero 0
		.amdhsa_exception_fp_ieee_overflow 0
		.amdhsa_exception_fp_ieee_underflow 0
		.amdhsa_exception_fp_ieee_inexact 0
		.amdhsa_exception_int_div_zero 0
	.end_amdhsa_kernel
	.section	.text._ZN7rocprim17ROCPRIM_400000_NS6detail17trampoline_kernelINS0_14default_configENS1_35radix_sort_onesweep_config_selectorIiiEEZNS1_34radix_sort_onesweep_global_offsetsIS3_Lb0EN6thrust23THRUST_200600_302600_NS6detail15normal_iteratorINS8_10device_ptrIiEEEESD_jNS0_19identity_decomposerEEE10hipError_tT1_T2_PT3_SI_jT4_jjP12ihipStream_tbEUlT_E_NS1_11comp_targetILNS1_3genE0ELNS1_11target_archE4294967295ELNS1_3gpuE0ELNS1_3repE0EEENS1_52radix_sort_onesweep_histogram_config_static_selectorELNS0_4arch9wavefront6targetE1EEEvSG_,"axG",@progbits,_ZN7rocprim17ROCPRIM_400000_NS6detail17trampoline_kernelINS0_14default_configENS1_35radix_sort_onesweep_config_selectorIiiEEZNS1_34radix_sort_onesweep_global_offsetsIS3_Lb0EN6thrust23THRUST_200600_302600_NS6detail15normal_iteratorINS8_10device_ptrIiEEEESD_jNS0_19identity_decomposerEEE10hipError_tT1_T2_PT3_SI_jT4_jjP12ihipStream_tbEUlT_E_NS1_11comp_targetILNS1_3genE0ELNS1_11target_archE4294967295ELNS1_3gpuE0ELNS1_3repE0EEENS1_52radix_sort_onesweep_histogram_config_static_selectorELNS0_4arch9wavefront6targetE1EEEvSG_,comdat
.Lfunc_end1392:
	.size	_ZN7rocprim17ROCPRIM_400000_NS6detail17trampoline_kernelINS0_14default_configENS1_35radix_sort_onesweep_config_selectorIiiEEZNS1_34radix_sort_onesweep_global_offsetsIS3_Lb0EN6thrust23THRUST_200600_302600_NS6detail15normal_iteratorINS8_10device_ptrIiEEEESD_jNS0_19identity_decomposerEEE10hipError_tT1_T2_PT3_SI_jT4_jjP12ihipStream_tbEUlT_E_NS1_11comp_targetILNS1_3genE0ELNS1_11target_archE4294967295ELNS1_3gpuE0ELNS1_3repE0EEENS1_52radix_sort_onesweep_histogram_config_static_selectorELNS0_4arch9wavefront6targetE1EEEvSG_, .Lfunc_end1392-_ZN7rocprim17ROCPRIM_400000_NS6detail17trampoline_kernelINS0_14default_configENS1_35radix_sort_onesweep_config_selectorIiiEEZNS1_34radix_sort_onesweep_global_offsetsIS3_Lb0EN6thrust23THRUST_200600_302600_NS6detail15normal_iteratorINS8_10device_ptrIiEEEESD_jNS0_19identity_decomposerEEE10hipError_tT1_T2_PT3_SI_jT4_jjP12ihipStream_tbEUlT_E_NS1_11comp_targetILNS1_3genE0ELNS1_11target_archE4294967295ELNS1_3gpuE0ELNS1_3repE0EEENS1_52radix_sort_onesweep_histogram_config_static_selectorELNS0_4arch9wavefront6targetE1EEEvSG_
                                        ; -- End function
	.set _ZN7rocprim17ROCPRIM_400000_NS6detail17trampoline_kernelINS0_14default_configENS1_35radix_sort_onesweep_config_selectorIiiEEZNS1_34radix_sort_onesweep_global_offsetsIS3_Lb0EN6thrust23THRUST_200600_302600_NS6detail15normal_iteratorINS8_10device_ptrIiEEEESD_jNS0_19identity_decomposerEEE10hipError_tT1_T2_PT3_SI_jT4_jjP12ihipStream_tbEUlT_E_NS1_11comp_targetILNS1_3genE0ELNS1_11target_archE4294967295ELNS1_3gpuE0ELNS1_3repE0EEENS1_52radix_sort_onesweep_histogram_config_static_selectorELNS0_4arch9wavefront6targetE1EEEvSG_.num_vgpr, 0
	.set _ZN7rocprim17ROCPRIM_400000_NS6detail17trampoline_kernelINS0_14default_configENS1_35radix_sort_onesweep_config_selectorIiiEEZNS1_34radix_sort_onesweep_global_offsetsIS3_Lb0EN6thrust23THRUST_200600_302600_NS6detail15normal_iteratorINS8_10device_ptrIiEEEESD_jNS0_19identity_decomposerEEE10hipError_tT1_T2_PT3_SI_jT4_jjP12ihipStream_tbEUlT_E_NS1_11comp_targetILNS1_3genE0ELNS1_11target_archE4294967295ELNS1_3gpuE0ELNS1_3repE0EEENS1_52radix_sort_onesweep_histogram_config_static_selectorELNS0_4arch9wavefront6targetE1EEEvSG_.num_agpr, 0
	.set _ZN7rocprim17ROCPRIM_400000_NS6detail17trampoline_kernelINS0_14default_configENS1_35radix_sort_onesweep_config_selectorIiiEEZNS1_34radix_sort_onesweep_global_offsetsIS3_Lb0EN6thrust23THRUST_200600_302600_NS6detail15normal_iteratorINS8_10device_ptrIiEEEESD_jNS0_19identity_decomposerEEE10hipError_tT1_T2_PT3_SI_jT4_jjP12ihipStream_tbEUlT_E_NS1_11comp_targetILNS1_3genE0ELNS1_11target_archE4294967295ELNS1_3gpuE0ELNS1_3repE0EEENS1_52radix_sort_onesweep_histogram_config_static_selectorELNS0_4arch9wavefront6targetE1EEEvSG_.numbered_sgpr, 0
	.set _ZN7rocprim17ROCPRIM_400000_NS6detail17trampoline_kernelINS0_14default_configENS1_35radix_sort_onesweep_config_selectorIiiEEZNS1_34radix_sort_onesweep_global_offsetsIS3_Lb0EN6thrust23THRUST_200600_302600_NS6detail15normal_iteratorINS8_10device_ptrIiEEEESD_jNS0_19identity_decomposerEEE10hipError_tT1_T2_PT3_SI_jT4_jjP12ihipStream_tbEUlT_E_NS1_11comp_targetILNS1_3genE0ELNS1_11target_archE4294967295ELNS1_3gpuE0ELNS1_3repE0EEENS1_52radix_sort_onesweep_histogram_config_static_selectorELNS0_4arch9wavefront6targetE1EEEvSG_.num_named_barrier, 0
	.set _ZN7rocprim17ROCPRIM_400000_NS6detail17trampoline_kernelINS0_14default_configENS1_35radix_sort_onesweep_config_selectorIiiEEZNS1_34radix_sort_onesweep_global_offsetsIS3_Lb0EN6thrust23THRUST_200600_302600_NS6detail15normal_iteratorINS8_10device_ptrIiEEEESD_jNS0_19identity_decomposerEEE10hipError_tT1_T2_PT3_SI_jT4_jjP12ihipStream_tbEUlT_E_NS1_11comp_targetILNS1_3genE0ELNS1_11target_archE4294967295ELNS1_3gpuE0ELNS1_3repE0EEENS1_52radix_sort_onesweep_histogram_config_static_selectorELNS0_4arch9wavefront6targetE1EEEvSG_.private_seg_size, 0
	.set _ZN7rocprim17ROCPRIM_400000_NS6detail17trampoline_kernelINS0_14default_configENS1_35radix_sort_onesweep_config_selectorIiiEEZNS1_34radix_sort_onesweep_global_offsetsIS3_Lb0EN6thrust23THRUST_200600_302600_NS6detail15normal_iteratorINS8_10device_ptrIiEEEESD_jNS0_19identity_decomposerEEE10hipError_tT1_T2_PT3_SI_jT4_jjP12ihipStream_tbEUlT_E_NS1_11comp_targetILNS1_3genE0ELNS1_11target_archE4294967295ELNS1_3gpuE0ELNS1_3repE0EEENS1_52radix_sort_onesweep_histogram_config_static_selectorELNS0_4arch9wavefront6targetE1EEEvSG_.uses_vcc, 0
	.set _ZN7rocprim17ROCPRIM_400000_NS6detail17trampoline_kernelINS0_14default_configENS1_35radix_sort_onesweep_config_selectorIiiEEZNS1_34radix_sort_onesweep_global_offsetsIS3_Lb0EN6thrust23THRUST_200600_302600_NS6detail15normal_iteratorINS8_10device_ptrIiEEEESD_jNS0_19identity_decomposerEEE10hipError_tT1_T2_PT3_SI_jT4_jjP12ihipStream_tbEUlT_E_NS1_11comp_targetILNS1_3genE0ELNS1_11target_archE4294967295ELNS1_3gpuE0ELNS1_3repE0EEENS1_52radix_sort_onesweep_histogram_config_static_selectorELNS0_4arch9wavefront6targetE1EEEvSG_.uses_flat_scratch, 0
	.set _ZN7rocprim17ROCPRIM_400000_NS6detail17trampoline_kernelINS0_14default_configENS1_35radix_sort_onesweep_config_selectorIiiEEZNS1_34radix_sort_onesweep_global_offsetsIS3_Lb0EN6thrust23THRUST_200600_302600_NS6detail15normal_iteratorINS8_10device_ptrIiEEEESD_jNS0_19identity_decomposerEEE10hipError_tT1_T2_PT3_SI_jT4_jjP12ihipStream_tbEUlT_E_NS1_11comp_targetILNS1_3genE0ELNS1_11target_archE4294967295ELNS1_3gpuE0ELNS1_3repE0EEENS1_52radix_sort_onesweep_histogram_config_static_selectorELNS0_4arch9wavefront6targetE1EEEvSG_.has_dyn_sized_stack, 0
	.set _ZN7rocprim17ROCPRIM_400000_NS6detail17trampoline_kernelINS0_14default_configENS1_35radix_sort_onesweep_config_selectorIiiEEZNS1_34radix_sort_onesweep_global_offsetsIS3_Lb0EN6thrust23THRUST_200600_302600_NS6detail15normal_iteratorINS8_10device_ptrIiEEEESD_jNS0_19identity_decomposerEEE10hipError_tT1_T2_PT3_SI_jT4_jjP12ihipStream_tbEUlT_E_NS1_11comp_targetILNS1_3genE0ELNS1_11target_archE4294967295ELNS1_3gpuE0ELNS1_3repE0EEENS1_52radix_sort_onesweep_histogram_config_static_selectorELNS0_4arch9wavefront6targetE1EEEvSG_.has_recursion, 0
	.set _ZN7rocprim17ROCPRIM_400000_NS6detail17trampoline_kernelINS0_14default_configENS1_35radix_sort_onesweep_config_selectorIiiEEZNS1_34radix_sort_onesweep_global_offsetsIS3_Lb0EN6thrust23THRUST_200600_302600_NS6detail15normal_iteratorINS8_10device_ptrIiEEEESD_jNS0_19identity_decomposerEEE10hipError_tT1_T2_PT3_SI_jT4_jjP12ihipStream_tbEUlT_E_NS1_11comp_targetILNS1_3genE0ELNS1_11target_archE4294967295ELNS1_3gpuE0ELNS1_3repE0EEENS1_52radix_sort_onesweep_histogram_config_static_selectorELNS0_4arch9wavefront6targetE1EEEvSG_.has_indirect_call, 0
	.section	.AMDGPU.csdata,"",@progbits
; Kernel info:
; codeLenInByte = 0
; TotalNumSgprs: 6
; NumVgprs: 0
; NumAgprs: 0
; TotalNumVgprs: 0
; ScratchSize: 0
; MemoryBound: 0
; FloatMode: 240
; IeeeMode: 1
; LDSByteSize: 0 bytes/workgroup (compile time only)
; SGPRBlocks: 0
; VGPRBlocks: 0
; NumSGPRsForWavesPerEU: 6
; NumVGPRsForWavesPerEU: 1
; AccumOffset: 4
; Occupancy: 8
; WaveLimiterHint : 0
; COMPUTE_PGM_RSRC2:SCRATCH_EN: 0
; COMPUTE_PGM_RSRC2:USER_SGPR: 2
; COMPUTE_PGM_RSRC2:TRAP_HANDLER: 0
; COMPUTE_PGM_RSRC2:TGID_X_EN: 1
; COMPUTE_PGM_RSRC2:TGID_Y_EN: 0
; COMPUTE_PGM_RSRC2:TGID_Z_EN: 0
; COMPUTE_PGM_RSRC2:TIDIG_COMP_CNT: 0
; COMPUTE_PGM_RSRC3_GFX90A:ACCUM_OFFSET: 0
; COMPUTE_PGM_RSRC3_GFX90A:TG_SPLIT: 0
	.section	.text._ZN7rocprim17ROCPRIM_400000_NS6detail17trampoline_kernelINS0_14default_configENS1_35radix_sort_onesweep_config_selectorIiiEEZNS1_34radix_sort_onesweep_global_offsetsIS3_Lb0EN6thrust23THRUST_200600_302600_NS6detail15normal_iteratorINS8_10device_ptrIiEEEESD_jNS0_19identity_decomposerEEE10hipError_tT1_T2_PT3_SI_jT4_jjP12ihipStream_tbEUlT_E_NS1_11comp_targetILNS1_3genE6ELNS1_11target_archE950ELNS1_3gpuE13ELNS1_3repE0EEENS1_52radix_sort_onesweep_histogram_config_static_selectorELNS0_4arch9wavefront6targetE1EEEvSG_,"axG",@progbits,_ZN7rocprim17ROCPRIM_400000_NS6detail17trampoline_kernelINS0_14default_configENS1_35radix_sort_onesweep_config_selectorIiiEEZNS1_34radix_sort_onesweep_global_offsetsIS3_Lb0EN6thrust23THRUST_200600_302600_NS6detail15normal_iteratorINS8_10device_ptrIiEEEESD_jNS0_19identity_decomposerEEE10hipError_tT1_T2_PT3_SI_jT4_jjP12ihipStream_tbEUlT_E_NS1_11comp_targetILNS1_3genE6ELNS1_11target_archE950ELNS1_3gpuE13ELNS1_3repE0EEENS1_52radix_sort_onesweep_histogram_config_static_selectorELNS0_4arch9wavefront6targetE1EEEvSG_,comdat
	.protected	_ZN7rocprim17ROCPRIM_400000_NS6detail17trampoline_kernelINS0_14default_configENS1_35radix_sort_onesweep_config_selectorIiiEEZNS1_34radix_sort_onesweep_global_offsetsIS3_Lb0EN6thrust23THRUST_200600_302600_NS6detail15normal_iteratorINS8_10device_ptrIiEEEESD_jNS0_19identity_decomposerEEE10hipError_tT1_T2_PT3_SI_jT4_jjP12ihipStream_tbEUlT_E_NS1_11comp_targetILNS1_3genE6ELNS1_11target_archE950ELNS1_3gpuE13ELNS1_3repE0EEENS1_52radix_sort_onesweep_histogram_config_static_selectorELNS0_4arch9wavefront6targetE1EEEvSG_ ; -- Begin function _ZN7rocprim17ROCPRIM_400000_NS6detail17trampoline_kernelINS0_14default_configENS1_35radix_sort_onesweep_config_selectorIiiEEZNS1_34radix_sort_onesweep_global_offsetsIS3_Lb0EN6thrust23THRUST_200600_302600_NS6detail15normal_iteratorINS8_10device_ptrIiEEEESD_jNS0_19identity_decomposerEEE10hipError_tT1_T2_PT3_SI_jT4_jjP12ihipStream_tbEUlT_E_NS1_11comp_targetILNS1_3genE6ELNS1_11target_archE950ELNS1_3gpuE13ELNS1_3repE0EEENS1_52radix_sort_onesweep_histogram_config_static_selectorELNS0_4arch9wavefront6targetE1EEEvSG_
	.globl	_ZN7rocprim17ROCPRIM_400000_NS6detail17trampoline_kernelINS0_14default_configENS1_35radix_sort_onesweep_config_selectorIiiEEZNS1_34radix_sort_onesweep_global_offsetsIS3_Lb0EN6thrust23THRUST_200600_302600_NS6detail15normal_iteratorINS8_10device_ptrIiEEEESD_jNS0_19identity_decomposerEEE10hipError_tT1_T2_PT3_SI_jT4_jjP12ihipStream_tbEUlT_E_NS1_11comp_targetILNS1_3genE6ELNS1_11target_archE950ELNS1_3gpuE13ELNS1_3repE0EEENS1_52radix_sort_onesweep_histogram_config_static_selectorELNS0_4arch9wavefront6targetE1EEEvSG_
	.p2align	8
	.type	_ZN7rocprim17ROCPRIM_400000_NS6detail17trampoline_kernelINS0_14default_configENS1_35radix_sort_onesweep_config_selectorIiiEEZNS1_34radix_sort_onesweep_global_offsetsIS3_Lb0EN6thrust23THRUST_200600_302600_NS6detail15normal_iteratorINS8_10device_ptrIiEEEESD_jNS0_19identity_decomposerEEE10hipError_tT1_T2_PT3_SI_jT4_jjP12ihipStream_tbEUlT_E_NS1_11comp_targetILNS1_3genE6ELNS1_11target_archE950ELNS1_3gpuE13ELNS1_3repE0EEENS1_52radix_sort_onesweep_histogram_config_static_selectorELNS0_4arch9wavefront6targetE1EEEvSG_,@function
_ZN7rocprim17ROCPRIM_400000_NS6detail17trampoline_kernelINS0_14default_configENS1_35radix_sort_onesweep_config_selectorIiiEEZNS1_34radix_sort_onesweep_global_offsetsIS3_Lb0EN6thrust23THRUST_200600_302600_NS6detail15normal_iteratorINS8_10device_ptrIiEEEESD_jNS0_19identity_decomposerEEE10hipError_tT1_T2_PT3_SI_jT4_jjP12ihipStream_tbEUlT_E_NS1_11comp_targetILNS1_3genE6ELNS1_11target_archE950ELNS1_3gpuE13ELNS1_3repE0EEENS1_52radix_sort_onesweep_histogram_config_static_selectorELNS0_4arch9wavefront6targetE1EEEvSG_: ; @_ZN7rocprim17ROCPRIM_400000_NS6detail17trampoline_kernelINS0_14default_configENS1_35radix_sort_onesweep_config_selectorIiiEEZNS1_34radix_sort_onesweep_global_offsetsIS3_Lb0EN6thrust23THRUST_200600_302600_NS6detail15normal_iteratorINS8_10device_ptrIiEEEESD_jNS0_19identity_decomposerEEE10hipError_tT1_T2_PT3_SI_jT4_jjP12ihipStream_tbEUlT_E_NS1_11comp_targetILNS1_3genE6ELNS1_11target_archE950ELNS1_3gpuE13ELNS1_3repE0EEENS1_52radix_sort_onesweep_histogram_config_static_selectorELNS0_4arch9wavefront6targetE1EEEvSG_
; %bb.0:
	s_load_dword s11, s[0:1], 0x14
	s_load_dwordx4 s[4:7], s[0:1], 0x0
	s_load_dwordx2 s[8:9], s[0:1], 0x1c
	s_lshl_b32 s10, s2, 14
	s_waitcnt lgkmcnt(0)
	s_cmp_ge_u32 s2, s11
	s_mov_b64 s[2:3], -1
	s_cbranch_scc0 .LBB1393_311
; %bb.1:
	s_load_dword s2, s[0:1], 0x10
	s_lshl_b32 s3, s11, 14
	s_mov_b32 s11, 0
	s_lshl_b64 s[0:1], s[10:11], 2
                                        ; implicit-def: $vgpr32
	s_waitcnt lgkmcnt(0)
	s_sub_i32 s11, s2, s3
	s_add_u32 s0, s4, s0
	s_addc_u32 s1, s5, s1
	v_cmp_gt_u32_e32 vcc, s11, v0
	s_and_saveexec_b64 s[2:3], vcc
	s_cbranch_execz .LBB1393_3
; %bb.2:
	v_lshlrev_b32_e32 v1, 2, v0
	global_load_dword v1, v1, s[0:1]
	s_waitcnt vmcnt(0)
	v_xor_b32_e32 v32, 0x80000000, v1
.LBB1393_3:
	s_or_b64 exec, exec, s[2:3]
	v_or_b32_e32 v33, 0x400, v0
	v_cmp_gt_u32_e32 vcc, s11, v33
                                        ; implicit-def: $vgpr31
	s_and_saveexec_b64 s[2:3], vcc
	s_cbranch_execz .LBB1393_5
; %bb.4:
	v_lshlrev_b32_e32 v1, 2, v33
	global_load_dword v1, v1, s[0:1]
	s_waitcnt vmcnt(0)
	v_xor_b32_e32 v31, 0x80000000, v1
.LBB1393_5:
	s_or_b64 exec, exec, s[2:3]
	v_or_b32_e32 v30, 0x800, v0
	v_cmp_gt_u32_e32 vcc, s11, v30
                                        ; implicit-def: $vgpr29
	s_and_saveexec_b64 s[2:3], vcc
	s_cbranch_execz .LBB1393_7
; %bb.6:
	v_lshlrev_b32_e32 v1, 2, v30
	global_load_dword v1, v1, s[0:1]
	s_waitcnt vmcnt(0)
	v_xor_b32_e32 v29, 0x80000000, v1
.LBB1393_7:
	s_or_b64 exec, exec, s[2:3]
	v_or_b32_e32 v28, 0xc00, v0
	v_cmp_gt_u32_e32 vcc, s11, v28
                                        ; implicit-def: $vgpr27
	s_and_saveexec_b64 s[2:3], vcc
	s_cbranch_execz .LBB1393_9
; %bb.8:
	v_lshlrev_b32_e32 v1, 2, v28
	global_load_dword v1, v1, s[0:1]
	s_waitcnt vmcnt(0)
	v_xor_b32_e32 v27, 0x80000000, v1
.LBB1393_9:
	s_or_b64 exec, exec, s[2:3]
	v_or_b32_e32 v26, 0x1000, v0
	v_cmp_gt_u32_e32 vcc, s11, v26
                                        ; implicit-def: $vgpr25
	s_and_saveexec_b64 s[2:3], vcc
	s_cbranch_execz .LBB1393_11
; %bb.10:
	v_lshlrev_b32_e32 v1, 2, v26
	global_load_dword v1, v1, s[0:1]
	s_waitcnt vmcnt(0)
	v_xor_b32_e32 v25, 0x80000000, v1
.LBB1393_11:
	s_or_b64 exec, exec, s[2:3]
	v_or_b32_e32 v24, 0x1400, v0
	v_cmp_gt_u32_e32 vcc, s11, v24
                                        ; implicit-def: $vgpr23
	s_and_saveexec_b64 s[2:3], vcc
	s_cbranch_execz .LBB1393_13
; %bb.12:
	v_lshlrev_b32_e32 v1, 2, v24
	global_load_dword v1, v1, s[0:1]
	s_waitcnt vmcnt(0)
	v_xor_b32_e32 v23, 0x80000000, v1
.LBB1393_13:
	s_or_b64 exec, exec, s[2:3]
	v_or_b32_e32 v22, 0x1800, v0
	v_cmp_gt_u32_e32 vcc, s11, v22
                                        ; implicit-def: $vgpr21
	s_and_saveexec_b64 s[2:3], vcc
	s_cbranch_execz .LBB1393_15
; %bb.14:
	v_lshlrev_b32_e32 v1, 2, v22
	global_load_dword v1, v1, s[0:1]
	s_waitcnt vmcnt(0)
	v_xor_b32_e32 v21, 0x80000000, v1
.LBB1393_15:
	s_or_b64 exec, exec, s[2:3]
	v_or_b32_e32 v20, 0x1c00, v0
	v_cmp_gt_u32_e32 vcc, s11, v20
                                        ; implicit-def: $vgpr19
	s_and_saveexec_b64 s[2:3], vcc
	s_cbranch_execz .LBB1393_17
; %bb.16:
	v_lshlrev_b32_e32 v1, 2, v20
	global_load_dword v1, v1, s[0:1]
	s_waitcnt vmcnt(0)
	v_xor_b32_e32 v19, 0x80000000, v1
.LBB1393_17:
	s_or_b64 exec, exec, s[2:3]
	v_or_b32_e32 v18, 0x2000, v0
	v_cmp_gt_u32_e32 vcc, s11, v18
                                        ; implicit-def: $vgpr17
	s_and_saveexec_b64 s[2:3], vcc
	s_cbranch_execz .LBB1393_19
; %bb.18:
	v_lshlrev_b32_e32 v1, 2, v18
	global_load_dword v1, v1, s[0:1]
	s_waitcnt vmcnt(0)
	v_xor_b32_e32 v17, 0x80000000, v1
.LBB1393_19:
	s_or_b64 exec, exec, s[2:3]
	v_or_b32_e32 v16, 0x2400, v0
	v_cmp_gt_u32_e32 vcc, s11, v16
                                        ; implicit-def: $vgpr15
	s_and_saveexec_b64 s[2:3], vcc
	s_cbranch_execz .LBB1393_21
; %bb.20:
	v_lshlrev_b32_e32 v1, 2, v16
	global_load_dword v1, v1, s[0:1]
	s_waitcnt vmcnt(0)
	v_xor_b32_e32 v15, 0x80000000, v1
.LBB1393_21:
	s_or_b64 exec, exec, s[2:3]
	v_or_b32_e32 v14, 0x2800, v0
	v_cmp_gt_u32_e32 vcc, s11, v14
                                        ; implicit-def: $vgpr13
	s_and_saveexec_b64 s[2:3], vcc
	s_cbranch_execz .LBB1393_23
; %bb.22:
	v_lshlrev_b32_e32 v1, 2, v14
	global_load_dword v1, v1, s[0:1]
	s_waitcnt vmcnt(0)
	v_xor_b32_e32 v13, 0x80000000, v1
.LBB1393_23:
	s_or_b64 exec, exec, s[2:3]
	v_or_b32_e32 v12, 0x2c00, v0
	v_cmp_gt_u32_e32 vcc, s11, v12
                                        ; implicit-def: $vgpr11
	s_and_saveexec_b64 s[2:3], vcc
	s_cbranch_execz .LBB1393_25
; %bb.24:
	v_lshlrev_b32_e32 v1, 2, v12
	global_load_dword v1, v1, s[0:1]
	s_waitcnt vmcnt(0)
	v_xor_b32_e32 v11, 0x80000000, v1
.LBB1393_25:
	s_or_b64 exec, exec, s[2:3]
	v_or_b32_e32 v10, 0x3000, v0
	v_cmp_gt_u32_e32 vcc, s11, v10
                                        ; implicit-def: $vgpr9
	s_and_saveexec_b64 s[2:3], vcc
	s_cbranch_execz .LBB1393_27
; %bb.26:
	v_lshlrev_b32_e32 v1, 2, v10
	global_load_dword v1, v1, s[0:1]
	s_waitcnt vmcnt(0)
	v_xor_b32_e32 v9, 0x80000000, v1
.LBB1393_27:
	s_or_b64 exec, exec, s[2:3]
	v_or_b32_e32 v8, 0x3400, v0
	v_cmp_gt_u32_e32 vcc, s11, v8
                                        ; implicit-def: $vgpr7
	s_and_saveexec_b64 s[2:3], vcc
	s_cbranch_execz .LBB1393_29
; %bb.28:
	v_lshlrev_b32_e32 v1, 2, v8
	global_load_dword v1, v1, s[0:1]
	s_waitcnt vmcnt(0)
	v_xor_b32_e32 v7, 0x80000000, v1
.LBB1393_29:
	s_or_b64 exec, exec, s[2:3]
	v_or_b32_e32 v6, 0x3800, v0
	v_cmp_gt_u32_e32 vcc, s11, v6
                                        ; implicit-def: $vgpr5
	s_and_saveexec_b64 s[2:3], vcc
	s_cbranch_execz .LBB1393_31
; %bb.30:
	v_lshlrev_b32_e32 v1, 2, v6
	global_load_dword v1, v1, s[0:1]
	s_waitcnt vmcnt(0)
	v_xor_b32_e32 v5, 0x80000000, v1
.LBB1393_31:
	s_or_b64 exec, exec, s[2:3]
	v_or_b32_e32 v4, 0x3c00, v0
	v_cmp_gt_u32_e32 vcc, s11, v4
                                        ; implicit-def: $vgpr2
	s_and_saveexec_b64 s[2:3], vcc
	s_cbranch_execz .LBB1393_33
; %bb.32:
	v_lshlrev_b32_e32 v1, 2, v4
	global_load_dword v1, v1, s[0:1]
	s_waitcnt vmcnt(0)
	v_xor_b32_e32 v2, 0x80000000, v1
.LBB1393_33:
	s_or_b64 exec, exec, s[2:3]
	s_cmp_ge_u32 s8, s9
	s_cselect_b64 s[2:3], -1, 0
	s_and_b64 s[0:1], s[2:3], exec
	v_lshlrev_b32_e32 v1, 2, v0
	v_mov_b32_e32 v34, 0
	v_cmp_le_u32_e32 vcc, s11, v0
	s_cselect_b32 s18, 8, 10
	v_and_b32_e32 v3, 3, v0
	ds_write2st64_b32 v1, v34, v34 offset1:16
	ds_write2st64_b32 v1, v34, v34 offset0:32 offset1:48
	s_nor_b64 s[12:13], s[2:3], vcc
	v_mov_b32_e32 v34, s18
	s_waitcnt lgkmcnt(0)
	s_barrier
	s_and_saveexec_b64 s[0:1], s[12:13]
	s_cbranch_execz .LBB1393_35
; %bb.34:
	s_sub_i32 s12, s9, s8
	s_min_u32 s12, s12, 8
	v_lshrrev_b32_e32 v34, s8, v32
	v_bfe_u32 v34, v34, 0, s12
	v_lshlrev_b32_e32 v35, 2, v3
	v_lshl_or_b32 v34, v34, 4, v35
	v_mov_b32_e32 v35, 1
	ds_add_u32 v34, v35
	v_mov_b32_e32 v34, 0
.LBB1393_35:
	s_or_b64 exec, exec, s[0:1]
	v_cmp_gt_i32_e64 s[0:1], 10, v34
	s_mov_b64 s[14:15], -1
	s_and_saveexec_b64 s[12:13], s[0:1]
; %bb.36:
	v_cmp_eq_u32_e64 s[0:1], 0, v34
	s_orn2_b64 s[14:15], s[0:1], exec
; %bb.37:
	s_or_b64 exec, exec, s[12:13]
	s_and_saveexec_b64 s[12:13], s[14:15]
	s_cbranch_execz .LBB1393_50
; %bb.38:
	s_add_i32 s14, s8, 8
	s_cmp_le_u32 s9, s14
	s_cselect_b64 s[0:1], -1, 0
	s_and_b64 s[16:17], s[0:1], exec
	s_cselect_b32 s15, 8, 10
	s_nor_b64 s[16:17], s[0:1], vcc
	v_mov_b32_e32 v34, s15
	s_and_saveexec_b64 s[0:1], s[16:17]
	s_cbranch_execz .LBB1393_40
; %bb.39:
	s_sub_i32 s15, s9, s14
	s_min_u32 s15, s15, 8
	v_lshrrev_b32_e32 v34, s14, v32
	v_bfe_u32 v34, v34, 0, s15
	v_lshlrev_b32_e32 v35, 2, v3
	v_lshl_or_b32 v34, v34, 4, v35
	v_mov_b32_e32 v35, 1
	ds_add_u32 v34, v35 offset:4096
	v_mov_b32_e32 v34, 0
.LBB1393_40:
	s_or_b64 exec, exec, s[0:1]
	v_cmp_gt_i32_e64 s[0:1], 10, v34
	s_mov_b64 s[14:15], -1
	s_and_saveexec_b64 s[16:17], s[0:1]
; %bb.41:
	v_cmp_eq_u32_e64 s[0:1], 0, v34
	s_orn2_b64 s[14:15], s[0:1], exec
; %bb.42:
	s_or_b64 exec, exec, s[16:17]
	s_and_b64 exec, exec, s[14:15]
	s_cbranch_execz .LBB1393_50
; %bb.43:
	s_add_i32 s14, s8, 16
	s_cmp_le_u32 s9, s14
	s_cselect_b64 s[0:1], -1, 0
	s_and_b64 s[16:17], s[0:1], exec
	s_cselect_b32 s15, 8, 10
	s_nor_b64 s[16:17], s[0:1], vcc
	v_mov_b32_e32 v34, s15
	s_and_saveexec_b64 s[0:1], s[16:17]
	s_cbranch_execz .LBB1393_45
; %bb.44:
	s_sub_i32 s15, s9, s14
	s_min_u32 s15, s15, 8
	v_lshrrev_b32_e32 v34, s14, v32
	v_bfe_u32 v34, v34, 0, s15
	v_lshlrev_b32_e32 v35, 2, v3
	v_lshl_or_b32 v34, v34, 4, v35
	v_mov_b32_e32 v35, 1
	ds_add_u32 v34, v35 offset:8192
	v_mov_b32_e32 v34, 0
.LBB1393_45:
	s_or_b64 exec, exec, s[0:1]
	v_cmp_gt_i32_e64 s[0:1], 10, v34
	s_mov_b64 s[14:15], -1
	s_and_saveexec_b64 s[16:17], s[0:1]
; %bb.46:
	v_cmp_eq_u32_e64 s[0:1], 0, v34
	s_orn2_b64 s[14:15], s[0:1], exec
; %bb.47:
	s_or_b64 exec, exec, s[16:17]
	s_and_b64 exec, exec, s[14:15]
	s_cbranch_execz .LBB1393_50
; %bb.48:
	s_add_i32 s0, s8, 24
	s_cmp_gt_u32 s9, s0
	s_cselect_b64 s[14:15], -1, 0
	s_xor_b64 s[16:17], vcc, -1
	s_and_b64 s[14:15], s[14:15], s[16:17]
	s_and_b64 exec, exec, s[14:15]
	s_cbranch_execz .LBB1393_50
; %bb.49:
	s_sub_i32 s1, s9, s0
	s_min_u32 s1, s1, 8
	v_lshrrev_b32_e32 v32, s0, v32
	v_bfe_u32 v32, v32, 0, s1
	v_lshlrev_b32_e32 v34, 2, v3
	v_lshl_or_b32 v32, v32, 4, v34
	v_mov_b32_e32 v34, 1
	ds_add_u32 v32, v34 offset:12288
.LBB1393_50:
	s_or_b64 exec, exec, s[12:13]
	v_cmp_le_u32_e32 vcc, s11, v33
	s_nor_b64 s[12:13], s[2:3], vcc
	v_mov_b32_e32 v32, s18
	s_and_saveexec_b64 s[0:1], s[12:13]
	s_cbranch_execz .LBB1393_52
; %bb.51:
	s_sub_i32 s12, s9, s8
	s_min_u32 s12, s12, 8
	v_lshrrev_b32_e32 v32, s8, v31
	v_bfe_u32 v32, v32, 0, s12
	v_lshlrev_b32_e32 v33, 2, v3
	v_lshl_or_b32 v32, v32, 4, v33
	v_mov_b32_e32 v33, 1
	ds_add_u32 v32, v33
	v_mov_b32_e32 v32, 0
.LBB1393_52:
	s_or_b64 exec, exec, s[0:1]
	v_cmp_gt_i32_e64 s[0:1], 10, v32
	s_mov_b64 s[14:15], -1
	s_and_saveexec_b64 s[12:13], s[0:1]
; %bb.53:
	v_cmp_eq_u32_e64 s[0:1], 0, v32
	s_orn2_b64 s[14:15], s[0:1], exec
; %bb.54:
	s_or_b64 exec, exec, s[12:13]
	s_and_saveexec_b64 s[12:13], s[14:15]
	s_cbranch_execz .LBB1393_67
; %bb.55:
	s_add_i32 s14, s8, 8
	s_cmp_le_u32 s9, s14
	s_cselect_b64 s[0:1], -1, 0
	s_and_b64 s[16:17], s[0:1], exec
	s_cselect_b32 s15, 8, 10
	s_nor_b64 s[16:17], s[0:1], vcc
	v_mov_b32_e32 v32, s15
	s_and_saveexec_b64 s[0:1], s[16:17]
	s_cbranch_execz .LBB1393_57
; %bb.56:
	s_sub_i32 s15, s9, s14
	s_min_u32 s15, s15, 8
	v_lshrrev_b32_e32 v32, s14, v31
	v_bfe_u32 v32, v32, 0, s15
	v_lshlrev_b32_e32 v33, 2, v3
	v_lshl_or_b32 v32, v32, 4, v33
	v_mov_b32_e32 v33, 1
	ds_add_u32 v32, v33 offset:4096
	v_mov_b32_e32 v32, 0
.LBB1393_57:
	s_or_b64 exec, exec, s[0:1]
	v_cmp_gt_i32_e64 s[0:1], 10, v32
	s_mov_b64 s[14:15], -1
	s_and_saveexec_b64 s[16:17], s[0:1]
; %bb.58:
	v_cmp_eq_u32_e64 s[0:1], 0, v32
	s_orn2_b64 s[14:15], s[0:1], exec
; %bb.59:
	s_or_b64 exec, exec, s[16:17]
	s_and_b64 exec, exec, s[14:15]
	s_cbranch_execz .LBB1393_67
; %bb.60:
	s_add_i32 s14, s8, 16
	s_cmp_le_u32 s9, s14
	s_cselect_b64 s[0:1], -1, 0
	s_and_b64 s[16:17], s[0:1], exec
	s_cselect_b32 s15, 8, 10
	s_nor_b64 s[16:17], s[0:1], vcc
	v_mov_b32_e32 v32, s15
	s_and_saveexec_b64 s[0:1], s[16:17]
	s_cbranch_execz .LBB1393_62
; %bb.61:
	s_sub_i32 s15, s9, s14
	s_min_u32 s15, s15, 8
	v_lshrrev_b32_e32 v32, s14, v31
	v_bfe_u32 v32, v32, 0, s15
	v_lshlrev_b32_e32 v33, 2, v3
	v_lshl_or_b32 v32, v32, 4, v33
	v_mov_b32_e32 v33, 1
	ds_add_u32 v32, v33 offset:8192
	v_mov_b32_e32 v32, 0
.LBB1393_62:
	s_or_b64 exec, exec, s[0:1]
	v_cmp_gt_i32_e64 s[0:1], 10, v32
	s_mov_b64 s[14:15], -1
	s_and_saveexec_b64 s[16:17], s[0:1]
; %bb.63:
	v_cmp_eq_u32_e64 s[0:1], 0, v32
	s_orn2_b64 s[14:15], s[0:1], exec
; %bb.64:
	s_or_b64 exec, exec, s[16:17]
	s_and_b64 exec, exec, s[14:15]
	s_cbranch_execz .LBB1393_67
; %bb.65:
	s_add_i32 s0, s8, 24
	s_cmp_gt_u32 s9, s0
	s_cselect_b64 s[14:15], -1, 0
	s_xor_b64 s[16:17], vcc, -1
	s_and_b64 s[14:15], s[14:15], s[16:17]
	s_and_b64 exec, exec, s[14:15]
	s_cbranch_execz .LBB1393_67
; %bb.66:
	s_sub_i32 s1, s9, s0
	s_min_u32 s1, s1, 8
	v_lshrrev_b32_e32 v31, s0, v31
	v_bfe_u32 v31, v31, 0, s1
	v_lshlrev_b32_e32 v32, 2, v3
	v_lshl_or_b32 v31, v31, 4, v32
	v_mov_b32_e32 v32, 1
	ds_add_u32 v31, v32 offset:12288
.LBB1393_67:
	s_or_b64 exec, exec, s[12:13]
	v_cmp_le_u32_e32 vcc, s11, v30
	s_nor_b64 s[12:13], s[2:3], vcc
	v_mov_b32_e32 v30, s18
	s_and_saveexec_b64 s[0:1], s[12:13]
	s_cbranch_execz .LBB1393_69
; %bb.68:
	s_sub_i32 s12, s9, s8
	s_min_u32 s12, s12, 8
	v_lshrrev_b32_e32 v30, s8, v29
	v_bfe_u32 v30, v30, 0, s12
	v_lshlrev_b32_e32 v31, 2, v3
	v_lshl_or_b32 v30, v30, 4, v31
	v_mov_b32_e32 v31, 1
	ds_add_u32 v30, v31
	v_mov_b32_e32 v30, 0
.LBB1393_69:
	s_or_b64 exec, exec, s[0:1]
	v_cmp_gt_i32_e64 s[0:1], 10, v30
	s_mov_b64 s[14:15], -1
	s_and_saveexec_b64 s[12:13], s[0:1]
; %bb.70:
	v_cmp_eq_u32_e64 s[0:1], 0, v30
	s_orn2_b64 s[14:15], s[0:1], exec
; %bb.71:
	s_or_b64 exec, exec, s[12:13]
	s_and_saveexec_b64 s[12:13], s[14:15]
	s_cbranch_execz .LBB1393_84
; %bb.72:
	s_add_i32 s14, s8, 8
	s_cmp_le_u32 s9, s14
	s_cselect_b64 s[0:1], -1, 0
	s_and_b64 s[16:17], s[0:1], exec
	s_cselect_b32 s15, 8, 10
	s_nor_b64 s[16:17], s[0:1], vcc
	v_mov_b32_e32 v30, s15
	s_and_saveexec_b64 s[0:1], s[16:17]
	s_cbranch_execz .LBB1393_74
; %bb.73:
	s_sub_i32 s15, s9, s14
	s_min_u32 s15, s15, 8
	v_lshrrev_b32_e32 v30, s14, v29
	v_bfe_u32 v30, v30, 0, s15
	v_lshlrev_b32_e32 v31, 2, v3
	v_lshl_or_b32 v30, v30, 4, v31
	v_mov_b32_e32 v31, 1
	ds_add_u32 v30, v31 offset:4096
	v_mov_b32_e32 v30, 0
.LBB1393_74:
	s_or_b64 exec, exec, s[0:1]
	v_cmp_gt_i32_e64 s[0:1], 10, v30
	s_mov_b64 s[14:15], -1
	s_and_saveexec_b64 s[16:17], s[0:1]
; %bb.75:
	v_cmp_eq_u32_e64 s[0:1], 0, v30
	s_orn2_b64 s[14:15], s[0:1], exec
; %bb.76:
	s_or_b64 exec, exec, s[16:17]
	s_and_b64 exec, exec, s[14:15]
	s_cbranch_execz .LBB1393_84
; %bb.77:
	s_add_i32 s14, s8, 16
	s_cmp_le_u32 s9, s14
	s_cselect_b64 s[0:1], -1, 0
	s_and_b64 s[16:17], s[0:1], exec
	s_cselect_b32 s15, 8, 10
	s_nor_b64 s[16:17], s[0:1], vcc
	v_mov_b32_e32 v30, s15
	s_and_saveexec_b64 s[0:1], s[16:17]
	s_cbranch_execz .LBB1393_79
; %bb.78:
	s_sub_i32 s15, s9, s14
	s_min_u32 s15, s15, 8
	v_lshrrev_b32_e32 v30, s14, v29
	v_bfe_u32 v30, v30, 0, s15
	v_lshlrev_b32_e32 v31, 2, v3
	v_lshl_or_b32 v30, v30, 4, v31
	v_mov_b32_e32 v31, 1
	ds_add_u32 v30, v31 offset:8192
	v_mov_b32_e32 v30, 0
.LBB1393_79:
	s_or_b64 exec, exec, s[0:1]
	v_cmp_gt_i32_e64 s[0:1], 10, v30
	s_mov_b64 s[14:15], -1
	s_and_saveexec_b64 s[16:17], s[0:1]
; %bb.80:
	v_cmp_eq_u32_e64 s[0:1], 0, v30
	s_orn2_b64 s[14:15], s[0:1], exec
; %bb.81:
	s_or_b64 exec, exec, s[16:17]
	s_and_b64 exec, exec, s[14:15]
	s_cbranch_execz .LBB1393_84
; %bb.82:
	s_add_i32 s0, s8, 24
	s_cmp_gt_u32 s9, s0
	s_cselect_b64 s[14:15], -1, 0
	s_xor_b64 s[16:17], vcc, -1
	s_and_b64 s[14:15], s[14:15], s[16:17]
	s_and_b64 exec, exec, s[14:15]
	s_cbranch_execz .LBB1393_84
; %bb.83:
	s_sub_i32 s1, s9, s0
	s_min_u32 s1, s1, 8
	v_lshrrev_b32_e32 v29, s0, v29
	v_bfe_u32 v29, v29, 0, s1
	v_lshlrev_b32_e32 v30, 2, v3
	v_lshl_or_b32 v29, v29, 4, v30
	v_mov_b32_e32 v30, 1
	ds_add_u32 v29, v30 offset:12288
.LBB1393_84:
	s_or_b64 exec, exec, s[12:13]
	v_cmp_le_u32_e32 vcc, s11, v28
	s_nor_b64 s[12:13], s[2:3], vcc
	v_mov_b32_e32 v28, s18
	s_and_saveexec_b64 s[0:1], s[12:13]
	s_cbranch_execz .LBB1393_86
; %bb.85:
	s_sub_i32 s12, s9, s8
	s_min_u32 s12, s12, 8
	v_lshrrev_b32_e32 v28, s8, v27
	v_bfe_u32 v28, v28, 0, s12
	v_lshlrev_b32_e32 v29, 2, v3
	v_lshl_or_b32 v28, v28, 4, v29
	v_mov_b32_e32 v29, 1
	ds_add_u32 v28, v29
	v_mov_b32_e32 v28, 0
.LBB1393_86:
	s_or_b64 exec, exec, s[0:1]
	v_cmp_gt_i32_e64 s[0:1], 10, v28
	s_mov_b64 s[14:15], -1
	s_and_saveexec_b64 s[12:13], s[0:1]
; %bb.87:
	v_cmp_eq_u32_e64 s[0:1], 0, v28
	s_orn2_b64 s[14:15], s[0:1], exec
; %bb.88:
	s_or_b64 exec, exec, s[12:13]
	s_and_saveexec_b64 s[12:13], s[14:15]
	s_cbranch_execz .LBB1393_101
; %bb.89:
	s_add_i32 s14, s8, 8
	s_cmp_le_u32 s9, s14
	s_cselect_b64 s[0:1], -1, 0
	s_and_b64 s[16:17], s[0:1], exec
	s_cselect_b32 s15, 8, 10
	s_nor_b64 s[16:17], s[0:1], vcc
	v_mov_b32_e32 v28, s15
	s_and_saveexec_b64 s[0:1], s[16:17]
	s_cbranch_execz .LBB1393_91
; %bb.90:
	s_sub_i32 s15, s9, s14
	s_min_u32 s15, s15, 8
	v_lshrrev_b32_e32 v28, s14, v27
	v_bfe_u32 v28, v28, 0, s15
	v_lshlrev_b32_e32 v29, 2, v3
	v_lshl_or_b32 v28, v28, 4, v29
	v_mov_b32_e32 v29, 1
	ds_add_u32 v28, v29 offset:4096
	v_mov_b32_e32 v28, 0
.LBB1393_91:
	s_or_b64 exec, exec, s[0:1]
	v_cmp_gt_i32_e64 s[0:1], 10, v28
	s_mov_b64 s[14:15], -1
	s_and_saveexec_b64 s[16:17], s[0:1]
; %bb.92:
	v_cmp_eq_u32_e64 s[0:1], 0, v28
	s_orn2_b64 s[14:15], s[0:1], exec
; %bb.93:
	s_or_b64 exec, exec, s[16:17]
	s_and_b64 exec, exec, s[14:15]
	s_cbranch_execz .LBB1393_101
; %bb.94:
	s_add_i32 s14, s8, 16
	s_cmp_le_u32 s9, s14
	s_cselect_b64 s[0:1], -1, 0
	s_and_b64 s[16:17], s[0:1], exec
	s_cselect_b32 s15, 8, 10
	s_nor_b64 s[16:17], s[0:1], vcc
	v_mov_b32_e32 v28, s15
	s_and_saveexec_b64 s[0:1], s[16:17]
	s_cbranch_execz .LBB1393_96
; %bb.95:
	s_sub_i32 s15, s9, s14
	s_min_u32 s15, s15, 8
	v_lshrrev_b32_e32 v28, s14, v27
	v_bfe_u32 v28, v28, 0, s15
	v_lshlrev_b32_e32 v29, 2, v3
	v_lshl_or_b32 v28, v28, 4, v29
	v_mov_b32_e32 v29, 1
	ds_add_u32 v28, v29 offset:8192
	v_mov_b32_e32 v28, 0
.LBB1393_96:
	s_or_b64 exec, exec, s[0:1]
	v_cmp_gt_i32_e64 s[0:1], 10, v28
	s_mov_b64 s[14:15], -1
	s_and_saveexec_b64 s[16:17], s[0:1]
; %bb.97:
	v_cmp_eq_u32_e64 s[0:1], 0, v28
	s_orn2_b64 s[14:15], s[0:1], exec
; %bb.98:
	s_or_b64 exec, exec, s[16:17]
	s_and_b64 exec, exec, s[14:15]
	s_cbranch_execz .LBB1393_101
; %bb.99:
	s_add_i32 s0, s8, 24
	s_cmp_gt_u32 s9, s0
	s_cselect_b64 s[14:15], -1, 0
	s_xor_b64 s[16:17], vcc, -1
	s_and_b64 s[14:15], s[14:15], s[16:17]
	s_and_b64 exec, exec, s[14:15]
	s_cbranch_execz .LBB1393_101
; %bb.100:
	s_sub_i32 s1, s9, s0
	s_min_u32 s1, s1, 8
	v_lshrrev_b32_e32 v27, s0, v27
	v_bfe_u32 v27, v27, 0, s1
	v_lshlrev_b32_e32 v28, 2, v3
	v_lshl_or_b32 v27, v27, 4, v28
	v_mov_b32_e32 v28, 1
	ds_add_u32 v27, v28 offset:12288
.LBB1393_101:
	s_or_b64 exec, exec, s[12:13]
	v_cmp_le_u32_e32 vcc, s11, v26
	s_nor_b64 s[12:13], s[2:3], vcc
	v_mov_b32_e32 v26, s18
	s_and_saveexec_b64 s[0:1], s[12:13]
	s_cbranch_execz .LBB1393_103
; %bb.102:
	s_sub_i32 s12, s9, s8
	s_min_u32 s12, s12, 8
	v_lshrrev_b32_e32 v26, s8, v25
	v_bfe_u32 v26, v26, 0, s12
	v_lshlrev_b32_e32 v27, 2, v3
	v_lshl_or_b32 v26, v26, 4, v27
	v_mov_b32_e32 v27, 1
	ds_add_u32 v26, v27
	v_mov_b32_e32 v26, 0
.LBB1393_103:
	s_or_b64 exec, exec, s[0:1]
	v_cmp_gt_i32_e64 s[0:1], 10, v26
	s_mov_b64 s[14:15], -1
	s_and_saveexec_b64 s[12:13], s[0:1]
; %bb.104:
	v_cmp_eq_u32_e64 s[0:1], 0, v26
	s_orn2_b64 s[14:15], s[0:1], exec
; %bb.105:
	s_or_b64 exec, exec, s[12:13]
	s_and_saveexec_b64 s[12:13], s[14:15]
	s_cbranch_execz .LBB1393_118
; %bb.106:
	s_add_i32 s14, s8, 8
	s_cmp_le_u32 s9, s14
	s_cselect_b64 s[0:1], -1, 0
	s_and_b64 s[16:17], s[0:1], exec
	s_cselect_b32 s15, 8, 10
	s_nor_b64 s[16:17], s[0:1], vcc
	v_mov_b32_e32 v26, s15
	s_and_saveexec_b64 s[0:1], s[16:17]
	s_cbranch_execz .LBB1393_108
; %bb.107:
	s_sub_i32 s15, s9, s14
	s_min_u32 s15, s15, 8
	v_lshrrev_b32_e32 v26, s14, v25
	v_bfe_u32 v26, v26, 0, s15
	v_lshlrev_b32_e32 v27, 2, v3
	v_lshl_or_b32 v26, v26, 4, v27
	v_mov_b32_e32 v27, 1
	ds_add_u32 v26, v27 offset:4096
	v_mov_b32_e32 v26, 0
.LBB1393_108:
	s_or_b64 exec, exec, s[0:1]
	v_cmp_gt_i32_e64 s[0:1], 10, v26
	s_mov_b64 s[14:15], -1
	s_and_saveexec_b64 s[16:17], s[0:1]
; %bb.109:
	v_cmp_eq_u32_e64 s[0:1], 0, v26
	s_orn2_b64 s[14:15], s[0:1], exec
; %bb.110:
	s_or_b64 exec, exec, s[16:17]
	s_and_b64 exec, exec, s[14:15]
	s_cbranch_execz .LBB1393_118
; %bb.111:
	s_add_i32 s14, s8, 16
	s_cmp_le_u32 s9, s14
	s_cselect_b64 s[0:1], -1, 0
	s_and_b64 s[16:17], s[0:1], exec
	s_cselect_b32 s15, 8, 10
	s_nor_b64 s[16:17], s[0:1], vcc
	v_mov_b32_e32 v26, s15
	s_and_saveexec_b64 s[0:1], s[16:17]
	s_cbranch_execz .LBB1393_113
; %bb.112:
	s_sub_i32 s15, s9, s14
	s_min_u32 s15, s15, 8
	v_lshrrev_b32_e32 v26, s14, v25
	v_bfe_u32 v26, v26, 0, s15
	v_lshlrev_b32_e32 v27, 2, v3
	v_lshl_or_b32 v26, v26, 4, v27
	v_mov_b32_e32 v27, 1
	ds_add_u32 v26, v27 offset:8192
	v_mov_b32_e32 v26, 0
.LBB1393_113:
	s_or_b64 exec, exec, s[0:1]
	v_cmp_gt_i32_e64 s[0:1], 10, v26
	s_mov_b64 s[14:15], -1
	s_and_saveexec_b64 s[16:17], s[0:1]
; %bb.114:
	v_cmp_eq_u32_e64 s[0:1], 0, v26
	s_orn2_b64 s[14:15], s[0:1], exec
; %bb.115:
	s_or_b64 exec, exec, s[16:17]
	s_and_b64 exec, exec, s[14:15]
	s_cbranch_execz .LBB1393_118
; %bb.116:
	s_add_i32 s0, s8, 24
	s_cmp_gt_u32 s9, s0
	s_cselect_b64 s[14:15], -1, 0
	s_xor_b64 s[16:17], vcc, -1
	s_and_b64 s[14:15], s[14:15], s[16:17]
	s_and_b64 exec, exec, s[14:15]
	s_cbranch_execz .LBB1393_118
; %bb.117:
	s_sub_i32 s1, s9, s0
	s_min_u32 s1, s1, 8
	v_lshrrev_b32_e32 v25, s0, v25
	v_bfe_u32 v25, v25, 0, s1
	v_lshlrev_b32_e32 v26, 2, v3
	v_lshl_or_b32 v25, v25, 4, v26
	v_mov_b32_e32 v26, 1
	ds_add_u32 v25, v26 offset:12288
.LBB1393_118:
	s_or_b64 exec, exec, s[12:13]
	v_cmp_le_u32_e32 vcc, s11, v24
	s_nor_b64 s[12:13], s[2:3], vcc
	v_mov_b32_e32 v24, s18
	s_and_saveexec_b64 s[0:1], s[12:13]
	s_cbranch_execz .LBB1393_120
; %bb.119:
	s_sub_i32 s12, s9, s8
	s_min_u32 s12, s12, 8
	v_lshrrev_b32_e32 v24, s8, v23
	v_bfe_u32 v24, v24, 0, s12
	v_lshlrev_b32_e32 v25, 2, v3
	v_lshl_or_b32 v24, v24, 4, v25
	v_mov_b32_e32 v25, 1
	ds_add_u32 v24, v25
	v_mov_b32_e32 v24, 0
.LBB1393_120:
	s_or_b64 exec, exec, s[0:1]
	v_cmp_gt_i32_e64 s[0:1], 10, v24
	s_mov_b64 s[14:15], -1
	s_and_saveexec_b64 s[12:13], s[0:1]
; %bb.121:
	v_cmp_eq_u32_e64 s[0:1], 0, v24
	s_orn2_b64 s[14:15], s[0:1], exec
; %bb.122:
	s_or_b64 exec, exec, s[12:13]
	s_and_saveexec_b64 s[12:13], s[14:15]
	s_cbranch_execz .LBB1393_135
; %bb.123:
	s_add_i32 s14, s8, 8
	s_cmp_le_u32 s9, s14
	s_cselect_b64 s[0:1], -1, 0
	s_and_b64 s[16:17], s[0:1], exec
	s_cselect_b32 s15, 8, 10
	s_nor_b64 s[16:17], s[0:1], vcc
	v_mov_b32_e32 v24, s15
	s_and_saveexec_b64 s[0:1], s[16:17]
	s_cbranch_execz .LBB1393_125
; %bb.124:
	s_sub_i32 s15, s9, s14
	s_min_u32 s15, s15, 8
	v_lshrrev_b32_e32 v24, s14, v23
	v_bfe_u32 v24, v24, 0, s15
	v_lshlrev_b32_e32 v25, 2, v3
	v_lshl_or_b32 v24, v24, 4, v25
	v_mov_b32_e32 v25, 1
	ds_add_u32 v24, v25 offset:4096
	v_mov_b32_e32 v24, 0
.LBB1393_125:
	s_or_b64 exec, exec, s[0:1]
	v_cmp_gt_i32_e64 s[0:1], 10, v24
	s_mov_b64 s[14:15], -1
	s_and_saveexec_b64 s[16:17], s[0:1]
; %bb.126:
	v_cmp_eq_u32_e64 s[0:1], 0, v24
	s_orn2_b64 s[14:15], s[0:1], exec
; %bb.127:
	s_or_b64 exec, exec, s[16:17]
	s_and_b64 exec, exec, s[14:15]
	s_cbranch_execz .LBB1393_135
; %bb.128:
	s_add_i32 s14, s8, 16
	s_cmp_le_u32 s9, s14
	s_cselect_b64 s[0:1], -1, 0
	s_and_b64 s[16:17], s[0:1], exec
	s_cselect_b32 s15, 8, 10
	s_nor_b64 s[16:17], s[0:1], vcc
	v_mov_b32_e32 v24, s15
	s_and_saveexec_b64 s[0:1], s[16:17]
	s_cbranch_execz .LBB1393_130
; %bb.129:
	s_sub_i32 s15, s9, s14
	s_min_u32 s15, s15, 8
	v_lshrrev_b32_e32 v24, s14, v23
	v_bfe_u32 v24, v24, 0, s15
	v_lshlrev_b32_e32 v25, 2, v3
	v_lshl_or_b32 v24, v24, 4, v25
	v_mov_b32_e32 v25, 1
	ds_add_u32 v24, v25 offset:8192
	v_mov_b32_e32 v24, 0
.LBB1393_130:
	s_or_b64 exec, exec, s[0:1]
	v_cmp_gt_i32_e64 s[0:1], 10, v24
	s_mov_b64 s[14:15], -1
	s_and_saveexec_b64 s[16:17], s[0:1]
; %bb.131:
	v_cmp_eq_u32_e64 s[0:1], 0, v24
	s_orn2_b64 s[14:15], s[0:1], exec
; %bb.132:
	s_or_b64 exec, exec, s[16:17]
	s_and_b64 exec, exec, s[14:15]
	s_cbranch_execz .LBB1393_135
; %bb.133:
	s_add_i32 s0, s8, 24
	s_cmp_gt_u32 s9, s0
	s_cselect_b64 s[14:15], -1, 0
	s_xor_b64 s[16:17], vcc, -1
	s_and_b64 s[14:15], s[14:15], s[16:17]
	s_and_b64 exec, exec, s[14:15]
	s_cbranch_execz .LBB1393_135
; %bb.134:
	s_sub_i32 s1, s9, s0
	s_min_u32 s1, s1, 8
	v_lshrrev_b32_e32 v23, s0, v23
	v_bfe_u32 v23, v23, 0, s1
	v_lshlrev_b32_e32 v24, 2, v3
	v_lshl_or_b32 v23, v23, 4, v24
	v_mov_b32_e32 v24, 1
	ds_add_u32 v23, v24 offset:12288
.LBB1393_135:
	s_or_b64 exec, exec, s[12:13]
	v_cmp_le_u32_e32 vcc, s11, v22
	s_nor_b64 s[12:13], s[2:3], vcc
	v_mov_b32_e32 v22, s18
	s_and_saveexec_b64 s[0:1], s[12:13]
	s_cbranch_execz .LBB1393_137
; %bb.136:
	s_sub_i32 s12, s9, s8
	s_min_u32 s12, s12, 8
	v_lshrrev_b32_e32 v22, s8, v21
	v_bfe_u32 v22, v22, 0, s12
	v_lshlrev_b32_e32 v23, 2, v3
	v_lshl_or_b32 v22, v22, 4, v23
	v_mov_b32_e32 v23, 1
	ds_add_u32 v22, v23
	v_mov_b32_e32 v22, 0
.LBB1393_137:
	s_or_b64 exec, exec, s[0:1]
	v_cmp_gt_i32_e64 s[0:1], 10, v22
	s_mov_b64 s[14:15], -1
	s_and_saveexec_b64 s[12:13], s[0:1]
; %bb.138:
	v_cmp_eq_u32_e64 s[0:1], 0, v22
	s_orn2_b64 s[14:15], s[0:1], exec
; %bb.139:
	s_or_b64 exec, exec, s[12:13]
	s_and_saveexec_b64 s[12:13], s[14:15]
	s_cbranch_execz .LBB1393_152
; %bb.140:
	s_add_i32 s14, s8, 8
	s_cmp_le_u32 s9, s14
	s_cselect_b64 s[0:1], -1, 0
	s_and_b64 s[16:17], s[0:1], exec
	s_cselect_b32 s15, 8, 10
	s_nor_b64 s[16:17], s[0:1], vcc
	v_mov_b32_e32 v22, s15
	s_and_saveexec_b64 s[0:1], s[16:17]
	s_cbranch_execz .LBB1393_142
; %bb.141:
	s_sub_i32 s15, s9, s14
	s_min_u32 s15, s15, 8
	v_lshrrev_b32_e32 v22, s14, v21
	v_bfe_u32 v22, v22, 0, s15
	v_lshlrev_b32_e32 v23, 2, v3
	v_lshl_or_b32 v22, v22, 4, v23
	v_mov_b32_e32 v23, 1
	ds_add_u32 v22, v23 offset:4096
	v_mov_b32_e32 v22, 0
.LBB1393_142:
	s_or_b64 exec, exec, s[0:1]
	v_cmp_gt_i32_e64 s[0:1], 10, v22
	s_mov_b64 s[14:15], -1
	s_and_saveexec_b64 s[16:17], s[0:1]
; %bb.143:
	v_cmp_eq_u32_e64 s[0:1], 0, v22
	s_orn2_b64 s[14:15], s[0:1], exec
; %bb.144:
	s_or_b64 exec, exec, s[16:17]
	s_and_b64 exec, exec, s[14:15]
	s_cbranch_execz .LBB1393_152
; %bb.145:
	s_add_i32 s14, s8, 16
	s_cmp_le_u32 s9, s14
	s_cselect_b64 s[0:1], -1, 0
	s_and_b64 s[16:17], s[0:1], exec
	s_cselect_b32 s15, 8, 10
	s_nor_b64 s[16:17], s[0:1], vcc
	v_mov_b32_e32 v22, s15
	s_and_saveexec_b64 s[0:1], s[16:17]
	s_cbranch_execz .LBB1393_147
; %bb.146:
	s_sub_i32 s15, s9, s14
	s_min_u32 s15, s15, 8
	v_lshrrev_b32_e32 v22, s14, v21
	v_bfe_u32 v22, v22, 0, s15
	v_lshlrev_b32_e32 v23, 2, v3
	v_lshl_or_b32 v22, v22, 4, v23
	v_mov_b32_e32 v23, 1
	ds_add_u32 v22, v23 offset:8192
	v_mov_b32_e32 v22, 0
.LBB1393_147:
	s_or_b64 exec, exec, s[0:1]
	v_cmp_gt_i32_e64 s[0:1], 10, v22
	s_mov_b64 s[14:15], -1
	s_and_saveexec_b64 s[16:17], s[0:1]
; %bb.148:
	v_cmp_eq_u32_e64 s[0:1], 0, v22
	s_orn2_b64 s[14:15], s[0:1], exec
; %bb.149:
	s_or_b64 exec, exec, s[16:17]
	s_and_b64 exec, exec, s[14:15]
	s_cbranch_execz .LBB1393_152
; %bb.150:
	s_add_i32 s0, s8, 24
	s_cmp_gt_u32 s9, s0
	s_cselect_b64 s[14:15], -1, 0
	s_xor_b64 s[16:17], vcc, -1
	s_and_b64 s[14:15], s[14:15], s[16:17]
	s_and_b64 exec, exec, s[14:15]
	s_cbranch_execz .LBB1393_152
; %bb.151:
	s_sub_i32 s1, s9, s0
	s_min_u32 s1, s1, 8
	v_lshrrev_b32_e32 v21, s0, v21
	v_bfe_u32 v21, v21, 0, s1
	v_lshlrev_b32_e32 v22, 2, v3
	v_lshl_or_b32 v21, v21, 4, v22
	v_mov_b32_e32 v22, 1
	ds_add_u32 v21, v22 offset:12288
.LBB1393_152:
	s_or_b64 exec, exec, s[12:13]
	v_cmp_le_u32_e32 vcc, s11, v20
	s_nor_b64 s[12:13], s[2:3], vcc
	v_mov_b32_e32 v20, s18
	s_and_saveexec_b64 s[0:1], s[12:13]
	s_cbranch_execz .LBB1393_154
; %bb.153:
	s_sub_i32 s12, s9, s8
	s_min_u32 s12, s12, 8
	v_lshrrev_b32_e32 v20, s8, v19
	v_bfe_u32 v20, v20, 0, s12
	v_lshlrev_b32_e32 v21, 2, v3
	v_lshl_or_b32 v20, v20, 4, v21
	v_mov_b32_e32 v21, 1
	ds_add_u32 v20, v21
	v_mov_b32_e32 v20, 0
.LBB1393_154:
	s_or_b64 exec, exec, s[0:1]
	v_cmp_gt_i32_e64 s[0:1], 10, v20
	s_mov_b64 s[14:15], -1
	s_and_saveexec_b64 s[12:13], s[0:1]
; %bb.155:
	v_cmp_eq_u32_e64 s[0:1], 0, v20
	s_orn2_b64 s[14:15], s[0:1], exec
; %bb.156:
	s_or_b64 exec, exec, s[12:13]
	s_and_saveexec_b64 s[12:13], s[14:15]
	s_cbranch_execz .LBB1393_169
; %bb.157:
	s_add_i32 s14, s8, 8
	s_cmp_le_u32 s9, s14
	s_cselect_b64 s[0:1], -1, 0
	s_and_b64 s[16:17], s[0:1], exec
	s_cselect_b32 s15, 8, 10
	s_nor_b64 s[16:17], s[0:1], vcc
	v_mov_b32_e32 v20, s15
	s_and_saveexec_b64 s[0:1], s[16:17]
	s_cbranch_execz .LBB1393_159
; %bb.158:
	s_sub_i32 s15, s9, s14
	s_min_u32 s15, s15, 8
	v_lshrrev_b32_e32 v20, s14, v19
	v_bfe_u32 v20, v20, 0, s15
	v_lshlrev_b32_e32 v21, 2, v3
	v_lshl_or_b32 v20, v20, 4, v21
	v_mov_b32_e32 v21, 1
	ds_add_u32 v20, v21 offset:4096
	v_mov_b32_e32 v20, 0
.LBB1393_159:
	s_or_b64 exec, exec, s[0:1]
	v_cmp_gt_i32_e64 s[0:1], 10, v20
	s_mov_b64 s[14:15], -1
	s_and_saveexec_b64 s[16:17], s[0:1]
; %bb.160:
	v_cmp_eq_u32_e64 s[0:1], 0, v20
	s_orn2_b64 s[14:15], s[0:1], exec
; %bb.161:
	s_or_b64 exec, exec, s[16:17]
	s_and_b64 exec, exec, s[14:15]
	s_cbranch_execz .LBB1393_169
; %bb.162:
	s_add_i32 s14, s8, 16
	s_cmp_le_u32 s9, s14
	s_cselect_b64 s[0:1], -1, 0
	s_and_b64 s[16:17], s[0:1], exec
	s_cselect_b32 s15, 8, 10
	s_nor_b64 s[16:17], s[0:1], vcc
	v_mov_b32_e32 v20, s15
	s_and_saveexec_b64 s[0:1], s[16:17]
	s_cbranch_execz .LBB1393_164
; %bb.163:
	s_sub_i32 s15, s9, s14
	s_min_u32 s15, s15, 8
	v_lshrrev_b32_e32 v20, s14, v19
	v_bfe_u32 v20, v20, 0, s15
	v_lshlrev_b32_e32 v21, 2, v3
	v_lshl_or_b32 v20, v20, 4, v21
	v_mov_b32_e32 v21, 1
	ds_add_u32 v20, v21 offset:8192
	v_mov_b32_e32 v20, 0
.LBB1393_164:
	s_or_b64 exec, exec, s[0:1]
	v_cmp_gt_i32_e64 s[0:1], 10, v20
	s_mov_b64 s[14:15], -1
	s_and_saveexec_b64 s[16:17], s[0:1]
; %bb.165:
	v_cmp_eq_u32_e64 s[0:1], 0, v20
	s_orn2_b64 s[14:15], s[0:1], exec
; %bb.166:
	s_or_b64 exec, exec, s[16:17]
	s_and_b64 exec, exec, s[14:15]
	s_cbranch_execz .LBB1393_169
; %bb.167:
	s_add_i32 s0, s8, 24
	s_cmp_gt_u32 s9, s0
	s_cselect_b64 s[14:15], -1, 0
	s_xor_b64 s[16:17], vcc, -1
	s_and_b64 s[14:15], s[14:15], s[16:17]
	s_and_b64 exec, exec, s[14:15]
	s_cbranch_execz .LBB1393_169
; %bb.168:
	s_sub_i32 s1, s9, s0
	s_min_u32 s1, s1, 8
	v_lshrrev_b32_e32 v19, s0, v19
	v_bfe_u32 v19, v19, 0, s1
	v_lshlrev_b32_e32 v20, 2, v3
	v_lshl_or_b32 v19, v19, 4, v20
	v_mov_b32_e32 v20, 1
	ds_add_u32 v19, v20 offset:12288
.LBB1393_169:
	s_or_b64 exec, exec, s[12:13]
	v_cmp_le_u32_e32 vcc, s11, v18
	s_nor_b64 s[12:13], s[2:3], vcc
	v_mov_b32_e32 v18, s18
	s_and_saveexec_b64 s[0:1], s[12:13]
	s_cbranch_execz .LBB1393_171
; %bb.170:
	s_sub_i32 s12, s9, s8
	s_min_u32 s12, s12, 8
	v_lshrrev_b32_e32 v18, s8, v17
	v_bfe_u32 v18, v18, 0, s12
	v_lshlrev_b32_e32 v19, 2, v3
	v_lshl_or_b32 v18, v18, 4, v19
	v_mov_b32_e32 v19, 1
	ds_add_u32 v18, v19
	v_mov_b32_e32 v18, 0
.LBB1393_171:
	s_or_b64 exec, exec, s[0:1]
	v_cmp_gt_i32_e64 s[0:1], 10, v18
	s_mov_b64 s[14:15], -1
	s_and_saveexec_b64 s[12:13], s[0:1]
; %bb.172:
	v_cmp_eq_u32_e64 s[0:1], 0, v18
	s_orn2_b64 s[14:15], s[0:1], exec
; %bb.173:
	s_or_b64 exec, exec, s[12:13]
	s_and_saveexec_b64 s[12:13], s[14:15]
	s_cbranch_execz .LBB1393_186
; %bb.174:
	s_add_i32 s14, s8, 8
	s_cmp_le_u32 s9, s14
	s_cselect_b64 s[0:1], -1, 0
	s_and_b64 s[16:17], s[0:1], exec
	s_cselect_b32 s15, 8, 10
	s_nor_b64 s[16:17], s[0:1], vcc
	v_mov_b32_e32 v18, s15
	s_and_saveexec_b64 s[0:1], s[16:17]
	s_cbranch_execz .LBB1393_176
; %bb.175:
	s_sub_i32 s15, s9, s14
	s_min_u32 s15, s15, 8
	v_lshrrev_b32_e32 v18, s14, v17
	v_bfe_u32 v18, v18, 0, s15
	v_lshlrev_b32_e32 v19, 2, v3
	v_lshl_or_b32 v18, v18, 4, v19
	v_mov_b32_e32 v19, 1
	ds_add_u32 v18, v19 offset:4096
	v_mov_b32_e32 v18, 0
.LBB1393_176:
	s_or_b64 exec, exec, s[0:1]
	v_cmp_gt_i32_e64 s[0:1], 10, v18
	s_mov_b64 s[14:15], -1
	s_and_saveexec_b64 s[16:17], s[0:1]
; %bb.177:
	v_cmp_eq_u32_e64 s[0:1], 0, v18
	s_orn2_b64 s[14:15], s[0:1], exec
; %bb.178:
	s_or_b64 exec, exec, s[16:17]
	s_and_b64 exec, exec, s[14:15]
	s_cbranch_execz .LBB1393_186
; %bb.179:
	s_add_i32 s14, s8, 16
	s_cmp_le_u32 s9, s14
	s_cselect_b64 s[0:1], -1, 0
	s_and_b64 s[16:17], s[0:1], exec
	s_cselect_b32 s15, 8, 10
	s_nor_b64 s[16:17], s[0:1], vcc
	v_mov_b32_e32 v18, s15
	s_and_saveexec_b64 s[0:1], s[16:17]
	s_cbranch_execz .LBB1393_181
; %bb.180:
	s_sub_i32 s15, s9, s14
	s_min_u32 s15, s15, 8
	v_lshrrev_b32_e32 v18, s14, v17
	v_bfe_u32 v18, v18, 0, s15
	v_lshlrev_b32_e32 v19, 2, v3
	v_lshl_or_b32 v18, v18, 4, v19
	v_mov_b32_e32 v19, 1
	ds_add_u32 v18, v19 offset:8192
	v_mov_b32_e32 v18, 0
.LBB1393_181:
	s_or_b64 exec, exec, s[0:1]
	v_cmp_gt_i32_e64 s[0:1], 10, v18
	s_mov_b64 s[14:15], -1
	s_and_saveexec_b64 s[16:17], s[0:1]
; %bb.182:
	v_cmp_eq_u32_e64 s[0:1], 0, v18
	s_orn2_b64 s[14:15], s[0:1], exec
; %bb.183:
	s_or_b64 exec, exec, s[16:17]
	s_and_b64 exec, exec, s[14:15]
	s_cbranch_execz .LBB1393_186
; %bb.184:
	s_add_i32 s0, s8, 24
	s_cmp_gt_u32 s9, s0
	s_cselect_b64 s[14:15], -1, 0
	s_xor_b64 s[16:17], vcc, -1
	s_and_b64 s[14:15], s[14:15], s[16:17]
	s_and_b64 exec, exec, s[14:15]
	s_cbranch_execz .LBB1393_186
; %bb.185:
	s_sub_i32 s1, s9, s0
	s_min_u32 s1, s1, 8
	v_lshrrev_b32_e32 v17, s0, v17
	v_bfe_u32 v17, v17, 0, s1
	v_lshlrev_b32_e32 v18, 2, v3
	v_lshl_or_b32 v17, v17, 4, v18
	v_mov_b32_e32 v18, 1
	ds_add_u32 v17, v18 offset:12288
.LBB1393_186:
	s_or_b64 exec, exec, s[12:13]
	v_cmp_le_u32_e32 vcc, s11, v16
	s_nor_b64 s[12:13], s[2:3], vcc
	v_mov_b32_e32 v16, s18
	s_and_saveexec_b64 s[0:1], s[12:13]
	s_cbranch_execz .LBB1393_188
; %bb.187:
	s_sub_i32 s12, s9, s8
	s_min_u32 s12, s12, 8
	v_lshrrev_b32_e32 v16, s8, v15
	v_bfe_u32 v16, v16, 0, s12
	v_lshlrev_b32_e32 v17, 2, v3
	v_lshl_or_b32 v16, v16, 4, v17
	v_mov_b32_e32 v17, 1
	ds_add_u32 v16, v17
	v_mov_b32_e32 v16, 0
.LBB1393_188:
	s_or_b64 exec, exec, s[0:1]
	v_cmp_gt_i32_e64 s[0:1], 10, v16
	s_mov_b64 s[14:15], -1
	s_and_saveexec_b64 s[12:13], s[0:1]
; %bb.189:
	v_cmp_eq_u32_e64 s[0:1], 0, v16
	s_orn2_b64 s[14:15], s[0:1], exec
; %bb.190:
	s_or_b64 exec, exec, s[12:13]
	s_and_saveexec_b64 s[12:13], s[14:15]
	s_cbranch_execz .LBB1393_203
; %bb.191:
	s_add_i32 s14, s8, 8
	s_cmp_le_u32 s9, s14
	s_cselect_b64 s[0:1], -1, 0
	s_and_b64 s[16:17], s[0:1], exec
	s_cselect_b32 s15, 8, 10
	s_nor_b64 s[16:17], s[0:1], vcc
	v_mov_b32_e32 v16, s15
	s_and_saveexec_b64 s[0:1], s[16:17]
	s_cbranch_execz .LBB1393_193
; %bb.192:
	s_sub_i32 s15, s9, s14
	s_min_u32 s15, s15, 8
	v_lshrrev_b32_e32 v16, s14, v15
	v_bfe_u32 v16, v16, 0, s15
	v_lshlrev_b32_e32 v17, 2, v3
	v_lshl_or_b32 v16, v16, 4, v17
	v_mov_b32_e32 v17, 1
	ds_add_u32 v16, v17 offset:4096
	v_mov_b32_e32 v16, 0
.LBB1393_193:
	s_or_b64 exec, exec, s[0:1]
	v_cmp_gt_i32_e64 s[0:1], 10, v16
	s_mov_b64 s[14:15], -1
	s_and_saveexec_b64 s[16:17], s[0:1]
; %bb.194:
	v_cmp_eq_u32_e64 s[0:1], 0, v16
	s_orn2_b64 s[14:15], s[0:1], exec
; %bb.195:
	s_or_b64 exec, exec, s[16:17]
	s_and_b64 exec, exec, s[14:15]
	s_cbranch_execz .LBB1393_203
; %bb.196:
	s_add_i32 s14, s8, 16
	s_cmp_le_u32 s9, s14
	s_cselect_b64 s[0:1], -1, 0
	s_and_b64 s[16:17], s[0:1], exec
	s_cselect_b32 s15, 8, 10
	s_nor_b64 s[16:17], s[0:1], vcc
	v_mov_b32_e32 v16, s15
	s_and_saveexec_b64 s[0:1], s[16:17]
	s_cbranch_execz .LBB1393_198
; %bb.197:
	s_sub_i32 s15, s9, s14
	s_min_u32 s15, s15, 8
	v_lshrrev_b32_e32 v16, s14, v15
	v_bfe_u32 v16, v16, 0, s15
	v_lshlrev_b32_e32 v17, 2, v3
	v_lshl_or_b32 v16, v16, 4, v17
	v_mov_b32_e32 v17, 1
	ds_add_u32 v16, v17 offset:8192
	v_mov_b32_e32 v16, 0
.LBB1393_198:
	s_or_b64 exec, exec, s[0:1]
	v_cmp_gt_i32_e64 s[0:1], 10, v16
	s_mov_b64 s[14:15], -1
	s_and_saveexec_b64 s[16:17], s[0:1]
; %bb.199:
	v_cmp_eq_u32_e64 s[0:1], 0, v16
	s_orn2_b64 s[14:15], s[0:1], exec
; %bb.200:
	s_or_b64 exec, exec, s[16:17]
	s_and_b64 exec, exec, s[14:15]
	s_cbranch_execz .LBB1393_203
; %bb.201:
	s_add_i32 s0, s8, 24
	s_cmp_gt_u32 s9, s0
	s_cselect_b64 s[14:15], -1, 0
	s_xor_b64 s[16:17], vcc, -1
	s_and_b64 s[14:15], s[14:15], s[16:17]
	s_and_b64 exec, exec, s[14:15]
	s_cbranch_execz .LBB1393_203
; %bb.202:
	s_sub_i32 s1, s9, s0
	s_min_u32 s1, s1, 8
	v_lshrrev_b32_e32 v15, s0, v15
	v_bfe_u32 v15, v15, 0, s1
	v_lshlrev_b32_e32 v16, 2, v3
	v_lshl_or_b32 v15, v15, 4, v16
	v_mov_b32_e32 v16, 1
	ds_add_u32 v15, v16 offset:12288
.LBB1393_203:
	s_or_b64 exec, exec, s[12:13]
	v_cmp_le_u32_e32 vcc, s11, v14
	s_nor_b64 s[12:13], s[2:3], vcc
	v_mov_b32_e32 v14, s18
	s_and_saveexec_b64 s[0:1], s[12:13]
	s_cbranch_execz .LBB1393_205
; %bb.204:
	s_sub_i32 s12, s9, s8
	s_min_u32 s12, s12, 8
	v_lshrrev_b32_e32 v14, s8, v13
	v_bfe_u32 v14, v14, 0, s12
	v_lshlrev_b32_e32 v15, 2, v3
	v_lshl_or_b32 v14, v14, 4, v15
	v_mov_b32_e32 v15, 1
	ds_add_u32 v14, v15
	v_mov_b32_e32 v14, 0
.LBB1393_205:
	s_or_b64 exec, exec, s[0:1]
	v_cmp_gt_i32_e64 s[0:1], 10, v14
	s_mov_b64 s[14:15], -1
	s_and_saveexec_b64 s[12:13], s[0:1]
; %bb.206:
	v_cmp_eq_u32_e64 s[0:1], 0, v14
	s_orn2_b64 s[14:15], s[0:1], exec
; %bb.207:
	s_or_b64 exec, exec, s[12:13]
	s_and_saveexec_b64 s[12:13], s[14:15]
	s_cbranch_execz .LBB1393_220
; %bb.208:
	s_add_i32 s14, s8, 8
	s_cmp_le_u32 s9, s14
	s_cselect_b64 s[0:1], -1, 0
	s_and_b64 s[16:17], s[0:1], exec
	s_cselect_b32 s15, 8, 10
	s_nor_b64 s[16:17], s[0:1], vcc
	v_mov_b32_e32 v14, s15
	s_and_saveexec_b64 s[0:1], s[16:17]
	s_cbranch_execz .LBB1393_210
; %bb.209:
	s_sub_i32 s15, s9, s14
	s_min_u32 s15, s15, 8
	v_lshrrev_b32_e32 v14, s14, v13
	v_bfe_u32 v14, v14, 0, s15
	v_lshlrev_b32_e32 v15, 2, v3
	v_lshl_or_b32 v14, v14, 4, v15
	v_mov_b32_e32 v15, 1
	ds_add_u32 v14, v15 offset:4096
	v_mov_b32_e32 v14, 0
.LBB1393_210:
	s_or_b64 exec, exec, s[0:1]
	v_cmp_gt_i32_e64 s[0:1], 10, v14
	s_mov_b64 s[14:15], -1
	s_and_saveexec_b64 s[16:17], s[0:1]
; %bb.211:
	v_cmp_eq_u32_e64 s[0:1], 0, v14
	s_orn2_b64 s[14:15], s[0:1], exec
; %bb.212:
	s_or_b64 exec, exec, s[16:17]
	s_and_b64 exec, exec, s[14:15]
	s_cbranch_execz .LBB1393_220
; %bb.213:
	s_add_i32 s14, s8, 16
	s_cmp_le_u32 s9, s14
	s_cselect_b64 s[0:1], -1, 0
	s_and_b64 s[16:17], s[0:1], exec
	s_cselect_b32 s15, 8, 10
	s_nor_b64 s[16:17], s[0:1], vcc
	v_mov_b32_e32 v14, s15
	s_and_saveexec_b64 s[0:1], s[16:17]
	s_cbranch_execz .LBB1393_215
; %bb.214:
	s_sub_i32 s15, s9, s14
	s_min_u32 s15, s15, 8
	v_lshrrev_b32_e32 v14, s14, v13
	v_bfe_u32 v14, v14, 0, s15
	v_lshlrev_b32_e32 v15, 2, v3
	v_lshl_or_b32 v14, v14, 4, v15
	v_mov_b32_e32 v15, 1
	ds_add_u32 v14, v15 offset:8192
	v_mov_b32_e32 v14, 0
.LBB1393_215:
	s_or_b64 exec, exec, s[0:1]
	v_cmp_gt_i32_e64 s[0:1], 10, v14
	s_mov_b64 s[14:15], -1
	s_and_saveexec_b64 s[16:17], s[0:1]
; %bb.216:
	v_cmp_eq_u32_e64 s[0:1], 0, v14
	s_orn2_b64 s[14:15], s[0:1], exec
; %bb.217:
	s_or_b64 exec, exec, s[16:17]
	s_and_b64 exec, exec, s[14:15]
	s_cbranch_execz .LBB1393_220
; %bb.218:
	s_add_i32 s0, s8, 24
	s_cmp_gt_u32 s9, s0
	s_cselect_b64 s[14:15], -1, 0
	s_xor_b64 s[16:17], vcc, -1
	s_and_b64 s[14:15], s[14:15], s[16:17]
	s_and_b64 exec, exec, s[14:15]
	s_cbranch_execz .LBB1393_220
; %bb.219:
	s_sub_i32 s1, s9, s0
	s_min_u32 s1, s1, 8
	v_lshrrev_b32_e32 v13, s0, v13
	v_bfe_u32 v13, v13, 0, s1
	v_lshlrev_b32_e32 v14, 2, v3
	v_lshl_or_b32 v13, v13, 4, v14
	v_mov_b32_e32 v14, 1
	ds_add_u32 v13, v14 offset:12288
.LBB1393_220:
	s_or_b64 exec, exec, s[12:13]
	v_cmp_le_u32_e32 vcc, s11, v12
	s_nor_b64 s[12:13], s[2:3], vcc
	v_mov_b32_e32 v12, s18
	s_and_saveexec_b64 s[0:1], s[12:13]
	s_cbranch_execz .LBB1393_222
; %bb.221:
	s_sub_i32 s12, s9, s8
	s_min_u32 s12, s12, 8
	v_lshrrev_b32_e32 v12, s8, v11
	v_bfe_u32 v12, v12, 0, s12
	v_lshlrev_b32_e32 v13, 2, v3
	v_lshl_or_b32 v12, v12, 4, v13
	v_mov_b32_e32 v13, 1
	ds_add_u32 v12, v13
	v_mov_b32_e32 v12, 0
.LBB1393_222:
	s_or_b64 exec, exec, s[0:1]
	v_cmp_gt_i32_e64 s[0:1], 10, v12
	s_mov_b64 s[14:15], -1
	s_and_saveexec_b64 s[12:13], s[0:1]
; %bb.223:
	v_cmp_eq_u32_e64 s[0:1], 0, v12
	s_orn2_b64 s[14:15], s[0:1], exec
; %bb.224:
	s_or_b64 exec, exec, s[12:13]
	s_and_saveexec_b64 s[12:13], s[14:15]
	s_cbranch_execz .LBB1393_237
; %bb.225:
	s_add_i32 s14, s8, 8
	s_cmp_le_u32 s9, s14
	s_cselect_b64 s[0:1], -1, 0
	s_and_b64 s[16:17], s[0:1], exec
	s_cselect_b32 s15, 8, 10
	s_nor_b64 s[16:17], s[0:1], vcc
	v_mov_b32_e32 v12, s15
	s_and_saveexec_b64 s[0:1], s[16:17]
	s_cbranch_execz .LBB1393_227
; %bb.226:
	s_sub_i32 s15, s9, s14
	s_min_u32 s15, s15, 8
	v_lshrrev_b32_e32 v12, s14, v11
	v_bfe_u32 v12, v12, 0, s15
	v_lshlrev_b32_e32 v13, 2, v3
	v_lshl_or_b32 v12, v12, 4, v13
	v_mov_b32_e32 v13, 1
	ds_add_u32 v12, v13 offset:4096
	v_mov_b32_e32 v12, 0
.LBB1393_227:
	s_or_b64 exec, exec, s[0:1]
	v_cmp_gt_i32_e64 s[0:1], 10, v12
	s_mov_b64 s[14:15], -1
	s_and_saveexec_b64 s[16:17], s[0:1]
; %bb.228:
	v_cmp_eq_u32_e64 s[0:1], 0, v12
	s_orn2_b64 s[14:15], s[0:1], exec
; %bb.229:
	s_or_b64 exec, exec, s[16:17]
	s_and_b64 exec, exec, s[14:15]
	s_cbranch_execz .LBB1393_237
; %bb.230:
	s_add_i32 s14, s8, 16
	s_cmp_le_u32 s9, s14
	s_cselect_b64 s[0:1], -1, 0
	s_and_b64 s[16:17], s[0:1], exec
	s_cselect_b32 s15, 8, 10
	s_nor_b64 s[16:17], s[0:1], vcc
	v_mov_b32_e32 v12, s15
	s_and_saveexec_b64 s[0:1], s[16:17]
	s_cbranch_execz .LBB1393_232
; %bb.231:
	s_sub_i32 s15, s9, s14
	s_min_u32 s15, s15, 8
	v_lshrrev_b32_e32 v12, s14, v11
	v_bfe_u32 v12, v12, 0, s15
	v_lshlrev_b32_e32 v13, 2, v3
	v_lshl_or_b32 v12, v12, 4, v13
	v_mov_b32_e32 v13, 1
	ds_add_u32 v12, v13 offset:8192
	v_mov_b32_e32 v12, 0
.LBB1393_232:
	s_or_b64 exec, exec, s[0:1]
	v_cmp_gt_i32_e64 s[0:1], 10, v12
	s_mov_b64 s[14:15], -1
	s_and_saveexec_b64 s[16:17], s[0:1]
; %bb.233:
	v_cmp_eq_u32_e64 s[0:1], 0, v12
	s_orn2_b64 s[14:15], s[0:1], exec
; %bb.234:
	s_or_b64 exec, exec, s[16:17]
	s_and_b64 exec, exec, s[14:15]
	s_cbranch_execz .LBB1393_237
; %bb.235:
	s_add_i32 s0, s8, 24
	s_cmp_gt_u32 s9, s0
	s_cselect_b64 s[14:15], -1, 0
	s_xor_b64 s[16:17], vcc, -1
	s_and_b64 s[14:15], s[14:15], s[16:17]
	s_and_b64 exec, exec, s[14:15]
	s_cbranch_execz .LBB1393_237
; %bb.236:
	s_sub_i32 s1, s9, s0
	s_min_u32 s1, s1, 8
	v_lshrrev_b32_e32 v11, s0, v11
	v_bfe_u32 v11, v11, 0, s1
	v_lshlrev_b32_e32 v12, 2, v3
	v_lshl_or_b32 v11, v11, 4, v12
	v_mov_b32_e32 v12, 1
	ds_add_u32 v11, v12 offset:12288
.LBB1393_237:
	s_or_b64 exec, exec, s[12:13]
	v_cmp_le_u32_e32 vcc, s11, v10
	s_nor_b64 s[12:13], s[2:3], vcc
	v_mov_b32_e32 v10, s18
	s_and_saveexec_b64 s[0:1], s[12:13]
	s_cbranch_execz .LBB1393_239
; %bb.238:
	s_sub_i32 s12, s9, s8
	s_min_u32 s12, s12, 8
	v_lshrrev_b32_e32 v10, s8, v9
	v_bfe_u32 v10, v10, 0, s12
	v_lshlrev_b32_e32 v11, 2, v3
	v_lshl_or_b32 v10, v10, 4, v11
	v_mov_b32_e32 v11, 1
	ds_add_u32 v10, v11
	v_mov_b32_e32 v10, 0
.LBB1393_239:
	s_or_b64 exec, exec, s[0:1]
	v_cmp_gt_i32_e64 s[0:1], 10, v10
	s_mov_b64 s[14:15], -1
	s_and_saveexec_b64 s[12:13], s[0:1]
; %bb.240:
	v_cmp_eq_u32_e64 s[0:1], 0, v10
	s_orn2_b64 s[14:15], s[0:1], exec
; %bb.241:
	s_or_b64 exec, exec, s[12:13]
	s_and_saveexec_b64 s[12:13], s[14:15]
	s_cbranch_execz .LBB1393_254
; %bb.242:
	s_add_i32 s14, s8, 8
	s_cmp_le_u32 s9, s14
	s_cselect_b64 s[0:1], -1, 0
	s_and_b64 s[16:17], s[0:1], exec
	s_cselect_b32 s15, 8, 10
	s_nor_b64 s[16:17], s[0:1], vcc
	v_mov_b32_e32 v10, s15
	s_and_saveexec_b64 s[0:1], s[16:17]
	s_cbranch_execz .LBB1393_244
; %bb.243:
	s_sub_i32 s15, s9, s14
	s_min_u32 s15, s15, 8
	v_lshrrev_b32_e32 v10, s14, v9
	v_bfe_u32 v10, v10, 0, s15
	v_lshlrev_b32_e32 v11, 2, v3
	v_lshl_or_b32 v10, v10, 4, v11
	v_mov_b32_e32 v11, 1
	ds_add_u32 v10, v11 offset:4096
	v_mov_b32_e32 v10, 0
.LBB1393_244:
	s_or_b64 exec, exec, s[0:1]
	v_cmp_gt_i32_e64 s[0:1], 10, v10
	s_mov_b64 s[14:15], -1
	s_and_saveexec_b64 s[16:17], s[0:1]
; %bb.245:
	v_cmp_eq_u32_e64 s[0:1], 0, v10
	s_orn2_b64 s[14:15], s[0:1], exec
; %bb.246:
	s_or_b64 exec, exec, s[16:17]
	s_and_b64 exec, exec, s[14:15]
	s_cbranch_execz .LBB1393_254
; %bb.247:
	s_add_i32 s14, s8, 16
	s_cmp_le_u32 s9, s14
	s_cselect_b64 s[0:1], -1, 0
	s_and_b64 s[16:17], s[0:1], exec
	s_cselect_b32 s15, 8, 10
	s_nor_b64 s[16:17], s[0:1], vcc
	v_mov_b32_e32 v10, s15
	s_and_saveexec_b64 s[0:1], s[16:17]
	s_cbranch_execz .LBB1393_249
; %bb.248:
	s_sub_i32 s15, s9, s14
	s_min_u32 s15, s15, 8
	v_lshrrev_b32_e32 v10, s14, v9
	v_bfe_u32 v10, v10, 0, s15
	v_lshlrev_b32_e32 v11, 2, v3
	v_lshl_or_b32 v10, v10, 4, v11
	v_mov_b32_e32 v11, 1
	ds_add_u32 v10, v11 offset:8192
	v_mov_b32_e32 v10, 0
.LBB1393_249:
	s_or_b64 exec, exec, s[0:1]
	v_cmp_gt_i32_e64 s[0:1], 10, v10
	s_mov_b64 s[14:15], -1
	s_and_saveexec_b64 s[16:17], s[0:1]
; %bb.250:
	v_cmp_eq_u32_e64 s[0:1], 0, v10
	s_orn2_b64 s[14:15], s[0:1], exec
; %bb.251:
	s_or_b64 exec, exec, s[16:17]
	s_and_b64 exec, exec, s[14:15]
	s_cbranch_execz .LBB1393_254
; %bb.252:
	s_add_i32 s0, s8, 24
	s_cmp_gt_u32 s9, s0
	s_cselect_b64 s[14:15], -1, 0
	s_xor_b64 s[16:17], vcc, -1
	s_and_b64 s[14:15], s[14:15], s[16:17]
	s_and_b64 exec, exec, s[14:15]
	s_cbranch_execz .LBB1393_254
; %bb.253:
	s_sub_i32 s1, s9, s0
	s_min_u32 s1, s1, 8
	v_lshrrev_b32_e32 v9, s0, v9
	v_bfe_u32 v9, v9, 0, s1
	v_lshlrev_b32_e32 v10, 2, v3
	v_lshl_or_b32 v9, v9, 4, v10
	v_mov_b32_e32 v10, 1
	ds_add_u32 v9, v10 offset:12288
.LBB1393_254:
	s_or_b64 exec, exec, s[12:13]
	v_cmp_le_u32_e32 vcc, s11, v8
	s_nor_b64 s[12:13], s[2:3], vcc
	v_mov_b32_e32 v8, s18
	s_and_saveexec_b64 s[0:1], s[12:13]
	s_cbranch_execz .LBB1393_256
; %bb.255:
	s_sub_i32 s12, s9, s8
	s_min_u32 s12, s12, 8
	v_lshrrev_b32_e32 v8, s8, v7
	v_bfe_u32 v8, v8, 0, s12
	v_lshlrev_b32_e32 v9, 2, v3
	v_lshl_or_b32 v8, v8, 4, v9
	v_mov_b32_e32 v9, 1
	ds_add_u32 v8, v9
	v_mov_b32_e32 v8, 0
.LBB1393_256:
	s_or_b64 exec, exec, s[0:1]
	v_cmp_gt_i32_e64 s[0:1], 10, v8
	s_mov_b64 s[14:15], -1
	s_and_saveexec_b64 s[12:13], s[0:1]
; %bb.257:
	v_cmp_eq_u32_e64 s[0:1], 0, v8
	s_orn2_b64 s[14:15], s[0:1], exec
; %bb.258:
	s_or_b64 exec, exec, s[12:13]
	s_and_saveexec_b64 s[12:13], s[14:15]
	s_cbranch_execz .LBB1393_271
; %bb.259:
	s_add_i32 s14, s8, 8
	s_cmp_le_u32 s9, s14
	s_cselect_b64 s[0:1], -1, 0
	s_and_b64 s[16:17], s[0:1], exec
	s_cselect_b32 s15, 8, 10
	s_nor_b64 s[16:17], s[0:1], vcc
	v_mov_b32_e32 v8, s15
	s_and_saveexec_b64 s[0:1], s[16:17]
	s_cbranch_execz .LBB1393_261
; %bb.260:
	s_sub_i32 s15, s9, s14
	s_min_u32 s15, s15, 8
	v_lshrrev_b32_e32 v8, s14, v7
	v_bfe_u32 v8, v8, 0, s15
	v_lshlrev_b32_e32 v9, 2, v3
	v_lshl_or_b32 v8, v8, 4, v9
	v_mov_b32_e32 v9, 1
	ds_add_u32 v8, v9 offset:4096
	v_mov_b32_e32 v8, 0
.LBB1393_261:
	s_or_b64 exec, exec, s[0:1]
	v_cmp_gt_i32_e64 s[0:1], 10, v8
	s_mov_b64 s[14:15], -1
	s_and_saveexec_b64 s[16:17], s[0:1]
; %bb.262:
	v_cmp_eq_u32_e64 s[0:1], 0, v8
	s_orn2_b64 s[14:15], s[0:1], exec
; %bb.263:
	s_or_b64 exec, exec, s[16:17]
	s_and_b64 exec, exec, s[14:15]
	s_cbranch_execz .LBB1393_271
; %bb.264:
	s_add_i32 s14, s8, 16
	s_cmp_le_u32 s9, s14
	s_cselect_b64 s[0:1], -1, 0
	s_and_b64 s[16:17], s[0:1], exec
	s_cselect_b32 s15, 8, 10
	s_nor_b64 s[16:17], s[0:1], vcc
	v_mov_b32_e32 v8, s15
	s_and_saveexec_b64 s[0:1], s[16:17]
	s_cbranch_execz .LBB1393_266
; %bb.265:
	s_sub_i32 s15, s9, s14
	s_min_u32 s15, s15, 8
	v_lshrrev_b32_e32 v8, s14, v7
	v_bfe_u32 v8, v8, 0, s15
	v_lshlrev_b32_e32 v9, 2, v3
	v_lshl_or_b32 v8, v8, 4, v9
	v_mov_b32_e32 v9, 1
	ds_add_u32 v8, v9 offset:8192
	v_mov_b32_e32 v8, 0
.LBB1393_266:
	s_or_b64 exec, exec, s[0:1]
	v_cmp_gt_i32_e64 s[0:1], 10, v8
	s_mov_b64 s[14:15], -1
	s_and_saveexec_b64 s[16:17], s[0:1]
; %bb.267:
	v_cmp_eq_u32_e64 s[0:1], 0, v8
	s_orn2_b64 s[14:15], s[0:1], exec
; %bb.268:
	s_or_b64 exec, exec, s[16:17]
	s_and_b64 exec, exec, s[14:15]
	s_cbranch_execz .LBB1393_271
; %bb.269:
	s_add_i32 s0, s8, 24
	s_cmp_gt_u32 s9, s0
	s_cselect_b64 s[14:15], -1, 0
	s_xor_b64 s[16:17], vcc, -1
	s_and_b64 s[14:15], s[14:15], s[16:17]
	s_and_b64 exec, exec, s[14:15]
	s_cbranch_execz .LBB1393_271
; %bb.270:
	s_sub_i32 s1, s9, s0
	s_min_u32 s1, s1, 8
	v_lshrrev_b32_e32 v7, s0, v7
	v_bfe_u32 v7, v7, 0, s1
	v_lshlrev_b32_e32 v8, 2, v3
	v_lshl_or_b32 v7, v7, 4, v8
	v_mov_b32_e32 v8, 1
	ds_add_u32 v7, v8 offset:12288
.LBB1393_271:
	s_or_b64 exec, exec, s[12:13]
	v_cmp_le_u32_e32 vcc, s11, v6
	s_nor_b64 s[12:13], s[2:3], vcc
	v_mov_b32_e32 v6, s18
	s_and_saveexec_b64 s[0:1], s[12:13]
	s_cbranch_execz .LBB1393_273
; %bb.272:
	s_sub_i32 s12, s9, s8
	s_min_u32 s12, s12, 8
	v_lshrrev_b32_e32 v6, s8, v5
	v_bfe_u32 v6, v6, 0, s12
	v_lshlrev_b32_e32 v7, 2, v3
	v_lshl_or_b32 v6, v6, 4, v7
	v_mov_b32_e32 v7, 1
	ds_add_u32 v6, v7
	v_mov_b32_e32 v6, 0
.LBB1393_273:
	s_or_b64 exec, exec, s[0:1]
	v_cmp_gt_i32_e64 s[0:1], 10, v6
	s_mov_b64 s[14:15], -1
	s_and_saveexec_b64 s[12:13], s[0:1]
; %bb.274:
	v_cmp_eq_u32_e64 s[0:1], 0, v6
	s_orn2_b64 s[14:15], s[0:1], exec
; %bb.275:
	s_or_b64 exec, exec, s[12:13]
	s_and_saveexec_b64 s[12:13], s[14:15]
	s_cbranch_execz .LBB1393_288
; %bb.276:
	s_add_i32 s14, s8, 8
	s_cmp_le_u32 s9, s14
	s_cselect_b64 s[0:1], -1, 0
	s_and_b64 s[16:17], s[0:1], exec
	s_cselect_b32 s15, 8, 10
	s_nor_b64 s[16:17], s[0:1], vcc
	v_mov_b32_e32 v6, s15
	s_and_saveexec_b64 s[0:1], s[16:17]
	s_cbranch_execz .LBB1393_278
; %bb.277:
	s_sub_i32 s15, s9, s14
	s_min_u32 s15, s15, 8
	v_lshrrev_b32_e32 v6, s14, v5
	v_bfe_u32 v6, v6, 0, s15
	v_lshlrev_b32_e32 v7, 2, v3
	v_lshl_or_b32 v6, v6, 4, v7
	v_mov_b32_e32 v7, 1
	ds_add_u32 v6, v7 offset:4096
	v_mov_b32_e32 v6, 0
.LBB1393_278:
	s_or_b64 exec, exec, s[0:1]
	v_cmp_gt_i32_e64 s[0:1], 10, v6
	s_mov_b64 s[14:15], -1
	s_and_saveexec_b64 s[16:17], s[0:1]
; %bb.279:
	v_cmp_eq_u32_e64 s[0:1], 0, v6
	s_orn2_b64 s[14:15], s[0:1], exec
; %bb.280:
	s_or_b64 exec, exec, s[16:17]
	s_and_b64 exec, exec, s[14:15]
	s_cbranch_execz .LBB1393_288
; %bb.281:
	s_add_i32 s14, s8, 16
	s_cmp_le_u32 s9, s14
	s_cselect_b64 s[0:1], -1, 0
	s_and_b64 s[16:17], s[0:1], exec
	s_cselect_b32 s15, 8, 10
	s_nor_b64 s[16:17], s[0:1], vcc
	v_mov_b32_e32 v6, s15
	s_and_saveexec_b64 s[0:1], s[16:17]
	s_cbranch_execz .LBB1393_283
; %bb.282:
	s_sub_i32 s15, s9, s14
	s_min_u32 s15, s15, 8
	v_lshrrev_b32_e32 v6, s14, v5
	v_bfe_u32 v6, v6, 0, s15
	v_lshlrev_b32_e32 v7, 2, v3
	v_lshl_or_b32 v6, v6, 4, v7
	v_mov_b32_e32 v7, 1
	ds_add_u32 v6, v7 offset:8192
	v_mov_b32_e32 v6, 0
.LBB1393_283:
	s_or_b64 exec, exec, s[0:1]
	v_cmp_gt_i32_e64 s[0:1], 10, v6
	s_mov_b64 s[14:15], -1
	s_and_saveexec_b64 s[16:17], s[0:1]
; %bb.284:
	v_cmp_eq_u32_e64 s[0:1], 0, v6
	s_orn2_b64 s[14:15], s[0:1], exec
; %bb.285:
	s_or_b64 exec, exec, s[16:17]
	s_and_b64 exec, exec, s[14:15]
	s_cbranch_execz .LBB1393_288
; %bb.286:
	s_add_i32 s0, s8, 24
	s_cmp_gt_u32 s9, s0
	s_cselect_b64 s[14:15], -1, 0
	s_xor_b64 s[16:17], vcc, -1
	s_and_b64 s[14:15], s[14:15], s[16:17]
	s_and_b64 exec, exec, s[14:15]
	s_cbranch_execz .LBB1393_288
; %bb.287:
	s_sub_i32 s1, s9, s0
	s_min_u32 s1, s1, 8
	v_lshrrev_b32_e32 v5, s0, v5
	v_bfe_u32 v5, v5, 0, s1
	v_lshlrev_b32_e32 v6, 2, v3
	v_lshl_or_b32 v5, v5, 4, v6
	v_mov_b32_e32 v6, 1
	ds_add_u32 v5, v6 offset:12288
.LBB1393_288:
	s_or_b64 exec, exec, s[12:13]
	v_cmp_le_u32_e32 vcc, s11, v4
	s_nor_b64 s[2:3], s[2:3], vcc
	v_mov_b32_e32 v4, s18
	s_and_saveexec_b64 s[0:1], s[2:3]
	s_cbranch_execz .LBB1393_290
; %bb.289:
	s_sub_i32 s2, s9, s8
	s_min_u32 s2, s2, 8
	v_lshrrev_b32_e32 v4, s8, v2
	v_bfe_u32 v4, v4, 0, s2
	v_lshlrev_b32_e32 v5, 2, v3
	v_lshl_or_b32 v4, v4, 4, v5
	v_mov_b32_e32 v5, 1
	ds_add_u32 v4, v5
	v_mov_b32_e32 v4, 0
.LBB1393_290:
	s_or_b64 exec, exec, s[0:1]
	v_cmp_gt_i32_e64 s[0:1], 10, v4
	s_mov_b64 s[12:13], -1
	s_and_saveexec_b64 s[2:3], s[0:1]
; %bb.291:
	v_cmp_eq_u32_e64 s[0:1], 0, v4
	s_orn2_b64 s[12:13], s[0:1], exec
; %bb.292:
	s_or_b64 exec, exec, s[2:3]
	s_and_saveexec_b64 s[2:3], s[12:13]
	s_cbranch_execz .LBB1393_305
; %bb.293:
	s_add_i32 s11, s8, 8
	s_cmp_le_u32 s9, s11
	s_cselect_b64 s[0:1], -1, 0
	s_and_b64 s[12:13], s[0:1], exec
	s_cselect_b32 s14, 8, 10
	s_nor_b64 s[12:13], s[0:1], vcc
	v_mov_b32_e32 v4, s14
	s_and_saveexec_b64 s[0:1], s[12:13]
	s_cbranch_execz .LBB1393_295
; %bb.294:
	s_sub_i32 s12, s9, s11
	s_min_u32 s12, s12, 8
	v_lshrrev_b32_e32 v4, s11, v2
	v_bfe_u32 v4, v4, 0, s12
	v_lshlrev_b32_e32 v5, 2, v3
	v_lshl_or_b32 v4, v4, 4, v5
	v_mov_b32_e32 v5, 1
	ds_add_u32 v4, v5 offset:4096
	v_mov_b32_e32 v4, 0
.LBB1393_295:
	s_or_b64 exec, exec, s[0:1]
	v_cmp_gt_i32_e64 s[0:1], 10, v4
	s_mov_b64 s[12:13], -1
	s_and_saveexec_b64 s[14:15], s[0:1]
; %bb.296:
	v_cmp_eq_u32_e64 s[0:1], 0, v4
	s_orn2_b64 s[12:13], s[0:1], exec
; %bb.297:
	s_or_b64 exec, exec, s[14:15]
	s_and_b64 exec, exec, s[12:13]
	s_cbranch_execz .LBB1393_305
; %bb.298:
	s_add_i32 s11, s8, 16
	s_cmp_le_u32 s9, s11
	s_cselect_b64 s[0:1], -1, 0
	s_and_b64 s[12:13], s[0:1], exec
	s_cselect_b32 s14, 8, 10
	s_nor_b64 s[12:13], s[0:1], vcc
	v_mov_b32_e32 v4, s14
	s_and_saveexec_b64 s[0:1], s[12:13]
	s_cbranch_execz .LBB1393_300
; %bb.299:
	s_sub_i32 s12, s9, s11
	s_min_u32 s12, s12, 8
	v_lshrrev_b32_e32 v4, s11, v2
	v_bfe_u32 v4, v4, 0, s12
	v_lshlrev_b32_e32 v5, 2, v3
	v_lshl_or_b32 v4, v4, 4, v5
	v_mov_b32_e32 v5, 1
	ds_add_u32 v4, v5 offset:8192
	v_mov_b32_e32 v4, 0
.LBB1393_300:
	s_or_b64 exec, exec, s[0:1]
	v_cmp_gt_i32_e64 s[0:1], 10, v4
	s_mov_b64 s[12:13], -1
	s_and_saveexec_b64 s[14:15], s[0:1]
; %bb.301:
	v_cmp_eq_u32_e64 s[0:1], 0, v4
	s_orn2_b64 s[12:13], s[0:1], exec
; %bb.302:
	s_or_b64 exec, exec, s[14:15]
	s_and_b64 exec, exec, s[12:13]
	s_cbranch_execz .LBB1393_305
; %bb.303:
	s_add_i32 s0, s8, 24
	s_cmp_gt_u32 s9, s0
	s_cselect_b64 s[12:13], -1, 0
	s_xor_b64 s[14:15], vcc, -1
	s_and_b64 s[12:13], s[12:13], s[14:15]
	s_and_b64 exec, exec, s[12:13]
	s_cbranch_execz .LBB1393_305
; %bb.304:
	s_sub_i32 s1, s9, s0
	s_min_u32 s1, s1, 8
	v_lshrrev_b32_e32 v2, s0, v2
	v_bfe_u32 v2, v2, 0, s1
	v_lshlrev_b32_e32 v3, 2, v3
	v_lshl_or_b32 v2, v2, 4, v3
	v_mov_b32_e32 v3, 1
	ds_add_u32 v2, v3 offset:12288
.LBB1393_305:
	s_or_b64 exec, exec, s[2:3]
	s_cmp_lt_u32 s8, s9
	s_waitcnt lgkmcnt(0)
	s_barrier
	s_cbranch_scc0 .LBB1393_310
; %bb.306:
	s_movk_i32 s0, 0x100
	v_cmp_gt_u32_e32 vcc, s0, v0
	v_mad_u32_u24 v1, v0, 12, v1
	v_mov_b32_e32 v3, 0
	v_mov_b32_e32 v2, v0
	s_mov_b32 s2, s8
	s_branch .LBB1393_308
.LBB1393_307:                           ;   in Loop: Header=BB1393_308 Depth=1
	s_or_b64 exec, exec, s[0:1]
	s_add_i32 s2, s2, 8
	v_add_u32_e32 v2, 0x100, v2
	s_cmp_lt_u32 s2, s9
	v_add_u32_e32 v1, 0x1000, v1
	s_cbranch_scc0 .LBB1393_310
.LBB1393_308:                           ; =>This Inner Loop Header: Depth=1
	s_and_saveexec_b64 s[0:1], vcc
	s_cbranch_execz .LBB1393_307
; %bb.309:                              ;   in Loop: Header=BB1393_308 Depth=1
	ds_read2_b32 v[4:5], v1 offset1:1
	ds_read2_b32 v[6:7], v1 offset0:2 offset1:3
	s_waitcnt lgkmcnt(1)
	v_add_u32_e32 v4, v5, v4
	s_waitcnt lgkmcnt(0)
	v_add3_u32 v6, v4, v6, v7
	v_lshl_add_u64 v[4:5], v[2:3], 2, s[6:7]
	global_atomic_add v[4:5], v6, off
	s_branch .LBB1393_307
.LBB1393_310:
	s_mov_b64 s[2:3], 0
.LBB1393_311:
	s_and_b64 vcc, exec, s[2:3]
	s_cbranch_vccz .LBB1393_419
; %bb.312:
	s_cmp_eq_u32 s8, 0
	s_cselect_b64 s[0:1], -1, 0
	s_cmp_eq_u32 s9, 32
	s_mov_b32 s11, 0
	s_cselect_b64 s[2:3], -1, 0
	s_and_b64 s[2:3], s[0:1], s[2:3]
	s_lshl_b64 s[0:1], s[10:11], 2
	s_add_u32 s0, s4, s0
	s_addc_u32 s1, s5, s1
	v_mov_b32_e32 v3, 0
	v_lshlrev_b32_e32 v2, 2, v0
	v_lshl_add_u64 v[4:5], s[0:1], 0, v[2:3]
	s_movk_i32 s4, 0x2000
	v_add_co_u32_e32 v22, vcc, s4, v4
	s_movk_i32 s4, 0x4000
	s_nop 0
	v_addc_co_u32_e32 v23, vcc, 0, v5, vcc
	v_add_co_u32_e32 v24, vcc, s4, v4
	s_movk_i32 s4, 0x6000
	s_nop 0
	v_addc_co_u32_e32 v25, vcc, 0, v5, vcc
	v_add_co_u32_e32 v16, vcc, s4, v4
	s_mov_b32 s4, 0x8000
	s_nop 0
	v_addc_co_u32_e32 v17, vcc, 0, v5, vcc
	v_add_co_u32_e32 v18, vcc, s4, v4
	s_mov_b32 s4, 0xa000
	;; [unrolled: 4-line block ×4, first 2 shown]
	s_nop 0
	v_addc_co_u32_e32 v27, vcc, 0, v5, vcc
	global_load_dword v15, v[16:17], off offset:-4096
	global_load_dword v14, v[16:17], off
	global_load_dword v13, v[18:19], off offset:-4096
	global_load_dword v12, v[18:19], off
	;; [unrolled: 2-line block ×4, first 2 shown]
	v_add_co_u32_e32 v26, vcc, s4, v4
	s_nop 1
	v_addc_co_u32_e32 v27, vcc, 0, v5, vcc
	v_add_co_u32_e32 v28, vcc, 0xe000, v4
	s_nop 1
	v_addc_co_u32_e32 v29, vcc, 0, v5, vcc
	;; [unrolled: 3-line block ×3, first 2 shown]
	global_load_dword v20, v2, s[0:1]
	global_load_dword v19, v[22:23], off offset:-4096
	global_load_dword v18, v[22:23], off
	global_load_dword v17, v[24:25], off offset:-4096
	global_load_dword v16, v[24:25], off
	global_load_dword v9, v[26:27], off
	;; [unrolled: 1-line block ×4, first 2 shown]
	s_mov_b64 s[0:1], -1
	s_and_b64 vcc, exec, s[2:3]
	s_cbranch_vccnz .LBB1393_416
; %bb.313:
	s_cmp_lt_u32 s8, s9
	s_cselect_b64 s[0:1], -1, 0
	s_and_b64 vcc, exec, s[0:1]
	ds_write2st64_b32 v2, v3, v3 offset1:16
	ds_write2st64_b32 v2, v3, v3 offset0:32 offset1:48
	s_waitcnt lgkmcnt(0)
	s_barrier
	s_cbranch_vccz .LBB1393_410
; %bb.314:
	s_sub_i32 s2, s9, s8
	s_waitcnt vmcnt(7)
	v_xor_b32_e32 v21, 0x80000000, v20
	s_min_u32 s2, s2, 8
	v_and_b32_e32 v3, 3, v0
	s_lshl_b32 s2, -1, s2
	v_lshrrev_b32_e32 v4, s8, v21
	v_bitop3_b32 v22, v4, s2, v4 bitop3:0x30
	v_lshlrev_b32_e32 v4, 2, v3
	v_lshl_or_b32 v22, v22, 4, v4
	v_mov_b32_e32 v23, 1
	s_not_b32 s13, s2
	ds_add_u32 v22, v23
	s_add_i32 s12, s8, 8
	s_waitcnt vmcnt(6)
	v_xor_b32_e32 v5, 0x80000000, v19
	s_cmp_le_u32 s9, s12
	s_cselect_b64 s[2:3], -1, 0
	v_lshrrev_b32_e32 v22, s8, v5
	s_and_b64 vcc, exec, s[2:3]
	v_and_b32_e32 v22, s13, v22
	s_cbranch_vccz .LBB1393_316
; %bb.315:
	v_lshlrev_b32_e32 v23, 4, v22
	s_mov_b64 s[4:5], -1
	s_cbranch_execz .LBB1393_317
	s_branch .LBB1393_324
.LBB1393_316:
	s_mov_b64 s[4:5], 0
                                        ; implicit-def: $vgpr23
.LBB1393_317:
	s_sub_i32 s10, s9, s12
	s_min_u32 s10, s10, 8
	s_lshl_b32 s10, -1, s10
	v_lshrrev_b32_e32 v23, s12, v21
	v_bitop3_b32 v23, v23, s10, v23 bitop3:0x30
	v_lshl_or_b32 v24, v23, 4, v4
	v_mov_b32_e32 v23, 1
	ds_add_u32 v24, v23 offset:4096
	s_not_b32 s15, s10
	s_add_i32 s14, s8, 16
	s_cmp_gt_u32 s9, s14
	s_cselect_b64 s[10:11], -1, 0
	s_cmp_le_u32 s9, s14
	s_cbranch_scc1 .LBB1393_320
; %bb.318:
	s_sub_i32 s16, s9, s14
	s_min_u32 s16, s16, 8
	v_lshrrev_b32_e32 v24, s14, v21
	v_bfe_u32 v24, v24, 0, s16
	v_lshl_or_b32 v24, v24, 4, v4
	ds_add_u32 v24, v23 offset:8192
	s_add_i32 s16, s8, 24
	s_cmp_le_u32 s9, s16
	s_cbranch_scc1 .LBB1393_320
; %bb.319:
	s_sub_i32 s17, s9, s16
	s_min_u32 s17, s17, 8
	v_lshrrev_b32_e32 v21, s16, v21
	v_bfe_u32 v21, v21, 0, s17
	v_lshl_or_b32 v21, v21, 4, v4
	v_mov_b32_e32 v24, 1
	ds_add_u32 v21, v24 offset:12288
.LBB1393_320:
	v_lshl_or_b32 v21, v22, 4, v4
	ds_add_u32 v21, v23
	v_lshrrev_b32_e32 v21, s12, v5
	v_and_b32_e32 v21, s15, v21
	v_lshl_or_b32 v21, v21, 4, v4
	ds_add_u32 v21, v23 offset:4096
	s_andn2_b64 vcc, exec, s[10:11]
	s_cbranch_vccnz .LBB1393_323
; %bb.321:
	s_sub_i32 s10, s9, s14
	s_min_u32 s10, s10, 8
	v_lshrrev_b32_e32 v21, s14, v5
	v_bfe_u32 v21, v21, 0, s10
	v_lshl_or_b32 v21, v21, 4, v4
	v_mov_b32_e32 v22, 1
	ds_add_u32 v21, v22 offset:8192
	s_add_i32 s10, s8, 24
	s_cmp_gt_u32 s9, s10
                                        ; implicit-def: $vgpr23
	s_cbranch_scc0 .LBB1393_324
; %bb.322:
	s_sub_i32 s4, s9, s10
	s_min_u32 s4, s4, 8
	v_lshrrev_b32_e32 v5, s10, v5
	v_bfe_u32 v5, v5, 0, s4
	v_mov_b32_e32 v21, 0x3000
	v_lshl_add_u32 v23, v5, 4, v21
	s_mov_b64 s[4:5], -1
	s_branch .LBB1393_324
.LBB1393_323:
                                        ; implicit-def: $vgpr23
.LBB1393_324:
	s_and_b64 vcc, exec, s[4:5]
	s_cbranch_vccz .LBB1393_326
; %bb.325:
	v_lshl_add_u32 v5, v3, 2, v23
	v_mov_b32_e32 v21, 1
	ds_add_u32 v5, v21
.LBB1393_326:
	s_waitcnt vmcnt(5)
	v_xor_b32_e32 v21, 0x80000000, v18
	v_lshrrev_b32_e32 v22, s8, v21
	v_and_b32_e32 v22, s13, v22
	v_lshl_or_b32 v22, v22, 4, v4
	v_mov_b32_e32 v23, 1
	ds_add_u32 v22, v23
	s_waitcnt vmcnt(4)
	v_xor_b32_e32 v5, 0x80000000, v17
	v_lshrrev_b32_e32 v22, s8, v5
	s_and_b64 vcc, exec, s[2:3]
	v_and_b32_e32 v22, s13, v22
	s_cbranch_vccz .LBB1393_328
; %bb.327:
	v_lshlrev_b32_e32 v23, 4, v22
	s_mov_b64 s[4:5], -1
	s_cbranch_execz .LBB1393_329
	s_branch .LBB1393_336
.LBB1393_328:
	s_mov_b64 s[4:5], 0
                                        ; implicit-def: $vgpr23
.LBB1393_329:
	s_sub_i32 s10, s9, s12
	s_min_u32 s10, s10, 8
	s_lshl_b32 s10, -1, s10
	v_lshrrev_b32_e32 v23, s12, v21
	v_bitop3_b32 v23, v23, s10, v23 bitop3:0x30
	v_lshl_or_b32 v24, v23, 4, v4
	v_mov_b32_e32 v23, 1
	ds_add_u32 v24, v23 offset:4096
	s_not_b32 s15, s10
	s_add_i32 s14, s8, 16
	s_cmp_gt_u32 s9, s14
	s_cselect_b64 s[10:11], -1, 0
	s_cmp_le_u32 s9, s14
	s_cbranch_scc1 .LBB1393_332
; %bb.330:
	s_sub_i32 s16, s9, s14
	s_min_u32 s16, s16, 8
	v_lshrrev_b32_e32 v24, s14, v21
	v_bfe_u32 v24, v24, 0, s16
	v_lshl_or_b32 v24, v24, 4, v4
	ds_add_u32 v24, v23 offset:8192
	s_add_i32 s16, s8, 24
	s_cmp_le_u32 s9, s16
	s_cbranch_scc1 .LBB1393_332
; %bb.331:
	s_sub_i32 s17, s9, s16
	s_min_u32 s17, s17, 8
	v_lshrrev_b32_e32 v21, s16, v21
	v_bfe_u32 v21, v21, 0, s17
	v_lshl_or_b32 v21, v21, 4, v4
	v_mov_b32_e32 v24, 1
	ds_add_u32 v21, v24 offset:12288
.LBB1393_332:
	v_lshl_or_b32 v21, v22, 4, v4
	ds_add_u32 v21, v23
	v_lshrrev_b32_e32 v21, s12, v5
	v_and_b32_e32 v21, s15, v21
	v_lshl_or_b32 v21, v21, 4, v4
	ds_add_u32 v21, v23 offset:4096
	s_andn2_b64 vcc, exec, s[10:11]
	s_cbranch_vccnz .LBB1393_335
; %bb.333:
	s_sub_i32 s10, s9, s14
	s_min_u32 s10, s10, 8
	v_lshrrev_b32_e32 v21, s14, v5
	v_bfe_u32 v21, v21, 0, s10
	v_lshl_or_b32 v21, v21, 4, v4
	v_mov_b32_e32 v22, 1
	ds_add_u32 v21, v22 offset:8192
	s_add_i32 s10, s8, 24
	s_cmp_gt_u32 s9, s10
                                        ; implicit-def: $vgpr23
	s_cbranch_scc0 .LBB1393_336
; %bb.334:
	s_sub_i32 s4, s9, s10
	s_min_u32 s4, s4, 8
	v_lshrrev_b32_e32 v5, s10, v5
	v_bfe_u32 v5, v5, 0, s4
	v_mov_b32_e32 v21, 0x3000
	v_lshl_add_u32 v23, v5, 4, v21
	s_mov_b64 s[4:5], -1
	s_branch .LBB1393_336
.LBB1393_335:
                                        ; implicit-def: $vgpr23
.LBB1393_336:
	s_and_b64 vcc, exec, s[4:5]
	s_cbranch_vccz .LBB1393_338
; %bb.337:
	v_lshl_add_u32 v5, v3, 2, v23
	v_mov_b32_e32 v21, 1
	ds_add_u32 v5, v21
.LBB1393_338:
	s_waitcnt vmcnt(3)
	v_xor_b32_e32 v21, 0x80000000, v16
	v_lshrrev_b32_e32 v22, s8, v21
	v_and_b32_e32 v22, s13, v22
	v_lshl_or_b32 v22, v22, 4, v4
	v_mov_b32_e32 v23, 1
	ds_add_u32 v22, v23
	v_xor_b32_e32 v5, 0x80000000, v15
	v_lshrrev_b32_e32 v22, s8, v5
	s_and_b64 vcc, exec, s[2:3]
	v_and_b32_e32 v22, s13, v22
	s_cbranch_vccz .LBB1393_340
; %bb.339:
	v_lshlrev_b32_e32 v23, 4, v22
	s_mov_b64 s[4:5], -1
	s_cbranch_execz .LBB1393_341
	s_branch .LBB1393_348
.LBB1393_340:
	s_mov_b64 s[4:5], 0
                                        ; implicit-def: $vgpr23
.LBB1393_341:
	s_sub_i32 s10, s9, s12
	s_min_u32 s10, s10, 8
	s_lshl_b32 s10, -1, s10
	v_lshrrev_b32_e32 v23, s12, v21
	v_bitop3_b32 v23, v23, s10, v23 bitop3:0x30
	v_lshl_or_b32 v24, v23, 4, v4
	v_mov_b32_e32 v23, 1
	ds_add_u32 v24, v23 offset:4096
	s_not_b32 s15, s10
	s_add_i32 s14, s8, 16
	s_cmp_gt_u32 s9, s14
	s_cselect_b64 s[10:11], -1, 0
	s_cmp_le_u32 s9, s14
	s_cbranch_scc1 .LBB1393_344
; %bb.342:
	s_sub_i32 s16, s9, s14
	s_min_u32 s16, s16, 8
	v_lshrrev_b32_e32 v24, s14, v21
	v_bfe_u32 v24, v24, 0, s16
	v_lshl_or_b32 v24, v24, 4, v4
	ds_add_u32 v24, v23 offset:8192
	s_add_i32 s16, s8, 24
	s_cmp_le_u32 s9, s16
	s_cbranch_scc1 .LBB1393_344
; %bb.343:
	s_sub_i32 s17, s9, s16
	s_min_u32 s17, s17, 8
	v_lshrrev_b32_e32 v21, s16, v21
	v_bfe_u32 v21, v21, 0, s17
	v_lshl_or_b32 v21, v21, 4, v4
	v_mov_b32_e32 v24, 1
	ds_add_u32 v21, v24 offset:12288
.LBB1393_344:
	v_lshl_or_b32 v21, v22, 4, v4
	ds_add_u32 v21, v23
	v_lshrrev_b32_e32 v21, s12, v5
	v_and_b32_e32 v21, s15, v21
	v_lshl_or_b32 v21, v21, 4, v4
	ds_add_u32 v21, v23 offset:4096
	s_andn2_b64 vcc, exec, s[10:11]
	s_cbranch_vccnz .LBB1393_347
; %bb.345:
	s_sub_i32 s10, s9, s14
	s_min_u32 s10, s10, 8
	v_lshrrev_b32_e32 v21, s14, v5
	v_bfe_u32 v21, v21, 0, s10
	v_lshl_or_b32 v21, v21, 4, v4
	v_mov_b32_e32 v22, 1
	ds_add_u32 v21, v22 offset:8192
	s_add_i32 s10, s8, 24
	s_cmp_gt_u32 s9, s10
                                        ; implicit-def: $vgpr23
	s_cbranch_scc0 .LBB1393_348
; %bb.346:
	s_sub_i32 s4, s9, s10
	s_min_u32 s4, s4, 8
	v_lshrrev_b32_e32 v5, s10, v5
	v_bfe_u32 v5, v5, 0, s4
	v_mov_b32_e32 v21, 0x3000
	v_lshl_add_u32 v23, v5, 4, v21
	s_mov_b64 s[4:5], -1
	s_branch .LBB1393_348
.LBB1393_347:
                                        ; implicit-def: $vgpr23
.LBB1393_348:
	s_and_b64 vcc, exec, s[4:5]
	s_cbranch_vccz .LBB1393_350
; %bb.349:
	v_lshl_add_u32 v5, v3, 2, v23
	v_mov_b32_e32 v21, 1
	ds_add_u32 v5, v21
.LBB1393_350:
	v_xor_b32_e32 v21, 0x80000000, v14
	v_lshrrev_b32_e32 v22, s8, v21
	v_and_b32_e32 v22, s13, v22
	v_lshl_or_b32 v22, v22, 4, v4
	v_mov_b32_e32 v23, 1
	ds_add_u32 v22, v23
	v_xor_b32_e32 v5, 0x80000000, v13
	v_lshrrev_b32_e32 v22, s8, v5
	s_and_b64 vcc, exec, s[2:3]
	v_and_b32_e32 v22, s13, v22
	s_cbranch_vccz .LBB1393_352
; %bb.351:
	v_lshlrev_b32_e32 v23, 4, v22
	s_mov_b64 s[4:5], -1
	s_cbranch_execz .LBB1393_353
	s_branch .LBB1393_360
.LBB1393_352:
	s_mov_b64 s[4:5], 0
                                        ; implicit-def: $vgpr23
.LBB1393_353:
	s_sub_i32 s10, s9, s12
	s_min_u32 s10, s10, 8
	s_lshl_b32 s10, -1, s10
	v_lshrrev_b32_e32 v23, s12, v21
	v_bitop3_b32 v23, v23, s10, v23 bitop3:0x30
	v_lshl_or_b32 v24, v23, 4, v4
	v_mov_b32_e32 v23, 1
	ds_add_u32 v24, v23 offset:4096
	s_not_b32 s15, s10
	s_add_i32 s14, s8, 16
	s_cmp_gt_u32 s9, s14
	s_cselect_b64 s[10:11], -1, 0
	s_cmp_le_u32 s9, s14
	s_cbranch_scc1 .LBB1393_356
; %bb.354:
	s_sub_i32 s16, s9, s14
	s_min_u32 s16, s16, 8
	v_lshrrev_b32_e32 v24, s14, v21
	v_bfe_u32 v24, v24, 0, s16
	v_lshl_or_b32 v24, v24, 4, v4
	ds_add_u32 v24, v23 offset:8192
	s_add_i32 s16, s8, 24
	s_cmp_le_u32 s9, s16
	s_cbranch_scc1 .LBB1393_356
; %bb.355:
	s_sub_i32 s17, s9, s16
	s_min_u32 s17, s17, 8
	v_lshrrev_b32_e32 v21, s16, v21
	v_bfe_u32 v21, v21, 0, s17
	v_lshl_or_b32 v21, v21, 4, v4
	v_mov_b32_e32 v24, 1
	ds_add_u32 v21, v24 offset:12288
.LBB1393_356:
	v_lshl_or_b32 v21, v22, 4, v4
	ds_add_u32 v21, v23
	v_lshrrev_b32_e32 v21, s12, v5
	v_and_b32_e32 v21, s15, v21
	v_lshl_or_b32 v21, v21, 4, v4
	ds_add_u32 v21, v23 offset:4096
	s_andn2_b64 vcc, exec, s[10:11]
	s_cbranch_vccnz .LBB1393_359
; %bb.357:
	s_sub_i32 s10, s9, s14
	s_min_u32 s10, s10, 8
	v_lshrrev_b32_e32 v21, s14, v5
	v_bfe_u32 v21, v21, 0, s10
	v_lshl_or_b32 v21, v21, 4, v4
	v_mov_b32_e32 v22, 1
	ds_add_u32 v21, v22 offset:8192
	s_add_i32 s10, s8, 24
	s_cmp_gt_u32 s9, s10
                                        ; implicit-def: $vgpr23
	s_cbranch_scc0 .LBB1393_360
; %bb.358:
	s_sub_i32 s4, s9, s10
	s_min_u32 s4, s4, 8
	v_lshrrev_b32_e32 v5, s10, v5
	v_bfe_u32 v5, v5, 0, s4
	v_mov_b32_e32 v21, 0x3000
	v_lshl_add_u32 v23, v5, 4, v21
	s_mov_b64 s[4:5], -1
	s_branch .LBB1393_360
.LBB1393_359:
                                        ; implicit-def: $vgpr23
.LBB1393_360:
	s_and_b64 vcc, exec, s[4:5]
	s_cbranch_vccz .LBB1393_362
; %bb.361:
	v_lshl_add_u32 v5, v3, 2, v23
	v_mov_b32_e32 v21, 1
	ds_add_u32 v5, v21
.LBB1393_362:
	v_xor_b32_e32 v21, 0x80000000, v12
	v_lshrrev_b32_e32 v22, s8, v21
	v_and_b32_e32 v22, s13, v22
	v_lshl_or_b32 v22, v22, 4, v4
	v_mov_b32_e32 v23, 1
	ds_add_u32 v22, v23
	v_xor_b32_e32 v5, 0x80000000, v11
	v_lshrrev_b32_e32 v22, s8, v5
	s_and_b64 vcc, exec, s[2:3]
	v_and_b32_e32 v22, s13, v22
	s_cbranch_vccz .LBB1393_364
; %bb.363:
	v_lshlrev_b32_e32 v23, 4, v22
	s_mov_b64 s[4:5], -1
	s_cbranch_execz .LBB1393_365
	s_branch .LBB1393_372
.LBB1393_364:
	s_mov_b64 s[4:5], 0
                                        ; implicit-def: $vgpr23
.LBB1393_365:
	s_sub_i32 s10, s9, s12
	s_min_u32 s10, s10, 8
	s_lshl_b32 s10, -1, s10
	v_lshrrev_b32_e32 v23, s12, v21
	v_bitop3_b32 v23, v23, s10, v23 bitop3:0x30
	v_lshl_or_b32 v24, v23, 4, v4
	v_mov_b32_e32 v23, 1
	ds_add_u32 v24, v23 offset:4096
	s_not_b32 s15, s10
	s_add_i32 s14, s8, 16
	s_cmp_gt_u32 s9, s14
	s_cselect_b64 s[10:11], -1, 0
	s_cmp_le_u32 s9, s14
	s_cbranch_scc1 .LBB1393_368
; %bb.366:
	s_sub_i32 s16, s9, s14
	s_min_u32 s16, s16, 8
	v_lshrrev_b32_e32 v24, s14, v21
	v_bfe_u32 v24, v24, 0, s16
	v_lshl_or_b32 v24, v24, 4, v4
	ds_add_u32 v24, v23 offset:8192
	s_add_i32 s16, s8, 24
	s_cmp_le_u32 s9, s16
	s_cbranch_scc1 .LBB1393_368
; %bb.367:
	s_sub_i32 s17, s9, s16
	s_min_u32 s17, s17, 8
	v_lshrrev_b32_e32 v21, s16, v21
	v_bfe_u32 v21, v21, 0, s17
	v_lshl_or_b32 v21, v21, 4, v4
	v_mov_b32_e32 v24, 1
	ds_add_u32 v21, v24 offset:12288
.LBB1393_368:
	v_lshl_or_b32 v21, v22, 4, v4
	ds_add_u32 v21, v23
	v_lshrrev_b32_e32 v21, s12, v5
	v_and_b32_e32 v21, s15, v21
	v_lshl_or_b32 v21, v21, 4, v4
	ds_add_u32 v21, v23 offset:4096
	s_andn2_b64 vcc, exec, s[10:11]
	s_cbranch_vccnz .LBB1393_371
; %bb.369:
	s_sub_i32 s10, s9, s14
	s_min_u32 s10, s10, 8
	v_lshrrev_b32_e32 v21, s14, v5
	v_bfe_u32 v21, v21, 0, s10
	v_lshl_or_b32 v21, v21, 4, v4
	v_mov_b32_e32 v22, 1
	ds_add_u32 v21, v22 offset:8192
	s_add_i32 s10, s8, 24
	s_cmp_gt_u32 s9, s10
                                        ; implicit-def: $vgpr23
	s_cbranch_scc0 .LBB1393_372
; %bb.370:
	s_sub_i32 s4, s9, s10
	s_min_u32 s4, s4, 8
	v_lshrrev_b32_e32 v5, s10, v5
	v_bfe_u32 v5, v5, 0, s4
	v_mov_b32_e32 v21, 0x3000
	v_lshl_add_u32 v23, v5, 4, v21
	s_mov_b64 s[4:5], -1
	s_branch .LBB1393_372
.LBB1393_371:
                                        ; implicit-def: $vgpr23
.LBB1393_372:
	s_and_b64 vcc, exec, s[4:5]
	s_cbranch_vccz .LBB1393_374
; %bb.373:
	v_lshl_add_u32 v5, v3, 2, v23
	v_mov_b32_e32 v21, 1
	ds_add_u32 v5, v21
.LBB1393_374:
	v_xor_b32_e32 v21, 0x80000000, v10
	v_lshrrev_b32_e32 v22, s8, v21
	v_and_b32_e32 v22, s13, v22
	v_lshl_or_b32 v22, v22, 4, v4
	v_mov_b32_e32 v23, 1
	ds_add_u32 v22, v23
	v_xor_b32_e32 v5, 0x80000000, v8
	v_lshrrev_b32_e32 v22, s8, v5
	s_and_b64 vcc, exec, s[2:3]
	v_and_b32_e32 v22, s13, v22
	s_cbranch_vccz .LBB1393_376
; %bb.375:
	v_lshlrev_b32_e32 v23, 4, v22
	s_mov_b64 s[4:5], -1
	s_cbranch_execz .LBB1393_377
	s_branch .LBB1393_384
.LBB1393_376:
	s_mov_b64 s[4:5], 0
                                        ; implicit-def: $vgpr23
.LBB1393_377:
	s_sub_i32 s10, s9, s12
	s_min_u32 s10, s10, 8
	s_lshl_b32 s10, -1, s10
	v_lshrrev_b32_e32 v23, s12, v21
	v_bitop3_b32 v23, v23, s10, v23 bitop3:0x30
	v_lshl_or_b32 v24, v23, 4, v4
	v_mov_b32_e32 v23, 1
	ds_add_u32 v24, v23 offset:4096
	s_not_b32 s15, s10
	s_add_i32 s14, s8, 16
	s_cmp_gt_u32 s9, s14
	s_cselect_b64 s[10:11], -1, 0
	s_cmp_le_u32 s9, s14
	s_cbranch_scc1 .LBB1393_380
; %bb.378:
	s_sub_i32 s16, s9, s14
	s_min_u32 s16, s16, 8
	v_lshrrev_b32_e32 v24, s14, v21
	v_bfe_u32 v24, v24, 0, s16
	v_lshl_or_b32 v24, v24, 4, v4
	ds_add_u32 v24, v23 offset:8192
	s_add_i32 s16, s8, 24
	s_cmp_le_u32 s9, s16
	s_cbranch_scc1 .LBB1393_380
; %bb.379:
	s_sub_i32 s17, s9, s16
	s_min_u32 s17, s17, 8
	v_lshrrev_b32_e32 v21, s16, v21
	v_bfe_u32 v21, v21, 0, s17
	v_lshl_or_b32 v21, v21, 4, v4
	v_mov_b32_e32 v24, 1
	ds_add_u32 v21, v24 offset:12288
.LBB1393_380:
	v_lshl_or_b32 v21, v22, 4, v4
	ds_add_u32 v21, v23
	v_lshrrev_b32_e32 v21, s12, v5
	v_and_b32_e32 v21, s15, v21
	v_lshl_or_b32 v21, v21, 4, v4
	ds_add_u32 v21, v23 offset:4096
	s_andn2_b64 vcc, exec, s[10:11]
	s_cbranch_vccnz .LBB1393_383
; %bb.381:
	s_sub_i32 s10, s9, s14
	s_min_u32 s10, s10, 8
	v_lshrrev_b32_e32 v21, s14, v5
	v_bfe_u32 v21, v21, 0, s10
	v_lshl_or_b32 v21, v21, 4, v4
	v_mov_b32_e32 v22, 1
	ds_add_u32 v21, v22 offset:8192
	s_add_i32 s10, s8, 24
	s_cmp_gt_u32 s9, s10
                                        ; implicit-def: $vgpr23
	s_cbranch_scc0 .LBB1393_384
; %bb.382:
	s_sub_i32 s4, s9, s10
	s_min_u32 s4, s4, 8
	v_lshrrev_b32_e32 v5, s10, v5
	v_bfe_u32 v5, v5, 0, s4
	v_mov_b32_e32 v21, 0x3000
	v_lshl_add_u32 v23, v5, 4, v21
	s_mov_b64 s[4:5], -1
	s_branch .LBB1393_384
.LBB1393_383:
                                        ; implicit-def: $vgpr23
.LBB1393_384:
	s_and_b64 vcc, exec, s[4:5]
	s_cbranch_vccz .LBB1393_386
; %bb.385:
	v_lshl_add_u32 v5, v3, 2, v23
	v_mov_b32_e32 v21, 1
	ds_add_u32 v5, v21
.LBB1393_386:
	v_xor_b32_e32 v21, 0x80000000, v6
	v_lshrrev_b32_e32 v22, s8, v21
	v_and_b32_e32 v22, s13, v22
	v_lshl_or_b32 v22, v22, 4, v4
	v_mov_b32_e32 v23, 1
	ds_add_u32 v22, v23
	s_waitcnt vmcnt(2)
	v_xor_b32_e32 v5, 0x80000000, v9
	v_lshrrev_b32_e32 v22, s8, v5
	s_and_b64 vcc, exec, s[2:3]
	v_and_b32_e32 v22, s13, v22
	s_cbranch_vccz .LBB1393_388
; %bb.387:
	v_lshlrev_b32_e32 v23, 4, v22
	s_mov_b64 s[4:5], -1
	s_cbranch_execz .LBB1393_389
	s_branch .LBB1393_396
.LBB1393_388:
	s_mov_b64 s[4:5], 0
                                        ; implicit-def: $vgpr23
.LBB1393_389:
	s_sub_i32 s10, s9, s12
	s_min_u32 s10, s10, 8
	s_lshl_b32 s10, -1, s10
	v_lshrrev_b32_e32 v23, s12, v21
	v_bitop3_b32 v23, v23, s10, v23 bitop3:0x30
	v_lshl_or_b32 v24, v23, 4, v4
	v_mov_b32_e32 v23, 1
	ds_add_u32 v24, v23 offset:4096
	s_not_b32 s15, s10
	s_add_i32 s14, s8, 16
	s_cmp_gt_u32 s9, s14
	s_cselect_b64 s[10:11], -1, 0
	s_cmp_le_u32 s9, s14
	s_cbranch_scc1 .LBB1393_392
; %bb.390:
	s_sub_i32 s16, s9, s14
	s_min_u32 s16, s16, 8
	v_lshrrev_b32_e32 v24, s14, v21
	v_bfe_u32 v24, v24, 0, s16
	v_lshl_or_b32 v24, v24, 4, v4
	ds_add_u32 v24, v23 offset:8192
	s_add_i32 s16, s8, 24
	s_cmp_le_u32 s9, s16
	s_cbranch_scc1 .LBB1393_392
; %bb.391:
	s_sub_i32 s17, s9, s16
	s_min_u32 s17, s17, 8
	v_lshrrev_b32_e32 v21, s16, v21
	v_bfe_u32 v21, v21, 0, s17
	v_lshl_or_b32 v21, v21, 4, v4
	v_mov_b32_e32 v24, 1
	ds_add_u32 v21, v24 offset:12288
.LBB1393_392:
	v_lshl_or_b32 v21, v22, 4, v4
	ds_add_u32 v21, v23
	v_lshrrev_b32_e32 v21, s12, v5
	v_and_b32_e32 v21, s15, v21
	v_lshl_or_b32 v21, v21, 4, v4
	ds_add_u32 v21, v23 offset:4096
	s_andn2_b64 vcc, exec, s[10:11]
	s_cbranch_vccnz .LBB1393_395
; %bb.393:
	s_sub_i32 s10, s9, s14
	s_min_u32 s10, s10, 8
	v_lshrrev_b32_e32 v21, s14, v5
	v_bfe_u32 v21, v21, 0, s10
	v_lshl_or_b32 v21, v21, 4, v4
	v_mov_b32_e32 v22, 1
	ds_add_u32 v21, v22 offset:8192
	s_add_i32 s10, s8, 24
	s_cmp_gt_u32 s9, s10
                                        ; implicit-def: $vgpr23
	s_cbranch_scc0 .LBB1393_396
; %bb.394:
	s_sub_i32 s4, s9, s10
	s_min_u32 s4, s4, 8
	v_lshrrev_b32_e32 v5, s10, v5
	v_bfe_u32 v5, v5, 0, s4
	v_mov_b32_e32 v21, 0x3000
	v_lshl_add_u32 v23, v5, 4, v21
	s_mov_b64 s[4:5], -1
	s_branch .LBB1393_396
.LBB1393_395:
                                        ; implicit-def: $vgpr23
.LBB1393_396:
	s_and_b64 vcc, exec, s[4:5]
	s_cbranch_vccz .LBB1393_398
; %bb.397:
	v_lshl_add_u32 v5, v3, 2, v23
	v_mov_b32_e32 v21, 1
	ds_add_u32 v5, v21
.LBB1393_398:
	s_waitcnt vmcnt(1)
	v_xor_b32_e32 v21, 0x80000000, v7
	v_lshrrev_b32_e32 v22, s8, v21
	v_and_b32_e32 v22, s13, v22
	v_lshl_or_b32 v22, v22, 4, v4
	v_mov_b32_e32 v23, 1
	ds_add_u32 v22, v23
	s_waitcnt vmcnt(0)
	v_xor_b32_e32 v5, 0x80000000, v1
	v_lshrrev_b32_e32 v22, s8, v5
	s_and_b64 vcc, exec, s[2:3]
	v_and_b32_e32 v22, s13, v22
	s_cbranch_vccz .LBB1393_400
; %bb.399:
	v_lshlrev_b32_e32 v23, 4, v22
	s_mov_b64 s[2:3], -1
	s_cbranch_execz .LBB1393_401
	s_branch .LBB1393_408
.LBB1393_400:
	s_mov_b64 s[2:3], 0
                                        ; implicit-def: $vgpr23
.LBB1393_401:
	s_sub_i32 s4, s9, s12
	s_min_u32 s4, s4, 8
	s_lshl_b32 s4, -1, s4
	v_lshrrev_b32_e32 v23, s12, v21
	v_bitop3_b32 v23, v23, s4, v23 bitop3:0x30
	v_lshl_or_b32 v24, v23, 4, v4
	v_mov_b32_e32 v23, 1
	ds_add_u32 v24, v23 offset:4096
	s_not_b32 s11, s4
	s_add_i32 s10, s8, 16
	s_cmp_gt_u32 s9, s10
	s_cselect_b64 s[4:5], -1, 0
	s_cmp_le_u32 s9, s10
	s_cbranch_scc1 .LBB1393_404
; %bb.402:
	s_sub_i32 s13, s9, s10
	s_min_u32 s13, s13, 8
	v_lshrrev_b32_e32 v24, s10, v21
	v_bfe_u32 v24, v24, 0, s13
	v_lshl_or_b32 v24, v24, 4, v4
	ds_add_u32 v24, v23 offset:8192
	s_add_i32 s13, s8, 24
	s_cmp_le_u32 s9, s13
	s_cbranch_scc1 .LBB1393_404
; %bb.403:
	s_sub_i32 s14, s9, s13
	s_min_u32 s14, s14, 8
	v_lshrrev_b32_e32 v21, s13, v21
	v_bfe_u32 v21, v21, 0, s14
	v_lshl_or_b32 v21, v21, 4, v4
	v_mov_b32_e32 v24, 1
	ds_add_u32 v21, v24 offset:12288
.LBB1393_404:
	v_lshl_or_b32 v21, v22, 4, v4
	ds_add_u32 v21, v23
	v_lshrrev_b32_e32 v21, s12, v5
	v_and_b32_e32 v21, s11, v21
	v_lshl_or_b32 v21, v21, 4, v4
	ds_add_u32 v21, v23 offset:4096
	s_andn2_b64 vcc, exec, s[4:5]
	s_cbranch_vccnz .LBB1393_407
; %bb.405:
	s_sub_i32 s4, s9, s10
	s_min_u32 s4, s4, 8
	v_lshrrev_b32_e32 v21, s10, v5
	v_bfe_u32 v21, v21, 0, s4
	v_lshl_or_b32 v4, v21, 4, v4
	v_mov_b32_e32 v21, 1
	ds_add_u32 v4, v21 offset:8192
	s_add_i32 s4, s8, 24
	s_cmp_gt_u32 s9, s4
                                        ; implicit-def: $vgpr23
	s_cbranch_scc0 .LBB1393_408
; %bb.406:
	s_sub_i32 s2, s9, s4
	s_min_u32 s2, s2, 8
	v_lshrrev_b32_e32 v4, s4, v5
	v_bfe_u32 v4, v4, 0, s2
	v_mov_b32_e32 v5, 0x3000
	v_lshl_add_u32 v23, v4, 4, v5
	s_mov_b64 s[2:3], -1
	s_branch .LBB1393_408
.LBB1393_407:
                                        ; implicit-def: $vgpr23
.LBB1393_408:
	s_and_b64 vcc, exec, s[2:3]
	s_cbranch_vccz .LBB1393_410
; %bb.409:
	v_lshl_add_u32 v3, v3, 2, v23
	v_mov_b32_e32 v4, 1
	ds_add_u32 v3, v4
.LBB1393_410:
	s_and_b64 vcc, exec, s[0:1]
	s_waitcnt lgkmcnt(0)
	s_barrier
	s_cbranch_vccz .LBB1393_415
; %bb.411:
	s_movk_i32 s0, 0x100
	v_cmp_gt_u32_e32 vcc, s0, v0
	v_lshlrev_b32_e32 v3, 4, v0
	v_mov_b32_e32 v5, 0
	v_mov_b32_e32 v4, v0
	s_branch .LBB1393_413
.LBB1393_412:                           ;   in Loop: Header=BB1393_413 Depth=1
	s_or_b64 exec, exec, s[0:1]
	s_add_i32 s8, s8, 8
	v_add_u32_e32 v4, 0x100, v4
	s_cmp_ge_u32 s8, s9
	v_add_u32_e32 v3, 0x1000, v3
	s_cbranch_scc1 .LBB1393_415
.LBB1393_413:                           ; =>This Inner Loop Header: Depth=1
	s_and_saveexec_b64 s[0:1], vcc
	s_cbranch_execz .LBB1393_412
; %bb.414:                              ;   in Loop: Header=BB1393_413 Depth=1
	ds_read2_b32 v[22:23], v3 offset1:1
	ds_read2_b32 v[24:25], v3 offset0:2 offset1:3
	s_waitcnt lgkmcnt(1)
	v_add_u32_e32 v21, v23, v22
	s_waitcnt lgkmcnt(0)
	v_add3_u32 v21, v21, v24, v25
	v_lshl_add_u64 v[22:23], v[4:5], 2, s[6:7]
	global_atomic_add v[22:23], v21, off
	s_branch .LBB1393_412
.LBB1393_415:
	s_mov_b64 s[0:1], 0
.LBB1393_416:
	s_and_b64 vcc, exec, s[0:1]
	s_cbranch_vccz .LBB1393_419
; %bb.417:
	v_mov_b32_e32 v3, 0
	ds_write2st64_b32 v2, v3, v3 offset1:16
	ds_write2st64_b32 v2, v3, v3 offset0:32 offset1:48
	v_and_b32_e32 v3, 3, v0
	s_waitcnt vmcnt(7)
	v_lshlrev_b32_e32 v4, 4, v20
	v_lshlrev_b32_e32 v3, 2, v3
	s_movk_i32 s0, 0xff0
	v_and_or_b32 v4, v4, s0, v3
	v_mov_b32_e32 v5, 1
	s_waitcnt lgkmcnt(0)
	s_barrier
	ds_add_u32 v4, v5
	v_bfe_u32 v4, v20, 8, 8
	v_lshl_or_b32 v4, v4, 4, v3
	ds_add_u32 v4, v5 offset:4096
	v_bfe_u32 v4, v20, 16, 8
	v_lshl_or_b32 v4, v4, 4, v3
	ds_add_u32 v4, v5 offset:8192
	v_mov_b32_e32 v4, 2
	v_lshlrev_b32_sdwa v20, v4, v20 dst_sel:DWORD dst_unused:UNUSED_PAD src0_sel:DWORD src1_sel:BYTE_3
	v_xor_b32_e32 v20, 0x200, v20
	v_lshl_or_b32 v20, v20, 2, v3
	ds_add_u32 v20, v5 offset:12288
	s_waitcnt vmcnt(6)
	v_lshlrev_b32_e32 v20, 4, v19
	v_and_or_b32 v20, v20, s0, v3
	ds_add_u32 v20, v5
	v_bfe_u32 v20, v19, 8, 8
	v_lshl_or_b32 v20, v20, 4, v3
	ds_add_u32 v20, v5 offset:4096
	v_bfe_u32 v20, v19, 16, 8
	v_lshlrev_b32_sdwa v19, v4, v19 dst_sel:DWORD dst_unused:UNUSED_PAD src0_sel:DWORD src1_sel:BYTE_3
	v_lshl_or_b32 v20, v20, 4, v3
	v_xor_b32_e32 v19, 0x200, v19
	ds_add_u32 v20, v5 offset:8192
	v_lshl_or_b32 v19, v19, 2, v3
	ds_add_u32 v19, v5 offset:12288
	s_waitcnt vmcnt(5)
	v_lshlrev_b32_e32 v19, 4, v18
	v_and_or_b32 v19, v19, s0, v3
	ds_add_u32 v19, v5
	v_bfe_u32 v19, v18, 8, 8
	v_lshl_or_b32 v19, v19, 4, v3
	ds_add_u32 v19, v5 offset:4096
	v_bfe_u32 v19, v18, 16, 8
	v_lshlrev_b32_sdwa v18, v4, v18 dst_sel:DWORD dst_unused:UNUSED_PAD src0_sel:DWORD src1_sel:BYTE_3
	v_lshl_or_b32 v19, v19, 4, v3
	v_xor_b32_e32 v18, 0x200, v18
	ds_add_u32 v19, v5 offset:8192
	;; [unrolled: 14-line block ×4, first 2 shown]
	v_lshl_or_b32 v16, v16, 2, v3
	ds_add_u32 v16, v5 offset:12288
	v_lshlrev_b32_e32 v16, 4, v15
	v_and_or_b32 v16, v16, s0, v3
	ds_add_u32 v16, v5
	v_bfe_u32 v16, v15, 8, 8
	v_lshl_or_b32 v16, v16, 4, v3
	ds_add_u32 v16, v5 offset:4096
	v_bfe_u32 v16, v15, 16, 8
	v_lshlrev_b32_sdwa v15, v4, v15 dst_sel:DWORD dst_unused:UNUSED_PAD src0_sel:DWORD src1_sel:BYTE_3
	v_lshl_or_b32 v16, v16, 4, v3
	v_xor_b32_e32 v15, 0x200, v15
	ds_add_u32 v16, v5 offset:8192
	v_lshl_or_b32 v15, v15, 2, v3
	ds_add_u32 v15, v5 offset:12288
	v_lshlrev_b32_e32 v15, 4, v14
	v_and_or_b32 v15, v15, s0, v3
	ds_add_u32 v15, v5
	v_bfe_u32 v15, v14, 8, 8
	v_lshl_or_b32 v15, v15, 4, v3
	ds_add_u32 v15, v5 offset:4096
	v_bfe_u32 v15, v14, 16, 8
	v_lshlrev_b32_sdwa v14, v4, v14 dst_sel:DWORD dst_unused:UNUSED_PAD src0_sel:DWORD src1_sel:BYTE_3
	v_lshl_or_b32 v15, v15, 4, v3
	v_xor_b32_e32 v14, 0x200, v14
	ds_add_u32 v15, v5 offset:8192
	;; [unrolled: 13-line block ×8, first 2 shown]
	v_lshl_or_b32 v6, v6, 2, v3
	ds_add_u32 v6, v5 offset:12288
	s_waitcnt vmcnt(2)
	v_lshlrev_b32_e32 v6, 4, v9
	v_and_or_b32 v6, v6, s0, v3
	ds_add_u32 v6, v5
	v_bfe_u32 v6, v9, 8, 8
	v_lshl_or_b32 v6, v6, 4, v3
	ds_add_u32 v6, v5 offset:4096
	v_bfe_u32 v6, v9, 16, 8
	v_lshl_or_b32 v6, v6, 4, v3
	ds_add_u32 v6, v5 offset:8192
	v_lshlrev_b32_sdwa v6, v4, v9 dst_sel:DWORD dst_unused:UNUSED_PAD src0_sel:DWORD src1_sel:BYTE_3
	v_xor_b32_e32 v6, 0x200, v6
	v_lshl_or_b32 v6, v6, 2, v3
	ds_add_u32 v6, v5 offset:12288
	s_waitcnt vmcnt(1)
	v_lshlrev_b32_e32 v6, 4, v7
	v_and_or_b32 v6, v6, s0, v3
	ds_add_u32 v6, v5
	v_bfe_u32 v6, v7, 8, 8
	v_lshl_or_b32 v6, v6, 4, v3
	ds_add_u32 v6, v5 offset:4096
	v_bfe_u32 v6, v7, 16, 8
	v_lshl_or_b32 v6, v6, 4, v3
	ds_add_u32 v6, v5 offset:8192
	v_lshlrev_b32_sdwa v6, v4, v7 dst_sel:DWORD dst_unused:UNUSED_PAD src0_sel:DWORD src1_sel:BYTE_3
	v_xor_b32_e32 v6, 0x200, v6
	v_lshl_or_b32 v6, v6, 2, v3
	ds_add_u32 v6, v5 offset:12288
	s_waitcnt vmcnt(0)
	v_lshlrev_b32_e32 v6, 4, v1
	v_and_or_b32 v6, v6, s0, v3
	ds_add_u32 v6, v5
	v_bfe_u32 v6, v1, 8, 8
	v_lshl_or_b32 v6, v6, 4, v3
	ds_add_u32 v6, v5 offset:4096
	v_bfe_u32 v6, v1, 16, 8
	v_lshlrev_b32_sdwa v1, v4, v1 dst_sel:DWORD dst_unused:UNUSED_PAD src0_sel:DWORD src1_sel:BYTE_3
	v_lshl_or_b32 v6, v6, 4, v3
	v_xor_b32_e32 v1, 0x200, v1
	ds_add_u32 v6, v5 offset:8192
	v_lshl_or_b32 v1, v1, 2, v3
	ds_add_u32 v1, v5 offset:12288
	s_movk_i32 s0, 0x100
	v_cmp_gt_u32_e32 vcc, s0, v0
	s_waitcnt lgkmcnt(0)
	s_barrier
	s_and_saveexec_b64 s[0:1], vcc
	s_cbranch_execz .LBB1393_419
; %bb.418:
	v_lshlrev_b32_e32 v3, 4, v0
	ds_read2_b32 v[0:1], v3 offset1:1
	ds_read2_b32 v[4:5], v3 offset0:2 offset1:3
	v_add_u32_e32 v6, 0x1000, v3
	v_add_u32_e32 v7, 0x1008, v3
	s_waitcnt lgkmcnt(1)
	v_add_u32_e32 v0, v1, v0
	s_waitcnt lgkmcnt(0)
	v_add3_u32 v0, v0, v4, v5
	global_atomic_add v2, v0, s[6:7]
	ds_read2_b32 v[0:1], v6 offset1:1
	ds_read2_b32 v[4:5], v7 offset1:1
	v_add_u32_e32 v6, 0x2000, v3
	v_add_u32_e32 v7, 0x2008, v3
	s_waitcnt lgkmcnt(1)
	v_add_u32_e32 v0, v1, v0
	s_waitcnt lgkmcnt(0)
	v_add3_u32 v0, v0, v4, v5
	global_atomic_add v2, v0, s[6:7] offset:1024
	ds_read2_b32 v[0:1], v6 offset1:1
	ds_read2_b32 v[4:5], v7 offset1:1
	v_add_u32_e32 v6, 0x3000, v3
	v_add_u32_e32 v3, 0x3008, v3
	s_waitcnt lgkmcnt(1)
	v_add_u32_e32 v0, v1, v0
	s_waitcnt lgkmcnt(0)
	v_add3_u32 v0, v0, v4, v5
	global_atomic_add v2, v0, s[6:7] offset:2048
	ds_read2_b32 v[0:1], v6 offset1:1
	ds_read2_b32 v[4:5], v3 offset1:1
	s_waitcnt lgkmcnt(1)
	v_add_u32_e32 v0, v1, v0
	s_waitcnt lgkmcnt(0)
	v_add3_u32 v0, v0, v4, v5
	global_atomic_add v2, v0, s[6:7] offset:3072
.LBB1393_419:
	s_endpgm
	.section	.rodata,"a",@progbits
	.p2align	6, 0x0
	.amdhsa_kernel _ZN7rocprim17ROCPRIM_400000_NS6detail17trampoline_kernelINS0_14default_configENS1_35radix_sort_onesweep_config_selectorIiiEEZNS1_34radix_sort_onesweep_global_offsetsIS3_Lb0EN6thrust23THRUST_200600_302600_NS6detail15normal_iteratorINS8_10device_ptrIiEEEESD_jNS0_19identity_decomposerEEE10hipError_tT1_T2_PT3_SI_jT4_jjP12ihipStream_tbEUlT_E_NS1_11comp_targetILNS1_3genE6ELNS1_11target_archE950ELNS1_3gpuE13ELNS1_3repE0EEENS1_52radix_sort_onesweep_histogram_config_static_selectorELNS0_4arch9wavefront6targetE1EEEvSG_
		.amdhsa_group_segment_fixed_size 16384
		.amdhsa_private_segment_fixed_size 0
		.amdhsa_kernarg_size 40
		.amdhsa_user_sgpr_count 2
		.amdhsa_user_sgpr_dispatch_ptr 0
		.amdhsa_user_sgpr_queue_ptr 0
		.amdhsa_user_sgpr_kernarg_segment_ptr 1
		.amdhsa_user_sgpr_dispatch_id 0
		.amdhsa_user_sgpr_kernarg_preload_length 0
		.amdhsa_user_sgpr_kernarg_preload_offset 0
		.amdhsa_user_sgpr_private_segment_size 0
		.amdhsa_uses_dynamic_stack 0
		.amdhsa_enable_private_segment 0
		.amdhsa_system_sgpr_workgroup_id_x 1
		.amdhsa_system_sgpr_workgroup_id_y 0
		.amdhsa_system_sgpr_workgroup_id_z 0
		.amdhsa_system_sgpr_workgroup_info 0
		.amdhsa_system_vgpr_workitem_id 0
		.amdhsa_next_free_vgpr 36
		.amdhsa_next_free_sgpr 19
		.amdhsa_accum_offset 36
		.amdhsa_reserve_vcc 1
		.amdhsa_float_round_mode_32 0
		.amdhsa_float_round_mode_16_64 0
		.amdhsa_float_denorm_mode_32 3
		.amdhsa_float_denorm_mode_16_64 3
		.amdhsa_dx10_clamp 1
		.amdhsa_ieee_mode 1
		.amdhsa_fp16_overflow 0
		.amdhsa_tg_split 0
		.amdhsa_exception_fp_ieee_invalid_op 0
		.amdhsa_exception_fp_denorm_src 0
		.amdhsa_exception_fp_ieee_div_zero 0
		.amdhsa_exception_fp_ieee_overflow 0
		.amdhsa_exception_fp_ieee_underflow 0
		.amdhsa_exception_fp_ieee_inexact 0
		.amdhsa_exception_int_div_zero 0
	.end_amdhsa_kernel
	.section	.text._ZN7rocprim17ROCPRIM_400000_NS6detail17trampoline_kernelINS0_14default_configENS1_35radix_sort_onesweep_config_selectorIiiEEZNS1_34radix_sort_onesweep_global_offsetsIS3_Lb0EN6thrust23THRUST_200600_302600_NS6detail15normal_iteratorINS8_10device_ptrIiEEEESD_jNS0_19identity_decomposerEEE10hipError_tT1_T2_PT3_SI_jT4_jjP12ihipStream_tbEUlT_E_NS1_11comp_targetILNS1_3genE6ELNS1_11target_archE950ELNS1_3gpuE13ELNS1_3repE0EEENS1_52radix_sort_onesweep_histogram_config_static_selectorELNS0_4arch9wavefront6targetE1EEEvSG_,"axG",@progbits,_ZN7rocprim17ROCPRIM_400000_NS6detail17trampoline_kernelINS0_14default_configENS1_35radix_sort_onesweep_config_selectorIiiEEZNS1_34radix_sort_onesweep_global_offsetsIS3_Lb0EN6thrust23THRUST_200600_302600_NS6detail15normal_iteratorINS8_10device_ptrIiEEEESD_jNS0_19identity_decomposerEEE10hipError_tT1_T2_PT3_SI_jT4_jjP12ihipStream_tbEUlT_E_NS1_11comp_targetILNS1_3genE6ELNS1_11target_archE950ELNS1_3gpuE13ELNS1_3repE0EEENS1_52radix_sort_onesweep_histogram_config_static_selectorELNS0_4arch9wavefront6targetE1EEEvSG_,comdat
.Lfunc_end1393:
	.size	_ZN7rocprim17ROCPRIM_400000_NS6detail17trampoline_kernelINS0_14default_configENS1_35radix_sort_onesweep_config_selectorIiiEEZNS1_34radix_sort_onesweep_global_offsetsIS3_Lb0EN6thrust23THRUST_200600_302600_NS6detail15normal_iteratorINS8_10device_ptrIiEEEESD_jNS0_19identity_decomposerEEE10hipError_tT1_T2_PT3_SI_jT4_jjP12ihipStream_tbEUlT_E_NS1_11comp_targetILNS1_3genE6ELNS1_11target_archE950ELNS1_3gpuE13ELNS1_3repE0EEENS1_52radix_sort_onesweep_histogram_config_static_selectorELNS0_4arch9wavefront6targetE1EEEvSG_, .Lfunc_end1393-_ZN7rocprim17ROCPRIM_400000_NS6detail17trampoline_kernelINS0_14default_configENS1_35radix_sort_onesweep_config_selectorIiiEEZNS1_34radix_sort_onesweep_global_offsetsIS3_Lb0EN6thrust23THRUST_200600_302600_NS6detail15normal_iteratorINS8_10device_ptrIiEEEESD_jNS0_19identity_decomposerEEE10hipError_tT1_T2_PT3_SI_jT4_jjP12ihipStream_tbEUlT_E_NS1_11comp_targetILNS1_3genE6ELNS1_11target_archE950ELNS1_3gpuE13ELNS1_3repE0EEENS1_52radix_sort_onesweep_histogram_config_static_selectorELNS0_4arch9wavefront6targetE1EEEvSG_
                                        ; -- End function
	.set _ZN7rocprim17ROCPRIM_400000_NS6detail17trampoline_kernelINS0_14default_configENS1_35radix_sort_onesweep_config_selectorIiiEEZNS1_34radix_sort_onesweep_global_offsetsIS3_Lb0EN6thrust23THRUST_200600_302600_NS6detail15normal_iteratorINS8_10device_ptrIiEEEESD_jNS0_19identity_decomposerEEE10hipError_tT1_T2_PT3_SI_jT4_jjP12ihipStream_tbEUlT_E_NS1_11comp_targetILNS1_3genE6ELNS1_11target_archE950ELNS1_3gpuE13ELNS1_3repE0EEENS1_52radix_sort_onesweep_histogram_config_static_selectorELNS0_4arch9wavefront6targetE1EEEvSG_.num_vgpr, 36
	.set _ZN7rocprim17ROCPRIM_400000_NS6detail17trampoline_kernelINS0_14default_configENS1_35radix_sort_onesweep_config_selectorIiiEEZNS1_34radix_sort_onesweep_global_offsetsIS3_Lb0EN6thrust23THRUST_200600_302600_NS6detail15normal_iteratorINS8_10device_ptrIiEEEESD_jNS0_19identity_decomposerEEE10hipError_tT1_T2_PT3_SI_jT4_jjP12ihipStream_tbEUlT_E_NS1_11comp_targetILNS1_3genE6ELNS1_11target_archE950ELNS1_3gpuE13ELNS1_3repE0EEENS1_52radix_sort_onesweep_histogram_config_static_selectorELNS0_4arch9wavefront6targetE1EEEvSG_.num_agpr, 0
	.set _ZN7rocprim17ROCPRIM_400000_NS6detail17trampoline_kernelINS0_14default_configENS1_35radix_sort_onesweep_config_selectorIiiEEZNS1_34radix_sort_onesweep_global_offsetsIS3_Lb0EN6thrust23THRUST_200600_302600_NS6detail15normal_iteratorINS8_10device_ptrIiEEEESD_jNS0_19identity_decomposerEEE10hipError_tT1_T2_PT3_SI_jT4_jjP12ihipStream_tbEUlT_E_NS1_11comp_targetILNS1_3genE6ELNS1_11target_archE950ELNS1_3gpuE13ELNS1_3repE0EEENS1_52radix_sort_onesweep_histogram_config_static_selectorELNS0_4arch9wavefront6targetE1EEEvSG_.numbered_sgpr, 19
	.set _ZN7rocprim17ROCPRIM_400000_NS6detail17trampoline_kernelINS0_14default_configENS1_35radix_sort_onesweep_config_selectorIiiEEZNS1_34radix_sort_onesweep_global_offsetsIS3_Lb0EN6thrust23THRUST_200600_302600_NS6detail15normal_iteratorINS8_10device_ptrIiEEEESD_jNS0_19identity_decomposerEEE10hipError_tT1_T2_PT3_SI_jT4_jjP12ihipStream_tbEUlT_E_NS1_11comp_targetILNS1_3genE6ELNS1_11target_archE950ELNS1_3gpuE13ELNS1_3repE0EEENS1_52radix_sort_onesweep_histogram_config_static_selectorELNS0_4arch9wavefront6targetE1EEEvSG_.num_named_barrier, 0
	.set _ZN7rocprim17ROCPRIM_400000_NS6detail17trampoline_kernelINS0_14default_configENS1_35radix_sort_onesweep_config_selectorIiiEEZNS1_34radix_sort_onesweep_global_offsetsIS3_Lb0EN6thrust23THRUST_200600_302600_NS6detail15normal_iteratorINS8_10device_ptrIiEEEESD_jNS0_19identity_decomposerEEE10hipError_tT1_T2_PT3_SI_jT4_jjP12ihipStream_tbEUlT_E_NS1_11comp_targetILNS1_3genE6ELNS1_11target_archE950ELNS1_3gpuE13ELNS1_3repE0EEENS1_52radix_sort_onesweep_histogram_config_static_selectorELNS0_4arch9wavefront6targetE1EEEvSG_.private_seg_size, 0
	.set _ZN7rocprim17ROCPRIM_400000_NS6detail17trampoline_kernelINS0_14default_configENS1_35radix_sort_onesweep_config_selectorIiiEEZNS1_34radix_sort_onesweep_global_offsetsIS3_Lb0EN6thrust23THRUST_200600_302600_NS6detail15normal_iteratorINS8_10device_ptrIiEEEESD_jNS0_19identity_decomposerEEE10hipError_tT1_T2_PT3_SI_jT4_jjP12ihipStream_tbEUlT_E_NS1_11comp_targetILNS1_3genE6ELNS1_11target_archE950ELNS1_3gpuE13ELNS1_3repE0EEENS1_52radix_sort_onesweep_histogram_config_static_selectorELNS0_4arch9wavefront6targetE1EEEvSG_.uses_vcc, 1
	.set _ZN7rocprim17ROCPRIM_400000_NS6detail17trampoline_kernelINS0_14default_configENS1_35radix_sort_onesweep_config_selectorIiiEEZNS1_34radix_sort_onesweep_global_offsetsIS3_Lb0EN6thrust23THRUST_200600_302600_NS6detail15normal_iteratorINS8_10device_ptrIiEEEESD_jNS0_19identity_decomposerEEE10hipError_tT1_T2_PT3_SI_jT4_jjP12ihipStream_tbEUlT_E_NS1_11comp_targetILNS1_3genE6ELNS1_11target_archE950ELNS1_3gpuE13ELNS1_3repE0EEENS1_52radix_sort_onesweep_histogram_config_static_selectorELNS0_4arch9wavefront6targetE1EEEvSG_.uses_flat_scratch, 0
	.set _ZN7rocprim17ROCPRIM_400000_NS6detail17trampoline_kernelINS0_14default_configENS1_35radix_sort_onesweep_config_selectorIiiEEZNS1_34radix_sort_onesweep_global_offsetsIS3_Lb0EN6thrust23THRUST_200600_302600_NS6detail15normal_iteratorINS8_10device_ptrIiEEEESD_jNS0_19identity_decomposerEEE10hipError_tT1_T2_PT3_SI_jT4_jjP12ihipStream_tbEUlT_E_NS1_11comp_targetILNS1_3genE6ELNS1_11target_archE950ELNS1_3gpuE13ELNS1_3repE0EEENS1_52radix_sort_onesweep_histogram_config_static_selectorELNS0_4arch9wavefront6targetE1EEEvSG_.has_dyn_sized_stack, 0
	.set _ZN7rocprim17ROCPRIM_400000_NS6detail17trampoline_kernelINS0_14default_configENS1_35radix_sort_onesweep_config_selectorIiiEEZNS1_34radix_sort_onesweep_global_offsetsIS3_Lb0EN6thrust23THRUST_200600_302600_NS6detail15normal_iteratorINS8_10device_ptrIiEEEESD_jNS0_19identity_decomposerEEE10hipError_tT1_T2_PT3_SI_jT4_jjP12ihipStream_tbEUlT_E_NS1_11comp_targetILNS1_3genE6ELNS1_11target_archE950ELNS1_3gpuE13ELNS1_3repE0EEENS1_52radix_sort_onesweep_histogram_config_static_selectorELNS0_4arch9wavefront6targetE1EEEvSG_.has_recursion, 0
	.set _ZN7rocprim17ROCPRIM_400000_NS6detail17trampoline_kernelINS0_14default_configENS1_35radix_sort_onesweep_config_selectorIiiEEZNS1_34radix_sort_onesweep_global_offsetsIS3_Lb0EN6thrust23THRUST_200600_302600_NS6detail15normal_iteratorINS8_10device_ptrIiEEEESD_jNS0_19identity_decomposerEEE10hipError_tT1_T2_PT3_SI_jT4_jjP12ihipStream_tbEUlT_E_NS1_11comp_targetILNS1_3genE6ELNS1_11target_archE950ELNS1_3gpuE13ELNS1_3repE0EEENS1_52radix_sort_onesweep_histogram_config_static_selectorELNS0_4arch9wavefront6targetE1EEEvSG_.has_indirect_call, 0
	.section	.AMDGPU.csdata,"",@progbits
; Kernel info:
; codeLenInByte = 13964
; TotalNumSgprs: 25
; NumVgprs: 36
; NumAgprs: 0
; TotalNumVgprs: 36
; ScratchSize: 0
; MemoryBound: 0
; FloatMode: 240
; IeeeMode: 1
; LDSByteSize: 16384 bytes/workgroup (compile time only)
; SGPRBlocks: 3
; VGPRBlocks: 4
; NumSGPRsForWavesPerEU: 25
; NumVGPRsForWavesPerEU: 36
; AccumOffset: 36
; Occupancy: 8
; WaveLimiterHint : 1
; COMPUTE_PGM_RSRC2:SCRATCH_EN: 0
; COMPUTE_PGM_RSRC2:USER_SGPR: 2
; COMPUTE_PGM_RSRC2:TRAP_HANDLER: 0
; COMPUTE_PGM_RSRC2:TGID_X_EN: 1
; COMPUTE_PGM_RSRC2:TGID_Y_EN: 0
; COMPUTE_PGM_RSRC2:TGID_Z_EN: 0
; COMPUTE_PGM_RSRC2:TIDIG_COMP_CNT: 0
; COMPUTE_PGM_RSRC3_GFX90A:ACCUM_OFFSET: 8
; COMPUTE_PGM_RSRC3_GFX90A:TG_SPLIT: 0
	.section	.text._ZN7rocprim17ROCPRIM_400000_NS6detail17trampoline_kernelINS0_14default_configENS1_35radix_sort_onesweep_config_selectorIiiEEZNS1_34radix_sort_onesweep_global_offsetsIS3_Lb0EN6thrust23THRUST_200600_302600_NS6detail15normal_iteratorINS8_10device_ptrIiEEEESD_jNS0_19identity_decomposerEEE10hipError_tT1_T2_PT3_SI_jT4_jjP12ihipStream_tbEUlT_E_NS1_11comp_targetILNS1_3genE5ELNS1_11target_archE942ELNS1_3gpuE9ELNS1_3repE0EEENS1_52radix_sort_onesweep_histogram_config_static_selectorELNS0_4arch9wavefront6targetE1EEEvSG_,"axG",@progbits,_ZN7rocprim17ROCPRIM_400000_NS6detail17trampoline_kernelINS0_14default_configENS1_35radix_sort_onesweep_config_selectorIiiEEZNS1_34radix_sort_onesweep_global_offsetsIS3_Lb0EN6thrust23THRUST_200600_302600_NS6detail15normal_iteratorINS8_10device_ptrIiEEEESD_jNS0_19identity_decomposerEEE10hipError_tT1_T2_PT3_SI_jT4_jjP12ihipStream_tbEUlT_E_NS1_11comp_targetILNS1_3genE5ELNS1_11target_archE942ELNS1_3gpuE9ELNS1_3repE0EEENS1_52radix_sort_onesweep_histogram_config_static_selectorELNS0_4arch9wavefront6targetE1EEEvSG_,comdat
	.protected	_ZN7rocprim17ROCPRIM_400000_NS6detail17trampoline_kernelINS0_14default_configENS1_35radix_sort_onesweep_config_selectorIiiEEZNS1_34radix_sort_onesweep_global_offsetsIS3_Lb0EN6thrust23THRUST_200600_302600_NS6detail15normal_iteratorINS8_10device_ptrIiEEEESD_jNS0_19identity_decomposerEEE10hipError_tT1_T2_PT3_SI_jT4_jjP12ihipStream_tbEUlT_E_NS1_11comp_targetILNS1_3genE5ELNS1_11target_archE942ELNS1_3gpuE9ELNS1_3repE0EEENS1_52radix_sort_onesweep_histogram_config_static_selectorELNS0_4arch9wavefront6targetE1EEEvSG_ ; -- Begin function _ZN7rocprim17ROCPRIM_400000_NS6detail17trampoline_kernelINS0_14default_configENS1_35radix_sort_onesweep_config_selectorIiiEEZNS1_34radix_sort_onesweep_global_offsetsIS3_Lb0EN6thrust23THRUST_200600_302600_NS6detail15normal_iteratorINS8_10device_ptrIiEEEESD_jNS0_19identity_decomposerEEE10hipError_tT1_T2_PT3_SI_jT4_jjP12ihipStream_tbEUlT_E_NS1_11comp_targetILNS1_3genE5ELNS1_11target_archE942ELNS1_3gpuE9ELNS1_3repE0EEENS1_52radix_sort_onesweep_histogram_config_static_selectorELNS0_4arch9wavefront6targetE1EEEvSG_
	.globl	_ZN7rocprim17ROCPRIM_400000_NS6detail17trampoline_kernelINS0_14default_configENS1_35radix_sort_onesweep_config_selectorIiiEEZNS1_34radix_sort_onesweep_global_offsetsIS3_Lb0EN6thrust23THRUST_200600_302600_NS6detail15normal_iteratorINS8_10device_ptrIiEEEESD_jNS0_19identity_decomposerEEE10hipError_tT1_T2_PT3_SI_jT4_jjP12ihipStream_tbEUlT_E_NS1_11comp_targetILNS1_3genE5ELNS1_11target_archE942ELNS1_3gpuE9ELNS1_3repE0EEENS1_52radix_sort_onesweep_histogram_config_static_selectorELNS0_4arch9wavefront6targetE1EEEvSG_
	.p2align	8
	.type	_ZN7rocprim17ROCPRIM_400000_NS6detail17trampoline_kernelINS0_14default_configENS1_35radix_sort_onesweep_config_selectorIiiEEZNS1_34radix_sort_onesweep_global_offsetsIS3_Lb0EN6thrust23THRUST_200600_302600_NS6detail15normal_iteratorINS8_10device_ptrIiEEEESD_jNS0_19identity_decomposerEEE10hipError_tT1_T2_PT3_SI_jT4_jjP12ihipStream_tbEUlT_E_NS1_11comp_targetILNS1_3genE5ELNS1_11target_archE942ELNS1_3gpuE9ELNS1_3repE0EEENS1_52radix_sort_onesweep_histogram_config_static_selectorELNS0_4arch9wavefront6targetE1EEEvSG_,@function
_ZN7rocprim17ROCPRIM_400000_NS6detail17trampoline_kernelINS0_14default_configENS1_35radix_sort_onesweep_config_selectorIiiEEZNS1_34radix_sort_onesweep_global_offsetsIS3_Lb0EN6thrust23THRUST_200600_302600_NS6detail15normal_iteratorINS8_10device_ptrIiEEEESD_jNS0_19identity_decomposerEEE10hipError_tT1_T2_PT3_SI_jT4_jjP12ihipStream_tbEUlT_E_NS1_11comp_targetILNS1_3genE5ELNS1_11target_archE942ELNS1_3gpuE9ELNS1_3repE0EEENS1_52radix_sort_onesweep_histogram_config_static_selectorELNS0_4arch9wavefront6targetE1EEEvSG_: ; @_ZN7rocprim17ROCPRIM_400000_NS6detail17trampoline_kernelINS0_14default_configENS1_35radix_sort_onesweep_config_selectorIiiEEZNS1_34radix_sort_onesweep_global_offsetsIS3_Lb0EN6thrust23THRUST_200600_302600_NS6detail15normal_iteratorINS8_10device_ptrIiEEEESD_jNS0_19identity_decomposerEEE10hipError_tT1_T2_PT3_SI_jT4_jjP12ihipStream_tbEUlT_E_NS1_11comp_targetILNS1_3genE5ELNS1_11target_archE942ELNS1_3gpuE9ELNS1_3repE0EEENS1_52radix_sort_onesweep_histogram_config_static_selectorELNS0_4arch9wavefront6targetE1EEEvSG_
; %bb.0:
	.section	.rodata,"a",@progbits
	.p2align	6, 0x0
	.amdhsa_kernel _ZN7rocprim17ROCPRIM_400000_NS6detail17trampoline_kernelINS0_14default_configENS1_35radix_sort_onesweep_config_selectorIiiEEZNS1_34radix_sort_onesweep_global_offsetsIS3_Lb0EN6thrust23THRUST_200600_302600_NS6detail15normal_iteratorINS8_10device_ptrIiEEEESD_jNS0_19identity_decomposerEEE10hipError_tT1_T2_PT3_SI_jT4_jjP12ihipStream_tbEUlT_E_NS1_11comp_targetILNS1_3genE5ELNS1_11target_archE942ELNS1_3gpuE9ELNS1_3repE0EEENS1_52radix_sort_onesweep_histogram_config_static_selectorELNS0_4arch9wavefront6targetE1EEEvSG_
		.amdhsa_group_segment_fixed_size 0
		.amdhsa_private_segment_fixed_size 0
		.amdhsa_kernarg_size 40
		.amdhsa_user_sgpr_count 2
		.amdhsa_user_sgpr_dispatch_ptr 0
		.amdhsa_user_sgpr_queue_ptr 0
		.amdhsa_user_sgpr_kernarg_segment_ptr 1
		.amdhsa_user_sgpr_dispatch_id 0
		.amdhsa_user_sgpr_kernarg_preload_length 0
		.amdhsa_user_sgpr_kernarg_preload_offset 0
		.amdhsa_user_sgpr_private_segment_size 0
		.amdhsa_uses_dynamic_stack 0
		.amdhsa_enable_private_segment 0
		.amdhsa_system_sgpr_workgroup_id_x 1
		.amdhsa_system_sgpr_workgroup_id_y 0
		.amdhsa_system_sgpr_workgroup_id_z 0
		.amdhsa_system_sgpr_workgroup_info 0
		.amdhsa_system_vgpr_workitem_id 0
		.amdhsa_next_free_vgpr 1
		.amdhsa_next_free_sgpr 0
		.amdhsa_accum_offset 4
		.amdhsa_reserve_vcc 0
		.amdhsa_float_round_mode_32 0
		.amdhsa_float_round_mode_16_64 0
		.amdhsa_float_denorm_mode_32 3
		.amdhsa_float_denorm_mode_16_64 3
		.amdhsa_dx10_clamp 1
		.amdhsa_ieee_mode 1
		.amdhsa_fp16_overflow 0
		.amdhsa_tg_split 0
		.amdhsa_exception_fp_ieee_invalid_op 0
		.amdhsa_exception_fp_denorm_src 0
		.amdhsa_exception_fp_ieee_div_zero 0
		.amdhsa_exception_fp_ieee_overflow 0
		.amdhsa_exception_fp_ieee_underflow 0
		.amdhsa_exception_fp_ieee_inexact 0
		.amdhsa_exception_int_div_zero 0
	.end_amdhsa_kernel
	.section	.text._ZN7rocprim17ROCPRIM_400000_NS6detail17trampoline_kernelINS0_14default_configENS1_35radix_sort_onesweep_config_selectorIiiEEZNS1_34radix_sort_onesweep_global_offsetsIS3_Lb0EN6thrust23THRUST_200600_302600_NS6detail15normal_iteratorINS8_10device_ptrIiEEEESD_jNS0_19identity_decomposerEEE10hipError_tT1_T2_PT3_SI_jT4_jjP12ihipStream_tbEUlT_E_NS1_11comp_targetILNS1_3genE5ELNS1_11target_archE942ELNS1_3gpuE9ELNS1_3repE0EEENS1_52radix_sort_onesweep_histogram_config_static_selectorELNS0_4arch9wavefront6targetE1EEEvSG_,"axG",@progbits,_ZN7rocprim17ROCPRIM_400000_NS6detail17trampoline_kernelINS0_14default_configENS1_35radix_sort_onesweep_config_selectorIiiEEZNS1_34radix_sort_onesweep_global_offsetsIS3_Lb0EN6thrust23THRUST_200600_302600_NS6detail15normal_iteratorINS8_10device_ptrIiEEEESD_jNS0_19identity_decomposerEEE10hipError_tT1_T2_PT3_SI_jT4_jjP12ihipStream_tbEUlT_E_NS1_11comp_targetILNS1_3genE5ELNS1_11target_archE942ELNS1_3gpuE9ELNS1_3repE0EEENS1_52radix_sort_onesweep_histogram_config_static_selectorELNS0_4arch9wavefront6targetE1EEEvSG_,comdat
.Lfunc_end1394:
	.size	_ZN7rocprim17ROCPRIM_400000_NS6detail17trampoline_kernelINS0_14default_configENS1_35radix_sort_onesweep_config_selectorIiiEEZNS1_34radix_sort_onesweep_global_offsetsIS3_Lb0EN6thrust23THRUST_200600_302600_NS6detail15normal_iteratorINS8_10device_ptrIiEEEESD_jNS0_19identity_decomposerEEE10hipError_tT1_T2_PT3_SI_jT4_jjP12ihipStream_tbEUlT_E_NS1_11comp_targetILNS1_3genE5ELNS1_11target_archE942ELNS1_3gpuE9ELNS1_3repE0EEENS1_52radix_sort_onesweep_histogram_config_static_selectorELNS0_4arch9wavefront6targetE1EEEvSG_, .Lfunc_end1394-_ZN7rocprim17ROCPRIM_400000_NS6detail17trampoline_kernelINS0_14default_configENS1_35radix_sort_onesweep_config_selectorIiiEEZNS1_34radix_sort_onesweep_global_offsetsIS3_Lb0EN6thrust23THRUST_200600_302600_NS6detail15normal_iteratorINS8_10device_ptrIiEEEESD_jNS0_19identity_decomposerEEE10hipError_tT1_T2_PT3_SI_jT4_jjP12ihipStream_tbEUlT_E_NS1_11comp_targetILNS1_3genE5ELNS1_11target_archE942ELNS1_3gpuE9ELNS1_3repE0EEENS1_52radix_sort_onesweep_histogram_config_static_selectorELNS0_4arch9wavefront6targetE1EEEvSG_
                                        ; -- End function
	.set _ZN7rocprim17ROCPRIM_400000_NS6detail17trampoline_kernelINS0_14default_configENS1_35radix_sort_onesweep_config_selectorIiiEEZNS1_34radix_sort_onesweep_global_offsetsIS3_Lb0EN6thrust23THRUST_200600_302600_NS6detail15normal_iteratorINS8_10device_ptrIiEEEESD_jNS0_19identity_decomposerEEE10hipError_tT1_T2_PT3_SI_jT4_jjP12ihipStream_tbEUlT_E_NS1_11comp_targetILNS1_3genE5ELNS1_11target_archE942ELNS1_3gpuE9ELNS1_3repE0EEENS1_52radix_sort_onesweep_histogram_config_static_selectorELNS0_4arch9wavefront6targetE1EEEvSG_.num_vgpr, 0
	.set _ZN7rocprim17ROCPRIM_400000_NS6detail17trampoline_kernelINS0_14default_configENS1_35radix_sort_onesweep_config_selectorIiiEEZNS1_34radix_sort_onesweep_global_offsetsIS3_Lb0EN6thrust23THRUST_200600_302600_NS6detail15normal_iteratorINS8_10device_ptrIiEEEESD_jNS0_19identity_decomposerEEE10hipError_tT1_T2_PT3_SI_jT4_jjP12ihipStream_tbEUlT_E_NS1_11comp_targetILNS1_3genE5ELNS1_11target_archE942ELNS1_3gpuE9ELNS1_3repE0EEENS1_52radix_sort_onesweep_histogram_config_static_selectorELNS0_4arch9wavefront6targetE1EEEvSG_.num_agpr, 0
	.set _ZN7rocprim17ROCPRIM_400000_NS6detail17trampoline_kernelINS0_14default_configENS1_35radix_sort_onesweep_config_selectorIiiEEZNS1_34radix_sort_onesweep_global_offsetsIS3_Lb0EN6thrust23THRUST_200600_302600_NS6detail15normal_iteratorINS8_10device_ptrIiEEEESD_jNS0_19identity_decomposerEEE10hipError_tT1_T2_PT3_SI_jT4_jjP12ihipStream_tbEUlT_E_NS1_11comp_targetILNS1_3genE5ELNS1_11target_archE942ELNS1_3gpuE9ELNS1_3repE0EEENS1_52radix_sort_onesweep_histogram_config_static_selectorELNS0_4arch9wavefront6targetE1EEEvSG_.numbered_sgpr, 0
	.set _ZN7rocprim17ROCPRIM_400000_NS6detail17trampoline_kernelINS0_14default_configENS1_35radix_sort_onesweep_config_selectorIiiEEZNS1_34radix_sort_onesweep_global_offsetsIS3_Lb0EN6thrust23THRUST_200600_302600_NS6detail15normal_iteratorINS8_10device_ptrIiEEEESD_jNS0_19identity_decomposerEEE10hipError_tT1_T2_PT3_SI_jT4_jjP12ihipStream_tbEUlT_E_NS1_11comp_targetILNS1_3genE5ELNS1_11target_archE942ELNS1_3gpuE9ELNS1_3repE0EEENS1_52radix_sort_onesweep_histogram_config_static_selectorELNS0_4arch9wavefront6targetE1EEEvSG_.num_named_barrier, 0
	.set _ZN7rocprim17ROCPRIM_400000_NS6detail17trampoline_kernelINS0_14default_configENS1_35radix_sort_onesweep_config_selectorIiiEEZNS1_34radix_sort_onesweep_global_offsetsIS3_Lb0EN6thrust23THRUST_200600_302600_NS6detail15normal_iteratorINS8_10device_ptrIiEEEESD_jNS0_19identity_decomposerEEE10hipError_tT1_T2_PT3_SI_jT4_jjP12ihipStream_tbEUlT_E_NS1_11comp_targetILNS1_3genE5ELNS1_11target_archE942ELNS1_3gpuE9ELNS1_3repE0EEENS1_52radix_sort_onesweep_histogram_config_static_selectorELNS0_4arch9wavefront6targetE1EEEvSG_.private_seg_size, 0
	.set _ZN7rocprim17ROCPRIM_400000_NS6detail17trampoline_kernelINS0_14default_configENS1_35radix_sort_onesweep_config_selectorIiiEEZNS1_34radix_sort_onesweep_global_offsetsIS3_Lb0EN6thrust23THRUST_200600_302600_NS6detail15normal_iteratorINS8_10device_ptrIiEEEESD_jNS0_19identity_decomposerEEE10hipError_tT1_T2_PT3_SI_jT4_jjP12ihipStream_tbEUlT_E_NS1_11comp_targetILNS1_3genE5ELNS1_11target_archE942ELNS1_3gpuE9ELNS1_3repE0EEENS1_52radix_sort_onesweep_histogram_config_static_selectorELNS0_4arch9wavefront6targetE1EEEvSG_.uses_vcc, 0
	.set _ZN7rocprim17ROCPRIM_400000_NS6detail17trampoline_kernelINS0_14default_configENS1_35radix_sort_onesweep_config_selectorIiiEEZNS1_34radix_sort_onesweep_global_offsetsIS3_Lb0EN6thrust23THRUST_200600_302600_NS6detail15normal_iteratorINS8_10device_ptrIiEEEESD_jNS0_19identity_decomposerEEE10hipError_tT1_T2_PT3_SI_jT4_jjP12ihipStream_tbEUlT_E_NS1_11comp_targetILNS1_3genE5ELNS1_11target_archE942ELNS1_3gpuE9ELNS1_3repE0EEENS1_52radix_sort_onesweep_histogram_config_static_selectorELNS0_4arch9wavefront6targetE1EEEvSG_.uses_flat_scratch, 0
	.set _ZN7rocprim17ROCPRIM_400000_NS6detail17trampoline_kernelINS0_14default_configENS1_35radix_sort_onesweep_config_selectorIiiEEZNS1_34radix_sort_onesweep_global_offsetsIS3_Lb0EN6thrust23THRUST_200600_302600_NS6detail15normal_iteratorINS8_10device_ptrIiEEEESD_jNS0_19identity_decomposerEEE10hipError_tT1_T2_PT3_SI_jT4_jjP12ihipStream_tbEUlT_E_NS1_11comp_targetILNS1_3genE5ELNS1_11target_archE942ELNS1_3gpuE9ELNS1_3repE0EEENS1_52radix_sort_onesweep_histogram_config_static_selectorELNS0_4arch9wavefront6targetE1EEEvSG_.has_dyn_sized_stack, 0
	.set _ZN7rocprim17ROCPRIM_400000_NS6detail17trampoline_kernelINS0_14default_configENS1_35radix_sort_onesweep_config_selectorIiiEEZNS1_34radix_sort_onesweep_global_offsetsIS3_Lb0EN6thrust23THRUST_200600_302600_NS6detail15normal_iteratorINS8_10device_ptrIiEEEESD_jNS0_19identity_decomposerEEE10hipError_tT1_T2_PT3_SI_jT4_jjP12ihipStream_tbEUlT_E_NS1_11comp_targetILNS1_3genE5ELNS1_11target_archE942ELNS1_3gpuE9ELNS1_3repE0EEENS1_52radix_sort_onesweep_histogram_config_static_selectorELNS0_4arch9wavefront6targetE1EEEvSG_.has_recursion, 0
	.set _ZN7rocprim17ROCPRIM_400000_NS6detail17trampoline_kernelINS0_14default_configENS1_35radix_sort_onesweep_config_selectorIiiEEZNS1_34radix_sort_onesweep_global_offsetsIS3_Lb0EN6thrust23THRUST_200600_302600_NS6detail15normal_iteratorINS8_10device_ptrIiEEEESD_jNS0_19identity_decomposerEEE10hipError_tT1_T2_PT3_SI_jT4_jjP12ihipStream_tbEUlT_E_NS1_11comp_targetILNS1_3genE5ELNS1_11target_archE942ELNS1_3gpuE9ELNS1_3repE0EEENS1_52radix_sort_onesweep_histogram_config_static_selectorELNS0_4arch9wavefront6targetE1EEEvSG_.has_indirect_call, 0
	.section	.AMDGPU.csdata,"",@progbits
; Kernel info:
; codeLenInByte = 0
; TotalNumSgprs: 6
; NumVgprs: 0
; NumAgprs: 0
; TotalNumVgprs: 0
; ScratchSize: 0
; MemoryBound: 0
; FloatMode: 240
; IeeeMode: 1
; LDSByteSize: 0 bytes/workgroup (compile time only)
; SGPRBlocks: 0
; VGPRBlocks: 0
; NumSGPRsForWavesPerEU: 6
; NumVGPRsForWavesPerEU: 1
; AccumOffset: 4
; Occupancy: 8
; WaveLimiterHint : 0
; COMPUTE_PGM_RSRC2:SCRATCH_EN: 0
; COMPUTE_PGM_RSRC2:USER_SGPR: 2
; COMPUTE_PGM_RSRC2:TRAP_HANDLER: 0
; COMPUTE_PGM_RSRC2:TGID_X_EN: 1
; COMPUTE_PGM_RSRC2:TGID_Y_EN: 0
; COMPUTE_PGM_RSRC2:TGID_Z_EN: 0
; COMPUTE_PGM_RSRC2:TIDIG_COMP_CNT: 0
; COMPUTE_PGM_RSRC3_GFX90A:ACCUM_OFFSET: 0
; COMPUTE_PGM_RSRC3_GFX90A:TG_SPLIT: 0
	.section	.text._ZN7rocprim17ROCPRIM_400000_NS6detail17trampoline_kernelINS0_14default_configENS1_35radix_sort_onesweep_config_selectorIiiEEZNS1_34radix_sort_onesweep_global_offsetsIS3_Lb0EN6thrust23THRUST_200600_302600_NS6detail15normal_iteratorINS8_10device_ptrIiEEEESD_jNS0_19identity_decomposerEEE10hipError_tT1_T2_PT3_SI_jT4_jjP12ihipStream_tbEUlT_E_NS1_11comp_targetILNS1_3genE2ELNS1_11target_archE906ELNS1_3gpuE6ELNS1_3repE0EEENS1_52radix_sort_onesweep_histogram_config_static_selectorELNS0_4arch9wavefront6targetE1EEEvSG_,"axG",@progbits,_ZN7rocprim17ROCPRIM_400000_NS6detail17trampoline_kernelINS0_14default_configENS1_35radix_sort_onesweep_config_selectorIiiEEZNS1_34radix_sort_onesweep_global_offsetsIS3_Lb0EN6thrust23THRUST_200600_302600_NS6detail15normal_iteratorINS8_10device_ptrIiEEEESD_jNS0_19identity_decomposerEEE10hipError_tT1_T2_PT3_SI_jT4_jjP12ihipStream_tbEUlT_E_NS1_11comp_targetILNS1_3genE2ELNS1_11target_archE906ELNS1_3gpuE6ELNS1_3repE0EEENS1_52radix_sort_onesweep_histogram_config_static_selectorELNS0_4arch9wavefront6targetE1EEEvSG_,comdat
	.protected	_ZN7rocprim17ROCPRIM_400000_NS6detail17trampoline_kernelINS0_14default_configENS1_35radix_sort_onesweep_config_selectorIiiEEZNS1_34radix_sort_onesweep_global_offsetsIS3_Lb0EN6thrust23THRUST_200600_302600_NS6detail15normal_iteratorINS8_10device_ptrIiEEEESD_jNS0_19identity_decomposerEEE10hipError_tT1_T2_PT3_SI_jT4_jjP12ihipStream_tbEUlT_E_NS1_11comp_targetILNS1_3genE2ELNS1_11target_archE906ELNS1_3gpuE6ELNS1_3repE0EEENS1_52radix_sort_onesweep_histogram_config_static_selectorELNS0_4arch9wavefront6targetE1EEEvSG_ ; -- Begin function _ZN7rocprim17ROCPRIM_400000_NS6detail17trampoline_kernelINS0_14default_configENS1_35radix_sort_onesweep_config_selectorIiiEEZNS1_34radix_sort_onesweep_global_offsetsIS3_Lb0EN6thrust23THRUST_200600_302600_NS6detail15normal_iteratorINS8_10device_ptrIiEEEESD_jNS0_19identity_decomposerEEE10hipError_tT1_T2_PT3_SI_jT4_jjP12ihipStream_tbEUlT_E_NS1_11comp_targetILNS1_3genE2ELNS1_11target_archE906ELNS1_3gpuE6ELNS1_3repE0EEENS1_52radix_sort_onesweep_histogram_config_static_selectorELNS0_4arch9wavefront6targetE1EEEvSG_
	.globl	_ZN7rocprim17ROCPRIM_400000_NS6detail17trampoline_kernelINS0_14default_configENS1_35radix_sort_onesweep_config_selectorIiiEEZNS1_34radix_sort_onesweep_global_offsetsIS3_Lb0EN6thrust23THRUST_200600_302600_NS6detail15normal_iteratorINS8_10device_ptrIiEEEESD_jNS0_19identity_decomposerEEE10hipError_tT1_T2_PT3_SI_jT4_jjP12ihipStream_tbEUlT_E_NS1_11comp_targetILNS1_3genE2ELNS1_11target_archE906ELNS1_3gpuE6ELNS1_3repE0EEENS1_52radix_sort_onesweep_histogram_config_static_selectorELNS0_4arch9wavefront6targetE1EEEvSG_
	.p2align	8
	.type	_ZN7rocprim17ROCPRIM_400000_NS6detail17trampoline_kernelINS0_14default_configENS1_35radix_sort_onesweep_config_selectorIiiEEZNS1_34radix_sort_onesweep_global_offsetsIS3_Lb0EN6thrust23THRUST_200600_302600_NS6detail15normal_iteratorINS8_10device_ptrIiEEEESD_jNS0_19identity_decomposerEEE10hipError_tT1_T2_PT3_SI_jT4_jjP12ihipStream_tbEUlT_E_NS1_11comp_targetILNS1_3genE2ELNS1_11target_archE906ELNS1_3gpuE6ELNS1_3repE0EEENS1_52radix_sort_onesweep_histogram_config_static_selectorELNS0_4arch9wavefront6targetE1EEEvSG_,@function
_ZN7rocprim17ROCPRIM_400000_NS6detail17trampoline_kernelINS0_14default_configENS1_35radix_sort_onesweep_config_selectorIiiEEZNS1_34radix_sort_onesweep_global_offsetsIS3_Lb0EN6thrust23THRUST_200600_302600_NS6detail15normal_iteratorINS8_10device_ptrIiEEEESD_jNS0_19identity_decomposerEEE10hipError_tT1_T2_PT3_SI_jT4_jjP12ihipStream_tbEUlT_E_NS1_11comp_targetILNS1_3genE2ELNS1_11target_archE906ELNS1_3gpuE6ELNS1_3repE0EEENS1_52radix_sort_onesweep_histogram_config_static_selectorELNS0_4arch9wavefront6targetE1EEEvSG_: ; @_ZN7rocprim17ROCPRIM_400000_NS6detail17trampoline_kernelINS0_14default_configENS1_35radix_sort_onesweep_config_selectorIiiEEZNS1_34radix_sort_onesweep_global_offsetsIS3_Lb0EN6thrust23THRUST_200600_302600_NS6detail15normal_iteratorINS8_10device_ptrIiEEEESD_jNS0_19identity_decomposerEEE10hipError_tT1_T2_PT3_SI_jT4_jjP12ihipStream_tbEUlT_E_NS1_11comp_targetILNS1_3genE2ELNS1_11target_archE906ELNS1_3gpuE6ELNS1_3repE0EEENS1_52radix_sort_onesweep_histogram_config_static_selectorELNS0_4arch9wavefront6targetE1EEEvSG_
; %bb.0:
	.section	.rodata,"a",@progbits
	.p2align	6, 0x0
	.amdhsa_kernel _ZN7rocprim17ROCPRIM_400000_NS6detail17trampoline_kernelINS0_14default_configENS1_35radix_sort_onesweep_config_selectorIiiEEZNS1_34radix_sort_onesweep_global_offsetsIS3_Lb0EN6thrust23THRUST_200600_302600_NS6detail15normal_iteratorINS8_10device_ptrIiEEEESD_jNS0_19identity_decomposerEEE10hipError_tT1_T2_PT3_SI_jT4_jjP12ihipStream_tbEUlT_E_NS1_11comp_targetILNS1_3genE2ELNS1_11target_archE906ELNS1_3gpuE6ELNS1_3repE0EEENS1_52radix_sort_onesweep_histogram_config_static_selectorELNS0_4arch9wavefront6targetE1EEEvSG_
		.amdhsa_group_segment_fixed_size 0
		.amdhsa_private_segment_fixed_size 0
		.amdhsa_kernarg_size 40
		.amdhsa_user_sgpr_count 2
		.amdhsa_user_sgpr_dispatch_ptr 0
		.amdhsa_user_sgpr_queue_ptr 0
		.amdhsa_user_sgpr_kernarg_segment_ptr 1
		.amdhsa_user_sgpr_dispatch_id 0
		.amdhsa_user_sgpr_kernarg_preload_length 0
		.amdhsa_user_sgpr_kernarg_preload_offset 0
		.amdhsa_user_sgpr_private_segment_size 0
		.amdhsa_uses_dynamic_stack 0
		.amdhsa_enable_private_segment 0
		.amdhsa_system_sgpr_workgroup_id_x 1
		.amdhsa_system_sgpr_workgroup_id_y 0
		.amdhsa_system_sgpr_workgroup_id_z 0
		.amdhsa_system_sgpr_workgroup_info 0
		.amdhsa_system_vgpr_workitem_id 0
		.amdhsa_next_free_vgpr 1
		.amdhsa_next_free_sgpr 0
		.amdhsa_accum_offset 4
		.amdhsa_reserve_vcc 0
		.amdhsa_float_round_mode_32 0
		.amdhsa_float_round_mode_16_64 0
		.amdhsa_float_denorm_mode_32 3
		.amdhsa_float_denorm_mode_16_64 3
		.amdhsa_dx10_clamp 1
		.amdhsa_ieee_mode 1
		.amdhsa_fp16_overflow 0
		.amdhsa_tg_split 0
		.amdhsa_exception_fp_ieee_invalid_op 0
		.amdhsa_exception_fp_denorm_src 0
		.amdhsa_exception_fp_ieee_div_zero 0
		.amdhsa_exception_fp_ieee_overflow 0
		.amdhsa_exception_fp_ieee_underflow 0
		.amdhsa_exception_fp_ieee_inexact 0
		.amdhsa_exception_int_div_zero 0
	.end_amdhsa_kernel
	.section	.text._ZN7rocprim17ROCPRIM_400000_NS6detail17trampoline_kernelINS0_14default_configENS1_35radix_sort_onesweep_config_selectorIiiEEZNS1_34radix_sort_onesweep_global_offsetsIS3_Lb0EN6thrust23THRUST_200600_302600_NS6detail15normal_iteratorINS8_10device_ptrIiEEEESD_jNS0_19identity_decomposerEEE10hipError_tT1_T2_PT3_SI_jT4_jjP12ihipStream_tbEUlT_E_NS1_11comp_targetILNS1_3genE2ELNS1_11target_archE906ELNS1_3gpuE6ELNS1_3repE0EEENS1_52radix_sort_onesweep_histogram_config_static_selectorELNS0_4arch9wavefront6targetE1EEEvSG_,"axG",@progbits,_ZN7rocprim17ROCPRIM_400000_NS6detail17trampoline_kernelINS0_14default_configENS1_35radix_sort_onesweep_config_selectorIiiEEZNS1_34radix_sort_onesweep_global_offsetsIS3_Lb0EN6thrust23THRUST_200600_302600_NS6detail15normal_iteratorINS8_10device_ptrIiEEEESD_jNS0_19identity_decomposerEEE10hipError_tT1_T2_PT3_SI_jT4_jjP12ihipStream_tbEUlT_E_NS1_11comp_targetILNS1_3genE2ELNS1_11target_archE906ELNS1_3gpuE6ELNS1_3repE0EEENS1_52radix_sort_onesweep_histogram_config_static_selectorELNS0_4arch9wavefront6targetE1EEEvSG_,comdat
.Lfunc_end1395:
	.size	_ZN7rocprim17ROCPRIM_400000_NS6detail17trampoline_kernelINS0_14default_configENS1_35radix_sort_onesweep_config_selectorIiiEEZNS1_34radix_sort_onesweep_global_offsetsIS3_Lb0EN6thrust23THRUST_200600_302600_NS6detail15normal_iteratorINS8_10device_ptrIiEEEESD_jNS0_19identity_decomposerEEE10hipError_tT1_T2_PT3_SI_jT4_jjP12ihipStream_tbEUlT_E_NS1_11comp_targetILNS1_3genE2ELNS1_11target_archE906ELNS1_3gpuE6ELNS1_3repE0EEENS1_52radix_sort_onesweep_histogram_config_static_selectorELNS0_4arch9wavefront6targetE1EEEvSG_, .Lfunc_end1395-_ZN7rocprim17ROCPRIM_400000_NS6detail17trampoline_kernelINS0_14default_configENS1_35radix_sort_onesweep_config_selectorIiiEEZNS1_34radix_sort_onesweep_global_offsetsIS3_Lb0EN6thrust23THRUST_200600_302600_NS6detail15normal_iteratorINS8_10device_ptrIiEEEESD_jNS0_19identity_decomposerEEE10hipError_tT1_T2_PT3_SI_jT4_jjP12ihipStream_tbEUlT_E_NS1_11comp_targetILNS1_3genE2ELNS1_11target_archE906ELNS1_3gpuE6ELNS1_3repE0EEENS1_52radix_sort_onesweep_histogram_config_static_selectorELNS0_4arch9wavefront6targetE1EEEvSG_
                                        ; -- End function
	.set _ZN7rocprim17ROCPRIM_400000_NS6detail17trampoline_kernelINS0_14default_configENS1_35radix_sort_onesweep_config_selectorIiiEEZNS1_34radix_sort_onesweep_global_offsetsIS3_Lb0EN6thrust23THRUST_200600_302600_NS6detail15normal_iteratorINS8_10device_ptrIiEEEESD_jNS0_19identity_decomposerEEE10hipError_tT1_T2_PT3_SI_jT4_jjP12ihipStream_tbEUlT_E_NS1_11comp_targetILNS1_3genE2ELNS1_11target_archE906ELNS1_3gpuE6ELNS1_3repE0EEENS1_52radix_sort_onesweep_histogram_config_static_selectorELNS0_4arch9wavefront6targetE1EEEvSG_.num_vgpr, 0
	.set _ZN7rocprim17ROCPRIM_400000_NS6detail17trampoline_kernelINS0_14default_configENS1_35radix_sort_onesweep_config_selectorIiiEEZNS1_34radix_sort_onesweep_global_offsetsIS3_Lb0EN6thrust23THRUST_200600_302600_NS6detail15normal_iteratorINS8_10device_ptrIiEEEESD_jNS0_19identity_decomposerEEE10hipError_tT1_T2_PT3_SI_jT4_jjP12ihipStream_tbEUlT_E_NS1_11comp_targetILNS1_3genE2ELNS1_11target_archE906ELNS1_3gpuE6ELNS1_3repE0EEENS1_52radix_sort_onesweep_histogram_config_static_selectorELNS0_4arch9wavefront6targetE1EEEvSG_.num_agpr, 0
	.set _ZN7rocprim17ROCPRIM_400000_NS6detail17trampoline_kernelINS0_14default_configENS1_35radix_sort_onesweep_config_selectorIiiEEZNS1_34radix_sort_onesweep_global_offsetsIS3_Lb0EN6thrust23THRUST_200600_302600_NS6detail15normal_iteratorINS8_10device_ptrIiEEEESD_jNS0_19identity_decomposerEEE10hipError_tT1_T2_PT3_SI_jT4_jjP12ihipStream_tbEUlT_E_NS1_11comp_targetILNS1_3genE2ELNS1_11target_archE906ELNS1_3gpuE6ELNS1_3repE0EEENS1_52radix_sort_onesweep_histogram_config_static_selectorELNS0_4arch9wavefront6targetE1EEEvSG_.numbered_sgpr, 0
	.set _ZN7rocprim17ROCPRIM_400000_NS6detail17trampoline_kernelINS0_14default_configENS1_35radix_sort_onesweep_config_selectorIiiEEZNS1_34radix_sort_onesweep_global_offsetsIS3_Lb0EN6thrust23THRUST_200600_302600_NS6detail15normal_iteratorINS8_10device_ptrIiEEEESD_jNS0_19identity_decomposerEEE10hipError_tT1_T2_PT3_SI_jT4_jjP12ihipStream_tbEUlT_E_NS1_11comp_targetILNS1_3genE2ELNS1_11target_archE906ELNS1_3gpuE6ELNS1_3repE0EEENS1_52radix_sort_onesweep_histogram_config_static_selectorELNS0_4arch9wavefront6targetE1EEEvSG_.num_named_barrier, 0
	.set _ZN7rocprim17ROCPRIM_400000_NS6detail17trampoline_kernelINS0_14default_configENS1_35radix_sort_onesweep_config_selectorIiiEEZNS1_34radix_sort_onesweep_global_offsetsIS3_Lb0EN6thrust23THRUST_200600_302600_NS6detail15normal_iteratorINS8_10device_ptrIiEEEESD_jNS0_19identity_decomposerEEE10hipError_tT1_T2_PT3_SI_jT4_jjP12ihipStream_tbEUlT_E_NS1_11comp_targetILNS1_3genE2ELNS1_11target_archE906ELNS1_3gpuE6ELNS1_3repE0EEENS1_52radix_sort_onesweep_histogram_config_static_selectorELNS0_4arch9wavefront6targetE1EEEvSG_.private_seg_size, 0
	.set _ZN7rocprim17ROCPRIM_400000_NS6detail17trampoline_kernelINS0_14default_configENS1_35radix_sort_onesweep_config_selectorIiiEEZNS1_34radix_sort_onesweep_global_offsetsIS3_Lb0EN6thrust23THRUST_200600_302600_NS6detail15normal_iteratorINS8_10device_ptrIiEEEESD_jNS0_19identity_decomposerEEE10hipError_tT1_T2_PT3_SI_jT4_jjP12ihipStream_tbEUlT_E_NS1_11comp_targetILNS1_3genE2ELNS1_11target_archE906ELNS1_3gpuE6ELNS1_3repE0EEENS1_52radix_sort_onesweep_histogram_config_static_selectorELNS0_4arch9wavefront6targetE1EEEvSG_.uses_vcc, 0
	.set _ZN7rocprim17ROCPRIM_400000_NS6detail17trampoline_kernelINS0_14default_configENS1_35radix_sort_onesweep_config_selectorIiiEEZNS1_34radix_sort_onesweep_global_offsetsIS3_Lb0EN6thrust23THRUST_200600_302600_NS6detail15normal_iteratorINS8_10device_ptrIiEEEESD_jNS0_19identity_decomposerEEE10hipError_tT1_T2_PT3_SI_jT4_jjP12ihipStream_tbEUlT_E_NS1_11comp_targetILNS1_3genE2ELNS1_11target_archE906ELNS1_3gpuE6ELNS1_3repE0EEENS1_52radix_sort_onesweep_histogram_config_static_selectorELNS0_4arch9wavefront6targetE1EEEvSG_.uses_flat_scratch, 0
	.set _ZN7rocprim17ROCPRIM_400000_NS6detail17trampoline_kernelINS0_14default_configENS1_35radix_sort_onesweep_config_selectorIiiEEZNS1_34radix_sort_onesweep_global_offsetsIS3_Lb0EN6thrust23THRUST_200600_302600_NS6detail15normal_iteratorINS8_10device_ptrIiEEEESD_jNS0_19identity_decomposerEEE10hipError_tT1_T2_PT3_SI_jT4_jjP12ihipStream_tbEUlT_E_NS1_11comp_targetILNS1_3genE2ELNS1_11target_archE906ELNS1_3gpuE6ELNS1_3repE0EEENS1_52radix_sort_onesweep_histogram_config_static_selectorELNS0_4arch9wavefront6targetE1EEEvSG_.has_dyn_sized_stack, 0
	.set _ZN7rocprim17ROCPRIM_400000_NS6detail17trampoline_kernelINS0_14default_configENS1_35radix_sort_onesweep_config_selectorIiiEEZNS1_34radix_sort_onesweep_global_offsetsIS3_Lb0EN6thrust23THRUST_200600_302600_NS6detail15normal_iteratorINS8_10device_ptrIiEEEESD_jNS0_19identity_decomposerEEE10hipError_tT1_T2_PT3_SI_jT4_jjP12ihipStream_tbEUlT_E_NS1_11comp_targetILNS1_3genE2ELNS1_11target_archE906ELNS1_3gpuE6ELNS1_3repE0EEENS1_52radix_sort_onesweep_histogram_config_static_selectorELNS0_4arch9wavefront6targetE1EEEvSG_.has_recursion, 0
	.set _ZN7rocprim17ROCPRIM_400000_NS6detail17trampoline_kernelINS0_14default_configENS1_35radix_sort_onesweep_config_selectorIiiEEZNS1_34radix_sort_onesweep_global_offsetsIS3_Lb0EN6thrust23THRUST_200600_302600_NS6detail15normal_iteratorINS8_10device_ptrIiEEEESD_jNS0_19identity_decomposerEEE10hipError_tT1_T2_PT3_SI_jT4_jjP12ihipStream_tbEUlT_E_NS1_11comp_targetILNS1_3genE2ELNS1_11target_archE906ELNS1_3gpuE6ELNS1_3repE0EEENS1_52radix_sort_onesweep_histogram_config_static_selectorELNS0_4arch9wavefront6targetE1EEEvSG_.has_indirect_call, 0
	.section	.AMDGPU.csdata,"",@progbits
; Kernel info:
; codeLenInByte = 0
; TotalNumSgprs: 6
; NumVgprs: 0
; NumAgprs: 0
; TotalNumVgprs: 0
; ScratchSize: 0
; MemoryBound: 0
; FloatMode: 240
; IeeeMode: 1
; LDSByteSize: 0 bytes/workgroup (compile time only)
; SGPRBlocks: 0
; VGPRBlocks: 0
; NumSGPRsForWavesPerEU: 6
; NumVGPRsForWavesPerEU: 1
; AccumOffset: 4
; Occupancy: 8
; WaveLimiterHint : 0
; COMPUTE_PGM_RSRC2:SCRATCH_EN: 0
; COMPUTE_PGM_RSRC2:USER_SGPR: 2
; COMPUTE_PGM_RSRC2:TRAP_HANDLER: 0
; COMPUTE_PGM_RSRC2:TGID_X_EN: 1
; COMPUTE_PGM_RSRC2:TGID_Y_EN: 0
; COMPUTE_PGM_RSRC2:TGID_Z_EN: 0
; COMPUTE_PGM_RSRC2:TIDIG_COMP_CNT: 0
; COMPUTE_PGM_RSRC3_GFX90A:ACCUM_OFFSET: 0
; COMPUTE_PGM_RSRC3_GFX90A:TG_SPLIT: 0
	.section	.text._ZN7rocprim17ROCPRIM_400000_NS6detail17trampoline_kernelINS0_14default_configENS1_35radix_sort_onesweep_config_selectorIiiEEZNS1_34radix_sort_onesweep_global_offsetsIS3_Lb0EN6thrust23THRUST_200600_302600_NS6detail15normal_iteratorINS8_10device_ptrIiEEEESD_jNS0_19identity_decomposerEEE10hipError_tT1_T2_PT3_SI_jT4_jjP12ihipStream_tbEUlT_E_NS1_11comp_targetILNS1_3genE4ELNS1_11target_archE910ELNS1_3gpuE8ELNS1_3repE0EEENS1_52radix_sort_onesweep_histogram_config_static_selectorELNS0_4arch9wavefront6targetE1EEEvSG_,"axG",@progbits,_ZN7rocprim17ROCPRIM_400000_NS6detail17trampoline_kernelINS0_14default_configENS1_35radix_sort_onesweep_config_selectorIiiEEZNS1_34radix_sort_onesweep_global_offsetsIS3_Lb0EN6thrust23THRUST_200600_302600_NS6detail15normal_iteratorINS8_10device_ptrIiEEEESD_jNS0_19identity_decomposerEEE10hipError_tT1_T2_PT3_SI_jT4_jjP12ihipStream_tbEUlT_E_NS1_11comp_targetILNS1_3genE4ELNS1_11target_archE910ELNS1_3gpuE8ELNS1_3repE0EEENS1_52radix_sort_onesweep_histogram_config_static_selectorELNS0_4arch9wavefront6targetE1EEEvSG_,comdat
	.protected	_ZN7rocprim17ROCPRIM_400000_NS6detail17trampoline_kernelINS0_14default_configENS1_35radix_sort_onesweep_config_selectorIiiEEZNS1_34radix_sort_onesweep_global_offsetsIS3_Lb0EN6thrust23THRUST_200600_302600_NS6detail15normal_iteratorINS8_10device_ptrIiEEEESD_jNS0_19identity_decomposerEEE10hipError_tT1_T2_PT3_SI_jT4_jjP12ihipStream_tbEUlT_E_NS1_11comp_targetILNS1_3genE4ELNS1_11target_archE910ELNS1_3gpuE8ELNS1_3repE0EEENS1_52radix_sort_onesweep_histogram_config_static_selectorELNS0_4arch9wavefront6targetE1EEEvSG_ ; -- Begin function _ZN7rocprim17ROCPRIM_400000_NS6detail17trampoline_kernelINS0_14default_configENS1_35radix_sort_onesweep_config_selectorIiiEEZNS1_34radix_sort_onesweep_global_offsetsIS3_Lb0EN6thrust23THRUST_200600_302600_NS6detail15normal_iteratorINS8_10device_ptrIiEEEESD_jNS0_19identity_decomposerEEE10hipError_tT1_T2_PT3_SI_jT4_jjP12ihipStream_tbEUlT_E_NS1_11comp_targetILNS1_3genE4ELNS1_11target_archE910ELNS1_3gpuE8ELNS1_3repE0EEENS1_52radix_sort_onesweep_histogram_config_static_selectorELNS0_4arch9wavefront6targetE1EEEvSG_
	.globl	_ZN7rocprim17ROCPRIM_400000_NS6detail17trampoline_kernelINS0_14default_configENS1_35radix_sort_onesweep_config_selectorIiiEEZNS1_34radix_sort_onesweep_global_offsetsIS3_Lb0EN6thrust23THRUST_200600_302600_NS6detail15normal_iteratorINS8_10device_ptrIiEEEESD_jNS0_19identity_decomposerEEE10hipError_tT1_T2_PT3_SI_jT4_jjP12ihipStream_tbEUlT_E_NS1_11comp_targetILNS1_3genE4ELNS1_11target_archE910ELNS1_3gpuE8ELNS1_3repE0EEENS1_52radix_sort_onesweep_histogram_config_static_selectorELNS0_4arch9wavefront6targetE1EEEvSG_
	.p2align	8
	.type	_ZN7rocprim17ROCPRIM_400000_NS6detail17trampoline_kernelINS0_14default_configENS1_35radix_sort_onesweep_config_selectorIiiEEZNS1_34radix_sort_onesweep_global_offsetsIS3_Lb0EN6thrust23THRUST_200600_302600_NS6detail15normal_iteratorINS8_10device_ptrIiEEEESD_jNS0_19identity_decomposerEEE10hipError_tT1_T2_PT3_SI_jT4_jjP12ihipStream_tbEUlT_E_NS1_11comp_targetILNS1_3genE4ELNS1_11target_archE910ELNS1_3gpuE8ELNS1_3repE0EEENS1_52radix_sort_onesweep_histogram_config_static_selectorELNS0_4arch9wavefront6targetE1EEEvSG_,@function
_ZN7rocprim17ROCPRIM_400000_NS6detail17trampoline_kernelINS0_14default_configENS1_35radix_sort_onesweep_config_selectorIiiEEZNS1_34radix_sort_onesweep_global_offsetsIS3_Lb0EN6thrust23THRUST_200600_302600_NS6detail15normal_iteratorINS8_10device_ptrIiEEEESD_jNS0_19identity_decomposerEEE10hipError_tT1_T2_PT3_SI_jT4_jjP12ihipStream_tbEUlT_E_NS1_11comp_targetILNS1_3genE4ELNS1_11target_archE910ELNS1_3gpuE8ELNS1_3repE0EEENS1_52radix_sort_onesweep_histogram_config_static_selectorELNS0_4arch9wavefront6targetE1EEEvSG_: ; @_ZN7rocprim17ROCPRIM_400000_NS6detail17trampoline_kernelINS0_14default_configENS1_35radix_sort_onesweep_config_selectorIiiEEZNS1_34radix_sort_onesweep_global_offsetsIS3_Lb0EN6thrust23THRUST_200600_302600_NS6detail15normal_iteratorINS8_10device_ptrIiEEEESD_jNS0_19identity_decomposerEEE10hipError_tT1_T2_PT3_SI_jT4_jjP12ihipStream_tbEUlT_E_NS1_11comp_targetILNS1_3genE4ELNS1_11target_archE910ELNS1_3gpuE8ELNS1_3repE0EEENS1_52radix_sort_onesweep_histogram_config_static_selectorELNS0_4arch9wavefront6targetE1EEEvSG_
; %bb.0:
	.section	.rodata,"a",@progbits
	.p2align	6, 0x0
	.amdhsa_kernel _ZN7rocprim17ROCPRIM_400000_NS6detail17trampoline_kernelINS0_14default_configENS1_35radix_sort_onesweep_config_selectorIiiEEZNS1_34radix_sort_onesweep_global_offsetsIS3_Lb0EN6thrust23THRUST_200600_302600_NS6detail15normal_iteratorINS8_10device_ptrIiEEEESD_jNS0_19identity_decomposerEEE10hipError_tT1_T2_PT3_SI_jT4_jjP12ihipStream_tbEUlT_E_NS1_11comp_targetILNS1_3genE4ELNS1_11target_archE910ELNS1_3gpuE8ELNS1_3repE0EEENS1_52radix_sort_onesweep_histogram_config_static_selectorELNS0_4arch9wavefront6targetE1EEEvSG_
		.amdhsa_group_segment_fixed_size 0
		.amdhsa_private_segment_fixed_size 0
		.amdhsa_kernarg_size 40
		.amdhsa_user_sgpr_count 2
		.amdhsa_user_sgpr_dispatch_ptr 0
		.amdhsa_user_sgpr_queue_ptr 0
		.amdhsa_user_sgpr_kernarg_segment_ptr 1
		.amdhsa_user_sgpr_dispatch_id 0
		.amdhsa_user_sgpr_kernarg_preload_length 0
		.amdhsa_user_sgpr_kernarg_preload_offset 0
		.amdhsa_user_sgpr_private_segment_size 0
		.amdhsa_uses_dynamic_stack 0
		.amdhsa_enable_private_segment 0
		.amdhsa_system_sgpr_workgroup_id_x 1
		.amdhsa_system_sgpr_workgroup_id_y 0
		.amdhsa_system_sgpr_workgroup_id_z 0
		.amdhsa_system_sgpr_workgroup_info 0
		.amdhsa_system_vgpr_workitem_id 0
		.amdhsa_next_free_vgpr 1
		.amdhsa_next_free_sgpr 0
		.amdhsa_accum_offset 4
		.amdhsa_reserve_vcc 0
		.amdhsa_float_round_mode_32 0
		.amdhsa_float_round_mode_16_64 0
		.amdhsa_float_denorm_mode_32 3
		.amdhsa_float_denorm_mode_16_64 3
		.amdhsa_dx10_clamp 1
		.amdhsa_ieee_mode 1
		.amdhsa_fp16_overflow 0
		.amdhsa_tg_split 0
		.amdhsa_exception_fp_ieee_invalid_op 0
		.amdhsa_exception_fp_denorm_src 0
		.amdhsa_exception_fp_ieee_div_zero 0
		.amdhsa_exception_fp_ieee_overflow 0
		.amdhsa_exception_fp_ieee_underflow 0
		.amdhsa_exception_fp_ieee_inexact 0
		.amdhsa_exception_int_div_zero 0
	.end_amdhsa_kernel
	.section	.text._ZN7rocprim17ROCPRIM_400000_NS6detail17trampoline_kernelINS0_14default_configENS1_35radix_sort_onesweep_config_selectorIiiEEZNS1_34radix_sort_onesweep_global_offsetsIS3_Lb0EN6thrust23THRUST_200600_302600_NS6detail15normal_iteratorINS8_10device_ptrIiEEEESD_jNS0_19identity_decomposerEEE10hipError_tT1_T2_PT3_SI_jT4_jjP12ihipStream_tbEUlT_E_NS1_11comp_targetILNS1_3genE4ELNS1_11target_archE910ELNS1_3gpuE8ELNS1_3repE0EEENS1_52radix_sort_onesweep_histogram_config_static_selectorELNS0_4arch9wavefront6targetE1EEEvSG_,"axG",@progbits,_ZN7rocprim17ROCPRIM_400000_NS6detail17trampoline_kernelINS0_14default_configENS1_35radix_sort_onesweep_config_selectorIiiEEZNS1_34radix_sort_onesweep_global_offsetsIS3_Lb0EN6thrust23THRUST_200600_302600_NS6detail15normal_iteratorINS8_10device_ptrIiEEEESD_jNS0_19identity_decomposerEEE10hipError_tT1_T2_PT3_SI_jT4_jjP12ihipStream_tbEUlT_E_NS1_11comp_targetILNS1_3genE4ELNS1_11target_archE910ELNS1_3gpuE8ELNS1_3repE0EEENS1_52radix_sort_onesweep_histogram_config_static_selectorELNS0_4arch9wavefront6targetE1EEEvSG_,comdat
.Lfunc_end1396:
	.size	_ZN7rocprim17ROCPRIM_400000_NS6detail17trampoline_kernelINS0_14default_configENS1_35radix_sort_onesweep_config_selectorIiiEEZNS1_34radix_sort_onesweep_global_offsetsIS3_Lb0EN6thrust23THRUST_200600_302600_NS6detail15normal_iteratorINS8_10device_ptrIiEEEESD_jNS0_19identity_decomposerEEE10hipError_tT1_T2_PT3_SI_jT4_jjP12ihipStream_tbEUlT_E_NS1_11comp_targetILNS1_3genE4ELNS1_11target_archE910ELNS1_3gpuE8ELNS1_3repE0EEENS1_52radix_sort_onesweep_histogram_config_static_selectorELNS0_4arch9wavefront6targetE1EEEvSG_, .Lfunc_end1396-_ZN7rocprim17ROCPRIM_400000_NS6detail17trampoline_kernelINS0_14default_configENS1_35radix_sort_onesweep_config_selectorIiiEEZNS1_34radix_sort_onesweep_global_offsetsIS3_Lb0EN6thrust23THRUST_200600_302600_NS6detail15normal_iteratorINS8_10device_ptrIiEEEESD_jNS0_19identity_decomposerEEE10hipError_tT1_T2_PT3_SI_jT4_jjP12ihipStream_tbEUlT_E_NS1_11comp_targetILNS1_3genE4ELNS1_11target_archE910ELNS1_3gpuE8ELNS1_3repE0EEENS1_52radix_sort_onesweep_histogram_config_static_selectorELNS0_4arch9wavefront6targetE1EEEvSG_
                                        ; -- End function
	.set _ZN7rocprim17ROCPRIM_400000_NS6detail17trampoline_kernelINS0_14default_configENS1_35radix_sort_onesweep_config_selectorIiiEEZNS1_34radix_sort_onesweep_global_offsetsIS3_Lb0EN6thrust23THRUST_200600_302600_NS6detail15normal_iteratorINS8_10device_ptrIiEEEESD_jNS0_19identity_decomposerEEE10hipError_tT1_T2_PT3_SI_jT4_jjP12ihipStream_tbEUlT_E_NS1_11comp_targetILNS1_3genE4ELNS1_11target_archE910ELNS1_3gpuE8ELNS1_3repE0EEENS1_52radix_sort_onesweep_histogram_config_static_selectorELNS0_4arch9wavefront6targetE1EEEvSG_.num_vgpr, 0
	.set _ZN7rocprim17ROCPRIM_400000_NS6detail17trampoline_kernelINS0_14default_configENS1_35radix_sort_onesweep_config_selectorIiiEEZNS1_34radix_sort_onesweep_global_offsetsIS3_Lb0EN6thrust23THRUST_200600_302600_NS6detail15normal_iteratorINS8_10device_ptrIiEEEESD_jNS0_19identity_decomposerEEE10hipError_tT1_T2_PT3_SI_jT4_jjP12ihipStream_tbEUlT_E_NS1_11comp_targetILNS1_3genE4ELNS1_11target_archE910ELNS1_3gpuE8ELNS1_3repE0EEENS1_52radix_sort_onesweep_histogram_config_static_selectorELNS0_4arch9wavefront6targetE1EEEvSG_.num_agpr, 0
	.set _ZN7rocprim17ROCPRIM_400000_NS6detail17trampoline_kernelINS0_14default_configENS1_35radix_sort_onesweep_config_selectorIiiEEZNS1_34radix_sort_onesweep_global_offsetsIS3_Lb0EN6thrust23THRUST_200600_302600_NS6detail15normal_iteratorINS8_10device_ptrIiEEEESD_jNS0_19identity_decomposerEEE10hipError_tT1_T2_PT3_SI_jT4_jjP12ihipStream_tbEUlT_E_NS1_11comp_targetILNS1_3genE4ELNS1_11target_archE910ELNS1_3gpuE8ELNS1_3repE0EEENS1_52radix_sort_onesweep_histogram_config_static_selectorELNS0_4arch9wavefront6targetE1EEEvSG_.numbered_sgpr, 0
	.set _ZN7rocprim17ROCPRIM_400000_NS6detail17trampoline_kernelINS0_14default_configENS1_35radix_sort_onesweep_config_selectorIiiEEZNS1_34radix_sort_onesweep_global_offsetsIS3_Lb0EN6thrust23THRUST_200600_302600_NS6detail15normal_iteratorINS8_10device_ptrIiEEEESD_jNS0_19identity_decomposerEEE10hipError_tT1_T2_PT3_SI_jT4_jjP12ihipStream_tbEUlT_E_NS1_11comp_targetILNS1_3genE4ELNS1_11target_archE910ELNS1_3gpuE8ELNS1_3repE0EEENS1_52radix_sort_onesweep_histogram_config_static_selectorELNS0_4arch9wavefront6targetE1EEEvSG_.num_named_barrier, 0
	.set _ZN7rocprim17ROCPRIM_400000_NS6detail17trampoline_kernelINS0_14default_configENS1_35radix_sort_onesweep_config_selectorIiiEEZNS1_34radix_sort_onesweep_global_offsetsIS3_Lb0EN6thrust23THRUST_200600_302600_NS6detail15normal_iteratorINS8_10device_ptrIiEEEESD_jNS0_19identity_decomposerEEE10hipError_tT1_T2_PT3_SI_jT4_jjP12ihipStream_tbEUlT_E_NS1_11comp_targetILNS1_3genE4ELNS1_11target_archE910ELNS1_3gpuE8ELNS1_3repE0EEENS1_52radix_sort_onesweep_histogram_config_static_selectorELNS0_4arch9wavefront6targetE1EEEvSG_.private_seg_size, 0
	.set _ZN7rocprim17ROCPRIM_400000_NS6detail17trampoline_kernelINS0_14default_configENS1_35radix_sort_onesweep_config_selectorIiiEEZNS1_34radix_sort_onesweep_global_offsetsIS3_Lb0EN6thrust23THRUST_200600_302600_NS6detail15normal_iteratorINS8_10device_ptrIiEEEESD_jNS0_19identity_decomposerEEE10hipError_tT1_T2_PT3_SI_jT4_jjP12ihipStream_tbEUlT_E_NS1_11comp_targetILNS1_3genE4ELNS1_11target_archE910ELNS1_3gpuE8ELNS1_3repE0EEENS1_52radix_sort_onesweep_histogram_config_static_selectorELNS0_4arch9wavefront6targetE1EEEvSG_.uses_vcc, 0
	.set _ZN7rocprim17ROCPRIM_400000_NS6detail17trampoline_kernelINS0_14default_configENS1_35radix_sort_onesweep_config_selectorIiiEEZNS1_34radix_sort_onesweep_global_offsetsIS3_Lb0EN6thrust23THRUST_200600_302600_NS6detail15normal_iteratorINS8_10device_ptrIiEEEESD_jNS0_19identity_decomposerEEE10hipError_tT1_T2_PT3_SI_jT4_jjP12ihipStream_tbEUlT_E_NS1_11comp_targetILNS1_3genE4ELNS1_11target_archE910ELNS1_3gpuE8ELNS1_3repE0EEENS1_52radix_sort_onesweep_histogram_config_static_selectorELNS0_4arch9wavefront6targetE1EEEvSG_.uses_flat_scratch, 0
	.set _ZN7rocprim17ROCPRIM_400000_NS6detail17trampoline_kernelINS0_14default_configENS1_35radix_sort_onesweep_config_selectorIiiEEZNS1_34radix_sort_onesweep_global_offsetsIS3_Lb0EN6thrust23THRUST_200600_302600_NS6detail15normal_iteratorINS8_10device_ptrIiEEEESD_jNS0_19identity_decomposerEEE10hipError_tT1_T2_PT3_SI_jT4_jjP12ihipStream_tbEUlT_E_NS1_11comp_targetILNS1_3genE4ELNS1_11target_archE910ELNS1_3gpuE8ELNS1_3repE0EEENS1_52radix_sort_onesweep_histogram_config_static_selectorELNS0_4arch9wavefront6targetE1EEEvSG_.has_dyn_sized_stack, 0
	.set _ZN7rocprim17ROCPRIM_400000_NS6detail17trampoline_kernelINS0_14default_configENS1_35radix_sort_onesweep_config_selectorIiiEEZNS1_34radix_sort_onesweep_global_offsetsIS3_Lb0EN6thrust23THRUST_200600_302600_NS6detail15normal_iteratorINS8_10device_ptrIiEEEESD_jNS0_19identity_decomposerEEE10hipError_tT1_T2_PT3_SI_jT4_jjP12ihipStream_tbEUlT_E_NS1_11comp_targetILNS1_3genE4ELNS1_11target_archE910ELNS1_3gpuE8ELNS1_3repE0EEENS1_52radix_sort_onesweep_histogram_config_static_selectorELNS0_4arch9wavefront6targetE1EEEvSG_.has_recursion, 0
	.set _ZN7rocprim17ROCPRIM_400000_NS6detail17trampoline_kernelINS0_14default_configENS1_35radix_sort_onesweep_config_selectorIiiEEZNS1_34radix_sort_onesweep_global_offsetsIS3_Lb0EN6thrust23THRUST_200600_302600_NS6detail15normal_iteratorINS8_10device_ptrIiEEEESD_jNS0_19identity_decomposerEEE10hipError_tT1_T2_PT3_SI_jT4_jjP12ihipStream_tbEUlT_E_NS1_11comp_targetILNS1_3genE4ELNS1_11target_archE910ELNS1_3gpuE8ELNS1_3repE0EEENS1_52radix_sort_onesweep_histogram_config_static_selectorELNS0_4arch9wavefront6targetE1EEEvSG_.has_indirect_call, 0
	.section	.AMDGPU.csdata,"",@progbits
; Kernel info:
; codeLenInByte = 0
; TotalNumSgprs: 6
; NumVgprs: 0
; NumAgprs: 0
; TotalNumVgprs: 0
; ScratchSize: 0
; MemoryBound: 0
; FloatMode: 240
; IeeeMode: 1
; LDSByteSize: 0 bytes/workgroup (compile time only)
; SGPRBlocks: 0
; VGPRBlocks: 0
; NumSGPRsForWavesPerEU: 6
; NumVGPRsForWavesPerEU: 1
; AccumOffset: 4
; Occupancy: 8
; WaveLimiterHint : 0
; COMPUTE_PGM_RSRC2:SCRATCH_EN: 0
; COMPUTE_PGM_RSRC2:USER_SGPR: 2
; COMPUTE_PGM_RSRC2:TRAP_HANDLER: 0
; COMPUTE_PGM_RSRC2:TGID_X_EN: 1
; COMPUTE_PGM_RSRC2:TGID_Y_EN: 0
; COMPUTE_PGM_RSRC2:TGID_Z_EN: 0
; COMPUTE_PGM_RSRC2:TIDIG_COMP_CNT: 0
; COMPUTE_PGM_RSRC3_GFX90A:ACCUM_OFFSET: 0
; COMPUTE_PGM_RSRC3_GFX90A:TG_SPLIT: 0
	.section	.text._ZN7rocprim17ROCPRIM_400000_NS6detail17trampoline_kernelINS0_14default_configENS1_35radix_sort_onesweep_config_selectorIiiEEZNS1_34radix_sort_onesweep_global_offsetsIS3_Lb0EN6thrust23THRUST_200600_302600_NS6detail15normal_iteratorINS8_10device_ptrIiEEEESD_jNS0_19identity_decomposerEEE10hipError_tT1_T2_PT3_SI_jT4_jjP12ihipStream_tbEUlT_E_NS1_11comp_targetILNS1_3genE3ELNS1_11target_archE908ELNS1_3gpuE7ELNS1_3repE0EEENS1_52radix_sort_onesweep_histogram_config_static_selectorELNS0_4arch9wavefront6targetE1EEEvSG_,"axG",@progbits,_ZN7rocprim17ROCPRIM_400000_NS6detail17trampoline_kernelINS0_14default_configENS1_35radix_sort_onesweep_config_selectorIiiEEZNS1_34radix_sort_onesweep_global_offsetsIS3_Lb0EN6thrust23THRUST_200600_302600_NS6detail15normal_iteratorINS8_10device_ptrIiEEEESD_jNS0_19identity_decomposerEEE10hipError_tT1_T2_PT3_SI_jT4_jjP12ihipStream_tbEUlT_E_NS1_11comp_targetILNS1_3genE3ELNS1_11target_archE908ELNS1_3gpuE7ELNS1_3repE0EEENS1_52radix_sort_onesweep_histogram_config_static_selectorELNS0_4arch9wavefront6targetE1EEEvSG_,comdat
	.protected	_ZN7rocprim17ROCPRIM_400000_NS6detail17trampoline_kernelINS0_14default_configENS1_35radix_sort_onesweep_config_selectorIiiEEZNS1_34radix_sort_onesweep_global_offsetsIS3_Lb0EN6thrust23THRUST_200600_302600_NS6detail15normal_iteratorINS8_10device_ptrIiEEEESD_jNS0_19identity_decomposerEEE10hipError_tT1_T2_PT3_SI_jT4_jjP12ihipStream_tbEUlT_E_NS1_11comp_targetILNS1_3genE3ELNS1_11target_archE908ELNS1_3gpuE7ELNS1_3repE0EEENS1_52radix_sort_onesweep_histogram_config_static_selectorELNS0_4arch9wavefront6targetE1EEEvSG_ ; -- Begin function _ZN7rocprim17ROCPRIM_400000_NS6detail17trampoline_kernelINS0_14default_configENS1_35radix_sort_onesweep_config_selectorIiiEEZNS1_34radix_sort_onesweep_global_offsetsIS3_Lb0EN6thrust23THRUST_200600_302600_NS6detail15normal_iteratorINS8_10device_ptrIiEEEESD_jNS0_19identity_decomposerEEE10hipError_tT1_T2_PT3_SI_jT4_jjP12ihipStream_tbEUlT_E_NS1_11comp_targetILNS1_3genE3ELNS1_11target_archE908ELNS1_3gpuE7ELNS1_3repE0EEENS1_52radix_sort_onesweep_histogram_config_static_selectorELNS0_4arch9wavefront6targetE1EEEvSG_
	.globl	_ZN7rocprim17ROCPRIM_400000_NS6detail17trampoline_kernelINS0_14default_configENS1_35radix_sort_onesweep_config_selectorIiiEEZNS1_34radix_sort_onesweep_global_offsetsIS3_Lb0EN6thrust23THRUST_200600_302600_NS6detail15normal_iteratorINS8_10device_ptrIiEEEESD_jNS0_19identity_decomposerEEE10hipError_tT1_T2_PT3_SI_jT4_jjP12ihipStream_tbEUlT_E_NS1_11comp_targetILNS1_3genE3ELNS1_11target_archE908ELNS1_3gpuE7ELNS1_3repE0EEENS1_52radix_sort_onesweep_histogram_config_static_selectorELNS0_4arch9wavefront6targetE1EEEvSG_
	.p2align	8
	.type	_ZN7rocprim17ROCPRIM_400000_NS6detail17trampoline_kernelINS0_14default_configENS1_35radix_sort_onesweep_config_selectorIiiEEZNS1_34radix_sort_onesweep_global_offsetsIS3_Lb0EN6thrust23THRUST_200600_302600_NS6detail15normal_iteratorINS8_10device_ptrIiEEEESD_jNS0_19identity_decomposerEEE10hipError_tT1_T2_PT3_SI_jT4_jjP12ihipStream_tbEUlT_E_NS1_11comp_targetILNS1_3genE3ELNS1_11target_archE908ELNS1_3gpuE7ELNS1_3repE0EEENS1_52radix_sort_onesweep_histogram_config_static_selectorELNS0_4arch9wavefront6targetE1EEEvSG_,@function
_ZN7rocprim17ROCPRIM_400000_NS6detail17trampoline_kernelINS0_14default_configENS1_35radix_sort_onesweep_config_selectorIiiEEZNS1_34radix_sort_onesweep_global_offsetsIS3_Lb0EN6thrust23THRUST_200600_302600_NS6detail15normal_iteratorINS8_10device_ptrIiEEEESD_jNS0_19identity_decomposerEEE10hipError_tT1_T2_PT3_SI_jT4_jjP12ihipStream_tbEUlT_E_NS1_11comp_targetILNS1_3genE3ELNS1_11target_archE908ELNS1_3gpuE7ELNS1_3repE0EEENS1_52radix_sort_onesweep_histogram_config_static_selectorELNS0_4arch9wavefront6targetE1EEEvSG_: ; @_ZN7rocprim17ROCPRIM_400000_NS6detail17trampoline_kernelINS0_14default_configENS1_35radix_sort_onesweep_config_selectorIiiEEZNS1_34radix_sort_onesweep_global_offsetsIS3_Lb0EN6thrust23THRUST_200600_302600_NS6detail15normal_iteratorINS8_10device_ptrIiEEEESD_jNS0_19identity_decomposerEEE10hipError_tT1_T2_PT3_SI_jT4_jjP12ihipStream_tbEUlT_E_NS1_11comp_targetILNS1_3genE3ELNS1_11target_archE908ELNS1_3gpuE7ELNS1_3repE0EEENS1_52radix_sort_onesweep_histogram_config_static_selectorELNS0_4arch9wavefront6targetE1EEEvSG_
; %bb.0:
	.section	.rodata,"a",@progbits
	.p2align	6, 0x0
	.amdhsa_kernel _ZN7rocprim17ROCPRIM_400000_NS6detail17trampoline_kernelINS0_14default_configENS1_35radix_sort_onesweep_config_selectorIiiEEZNS1_34radix_sort_onesweep_global_offsetsIS3_Lb0EN6thrust23THRUST_200600_302600_NS6detail15normal_iteratorINS8_10device_ptrIiEEEESD_jNS0_19identity_decomposerEEE10hipError_tT1_T2_PT3_SI_jT4_jjP12ihipStream_tbEUlT_E_NS1_11comp_targetILNS1_3genE3ELNS1_11target_archE908ELNS1_3gpuE7ELNS1_3repE0EEENS1_52radix_sort_onesweep_histogram_config_static_selectorELNS0_4arch9wavefront6targetE1EEEvSG_
		.amdhsa_group_segment_fixed_size 0
		.amdhsa_private_segment_fixed_size 0
		.amdhsa_kernarg_size 40
		.amdhsa_user_sgpr_count 2
		.amdhsa_user_sgpr_dispatch_ptr 0
		.amdhsa_user_sgpr_queue_ptr 0
		.amdhsa_user_sgpr_kernarg_segment_ptr 1
		.amdhsa_user_sgpr_dispatch_id 0
		.amdhsa_user_sgpr_kernarg_preload_length 0
		.amdhsa_user_sgpr_kernarg_preload_offset 0
		.amdhsa_user_sgpr_private_segment_size 0
		.amdhsa_uses_dynamic_stack 0
		.amdhsa_enable_private_segment 0
		.amdhsa_system_sgpr_workgroup_id_x 1
		.amdhsa_system_sgpr_workgroup_id_y 0
		.amdhsa_system_sgpr_workgroup_id_z 0
		.amdhsa_system_sgpr_workgroup_info 0
		.amdhsa_system_vgpr_workitem_id 0
		.amdhsa_next_free_vgpr 1
		.amdhsa_next_free_sgpr 0
		.amdhsa_accum_offset 4
		.amdhsa_reserve_vcc 0
		.amdhsa_float_round_mode_32 0
		.amdhsa_float_round_mode_16_64 0
		.amdhsa_float_denorm_mode_32 3
		.amdhsa_float_denorm_mode_16_64 3
		.amdhsa_dx10_clamp 1
		.amdhsa_ieee_mode 1
		.amdhsa_fp16_overflow 0
		.amdhsa_tg_split 0
		.amdhsa_exception_fp_ieee_invalid_op 0
		.amdhsa_exception_fp_denorm_src 0
		.amdhsa_exception_fp_ieee_div_zero 0
		.amdhsa_exception_fp_ieee_overflow 0
		.amdhsa_exception_fp_ieee_underflow 0
		.amdhsa_exception_fp_ieee_inexact 0
		.amdhsa_exception_int_div_zero 0
	.end_amdhsa_kernel
	.section	.text._ZN7rocprim17ROCPRIM_400000_NS6detail17trampoline_kernelINS0_14default_configENS1_35radix_sort_onesweep_config_selectorIiiEEZNS1_34radix_sort_onesweep_global_offsetsIS3_Lb0EN6thrust23THRUST_200600_302600_NS6detail15normal_iteratorINS8_10device_ptrIiEEEESD_jNS0_19identity_decomposerEEE10hipError_tT1_T2_PT3_SI_jT4_jjP12ihipStream_tbEUlT_E_NS1_11comp_targetILNS1_3genE3ELNS1_11target_archE908ELNS1_3gpuE7ELNS1_3repE0EEENS1_52radix_sort_onesweep_histogram_config_static_selectorELNS0_4arch9wavefront6targetE1EEEvSG_,"axG",@progbits,_ZN7rocprim17ROCPRIM_400000_NS6detail17trampoline_kernelINS0_14default_configENS1_35radix_sort_onesweep_config_selectorIiiEEZNS1_34radix_sort_onesweep_global_offsetsIS3_Lb0EN6thrust23THRUST_200600_302600_NS6detail15normal_iteratorINS8_10device_ptrIiEEEESD_jNS0_19identity_decomposerEEE10hipError_tT1_T2_PT3_SI_jT4_jjP12ihipStream_tbEUlT_E_NS1_11comp_targetILNS1_3genE3ELNS1_11target_archE908ELNS1_3gpuE7ELNS1_3repE0EEENS1_52radix_sort_onesweep_histogram_config_static_selectorELNS0_4arch9wavefront6targetE1EEEvSG_,comdat
.Lfunc_end1397:
	.size	_ZN7rocprim17ROCPRIM_400000_NS6detail17trampoline_kernelINS0_14default_configENS1_35radix_sort_onesweep_config_selectorIiiEEZNS1_34radix_sort_onesweep_global_offsetsIS3_Lb0EN6thrust23THRUST_200600_302600_NS6detail15normal_iteratorINS8_10device_ptrIiEEEESD_jNS0_19identity_decomposerEEE10hipError_tT1_T2_PT3_SI_jT4_jjP12ihipStream_tbEUlT_E_NS1_11comp_targetILNS1_3genE3ELNS1_11target_archE908ELNS1_3gpuE7ELNS1_3repE0EEENS1_52radix_sort_onesweep_histogram_config_static_selectorELNS0_4arch9wavefront6targetE1EEEvSG_, .Lfunc_end1397-_ZN7rocprim17ROCPRIM_400000_NS6detail17trampoline_kernelINS0_14default_configENS1_35radix_sort_onesweep_config_selectorIiiEEZNS1_34radix_sort_onesweep_global_offsetsIS3_Lb0EN6thrust23THRUST_200600_302600_NS6detail15normal_iteratorINS8_10device_ptrIiEEEESD_jNS0_19identity_decomposerEEE10hipError_tT1_T2_PT3_SI_jT4_jjP12ihipStream_tbEUlT_E_NS1_11comp_targetILNS1_3genE3ELNS1_11target_archE908ELNS1_3gpuE7ELNS1_3repE0EEENS1_52radix_sort_onesweep_histogram_config_static_selectorELNS0_4arch9wavefront6targetE1EEEvSG_
                                        ; -- End function
	.set _ZN7rocprim17ROCPRIM_400000_NS6detail17trampoline_kernelINS0_14default_configENS1_35radix_sort_onesweep_config_selectorIiiEEZNS1_34radix_sort_onesweep_global_offsetsIS3_Lb0EN6thrust23THRUST_200600_302600_NS6detail15normal_iteratorINS8_10device_ptrIiEEEESD_jNS0_19identity_decomposerEEE10hipError_tT1_T2_PT3_SI_jT4_jjP12ihipStream_tbEUlT_E_NS1_11comp_targetILNS1_3genE3ELNS1_11target_archE908ELNS1_3gpuE7ELNS1_3repE0EEENS1_52radix_sort_onesweep_histogram_config_static_selectorELNS0_4arch9wavefront6targetE1EEEvSG_.num_vgpr, 0
	.set _ZN7rocprim17ROCPRIM_400000_NS6detail17trampoline_kernelINS0_14default_configENS1_35radix_sort_onesweep_config_selectorIiiEEZNS1_34radix_sort_onesweep_global_offsetsIS3_Lb0EN6thrust23THRUST_200600_302600_NS6detail15normal_iteratorINS8_10device_ptrIiEEEESD_jNS0_19identity_decomposerEEE10hipError_tT1_T2_PT3_SI_jT4_jjP12ihipStream_tbEUlT_E_NS1_11comp_targetILNS1_3genE3ELNS1_11target_archE908ELNS1_3gpuE7ELNS1_3repE0EEENS1_52radix_sort_onesweep_histogram_config_static_selectorELNS0_4arch9wavefront6targetE1EEEvSG_.num_agpr, 0
	.set _ZN7rocprim17ROCPRIM_400000_NS6detail17trampoline_kernelINS0_14default_configENS1_35radix_sort_onesweep_config_selectorIiiEEZNS1_34radix_sort_onesweep_global_offsetsIS3_Lb0EN6thrust23THRUST_200600_302600_NS6detail15normal_iteratorINS8_10device_ptrIiEEEESD_jNS0_19identity_decomposerEEE10hipError_tT1_T2_PT3_SI_jT4_jjP12ihipStream_tbEUlT_E_NS1_11comp_targetILNS1_3genE3ELNS1_11target_archE908ELNS1_3gpuE7ELNS1_3repE0EEENS1_52radix_sort_onesweep_histogram_config_static_selectorELNS0_4arch9wavefront6targetE1EEEvSG_.numbered_sgpr, 0
	.set _ZN7rocprim17ROCPRIM_400000_NS6detail17trampoline_kernelINS0_14default_configENS1_35radix_sort_onesweep_config_selectorIiiEEZNS1_34radix_sort_onesweep_global_offsetsIS3_Lb0EN6thrust23THRUST_200600_302600_NS6detail15normal_iteratorINS8_10device_ptrIiEEEESD_jNS0_19identity_decomposerEEE10hipError_tT1_T2_PT3_SI_jT4_jjP12ihipStream_tbEUlT_E_NS1_11comp_targetILNS1_3genE3ELNS1_11target_archE908ELNS1_3gpuE7ELNS1_3repE0EEENS1_52radix_sort_onesweep_histogram_config_static_selectorELNS0_4arch9wavefront6targetE1EEEvSG_.num_named_barrier, 0
	.set _ZN7rocprim17ROCPRIM_400000_NS6detail17trampoline_kernelINS0_14default_configENS1_35radix_sort_onesweep_config_selectorIiiEEZNS1_34radix_sort_onesweep_global_offsetsIS3_Lb0EN6thrust23THRUST_200600_302600_NS6detail15normal_iteratorINS8_10device_ptrIiEEEESD_jNS0_19identity_decomposerEEE10hipError_tT1_T2_PT3_SI_jT4_jjP12ihipStream_tbEUlT_E_NS1_11comp_targetILNS1_3genE3ELNS1_11target_archE908ELNS1_3gpuE7ELNS1_3repE0EEENS1_52radix_sort_onesweep_histogram_config_static_selectorELNS0_4arch9wavefront6targetE1EEEvSG_.private_seg_size, 0
	.set _ZN7rocprim17ROCPRIM_400000_NS6detail17trampoline_kernelINS0_14default_configENS1_35radix_sort_onesweep_config_selectorIiiEEZNS1_34radix_sort_onesweep_global_offsetsIS3_Lb0EN6thrust23THRUST_200600_302600_NS6detail15normal_iteratorINS8_10device_ptrIiEEEESD_jNS0_19identity_decomposerEEE10hipError_tT1_T2_PT3_SI_jT4_jjP12ihipStream_tbEUlT_E_NS1_11comp_targetILNS1_3genE3ELNS1_11target_archE908ELNS1_3gpuE7ELNS1_3repE0EEENS1_52radix_sort_onesweep_histogram_config_static_selectorELNS0_4arch9wavefront6targetE1EEEvSG_.uses_vcc, 0
	.set _ZN7rocprim17ROCPRIM_400000_NS6detail17trampoline_kernelINS0_14default_configENS1_35radix_sort_onesweep_config_selectorIiiEEZNS1_34radix_sort_onesweep_global_offsetsIS3_Lb0EN6thrust23THRUST_200600_302600_NS6detail15normal_iteratorINS8_10device_ptrIiEEEESD_jNS0_19identity_decomposerEEE10hipError_tT1_T2_PT3_SI_jT4_jjP12ihipStream_tbEUlT_E_NS1_11comp_targetILNS1_3genE3ELNS1_11target_archE908ELNS1_3gpuE7ELNS1_3repE0EEENS1_52radix_sort_onesweep_histogram_config_static_selectorELNS0_4arch9wavefront6targetE1EEEvSG_.uses_flat_scratch, 0
	.set _ZN7rocprim17ROCPRIM_400000_NS6detail17trampoline_kernelINS0_14default_configENS1_35radix_sort_onesweep_config_selectorIiiEEZNS1_34radix_sort_onesweep_global_offsetsIS3_Lb0EN6thrust23THRUST_200600_302600_NS6detail15normal_iteratorINS8_10device_ptrIiEEEESD_jNS0_19identity_decomposerEEE10hipError_tT1_T2_PT3_SI_jT4_jjP12ihipStream_tbEUlT_E_NS1_11comp_targetILNS1_3genE3ELNS1_11target_archE908ELNS1_3gpuE7ELNS1_3repE0EEENS1_52radix_sort_onesweep_histogram_config_static_selectorELNS0_4arch9wavefront6targetE1EEEvSG_.has_dyn_sized_stack, 0
	.set _ZN7rocprim17ROCPRIM_400000_NS6detail17trampoline_kernelINS0_14default_configENS1_35radix_sort_onesweep_config_selectorIiiEEZNS1_34radix_sort_onesweep_global_offsetsIS3_Lb0EN6thrust23THRUST_200600_302600_NS6detail15normal_iteratorINS8_10device_ptrIiEEEESD_jNS0_19identity_decomposerEEE10hipError_tT1_T2_PT3_SI_jT4_jjP12ihipStream_tbEUlT_E_NS1_11comp_targetILNS1_3genE3ELNS1_11target_archE908ELNS1_3gpuE7ELNS1_3repE0EEENS1_52radix_sort_onesweep_histogram_config_static_selectorELNS0_4arch9wavefront6targetE1EEEvSG_.has_recursion, 0
	.set _ZN7rocprim17ROCPRIM_400000_NS6detail17trampoline_kernelINS0_14default_configENS1_35radix_sort_onesweep_config_selectorIiiEEZNS1_34radix_sort_onesweep_global_offsetsIS3_Lb0EN6thrust23THRUST_200600_302600_NS6detail15normal_iteratorINS8_10device_ptrIiEEEESD_jNS0_19identity_decomposerEEE10hipError_tT1_T2_PT3_SI_jT4_jjP12ihipStream_tbEUlT_E_NS1_11comp_targetILNS1_3genE3ELNS1_11target_archE908ELNS1_3gpuE7ELNS1_3repE0EEENS1_52radix_sort_onesweep_histogram_config_static_selectorELNS0_4arch9wavefront6targetE1EEEvSG_.has_indirect_call, 0
	.section	.AMDGPU.csdata,"",@progbits
; Kernel info:
; codeLenInByte = 0
; TotalNumSgprs: 6
; NumVgprs: 0
; NumAgprs: 0
; TotalNumVgprs: 0
; ScratchSize: 0
; MemoryBound: 0
; FloatMode: 240
; IeeeMode: 1
; LDSByteSize: 0 bytes/workgroup (compile time only)
; SGPRBlocks: 0
; VGPRBlocks: 0
; NumSGPRsForWavesPerEU: 6
; NumVGPRsForWavesPerEU: 1
; AccumOffset: 4
; Occupancy: 8
; WaveLimiterHint : 0
; COMPUTE_PGM_RSRC2:SCRATCH_EN: 0
; COMPUTE_PGM_RSRC2:USER_SGPR: 2
; COMPUTE_PGM_RSRC2:TRAP_HANDLER: 0
; COMPUTE_PGM_RSRC2:TGID_X_EN: 1
; COMPUTE_PGM_RSRC2:TGID_Y_EN: 0
; COMPUTE_PGM_RSRC2:TGID_Z_EN: 0
; COMPUTE_PGM_RSRC2:TIDIG_COMP_CNT: 0
; COMPUTE_PGM_RSRC3_GFX90A:ACCUM_OFFSET: 0
; COMPUTE_PGM_RSRC3_GFX90A:TG_SPLIT: 0
	.section	.text._ZN7rocprim17ROCPRIM_400000_NS6detail17trampoline_kernelINS0_14default_configENS1_35radix_sort_onesweep_config_selectorIiiEEZNS1_34radix_sort_onesweep_global_offsetsIS3_Lb0EN6thrust23THRUST_200600_302600_NS6detail15normal_iteratorINS8_10device_ptrIiEEEESD_jNS0_19identity_decomposerEEE10hipError_tT1_T2_PT3_SI_jT4_jjP12ihipStream_tbEUlT_E_NS1_11comp_targetILNS1_3genE10ELNS1_11target_archE1201ELNS1_3gpuE5ELNS1_3repE0EEENS1_52radix_sort_onesweep_histogram_config_static_selectorELNS0_4arch9wavefront6targetE1EEEvSG_,"axG",@progbits,_ZN7rocprim17ROCPRIM_400000_NS6detail17trampoline_kernelINS0_14default_configENS1_35radix_sort_onesweep_config_selectorIiiEEZNS1_34radix_sort_onesweep_global_offsetsIS3_Lb0EN6thrust23THRUST_200600_302600_NS6detail15normal_iteratorINS8_10device_ptrIiEEEESD_jNS0_19identity_decomposerEEE10hipError_tT1_T2_PT3_SI_jT4_jjP12ihipStream_tbEUlT_E_NS1_11comp_targetILNS1_3genE10ELNS1_11target_archE1201ELNS1_3gpuE5ELNS1_3repE0EEENS1_52radix_sort_onesweep_histogram_config_static_selectorELNS0_4arch9wavefront6targetE1EEEvSG_,comdat
	.protected	_ZN7rocprim17ROCPRIM_400000_NS6detail17trampoline_kernelINS0_14default_configENS1_35radix_sort_onesweep_config_selectorIiiEEZNS1_34radix_sort_onesweep_global_offsetsIS3_Lb0EN6thrust23THRUST_200600_302600_NS6detail15normal_iteratorINS8_10device_ptrIiEEEESD_jNS0_19identity_decomposerEEE10hipError_tT1_T2_PT3_SI_jT4_jjP12ihipStream_tbEUlT_E_NS1_11comp_targetILNS1_3genE10ELNS1_11target_archE1201ELNS1_3gpuE5ELNS1_3repE0EEENS1_52radix_sort_onesweep_histogram_config_static_selectorELNS0_4arch9wavefront6targetE1EEEvSG_ ; -- Begin function _ZN7rocprim17ROCPRIM_400000_NS6detail17trampoline_kernelINS0_14default_configENS1_35radix_sort_onesweep_config_selectorIiiEEZNS1_34radix_sort_onesweep_global_offsetsIS3_Lb0EN6thrust23THRUST_200600_302600_NS6detail15normal_iteratorINS8_10device_ptrIiEEEESD_jNS0_19identity_decomposerEEE10hipError_tT1_T2_PT3_SI_jT4_jjP12ihipStream_tbEUlT_E_NS1_11comp_targetILNS1_3genE10ELNS1_11target_archE1201ELNS1_3gpuE5ELNS1_3repE0EEENS1_52radix_sort_onesweep_histogram_config_static_selectorELNS0_4arch9wavefront6targetE1EEEvSG_
	.globl	_ZN7rocprim17ROCPRIM_400000_NS6detail17trampoline_kernelINS0_14default_configENS1_35radix_sort_onesweep_config_selectorIiiEEZNS1_34radix_sort_onesweep_global_offsetsIS3_Lb0EN6thrust23THRUST_200600_302600_NS6detail15normal_iteratorINS8_10device_ptrIiEEEESD_jNS0_19identity_decomposerEEE10hipError_tT1_T2_PT3_SI_jT4_jjP12ihipStream_tbEUlT_E_NS1_11comp_targetILNS1_3genE10ELNS1_11target_archE1201ELNS1_3gpuE5ELNS1_3repE0EEENS1_52radix_sort_onesweep_histogram_config_static_selectorELNS0_4arch9wavefront6targetE1EEEvSG_
	.p2align	8
	.type	_ZN7rocprim17ROCPRIM_400000_NS6detail17trampoline_kernelINS0_14default_configENS1_35radix_sort_onesweep_config_selectorIiiEEZNS1_34radix_sort_onesweep_global_offsetsIS3_Lb0EN6thrust23THRUST_200600_302600_NS6detail15normal_iteratorINS8_10device_ptrIiEEEESD_jNS0_19identity_decomposerEEE10hipError_tT1_T2_PT3_SI_jT4_jjP12ihipStream_tbEUlT_E_NS1_11comp_targetILNS1_3genE10ELNS1_11target_archE1201ELNS1_3gpuE5ELNS1_3repE0EEENS1_52radix_sort_onesweep_histogram_config_static_selectorELNS0_4arch9wavefront6targetE1EEEvSG_,@function
_ZN7rocprim17ROCPRIM_400000_NS6detail17trampoline_kernelINS0_14default_configENS1_35radix_sort_onesweep_config_selectorIiiEEZNS1_34radix_sort_onesweep_global_offsetsIS3_Lb0EN6thrust23THRUST_200600_302600_NS6detail15normal_iteratorINS8_10device_ptrIiEEEESD_jNS0_19identity_decomposerEEE10hipError_tT1_T2_PT3_SI_jT4_jjP12ihipStream_tbEUlT_E_NS1_11comp_targetILNS1_3genE10ELNS1_11target_archE1201ELNS1_3gpuE5ELNS1_3repE0EEENS1_52radix_sort_onesweep_histogram_config_static_selectorELNS0_4arch9wavefront6targetE1EEEvSG_: ; @_ZN7rocprim17ROCPRIM_400000_NS6detail17trampoline_kernelINS0_14default_configENS1_35radix_sort_onesweep_config_selectorIiiEEZNS1_34radix_sort_onesweep_global_offsetsIS3_Lb0EN6thrust23THRUST_200600_302600_NS6detail15normal_iteratorINS8_10device_ptrIiEEEESD_jNS0_19identity_decomposerEEE10hipError_tT1_T2_PT3_SI_jT4_jjP12ihipStream_tbEUlT_E_NS1_11comp_targetILNS1_3genE10ELNS1_11target_archE1201ELNS1_3gpuE5ELNS1_3repE0EEENS1_52radix_sort_onesweep_histogram_config_static_selectorELNS0_4arch9wavefront6targetE1EEEvSG_
; %bb.0:
	.section	.rodata,"a",@progbits
	.p2align	6, 0x0
	.amdhsa_kernel _ZN7rocprim17ROCPRIM_400000_NS6detail17trampoline_kernelINS0_14default_configENS1_35radix_sort_onesweep_config_selectorIiiEEZNS1_34radix_sort_onesweep_global_offsetsIS3_Lb0EN6thrust23THRUST_200600_302600_NS6detail15normal_iteratorINS8_10device_ptrIiEEEESD_jNS0_19identity_decomposerEEE10hipError_tT1_T2_PT3_SI_jT4_jjP12ihipStream_tbEUlT_E_NS1_11comp_targetILNS1_3genE10ELNS1_11target_archE1201ELNS1_3gpuE5ELNS1_3repE0EEENS1_52radix_sort_onesweep_histogram_config_static_selectorELNS0_4arch9wavefront6targetE1EEEvSG_
		.amdhsa_group_segment_fixed_size 0
		.amdhsa_private_segment_fixed_size 0
		.amdhsa_kernarg_size 40
		.amdhsa_user_sgpr_count 2
		.amdhsa_user_sgpr_dispatch_ptr 0
		.amdhsa_user_sgpr_queue_ptr 0
		.amdhsa_user_sgpr_kernarg_segment_ptr 1
		.amdhsa_user_sgpr_dispatch_id 0
		.amdhsa_user_sgpr_kernarg_preload_length 0
		.amdhsa_user_sgpr_kernarg_preload_offset 0
		.amdhsa_user_sgpr_private_segment_size 0
		.amdhsa_uses_dynamic_stack 0
		.amdhsa_enable_private_segment 0
		.amdhsa_system_sgpr_workgroup_id_x 1
		.amdhsa_system_sgpr_workgroup_id_y 0
		.amdhsa_system_sgpr_workgroup_id_z 0
		.amdhsa_system_sgpr_workgroup_info 0
		.amdhsa_system_vgpr_workitem_id 0
		.amdhsa_next_free_vgpr 1
		.amdhsa_next_free_sgpr 0
		.amdhsa_accum_offset 4
		.amdhsa_reserve_vcc 0
		.amdhsa_float_round_mode_32 0
		.amdhsa_float_round_mode_16_64 0
		.amdhsa_float_denorm_mode_32 3
		.amdhsa_float_denorm_mode_16_64 3
		.amdhsa_dx10_clamp 1
		.amdhsa_ieee_mode 1
		.amdhsa_fp16_overflow 0
		.amdhsa_tg_split 0
		.amdhsa_exception_fp_ieee_invalid_op 0
		.amdhsa_exception_fp_denorm_src 0
		.amdhsa_exception_fp_ieee_div_zero 0
		.amdhsa_exception_fp_ieee_overflow 0
		.amdhsa_exception_fp_ieee_underflow 0
		.amdhsa_exception_fp_ieee_inexact 0
		.amdhsa_exception_int_div_zero 0
	.end_amdhsa_kernel
	.section	.text._ZN7rocprim17ROCPRIM_400000_NS6detail17trampoline_kernelINS0_14default_configENS1_35radix_sort_onesweep_config_selectorIiiEEZNS1_34radix_sort_onesweep_global_offsetsIS3_Lb0EN6thrust23THRUST_200600_302600_NS6detail15normal_iteratorINS8_10device_ptrIiEEEESD_jNS0_19identity_decomposerEEE10hipError_tT1_T2_PT3_SI_jT4_jjP12ihipStream_tbEUlT_E_NS1_11comp_targetILNS1_3genE10ELNS1_11target_archE1201ELNS1_3gpuE5ELNS1_3repE0EEENS1_52radix_sort_onesweep_histogram_config_static_selectorELNS0_4arch9wavefront6targetE1EEEvSG_,"axG",@progbits,_ZN7rocprim17ROCPRIM_400000_NS6detail17trampoline_kernelINS0_14default_configENS1_35radix_sort_onesweep_config_selectorIiiEEZNS1_34radix_sort_onesweep_global_offsetsIS3_Lb0EN6thrust23THRUST_200600_302600_NS6detail15normal_iteratorINS8_10device_ptrIiEEEESD_jNS0_19identity_decomposerEEE10hipError_tT1_T2_PT3_SI_jT4_jjP12ihipStream_tbEUlT_E_NS1_11comp_targetILNS1_3genE10ELNS1_11target_archE1201ELNS1_3gpuE5ELNS1_3repE0EEENS1_52radix_sort_onesweep_histogram_config_static_selectorELNS0_4arch9wavefront6targetE1EEEvSG_,comdat
.Lfunc_end1398:
	.size	_ZN7rocprim17ROCPRIM_400000_NS6detail17trampoline_kernelINS0_14default_configENS1_35radix_sort_onesweep_config_selectorIiiEEZNS1_34radix_sort_onesweep_global_offsetsIS3_Lb0EN6thrust23THRUST_200600_302600_NS6detail15normal_iteratorINS8_10device_ptrIiEEEESD_jNS0_19identity_decomposerEEE10hipError_tT1_T2_PT3_SI_jT4_jjP12ihipStream_tbEUlT_E_NS1_11comp_targetILNS1_3genE10ELNS1_11target_archE1201ELNS1_3gpuE5ELNS1_3repE0EEENS1_52radix_sort_onesweep_histogram_config_static_selectorELNS0_4arch9wavefront6targetE1EEEvSG_, .Lfunc_end1398-_ZN7rocprim17ROCPRIM_400000_NS6detail17trampoline_kernelINS0_14default_configENS1_35radix_sort_onesweep_config_selectorIiiEEZNS1_34radix_sort_onesweep_global_offsetsIS3_Lb0EN6thrust23THRUST_200600_302600_NS6detail15normal_iteratorINS8_10device_ptrIiEEEESD_jNS0_19identity_decomposerEEE10hipError_tT1_T2_PT3_SI_jT4_jjP12ihipStream_tbEUlT_E_NS1_11comp_targetILNS1_3genE10ELNS1_11target_archE1201ELNS1_3gpuE5ELNS1_3repE0EEENS1_52radix_sort_onesweep_histogram_config_static_selectorELNS0_4arch9wavefront6targetE1EEEvSG_
                                        ; -- End function
	.set _ZN7rocprim17ROCPRIM_400000_NS6detail17trampoline_kernelINS0_14default_configENS1_35radix_sort_onesweep_config_selectorIiiEEZNS1_34radix_sort_onesweep_global_offsetsIS3_Lb0EN6thrust23THRUST_200600_302600_NS6detail15normal_iteratorINS8_10device_ptrIiEEEESD_jNS0_19identity_decomposerEEE10hipError_tT1_T2_PT3_SI_jT4_jjP12ihipStream_tbEUlT_E_NS1_11comp_targetILNS1_3genE10ELNS1_11target_archE1201ELNS1_3gpuE5ELNS1_3repE0EEENS1_52radix_sort_onesweep_histogram_config_static_selectorELNS0_4arch9wavefront6targetE1EEEvSG_.num_vgpr, 0
	.set _ZN7rocprim17ROCPRIM_400000_NS6detail17trampoline_kernelINS0_14default_configENS1_35radix_sort_onesweep_config_selectorIiiEEZNS1_34radix_sort_onesweep_global_offsetsIS3_Lb0EN6thrust23THRUST_200600_302600_NS6detail15normal_iteratorINS8_10device_ptrIiEEEESD_jNS0_19identity_decomposerEEE10hipError_tT1_T2_PT3_SI_jT4_jjP12ihipStream_tbEUlT_E_NS1_11comp_targetILNS1_3genE10ELNS1_11target_archE1201ELNS1_3gpuE5ELNS1_3repE0EEENS1_52radix_sort_onesweep_histogram_config_static_selectorELNS0_4arch9wavefront6targetE1EEEvSG_.num_agpr, 0
	.set _ZN7rocprim17ROCPRIM_400000_NS6detail17trampoline_kernelINS0_14default_configENS1_35radix_sort_onesweep_config_selectorIiiEEZNS1_34radix_sort_onesweep_global_offsetsIS3_Lb0EN6thrust23THRUST_200600_302600_NS6detail15normal_iteratorINS8_10device_ptrIiEEEESD_jNS0_19identity_decomposerEEE10hipError_tT1_T2_PT3_SI_jT4_jjP12ihipStream_tbEUlT_E_NS1_11comp_targetILNS1_3genE10ELNS1_11target_archE1201ELNS1_3gpuE5ELNS1_3repE0EEENS1_52radix_sort_onesweep_histogram_config_static_selectorELNS0_4arch9wavefront6targetE1EEEvSG_.numbered_sgpr, 0
	.set _ZN7rocprim17ROCPRIM_400000_NS6detail17trampoline_kernelINS0_14default_configENS1_35radix_sort_onesweep_config_selectorIiiEEZNS1_34radix_sort_onesweep_global_offsetsIS3_Lb0EN6thrust23THRUST_200600_302600_NS6detail15normal_iteratorINS8_10device_ptrIiEEEESD_jNS0_19identity_decomposerEEE10hipError_tT1_T2_PT3_SI_jT4_jjP12ihipStream_tbEUlT_E_NS1_11comp_targetILNS1_3genE10ELNS1_11target_archE1201ELNS1_3gpuE5ELNS1_3repE0EEENS1_52radix_sort_onesweep_histogram_config_static_selectorELNS0_4arch9wavefront6targetE1EEEvSG_.num_named_barrier, 0
	.set _ZN7rocprim17ROCPRIM_400000_NS6detail17trampoline_kernelINS0_14default_configENS1_35radix_sort_onesweep_config_selectorIiiEEZNS1_34radix_sort_onesweep_global_offsetsIS3_Lb0EN6thrust23THRUST_200600_302600_NS6detail15normal_iteratorINS8_10device_ptrIiEEEESD_jNS0_19identity_decomposerEEE10hipError_tT1_T2_PT3_SI_jT4_jjP12ihipStream_tbEUlT_E_NS1_11comp_targetILNS1_3genE10ELNS1_11target_archE1201ELNS1_3gpuE5ELNS1_3repE0EEENS1_52radix_sort_onesweep_histogram_config_static_selectorELNS0_4arch9wavefront6targetE1EEEvSG_.private_seg_size, 0
	.set _ZN7rocprim17ROCPRIM_400000_NS6detail17trampoline_kernelINS0_14default_configENS1_35radix_sort_onesweep_config_selectorIiiEEZNS1_34radix_sort_onesweep_global_offsetsIS3_Lb0EN6thrust23THRUST_200600_302600_NS6detail15normal_iteratorINS8_10device_ptrIiEEEESD_jNS0_19identity_decomposerEEE10hipError_tT1_T2_PT3_SI_jT4_jjP12ihipStream_tbEUlT_E_NS1_11comp_targetILNS1_3genE10ELNS1_11target_archE1201ELNS1_3gpuE5ELNS1_3repE0EEENS1_52radix_sort_onesweep_histogram_config_static_selectorELNS0_4arch9wavefront6targetE1EEEvSG_.uses_vcc, 0
	.set _ZN7rocprim17ROCPRIM_400000_NS6detail17trampoline_kernelINS0_14default_configENS1_35radix_sort_onesweep_config_selectorIiiEEZNS1_34radix_sort_onesweep_global_offsetsIS3_Lb0EN6thrust23THRUST_200600_302600_NS6detail15normal_iteratorINS8_10device_ptrIiEEEESD_jNS0_19identity_decomposerEEE10hipError_tT1_T2_PT3_SI_jT4_jjP12ihipStream_tbEUlT_E_NS1_11comp_targetILNS1_3genE10ELNS1_11target_archE1201ELNS1_3gpuE5ELNS1_3repE0EEENS1_52radix_sort_onesweep_histogram_config_static_selectorELNS0_4arch9wavefront6targetE1EEEvSG_.uses_flat_scratch, 0
	.set _ZN7rocprim17ROCPRIM_400000_NS6detail17trampoline_kernelINS0_14default_configENS1_35radix_sort_onesweep_config_selectorIiiEEZNS1_34radix_sort_onesweep_global_offsetsIS3_Lb0EN6thrust23THRUST_200600_302600_NS6detail15normal_iteratorINS8_10device_ptrIiEEEESD_jNS0_19identity_decomposerEEE10hipError_tT1_T2_PT3_SI_jT4_jjP12ihipStream_tbEUlT_E_NS1_11comp_targetILNS1_3genE10ELNS1_11target_archE1201ELNS1_3gpuE5ELNS1_3repE0EEENS1_52radix_sort_onesweep_histogram_config_static_selectorELNS0_4arch9wavefront6targetE1EEEvSG_.has_dyn_sized_stack, 0
	.set _ZN7rocprim17ROCPRIM_400000_NS6detail17trampoline_kernelINS0_14default_configENS1_35radix_sort_onesweep_config_selectorIiiEEZNS1_34radix_sort_onesweep_global_offsetsIS3_Lb0EN6thrust23THRUST_200600_302600_NS6detail15normal_iteratorINS8_10device_ptrIiEEEESD_jNS0_19identity_decomposerEEE10hipError_tT1_T2_PT3_SI_jT4_jjP12ihipStream_tbEUlT_E_NS1_11comp_targetILNS1_3genE10ELNS1_11target_archE1201ELNS1_3gpuE5ELNS1_3repE0EEENS1_52radix_sort_onesweep_histogram_config_static_selectorELNS0_4arch9wavefront6targetE1EEEvSG_.has_recursion, 0
	.set _ZN7rocprim17ROCPRIM_400000_NS6detail17trampoline_kernelINS0_14default_configENS1_35radix_sort_onesweep_config_selectorIiiEEZNS1_34radix_sort_onesweep_global_offsetsIS3_Lb0EN6thrust23THRUST_200600_302600_NS6detail15normal_iteratorINS8_10device_ptrIiEEEESD_jNS0_19identity_decomposerEEE10hipError_tT1_T2_PT3_SI_jT4_jjP12ihipStream_tbEUlT_E_NS1_11comp_targetILNS1_3genE10ELNS1_11target_archE1201ELNS1_3gpuE5ELNS1_3repE0EEENS1_52radix_sort_onesweep_histogram_config_static_selectorELNS0_4arch9wavefront6targetE1EEEvSG_.has_indirect_call, 0
	.section	.AMDGPU.csdata,"",@progbits
; Kernel info:
; codeLenInByte = 0
; TotalNumSgprs: 6
; NumVgprs: 0
; NumAgprs: 0
; TotalNumVgprs: 0
; ScratchSize: 0
; MemoryBound: 0
; FloatMode: 240
; IeeeMode: 1
; LDSByteSize: 0 bytes/workgroup (compile time only)
; SGPRBlocks: 0
; VGPRBlocks: 0
; NumSGPRsForWavesPerEU: 6
; NumVGPRsForWavesPerEU: 1
; AccumOffset: 4
; Occupancy: 8
; WaveLimiterHint : 0
; COMPUTE_PGM_RSRC2:SCRATCH_EN: 0
; COMPUTE_PGM_RSRC2:USER_SGPR: 2
; COMPUTE_PGM_RSRC2:TRAP_HANDLER: 0
; COMPUTE_PGM_RSRC2:TGID_X_EN: 1
; COMPUTE_PGM_RSRC2:TGID_Y_EN: 0
; COMPUTE_PGM_RSRC2:TGID_Z_EN: 0
; COMPUTE_PGM_RSRC2:TIDIG_COMP_CNT: 0
; COMPUTE_PGM_RSRC3_GFX90A:ACCUM_OFFSET: 0
; COMPUTE_PGM_RSRC3_GFX90A:TG_SPLIT: 0
	.section	.text._ZN7rocprim17ROCPRIM_400000_NS6detail17trampoline_kernelINS0_14default_configENS1_35radix_sort_onesweep_config_selectorIiiEEZNS1_34radix_sort_onesweep_global_offsetsIS3_Lb0EN6thrust23THRUST_200600_302600_NS6detail15normal_iteratorINS8_10device_ptrIiEEEESD_jNS0_19identity_decomposerEEE10hipError_tT1_T2_PT3_SI_jT4_jjP12ihipStream_tbEUlT_E_NS1_11comp_targetILNS1_3genE9ELNS1_11target_archE1100ELNS1_3gpuE3ELNS1_3repE0EEENS1_52radix_sort_onesweep_histogram_config_static_selectorELNS0_4arch9wavefront6targetE1EEEvSG_,"axG",@progbits,_ZN7rocprim17ROCPRIM_400000_NS6detail17trampoline_kernelINS0_14default_configENS1_35radix_sort_onesweep_config_selectorIiiEEZNS1_34radix_sort_onesweep_global_offsetsIS3_Lb0EN6thrust23THRUST_200600_302600_NS6detail15normal_iteratorINS8_10device_ptrIiEEEESD_jNS0_19identity_decomposerEEE10hipError_tT1_T2_PT3_SI_jT4_jjP12ihipStream_tbEUlT_E_NS1_11comp_targetILNS1_3genE9ELNS1_11target_archE1100ELNS1_3gpuE3ELNS1_3repE0EEENS1_52radix_sort_onesweep_histogram_config_static_selectorELNS0_4arch9wavefront6targetE1EEEvSG_,comdat
	.protected	_ZN7rocprim17ROCPRIM_400000_NS6detail17trampoline_kernelINS0_14default_configENS1_35radix_sort_onesweep_config_selectorIiiEEZNS1_34radix_sort_onesweep_global_offsetsIS3_Lb0EN6thrust23THRUST_200600_302600_NS6detail15normal_iteratorINS8_10device_ptrIiEEEESD_jNS0_19identity_decomposerEEE10hipError_tT1_T2_PT3_SI_jT4_jjP12ihipStream_tbEUlT_E_NS1_11comp_targetILNS1_3genE9ELNS1_11target_archE1100ELNS1_3gpuE3ELNS1_3repE0EEENS1_52radix_sort_onesweep_histogram_config_static_selectorELNS0_4arch9wavefront6targetE1EEEvSG_ ; -- Begin function _ZN7rocprim17ROCPRIM_400000_NS6detail17trampoline_kernelINS0_14default_configENS1_35radix_sort_onesweep_config_selectorIiiEEZNS1_34radix_sort_onesweep_global_offsetsIS3_Lb0EN6thrust23THRUST_200600_302600_NS6detail15normal_iteratorINS8_10device_ptrIiEEEESD_jNS0_19identity_decomposerEEE10hipError_tT1_T2_PT3_SI_jT4_jjP12ihipStream_tbEUlT_E_NS1_11comp_targetILNS1_3genE9ELNS1_11target_archE1100ELNS1_3gpuE3ELNS1_3repE0EEENS1_52radix_sort_onesweep_histogram_config_static_selectorELNS0_4arch9wavefront6targetE1EEEvSG_
	.globl	_ZN7rocprim17ROCPRIM_400000_NS6detail17trampoline_kernelINS0_14default_configENS1_35radix_sort_onesweep_config_selectorIiiEEZNS1_34radix_sort_onesweep_global_offsetsIS3_Lb0EN6thrust23THRUST_200600_302600_NS6detail15normal_iteratorINS8_10device_ptrIiEEEESD_jNS0_19identity_decomposerEEE10hipError_tT1_T2_PT3_SI_jT4_jjP12ihipStream_tbEUlT_E_NS1_11comp_targetILNS1_3genE9ELNS1_11target_archE1100ELNS1_3gpuE3ELNS1_3repE0EEENS1_52radix_sort_onesweep_histogram_config_static_selectorELNS0_4arch9wavefront6targetE1EEEvSG_
	.p2align	8
	.type	_ZN7rocprim17ROCPRIM_400000_NS6detail17trampoline_kernelINS0_14default_configENS1_35radix_sort_onesweep_config_selectorIiiEEZNS1_34radix_sort_onesweep_global_offsetsIS3_Lb0EN6thrust23THRUST_200600_302600_NS6detail15normal_iteratorINS8_10device_ptrIiEEEESD_jNS0_19identity_decomposerEEE10hipError_tT1_T2_PT3_SI_jT4_jjP12ihipStream_tbEUlT_E_NS1_11comp_targetILNS1_3genE9ELNS1_11target_archE1100ELNS1_3gpuE3ELNS1_3repE0EEENS1_52radix_sort_onesweep_histogram_config_static_selectorELNS0_4arch9wavefront6targetE1EEEvSG_,@function
_ZN7rocprim17ROCPRIM_400000_NS6detail17trampoline_kernelINS0_14default_configENS1_35radix_sort_onesweep_config_selectorIiiEEZNS1_34radix_sort_onesweep_global_offsetsIS3_Lb0EN6thrust23THRUST_200600_302600_NS6detail15normal_iteratorINS8_10device_ptrIiEEEESD_jNS0_19identity_decomposerEEE10hipError_tT1_T2_PT3_SI_jT4_jjP12ihipStream_tbEUlT_E_NS1_11comp_targetILNS1_3genE9ELNS1_11target_archE1100ELNS1_3gpuE3ELNS1_3repE0EEENS1_52radix_sort_onesweep_histogram_config_static_selectorELNS0_4arch9wavefront6targetE1EEEvSG_: ; @_ZN7rocprim17ROCPRIM_400000_NS6detail17trampoline_kernelINS0_14default_configENS1_35radix_sort_onesweep_config_selectorIiiEEZNS1_34radix_sort_onesweep_global_offsetsIS3_Lb0EN6thrust23THRUST_200600_302600_NS6detail15normal_iteratorINS8_10device_ptrIiEEEESD_jNS0_19identity_decomposerEEE10hipError_tT1_T2_PT3_SI_jT4_jjP12ihipStream_tbEUlT_E_NS1_11comp_targetILNS1_3genE9ELNS1_11target_archE1100ELNS1_3gpuE3ELNS1_3repE0EEENS1_52radix_sort_onesweep_histogram_config_static_selectorELNS0_4arch9wavefront6targetE1EEEvSG_
; %bb.0:
	.section	.rodata,"a",@progbits
	.p2align	6, 0x0
	.amdhsa_kernel _ZN7rocprim17ROCPRIM_400000_NS6detail17trampoline_kernelINS0_14default_configENS1_35radix_sort_onesweep_config_selectorIiiEEZNS1_34radix_sort_onesweep_global_offsetsIS3_Lb0EN6thrust23THRUST_200600_302600_NS6detail15normal_iteratorINS8_10device_ptrIiEEEESD_jNS0_19identity_decomposerEEE10hipError_tT1_T2_PT3_SI_jT4_jjP12ihipStream_tbEUlT_E_NS1_11comp_targetILNS1_3genE9ELNS1_11target_archE1100ELNS1_3gpuE3ELNS1_3repE0EEENS1_52radix_sort_onesweep_histogram_config_static_selectorELNS0_4arch9wavefront6targetE1EEEvSG_
		.amdhsa_group_segment_fixed_size 0
		.amdhsa_private_segment_fixed_size 0
		.amdhsa_kernarg_size 40
		.amdhsa_user_sgpr_count 2
		.amdhsa_user_sgpr_dispatch_ptr 0
		.amdhsa_user_sgpr_queue_ptr 0
		.amdhsa_user_sgpr_kernarg_segment_ptr 1
		.amdhsa_user_sgpr_dispatch_id 0
		.amdhsa_user_sgpr_kernarg_preload_length 0
		.amdhsa_user_sgpr_kernarg_preload_offset 0
		.amdhsa_user_sgpr_private_segment_size 0
		.amdhsa_uses_dynamic_stack 0
		.amdhsa_enable_private_segment 0
		.amdhsa_system_sgpr_workgroup_id_x 1
		.amdhsa_system_sgpr_workgroup_id_y 0
		.amdhsa_system_sgpr_workgroup_id_z 0
		.amdhsa_system_sgpr_workgroup_info 0
		.amdhsa_system_vgpr_workitem_id 0
		.amdhsa_next_free_vgpr 1
		.amdhsa_next_free_sgpr 0
		.amdhsa_accum_offset 4
		.amdhsa_reserve_vcc 0
		.amdhsa_float_round_mode_32 0
		.amdhsa_float_round_mode_16_64 0
		.amdhsa_float_denorm_mode_32 3
		.amdhsa_float_denorm_mode_16_64 3
		.amdhsa_dx10_clamp 1
		.amdhsa_ieee_mode 1
		.amdhsa_fp16_overflow 0
		.amdhsa_tg_split 0
		.amdhsa_exception_fp_ieee_invalid_op 0
		.amdhsa_exception_fp_denorm_src 0
		.amdhsa_exception_fp_ieee_div_zero 0
		.amdhsa_exception_fp_ieee_overflow 0
		.amdhsa_exception_fp_ieee_underflow 0
		.amdhsa_exception_fp_ieee_inexact 0
		.amdhsa_exception_int_div_zero 0
	.end_amdhsa_kernel
	.section	.text._ZN7rocprim17ROCPRIM_400000_NS6detail17trampoline_kernelINS0_14default_configENS1_35radix_sort_onesweep_config_selectorIiiEEZNS1_34radix_sort_onesweep_global_offsetsIS3_Lb0EN6thrust23THRUST_200600_302600_NS6detail15normal_iteratorINS8_10device_ptrIiEEEESD_jNS0_19identity_decomposerEEE10hipError_tT1_T2_PT3_SI_jT4_jjP12ihipStream_tbEUlT_E_NS1_11comp_targetILNS1_3genE9ELNS1_11target_archE1100ELNS1_3gpuE3ELNS1_3repE0EEENS1_52radix_sort_onesweep_histogram_config_static_selectorELNS0_4arch9wavefront6targetE1EEEvSG_,"axG",@progbits,_ZN7rocprim17ROCPRIM_400000_NS6detail17trampoline_kernelINS0_14default_configENS1_35radix_sort_onesweep_config_selectorIiiEEZNS1_34radix_sort_onesweep_global_offsetsIS3_Lb0EN6thrust23THRUST_200600_302600_NS6detail15normal_iteratorINS8_10device_ptrIiEEEESD_jNS0_19identity_decomposerEEE10hipError_tT1_T2_PT3_SI_jT4_jjP12ihipStream_tbEUlT_E_NS1_11comp_targetILNS1_3genE9ELNS1_11target_archE1100ELNS1_3gpuE3ELNS1_3repE0EEENS1_52radix_sort_onesweep_histogram_config_static_selectorELNS0_4arch9wavefront6targetE1EEEvSG_,comdat
.Lfunc_end1399:
	.size	_ZN7rocprim17ROCPRIM_400000_NS6detail17trampoline_kernelINS0_14default_configENS1_35radix_sort_onesweep_config_selectorIiiEEZNS1_34radix_sort_onesweep_global_offsetsIS3_Lb0EN6thrust23THRUST_200600_302600_NS6detail15normal_iteratorINS8_10device_ptrIiEEEESD_jNS0_19identity_decomposerEEE10hipError_tT1_T2_PT3_SI_jT4_jjP12ihipStream_tbEUlT_E_NS1_11comp_targetILNS1_3genE9ELNS1_11target_archE1100ELNS1_3gpuE3ELNS1_3repE0EEENS1_52radix_sort_onesweep_histogram_config_static_selectorELNS0_4arch9wavefront6targetE1EEEvSG_, .Lfunc_end1399-_ZN7rocprim17ROCPRIM_400000_NS6detail17trampoline_kernelINS0_14default_configENS1_35radix_sort_onesweep_config_selectorIiiEEZNS1_34radix_sort_onesweep_global_offsetsIS3_Lb0EN6thrust23THRUST_200600_302600_NS6detail15normal_iteratorINS8_10device_ptrIiEEEESD_jNS0_19identity_decomposerEEE10hipError_tT1_T2_PT3_SI_jT4_jjP12ihipStream_tbEUlT_E_NS1_11comp_targetILNS1_3genE9ELNS1_11target_archE1100ELNS1_3gpuE3ELNS1_3repE0EEENS1_52radix_sort_onesweep_histogram_config_static_selectorELNS0_4arch9wavefront6targetE1EEEvSG_
                                        ; -- End function
	.set _ZN7rocprim17ROCPRIM_400000_NS6detail17trampoline_kernelINS0_14default_configENS1_35radix_sort_onesweep_config_selectorIiiEEZNS1_34radix_sort_onesweep_global_offsetsIS3_Lb0EN6thrust23THRUST_200600_302600_NS6detail15normal_iteratorINS8_10device_ptrIiEEEESD_jNS0_19identity_decomposerEEE10hipError_tT1_T2_PT3_SI_jT4_jjP12ihipStream_tbEUlT_E_NS1_11comp_targetILNS1_3genE9ELNS1_11target_archE1100ELNS1_3gpuE3ELNS1_3repE0EEENS1_52radix_sort_onesweep_histogram_config_static_selectorELNS0_4arch9wavefront6targetE1EEEvSG_.num_vgpr, 0
	.set _ZN7rocprim17ROCPRIM_400000_NS6detail17trampoline_kernelINS0_14default_configENS1_35radix_sort_onesweep_config_selectorIiiEEZNS1_34radix_sort_onesweep_global_offsetsIS3_Lb0EN6thrust23THRUST_200600_302600_NS6detail15normal_iteratorINS8_10device_ptrIiEEEESD_jNS0_19identity_decomposerEEE10hipError_tT1_T2_PT3_SI_jT4_jjP12ihipStream_tbEUlT_E_NS1_11comp_targetILNS1_3genE9ELNS1_11target_archE1100ELNS1_3gpuE3ELNS1_3repE0EEENS1_52radix_sort_onesweep_histogram_config_static_selectorELNS0_4arch9wavefront6targetE1EEEvSG_.num_agpr, 0
	.set _ZN7rocprim17ROCPRIM_400000_NS6detail17trampoline_kernelINS0_14default_configENS1_35radix_sort_onesweep_config_selectorIiiEEZNS1_34radix_sort_onesweep_global_offsetsIS3_Lb0EN6thrust23THRUST_200600_302600_NS6detail15normal_iteratorINS8_10device_ptrIiEEEESD_jNS0_19identity_decomposerEEE10hipError_tT1_T2_PT3_SI_jT4_jjP12ihipStream_tbEUlT_E_NS1_11comp_targetILNS1_3genE9ELNS1_11target_archE1100ELNS1_3gpuE3ELNS1_3repE0EEENS1_52radix_sort_onesweep_histogram_config_static_selectorELNS0_4arch9wavefront6targetE1EEEvSG_.numbered_sgpr, 0
	.set _ZN7rocprim17ROCPRIM_400000_NS6detail17trampoline_kernelINS0_14default_configENS1_35radix_sort_onesweep_config_selectorIiiEEZNS1_34radix_sort_onesweep_global_offsetsIS3_Lb0EN6thrust23THRUST_200600_302600_NS6detail15normal_iteratorINS8_10device_ptrIiEEEESD_jNS0_19identity_decomposerEEE10hipError_tT1_T2_PT3_SI_jT4_jjP12ihipStream_tbEUlT_E_NS1_11comp_targetILNS1_3genE9ELNS1_11target_archE1100ELNS1_3gpuE3ELNS1_3repE0EEENS1_52radix_sort_onesweep_histogram_config_static_selectorELNS0_4arch9wavefront6targetE1EEEvSG_.num_named_barrier, 0
	.set _ZN7rocprim17ROCPRIM_400000_NS6detail17trampoline_kernelINS0_14default_configENS1_35radix_sort_onesweep_config_selectorIiiEEZNS1_34radix_sort_onesweep_global_offsetsIS3_Lb0EN6thrust23THRUST_200600_302600_NS6detail15normal_iteratorINS8_10device_ptrIiEEEESD_jNS0_19identity_decomposerEEE10hipError_tT1_T2_PT3_SI_jT4_jjP12ihipStream_tbEUlT_E_NS1_11comp_targetILNS1_3genE9ELNS1_11target_archE1100ELNS1_3gpuE3ELNS1_3repE0EEENS1_52radix_sort_onesweep_histogram_config_static_selectorELNS0_4arch9wavefront6targetE1EEEvSG_.private_seg_size, 0
	.set _ZN7rocprim17ROCPRIM_400000_NS6detail17trampoline_kernelINS0_14default_configENS1_35radix_sort_onesweep_config_selectorIiiEEZNS1_34radix_sort_onesweep_global_offsetsIS3_Lb0EN6thrust23THRUST_200600_302600_NS6detail15normal_iteratorINS8_10device_ptrIiEEEESD_jNS0_19identity_decomposerEEE10hipError_tT1_T2_PT3_SI_jT4_jjP12ihipStream_tbEUlT_E_NS1_11comp_targetILNS1_3genE9ELNS1_11target_archE1100ELNS1_3gpuE3ELNS1_3repE0EEENS1_52radix_sort_onesweep_histogram_config_static_selectorELNS0_4arch9wavefront6targetE1EEEvSG_.uses_vcc, 0
	.set _ZN7rocprim17ROCPRIM_400000_NS6detail17trampoline_kernelINS0_14default_configENS1_35radix_sort_onesweep_config_selectorIiiEEZNS1_34radix_sort_onesweep_global_offsetsIS3_Lb0EN6thrust23THRUST_200600_302600_NS6detail15normal_iteratorINS8_10device_ptrIiEEEESD_jNS0_19identity_decomposerEEE10hipError_tT1_T2_PT3_SI_jT4_jjP12ihipStream_tbEUlT_E_NS1_11comp_targetILNS1_3genE9ELNS1_11target_archE1100ELNS1_3gpuE3ELNS1_3repE0EEENS1_52radix_sort_onesweep_histogram_config_static_selectorELNS0_4arch9wavefront6targetE1EEEvSG_.uses_flat_scratch, 0
	.set _ZN7rocprim17ROCPRIM_400000_NS6detail17trampoline_kernelINS0_14default_configENS1_35radix_sort_onesweep_config_selectorIiiEEZNS1_34radix_sort_onesweep_global_offsetsIS3_Lb0EN6thrust23THRUST_200600_302600_NS6detail15normal_iteratorINS8_10device_ptrIiEEEESD_jNS0_19identity_decomposerEEE10hipError_tT1_T2_PT3_SI_jT4_jjP12ihipStream_tbEUlT_E_NS1_11comp_targetILNS1_3genE9ELNS1_11target_archE1100ELNS1_3gpuE3ELNS1_3repE0EEENS1_52radix_sort_onesweep_histogram_config_static_selectorELNS0_4arch9wavefront6targetE1EEEvSG_.has_dyn_sized_stack, 0
	.set _ZN7rocprim17ROCPRIM_400000_NS6detail17trampoline_kernelINS0_14default_configENS1_35radix_sort_onesweep_config_selectorIiiEEZNS1_34radix_sort_onesweep_global_offsetsIS3_Lb0EN6thrust23THRUST_200600_302600_NS6detail15normal_iteratorINS8_10device_ptrIiEEEESD_jNS0_19identity_decomposerEEE10hipError_tT1_T2_PT3_SI_jT4_jjP12ihipStream_tbEUlT_E_NS1_11comp_targetILNS1_3genE9ELNS1_11target_archE1100ELNS1_3gpuE3ELNS1_3repE0EEENS1_52radix_sort_onesweep_histogram_config_static_selectorELNS0_4arch9wavefront6targetE1EEEvSG_.has_recursion, 0
	.set _ZN7rocprim17ROCPRIM_400000_NS6detail17trampoline_kernelINS0_14default_configENS1_35radix_sort_onesweep_config_selectorIiiEEZNS1_34radix_sort_onesweep_global_offsetsIS3_Lb0EN6thrust23THRUST_200600_302600_NS6detail15normal_iteratorINS8_10device_ptrIiEEEESD_jNS0_19identity_decomposerEEE10hipError_tT1_T2_PT3_SI_jT4_jjP12ihipStream_tbEUlT_E_NS1_11comp_targetILNS1_3genE9ELNS1_11target_archE1100ELNS1_3gpuE3ELNS1_3repE0EEENS1_52radix_sort_onesweep_histogram_config_static_selectorELNS0_4arch9wavefront6targetE1EEEvSG_.has_indirect_call, 0
	.section	.AMDGPU.csdata,"",@progbits
; Kernel info:
; codeLenInByte = 0
; TotalNumSgprs: 6
; NumVgprs: 0
; NumAgprs: 0
; TotalNumVgprs: 0
; ScratchSize: 0
; MemoryBound: 0
; FloatMode: 240
; IeeeMode: 1
; LDSByteSize: 0 bytes/workgroup (compile time only)
; SGPRBlocks: 0
; VGPRBlocks: 0
; NumSGPRsForWavesPerEU: 6
; NumVGPRsForWavesPerEU: 1
; AccumOffset: 4
; Occupancy: 8
; WaveLimiterHint : 0
; COMPUTE_PGM_RSRC2:SCRATCH_EN: 0
; COMPUTE_PGM_RSRC2:USER_SGPR: 2
; COMPUTE_PGM_RSRC2:TRAP_HANDLER: 0
; COMPUTE_PGM_RSRC2:TGID_X_EN: 1
; COMPUTE_PGM_RSRC2:TGID_Y_EN: 0
; COMPUTE_PGM_RSRC2:TGID_Z_EN: 0
; COMPUTE_PGM_RSRC2:TIDIG_COMP_CNT: 0
; COMPUTE_PGM_RSRC3_GFX90A:ACCUM_OFFSET: 0
; COMPUTE_PGM_RSRC3_GFX90A:TG_SPLIT: 0
	.section	.text._ZN7rocprim17ROCPRIM_400000_NS6detail17trampoline_kernelINS0_14default_configENS1_35radix_sort_onesweep_config_selectorIiiEEZNS1_34radix_sort_onesweep_global_offsetsIS3_Lb0EN6thrust23THRUST_200600_302600_NS6detail15normal_iteratorINS8_10device_ptrIiEEEESD_jNS0_19identity_decomposerEEE10hipError_tT1_T2_PT3_SI_jT4_jjP12ihipStream_tbEUlT_E_NS1_11comp_targetILNS1_3genE8ELNS1_11target_archE1030ELNS1_3gpuE2ELNS1_3repE0EEENS1_52radix_sort_onesweep_histogram_config_static_selectorELNS0_4arch9wavefront6targetE1EEEvSG_,"axG",@progbits,_ZN7rocprim17ROCPRIM_400000_NS6detail17trampoline_kernelINS0_14default_configENS1_35radix_sort_onesweep_config_selectorIiiEEZNS1_34radix_sort_onesweep_global_offsetsIS3_Lb0EN6thrust23THRUST_200600_302600_NS6detail15normal_iteratorINS8_10device_ptrIiEEEESD_jNS0_19identity_decomposerEEE10hipError_tT1_T2_PT3_SI_jT4_jjP12ihipStream_tbEUlT_E_NS1_11comp_targetILNS1_3genE8ELNS1_11target_archE1030ELNS1_3gpuE2ELNS1_3repE0EEENS1_52radix_sort_onesweep_histogram_config_static_selectorELNS0_4arch9wavefront6targetE1EEEvSG_,comdat
	.protected	_ZN7rocprim17ROCPRIM_400000_NS6detail17trampoline_kernelINS0_14default_configENS1_35radix_sort_onesweep_config_selectorIiiEEZNS1_34radix_sort_onesweep_global_offsetsIS3_Lb0EN6thrust23THRUST_200600_302600_NS6detail15normal_iteratorINS8_10device_ptrIiEEEESD_jNS0_19identity_decomposerEEE10hipError_tT1_T2_PT3_SI_jT4_jjP12ihipStream_tbEUlT_E_NS1_11comp_targetILNS1_3genE8ELNS1_11target_archE1030ELNS1_3gpuE2ELNS1_3repE0EEENS1_52radix_sort_onesweep_histogram_config_static_selectorELNS0_4arch9wavefront6targetE1EEEvSG_ ; -- Begin function _ZN7rocprim17ROCPRIM_400000_NS6detail17trampoline_kernelINS0_14default_configENS1_35radix_sort_onesweep_config_selectorIiiEEZNS1_34radix_sort_onesweep_global_offsetsIS3_Lb0EN6thrust23THRUST_200600_302600_NS6detail15normal_iteratorINS8_10device_ptrIiEEEESD_jNS0_19identity_decomposerEEE10hipError_tT1_T2_PT3_SI_jT4_jjP12ihipStream_tbEUlT_E_NS1_11comp_targetILNS1_3genE8ELNS1_11target_archE1030ELNS1_3gpuE2ELNS1_3repE0EEENS1_52radix_sort_onesweep_histogram_config_static_selectorELNS0_4arch9wavefront6targetE1EEEvSG_
	.globl	_ZN7rocprim17ROCPRIM_400000_NS6detail17trampoline_kernelINS0_14default_configENS1_35radix_sort_onesweep_config_selectorIiiEEZNS1_34radix_sort_onesweep_global_offsetsIS3_Lb0EN6thrust23THRUST_200600_302600_NS6detail15normal_iteratorINS8_10device_ptrIiEEEESD_jNS0_19identity_decomposerEEE10hipError_tT1_T2_PT3_SI_jT4_jjP12ihipStream_tbEUlT_E_NS1_11comp_targetILNS1_3genE8ELNS1_11target_archE1030ELNS1_3gpuE2ELNS1_3repE0EEENS1_52radix_sort_onesweep_histogram_config_static_selectorELNS0_4arch9wavefront6targetE1EEEvSG_
	.p2align	8
	.type	_ZN7rocprim17ROCPRIM_400000_NS6detail17trampoline_kernelINS0_14default_configENS1_35radix_sort_onesweep_config_selectorIiiEEZNS1_34radix_sort_onesweep_global_offsetsIS3_Lb0EN6thrust23THRUST_200600_302600_NS6detail15normal_iteratorINS8_10device_ptrIiEEEESD_jNS0_19identity_decomposerEEE10hipError_tT1_T2_PT3_SI_jT4_jjP12ihipStream_tbEUlT_E_NS1_11comp_targetILNS1_3genE8ELNS1_11target_archE1030ELNS1_3gpuE2ELNS1_3repE0EEENS1_52radix_sort_onesweep_histogram_config_static_selectorELNS0_4arch9wavefront6targetE1EEEvSG_,@function
_ZN7rocprim17ROCPRIM_400000_NS6detail17trampoline_kernelINS0_14default_configENS1_35radix_sort_onesweep_config_selectorIiiEEZNS1_34radix_sort_onesweep_global_offsetsIS3_Lb0EN6thrust23THRUST_200600_302600_NS6detail15normal_iteratorINS8_10device_ptrIiEEEESD_jNS0_19identity_decomposerEEE10hipError_tT1_T2_PT3_SI_jT4_jjP12ihipStream_tbEUlT_E_NS1_11comp_targetILNS1_3genE8ELNS1_11target_archE1030ELNS1_3gpuE2ELNS1_3repE0EEENS1_52radix_sort_onesweep_histogram_config_static_selectorELNS0_4arch9wavefront6targetE1EEEvSG_: ; @_ZN7rocprim17ROCPRIM_400000_NS6detail17trampoline_kernelINS0_14default_configENS1_35radix_sort_onesweep_config_selectorIiiEEZNS1_34radix_sort_onesweep_global_offsetsIS3_Lb0EN6thrust23THRUST_200600_302600_NS6detail15normal_iteratorINS8_10device_ptrIiEEEESD_jNS0_19identity_decomposerEEE10hipError_tT1_T2_PT3_SI_jT4_jjP12ihipStream_tbEUlT_E_NS1_11comp_targetILNS1_3genE8ELNS1_11target_archE1030ELNS1_3gpuE2ELNS1_3repE0EEENS1_52radix_sort_onesweep_histogram_config_static_selectorELNS0_4arch9wavefront6targetE1EEEvSG_
; %bb.0:
	.section	.rodata,"a",@progbits
	.p2align	6, 0x0
	.amdhsa_kernel _ZN7rocprim17ROCPRIM_400000_NS6detail17trampoline_kernelINS0_14default_configENS1_35radix_sort_onesweep_config_selectorIiiEEZNS1_34radix_sort_onesweep_global_offsetsIS3_Lb0EN6thrust23THRUST_200600_302600_NS6detail15normal_iteratorINS8_10device_ptrIiEEEESD_jNS0_19identity_decomposerEEE10hipError_tT1_T2_PT3_SI_jT4_jjP12ihipStream_tbEUlT_E_NS1_11comp_targetILNS1_3genE8ELNS1_11target_archE1030ELNS1_3gpuE2ELNS1_3repE0EEENS1_52radix_sort_onesweep_histogram_config_static_selectorELNS0_4arch9wavefront6targetE1EEEvSG_
		.amdhsa_group_segment_fixed_size 0
		.amdhsa_private_segment_fixed_size 0
		.amdhsa_kernarg_size 40
		.amdhsa_user_sgpr_count 2
		.amdhsa_user_sgpr_dispatch_ptr 0
		.amdhsa_user_sgpr_queue_ptr 0
		.amdhsa_user_sgpr_kernarg_segment_ptr 1
		.amdhsa_user_sgpr_dispatch_id 0
		.amdhsa_user_sgpr_kernarg_preload_length 0
		.amdhsa_user_sgpr_kernarg_preload_offset 0
		.amdhsa_user_sgpr_private_segment_size 0
		.amdhsa_uses_dynamic_stack 0
		.amdhsa_enable_private_segment 0
		.amdhsa_system_sgpr_workgroup_id_x 1
		.amdhsa_system_sgpr_workgroup_id_y 0
		.amdhsa_system_sgpr_workgroup_id_z 0
		.amdhsa_system_sgpr_workgroup_info 0
		.amdhsa_system_vgpr_workitem_id 0
		.amdhsa_next_free_vgpr 1
		.amdhsa_next_free_sgpr 0
		.amdhsa_accum_offset 4
		.amdhsa_reserve_vcc 0
		.amdhsa_float_round_mode_32 0
		.amdhsa_float_round_mode_16_64 0
		.amdhsa_float_denorm_mode_32 3
		.amdhsa_float_denorm_mode_16_64 3
		.amdhsa_dx10_clamp 1
		.amdhsa_ieee_mode 1
		.amdhsa_fp16_overflow 0
		.amdhsa_tg_split 0
		.amdhsa_exception_fp_ieee_invalid_op 0
		.amdhsa_exception_fp_denorm_src 0
		.amdhsa_exception_fp_ieee_div_zero 0
		.amdhsa_exception_fp_ieee_overflow 0
		.amdhsa_exception_fp_ieee_underflow 0
		.amdhsa_exception_fp_ieee_inexact 0
		.amdhsa_exception_int_div_zero 0
	.end_amdhsa_kernel
	.section	.text._ZN7rocprim17ROCPRIM_400000_NS6detail17trampoline_kernelINS0_14default_configENS1_35radix_sort_onesweep_config_selectorIiiEEZNS1_34radix_sort_onesweep_global_offsetsIS3_Lb0EN6thrust23THRUST_200600_302600_NS6detail15normal_iteratorINS8_10device_ptrIiEEEESD_jNS0_19identity_decomposerEEE10hipError_tT1_T2_PT3_SI_jT4_jjP12ihipStream_tbEUlT_E_NS1_11comp_targetILNS1_3genE8ELNS1_11target_archE1030ELNS1_3gpuE2ELNS1_3repE0EEENS1_52radix_sort_onesweep_histogram_config_static_selectorELNS0_4arch9wavefront6targetE1EEEvSG_,"axG",@progbits,_ZN7rocprim17ROCPRIM_400000_NS6detail17trampoline_kernelINS0_14default_configENS1_35radix_sort_onesweep_config_selectorIiiEEZNS1_34radix_sort_onesweep_global_offsetsIS3_Lb0EN6thrust23THRUST_200600_302600_NS6detail15normal_iteratorINS8_10device_ptrIiEEEESD_jNS0_19identity_decomposerEEE10hipError_tT1_T2_PT3_SI_jT4_jjP12ihipStream_tbEUlT_E_NS1_11comp_targetILNS1_3genE8ELNS1_11target_archE1030ELNS1_3gpuE2ELNS1_3repE0EEENS1_52radix_sort_onesweep_histogram_config_static_selectorELNS0_4arch9wavefront6targetE1EEEvSG_,comdat
.Lfunc_end1400:
	.size	_ZN7rocprim17ROCPRIM_400000_NS6detail17trampoline_kernelINS0_14default_configENS1_35radix_sort_onesweep_config_selectorIiiEEZNS1_34radix_sort_onesweep_global_offsetsIS3_Lb0EN6thrust23THRUST_200600_302600_NS6detail15normal_iteratorINS8_10device_ptrIiEEEESD_jNS0_19identity_decomposerEEE10hipError_tT1_T2_PT3_SI_jT4_jjP12ihipStream_tbEUlT_E_NS1_11comp_targetILNS1_3genE8ELNS1_11target_archE1030ELNS1_3gpuE2ELNS1_3repE0EEENS1_52radix_sort_onesweep_histogram_config_static_selectorELNS0_4arch9wavefront6targetE1EEEvSG_, .Lfunc_end1400-_ZN7rocprim17ROCPRIM_400000_NS6detail17trampoline_kernelINS0_14default_configENS1_35radix_sort_onesweep_config_selectorIiiEEZNS1_34radix_sort_onesweep_global_offsetsIS3_Lb0EN6thrust23THRUST_200600_302600_NS6detail15normal_iteratorINS8_10device_ptrIiEEEESD_jNS0_19identity_decomposerEEE10hipError_tT1_T2_PT3_SI_jT4_jjP12ihipStream_tbEUlT_E_NS1_11comp_targetILNS1_3genE8ELNS1_11target_archE1030ELNS1_3gpuE2ELNS1_3repE0EEENS1_52radix_sort_onesweep_histogram_config_static_selectorELNS0_4arch9wavefront6targetE1EEEvSG_
                                        ; -- End function
	.set _ZN7rocprim17ROCPRIM_400000_NS6detail17trampoline_kernelINS0_14default_configENS1_35radix_sort_onesweep_config_selectorIiiEEZNS1_34radix_sort_onesweep_global_offsetsIS3_Lb0EN6thrust23THRUST_200600_302600_NS6detail15normal_iteratorINS8_10device_ptrIiEEEESD_jNS0_19identity_decomposerEEE10hipError_tT1_T2_PT3_SI_jT4_jjP12ihipStream_tbEUlT_E_NS1_11comp_targetILNS1_3genE8ELNS1_11target_archE1030ELNS1_3gpuE2ELNS1_3repE0EEENS1_52radix_sort_onesweep_histogram_config_static_selectorELNS0_4arch9wavefront6targetE1EEEvSG_.num_vgpr, 0
	.set _ZN7rocprim17ROCPRIM_400000_NS6detail17trampoline_kernelINS0_14default_configENS1_35radix_sort_onesweep_config_selectorIiiEEZNS1_34radix_sort_onesweep_global_offsetsIS3_Lb0EN6thrust23THRUST_200600_302600_NS6detail15normal_iteratorINS8_10device_ptrIiEEEESD_jNS0_19identity_decomposerEEE10hipError_tT1_T2_PT3_SI_jT4_jjP12ihipStream_tbEUlT_E_NS1_11comp_targetILNS1_3genE8ELNS1_11target_archE1030ELNS1_3gpuE2ELNS1_3repE0EEENS1_52radix_sort_onesweep_histogram_config_static_selectorELNS0_4arch9wavefront6targetE1EEEvSG_.num_agpr, 0
	.set _ZN7rocprim17ROCPRIM_400000_NS6detail17trampoline_kernelINS0_14default_configENS1_35radix_sort_onesweep_config_selectorIiiEEZNS1_34radix_sort_onesweep_global_offsetsIS3_Lb0EN6thrust23THRUST_200600_302600_NS6detail15normal_iteratorINS8_10device_ptrIiEEEESD_jNS0_19identity_decomposerEEE10hipError_tT1_T2_PT3_SI_jT4_jjP12ihipStream_tbEUlT_E_NS1_11comp_targetILNS1_3genE8ELNS1_11target_archE1030ELNS1_3gpuE2ELNS1_3repE0EEENS1_52radix_sort_onesweep_histogram_config_static_selectorELNS0_4arch9wavefront6targetE1EEEvSG_.numbered_sgpr, 0
	.set _ZN7rocprim17ROCPRIM_400000_NS6detail17trampoline_kernelINS0_14default_configENS1_35radix_sort_onesweep_config_selectorIiiEEZNS1_34radix_sort_onesweep_global_offsetsIS3_Lb0EN6thrust23THRUST_200600_302600_NS6detail15normal_iteratorINS8_10device_ptrIiEEEESD_jNS0_19identity_decomposerEEE10hipError_tT1_T2_PT3_SI_jT4_jjP12ihipStream_tbEUlT_E_NS1_11comp_targetILNS1_3genE8ELNS1_11target_archE1030ELNS1_3gpuE2ELNS1_3repE0EEENS1_52radix_sort_onesweep_histogram_config_static_selectorELNS0_4arch9wavefront6targetE1EEEvSG_.num_named_barrier, 0
	.set _ZN7rocprim17ROCPRIM_400000_NS6detail17trampoline_kernelINS0_14default_configENS1_35radix_sort_onesweep_config_selectorIiiEEZNS1_34radix_sort_onesweep_global_offsetsIS3_Lb0EN6thrust23THRUST_200600_302600_NS6detail15normal_iteratorINS8_10device_ptrIiEEEESD_jNS0_19identity_decomposerEEE10hipError_tT1_T2_PT3_SI_jT4_jjP12ihipStream_tbEUlT_E_NS1_11comp_targetILNS1_3genE8ELNS1_11target_archE1030ELNS1_3gpuE2ELNS1_3repE0EEENS1_52radix_sort_onesweep_histogram_config_static_selectorELNS0_4arch9wavefront6targetE1EEEvSG_.private_seg_size, 0
	.set _ZN7rocprim17ROCPRIM_400000_NS6detail17trampoline_kernelINS0_14default_configENS1_35radix_sort_onesweep_config_selectorIiiEEZNS1_34radix_sort_onesweep_global_offsetsIS3_Lb0EN6thrust23THRUST_200600_302600_NS6detail15normal_iteratorINS8_10device_ptrIiEEEESD_jNS0_19identity_decomposerEEE10hipError_tT1_T2_PT3_SI_jT4_jjP12ihipStream_tbEUlT_E_NS1_11comp_targetILNS1_3genE8ELNS1_11target_archE1030ELNS1_3gpuE2ELNS1_3repE0EEENS1_52radix_sort_onesweep_histogram_config_static_selectorELNS0_4arch9wavefront6targetE1EEEvSG_.uses_vcc, 0
	.set _ZN7rocprim17ROCPRIM_400000_NS6detail17trampoline_kernelINS0_14default_configENS1_35radix_sort_onesweep_config_selectorIiiEEZNS1_34radix_sort_onesweep_global_offsetsIS3_Lb0EN6thrust23THRUST_200600_302600_NS6detail15normal_iteratorINS8_10device_ptrIiEEEESD_jNS0_19identity_decomposerEEE10hipError_tT1_T2_PT3_SI_jT4_jjP12ihipStream_tbEUlT_E_NS1_11comp_targetILNS1_3genE8ELNS1_11target_archE1030ELNS1_3gpuE2ELNS1_3repE0EEENS1_52radix_sort_onesweep_histogram_config_static_selectorELNS0_4arch9wavefront6targetE1EEEvSG_.uses_flat_scratch, 0
	.set _ZN7rocprim17ROCPRIM_400000_NS6detail17trampoline_kernelINS0_14default_configENS1_35radix_sort_onesweep_config_selectorIiiEEZNS1_34radix_sort_onesweep_global_offsetsIS3_Lb0EN6thrust23THRUST_200600_302600_NS6detail15normal_iteratorINS8_10device_ptrIiEEEESD_jNS0_19identity_decomposerEEE10hipError_tT1_T2_PT3_SI_jT4_jjP12ihipStream_tbEUlT_E_NS1_11comp_targetILNS1_3genE8ELNS1_11target_archE1030ELNS1_3gpuE2ELNS1_3repE0EEENS1_52radix_sort_onesweep_histogram_config_static_selectorELNS0_4arch9wavefront6targetE1EEEvSG_.has_dyn_sized_stack, 0
	.set _ZN7rocprim17ROCPRIM_400000_NS6detail17trampoline_kernelINS0_14default_configENS1_35radix_sort_onesweep_config_selectorIiiEEZNS1_34radix_sort_onesweep_global_offsetsIS3_Lb0EN6thrust23THRUST_200600_302600_NS6detail15normal_iteratorINS8_10device_ptrIiEEEESD_jNS0_19identity_decomposerEEE10hipError_tT1_T2_PT3_SI_jT4_jjP12ihipStream_tbEUlT_E_NS1_11comp_targetILNS1_3genE8ELNS1_11target_archE1030ELNS1_3gpuE2ELNS1_3repE0EEENS1_52radix_sort_onesweep_histogram_config_static_selectorELNS0_4arch9wavefront6targetE1EEEvSG_.has_recursion, 0
	.set _ZN7rocprim17ROCPRIM_400000_NS6detail17trampoline_kernelINS0_14default_configENS1_35radix_sort_onesweep_config_selectorIiiEEZNS1_34radix_sort_onesweep_global_offsetsIS3_Lb0EN6thrust23THRUST_200600_302600_NS6detail15normal_iteratorINS8_10device_ptrIiEEEESD_jNS0_19identity_decomposerEEE10hipError_tT1_T2_PT3_SI_jT4_jjP12ihipStream_tbEUlT_E_NS1_11comp_targetILNS1_3genE8ELNS1_11target_archE1030ELNS1_3gpuE2ELNS1_3repE0EEENS1_52radix_sort_onesweep_histogram_config_static_selectorELNS0_4arch9wavefront6targetE1EEEvSG_.has_indirect_call, 0
	.section	.AMDGPU.csdata,"",@progbits
; Kernel info:
; codeLenInByte = 0
; TotalNumSgprs: 6
; NumVgprs: 0
; NumAgprs: 0
; TotalNumVgprs: 0
; ScratchSize: 0
; MemoryBound: 0
; FloatMode: 240
; IeeeMode: 1
; LDSByteSize: 0 bytes/workgroup (compile time only)
; SGPRBlocks: 0
; VGPRBlocks: 0
; NumSGPRsForWavesPerEU: 6
; NumVGPRsForWavesPerEU: 1
; AccumOffset: 4
; Occupancy: 8
; WaveLimiterHint : 0
; COMPUTE_PGM_RSRC2:SCRATCH_EN: 0
; COMPUTE_PGM_RSRC2:USER_SGPR: 2
; COMPUTE_PGM_RSRC2:TRAP_HANDLER: 0
; COMPUTE_PGM_RSRC2:TGID_X_EN: 1
; COMPUTE_PGM_RSRC2:TGID_Y_EN: 0
; COMPUTE_PGM_RSRC2:TGID_Z_EN: 0
; COMPUTE_PGM_RSRC2:TIDIG_COMP_CNT: 0
; COMPUTE_PGM_RSRC3_GFX90A:ACCUM_OFFSET: 0
; COMPUTE_PGM_RSRC3_GFX90A:TG_SPLIT: 0
	.section	.text._ZN7rocprim17ROCPRIM_400000_NS6detail17trampoline_kernelINS0_14default_configENS1_35radix_sort_onesweep_config_selectorIiiEEZNS1_34radix_sort_onesweep_global_offsetsIS3_Lb0EN6thrust23THRUST_200600_302600_NS6detail15normal_iteratorINS8_10device_ptrIiEEEESD_jNS0_19identity_decomposerEEE10hipError_tT1_T2_PT3_SI_jT4_jjP12ihipStream_tbEUlT_E0_NS1_11comp_targetILNS1_3genE0ELNS1_11target_archE4294967295ELNS1_3gpuE0ELNS1_3repE0EEENS1_52radix_sort_onesweep_histogram_config_static_selectorELNS0_4arch9wavefront6targetE1EEEvSG_,"axG",@progbits,_ZN7rocprim17ROCPRIM_400000_NS6detail17trampoline_kernelINS0_14default_configENS1_35radix_sort_onesweep_config_selectorIiiEEZNS1_34radix_sort_onesweep_global_offsetsIS3_Lb0EN6thrust23THRUST_200600_302600_NS6detail15normal_iteratorINS8_10device_ptrIiEEEESD_jNS0_19identity_decomposerEEE10hipError_tT1_T2_PT3_SI_jT4_jjP12ihipStream_tbEUlT_E0_NS1_11comp_targetILNS1_3genE0ELNS1_11target_archE4294967295ELNS1_3gpuE0ELNS1_3repE0EEENS1_52radix_sort_onesweep_histogram_config_static_selectorELNS0_4arch9wavefront6targetE1EEEvSG_,comdat
	.protected	_ZN7rocprim17ROCPRIM_400000_NS6detail17trampoline_kernelINS0_14default_configENS1_35radix_sort_onesweep_config_selectorIiiEEZNS1_34radix_sort_onesweep_global_offsetsIS3_Lb0EN6thrust23THRUST_200600_302600_NS6detail15normal_iteratorINS8_10device_ptrIiEEEESD_jNS0_19identity_decomposerEEE10hipError_tT1_T2_PT3_SI_jT4_jjP12ihipStream_tbEUlT_E0_NS1_11comp_targetILNS1_3genE0ELNS1_11target_archE4294967295ELNS1_3gpuE0ELNS1_3repE0EEENS1_52radix_sort_onesweep_histogram_config_static_selectorELNS0_4arch9wavefront6targetE1EEEvSG_ ; -- Begin function _ZN7rocprim17ROCPRIM_400000_NS6detail17trampoline_kernelINS0_14default_configENS1_35radix_sort_onesweep_config_selectorIiiEEZNS1_34radix_sort_onesweep_global_offsetsIS3_Lb0EN6thrust23THRUST_200600_302600_NS6detail15normal_iteratorINS8_10device_ptrIiEEEESD_jNS0_19identity_decomposerEEE10hipError_tT1_T2_PT3_SI_jT4_jjP12ihipStream_tbEUlT_E0_NS1_11comp_targetILNS1_3genE0ELNS1_11target_archE4294967295ELNS1_3gpuE0ELNS1_3repE0EEENS1_52radix_sort_onesweep_histogram_config_static_selectorELNS0_4arch9wavefront6targetE1EEEvSG_
	.globl	_ZN7rocprim17ROCPRIM_400000_NS6detail17trampoline_kernelINS0_14default_configENS1_35radix_sort_onesweep_config_selectorIiiEEZNS1_34radix_sort_onesweep_global_offsetsIS3_Lb0EN6thrust23THRUST_200600_302600_NS6detail15normal_iteratorINS8_10device_ptrIiEEEESD_jNS0_19identity_decomposerEEE10hipError_tT1_T2_PT3_SI_jT4_jjP12ihipStream_tbEUlT_E0_NS1_11comp_targetILNS1_3genE0ELNS1_11target_archE4294967295ELNS1_3gpuE0ELNS1_3repE0EEENS1_52radix_sort_onesweep_histogram_config_static_selectorELNS0_4arch9wavefront6targetE1EEEvSG_
	.p2align	8
	.type	_ZN7rocprim17ROCPRIM_400000_NS6detail17trampoline_kernelINS0_14default_configENS1_35radix_sort_onesweep_config_selectorIiiEEZNS1_34radix_sort_onesweep_global_offsetsIS3_Lb0EN6thrust23THRUST_200600_302600_NS6detail15normal_iteratorINS8_10device_ptrIiEEEESD_jNS0_19identity_decomposerEEE10hipError_tT1_T2_PT3_SI_jT4_jjP12ihipStream_tbEUlT_E0_NS1_11comp_targetILNS1_3genE0ELNS1_11target_archE4294967295ELNS1_3gpuE0ELNS1_3repE0EEENS1_52radix_sort_onesweep_histogram_config_static_selectorELNS0_4arch9wavefront6targetE1EEEvSG_,@function
_ZN7rocprim17ROCPRIM_400000_NS6detail17trampoline_kernelINS0_14default_configENS1_35radix_sort_onesweep_config_selectorIiiEEZNS1_34radix_sort_onesweep_global_offsetsIS3_Lb0EN6thrust23THRUST_200600_302600_NS6detail15normal_iteratorINS8_10device_ptrIiEEEESD_jNS0_19identity_decomposerEEE10hipError_tT1_T2_PT3_SI_jT4_jjP12ihipStream_tbEUlT_E0_NS1_11comp_targetILNS1_3genE0ELNS1_11target_archE4294967295ELNS1_3gpuE0ELNS1_3repE0EEENS1_52radix_sort_onesweep_histogram_config_static_selectorELNS0_4arch9wavefront6targetE1EEEvSG_: ; @_ZN7rocprim17ROCPRIM_400000_NS6detail17trampoline_kernelINS0_14default_configENS1_35radix_sort_onesweep_config_selectorIiiEEZNS1_34radix_sort_onesweep_global_offsetsIS3_Lb0EN6thrust23THRUST_200600_302600_NS6detail15normal_iteratorINS8_10device_ptrIiEEEESD_jNS0_19identity_decomposerEEE10hipError_tT1_T2_PT3_SI_jT4_jjP12ihipStream_tbEUlT_E0_NS1_11comp_targetILNS1_3genE0ELNS1_11target_archE4294967295ELNS1_3gpuE0ELNS1_3repE0EEENS1_52radix_sort_onesweep_histogram_config_static_selectorELNS0_4arch9wavefront6targetE1EEEvSG_
; %bb.0:
	.section	.rodata,"a",@progbits
	.p2align	6, 0x0
	.amdhsa_kernel _ZN7rocprim17ROCPRIM_400000_NS6detail17trampoline_kernelINS0_14default_configENS1_35radix_sort_onesweep_config_selectorIiiEEZNS1_34radix_sort_onesweep_global_offsetsIS3_Lb0EN6thrust23THRUST_200600_302600_NS6detail15normal_iteratorINS8_10device_ptrIiEEEESD_jNS0_19identity_decomposerEEE10hipError_tT1_T2_PT3_SI_jT4_jjP12ihipStream_tbEUlT_E0_NS1_11comp_targetILNS1_3genE0ELNS1_11target_archE4294967295ELNS1_3gpuE0ELNS1_3repE0EEENS1_52radix_sort_onesweep_histogram_config_static_selectorELNS0_4arch9wavefront6targetE1EEEvSG_
		.amdhsa_group_segment_fixed_size 0
		.amdhsa_private_segment_fixed_size 0
		.amdhsa_kernarg_size 8
		.amdhsa_user_sgpr_count 2
		.amdhsa_user_sgpr_dispatch_ptr 0
		.amdhsa_user_sgpr_queue_ptr 0
		.amdhsa_user_sgpr_kernarg_segment_ptr 1
		.amdhsa_user_sgpr_dispatch_id 0
		.amdhsa_user_sgpr_kernarg_preload_length 0
		.amdhsa_user_sgpr_kernarg_preload_offset 0
		.amdhsa_user_sgpr_private_segment_size 0
		.amdhsa_uses_dynamic_stack 0
		.amdhsa_enable_private_segment 0
		.amdhsa_system_sgpr_workgroup_id_x 1
		.amdhsa_system_sgpr_workgroup_id_y 0
		.amdhsa_system_sgpr_workgroup_id_z 0
		.amdhsa_system_sgpr_workgroup_info 0
		.amdhsa_system_vgpr_workitem_id 0
		.amdhsa_next_free_vgpr 1
		.amdhsa_next_free_sgpr 0
		.amdhsa_accum_offset 4
		.amdhsa_reserve_vcc 0
		.amdhsa_float_round_mode_32 0
		.amdhsa_float_round_mode_16_64 0
		.amdhsa_float_denorm_mode_32 3
		.amdhsa_float_denorm_mode_16_64 3
		.amdhsa_dx10_clamp 1
		.amdhsa_ieee_mode 1
		.amdhsa_fp16_overflow 0
		.amdhsa_tg_split 0
		.amdhsa_exception_fp_ieee_invalid_op 0
		.amdhsa_exception_fp_denorm_src 0
		.amdhsa_exception_fp_ieee_div_zero 0
		.amdhsa_exception_fp_ieee_overflow 0
		.amdhsa_exception_fp_ieee_underflow 0
		.amdhsa_exception_fp_ieee_inexact 0
		.amdhsa_exception_int_div_zero 0
	.end_amdhsa_kernel
	.section	.text._ZN7rocprim17ROCPRIM_400000_NS6detail17trampoline_kernelINS0_14default_configENS1_35radix_sort_onesweep_config_selectorIiiEEZNS1_34radix_sort_onesweep_global_offsetsIS3_Lb0EN6thrust23THRUST_200600_302600_NS6detail15normal_iteratorINS8_10device_ptrIiEEEESD_jNS0_19identity_decomposerEEE10hipError_tT1_T2_PT3_SI_jT4_jjP12ihipStream_tbEUlT_E0_NS1_11comp_targetILNS1_3genE0ELNS1_11target_archE4294967295ELNS1_3gpuE0ELNS1_3repE0EEENS1_52radix_sort_onesweep_histogram_config_static_selectorELNS0_4arch9wavefront6targetE1EEEvSG_,"axG",@progbits,_ZN7rocprim17ROCPRIM_400000_NS6detail17trampoline_kernelINS0_14default_configENS1_35radix_sort_onesweep_config_selectorIiiEEZNS1_34radix_sort_onesweep_global_offsetsIS3_Lb0EN6thrust23THRUST_200600_302600_NS6detail15normal_iteratorINS8_10device_ptrIiEEEESD_jNS0_19identity_decomposerEEE10hipError_tT1_T2_PT3_SI_jT4_jjP12ihipStream_tbEUlT_E0_NS1_11comp_targetILNS1_3genE0ELNS1_11target_archE4294967295ELNS1_3gpuE0ELNS1_3repE0EEENS1_52radix_sort_onesweep_histogram_config_static_selectorELNS0_4arch9wavefront6targetE1EEEvSG_,comdat
.Lfunc_end1401:
	.size	_ZN7rocprim17ROCPRIM_400000_NS6detail17trampoline_kernelINS0_14default_configENS1_35radix_sort_onesweep_config_selectorIiiEEZNS1_34radix_sort_onesweep_global_offsetsIS3_Lb0EN6thrust23THRUST_200600_302600_NS6detail15normal_iteratorINS8_10device_ptrIiEEEESD_jNS0_19identity_decomposerEEE10hipError_tT1_T2_PT3_SI_jT4_jjP12ihipStream_tbEUlT_E0_NS1_11comp_targetILNS1_3genE0ELNS1_11target_archE4294967295ELNS1_3gpuE0ELNS1_3repE0EEENS1_52radix_sort_onesweep_histogram_config_static_selectorELNS0_4arch9wavefront6targetE1EEEvSG_, .Lfunc_end1401-_ZN7rocprim17ROCPRIM_400000_NS6detail17trampoline_kernelINS0_14default_configENS1_35radix_sort_onesweep_config_selectorIiiEEZNS1_34radix_sort_onesweep_global_offsetsIS3_Lb0EN6thrust23THRUST_200600_302600_NS6detail15normal_iteratorINS8_10device_ptrIiEEEESD_jNS0_19identity_decomposerEEE10hipError_tT1_T2_PT3_SI_jT4_jjP12ihipStream_tbEUlT_E0_NS1_11comp_targetILNS1_3genE0ELNS1_11target_archE4294967295ELNS1_3gpuE0ELNS1_3repE0EEENS1_52radix_sort_onesweep_histogram_config_static_selectorELNS0_4arch9wavefront6targetE1EEEvSG_
                                        ; -- End function
	.set _ZN7rocprim17ROCPRIM_400000_NS6detail17trampoline_kernelINS0_14default_configENS1_35radix_sort_onesweep_config_selectorIiiEEZNS1_34radix_sort_onesweep_global_offsetsIS3_Lb0EN6thrust23THRUST_200600_302600_NS6detail15normal_iteratorINS8_10device_ptrIiEEEESD_jNS0_19identity_decomposerEEE10hipError_tT1_T2_PT3_SI_jT4_jjP12ihipStream_tbEUlT_E0_NS1_11comp_targetILNS1_3genE0ELNS1_11target_archE4294967295ELNS1_3gpuE0ELNS1_3repE0EEENS1_52radix_sort_onesweep_histogram_config_static_selectorELNS0_4arch9wavefront6targetE1EEEvSG_.num_vgpr, 0
	.set _ZN7rocprim17ROCPRIM_400000_NS6detail17trampoline_kernelINS0_14default_configENS1_35radix_sort_onesweep_config_selectorIiiEEZNS1_34radix_sort_onesweep_global_offsetsIS3_Lb0EN6thrust23THRUST_200600_302600_NS6detail15normal_iteratorINS8_10device_ptrIiEEEESD_jNS0_19identity_decomposerEEE10hipError_tT1_T2_PT3_SI_jT4_jjP12ihipStream_tbEUlT_E0_NS1_11comp_targetILNS1_3genE0ELNS1_11target_archE4294967295ELNS1_3gpuE0ELNS1_3repE0EEENS1_52radix_sort_onesweep_histogram_config_static_selectorELNS0_4arch9wavefront6targetE1EEEvSG_.num_agpr, 0
	.set _ZN7rocprim17ROCPRIM_400000_NS6detail17trampoline_kernelINS0_14default_configENS1_35radix_sort_onesweep_config_selectorIiiEEZNS1_34radix_sort_onesweep_global_offsetsIS3_Lb0EN6thrust23THRUST_200600_302600_NS6detail15normal_iteratorINS8_10device_ptrIiEEEESD_jNS0_19identity_decomposerEEE10hipError_tT1_T2_PT3_SI_jT4_jjP12ihipStream_tbEUlT_E0_NS1_11comp_targetILNS1_3genE0ELNS1_11target_archE4294967295ELNS1_3gpuE0ELNS1_3repE0EEENS1_52radix_sort_onesweep_histogram_config_static_selectorELNS0_4arch9wavefront6targetE1EEEvSG_.numbered_sgpr, 0
	.set _ZN7rocprim17ROCPRIM_400000_NS6detail17trampoline_kernelINS0_14default_configENS1_35radix_sort_onesweep_config_selectorIiiEEZNS1_34radix_sort_onesweep_global_offsetsIS3_Lb0EN6thrust23THRUST_200600_302600_NS6detail15normal_iteratorINS8_10device_ptrIiEEEESD_jNS0_19identity_decomposerEEE10hipError_tT1_T2_PT3_SI_jT4_jjP12ihipStream_tbEUlT_E0_NS1_11comp_targetILNS1_3genE0ELNS1_11target_archE4294967295ELNS1_3gpuE0ELNS1_3repE0EEENS1_52radix_sort_onesweep_histogram_config_static_selectorELNS0_4arch9wavefront6targetE1EEEvSG_.num_named_barrier, 0
	.set _ZN7rocprim17ROCPRIM_400000_NS6detail17trampoline_kernelINS0_14default_configENS1_35radix_sort_onesweep_config_selectorIiiEEZNS1_34radix_sort_onesweep_global_offsetsIS3_Lb0EN6thrust23THRUST_200600_302600_NS6detail15normal_iteratorINS8_10device_ptrIiEEEESD_jNS0_19identity_decomposerEEE10hipError_tT1_T2_PT3_SI_jT4_jjP12ihipStream_tbEUlT_E0_NS1_11comp_targetILNS1_3genE0ELNS1_11target_archE4294967295ELNS1_3gpuE0ELNS1_3repE0EEENS1_52radix_sort_onesweep_histogram_config_static_selectorELNS0_4arch9wavefront6targetE1EEEvSG_.private_seg_size, 0
	.set _ZN7rocprim17ROCPRIM_400000_NS6detail17trampoline_kernelINS0_14default_configENS1_35radix_sort_onesweep_config_selectorIiiEEZNS1_34radix_sort_onesweep_global_offsetsIS3_Lb0EN6thrust23THRUST_200600_302600_NS6detail15normal_iteratorINS8_10device_ptrIiEEEESD_jNS0_19identity_decomposerEEE10hipError_tT1_T2_PT3_SI_jT4_jjP12ihipStream_tbEUlT_E0_NS1_11comp_targetILNS1_3genE0ELNS1_11target_archE4294967295ELNS1_3gpuE0ELNS1_3repE0EEENS1_52radix_sort_onesweep_histogram_config_static_selectorELNS0_4arch9wavefront6targetE1EEEvSG_.uses_vcc, 0
	.set _ZN7rocprim17ROCPRIM_400000_NS6detail17trampoline_kernelINS0_14default_configENS1_35radix_sort_onesweep_config_selectorIiiEEZNS1_34radix_sort_onesweep_global_offsetsIS3_Lb0EN6thrust23THRUST_200600_302600_NS6detail15normal_iteratorINS8_10device_ptrIiEEEESD_jNS0_19identity_decomposerEEE10hipError_tT1_T2_PT3_SI_jT4_jjP12ihipStream_tbEUlT_E0_NS1_11comp_targetILNS1_3genE0ELNS1_11target_archE4294967295ELNS1_3gpuE0ELNS1_3repE0EEENS1_52radix_sort_onesweep_histogram_config_static_selectorELNS0_4arch9wavefront6targetE1EEEvSG_.uses_flat_scratch, 0
	.set _ZN7rocprim17ROCPRIM_400000_NS6detail17trampoline_kernelINS0_14default_configENS1_35radix_sort_onesweep_config_selectorIiiEEZNS1_34radix_sort_onesweep_global_offsetsIS3_Lb0EN6thrust23THRUST_200600_302600_NS6detail15normal_iteratorINS8_10device_ptrIiEEEESD_jNS0_19identity_decomposerEEE10hipError_tT1_T2_PT3_SI_jT4_jjP12ihipStream_tbEUlT_E0_NS1_11comp_targetILNS1_3genE0ELNS1_11target_archE4294967295ELNS1_3gpuE0ELNS1_3repE0EEENS1_52radix_sort_onesweep_histogram_config_static_selectorELNS0_4arch9wavefront6targetE1EEEvSG_.has_dyn_sized_stack, 0
	.set _ZN7rocprim17ROCPRIM_400000_NS6detail17trampoline_kernelINS0_14default_configENS1_35radix_sort_onesweep_config_selectorIiiEEZNS1_34radix_sort_onesweep_global_offsetsIS3_Lb0EN6thrust23THRUST_200600_302600_NS6detail15normal_iteratorINS8_10device_ptrIiEEEESD_jNS0_19identity_decomposerEEE10hipError_tT1_T2_PT3_SI_jT4_jjP12ihipStream_tbEUlT_E0_NS1_11comp_targetILNS1_3genE0ELNS1_11target_archE4294967295ELNS1_3gpuE0ELNS1_3repE0EEENS1_52radix_sort_onesweep_histogram_config_static_selectorELNS0_4arch9wavefront6targetE1EEEvSG_.has_recursion, 0
	.set _ZN7rocprim17ROCPRIM_400000_NS6detail17trampoline_kernelINS0_14default_configENS1_35radix_sort_onesweep_config_selectorIiiEEZNS1_34radix_sort_onesweep_global_offsetsIS3_Lb0EN6thrust23THRUST_200600_302600_NS6detail15normal_iteratorINS8_10device_ptrIiEEEESD_jNS0_19identity_decomposerEEE10hipError_tT1_T2_PT3_SI_jT4_jjP12ihipStream_tbEUlT_E0_NS1_11comp_targetILNS1_3genE0ELNS1_11target_archE4294967295ELNS1_3gpuE0ELNS1_3repE0EEENS1_52radix_sort_onesweep_histogram_config_static_selectorELNS0_4arch9wavefront6targetE1EEEvSG_.has_indirect_call, 0
	.section	.AMDGPU.csdata,"",@progbits
; Kernel info:
; codeLenInByte = 0
; TotalNumSgprs: 6
; NumVgprs: 0
; NumAgprs: 0
; TotalNumVgprs: 0
; ScratchSize: 0
; MemoryBound: 0
; FloatMode: 240
; IeeeMode: 1
; LDSByteSize: 0 bytes/workgroup (compile time only)
; SGPRBlocks: 0
; VGPRBlocks: 0
; NumSGPRsForWavesPerEU: 6
; NumVGPRsForWavesPerEU: 1
; AccumOffset: 4
; Occupancy: 8
; WaveLimiterHint : 0
; COMPUTE_PGM_RSRC2:SCRATCH_EN: 0
; COMPUTE_PGM_RSRC2:USER_SGPR: 2
; COMPUTE_PGM_RSRC2:TRAP_HANDLER: 0
; COMPUTE_PGM_RSRC2:TGID_X_EN: 1
; COMPUTE_PGM_RSRC2:TGID_Y_EN: 0
; COMPUTE_PGM_RSRC2:TGID_Z_EN: 0
; COMPUTE_PGM_RSRC2:TIDIG_COMP_CNT: 0
; COMPUTE_PGM_RSRC3_GFX90A:ACCUM_OFFSET: 0
; COMPUTE_PGM_RSRC3_GFX90A:TG_SPLIT: 0
	.section	.text._ZN7rocprim17ROCPRIM_400000_NS6detail17trampoline_kernelINS0_14default_configENS1_35radix_sort_onesweep_config_selectorIiiEEZNS1_34radix_sort_onesweep_global_offsetsIS3_Lb0EN6thrust23THRUST_200600_302600_NS6detail15normal_iteratorINS8_10device_ptrIiEEEESD_jNS0_19identity_decomposerEEE10hipError_tT1_T2_PT3_SI_jT4_jjP12ihipStream_tbEUlT_E0_NS1_11comp_targetILNS1_3genE6ELNS1_11target_archE950ELNS1_3gpuE13ELNS1_3repE0EEENS1_52radix_sort_onesweep_histogram_config_static_selectorELNS0_4arch9wavefront6targetE1EEEvSG_,"axG",@progbits,_ZN7rocprim17ROCPRIM_400000_NS6detail17trampoline_kernelINS0_14default_configENS1_35radix_sort_onesweep_config_selectorIiiEEZNS1_34radix_sort_onesweep_global_offsetsIS3_Lb0EN6thrust23THRUST_200600_302600_NS6detail15normal_iteratorINS8_10device_ptrIiEEEESD_jNS0_19identity_decomposerEEE10hipError_tT1_T2_PT3_SI_jT4_jjP12ihipStream_tbEUlT_E0_NS1_11comp_targetILNS1_3genE6ELNS1_11target_archE950ELNS1_3gpuE13ELNS1_3repE0EEENS1_52radix_sort_onesweep_histogram_config_static_selectorELNS0_4arch9wavefront6targetE1EEEvSG_,comdat
	.protected	_ZN7rocprim17ROCPRIM_400000_NS6detail17trampoline_kernelINS0_14default_configENS1_35radix_sort_onesweep_config_selectorIiiEEZNS1_34radix_sort_onesweep_global_offsetsIS3_Lb0EN6thrust23THRUST_200600_302600_NS6detail15normal_iteratorINS8_10device_ptrIiEEEESD_jNS0_19identity_decomposerEEE10hipError_tT1_T2_PT3_SI_jT4_jjP12ihipStream_tbEUlT_E0_NS1_11comp_targetILNS1_3genE6ELNS1_11target_archE950ELNS1_3gpuE13ELNS1_3repE0EEENS1_52radix_sort_onesweep_histogram_config_static_selectorELNS0_4arch9wavefront6targetE1EEEvSG_ ; -- Begin function _ZN7rocprim17ROCPRIM_400000_NS6detail17trampoline_kernelINS0_14default_configENS1_35radix_sort_onesweep_config_selectorIiiEEZNS1_34radix_sort_onesweep_global_offsetsIS3_Lb0EN6thrust23THRUST_200600_302600_NS6detail15normal_iteratorINS8_10device_ptrIiEEEESD_jNS0_19identity_decomposerEEE10hipError_tT1_T2_PT3_SI_jT4_jjP12ihipStream_tbEUlT_E0_NS1_11comp_targetILNS1_3genE6ELNS1_11target_archE950ELNS1_3gpuE13ELNS1_3repE0EEENS1_52radix_sort_onesweep_histogram_config_static_selectorELNS0_4arch9wavefront6targetE1EEEvSG_
	.globl	_ZN7rocprim17ROCPRIM_400000_NS6detail17trampoline_kernelINS0_14default_configENS1_35radix_sort_onesweep_config_selectorIiiEEZNS1_34radix_sort_onesweep_global_offsetsIS3_Lb0EN6thrust23THRUST_200600_302600_NS6detail15normal_iteratorINS8_10device_ptrIiEEEESD_jNS0_19identity_decomposerEEE10hipError_tT1_T2_PT3_SI_jT4_jjP12ihipStream_tbEUlT_E0_NS1_11comp_targetILNS1_3genE6ELNS1_11target_archE950ELNS1_3gpuE13ELNS1_3repE0EEENS1_52radix_sort_onesweep_histogram_config_static_selectorELNS0_4arch9wavefront6targetE1EEEvSG_
	.p2align	8
	.type	_ZN7rocprim17ROCPRIM_400000_NS6detail17trampoline_kernelINS0_14default_configENS1_35radix_sort_onesweep_config_selectorIiiEEZNS1_34radix_sort_onesweep_global_offsetsIS3_Lb0EN6thrust23THRUST_200600_302600_NS6detail15normal_iteratorINS8_10device_ptrIiEEEESD_jNS0_19identity_decomposerEEE10hipError_tT1_T2_PT3_SI_jT4_jjP12ihipStream_tbEUlT_E0_NS1_11comp_targetILNS1_3genE6ELNS1_11target_archE950ELNS1_3gpuE13ELNS1_3repE0EEENS1_52radix_sort_onesweep_histogram_config_static_selectorELNS0_4arch9wavefront6targetE1EEEvSG_,@function
_ZN7rocprim17ROCPRIM_400000_NS6detail17trampoline_kernelINS0_14default_configENS1_35radix_sort_onesweep_config_selectorIiiEEZNS1_34radix_sort_onesweep_global_offsetsIS3_Lb0EN6thrust23THRUST_200600_302600_NS6detail15normal_iteratorINS8_10device_ptrIiEEEESD_jNS0_19identity_decomposerEEE10hipError_tT1_T2_PT3_SI_jT4_jjP12ihipStream_tbEUlT_E0_NS1_11comp_targetILNS1_3genE6ELNS1_11target_archE950ELNS1_3gpuE13ELNS1_3repE0EEENS1_52radix_sort_onesweep_histogram_config_static_selectorELNS0_4arch9wavefront6targetE1EEEvSG_: ; @_ZN7rocprim17ROCPRIM_400000_NS6detail17trampoline_kernelINS0_14default_configENS1_35radix_sort_onesweep_config_selectorIiiEEZNS1_34radix_sort_onesweep_global_offsetsIS3_Lb0EN6thrust23THRUST_200600_302600_NS6detail15normal_iteratorINS8_10device_ptrIiEEEESD_jNS0_19identity_decomposerEEE10hipError_tT1_T2_PT3_SI_jT4_jjP12ihipStream_tbEUlT_E0_NS1_11comp_targetILNS1_3genE6ELNS1_11target_archE950ELNS1_3gpuE13ELNS1_3repE0EEENS1_52radix_sort_onesweep_histogram_config_static_selectorELNS0_4arch9wavefront6targetE1EEEvSG_
; %bb.0:
	s_load_dwordx2 s[0:1], s[0:1], 0x0
	s_lshl_b32 s2, s2, 8
	s_mov_b32 s3, 0
	s_lshl_b64 s[2:3], s[2:3], 2
	v_lshlrev_b32_e32 v1, 2, v0
	s_waitcnt lgkmcnt(0)
	s_add_u32 s10, s0, s2
	s_movk_i32 s0, 0x100
	s_addc_u32 s11, s1, s3
	v_cmp_gt_u32_e32 vcc, s0, v0
                                        ; implicit-def: $vgpr3
	s_and_saveexec_b64 s[0:1], vcc
	s_cbranch_execz .LBB1402_2
; %bb.1:
	global_load_dword v3, v1, s[10:11]
.LBB1402_2:
	s_or_b64 exec, exec, s[0:1]
	v_mbcnt_lo_u32_b32 v2, -1, 0
	v_mbcnt_hi_u32_b32 v2, -1, v2
	v_and_b32_e32 v4, 15, v2
	s_waitcnt vmcnt(0)
	v_mov_b32_dpp v5, v3 row_shr:1 row_mask:0xf bank_mask:0xf
	v_cmp_eq_u32_e64 s[0:1], 0, v4
	v_cmp_lt_u32_e64 s[2:3], 1, v4
	v_cmp_lt_u32_e64 s[4:5], 3, v4
	v_cndmask_b32_e64 v5, v5, 0, s[0:1]
	v_add_u32_e32 v3, v5, v3
	v_cmp_lt_u32_e64 s[6:7], 7, v4
	v_cmp_lt_u32_e64 s[8:9], 31, v2
	v_mov_b32_dpp v5, v3 row_shr:2 row_mask:0xf bank_mask:0xf
	v_cndmask_b32_e64 v5, 0, v5, s[2:3]
	v_add_u32_e32 v3, v3, v5
	s_nop 1
	v_mov_b32_dpp v5, v3 row_shr:4 row_mask:0xf bank_mask:0xf
	v_cndmask_b32_e64 v5, 0, v5, s[4:5]
	v_add_u32_e32 v3, v3, v5
	s_nop 1
	v_mov_b32_dpp v5, v3 row_shr:8 row_mask:0xf bank_mask:0xf
	v_cndmask_b32_e64 v4, 0, v5, s[6:7]
	v_add_u32_e32 v3, v3, v4
	v_bfe_i32 v5, v2, 4, 1
	s_nop 0
	v_mov_b32_dpp v4, v3 row_bcast:15 row_mask:0xf bank_mask:0xf
	v_and_b32_e32 v4, v5, v4
	v_add_u32_e32 v3, v3, v4
	v_and_b32_e32 v5, 63, v0
	s_nop 0
	v_mov_b32_dpp v4, v3 row_bcast:31 row_mask:0xf bank_mask:0xf
	v_cndmask_b32_e64 v4, 0, v4, s[8:9]
	v_add_u32_e32 v3, v3, v4
	v_lshrrev_b32_e32 v4, 6, v0
	v_cmp_eq_u32_e64 s[8:9], 63, v5
	s_and_saveexec_b64 s[12:13], s[8:9]
; %bb.3:
	v_lshlrev_b32_e32 v5, 2, v4
	ds_write_b32 v5, v3
; %bb.4:
	s_or_b64 exec, exec, s[12:13]
	v_cmp_gt_u32_e64 s[8:9], 16, v0
	s_waitcnt lgkmcnt(0)
	s_barrier
	s_and_saveexec_b64 s[12:13], s[8:9]
	s_cbranch_execz .LBB1402_6
; %bb.5:
	ds_read_b32 v5, v1
	s_waitcnt lgkmcnt(0)
	s_nop 0
	v_mov_b32_dpp v6, v5 row_shr:1 row_mask:0xf bank_mask:0xf
	v_cndmask_b32_e64 v6, v6, 0, s[0:1]
	v_add_u32_e32 v5, v6, v5
	s_nop 1
	v_mov_b32_dpp v6, v5 row_shr:2 row_mask:0xf bank_mask:0xf
	v_cndmask_b32_e64 v6, 0, v6, s[2:3]
	v_add_u32_e32 v5, v5, v6
	;; [unrolled: 4-line block ×4, first 2 shown]
	ds_write_b32 v1, v5
.LBB1402_6:
	s_or_b64 exec, exec, s[12:13]
	v_cmp_lt_u32_e64 s[0:1], 63, v0
	v_mov_b32_e32 v0, 0
	s_waitcnt lgkmcnt(0)
	s_barrier
	s_and_saveexec_b64 s[2:3], s[0:1]
; %bb.7:
	v_lshl_add_u32 v0, v4, 2, -4
	ds_read_b32 v0, v0
; %bb.8:
	s_or_b64 exec, exec, s[2:3]
	v_add_u32_e32 v4, -1, v2
	v_and_b32_e32 v5, 64, v2
	v_cmp_lt_i32_e64 s[0:1], v4, v5
	s_waitcnt lgkmcnt(0)
	v_add_u32_e32 v3, v0, v3
	v_cndmask_b32_e64 v4, v4, v2, s[0:1]
	v_lshlrev_b32_e32 v4, 2, v4
	ds_bpermute_b32 v3, v4, v3
	s_and_saveexec_b64 s[0:1], vcc
	s_cbranch_execz .LBB1402_10
; %bb.9:
	v_cmp_eq_u32_e32 vcc, 0, v2
	s_waitcnt lgkmcnt(0)
	s_nop 0
	v_cndmask_b32_e32 v0, v3, v0, vcc
	global_store_dword v1, v0, s[10:11]
.LBB1402_10:
	s_endpgm
	.section	.rodata,"a",@progbits
	.p2align	6, 0x0
	.amdhsa_kernel _ZN7rocprim17ROCPRIM_400000_NS6detail17trampoline_kernelINS0_14default_configENS1_35radix_sort_onesweep_config_selectorIiiEEZNS1_34radix_sort_onesweep_global_offsetsIS3_Lb0EN6thrust23THRUST_200600_302600_NS6detail15normal_iteratorINS8_10device_ptrIiEEEESD_jNS0_19identity_decomposerEEE10hipError_tT1_T2_PT3_SI_jT4_jjP12ihipStream_tbEUlT_E0_NS1_11comp_targetILNS1_3genE6ELNS1_11target_archE950ELNS1_3gpuE13ELNS1_3repE0EEENS1_52radix_sort_onesweep_histogram_config_static_selectorELNS0_4arch9wavefront6targetE1EEEvSG_
		.amdhsa_group_segment_fixed_size 64
		.amdhsa_private_segment_fixed_size 0
		.amdhsa_kernarg_size 8
		.amdhsa_user_sgpr_count 2
		.amdhsa_user_sgpr_dispatch_ptr 0
		.amdhsa_user_sgpr_queue_ptr 0
		.amdhsa_user_sgpr_kernarg_segment_ptr 1
		.amdhsa_user_sgpr_dispatch_id 0
		.amdhsa_user_sgpr_kernarg_preload_length 0
		.amdhsa_user_sgpr_kernarg_preload_offset 0
		.amdhsa_user_sgpr_private_segment_size 0
		.amdhsa_uses_dynamic_stack 0
		.amdhsa_enable_private_segment 0
		.amdhsa_system_sgpr_workgroup_id_x 1
		.amdhsa_system_sgpr_workgroup_id_y 0
		.amdhsa_system_sgpr_workgroup_id_z 0
		.amdhsa_system_sgpr_workgroup_info 0
		.amdhsa_system_vgpr_workitem_id 0
		.amdhsa_next_free_vgpr 7
		.amdhsa_next_free_sgpr 14
		.amdhsa_accum_offset 8
		.amdhsa_reserve_vcc 1
		.amdhsa_float_round_mode_32 0
		.amdhsa_float_round_mode_16_64 0
		.amdhsa_float_denorm_mode_32 3
		.amdhsa_float_denorm_mode_16_64 3
		.amdhsa_dx10_clamp 1
		.amdhsa_ieee_mode 1
		.amdhsa_fp16_overflow 0
		.amdhsa_tg_split 0
		.amdhsa_exception_fp_ieee_invalid_op 0
		.amdhsa_exception_fp_denorm_src 0
		.amdhsa_exception_fp_ieee_div_zero 0
		.amdhsa_exception_fp_ieee_overflow 0
		.amdhsa_exception_fp_ieee_underflow 0
		.amdhsa_exception_fp_ieee_inexact 0
		.amdhsa_exception_int_div_zero 0
	.end_amdhsa_kernel
	.section	.text._ZN7rocprim17ROCPRIM_400000_NS6detail17trampoline_kernelINS0_14default_configENS1_35radix_sort_onesweep_config_selectorIiiEEZNS1_34radix_sort_onesweep_global_offsetsIS3_Lb0EN6thrust23THRUST_200600_302600_NS6detail15normal_iteratorINS8_10device_ptrIiEEEESD_jNS0_19identity_decomposerEEE10hipError_tT1_T2_PT3_SI_jT4_jjP12ihipStream_tbEUlT_E0_NS1_11comp_targetILNS1_3genE6ELNS1_11target_archE950ELNS1_3gpuE13ELNS1_3repE0EEENS1_52radix_sort_onesweep_histogram_config_static_selectorELNS0_4arch9wavefront6targetE1EEEvSG_,"axG",@progbits,_ZN7rocprim17ROCPRIM_400000_NS6detail17trampoline_kernelINS0_14default_configENS1_35radix_sort_onesweep_config_selectorIiiEEZNS1_34radix_sort_onesweep_global_offsetsIS3_Lb0EN6thrust23THRUST_200600_302600_NS6detail15normal_iteratorINS8_10device_ptrIiEEEESD_jNS0_19identity_decomposerEEE10hipError_tT1_T2_PT3_SI_jT4_jjP12ihipStream_tbEUlT_E0_NS1_11comp_targetILNS1_3genE6ELNS1_11target_archE950ELNS1_3gpuE13ELNS1_3repE0EEENS1_52radix_sort_onesweep_histogram_config_static_selectorELNS0_4arch9wavefront6targetE1EEEvSG_,comdat
.Lfunc_end1402:
	.size	_ZN7rocprim17ROCPRIM_400000_NS6detail17trampoline_kernelINS0_14default_configENS1_35radix_sort_onesweep_config_selectorIiiEEZNS1_34radix_sort_onesweep_global_offsetsIS3_Lb0EN6thrust23THRUST_200600_302600_NS6detail15normal_iteratorINS8_10device_ptrIiEEEESD_jNS0_19identity_decomposerEEE10hipError_tT1_T2_PT3_SI_jT4_jjP12ihipStream_tbEUlT_E0_NS1_11comp_targetILNS1_3genE6ELNS1_11target_archE950ELNS1_3gpuE13ELNS1_3repE0EEENS1_52radix_sort_onesweep_histogram_config_static_selectorELNS0_4arch9wavefront6targetE1EEEvSG_, .Lfunc_end1402-_ZN7rocprim17ROCPRIM_400000_NS6detail17trampoline_kernelINS0_14default_configENS1_35radix_sort_onesweep_config_selectorIiiEEZNS1_34radix_sort_onesweep_global_offsetsIS3_Lb0EN6thrust23THRUST_200600_302600_NS6detail15normal_iteratorINS8_10device_ptrIiEEEESD_jNS0_19identity_decomposerEEE10hipError_tT1_T2_PT3_SI_jT4_jjP12ihipStream_tbEUlT_E0_NS1_11comp_targetILNS1_3genE6ELNS1_11target_archE950ELNS1_3gpuE13ELNS1_3repE0EEENS1_52radix_sort_onesweep_histogram_config_static_selectorELNS0_4arch9wavefront6targetE1EEEvSG_
                                        ; -- End function
	.set _ZN7rocprim17ROCPRIM_400000_NS6detail17trampoline_kernelINS0_14default_configENS1_35radix_sort_onesweep_config_selectorIiiEEZNS1_34radix_sort_onesweep_global_offsetsIS3_Lb0EN6thrust23THRUST_200600_302600_NS6detail15normal_iteratorINS8_10device_ptrIiEEEESD_jNS0_19identity_decomposerEEE10hipError_tT1_T2_PT3_SI_jT4_jjP12ihipStream_tbEUlT_E0_NS1_11comp_targetILNS1_3genE6ELNS1_11target_archE950ELNS1_3gpuE13ELNS1_3repE0EEENS1_52radix_sort_onesweep_histogram_config_static_selectorELNS0_4arch9wavefront6targetE1EEEvSG_.num_vgpr, 7
	.set _ZN7rocprim17ROCPRIM_400000_NS6detail17trampoline_kernelINS0_14default_configENS1_35radix_sort_onesweep_config_selectorIiiEEZNS1_34radix_sort_onesweep_global_offsetsIS3_Lb0EN6thrust23THRUST_200600_302600_NS6detail15normal_iteratorINS8_10device_ptrIiEEEESD_jNS0_19identity_decomposerEEE10hipError_tT1_T2_PT3_SI_jT4_jjP12ihipStream_tbEUlT_E0_NS1_11comp_targetILNS1_3genE6ELNS1_11target_archE950ELNS1_3gpuE13ELNS1_3repE0EEENS1_52radix_sort_onesweep_histogram_config_static_selectorELNS0_4arch9wavefront6targetE1EEEvSG_.num_agpr, 0
	.set _ZN7rocprim17ROCPRIM_400000_NS6detail17trampoline_kernelINS0_14default_configENS1_35radix_sort_onesweep_config_selectorIiiEEZNS1_34radix_sort_onesweep_global_offsetsIS3_Lb0EN6thrust23THRUST_200600_302600_NS6detail15normal_iteratorINS8_10device_ptrIiEEEESD_jNS0_19identity_decomposerEEE10hipError_tT1_T2_PT3_SI_jT4_jjP12ihipStream_tbEUlT_E0_NS1_11comp_targetILNS1_3genE6ELNS1_11target_archE950ELNS1_3gpuE13ELNS1_3repE0EEENS1_52radix_sort_onesweep_histogram_config_static_selectorELNS0_4arch9wavefront6targetE1EEEvSG_.numbered_sgpr, 14
	.set _ZN7rocprim17ROCPRIM_400000_NS6detail17trampoline_kernelINS0_14default_configENS1_35radix_sort_onesweep_config_selectorIiiEEZNS1_34radix_sort_onesweep_global_offsetsIS3_Lb0EN6thrust23THRUST_200600_302600_NS6detail15normal_iteratorINS8_10device_ptrIiEEEESD_jNS0_19identity_decomposerEEE10hipError_tT1_T2_PT3_SI_jT4_jjP12ihipStream_tbEUlT_E0_NS1_11comp_targetILNS1_3genE6ELNS1_11target_archE950ELNS1_3gpuE13ELNS1_3repE0EEENS1_52radix_sort_onesweep_histogram_config_static_selectorELNS0_4arch9wavefront6targetE1EEEvSG_.num_named_barrier, 0
	.set _ZN7rocprim17ROCPRIM_400000_NS6detail17trampoline_kernelINS0_14default_configENS1_35radix_sort_onesweep_config_selectorIiiEEZNS1_34radix_sort_onesweep_global_offsetsIS3_Lb0EN6thrust23THRUST_200600_302600_NS6detail15normal_iteratorINS8_10device_ptrIiEEEESD_jNS0_19identity_decomposerEEE10hipError_tT1_T2_PT3_SI_jT4_jjP12ihipStream_tbEUlT_E0_NS1_11comp_targetILNS1_3genE6ELNS1_11target_archE950ELNS1_3gpuE13ELNS1_3repE0EEENS1_52radix_sort_onesweep_histogram_config_static_selectorELNS0_4arch9wavefront6targetE1EEEvSG_.private_seg_size, 0
	.set _ZN7rocprim17ROCPRIM_400000_NS6detail17trampoline_kernelINS0_14default_configENS1_35radix_sort_onesweep_config_selectorIiiEEZNS1_34radix_sort_onesweep_global_offsetsIS3_Lb0EN6thrust23THRUST_200600_302600_NS6detail15normal_iteratorINS8_10device_ptrIiEEEESD_jNS0_19identity_decomposerEEE10hipError_tT1_T2_PT3_SI_jT4_jjP12ihipStream_tbEUlT_E0_NS1_11comp_targetILNS1_3genE6ELNS1_11target_archE950ELNS1_3gpuE13ELNS1_3repE0EEENS1_52radix_sort_onesweep_histogram_config_static_selectorELNS0_4arch9wavefront6targetE1EEEvSG_.uses_vcc, 1
	.set _ZN7rocprim17ROCPRIM_400000_NS6detail17trampoline_kernelINS0_14default_configENS1_35radix_sort_onesweep_config_selectorIiiEEZNS1_34radix_sort_onesweep_global_offsetsIS3_Lb0EN6thrust23THRUST_200600_302600_NS6detail15normal_iteratorINS8_10device_ptrIiEEEESD_jNS0_19identity_decomposerEEE10hipError_tT1_T2_PT3_SI_jT4_jjP12ihipStream_tbEUlT_E0_NS1_11comp_targetILNS1_3genE6ELNS1_11target_archE950ELNS1_3gpuE13ELNS1_3repE0EEENS1_52radix_sort_onesweep_histogram_config_static_selectorELNS0_4arch9wavefront6targetE1EEEvSG_.uses_flat_scratch, 0
	.set _ZN7rocprim17ROCPRIM_400000_NS6detail17trampoline_kernelINS0_14default_configENS1_35radix_sort_onesweep_config_selectorIiiEEZNS1_34radix_sort_onesweep_global_offsetsIS3_Lb0EN6thrust23THRUST_200600_302600_NS6detail15normal_iteratorINS8_10device_ptrIiEEEESD_jNS0_19identity_decomposerEEE10hipError_tT1_T2_PT3_SI_jT4_jjP12ihipStream_tbEUlT_E0_NS1_11comp_targetILNS1_3genE6ELNS1_11target_archE950ELNS1_3gpuE13ELNS1_3repE0EEENS1_52radix_sort_onesweep_histogram_config_static_selectorELNS0_4arch9wavefront6targetE1EEEvSG_.has_dyn_sized_stack, 0
	.set _ZN7rocprim17ROCPRIM_400000_NS6detail17trampoline_kernelINS0_14default_configENS1_35radix_sort_onesweep_config_selectorIiiEEZNS1_34radix_sort_onesweep_global_offsetsIS3_Lb0EN6thrust23THRUST_200600_302600_NS6detail15normal_iteratorINS8_10device_ptrIiEEEESD_jNS0_19identity_decomposerEEE10hipError_tT1_T2_PT3_SI_jT4_jjP12ihipStream_tbEUlT_E0_NS1_11comp_targetILNS1_3genE6ELNS1_11target_archE950ELNS1_3gpuE13ELNS1_3repE0EEENS1_52radix_sort_onesweep_histogram_config_static_selectorELNS0_4arch9wavefront6targetE1EEEvSG_.has_recursion, 0
	.set _ZN7rocprim17ROCPRIM_400000_NS6detail17trampoline_kernelINS0_14default_configENS1_35radix_sort_onesweep_config_selectorIiiEEZNS1_34radix_sort_onesweep_global_offsetsIS3_Lb0EN6thrust23THRUST_200600_302600_NS6detail15normal_iteratorINS8_10device_ptrIiEEEESD_jNS0_19identity_decomposerEEE10hipError_tT1_T2_PT3_SI_jT4_jjP12ihipStream_tbEUlT_E0_NS1_11comp_targetILNS1_3genE6ELNS1_11target_archE950ELNS1_3gpuE13ELNS1_3repE0EEENS1_52radix_sort_onesweep_histogram_config_static_selectorELNS0_4arch9wavefront6targetE1EEEvSG_.has_indirect_call, 0
	.section	.AMDGPU.csdata,"",@progbits
; Kernel info:
; codeLenInByte = 572
; TotalNumSgprs: 20
; NumVgprs: 7
; NumAgprs: 0
; TotalNumVgprs: 7
; ScratchSize: 0
; MemoryBound: 0
; FloatMode: 240
; IeeeMode: 1
; LDSByteSize: 64 bytes/workgroup (compile time only)
; SGPRBlocks: 2
; VGPRBlocks: 0
; NumSGPRsForWavesPerEU: 20
; NumVGPRsForWavesPerEU: 7
; AccumOffset: 8
; Occupancy: 8
; WaveLimiterHint : 0
; COMPUTE_PGM_RSRC2:SCRATCH_EN: 0
; COMPUTE_PGM_RSRC2:USER_SGPR: 2
; COMPUTE_PGM_RSRC2:TRAP_HANDLER: 0
; COMPUTE_PGM_RSRC2:TGID_X_EN: 1
; COMPUTE_PGM_RSRC2:TGID_Y_EN: 0
; COMPUTE_PGM_RSRC2:TGID_Z_EN: 0
; COMPUTE_PGM_RSRC2:TIDIG_COMP_CNT: 0
; COMPUTE_PGM_RSRC3_GFX90A:ACCUM_OFFSET: 1
; COMPUTE_PGM_RSRC3_GFX90A:TG_SPLIT: 0
	.section	.text._ZN7rocprim17ROCPRIM_400000_NS6detail17trampoline_kernelINS0_14default_configENS1_35radix_sort_onesweep_config_selectorIiiEEZNS1_34radix_sort_onesweep_global_offsetsIS3_Lb0EN6thrust23THRUST_200600_302600_NS6detail15normal_iteratorINS8_10device_ptrIiEEEESD_jNS0_19identity_decomposerEEE10hipError_tT1_T2_PT3_SI_jT4_jjP12ihipStream_tbEUlT_E0_NS1_11comp_targetILNS1_3genE5ELNS1_11target_archE942ELNS1_3gpuE9ELNS1_3repE0EEENS1_52radix_sort_onesweep_histogram_config_static_selectorELNS0_4arch9wavefront6targetE1EEEvSG_,"axG",@progbits,_ZN7rocprim17ROCPRIM_400000_NS6detail17trampoline_kernelINS0_14default_configENS1_35radix_sort_onesweep_config_selectorIiiEEZNS1_34radix_sort_onesweep_global_offsetsIS3_Lb0EN6thrust23THRUST_200600_302600_NS6detail15normal_iteratorINS8_10device_ptrIiEEEESD_jNS0_19identity_decomposerEEE10hipError_tT1_T2_PT3_SI_jT4_jjP12ihipStream_tbEUlT_E0_NS1_11comp_targetILNS1_3genE5ELNS1_11target_archE942ELNS1_3gpuE9ELNS1_3repE0EEENS1_52radix_sort_onesweep_histogram_config_static_selectorELNS0_4arch9wavefront6targetE1EEEvSG_,comdat
	.protected	_ZN7rocprim17ROCPRIM_400000_NS6detail17trampoline_kernelINS0_14default_configENS1_35radix_sort_onesweep_config_selectorIiiEEZNS1_34radix_sort_onesweep_global_offsetsIS3_Lb0EN6thrust23THRUST_200600_302600_NS6detail15normal_iteratorINS8_10device_ptrIiEEEESD_jNS0_19identity_decomposerEEE10hipError_tT1_T2_PT3_SI_jT4_jjP12ihipStream_tbEUlT_E0_NS1_11comp_targetILNS1_3genE5ELNS1_11target_archE942ELNS1_3gpuE9ELNS1_3repE0EEENS1_52radix_sort_onesweep_histogram_config_static_selectorELNS0_4arch9wavefront6targetE1EEEvSG_ ; -- Begin function _ZN7rocprim17ROCPRIM_400000_NS6detail17trampoline_kernelINS0_14default_configENS1_35radix_sort_onesweep_config_selectorIiiEEZNS1_34radix_sort_onesweep_global_offsetsIS3_Lb0EN6thrust23THRUST_200600_302600_NS6detail15normal_iteratorINS8_10device_ptrIiEEEESD_jNS0_19identity_decomposerEEE10hipError_tT1_T2_PT3_SI_jT4_jjP12ihipStream_tbEUlT_E0_NS1_11comp_targetILNS1_3genE5ELNS1_11target_archE942ELNS1_3gpuE9ELNS1_3repE0EEENS1_52radix_sort_onesweep_histogram_config_static_selectorELNS0_4arch9wavefront6targetE1EEEvSG_
	.globl	_ZN7rocprim17ROCPRIM_400000_NS6detail17trampoline_kernelINS0_14default_configENS1_35radix_sort_onesweep_config_selectorIiiEEZNS1_34radix_sort_onesweep_global_offsetsIS3_Lb0EN6thrust23THRUST_200600_302600_NS6detail15normal_iteratorINS8_10device_ptrIiEEEESD_jNS0_19identity_decomposerEEE10hipError_tT1_T2_PT3_SI_jT4_jjP12ihipStream_tbEUlT_E0_NS1_11comp_targetILNS1_3genE5ELNS1_11target_archE942ELNS1_3gpuE9ELNS1_3repE0EEENS1_52radix_sort_onesweep_histogram_config_static_selectorELNS0_4arch9wavefront6targetE1EEEvSG_
	.p2align	8
	.type	_ZN7rocprim17ROCPRIM_400000_NS6detail17trampoline_kernelINS0_14default_configENS1_35radix_sort_onesweep_config_selectorIiiEEZNS1_34radix_sort_onesweep_global_offsetsIS3_Lb0EN6thrust23THRUST_200600_302600_NS6detail15normal_iteratorINS8_10device_ptrIiEEEESD_jNS0_19identity_decomposerEEE10hipError_tT1_T2_PT3_SI_jT4_jjP12ihipStream_tbEUlT_E0_NS1_11comp_targetILNS1_3genE5ELNS1_11target_archE942ELNS1_3gpuE9ELNS1_3repE0EEENS1_52radix_sort_onesweep_histogram_config_static_selectorELNS0_4arch9wavefront6targetE1EEEvSG_,@function
_ZN7rocprim17ROCPRIM_400000_NS6detail17trampoline_kernelINS0_14default_configENS1_35radix_sort_onesweep_config_selectorIiiEEZNS1_34radix_sort_onesweep_global_offsetsIS3_Lb0EN6thrust23THRUST_200600_302600_NS6detail15normal_iteratorINS8_10device_ptrIiEEEESD_jNS0_19identity_decomposerEEE10hipError_tT1_T2_PT3_SI_jT4_jjP12ihipStream_tbEUlT_E0_NS1_11comp_targetILNS1_3genE5ELNS1_11target_archE942ELNS1_3gpuE9ELNS1_3repE0EEENS1_52radix_sort_onesweep_histogram_config_static_selectorELNS0_4arch9wavefront6targetE1EEEvSG_: ; @_ZN7rocprim17ROCPRIM_400000_NS6detail17trampoline_kernelINS0_14default_configENS1_35radix_sort_onesweep_config_selectorIiiEEZNS1_34radix_sort_onesweep_global_offsetsIS3_Lb0EN6thrust23THRUST_200600_302600_NS6detail15normal_iteratorINS8_10device_ptrIiEEEESD_jNS0_19identity_decomposerEEE10hipError_tT1_T2_PT3_SI_jT4_jjP12ihipStream_tbEUlT_E0_NS1_11comp_targetILNS1_3genE5ELNS1_11target_archE942ELNS1_3gpuE9ELNS1_3repE0EEENS1_52radix_sort_onesweep_histogram_config_static_selectorELNS0_4arch9wavefront6targetE1EEEvSG_
; %bb.0:
	.section	.rodata,"a",@progbits
	.p2align	6, 0x0
	.amdhsa_kernel _ZN7rocprim17ROCPRIM_400000_NS6detail17trampoline_kernelINS0_14default_configENS1_35radix_sort_onesweep_config_selectorIiiEEZNS1_34radix_sort_onesweep_global_offsetsIS3_Lb0EN6thrust23THRUST_200600_302600_NS6detail15normal_iteratorINS8_10device_ptrIiEEEESD_jNS0_19identity_decomposerEEE10hipError_tT1_T2_PT3_SI_jT4_jjP12ihipStream_tbEUlT_E0_NS1_11comp_targetILNS1_3genE5ELNS1_11target_archE942ELNS1_3gpuE9ELNS1_3repE0EEENS1_52radix_sort_onesweep_histogram_config_static_selectorELNS0_4arch9wavefront6targetE1EEEvSG_
		.amdhsa_group_segment_fixed_size 0
		.amdhsa_private_segment_fixed_size 0
		.amdhsa_kernarg_size 8
		.amdhsa_user_sgpr_count 2
		.amdhsa_user_sgpr_dispatch_ptr 0
		.amdhsa_user_sgpr_queue_ptr 0
		.amdhsa_user_sgpr_kernarg_segment_ptr 1
		.amdhsa_user_sgpr_dispatch_id 0
		.amdhsa_user_sgpr_kernarg_preload_length 0
		.amdhsa_user_sgpr_kernarg_preload_offset 0
		.amdhsa_user_sgpr_private_segment_size 0
		.amdhsa_uses_dynamic_stack 0
		.amdhsa_enable_private_segment 0
		.amdhsa_system_sgpr_workgroup_id_x 1
		.amdhsa_system_sgpr_workgroup_id_y 0
		.amdhsa_system_sgpr_workgroup_id_z 0
		.amdhsa_system_sgpr_workgroup_info 0
		.amdhsa_system_vgpr_workitem_id 0
		.amdhsa_next_free_vgpr 1
		.amdhsa_next_free_sgpr 0
		.amdhsa_accum_offset 4
		.amdhsa_reserve_vcc 0
		.amdhsa_float_round_mode_32 0
		.amdhsa_float_round_mode_16_64 0
		.amdhsa_float_denorm_mode_32 3
		.amdhsa_float_denorm_mode_16_64 3
		.amdhsa_dx10_clamp 1
		.amdhsa_ieee_mode 1
		.amdhsa_fp16_overflow 0
		.amdhsa_tg_split 0
		.amdhsa_exception_fp_ieee_invalid_op 0
		.amdhsa_exception_fp_denorm_src 0
		.amdhsa_exception_fp_ieee_div_zero 0
		.amdhsa_exception_fp_ieee_overflow 0
		.amdhsa_exception_fp_ieee_underflow 0
		.amdhsa_exception_fp_ieee_inexact 0
		.amdhsa_exception_int_div_zero 0
	.end_amdhsa_kernel
	.section	.text._ZN7rocprim17ROCPRIM_400000_NS6detail17trampoline_kernelINS0_14default_configENS1_35radix_sort_onesweep_config_selectorIiiEEZNS1_34radix_sort_onesweep_global_offsetsIS3_Lb0EN6thrust23THRUST_200600_302600_NS6detail15normal_iteratorINS8_10device_ptrIiEEEESD_jNS0_19identity_decomposerEEE10hipError_tT1_T2_PT3_SI_jT4_jjP12ihipStream_tbEUlT_E0_NS1_11comp_targetILNS1_3genE5ELNS1_11target_archE942ELNS1_3gpuE9ELNS1_3repE0EEENS1_52radix_sort_onesweep_histogram_config_static_selectorELNS0_4arch9wavefront6targetE1EEEvSG_,"axG",@progbits,_ZN7rocprim17ROCPRIM_400000_NS6detail17trampoline_kernelINS0_14default_configENS1_35radix_sort_onesweep_config_selectorIiiEEZNS1_34radix_sort_onesweep_global_offsetsIS3_Lb0EN6thrust23THRUST_200600_302600_NS6detail15normal_iteratorINS8_10device_ptrIiEEEESD_jNS0_19identity_decomposerEEE10hipError_tT1_T2_PT3_SI_jT4_jjP12ihipStream_tbEUlT_E0_NS1_11comp_targetILNS1_3genE5ELNS1_11target_archE942ELNS1_3gpuE9ELNS1_3repE0EEENS1_52radix_sort_onesweep_histogram_config_static_selectorELNS0_4arch9wavefront6targetE1EEEvSG_,comdat
.Lfunc_end1403:
	.size	_ZN7rocprim17ROCPRIM_400000_NS6detail17trampoline_kernelINS0_14default_configENS1_35radix_sort_onesweep_config_selectorIiiEEZNS1_34radix_sort_onesweep_global_offsetsIS3_Lb0EN6thrust23THRUST_200600_302600_NS6detail15normal_iteratorINS8_10device_ptrIiEEEESD_jNS0_19identity_decomposerEEE10hipError_tT1_T2_PT3_SI_jT4_jjP12ihipStream_tbEUlT_E0_NS1_11comp_targetILNS1_3genE5ELNS1_11target_archE942ELNS1_3gpuE9ELNS1_3repE0EEENS1_52radix_sort_onesweep_histogram_config_static_selectorELNS0_4arch9wavefront6targetE1EEEvSG_, .Lfunc_end1403-_ZN7rocprim17ROCPRIM_400000_NS6detail17trampoline_kernelINS0_14default_configENS1_35radix_sort_onesweep_config_selectorIiiEEZNS1_34radix_sort_onesweep_global_offsetsIS3_Lb0EN6thrust23THRUST_200600_302600_NS6detail15normal_iteratorINS8_10device_ptrIiEEEESD_jNS0_19identity_decomposerEEE10hipError_tT1_T2_PT3_SI_jT4_jjP12ihipStream_tbEUlT_E0_NS1_11comp_targetILNS1_3genE5ELNS1_11target_archE942ELNS1_3gpuE9ELNS1_3repE0EEENS1_52radix_sort_onesweep_histogram_config_static_selectorELNS0_4arch9wavefront6targetE1EEEvSG_
                                        ; -- End function
	.set _ZN7rocprim17ROCPRIM_400000_NS6detail17trampoline_kernelINS0_14default_configENS1_35radix_sort_onesweep_config_selectorIiiEEZNS1_34radix_sort_onesweep_global_offsetsIS3_Lb0EN6thrust23THRUST_200600_302600_NS6detail15normal_iteratorINS8_10device_ptrIiEEEESD_jNS0_19identity_decomposerEEE10hipError_tT1_T2_PT3_SI_jT4_jjP12ihipStream_tbEUlT_E0_NS1_11comp_targetILNS1_3genE5ELNS1_11target_archE942ELNS1_3gpuE9ELNS1_3repE0EEENS1_52radix_sort_onesweep_histogram_config_static_selectorELNS0_4arch9wavefront6targetE1EEEvSG_.num_vgpr, 0
	.set _ZN7rocprim17ROCPRIM_400000_NS6detail17trampoline_kernelINS0_14default_configENS1_35radix_sort_onesweep_config_selectorIiiEEZNS1_34radix_sort_onesweep_global_offsetsIS3_Lb0EN6thrust23THRUST_200600_302600_NS6detail15normal_iteratorINS8_10device_ptrIiEEEESD_jNS0_19identity_decomposerEEE10hipError_tT1_T2_PT3_SI_jT4_jjP12ihipStream_tbEUlT_E0_NS1_11comp_targetILNS1_3genE5ELNS1_11target_archE942ELNS1_3gpuE9ELNS1_3repE0EEENS1_52radix_sort_onesweep_histogram_config_static_selectorELNS0_4arch9wavefront6targetE1EEEvSG_.num_agpr, 0
	.set _ZN7rocprim17ROCPRIM_400000_NS6detail17trampoline_kernelINS0_14default_configENS1_35radix_sort_onesweep_config_selectorIiiEEZNS1_34radix_sort_onesweep_global_offsetsIS3_Lb0EN6thrust23THRUST_200600_302600_NS6detail15normal_iteratorINS8_10device_ptrIiEEEESD_jNS0_19identity_decomposerEEE10hipError_tT1_T2_PT3_SI_jT4_jjP12ihipStream_tbEUlT_E0_NS1_11comp_targetILNS1_3genE5ELNS1_11target_archE942ELNS1_3gpuE9ELNS1_3repE0EEENS1_52radix_sort_onesweep_histogram_config_static_selectorELNS0_4arch9wavefront6targetE1EEEvSG_.numbered_sgpr, 0
	.set _ZN7rocprim17ROCPRIM_400000_NS6detail17trampoline_kernelINS0_14default_configENS1_35radix_sort_onesweep_config_selectorIiiEEZNS1_34radix_sort_onesweep_global_offsetsIS3_Lb0EN6thrust23THRUST_200600_302600_NS6detail15normal_iteratorINS8_10device_ptrIiEEEESD_jNS0_19identity_decomposerEEE10hipError_tT1_T2_PT3_SI_jT4_jjP12ihipStream_tbEUlT_E0_NS1_11comp_targetILNS1_3genE5ELNS1_11target_archE942ELNS1_3gpuE9ELNS1_3repE0EEENS1_52radix_sort_onesweep_histogram_config_static_selectorELNS0_4arch9wavefront6targetE1EEEvSG_.num_named_barrier, 0
	.set _ZN7rocprim17ROCPRIM_400000_NS6detail17trampoline_kernelINS0_14default_configENS1_35radix_sort_onesweep_config_selectorIiiEEZNS1_34radix_sort_onesweep_global_offsetsIS3_Lb0EN6thrust23THRUST_200600_302600_NS6detail15normal_iteratorINS8_10device_ptrIiEEEESD_jNS0_19identity_decomposerEEE10hipError_tT1_T2_PT3_SI_jT4_jjP12ihipStream_tbEUlT_E0_NS1_11comp_targetILNS1_3genE5ELNS1_11target_archE942ELNS1_3gpuE9ELNS1_3repE0EEENS1_52radix_sort_onesweep_histogram_config_static_selectorELNS0_4arch9wavefront6targetE1EEEvSG_.private_seg_size, 0
	.set _ZN7rocprim17ROCPRIM_400000_NS6detail17trampoline_kernelINS0_14default_configENS1_35radix_sort_onesweep_config_selectorIiiEEZNS1_34radix_sort_onesweep_global_offsetsIS3_Lb0EN6thrust23THRUST_200600_302600_NS6detail15normal_iteratorINS8_10device_ptrIiEEEESD_jNS0_19identity_decomposerEEE10hipError_tT1_T2_PT3_SI_jT4_jjP12ihipStream_tbEUlT_E0_NS1_11comp_targetILNS1_3genE5ELNS1_11target_archE942ELNS1_3gpuE9ELNS1_3repE0EEENS1_52radix_sort_onesweep_histogram_config_static_selectorELNS0_4arch9wavefront6targetE1EEEvSG_.uses_vcc, 0
	.set _ZN7rocprim17ROCPRIM_400000_NS6detail17trampoline_kernelINS0_14default_configENS1_35radix_sort_onesweep_config_selectorIiiEEZNS1_34radix_sort_onesweep_global_offsetsIS3_Lb0EN6thrust23THRUST_200600_302600_NS6detail15normal_iteratorINS8_10device_ptrIiEEEESD_jNS0_19identity_decomposerEEE10hipError_tT1_T2_PT3_SI_jT4_jjP12ihipStream_tbEUlT_E0_NS1_11comp_targetILNS1_3genE5ELNS1_11target_archE942ELNS1_3gpuE9ELNS1_3repE0EEENS1_52radix_sort_onesweep_histogram_config_static_selectorELNS0_4arch9wavefront6targetE1EEEvSG_.uses_flat_scratch, 0
	.set _ZN7rocprim17ROCPRIM_400000_NS6detail17trampoline_kernelINS0_14default_configENS1_35radix_sort_onesweep_config_selectorIiiEEZNS1_34radix_sort_onesweep_global_offsetsIS3_Lb0EN6thrust23THRUST_200600_302600_NS6detail15normal_iteratorINS8_10device_ptrIiEEEESD_jNS0_19identity_decomposerEEE10hipError_tT1_T2_PT3_SI_jT4_jjP12ihipStream_tbEUlT_E0_NS1_11comp_targetILNS1_3genE5ELNS1_11target_archE942ELNS1_3gpuE9ELNS1_3repE0EEENS1_52radix_sort_onesweep_histogram_config_static_selectorELNS0_4arch9wavefront6targetE1EEEvSG_.has_dyn_sized_stack, 0
	.set _ZN7rocprim17ROCPRIM_400000_NS6detail17trampoline_kernelINS0_14default_configENS1_35radix_sort_onesweep_config_selectorIiiEEZNS1_34radix_sort_onesweep_global_offsetsIS3_Lb0EN6thrust23THRUST_200600_302600_NS6detail15normal_iteratorINS8_10device_ptrIiEEEESD_jNS0_19identity_decomposerEEE10hipError_tT1_T2_PT3_SI_jT4_jjP12ihipStream_tbEUlT_E0_NS1_11comp_targetILNS1_3genE5ELNS1_11target_archE942ELNS1_3gpuE9ELNS1_3repE0EEENS1_52radix_sort_onesweep_histogram_config_static_selectorELNS0_4arch9wavefront6targetE1EEEvSG_.has_recursion, 0
	.set _ZN7rocprim17ROCPRIM_400000_NS6detail17trampoline_kernelINS0_14default_configENS1_35radix_sort_onesweep_config_selectorIiiEEZNS1_34radix_sort_onesweep_global_offsetsIS3_Lb0EN6thrust23THRUST_200600_302600_NS6detail15normal_iteratorINS8_10device_ptrIiEEEESD_jNS0_19identity_decomposerEEE10hipError_tT1_T2_PT3_SI_jT4_jjP12ihipStream_tbEUlT_E0_NS1_11comp_targetILNS1_3genE5ELNS1_11target_archE942ELNS1_3gpuE9ELNS1_3repE0EEENS1_52radix_sort_onesweep_histogram_config_static_selectorELNS0_4arch9wavefront6targetE1EEEvSG_.has_indirect_call, 0
	.section	.AMDGPU.csdata,"",@progbits
; Kernel info:
; codeLenInByte = 0
; TotalNumSgprs: 6
; NumVgprs: 0
; NumAgprs: 0
; TotalNumVgprs: 0
; ScratchSize: 0
; MemoryBound: 0
; FloatMode: 240
; IeeeMode: 1
; LDSByteSize: 0 bytes/workgroup (compile time only)
; SGPRBlocks: 0
; VGPRBlocks: 0
; NumSGPRsForWavesPerEU: 6
; NumVGPRsForWavesPerEU: 1
; AccumOffset: 4
; Occupancy: 8
; WaveLimiterHint : 0
; COMPUTE_PGM_RSRC2:SCRATCH_EN: 0
; COMPUTE_PGM_RSRC2:USER_SGPR: 2
; COMPUTE_PGM_RSRC2:TRAP_HANDLER: 0
; COMPUTE_PGM_RSRC2:TGID_X_EN: 1
; COMPUTE_PGM_RSRC2:TGID_Y_EN: 0
; COMPUTE_PGM_RSRC2:TGID_Z_EN: 0
; COMPUTE_PGM_RSRC2:TIDIG_COMP_CNT: 0
; COMPUTE_PGM_RSRC3_GFX90A:ACCUM_OFFSET: 0
; COMPUTE_PGM_RSRC3_GFX90A:TG_SPLIT: 0
	.section	.text._ZN7rocprim17ROCPRIM_400000_NS6detail17trampoline_kernelINS0_14default_configENS1_35radix_sort_onesweep_config_selectorIiiEEZNS1_34radix_sort_onesweep_global_offsetsIS3_Lb0EN6thrust23THRUST_200600_302600_NS6detail15normal_iteratorINS8_10device_ptrIiEEEESD_jNS0_19identity_decomposerEEE10hipError_tT1_T2_PT3_SI_jT4_jjP12ihipStream_tbEUlT_E0_NS1_11comp_targetILNS1_3genE2ELNS1_11target_archE906ELNS1_3gpuE6ELNS1_3repE0EEENS1_52radix_sort_onesweep_histogram_config_static_selectorELNS0_4arch9wavefront6targetE1EEEvSG_,"axG",@progbits,_ZN7rocprim17ROCPRIM_400000_NS6detail17trampoline_kernelINS0_14default_configENS1_35radix_sort_onesweep_config_selectorIiiEEZNS1_34radix_sort_onesweep_global_offsetsIS3_Lb0EN6thrust23THRUST_200600_302600_NS6detail15normal_iteratorINS8_10device_ptrIiEEEESD_jNS0_19identity_decomposerEEE10hipError_tT1_T2_PT3_SI_jT4_jjP12ihipStream_tbEUlT_E0_NS1_11comp_targetILNS1_3genE2ELNS1_11target_archE906ELNS1_3gpuE6ELNS1_3repE0EEENS1_52radix_sort_onesweep_histogram_config_static_selectorELNS0_4arch9wavefront6targetE1EEEvSG_,comdat
	.protected	_ZN7rocprim17ROCPRIM_400000_NS6detail17trampoline_kernelINS0_14default_configENS1_35radix_sort_onesweep_config_selectorIiiEEZNS1_34radix_sort_onesweep_global_offsetsIS3_Lb0EN6thrust23THRUST_200600_302600_NS6detail15normal_iteratorINS8_10device_ptrIiEEEESD_jNS0_19identity_decomposerEEE10hipError_tT1_T2_PT3_SI_jT4_jjP12ihipStream_tbEUlT_E0_NS1_11comp_targetILNS1_3genE2ELNS1_11target_archE906ELNS1_3gpuE6ELNS1_3repE0EEENS1_52radix_sort_onesweep_histogram_config_static_selectorELNS0_4arch9wavefront6targetE1EEEvSG_ ; -- Begin function _ZN7rocprim17ROCPRIM_400000_NS6detail17trampoline_kernelINS0_14default_configENS1_35radix_sort_onesweep_config_selectorIiiEEZNS1_34radix_sort_onesweep_global_offsetsIS3_Lb0EN6thrust23THRUST_200600_302600_NS6detail15normal_iteratorINS8_10device_ptrIiEEEESD_jNS0_19identity_decomposerEEE10hipError_tT1_T2_PT3_SI_jT4_jjP12ihipStream_tbEUlT_E0_NS1_11comp_targetILNS1_3genE2ELNS1_11target_archE906ELNS1_3gpuE6ELNS1_3repE0EEENS1_52radix_sort_onesweep_histogram_config_static_selectorELNS0_4arch9wavefront6targetE1EEEvSG_
	.globl	_ZN7rocprim17ROCPRIM_400000_NS6detail17trampoline_kernelINS0_14default_configENS1_35radix_sort_onesweep_config_selectorIiiEEZNS1_34radix_sort_onesweep_global_offsetsIS3_Lb0EN6thrust23THRUST_200600_302600_NS6detail15normal_iteratorINS8_10device_ptrIiEEEESD_jNS0_19identity_decomposerEEE10hipError_tT1_T2_PT3_SI_jT4_jjP12ihipStream_tbEUlT_E0_NS1_11comp_targetILNS1_3genE2ELNS1_11target_archE906ELNS1_3gpuE6ELNS1_3repE0EEENS1_52radix_sort_onesweep_histogram_config_static_selectorELNS0_4arch9wavefront6targetE1EEEvSG_
	.p2align	8
	.type	_ZN7rocprim17ROCPRIM_400000_NS6detail17trampoline_kernelINS0_14default_configENS1_35radix_sort_onesweep_config_selectorIiiEEZNS1_34radix_sort_onesweep_global_offsetsIS3_Lb0EN6thrust23THRUST_200600_302600_NS6detail15normal_iteratorINS8_10device_ptrIiEEEESD_jNS0_19identity_decomposerEEE10hipError_tT1_T2_PT3_SI_jT4_jjP12ihipStream_tbEUlT_E0_NS1_11comp_targetILNS1_3genE2ELNS1_11target_archE906ELNS1_3gpuE6ELNS1_3repE0EEENS1_52radix_sort_onesweep_histogram_config_static_selectorELNS0_4arch9wavefront6targetE1EEEvSG_,@function
_ZN7rocprim17ROCPRIM_400000_NS6detail17trampoline_kernelINS0_14default_configENS1_35radix_sort_onesweep_config_selectorIiiEEZNS1_34radix_sort_onesweep_global_offsetsIS3_Lb0EN6thrust23THRUST_200600_302600_NS6detail15normal_iteratorINS8_10device_ptrIiEEEESD_jNS0_19identity_decomposerEEE10hipError_tT1_T2_PT3_SI_jT4_jjP12ihipStream_tbEUlT_E0_NS1_11comp_targetILNS1_3genE2ELNS1_11target_archE906ELNS1_3gpuE6ELNS1_3repE0EEENS1_52radix_sort_onesweep_histogram_config_static_selectorELNS0_4arch9wavefront6targetE1EEEvSG_: ; @_ZN7rocprim17ROCPRIM_400000_NS6detail17trampoline_kernelINS0_14default_configENS1_35radix_sort_onesweep_config_selectorIiiEEZNS1_34radix_sort_onesweep_global_offsetsIS3_Lb0EN6thrust23THRUST_200600_302600_NS6detail15normal_iteratorINS8_10device_ptrIiEEEESD_jNS0_19identity_decomposerEEE10hipError_tT1_T2_PT3_SI_jT4_jjP12ihipStream_tbEUlT_E0_NS1_11comp_targetILNS1_3genE2ELNS1_11target_archE906ELNS1_3gpuE6ELNS1_3repE0EEENS1_52radix_sort_onesweep_histogram_config_static_selectorELNS0_4arch9wavefront6targetE1EEEvSG_
; %bb.0:
	.section	.rodata,"a",@progbits
	.p2align	6, 0x0
	.amdhsa_kernel _ZN7rocprim17ROCPRIM_400000_NS6detail17trampoline_kernelINS0_14default_configENS1_35radix_sort_onesweep_config_selectorIiiEEZNS1_34radix_sort_onesweep_global_offsetsIS3_Lb0EN6thrust23THRUST_200600_302600_NS6detail15normal_iteratorINS8_10device_ptrIiEEEESD_jNS0_19identity_decomposerEEE10hipError_tT1_T2_PT3_SI_jT4_jjP12ihipStream_tbEUlT_E0_NS1_11comp_targetILNS1_3genE2ELNS1_11target_archE906ELNS1_3gpuE6ELNS1_3repE0EEENS1_52radix_sort_onesweep_histogram_config_static_selectorELNS0_4arch9wavefront6targetE1EEEvSG_
		.amdhsa_group_segment_fixed_size 0
		.amdhsa_private_segment_fixed_size 0
		.amdhsa_kernarg_size 8
		.amdhsa_user_sgpr_count 2
		.amdhsa_user_sgpr_dispatch_ptr 0
		.amdhsa_user_sgpr_queue_ptr 0
		.amdhsa_user_sgpr_kernarg_segment_ptr 1
		.amdhsa_user_sgpr_dispatch_id 0
		.amdhsa_user_sgpr_kernarg_preload_length 0
		.amdhsa_user_sgpr_kernarg_preload_offset 0
		.amdhsa_user_sgpr_private_segment_size 0
		.amdhsa_uses_dynamic_stack 0
		.amdhsa_enable_private_segment 0
		.amdhsa_system_sgpr_workgroup_id_x 1
		.amdhsa_system_sgpr_workgroup_id_y 0
		.amdhsa_system_sgpr_workgroup_id_z 0
		.amdhsa_system_sgpr_workgroup_info 0
		.amdhsa_system_vgpr_workitem_id 0
		.amdhsa_next_free_vgpr 1
		.amdhsa_next_free_sgpr 0
		.amdhsa_accum_offset 4
		.amdhsa_reserve_vcc 0
		.amdhsa_float_round_mode_32 0
		.amdhsa_float_round_mode_16_64 0
		.amdhsa_float_denorm_mode_32 3
		.amdhsa_float_denorm_mode_16_64 3
		.amdhsa_dx10_clamp 1
		.amdhsa_ieee_mode 1
		.amdhsa_fp16_overflow 0
		.amdhsa_tg_split 0
		.amdhsa_exception_fp_ieee_invalid_op 0
		.amdhsa_exception_fp_denorm_src 0
		.amdhsa_exception_fp_ieee_div_zero 0
		.amdhsa_exception_fp_ieee_overflow 0
		.amdhsa_exception_fp_ieee_underflow 0
		.amdhsa_exception_fp_ieee_inexact 0
		.amdhsa_exception_int_div_zero 0
	.end_amdhsa_kernel
	.section	.text._ZN7rocprim17ROCPRIM_400000_NS6detail17trampoline_kernelINS0_14default_configENS1_35radix_sort_onesweep_config_selectorIiiEEZNS1_34radix_sort_onesweep_global_offsetsIS3_Lb0EN6thrust23THRUST_200600_302600_NS6detail15normal_iteratorINS8_10device_ptrIiEEEESD_jNS0_19identity_decomposerEEE10hipError_tT1_T2_PT3_SI_jT4_jjP12ihipStream_tbEUlT_E0_NS1_11comp_targetILNS1_3genE2ELNS1_11target_archE906ELNS1_3gpuE6ELNS1_3repE0EEENS1_52radix_sort_onesweep_histogram_config_static_selectorELNS0_4arch9wavefront6targetE1EEEvSG_,"axG",@progbits,_ZN7rocprim17ROCPRIM_400000_NS6detail17trampoline_kernelINS0_14default_configENS1_35radix_sort_onesweep_config_selectorIiiEEZNS1_34radix_sort_onesweep_global_offsetsIS3_Lb0EN6thrust23THRUST_200600_302600_NS6detail15normal_iteratorINS8_10device_ptrIiEEEESD_jNS0_19identity_decomposerEEE10hipError_tT1_T2_PT3_SI_jT4_jjP12ihipStream_tbEUlT_E0_NS1_11comp_targetILNS1_3genE2ELNS1_11target_archE906ELNS1_3gpuE6ELNS1_3repE0EEENS1_52radix_sort_onesweep_histogram_config_static_selectorELNS0_4arch9wavefront6targetE1EEEvSG_,comdat
.Lfunc_end1404:
	.size	_ZN7rocprim17ROCPRIM_400000_NS6detail17trampoline_kernelINS0_14default_configENS1_35radix_sort_onesweep_config_selectorIiiEEZNS1_34radix_sort_onesweep_global_offsetsIS3_Lb0EN6thrust23THRUST_200600_302600_NS6detail15normal_iteratorINS8_10device_ptrIiEEEESD_jNS0_19identity_decomposerEEE10hipError_tT1_T2_PT3_SI_jT4_jjP12ihipStream_tbEUlT_E0_NS1_11comp_targetILNS1_3genE2ELNS1_11target_archE906ELNS1_3gpuE6ELNS1_3repE0EEENS1_52radix_sort_onesweep_histogram_config_static_selectorELNS0_4arch9wavefront6targetE1EEEvSG_, .Lfunc_end1404-_ZN7rocprim17ROCPRIM_400000_NS6detail17trampoline_kernelINS0_14default_configENS1_35radix_sort_onesweep_config_selectorIiiEEZNS1_34radix_sort_onesweep_global_offsetsIS3_Lb0EN6thrust23THRUST_200600_302600_NS6detail15normal_iteratorINS8_10device_ptrIiEEEESD_jNS0_19identity_decomposerEEE10hipError_tT1_T2_PT3_SI_jT4_jjP12ihipStream_tbEUlT_E0_NS1_11comp_targetILNS1_3genE2ELNS1_11target_archE906ELNS1_3gpuE6ELNS1_3repE0EEENS1_52radix_sort_onesweep_histogram_config_static_selectorELNS0_4arch9wavefront6targetE1EEEvSG_
                                        ; -- End function
	.set _ZN7rocprim17ROCPRIM_400000_NS6detail17trampoline_kernelINS0_14default_configENS1_35radix_sort_onesweep_config_selectorIiiEEZNS1_34radix_sort_onesweep_global_offsetsIS3_Lb0EN6thrust23THRUST_200600_302600_NS6detail15normal_iteratorINS8_10device_ptrIiEEEESD_jNS0_19identity_decomposerEEE10hipError_tT1_T2_PT3_SI_jT4_jjP12ihipStream_tbEUlT_E0_NS1_11comp_targetILNS1_3genE2ELNS1_11target_archE906ELNS1_3gpuE6ELNS1_3repE0EEENS1_52radix_sort_onesweep_histogram_config_static_selectorELNS0_4arch9wavefront6targetE1EEEvSG_.num_vgpr, 0
	.set _ZN7rocprim17ROCPRIM_400000_NS6detail17trampoline_kernelINS0_14default_configENS1_35radix_sort_onesweep_config_selectorIiiEEZNS1_34radix_sort_onesweep_global_offsetsIS3_Lb0EN6thrust23THRUST_200600_302600_NS6detail15normal_iteratorINS8_10device_ptrIiEEEESD_jNS0_19identity_decomposerEEE10hipError_tT1_T2_PT3_SI_jT4_jjP12ihipStream_tbEUlT_E0_NS1_11comp_targetILNS1_3genE2ELNS1_11target_archE906ELNS1_3gpuE6ELNS1_3repE0EEENS1_52radix_sort_onesweep_histogram_config_static_selectorELNS0_4arch9wavefront6targetE1EEEvSG_.num_agpr, 0
	.set _ZN7rocprim17ROCPRIM_400000_NS6detail17trampoline_kernelINS0_14default_configENS1_35radix_sort_onesweep_config_selectorIiiEEZNS1_34radix_sort_onesweep_global_offsetsIS3_Lb0EN6thrust23THRUST_200600_302600_NS6detail15normal_iteratorINS8_10device_ptrIiEEEESD_jNS0_19identity_decomposerEEE10hipError_tT1_T2_PT3_SI_jT4_jjP12ihipStream_tbEUlT_E0_NS1_11comp_targetILNS1_3genE2ELNS1_11target_archE906ELNS1_3gpuE6ELNS1_3repE0EEENS1_52radix_sort_onesweep_histogram_config_static_selectorELNS0_4arch9wavefront6targetE1EEEvSG_.numbered_sgpr, 0
	.set _ZN7rocprim17ROCPRIM_400000_NS6detail17trampoline_kernelINS0_14default_configENS1_35radix_sort_onesweep_config_selectorIiiEEZNS1_34radix_sort_onesweep_global_offsetsIS3_Lb0EN6thrust23THRUST_200600_302600_NS6detail15normal_iteratorINS8_10device_ptrIiEEEESD_jNS0_19identity_decomposerEEE10hipError_tT1_T2_PT3_SI_jT4_jjP12ihipStream_tbEUlT_E0_NS1_11comp_targetILNS1_3genE2ELNS1_11target_archE906ELNS1_3gpuE6ELNS1_3repE0EEENS1_52radix_sort_onesweep_histogram_config_static_selectorELNS0_4arch9wavefront6targetE1EEEvSG_.num_named_barrier, 0
	.set _ZN7rocprim17ROCPRIM_400000_NS6detail17trampoline_kernelINS0_14default_configENS1_35radix_sort_onesweep_config_selectorIiiEEZNS1_34radix_sort_onesweep_global_offsetsIS3_Lb0EN6thrust23THRUST_200600_302600_NS6detail15normal_iteratorINS8_10device_ptrIiEEEESD_jNS0_19identity_decomposerEEE10hipError_tT1_T2_PT3_SI_jT4_jjP12ihipStream_tbEUlT_E0_NS1_11comp_targetILNS1_3genE2ELNS1_11target_archE906ELNS1_3gpuE6ELNS1_3repE0EEENS1_52radix_sort_onesweep_histogram_config_static_selectorELNS0_4arch9wavefront6targetE1EEEvSG_.private_seg_size, 0
	.set _ZN7rocprim17ROCPRIM_400000_NS6detail17trampoline_kernelINS0_14default_configENS1_35radix_sort_onesweep_config_selectorIiiEEZNS1_34radix_sort_onesweep_global_offsetsIS3_Lb0EN6thrust23THRUST_200600_302600_NS6detail15normal_iteratorINS8_10device_ptrIiEEEESD_jNS0_19identity_decomposerEEE10hipError_tT1_T2_PT3_SI_jT4_jjP12ihipStream_tbEUlT_E0_NS1_11comp_targetILNS1_3genE2ELNS1_11target_archE906ELNS1_3gpuE6ELNS1_3repE0EEENS1_52radix_sort_onesweep_histogram_config_static_selectorELNS0_4arch9wavefront6targetE1EEEvSG_.uses_vcc, 0
	.set _ZN7rocprim17ROCPRIM_400000_NS6detail17trampoline_kernelINS0_14default_configENS1_35radix_sort_onesweep_config_selectorIiiEEZNS1_34radix_sort_onesweep_global_offsetsIS3_Lb0EN6thrust23THRUST_200600_302600_NS6detail15normal_iteratorINS8_10device_ptrIiEEEESD_jNS0_19identity_decomposerEEE10hipError_tT1_T2_PT3_SI_jT4_jjP12ihipStream_tbEUlT_E0_NS1_11comp_targetILNS1_3genE2ELNS1_11target_archE906ELNS1_3gpuE6ELNS1_3repE0EEENS1_52radix_sort_onesweep_histogram_config_static_selectorELNS0_4arch9wavefront6targetE1EEEvSG_.uses_flat_scratch, 0
	.set _ZN7rocprim17ROCPRIM_400000_NS6detail17trampoline_kernelINS0_14default_configENS1_35radix_sort_onesweep_config_selectorIiiEEZNS1_34radix_sort_onesweep_global_offsetsIS3_Lb0EN6thrust23THRUST_200600_302600_NS6detail15normal_iteratorINS8_10device_ptrIiEEEESD_jNS0_19identity_decomposerEEE10hipError_tT1_T2_PT3_SI_jT4_jjP12ihipStream_tbEUlT_E0_NS1_11comp_targetILNS1_3genE2ELNS1_11target_archE906ELNS1_3gpuE6ELNS1_3repE0EEENS1_52radix_sort_onesweep_histogram_config_static_selectorELNS0_4arch9wavefront6targetE1EEEvSG_.has_dyn_sized_stack, 0
	.set _ZN7rocprim17ROCPRIM_400000_NS6detail17trampoline_kernelINS0_14default_configENS1_35radix_sort_onesweep_config_selectorIiiEEZNS1_34radix_sort_onesweep_global_offsetsIS3_Lb0EN6thrust23THRUST_200600_302600_NS6detail15normal_iteratorINS8_10device_ptrIiEEEESD_jNS0_19identity_decomposerEEE10hipError_tT1_T2_PT3_SI_jT4_jjP12ihipStream_tbEUlT_E0_NS1_11comp_targetILNS1_3genE2ELNS1_11target_archE906ELNS1_3gpuE6ELNS1_3repE0EEENS1_52radix_sort_onesweep_histogram_config_static_selectorELNS0_4arch9wavefront6targetE1EEEvSG_.has_recursion, 0
	.set _ZN7rocprim17ROCPRIM_400000_NS6detail17trampoline_kernelINS0_14default_configENS1_35radix_sort_onesweep_config_selectorIiiEEZNS1_34radix_sort_onesweep_global_offsetsIS3_Lb0EN6thrust23THRUST_200600_302600_NS6detail15normal_iteratorINS8_10device_ptrIiEEEESD_jNS0_19identity_decomposerEEE10hipError_tT1_T2_PT3_SI_jT4_jjP12ihipStream_tbEUlT_E0_NS1_11comp_targetILNS1_3genE2ELNS1_11target_archE906ELNS1_3gpuE6ELNS1_3repE0EEENS1_52radix_sort_onesweep_histogram_config_static_selectorELNS0_4arch9wavefront6targetE1EEEvSG_.has_indirect_call, 0
	.section	.AMDGPU.csdata,"",@progbits
; Kernel info:
; codeLenInByte = 0
; TotalNumSgprs: 6
; NumVgprs: 0
; NumAgprs: 0
; TotalNumVgprs: 0
; ScratchSize: 0
; MemoryBound: 0
; FloatMode: 240
; IeeeMode: 1
; LDSByteSize: 0 bytes/workgroup (compile time only)
; SGPRBlocks: 0
; VGPRBlocks: 0
; NumSGPRsForWavesPerEU: 6
; NumVGPRsForWavesPerEU: 1
; AccumOffset: 4
; Occupancy: 8
; WaveLimiterHint : 0
; COMPUTE_PGM_RSRC2:SCRATCH_EN: 0
; COMPUTE_PGM_RSRC2:USER_SGPR: 2
; COMPUTE_PGM_RSRC2:TRAP_HANDLER: 0
; COMPUTE_PGM_RSRC2:TGID_X_EN: 1
; COMPUTE_PGM_RSRC2:TGID_Y_EN: 0
; COMPUTE_PGM_RSRC2:TGID_Z_EN: 0
; COMPUTE_PGM_RSRC2:TIDIG_COMP_CNT: 0
; COMPUTE_PGM_RSRC3_GFX90A:ACCUM_OFFSET: 0
; COMPUTE_PGM_RSRC3_GFX90A:TG_SPLIT: 0
	.section	.text._ZN7rocprim17ROCPRIM_400000_NS6detail17trampoline_kernelINS0_14default_configENS1_35radix_sort_onesweep_config_selectorIiiEEZNS1_34radix_sort_onesweep_global_offsetsIS3_Lb0EN6thrust23THRUST_200600_302600_NS6detail15normal_iteratorINS8_10device_ptrIiEEEESD_jNS0_19identity_decomposerEEE10hipError_tT1_T2_PT3_SI_jT4_jjP12ihipStream_tbEUlT_E0_NS1_11comp_targetILNS1_3genE4ELNS1_11target_archE910ELNS1_3gpuE8ELNS1_3repE0EEENS1_52radix_sort_onesweep_histogram_config_static_selectorELNS0_4arch9wavefront6targetE1EEEvSG_,"axG",@progbits,_ZN7rocprim17ROCPRIM_400000_NS6detail17trampoline_kernelINS0_14default_configENS1_35radix_sort_onesweep_config_selectorIiiEEZNS1_34radix_sort_onesweep_global_offsetsIS3_Lb0EN6thrust23THRUST_200600_302600_NS6detail15normal_iteratorINS8_10device_ptrIiEEEESD_jNS0_19identity_decomposerEEE10hipError_tT1_T2_PT3_SI_jT4_jjP12ihipStream_tbEUlT_E0_NS1_11comp_targetILNS1_3genE4ELNS1_11target_archE910ELNS1_3gpuE8ELNS1_3repE0EEENS1_52radix_sort_onesweep_histogram_config_static_selectorELNS0_4arch9wavefront6targetE1EEEvSG_,comdat
	.protected	_ZN7rocprim17ROCPRIM_400000_NS6detail17trampoline_kernelINS0_14default_configENS1_35radix_sort_onesweep_config_selectorIiiEEZNS1_34radix_sort_onesweep_global_offsetsIS3_Lb0EN6thrust23THRUST_200600_302600_NS6detail15normal_iteratorINS8_10device_ptrIiEEEESD_jNS0_19identity_decomposerEEE10hipError_tT1_T2_PT3_SI_jT4_jjP12ihipStream_tbEUlT_E0_NS1_11comp_targetILNS1_3genE4ELNS1_11target_archE910ELNS1_3gpuE8ELNS1_3repE0EEENS1_52radix_sort_onesweep_histogram_config_static_selectorELNS0_4arch9wavefront6targetE1EEEvSG_ ; -- Begin function _ZN7rocprim17ROCPRIM_400000_NS6detail17trampoline_kernelINS0_14default_configENS1_35radix_sort_onesweep_config_selectorIiiEEZNS1_34radix_sort_onesweep_global_offsetsIS3_Lb0EN6thrust23THRUST_200600_302600_NS6detail15normal_iteratorINS8_10device_ptrIiEEEESD_jNS0_19identity_decomposerEEE10hipError_tT1_T2_PT3_SI_jT4_jjP12ihipStream_tbEUlT_E0_NS1_11comp_targetILNS1_3genE4ELNS1_11target_archE910ELNS1_3gpuE8ELNS1_3repE0EEENS1_52radix_sort_onesweep_histogram_config_static_selectorELNS0_4arch9wavefront6targetE1EEEvSG_
	.globl	_ZN7rocprim17ROCPRIM_400000_NS6detail17trampoline_kernelINS0_14default_configENS1_35radix_sort_onesweep_config_selectorIiiEEZNS1_34radix_sort_onesweep_global_offsetsIS3_Lb0EN6thrust23THRUST_200600_302600_NS6detail15normal_iteratorINS8_10device_ptrIiEEEESD_jNS0_19identity_decomposerEEE10hipError_tT1_T2_PT3_SI_jT4_jjP12ihipStream_tbEUlT_E0_NS1_11comp_targetILNS1_3genE4ELNS1_11target_archE910ELNS1_3gpuE8ELNS1_3repE0EEENS1_52radix_sort_onesweep_histogram_config_static_selectorELNS0_4arch9wavefront6targetE1EEEvSG_
	.p2align	8
	.type	_ZN7rocprim17ROCPRIM_400000_NS6detail17trampoline_kernelINS0_14default_configENS1_35radix_sort_onesweep_config_selectorIiiEEZNS1_34radix_sort_onesweep_global_offsetsIS3_Lb0EN6thrust23THRUST_200600_302600_NS6detail15normal_iteratorINS8_10device_ptrIiEEEESD_jNS0_19identity_decomposerEEE10hipError_tT1_T2_PT3_SI_jT4_jjP12ihipStream_tbEUlT_E0_NS1_11comp_targetILNS1_3genE4ELNS1_11target_archE910ELNS1_3gpuE8ELNS1_3repE0EEENS1_52radix_sort_onesweep_histogram_config_static_selectorELNS0_4arch9wavefront6targetE1EEEvSG_,@function
_ZN7rocprim17ROCPRIM_400000_NS6detail17trampoline_kernelINS0_14default_configENS1_35radix_sort_onesweep_config_selectorIiiEEZNS1_34radix_sort_onesweep_global_offsetsIS3_Lb0EN6thrust23THRUST_200600_302600_NS6detail15normal_iteratorINS8_10device_ptrIiEEEESD_jNS0_19identity_decomposerEEE10hipError_tT1_T2_PT3_SI_jT4_jjP12ihipStream_tbEUlT_E0_NS1_11comp_targetILNS1_3genE4ELNS1_11target_archE910ELNS1_3gpuE8ELNS1_3repE0EEENS1_52radix_sort_onesweep_histogram_config_static_selectorELNS0_4arch9wavefront6targetE1EEEvSG_: ; @_ZN7rocprim17ROCPRIM_400000_NS6detail17trampoline_kernelINS0_14default_configENS1_35radix_sort_onesweep_config_selectorIiiEEZNS1_34radix_sort_onesweep_global_offsetsIS3_Lb0EN6thrust23THRUST_200600_302600_NS6detail15normal_iteratorINS8_10device_ptrIiEEEESD_jNS0_19identity_decomposerEEE10hipError_tT1_T2_PT3_SI_jT4_jjP12ihipStream_tbEUlT_E0_NS1_11comp_targetILNS1_3genE4ELNS1_11target_archE910ELNS1_3gpuE8ELNS1_3repE0EEENS1_52radix_sort_onesweep_histogram_config_static_selectorELNS0_4arch9wavefront6targetE1EEEvSG_
; %bb.0:
	.section	.rodata,"a",@progbits
	.p2align	6, 0x0
	.amdhsa_kernel _ZN7rocprim17ROCPRIM_400000_NS6detail17trampoline_kernelINS0_14default_configENS1_35radix_sort_onesweep_config_selectorIiiEEZNS1_34radix_sort_onesweep_global_offsetsIS3_Lb0EN6thrust23THRUST_200600_302600_NS6detail15normal_iteratorINS8_10device_ptrIiEEEESD_jNS0_19identity_decomposerEEE10hipError_tT1_T2_PT3_SI_jT4_jjP12ihipStream_tbEUlT_E0_NS1_11comp_targetILNS1_3genE4ELNS1_11target_archE910ELNS1_3gpuE8ELNS1_3repE0EEENS1_52radix_sort_onesweep_histogram_config_static_selectorELNS0_4arch9wavefront6targetE1EEEvSG_
		.amdhsa_group_segment_fixed_size 0
		.amdhsa_private_segment_fixed_size 0
		.amdhsa_kernarg_size 8
		.amdhsa_user_sgpr_count 2
		.amdhsa_user_sgpr_dispatch_ptr 0
		.amdhsa_user_sgpr_queue_ptr 0
		.amdhsa_user_sgpr_kernarg_segment_ptr 1
		.amdhsa_user_sgpr_dispatch_id 0
		.amdhsa_user_sgpr_kernarg_preload_length 0
		.amdhsa_user_sgpr_kernarg_preload_offset 0
		.amdhsa_user_sgpr_private_segment_size 0
		.amdhsa_uses_dynamic_stack 0
		.amdhsa_enable_private_segment 0
		.amdhsa_system_sgpr_workgroup_id_x 1
		.amdhsa_system_sgpr_workgroup_id_y 0
		.amdhsa_system_sgpr_workgroup_id_z 0
		.amdhsa_system_sgpr_workgroup_info 0
		.amdhsa_system_vgpr_workitem_id 0
		.amdhsa_next_free_vgpr 1
		.amdhsa_next_free_sgpr 0
		.amdhsa_accum_offset 4
		.amdhsa_reserve_vcc 0
		.amdhsa_float_round_mode_32 0
		.amdhsa_float_round_mode_16_64 0
		.amdhsa_float_denorm_mode_32 3
		.amdhsa_float_denorm_mode_16_64 3
		.amdhsa_dx10_clamp 1
		.amdhsa_ieee_mode 1
		.amdhsa_fp16_overflow 0
		.amdhsa_tg_split 0
		.amdhsa_exception_fp_ieee_invalid_op 0
		.amdhsa_exception_fp_denorm_src 0
		.amdhsa_exception_fp_ieee_div_zero 0
		.amdhsa_exception_fp_ieee_overflow 0
		.amdhsa_exception_fp_ieee_underflow 0
		.amdhsa_exception_fp_ieee_inexact 0
		.amdhsa_exception_int_div_zero 0
	.end_amdhsa_kernel
	.section	.text._ZN7rocprim17ROCPRIM_400000_NS6detail17trampoline_kernelINS0_14default_configENS1_35radix_sort_onesweep_config_selectorIiiEEZNS1_34radix_sort_onesweep_global_offsetsIS3_Lb0EN6thrust23THRUST_200600_302600_NS6detail15normal_iteratorINS8_10device_ptrIiEEEESD_jNS0_19identity_decomposerEEE10hipError_tT1_T2_PT3_SI_jT4_jjP12ihipStream_tbEUlT_E0_NS1_11comp_targetILNS1_3genE4ELNS1_11target_archE910ELNS1_3gpuE8ELNS1_3repE0EEENS1_52radix_sort_onesweep_histogram_config_static_selectorELNS0_4arch9wavefront6targetE1EEEvSG_,"axG",@progbits,_ZN7rocprim17ROCPRIM_400000_NS6detail17trampoline_kernelINS0_14default_configENS1_35radix_sort_onesweep_config_selectorIiiEEZNS1_34radix_sort_onesweep_global_offsetsIS3_Lb0EN6thrust23THRUST_200600_302600_NS6detail15normal_iteratorINS8_10device_ptrIiEEEESD_jNS0_19identity_decomposerEEE10hipError_tT1_T2_PT3_SI_jT4_jjP12ihipStream_tbEUlT_E0_NS1_11comp_targetILNS1_3genE4ELNS1_11target_archE910ELNS1_3gpuE8ELNS1_3repE0EEENS1_52radix_sort_onesweep_histogram_config_static_selectorELNS0_4arch9wavefront6targetE1EEEvSG_,comdat
.Lfunc_end1405:
	.size	_ZN7rocprim17ROCPRIM_400000_NS6detail17trampoline_kernelINS0_14default_configENS1_35radix_sort_onesweep_config_selectorIiiEEZNS1_34radix_sort_onesweep_global_offsetsIS3_Lb0EN6thrust23THRUST_200600_302600_NS6detail15normal_iteratorINS8_10device_ptrIiEEEESD_jNS0_19identity_decomposerEEE10hipError_tT1_T2_PT3_SI_jT4_jjP12ihipStream_tbEUlT_E0_NS1_11comp_targetILNS1_3genE4ELNS1_11target_archE910ELNS1_3gpuE8ELNS1_3repE0EEENS1_52radix_sort_onesweep_histogram_config_static_selectorELNS0_4arch9wavefront6targetE1EEEvSG_, .Lfunc_end1405-_ZN7rocprim17ROCPRIM_400000_NS6detail17trampoline_kernelINS0_14default_configENS1_35radix_sort_onesweep_config_selectorIiiEEZNS1_34radix_sort_onesweep_global_offsetsIS3_Lb0EN6thrust23THRUST_200600_302600_NS6detail15normal_iteratorINS8_10device_ptrIiEEEESD_jNS0_19identity_decomposerEEE10hipError_tT1_T2_PT3_SI_jT4_jjP12ihipStream_tbEUlT_E0_NS1_11comp_targetILNS1_3genE4ELNS1_11target_archE910ELNS1_3gpuE8ELNS1_3repE0EEENS1_52radix_sort_onesweep_histogram_config_static_selectorELNS0_4arch9wavefront6targetE1EEEvSG_
                                        ; -- End function
	.set _ZN7rocprim17ROCPRIM_400000_NS6detail17trampoline_kernelINS0_14default_configENS1_35radix_sort_onesweep_config_selectorIiiEEZNS1_34radix_sort_onesweep_global_offsetsIS3_Lb0EN6thrust23THRUST_200600_302600_NS6detail15normal_iteratorINS8_10device_ptrIiEEEESD_jNS0_19identity_decomposerEEE10hipError_tT1_T2_PT3_SI_jT4_jjP12ihipStream_tbEUlT_E0_NS1_11comp_targetILNS1_3genE4ELNS1_11target_archE910ELNS1_3gpuE8ELNS1_3repE0EEENS1_52radix_sort_onesweep_histogram_config_static_selectorELNS0_4arch9wavefront6targetE1EEEvSG_.num_vgpr, 0
	.set _ZN7rocprim17ROCPRIM_400000_NS6detail17trampoline_kernelINS0_14default_configENS1_35radix_sort_onesweep_config_selectorIiiEEZNS1_34radix_sort_onesweep_global_offsetsIS3_Lb0EN6thrust23THRUST_200600_302600_NS6detail15normal_iteratorINS8_10device_ptrIiEEEESD_jNS0_19identity_decomposerEEE10hipError_tT1_T2_PT3_SI_jT4_jjP12ihipStream_tbEUlT_E0_NS1_11comp_targetILNS1_3genE4ELNS1_11target_archE910ELNS1_3gpuE8ELNS1_3repE0EEENS1_52radix_sort_onesweep_histogram_config_static_selectorELNS0_4arch9wavefront6targetE1EEEvSG_.num_agpr, 0
	.set _ZN7rocprim17ROCPRIM_400000_NS6detail17trampoline_kernelINS0_14default_configENS1_35radix_sort_onesweep_config_selectorIiiEEZNS1_34radix_sort_onesweep_global_offsetsIS3_Lb0EN6thrust23THRUST_200600_302600_NS6detail15normal_iteratorINS8_10device_ptrIiEEEESD_jNS0_19identity_decomposerEEE10hipError_tT1_T2_PT3_SI_jT4_jjP12ihipStream_tbEUlT_E0_NS1_11comp_targetILNS1_3genE4ELNS1_11target_archE910ELNS1_3gpuE8ELNS1_3repE0EEENS1_52radix_sort_onesweep_histogram_config_static_selectorELNS0_4arch9wavefront6targetE1EEEvSG_.numbered_sgpr, 0
	.set _ZN7rocprim17ROCPRIM_400000_NS6detail17trampoline_kernelINS0_14default_configENS1_35radix_sort_onesweep_config_selectorIiiEEZNS1_34radix_sort_onesweep_global_offsetsIS3_Lb0EN6thrust23THRUST_200600_302600_NS6detail15normal_iteratorINS8_10device_ptrIiEEEESD_jNS0_19identity_decomposerEEE10hipError_tT1_T2_PT3_SI_jT4_jjP12ihipStream_tbEUlT_E0_NS1_11comp_targetILNS1_3genE4ELNS1_11target_archE910ELNS1_3gpuE8ELNS1_3repE0EEENS1_52radix_sort_onesweep_histogram_config_static_selectorELNS0_4arch9wavefront6targetE1EEEvSG_.num_named_barrier, 0
	.set _ZN7rocprim17ROCPRIM_400000_NS6detail17trampoline_kernelINS0_14default_configENS1_35radix_sort_onesweep_config_selectorIiiEEZNS1_34radix_sort_onesweep_global_offsetsIS3_Lb0EN6thrust23THRUST_200600_302600_NS6detail15normal_iteratorINS8_10device_ptrIiEEEESD_jNS0_19identity_decomposerEEE10hipError_tT1_T2_PT3_SI_jT4_jjP12ihipStream_tbEUlT_E0_NS1_11comp_targetILNS1_3genE4ELNS1_11target_archE910ELNS1_3gpuE8ELNS1_3repE0EEENS1_52radix_sort_onesweep_histogram_config_static_selectorELNS0_4arch9wavefront6targetE1EEEvSG_.private_seg_size, 0
	.set _ZN7rocprim17ROCPRIM_400000_NS6detail17trampoline_kernelINS0_14default_configENS1_35radix_sort_onesweep_config_selectorIiiEEZNS1_34radix_sort_onesweep_global_offsetsIS3_Lb0EN6thrust23THRUST_200600_302600_NS6detail15normal_iteratorINS8_10device_ptrIiEEEESD_jNS0_19identity_decomposerEEE10hipError_tT1_T2_PT3_SI_jT4_jjP12ihipStream_tbEUlT_E0_NS1_11comp_targetILNS1_3genE4ELNS1_11target_archE910ELNS1_3gpuE8ELNS1_3repE0EEENS1_52radix_sort_onesweep_histogram_config_static_selectorELNS0_4arch9wavefront6targetE1EEEvSG_.uses_vcc, 0
	.set _ZN7rocprim17ROCPRIM_400000_NS6detail17trampoline_kernelINS0_14default_configENS1_35radix_sort_onesweep_config_selectorIiiEEZNS1_34radix_sort_onesweep_global_offsetsIS3_Lb0EN6thrust23THRUST_200600_302600_NS6detail15normal_iteratorINS8_10device_ptrIiEEEESD_jNS0_19identity_decomposerEEE10hipError_tT1_T2_PT3_SI_jT4_jjP12ihipStream_tbEUlT_E0_NS1_11comp_targetILNS1_3genE4ELNS1_11target_archE910ELNS1_3gpuE8ELNS1_3repE0EEENS1_52radix_sort_onesweep_histogram_config_static_selectorELNS0_4arch9wavefront6targetE1EEEvSG_.uses_flat_scratch, 0
	.set _ZN7rocprim17ROCPRIM_400000_NS6detail17trampoline_kernelINS0_14default_configENS1_35radix_sort_onesweep_config_selectorIiiEEZNS1_34radix_sort_onesweep_global_offsetsIS3_Lb0EN6thrust23THRUST_200600_302600_NS6detail15normal_iteratorINS8_10device_ptrIiEEEESD_jNS0_19identity_decomposerEEE10hipError_tT1_T2_PT3_SI_jT4_jjP12ihipStream_tbEUlT_E0_NS1_11comp_targetILNS1_3genE4ELNS1_11target_archE910ELNS1_3gpuE8ELNS1_3repE0EEENS1_52radix_sort_onesweep_histogram_config_static_selectorELNS0_4arch9wavefront6targetE1EEEvSG_.has_dyn_sized_stack, 0
	.set _ZN7rocprim17ROCPRIM_400000_NS6detail17trampoline_kernelINS0_14default_configENS1_35radix_sort_onesweep_config_selectorIiiEEZNS1_34radix_sort_onesweep_global_offsetsIS3_Lb0EN6thrust23THRUST_200600_302600_NS6detail15normal_iteratorINS8_10device_ptrIiEEEESD_jNS0_19identity_decomposerEEE10hipError_tT1_T2_PT3_SI_jT4_jjP12ihipStream_tbEUlT_E0_NS1_11comp_targetILNS1_3genE4ELNS1_11target_archE910ELNS1_3gpuE8ELNS1_3repE0EEENS1_52radix_sort_onesweep_histogram_config_static_selectorELNS0_4arch9wavefront6targetE1EEEvSG_.has_recursion, 0
	.set _ZN7rocprim17ROCPRIM_400000_NS6detail17trampoline_kernelINS0_14default_configENS1_35radix_sort_onesweep_config_selectorIiiEEZNS1_34radix_sort_onesweep_global_offsetsIS3_Lb0EN6thrust23THRUST_200600_302600_NS6detail15normal_iteratorINS8_10device_ptrIiEEEESD_jNS0_19identity_decomposerEEE10hipError_tT1_T2_PT3_SI_jT4_jjP12ihipStream_tbEUlT_E0_NS1_11comp_targetILNS1_3genE4ELNS1_11target_archE910ELNS1_3gpuE8ELNS1_3repE0EEENS1_52radix_sort_onesweep_histogram_config_static_selectorELNS0_4arch9wavefront6targetE1EEEvSG_.has_indirect_call, 0
	.section	.AMDGPU.csdata,"",@progbits
; Kernel info:
; codeLenInByte = 0
; TotalNumSgprs: 6
; NumVgprs: 0
; NumAgprs: 0
; TotalNumVgprs: 0
; ScratchSize: 0
; MemoryBound: 0
; FloatMode: 240
; IeeeMode: 1
; LDSByteSize: 0 bytes/workgroup (compile time only)
; SGPRBlocks: 0
; VGPRBlocks: 0
; NumSGPRsForWavesPerEU: 6
; NumVGPRsForWavesPerEU: 1
; AccumOffset: 4
; Occupancy: 8
; WaveLimiterHint : 0
; COMPUTE_PGM_RSRC2:SCRATCH_EN: 0
; COMPUTE_PGM_RSRC2:USER_SGPR: 2
; COMPUTE_PGM_RSRC2:TRAP_HANDLER: 0
; COMPUTE_PGM_RSRC2:TGID_X_EN: 1
; COMPUTE_PGM_RSRC2:TGID_Y_EN: 0
; COMPUTE_PGM_RSRC2:TGID_Z_EN: 0
; COMPUTE_PGM_RSRC2:TIDIG_COMP_CNT: 0
; COMPUTE_PGM_RSRC3_GFX90A:ACCUM_OFFSET: 0
; COMPUTE_PGM_RSRC3_GFX90A:TG_SPLIT: 0
	.section	.text._ZN7rocprim17ROCPRIM_400000_NS6detail17trampoline_kernelINS0_14default_configENS1_35radix_sort_onesweep_config_selectorIiiEEZNS1_34radix_sort_onesweep_global_offsetsIS3_Lb0EN6thrust23THRUST_200600_302600_NS6detail15normal_iteratorINS8_10device_ptrIiEEEESD_jNS0_19identity_decomposerEEE10hipError_tT1_T2_PT3_SI_jT4_jjP12ihipStream_tbEUlT_E0_NS1_11comp_targetILNS1_3genE3ELNS1_11target_archE908ELNS1_3gpuE7ELNS1_3repE0EEENS1_52radix_sort_onesweep_histogram_config_static_selectorELNS0_4arch9wavefront6targetE1EEEvSG_,"axG",@progbits,_ZN7rocprim17ROCPRIM_400000_NS6detail17trampoline_kernelINS0_14default_configENS1_35radix_sort_onesweep_config_selectorIiiEEZNS1_34radix_sort_onesweep_global_offsetsIS3_Lb0EN6thrust23THRUST_200600_302600_NS6detail15normal_iteratorINS8_10device_ptrIiEEEESD_jNS0_19identity_decomposerEEE10hipError_tT1_T2_PT3_SI_jT4_jjP12ihipStream_tbEUlT_E0_NS1_11comp_targetILNS1_3genE3ELNS1_11target_archE908ELNS1_3gpuE7ELNS1_3repE0EEENS1_52radix_sort_onesweep_histogram_config_static_selectorELNS0_4arch9wavefront6targetE1EEEvSG_,comdat
	.protected	_ZN7rocprim17ROCPRIM_400000_NS6detail17trampoline_kernelINS0_14default_configENS1_35radix_sort_onesweep_config_selectorIiiEEZNS1_34radix_sort_onesweep_global_offsetsIS3_Lb0EN6thrust23THRUST_200600_302600_NS6detail15normal_iteratorINS8_10device_ptrIiEEEESD_jNS0_19identity_decomposerEEE10hipError_tT1_T2_PT3_SI_jT4_jjP12ihipStream_tbEUlT_E0_NS1_11comp_targetILNS1_3genE3ELNS1_11target_archE908ELNS1_3gpuE7ELNS1_3repE0EEENS1_52radix_sort_onesweep_histogram_config_static_selectorELNS0_4arch9wavefront6targetE1EEEvSG_ ; -- Begin function _ZN7rocprim17ROCPRIM_400000_NS6detail17trampoline_kernelINS0_14default_configENS1_35radix_sort_onesweep_config_selectorIiiEEZNS1_34radix_sort_onesweep_global_offsetsIS3_Lb0EN6thrust23THRUST_200600_302600_NS6detail15normal_iteratorINS8_10device_ptrIiEEEESD_jNS0_19identity_decomposerEEE10hipError_tT1_T2_PT3_SI_jT4_jjP12ihipStream_tbEUlT_E0_NS1_11comp_targetILNS1_3genE3ELNS1_11target_archE908ELNS1_3gpuE7ELNS1_3repE0EEENS1_52radix_sort_onesweep_histogram_config_static_selectorELNS0_4arch9wavefront6targetE1EEEvSG_
	.globl	_ZN7rocprim17ROCPRIM_400000_NS6detail17trampoline_kernelINS0_14default_configENS1_35radix_sort_onesweep_config_selectorIiiEEZNS1_34radix_sort_onesweep_global_offsetsIS3_Lb0EN6thrust23THRUST_200600_302600_NS6detail15normal_iteratorINS8_10device_ptrIiEEEESD_jNS0_19identity_decomposerEEE10hipError_tT1_T2_PT3_SI_jT4_jjP12ihipStream_tbEUlT_E0_NS1_11comp_targetILNS1_3genE3ELNS1_11target_archE908ELNS1_3gpuE7ELNS1_3repE0EEENS1_52radix_sort_onesweep_histogram_config_static_selectorELNS0_4arch9wavefront6targetE1EEEvSG_
	.p2align	8
	.type	_ZN7rocprim17ROCPRIM_400000_NS6detail17trampoline_kernelINS0_14default_configENS1_35radix_sort_onesweep_config_selectorIiiEEZNS1_34radix_sort_onesweep_global_offsetsIS3_Lb0EN6thrust23THRUST_200600_302600_NS6detail15normal_iteratorINS8_10device_ptrIiEEEESD_jNS0_19identity_decomposerEEE10hipError_tT1_T2_PT3_SI_jT4_jjP12ihipStream_tbEUlT_E0_NS1_11comp_targetILNS1_3genE3ELNS1_11target_archE908ELNS1_3gpuE7ELNS1_3repE0EEENS1_52radix_sort_onesweep_histogram_config_static_selectorELNS0_4arch9wavefront6targetE1EEEvSG_,@function
_ZN7rocprim17ROCPRIM_400000_NS6detail17trampoline_kernelINS0_14default_configENS1_35radix_sort_onesweep_config_selectorIiiEEZNS1_34radix_sort_onesweep_global_offsetsIS3_Lb0EN6thrust23THRUST_200600_302600_NS6detail15normal_iteratorINS8_10device_ptrIiEEEESD_jNS0_19identity_decomposerEEE10hipError_tT1_T2_PT3_SI_jT4_jjP12ihipStream_tbEUlT_E0_NS1_11comp_targetILNS1_3genE3ELNS1_11target_archE908ELNS1_3gpuE7ELNS1_3repE0EEENS1_52radix_sort_onesweep_histogram_config_static_selectorELNS0_4arch9wavefront6targetE1EEEvSG_: ; @_ZN7rocprim17ROCPRIM_400000_NS6detail17trampoline_kernelINS0_14default_configENS1_35radix_sort_onesweep_config_selectorIiiEEZNS1_34radix_sort_onesweep_global_offsetsIS3_Lb0EN6thrust23THRUST_200600_302600_NS6detail15normal_iteratorINS8_10device_ptrIiEEEESD_jNS0_19identity_decomposerEEE10hipError_tT1_T2_PT3_SI_jT4_jjP12ihipStream_tbEUlT_E0_NS1_11comp_targetILNS1_3genE3ELNS1_11target_archE908ELNS1_3gpuE7ELNS1_3repE0EEENS1_52radix_sort_onesweep_histogram_config_static_selectorELNS0_4arch9wavefront6targetE1EEEvSG_
; %bb.0:
	.section	.rodata,"a",@progbits
	.p2align	6, 0x0
	.amdhsa_kernel _ZN7rocprim17ROCPRIM_400000_NS6detail17trampoline_kernelINS0_14default_configENS1_35radix_sort_onesweep_config_selectorIiiEEZNS1_34radix_sort_onesweep_global_offsetsIS3_Lb0EN6thrust23THRUST_200600_302600_NS6detail15normal_iteratorINS8_10device_ptrIiEEEESD_jNS0_19identity_decomposerEEE10hipError_tT1_T2_PT3_SI_jT4_jjP12ihipStream_tbEUlT_E0_NS1_11comp_targetILNS1_3genE3ELNS1_11target_archE908ELNS1_3gpuE7ELNS1_3repE0EEENS1_52radix_sort_onesweep_histogram_config_static_selectorELNS0_4arch9wavefront6targetE1EEEvSG_
		.amdhsa_group_segment_fixed_size 0
		.amdhsa_private_segment_fixed_size 0
		.amdhsa_kernarg_size 8
		.amdhsa_user_sgpr_count 2
		.amdhsa_user_sgpr_dispatch_ptr 0
		.amdhsa_user_sgpr_queue_ptr 0
		.amdhsa_user_sgpr_kernarg_segment_ptr 1
		.amdhsa_user_sgpr_dispatch_id 0
		.amdhsa_user_sgpr_kernarg_preload_length 0
		.amdhsa_user_sgpr_kernarg_preload_offset 0
		.amdhsa_user_sgpr_private_segment_size 0
		.amdhsa_uses_dynamic_stack 0
		.amdhsa_enable_private_segment 0
		.amdhsa_system_sgpr_workgroup_id_x 1
		.amdhsa_system_sgpr_workgroup_id_y 0
		.amdhsa_system_sgpr_workgroup_id_z 0
		.amdhsa_system_sgpr_workgroup_info 0
		.amdhsa_system_vgpr_workitem_id 0
		.amdhsa_next_free_vgpr 1
		.amdhsa_next_free_sgpr 0
		.amdhsa_accum_offset 4
		.amdhsa_reserve_vcc 0
		.amdhsa_float_round_mode_32 0
		.amdhsa_float_round_mode_16_64 0
		.amdhsa_float_denorm_mode_32 3
		.amdhsa_float_denorm_mode_16_64 3
		.amdhsa_dx10_clamp 1
		.amdhsa_ieee_mode 1
		.amdhsa_fp16_overflow 0
		.amdhsa_tg_split 0
		.amdhsa_exception_fp_ieee_invalid_op 0
		.amdhsa_exception_fp_denorm_src 0
		.amdhsa_exception_fp_ieee_div_zero 0
		.amdhsa_exception_fp_ieee_overflow 0
		.amdhsa_exception_fp_ieee_underflow 0
		.amdhsa_exception_fp_ieee_inexact 0
		.amdhsa_exception_int_div_zero 0
	.end_amdhsa_kernel
	.section	.text._ZN7rocprim17ROCPRIM_400000_NS6detail17trampoline_kernelINS0_14default_configENS1_35radix_sort_onesweep_config_selectorIiiEEZNS1_34radix_sort_onesweep_global_offsetsIS3_Lb0EN6thrust23THRUST_200600_302600_NS6detail15normal_iteratorINS8_10device_ptrIiEEEESD_jNS0_19identity_decomposerEEE10hipError_tT1_T2_PT3_SI_jT4_jjP12ihipStream_tbEUlT_E0_NS1_11comp_targetILNS1_3genE3ELNS1_11target_archE908ELNS1_3gpuE7ELNS1_3repE0EEENS1_52radix_sort_onesweep_histogram_config_static_selectorELNS0_4arch9wavefront6targetE1EEEvSG_,"axG",@progbits,_ZN7rocprim17ROCPRIM_400000_NS6detail17trampoline_kernelINS0_14default_configENS1_35radix_sort_onesweep_config_selectorIiiEEZNS1_34radix_sort_onesweep_global_offsetsIS3_Lb0EN6thrust23THRUST_200600_302600_NS6detail15normal_iteratorINS8_10device_ptrIiEEEESD_jNS0_19identity_decomposerEEE10hipError_tT1_T2_PT3_SI_jT4_jjP12ihipStream_tbEUlT_E0_NS1_11comp_targetILNS1_3genE3ELNS1_11target_archE908ELNS1_3gpuE7ELNS1_3repE0EEENS1_52radix_sort_onesweep_histogram_config_static_selectorELNS0_4arch9wavefront6targetE1EEEvSG_,comdat
.Lfunc_end1406:
	.size	_ZN7rocprim17ROCPRIM_400000_NS6detail17trampoline_kernelINS0_14default_configENS1_35radix_sort_onesweep_config_selectorIiiEEZNS1_34radix_sort_onesweep_global_offsetsIS3_Lb0EN6thrust23THRUST_200600_302600_NS6detail15normal_iteratorINS8_10device_ptrIiEEEESD_jNS0_19identity_decomposerEEE10hipError_tT1_T2_PT3_SI_jT4_jjP12ihipStream_tbEUlT_E0_NS1_11comp_targetILNS1_3genE3ELNS1_11target_archE908ELNS1_3gpuE7ELNS1_3repE0EEENS1_52radix_sort_onesweep_histogram_config_static_selectorELNS0_4arch9wavefront6targetE1EEEvSG_, .Lfunc_end1406-_ZN7rocprim17ROCPRIM_400000_NS6detail17trampoline_kernelINS0_14default_configENS1_35radix_sort_onesweep_config_selectorIiiEEZNS1_34radix_sort_onesweep_global_offsetsIS3_Lb0EN6thrust23THRUST_200600_302600_NS6detail15normal_iteratorINS8_10device_ptrIiEEEESD_jNS0_19identity_decomposerEEE10hipError_tT1_T2_PT3_SI_jT4_jjP12ihipStream_tbEUlT_E0_NS1_11comp_targetILNS1_3genE3ELNS1_11target_archE908ELNS1_3gpuE7ELNS1_3repE0EEENS1_52radix_sort_onesweep_histogram_config_static_selectorELNS0_4arch9wavefront6targetE1EEEvSG_
                                        ; -- End function
	.set _ZN7rocprim17ROCPRIM_400000_NS6detail17trampoline_kernelINS0_14default_configENS1_35radix_sort_onesweep_config_selectorIiiEEZNS1_34radix_sort_onesweep_global_offsetsIS3_Lb0EN6thrust23THRUST_200600_302600_NS6detail15normal_iteratorINS8_10device_ptrIiEEEESD_jNS0_19identity_decomposerEEE10hipError_tT1_T2_PT3_SI_jT4_jjP12ihipStream_tbEUlT_E0_NS1_11comp_targetILNS1_3genE3ELNS1_11target_archE908ELNS1_3gpuE7ELNS1_3repE0EEENS1_52radix_sort_onesweep_histogram_config_static_selectorELNS0_4arch9wavefront6targetE1EEEvSG_.num_vgpr, 0
	.set _ZN7rocprim17ROCPRIM_400000_NS6detail17trampoline_kernelINS0_14default_configENS1_35radix_sort_onesweep_config_selectorIiiEEZNS1_34radix_sort_onesweep_global_offsetsIS3_Lb0EN6thrust23THRUST_200600_302600_NS6detail15normal_iteratorINS8_10device_ptrIiEEEESD_jNS0_19identity_decomposerEEE10hipError_tT1_T2_PT3_SI_jT4_jjP12ihipStream_tbEUlT_E0_NS1_11comp_targetILNS1_3genE3ELNS1_11target_archE908ELNS1_3gpuE7ELNS1_3repE0EEENS1_52radix_sort_onesweep_histogram_config_static_selectorELNS0_4arch9wavefront6targetE1EEEvSG_.num_agpr, 0
	.set _ZN7rocprim17ROCPRIM_400000_NS6detail17trampoline_kernelINS0_14default_configENS1_35radix_sort_onesweep_config_selectorIiiEEZNS1_34radix_sort_onesweep_global_offsetsIS3_Lb0EN6thrust23THRUST_200600_302600_NS6detail15normal_iteratorINS8_10device_ptrIiEEEESD_jNS0_19identity_decomposerEEE10hipError_tT1_T2_PT3_SI_jT4_jjP12ihipStream_tbEUlT_E0_NS1_11comp_targetILNS1_3genE3ELNS1_11target_archE908ELNS1_3gpuE7ELNS1_3repE0EEENS1_52radix_sort_onesweep_histogram_config_static_selectorELNS0_4arch9wavefront6targetE1EEEvSG_.numbered_sgpr, 0
	.set _ZN7rocprim17ROCPRIM_400000_NS6detail17trampoline_kernelINS0_14default_configENS1_35radix_sort_onesweep_config_selectorIiiEEZNS1_34radix_sort_onesweep_global_offsetsIS3_Lb0EN6thrust23THRUST_200600_302600_NS6detail15normal_iteratorINS8_10device_ptrIiEEEESD_jNS0_19identity_decomposerEEE10hipError_tT1_T2_PT3_SI_jT4_jjP12ihipStream_tbEUlT_E0_NS1_11comp_targetILNS1_3genE3ELNS1_11target_archE908ELNS1_3gpuE7ELNS1_3repE0EEENS1_52radix_sort_onesweep_histogram_config_static_selectorELNS0_4arch9wavefront6targetE1EEEvSG_.num_named_barrier, 0
	.set _ZN7rocprim17ROCPRIM_400000_NS6detail17trampoline_kernelINS0_14default_configENS1_35radix_sort_onesweep_config_selectorIiiEEZNS1_34radix_sort_onesweep_global_offsetsIS3_Lb0EN6thrust23THRUST_200600_302600_NS6detail15normal_iteratorINS8_10device_ptrIiEEEESD_jNS0_19identity_decomposerEEE10hipError_tT1_T2_PT3_SI_jT4_jjP12ihipStream_tbEUlT_E0_NS1_11comp_targetILNS1_3genE3ELNS1_11target_archE908ELNS1_3gpuE7ELNS1_3repE0EEENS1_52radix_sort_onesweep_histogram_config_static_selectorELNS0_4arch9wavefront6targetE1EEEvSG_.private_seg_size, 0
	.set _ZN7rocprim17ROCPRIM_400000_NS6detail17trampoline_kernelINS0_14default_configENS1_35radix_sort_onesweep_config_selectorIiiEEZNS1_34radix_sort_onesweep_global_offsetsIS3_Lb0EN6thrust23THRUST_200600_302600_NS6detail15normal_iteratorINS8_10device_ptrIiEEEESD_jNS0_19identity_decomposerEEE10hipError_tT1_T2_PT3_SI_jT4_jjP12ihipStream_tbEUlT_E0_NS1_11comp_targetILNS1_3genE3ELNS1_11target_archE908ELNS1_3gpuE7ELNS1_3repE0EEENS1_52radix_sort_onesweep_histogram_config_static_selectorELNS0_4arch9wavefront6targetE1EEEvSG_.uses_vcc, 0
	.set _ZN7rocprim17ROCPRIM_400000_NS6detail17trampoline_kernelINS0_14default_configENS1_35radix_sort_onesweep_config_selectorIiiEEZNS1_34radix_sort_onesweep_global_offsetsIS3_Lb0EN6thrust23THRUST_200600_302600_NS6detail15normal_iteratorINS8_10device_ptrIiEEEESD_jNS0_19identity_decomposerEEE10hipError_tT1_T2_PT3_SI_jT4_jjP12ihipStream_tbEUlT_E0_NS1_11comp_targetILNS1_3genE3ELNS1_11target_archE908ELNS1_3gpuE7ELNS1_3repE0EEENS1_52radix_sort_onesweep_histogram_config_static_selectorELNS0_4arch9wavefront6targetE1EEEvSG_.uses_flat_scratch, 0
	.set _ZN7rocprim17ROCPRIM_400000_NS6detail17trampoline_kernelINS0_14default_configENS1_35radix_sort_onesweep_config_selectorIiiEEZNS1_34radix_sort_onesweep_global_offsetsIS3_Lb0EN6thrust23THRUST_200600_302600_NS6detail15normal_iteratorINS8_10device_ptrIiEEEESD_jNS0_19identity_decomposerEEE10hipError_tT1_T2_PT3_SI_jT4_jjP12ihipStream_tbEUlT_E0_NS1_11comp_targetILNS1_3genE3ELNS1_11target_archE908ELNS1_3gpuE7ELNS1_3repE0EEENS1_52radix_sort_onesweep_histogram_config_static_selectorELNS0_4arch9wavefront6targetE1EEEvSG_.has_dyn_sized_stack, 0
	.set _ZN7rocprim17ROCPRIM_400000_NS6detail17trampoline_kernelINS0_14default_configENS1_35radix_sort_onesweep_config_selectorIiiEEZNS1_34radix_sort_onesweep_global_offsetsIS3_Lb0EN6thrust23THRUST_200600_302600_NS6detail15normal_iteratorINS8_10device_ptrIiEEEESD_jNS0_19identity_decomposerEEE10hipError_tT1_T2_PT3_SI_jT4_jjP12ihipStream_tbEUlT_E0_NS1_11comp_targetILNS1_3genE3ELNS1_11target_archE908ELNS1_3gpuE7ELNS1_3repE0EEENS1_52radix_sort_onesweep_histogram_config_static_selectorELNS0_4arch9wavefront6targetE1EEEvSG_.has_recursion, 0
	.set _ZN7rocprim17ROCPRIM_400000_NS6detail17trampoline_kernelINS0_14default_configENS1_35radix_sort_onesweep_config_selectorIiiEEZNS1_34radix_sort_onesweep_global_offsetsIS3_Lb0EN6thrust23THRUST_200600_302600_NS6detail15normal_iteratorINS8_10device_ptrIiEEEESD_jNS0_19identity_decomposerEEE10hipError_tT1_T2_PT3_SI_jT4_jjP12ihipStream_tbEUlT_E0_NS1_11comp_targetILNS1_3genE3ELNS1_11target_archE908ELNS1_3gpuE7ELNS1_3repE0EEENS1_52radix_sort_onesweep_histogram_config_static_selectorELNS0_4arch9wavefront6targetE1EEEvSG_.has_indirect_call, 0
	.section	.AMDGPU.csdata,"",@progbits
; Kernel info:
; codeLenInByte = 0
; TotalNumSgprs: 6
; NumVgprs: 0
; NumAgprs: 0
; TotalNumVgprs: 0
; ScratchSize: 0
; MemoryBound: 0
; FloatMode: 240
; IeeeMode: 1
; LDSByteSize: 0 bytes/workgroup (compile time only)
; SGPRBlocks: 0
; VGPRBlocks: 0
; NumSGPRsForWavesPerEU: 6
; NumVGPRsForWavesPerEU: 1
; AccumOffset: 4
; Occupancy: 8
; WaveLimiterHint : 0
; COMPUTE_PGM_RSRC2:SCRATCH_EN: 0
; COMPUTE_PGM_RSRC2:USER_SGPR: 2
; COMPUTE_PGM_RSRC2:TRAP_HANDLER: 0
; COMPUTE_PGM_RSRC2:TGID_X_EN: 1
; COMPUTE_PGM_RSRC2:TGID_Y_EN: 0
; COMPUTE_PGM_RSRC2:TGID_Z_EN: 0
; COMPUTE_PGM_RSRC2:TIDIG_COMP_CNT: 0
; COMPUTE_PGM_RSRC3_GFX90A:ACCUM_OFFSET: 0
; COMPUTE_PGM_RSRC3_GFX90A:TG_SPLIT: 0
	.section	.text._ZN7rocprim17ROCPRIM_400000_NS6detail17trampoline_kernelINS0_14default_configENS1_35radix_sort_onesweep_config_selectorIiiEEZNS1_34radix_sort_onesweep_global_offsetsIS3_Lb0EN6thrust23THRUST_200600_302600_NS6detail15normal_iteratorINS8_10device_ptrIiEEEESD_jNS0_19identity_decomposerEEE10hipError_tT1_T2_PT3_SI_jT4_jjP12ihipStream_tbEUlT_E0_NS1_11comp_targetILNS1_3genE10ELNS1_11target_archE1201ELNS1_3gpuE5ELNS1_3repE0EEENS1_52radix_sort_onesweep_histogram_config_static_selectorELNS0_4arch9wavefront6targetE1EEEvSG_,"axG",@progbits,_ZN7rocprim17ROCPRIM_400000_NS6detail17trampoline_kernelINS0_14default_configENS1_35radix_sort_onesweep_config_selectorIiiEEZNS1_34radix_sort_onesweep_global_offsetsIS3_Lb0EN6thrust23THRUST_200600_302600_NS6detail15normal_iteratorINS8_10device_ptrIiEEEESD_jNS0_19identity_decomposerEEE10hipError_tT1_T2_PT3_SI_jT4_jjP12ihipStream_tbEUlT_E0_NS1_11comp_targetILNS1_3genE10ELNS1_11target_archE1201ELNS1_3gpuE5ELNS1_3repE0EEENS1_52radix_sort_onesweep_histogram_config_static_selectorELNS0_4arch9wavefront6targetE1EEEvSG_,comdat
	.protected	_ZN7rocprim17ROCPRIM_400000_NS6detail17trampoline_kernelINS0_14default_configENS1_35radix_sort_onesweep_config_selectorIiiEEZNS1_34radix_sort_onesweep_global_offsetsIS3_Lb0EN6thrust23THRUST_200600_302600_NS6detail15normal_iteratorINS8_10device_ptrIiEEEESD_jNS0_19identity_decomposerEEE10hipError_tT1_T2_PT3_SI_jT4_jjP12ihipStream_tbEUlT_E0_NS1_11comp_targetILNS1_3genE10ELNS1_11target_archE1201ELNS1_3gpuE5ELNS1_3repE0EEENS1_52radix_sort_onesweep_histogram_config_static_selectorELNS0_4arch9wavefront6targetE1EEEvSG_ ; -- Begin function _ZN7rocprim17ROCPRIM_400000_NS6detail17trampoline_kernelINS0_14default_configENS1_35radix_sort_onesweep_config_selectorIiiEEZNS1_34radix_sort_onesweep_global_offsetsIS3_Lb0EN6thrust23THRUST_200600_302600_NS6detail15normal_iteratorINS8_10device_ptrIiEEEESD_jNS0_19identity_decomposerEEE10hipError_tT1_T2_PT3_SI_jT4_jjP12ihipStream_tbEUlT_E0_NS1_11comp_targetILNS1_3genE10ELNS1_11target_archE1201ELNS1_3gpuE5ELNS1_3repE0EEENS1_52radix_sort_onesweep_histogram_config_static_selectorELNS0_4arch9wavefront6targetE1EEEvSG_
	.globl	_ZN7rocprim17ROCPRIM_400000_NS6detail17trampoline_kernelINS0_14default_configENS1_35radix_sort_onesweep_config_selectorIiiEEZNS1_34radix_sort_onesweep_global_offsetsIS3_Lb0EN6thrust23THRUST_200600_302600_NS6detail15normal_iteratorINS8_10device_ptrIiEEEESD_jNS0_19identity_decomposerEEE10hipError_tT1_T2_PT3_SI_jT4_jjP12ihipStream_tbEUlT_E0_NS1_11comp_targetILNS1_3genE10ELNS1_11target_archE1201ELNS1_3gpuE5ELNS1_3repE0EEENS1_52radix_sort_onesweep_histogram_config_static_selectorELNS0_4arch9wavefront6targetE1EEEvSG_
	.p2align	8
	.type	_ZN7rocprim17ROCPRIM_400000_NS6detail17trampoline_kernelINS0_14default_configENS1_35radix_sort_onesweep_config_selectorIiiEEZNS1_34radix_sort_onesweep_global_offsetsIS3_Lb0EN6thrust23THRUST_200600_302600_NS6detail15normal_iteratorINS8_10device_ptrIiEEEESD_jNS0_19identity_decomposerEEE10hipError_tT1_T2_PT3_SI_jT4_jjP12ihipStream_tbEUlT_E0_NS1_11comp_targetILNS1_3genE10ELNS1_11target_archE1201ELNS1_3gpuE5ELNS1_3repE0EEENS1_52radix_sort_onesweep_histogram_config_static_selectorELNS0_4arch9wavefront6targetE1EEEvSG_,@function
_ZN7rocprim17ROCPRIM_400000_NS6detail17trampoline_kernelINS0_14default_configENS1_35radix_sort_onesweep_config_selectorIiiEEZNS1_34radix_sort_onesweep_global_offsetsIS3_Lb0EN6thrust23THRUST_200600_302600_NS6detail15normal_iteratorINS8_10device_ptrIiEEEESD_jNS0_19identity_decomposerEEE10hipError_tT1_T2_PT3_SI_jT4_jjP12ihipStream_tbEUlT_E0_NS1_11comp_targetILNS1_3genE10ELNS1_11target_archE1201ELNS1_3gpuE5ELNS1_3repE0EEENS1_52radix_sort_onesweep_histogram_config_static_selectorELNS0_4arch9wavefront6targetE1EEEvSG_: ; @_ZN7rocprim17ROCPRIM_400000_NS6detail17trampoline_kernelINS0_14default_configENS1_35radix_sort_onesweep_config_selectorIiiEEZNS1_34radix_sort_onesweep_global_offsetsIS3_Lb0EN6thrust23THRUST_200600_302600_NS6detail15normal_iteratorINS8_10device_ptrIiEEEESD_jNS0_19identity_decomposerEEE10hipError_tT1_T2_PT3_SI_jT4_jjP12ihipStream_tbEUlT_E0_NS1_11comp_targetILNS1_3genE10ELNS1_11target_archE1201ELNS1_3gpuE5ELNS1_3repE0EEENS1_52radix_sort_onesweep_histogram_config_static_selectorELNS0_4arch9wavefront6targetE1EEEvSG_
; %bb.0:
	.section	.rodata,"a",@progbits
	.p2align	6, 0x0
	.amdhsa_kernel _ZN7rocprim17ROCPRIM_400000_NS6detail17trampoline_kernelINS0_14default_configENS1_35radix_sort_onesweep_config_selectorIiiEEZNS1_34radix_sort_onesweep_global_offsetsIS3_Lb0EN6thrust23THRUST_200600_302600_NS6detail15normal_iteratorINS8_10device_ptrIiEEEESD_jNS0_19identity_decomposerEEE10hipError_tT1_T2_PT3_SI_jT4_jjP12ihipStream_tbEUlT_E0_NS1_11comp_targetILNS1_3genE10ELNS1_11target_archE1201ELNS1_3gpuE5ELNS1_3repE0EEENS1_52radix_sort_onesweep_histogram_config_static_selectorELNS0_4arch9wavefront6targetE1EEEvSG_
		.amdhsa_group_segment_fixed_size 0
		.amdhsa_private_segment_fixed_size 0
		.amdhsa_kernarg_size 8
		.amdhsa_user_sgpr_count 2
		.amdhsa_user_sgpr_dispatch_ptr 0
		.amdhsa_user_sgpr_queue_ptr 0
		.amdhsa_user_sgpr_kernarg_segment_ptr 1
		.amdhsa_user_sgpr_dispatch_id 0
		.amdhsa_user_sgpr_kernarg_preload_length 0
		.amdhsa_user_sgpr_kernarg_preload_offset 0
		.amdhsa_user_sgpr_private_segment_size 0
		.amdhsa_uses_dynamic_stack 0
		.amdhsa_enable_private_segment 0
		.amdhsa_system_sgpr_workgroup_id_x 1
		.amdhsa_system_sgpr_workgroup_id_y 0
		.amdhsa_system_sgpr_workgroup_id_z 0
		.amdhsa_system_sgpr_workgroup_info 0
		.amdhsa_system_vgpr_workitem_id 0
		.amdhsa_next_free_vgpr 1
		.amdhsa_next_free_sgpr 0
		.amdhsa_accum_offset 4
		.amdhsa_reserve_vcc 0
		.amdhsa_float_round_mode_32 0
		.amdhsa_float_round_mode_16_64 0
		.amdhsa_float_denorm_mode_32 3
		.amdhsa_float_denorm_mode_16_64 3
		.amdhsa_dx10_clamp 1
		.amdhsa_ieee_mode 1
		.amdhsa_fp16_overflow 0
		.amdhsa_tg_split 0
		.amdhsa_exception_fp_ieee_invalid_op 0
		.amdhsa_exception_fp_denorm_src 0
		.amdhsa_exception_fp_ieee_div_zero 0
		.amdhsa_exception_fp_ieee_overflow 0
		.amdhsa_exception_fp_ieee_underflow 0
		.amdhsa_exception_fp_ieee_inexact 0
		.amdhsa_exception_int_div_zero 0
	.end_amdhsa_kernel
	.section	.text._ZN7rocprim17ROCPRIM_400000_NS6detail17trampoline_kernelINS0_14default_configENS1_35radix_sort_onesweep_config_selectorIiiEEZNS1_34radix_sort_onesweep_global_offsetsIS3_Lb0EN6thrust23THRUST_200600_302600_NS6detail15normal_iteratorINS8_10device_ptrIiEEEESD_jNS0_19identity_decomposerEEE10hipError_tT1_T2_PT3_SI_jT4_jjP12ihipStream_tbEUlT_E0_NS1_11comp_targetILNS1_3genE10ELNS1_11target_archE1201ELNS1_3gpuE5ELNS1_3repE0EEENS1_52radix_sort_onesweep_histogram_config_static_selectorELNS0_4arch9wavefront6targetE1EEEvSG_,"axG",@progbits,_ZN7rocprim17ROCPRIM_400000_NS6detail17trampoline_kernelINS0_14default_configENS1_35radix_sort_onesweep_config_selectorIiiEEZNS1_34radix_sort_onesweep_global_offsetsIS3_Lb0EN6thrust23THRUST_200600_302600_NS6detail15normal_iteratorINS8_10device_ptrIiEEEESD_jNS0_19identity_decomposerEEE10hipError_tT1_T2_PT3_SI_jT4_jjP12ihipStream_tbEUlT_E0_NS1_11comp_targetILNS1_3genE10ELNS1_11target_archE1201ELNS1_3gpuE5ELNS1_3repE0EEENS1_52radix_sort_onesweep_histogram_config_static_selectorELNS0_4arch9wavefront6targetE1EEEvSG_,comdat
.Lfunc_end1407:
	.size	_ZN7rocprim17ROCPRIM_400000_NS6detail17trampoline_kernelINS0_14default_configENS1_35radix_sort_onesweep_config_selectorIiiEEZNS1_34radix_sort_onesweep_global_offsetsIS3_Lb0EN6thrust23THRUST_200600_302600_NS6detail15normal_iteratorINS8_10device_ptrIiEEEESD_jNS0_19identity_decomposerEEE10hipError_tT1_T2_PT3_SI_jT4_jjP12ihipStream_tbEUlT_E0_NS1_11comp_targetILNS1_3genE10ELNS1_11target_archE1201ELNS1_3gpuE5ELNS1_3repE0EEENS1_52radix_sort_onesweep_histogram_config_static_selectorELNS0_4arch9wavefront6targetE1EEEvSG_, .Lfunc_end1407-_ZN7rocprim17ROCPRIM_400000_NS6detail17trampoline_kernelINS0_14default_configENS1_35radix_sort_onesweep_config_selectorIiiEEZNS1_34radix_sort_onesweep_global_offsetsIS3_Lb0EN6thrust23THRUST_200600_302600_NS6detail15normal_iteratorINS8_10device_ptrIiEEEESD_jNS0_19identity_decomposerEEE10hipError_tT1_T2_PT3_SI_jT4_jjP12ihipStream_tbEUlT_E0_NS1_11comp_targetILNS1_3genE10ELNS1_11target_archE1201ELNS1_3gpuE5ELNS1_3repE0EEENS1_52radix_sort_onesweep_histogram_config_static_selectorELNS0_4arch9wavefront6targetE1EEEvSG_
                                        ; -- End function
	.set _ZN7rocprim17ROCPRIM_400000_NS6detail17trampoline_kernelINS0_14default_configENS1_35radix_sort_onesweep_config_selectorIiiEEZNS1_34radix_sort_onesweep_global_offsetsIS3_Lb0EN6thrust23THRUST_200600_302600_NS6detail15normal_iteratorINS8_10device_ptrIiEEEESD_jNS0_19identity_decomposerEEE10hipError_tT1_T2_PT3_SI_jT4_jjP12ihipStream_tbEUlT_E0_NS1_11comp_targetILNS1_3genE10ELNS1_11target_archE1201ELNS1_3gpuE5ELNS1_3repE0EEENS1_52radix_sort_onesweep_histogram_config_static_selectorELNS0_4arch9wavefront6targetE1EEEvSG_.num_vgpr, 0
	.set _ZN7rocprim17ROCPRIM_400000_NS6detail17trampoline_kernelINS0_14default_configENS1_35radix_sort_onesweep_config_selectorIiiEEZNS1_34radix_sort_onesweep_global_offsetsIS3_Lb0EN6thrust23THRUST_200600_302600_NS6detail15normal_iteratorINS8_10device_ptrIiEEEESD_jNS0_19identity_decomposerEEE10hipError_tT1_T2_PT3_SI_jT4_jjP12ihipStream_tbEUlT_E0_NS1_11comp_targetILNS1_3genE10ELNS1_11target_archE1201ELNS1_3gpuE5ELNS1_3repE0EEENS1_52radix_sort_onesweep_histogram_config_static_selectorELNS0_4arch9wavefront6targetE1EEEvSG_.num_agpr, 0
	.set _ZN7rocprim17ROCPRIM_400000_NS6detail17trampoline_kernelINS0_14default_configENS1_35radix_sort_onesweep_config_selectorIiiEEZNS1_34radix_sort_onesweep_global_offsetsIS3_Lb0EN6thrust23THRUST_200600_302600_NS6detail15normal_iteratorINS8_10device_ptrIiEEEESD_jNS0_19identity_decomposerEEE10hipError_tT1_T2_PT3_SI_jT4_jjP12ihipStream_tbEUlT_E0_NS1_11comp_targetILNS1_3genE10ELNS1_11target_archE1201ELNS1_3gpuE5ELNS1_3repE0EEENS1_52radix_sort_onesweep_histogram_config_static_selectorELNS0_4arch9wavefront6targetE1EEEvSG_.numbered_sgpr, 0
	.set _ZN7rocprim17ROCPRIM_400000_NS6detail17trampoline_kernelINS0_14default_configENS1_35radix_sort_onesweep_config_selectorIiiEEZNS1_34radix_sort_onesweep_global_offsetsIS3_Lb0EN6thrust23THRUST_200600_302600_NS6detail15normal_iteratorINS8_10device_ptrIiEEEESD_jNS0_19identity_decomposerEEE10hipError_tT1_T2_PT3_SI_jT4_jjP12ihipStream_tbEUlT_E0_NS1_11comp_targetILNS1_3genE10ELNS1_11target_archE1201ELNS1_3gpuE5ELNS1_3repE0EEENS1_52radix_sort_onesweep_histogram_config_static_selectorELNS0_4arch9wavefront6targetE1EEEvSG_.num_named_barrier, 0
	.set _ZN7rocprim17ROCPRIM_400000_NS6detail17trampoline_kernelINS0_14default_configENS1_35radix_sort_onesweep_config_selectorIiiEEZNS1_34radix_sort_onesweep_global_offsetsIS3_Lb0EN6thrust23THRUST_200600_302600_NS6detail15normal_iteratorINS8_10device_ptrIiEEEESD_jNS0_19identity_decomposerEEE10hipError_tT1_T2_PT3_SI_jT4_jjP12ihipStream_tbEUlT_E0_NS1_11comp_targetILNS1_3genE10ELNS1_11target_archE1201ELNS1_3gpuE5ELNS1_3repE0EEENS1_52radix_sort_onesweep_histogram_config_static_selectorELNS0_4arch9wavefront6targetE1EEEvSG_.private_seg_size, 0
	.set _ZN7rocprim17ROCPRIM_400000_NS6detail17trampoline_kernelINS0_14default_configENS1_35radix_sort_onesweep_config_selectorIiiEEZNS1_34radix_sort_onesweep_global_offsetsIS3_Lb0EN6thrust23THRUST_200600_302600_NS6detail15normal_iteratorINS8_10device_ptrIiEEEESD_jNS0_19identity_decomposerEEE10hipError_tT1_T2_PT3_SI_jT4_jjP12ihipStream_tbEUlT_E0_NS1_11comp_targetILNS1_3genE10ELNS1_11target_archE1201ELNS1_3gpuE5ELNS1_3repE0EEENS1_52radix_sort_onesweep_histogram_config_static_selectorELNS0_4arch9wavefront6targetE1EEEvSG_.uses_vcc, 0
	.set _ZN7rocprim17ROCPRIM_400000_NS6detail17trampoline_kernelINS0_14default_configENS1_35radix_sort_onesweep_config_selectorIiiEEZNS1_34radix_sort_onesweep_global_offsetsIS3_Lb0EN6thrust23THRUST_200600_302600_NS6detail15normal_iteratorINS8_10device_ptrIiEEEESD_jNS0_19identity_decomposerEEE10hipError_tT1_T2_PT3_SI_jT4_jjP12ihipStream_tbEUlT_E0_NS1_11comp_targetILNS1_3genE10ELNS1_11target_archE1201ELNS1_3gpuE5ELNS1_3repE0EEENS1_52radix_sort_onesweep_histogram_config_static_selectorELNS0_4arch9wavefront6targetE1EEEvSG_.uses_flat_scratch, 0
	.set _ZN7rocprim17ROCPRIM_400000_NS6detail17trampoline_kernelINS0_14default_configENS1_35radix_sort_onesweep_config_selectorIiiEEZNS1_34radix_sort_onesweep_global_offsetsIS3_Lb0EN6thrust23THRUST_200600_302600_NS6detail15normal_iteratorINS8_10device_ptrIiEEEESD_jNS0_19identity_decomposerEEE10hipError_tT1_T2_PT3_SI_jT4_jjP12ihipStream_tbEUlT_E0_NS1_11comp_targetILNS1_3genE10ELNS1_11target_archE1201ELNS1_3gpuE5ELNS1_3repE0EEENS1_52radix_sort_onesweep_histogram_config_static_selectorELNS0_4arch9wavefront6targetE1EEEvSG_.has_dyn_sized_stack, 0
	.set _ZN7rocprim17ROCPRIM_400000_NS6detail17trampoline_kernelINS0_14default_configENS1_35radix_sort_onesweep_config_selectorIiiEEZNS1_34radix_sort_onesweep_global_offsetsIS3_Lb0EN6thrust23THRUST_200600_302600_NS6detail15normal_iteratorINS8_10device_ptrIiEEEESD_jNS0_19identity_decomposerEEE10hipError_tT1_T2_PT3_SI_jT4_jjP12ihipStream_tbEUlT_E0_NS1_11comp_targetILNS1_3genE10ELNS1_11target_archE1201ELNS1_3gpuE5ELNS1_3repE0EEENS1_52radix_sort_onesweep_histogram_config_static_selectorELNS0_4arch9wavefront6targetE1EEEvSG_.has_recursion, 0
	.set _ZN7rocprim17ROCPRIM_400000_NS6detail17trampoline_kernelINS0_14default_configENS1_35radix_sort_onesweep_config_selectorIiiEEZNS1_34radix_sort_onesweep_global_offsetsIS3_Lb0EN6thrust23THRUST_200600_302600_NS6detail15normal_iteratorINS8_10device_ptrIiEEEESD_jNS0_19identity_decomposerEEE10hipError_tT1_T2_PT3_SI_jT4_jjP12ihipStream_tbEUlT_E0_NS1_11comp_targetILNS1_3genE10ELNS1_11target_archE1201ELNS1_3gpuE5ELNS1_3repE0EEENS1_52radix_sort_onesweep_histogram_config_static_selectorELNS0_4arch9wavefront6targetE1EEEvSG_.has_indirect_call, 0
	.section	.AMDGPU.csdata,"",@progbits
; Kernel info:
; codeLenInByte = 0
; TotalNumSgprs: 6
; NumVgprs: 0
; NumAgprs: 0
; TotalNumVgprs: 0
; ScratchSize: 0
; MemoryBound: 0
; FloatMode: 240
; IeeeMode: 1
; LDSByteSize: 0 bytes/workgroup (compile time only)
; SGPRBlocks: 0
; VGPRBlocks: 0
; NumSGPRsForWavesPerEU: 6
; NumVGPRsForWavesPerEU: 1
; AccumOffset: 4
; Occupancy: 8
; WaveLimiterHint : 0
; COMPUTE_PGM_RSRC2:SCRATCH_EN: 0
; COMPUTE_PGM_RSRC2:USER_SGPR: 2
; COMPUTE_PGM_RSRC2:TRAP_HANDLER: 0
; COMPUTE_PGM_RSRC2:TGID_X_EN: 1
; COMPUTE_PGM_RSRC2:TGID_Y_EN: 0
; COMPUTE_PGM_RSRC2:TGID_Z_EN: 0
; COMPUTE_PGM_RSRC2:TIDIG_COMP_CNT: 0
; COMPUTE_PGM_RSRC3_GFX90A:ACCUM_OFFSET: 0
; COMPUTE_PGM_RSRC3_GFX90A:TG_SPLIT: 0
	.section	.text._ZN7rocprim17ROCPRIM_400000_NS6detail17trampoline_kernelINS0_14default_configENS1_35radix_sort_onesweep_config_selectorIiiEEZNS1_34radix_sort_onesweep_global_offsetsIS3_Lb0EN6thrust23THRUST_200600_302600_NS6detail15normal_iteratorINS8_10device_ptrIiEEEESD_jNS0_19identity_decomposerEEE10hipError_tT1_T2_PT3_SI_jT4_jjP12ihipStream_tbEUlT_E0_NS1_11comp_targetILNS1_3genE9ELNS1_11target_archE1100ELNS1_3gpuE3ELNS1_3repE0EEENS1_52radix_sort_onesweep_histogram_config_static_selectorELNS0_4arch9wavefront6targetE1EEEvSG_,"axG",@progbits,_ZN7rocprim17ROCPRIM_400000_NS6detail17trampoline_kernelINS0_14default_configENS1_35radix_sort_onesweep_config_selectorIiiEEZNS1_34radix_sort_onesweep_global_offsetsIS3_Lb0EN6thrust23THRUST_200600_302600_NS6detail15normal_iteratorINS8_10device_ptrIiEEEESD_jNS0_19identity_decomposerEEE10hipError_tT1_T2_PT3_SI_jT4_jjP12ihipStream_tbEUlT_E0_NS1_11comp_targetILNS1_3genE9ELNS1_11target_archE1100ELNS1_3gpuE3ELNS1_3repE0EEENS1_52radix_sort_onesweep_histogram_config_static_selectorELNS0_4arch9wavefront6targetE1EEEvSG_,comdat
	.protected	_ZN7rocprim17ROCPRIM_400000_NS6detail17trampoline_kernelINS0_14default_configENS1_35radix_sort_onesweep_config_selectorIiiEEZNS1_34radix_sort_onesweep_global_offsetsIS3_Lb0EN6thrust23THRUST_200600_302600_NS6detail15normal_iteratorINS8_10device_ptrIiEEEESD_jNS0_19identity_decomposerEEE10hipError_tT1_T2_PT3_SI_jT4_jjP12ihipStream_tbEUlT_E0_NS1_11comp_targetILNS1_3genE9ELNS1_11target_archE1100ELNS1_3gpuE3ELNS1_3repE0EEENS1_52radix_sort_onesweep_histogram_config_static_selectorELNS0_4arch9wavefront6targetE1EEEvSG_ ; -- Begin function _ZN7rocprim17ROCPRIM_400000_NS6detail17trampoline_kernelINS0_14default_configENS1_35radix_sort_onesweep_config_selectorIiiEEZNS1_34radix_sort_onesweep_global_offsetsIS3_Lb0EN6thrust23THRUST_200600_302600_NS6detail15normal_iteratorINS8_10device_ptrIiEEEESD_jNS0_19identity_decomposerEEE10hipError_tT1_T2_PT3_SI_jT4_jjP12ihipStream_tbEUlT_E0_NS1_11comp_targetILNS1_3genE9ELNS1_11target_archE1100ELNS1_3gpuE3ELNS1_3repE0EEENS1_52radix_sort_onesweep_histogram_config_static_selectorELNS0_4arch9wavefront6targetE1EEEvSG_
	.globl	_ZN7rocprim17ROCPRIM_400000_NS6detail17trampoline_kernelINS0_14default_configENS1_35radix_sort_onesweep_config_selectorIiiEEZNS1_34radix_sort_onesweep_global_offsetsIS3_Lb0EN6thrust23THRUST_200600_302600_NS6detail15normal_iteratorINS8_10device_ptrIiEEEESD_jNS0_19identity_decomposerEEE10hipError_tT1_T2_PT3_SI_jT4_jjP12ihipStream_tbEUlT_E0_NS1_11comp_targetILNS1_3genE9ELNS1_11target_archE1100ELNS1_3gpuE3ELNS1_3repE0EEENS1_52radix_sort_onesweep_histogram_config_static_selectorELNS0_4arch9wavefront6targetE1EEEvSG_
	.p2align	8
	.type	_ZN7rocprim17ROCPRIM_400000_NS6detail17trampoline_kernelINS0_14default_configENS1_35radix_sort_onesweep_config_selectorIiiEEZNS1_34radix_sort_onesweep_global_offsetsIS3_Lb0EN6thrust23THRUST_200600_302600_NS6detail15normal_iteratorINS8_10device_ptrIiEEEESD_jNS0_19identity_decomposerEEE10hipError_tT1_T2_PT3_SI_jT4_jjP12ihipStream_tbEUlT_E0_NS1_11comp_targetILNS1_3genE9ELNS1_11target_archE1100ELNS1_3gpuE3ELNS1_3repE0EEENS1_52radix_sort_onesweep_histogram_config_static_selectorELNS0_4arch9wavefront6targetE1EEEvSG_,@function
_ZN7rocprim17ROCPRIM_400000_NS6detail17trampoline_kernelINS0_14default_configENS1_35radix_sort_onesweep_config_selectorIiiEEZNS1_34radix_sort_onesweep_global_offsetsIS3_Lb0EN6thrust23THRUST_200600_302600_NS6detail15normal_iteratorINS8_10device_ptrIiEEEESD_jNS0_19identity_decomposerEEE10hipError_tT1_T2_PT3_SI_jT4_jjP12ihipStream_tbEUlT_E0_NS1_11comp_targetILNS1_3genE9ELNS1_11target_archE1100ELNS1_3gpuE3ELNS1_3repE0EEENS1_52radix_sort_onesweep_histogram_config_static_selectorELNS0_4arch9wavefront6targetE1EEEvSG_: ; @_ZN7rocprim17ROCPRIM_400000_NS6detail17trampoline_kernelINS0_14default_configENS1_35radix_sort_onesweep_config_selectorIiiEEZNS1_34radix_sort_onesweep_global_offsetsIS3_Lb0EN6thrust23THRUST_200600_302600_NS6detail15normal_iteratorINS8_10device_ptrIiEEEESD_jNS0_19identity_decomposerEEE10hipError_tT1_T2_PT3_SI_jT4_jjP12ihipStream_tbEUlT_E0_NS1_11comp_targetILNS1_3genE9ELNS1_11target_archE1100ELNS1_3gpuE3ELNS1_3repE0EEENS1_52radix_sort_onesweep_histogram_config_static_selectorELNS0_4arch9wavefront6targetE1EEEvSG_
; %bb.0:
	.section	.rodata,"a",@progbits
	.p2align	6, 0x0
	.amdhsa_kernel _ZN7rocprim17ROCPRIM_400000_NS6detail17trampoline_kernelINS0_14default_configENS1_35radix_sort_onesweep_config_selectorIiiEEZNS1_34radix_sort_onesweep_global_offsetsIS3_Lb0EN6thrust23THRUST_200600_302600_NS6detail15normal_iteratorINS8_10device_ptrIiEEEESD_jNS0_19identity_decomposerEEE10hipError_tT1_T2_PT3_SI_jT4_jjP12ihipStream_tbEUlT_E0_NS1_11comp_targetILNS1_3genE9ELNS1_11target_archE1100ELNS1_3gpuE3ELNS1_3repE0EEENS1_52radix_sort_onesweep_histogram_config_static_selectorELNS0_4arch9wavefront6targetE1EEEvSG_
		.amdhsa_group_segment_fixed_size 0
		.amdhsa_private_segment_fixed_size 0
		.amdhsa_kernarg_size 8
		.amdhsa_user_sgpr_count 2
		.amdhsa_user_sgpr_dispatch_ptr 0
		.amdhsa_user_sgpr_queue_ptr 0
		.amdhsa_user_sgpr_kernarg_segment_ptr 1
		.amdhsa_user_sgpr_dispatch_id 0
		.amdhsa_user_sgpr_kernarg_preload_length 0
		.amdhsa_user_sgpr_kernarg_preload_offset 0
		.amdhsa_user_sgpr_private_segment_size 0
		.amdhsa_uses_dynamic_stack 0
		.amdhsa_enable_private_segment 0
		.amdhsa_system_sgpr_workgroup_id_x 1
		.amdhsa_system_sgpr_workgroup_id_y 0
		.amdhsa_system_sgpr_workgroup_id_z 0
		.amdhsa_system_sgpr_workgroup_info 0
		.amdhsa_system_vgpr_workitem_id 0
		.amdhsa_next_free_vgpr 1
		.amdhsa_next_free_sgpr 0
		.amdhsa_accum_offset 4
		.amdhsa_reserve_vcc 0
		.amdhsa_float_round_mode_32 0
		.amdhsa_float_round_mode_16_64 0
		.amdhsa_float_denorm_mode_32 3
		.amdhsa_float_denorm_mode_16_64 3
		.amdhsa_dx10_clamp 1
		.amdhsa_ieee_mode 1
		.amdhsa_fp16_overflow 0
		.amdhsa_tg_split 0
		.amdhsa_exception_fp_ieee_invalid_op 0
		.amdhsa_exception_fp_denorm_src 0
		.amdhsa_exception_fp_ieee_div_zero 0
		.amdhsa_exception_fp_ieee_overflow 0
		.amdhsa_exception_fp_ieee_underflow 0
		.amdhsa_exception_fp_ieee_inexact 0
		.amdhsa_exception_int_div_zero 0
	.end_amdhsa_kernel
	.section	.text._ZN7rocprim17ROCPRIM_400000_NS6detail17trampoline_kernelINS0_14default_configENS1_35radix_sort_onesweep_config_selectorIiiEEZNS1_34radix_sort_onesweep_global_offsetsIS3_Lb0EN6thrust23THRUST_200600_302600_NS6detail15normal_iteratorINS8_10device_ptrIiEEEESD_jNS0_19identity_decomposerEEE10hipError_tT1_T2_PT3_SI_jT4_jjP12ihipStream_tbEUlT_E0_NS1_11comp_targetILNS1_3genE9ELNS1_11target_archE1100ELNS1_3gpuE3ELNS1_3repE0EEENS1_52radix_sort_onesweep_histogram_config_static_selectorELNS0_4arch9wavefront6targetE1EEEvSG_,"axG",@progbits,_ZN7rocprim17ROCPRIM_400000_NS6detail17trampoline_kernelINS0_14default_configENS1_35radix_sort_onesweep_config_selectorIiiEEZNS1_34radix_sort_onesweep_global_offsetsIS3_Lb0EN6thrust23THRUST_200600_302600_NS6detail15normal_iteratorINS8_10device_ptrIiEEEESD_jNS0_19identity_decomposerEEE10hipError_tT1_T2_PT3_SI_jT4_jjP12ihipStream_tbEUlT_E0_NS1_11comp_targetILNS1_3genE9ELNS1_11target_archE1100ELNS1_3gpuE3ELNS1_3repE0EEENS1_52radix_sort_onesweep_histogram_config_static_selectorELNS0_4arch9wavefront6targetE1EEEvSG_,comdat
.Lfunc_end1408:
	.size	_ZN7rocprim17ROCPRIM_400000_NS6detail17trampoline_kernelINS0_14default_configENS1_35radix_sort_onesweep_config_selectorIiiEEZNS1_34radix_sort_onesweep_global_offsetsIS3_Lb0EN6thrust23THRUST_200600_302600_NS6detail15normal_iteratorINS8_10device_ptrIiEEEESD_jNS0_19identity_decomposerEEE10hipError_tT1_T2_PT3_SI_jT4_jjP12ihipStream_tbEUlT_E0_NS1_11comp_targetILNS1_3genE9ELNS1_11target_archE1100ELNS1_3gpuE3ELNS1_3repE0EEENS1_52radix_sort_onesweep_histogram_config_static_selectorELNS0_4arch9wavefront6targetE1EEEvSG_, .Lfunc_end1408-_ZN7rocprim17ROCPRIM_400000_NS6detail17trampoline_kernelINS0_14default_configENS1_35radix_sort_onesweep_config_selectorIiiEEZNS1_34radix_sort_onesweep_global_offsetsIS3_Lb0EN6thrust23THRUST_200600_302600_NS6detail15normal_iteratorINS8_10device_ptrIiEEEESD_jNS0_19identity_decomposerEEE10hipError_tT1_T2_PT3_SI_jT4_jjP12ihipStream_tbEUlT_E0_NS1_11comp_targetILNS1_3genE9ELNS1_11target_archE1100ELNS1_3gpuE3ELNS1_3repE0EEENS1_52radix_sort_onesweep_histogram_config_static_selectorELNS0_4arch9wavefront6targetE1EEEvSG_
                                        ; -- End function
	.set _ZN7rocprim17ROCPRIM_400000_NS6detail17trampoline_kernelINS0_14default_configENS1_35radix_sort_onesweep_config_selectorIiiEEZNS1_34radix_sort_onesweep_global_offsetsIS3_Lb0EN6thrust23THRUST_200600_302600_NS6detail15normal_iteratorINS8_10device_ptrIiEEEESD_jNS0_19identity_decomposerEEE10hipError_tT1_T2_PT3_SI_jT4_jjP12ihipStream_tbEUlT_E0_NS1_11comp_targetILNS1_3genE9ELNS1_11target_archE1100ELNS1_3gpuE3ELNS1_3repE0EEENS1_52radix_sort_onesweep_histogram_config_static_selectorELNS0_4arch9wavefront6targetE1EEEvSG_.num_vgpr, 0
	.set _ZN7rocprim17ROCPRIM_400000_NS6detail17trampoline_kernelINS0_14default_configENS1_35radix_sort_onesweep_config_selectorIiiEEZNS1_34radix_sort_onesweep_global_offsetsIS3_Lb0EN6thrust23THRUST_200600_302600_NS6detail15normal_iteratorINS8_10device_ptrIiEEEESD_jNS0_19identity_decomposerEEE10hipError_tT1_T2_PT3_SI_jT4_jjP12ihipStream_tbEUlT_E0_NS1_11comp_targetILNS1_3genE9ELNS1_11target_archE1100ELNS1_3gpuE3ELNS1_3repE0EEENS1_52radix_sort_onesweep_histogram_config_static_selectorELNS0_4arch9wavefront6targetE1EEEvSG_.num_agpr, 0
	.set _ZN7rocprim17ROCPRIM_400000_NS6detail17trampoline_kernelINS0_14default_configENS1_35radix_sort_onesweep_config_selectorIiiEEZNS1_34radix_sort_onesweep_global_offsetsIS3_Lb0EN6thrust23THRUST_200600_302600_NS6detail15normal_iteratorINS8_10device_ptrIiEEEESD_jNS0_19identity_decomposerEEE10hipError_tT1_T2_PT3_SI_jT4_jjP12ihipStream_tbEUlT_E0_NS1_11comp_targetILNS1_3genE9ELNS1_11target_archE1100ELNS1_3gpuE3ELNS1_3repE0EEENS1_52radix_sort_onesweep_histogram_config_static_selectorELNS0_4arch9wavefront6targetE1EEEvSG_.numbered_sgpr, 0
	.set _ZN7rocprim17ROCPRIM_400000_NS6detail17trampoline_kernelINS0_14default_configENS1_35radix_sort_onesweep_config_selectorIiiEEZNS1_34radix_sort_onesweep_global_offsetsIS3_Lb0EN6thrust23THRUST_200600_302600_NS6detail15normal_iteratorINS8_10device_ptrIiEEEESD_jNS0_19identity_decomposerEEE10hipError_tT1_T2_PT3_SI_jT4_jjP12ihipStream_tbEUlT_E0_NS1_11comp_targetILNS1_3genE9ELNS1_11target_archE1100ELNS1_3gpuE3ELNS1_3repE0EEENS1_52radix_sort_onesweep_histogram_config_static_selectorELNS0_4arch9wavefront6targetE1EEEvSG_.num_named_barrier, 0
	.set _ZN7rocprim17ROCPRIM_400000_NS6detail17trampoline_kernelINS0_14default_configENS1_35radix_sort_onesweep_config_selectorIiiEEZNS1_34radix_sort_onesweep_global_offsetsIS3_Lb0EN6thrust23THRUST_200600_302600_NS6detail15normal_iteratorINS8_10device_ptrIiEEEESD_jNS0_19identity_decomposerEEE10hipError_tT1_T2_PT3_SI_jT4_jjP12ihipStream_tbEUlT_E0_NS1_11comp_targetILNS1_3genE9ELNS1_11target_archE1100ELNS1_3gpuE3ELNS1_3repE0EEENS1_52radix_sort_onesweep_histogram_config_static_selectorELNS0_4arch9wavefront6targetE1EEEvSG_.private_seg_size, 0
	.set _ZN7rocprim17ROCPRIM_400000_NS6detail17trampoline_kernelINS0_14default_configENS1_35radix_sort_onesweep_config_selectorIiiEEZNS1_34radix_sort_onesweep_global_offsetsIS3_Lb0EN6thrust23THRUST_200600_302600_NS6detail15normal_iteratorINS8_10device_ptrIiEEEESD_jNS0_19identity_decomposerEEE10hipError_tT1_T2_PT3_SI_jT4_jjP12ihipStream_tbEUlT_E0_NS1_11comp_targetILNS1_3genE9ELNS1_11target_archE1100ELNS1_3gpuE3ELNS1_3repE0EEENS1_52radix_sort_onesweep_histogram_config_static_selectorELNS0_4arch9wavefront6targetE1EEEvSG_.uses_vcc, 0
	.set _ZN7rocprim17ROCPRIM_400000_NS6detail17trampoline_kernelINS0_14default_configENS1_35radix_sort_onesweep_config_selectorIiiEEZNS1_34radix_sort_onesweep_global_offsetsIS3_Lb0EN6thrust23THRUST_200600_302600_NS6detail15normal_iteratorINS8_10device_ptrIiEEEESD_jNS0_19identity_decomposerEEE10hipError_tT1_T2_PT3_SI_jT4_jjP12ihipStream_tbEUlT_E0_NS1_11comp_targetILNS1_3genE9ELNS1_11target_archE1100ELNS1_3gpuE3ELNS1_3repE0EEENS1_52radix_sort_onesweep_histogram_config_static_selectorELNS0_4arch9wavefront6targetE1EEEvSG_.uses_flat_scratch, 0
	.set _ZN7rocprim17ROCPRIM_400000_NS6detail17trampoline_kernelINS0_14default_configENS1_35radix_sort_onesweep_config_selectorIiiEEZNS1_34radix_sort_onesweep_global_offsetsIS3_Lb0EN6thrust23THRUST_200600_302600_NS6detail15normal_iteratorINS8_10device_ptrIiEEEESD_jNS0_19identity_decomposerEEE10hipError_tT1_T2_PT3_SI_jT4_jjP12ihipStream_tbEUlT_E0_NS1_11comp_targetILNS1_3genE9ELNS1_11target_archE1100ELNS1_3gpuE3ELNS1_3repE0EEENS1_52radix_sort_onesweep_histogram_config_static_selectorELNS0_4arch9wavefront6targetE1EEEvSG_.has_dyn_sized_stack, 0
	.set _ZN7rocprim17ROCPRIM_400000_NS6detail17trampoline_kernelINS0_14default_configENS1_35radix_sort_onesweep_config_selectorIiiEEZNS1_34radix_sort_onesweep_global_offsetsIS3_Lb0EN6thrust23THRUST_200600_302600_NS6detail15normal_iteratorINS8_10device_ptrIiEEEESD_jNS0_19identity_decomposerEEE10hipError_tT1_T2_PT3_SI_jT4_jjP12ihipStream_tbEUlT_E0_NS1_11comp_targetILNS1_3genE9ELNS1_11target_archE1100ELNS1_3gpuE3ELNS1_3repE0EEENS1_52radix_sort_onesweep_histogram_config_static_selectorELNS0_4arch9wavefront6targetE1EEEvSG_.has_recursion, 0
	.set _ZN7rocprim17ROCPRIM_400000_NS6detail17trampoline_kernelINS0_14default_configENS1_35radix_sort_onesweep_config_selectorIiiEEZNS1_34radix_sort_onesweep_global_offsetsIS3_Lb0EN6thrust23THRUST_200600_302600_NS6detail15normal_iteratorINS8_10device_ptrIiEEEESD_jNS0_19identity_decomposerEEE10hipError_tT1_T2_PT3_SI_jT4_jjP12ihipStream_tbEUlT_E0_NS1_11comp_targetILNS1_3genE9ELNS1_11target_archE1100ELNS1_3gpuE3ELNS1_3repE0EEENS1_52radix_sort_onesweep_histogram_config_static_selectorELNS0_4arch9wavefront6targetE1EEEvSG_.has_indirect_call, 0
	.section	.AMDGPU.csdata,"",@progbits
; Kernel info:
; codeLenInByte = 0
; TotalNumSgprs: 6
; NumVgprs: 0
; NumAgprs: 0
; TotalNumVgprs: 0
; ScratchSize: 0
; MemoryBound: 0
; FloatMode: 240
; IeeeMode: 1
; LDSByteSize: 0 bytes/workgroup (compile time only)
; SGPRBlocks: 0
; VGPRBlocks: 0
; NumSGPRsForWavesPerEU: 6
; NumVGPRsForWavesPerEU: 1
; AccumOffset: 4
; Occupancy: 8
; WaveLimiterHint : 0
; COMPUTE_PGM_RSRC2:SCRATCH_EN: 0
; COMPUTE_PGM_RSRC2:USER_SGPR: 2
; COMPUTE_PGM_RSRC2:TRAP_HANDLER: 0
; COMPUTE_PGM_RSRC2:TGID_X_EN: 1
; COMPUTE_PGM_RSRC2:TGID_Y_EN: 0
; COMPUTE_PGM_RSRC2:TGID_Z_EN: 0
; COMPUTE_PGM_RSRC2:TIDIG_COMP_CNT: 0
; COMPUTE_PGM_RSRC3_GFX90A:ACCUM_OFFSET: 0
; COMPUTE_PGM_RSRC3_GFX90A:TG_SPLIT: 0
	.section	.text._ZN7rocprim17ROCPRIM_400000_NS6detail17trampoline_kernelINS0_14default_configENS1_35radix_sort_onesweep_config_selectorIiiEEZNS1_34radix_sort_onesweep_global_offsetsIS3_Lb0EN6thrust23THRUST_200600_302600_NS6detail15normal_iteratorINS8_10device_ptrIiEEEESD_jNS0_19identity_decomposerEEE10hipError_tT1_T2_PT3_SI_jT4_jjP12ihipStream_tbEUlT_E0_NS1_11comp_targetILNS1_3genE8ELNS1_11target_archE1030ELNS1_3gpuE2ELNS1_3repE0EEENS1_52radix_sort_onesweep_histogram_config_static_selectorELNS0_4arch9wavefront6targetE1EEEvSG_,"axG",@progbits,_ZN7rocprim17ROCPRIM_400000_NS6detail17trampoline_kernelINS0_14default_configENS1_35radix_sort_onesweep_config_selectorIiiEEZNS1_34radix_sort_onesweep_global_offsetsIS3_Lb0EN6thrust23THRUST_200600_302600_NS6detail15normal_iteratorINS8_10device_ptrIiEEEESD_jNS0_19identity_decomposerEEE10hipError_tT1_T2_PT3_SI_jT4_jjP12ihipStream_tbEUlT_E0_NS1_11comp_targetILNS1_3genE8ELNS1_11target_archE1030ELNS1_3gpuE2ELNS1_3repE0EEENS1_52radix_sort_onesweep_histogram_config_static_selectorELNS0_4arch9wavefront6targetE1EEEvSG_,comdat
	.protected	_ZN7rocprim17ROCPRIM_400000_NS6detail17trampoline_kernelINS0_14default_configENS1_35radix_sort_onesweep_config_selectorIiiEEZNS1_34radix_sort_onesweep_global_offsetsIS3_Lb0EN6thrust23THRUST_200600_302600_NS6detail15normal_iteratorINS8_10device_ptrIiEEEESD_jNS0_19identity_decomposerEEE10hipError_tT1_T2_PT3_SI_jT4_jjP12ihipStream_tbEUlT_E0_NS1_11comp_targetILNS1_3genE8ELNS1_11target_archE1030ELNS1_3gpuE2ELNS1_3repE0EEENS1_52radix_sort_onesweep_histogram_config_static_selectorELNS0_4arch9wavefront6targetE1EEEvSG_ ; -- Begin function _ZN7rocprim17ROCPRIM_400000_NS6detail17trampoline_kernelINS0_14default_configENS1_35radix_sort_onesweep_config_selectorIiiEEZNS1_34radix_sort_onesweep_global_offsetsIS3_Lb0EN6thrust23THRUST_200600_302600_NS6detail15normal_iteratorINS8_10device_ptrIiEEEESD_jNS0_19identity_decomposerEEE10hipError_tT1_T2_PT3_SI_jT4_jjP12ihipStream_tbEUlT_E0_NS1_11comp_targetILNS1_3genE8ELNS1_11target_archE1030ELNS1_3gpuE2ELNS1_3repE0EEENS1_52radix_sort_onesweep_histogram_config_static_selectorELNS0_4arch9wavefront6targetE1EEEvSG_
	.globl	_ZN7rocprim17ROCPRIM_400000_NS6detail17trampoline_kernelINS0_14default_configENS1_35radix_sort_onesweep_config_selectorIiiEEZNS1_34radix_sort_onesweep_global_offsetsIS3_Lb0EN6thrust23THRUST_200600_302600_NS6detail15normal_iteratorINS8_10device_ptrIiEEEESD_jNS0_19identity_decomposerEEE10hipError_tT1_T2_PT3_SI_jT4_jjP12ihipStream_tbEUlT_E0_NS1_11comp_targetILNS1_3genE8ELNS1_11target_archE1030ELNS1_3gpuE2ELNS1_3repE0EEENS1_52radix_sort_onesweep_histogram_config_static_selectorELNS0_4arch9wavefront6targetE1EEEvSG_
	.p2align	8
	.type	_ZN7rocprim17ROCPRIM_400000_NS6detail17trampoline_kernelINS0_14default_configENS1_35radix_sort_onesweep_config_selectorIiiEEZNS1_34radix_sort_onesweep_global_offsetsIS3_Lb0EN6thrust23THRUST_200600_302600_NS6detail15normal_iteratorINS8_10device_ptrIiEEEESD_jNS0_19identity_decomposerEEE10hipError_tT1_T2_PT3_SI_jT4_jjP12ihipStream_tbEUlT_E0_NS1_11comp_targetILNS1_3genE8ELNS1_11target_archE1030ELNS1_3gpuE2ELNS1_3repE0EEENS1_52radix_sort_onesweep_histogram_config_static_selectorELNS0_4arch9wavefront6targetE1EEEvSG_,@function
_ZN7rocprim17ROCPRIM_400000_NS6detail17trampoline_kernelINS0_14default_configENS1_35radix_sort_onesweep_config_selectorIiiEEZNS1_34radix_sort_onesweep_global_offsetsIS3_Lb0EN6thrust23THRUST_200600_302600_NS6detail15normal_iteratorINS8_10device_ptrIiEEEESD_jNS0_19identity_decomposerEEE10hipError_tT1_T2_PT3_SI_jT4_jjP12ihipStream_tbEUlT_E0_NS1_11comp_targetILNS1_3genE8ELNS1_11target_archE1030ELNS1_3gpuE2ELNS1_3repE0EEENS1_52radix_sort_onesweep_histogram_config_static_selectorELNS0_4arch9wavefront6targetE1EEEvSG_: ; @_ZN7rocprim17ROCPRIM_400000_NS6detail17trampoline_kernelINS0_14default_configENS1_35radix_sort_onesweep_config_selectorIiiEEZNS1_34radix_sort_onesweep_global_offsetsIS3_Lb0EN6thrust23THRUST_200600_302600_NS6detail15normal_iteratorINS8_10device_ptrIiEEEESD_jNS0_19identity_decomposerEEE10hipError_tT1_T2_PT3_SI_jT4_jjP12ihipStream_tbEUlT_E0_NS1_11comp_targetILNS1_3genE8ELNS1_11target_archE1030ELNS1_3gpuE2ELNS1_3repE0EEENS1_52radix_sort_onesweep_histogram_config_static_selectorELNS0_4arch9wavefront6targetE1EEEvSG_
; %bb.0:
	.section	.rodata,"a",@progbits
	.p2align	6, 0x0
	.amdhsa_kernel _ZN7rocprim17ROCPRIM_400000_NS6detail17trampoline_kernelINS0_14default_configENS1_35radix_sort_onesweep_config_selectorIiiEEZNS1_34radix_sort_onesweep_global_offsetsIS3_Lb0EN6thrust23THRUST_200600_302600_NS6detail15normal_iteratorINS8_10device_ptrIiEEEESD_jNS0_19identity_decomposerEEE10hipError_tT1_T2_PT3_SI_jT4_jjP12ihipStream_tbEUlT_E0_NS1_11comp_targetILNS1_3genE8ELNS1_11target_archE1030ELNS1_3gpuE2ELNS1_3repE0EEENS1_52radix_sort_onesweep_histogram_config_static_selectorELNS0_4arch9wavefront6targetE1EEEvSG_
		.amdhsa_group_segment_fixed_size 0
		.amdhsa_private_segment_fixed_size 0
		.amdhsa_kernarg_size 8
		.amdhsa_user_sgpr_count 2
		.amdhsa_user_sgpr_dispatch_ptr 0
		.amdhsa_user_sgpr_queue_ptr 0
		.amdhsa_user_sgpr_kernarg_segment_ptr 1
		.amdhsa_user_sgpr_dispatch_id 0
		.amdhsa_user_sgpr_kernarg_preload_length 0
		.amdhsa_user_sgpr_kernarg_preload_offset 0
		.amdhsa_user_sgpr_private_segment_size 0
		.amdhsa_uses_dynamic_stack 0
		.amdhsa_enable_private_segment 0
		.amdhsa_system_sgpr_workgroup_id_x 1
		.amdhsa_system_sgpr_workgroup_id_y 0
		.amdhsa_system_sgpr_workgroup_id_z 0
		.amdhsa_system_sgpr_workgroup_info 0
		.amdhsa_system_vgpr_workitem_id 0
		.amdhsa_next_free_vgpr 1
		.amdhsa_next_free_sgpr 0
		.amdhsa_accum_offset 4
		.amdhsa_reserve_vcc 0
		.amdhsa_float_round_mode_32 0
		.amdhsa_float_round_mode_16_64 0
		.amdhsa_float_denorm_mode_32 3
		.amdhsa_float_denorm_mode_16_64 3
		.amdhsa_dx10_clamp 1
		.amdhsa_ieee_mode 1
		.amdhsa_fp16_overflow 0
		.amdhsa_tg_split 0
		.amdhsa_exception_fp_ieee_invalid_op 0
		.amdhsa_exception_fp_denorm_src 0
		.amdhsa_exception_fp_ieee_div_zero 0
		.amdhsa_exception_fp_ieee_overflow 0
		.amdhsa_exception_fp_ieee_underflow 0
		.amdhsa_exception_fp_ieee_inexact 0
		.amdhsa_exception_int_div_zero 0
	.end_amdhsa_kernel
	.section	.text._ZN7rocprim17ROCPRIM_400000_NS6detail17trampoline_kernelINS0_14default_configENS1_35radix_sort_onesweep_config_selectorIiiEEZNS1_34radix_sort_onesweep_global_offsetsIS3_Lb0EN6thrust23THRUST_200600_302600_NS6detail15normal_iteratorINS8_10device_ptrIiEEEESD_jNS0_19identity_decomposerEEE10hipError_tT1_T2_PT3_SI_jT4_jjP12ihipStream_tbEUlT_E0_NS1_11comp_targetILNS1_3genE8ELNS1_11target_archE1030ELNS1_3gpuE2ELNS1_3repE0EEENS1_52radix_sort_onesweep_histogram_config_static_selectorELNS0_4arch9wavefront6targetE1EEEvSG_,"axG",@progbits,_ZN7rocprim17ROCPRIM_400000_NS6detail17trampoline_kernelINS0_14default_configENS1_35radix_sort_onesweep_config_selectorIiiEEZNS1_34radix_sort_onesweep_global_offsetsIS3_Lb0EN6thrust23THRUST_200600_302600_NS6detail15normal_iteratorINS8_10device_ptrIiEEEESD_jNS0_19identity_decomposerEEE10hipError_tT1_T2_PT3_SI_jT4_jjP12ihipStream_tbEUlT_E0_NS1_11comp_targetILNS1_3genE8ELNS1_11target_archE1030ELNS1_3gpuE2ELNS1_3repE0EEENS1_52radix_sort_onesweep_histogram_config_static_selectorELNS0_4arch9wavefront6targetE1EEEvSG_,comdat
.Lfunc_end1409:
	.size	_ZN7rocprim17ROCPRIM_400000_NS6detail17trampoline_kernelINS0_14default_configENS1_35radix_sort_onesweep_config_selectorIiiEEZNS1_34radix_sort_onesweep_global_offsetsIS3_Lb0EN6thrust23THRUST_200600_302600_NS6detail15normal_iteratorINS8_10device_ptrIiEEEESD_jNS0_19identity_decomposerEEE10hipError_tT1_T2_PT3_SI_jT4_jjP12ihipStream_tbEUlT_E0_NS1_11comp_targetILNS1_3genE8ELNS1_11target_archE1030ELNS1_3gpuE2ELNS1_3repE0EEENS1_52radix_sort_onesweep_histogram_config_static_selectorELNS0_4arch9wavefront6targetE1EEEvSG_, .Lfunc_end1409-_ZN7rocprim17ROCPRIM_400000_NS6detail17trampoline_kernelINS0_14default_configENS1_35radix_sort_onesweep_config_selectorIiiEEZNS1_34radix_sort_onesweep_global_offsetsIS3_Lb0EN6thrust23THRUST_200600_302600_NS6detail15normal_iteratorINS8_10device_ptrIiEEEESD_jNS0_19identity_decomposerEEE10hipError_tT1_T2_PT3_SI_jT4_jjP12ihipStream_tbEUlT_E0_NS1_11comp_targetILNS1_3genE8ELNS1_11target_archE1030ELNS1_3gpuE2ELNS1_3repE0EEENS1_52radix_sort_onesweep_histogram_config_static_selectorELNS0_4arch9wavefront6targetE1EEEvSG_
                                        ; -- End function
	.set _ZN7rocprim17ROCPRIM_400000_NS6detail17trampoline_kernelINS0_14default_configENS1_35radix_sort_onesweep_config_selectorIiiEEZNS1_34radix_sort_onesweep_global_offsetsIS3_Lb0EN6thrust23THRUST_200600_302600_NS6detail15normal_iteratorINS8_10device_ptrIiEEEESD_jNS0_19identity_decomposerEEE10hipError_tT1_T2_PT3_SI_jT4_jjP12ihipStream_tbEUlT_E0_NS1_11comp_targetILNS1_3genE8ELNS1_11target_archE1030ELNS1_3gpuE2ELNS1_3repE0EEENS1_52radix_sort_onesweep_histogram_config_static_selectorELNS0_4arch9wavefront6targetE1EEEvSG_.num_vgpr, 0
	.set _ZN7rocprim17ROCPRIM_400000_NS6detail17trampoline_kernelINS0_14default_configENS1_35radix_sort_onesweep_config_selectorIiiEEZNS1_34radix_sort_onesweep_global_offsetsIS3_Lb0EN6thrust23THRUST_200600_302600_NS6detail15normal_iteratorINS8_10device_ptrIiEEEESD_jNS0_19identity_decomposerEEE10hipError_tT1_T2_PT3_SI_jT4_jjP12ihipStream_tbEUlT_E0_NS1_11comp_targetILNS1_3genE8ELNS1_11target_archE1030ELNS1_3gpuE2ELNS1_3repE0EEENS1_52radix_sort_onesweep_histogram_config_static_selectorELNS0_4arch9wavefront6targetE1EEEvSG_.num_agpr, 0
	.set _ZN7rocprim17ROCPRIM_400000_NS6detail17trampoline_kernelINS0_14default_configENS1_35radix_sort_onesweep_config_selectorIiiEEZNS1_34radix_sort_onesweep_global_offsetsIS3_Lb0EN6thrust23THRUST_200600_302600_NS6detail15normal_iteratorINS8_10device_ptrIiEEEESD_jNS0_19identity_decomposerEEE10hipError_tT1_T2_PT3_SI_jT4_jjP12ihipStream_tbEUlT_E0_NS1_11comp_targetILNS1_3genE8ELNS1_11target_archE1030ELNS1_3gpuE2ELNS1_3repE0EEENS1_52radix_sort_onesweep_histogram_config_static_selectorELNS0_4arch9wavefront6targetE1EEEvSG_.numbered_sgpr, 0
	.set _ZN7rocprim17ROCPRIM_400000_NS6detail17trampoline_kernelINS0_14default_configENS1_35radix_sort_onesweep_config_selectorIiiEEZNS1_34radix_sort_onesweep_global_offsetsIS3_Lb0EN6thrust23THRUST_200600_302600_NS6detail15normal_iteratorINS8_10device_ptrIiEEEESD_jNS0_19identity_decomposerEEE10hipError_tT1_T2_PT3_SI_jT4_jjP12ihipStream_tbEUlT_E0_NS1_11comp_targetILNS1_3genE8ELNS1_11target_archE1030ELNS1_3gpuE2ELNS1_3repE0EEENS1_52radix_sort_onesweep_histogram_config_static_selectorELNS0_4arch9wavefront6targetE1EEEvSG_.num_named_barrier, 0
	.set _ZN7rocprim17ROCPRIM_400000_NS6detail17trampoline_kernelINS0_14default_configENS1_35radix_sort_onesweep_config_selectorIiiEEZNS1_34radix_sort_onesweep_global_offsetsIS3_Lb0EN6thrust23THRUST_200600_302600_NS6detail15normal_iteratorINS8_10device_ptrIiEEEESD_jNS0_19identity_decomposerEEE10hipError_tT1_T2_PT3_SI_jT4_jjP12ihipStream_tbEUlT_E0_NS1_11comp_targetILNS1_3genE8ELNS1_11target_archE1030ELNS1_3gpuE2ELNS1_3repE0EEENS1_52radix_sort_onesweep_histogram_config_static_selectorELNS0_4arch9wavefront6targetE1EEEvSG_.private_seg_size, 0
	.set _ZN7rocprim17ROCPRIM_400000_NS6detail17trampoline_kernelINS0_14default_configENS1_35radix_sort_onesweep_config_selectorIiiEEZNS1_34radix_sort_onesweep_global_offsetsIS3_Lb0EN6thrust23THRUST_200600_302600_NS6detail15normal_iteratorINS8_10device_ptrIiEEEESD_jNS0_19identity_decomposerEEE10hipError_tT1_T2_PT3_SI_jT4_jjP12ihipStream_tbEUlT_E0_NS1_11comp_targetILNS1_3genE8ELNS1_11target_archE1030ELNS1_3gpuE2ELNS1_3repE0EEENS1_52radix_sort_onesweep_histogram_config_static_selectorELNS0_4arch9wavefront6targetE1EEEvSG_.uses_vcc, 0
	.set _ZN7rocprim17ROCPRIM_400000_NS6detail17trampoline_kernelINS0_14default_configENS1_35radix_sort_onesweep_config_selectorIiiEEZNS1_34radix_sort_onesweep_global_offsetsIS3_Lb0EN6thrust23THRUST_200600_302600_NS6detail15normal_iteratorINS8_10device_ptrIiEEEESD_jNS0_19identity_decomposerEEE10hipError_tT1_T2_PT3_SI_jT4_jjP12ihipStream_tbEUlT_E0_NS1_11comp_targetILNS1_3genE8ELNS1_11target_archE1030ELNS1_3gpuE2ELNS1_3repE0EEENS1_52radix_sort_onesweep_histogram_config_static_selectorELNS0_4arch9wavefront6targetE1EEEvSG_.uses_flat_scratch, 0
	.set _ZN7rocprim17ROCPRIM_400000_NS6detail17trampoline_kernelINS0_14default_configENS1_35radix_sort_onesweep_config_selectorIiiEEZNS1_34radix_sort_onesweep_global_offsetsIS3_Lb0EN6thrust23THRUST_200600_302600_NS6detail15normal_iteratorINS8_10device_ptrIiEEEESD_jNS0_19identity_decomposerEEE10hipError_tT1_T2_PT3_SI_jT4_jjP12ihipStream_tbEUlT_E0_NS1_11comp_targetILNS1_3genE8ELNS1_11target_archE1030ELNS1_3gpuE2ELNS1_3repE0EEENS1_52radix_sort_onesweep_histogram_config_static_selectorELNS0_4arch9wavefront6targetE1EEEvSG_.has_dyn_sized_stack, 0
	.set _ZN7rocprim17ROCPRIM_400000_NS6detail17trampoline_kernelINS0_14default_configENS1_35radix_sort_onesweep_config_selectorIiiEEZNS1_34radix_sort_onesweep_global_offsetsIS3_Lb0EN6thrust23THRUST_200600_302600_NS6detail15normal_iteratorINS8_10device_ptrIiEEEESD_jNS0_19identity_decomposerEEE10hipError_tT1_T2_PT3_SI_jT4_jjP12ihipStream_tbEUlT_E0_NS1_11comp_targetILNS1_3genE8ELNS1_11target_archE1030ELNS1_3gpuE2ELNS1_3repE0EEENS1_52radix_sort_onesweep_histogram_config_static_selectorELNS0_4arch9wavefront6targetE1EEEvSG_.has_recursion, 0
	.set _ZN7rocprim17ROCPRIM_400000_NS6detail17trampoline_kernelINS0_14default_configENS1_35radix_sort_onesweep_config_selectorIiiEEZNS1_34radix_sort_onesweep_global_offsetsIS3_Lb0EN6thrust23THRUST_200600_302600_NS6detail15normal_iteratorINS8_10device_ptrIiEEEESD_jNS0_19identity_decomposerEEE10hipError_tT1_T2_PT3_SI_jT4_jjP12ihipStream_tbEUlT_E0_NS1_11comp_targetILNS1_3genE8ELNS1_11target_archE1030ELNS1_3gpuE2ELNS1_3repE0EEENS1_52radix_sort_onesweep_histogram_config_static_selectorELNS0_4arch9wavefront6targetE1EEEvSG_.has_indirect_call, 0
	.section	.AMDGPU.csdata,"",@progbits
; Kernel info:
; codeLenInByte = 0
; TotalNumSgprs: 6
; NumVgprs: 0
; NumAgprs: 0
; TotalNumVgprs: 0
; ScratchSize: 0
; MemoryBound: 0
; FloatMode: 240
; IeeeMode: 1
; LDSByteSize: 0 bytes/workgroup (compile time only)
; SGPRBlocks: 0
; VGPRBlocks: 0
; NumSGPRsForWavesPerEU: 6
; NumVGPRsForWavesPerEU: 1
; AccumOffset: 4
; Occupancy: 8
; WaveLimiterHint : 0
; COMPUTE_PGM_RSRC2:SCRATCH_EN: 0
; COMPUTE_PGM_RSRC2:USER_SGPR: 2
; COMPUTE_PGM_RSRC2:TRAP_HANDLER: 0
; COMPUTE_PGM_RSRC2:TGID_X_EN: 1
; COMPUTE_PGM_RSRC2:TGID_Y_EN: 0
; COMPUTE_PGM_RSRC2:TGID_Z_EN: 0
; COMPUTE_PGM_RSRC2:TIDIG_COMP_CNT: 0
; COMPUTE_PGM_RSRC3_GFX90A:ACCUM_OFFSET: 0
; COMPUTE_PGM_RSRC3_GFX90A:TG_SPLIT: 0
	.section	.text._ZN7rocprim17ROCPRIM_400000_NS6detail17trampoline_kernelINS0_14default_configENS1_25transform_config_selectorIiLb0EEEZNS1_14transform_implILb0ES3_S5_N6thrust23THRUST_200600_302600_NS6detail15normal_iteratorINS8_10device_ptrIiEEEEPiNS0_8identityIiEEEE10hipError_tT2_T3_mT4_P12ihipStream_tbEUlT_E_NS1_11comp_targetILNS1_3genE0ELNS1_11target_archE4294967295ELNS1_3gpuE0ELNS1_3repE0EEENS1_30default_config_static_selectorELNS0_4arch9wavefront6targetE1EEEvT1_,"axG",@progbits,_ZN7rocprim17ROCPRIM_400000_NS6detail17trampoline_kernelINS0_14default_configENS1_25transform_config_selectorIiLb0EEEZNS1_14transform_implILb0ES3_S5_N6thrust23THRUST_200600_302600_NS6detail15normal_iteratorINS8_10device_ptrIiEEEEPiNS0_8identityIiEEEE10hipError_tT2_T3_mT4_P12ihipStream_tbEUlT_E_NS1_11comp_targetILNS1_3genE0ELNS1_11target_archE4294967295ELNS1_3gpuE0ELNS1_3repE0EEENS1_30default_config_static_selectorELNS0_4arch9wavefront6targetE1EEEvT1_,comdat
	.protected	_ZN7rocprim17ROCPRIM_400000_NS6detail17trampoline_kernelINS0_14default_configENS1_25transform_config_selectorIiLb0EEEZNS1_14transform_implILb0ES3_S5_N6thrust23THRUST_200600_302600_NS6detail15normal_iteratorINS8_10device_ptrIiEEEEPiNS0_8identityIiEEEE10hipError_tT2_T3_mT4_P12ihipStream_tbEUlT_E_NS1_11comp_targetILNS1_3genE0ELNS1_11target_archE4294967295ELNS1_3gpuE0ELNS1_3repE0EEENS1_30default_config_static_selectorELNS0_4arch9wavefront6targetE1EEEvT1_ ; -- Begin function _ZN7rocprim17ROCPRIM_400000_NS6detail17trampoline_kernelINS0_14default_configENS1_25transform_config_selectorIiLb0EEEZNS1_14transform_implILb0ES3_S5_N6thrust23THRUST_200600_302600_NS6detail15normal_iteratorINS8_10device_ptrIiEEEEPiNS0_8identityIiEEEE10hipError_tT2_T3_mT4_P12ihipStream_tbEUlT_E_NS1_11comp_targetILNS1_3genE0ELNS1_11target_archE4294967295ELNS1_3gpuE0ELNS1_3repE0EEENS1_30default_config_static_selectorELNS0_4arch9wavefront6targetE1EEEvT1_
	.globl	_ZN7rocprim17ROCPRIM_400000_NS6detail17trampoline_kernelINS0_14default_configENS1_25transform_config_selectorIiLb0EEEZNS1_14transform_implILb0ES3_S5_N6thrust23THRUST_200600_302600_NS6detail15normal_iteratorINS8_10device_ptrIiEEEEPiNS0_8identityIiEEEE10hipError_tT2_T3_mT4_P12ihipStream_tbEUlT_E_NS1_11comp_targetILNS1_3genE0ELNS1_11target_archE4294967295ELNS1_3gpuE0ELNS1_3repE0EEENS1_30default_config_static_selectorELNS0_4arch9wavefront6targetE1EEEvT1_
	.p2align	8
	.type	_ZN7rocprim17ROCPRIM_400000_NS6detail17trampoline_kernelINS0_14default_configENS1_25transform_config_selectorIiLb0EEEZNS1_14transform_implILb0ES3_S5_N6thrust23THRUST_200600_302600_NS6detail15normal_iteratorINS8_10device_ptrIiEEEEPiNS0_8identityIiEEEE10hipError_tT2_T3_mT4_P12ihipStream_tbEUlT_E_NS1_11comp_targetILNS1_3genE0ELNS1_11target_archE4294967295ELNS1_3gpuE0ELNS1_3repE0EEENS1_30default_config_static_selectorELNS0_4arch9wavefront6targetE1EEEvT1_,@function
_ZN7rocprim17ROCPRIM_400000_NS6detail17trampoline_kernelINS0_14default_configENS1_25transform_config_selectorIiLb0EEEZNS1_14transform_implILb0ES3_S5_N6thrust23THRUST_200600_302600_NS6detail15normal_iteratorINS8_10device_ptrIiEEEEPiNS0_8identityIiEEEE10hipError_tT2_T3_mT4_P12ihipStream_tbEUlT_E_NS1_11comp_targetILNS1_3genE0ELNS1_11target_archE4294967295ELNS1_3gpuE0ELNS1_3repE0EEENS1_30default_config_static_selectorELNS0_4arch9wavefront6targetE1EEEvT1_: ; @_ZN7rocprim17ROCPRIM_400000_NS6detail17trampoline_kernelINS0_14default_configENS1_25transform_config_selectorIiLb0EEEZNS1_14transform_implILb0ES3_S5_N6thrust23THRUST_200600_302600_NS6detail15normal_iteratorINS8_10device_ptrIiEEEEPiNS0_8identityIiEEEE10hipError_tT2_T3_mT4_P12ihipStream_tbEUlT_E_NS1_11comp_targetILNS1_3genE0ELNS1_11target_archE4294967295ELNS1_3gpuE0ELNS1_3repE0EEENS1_30default_config_static_selectorELNS0_4arch9wavefront6targetE1EEEvT1_
; %bb.0:
	s_load_dwordx8 s[4:11], s[0:1], 0x0
	s_load_dword s3, s[0:1], 0x28
	s_waitcnt lgkmcnt(0)
	s_lshl_b64 s[0:1], s[6:7], 2
	s_add_u32 s4, s4, s0
	s_addc_u32 s5, s5, s1
	s_add_u32 s9, s10, s0
	s_addc_u32 s12, s11, s1
	s_lshl_b32 s0, s2, 8
	s_mov_b32 s1, 0
	s_add_i32 s3, s3, -1
	s_lshl_b64 s[6:7], s[0:1], 2
	s_add_u32 s10, s4, s6
	s_addc_u32 s11, s5, s7
	s_cmp_lg_u32 s2, s3
	s_cbranch_scc0 .LBB1410_2
; %bb.1:
	v_lshlrev_b32_e32 v2, 2, v0
	v_mov_b32_e32 v3, 0
	v_lshl_add_u64 v[4:5], s[10:11], 0, v[2:3]
	flat_load_dword v6, v[4:5]
	flat_load_dword v1, v[4:5] offset:512
	s_add_u32 s4, s9, s6
	s_addc_u32 s5, s12, s7
	v_lshl_add_u64 v[4:5], s[4:5], 0, v[2:3]
	s_waitcnt vmcnt(0) lgkmcnt(0)
	global_store_dword v2, v6, s[4:5]
	s_mov_b64 s[4:5], -1
	s_cbranch_execz .LBB1410_3
	s_branch .LBB1410_12
.LBB1410_2:
	s_mov_b64 s[4:5], 0
                                        ; implicit-def: $vgpr1
                                        ; implicit-def: $vgpr4_vgpr5
.LBB1410_3:
	s_sub_i32 s2, s8, s0
	v_mov_b32_e32 v2, 0
	v_cmp_gt_u32_e32 vcc, s2, v0
	v_mov_b32_e32 v3, v2
	s_and_saveexec_b64 s[0:1], vcc
	s_cbranch_execz .LBB1410_5
; %bb.4:
	v_lshlrev_b32_e32 v4, 2, v0
	v_mov_b32_e32 v5, v2
	v_lshl_add_u64 v[4:5], s[10:11], 0, v[4:5]
	flat_load_dword v4, v[4:5]
	v_mov_b32_e32 v5, v2
	s_waitcnt vmcnt(0) lgkmcnt(0)
	v_mov_b64_e32 v[2:3], v[4:5]
.LBB1410_5:
	s_or_b64 exec, exec, s[0:1]
	v_or_b32_e32 v1, 0x80, v0
	v_cmp_gt_u32_e64 s[0:1], s2, v1
	v_cmp_le_u32_e64 s[2:3], s2, v1
	s_and_saveexec_b64 s[14:15], s[2:3]
	s_xor_b64 s[2:3], exec, s[14:15]
	s_andn2_saveexec_b64 s[2:3], s[2:3]
	s_cbranch_execz .LBB1410_7
; %bb.6:
	v_lshlrev_b32_e32 v4, 2, v0
	v_mov_b32_e32 v5, 0
	v_lshl_add_u64 v[4:5], s[10:11], 0, v[4:5]
	flat_load_dword v3, v[4:5] offset:512
.LBB1410_7:
	s_or_b64 exec, exec, s[2:3]
	s_add_u32 s2, s9, s6
	v_mov_b32_e32 v5, 0
	s_addc_u32 s3, s12, s7
	v_lshlrev_b32_e32 v4, 2, v0
	v_cndmask_b32_e32 v1, 0, v2, vcc
	v_lshl_add_u64 v[4:5], s[2:3], 0, v[4:5]
	s_and_saveexec_b64 s[2:3], vcc
	s_cbranch_execz .LBB1410_9
; %bb.8:
	global_store_dword v[4:5], v1, off
.LBB1410_9:
	s_or_b64 exec, exec, s[2:3]
                                        ; implicit-def: $vgpr1
	s_and_saveexec_b64 s[2:3], s[0:1]
	s_cbranch_execz .LBB1410_11
; %bb.10:
	s_waitcnt vmcnt(0) lgkmcnt(0)
	v_cndmask_b32_e64 v1, 0, v3, s[0:1]
	s_or_b64 s[4:5], s[4:5], exec
.LBB1410_11:
	s_or_b64 exec, exec, s[2:3]
.LBB1410_12:
	s_and_saveexec_b64 s[0:1], s[4:5]
	s_cbranch_execnz .LBB1410_14
; %bb.13:
	s_endpgm
.LBB1410_14:
	global_store_dword v[4:5], v1, off offset:512
	s_endpgm
	.section	.rodata,"a",@progbits
	.p2align	6, 0x0
	.amdhsa_kernel _ZN7rocprim17ROCPRIM_400000_NS6detail17trampoline_kernelINS0_14default_configENS1_25transform_config_selectorIiLb0EEEZNS1_14transform_implILb0ES3_S5_N6thrust23THRUST_200600_302600_NS6detail15normal_iteratorINS8_10device_ptrIiEEEEPiNS0_8identityIiEEEE10hipError_tT2_T3_mT4_P12ihipStream_tbEUlT_E_NS1_11comp_targetILNS1_3genE0ELNS1_11target_archE4294967295ELNS1_3gpuE0ELNS1_3repE0EEENS1_30default_config_static_selectorELNS0_4arch9wavefront6targetE1EEEvT1_
		.amdhsa_group_segment_fixed_size 0
		.amdhsa_private_segment_fixed_size 0
		.amdhsa_kernarg_size 296
		.amdhsa_user_sgpr_count 2
		.amdhsa_user_sgpr_dispatch_ptr 0
		.amdhsa_user_sgpr_queue_ptr 0
		.amdhsa_user_sgpr_kernarg_segment_ptr 1
		.amdhsa_user_sgpr_dispatch_id 0
		.amdhsa_user_sgpr_kernarg_preload_length 0
		.amdhsa_user_sgpr_kernarg_preload_offset 0
		.amdhsa_user_sgpr_private_segment_size 0
		.amdhsa_uses_dynamic_stack 0
		.amdhsa_enable_private_segment 0
		.amdhsa_system_sgpr_workgroup_id_x 1
		.amdhsa_system_sgpr_workgroup_id_y 0
		.amdhsa_system_sgpr_workgroup_id_z 0
		.amdhsa_system_sgpr_workgroup_info 0
		.amdhsa_system_vgpr_workitem_id 0
		.amdhsa_next_free_vgpr 7
		.amdhsa_next_free_sgpr 16
		.amdhsa_accum_offset 8
		.amdhsa_reserve_vcc 1
		.amdhsa_float_round_mode_32 0
		.amdhsa_float_round_mode_16_64 0
		.amdhsa_float_denorm_mode_32 3
		.amdhsa_float_denorm_mode_16_64 3
		.amdhsa_dx10_clamp 1
		.amdhsa_ieee_mode 1
		.amdhsa_fp16_overflow 0
		.amdhsa_tg_split 0
		.amdhsa_exception_fp_ieee_invalid_op 0
		.amdhsa_exception_fp_denorm_src 0
		.amdhsa_exception_fp_ieee_div_zero 0
		.amdhsa_exception_fp_ieee_overflow 0
		.amdhsa_exception_fp_ieee_underflow 0
		.amdhsa_exception_fp_ieee_inexact 0
		.amdhsa_exception_int_div_zero 0
	.end_amdhsa_kernel
	.section	.text._ZN7rocprim17ROCPRIM_400000_NS6detail17trampoline_kernelINS0_14default_configENS1_25transform_config_selectorIiLb0EEEZNS1_14transform_implILb0ES3_S5_N6thrust23THRUST_200600_302600_NS6detail15normal_iteratorINS8_10device_ptrIiEEEEPiNS0_8identityIiEEEE10hipError_tT2_T3_mT4_P12ihipStream_tbEUlT_E_NS1_11comp_targetILNS1_3genE0ELNS1_11target_archE4294967295ELNS1_3gpuE0ELNS1_3repE0EEENS1_30default_config_static_selectorELNS0_4arch9wavefront6targetE1EEEvT1_,"axG",@progbits,_ZN7rocprim17ROCPRIM_400000_NS6detail17trampoline_kernelINS0_14default_configENS1_25transform_config_selectorIiLb0EEEZNS1_14transform_implILb0ES3_S5_N6thrust23THRUST_200600_302600_NS6detail15normal_iteratorINS8_10device_ptrIiEEEEPiNS0_8identityIiEEEE10hipError_tT2_T3_mT4_P12ihipStream_tbEUlT_E_NS1_11comp_targetILNS1_3genE0ELNS1_11target_archE4294967295ELNS1_3gpuE0ELNS1_3repE0EEENS1_30default_config_static_selectorELNS0_4arch9wavefront6targetE1EEEvT1_,comdat
.Lfunc_end1410:
	.size	_ZN7rocprim17ROCPRIM_400000_NS6detail17trampoline_kernelINS0_14default_configENS1_25transform_config_selectorIiLb0EEEZNS1_14transform_implILb0ES3_S5_N6thrust23THRUST_200600_302600_NS6detail15normal_iteratorINS8_10device_ptrIiEEEEPiNS0_8identityIiEEEE10hipError_tT2_T3_mT4_P12ihipStream_tbEUlT_E_NS1_11comp_targetILNS1_3genE0ELNS1_11target_archE4294967295ELNS1_3gpuE0ELNS1_3repE0EEENS1_30default_config_static_selectorELNS0_4arch9wavefront6targetE1EEEvT1_, .Lfunc_end1410-_ZN7rocprim17ROCPRIM_400000_NS6detail17trampoline_kernelINS0_14default_configENS1_25transform_config_selectorIiLb0EEEZNS1_14transform_implILb0ES3_S5_N6thrust23THRUST_200600_302600_NS6detail15normal_iteratorINS8_10device_ptrIiEEEEPiNS0_8identityIiEEEE10hipError_tT2_T3_mT4_P12ihipStream_tbEUlT_E_NS1_11comp_targetILNS1_3genE0ELNS1_11target_archE4294967295ELNS1_3gpuE0ELNS1_3repE0EEENS1_30default_config_static_selectorELNS0_4arch9wavefront6targetE1EEEvT1_
                                        ; -- End function
	.set _ZN7rocprim17ROCPRIM_400000_NS6detail17trampoline_kernelINS0_14default_configENS1_25transform_config_selectorIiLb0EEEZNS1_14transform_implILb0ES3_S5_N6thrust23THRUST_200600_302600_NS6detail15normal_iteratorINS8_10device_ptrIiEEEEPiNS0_8identityIiEEEE10hipError_tT2_T3_mT4_P12ihipStream_tbEUlT_E_NS1_11comp_targetILNS1_3genE0ELNS1_11target_archE4294967295ELNS1_3gpuE0ELNS1_3repE0EEENS1_30default_config_static_selectorELNS0_4arch9wavefront6targetE1EEEvT1_.num_vgpr, 7
	.set _ZN7rocprim17ROCPRIM_400000_NS6detail17trampoline_kernelINS0_14default_configENS1_25transform_config_selectorIiLb0EEEZNS1_14transform_implILb0ES3_S5_N6thrust23THRUST_200600_302600_NS6detail15normal_iteratorINS8_10device_ptrIiEEEEPiNS0_8identityIiEEEE10hipError_tT2_T3_mT4_P12ihipStream_tbEUlT_E_NS1_11comp_targetILNS1_3genE0ELNS1_11target_archE4294967295ELNS1_3gpuE0ELNS1_3repE0EEENS1_30default_config_static_selectorELNS0_4arch9wavefront6targetE1EEEvT1_.num_agpr, 0
	.set _ZN7rocprim17ROCPRIM_400000_NS6detail17trampoline_kernelINS0_14default_configENS1_25transform_config_selectorIiLb0EEEZNS1_14transform_implILb0ES3_S5_N6thrust23THRUST_200600_302600_NS6detail15normal_iteratorINS8_10device_ptrIiEEEEPiNS0_8identityIiEEEE10hipError_tT2_T3_mT4_P12ihipStream_tbEUlT_E_NS1_11comp_targetILNS1_3genE0ELNS1_11target_archE4294967295ELNS1_3gpuE0ELNS1_3repE0EEENS1_30default_config_static_selectorELNS0_4arch9wavefront6targetE1EEEvT1_.numbered_sgpr, 16
	.set _ZN7rocprim17ROCPRIM_400000_NS6detail17trampoline_kernelINS0_14default_configENS1_25transform_config_selectorIiLb0EEEZNS1_14transform_implILb0ES3_S5_N6thrust23THRUST_200600_302600_NS6detail15normal_iteratorINS8_10device_ptrIiEEEEPiNS0_8identityIiEEEE10hipError_tT2_T3_mT4_P12ihipStream_tbEUlT_E_NS1_11comp_targetILNS1_3genE0ELNS1_11target_archE4294967295ELNS1_3gpuE0ELNS1_3repE0EEENS1_30default_config_static_selectorELNS0_4arch9wavefront6targetE1EEEvT1_.num_named_barrier, 0
	.set _ZN7rocprim17ROCPRIM_400000_NS6detail17trampoline_kernelINS0_14default_configENS1_25transform_config_selectorIiLb0EEEZNS1_14transform_implILb0ES3_S5_N6thrust23THRUST_200600_302600_NS6detail15normal_iteratorINS8_10device_ptrIiEEEEPiNS0_8identityIiEEEE10hipError_tT2_T3_mT4_P12ihipStream_tbEUlT_E_NS1_11comp_targetILNS1_3genE0ELNS1_11target_archE4294967295ELNS1_3gpuE0ELNS1_3repE0EEENS1_30default_config_static_selectorELNS0_4arch9wavefront6targetE1EEEvT1_.private_seg_size, 0
	.set _ZN7rocprim17ROCPRIM_400000_NS6detail17trampoline_kernelINS0_14default_configENS1_25transform_config_selectorIiLb0EEEZNS1_14transform_implILb0ES3_S5_N6thrust23THRUST_200600_302600_NS6detail15normal_iteratorINS8_10device_ptrIiEEEEPiNS0_8identityIiEEEE10hipError_tT2_T3_mT4_P12ihipStream_tbEUlT_E_NS1_11comp_targetILNS1_3genE0ELNS1_11target_archE4294967295ELNS1_3gpuE0ELNS1_3repE0EEENS1_30default_config_static_selectorELNS0_4arch9wavefront6targetE1EEEvT1_.uses_vcc, 1
	.set _ZN7rocprim17ROCPRIM_400000_NS6detail17trampoline_kernelINS0_14default_configENS1_25transform_config_selectorIiLb0EEEZNS1_14transform_implILb0ES3_S5_N6thrust23THRUST_200600_302600_NS6detail15normal_iteratorINS8_10device_ptrIiEEEEPiNS0_8identityIiEEEE10hipError_tT2_T3_mT4_P12ihipStream_tbEUlT_E_NS1_11comp_targetILNS1_3genE0ELNS1_11target_archE4294967295ELNS1_3gpuE0ELNS1_3repE0EEENS1_30default_config_static_selectorELNS0_4arch9wavefront6targetE1EEEvT1_.uses_flat_scratch, 0
	.set _ZN7rocprim17ROCPRIM_400000_NS6detail17trampoline_kernelINS0_14default_configENS1_25transform_config_selectorIiLb0EEEZNS1_14transform_implILb0ES3_S5_N6thrust23THRUST_200600_302600_NS6detail15normal_iteratorINS8_10device_ptrIiEEEEPiNS0_8identityIiEEEE10hipError_tT2_T3_mT4_P12ihipStream_tbEUlT_E_NS1_11comp_targetILNS1_3genE0ELNS1_11target_archE4294967295ELNS1_3gpuE0ELNS1_3repE0EEENS1_30default_config_static_selectorELNS0_4arch9wavefront6targetE1EEEvT1_.has_dyn_sized_stack, 0
	.set _ZN7rocprim17ROCPRIM_400000_NS6detail17trampoline_kernelINS0_14default_configENS1_25transform_config_selectorIiLb0EEEZNS1_14transform_implILb0ES3_S5_N6thrust23THRUST_200600_302600_NS6detail15normal_iteratorINS8_10device_ptrIiEEEEPiNS0_8identityIiEEEE10hipError_tT2_T3_mT4_P12ihipStream_tbEUlT_E_NS1_11comp_targetILNS1_3genE0ELNS1_11target_archE4294967295ELNS1_3gpuE0ELNS1_3repE0EEENS1_30default_config_static_selectorELNS0_4arch9wavefront6targetE1EEEvT1_.has_recursion, 0
	.set _ZN7rocprim17ROCPRIM_400000_NS6detail17trampoline_kernelINS0_14default_configENS1_25transform_config_selectorIiLb0EEEZNS1_14transform_implILb0ES3_S5_N6thrust23THRUST_200600_302600_NS6detail15normal_iteratorINS8_10device_ptrIiEEEEPiNS0_8identityIiEEEE10hipError_tT2_T3_mT4_P12ihipStream_tbEUlT_E_NS1_11comp_targetILNS1_3genE0ELNS1_11target_archE4294967295ELNS1_3gpuE0ELNS1_3repE0EEENS1_30default_config_static_selectorELNS0_4arch9wavefront6targetE1EEEvT1_.has_indirect_call, 0
	.section	.AMDGPU.csdata,"",@progbits
; Kernel info:
; codeLenInByte = 380
; TotalNumSgprs: 22
; NumVgprs: 7
; NumAgprs: 0
; TotalNumVgprs: 7
; ScratchSize: 0
; MemoryBound: 0
; FloatMode: 240
; IeeeMode: 1
; LDSByteSize: 0 bytes/workgroup (compile time only)
; SGPRBlocks: 2
; VGPRBlocks: 0
; NumSGPRsForWavesPerEU: 22
; NumVGPRsForWavesPerEU: 7
; AccumOffset: 8
; Occupancy: 8
; WaveLimiterHint : 1
; COMPUTE_PGM_RSRC2:SCRATCH_EN: 0
; COMPUTE_PGM_RSRC2:USER_SGPR: 2
; COMPUTE_PGM_RSRC2:TRAP_HANDLER: 0
; COMPUTE_PGM_RSRC2:TGID_X_EN: 1
; COMPUTE_PGM_RSRC2:TGID_Y_EN: 0
; COMPUTE_PGM_RSRC2:TGID_Z_EN: 0
; COMPUTE_PGM_RSRC2:TIDIG_COMP_CNT: 0
; COMPUTE_PGM_RSRC3_GFX90A:ACCUM_OFFSET: 1
; COMPUTE_PGM_RSRC3_GFX90A:TG_SPLIT: 0
	.section	.text._ZN7rocprim17ROCPRIM_400000_NS6detail17trampoline_kernelINS0_14default_configENS1_25transform_config_selectorIiLb0EEEZNS1_14transform_implILb0ES3_S5_N6thrust23THRUST_200600_302600_NS6detail15normal_iteratorINS8_10device_ptrIiEEEEPiNS0_8identityIiEEEE10hipError_tT2_T3_mT4_P12ihipStream_tbEUlT_E_NS1_11comp_targetILNS1_3genE5ELNS1_11target_archE942ELNS1_3gpuE9ELNS1_3repE0EEENS1_30default_config_static_selectorELNS0_4arch9wavefront6targetE1EEEvT1_,"axG",@progbits,_ZN7rocprim17ROCPRIM_400000_NS6detail17trampoline_kernelINS0_14default_configENS1_25transform_config_selectorIiLb0EEEZNS1_14transform_implILb0ES3_S5_N6thrust23THRUST_200600_302600_NS6detail15normal_iteratorINS8_10device_ptrIiEEEEPiNS0_8identityIiEEEE10hipError_tT2_T3_mT4_P12ihipStream_tbEUlT_E_NS1_11comp_targetILNS1_3genE5ELNS1_11target_archE942ELNS1_3gpuE9ELNS1_3repE0EEENS1_30default_config_static_selectorELNS0_4arch9wavefront6targetE1EEEvT1_,comdat
	.protected	_ZN7rocprim17ROCPRIM_400000_NS6detail17trampoline_kernelINS0_14default_configENS1_25transform_config_selectorIiLb0EEEZNS1_14transform_implILb0ES3_S5_N6thrust23THRUST_200600_302600_NS6detail15normal_iteratorINS8_10device_ptrIiEEEEPiNS0_8identityIiEEEE10hipError_tT2_T3_mT4_P12ihipStream_tbEUlT_E_NS1_11comp_targetILNS1_3genE5ELNS1_11target_archE942ELNS1_3gpuE9ELNS1_3repE0EEENS1_30default_config_static_selectorELNS0_4arch9wavefront6targetE1EEEvT1_ ; -- Begin function _ZN7rocprim17ROCPRIM_400000_NS6detail17trampoline_kernelINS0_14default_configENS1_25transform_config_selectorIiLb0EEEZNS1_14transform_implILb0ES3_S5_N6thrust23THRUST_200600_302600_NS6detail15normal_iteratorINS8_10device_ptrIiEEEEPiNS0_8identityIiEEEE10hipError_tT2_T3_mT4_P12ihipStream_tbEUlT_E_NS1_11comp_targetILNS1_3genE5ELNS1_11target_archE942ELNS1_3gpuE9ELNS1_3repE0EEENS1_30default_config_static_selectorELNS0_4arch9wavefront6targetE1EEEvT1_
	.globl	_ZN7rocprim17ROCPRIM_400000_NS6detail17trampoline_kernelINS0_14default_configENS1_25transform_config_selectorIiLb0EEEZNS1_14transform_implILb0ES3_S5_N6thrust23THRUST_200600_302600_NS6detail15normal_iteratorINS8_10device_ptrIiEEEEPiNS0_8identityIiEEEE10hipError_tT2_T3_mT4_P12ihipStream_tbEUlT_E_NS1_11comp_targetILNS1_3genE5ELNS1_11target_archE942ELNS1_3gpuE9ELNS1_3repE0EEENS1_30default_config_static_selectorELNS0_4arch9wavefront6targetE1EEEvT1_
	.p2align	8
	.type	_ZN7rocprim17ROCPRIM_400000_NS6detail17trampoline_kernelINS0_14default_configENS1_25transform_config_selectorIiLb0EEEZNS1_14transform_implILb0ES3_S5_N6thrust23THRUST_200600_302600_NS6detail15normal_iteratorINS8_10device_ptrIiEEEEPiNS0_8identityIiEEEE10hipError_tT2_T3_mT4_P12ihipStream_tbEUlT_E_NS1_11comp_targetILNS1_3genE5ELNS1_11target_archE942ELNS1_3gpuE9ELNS1_3repE0EEENS1_30default_config_static_selectorELNS0_4arch9wavefront6targetE1EEEvT1_,@function
_ZN7rocprim17ROCPRIM_400000_NS6detail17trampoline_kernelINS0_14default_configENS1_25transform_config_selectorIiLb0EEEZNS1_14transform_implILb0ES3_S5_N6thrust23THRUST_200600_302600_NS6detail15normal_iteratorINS8_10device_ptrIiEEEEPiNS0_8identityIiEEEE10hipError_tT2_T3_mT4_P12ihipStream_tbEUlT_E_NS1_11comp_targetILNS1_3genE5ELNS1_11target_archE942ELNS1_3gpuE9ELNS1_3repE0EEENS1_30default_config_static_selectorELNS0_4arch9wavefront6targetE1EEEvT1_: ; @_ZN7rocprim17ROCPRIM_400000_NS6detail17trampoline_kernelINS0_14default_configENS1_25transform_config_selectorIiLb0EEEZNS1_14transform_implILb0ES3_S5_N6thrust23THRUST_200600_302600_NS6detail15normal_iteratorINS8_10device_ptrIiEEEEPiNS0_8identityIiEEEE10hipError_tT2_T3_mT4_P12ihipStream_tbEUlT_E_NS1_11comp_targetILNS1_3genE5ELNS1_11target_archE942ELNS1_3gpuE9ELNS1_3repE0EEENS1_30default_config_static_selectorELNS0_4arch9wavefront6targetE1EEEvT1_
; %bb.0:
	.section	.rodata,"a",@progbits
	.p2align	6, 0x0
	.amdhsa_kernel _ZN7rocprim17ROCPRIM_400000_NS6detail17trampoline_kernelINS0_14default_configENS1_25transform_config_selectorIiLb0EEEZNS1_14transform_implILb0ES3_S5_N6thrust23THRUST_200600_302600_NS6detail15normal_iteratorINS8_10device_ptrIiEEEEPiNS0_8identityIiEEEE10hipError_tT2_T3_mT4_P12ihipStream_tbEUlT_E_NS1_11comp_targetILNS1_3genE5ELNS1_11target_archE942ELNS1_3gpuE9ELNS1_3repE0EEENS1_30default_config_static_selectorELNS0_4arch9wavefront6targetE1EEEvT1_
		.amdhsa_group_segment_fixed_size 0
		.amdhsa_private_segment_fixed_size 0
		.amdhsa_kernarg_size 40
		.amdhsa_user_sgpr_count 2
		.amdhsa_user_sgpr_dispatch_ptr 0
		.amdhsa_user_sgpr_queue_ptr 0
		.amdhsa_user_sgpr_kernarg_segment_ptr 1
		.amdhsa_user_sgpr_dispatch_id 0
		.amdhsa_user_sgpr_kernarg_preload_length 0
		.amdhsa_user_sgpr_kernarg_preload_offset 0
		.amdhsa_user_sgpr_private_segment_size 0
		.amdhsa_uses_dynamic_stack 0
		.amdhsa_enable_private_segment 0
		.amdhsa_system_sgpr_workgroup_id_x 1
		.amdhsa_system_sgpr_workgroup_id_y 0
		.amdhsa_system_sgpr_workgroup_id_z 0
		.amdhsa_system_sgpr_workgroup_info 0
		.amdhsa_system_vgpr_workitem_id 0
		.amdhsa_next_free_vgpr 1
		.amdhsa_next_free_sgpr 0
		.amdhsa_accum_offset 4
		.amdhsa_reserve_vcc 0
		.amdhsa_float_round_mode_32 0
		.amdhsa_float_round_mode_16_64 0
		.amdhsa_float_denorm_mode_32 3
		.amdhsa_float_denorm_mode_16_64 3
		.amdhsa_dx10_clamp 1
		.amdhsa_ieee_mode 1
		.amdhsa_fp16_overflow 0
		.amdhsa_tg_split 0
		.amdhsa_exception_fp_ieee_invalid_op 0
		.amdhsa_exception_fp_denorm_src 0
		.amdhsa_exception_fp_ieee_div_zero 0
		.amdhsa_exception_fp_ieee_overflow 0
		.amdhsa_exception_fp_ieee_underflow 0
		.amdhsa_exception_fp_ieee_inexact 0
		.amdhsa_exception_int_div_zero 0
	.end_amdhsa_kernel
	.section	.text._ZN7rocprim17ROCPRIM_400000_NS6detail17trampoline_kernelINS0_14default_configENS1_25transform_config_selectorIiLb0EEEZNS1_14transform_implILb0ES3_S5_N6thrust23THRUST_200600_302600_NS6detail15normal_iteratorINS8_10device_ptrIiEEEEPiNS0_8identityIiEEEE10hipError_tT2_T3_mT4_P12ihipStream_tbEUlT_E_NS1_11comp_targetILNS1_3genE5ELNS1_11target_archE942ELNS1_3gpuE9ELNS1_3repE0EEENS1_30default_config_static_selectorELNS0_4arch9wavefront6targetE1EEEvT1_,"axG",@progbits,_ZN7rocprim17ROCPRIM_400000_NS6detail17trampoline_kernelINS0_14default_configENS1_25transform_config_selectorIiLb0EEEZNS1_14transform_implILb0ES3_S5_N6thrust23THRUST_200600_302600_NS6detail15normal_iteratorINS8_10device_ptrIiEEEEPiNS0_8identityIiEEEE10hipError_tT2_T3_mT4_P12ihipStream_tbEUlT_E_NS1_11comp_targetILNS1_3genE5ELNS1_11target_archE942ELNS1_3gpuE9ELNS1_3repE0EEENS1_30default_config_static_selectorELNS0_4arch9wavefront6targetE1EEEvT1_,comdat
.Lfunc_end1411:
	.size	_ZN7rocprim17ROCPRIM_400000_NS6detail17trampoline_kernelINS0_14default_configENS1_25transform_config_selectorIiLb0EEEZNS1_14transform_implILb0ES3_S5_N6thrust23THRUST_200600_302600_NS6detail15normal_iteratorINS8_10device_ptrIiEEEEPiNS0_8identityIiEEEE10hipError_tT2_T3_mT4_P12ihipStream_tbEUlT_E_NS1_11comp_targetILNS1_3genE5ELNS1_11target_archE942ELNS1_3gpuE9ELNS1_3repE0EEENS1_30default_config_static_selectorELNS0_4arch9wavefront6targetE1EEEvT1_, .Lfunc_end1411-_ZN7rocprim17ROCPRIM_400000_NS6detail17trampoline_kernelINS0_14default_configENS1_25transform_config_selectorIiLb0EEEZNS1_14transform_implILb0ES3_S5_N6thrust23THRUST_200600_302600_NS6detail15normal_iteratorINS8_10device_ptrIiEEEEPiNS0_8identityIiEEEE10hipError_tT2_T3_mT4_P12ihipStream_tbEUlT_E_NS1_11comp_targetILNS1_3genE5ELNS1_11target_archE942ELNS1_3gpuE9ELNS1_3repE0EEENS1_30default_config_static_selectorELNS0_4arch9wavefront6targetE1EEEvT1_
                                        ; -- End function
	.set _ZN7rocprim17ROCPRIM_400000_NS6detail17trampoline_kernelINS0_14default_configENS1_25transform_config_selectorIiLb0EEEZNS1_14transform_implILb0ES3_S5_N6thrust23THRUST_200600_302600_NS6detail15normal_iteratorINS8_10device_ptrIiEEEEPiNS0_8identityIiEEEE10hipError_tT2_T3_mT4_P12ihipStream_tbEUlT_E_NS1_11comp_targetILNS1_3genE5ELNS1_11target_archE942ELNS1_3gpuE9ELNS1_3repE0EEENS1_30default_config_static_selectorELNS0_4arch9wavefront6targetE1EEEvT1_.num_vgpr, 0
	.set _ZN7rocprim17ROCPRIM_400000_NS6detail17trampoline_kernelINS0_14default_configENS1_25transform_config_selectorIiLb0EEEZNS1_14transform_implILb0ES3_S5_N6thrust23THRUST_200600_302600_NS6detail15normal_iteratorINS8_10device_ptrIiEEEEPiNS0_8identityIiEEEE10hipError_tT2_T3_mT4_P12ihipStream_tbEUlT_E_NS1_11comp_targetILNS1_3genE5ELNS1_11target_archE942ELNS1_3gpuE9ELNS1_3repE0EEENS1_30default_config_static_selectorELNS0_4arch9wavefront6targetE1EEEvT1_.num_agpr, 0
	.set _ZN7rocprim17ROCPRIM_400000_NS6detail17trampoline_kernelINS0_14default_configENS1_25transform_config_selectorIiLb0EEEZNS1_14transform_implILb0ES3_S5_N6thrust23THRUST_200600_302600_NS6detail15normal_iteratorINS8_10device_ptrIiEEEEPiNS0_8identityIiEEEE10hipError_tT2_T3_mT4_P12ihipStream_tbEUlT_E_NS1_11comp_targetILNS1_3genE5ELNS1_11target_archE942ELNS1_3gpuE9ELNS1_3repE0EEENS1_30default_config_static_selectorELNS0_4arch9wavefront6targetE1EEEvT1_.numbered_sgpr, 0
	.set _ZN7rocprim17ROCPRIM_400000_NS6detail17trampoline_kernelINS0_14default_configENS1_25transform_config_selectorIiLb0EEEZNS1_14transform_implILb0ES3_S5_N6thrust23THRUST_200600_302600_NS6detail15normal_iteratorINS8_10device_ptrIiEEEEPiNS0_8identityIiEEEE10hipError_tT2_T3_mT4_P12ihipStream_tbEUlT_E_NS1_11comp_targetILNS1_3genE5ELNS1_11target_archE942ELNS1_3gpuE9ELNS1_3repE0EEENS1_30default_config_static_selectorELNS0_4arch9wavefront6targetE1EEEvT1_.num_named_barrier, 0
	.set _ZN7rocprim17ROCPRIM_400000_NS6detail17trampoline_kernelINS0_14default_configENS1_25transform_config_selectorIiLb0EEEZNS1_14transform_implILb0ES3_S5_N6thrust23THRUST_200600_302600_NS6detail15normal_iteratorINS8_10device_ptrIiEEEEPiNS0_8identityIiEEEE10hipError_tT2_T3_mT4_P12ihipStream_tbEUlT_E_NS1_11comp_targetILNS1_3genE5ELNS1_11target_archE942ELNS1_3gpuE9ELNS1_3repE0EEENS1_30default_config_static_selectorELNS0_4arch9wavefront6targetE1EEEvT1_.private_seg_size, 0
	.set _ZN7rocprim17ROCPRIM_400000_NS6detail17trampoline_kernelINS0_14default_configENS1_25transform_config_selectorIiLb0EEEZNS1_14transform_implILb0ES3_S5_N6thrust23THRUST_200600_302600_NS6detail15normal_iteratorINS8_10device_ptrIiEEEEPiNS0_8identityIiEEEE10hipError_tT2_T3_mT4_P12ihipStream_tbEUlT_E_NS1_11comp_targetILNS1_3genE5ELNS1_11target_archE942ELNS1_3gpuE9ELNS1_3repE0EEENS1_30default_config_static_selectorELNS0_4arch9wavefront6targetE1EEEvT1_.uses_vcc, 0
	.set _ZN7rocprim17ROCPRIM_400000_NS6detail17trampoline_kernelINS0_14default_configENS1_25transform_config_selectorIiLb0EEEZNS1_14transform_implILb0ES3_S5_N6thrust23THRUST_200600_302600_NS6detail15normal_iteratorINS8_10device_ptrIiEEEEPiNS0_8identityIiEEEE10hipError_tT2_T3_mT4_P12ihipStream_tbEUlT_E_NS1_11comp_targetILNS1_3genE5ELNS1_11target_archE942ELNS1_3gpuE9ELNS1_3repE0EEENS1_30default_config_static_selectorELNS0_4arch9wavefront6targetE1EEEvT1_.uses_flat_scratch, 0
	.set _ZN7rocprim17ROCPRIM_400000_NS6detail17trampoline_kernelINS0_14default_configENS1_25transform_config_selectorIiLb0EEEZNS1_14transform_implILb0ES3_S5_N6thrust23THRUST_200600_302600_NS6detail15normal_iteratorINS8_10device_ptrIiEEEEPiNS0_8identityIiEEEE10hipError_tT2_T3_mT4_P12ihipStream_tbEUlT_E_NS1_11comp_targetILNS1_3genE5ELNS1_11target_archE942ELNS1_3gpuE9ELNS1_3repE0EEENS1_30default_config_static_selectorELNS0_4arch9wavefront6targetE1EEEvT1_.has_dyn_sized_stack, 0
	.set _ZN7rocprim17ROCPRIM_400000_NS6detail17trampoline_kernelINS0_14default_configENS1_25transform_config_selectorIiLb0EEEZNS1_14transform_implILb0ES3_S5_N6thrust23THRUST_200600_302600_NS6detail15normal_iteratorINS8_10device_ptrIiEEEEPiNS0_8identityIiEEEE10hipError_tT2_T3_mT4_P12ihipStream_tbEUlT_E_NS1_11comp_targetILNS1_3genE5ELNS1_11target_archE942ELNS1_3gpuE9ELNS1_3repE0EEENS1_30default_config_static_selectorELNS0_4arch9wavefront6targetE1EEEvT1_.has_recursion, 0
	.set _ZN7rocprim17ROCPRIM_400000_NS6detail17trampoline_kernelINS0_14default_configENS1_25transform_config_selectorIiLb0EEEZNS1_14transform_implILb0ES3_S5_N6thrust23THRUST_200600_302600_NS6detail15normal_iteratorINS8_10device_ptrIiEEEEPiNS0_8identityIiEEEE10hipError_tT2_T3_mT4_P12ihipStream_tbEUlT_E_NS1_11comp_targetILNS1_3genE5ELNS1_11target_archE942ELNS1_3gpuE9ELNS1_3repE0EEENS1_30default_config_static_selectorELNS0_4arch9wavefront6targetE1EEEvT1_.has_indirect_call, 0
	.section	.AMDGPU.csdata,"",@progbits
; Kernel info:
; codeLenInByte = 0
; TotalNumSgprs: 6
; NumVgprs: 0
; NumAgprs: 0
; TotalNumVgprs: 0
; ScratchSize: 0
; MemoryBound: 0
; FloatMode: 240
; IeeeMode: 1
; LDSByteSize: 0 bytes/workgroup (compile time only)
; SGPRBlocks: 0
; VGPRBlocks: 0
; NumSGPRsForWavesPerEU: 6
; NumVGPRsForWavesPerEU: 1
; AccumOffset: 4
; Occupancy: 8
; WaveLimiterHint : 0
; COMPUTE_PGM_RSRC2:SCRATCH_EN: 0
; COMPUTE_PGM_RSRC2:USER_SGPR: 2
; COMPUTE_PGM_RSRC2:TRAP_HANDLER: 0
; COMPUTE_PGM_RSRC2:TGID_X_EN: 1
; COMPUTE_PGM_RSRC2:TGID_Y_EN: 0
; COMPUTE_PGM_RSRC2:TGID_Z_EN: 0
; COMPUTE_PGM_RSRC2:TIDIG_COMP_CNT: 0
; COMPUTE_PGM_RSRC3_GFX90A:ACCUM_OFFSET: 0
; COMPUTE_PGM_RSRC3_GFX90A:TG_SPLIT: 0
	.section	.text._ZN7rocprim17ROCPRIM_400000_NS6detail17trampoline_kernelINS0_14default_configENS1_25transform_config_selectorIiLb0EEEZNS1_14transform_implILb0ES3_S5_N6thrust23THRUST_200600_302600_NS6detail15normal_iteratorINS8_10device_ptrIiEEEEPiNS0_8identityIiEEEE10hipError_tT2_T3_mT4_P12ihipStream_tbEUlT_E_NS1_11comp_targetILNS1_3genE4ELNS1_11target_archE910ELNS1_3gpuE8ELNS1_3repE0EEENS1_30default_config_static_selectorELNS0_4arch9wavefront6targetE1EEEvT1_,"axG",@progbits,_ZN7rocprim17ROCPRIM_400000_NS6detail17trampoline_kernelINS0_14default_configENS1_25transform_config_selectorIiLb0EEEZNS1_14transform_implILb0ES3_S5_N6thrust23THRUST_200600_302600_NS6detail15normal_iteratorINS8_10device_ptrIiEEEEPiNS0_8identityIiEEEE10hipError_tT2_T3_mT4_P12ihipStream_tbEUlT_E_NS1_11comp_targetILNS1_3genE4ELNS1_11target_archE910ELNS1_3gpuE8ELNS1_3repE0EEENS1_30default_config_static_selectorELNS0_4arch9wavefront6targetE1EEEvT1_,comdat
	.protected	_ZN7rocprim17ROCPRIM_400000_NS6detail17trampoline_kernelINS0_14default_configENS1_25transform_config_selectorIiLb0EEEZNS1_14transform_implILb0ES3_S5_N6thrust23THRUST_200600_302600_NS6detail15normal_iteratorINS8_10device_ptrIiEEEEPiNS0_8identityIiEEEE10hipError_tT2_T3_mT4_P12ihipStream_tbEUlT_E_NS1_11comp_targetILNS1_3genE4ELNS1_11target_archE910ELNS1_3gpuE8ELNS1_3repE0EEENS1_30default_config_static_selectorELNS0_4arch9wavefront6targetE1EEEvT1_ ; -- Begin function _ZN7rocprim17ROCPRIM_400000_NS6detail17trampoline_kernelINS0_14default_configENS1_25transform_config_selectorIiLb0EEEZNS1_14transform_implILb0ES3_S5_N6thrust23THRUST_200600_302600_NS6detail15normal_iteratorINS8_10device_ptrIiEEEEPiNS0_8identityIiEEEE10hipError_tT2_T3_mT4_P12ihipStream_tbEUlT_E_NS1_11comp_targetILNS1_3genE4ELNS1_11target_archE910ELNS1_3gpuE8ELNS1_3repE0EEENS1_30default_config_static_selectorELNS0_4arch9wavefront6targetE1EEEvT1_
	.globl	_ZN7rocprim17ROCPRIM_400000_NS6detail17trampoline_kernelINS0_14default_configENS1_25transform_config_selectorIiLb0EEEZNS1_14transform_implILb0ES3_S5_N6thrust23THRUST_200600_302600_NS6detail15normal_iteratorINS8_10device_ptrIiEEEEPiNS0_8identityIiEEEE10hipError_tT2_T3_mT4_P12ihipStream_tbEUlT_E_NS1_11comp_targetILNS1_3genE4ELNS1_11target_archE910ELNS1_3gpuE8ELNS1_3repE0EEENS1_30default_config_static_selectorELNS0_4arch9wavefront6targetE1EEEvT1_
	.p2align	8
	.type	_ZN7rocprim17ROCPRIM_400000_NS6detail17trampoline_kernelINS0_14default_configENS1_25transform_config_selectorIiLb0EEEZNS1_14transform_implILb0ES3_S5_N6thrust23THRUST_200600_302600_NS6detail15normal_iteratorINS8_10device_ptrIiEEEEPiNS0_8identityIiEEEE10hipError_tT2_T3_mT4_P12ihipStream_tbEUlT_E_NS1_11comp_targetILNS1_3genE4ELNS1_11target_archE910ELNS1_3gpuE8ELNS1_3repE0EEENS1_30default_config_static_selectorELNS0_4arch9wavefront6targetE1EEEvT1_,@function
_ZN7rocprim17ROCPRIM_400000_NS6detail17trampoline_kernelINS0_14default_configENS1_25transform_config_selectorIiLb0EEEZNS1_14transform_implILb0ES3_S5_N6thrust23THRUST_200600_302600_NS6detail15normal_iteratorINS8_10device_ptrIiEEEEPiNS0_8identityIiEEEE10hipError_tT2_T3_mT4_P12ihipStream_tbEUlT_E_NS1_11comp_targetILNS1_3genE4ELNS1_11target_archE910ELNS1_3gpuE8ELNS1_3repE0EEENS1_30default_config_static_selectorELNS0_4arch9wavefront6targetE1EEEvT1_: ; @_ZN7rocprim17ROCPRIM_400000_NS6detail17trampoline_kernelINS0_14default_configENS1_25transform_config_selectorIiLb0EEEZNS1_14transform_implILb0ES3_S5_N6thrust23THRUST_200600_302600_NS6detail15normal_iteratorINS8_10device_ptrIiEEEEPiNS0_8identityIiEEEE10hipError_tT2_T3_mT4_P12ihipStream_tbEUlT_E_NS1_11comp_targetILNS1_3genE4ELNS1_11target_archE910ELNS1_3gpuE8ELNS1_3repE0EEENS1_30default_config_static_selectorELNS0_4arch9wavefront6targetE1EEEvT1_
; %bb.0:
	.section	.rodata,"a",@progbits
	.p2align	6, 0x0
	.amdhsa_kernel _ZN7rocprim17ROCPRIM_400000_NS6detail17trampoline_kernelINS0_14default_configENS1_25transform_config_selectorIiLb0EEEZNS1_14transform_implILb0ES3_S5_N6thrust23THRUST_200600_302600_NS6detail15normal_iteratorINS8_10device_ptrIiEEEEPiNS0_8identityIiEEEE10hipError_tT2_T3_mT4_P12ihipStream_tbEUlT_E_NS1_11comp_targetILNS1_3genE4ELNS1_11target_archE910ELNS1_3gpuE8ELNS1_3repE0EEENS1_30default_config_static_selectorELNS0_4arch9wavefront6targetE1EEEvT1_
		.amdhsa_group_segment_fixed_size 0
		.amdhsa_private_segment_fixed_size 0
		.amdhsa_kernarg_size 40
		.amdhsa_user_sgpr_count 2
		.amdhsa_user_sgpr_dispatch_ptr 0
		.amdhsa_user_sgpr_queue_ptr 0
		.amdhsa_user_sgpr_kernarg_segment_ptr 1
		.amdhsa_user_sgpr_dispatch_id 0
		.amdhsa_user_sgpr_kernarg_preload_length 0
		.amdhsa_user_sgpr_kernarg_preload_offset 0
		.amdhsa_user_sgpr_private_segment_size 0
		.amdhsa_uses_dynamic_stack 0
		.amdhsa_enable_private_segment 0
		.amdhsa_system_sgpr_workgroup_id_x 1
		.amdhsa_system_sgpr_workgroup_id_y 0
		.amdhsa_system_sgpr_workgroup_id_z 0
		.amdhsa_system_sgpr_workgroup_info 0
		.amdhsa_system_vgpr_workitem_id 0
		.amdhsa_next_free_vgpr 1
		.amdhsa_next_free_sgpr 0
		.amdhsa_accum_offset 4
		.amdhsa_reserve_vcc 0
		.amdhsa_float_round_mode_32 0
		.amdhsa_float_round_mode_16_64 0
		.amdhsa_float_denorm_mode_32 3
		.amdhsa_float_denorm_mode_16_64 3
		.amdhsa_dx10_clamp 1
		.amdhsa_ieee_mode 1
		.amdhsa_fp16_overflow 0
		.amdhsa_tg_split 0
		.amdhsa_exception_fp_ieee_invalid_op 0
		.amdhsa_exception_fp_denorm_src 0
		.amdhsa_exception_fp_ieee_div_zero 0
		.amdhsa_exception_fp_ieee_overflow 0
		.amdhsa_exception_fp_ieee_underflow 0
		.amdhsa_exception_fp_ieee_inexact 0
		.amdhsa_exception_int_div_zero 0
	.end_amdhsa_kernel
	.section	.text._ZN7rocprim17ROCPRIM_400000_NS6detail17trampoline_kernelINS0_14default_configENS1_25transform_config_selectorIiLb0EEEZNS1_14transform_implILb0ES3_S5_N6thrust23THRUST_200600_302600_NS6detail15normal_iteratorINS8_10device_ptrIiEEEEPiNS0_8identityIiEEEE10hipError_tT2_T3_mT4_P12ihipStream_tbEUlT_E_NS1_11comp_targetILNS1_3genE4ELNS1_11target_archE910ELNS1_3gpuE8ELNS1_3repE0EEENS1_30default_config_static_selectorELNS0_4arch9wavefront6targetE1EEEvT1_,"axG",@progbits,_ZN7rocprim17ROCPRIM_400000_NS6detail17trampoline_kernelINS0_14default_configENS1_25transform_config_selectorIiLb0EEEZNS1_14transform_implILb0ES3_S5_N6thrust23THRUST_200600_302600_NS6detail15normal_iteratorINS8_10device_ptrIiEEEEPiNS0_8identityIiEEEE10hipError_tT2_T3_mT4_P12ihipStream_tbEUlT_E_NS1_11comp_targetILNS1_3genE4ELNS1_11target_archE910ELNS1_3gpuE8ELNS1_3repE0EEENS1_30default_config_static_selectorELNS0_4arch9wavefront6targetE1EEEvT1_,comdat
.Lfunc_end1412:
	.size	_ZN7rocprim17ROCPRIM_400000_NS6detail17trampoline_kernelINS0_14default_configENS1_25transform_config_selectorIiLb0EEEZNS1_14transform_implILb0ES3_S5_N6thrust23THRUST_200600_302600_NS6detail15normal_iteratorINS8_10device_ptrIiEEEEPiNS0_8identityIiEEEE10hipError_tT2_T3_mT4_P12ihipStream_tbEUlT_E_NS1_11comp_targetILNS1_3genE4ELNS1_11target_archE910ELNS1_3gpuE8ELNS1_3repE0EEENS1_30default_config_static_selectorELNS0_4arch9wavefront6targetE1EEEvT1_, .Lfunc_end1412-_ZN7rocprim17ROCPRIM_400000_NS6detail17trampoline_kernelINS0_14default_configENS1_25transform_config_selectorIiLb0EEEZNS1_14transform_implILb0ES3_S5_N6thrust23THRUST_200600_302600_NS6detail15normal_iteratorINS8_10device_ptrIiEEEEPiNS0_8identityIiEEEE10hipError_tT2_T3_mT4_P12ihipStream_tbEUlT_E_NS1_11comp_targetILNS1_3genE4ELNS1_11target_archE910ELNS1_3gpuE8ELNS1_3repE0EEENS1_30default_config_static_selectorELNS0_4arch9wavefront6targetE1EEEvT1_
                                        ; -- End function
	.set _ZN7rocprim17ROCPRIM_400000_NS6detail17trampoline_kernelINS0_14default_configENS1_25transform_config_selectorIiLb0EEEZNS1_14transform_implILb0ES3_S5_N6thrust23THRUST_200600_302600_NS6detail15normal_iteratorINS8_10device_ptrIiEEEEPiNS0_8identityIiEEEE10hipError_tT2_T3_mT4_P12ihipStream_tbEUlT_E_NS1_11comp_targetILNS1_3genE4ELNS1_11target_archE910ELNS1_3gpuE8ELNS1_3repE0EEENS1_30default_config_static_selectorELNS0_4arch9wavefront6targetE1EEEvT1_.num_vgpr, 0
	.set _ZN7rocprim17ROCPRIM_400000_NS6detail17trampoline_kernelINS0_14default_configENS1_25transform_config_selectorIiLb0EEEZNS1_14transform_implILb0ES3_S5_N6thrust23THRUST_200600_302600_NS6detail15normal_iteratorINS8_10device_ptrIiEEEEPiNS0_8identityIiEEEE10hipError_tT2_T3_mT4_P12ihipStream_tbEUlT_E_NS1_11comp_targetILNS1_3genE4ELNS1_11target_archE910ELNS1_3gpuE8ELNS1_3repE0EEENS1_30default_config_static_selectorELNS0_4arch9wavefront6targetE1EEEvT1_.num_agpr, 0
	.set _ZN7rocprim17ROCPRIM_400000_NS6detail17trampoline_kernelINS0_14default_configENS1_25transform_config_selectorIiLb0EEEZNS1_14transform_implILb0ES3_S5_N6thrust23THRUST_200600_302600_NS6detail15normal_iteratorINS8_10device_ptrIiEEEEPiNS0_8identityIiEEEE10hipError_tT2_T3_mT4_P12ihipStream_tbEUlT_E_NS1_11comp_targetILNS1_3genE4ELNS1_11target_archE910ELNS1_3gpuE8ELNS1_3repE0EEENS1_30default_config_static_selectorELNS0_4arch9wavefront6targetE1EEEvT1_.numbered_sgpr, 0
	.set _ZN7rocprim17ROCPRIM_400000_NS6detail17trampoline_kernelINS0_14default_configENS1_25transform_config_selectorIiLb0EEEZNS1_14transform_implILb0ES3_S5_N6thrust23THRUST_200600_302600_NS6detail15normal_iteratorINS8_10device_ptrIiEEEEPiNS0_8identityIiEEEE10hipError_tT2_T3_mT4_P12ihipStream_tbEUlT_E_NS1_11comp_targetILNS1_3genE4ELNS1_11target_archE910ELNS1_3gpuE8ELNS1_3repE0EEENS1_30default_config_static_selectorELNS0_4arch9wavefront6targetE1EEEvT1_.num_named_barrier, 0
	.set _ZN7rocprim17ROCPRIM_400000_NS6detail17trampoline_kernelINS0_14default_configENS1_25transform_config_selectorIiLb0EEEZNS1_14transform_implILb0ES3_S5_N6thrust23THRUST_200600_302600_NS6detail15normal_iteratorINS8_10device_ptrIiEEEEPiNS0_8identityIiEEEE10hipError_tT2_T3_mT4_P12ihipStream_tbEUlT_E_NS1_11comp_targetILNS1_3genE4ELNS1_11target_archE910ELNS1_3gpuE8ELNS1_3repE0EEENS1_30default_config_static_selectorELNS0_4arch9wavefront6targetE1EEEvT1_.private_seg_size, 0
	.set _ZN7rocprim17ROCPRIM_400000_NS6detail17trampoline_kernelINS0_14default_configENS1_25transform_config_selectorIiLb0EEEZNS1_14transform_implILb0ES3_S5_N6thrust23THRUST_200600_302600_NS6detail15normal_iteratorINS8_10device_ptrIiEEEEPiNS0_8identityIiEEEE10hipError_tT2_T3_mT4_P12ihipStream_tbEUlT_E_NS1_11comp_targetILNS1_3genE4ELNS1_11target_archE910ELNS1_3gpuE8ELNS1_3repE0EEENS1_30default_config_static_selectorELNS0_4arch9wavefront6targetE1EEEvT1_.uses_vcc, 0
	.set _ZN7rocprim17ROCPRIM_400000_NS6detail17trampoline_kernelINS0_14default_configENS1_25transform_config_selectorIiLb0EEEZNS1_14transform_implILb0ES3_S5_N6thrust23THRUST_200600_302600_NS6detail15normal_iteratorINS8_10device_ptrIiEEEEPiNS0_8identityIiEEEE10hipError_tT2_T3_mT4_P12ihipStream_tbEUlT_E_NS1_11comp_targetILNS1_3genE4ELNS1_11target_archE910ELNS1_3gpuE8ELNS1_3repE0EEENS1_30default_config_static_selectorELNS0_4arch9wavefront6targetE1EEEvT1_.uses_flat_scratch, 0
	.set _ZN7rocprim17ROCPRIM_400000_NS6detail17trampoline_kernelINS0_14default_configENS1_25transform_config_selectorIiLb0EEEZNS1_14transform_implILb0ES3_S5_N6thrust23THRUST_200600_302600_NS6detail15normal_iteratorINS8_10device_ptrIiEEEEPiNS0_8identityIiEEEE10hipError_tT2_T3_mT4_P12ihipStream_tbEUlT_E_NS1_11comp_targetILNS1_3genE4ELNS1_11target_archE910ELNS1_3gpuE8ELNS1_3repE0EEENS1_30default_config_static_selectorELNS0_4arch9wavefront6targetE1EEEvT1_.has_dyn_sized_stack, 0
	.set _ZN7rocprim17ROCPRIM_400000_NS6detail17trampoline_kernelINS0_14default_configENS1_25transform_config_selectorIiLb0EEEZNS1_14transform_implILb0ES3_S5_N6thrust23THRUST_200600_302600_NS6detail15normal_iteratorINS8_10device_ptrIiEEEEPiNS0_8identityIiEEEE10hipError_tT2_T3_mT4_P12ihipStream_tbEUlT_E_NS1_11comp_targetILNS1_3genE4ELNS1_11target_archE910ELNS1_3gpuE8ELNS1_3repE0EEENS1_30default_config_static_selectorELNS0_4arch9wavefront6targetE1EEEvT1_.has_recursion, 0
	.set _ZN7rocprim17ROCPRIM_400000_NS6detail17trampoline_kernelINS0_14default_configENS1_25transform_config_selectorIiLb0EEEZNS1_14transform_implILb0ES3_S5_N6thrust23THRUST_200600_302600_NS6detail15normal_iteratorINS8_10device_ptrIiEEEEPiNS0_8identityIiEEEE10hipError_tT2_T3_mT4_P12ihipStream_tbEUlT_E_NS1_11comp_targetILNS1_3genE4ELNS1_11target_archE910ELNS1_3gpuE8ELNS1_3repE0EEENS1_30default_config_static_selectorELNS0_4arch9wavefront6targetE1EEEvT1_.has_indirect_call, 0
	.section	.AMDGPU.csdata,"",@progbits
; Kernel info:
; codeLenInByte = 0
; TotalNumSgprs: 6
; NumVgprs: 0
; NumAgprs: 0
; TotalNumVgprs: 0
; ScratchSize: 0
; MemoryBound: 0
; FloatMode: 240
; IeeeMode: 1
; LDSByteSize: 0 bytes/workgroup (compile time only)
; SGPRBlocks: 0
; VGPRBlocks: 0
; NumSGPRsForWavesPerEU: 6
; NumVGPRsForWavesPerEU: 1
; AccumOffset: 4
; Occupancy: 8
; WaveLimiterHint : 0
; COMPUTE_PGM_RSRC2:SCRATCH_EN: 0
; COMPUTE_PGM_RSRC2:USER_SGPR: 2
; COMPUTE_PGM_RSRC2:TRAP_HANDLER: 0
; COMPUTE_PGM_RSRC2:TGID_X_EN: 1
; COMPUTE_PGM_RSRC2:TGID_Y_EN: 0
; COMPUTE_PGM_RSRC2:TGID_Z_EN: 0
; COMPUTE_PGM_RSRC2:TIDIG_COMP_CNT: 0
; COMPUTE_PGM_RSRC3_GFX90A:ACCUM_OFFSET: 0
; COMPUTE_PGM_RSRC3_GFX90A:TG_SPLIT: 0
	.section	.text._ZN7rocprim17ROCPRIM_400000_NS6detail17trampoline_kernelINS0_14default_configENS1_25transform_config_selectorIiLb0EEEZNS1_14transform_implILb0ES3_S5_N6thrust23THRUST_200600_302600_NS6detail15normal_iteratorINS8_10device_ptrIiEEEEPiNS0_8identityIiEEEE10hipError_tT2_T3_mT4_P12ihipStream_tbEUlT_E_NS1_11comp_targetILNS1_3genE3ELNS1_11target_archE908ELNS1_3gpuE7ELNS1_3repE0EEENS1_30default_config_static_selectorELNS0_4arch9wavefront6targetE1EEEvT1_,"axG",@progbits,_ZN7rocprim17ROCPRIM_400000_NS6detail17trampoline_kernelINS0_14default_configENS1_25transform_config_selectorIiLb0EEEZNS1_14transform_implILb0ES3_S5_N6thrust23THRUST_200600_302600_NS6detail15normal_iteratorINS8_10device_ptrIiEEEEPiNS0_8identityIiEEEE10hipError_tT2_T3_mT4_P12ihipStream_tbEUlT_E_NS1_11comp_targetILNS1_3genE3ELNS1_11target_archE908ELNS1_3gpuE7ELNS1_3repE0EEENS1_30default_config_static_selectorELNS0_4arch9wavefront6targetE1EEEvT1_,comdat
	.protected	_ZN7rocprim17ROCPRIM_400000_NS6detail17trampoline_kernelINS0_14default_configENS1_25transform_config_selectorIiLb0EEEZNS1_14transform_implILb0ES3_S5_N6thrust23THRUST_200600_302600_NS6detail15normal_iteratorINS8_10device_ptrIiEEEEPiNS0_8identityIiEEEE10hipError_tT2_T3_mT4_P12ihipStream_tbEUlT_E_NS1_11comp_targetILNS1_3genE3ELNS1_11target_archE908ELNS1_3gpuE7ELNS1_3repE0EEENS1_30default_config_static_selectorELNS0_4arch9wavefront6targetE1EEEvT1_ ; -- Begin function _ZN7rocprim17ROCPRIM_400000_NS6detail17trampoline_kernelINS0_14default_configENS1_25transform_config_selectorIiLb0EEEZNS1_14transform_implILb0ES3_S5_N6thrust23THRUST_200600_302600_NS6detail15normal_iteratorINS8_10device_ptrIiEEEEPiNS0_8identityIiEEEE10hipError_tT2_T3_mT4_P12ihipStream_tbEUlT_E_NS1_11comp_targetILNS1_3genE3ELNS1_11target_archE908ELNS1_3gpuE7ELNS1_3repE0EEENS1_30default_config_static_selectorELNS0_4arch9wavefront6targetE1EEEvT1_
	.globl	_ZN7rocprim17ROCPRIM_400000_NS6detail17trampoline_kernelINS0_14default_configENS1_25transform_config_selectorIiLb0EEEZNS1_14transform_implILb0ES3_S5_N6thrust23THRUST_200600_302600_NS6detail15normal_iteratorINS8_10device_ptrIiEEEEPiNS0_8identityIiEEEE10hipError_tT2_T3_mT4_P12ihipStream_tbEUlT_E_NS1_11comp_targetILNS1_3genE3ELNS1_11target_archE908ELNS1_3gpuE7ELNS1_3repE0EEENS1_30default_config_static_selectorELNS0_4arch9wavefront6targetE1EEEvT1_
	.p2align	8
	.type	_ZN7rocprim17ROCPRIM_400000_NS6detail17trampoline_kernelINS0_14default_configENS1_25transform_config_selectorIiLb0EEEZNS1_14transform_implILb0ES3_S5_N6thrust23THRUST_200600_302600_NS6detail15normal_iteratorINS8_10device_ptrIiEEEEPiNS0_8identityIiEEEE10hipError_tT2_T3_mT4_P12ihipStream_tbEUlT_E_NS1_11comp_targetILNS1_3genE3ELNS1_11target_archE908ELNS1_3gpuE7ELNS1_3repE0EEENS1_30default_config_static_selectorELNS0_4arch9wavefront6targetE1EEEvT1_,@function
_ZN7rocprim17ROCPRIM_400000_NS6detail17trampoline_kernelINS0_14default_configENS1_25transform_config_selectorIiLb0EEEZNS1_14transform_implILb0ES3_S5_N6thrust23THRUST_200600_302600_NS6detail15normal_iteratorINS8_10device_ptrIiEEEEPiNS0_8identityIiEEEE10hipError_tT2_T3_mT4_P12ihipStream_tbEUlT_E_NS1_11comp_targetILNS1_3genE3ELNS1_11target_archE908ELNS1_3gpuE7ELNS1_3repE0EEENS1_30default_config_static_selectorELNS0_4arch9wavefront6targetE1EEEvT1_: ; @_ZN7rocprim17ROCPRIM_400000_NS6detail17trampoline_kernelINS0_14default_configENS1_25transform_config_selectorIiLb0EEEZNS1_14transform_implILb0ES3_S5_N6thrust23THRUST_200600_302600_NS6detail15normal_iteratorINS8_10device_ptrIiEEEEPiNS0_8identityIiEEEE10hipError_tT2_T3_mT4_P12ihipStream_tbEUlT_E_NS1_11comp_targetILNS1_3genE3ELNS1_11target_archE908ELNS1_3gpuE7ELNS1_3repE0EEENS1_30default_config_static_selectorELNS0_4arch9wavefront6targetE1EEEvT1_
; %bb.0:
	.section	.rodata,"a",@progbits
	.p2align	6, 0x0
	.amdhsa_kernel _ZN7rocprim17ROCPRIM_400000_NS6detail17trampoline_kernelINS0_14default_configENS1_25transform_config_selectorIiLb0EEEZNS1_14transform_implILb0ES3_S5_N6thrust23THRUST_200600_302600_NS6detail15normal_iteratorINS8_10device_ptrIiEEEEPiNS0_8identityIiEEEE10hipError_tT2_T3_mT4_P12ihipStream_tbEUlT_E_NS1_11comp_targetILNS1_3genE3ELNS1_11target_archE908ELNS1_3gpuE7ELNS1_3repE0EEENS1_30default_config_static_selectorELNS0_4arch9wavefront6targetE1EEEvT1_
		.amdhsa_group_segment_fixed_size 0
		.amdhsa_private_segment_fixed_size 0
		.amdhsa_kernarg_size 40
		.amdhsa_user_sgpr_count 2
		.amdhsa_user_sgpr_dispatch_ptr 0
		.amdhsa_user_sgpr_queue_ptr 0
		.amdhsa_user_sgpr_kernarg_segment_ptr 1
		.amdhsa_user_sgpr_dispatch_id 0
		.amdhsa_user_sgpr_kernarg_preload_length 0
		.amdhsa_user_sgpr_kernarg_preload_offset 0
		.amdhsa_user_sgpr_private_segment_size 0
		.amdhsa_uses_dynamic_stack 0
		.amdhsa_enable_private_segment 0
		.amdhsa_system_sgpr_workgroup_id_x 1
		.amdhsa_system_sgpr_workgroup_id_y 0
		.amdhsa_system_sgpr_workgroup_id_z 0
		.amdhsa_system_sgpr_workgroup_info 0
		.amdhsa_system_vgpr_workitem_id 0
		.amdhsa_next_free_vgpr 1
		.amdhsa_next_free_sgpr 0
		.amdhsa_accum_offset 4
		.amdhsa_reserve_vcc 0
		.amdhsa_float_round_mode_32 0
		.amdhsa_float_round_mode_16_64 0
		.amdhsa_float_denorm_mode_32 3
		.amdhsa_float_denorm_mode_16_64 3
		.amdhsa_dx10_clamp 1
		.amdhsa_ieee_mode 1
		.amdhsa_fp16_overflow 0
		.amdhsa_tg_split 0
		.amdhsa_exception_fp_ieee_invalid_op 0
		.amdhsa_exception_fp_denorm_src 0
		.amdhsa_exception_fp_ieee_div_zero 0
		.amdhsa_exception_fp_ieee_overflow 0
		.amdhsa_exception_fp_ieee_underflow 0
		.amdhsa_exception_fp_ieee_inexact 0
		.amdhsa_exception_int_div_zero 0
	.end_amdhsa_kernel
	.section	.text._ZN7rocprim17ROCPRIM_400000_NS6detail17trampoline_kernelINS0_14default_configENS1_25transform_config_selectorIiLb0EEEZNS1_14transform_implILb0ES3_S5_N6thrust23THRUST_200600_302600_NS6detail15normal_iteratorINS8_10device_ptrIiEEEEPiNS0_8identityIiEEEE10hipError_tT2_T3_mT4_P12ihipStream_tbEUlT_E_NS1_11comp_targetILNS1_3genE3ELNS1_11target_archE908ELNS1_3gpuE7ELNS1_3repE0EEENS1_30default_config_static_selectorELNS0_4arch9wavefront6targetE1EEEvT1_,"axG",@progbits,_ZN7rocprim17ROCPRIM_400000_NS6detail17trampoline_kernelINS0_14default_configENS1_25transform_config_selectorIiLb0EEEZNS1_14transform_implILb0ES3_S5_N6thrust23THRUST_200600_302600_NS6detail15normal_iteratorINS8_10device_ptrIiEEEEPiNS0_8identityIiEEEE10hipError_tT2_T3_mT4_P12ihipStream_tbEUlT_E_NS1_11comp_targetILNS1_3genE3ELNS1_11target_archE908ELNS1_3gpuE7ELNS1_3repE0EEENS1_30default_config_static_selectorELNS0_4arch9wavefront6targetE1EEEvT1_,comdat
.Lfunc_end1413:
	.size	_ZN7rocprim17ROCPRIM_400000_NS6detail17trampoline_kernelINS0_14default_configENS1_25transform_config_selectorIiLb0EEEZNS1_14transform_implILb0ES3_S5_N6thrust23THRUST_200600_302600_NS6detail15normal_iteratorINS8_10device_ptrIiEEEEPiNS0_8identityIiEEEE10hipError_tT2_T3_mT4_P12ihipStream_tbEUlT_E_NS1_11comp_targetILNS1_3genE3ELNS1_11target_archE908ELNS1_3gpuE7ELNS1_3repE0EEENS1_30default_config_static_selectorELNS0_4arch9wavefront6targetE1EEEvT1_, .Lfunc_end1413-_ZN7rocprim17ROCPRIM_400000_NS6detail17trampoline_kernelINS0_14default_configENS1_25transform_config_selectorIiLb0EEEZNS1_14transform_implILb0ES3_S5_N6thrust23THRUST_200600_302600_NS6detail15normal_iteratorINS8_10device_ptrIiEEEEPiNS0_8identityIiEEEE10hipError_tT2_T3_mT4_P12ihipStream_tbEUlT_E_NS1_11comp_targetILNS1_3genE3ELNS1_11target_archE908ELNS1_3gpuE7ELNS1_3repE0EEENS1_30default_config_static_selectorELNS0_4arch9wavefront6targetE1EEEvT1_
                                        ; -- End function
	.set _ZN7rocprim17ROCPRIM_400000_NS6detail17trampoline_kernelINS0_14default_configENS1_25transform_config_selectorIiLb0EEEZNS1_14transform_implILb0ES3_S5_N6thrust23THRUST_200600_302600_NS6detail15normal_iteratorINS8_10device_ptrIiEEEEPiNS0_8identityIiEEEE10hipError_tT2_T3_mT4_P12ihipStream_tbEUlT_E_NS1_11comp_targetILNS1_3genE3ELNS1_11target_archE908ELNS1_3gpuE7ELNS1_3repE0EEENS1_30default_config_static_selectorELNS0_4arch9wavefront6targetE1EEEvT1_.num_vgpr, 0
	.set _ZN7rocprim17ROCPRIM_400000_NS6detail17trampoline_kernelINS0_14default_configENS1_25transform_config_selectorIiLb0EEEZNS1_14transform_implILb0ES3_S5_N6thrust23THRUST_200600_302600_NS6detail15normal_iteratorINS8_10device_ptrIiEEEEPiNS0_8identityIiEEEE10hipError_tT2_T3_mT4_P12ihipStream_tbEUlT_E_NS1_11comp_targetILNS1_3genE3ELNS1_11target_archE908ELNS1_3gpuE7ELNS1_3repE0EEENS1_30default_config_static_selectorELNS0_4arch9wavefront6targetE1EEEvT1_.num_agpr, 0
	.set _ZN7rocprim17ROCPRIM_400000_NS6detail17trampoline_kernelINS0_14default_configENS1_25transform_config_selectorIiLb0EEEZNS1_14transform_implILb0ES3_S5_N6thrust23THRUST_200600_302600_NS6detail15normal_iteratorINS8_10device_ptrIiEEEEPiNS0_8identityIiEEEE10hipError_tT2_T3_mT4_P12ihipStream_tbEUlT_E_NS1_11comp_targetILNS1_3genE3ELNS1_11target_archE908ELNS1_3gpuE7ELNS1_3repE0EEENS1_30default_config_static_selectorELNS0_4arch9wavefront6targetE1EEEvT1_.numbered_sgpr, 0
	.set _ZN7rocprim17ROCPRIM_400000_NS6detail17trampoline_kernelINS0_14default_configENS1_25transform_config_selectorIiLb0EEEZNS1_14transform_implILb0ES3_S5_N6thrust23THRUST_200600_302600_NS6detail15normal_iteratorINS8_10device_ptrIiEEEEPiNS0_8identityIiEEEE10hipError_tT2_T3_mT4_P12ihipStream_tbEUlT_E_NS1_11comp_targetILNS1_3genE3ELNS1_11target_archE908ELNS1_3gpuE7ELNS1_3repE0EEENS1_30default_config_static_selectorELNS0_4arch9wavefront6targetE1EEEvT1_.num_named_barrier, 0
	.set _ZN7rocprim17ROCPRIM_400000_NS6detail17trampoline_kernelINS0_14default_configENS1_25transform_config_selectorIiLb0EEEZNS1_14transform_implILb0ES3_S5_N6thrust23THRUST_200600_302600_NS6detail15normal_iteratorINS8_10device_ptrIiEEEEPiNS0_8identityIiEEEE10hipError_tT2_T3_mT4_P12ihipStream_tbEUlT_E_NS1_11comp_targetILNS1_3genE3ELNS1_11target_archE908ELNS1_3gpuE7ELNS1_3repE0EEENS1_30default_config_static_selectorELNS0_4arch9wavefront6targetE1EEEvT1_.private_seg_size, 0
	.set _ZN7rocprim17ROCPRIM_400000_NS6detail17trampoline_kernelINS0_14default_configENS1_25transform_config_selectorIiLb0EEEZNS1_14transform_implILb0ES3_S5_N6thrust23THRUST_200600_302600_NS6detail15normal_iteratorINS8_10device_ptrIiEEEEPiNS0_8identityIiEEEE10hipError_tT2_T3_mT4_P12ihipStream_tbEUlT_E_NS1_11comp_targetILNS1_3genE3ELNS1_11target_archE908ELNS1_3gpuE7ELNS1_3repE0EEENS1_30default_config_static_selectorELNS0_4arch9wavefront6targetE1EEEvT1_.uses_vcc, 0
	.set _ZN7rocprim17ROCPRIM_400000_NS6detail17trampoline_kernelINS0_14default_configENS1_25transform_config_selectorIiLb0EEEZNS1_14transform_implILb0ES3_S5_N6thrust23THRUST_200600_302600_NS6detail15normal_iteratorINS8_10device_ptrIiEEEEPiNS0_8identityIiEEEE10hipError_tT2_T3_mT4_P12ihipStream_tbEUlT_E_NS1_11comp_targetILNS1_3genE3ELNS1_11target_archE908ELNS1_3gpuE7ELNS1_3repE0EEENS1_30default_config_static_selectorELNS0_4arch9wavefront6targetE1EEEvT1_.uses_flat_scratch, 0
	.set _ZN7rocprim17ROCPRIM_400000_NS6detail17trampoline_kernelINS0_14default_configENS1_25transform_config_selectorIiLb0EEEZNS1_14transform_implILb0ES3_S5_N6thrust23THRUST_200600_302600_NS6detail15normal_iteratorINS8_10device_ptrIiEEEEPiNS0_8identityIiEEEE10hipError_tT2_T3_mT4_P12ihipStream_tbEUlT_E_NS1_11comp_targetILNS1_3genE3ELNS1_11target_archE908ELNS1_3gpuE7ELNS1_3repE0EEENS1_30default_config_static_selectorELNS0_4arch9wavefront6targetE1EEEvT1_.has_dyn_sized_stack, 0
	.set _ZN7rocprim17ROCPRIM_400000_NS6detail17trampoline_kernelINS0_14default_configENS1_25transform_config_selectorIiLb0EEEZNS1_14transform_implILb0ES3_S5_N6thrust23THRUST_200600_302600_NS6detail15normal_iteratorINS8_10device_ptrIiEEEEPiNS0_8identityIiEEEE10hipError_tT2_T3_mT4_P12ihipStream_tbEUlT_E_NS1_11comp_targetILNS1_3genE3ELNS1_11target_archE908ELNS1_3gpuE7ELNS1_3repE0EEENS1_30default_config_static_selectorELNS0_4arch9wavefront6targetE1EEEvT1_.has_recursion, 0
	.set _ZN7rocprim17ROCPRIM_400000_NS6detail17trampoline_kernelINS0_14default_configENS1_25transform_config_selectorIiLb0EEEZNS1_14transform_implILb0ES3_S5_N6thrust23THRUST_200600_302600_NS6detail15normal_iteratorINS8_10device_ptrIiEEEEPiNS0_8identityIiEEEE10hipError_tT2_T3_mT4_P12ihipStream_tbEUlT_E_NS1_11comp_targetILNS1_3genE3ELNS1_11target_archE908ELNS1_3gpuE7ELNS1_3repE0EEENS1_30default_config_static_selectorELNS0_4arch9wavefront6targetE1EEEvT1_.has_indirect_call, 0
	.section	.AMDGPU.csdata,"",@progbits
; Kernel info:
; codeLenInByte = 0
; TotalNumSgprs: 6
; NumVgprs: 0
; NumAgprs: 0
; TotalNumVgprs: 0
; ScratchSize: 0
; MemoryBound: 0
; FloatMode: 240
; IeeeMode: 1
; LDSByteSize: 0 bytes/workgroup (compile time only)
; SGPRBlocks: 0
; VGPRBlocks: 0
; NumSGPRsForWavesPerEU: 6
; NumVGPRsForWavesPerEU: 1
; AccumOffset: 4
; Occupancy: 8
; WaveLimiterHint : 0
; COMPUTE_PGM_RSRC2:SCRATCH_EN: 0
; COMPUTE_PGM_RSRC2:USER_SGPR: 2
; COMPUTE_PGM_RSRC2:TRAP_HANDLER: 0
; COMPUTE_PGM_RSRC2:TGID_X_EN: 1
; COMPUTE_PGM_RSRC2:TGID_Y_EN: 0
; COMPUTE_PGM_RSRC2:TGID_Z_EN: 0
; COMPUTE_PGM_RSRC2:TIDIG_COMP_CNT: 0
; COMPUTE_PGM_RSRC3_GFX90A:ACCUM_OFFSET: 0
; COMPUTE_PGM_RSRC3_GFX90A:TG_SPLIT: 0
	.section	.text._ZN7rocprim17ROCPRIM_400000_NS6detail17trampoline_kernelINS0_14default_configENS1_25transform_config_selectorIiLb0EEEZNS1_14transform_implILb0ES3_S5_N6thrust23THRUST_200600_302600_NS6detail15normal_iteratorINS8_10device_ptrIiEEEEPiNS0_8identityIiEEEE10hipError_tT2_T3_mT4_P12ihipStream_tbEUlT_E_NS1_11comp_targetILNS1_3genE2ELNS1_11target_archE906ELNS1_3gpuE6ELNS1_3repE0EEENS1_30default_config_static_selectorELNS0_4arch9wavefront6targetE1EEEvT1_,"axG",@progbits,_ZN7rocprim17ROCPRIM_400000_NS6detail17trampoline_kernelINS0_14default_configENS1_25transform_config_selectorIiLb0EEEZNS1_14transform_implILb0ES3_S5_N6thrust23THRUST_200600_302600_NS6detail15normal_iteratorINS8_10device_ptrIiEEEEPiNS0_8identityIiEEEE10hipError_tT2_T3_mT4_P12ihipStream_tbEUlT_E_NS1_11comp_targetILNS1_3genE2ELNS1_11target_archE906ELNS1_3gpuE6ELNS1_3repE0EEENS1_30default_config_static_selectorELNS0_4arch9wavefront6targetE1EEEvT1_,comdat
	.protected	_ZN7rocprim17ROCPRIM_400000_NS6detail17trampoline_kernelINS0_14default_configENS1_25transform_config_selectorIiLb0EEEZNS1_14transform_implILb0ES3_S5_N6thrust23THRUST_200600_302600_NS6detail15normal_iteratorINS8_10device_ptrIiEEEEPiNS0_8identityIiEEEE10hipError_tT2_T3_mT4_P12ihipStream_tbEUlT_E_NS1_11comp_targetILNS1_3genE2ELNS1_11target_archE906ELNS1_3gpuE6ELNS1_3repE0EEENS1_30default_config_static_selectorELNS0_4arch9wavefront6targetE1EEEvT1_ ; -- Begin function _ZN7rocprim17ROCPRIM_400000_NS6detail17trampoline_kernelINS0_14default_configENS1_25transform_config_selectorIiLb0EEEZNS1_14transform_implILb0ES3_S5_N6thrust23THRUST_200600_302600_NS6detail15normal_iteratorINS8_10device_ptrIiEEEEPiNS0_8identityIiEEEE10hipError_tT2_T3_mT4_P12ihipStream_tbEUlT_E_NS1_11comp_targetILNS1_3genE2ELNS1_11target_archE906ELNS1_3gpuE6ELNS1_3repE0EEENS1_30default_config_static_selectorELNS0_4arch9wavefront6targetE1EEEvT1_
	.globl	_ZN7rocprim17ROCPRIM_400000_NS6detail17trampoline_kernelINS0_14default_configENS1_25transform_config_selectorIiLb0EEEZNS1_14transform_implILb0ES3_S5_N6thrust23THRUST_200600_302600_NS6detail15normal_iteratorINS8_10device_ptrIiEEEEPiNS0_8identityIiEEEE10hipError_tT2_T3_mT4_P12ihipStream_tbEUlT_E_NS1_11comp_targetILNS1_3genE2ELNS1_11target_archE906ELNS1_3gpuE6ELNS1_3repE0EEENS1_30default_config_static_selectorELNS0_4arch9wavefront6targetE1EEEvT1_
	.p2align	8
	.type	_ZN7rocprim17ROCPRIM_400000_NS6detail17trampoline_kernelINS0_14default_configENS1_25transform_config_selectorIiLb0EEEZNS1_14transform_implILb0ES3_S5_N6thrust23THRUST_200600_302600_NS6detail15normal_iteratorINS8_10device_ptrIiEEEEPiNS0_8identityIiEEEE10hipError_tT2_T3_mT4_P12ihipStream_tbEUlT_E_NS1_11comp_targetILNS1_3genE2ELNS1_11target_archE906ELNS1_3gpuE6ELNS1_3repE0EEENS1_30default_config_static_selectorELNS0_4arch9wavefront6targetE1EEEvT1_,@function
_ZN7rocprim17ROCPRIM_400000_NS6detail17trampoline_kernelINS0_14default_configENS1_25transform_config_selectorIiLb0EEEZNS1_14transform_implILb0ES3_S5_N6thrust23THRUST_200600_302600_NS6detail15normal_iteratorINS8_10device_ptrIiEEEEPiNS0_8identityIiEEEE10hipError_tT2_T3_mT4_P12ihipStream_tbEUlT_E_NS1_11comp_targetILNS1_3genE2ELNS1_11target_archE906ELNS1_3gpuE6ELNS1_3repE0EEENS1_30default_config_static_selectorELNS0_4arch9wavefront6targetE1EEEvT1_: ; @_ZN7rocprim17ROCPRIM_400000_NS6detail17trampoline_kernelINS0_14default_configENS1_25transform_config_selectorIiLb0EEEZNS1_14transform_implILb0ES3_S5_N6thrust23THRUST_200600_302600_NS6detail15normal_iteratorINS8_10device_ptrIiEEEEPiNS0_8identityIiEEEE10hipError_tT2_T3_mT4_P12ihipStream_tbEUlT_E_NS1_11comp_targetILNS1_3genE2ELNS1_11target_archE906ELNS1_3gpuE6ELNS1_3repE0EEENS1_30default_config_static_selectorELNS0_4arch9wavefront6targetE1EEEvT1_
; %bb.0:
	.section	.rodata,"a",@progbits
	.p2align	6, 0x0
	.amdhsa_kernel _ZN7rocprim17ROCPRIM_400000_NS6detail17trampoline_kernelINS0_14default_configENS1_25transform_config_selectorIiLb0EEEZNS1_14transform_implILb0ES3_S5_N6thrust23THRUST_200600_302600_NS6detail15normal_iteratorINS8_10device_ptrIiEEEEPiNS0_8identityIiEEEE10hipError_tT2_T3_mT4_P12ihipStream_tbEUlT_E_NS1_11comp_targetILNS1_3genE2ELNS1_11target_archE906ELNS1_3gpuE6ELNS1_3repE0EEENS1_30default_config_static_selectorELNS0_4arch9wavefront6targetE1EEEvT1_
		.amdhsa_group_segment_fixed_size 0
		.amdhsa_private_segment_fixed_size 0
		.amdhsa_kernarg_size 40
		.amdhsa_user_sgpr_count 2
		.amdhsa_user_sgpr_dispatch_ptr 0
		.amdhsa_user_sgpr_queue_ptr 0
		.amdhsa_user_sgpr_kernarg_segment_ptr 1
		.amdhsa_user_sgpr_dispatch_id 0
		.amdhsa_user_sgpr_kernarg_preload_length 0
		.amdhsa_user_sgpr_kernarg_preload_offset 0
		.amdhsa_user_sgpr_private_segment_size 0
		.amdhsa_uses_dynamic_stack 0
		.amdhsa_enable_private_segment 0
		.amdhsa_system_sgpr_workgroup_id_x 1
		.amdhsa_system_sgpr_workgroup_id_y 0
		.amdhsa_system_sgpr_workgroup_id_z 0
		.amdhsa_system_sgpr_workgroup_info 0
		.amdhsa_system_vgpr_workitem_id 0
		.amdhsa_next_free_vgpr 1
		.amdhsa_next_free_sgpr 0
		.amdhsa_accum_offset 4
		.amdhsa_reserve_vcc 0
		.amdhsa_float_round_mode_32 0
		.amdhsa_float_round_mode_16_64 0
		.amdhsa_float_denorm_mode_32 3
		.amdhsa_float_denorm_mode_16_64 3
		.amdhsa_dx10_clamp 1
		.amdhsa_ieee_mode 1
		.amdhsa_fp16_overflow 0
		.amdhsa_tg_split 0
		.amdhsa_exception_fp_ieee_invalid_op 0
		.amdhsa_exception_fp_denorm_src 0
		.amdhsa_exception_fp_ieee_div_zero 0
		.amdhsa_exception_fp_ieee_overflow 0
		.amdhsa_exception_fp_ieee_underflow 0
		.amdhsa_exception_fp_ieee_inexact 0
		.amdhsa_exception_int_div_zero 0
	.end_amdhsa_kernel
	.section	.text._ZN7rocprim17ROCPRIM_400000_NS6detail17trampoline_kernelINS0_14default_configENS1_25transform_config_selectorIiLb0EEEZNS1_14transform_implILb0ES3_S5_N6thrust23THRUST_200600_302600_NS6detail15normal_iteratorINS8_10device_ptrIiEEEEPiNS0_8identityIiEEEE10hipError_tT2_T3_mT4_P12ihipStream_tbEUlT_E_NS1_11comp_targetILNS1_3genE2ELNS1_11target_archE906ELNS1_3gpuE6ELNS1_3repE0EEENS1_30default_config_static_selectorELNS0_4arch9wavefront6targetE1EEEvT1_,"axG",@progbits,_ZN7rocprim17ROCPRIM_400000_NS6detail17trampoline_kernelINS0_14default_configENS1_25transform_config_selectorIiLb0EEEZNS1_14transform_implILb0ES3_S5_N6thrust23THRUST_200600_302600_NS6detail15normal_iteratorINS8_10device_ptrIiEEEEPiNS0_8identityIiEEEE10hipError_tT2_T3_mT4_P12ihipStream_tbEUlT_E_NS1_11comp_targetILNS1_3genE2ELNS1_11target_archE906ELNS1_3gpuE6ELNS1_3repE0EEENS1_30default_config_static_selectorELNS0_4arch9wavefront6targetE1EEEvT1_,comdat
.Lfunc_end1414:
	.size	_ZN7rocprim17ROCPRIM_400000_NS6detail17trampoline_kernelINS0_14default_configENS1_25transform_config_selectorIiLb0EEEZNS1_14transform_implILb0ES3_S5_N6thrust23THRUST_200600_302600_NS6detail15normal_iteratorINS8_10device_ptrIiEEEEPiNS0_8identityIiEEEE10hipError_tT2_T3_mT4_P12ihipStream_tbEUlT_E_NS1_11comp_targetILNS1_3genE2ELNS1_11target_archE906ELNS1_3gpuE6ELNS1_3repE0EEENS1_30default_config_static_selectorELNS0_4arch9wavefront6targetE1EEEvT1_, .Lfunc_end1414-_ZN7rocprim17ROCPRIM_400000_NS6detail17trampoline_kernelINS0_14default_configENS1_25transform_config_selectorIiLb0EEEZNS1_14transform_implILb0ES3_S5_N6thrust23THRUST_200600_302600_NS6detail15normal_iteratorINS8_10device_ptrIiEEEEPiNS0_8identityIiEEEE10hipError_tT2_T3_mT4_P12ihipStream_tbEUlT_E_NS1_11comp_targetILNS1_3genE2ELNS1_11target_archE906ELNS1_3gpuE6ELNS1_3repE0EEENS1_30default_config_static_selectorELNS0_4arch9wavefront6targetE1EEEvT1_
                                        ; -- End function
	.set _ZN7rocprim17ROCPRIM_400000_NS6detail17trampoline_kernelINS0_14default_configENS1_25transform_config_selectorIiLb0EEEZNS1_14transform_implILb0ES3_S5_N6thrust23THRUST_200600_302600_NS6detail15normal_iteratorINS8_10device_ptrIiEEEEPiNS0_8identityIiEEEE10hipError_tT2_T3_mT4_P12ihipStream_tbEUlT_E_NS1_11comp_targetILNS1_3genE2ELNS1_11target_archE906ELNS1_3gpuE6ELNS1_3repE0EEENS1_30default_config_static_selectorELNS0_4arch9wavefront6targetE1EEEvT1_.num_vgpr, 0
	.set _ZN7rocprim17ROCPRIM_400000_NS6detail17trampoline_kernelINS0_14default_configENS1_25transform_config_selectorIiLb0EEEZNS1_14transform_implILb0ES3_S5_N6thrust23THRUST_200600_302600_NS6detail15normal_iteratorINS8_10device_ptrIiEEEEPiNS0_8identityIiEEEE10hipError_tT2_T3_mT4_P12ihipStream_tbEUlT_E_NS1_11comp_targetILNS1_3genE2ELNS1_11target_archE906ELNS1_3gpuE6ELNS1_3repE0EEENS1_30default_config_static_selectorELNS0_4arch9wavefront6targetE1EEEvT1_.num_agpr, 0
	.set _ZN7rocprim17ROCPRIM_400000_NS6detail17trampoline_kernelINS0_14default_configENS1_25transform_config_selectorIiLb0EEEZNS1_14transform_implILb0ES3_S5_N6thrust23THRUST_200600_302600_NS6detail15normal_iteratorINS8_10device_ptrIiEEEEPiNS0_8identityIiEEEE10hipError_tT2_T3_mT4_P12ihipStream_tbEUlT_E_NS1_11comp_targetILNS1_3genE2ELNS1_11target_archE906ELNS1_3gpuE6ELNS1_3repE0EEENS1_30default_config_static_selectorELNS0_4arch9wavefront6targetE1EEEvT1_.numbered_sgpr, 0
	.set _ZN7rocprim17ROCPRIM_400000_NS6detail17trampoline_kernelINS0_14default_configENS1_25transform_config_selectorIiLb0EEEZNS1_14transform_implILb0ES3_S5_N6thrust23THRUST_200600_302600_NS6detail15normal_iteratorINS8_10device_ptrIiEEEEPiNS0_8identityIiEEEE10hipError_tT2_T3_mT4_P12ihipStream_tbEUlT_E_NS1_11comp_targetILNS1_3genE2ELNS1_11target_archE906ELNS1_3gpuE6ELNS1_3repE0EEENS1_30default_config_static_selectorELNS0_4arch9wavefront6targetE1EEEvT1_.num_named_barrier, 0
	.set _ZN7rocprim17ROCPRIM_400000_NS6detail17trampoline_kernelINS0_14default_configENS1_25transform_config_selectorIiLb0EEEZNS1_14transform_implILb0ES3_S5_N6thrust23THRUST_200600_302600_NS6detail15normal_iteratorINS8_10device_ptrIiEEEEPiNS0_8identityIiEEEE10hipError_tT2_T3_mT4_P12ihipStream_tbEUlT_E_NS1_11comp_targetILNS1_3genE2ELNS1_11target_archE906ELNS1_3gpuE6ELNS1_3repE0EEENS1_30default_config_static_selectorELNS0_4arch9wavefront6targetE1EEEvT1_.private_seg_size, 0
	.set _ZN7rocprim17ROCPRIM_400000_NS6detail17trampoline_kernelINS0_14default_configENS1_25transform_config_selectorIiLb0EEEZNS1_14transform_implILb0ES3_S5_N6thrust23THRUST_200600_302600_NS6detail15normal_iteratorINS8_10device_ptrIiEEEEPiNS0_8identityIiEEEE10hipError_tT2_T3_mT4_P12ihipStream_tbEUlT_E_NS1_11comp_targetILNS1_3genE2ELNS1_11target_archE906ELNS1_3gpuE6ELNS1_3repE0EEENS1_30default_config_static_selectorELNS0_4arch9wavefront6targetE1EEEvT1_.uses_vcc, 0
	.set _ZN7rocprim17ROCPRIM_400000_NS6detail17trampoline_kernelINS0_14default_configENS1_25transform_config_selectorIiLb0EEEZNS1_14transform_implILb0ES3_S5_N6thrust23THRUST_200600_302600_NS6detail15normal_iteratorINS8_10device_ptrIiEEEEPiNS0_8identityIiEEEE10hipError_tT2_T3_mT4_P12ihipStream_tbEUlT_E_NS1_11comp_targetILNS1_3genE2ELNS1_11target_archE906ELNS1_3gpuE6ELNS1_3repE0EEENS1_30default_config_static_selectorELNS0_4arch9wavefront6targetE1EEEvT1_.uses_flat_scratch, 0
	.set _ZN7rocprim17ROCPRIM_400000_NS6detail17trampoline_kernelINS0_14default_configENS1_25transform_config_selectorIiLb0EEEZNS1_14transform_implILb0ES3_S5_N6thrust23THRUST_200600_302600_NS6detail15normal_iteratorINS8_10device_ptrIiEEEEPiNS0_8identityIiEEEE10hipError_tT2_T3_mT4_P12ihipStream_tbEUlT_E_NS1_11comp_targetILNS1_3genE2ELNS1_11target_archE906ELNS1_3gpuE6ELNS1_3repE0EEENS1_30default_config_static_selectorELNS0_4arch9wavefront6targetE1EEEvT1_.has_dyn_sized_stack, 0
	.set _ZN7rocprim17ROCPRIM_400000_NS6detail17trampoline_kernelINS0_14default_configENS1_25transform_config_selectorIiLb0EEEZNS1_14transform_implILb0ES3_S5_N6thrust23THRUST_200600_302600_NS6detail15normal_iteratorINS8_10device_ptrIiEEEEPiNS0_8identityIiEEEE10hipError_tT2_T3_mT4_P12ihipStream_tbEUlT_E_NS1_11comp_targetILNS1_3genE2ELNS1_11target_archE906ELNS1_3gpuE6ELNS1_3repE0EEENS1_30default_config_static_selectorELNS0_4arch9wavefront6targetE1EEEvT1_.has_recursion, 0
	.set _ZN7rocprim17ROCPRIM_400000_NS6detail17trampoline_kernelINS0_14default_configENS1_25transform_config_selectorIiLb0EEEZNS1_14transform_implILb0ES3_S5_N6thrust23THRUST_200600_302600_NS6detail15normal_iteratorINS8_10device_ptrIiEEEEPiNS0_8identityIiEEEE10hipError_tT2_T3_mT4_P12ihipStream_tbEUlT_E_NS1_11comp_targetILNS1_3genE2ELNS1_11target_archE906ELNS1_3gpuE6ELNS1_3repE0EEENS1_30default_config_static_selectorELNS0_4arch9wavefront6targetE1EEEvT1_.has_indirect_call, 0
	.section	.AMDGPU.csdata,"",@progbits
; Kernel info:
; codeLenInByte = 0
; TotalNumSgprs: 6
; NumVgprs: 0
; NumAgprs: 0
; TotalNumVgprs: 0
; ScratchSize: 0
; MemoryBound: 0
; FloatMode: 240
; IeeeMode: 1
; LDSByteSize: 0 bytes/workgroup (compile time only)
; SGPRBlocks: 0
; VGPRBlocks: 0
; NumSGPRsForWavesPerEU: 6
; NumVGPRsForWavesPerEU: 1
; AccumOffset: 4
; Occupancy: 8
; WaveLimiterHint : 0
; COMPUTE_PGM_RSRC2:SCRATCH_EN: 0
; COMPUTE_PGM_RSRC2:USER_SGPR: 2
; COMPUTE_PGM_RSRC2:TRAP_HANDLER: 0
; COMPUTE_PGM_RSRC2:TGID_X_EN: 1
; COMPUTE_PGM_RSRC2:TGID_Y_EN: 0
; COMPUTE_PGM_RSRC2:TGID_Z_EN: 0
; COMPUTE_PGM_RSRC2:TIDIG_COMP_CNT: 0
; COMPUTE_PGM_RSRC3_GFX90A:ACCUM_OFFSET: 0
; COMPUTE_PGM_RSRC3_GFX90A:TG_SPLIT: 0
	.section	.text._ZN7rocprim17ROCPRIM_400000_NS6detail17trampoline_kernelINS0_14default_configENS1_25transform_config_selectorIiLb0EEEZNS1_14transform_implILb0ES3_S5_N6thrust23THRUST_200600_302600_NS6detail15normal_iteratorINS8_10device_ptrIiEEEEPiNS0_8identityIiEEEE10hipError_tT2_T3_mT4_P12ihipStream_tbEUlT_E_NS1_11comp_targetILNS1_3genE10ELNS1_11target_archE1201ELNS1_3gpuE5ELNS1_3repE0EEENS1_30default_config_static_selectorELNS0_4arch9wavefront6targetE1EEEvT1_,"axG",@progbits,_ZN7rocprim17ROCPRIM_400000_NS6detail17trampoline_kernelINS0_14default_configENS1_25transform_config_selectorIiLb0EEEZNS1_14transform_implILb0ES3_S5_N6thrust23THRUST_200600_302600_NS6detail15normal_iteratorINS8_10device_ptrIiEEEEPiNS0_8identityIiEEEE10hipError_tT2_T3_mT4_P12ihipStream_tbEUlT_E_NS1_11comp_targetILNS1_3genE10ELNS1_11target_archE1201ELNS1_3gpuE5ELNS1_3repE0EEENS1_30default_config_static_selectorELNS0_4arch9wavefront6targetE1EEEvT1_,comdat
	.protected	_ZN7rocprim17ROCPRIM_400000_NS6detail17trampoline_kernelINS0_14default_configENS1_25transform_config_selectorIiLb0EEEZNS1_14transform_implILb0ES3_S5_N6thrust23THRUST_200600_302600_NS6detail15normal_iteratorINS8_10device_ptrIiEEEEPiNS0_8identityIiEEEE10hipError_tT2_T3_mT4_P12ihipStream_tbEUlT_E_NS1_11comp_targetILNS1_3genE10ELNS1_11target_archE1201ELNS1_3gpuE5ELNS1_3repE0EEENS1_30default_config_static_selectorELNS0_4arch9wavefront6targetE1EEEvT1_ ; -- Begin function _ZN7rocprim17ROCPRIM_400000_NS6detail17trampoline_kernelINS0_14default_configENS1_25transform_config_selectorIiLb0EEEZNS1_14transform_implILb0ES3_S5_N6thrust23THRUST_200600_302600_NS6detail15normal_iteratorINS8_10device_ptrIiEEEEPiNS0_8identityIiEEEE10hipError_tT2_T3_mT4_P12ihipStream_tbEUlT_E_NS1_11comp_targetILNS1_3genE10ELNS1_11target_archE1201ELNS1_3gpuE5ELNS1_3repE0EEENS1_30default_config_static_selectorELNS0_4arch9wavefront6targetE1EEEvT1_
	.globl	_ZN7rocprim17ROCPRIM_400000_NS6detail17trampoline_kernelINS0_14default_configENS1_25transform_config_selectorIiLb0EEEZNS1_14transform_implILb0ES3_S5_N6thrust23THRUST_200600_302600_NS6detail15normal_iteratorINS8_10device_ptrIiEEEEPiNS0_8identityIiEEEE10hipError_tT2_T3_mT4_P12ihipStream_tbEUlT_E_NS1_11comp_targetILNS1_3genE10ELNS1_11target_archE1201ELNS1_3gpuE5ELNS1_3repE0EEENS1_30default_config_static_selectorELNS0_4arch9wavefront6targetE1EEEvT1_
	.p2align	8
	.type	_ZN7rocprim17ROCPRIM_400000_NS6detail17trampoline_kernelINS0_14default_configENS1_25transform_config_selectorIiLb0EEEZNS1_14transform_implILb0ES3_S5_N6thrust23THRUST_200600_302600_NS6detail15normal_iteratorINS8_10device_ptrIiEEEEPiNS0_8identityIiEEEE10hipError_tT2_T3_mT4_P12ihipStream_tbEUlT_E_NS1_11comp_targetILNS1_3genE10ELNS1_11target_archE1201ELNS1_3gpuE5ELNS1_3repE0EEENS1_30default_config_static_selectorELNS0_4arch9wavefront6targetE1EEEvT1_,@function
_ZN7rocprim17ROCPRIM_400000_NS6detail17trampoline_kernelINS0_14default_configENS1_25transform_config_selectorIiLb0EEEZNS1_14transform_implILb0ES3_S5_N6thrust23THRUST_200600_302600_NS6detail15normal_iteratorINS8_10device_ptrIiEEEEPiNS0_8identityIiEEEE10hipError_tT2_T3_mT4_P12ihipStream_tbEUlT_E_NS1_11comp_targetILNS1_3genE10ELNS1_11target_archE1201ELNS1_3gpuE5ELNS1_3repE0EEENS1_30default_config_static_selectorELNS0_4arch9wavefront6targetE1EEEvT1_: ; @_ZN7rocprim17ROCPRIM_400000_NS6detail17trampoline_kernelINS0_14default_configENS1_25transform_config_selectorIiLb0EEEZNS1_14transform_implILb0ES3_S5_N6thrust23THRUST_200600_302600_NS6detail15normal_iteratorINS8_10device_ptrIiEEEEPiNS0_8identityIiEEEE10hipError_tT2_T3_mT4_P12ihipStream_tbEUlT_E_NS1_11comp_targetILNS1_3genE10ELNS1_11target_archE1201ELNS1_3gpuE5ELNS1_3repE0EEENS1_30default_config_static_selectorELNS0_4arch9wavefront6targetE1EEEvT1_
; %bb.0:
	.section	.rodata,"a",@progbits
	.p2align	6, 0x0
	.amdhsa_kernel _ZN7rocprim17ROCPRIM_400000_NS6detail17trampoline_kernelINS0_14default_configENS1_25transform_config_selectorIiLb0EEEZNS1_14transform_implILb0ES3_S5_N6thrust23THRUST_200600_302600_NS6detail15normal_iteratorINS8_10device_ptrIiEEEEPiNS0_8identityIiEEEE10hipError_tT2_T3_mT4_P12ihipStream_tbEUlT_E_NS1_11comp_targetILNS1_3genE10ELNS1_11target_archE1201ELNS1_3gpuE5ELNS1_3repE0EEENS1_30default_config_static_selectorELNS0_4arch9wavefront6targetE1EEEvT1_
		.amdhsa_group_segment_fixed_size 0
		.amdhsa_private_segment_fixed_size 0
		.amdhsa_kernarg_size 40
		.amdhsa_user_sgpr_count 2
		.amdhsa_user_sgpr_dispatch_ptr 0
		.amdhsa_user_sgpr_queue_ptr 0
		.amdhsa_user_sgpr_kernarg_segment_ptr 1
		.amdhsa_user_sgpr_dispatch_id 0
		.amdhsa_user_sgpr_kernarg_preload_length 0
		.amdhsa_user_sgpr_kernarg_preload_offset 0
		.amdhsa_user_sgpr_private_segment_size 0
		.amdhsa_uses_dynamic_stack 0
		.amdhsa_enable_private_segment 0
		.amdhsa_system_sgpr_workgroup_id_x 1
		.amdhsa_system_sgpr_workgroup_id_y 0
		.amdhsa_system_sgpr_workgroup_id_z 0
		.amdhsa_system_sgpr_workgroup_info 0
		.amdhsa_system_vgpr_workitem_id 0
		.amdhsa_next_free_vgpr 1
		.amdhsa_next_free_sgpr 0
		.amdhsa_accum_offset 4
		.amdhsa_reserve_vcc 0
		.amdhsa_float_round_mode_32 0
		.amdhsa_float_round_mode_16_64 0
		.amdhsa_float_denorm_mode_32 3
		.amdhsa_float_denorm_mode_16_64 3
		.amdhsa_dx10_clamp 1
		.amdhsa_ieee_mode 1
		.amdhsa_fp16_overflow 0
		.amdhsa_tg_split 0
		.amdhsa_exception_fp_ieee_invalid_op 0
		.amdhsa_exception_fp_denorm_src 0
		.amdhsa_exception_fp_ieee_div_zero 0
		.amdhsa_exception_fp_ieee_overflow 0
		.amdhsa_exception_fp_ieee_underflow 0
		.amdhsa_exception_fp_ieee_inexact 0
		.amdhsa_exception_int_div_zero 0
	.end_amdhsa_kernel
	.section	.text._ZN7rocprim17ROCPRIM_400000_NS6detail17trampoline_kernelINS0_14default_configENS1_25transform_config_selectorIiLb0EEEZNS1_14transform_implILb0ES3_S5_N6thrust23THRUST_200600_302600_NS6detail15normal_iteratorINS8_10device_ptrIiEEEEPiNS0_8identityIiEEEE10hipError_tT2_T3_mT4_P12ihipStream_tbEUlT_E_NS1_11comp_targetILNS1_3genE10ELNS1_11target_archE1201ELNS1_3gpuE5ELNS1_3repE0EEENS1_30default_config_static_selectorELNS0_4arch9wavefront6targetE1EEEvT1_,"axG",@progbits,_ZN7rocprim17ROCPRIM_400000_NS6detail17trampoline_kernelINS0_14default_configENS1_25transform_config_selectorIiLb0EEEZNS1_14transform_implILb0ES3_S5_N6thrust23THRUST_200600_302600_NS6detail15normal_iteratorINS8_10device_ptrIiEEEEPiNS0_8identityIiEEEE10hipError_tT2_T3_mT4_P12ihipStream_tbEUlT_E_NS1_11comp_targetILNS1_3genE10ELNS1_11target_archE1201ELNS1_3gpuE5ELNS1_3repE0EEENS1_30default_config_static_selectorELNS0_4arch9wavefront6targetE1EEEvT1_,comdat
.Lfunc_end1415:
	.size	_ZN7rocprim17ROCPRIM_400000_NS6detail17trampoline_kernelINS0_14default_configENS1_25transform_config_selectorIiLb0EEEZNS1_14transform_implILb0ES3_S5_N6thrust23THRUST_200600_302600_NS6detail15normal_iteratorINS8_10device_ptrIiEEEEPiNS0_8identityIiEEEE10hipError_tT2_T3_mT4_P12ihipStream_tbEUlT_E_NS1_11comp_targetILNS1_3genE10ELNS1_11target_archE1201ELNS1_3gpuE5ELNS1_3repE0EEENS1_30default_config_static_selectorELNS0_4arch9wavefront6targetE1EEEvT1_, .Lfunc_end1415-_ZN7rocprim17ROCPRIM_400000_NS6detail17trampoline_kernelINS0_14default_configENS1_25transform_config_selectorIiLb0EEEZNS1_14transform_implILb0ES3_S5_N6thrust23THRUST_200600_302600_NS6detail15normal_iteratorINS8_10device_ptrIiEEEEPiNS0_8identityIiEEEE10hipError_tT2_T3_mT4_P12ihipStream_tbEUlT_E_NS1_11comp_targetILNS1_3genE10ELNS1_11target_archE1201ELNS1_3gpuE5ELNS1_3repE0EEENS1_30default_config_static_selectorELNS0_4arch9wavefront6targetE1EEEvT1_
                                        ; -- End function
	.set _ZN7rocprim17ROCPRIM_400000_NS6detail17trampoline_kernelINS0_14default_configENS1_25transform_config_selectorIiLb0EEEZNS1_14transform_implILb0ES3_S5_N6thrust23THRUST_200600_302600_NS6detail15normal_iteratorINS8_10device_ptrIiEEEEPiNS0_8identityIiEEEE10hipError_tT2_T3_mT4_P12ihipStream_tbEUlT_E_NS1_11comp_targetILNS1_3genE10ELNS1_11target_archE1201ELNS1_3gpuE5ELNS1_3repE0EEENS1_30default_config_static_selectorELNS0_4arch9wavefront6targetE1EEEvT1_.num_vgpr, 0
	.set _ZN7rocprim17ROCPRIM_400000_NS6detail17trampoline_kernelINS0_14default_configENS1_25transform_config_selectorIiLb0EEEZNS1_14transform_implILb0ES3_S5_N6thrust23THRUST_200600_302600_NS6detail15normal_iteratorINS8_10device_ptrIiEEEEPiNS0_8identityIiEEEE10hipError_tT2_T3_mT4_P12ihipStream_tbEUlT_E_NS1_11comp_targetILNS1_3genE10ELNS1_11target_archE1201ELNS1_3gpuE5ELNS1_3repE0EEENS1_30default_config_static_selectorELNS0_4arch9wavefront6targetE1EEEvT1_.num_agpr, 0
	.set _ZN7rocprim17ROCPRIM_400000_NS6detail17trampoline_kernelINS0_14default_configENS1_25transform_config_selectorIiLb0EEEZNS1_14transform_implILb0ES3_S5_N6thrust23THRUST_200600_302600_NS6detail15normal_iteratorINS8_10device_ptrIiEEEEPiNS0_8identityIiEEEE10hipError_tT2_T3_mT4_P12ihipStream_tbEUlT_E_NS1_11comp_targetILNS1_3genE10ELNS1_11target_archE1201ELNS1_3gpuE5ELNS1_3repE0EEENS1_30default_config_static_selectorELNS0_4arch9wavefront6targetE1EEEvT1_.numbered_sgpr, 0
	.set _ZN7rocprim17ROCPRIM_400000_NS6detail17trampoline_kernelINS0_14default_configENS1_25transform_config_selectorIiLb0EEEZNS1_14transform_implILb0ES3_S5_N6thrust23THRUST_200600_302600_NS6detail15normal_iteratorINS8_10device_ptrIiEEEEPiNS0_8identityIiEEEE10hipError_tT2_T3_mT4_P12ihipStream_tbEUlT_E_NS1_11comp_targetILNS1_3genE10ELNS1_11target_archE1201ELNS1_3gpuE5ELNS1_3repE0EEENS1_30default_config_static_selectorELNS0_4arch9wavefront6targetE1EEEvT1_.num_named_barrier, 0
	.set _ZN7rocprim17ROCPRIM_400000_NS6detail17trampoline_kernelINS0_14default_configENS1_25transform_config_selectorIiLb0EEEZNS1_14transform_implILb0ES3_S5_N6thrust23THRUST_200600_302600_NS6detail15normal_iteratorINS8_10device_ptrIiEEEEPiNS0_8identityIiEEEE10hipError_tT2_T3_mT4_P12ihipStream_tbEUlT_E_NS1_11comp_targetILNS1_3genE10ELNS1_11target_archE1201ELNS1_3gpuE5ELNS1_3repE0EEENS1_30default_config_static_selectorELNS0_4arch9wavefront6targetE1EEEvT1_.private_seg_size, 0
	.set _ZN7rocprim17ROCPRIM_400000_NS6detail17trampoline_kernelINS0_14default_configENS1_25transform_config_selectorIiLb0EEEZNS1_14transform_implILb0ES3_S5_N6thrust23THRUST_200600_302600_NS6detail15normal_iteratorINS8_10device_ptrIiEEEEPiNS0_8identityIiEEEE10hipError_tT2_T3_mT4_P12ihipStream_tbEUlT_E_NS1_11comp_targetILNS1_3genE10ELNS1_11target_archE1201ELNS1_3gpuE5ELNS1_3repE0EEENS1_30default_config_static_selectorELNS0_4arch9wavefront6targetE1EEEvT1_.uses_vcc, 0
	.set _ZN7rocprim17ROCPRIM_400000_NS6detail17trampoline_kernelINS0_14default_configENS1_25transform_config_selectorIiLb0EEEZNS1_14transform_implILb0ES3_S5_N6thrust23THRUST_200600_302600_NS6detail15normal_iteratorINS8_10device_ptrIiEEEEPiNS0_8identityIiEEEE10hipError_tT2_T3_mT4_P12ihipStream_tbEUlT_E_NS1_11comp_targetILNS1_3genE10ELNS1_11target_archE1201ELNS1_3gpuE5ELNS1_3repE0EEENS1_30default_config_static_selectorELNS0_4arch9wavefront6targetE1EEEvT1_.uses_flat_scratch, 0
	.set _ZN7rocprim17ROCPRIM_400000_NS6detail17trampoline_kernelINS0_14default_configENS1_25transform_config_selectorIiLb0EEEZNS1_14transform_implILb0ES3_S5_N6thrust23THRUST_200600_302600_NS6detail15normal_iteratorINS8_10device_ptrIiEEEEPiNS0_8identityIiEEEE10hipError_tT2_T3_mT4_P12ihipStream_tbEUlT_E_NS1_11comp_targetILNS1_3genE10ELNS1_11target_archE1201ELNS1_3gpuE5ELNS1_3repE0EEENS1_30default_config_static_selectorELNS0_4arch9wavefront6targetE1EEEvT1_.has_dyn_sized_stack, 0
	.set _ZN7rocprim17ROCPRIM_400000_NS6detail17trampoline_kernelINS0_14default_configENS1_25transform_config_selectorIiLb0EEEZNS1_14transform_implILb0ES3_S5_N6thrust23THRUST_200600_302600_NS6detail15normal_iteratorINS8_10device_ptrIiEEEEPiNS0_8identityIiEEEE10hipError_tT2_T3_mT4_P12ihipStream_tbEUlT_E_NS1_11comp_targetILNS1_3genE10ELNS1_11target_archE1201ELNS1_3gpuE5ELNS1_3repE0EEENS1_30default_config_static_selectorELNS0_4arch9wavefront6targetE1EEEvT1_.has_recursion, 0
	.set _ZN7rocprim17ROCPRIM_400000_NS6detail17trampoline_kernelINS0_14default_configENS1_25transform_config_selectorIiLb0EEEZNS1_14transform_implILb0ES3_S5_N6thrust23THRUST_200600_302600_NS6detail15normal_iteratorINS8_10device_ptrIiEEEEPiNS0_8identityIiEEEE10hipError_tT2_T3_mT4_P12ihipStream_tbEUlT_E_NS1_11comp_targetILNS1_3genE10ELNS1_11target_archE1201ELNS1_3gpuE5ELNS1_3repE0EEENS1_30default_config_static_selectorELNS0_4arch9wavefront6targetE1EEEvT1_.has_indirect_call, 0
	.section	.AMDGPU.csdata,"",@progbits
; Kernel info:
; codeLenInByte = 0
; TotalNumSgprs: 6
; NumVgprs: 0
; NumAgprs: 0
; TotalNumVgprs: 0
; ScratchSize: 0
; MemoryBound: 0
; FloatMode: 240
; IeeeMode: 1
; LDSByteSize: 0 bytes/workgroup (compile time only)
; SGPRBlocks: 0
; VGPRBlocks: 0
; NumSGPRsForWavesPerEU: 6
; NumVGPRsForWavesPerEU: 1
; AccumOffset: 4
; Occupancy: 8
; WaveLimiterHint : 0
; COMPUTE_PGM_RSRC2:SCRATCH_EN: 0
; COMPUTE_PGM_RSRC2:USER_SGPR: 2
; COMPUTE_PGM_RSRC2:TRAP_HANDLER: 0
; COMPUTE_PGM_RSRC2:TGID_X_EN: 1
; COMPUTE_PGM_RSRC2:TGID_Y_EN: 0
; COMPUTE_PGM_RSRC2:TGID_Z_EN: 0
; COMPUTE_PGM_RSRC2:TIDIG_COMP_CNT: 0
; COMPUTE_PGM_RSRC3_GFX90A:ACCUM_OFFSET: 0
; COMPUTE_PGM_RSRC3_GFX90A:TG_SPLIT: 0
	.section	.text._ZN7rocprim17ROCPRIM_400000_NS6detail17trampoline_kernelINS0_14default_configENS1_25transform_config_selectorIiLb0EEEZNS1_14transform_implILb0ES3_S5_N6thrust23THRUST_200600_302600_NS6detail15normal_iteratorINS8_10device_ptrIiEEEEPiNS0_8identityIiEEEE10hipError_tT2_T3_mT4_P12ihipStream_tbEUlT_E_NS1_11comp_targetILNS1_3genE10ELNS1_11target_archE1200ELNS1_3gpuE4ELNS1_3repE0EEENS1_30default_config_static_selectorELNS0_4arch9wavefront6targetE1EEEvT1_,"axG",@progbits,_ZN7rocprim17ROCPRIM_400000_NS6detail17trampoline_kernelINS0_14default_configENS1_25transform_config_selectorIiLb0EEEZNS1_14transform_implILb0ES3_S5_N6thrust23THRUST_200600_302600_NS6detail15normal_iteratorINS8_10device_ptrIiEEEEPiNS0_8identityIiEEEE10hipError_tT2_T3_mT4_P12ihipStream_tbEUlT_E_NS1_11comp_targetILNS1_3genE10ELNS1_11target_archE1200ELNS1_3gpuE4ELNS1_3repE0EEENS1_30default_config_static_selectorELNS0_4arch9wavefront6targetE1EEEvT1_,comdat
	.protected	_ZN7rocprim17ROCPRIM_400000_NS6detail17trampoline_kernelINS0_14default_configENS1_25transform_config_selectorIiLb0EEEZNS1_14transform_implILb0ES3_S5_N6thrust23THRUST_200600_302600_NS6detail15normal_iteratorINS8_10device_ptrIiEEEEPiNS0_8identityIiEEEE10hipError_tT2_T3_mT4_P12ihipStream_tbEUlT_E_NS1_11comp_targetILNS1_3genE10ELNS1_11target_archE1200ELNS1_3gpuE4ELNS1_3repE0EEENS1_30default_config_static_selectorELNS0_4arch9wavefront6targetE1EEEvT1_ ; -- Begin function _ZN7rocprim17ROCPRIM_400000_NS6detail17trampoline_kernelINS0_14default_configENS1_25transform_config_selectorIiLb0EEEZNS1_14transform_implILb0ES3_S5_N6thrust23THRUST_200600_302600_NS6detail15normal_iteratorINS8_10device_ptrIiEEEEPiNS0_8identityIiEEEE10hipError_tT2_T3_mT4_P12ihipStream_tbEUlT_E_NS1_11comp_targetILNS1_3genE10ELNS1_11target_archE1200ELNS1_3gpuE4ELNS1_3repE0EEENS1_30default_config_static_selectorELNS0_4arch9wavefront6targetE1EEEvT1_
	.globl	_ZN7rocprim17ROCPRIM_400000_NS6detail17trampoline_kernelINS0_14default_configENS1_25transform_config_selectorIiLb0EEEZNS1_14transform_implILb0ES3_S5_N6thrust23THRUST_200600_302600_NS6detail15normal_iteratorINS8_10device_ptrIiEEEEPiNS0_8identityIiEEEE10hipError_tT2_T3_mT4_P12ihipStream_tbEUlT_E_NS1_11comp_targetILNS1_3genE10ELNS1_11target_archE1200ELNS1_3gpuE4ELNS1_3repE0EEENS1_30default_config_static_selectorELNS0_4arch9wavefront6targetE1EEEvT1_
	.p2align	8
	.type	_ZN7rocprim17ROCPRIM_400000_NS6detail17trampoline_kernelINS0_14default_configENS1_25transform_config_selectorIiLb0EEEZNS1_14transform_implILb0ES3_S5_N6thrust23THRUST_200600_302600_NS6detail15normal_iteratorINS8_10device_ptrIiEEEEPiNS0_8identityIiEEEE10hipError_tT2_T3_mT4_P12ihipStream_tbEUlT_E_NS1_11comp_targetILNS1_3genE10ELNS1_11target_archE1200ELNS1_3gpuE4ELNS1_3repE0EEENS1_30default_config_static_selectorELNS0_4arch9wavefront6targetE1EEEvT1_,@function
_ZN7rocprim17ROCPRIM_400000_NS6detail17trampoline_kernelINS0_14default_configENS1_25transform_config_selectorIiLb0EEEZNS1_14transform_implILb0ES3_S5_N6thrust23THRUST_200600_302600_NS6detail15normal_iteratorINS8_10device_ptrIiEEEEPiNS0_8identityIiEEEE10hipError_tT2_T3_mT4_P12ihipStream_tbEUlT_E_NS1_11comp_targetILNS1_3genE10ELNS1_11target_archE1200ELNS1_3gpuE4ELNS1_3repE0EEENS1_30default_config_static_selectorELNS0_4arch9wavefront6targetE1EEEvT1_: ; @_ZN7rocprim17ROCPRIM_400000_NS6detail17trampoline_kernelINS0_14default_configENS1_25transform_config_selectorIiLb0EEEZNS1_14transform_implILb0ES3_S5_N6thrust23THRUST_200600_302600_NS6detail15normal_iteratorINS8_10device_ptrIiEEEEPiNS0_8identityIiEEEE10hipError_tT2_T3_mT4_P12ihipStream_tbEUlT_E_NS1_11comp_targetILNS1_3genE10ELNS1_11target_archE1200ELNS1_3gpuE4ELNS1_3repE0EEENS1_30default_config_static_selectorELNS0_4arch9wavefront6targetE1EEEvT1_
; %bb.0:
	.section	.rodata,"a",@progbits
	.p2align	6, 0x0
	.amdhsa_kernel _ZN7rocprim17ROCPRIM_400000_NS6detail17trampoline_kernelINS0_14default_configENS1_25transform_config_selectorIiLb0EEEZNS1_14transform_implILb0ES3_S5_N6thrust23THRUST_200600_302600_NS6detail15normal_iteratorINS8_10device_ptrIiEEEEPiNS0_8identityIiEEEE10hipError_tT2_T3_mT4_P12ihipStream_tbEUlT_E_NS1_11comp_targetILNS1_3genE10ELNS1_11target_archE1200ELNS1_3gpuE4ELNS1_3repE0EEENS1_30default_config_static_selectorELNS0_4arch9wavefront6targetE1EEEvT1_
		.amdhsa_group_segment_fixed_size 0
		.amdhsa_private_segment_fixed_size 0
		.amdhsa_kernarg_size 40
		.amdhsa_user_sgpr_count 2
		.amdhsa_user_sgpr_dispatch_ptr 0
		.amdhsa_user_sgpr_queue_ptr 0
		.amdhsa_user_sgpr_kernarg_segment_ptr 1
		.amdhsa_user_sgpr_dispatch_id 0
		.amdhsa_user_sgpr_kernarg_preload_length 0
		.amdhsa_user_sgpr_kernarg_preload_offset 0
		.amdhsa_user_sgpr_private_segment_size 0
		.amdhsa_uses_dynamic_stack 0
		.amdhsa_enable_private_segment 0
		.amdhsa_system_sgpr_workgroup_id_x 1
		.amdhsa_system_sgpr_workgroup_id_y 0
		.amdhsa_system_sgpr_workgroup_id_z 0
		.amdhsa_system_sgpr_workgroup_info 0
		.amdhsa_system_vgpr_workitem_id 0
		.amdhsa_next_free_vgpr 1
		.amdhsa_next_free_sgpr 0
		.amdhsa_accum_offset 4
		.amdhsa_reserve_vcc 0
		.amdhsa_float_round_mode_32 0
		.amdhsa_float_round_mode_16_64 0
		.amdhsa_float_denorm_mode_32 3
		.amdhsa_float_denorm_mode_16_64 3
		.amdhsa_dx10_clamp 1
		.amdhsa_ieee_mode 1
		.amdhsa_fp16_overflow 0
		.amdhsa_tg_split 0
		.amdhsa_exception_fp_ieee_invalid_op 0
		.amdhsa_exception_fp_denorm_src 0
		.amdhsa_exception_fp_ieee_div_zero 0
		.amdhsa_exception_fp_ieee_overflow 0
		.amdhsa_exception_fp_ieee_underflow 0
		.amdhsa_exception_fp_ieee_inexact 0
		.amdhsa_exception_int_div_zero 0
	.end_amdhsa_kernel
	.section	.text._ZN7rocprim17ROCPRIM_400000_NS6detail17trampoline_kernelINS0_14default_configENS1_25transform_config_selectorIiLb0EEEZNS1_14transform_implILb0ES3_S5_N6thrust23THRUST_200600_302600_NS6detail15normal_iteratorINS8_10device_ptrIiEEEEPiNS0_8identityIiEEEE10hipError_tT2_T3_mT4_P12ihipStream_tbEUlT_E_NS1_11comp_targetILNS1_3genE10ELNS1_11target_archE1200ELNS1_3gpuE4ELNS1_3repE0EEENS1_30default_config_static_selectorELNS0_4arch9wavefront6targetE1EEEvT1_,"axG",@progbits,_ZN7rocprim17ROCPRIM_400000_NS6detail17trampoline_kernelINS0_14default_configENS1_25transform_config_selectorIiLb0EEEZNS1_14transform_implILb0ES3_S5_N6thrust23THRUST_200600_302600_NS6detail15normal_iteratorINS8_10device_ptrIiEEEEPiNS0_8identityIiEEEE10hipError_tT2_T3_mT4_P12ihipStream_tbEUlT_E_NS1_11comp_targetILNS1_3genE10ELNS1_11target_archE1200ELNS1_3gpuE4ELNS1_3repE0EEENS1_30default_config_static_selectorELNS0_4arch9wavefront6targetE1EEEvT1_,comdat
.Lfunc_end1416:
	.size	_ZN7rocprim17ROCPRIM_400000_NS6detail17trampoline_kernelINS0_14default_configENS1_25transform_config_selectorIiLb0EEEZNS1_14transform_implILb0ES3_S5_N6thrust23THRUST_200600_302600_NS6detail15normal_iteratorINS8_10device_ptrIiEEEEPiNS0_8identityIiEEEE10hipError_tT2_T3_mT4_P12ihipStream_tbEUlT_E_NS1_11comp_targetILNS1_3genE10ELNS1_11target_archE1200ELNS1_3gpuE4ELNS1_3repE0EEENS1_30default_config_static_selectorELNS0_4arch9wavefront6targetE1EEEvT1_, .Lfunc_end1416-_ZN7rocprim17ROCPRIM_400000_NS6detail17trampoline_kernelINS0_14default_configENS1_25transform_config_selectorIiLb0EEEZNS1_14transform_implILb0ES3_S5_N6thrust23THRUST_200600_302600_NS6detail15normal_iteratorINS8_10device_ptrIiEEEEPiNS0_8identityIiEEEE10hipError_tT2_T3_mT4_P12ihipStream_tbEUlT_E_NS1_11comp_targetILNS1_3genE10ELNS1_11target_archE1200ELNS1_3gpuE4ELNS1_3repE0EEENS1_30default_config_static_selectorELNS0_4arch9wavefront6targetE1EEEvT1_
                                        ; -- End function
	.set _ZN7rocprim17ROCPRIM_400000_NS6detail17trampoline_kernelINS0_14default_configENS1_25transform_config_selectorIiLb0EEEZNS1_14transform_implILb0ES3_S5_N6thrust23THRUST_200600_302600_NS6detail15normal_iteratorINS8_10device_ptrIiEEEEPiNS0_8identityIiEEEE10hipError_tT2_T3_mT4_P12ihipStream_tbEUlT_E_NS1_11comp_targetILNS1_3genE10ELNS1_11target_archE1200ELNS1_3gpuE4ELNS1_3repE0EEENS1_30default_config_static_selectorELNS0_4arch9wavefront6targetE1EEEvT1_.num_vgpr, 0
	.set _ZN7rocprim17ROCPRIM_400000_NS6detail17trampoline_kernelINS0_14default_configENS1_25transform_config_selectorIiLb0EEEZNS1_14transform_implILb0ES3_S5_N6thrust23THRUST_200600_302600_NS6detail15normal_iteratorINS8_10device_ptrIiEEEEPiNS0_8identityIiEEEE10hipError_tT2_T3_mT4_P12ihipStream_tbEUlT_E_NS1_11comp_targetILNS1_3genE10ELNS1_11target_archE1200ELNS1_3gpuE4ELNS1_3repE0EEENS1_30default_config_static_selectorELNS0_4arch9wavefront6targetE1EEEvT1_.num_agpr, 0
	.set _ZN7rocprim17ROCPRIM_400000_NS6detail17trampoline_kernelINS0_14default_configENS1_25transform_config_selectorIiLb0EEEZNS1_14transform_implILb0ES3_S5_N6thrust23THRUST_200600_302600_NS6detail15normal_iteratorINS8_10device_ptrIiEEEEPiNS0_8identityIiEEEE10hipError_tT2_T3_mT4_P12ihipStream_tbEUlT_E_NS1_11comp_targetILNS1_3genE10ELNS1_11target_archE1200ELNS1_3gpuE4ELNS1_3repE0EEENS1_30default_config_static_selectorELNS0_4arch9wavefront6targetE1EEEvT1_.numbered_sgpr, 0
	.set _ZN7rocprim17ROCPRIM_400000_NS6detail17trampoline_kernelINS0_14default_configENS1_25transform_config_selectorIiLb0EEEZNS1_14transform_implILb0ES3_S5_N6thrust23THRUST_200600_302600_NS6detail15normal_iteratorINS8_10device_ptrIiEEEEPiNS0_8identityIiEEEE10hipError_tT2_T3_mT4_P12ihipStream_tbEUlT_E_NS1_11comp_targetILNS1_3genE10ELNS1_11target_archE1200ELNS1_3gpuE4ELNS1_3repE0EEENS1_30default_config_static_selectorELNS0_4arch9wavefront6targetE1EEEvT1_.num_named_barrier, 0
	.set _ZN7rocprim17ROCPRIM_400000_NS6detail17trampoline_kernelINS0_14default_configENS1_25transform_config_selectorIiLb0EEEZNS1_14transform_implILb0ES3_S5_N6thrust23THRUST_200600_302600_NS6detail15normal_iteratorINS8_10device_ptrIiEEEEPiNS0_8identityIiEEEE10hipError_tT2_T3_mT4_P12ihipStream_tbEUlT_E_NS1_11comp_targetILNS1_3genE10ELNS1_11target_archE1200ELNS1_3gpuE4ELNS1_3repE0EEENS1_30default_config_static_selectorELNS0_4arch9wavefront6targetE1EEEvT1_.private_seg_size, 0
	.set _ZN7rocprim17ROCPRIM_400000_NS6detail17trampoline_kernelINS0_14default_configENS1_25transform_config_selectorIiLb0EEEZNS1_14transform_implILb0ES3_S5_N6thrust23THRUST_200600_302600_NS6detail15normal_iteratorINS8_10device_ptrIiEEEEPiNS0_8identityIiEEEE10hipError_tT2_T3_mT4_P12ihipStream_tbEUlT_E_NS1_11comp_targetILNS1_3genE10ELNS1_11target_archE1200ELNS1_3gpuE4ELNS1_3repE0EEENS1_30default_config_static_selectorELNS0_4arch9wavefront6targetE1EEEvT1_.uses_vcc, 0
	.set _ZN7rocprim17ROCPRIM_400000_NS6detail17trampoline_kernelINS0_14default_configENS1_25transform_config_selectorIiLb0EEEZNS1_14transform_implILb0ES3_S5_N6thrust23THRUST_200600_302600_NS6detail15normal_iteratorINS8_10device_ptrIiEEEEPiNS0_8identityIiEEEE10hipError_tT2_T3_mT4_P12ihipStream_tbEUlT_E_NS1_11comp_targetILNS1_3genE10ELNS1_11target_archE1200ELNS1_3gpuE4ELNS1_3repE0EEENS1_30default_config_static_selectorELNS0_4arch9wavefront6targetE1EEEvT1_.uses_flat_scratch, 0
	.set _ZN7rocprim17ROCPRIM_400000_NS6detail17trampoline_kernelINS0_14default_configENS1_25transform_config_selectorIiLb0EEEZNS1_14transform_implILb0ES3_S5_N6thrust23THRUST_200600_302600_NS6detail15normal_iteratorINS8_10device_ptrIiEEEEPiNS0_8identityIiEEEE10hipError_tT2_T3_mT4_P12ihipStream_tbEUlT_E_NS1_11comp_targetILNS1_3genE10ELNS1_11target_archE1200ELNS1_3gpuE4ELNS1_3repE0EEENS1_30default_config_static_selectorELNS0_4arch9wavefront6targetE1EEEvT1_.has_dyn_sized_stack, 0
	.set _ZN7rocprim17ROCPRIM_400000_NS6detail17trampoline_kernelINS0_14default_configENS1_25transform_config_selectorIiLb0EEEZNS1_14transform_implILb0ES3_S5_N6thrust23THRUST_200600_302600_NS6detail15normal_iteratorINS8_10device_ptrIiEEEEPiNS0_8identityIiEEEE10hipError_tT2_T3_mT4_P12ihipStream_tbEUlT_E_NS1_11comp_targetILNS1_3genE10ELNS1_11target_archE1200ELNS1_3gpuE4ELNS1_3repE0EEENS1_30default_config_static_selectorELNS0_4arch9wavefront6targetE1EEEvT1_.has_recursion, 0
	.set _ZN7rocprim17ROCPRIM_400000_NS6detail17trampoline_kernelINS0_14default_configENS1_25transform_config_selectorIiLb0EEEZNS1_14transform_implILb0ES3_S5_N6thrust23THRUST_200600_302600_NS6detail15normal_iteratorINS8_10device_ptrIiEEEEPiNS0_8identityIiEEEE10hipError_tT2_T3_mT4_P12ihipStream_tbEUlT_E_NS1_11comp_targetILNS1_3genE10ELNS1_11target_archE1200ELNS1_3gpuE4ELNS1_3repE0EEENS1_30default_config_static_selectorELNS0_4arch9wavefront6targetE1EEEvT1_.has_indirect_call, 0
	.section	.AMDGPU.csdata,"",@progbits
; Kernel info:
; codeLenInByte = 0
; TotalNumSgprs: 6
; NumVgprs: 0
; NumAgprs: 0
; TotalNumVgprs: 0
; ScratchSize: 0
; MemoryBound: 0
; FloatMode: 240
; IeeeMode: 1
; LDSByteSize: 0 bytes/workgroup (compile time only)
; SGPRBlocks: 0
; VGPRBlocks: 0
; NumSGPRsForWavesPerEU: 6
; NumVGPRsForWavesPerEU: 1
; AccumOffset: 4
; Occupancy: 8
; WaveLimiterHint : 0
; COMPUTE_PGM_RSRC2:SCRATCH_EN: 0
; COMPUTE_PGM_RSRC2:USER_SGPR: 2
; COMPUTE_PGM_RSRC2:TRAP_HANDLER: 0
; COMPUTE_PGM_RSRC2:TGID_X_EN: 1
; COMPUTE_PGM_RSRC2:TGID_Y_EN: 0
; COMPUTE_PGM_RSRC2:TGID_Z_EN: 0
; COMPUTE_PGM_RSRC2:TIDIG_COMP_CNT: 0
; COMPUTE_PGM_RSRC3_GFX90A:ACCUM_OFFSET: 0
; COMPUTE_PGM_RSRC3_GFX90A:TG_SPLIT: 0
	.section	.text._ZN7rocprim17ROCPRIM_400000_NS6detail17trampoline_kernelINS0_14default_configENS1_25transform_config_selectorIiLb0EEEZNS1_14transform_implILb0ES3_S5_N6thrust23THRUST_200600_302600_NS6detail15normal_iteratorINS8_10device_ptrIiEEEEPiNS0_8identityIiEEEE10hipError_tT2_T3_mT4_P12ihipStream_tbEUlT_E_NS1_11comp_targetILNS1_3genE9ELNS1_11target_archE1100ELNS1_3gpuE3ELNS1_3repE0EEENS1_30default_config_static_selectorELNS0_4arch9wavefront6targetE1EEEvT1_,"axG",@progbits,_ZN7rocprim17ROCPRIM_400000_NS6detail17trampoline_kernelINS0_14default_configENS1_25transform_config_selectorIiLb0EEEZNS1_14transform_implILb0ES3_S5_N6thrust23THRUST_200600_302600_NS6detail15normal_iteratorINS8_10device_ptrIiEEEEPiNS0_8identityIiEEEE10hipError_tT2_T3_mT4_P12ihipStream_tbEUlT_E_NS1_11comp_targetILNS1_3genE9ELNS1_11target_archE1100ELNS1_3gpuE3ELNS1_3repE0EEENS1_30default_config_static_selectorELNS0_4arch9wavefront6targetE1EEEvT1_,comdat
	.protected	_ZN7rocprim17ROCPRIM_400000_NS6detail17trampoline_kernelINS0_14default_configENS1_25transform_config_selectorIiLb0EEEZNS1_14transform_implILb0ES3_S5_N6thrust23THRUST_200600_302600_NS6detail15normal_iteratorINS8_10device_ptrIiEEEEPiNS0_8identityIiEEEE10hipError_tT2_T3_mT4_P12ihipStream_tbEUlT_E_NS1_11comp_targetILNS1_3genE9ELNS1_11target_archE1100ELNS1_3gpuE3ELNS1_3repE0EEENS1_30default_config_static_selectorELNS0_4arch9wavefront6targetE1EEEvT1_ ; -- Begin function _ZN7rocprim17ROCPRIM_400000_NS6detail17trampoline_kernelINS0_14default_configENS1_25transform_config_selectorIiLb0EEEZNS1_14transform_implILb0ES3_S5_N6thrust23THRUST_200600_302600_NS6detail15normal_iteratorINS8_10device_ptrIiEEEEPiNS0_8identityIiEEEE10hipError_tT2_T3_mT4_P12ihipStream_tbEUlT_E_NS1_11comp_targetILNS1_3genE9ELNS1_11target_archE1100ELNS1_3gpuE3ELNS1_3repE0EEENS1_30default_config_static_selectorELNS0_4arch9wavefront6targetE1EEEvT1_
	.globl	_ZN7rocprim17ROCPRIM_400000_NS6detail17trampoline_kernelINS0_14default_configENS1_25transform_config_selectorIiLb0EEEZNS1_14transform_implILb0ES3_S5_N6thrust23THRUST_200600_302600_NS6detail15normal_iteratorINS8_10device_ptrIiEEEEPiNS0_8identityIiEEEE10hipError_tT2_T3_mT4_P12ihipStream_tbEUlT_E_NS1_11comp_targetILNS1_3genE9ELNS1_11target_archE1100ELNS1_3gpuE3ELNS1_3repE0EEENS1_30default_config_static_selectorELNS0_4arch9wavefront6targetE1EEEvT1_
	.p2align	8
	.type	_ZN7rocprim17ROCPRIM_400000_NS6detail17trampoline_kernelINS0_14default_configENS1_25transform_config_selectorIiLb0EEEZNS1_14transform_implILb0ES3_S5_N6thrust23THRUST_200600_302600_NS6detail15normal_iteratorINS8_10device_ptrIiEEEEPiNS0_8identityIiEEEE10hipError_tT2_T3_mT4_P12ihipStream_tbEUlT_E_NS1_11comp_targetILNS1_3genE9ELNS1_11target_archE1100ELNS1_3gpuE3ELNS1_3repE0EEENS1_30default_config_static_selectorELNS0_4arch9wavefront6targetE1EEEvT1_,@function
_ZN7rocprim17ROCPRIM_400000_NS6detail17trampoline_kernelINS0_14default_configENS1_25transform_config_selectorIiLb0EEEZNS1_14transform_implILb0ES3_S5_N6thrust23THRUST_200600_302600_NS6detail15normal_iteratorINS8_10device_ptrIiEEEEPiNS0_8identityIiEEEE10hipError_tT2_T3_mT4_P12ihipStream_tbEUlT_E_NS1_11comp_targetILNS1_3genE9ELNS1_11target_archE1100ELNS1_3gpuE3ELNS1_3repE0EEENS1_30default_config_static_selectorELNS0_4arch9wavefront6targetE1EEEvT1_: ; @_ZN7rocprim17ROCPRIM_400000_NS6detail17trampoline_kernelINS0_14default_configENS1_25transform_config_selectorIiLb0EEEZNS1_14transform_implILb0ES3_S5_N6thrust23THRUST_200600_302600_NS6detail15normal_iteratorINS8_10device_ptrIiEEEEPiNS0_8identityIiEEEE10hipError_tT2_T3_mT4_P12ihipStream_tbEUlT_E_NS1_11comp_targetILNS1_3genE9ELNS1_11target_archE1100ELNS1_3gpuE3ELNS1_3repE0EEENS1_30default_config_static_selectorELNS0_4arch9wavefront6targetE1EEEvT1_
; %bb.0:
	.section	.rodata,"a",@progbits
	.p2align	6, 0x0
	.amdhsa_kernel _ZN7rocprim17ROCPRIM_400000_NS6detail17trampoline_kernelINS0_14default_configENS1_25transform_config_selectorIiLb0EEEZNS1_14transform_implILb0ES3_S5_N6thrust23THRUST_200600_302600_NS6detail15normal_iteratorINS8_10device_ptrIiEEEEPiNS0_8identityIiEEEE10hipError_tT2_T3_mT4_P12ihipStream_tbEUlT_E_NS1_11comp_targetILNS1_3genE9ELNS1_11target_archE1100ELNS1_3gpuE3ELNS1_3repE0EEENS1_30default_config_static_selectorELNS0_4arch9wavefront6targetE1EEEvT1_
		.amdhsa_group_segment_fixed_size 0
		.amdhsa_private_segment_fixed_size 0
		.amdhsa_kernarg_size 40
		.amdhsa_user_sgpr_count 2
		.amdhsa_user_sgpr_dispatch_ptr 0
		.amdhsa_user_sgpr_queue_ptr 0
		.amdhsa_user_sgpr_kernarg_segment_ptr 1
		.amdhsa_user_sgpr_dispatch_id 0
		.amdhsa_user_sgpr_kernarg_preload_length 0
		.amdhsa_user_sgpr_kernarg_preload_offset 0
		.amdhsa_user_sgpr_private_segment_size 0
		.amdhsa_uses_dynamic_stack 0
		.amdhsa_enable_private_segment 0
		.amdhsa_system_sgpr_workgroup_id_x 1
		.amdhsa_system_sgpr_workgroup_id_y 0
		.amdhsa_system_sgpr_workgroup_id_z 0
		.amdhsa_system_sgpr_workgroup_info 0
		.amdhsa_system_vgpr_workitem_id 0
		.amdhsa_next_free_vgpr 1
		.amdhsa_next_free_sgpr 0
		.amdhsa_accum_offset 4
		.amdhsa_reserve_vcc 0
		.amdhsa_float_round_mode_32 0
		.amdhsa_float_round_mode_16_64 0
		.amdhsa_float_denorm_mode_32 3
		.amdhsa_float_denorm_mode_16_64 3
		.amdhsa_dx10_clamp 1
		.amdhsa_ieee_mode 1
		.amdhsa_fp16_overflow 0
		.amdhsa_tg_split 0
		.amdhsa_exception_fp_ieee_invalid_op 0
		.amdhsa_exception_fp_denorm_src 0
		.amdhsa_exception_fp_ieee_div_zero 0
		.amdhsa_exception_fp_ieee_overflow 0
		.amdhsa_exception_fp_ieee_underflow 0
		.amdhsa_exception_fp_ieee_inexact 0
		.amdhsa_exception_int_div_zero 0
	.end_amdhsa_kernel
	.section	.text._ZN7rocprim17ROCPRIM_400000_NS6detail17trampoline_kernelINS0_14default_configENS1_25transform_config_selectorIiLb0EEEZNS1_14transform_implILb0ES3_S5_N6thrust23THRUST_200600_302600_NS6detail15normal_iteratorINS8_10device_ptrIiEEEEPiNS0_8identityIiEEEE10hipError_tT2_T3_mT4_P12ihipStream_tbEUlT_E_NS1_11comp_targetILNS1_3genE9ELNS1_11target_archE1100ELNS1_3gpuE3ELNS1_3repE0EEENS1_30default_config_static_selectorELNS0_4arch9wavefront6targetE1EEEvT1_,"axG",@progbits,_ZN7rocprim17ROCPRIM_400000_NS6detail17trampoline_kernelINS0_14default_configENS1_25transform_config_selectorIiLb0EEEZNS1_14transform_implILb0ES3_S5_N6thrust23THRUST_200600_302600_NS6detail15normal_iteratorINS8_10device_ptrIiEEEEPiNS0_8identityIiEEEE10hipError_tT2_T3_mT4_P12ihipStream_tbEUlT_E_NS1_11comp_targetILNS1_3genE9ELNS1_11target_archE1100ELNS1_3gpuE3ELNS1_3repE0EEENS1_30default_config_static_selectorELNS0_4arch9wavefront6targetE1EEEvT1_,comdat
.Lfunc_end1417:
	.size	_ZN7rocprim17ROCPRIM_400000_NS6detail17trampoline_kernelINS0_14default_configENS1_25transform_config_selectorIiLb0EEEZNS1_14transform_implILb0ES3_S5_N6thrust23THRUST_200600_302600_NS6detail15normal_iteratorINS8_10device_ptrIiEEEEPiNS0_8identityIiEEEE10hipError_tT2_T3_mT4_P12ihipStream_tbEUlT_E_NS1_11comp_targetILNS1_3genE9ELNS1_11target_archE1100ELNS1_3gpuE3ELNS1_3repE0EEENS1_30default_config_static_selectorELNS0_4arch9wavefront6targetE1EEEvT1_, .Lfunc_end1417-_ZN7rocprim17ROCPRIM_400000_NS6detail17trampoline_kernelINS0_14default_configENS1_25transform_config_selectorIiLb0EEEZNS1_14transform_implILb0ES3_S5_N6thrust23THRUST_200600_302600_NS6detail15normal_iteratorINS8_10device_ptrIiEEEEPiNS0_8identityIiEEEE10hipError_tT2_T3_mT4_P12ihipStream_tbEUlT_E_NS1_11comp_targetILNS1_3genE9ELNS1_11target_archE1100ELNS1_3gpuE3ELNS1_3repE0EEENS1_30default_config_static_selectorELNS0_4arch9wavefront6targetE1EEEvT1_
                                        ; -- End function
	.set _ZN7rocprim17ROCPRIM_400000_NS6detail17trampoline_kernelINS0_14default_configENS1_25transform_config_selectorIiLb0EEEZNS1_14transform_implILb0ES3_S5_N6thrust23THRUST_200600_302600_NS6detail15normal_iteratorINS8_10device_ptrIiEEEEPiNS0_8identityIiEEEE10hipError_tT2_T3_mT4_P12ihipStream_tbEUlT_E_NS1_11comp_targetILNS1_3genE9ELNS1_11target_archE1100ELNS1_3gpuE3ELNS1_3repE0EEENS1_30default_config_static_selectorELNS0_4arch9wavefront6targetE1EEEvT1_.num_vgpr, 0
	.set _ZN7rocprim17ROCPRIM_400000_NS6detail17trampoline_kernelINS0_14default_configENS1_25transform_config_selectorIiLb0EEEZNS1_14transform_implILb0ES3_S5_N6thrust23THRUST_200600_302600_NS6detail15normal_iteratorINS8_10device_ptrIiEEEEPiNS0_8identityIiEEEE10hipError_tT2_T3_mT4_P12ihipStream_tbEUlT_E_NS1_11comp_targetILNS1_3genE9ELNS1_11target_archE1100ELNS1_3gpuE3ELNS1_3repE0EEENS1_30default_config_static_selectorELNS0_4arch9wavefront6targetE1EEEvT1_.num_agpr, 0
	.set _ZN7rocprim17ROCPRIM_400000_NS6detail17trampoline_kernelINS0_14default_configENS1_25transform_config_selectorIiLb0EEEZNS1_14transform_implILb0ES3_S5_N6thrust23THRUST_200600_302600_NS6detail15normal_iteratorINS8_10device_ptrIiEEEEPiNS0_8identityIiEEEE10hipError_tT2_T3_mT4_P12ihipStream_tbEUlT_E_NS1_11comp_targetILNS1_3genE9ELNS1_11target_archE1100ELNS1_3gpuE3ELNS1_3repE0EEENS1_30default_config_static_selectorELNS0_4arch9wavefront6targetE1EEEvT1_.numbered_sgpr, 0
	.set _ZN7rocprim17ROCPRIM_400000_NS6detail17trampoline_kernelINS0_14default_configENS1_25transform_config_selectorIiLb0EEEZNS1_14transform_implILb0ES3_S5_N6thrust23THRUST_200600_302600_NS6detail15normal_iteratorINS8_10device_ptrIiEEEEPiNS0_8identityIiEEEE10hipError_tT2_T3_mT4_P12ihipStream_tbEUlT_E_NS1_11comp_targetILNS1_3genE9ELNS1_11target_archE1100ELNS1_3gpuE3ELNS1_3repE0EEENS1_30default_config_static_selectorELNS0_4arch9wavefront6targetE1EEEvT1_.num_named_barrier, 0
	.set _ZN7rocprim17ROCPRIM_400000_NS6detail17trampoline_kernelINS0_14default_configENS1_25transform_config_selectorIiLb0EEEZNS1_14transform_implILb0ES3_S5_N6thrust23THRUST_200600_302600_NS6detail15normal_iteratorINS8_10device_ptrIiEEEEPiNS0_8identityIiEEEE10hipError_tT2_T3_mT4_P12ihipStream_tbEUlT_E_NS1_11comp_targetILNS1_3genE9ELNS1_11target_archE1100ELNS1_3gpuE3ELNS1_3repE0EEENS1_30default_config_static_selectorELNS0_4arch9wavefront6targetE1EEEvT1_.private_seg_size, 0
	.set _ZN7rocprim17ROCPRIM_400000_NS6detail17trampoline_kernelINS0_14default_configENS1_25transform_config_selectorIiLb0EEEZNS1_14transform_implILb0ES3_S5_N6thrust23THRUST_200600_302600_NS6detail15normal_iteratorINS8_10device_ptrIiEEEEPiNS0_8identityIiEEEE10hipError_tT2_T3_mT4_P12ihipStream_tbEUlT_E_NS1_11comp_targetILNS1_3genE9ELNS1_11target_archE1100ELNS1_3gpuE3ELNS1_3repE0EEENS1_30default_config_static_selectorELNS0_4arch9wavefront6targetE1EEEvT1_.uses_vcc, 0
	.set _ZN7rocprim17ROCPRIM_400000_NS6detail17trampoline_kernelINS0_14default_configENS1_25transform_config_selectorIiLb0EEEZNS1_14transform_implILb0ES3_S5_N6thrust23THRUST_200600_302600_NS6detail15normal_iteratorINS8_10device_ptrIiEEEEPiNS0_8identityIiEEEE10hipError_tT2_T3_mT4_P12ihipStream_tbEUlT_E_NS1_11comp_targetILNS1_3genE9ELNS1_11target_archE1100ELNS1_3gpuE3ELNS1_3repE0EEENS1_30default_config_static_selectorELNS0_4arch9wavefront6targetE1EEEvT1_.uses_flat_scratch, 0
	.set _ZN7rocprim17ROCPRIM_400000_NS6detail17trampoline_kernelINS0_14default_configENS1_25transform_config_selectorIiLb0EEEZNS1_14transform_implILb0ES3_S5_N6thrust23THRUST_200600_302600_NS6detail15normal_iteratorINS8_10device_ptrIiEEEEPiNS0_8identityIiEEEE10hipError_tT2_T3_mT4_P12ihipStream_tbEUlT_E_NS1_11comp_targetILNS1_3genE9ELNS1_11target_archE1100ELNS1_3gpuE3ELNS1_3repE0EEENS1_30default_config_static_selectorELNS0_4arch9wavefront6targetE1EEEvT1_.has_dyn_sized_stack, 0
	.set _ZN7rocprim17ROCPRIM_400000_NS6detail17trampoline_kernelINS0_14default_configENS1_25transform_config_selectorIiLb0EEEZNS1_14transform_implILb0ES3_S5_N6thrust23THRUST_200600_302600_NS6detail15normal_iteratorINS8_10device_ptrIiEEEEPiNS0_8identityIiEEEE10hipError_tT2_T3_mT4_P12ihipStream_tbEUlT_E_NS1_11comp_targetILNS1_3genE9ELNS1_11target_archE1100ELNS1_3gpuE3ELNS1_3repE0EEENS1_30default_config_static_selectorELNS0_4arch9wavefront6targetE1EEEvT1_.has_recursion, 0
	.set _ZN7rocprim17ROCPRIM_400000_NS6detail17trampoline_kernelINS0_14default_configENS1_25transform_config_selectorIiLb0EEEZNS1_14transform_implILb0ES3_S5_N6thrust23THRUST_200600_302600_NS6detail15normal_iteratorINS8_10device_ptrIiEEEEPiNS0_8identityIiEEEE10hipError_tT2_T3_mT4_P12ihipStream_tbEUlT_E_NS1_11comp_targetILNS1_3genE9ELNS1_11target_archE1100ELNS1_3gpuE3ELNS1_3repE0EEENS1_30default_config_static_selectorELNS0_4arch9wavefront6targetE1EEEvT1_.has_indirect_call, 0
	.section	.AMDGPU.csdata,"",@progbits
; Kernel info:
; codeLenInByte = 0
; TotalNumSgprs: 6
; NumVgprs: 0
; NumAgprs: 0
; TotalNumVgprs: 0
; ScratchSize: 0
; MemoryBound: 0
; FloatMode: 240
; IeeeMode: 1
; LDSByteSize: 0 bytes/workgroup (compile time only)
; SGPRBlocks: 0
; VGPRBlocks: 0
; NumSGPRsForWavesPerEU: 6
; NumVGPRsForWavesPerEU: 1
; AccumOffset: 4
; Occupancy: 8
; WaveLimiterHint : 0
; COMPUTE_PGM_RSRC2:SCRATCH_EN: 0
; COMPUTE_PGM_RSRC2:USER_SGPR: 2
; COMPUTE_PGM_RSRC2:TRAP_HANDLER: 0
; COMPUTE_PGM_RSRC2:TGID_X_EN: 1
; COMPUTE_PGM_RSRC2:TGID_Y_EN: 0
; COMPUTE_PGM_RSRC2:TGID_Z_EN: 0
; COMPUTE_PGM_RSRC2:TIDIG_COMP_CNT: 0
; COMPUTE_PGM_RSRC3_GFX90A:ACCUM_OFFSET: 0
; COMPUTE_PGM_RSRC3_GFX90A:TG_SPLIT: 0
	.section	.text._ZN7rocprim17ROCPRIM_400000_NS6detail17trampoline_kernelINS0_14default_configENS1_25transform_config_selectorIiLb0EEEZNS1_14transform_implILb0ES3_S5_N6thrust23THRUST_200600_302600_NS6detail15normal_iteratorINS8_10device_ptrIiEEEEPiNS0_8identityIiEEEE10hipError_tT2_T3_mT4_P12ihipStream_tbEUlT_E_NS1_11comp_targetILNS1_3genE8ELNS1_11target_archE1030ELNS1_3gpuE2ELNS1_3repE0EEENS1_30default_config_static_selectorELNS0_4arch9wavefront6targetE1EEEvT1_,"axG",@progbits,_ZN7rocprim17ROCPRIM_400000_NS6detail17trampoline_kernelINS0_14default_configENS1_25transform_config_selectorIiLb0EEEZNS1_14transform_implILb0ES3_S5_N6thrust23THRUST_200600_302600_NS6detail15normal_iteratorINS8_10device_ptrIiEEEEPiNS0_8identityIiEEEE10hipError_tT2_T3_mT4_P12ihipStream_tbEUlT_E_NS1_11comp_targetILNS1_3genE8ELNS1_11target_archE1030ELNS1_3gpuE2ELNS1_3repE0EEENS1_30default_config_static_selectorELNS0_4arch9wavefront6targetE1EEEvT1_,comdat
	.protected	_ZN7rocprim17ROCPRIM_400000_NS6detail17trampoline_kernelINS0_14default_configENS1_25transform_config_selectorIiLb0EEEZNS1_14transform_implILb0ES3_S5_N6thrust23THRUST_200600_302600_NS6detail15normal_iteratorINS8_10device_ptrIiEEEEPiNS0_8identityIiEEEE10hipError_tT2_T3_mT4_P12ihipStream_tbEUlT_E_NS1_11comp_targetILNS1_3genE8ELNS1_11target_archE1030ELNS1_3gpuE2ELNS1_3repE0EEENS1_30default_config_static_selectorELNS0_4arch9wavefront6targetE1EEEvT1_ ; -- Begin function _ZN7rocprim17ROCPRIM_400000_NS6detail17trampoline_kernelINS0_14default_configENS1_25transform_config_selectorIiLb0EEEZNS1_14transform_implILb0ES3_S5_N6thrust23THRUST_200600_302600_NS6detail15normal_iteratorINS8_10device_ptrIiEEEEPiNS0_8identityIiEEEE10hipError_tT2_T3_mT4_P12ihipStream_tbEUlT_E_NS1_11comp_targetILNS1_3genE8ELNS1_11target_archE1030ELNS1_3gpuE2ELNS1_3repE0EEENS1_30default_config_static_selectorELNS0_4arch9wavefront6targetE1EEEvT1_
	.globl	_ZN7rocprim17ROCPRIM_400000_NS6detail17trampoline_kernelINS0_14default_configENS1_25transform_config_selectorIiLb0EEEZNS1_14transform_implILb0ES3_S5_N6thrust23THRUST_200600_302600_NS6detail15normal_iteratorINS8_10device_ptrIiEEEEPiNS0_8identityIiEEEE10hipError_tT2_T3_mT4_P12ihipStream_tbEUlT_E_NS1_11comp_targetILNS1_3genE8ELNS1_11target_archE1030ELNS1_3gpuE2ELNS1_3repE0EEENS1_30default_config_static_selectorELNS0_4arch9wavefront6targetE1EEEvT1_
	.p2align	8
	.type	_ZN7rocprim17ROCPRIM_400000_NS6detail17trampoline_kernelINS0_14default_configENS1_25transform_config_selectorIiLb0EEEZNS1_14transform_implILb0ES3_S5_N6thrust23THRUST_200600_302600_NS6detail15normal_iteratorINS8_10device_ptrIiEEEEPiNS0_8identityIiEEEE10hipError_tT2_T3_mT4_P12ihipStream_tbEUlT_E_NS1_11comp_targetILNS1_3genE8ELNS1_11target_archE1030ELNS1_3gpuE2ELNS1_3repE0EEENS1_30default_config_static_selectorELNS0_4arch9wavefront6targetE1EEEvT1_,@function
_ZN7rocprim17ROCPRIM_400000_NS6detail17trampoline_kernelINS0_14default_configENS1_25transform_config_selectorIiLb0EEEZNS1_14transform_implILb0ES3_S5_N6thrust23THRUST_200600_302600_NS6detail15normal_iteratorINS8_10device_ptrIiEEEEPiNS0_8identityIiEEEE10hipError_tT2_T3_mT4_P12ihipStream_tbEUlT_E_NS1_11comp_targetILNS1_3genE8ELNS1_11target_archE1030ELNS1_3gpuE2ELNS1_3repE0EEENS1_30default_config_static_selectorELNS0_4arch9wavefront6targetE1EEEvT1_: ; @_ZN7rocprim17ROCPRIM_400000_NS6detail17trampoline_kernelINS0_14default_configENS1_25transform_config_selectorIiLb0EEEZNS1_14transform_implILb0ES3_S5_N6thrust23THRUST_200600_302600_NS6detail15normal_iteratorINS8_10device_ptrIiEEEEPiNS0_8identityIiEEEE10hipError_tT2_T3_mT4_P12ihipStream_tbEUlT_E_NS1_11comp_targetILNS1_3genE8ELNS1_11target_archE1030ELNS1_3gpuE2ELNS1_3repE0EEENS1_30default_config_static_selectorELNS0_4arch9wavefront6targetE1EEEvT1_
; %bb.0:
	.section	.rodata,"a",@progbits
	.p2align	6, 0x0
	.amdhsa_kernel _ZN7rocprim17ROCPRIM_400000_NS6detail17trampoline_kernelINS0_14default_configENS1_25transform_config_selectorIiLb0EEEZNS1_14transform_implILb0ES3_S5_N6thrust23THRUST_200600_302600_NS6detail15normal_iteratorINS8_10device_ptrIiEEEEPiNS0_8identityIiEEEE10hipError_tT2_T3_mT4_P12ihipStream_tbEUlT_E_NS1_11comp_targetILNS1_3genE8ELNS1_11target_archE1030ELNS1_3gpuE2ELNS1_3repE0EEENS1_30default_config_static_selectorELNS0_4arch9wavefront6targetE1EEEvT1_
		.amdhsa_group_segment_fixed_size 0
		.amdhsa_private_segment_fixed_size 0
		.amdhsa_kernarg_size 40
		.amdhsa_user_sgpr_count 2
		.amdhsa_user_sgpr_dispatch_ptr 0
		.amdhsa_user_sgpr_queue_ptr 0
		.amdhsa_user_sgpr_kernarg_segment_ptr 1
		.amdhsa_user_sgpr_dispatch_id 0
		.amdhsa_user_sgpr_kernarg_preload_length 0
		.amdhsa_user_sgpr_kernarg_preload_offset 0
		.amdhsa_user_sgpr_private_segment_size 0
		.amdhsa_uses_dynamic_stack 0
		.amdhsa_enable_private_segment 0
		.amdhsa_system_sgpr_workgroup_id_x 1
		.amdhsa_system_sgpr_workgroup_id_y 0
		.amdhsa_system_sgpr_workgroup_id_z 0
		.amdhsa_system_sgpr_workgroup_info 0
		.amdhsa_system_vgpr_workitem_id 0
		.amdhsa_next_free_vgpr 1
		.amdhsa_next_free_sgpr 0
		.amdhsa_accum_offset 4
		.amdhsa_reserve_vcc 0
		.amdhsa_float_round_mode_32 0
		.amdhsa_float_round_mode_16_64 0
		.amdhsa_float_denorm_mode_32 3
		.amdhsa_float_denorm_mode_16_64 3
		.amdhsa_dx10_clamp 1
		.amdhsa_ieee_mode 1
		.amdhsa_fp16_overflow 0
		.amdhsa_tg_split 0
		.amdhsa_exception_fp_ieee_invalid_op 0
		.amdhsa_exception_fp_denorm_src 0
		.amdhsa_exception_fp_ieee_div_zero 0
		.amdhsa_exception_fp_ieee_overflow 0
		.amdhsa_exception_fp_ieee_underflow 0
		.amdhsa_exception_fp_ieee_inexact 0
		.amdhsa_exception_int_div_zero 0
	.end_amdhsa_kernel
	.section	.text._ZN7rocprim17ROCPRIM_400000_NS6detail17trampoline_kernelINS0_14default_configENS1_25transform_config_selectorIiLb0EEEZNS1_14transform_implILb0ES3_S5_N6thrust23THRUST_200600_302600_NS6detail15normal_iteratorINS8_10device_ptrIiEEEEPiNS0_8identityIiEEEE10hipError_tT2_T3_mT4_P12ihipStream_tbEUlT_E_NS1_11comp_targetILNS1_3genE8ELNS1_11target_archE1030ELNS1_3gpuE2ELNS1_3repE0EEENS1_30default_config_static_selectorELNS0_4arch9wavefront6targetE1EEEvT1_,"axG",@progbits,_ZN7rocprim17ROCPRIM_400000_NS6detail17trampoline_kernelINS0_14default_configENS1_25transform_config_selectorIiLb0EEEZNS1_14transform_implILb0ES3_S5_N6thrust23THRUST_200600_302600_NS6detail15normal_iteratorINS8_10device_ptrIiEEEEPiNS0_8identityIiEEEE10hipError_tT2_T3_mT4_P12ihipStream_tbEUlT_E_NS1_11comp_targetILNS1_3genE8ELNS1_11target_archE1030ELNS1_3gpuE2ELNS1_3repE0EEENS1_30default_config_static_selectorELNS0_4arch9wavefront6targetE1EEEvT1_,comdat
.Lfunc_end1418:
	.size	_ZN7rocprim17ROCPRIM_400000_NS6detail17trampoline_kernelINS0_14default_configENS1_25transform_config_selectorIiLb0EEEZNS1_14transform_implILb0ES3_S5_N6thrust23THRUST_200600_302600_NS6detail15normal_iteratorINS8_10device_ptrIiEEEEPiNS0_8identityIiEEEE10hipError_tT2_T3_mT4_P12ihipStream_tbEUlT_E_NS1_11comp_targetILNS1_3genE8ELNS1_11target_archE1030ELNS1_3gpuE2ELNS1_3repE0EEENS1_30default_config_static_selectorELNS0_4arch9wavefront6targetE1EEEvT1_, .Lfunc_end1418-_ZN7rocprim17ROCPRIM_400000_NS6detail17trampoline_kernelINS0_14default_configENS1_25transform_config_selectorIiLb0EEEZNS1_14transform_implILb0ES3_S5_N6thrust23THRUST_200600_302600_NS6detail15normal_iteratorINS8_10device_ptrIiEEEEPiNS0_8identityIiEEEE10hipError_tT2_T3_mT4_P12ihipStream_tbEUlT_E_NS1_11comp_targetILNS1_3genE8ELNS1_11target_archE1030ELNS1_3gpuE2ELNS1_3repE0EEENS1_30default_config_static_selectorELNS0_4arch9wavefront6targetE1EEEvT1_
                                        ; -- End function
	.set _ZN7rocprim17ROCPRIM_400000_NS6detail17trampoline_kernelINS0_14default_configENS1_25transform_config_selectorIiLb0EEEZNS1_14transform_implILb0ES3_S5_N6thrust23THRUST_200600_302600_NS6detail15normal_iteratorINS8_10device_ptrIiEEEEPiNS0_8identityIiEEEE10hipError_tT2_T3_mT4_P12ihipStream_tbEUlT_E_NS1_11comp_targetILNS1_3genE8ELNS1_11target_archE1030ELNS1_3gpuE2ELNS1_3repE0EEENS1_30default_config_static_selectorELNS0_4arch9wavefront6targetE1EEEvT1_.num_vgpr, 0
	.set _ZN7rocprim17ROCPRIM_400000_NS6detail17trampoline_kernelINS0_14default_configENS1_25transform_config_selectorIiLb0EEEZNS1_14transform_implILb0ES3_S5_N6thrust23THRUST_200600_302600_NS6detail15normal_iteratorINS8_10device_ptrIiEEEEPiNS0_8identityIiEEEE10hipError_tT2_T3_mT4_P12ihipStream_tbEUlT_E_NS1_11comp_targetILNS1_3genE8ELNS1_11target_archE1030ELNS1_3gpuE2ELNS1_3repE0EEENS1_30default_config_static_selectorELNS0_4arch9wavefront6targetE1EEEvT1_.num_agpr, 0
	.set _ZN7rocprim17ROCPRIM_400000_NS6detail17trampoline_kernelINS0_14default_configENS1_25transform_config_selectorIiLb0EEEZNS1_14transform_implILb0ES3_S5_N6thrust23THRUST_200600_302600_NS6detail15normal_iteratorINS8_10device_ptrIiEEEEPiNS0_8identityIiEEEE10hipError_tT2_T3_mT4_P12ihipStream_tbEUlT_E_NS1_11comp_targetILNS1_3genE8ELNS1_11target_archE1030ELNS1_3gpuE2ELNS1_3repE0EEENS1_30default_config_static_selectorELNS0_4arch9wavefront6targetE1EEEvT1_.numbered_sgpr, 0
	.set _ZN7rocprim17ROCPRIM_400000_NS6detail17trampoline_kernelINS0_14default_configENS1_25transform_config_selectorIiLb0EEEZNS1_14transform_implILb0ES3_S5_N6thrust23THRUST_200600_302600_NS6detail15normal_iteratorINS8_10device_ptrIiEEEEPiNS0_8identityIiEEEE10hipError_tT2_T3_mT4_P12ihipStream_tbEUlT_E_NS1_11comp_targetILNS1_3genE8ELNS1_11target_archE1030ELNS1_3gpuE2ELNS1_3repE0EEENS1_30default_config_static_selectorELNS0_4arch9wavefront6targetE1EEEvT1_.num_named_barrier, 0
	.set _ZN7rocprim17ROCPRIM_400000_NS6detail17trampoline_kernelINS0_14default_configENS1_25transform_config_selectorIiLb0EEEZNS1_14transform_implILb0ES3_S5_N6thrust23THRUST_200600_302600_NS6detail15normal_iteratorINS8_10device_ptrIiEEEEPiNS0_8identityIiEEEE10hipError_tT2_T3_mT4_P12ihipStream_tbEUlT_E_NS1_11comp_targetILNS1_3genE8ELNS1_11target_archE1030ELNS1_3gpuE2ELNS1_3repE0EEENS1_30default_config_static_selectorELNS0_4arch9wavefront6targetE1EEEvT1_.private_seg_size, 0
	.set _ZN7rocprim17ROCPRIM_400000_NS6detail17trampoline_kernelINS0_14default_configENS1_25transform_config_selectorIiLb0EEEZNS1_14transform_implILb0ES3_S5_N6thrust23THRUST_200600_302600_NS6detail15normal_iteratorINS8_10device_ptrIiEEEEPiNS0_8identityIiEEEE10hipError_tT2_T3_mT4_P12ihipStream_tbEUlT_E_NS1_11comp_targetILNS1_3genE8ELNS1_11target_archE1030ELNS1_3gpuE2ELNS1_3repE0EEENS1_30default_config_static_selectorELNS0_4arch9wavefront6targetE1EEEvT1_.uses_vcc, 0
	.set _ZN7rocprim17ROCPRIM_400000_NS6detail17trampoline_kernelINS0_14default_configENS1_25transform_config_selectorIiLb0EEEZNS1_14transform_implILb0ES3_S5_N6thrust23THRUST_200600_302600_NS6detail15normal_iteratorINS8_10device_ptrIiEEEEPiNS0_8identityIiEEEE10hipError_tT2_T3_mT4_P12ihipStream_tbEUlT_E_NS1_11comp_targetILNS1_3genE8ELNS1_11target_archE1030ELNS1_3gpuE2ELNS1_3repE0EEENS1_30default_config_static_selectorELNS0_4arch9wavefront6targetE1EEEvT1_.uses_flat_scratch, 0
	.set _ZN7rocprim17ROCPRIM_400000_NS6detail17trampoline_kernelINS0_14default_configENS1_25transform_config_selectorIiLb0EEEZNS1_14transform_implILb0ES3_S5_N6thrust23THRUST_200600_302600_NS6detail15normal_iteratorINS8_10device_ptrIiEEEEPiNS0_8identityIiEEEE10hipError_tT2_T3_mT4_P12ihipStream_tbEUlT_E_NS1_11comp_targetILNS1_3genE8ELNS1_11target_archE1030ELNS1_3gpuE2ELNS1_3repE0EEENS1_30default_config_static_selectorELNS0_4arch9wavefront6targetE1EEEvT1_.has_dyn_sized_stack, 0
	.set _ZN7rocprim17ROCPRIM_400000_NS6detail17trampoline_kernelINS0_14default_configENS1_25transform_config_selectorIiLb0EEEZNS1_14transform_implILb0ES3_S5_N6thrust23THRUST_200600_302600_NS6detail15normal_iteratorINS8_10device_ptrIiEEEEPiNS0_8identityIiEEEE10hipError_tT2_T3_mT4_P12ihipStream_tbEUlT_E_NS1_11comp_targetILNS1_3genE8ELNS1_11target_archE1030ELNS1_3gpuE2ELNS1_3repE0EEENS1_30default_config_static_selectorELNS0_4arch9wavefront6targetE1EEEvT1_.has_recursion, 0
	.set _ZN7rocprim17ROCPRIM_400000_NS6detail17trampoline_kernelINS0_14default_configENS1_25transform_config_selectorIiLb0EEEZNS1_14transform_implILb0ES3_S5_N6thrust23THRUST_200600_302600_NS6detail15normal_iteratorINS8_10device_ptrIiEEEEPiNS0_8identityIiEEEE10hipError_tT2_T3_mT4_P12ihipStream_tbEUlT_E_NS1_11comp_targetILNS1_3genE8ELNS1_11target_archE1030ELNS1_3gpuE2ELNS1_3repE0EEENS1_30default_config_static_selectorELNS0_4arch9wavefront6targetE1EEEvT1_.has_indirect_call, 0
	.section	.AMDGPU.csdata,"",@progbits
; Kernel info:
; codeLenInByte = 0
; TotalNumSgprs: 6
; NumVgprs: 0
; NumAgprs: 0
; TotalNumVgprs: 0
; ScratchSize: 0
; MemoryBound: 0
; FloatMode: 240
; IeeeMode: 1
; LDSByteSize: 0 bytes/workgroup (compile time only)
; SGPRBlocks: 0
; VGPRBlocks: 0
; NumSGPRsForWavesPerEU: 6
; NumVGPRsForWavesPerEU: 1
; AccumOffset: 4
; Occupancy: 8
; WaveLimiterHint : 0
; COMPUTE_PGM_RSRC2:SCRATCH_EN: 0
; COMPUTE_PGM_RSRC2:USER_SGPR: 2
; COMPUTE_PGM_RSRC2:TRAP_HANDLER: 0
; COMPUTE_PGM_RSRC2:TGID_X_EN: 1
; COMPUTE_PGM_RSRC2:TGID_Y_EN: 0
; COMPUTE_PGM_RSRC2:TGID_Z_EN: 0
; COMPUTE_PGM_RSRC2:TIDIG_COMP_CNT: 0
; COMPUTE_PGM_RSRC3_GFX90A:ACCUM_OFFSET: 0
; COMPUTE_PGM_RSRC3_GFX90A:TG_SPLIT: 0
	.section	.text._ZN7rocprim17ROCPRIM_400000_NS6detail17trampoline_kernelINS0_14default_configENS1_35radix_sort_onesweep_config_selectorIiiEEZZNS1_29radix_sort_onesweep_iterationIS3_Lb0EN6thrust23THRUST_200600_302600_NS6detail15normal_iteratorINS8_10device_ptrIiEEEESD_SD_SD_jNS0_19identity_decomposerENS1_16block_id_wrapperIjLb1EEEEE10hipError_tT1_PNSt15iterator_traitsISI_E10value_typeET2_T3_PNSJ_ISO_E10value_typeET4_T5_PST_SU_PNS1_23onesweep_lookback_stateEbbT6_jjT7_P12ihipStream_tbENKUlT_T0_SI_SN_E_clISD_SD_SD_SD_EEDaS11_S12_SI_SN_EUlS11_E_NS1_11comp_targetILNS1_3genE0ELNS1_11target_archE4294967295ELNS1_3gpuE0ELNS1_3repE0EEENS1_47radix_sort_onesweep_sort_config_static_selectorELNS0_4arch9wavefront6targetE1EEEvSI_,"axG",@progbits,_ZN7rocprim17ROCPRIM_400000_NS6detail17trampoline_kernelINS0_14default_configENS1_35radix_sort_onesweep_config_selectorIiiEEZZNS1_29radix_sort_onesweep_iterationIS3_Lb0EN6thrust23THRUST_200600_302600_NS6detail15normal_iteratorINS8_10device_ptrIiEEEESD_SD_SD_jNS0_19identity_decomposerENS1_16block_id_wrapperIjLb1EEEEE10hipError_tT1_PNSt15iterator_traitsISI_E10value_typeET2_T3_PNSJ_ISO_E10value_typeET4_T5_PST_SU_PNS1_23onesweep_lookback_stateEbbT6_jjT7_P12ihipStream_tbENKUlT_T0_SI_SN_E_clISD_SD_SD_SD_EEDaS11_S12_SI_SN_EUlS11_E_NS1_11comp_targetILNS1_3genE0ELNS1_11target_archE4294967295ELNS1_3gpuE0ELNS1_3repE0EEENS1_47radix_sort_onesweep_sort_config_static_selectorELNS0_4arch9wavefront6targetE1EEEvSI_,comdat
	.protected	_ZN7rocprim17ROCPRIM_400000_NS6detail17trampoline_kernelINS0_14default_configENS1_35radix_sort_onesweep_config_selectorIiiEEZZNS1_29radix_sort_onesweep_iterationIS3_Lb0EN6thrust23THRUST_200600_302600_NS6detail15normal_iteratorINS8_10device_ptrIiEEEESD_SD_SD_jNS0_19identity_decomposerENS1_16block_id_wrapperIjLb1EEEEE10hipError_tT1_PNSt15iterator_traitsISI_E10value_typeET2_T3_PNSJ_ISO_E10value_typeET4_T5_PST_SU_PNS1_23onesweep_lookback_stateEbbT6_jjT7_P12ihipStream_tbENKUlT_T0_SI_SN_E_clISD_SD_SD_SD_EEDaS11_S12_SI_SN_EUlS11_E_NS1_11comp_targetILNS1_3genE0ELNS1_11target_archE4294967295ELNS1_3gpuE0ELNS1_3repE0EEENS1_47radix_sort_onesweep_sort_config_static_selectorELNS0_4arch9wavefront6targetE1EEEvSI_ ; -- Begin function _ZN7rocprim17ROCPRIM_400000_NS6detail17trampoline_kernelINS0_14default_configENS1_35radix_sort_onesweep_config_selectorIiiEEZZNS1_29radix_sort_onesweep_iterationIS3_Lb0EN6thrust23THRUST_200600_302600_NS6detail15normal_iteratorINS8_10device_ptrIiEEEESD_SD_SD_jNS0_19identity_decomposerENS1_16block_id_wrapperIjLb1EEEEE10hipError_tT1_PNSt15iterator_traitsISI_E10value_typeET2_T3_PNSJ_ISO_E10value_typeET4_T5_PST_SU_PNS1_23onesweep_lookback_stateEbbT6_jjT7_P12ihipStream_tbENKUlT_T0_SI_SN_E_clISD_SD_SD_SD_EEDaS11_S12_SI_SN_EUlS11_E_NS1_11comp_targetILNS1_3genE0ELNS1_11target_archE4294967295ELNS1_3gpuE0ELNS1_3repE0EEENS1_47radix_sort_onesweep_sort_config_static_selectorELNS0_4arch9wavefront6targetE1EEEvSI_
	.globl	_ZN7rocprim17ROCPRIM_400000_NS6detail17trampoline_kernelINS0_14default_configENS1_35radix_sort_onesweep_config_selectorIiiEEZZNS1_29radix_sort_onesweep_iterationIS3_Lb0EN6thrust23THRUST_200600_302600_NS6detail15normal_iteratorINS8_10device_ptrIiEEEESD_SD_SD_jNS0_19identity_decomposerENS1_16block_id_wrapperIjLb1EEEEE10hipError_tT1_PNSt15iterator_traitsISI_E10value_typeET2_T3_PNSJ_ISO_E10value_typeET4_T5_PST_SU_PNS1_23onesweep_lookback_stateEbbT6_jjT7_P12ihipStream_tbENKUlT_T0_SI_SN_E_clISD_SD_SD_SD_EEDaS11_S12_SI_SN_EUlS11_E_NS1_11comp_targetILNS1_3genE0ELNS1_11target_archE4294967295ELNS1_3gpuE0ELNS1_3repE0EEENS1_47radix_sort_onesweep_sort_config_static_selectorELNS0_4arch9wavefront6targetE1EEEvSI_
	.p2align	8
	.type	_ZN7rocprim17ROCPRIM_400000_NS6detail17trampoline_kernelINS0_14default_configENS1_35radix_sort_onesweep_config_selectorIiiEEZZNS1_29radix_sort_onesweep_iterationIS3_Lb0EN6thrust23THRUST_200600_302600_NS6detail15normal_iteratorINS8_10device_ptrIiEEEESD_SD_SD_jNS0_19identity_decomposerENS1_16block_id_wrapperIjLb1EEEEE10hipError_tT1_PNSt15iterator_traitsISI_E10value_typeET2_T3_PNSJ_ISO_E10value_typeET4_T5_PST_SU_PNS1_23onesweep_lookback_stateEbbT6_jjT7_P12ihipStream_tbENKUlT_T0_SI_SN_E_clISD_SD_SD_SD_EEDaS11_S12_SI_SN_EUlS11_E_NS1_11comp_targetILNS1_3genE0ELNS1_11target_archE4294967295ELNS1_3gpuE0ELNS1_3repE0EEENS1_47radix_sort_onesweep_sort_config_static_selectorELNS0_4arch9wavefront6targetE1EEEvSI_,@function
_ZN7rocprim17ROCPRIM_400000_NS6detail17trampoline_kernelINS0_14default_configENS1_35radix_sort_onesweep_config_selectorIiiEEZZNS1_29radix_sort_onesweep_iterationIS3_Lb0EN6thrust23THRUST_200600_302600_NS6detail15normal_iteratorINS8_10device_ptrIiEEEESD_SD_SD_jNS0_19identity_decomposerENS1_16block_id_wrapperIjLb1EEEEE10hipError_tT1_PNSt15iterator_traitsISI_E10value_typeET2_T3_PNSJ_ISO_E10value_typeET4_T5_PST_SU_PNS1_23onesweep_lookback_stateEbbT6_jjT7_P12ihipStream_tbENKUlT_T0_SI_SN_E_clISD_SD_SD_SD_EEDaS11_S12_SI_SN_EUlS11_E_NS1_11comp_targetILNS1_3genE0ELNS1_11target_archE4294967295ELNS1_3gpuE0ELNS1_3repE0EEENS1_47radix_sort_onesweep_sort_config_static_selectorELNS0_4arch9wavefront6targetE1EEEvSI_: ; @_ZN7rocprim17ROCPRIM_400000_NS6detail17trampoline_kernelINS0_14default_configENS1_35radix_sort_onesweep_config_selectorIiiEEZZNS1_29radix_sort_onesweep_iterationIS3_Lb0EN6thrust23THRUST_200600_302600_NS6detail15normal_iteratorINS8_10device_ptrIiEEEESD_SD_SD_jNS0_19identity_decomposerENS1_16block_id_wrapperIjLb1EEEEE10hipError_tT1_PNSt15iterator_traitsISI_E10value_typeET2_T3_PNSJ_ISO_E10value_typeET4_T5_PST_SU_PNS1_23onesweep_lookback_stateEbbT6_jjT7_P12ihipStream_tbENKUlT_T0_SI_SN_E_clISD_SD_SD_SD_EEDaS11_S12_SI_SN_EUlS11_E_NS1_11comp_targetILNS1_3genE0ELNS1_11target_archE4294967295ELNS1_3gpuE0ELNS1_3repE0EEENS1_47radix_sort_onesweep_sort_config_static_selectorELNS0_4arch9wavefront6targetE1EEEvSI_
; %bb.0:
	.section	.rodata,"a",@progbits
	.p2align	6, 0x0
	.amdhsa_kernel _ZN7rocprim17ROCPRIM_400000_NS6detail17trampoline_kernelINS0_14default_configENS1_35radix_sort_onesweep_config_selectorIiiEEZZNS1_29radix_sort_onesweep_iterationIS3_Lb0EN6thrust23THRUST_200600_302600_NS6detail15normal_iteratorINS8_10device_ptrIiEEEESD_SD_SD_jNS0_19identity_decomposerENS1_16block_id_wrapperIjLb1EEEEE10hipError_tT1_PNSt15iterator_traitsISI_E10value_typeET2_T3_PNSJ_ISO_E10value_typeET4_T5_PST_SU_PNS1_23onesweep_lookback_stateEbbT6_jjT7_P12ihipStream_tbENKUlT_T0_SI_SN_E_clISD_SD_SD_SD_EEDaS11_S12_SI_SN_EUlS11_E_NS1_11comp_targetILNS1_3genE0ELNS1_11target_archE4294967295ELNS1_3gpuE0ELNS1_3repE0EEENS1_47radix_sort_onesweep_sort_config_static_selectorELNS0_4arch9wavefront6targetE1EEEvSI_
		.amdhsa_group_segment_fixed_size 0
		.amdhsa_private_segment_fixed_size 0
		.amdhsa_kernarg_size 88
		.amdhsa_user_sgpr_count 2
		.amdhsa_user_sgpr_dispatch_ptr 0
		.amdhsa_user_sgpr_queue_ptr 0
		.amdhsa_user_sgpr_kernarg_segment_ptr 1
		.amdhsa_user_sgpr_dispatch_id 0
		.amdhsa_user_sgpr_kernarg_preload_length 0
		.amdhsa_user_sgpr_kernarg_preload_offset 0
		.amdhsa_user_sgpr_private_segment_size 0
		.amdhsa_uses_dynamic_stack 0
		.amdhsa_enable_private_segment 0
		.amdhsa_system_sgpr_workgroup_id_x 1
		.amdhsa_system_sgpr_workgroup_id_y 0
		.amdhsa_system_sgpr_workgroup_id_z 0
		.amdhsa_system_sgpr_workgroup_info 0
		.amdhsa_system_vgpr_workitem_id 0
		.amdhsa_next_free_vgpr 1
		.amdhsa_next_free_sgpr 0
		.amdhsa_accum_offset 4
		.amdhsa_reserve_vcc 0
		.amdhsa_float_round_mode_32 0
		.amdhsa_float_round_mode_16_64 0
		.amdhsa_float_denorm_mode_32 3
		.amdhsa_float_denorm_mode_16_64 3
		.amdhsa_dx10_clamp 1
		.amdhsa_ieee_mode 1
		.amdhsa_fp16_overflow 0
		.amdhsa_tg_split 0
		.amdhsa_exception_fp_ieee_invalid_op 0
		.amdhsa_exception_fp_denorm_src 0
		.amdhsa_exception_fp_ieee_div_zero 0
		.amdhsa_exception_fp_ieee_overflow 0
		.amdhsa_exception_fp_ieee_underflow 0
		.amdhsa_exception_fp_ieee_inexact 0
		.amdhsa_exception_int_div_zero 0
	.end_amdhsa_kernel
	.section	.text._ZN7rocprim17ROCPRIM_400000_NS6detail17trampoline_kernelINS0_14default_configENS1_35radix_sort_onesweep_config_selectorIiiEEZZNS1_29radix_sort_onesweep_iterationIS3_Lb0EN6thrust23THRUST_200600_302600_NS6detail15normal_iteratorINS8_10device_ptrIiEEEESD_SD_SD_jNS0_19identity_decomposerENS1_16block_id_wrapperIjLb1EEEEE10hipError_tT1_PNSt15iterator_traitsISI_E10value_typeET2_T3_PNSJ_ISO_E10value_typeET4_T5_PST_SU_PNS1_23onesweep_lookback_stateEbbT6_jjT7_P12ihipStream_tbENKUlT_T0_SI_SN_E_clISD_SD_SD_SD_EEDaS11_S12_SI_SN_EUlS11_E_NS1_11comp_targetILNS1_3genE0ELNS1_11target_archE4294967295ELNS1_3gpuE0ELNS1_3repE0EEENS1_47radix_sort_onesweep_sort_config_static_selectorELNS0_4arch9wavefront6targetE1EEEvSI_,"axG",@progbits,_ZN7rocprim17ROCPRIM_400000_NS6detail17trampoline_kernelINS0_14default_configENS1_35radix_sort_onesweep_config_selectorIiiEEZZNS1_29radix_sort_onesweep_iterationIS3_Lb0EN6thrust23THRUST_200600_302600_NS6detail15normal_iteratorINS8_10device_ptrIiEEEESD_SD_SD_jNS0_19identity_decomposerENS1_16block_id_wrapperIjLb1EEEEE10hipError_tT1_PNSt15iterator_traitsISI_E10value_typeET2_T3_PNSJ_ISO_E10value_typeET4_T5_PST_SU_PNS1_23onesweep_lookback_stateEbbT6_jjT7_P12ihipStream_tbENKUlT_T0_SI_SN_E_clISD_SD_SD_SD_EEDaS11_S12_SI_SN_EUlS11_E_NS1_11comp_targetILNS1_3genE0ELNS1_11target_archE4294967295ELNS1_3gpuE0ELNS1_3repE0EEENS1_47radix_sort_onesweep_sort_config_static_selectorELNS0_4arch9wavefront6targetE1EEEvSI_,comdat
.Lfunc_end1419:
	.size	_ZN7rocprim17ROCPRIM_400000_NS6detail17trampoline_kernelINS0_14default_configENS1_35radix_sort_onesweep_config_selectorIiiEEZZNS1_29radix_sort_onesweep_iterationIS3_Lb0EN6thrust23THRUST_200600_302600_NS6detail15normal_iteratorINS8_10device_ptrIiEEEESD_SD_SD_jNS0_19identity_decomposerENS1_16block_id_wrapperIjLb1EEEEE10hipError_tT1_PNSt15iterator_traitsISI_E10value_typeET2_T3_PNSJ_ISO_E10value_typeET4_T5_PST_SU_PNS1_23onesweep_lookback_stateEbbT6_jjT7_P12ihipStream_tbENKUlT_T0_SI_SN_E_clISD_SD_SD_SD_EEDaS11_S12_SI_SN_EUlS11_E_NS1_11comp_targetILNS1_3genE0ELNS1_11target_archE4294967295ELNS1_3gpuE0ELNS1_3repE0EEENS1_47radix_sort_onesweep_sort_config_static_selectorELNS0_4arch9wavefront6targetE1EEEvSI_, .Lfunc_end1419-_ZN7rocprim17ROCPRIM_400000_NS6detail17trampoline_kernelINS0_14default_configENS1_35radix_sort_onesweep_config_selectorIiiEEZZNS1_29radix_sort_onesweep_iterationIS3_Lb0EN6thrust23THRUST_200600_302600_NS6detail15normal_iteratorINS8_10device_ptrIiEEEESD_SD_SD_jNS0_19identity_decomposerENS1_16block_id_wrapperIjLb1EEEEE10hipError_tT1_PNSt15iterator_traitsISI_E10value_typeET2_T3_PNSJ_ISO_E10value_typeET4_T5_PST_SU_PNS1_23onesweep_lookback_stateEbbT6_jjT7_P12ihipStream_tbENKUlT_T0_SI_SN_E_clISD_SD_SD_SD_EEDaS11_S12_SI_SN_EUlS11_E_NS1_11comp_targetILNS1_3genE0ELNS1_11target_archE4294967295ELNS1_3gpuE0ELNS1_3repE0EEENS1_47radix_sort_onesweep_sort_config_static_selectorELNS0_4arch9wavefront6targetE1EEEvSI_
                                        ; -- End function
	.set _ZN7rocprim17ROCPRIM_400000_NS6detail17trampoline_kernelINS0_14default_configENS1_35radix_sort_onesweep_config_selectorIiiEEZZNS1_29radix_sort_onesweep_iterationIS3_Lb0EN6thrust23THRUST_200600_302600_NS6detail15normal_iteratorINS8_10device_ptrIiEEEESD_SD_SD_jNS0_19identity_decomposerENS1_16block_id_wrapperIjLb1EEEEE10hipError_tT1_PNSt15iterator_traitsISI_E10value_typeET2_T3_PNSJ_ISO_E10value_typeET4_T5_PST_SU_PNS1_23onesweep_lookback_stateEbbT6_jjT7_P12ihipStream_tbENKUlT_T0_SI_SN_E_clISD_SD_SD_SD_EEDaS11_S12_SI_SN_EUlS11_E_NS1_11comp_targetILNS1_3genE0ELNS1_11target_archE4294967295ELNS1_3gpuE0ELNS1_3repE0EEENS1_47radix_sort_onesweep_sort_config_static_selectorELNS0_4arch9wavefront6targetE1EEEvSI_.num_vgpr, 0
	.set _ZN7rocprim17ROCPRIM_400000_NS6detail17trampoline_kernelINS0_14default_configENS1_35radix_sort_onesweep_config_selectorIiiEEZZNS1_29radix_sort_onesweep_iterationIS3_Lb0EN6thrust23THRUST_200600_302600_NS6detail15normal_iteratorINS8_10device_ptrIiEEEESD_SD_SD_jNS0_19identity_decomposerENS1_16block_id_wrapperIjLb1EEEEE10hipError_tT1_PNSt15iterator_traitsISI_E10value_typeET2_T3_PNSJ_ISO_E10value_typeET4_T5_PST_SU_PNS1_23onesweep_lookback_stateEbbT6_jjT7_P12ihipStream_tbENKUlT_T0_SI_SN_E_clISD_SD_SD_SD_EEDaS11_S12_SI_SN_EUlS11_E_NS1_11comp_targetILNS1_3genE0ELNS1_11target_archE4294967295ELNS1_3gpuE0ELNS1_3repE0EEENS1_47radix_sort_onesweep_sort_config_static_selectorELNS0_4arch9wavefront6targetE1EEEvSI_.num_agpr, 0
	.set _ZN7rocprim17ROCPRIM_400000_NS6detail17trampoline_kernelINS0_14default_configENS1_35radix_sort_onesweep_config_selectorIiiEEZZNS1_29radix_sort_onesweep_iterationIS3_Lb0EN6thrust23THRUST_200600_302600_NS6detail15normal_iteratorINS8_10device_ptrIiEEEESD_SD_SD_jNS0_19identity_decomposerENS1_16block_id_wrapperIjLb1EEEEE10hipError_tT1_PNSt15iterator_traitsISI_E10value_typeET2_T3_PNSJ_ISO_E10value_typeET4_T5_PST_SU_PNS1_23onesweep_lookback_stateEbbT6_jjT7_P12ihipStream_tbENKUlT_T0_SI_SN_E_clISD_SD_SD_SD_EEDaS11_S12_SI_SN_EUlS11_E_NS1_11comp_targetILNS1_3genE0ELNS1_11target_archE4294967295ELNS1_3gpuE0ELNS1_3repE0EEENS1_47radix_sort_onesweep_sort_config_static_selectorELNS0_4arch9wavefront6targetE1EEEvSI_.numbered_sgpr, 0
	.set _ZN7rocprim17ROCPRIM_400000_NS6detail17trampoline_kernelINS0_14default_configENS1_35radix_sort_onesweep_config_selectorIiiEEZZNS1_29radix_sort_onesweep_iterationIS3_Lb0EN6thrust23THRUST_200600_302600_NS6detail15normal_iteratorINS8_10device_ptrIiEEEESD_SD_SD_jNS0_19identity_decomposerENS1_16block_id_wrapperIjLb1EEEEE10hipError_tT1_PNSt15iterator_traitsISI_E10value_typeET2_T3_PNSJ_ISO_E10value_typeET4_T5_PST_SU_PNS1_23onesweep_lookback_stateEbbT6_jjT7_P12ihipStream_tbENKUlT_T0_SI_SN_E_clISD_SD_SD_SD_EEDaS11_S12_SI_SN_EUlS11_E_NS1_11comp_targetILNS1_3genE0ELNS1_11target_archE4294967295ELNS1_3gpuE0ELNS1_3repE0EEENS1_47radix_sort_onesweep_sort_config_static_selectorELNS0_4arch9wavefront6targetE1EEEvSI_.num_named_barrier, 0
	.set _ZN7rocprim17ROCPRIM_400000_NS6detail17trampoline_kernelINS0_14default_configENS1_35radix_sort_onesweep_config_selectorIiiEEZZNS1_29radix_sort_onesweep_iterationIS3_Lb0EN6thrust23THRUST_200600_302600_NS6detail15normal_iteratorINS8_10device_ptrIiEEEESD_SD_SD_jNS0_19identity_decomposerENS1_16block_id_wrapperIjLb1EEEEE10hipError_tT1_PNSt15iterator_traitsISI_E10value_typeET2_T3_PNSJ_ISO_E10value_typeET4_T5_PST_SU_PNS1_23onesweep_lookback_stateEbbT6_jjT7_P12ihipStream_tbENKUlT_T0_SI_SN_E_clISD_SD_SD_SD_EEDaS11_S12_SI_SN_EUlS11_E_NS1_11comp_targetILNS1_3genE0ELNS1_11target_archE4294967295ELNS1_3gpuE0ELNS1_3repE0EEENS1_47radix_sort_onesweep_sort_config_static_selectorELNS0_4arch9wavefront6targetE1EEEvSI_.private_seg_size, 0
	.set _ZN7rocprim17ROCPRIM_400000_NS6detail17trampoline_kernelINS0_14default_configENS1_35radix_sort_onesweep_config_selectorIiiEEZZNS1_29radix_sort_onesweep_iterationIS3_Lb0EN6thrust23THRUST_200600_302600_NS6detail15normal_iteratorINS8_10device_ptrIiEEEESD_SD_SD_jNS0_19identity_decomposerENS1_16block_id_wrapperIjLb1EEEEE10hipError_tT1_PNSt15iterator_traitsISI_E10value_typeET2_T3_PNSJ_ISO_E10value_typeET4_T5_PST_SU_PNS1_23onesweep_lookback_stateEbbT6_jjT7_P12ihipStream_tbENKUlT_T0_SI_SN_E_clISD_SD_SD_SD_EEDaS11_S12_SI_SN_EUlS11_E_NS1_11comp_targetILNS1_3genE0ELNS1_11target_archE4294967295ELNS1_3gpuE0ELNS1_3repE0EEENS1_47radix_sort_onesweep_sort_config_static_selectorELNS0_4arch9wavefront6targetE1EEEvSI_.uses_vcc, 0
	.set _ZN7rocprim17ROCPRIM_400000_NS6detail17trampoline_kernelINS0_14default_configENS1_35radix_sort_onesweep_config_selectorIiiEEZZNS1_29radix_sort_onesweep_iterationIS3_Lb0EN6thrust23THRUST_200600_302600_NS6detail15normal_iteratorINS8_10device_ptrIiEEEESD_SD_SD_jNS0_19identity_decomposerENS1_16block_id_wrapperIjLb1EEEEE10hipError_tT1_PNSt15iterator_traitsISI_E10value_typeET2_T3_PNSJ_ISO_E10value_typeET4_T5_PST_SU_PNS1_23onesweep_lookback_stateEbbT6_jjT7_P12ihipStream_tbENKUlT_T0_SI_SN_E_clISD_SD_SD_SD_EEDaS11_S12_SI_SN_EUlS11_E_NS1_11comp_targetILNS1_3genE0ELNS1_11target_archE4294967295ELNS1_3gpuE0ELNS1_3repE0EEENS1_47radix_sort_onesweep_sort_config_static_selectorELNS0_4arch9wavefront6targetE1EEEvSI_.uses_flat_scratch, 0
	.set _ZN7rocprim17ROCPRIM_400000_NS6detail17trampoline_kernelINS0_14default_configENS1_35radix_sort_onesweep_config_selectorIiiEEZZNS1_29radix_sort_onesweep_iterationIS3_Lb0EN6thrust23THRUST_200600_302600_NS6detail15normal_iteratorINS8_10device_ptrIiEEEESD_SD_SD_jNS0_19identity_decomposerENS1_16block_id_wrapperIjLb1EEEEE10hipError_tT1_PNSt15iterator_traitsISI_E10value_typeET2_T3_PNSJ_ISO_E10value_typeET4_T5_PST_SU_PNS1_23onesweep_lookback_stateEbbT6_jjT7_P12ihipStream_tbENKUlT_T0_SI_SN_E_clISD_SD_SD_SD_EEDaS11_S12_SI_SN_EUlS11_E_NS1_11comp_targetILNS1_3genE0ELNS1_11target_archE4294967295ELNS1_3gpuE0ELNS1_3repE0EEENS1_47radix_sort_onesweep_sort_config_static_selectorELNS0_4arch9wavefront6targetE1EEEvSI_.has_dyn_sized_stack, 0
	.set _ZN7rocprim17ROCPRIM_400000_NS6detail17trampoline_kernelINS0_14default_configENS1_35radix_sort_onesweep_config_selectorIiiEEZZNS1_29radix_sort_onesweep_iterationIS3_Lb0EN6thrust23THRUST_200600_302600_NS6detail15normal_iteratorINS8_10device_ptrIiEEEESD_SD_SD_jNS0_19identity_decomposerENS1_16block_id_wrapperIjLb1EEEEE10hipError_tT1_PNSt15iterator_traitsISI_E10value_typeET2_T3_PNSJ_ISO_E10value_typeET4_T5_PST_SU_PNS1_23onesweep_lookback_stateEbbT6_jjT7_P12ihipStream_tbENKUlT_T0_SI_SN_E_clISD_SD_SD_SD_EEDaS11_S12_SI_SN_EUlS11_E_NS1_11comp_targetILNS1_3genE0ELNS1_11target_archE4294967295ELNS1_3gpuE0ELNS1_3repE0EEENS1_47radix_sort_onesweep_sort_config_static_selectorELNS0_4arch9wavefront6targetE1EEEvSI_.has_recursion, 0
	.set _ZN7rocprim17ROCPRIM_400000_NS6detail17trampoline_kernelINS0_14default_configENS1_35radix_sort_onesweep_config_selectorIiiEEZZNS1_29radix_sort_onesweep_iterationIS3_Lb0EN6thrust23THRUST_200600_302600_NS6detail15normal_iteratorINS8_10device_ptrIiEEEESD_SD_SD_jNS0_19identity_decomposerENS1_16block_id_wrapperIjLb1EEEEE10hipError_tT1_PNSt15iterator_traitsISI_E10value_typeET2_T3_PNSJ_ISO_E10value_typeET4_T5_PST_SU_PNS1_23onesweep_lookback_stateEbbT6_jjT7_P12ihipStream_tbENKUlT_T0_SI_SN_E_clISD_SD_SD_SD_EEDaS11_S12_SI_SN_EUlS11_E_NS1_11comp_targetILNS1_3genE0ELNS1_11target_archE4294967295ELNS1_3gpuE0ELNS1_3repE0EEENS1_47radix_sort_onesweep_sort_config_static_selectorELNS0_4arch9wavefront6targetE1EEEvSI_.has_indirect_call, 0
	.section	.AMDGPU.csdata,"",@progbits
; Kernel info:
; codeLenInByte = 0
; TotalNumSgprs: 6
; NumVgprs: 0
; NumAgprs: 0
; TotalNumVgprs: 0
; ScratchSize: 0
; MemoryBound: 0
; FloatMode: 240
; IeeeMode: 1
; LDSByteSize: 0 bytes/workgroup (compile time only)
; SGPRBlocks: 0
; VGPRBlocks: 0
; NumSGPRsForWavesPerEU: 6
; NumVGPRsForWavesPerEU: 1
; AccumOffset: 4
; Occupancy: 8
; WaveLimiterHint : 0
; COMPUTE_PGM_RSRC2:SCRATCH_EN: 0
; COMPUTE_PGM_RSRC2:USER_SGPR: 2
; COMPUTE_PGM_RSRC2:TRAP_HANDLER: 0
; COMPUTE_PGM_RSRC2:TGID_X_EN: 1
; COMPUTE_PGM_RSRC2:TGID_Y_EN: 0
; COMPUTE_PGM_RSRC2:TGID_Z_EN: 0
; COMPUTE_PGM_RSRC2:TIDIG_COMP_CNT: 0
; COMPUTE_PGM_RSRC3_GFX90A:ACCUM_OFFSET: 0
; COMPUTE_PGM_RSRC3_GFX90A:TG_SPLIT: 0
	.section	.text._ZN7rocprim17ROCPRIM_400000_NS6detail17trampoline_kernelINS0_14default_configENS1_35radix_sort_onesweep_config_selectorIiiEEZZNS1_29radix_sort_onesweep_iterationIS3_Lb0EN6thrust23THRUST_200600_302600_NS6detail15normal_iteratorINS8_10device_ptrIiEEEESD_SD_SD_jNS0_19identity_decomposerENS1_16block_id_wrapperIjLb1EEEEE10hipError_tT1_PNSt15iterator_traitsISI_E10value_typeET2_T3_PNSJ_ISO_E10value_typeET4_T5_PST_SU_PNS1_23onesweep_lookback_stateEbbT6_jjT7_P12ihipStream_tbENKUlT_T0_SI_SN_E_clISD_SD_SD_SD_EEDaS11_S12_SI_SN_EUlS11_E_NS1_11comp_targetILNS1_3genE6ELNS1_11target_archE950ELNS1_3gpuE13ELNS1_3repE0EEENS1_47radix_sort_onesweep_sort_config_static_selectorELNS0_4arch9wavefront6targetE1EEEvSI_,"axG",@progbits,_ZN7rocprim17ROCPRIM_400000_NS6detail17trampoline_kernelINS0_14default_configENS1_35radix_sort_onesweep_config_selectorIiiEEZZNS1_29radix_sort_onesweep_iterationIS3_Lb0EN6thrust23THRUST_200600_302600_NS6detail15normal_iteratorINS8_10device_ptrIiEEEESD_SD_SD_jNS0_19identity_decomposerENS1_16block_id_wrapperIjLb1EEEEE10hipError_tT1_PNSt15iterator_traitsISI_E10value_typeET2_T3_PNSJ_ISO_E10value_typeET4_T5_PST_SU_PNS1_23onesweep_lookback_stateEbbT6_jjT7_P12ihipStream_tbENKUlT_T0_SI_SN_E_clISD_SD_SD_SD_EEDaS11_S12_SI_SN_EUlS11_E_NS1_11comp_targetILNS1_3genE6ELNS1_11target_archE950ELNS1_3gpuE13ELNS1_3repE0EEENS1_47radix_sort_onesweep_sort_config_static_selectorELNS0_4arch9wavefront6targetE1EEEvSI_,comdat
	.protected	_ZN7rocprim17ROCPRIM_400000_NS6detail17trampoline_kernelINS0_14default_configENS1_35radix_sort_onesweep_config_selectorIiiEEZZNS1_29radix_sort_onesweep_iterationIS3_Lb0EN6thrust23THRUST_200600_302600_NS6detail15normal_iteratorINS8_10device_ptrIiEEEESD_SD_SD_jNS0_19identity_decomposerENS1_16block_id_wrapperIjLb1EEEEE10hipError_tT1_PNSt15iterator_traitsISI_E10value_typeET2_T3_PNSJ_ISO_E10value_typeET4_T5_PST_SU_PNS1_23onesweep_lookback_stateEbbT6_jjT7_P12ihipStream_tbENKUlT_T0_SI_SN_E_clISD_SD_SD_SD_EEDaS11_S12_SI_SN_EUlS11_E_NS1_11comp_targetILNS1_3genE6ELNS1_11target_archE950ELNS1_3gpuE13ELNS1_3repE0EEENS1_47radix_sort_onesweep_sort_config_static_selectorELNS0_4arch9wavefront6targetE1EEEvSI_ ; -- Begin function _ZN7rocprim17ROCPRIM_400000_NS6detail17trampoline_kernelINS0_14default_configENS1_35radix_sort_onesweep_config_selectorIiiEEZZNS1_29radix_sort_onesweep_iterationIS3_Lb0EN6thrust23THRUST_200600_302600_NS6detail15normal_iteratorINS8_10device_ptrIiEEEESD_SD_SD_jNS0_19identity_decomposerENS1_16block_id_wrapperIjLb1EEEEE10hipError_tT1_PNSt15iterator_traitsISI_E10value_typeET2_T3_PNSJ_ISO_E10value_typeET4_T5_PST_SU_PNS1_23onesweep_lookback_stateEbbT6_jjT7_P12ihipStream_tbENKUlT_T0_SI_SN_E_clISD_SD_SD_SD_EEDaS11_S12_SI_SN_EUlS11_E_NS1_11comp_targetILNS1_3genE6ELNS1_11target_archE950ELNS1_3gpuE13ELNS1_3repE0EEENS1_47radix_sort_onesweep_sort_config_static_selectorELNS0_4arch9wavefront6targetE1EEEvSI_
	.globl	_ZN7rocprim17ROCPRIM_400000_NS6detail17trampoline_kernelINS0_14default_configENS1_35radix_sort_onesweep_config_selectorIiiEEZZNS1_29radix_sort_onesweep_iterationIS3_Lb0EN6thrust23THRUST_200600_302600_NS6detail15normal_iteratorINS8_10device_ptrIiEEEESD_SD_SD_jNS0_19identity_decomposerENS1_16block_id_wrapperIjLb1EEEEE10hipError_tT1_PNSt15iterator_traitsISI_E10value_typeET2_T3_PNSJ_ISO_E10value_typeET4_T5_PST_SU_PNS1_23onesweep_lookback_stateEbbT6_jjT7_P12ihipStream_tbENKUlT_T0_SI_SN_E_clISD_SD_SD_SD_EEDaS11_S12_SI_SN_EUlS11_E_NS1_11comp_targetILNS1_3genE6ELNS1_11target_archE950ELNS1_3gpuE13ELNS1_3repE0EEENS1_47radix_sort_onesweep_sort_config_static_selectorELNS0_4arch9wavefront6targetE1EEEvSI_
	.p2align	8
	.type	_ZN7rocprim17ROCPRIM_400000_NS6detail17trampoline_kernelINS0_14default_configENS1_35radix_sort_onesweep_config_selectorIiiEEZZNS1_29radix_sort_onesweep_iterationIS3_Lb0EN6thrust23THRUST_200600_302600_NS6detail15normal_iteratorINS8_10device_ptrIiEEEESD_SD_SD_jNS0_19identity_decomposerENS1_16block_id_wrapperIjLb1EEEEE10hipError_tT1_PNSt15iterator_traitsISI_E10value_typeET2_T3_PNSJ_ISO_E10value_typeET4_T5_PST_SU_PNS1_23onesweep_lookback_stateEbbT6_jjT7_P12ihipStream_tbENKUlT_T0_SI_SN_E_clISD_SD_SD_SD_EEDaS11_S12_SI_SN_EUlS11_E_NS1_11comp_targetILNS1_3genE6ELNS1_11target_archE950ELNS1_3gpuE13ELNS1_3repE0EEENS1_47radix_sort_onesweep_sort_config_static_selectorELNS0_4arch9wavefront6targetE1EEEvSI_,@function
_ZN7rocprim17ROCPRIM_400000_NS6detail17trampoline_kernelINS0_14default_configENS1_35radix_sort_onesweep_config_selectorIiiEEZZNS1_29radix_sort_onesweep_iterationIS3_Lb0EN6thrust23THRUST_200600_302600_NS6detail15normal_iteratorINS8_10device_ptrIiEEEESD_SD_SD_jNS0_19identity_decomposerENS1_16block_id_wrapperIjLb1EEEEE10hipError_tT1_PNSt15iterator_traitsISI_E10value_typeET2_T3_PNSJ_ISO_E10value_typeET4_T5_PST_SU_PNS1_23onesweep_lookback_stateEbbT6_jjT7_P12ihipStream_tbENKUlT_T0_SI_SN_E_clISD_SD_SD_SD_EEDaS11_S12_SI_SN_EUlS11_E_NS1_11comp_targetILNS1_3genE6ELNS1_11target_archE950ELNS1_3gpuE13ELNS1_3repE0EEENS1_47radix_sort_onesweep_sort_config_static_selectorELNS0_4arch9wavefront6targetE1EEEvSI_: ; @_ZN7rocprim17ROCPRIM_400000_NS6detail17trampoline_kernelINS0_14default_configENS1_35radix_sort_onesweep_config_selectorIiiEEZZNS1_29radix_sort_onesweep_iterationIS3_Lb0EN6thrust23THRUST_200600_302600_NS6detail15normal_iteratorINS8_10device_ptrIiEEEESD_SD_SD_jNS0_19identity_decomposerENS1_16block_id_wrapperIjLb1EEEEE10hipError_tT1_PNSt15iterator_traitsISI_E10value_typeET2_T3_PNSJ_ISO_E10value_typeET4_T5_PST_SU_PNS1_23onesweep_lookback_stateEbbT6_jjT7_P12ihipStream_tbENKUlT_T0_SI_SN_E_clISD_SD_SD_SD_EEDaS11_S12_SI_SN_EUlS11_E_NS1_11comp_targetILNS1_3genE6ELNS1_11target_archE950ELNS1_3gpuE13ELNS1_3repE0EEENS1_47radix_sort_onesweep_sort_config_static_selectorELNS0_4arch9wavefront6targetE1EEEvSI_
; %bb.0:
	s_load_dwordx4 s[60:63], s[0:1], 0x28
	s_load_dwordx2 s[68:69], s[0:1], 0x38
	s_load_dwordx4 s[64:67], s[0:1], 0x44
	v_and_b32_e32 v2, 0x3ff, v0
	v_cmp_eq_u32_e64 s[44:45], 0, v2
	s_and_saveexec_b64 s[4:5], s[44:45]
	s_cbranch_execz .LBB1420_4
; %bb.1:
	s_mov_b64 s[8:9], exec
	v_mbcnt_lo_u32_b32 v1, s8, 0
	v_mbcnt_hi_u32_b32 v1, s9, v1
	v_cmp_eq_u32_e32 vcc, 0, v1
                                        ; implicit-def: $vgpr3
	s_and_saveexec_b64 s[6:7], vcc
	s_cbranch_execz .LBB1420_3
; %bb.2:
	s_load_dwordx2 s[10:11], s[0:1], 0x50
	s_bcnt1_i32_b64 s3, s[8:9]
	v_mov_b32_e32 v3, 0
	v_mov_b32_e32 v4, s3
	s_waitcnt lgkmcnt(0)
	global_atomic_add v3, v3, v4, s[10:11] sc0
.LBB1420_3:
	s_or_b64 exec, exec, s[6:7]
	s_waitcnt vmcnt(0)
	v_readfirstlane_b32 s3, v3
	v_mov_b32_e32 v3, 0
	s_nop 0
	v_add_u32_e32 v1, s3, v1
	ds_write_b32 v3, v1 offset:20544
.LBB1420_4:
	s_or_b64 exec, exec, s[4:5]
	v_mov_b32_e32 v5, 0
	s_load_dwordx8 s[52:59], s[0:1], 0x0
	s_load_dword s3, s[0:1], 0x20
	s_waitcnt lgkmcnt(0)
	s_barrier
	ds_read_b32 v1, v5 offset:20544
	s_mov_b64 s[4:5], -1
	v_mbcnt_lo_u32_b32 v3, -1, 0
	s_waitcnt lgkmcnt(0)
	s_barrier
	v_cmp_le_u32_e32 vcc, s66, v1
	v_readfirstlane_b32 s33, v1
	v_lshlrev_b32_e32 v1, 4, v2
	s_cbranch_vccz .LBB1420_208
; %bb.5:
	s_lshl_b32 s4, s66, 14
	s_sub_i32 s3, s3, s4
	s_lshl_b32 s4, s33, 14
	s_mov_b32 s5, 0
	s_lshl_b64 s[66:67], s[4:5], 2
	v_mbcnt_hi_u32_b32 v12, -1, v3
	s_add_u32 s4, s52, s66
	v_and_b32_e32 v10, 63, v12
	s_addc_u32 s5, s53, s67
	v_and_b32_e32 v11, 0x3c00, v1
	v_lshlrev_b32_e32 v4, 2, v10
	v_lshl_add_u64 v[8:9], s[4:5], 0, v[4:5]
	v_lshlrev_b32_e32 v6, 2, v11
	v_mov_b32_e32 v7, v5
	v_or_b32_e32 v10, v10, v11
	v_mov_b32_e32 v14, -1
	v_lshl_add_u64 v[8:9], v[8:9], 0, v[6:7]
	v_cmp_gt_u32_e32 vcc, s3, v10
	v_mov_b32_e32 v5, -1
	s_and_saveexec_b64 s[4:5], vcc
	s_cbranch_execz .LBB1420_7
; %bb.6:
	global_load_dword v5, v[8:9], off
	s_waitcnt vmcnt(0)
	v_xor_b32_e32 v5, 0x80000000, v5
.LBB1420_7:
	s_or_b64 exec, exec, s[4:5]
	v_or_b32_e32 v7, 64, v10
	v_cmp_gt_u32_e64 s[4:5], s3, v7
	s_and_saveexec_b64 s[6:7], s[4:5]
	s_cbranch_execz .LBB1420_9
; %bb.8:
	global_load_dword v7, v[8:9], off offset:256
	s_waitcnt vmcnt(0)
	v_xor_b32_e32 v14, 0x80000000, v7
.LBB1420_9:
	s_or_b64 exec, exec, s[6:7]
	v_or_b32_e32 v7, 0x80, v10
	v_cmp_gt_u32_e64 s[6:7], s3, v7
	v_mov_b32_e32 v7, -1
	v_mov_b32_e32 v15, -1
	s_and_saveexec_b64 s[8:9], s[6:7]
	s_cbranch_execz .LBB1420_11
; %bb.10:
	global_load_dword v11, v[8:9], off offset:512
	s_waitcnt vmcnt(0)
	v_xor_b32_e32 v15, 0x80000000, v11
.LBB1420_11:
	s_or_b64 exec, exec, s[8:9]
	v_or_b32_e32 v11, 0xc0, v10
	v_cmp_gt_u32_e64 s[8:9], s3, v11
	s_and_saveexec_b64 s[10:11], s[8:9]
	s_cbranch_execz .LBB1420_13
; %bb.12:
	global_load_dword v7, v[8:9], off offset:768
	s_waitcnt vmcnt(0)
	v_xor_b32_e32 v7, 0x80000000, v7
.LBB1420_13:
	s_or_b64 exec, exec, s[10:11]
	v_or_b32_e32 v11, 0x100, v10
	v_cmp_gt_u32_e64 s[10:11], s3, v11
	v_mov_b32_e32 v16, -1
	v_mov_b32_e32 v17, -1
	s_and_saveexec_b64 s[12:13], s[10:11]
	s_cbranch_execz .LBB1420_15
; %bb.14:
	global_load_dword v11, v[8:9], off offset:1024
	s_waitcnt vmcnt(0)
	v_xor_b32_e32 v17, 0x80000000, v11
.LBB1420_15:
	;; [unrolled: 22-line block ×7, first 2 shown]
	s_or_b64 exec, exec, s[34:35]
	v_or_b32_e32 v10, 0x3c0, v10
	v_cmp_gt_u32_e64 s[34:35], s3, v10
	s_and_saveexec_b64 s[36:37], s[34:35]
	s_cbranch_execz .LBB1420_37
; %bb.36:
	global_load_dword v8, v[8:9], off offset:3840
	s_waitcnt vmcnt(0)
	v_xor_b32_e32 v26, 0x80000000, v8
.LBB1420_37:
	s_or_b64 exec, exec, s[36:37]
	s_load_dword s36, s[0:1], 0x64
	s_load_dword s70, s[0:1], 0x58
	s_add_u32 s37, s0, 0x58
	s_addc_u32 s38, s1, 0
	v_mov_b32_e32 v9, 0
	s_waitcnt lgkmcnt(0)
	s_lshr_b32 s39, s36, 16
	s_cmp_lt_u32 s2, s70
	s_cselect_b32 s36, 12, 18
	s_add_u32 s36, s37, s36
	s_addc_u32 s37, s38, 0
	global_load_ushort v40, v9, s[36:37]
	v_lshrrev_b32_e32 v29, s64, v5
	s_lshl_b32 s36, -1, s65
	v_bfe_u32 v8, v0, 10, 10
	v_bfe_u32 v11, v0, 20, 10
	v_bitop3_b32 v38, v29, s36, v29 bitop3:0x30
	s_movk_i32 s72, 0x44
	v_mad_u32_u24 v42, v11, s39, v8
	v_and_b32_e32 v8, 1, v38
	v_lshlrev_b32_e32 v11, 30, v38
	v_mov_b32_e32 v10, v9
	v_mov_b32_e32 v30, v9
	s_not_b32 s71, s36
	v_mul_lo_u32 v43, v38, s72
	v_lshlrev_b32_e32 v29, 29, v38
	v_lshlrev_b32_e32 v31, 28, v38
	;; [unrolled: 1-line block ×6, first 2 shown]
	v_lshl_add_u64 v[38:39], v[8:9], 0, -1
	v_cmp_ne_u32_e64 s[36:37], 0, v8
	v_not_b32_e32 v8, v11
	v_mov_b32_e32 v28, v9
	v_mov_b32_e32 v32, v9
	v_cmp_gt_i64_e64 s[38:39], 0, v[10:11]
	v_not_b32_e32 v10, v29
	v_cmp_gt_i64_e64 s[42:43], 0, v[30:31]
	v_not_b32_e32 v11, v31
	v_xor_b32_e32 v31, s37, v39
	v_ashrrev_i32_e32 v8, 31, v8
	v_mov_b32_e32 v34, v9
	v_cmp_gt_i64_e64 s[40:41], 0, v[28:29]
	v_cmp_gt_i64_e64 s[46:47], 0, v[32:33]
	v_not_b32_e32 v28, v33
	v_xor_b32_e32 v32, s36, v38
	v_ashrrev_i32_e32 v10, 31, v10
	v_and_b32_e32 v31, exec_hi, v31
	v_xor_b32_e32 v33, s39, v8
	v_cmp_gt_i64_e64 s[48:49], 0, v[34:35]
	v_ashrrev_i32_e32 v11, 31, v11
	v_and_b32_e32 v32, exec_lo, v32
	v_xor_b32_e32 v8, s38, v8
	v_xor_b32_e32 v34, s41, v10
	v_and_b32_e32 v31, v31, v33
	v_mov_b32_e32 v36, v9
	v_not_b32_e32 v29, v35
	v_ashrrev_i32_e32 v28, 31, v28
	v_xor_b32_e32 v10, s40, v10
	v_xor_b32_e32 v35, s43, v11
	v_and_b32_e32 v8, v32, v8
	v_and_b32_e32 v31, v31, v34
	v_cmp_gt_i64_e64 s[50:51], 0, v[36:37]
	v_not_b32_e32 v30, v37
	v_ashrrev_i32_e32 v29, 31, v29
	v_xor_b32_e32 v36, s47, v28
	v_and_b32_e32 v8, v8, v10
	v_and_b32_e32 v10, v31, v35
	v_ashrrev_i32_e32 v30, 31, v30
	v_xor_b32_e32 v11, s42, v11
	v_xor_b32_e32 v37, s49, v29
	v_and_b32_e32 v10, v10, v36
	v_xor_b32_e32 v28, s46, v28
	v_xor_b32_e32 v38, s51, v30
	v_and_b32_e32 v8, v8, v11
	v_and_b32_e32 v10, v10, v37
	;; [unrolled: 1-line block ×4, first 2 shown]
	v_xor_b32_e32 v29, s48, v29
	v_xor_b32_e32 v30, s50, v30
	v_and_b32_e32 v8, v8, v29
	v_and_b32_e32 v8, v8, v30
	v_mul_u32_u24_e32 v13, 20, v2
	ds_write2_b32 v13, v9, v9 offset0:16 offset1:17
	ds_write2_b32 v13, v9, v9 offset0:18 offset1:19
	ds_write_b32 v13, v9 offset:80
	s_waitcnt lgkmcnt(0)
	s_barrier
	s_waitcnt vmcnt(0)
	; wave barrier
	v_mad_u64_u32 v[10:11], s[36:37], v42, v40, v[2:3]
	v_lshrrev_b32_e32 v39, 6, v10
	v_mov_b32_e32 v40, v9
	v_not_b32_e32 v10, v41
	v_cmp_gt_i64_e64 s[36:37], 0, v[40:41]
	v_ashrrev_i32_e32 v10, 31, v10
	v_lshl_add_u32 v32, v39, 2, v43
	v_xor_b32_e32 v11, s37, v10
	v_xor_b32_e32 v10, s36, v10
	v_and_b32_e32 v10, v8, v10
	v_and_b32_e32 v11, v28, v11
	v_mbcnt_lo_u32_b32 v8, v10, 0
	v_mbcnt_hi_u32_b32 v29, v11, v8
	v_cmp_eq_u32_e64 s[36:37], 0, v29
	v_cmp_ne_u64_e64 s[38:39], 0, v[10:11]
	s_and_b64 s[38:39], s[38:39], s[36:37]
	s_and_saveexec_b64 s[36:37], s[38:39]
; %bb.38:
	v_bcnt_u32_b32 v8, v10, 0
	v_bcnt_u32_b32 v8, v11, v8
	ds_write_b32 v32, v8 offset:64
; %bb.39:
	s_or_b64 exec, exec, s[36:37]
	v_lshrrev_b32_e32 v8, s64, v14
	v_and_b32_e32 v30, s71, v8
	v_mul_lo_u32 v8, v30, s72
	v_lshl_add_u32 v34, v39, 2, v8
	v_and_b32_e32 v8, 1, v30
	v_lshl_add_u64 v[10:11], v[8:9], 0, -1
	v_cmp_ne_u32_e64 s[36:37], 0, v8
	; wave barrier
	s_nop 1
	v_xor_b32_e32 v10, s36, v10
	v_xor_b32_e32 v8, s37, v11
	v_and_b32_e32 v31, exec_lo, v10
	v_lshlrev_b32_e32 v11, 30, v30
	v_mov_b32_e32 v10, v9
	v_cmp_gt_i64_e64 s[36:37], 0, v[10:11]
	v_not_b32_e32 v10, v11
	v_ashrrev_i32_e32 v10, 31, v10
	v_and_b32_e32 v8, exec_hi, v8
	v_xor_b32_e32 v11, s37, v10
	v_xor_b32_e32 v10, s36, v10
	v_and_b32_e32 v8, v8, v11
	v_and_b32_e32 v31, v31, v10
	v_lshlrev_b32_e32 v11, 29, v30
	v_mov_b32_e32 v10, v9
	v_cmp_gt_i64_e64 s[36:37], 0, v[10:11]
	v_not_b32_e32 v10, v11
	v_ashrrev_i32_e32 v10, 31, v10
	v_xor_b32_e32 v11, s37, v10
	v_xor_b32_e32 v10, s36, v10
	v_and_b32_e32 v8, v8, v11
	v_and_b32_e32 v31, v31, v10
	v_lshlrev_b32_e32 v11, 28, v30
	v_mov_b32_e32 v10, v9
	v_cmp_gt_i64_e64 s[36:37], 0, v[10:11]
	v_not_b32_e32 v10, v11
	v_ashrrev_i32_e32 v10, 31, v10
	;; [unrolled: 9-line block ×5, first 2 shown]
	v_xor_b32_e32 v11, s37, v10
	v_xor_b32_e32 v10, s36, v10
	v_and_b32_e32 v8, v8, v11
	v_lshlrev_b32_e32 v11, 24, v30
	v_and_b32_e32 v31, v31, v10
	v_mov_b32_e32 v10, v9
	v_not_b32_e32 v9, v11
	v_cmp_gt_i64_e64 s[36:37], 0, v[10:11]
	v_ashrrev_i32_e32 v9, 31, v9
	ds_read_b32 v28, v34 offset:64
	v_xor_b32_e32 v10, s37, v9
	v_xor_b32_e32 v11, s36, v9
	v_and_b32_e32 v9, v8, v10
	v_and_b32_e32 v8, v31, v11
	v_mbcnt_lo_u32_b32 v10, v8, 0
	v_mbcnt_hi_u32_b32 v30, v9, v10
	v_cmp_eq_u32_e64 s[36:37], 0, v30
	v_cmp_ne_u64_e64 s[38:39], 0, v[8:9]
	s_and_b64 s[38:39], s[38:39], s[36:37]
	; wave barrier
	s_and_saveexec_b64 s[36:37], s[38:39]
	s_cbranch_execz .LBB1420_41
; %bb.40:
	v_bcnt_u32_b32 v8, v8, 0
	v_bcnt_u32_b32 v8, v9, v8
	s_waitcnt lgkmcnt(0)
	v_add_u32_e32 v8, v28, v8
	ds_write_b32 v34, v8 offset:64
.LBB1420_41:
	s_or_b64 exec, exec, s[36:37]
	v_lshrrev_b32_e32 v8, s64, v15
	v_and_b32_e32 v33, s71, v8
	s_movk_i32 s40, 0x44
	v_mul_lo_u32 v8, v33, s40
	v_lshl_add_u32 v37, v39, 2, v8
	v_and_b32_e32 v8, 1, v33
	v_mov_b32_e32 v9, 0
	v_lshl_add_u64 v[10:11], v[8:9], 0, -1
	v_cmp_ne_u32_e64 s[36:37], 0, v8
	; wave barrier
	s_nop 1
	v_xor_b32_e32 v10, s36, v10
	v_xor_b32_e32 v8, s37, v11
	v_and_b32_e32 v35, exec_lo, v10
	v_lshlrev_b32_e32 v11, 30, v33
	v_mov_b32_e32 v10, v9
	v_cmp_gt_i64_e64 s[36:37], 0, v[10:11]
	v_not_b32_e32 v10, v11
	v_ashrrev_i32_e32 v10, 31, v10
	v_and_b32_e32 v8, exec_hi, v8
	v_xor_b32_e32 v11, s37, v10
	v_xor_b32_e32 v10, s36, v10
	v_and_b32_e32 v8, v8, v11
	v_and_b32_e32 v35, v35, v10
	v_lshlrev_b32_e32 v11, 29, v33
	v_mov_b32_e32 v10, v9
	v_cmp_gt_i64_e64 s[36:37], 0, v[10:11]
	v_not_b32_e32 v10, v11
	v_ashrrev_i32_e32 v10, 31, v10
	v_xor_b32_e32 v11, s37, v10
	v_xor_b32_e32 v10, s36, v10
	v_and_b32_e32 v8, v8, v11
	v_and_b32_e32 v35, v35, v10
	v_lshlrev_b32_e32 v11, 28, v33
	v_mov_b32_e32 v10, v9
	v_cmp_gt_i64_e64 s[36:37], 0, v[10:11]
	v_not_b32_e32 v10, v11
	v_ashrrev_i32_e32 v10, 31, v10
	;; [unrolled: 9-line block ×6, first 2 shown]
	v_xor_b32_e32 v11, s37, v10
	v_xor_b32_e32 v10, s36, v10
	ds_read_b32 v31, v37 offset:64
	v_and_b32_e32 v10, v35, v10
	v_and_b32_e32 v11, v8, v11
	v_mbcnt_lo_u32_b32 v8, v10, 0
	v_mbcnt_hi_u32_b32 v33, v11, v8
	v_cmp_eq_u32_e64 s[36:37], 0, v33
	v_cmp_ne_u64_e64 s[38:39], 0, v[10:11]
	s_and_b64 s[38:39], s[38:39], s[36:37]
	; wave barrier
	s_and_saveexec_b64 s[36:37], s[38:39]
	s_cbranch_execz .LBB1420_43
; %bb.42:
	v_bcnt_u32_b32 v8, v10, 0
	v_bcnt_u32_b32 v8, v11, v8
	s_waitcnt lgkmcnt(0)
	v_add_u32_e32 v8, v31, v8
	ds_write_b32 v37, v8 offset:64
.LBB1420_43:
	s_or_b64 exec, exec, s[36:37]
	v_lshrrev_b32_e32 v8, s64, v7
	v_and_b32_e32 v36, s71, v8
	v_mul_lo_u32 v8, v36, s40
	v_lshl_add_u32 v41, v39, 2, v8
	v_and_b32_e32 v8, 1, v36
	v_lshl_add_u64 v[10:11], v[8:9], 0, -1
	v_cmp_ne_u32_e64 s[36:37], 0, v8
	; wave barrier
	s_nop 1
	v_xor_b32_e32 v10, s36, v10
	v_xor_b32_e32 v8, s37, v11
	v_and_b32_e32 v38, exec_lo, v10
	v_lshlrev_b32_e32 v11, 30, v36
	v_mov_b32_e32 v10, v9
	v_cmp_gt_i64_e64 s[36:37], 0, v[10:11]
	v_not_b32_e32 v10, v11
	v_ashrrev_i32_e32 v10, 31, v10
	v_and_b32_e32 v8, exec_hi, v8
	v_xor_b32_e32 v11, s37, v10
	v_xor_b32_e32 v10, s36, v10
	v_and_b32_e32 v8, v8, v11
	v_and_b32_e32 v38, v38, v10
	v_lshlrev_b32_e32 v11, 29, v36
	v_mov_b32_e32 v10, v9
	v_cmp_gt_i64_e64 s[36:37], 0, v[10:11]
	v_not_b32_e32 v10, v11
	v_ashrrev_i32_e32 v10, 31, v10
	v_xor_b32_e32 v11, s37, v10
	v_xor_b32_e32 v10, s36, v10
	v_and_b32_e32 v8, v8, v11
	v_and_b32_e32 v38, v38, v10
	v_lshlrev_b32_e32 v11, 28, v36
	v_mov_b32_e32 v10, v9
	v_cmp_gt_i64_e64 s[36:37], 0, v[10:11]
	v_not_b32_e32 v10, v11
	v_ashrrev_i32_e32 v10, 31, v10
	;; [unrolled: 9-line block ×5, first 2 shown]
	v_xor_b32_e32 v11, s37, v10
	v_xor_b32_e32 v10, s36, v10
	v_and_b32_e32 v8, v8, v11
	v_lshlrev_b32_e32 v11, 24, v36
	v_and_b32_e32 v38, v38, v10
	v_mov_b32_e32 v10, v9
	v_not_b32_e32 v9, v11
	v_cmp_gt_i64_e64 s[36:37], 0, v[10:11]
	v_ashrrev_i32_e32 v9, 31, v9
	ds_read_b32 v35, v41 offset:64
	v_xor_b32_e32 v10, s37, v9
	v_xor_b32_e32 v11, s36, v9
	v_and_b32_e32 v9, v8, v10
	v_and_b32_e32 v8, v38, v11
	v_mbcnt_lo_u32_b32 v10, v8, 0
	v_mbcnt_hi_u32_b32 v36, v9, v10
	v_cmp_eq_u32_e64 s[36:37], 0, v36
	v_cmp_ne_u64_e64 s[38:39], 0, v[8:9]
	s_and_b64 s[38:39], s[38:39], s[36:37]
	; wave barrier
	s_and_saveexec_b64 s[36:37], s[38:39]
	s_cbranch_execz .LBB1420_45
; %bb.44:
	v_bcnt_u32_b32 v8, v8, 0
	v_bcnt_u32_b32 v8, v9, v8
	s_waitcnt lgkmcnt(0)
	v_add_u32_e32 v8, v35, v8
	ds_write_b32 v41, v8 offset:64
.LBB1420_45:
	s_or_b64 exec, exec, s[36:37]
	v_lshrrev_b32_e32 v8, s64, v17
	v_and_b32_e32 v40, s71, v8
	v_mul_lo_u32 v8, v40, s40
	v_lshl_add_u32 v44, v39, 2, v8
	v_and_b32_e32 v8, 1, v40
	v_mov_b32_e32 v9, 0
	v_lshl_add_u64 v[10:11], v[8:9], 0, -1
	v_cmp_ne_u32_e64 s[36:37], 0, v8
	; wave barrier
	s_nop 1
	v_xor_b32_e32 v10, s36, v10
	v_xor_b32_e32 v8, s37, v11
	v_and_b32_e32 v42, exec_lo, v10
	v_lshlrev_b32_e32 v11, 30, v40
	v_mov_b32_e32 v10, v9
	v_cmp_gt_i64_e64 s[36:37], 0, v[10:11]
	v_not_b32_e32 v10, v11
	v_ashrrev_i32_e32 v10, 31, v10
	v_and_b32_e32 v8, exec_hi, v8
	v_xor_b32_e32 v11, s37, v10
	v_xor_b32_e32 v10, s36, v10
	v_and_b32_e32 v8, v8, v11
	v_and_b32_e32 v42, v42, v10
	v_lshlrev_b32_e32 v11, 29, v40
	v_mov_b32_e32 v10, v9
	v_cmp_gt_i64_e64 s[36:37], 0, v[10:11]
	v_not_b32_e32 v10, v11
	v_ashrrev_i32_e32 v10, 31, v10
	v_xor_b32_e32 v11, s37, v10
	v_xor_b32_e32 v10, s36, v10
	v_and_b32_e32 v8, v8, v11
	v_and_b32_e32 v42, v42, v10
	v_lshlrev_b32_e32 v11, 28, v40
	v_mov_b32_e32 v10, v9
	v_cmp_gt_i64_e64 s[36:37], 0, v[10:11]
	v_not_b32_e32 v10, v11
	v_ashrrev_i32_e32 v10, 31, v10
	;; [unrolled: 9-line block ×6, first 2 shown]
	v_xor_b32_e32 v11, s37, v10
	v_xor_b32_e32 v10, s36, v10
	ds_read_b32 v38, v44 offset:64
	v_and_b32_e32 v10, v42, v10
	v_and_b32_e32 v11, v8, v11
	v_mbcnt_lo_u32_b32 v8, v10, 0
	v_mbcnt_hi_u32_b32 v40, v11, v8
	v_cmp_eq_u32_e64 s[36:37], 0, v40
	v_cmp_ne_u64_e64 s[38:39], 0, v[10:11]
	s_and_b64 s[38:39], s[38:39], s[36:37]
	; wave barrier
	s_and_saveexec_b64 s[36:37], s[38:39]
	s_cbranch_execz .LBB1420_47
; %bb.46:
	v_bcnt_u32_b32 v8, v10, 0
	v_bcnt_u32_b32 v8, v11, v8
	s_waitcnt lgkmcnt(0)
	v_add_u32_e32 v8, v38, v8
	ds_write_b32 v44, v8 offset:64
.LBB1420_47:
	s_or_b64 exec, exec, s[36:37]
	v_lshrrev_b32_e32 v8, s64, v16
	v_and_b32_e32 v43, s71, v8
	v_mul_lo_u32 v8, v43, s40
	v_lshl_add_u32 v46, v39, 2, v8
	v_and_b32_e32 v8, 1, v43
	v_lshl_add_u64 v[10:11], v[8:9], 0, -1
	v_cmp_ne_u32_e64 s[36:37], 0, v8
	; wave barrier
	s_nop 1
	v_xor_b32_e32 v10, s36, v10
	v_xor_b32_e32 v8, s37, v11
	v_and_b32_e32 v45, exec_lo, v10
	v_lshlrev_b32_e32 v11, 30, v43
	v_mov_b32_e32 v10, v9
	v_cmp_gt_i64_e64 s[36:37], 0, v[10:11]
	v_not_b32_e32 v10, v11
	v_ashrrev_i32_e32 v10, 31, v10
	v_and_b32_e32 v8, exec_hi, v8
	v_xor_b32_e32 v11, s37, v10
	v_xor_b32_e32 v10, s36, v10
	v_and_b32_e32 v8, v8, v11
	v_and_b32_e32 v45, v45, v10
	v_lshlrev_b32_e32 v11, 29, v43
	v_mov_b32_e32 v10, v9
	v_cmp_gt_i64_e64 s[36:37], 0, v[10:11]
	v_not_b32_e32 v10, v11
	v_ashrrev_i32_e32 v10, 31, v10
	v_xor_b32_e32 v11, s37, v10
	v_xor_b32_e32 v10, s36, v10
	v_and_b32_e32 v8, v8, v11
	v_and_b32_e32 v45, v45, v10
	v_lshlrev_b32_e32 v11, 28, v43
	v_mov_b32_e32 v10, v9
	v_cmp_gt_i64_e64 s[36:37], 0, v[10:11]
	v_not_b32_e32 v10, v11
	v_ashrrev_i32_e32 v10, 31, v10
	;; [unrolled: 9-line block ×5, first 2 shown]
	v_xor_b32_e32 v11, s37, v10
	v_xor_b32_e32 v10, s36, v10
	v_and_b32_e32 v8, v8, v11
	v_lshlrev_b32_e32 v11, 24, v43
	v_and_b32_e32 v45, v45, v10
	v_mov_b32_e32 v10, v9
	v_not_b32_e32 v9, v11
	v_cmp_gt_i64_e64 s[36:37], 0, v[10:11]
	v_ashrrev_i32_e32 v9, 31, v9
	ds_read_b32 v42, v46 offset:64
	v_xor_b32_e32 v10, s37, v9
	v_xor_b32_e32 v11, s36, v9
	v_and_b32_e32 v9, v8, v10
	v_and_b32_e32 v8, v45, v11
	v_mbcnt_lo_u32_b32 v10, v8, 0
	v_mbcnt_hi_u32_b32 v43, v9, v10
	v_cmp_eq_u32_e64 s[36:37], 0, v43
	v_cmp_ne_u64_e64 s[38:39], 0, v[8:9]
	s_and_b64 s[38:39], s[38:39], s[36:37]
	; wave barrier
	s_and_saveexec_b64 s[36:37], s[38:39]
	s_cbranch_execz .LBB1420_49
; %bb.48:
	v_bcnt_u32_b32 v8, v8, 0
	v_bcnt_u32_b32 v8, v9, v8
	s_waitcnt lgkmcnt(0)
	v_add_u32_e32 v8, v42, v8
	ds_write_b32 v46, v8 offset:64
.LBB1420_49:
	s_or_b64 exec, exec, s[36:37]
	v_lshrrev_b32_e32 v8, s64, v19
	v_and_b32_e32 v47, s71, v8
	v_mul_lo_u32 v8, v47, s40
	v_lshl_add_u32 v49, v39, 2, v8
	v_and_b32_e32 v8, 1, v47
	v_mov_b32_e32 v9, 0
	v_lshl_add_u64 v[10:11], v[8:9], 0, -1
	v_cmp_ne_u32_e64 s[36:37], 0, v8
	; wave barrier
	s_nop 1
	v_xor_b32_e32 v10, s36, v10
	v_xor_b32_e32 v8, s37, v11
	v_and_b32_e32 v48, exec_lo, v10
	v_lshlrev_b32_e32 v11, 30, v47
	v_mov_b32_e32 v10, v9
	v_cmp_gt_i64_e64 s[36:37], 0, v[10:11]
	v_not_b32_e32 v10, v11
	v_ashrrev_i32_e32 v10, 31, v10
	v_and_b32_e32 v8, exec_hi, v8
	v_xor_b32_e32 v11, s37, v10
	v_xor_b32_e32 v10, s36, v10
	v_and_b32_e32 v8, v8, v11
	v_and_b32_e32 v48, v48, v10
	v_lshlrev_b32_e32 v11, 29, v47
	v_mov_b32_e32 v10, v9
	v_cmp_gt_i64_e64 s[36:37], 0, v[10:11]
	v_not_b32_e32 v10, v11
	v_ashrrev_i32_e32 v10, 31, v10
	v_xor_b32_e32 v11, s37, v10
	v_xor_b32_e32 v10, s36, v10
	v_and_b32_e32 v8, v8, v11
	v_and_b32_e32 v48, v48, v10
	v_lshlrev_b32_e32 v11, 28, v47
	v_mov_b32_e32 v10, v9
	v_cmp_gt_i64_e64 s[36:37], 0, v[10:11]
	v_not_b32_e32 v10, v11
	v_ashrrev_i32_e32 v10, 31, v10
	;; [unrolled: 9-line block ×6, first 2 shown]
	v_xor_b32_e32 v11, s37, v10
	v_xor_b32_e32 v10, s36, v10
	ds_read_b32 v45, v49 offset:64
	v_and_b32_e32 v10, v48, v10
	v_and_b32_e32 v11, v8, v11
	v_mbcnt_lo_u32_b32 v8, v10, 0
	v_mbcnt_hi_u32_b32 v47, v11, v8
	v_cmp_eq_u32_e64 s[36:37], 0, v47
	v_cmp_ne_u64_e64 s[38:39], 0, v[10:11]
	s_and_b64 s[38:39], s[38:39], s[36:37]
	; wave barrier
	s_and_saveexec_b64 s[36:37], s[38:39]
	s_cbranch_execz .LBB1420_51
; %bb.50:
	v_bcnt_u32_b32 v8, v10, 0
	v_bcnt_u32_b32 v8, v11, v8
	s_waitcnt lgkmcnt(0)
	v_add_u32_e32 v8, v45, v8
	ds_write_b32 v49, v8 offset:64
.LBB1420_51:
	s_or_b64 exec, exec, s[36:37]
	v_lshrrev_b32_e32 v8, s64, v18
	v_and_b32_e32 v50, s71, v8
	v_mul_lo_u32 v8, v50, s40
	v_lshl_add_u32 v52, v39, 2, v8
	v_and_b32_e32 v8, 1, v50
	v_lshl_add_u64 v[10:11], v[8:9], 0, -1
	v_cmp_ne_u32_e64 s[36:37], 0, v8
	; wave barrier
	s_nop 1
	v_xor_b32_e32 v10, s36, v10
	v_xor_b32_e32 v8, s37, v11
	v_and_b32_e32 v51, exec_lo, v10
	v_lshlrev_b32_e32 v11, 30, v50
	v_mov_b32_e32 v10, v9
	v_cmp_gt_i64_e64 s[36:37], 0, v[10:11]
	v_not_b32_e32 v10, v11
	v_ashrrev_i32_e32 v10, 31, v10
	v_and_b32_e32 v8, exec_hi, v8
	v_xor_b32_e32 v11, s37, v10
	v_xor_b32_e32 v10, s36, v10
	v_and_b32_e32 v8, v8, v11
	v_and_b32_e32 v51, v51, v10
	v_lshlrev_b32_e32 v11, 29, v50
	v_mov_b32_e32 v10, v9
	v_cmp_gt_i64_e64 s[36:37], 0, v[10:11]
	v_not_b32_e32 v10, v11
	v_ashrrev_i32_e32 v10, 31, v10
	v_xor_b32_e32 v11, s37, v10
	v_xor_b32_e32 v10, s36, v10
	v_and_b32_e32 v8, v8, v11
	v_and_b32_e32 v51, v51, v10
	v_lshlrev_b32_e32 v11, 28, v50
	v_mov_b32_e32 v10, v9
	v_cmp_gt_i64_e64 s[36:37], 0, v[10:11]
	v_not_b32_e32 v10, v11
	v_ashrrev_i32_e32 v10, 31, v10
	;; [unrolled: 9-line block ×5, first 2 shown]
	v_xor_b32_e32 v11, s37, v10
	v_xor_b32_e32 v10, s36, v10
	v_and_b32_e32 v8, v8, v11
	v_lshlrev_b32_e32 v11, 24, v50
	v_and_b32_e32 v51, v51, v10
	v_mov_b32_e32 v10, v9
	v_not_b32_e32 v9, v11
	v_cmp_gt_i64_e64 s[36:37], 0, v[10:11]
	v_ashrrev_i32_e32 v9, 31, v9
	ds_read_b32 v48, v52 offset:64
	v_xor_b32_e32 v10, s37, v9
	v_xor_b32_e32 v11, s36, v9
	v_and_b32_e32 v9, v8, v10
	v_and_b32_e32 v8, v51, v11
	v_mbcnt_lo_u32_b32 v10, v8, 0
	v_mbcnt_hi_u32_b32 v50, v9, v10
	v_cmp_eq_u32_e64 s[36:37], 0, v50
	v_cmp_ne_u64_e64 s[38:39], 0, v[8:9]
	s_and_b64 s[38:39], s[38:39], s[36:37]
	; wave barrier
	s_and_saveexec_b64 s[36:37], s[38:39]
	s_cbranch_execz .LBB1420_53
; %bb.52:
	v_bcnt_u32_b32 v8, v8, 0
	v_bcnt_u32_b32 v8, v9, v8
	s_waitcnt lgkmcnt(0)
	v_add_u32_e32 v8, v48, v8
	ds_write_b32 v52, v8 offset:64
.LBB1420_53:
	s_or_b64 exec, exec, s[36:37]
	v_lshrrev_b32_e32 v8, s64, v21
	v_and_b32_e32 v53, s71, v8
	v_mul_lo_u32 v8, v53, s40
	v_lshl_add_u32 v55, v39, 2, v8
	v_and_b32_e32 v8, 1, v53
	v_mov_b32_e32 v9, 0
	v_lshl_add_u64 v[10:11], v[8:9], 0, -1
	v_cmp_ne_u32_e64 s[36:37], 0, v8
	; wave barrier
	s_nop 1
	v_xor_b32_e32 v10, s36, v10
	v_xor_b32_e32 v8, s37, v11
	v_and_b32_e32 v54, exec_lo, v10
	v_lshlrev_b32_e32 v11, 30, v53
	v_mov_b32_e32 v10, v9
	v_cmp_gt_i64_e64 s[36:37], 0, v[10:11]
	v_not_b32_e32 v10, v11
	v_ashrrev_i32_e32 v10, 31, v10
	v_and_b32_e32 v8, exec_hi, v8
	v_xor_b32_e32 v11, s37, v10
	v_xor_b32_e32 v10, s36, v10
	v_and_b32_e32 v8, v8, v11
	v_and_b32_e32 v54, v54, v10
	v_lshlrev_b32_e32 v11, 29, v53
	v_mov_b32_e32 v10, v9
	v_cmp_gt_i64_e64 s[36:37], 0, v[10:11]
	v_not_b32_e32 v10, v11
	v_ashrrev_i32_e32 v10, 31, v10
	v_xor_b32_e32 v11, s37, v10
	v_xor_b32_e32 v10, s36, v10
	v_and_b32_e32 v8, v8, v11
	v_and_b32_e32 v54, v54, v10
	v_lshlrev_b32_e32 v11, 28, v53
	v_mov_b32_e32 v10, v9
	v_cmp_gt_i64_e64 s[36:37], 0, v[10:11]
	v_not_b32_e32 v10, v11
	v_ashrrev_i32_e32 v10, 31, v10
	;; [unrolled: 9-line block ×6, first 2 shown]
	v_xor_b32_e32 v11, s37, v10
	v_xor_b32_e32 v10, s36, v10
	ds_read_b32 v51, v55 offset:64
	v_and_b32_e32 v10, v54, v10
	v_and_b32_e32 v11, v8, v11
	v_mbcnt_lo_u32_b32 v8, v10, 0
	v_mbcnt_hi_u32_b32 v53, v11, v8
	v_cmp_eq_u32_e64 s[36:37], 0, v53
	v_cmp_ne_u64_e64 s[38:39], 0, v[10:11]
	s_and_b64 s[38:39], s[38:39], s[36:37]
	; wave barrier
	s_and_saveexec_b64 s[36:37], s[38:39]
	s_cbranch_execz .LBB1420_55
; %bb.54:
	v_bcnt_u32_b32 v8, v10, 0
	v_bcnt_u32_b32 v8, v11, v8
	s_waitcnt lgkmcnt(0)
	v_add_u32_e32 v8, v51, v8
	ds_write_b32 v55, v8 offset:64
.LBB1420_55:
	s_or_b64 exec, exec, s[36:37]
	v_lshrrev_b32_e32 v8, s64, v20
	v_and_b32_e32 v56, s71, v8
	v_mul_lo_u32 v8, v56, s40
	v_lshl_add_u32 v58, v39, 2, v8
	v_and_b32_e32 v8, 1, v56
	v_lshl_add_u64 v[10:11], v[8:9], 0, -1
	v_cmp_ne_u32_e64 s[36:37], 0, v8
	; wave barrier
	s_nop 1
	v_xor_b32_e32 v10, s36, v10
	v_xor_b32_e32 v8, s37, v11
	v_and_b32_e32 v57, exec_lo, v10
	v_lshlrev_b32_e32 v11, 30, v56
	v_mov_b32_e32 v10, v9
	v_cmp_gt_i64_e64 s[36:37], 0, v[10:11]
	v_not_b32_e32 v10, v11
	v_ashrrev_i32_e32 v10, 31, v10
	v_and_b32_e32 v8, exec_hi, v8
	v_xor_b32_e32 v11, s37, v10
	v_xor_b32_e32 v10, s36, v10
	v_and_b32_e32 v8, v8, v11
	v_and_b32_e32 v57, v57, v10
	v_lshlrev_b32_e32 v11, 29, v56
	v_mov_b32_e32 v10, v9
	v_cmp_gt_i64_e64 s[36:37], 0, v[10:11]
	v_not_b32_e32 v10, v11
	v_ashrrev_i32_e32 v10, 31, v10
	v_xor_b32_e32 v11, s37, v10
	v_xor_b32_e32 v10, s36, v10
	v_and_b32_e32 v8, v8, v11
	v_and_b32_e32 v57, v57, v10
	v_lshlrev_b32_e32 v11, 28, v56
	v_mov_b32_e32 v10, v9
	v_cmp_gt_i64_e64 s[36:37], 0, v[10:11]
	v_not_b32_e32 v10, v11
	v_ashrrev_i32_e32 v10, 31, v10
	;; [unrolled: 9-line block ×5, first 2 shown]
	v_xor_b32_e32 v11, s37, v10
	v_xor_b32_e32 v10, s36, v10
	v_and_b32_e32 v8, v8, v11
	v_lshlrev_b32_e32 v11, 24, v56
	v_and_b32_e32 v57, v57, v10
	v_mov_b32_e32 v10, v9
	v_not_b32_e32 v9, v11
	v_cmp_gt_i64_e64 s[36:37], 0, v[10:11]
	v_ashrrev_i32_e32 v9, 31, v9
	ds_read_b32 v54, v58 offset:64
	v_xor_b32_e32 v10, s37, v9
	v_xor_b32_e32 v11, s36, v9
	v_and_b32_e32 v9, v8, v10
	v_and_b32_e32 v8, v57, v11
	v_mbcnt_lo_u32_b32 v10, v8, 0
	v_mbcnt_hi_u32_b32 v56, v9, v10
	v_cmp_eq_u32_e64 s[36:37], 0, v56
	v_cmp_ne_u64_e64 s[38:39], 0, v[8:9]
	s_and_b64 s[38:39], s[38:39], s[36:37]
	; wave barrier
	s_and_saveexec_b64 s[36:37], s[38:39]
	s_cbranch_execz .LBB1420_57
; %bb.56:
	v_bcnt_u32_b32 v8, v8, 0
	v_bcnt_u32_b32 v8, v9, v8
	s_waitcnt lgkmcnt(0)
	v_add_u32_e32 v8, v54, v8
	ds_write_b32 v58, v8 offset:64
.LBB1420_57:
	s_or_b64 exec, exec, s[36:37]
	v_lshrrev_b32_e32 v8, s64, v23
	v_and_b32_e32 v59, s71, v8
	v_mul_lo_u32 v8, v59, s40
	v_lshl_add_u32 v61, v39, 2, v8
	v_and_b32_e32 v8, 1, v59
	v_mov_b32_e32 v9, 0
	v_lshl_add_u64 v[10:11], v[8:9], 0, -1
	v_cmp_ne_u32_e64 s[36:37], 0, v8
	; wave barrier
	s_nop 1
	v_xor_b32_e32 v10, s36, v10
	v_xor_b32_e32 v8, s37, v11
	v_and_b32_e32 v60, exec_lo, v10
	v_lshlrev_b32_e32 v11, 30, v59
	v_mov_b32_e32 v10, v9
	v_cmp_gt_i64_e64 s[36:37], 0, v[10:11]
	v_not_b32_e32 v10, v11
	v_ashrrev_i32_e32 v10, 31, v10
	v_and_b32_e32 v8, exec_hi, v8
	v_xor_b32_e32 v11, s37, v10
	v_xor_b32_e32 v10, s36, v10
	v_and_b32_e32 v8, v8, v11
	v_and_b32_e32 v60, v60, v10
	v_lshlrev_b32_e32 v11, 29, v59
	v_mov_b32_e32 v10, v9
	v_cmp_gt_i64_e64 s[36:37], 0, v[10:11]
	v_not_b32_e32 v10, v11
	v_ashrrev_i32_e32 v10, 31, v10
	v_xor_b32_e32 v11, s37, v10
	v_xor_b32_e32 v10, s36, v10
	v_and_b32_e32 v8, v8, v11
	v_and_b32_e32 v60, v60, v10
	v_lshlrev_b32_e32 v11, 28, v59
	v_mov_b32_e32 v10, v9
	v_cmp_gt_i64_e64 s[36:37], 0, v[10:11]
	v_not_b32_e32 v10, v11
	v_ashrrev_i32_e32 v10, 31, v10
	;; [unrolled: 9-line block ×6, first 2 shown]
	v_xor_b32_e32 v11, s37, v10
	v_xor_b32_e32 v10, s36, v10
	ds_read_b32 v57, v61 offset:64
	v_and_b32_e32 v10, v60, v10
	v_and_b32_e32 v11, v8, v11
	v_mbcnt_lo_u32_b32 v8, v10, 0
	v_mbcnt_hi_u32_b32 v59, v11, v8
	v_cmp_eq_u32_e64 s[36:37], 0, v59
	v_cmp_ne_u64_e64 s[38:39], 0, v[10:11]
	s_and_b64 s[38:39], s[38:39], s[36:37]
	; wave barrier
	s_and_saveexec_b64 s[36:37], s[38:39]
	s_cbranch_execz .LBB1420_59
; %bb.58:
	v_bcnt_u32_b32 v8, v10, 0
	v_bcnt_u32_b32 v8, v11, v8
	s_waitcnt lgkmcnt(0)
	v_add_u32_e32 v8, v57, v8
	ds_write_b32 v61, v8 offset:64
.LBB1420_59:
	s_or_b64 exec, exec, s[36:37]
	v_lshrrev_b32_e32 v8, s64, v22
	v_and_b32_e32 v62, s71, v8
	v_mul_lo_u32 v8, v62, s40
	v_lshl_add_u32 v64, v39, 2, v8
	v_and_b32_e32 v8, 1, v62
	v_lshl_add_u64 v[10:11], v[8:9], 0, -1
	v_cmp_ne_u32_e64 s[36:37], 0, v8
	; wave barrier
	s_nop 1
	v_xor_b32_e32 v10, s36, v10
	v_xor_b32_e32 v8, s37, v11
	v_and_b32_e32 v63, exec_lo, v10
	v_lshlrev_b32_e32 v11, 30, v62
	v_mov_b32_e32 v10, v9
	v_cmp_gt_i64_e64 s[36:37], 0, v[10:11]
	v_not_b32_e32 v10, v11
	v_ashrrev_i32_e32 v10, 31, v10
	v_and_b32_e32 v8, exec_hi, v8
	v_xor_b32_e32 v11, s37, v10
	v_xor_b32_e32 v10, s36, v10
	v_and_b32_e32 v8, v8, v11
	v_and_b32_e32 v63, v63, v10
	v_lshlrev_b32_e32 v11, 29, v62
	v_mov_b32_e32 v10, v9
	v_cmp_gt_i64_e64 s[36:37], 0, v[10:11]
	v_not_b32_e32 v10, v11
	v_ashrrev_i32_e32 v10, 31, v10
	v_xor_b32_e32 v11, s37, v10
	v_xor_b32_e32 v10, s36, v10
	v_and_b32_e32 v8, v8, v11
	v_and_b32_e32 v63, v63, v10
	v_lshlrev_b32_e32 v11, 28, v62
	v_mov_b32_e32 v10, v9
	v_cmp_gt_i64_e64 s[36:37], 0, v[10:11]
	v_not_b32_e32 v10, v11
	v_ashrrev_i32_e32 v10, 31, v10
	;; [unrolled: 9-line block ×5, first 2 shown]
	v_xor_b32_e32 v11, s37, v10
	v_xor_b32_e32 v10, s36, v10
	v_and_b32_e32 v8, v8, v11
	v_lshlrev_b32_e32 v11, 24, v62
	v_and_b32_e32 v63, v63, v10
	v_mov_b32_e32 v10, v9
	v_not_b32_e32 v9, v11
	v_cmp_gt_i64_e64 s[36:37], 0, v[10:11]
	v_ashrrev_i32_e32 v9, 31, v9
	ds_read_b32 v60, v64 offset:64
	v_xor_b32_e32 v10, s37, v9
	v_xor_b32_e32 v11, s36, v9
	v_and_b32_e32 v9, v8, v10
	v_and_b32_e32 v8, v63, v11
	v_mbcnt_lo_u32_b32 v10, v8, 0
	v_mbcnt_hi_u32_b32 v62, v9, v10
	v_cmp_eq_u32_e64 s[36:37], 0, v62
	v_cmp_ne_u64_e64 s[38:39], 0, v[8:9]
	s_and_b64 s[38:39], s[38:39], s[36:37]
	; wave barrier
	s_and_saveexec_b64 s[36:37], s[38:39]
	s_cbranch_execz .LBB1420_61
; %bb.60:
	v_bcnt_u32_b32 v8, v8, 0
	v_bcnt_u32_b32 v8, v9, v8
	s_waitcnt lgkmcnt(0)
	v_add_u32_e32 v8, v60, v8
	ds_write_b32 v64, v8 offset:64
.LBB1420_61:
	s_or_b64 exec, exec, s[36:37]
	v_lshrrev_b32_e32 v8, s64, v25
	v_and_b32_e32 v65, s71, v8
	v_mul_lo_u32 v8, v65, s40
	v_lshl_add_u32 v67, v39, 2, v8
	v_and_b32_e32 v8, 1, v65
	v_mov_b32_e32 v9, 0
	v_lshl_add_u64 v[10:11], v[8:9], 0, -1
	v_cmp_ne_u32_e64 s[36:37], 0, v8
	; wave barrier
	s_nop 1
	v_xor_b32_e32 v10, s36, v10
	v_xor_b32_e32 v8, s37, v11
	v_and_b32_e32 v66, exec_lo, v10
	v_lshlrev_b32_e32 v11, 30, v65
	v_mov_b32_e32 v10, v9
	v_cmp_gt_i64_e64 s[36:37], 0, v[10:11]
	v_not_b32_e32 v10, v11
	v_ashrrev_i32_e32 v10, 31, v10
	v_and_b32_e32 v8, exec_hi, v8
	v_xor_b32_e32 v11, s37, v10
	v_xor_b32_e32 v10, s36, v10
	v_and_b32_e32 v8, v8, v11
	v_and_b32_e32 v66, v66, v10
	v_lshlrev_b32_e32 v11, 29, v65
	v_mov_b32_e32 v10, v9
	v_cmp_gt_i64_e64 s[36:37], 0, v[10:11]
	v_not_b32_e32 v10, v11
	v_ashrrev_i32_e32 v10, 31, v10
	v_xor_b32_e32 v11, s37, v10
	v_xor_b32_e32 v10, s36, v10
	v_and_b32_e32 v8, v8, v11
	v_and_b32_e32 v66, v66, v10
	v_lshlrev_b32_e32 v11, 28, v65
	v_mov_b32_e32 v10, v9
	v_cmp_gt_i64_e64 s[36:37], 0, v[10:11]
	v_not_b32_e32 v10, v11
	v_ashrrev_i32_e32 v10, 31, v10
	;; [unrolled: 9-line block ×6, first 2 shown]
	v_xor_b32_e32 v11, s37, v10
	v_xor_b32_e32 v10, s36, v10
	ds_read_b32 v63, v67 offset:64
	v_and_b32_e32 v10, v66, v10
	v_and_b32_e32 v11, v8, v11
	v_mbcnt_lo_u32_b32 v8, v10, 0
	v_mbcnt_hi_u32_b32 v65, v11, v8
	v_cmp_eq_u32_e64 s[36:37], 0, v65
	v_cmp_ne_u64_e64 s[38:39], 0, v[10:11]
	s_and_b64 s[38:39], s[38:39], s[36:37]
	; wave barrier
	s_and_saveexec_b64 s[36:37], s[38:39]
	s_cbranch_execz .LBB1420_63
; %bb.62:
	v_bcnt_u32_b32 v8, v10, 0
	v_bcnt_u32_b32 v8, v11, v8
	s_waitcnt lgkmcnt(0)
	v_add_u32_e32 v8, v63, v8
	ds_write_b32 v67, v8 offset:64
.LBB1420_63:
	s_or_b64 exec, exec, s[36:37]
	v_lshrrev_b32_e32 v8, s64, v24
	v_and_b32_e32 v68, s71, v8
	v_mul_lo_u32 v8, v68, s40
	v_lshl_add_u32 v70, v39, 2, v8
	v_and_b32_e32 v8, 1, v68
	v_lshl_add_u64 v[10:11], v[8:9], 0, -1
	v_cmp_ne_u32_e64 s[36:37], 0, v8
	; wave barrier
	s_nop 1
	v_xor_b32_e32 v10, s36, v10
	v_xor_b32_e32 v8, s37, v11
	v_and_b32_e32 v69, exec_lo, v10
	v_lshlrev_b32_e32 v11, 30, v68
	v_mov_b32_e32 v10, v9
	v_cmp_gt_i64_e64 s[36:37], 0, v[10:11]
	v_not_b32_e32 v10, v11
	v_ashrrev_i32_e32 v10, 31, v10
	v_and_b32_e32 v8, exec_hi, v8
	v_xor_b32_e32 v11, s37, v10
	v_xor_b32_e32 v10, s36, v10
	v_and_b32_e32 v8, v8, v11
	v_and_b32_e32 v69, v69, v10
	v_lshlrev_b32_e32 v11, 29, v68
	v_mov_b32_e32 v10, v9
	v_cmp_gt_i64_e64 s[36:37], 0, v[10:11]
	v_not_b32_e32 v10, v11
	v_ashrrev_i32_e32 v10, 31, v10
	v_xor_b32_e32 v11, s37, v10
	v_xor_b32_e32 v10, s36, v10
	v_and_b32_e32 v8, v8, v11
	v_and_b32_e32 v69, v69, v10
	v_lshlrev_b32_e32 v11, 28, v68
	v_mov_b32_e32 v10, v9
	v_cmp_gt_i64_e64 s[36:37], 0, v[10:11]
	v_not_b32_e32 v10, v11
	v_ashrrev_i32_e32 v10, 31, v10
	;; [unrolled: 9-line block ×5, first 2 shown]
	v_xor_b32_e32 v11, s37, v10
	v_xor_b32_e32 v10, s36, v10
	v_and_b32_e32 v8, v8, v11
	v_lshlrev_b32_e32 v11, 24, v68
	v_and_b32_e32 v69, v69, v10
	v_mov_b32_e32 v10, v9
	v_not_b32_e32 v9, v11
	v_cmp_gt_i64_e64 s[36:37], 0, v[10:11]
	v_ashrrev_i32_e32 v9, 31, v9
	ds_read_b32 v66, v70 offset:64
	v_xor_b32_e32 v10, s37, v9
	v_xor_b32_e32 v11, s36, v9
	v_and_b32_e32 v9, v8, v10
	v_and_b32_e32 v8, v69, v11
	v_mbcnt_lo_u32_b32 v10, v8, 0
	v_mbcnt_hi_u32_b32 v68, v9, v10
	v_cmp_eq_u32_e64 s[36:37], 0, v68
	v_cmp_ne_u64_e64 s[38:39], 0, v[8:9]
	s_and_b64 s[38:39], s[38:39], s[36:37]
	; wave barrier
	s_and_saveexec_b64 s[36:37], s[38:39]
	s_cbranch_execz .LBB1420_65
; %bb.64:
	v_bcnt_u32_b32 v8, v8, 0
	v_bcnt_u32_b32 v8, v9, v8
	s_waitcnt lgkmcnt(0)
	v_add_u32_e32 v8, v66, v8
	ds_write_b32 v70, v8 offset:64
.LBB1420_65:
	s_or_b64 exec, exec, s[36:37]
	v_lshrrev_b32_e32 v8, s64, v27
	v_and_b32_e32 v71, s71, v8
	v_mul_lo_u32 v8, v71, s40
	v_lshl_add_u32 v72, v39, 2, v8
	v_and_b32_e32 v8, 1, v71
	v_mov_b32_e32 v9, 0
	v_lshl_add_u64 v[10:11], v[8:9], 0, -1
	v_cmp_ne_u32_e64 s[36:37], 0, v8
	; wave barrier
	s_nop 1
	v_xor_b32_e32 v10, s36, v10
	v_xor_b32_e32 v8, s37, v11
	v_and_b32_e32 v73, exec_lo, v10
	v_lshlrev_b32_e32 v11, 30, v71
	v_mov_b32_e32 v10, v9
	v_cmp_gt_i64_e64 s[36:37], 0, v[10:11]
	v_not_b32_e32 v10, v11
	v_ashrrev_i32_e32 v10, 31, v10
	v_and_b32_e32 v8, exec_hi, v8
	v_xor_b32_e32 v11, s37, v10
	v_xor_b32_e32 v10, s36, v10
	v_and_b32_e32 v8, v8, v11
	v_and_b32_e32 v73, v73, v10
	v_lshlrev_b32_e32 v11, 29, v71
	v_mov_b32_e32 v10, v9
	v_cmp_gt_i64_e64 s[36:37], 0, v[10:11]
	v_not_b32_e32 v10, v11
	v_ashrrev_i32_e32 v10, 31, v10
	v_xor_b32_e32 v11, s37, v10
	v_xor_b32_e32 v10, s36, v10
	v_and_b32_e32 v8, v8, v11
	v_and_b32_e32 v73, v73, v10
	v_lshlrev_b32_e32 v11, 28, v71
	v_mov_b32_e32 v10, v9
	v_cmp_gt_i64_e64 s[36:37], 0, v[10:11]
	v_not_b32_e32 v10, v11
	v_ashrrev_i32_e32 v10, 31, v10
	;; [unrolled: 9-line block ×6, first 2 shown]
	v_xor_b32_e32 v11, s37, v10
	v_xor_b32_e32 v10, s36, v10
	ds_read_b32 v69, v72 offset:64
	v_and_b32_e32 v10, v73, v10
	v_and_b32_e32 v11, v8, v11
	v_mbcnt_lo_u32_b32 v8, v10, 0
	v_mbcnt_hi_u32_b32 v71, v11, v8
	v_cmp_eq_u32_e64 s[36:37], 0, v71
	v_cmp_ne_u64_e64 s[38:39], 0, v[10:11]
	s_and_b64 s[38:39], s[38:39], s[36:37]
	; wave barrier
	s_and_saveexec_b64 s[36:37], s[38:39]
	s_cbranch_execz .LBB1420_67
; %bb.66:
	v_bcnt_u32_b32 v8, v10, 0
	v_bcnt_u32_b32 v8, v11, v8
	s_waitcnt lgkmcnt(0)
	v_add_u32_e32 v8, v69, v8
	ds_write_b32 v72, v8 offset:64
.LBB1420_67:
	s_or_b64 exec, exec, s[36:37]
	v_lshrrev_b32_e32 v8, s64, v26
	v_and_b32_e32 v73, s71, v8
	v_mul_lo_u32 v8, v73, s40
	v_lshl_add_u32 v74, v39, 2, v8
	v_and_b32_e32 v8, 1, v73
	v_lshl_add_u64 v[10:11], v[8:9], 0, -1
	v_cmp_ne_u32_e64 s[36:37], 0, v8
	; wave barrier
	s_nop 1
	v_xor_b32_e32 v10, s36, v10
	v_xor_b32_e32 v8, s37, v11
	v_and_b32_e32 v75, exec_lo, v10
	v_lshlrev_b32_e32 v11, 30, v73
	v_mov_b32_e32 v10, v9
	v_cmp_gt_i64_e64 s[36:37], 0, v[10:11]
	v_not_b32_e32 v10, v11
	v_ashrrev_i32_e32 v10, 31, v10
	v_and_b32_e32 v8, exec_hi, v8
	v_xor_b32_e32 v11, s37, v10
	v_xor_b32_e32 v10, s36, v10
	v_and_b32_e32 v8, v8, v11
	v_and_b32_e32 v75, v75, v10
	v_lshlrev_b32_e32 v11, 29, v73
	v_mov_b32_e32 v10, v9
	v_cmp_gt_i64_e64 s[36:37], 0, v[10:11]
	v_not_b32_e32 v10, v11
	v_ashrrev_i32_e32 v10, 31, v10
	v_xor_b32_e32 v11, s37, v10
	v_xor_b32_e32 v10, s36, v10
	v_and_b32_e32 v8, v8, v11
	v_and_b32_e32 v75, v75, v10
	v_lshlrev_b32_e32 v11, 28, v73
	v_mov_b32_e32 v10, v9
	v_cmp_gt_i64_e64 s[36:37], 0, v[10:11]
	v_not_b32_e32 v10, v11
	v_ashrrev_i32_e32 v10, 31, v10
	;; [unrolled: 9-line block ×5, first 2 shown]
	v_xor_b32_e32 v11, s37, v10
	v_xor_b32_e32 v10, s36, v10
	v_and_b32_e32 v8, v8, v11
	v_lshlrev_b32_e32 v11, 24, v73
	v_and_b32_e32 v75, v75, v10
	v_mov_b32_e32 v10, v9
	v_not_b32_e32 v9, v11
	v_cmp_gt_i64_e64 s[36:37], 0, v[10:11]
	v_ashrrev_i32_e32 v9, 31, v9
	ds_read_b32 v39, v74 offset:64
	v_xor_b32_e32 v10, s37, v9
	v_xor_b32_e32 v11, s36, v9
	v_and_b32_e32 v9, v8, v10
	v_and_b32_e32 v8, v75, v11
	v_mbcnt_lo_u32_b32 v10, v8, 0
	v_mbcnt_hi_u32_b32 v73, v9, v10
	v_cmp_eq_u32_e64 s[36:37], 0, v73
	v_cmp_ne_u64_e64 s[38:39], 0, v[8:9]
	s_and_b64 s[38:39], s[38:39], s[36:37]
	; wave barrier
	s_and_saveexec_b64 s[36:37], s[38:39]
	s_cbranch_execz .LBB1420_69
; %bb.68:
	v_bcnt_u32_b32 v8, v8, 0
	v_bcnt_u32_b32 v8, v9, v8
	s_waitcnt lgkmcnt(0)
	v_add_u32_e32 v8, v39, v8
	ds_write_b32 v74, v8 offset:64
.LBB1420_69:
	s_or_b64 exec, exec, s[36:37]
	; wave barrier
	s_waitcnt lgkmcnt(0)
	s_barrier
	ds_read2_b32 v[10:11], v13 offset0:16 offset1:17
	ds_read2_b32 v[8:9], v13 offset0:18 offset1:19
	ds_read_b32 v75, v13 offset:80
	v_cmp_lt_u32_e64 s[46:47], 31, v12
	s_waitcnt lgkmcnt(1)
	v_add3_u32 v76, v11, v10, v8
	s_waitcnt lgkmcnt(0)
	v_add3_u32 v75, v76, v9, v75
	v_and_b32_e32 v76, 15, v12
	v_cmp_eq_u32_e64 s[36:37], 0, v76
	v_mov_b32_dpp v77, v75 row_shr:1 row_mask:0xf bank_mask:0xf
	v_cmp_lt_u32_e64 s[38:39], 1, v76
	v_cndmask_b32_e64 v77, v77, 0, s[36:37]
	v_add_u32_e32 v75, v77, v75
	v_cmp_lt_u32_e64 s[40:41], 3, v76
	v_cmp_lt_u32_e64 s[42:43], 7, v76
	v_mov_b32_dpp v77, v75 row_shr:2 row_mask:0xf bank_mask:0xf
	v_cndmask_b32_e64 v77, 0, v77, s[38:39]
	v_add_u32_e32 v75, v75, v77
	s_nop 1
	v_mov_b32_dpp v77, v75 row_shr:4 row_mask:0xf bank_mask:0xf
	v_cndmask_b32_e64 v77, 0, v77, s[40:41]
	v_add_u32_e32 v75, v75, v77
	s_nop 1
	v_mov_b32_dpp v77, v75 row_shr:8 row_mask:0xf bank_mask:0xf
	v_cndmask_b32_e64 v76, 0, v77, s[42:43]
	v_add_u32_e32 v75, v75, v76
	v_bfe_i32 v77, v12, 4, 1
	s_nop 0
	v_mov_b32_dpp v76, v75 row_bcast:15 row_mask:0xf bank_mask:0xf
	v_and_b32_e32 v76, v77, v76
	v_add_u32_e32 v75, v75, v76
	v_and_b32_e32 v77, 63, v2
	s_nop 0
	v_mov_b32_dpp v76, v75 row_bcast:31 row_mask:0xf bank_mask:0xf
	v_cndmask_b32_e64 v76, 0, v76, s[46:47]
	v_add_u32_e32 v75, v75, v76
	v_lshrrev_b32_e32 v76, 6, v2
	v_cmp_eq_u32_e64 s[46:47], 63, v77
	s_and_saveexec_b64 s[48:49], s[46:47]
; %bb.70:
	v_lshlrev_b32_e32 v77, 2, v76
	ds_write_b32 v77, v75
; %bb.71:
	s_or_b64 exec, exec, s[48:49]
	v_cmp_gt_u32_e64 s[46:47], 16, v2
	s_waitcnt lgkmcnt(0)
	s_barrier
	s_and_saveexec_b64 s[48:49], s[46:47]
	s_cbranch_execz .LBB1420_73
; %bb.72:
	v_lshlrev_b32_e32 v77, 2, v2
	ds_read_b32 v78, v77
	s_waitcnt lgkmcnt(0)
	s_nop 0
	v_mov_b32_dpp v79, v78 row_shr:1 row_mask:0xf bank_mask:0xf
	v_cndmask_b32_e64 v79, v79, 0, s[36:37]
	v_add_u32_e32 v78, v79, v78
	s_nop 1
	v_mov_b32_dpp v79, v78 row_shr:2 row_mask:0xf bank_mask:0xf
	v_cndmask_b32_e64 v79, 0, v79, s[38:39]
	v_add_u32_e32 v78, v78, v79
	;; [unrolled: 4-line block ×4, first 2 shown]
	ds_write_b32 v77, v78
.LBB1420_73:
	s_or_b64 exec, exec, s[48:49]
	v_cmp_lt_u32_e64 s[36:37], 63, v2
	v_mov_b32_e32 v77, 0
	s_waitcnt lgkmcnt(0)
	s_barrier
	s_and_saveexec_b64 s[38:39], s[36:37]
; %bb.74:
	v_lshl_add_u32 v76, v76, 2, -4
	ds_read_b32 v77, v76
; %bb.75:
	s_or_b64 exec, exec, s[38:39]
	v_subrev_co_u32_e64 v76, s[36:37], 1, v12
	v_and_b32_e32 v78, 64, v12
	v_cmp_lt_i32_e64 s[38:39], v76, v78
	s_waitcnt lgkmcnt(0)
	v_add_u32_e32 v75, v77, v75
	s_movk_i32 s40, 0x100
	v_cndmask_b32_e64 v12, v76, v12, s[38:39]
	v_lshlrev_b32_e32 v12, 2, v12
	ds_bpermute_b32 v12, v12, v75
	v_cmp_gt_u32_e64 s[38:39], s40, v2
	s_waitcnt lgkmcnt(0)
	v_cndmask_b32_e64 v12, v12, v77, s[36:37]
	v_cndmask_b32_e64 v12, v12, 0, s[44:45]
	v_add_u32_e32 v10, v12, v10
	v_add_u32_e32 v11, v10, v11
	v_add_u32_e32 v8, v11, v8
	v_add_u32_e32 v9, v8, v9
	ds_write2_b32 v13, v12, v10 offset0:16 offset1:17
	ds_write2_b32 v13, v11, v8 offset0:18 offset1:19
	ds_write_b32 v13, v9 offset:80
	s_waitcnt lgkmcnt(0)
	s_barrier
	ds_read_b32 v84, v32 offset:64
	ds_read_b32 v75, v34 offset:64
	;; [unrolled: 1-line block ×16, first 2 shown]
	s_movk_i32 s36, 0xff
	v_cmp_lt_u32_e64 s[36:37], s36, v2
                                        ; implicit-def: $vgpr32
                                        ; implicit-def: $vgpr34
	s_and_saveexec_b64 s[42:43], s[38:39]
	s_cbranch_execz .LBB1420_79
; %bb.76:
	v_mul_u32_u24_e32 v8, 0x44, v2
	ds_read_b32 v32, v8 offset:64
	v_add_u32_e32 v9, 1, v2
	v_cmp_ne_u32_e64 s[40:41], s40, v9
	v_mov_b32_e32 v8, 0x4000
	s_and_saveexec_b64 s[46:47], s[40:41]
; %bb.77:
	v_mul_u32_u24_e32 v8, 0x44, v9
	ds_read_b32 v8, v8 offset:64
; %bb.78:
	s_or_b64 exec, exec, s[46:47]
	s_waitcnt lgkmcnt(0)
	v_sub_u32_e32 v34, v8, v32
.LBB1420_79:
	s_or_b64 exec, exec, s[42:43]
	v_mov_b32_e32 v9, 0
	v_lshlrev_b32_e32 v37, 2, v2
	s_waitcnt lgkmcnt(0)
	s_barrier
	s_and_saveexec_b64 s[40:41], s[38:39]
	s_cbranch_execz .LBB1420_89
; %bb.80:
	v_lshl_add_u32 v8, s33, 8, v2
	v_lshl_add_u64 v[10:11], v[8:9], 2, s[68:69]
	v_or_b32_e32 v8, 2.0, v34
	s_mov_b64 s[42:43], 0
	s_brev_b32 s50, -4
	s_mov_b32 s51, s33
	v_mov_b32_e32 v55, 0
	global_store_dword v[10:11], v8, off sc1
                                        ; implicit-def: $sgpr38_sgpr39
	s_branch .LBB1420_83
.LBB1420_81:                            ;   in Loop: Header=BB1420_83 Depth=1
	s_or_b64 exec, exec, s[48:49]
.LBB1420_82:                            ;   in Loop: Header=BB1420_83 Depth=1
	s_or_b64 exec, exec, s[46:47]
	v_and_b32_e32 v12, 0x3fffffff, v8
	v_add_u32_e32 v55, v12, v55
	v_cmp_gt_i32_e64 s[38:39], -2.0, v8
	s_and_b64 s[46:47], exec, s[38:39]
	s_or_b64 s[42:43], s[46:47], s[42:43]
	s_andn2_b64 exec, exec, s[42:43]
	s_cbranch_execz .LBB1420_88
.LBB1420_83:                            ; =>This Loop Header: Depth=1
                                        ;     Child Loop BB1420_86 Depth 2
	s_or_b64 s[38:39], s[38:39], exec
	s_cmp_eq_u32 s51, 0
	s_cbranch_scc1 .LBB1420_87
; %bb.84:                               ;   in Loop: Header=BB1420_83 Depth=1
	s_add_i32 s51, s51, -1
	v_lshl_or_b32 v8, s51, 8, v2
	v_lshl_add_u64 v[12:13], v[8:9], 2, s[68:69]
	global_load_dword v8, v[12:13], off sc1
	s_waitcnt vmcnt(0)
	v_cmp_gt_u32_e64 s[38:39], 2.0, v8
	s_and_saveexec_b64 s[46:47], s[38:39]
	s_cbranch_execz .LBB1420_82
; %bb.85:                               ;   in Loop: Header=BB1420_83 Depth=1
	s_mov_b64 s[48:49], 0
.LBB1420_86:                            ;   Parent Loop BB1420_83 Depth=1
                                        ; =>  This Inner Loop Header: Depth=2
	global_load_dword v8, v[12:13], off sc1
	s_waitcnt vmcnt(0)
	v_cmp_lt_u32_e64 s[38:39], s50, v8
	s_or_b64 s[48:49], s[38:39], s[48:49]
	s_andn2_b64 exec, exec, s[48:49]
	s_cbranch_execnz .LBB1420_86
	s_branch .LBB1420_81
.LBB1420_87:                            ;   in Loop: Header=BB1420_83 Depth=1
                                        ; implicit-def: $sgpr51
	s_and_b64 s[46:47], exec, s[38:39]
	s_or_b64 s[42:43], s[46:47], s[42:43]
	s_andn2_b64 exec, exec, s[42:43]
	s_cbranch_execnz .LBB1420_83
.LBB1420_88:
	s_or_b64 exec, exec, s[42:43]
	v_add_u32_e32 v8, v55, v34
	v_or_b32_e32 v8, 0x80000000, v8
	global_store_dword v[10:11], v8, off sc1
	global_load_dword v8, v37, s[60:61]
	v_sub_u32_e32 v9, v55, v32
	s_waitcnt vmcnt(0)
	v_add_u32_e32 v8, v9, v8
	ds_write_b32 v37, v8
.LBB1420_89:
	s_or_b64 exec, exec, s[40:41]
	v_add_u32_e32 v10, v84, v29
	v_add3_u32 v8, v30, v28, v75
	v_add3_u32 v9, v33, v31, v76
	;; [unrolled: 1-line block ×15, first 2 shown]
	v_mov_b32_e32 v88, 0x400
	s_movk_i32 s42, 0x400
	v_lshl_add_u32 v11, v11, 2, v88
	v_add3_u32 v12, v73, v49, v39
	v_lshl_add_u32 v13, v13, 2, v88
	v_add3_u32 v29, v71, v44, v69
	;; [unrolled: 2-line block ×15, first 2 shown]
	v_lshl_add_u32 v30, v10, 2, v88
	s_mov_b32 s43, 0
	s_mov_b32 s46, 0
	s_movk_i32 s47, 0x1000
	v_mov_b32_e32 v9, 0
	s_movk_i32 s48, 0x800
	s_movk_i32 s49, 0xc00
	v_mov_b32_e32 v59, v2
	s_mov_b32 s50, 0
	s_branch .LBB1420_91
.LBB1420_90:                            ;   in Loop: Header=BB1420_91 Depth=1
	s_or_b64 exec, exec, s[40:41]
	s_addk_i32 s50, 0xc000
	s_add_i32 s43, s43, 16
	s_addk_i32 s46, 0xf000
	s_cmp_eq_u32 s50, 0xffff0000
	v_add_u32_e32 v59, 0x1000, v59
	s_barrier
	s_cbranch_scc1 .LBB1420_131
.LBB1420_91:                            ; =>This Inner Loop Header: Depth=1
	v_add_u32_e32 v8, s46, v10
	v_cmp_gt_u32_e64 s[38:39], s47, v8
	s_and_saveexec_b64 s[40:41], s[38:39]
; %bb.92:                               ;   in Loop: Header=BB1420_91 Depth=1
	v_add_u32_e32 v8, s50, v30
	ds_write_b32 v8, v5
; %bb.93:                               ;   in Loop: Header=BB1420_91 Depth=1
	s_or_b64 exec, exec, s[40:41]
	v_add_u32_e32 v8, s46, v28
	v_cmp_gt_u32_e64 s[38:39], s47, v8
	s_and_saveexec_b64 s[40:41], s[38:39]
; %bb.94:                               ;   in Loop: Header=BB1420_91 Depth=1
	v_add_u32_e32 v8, s50, v33
	ds_write_b32 v8, v14
; %bb.95:                               ;   in Loop: Header=BB1420_91 Depth=1
	s_or_b64 exec, exec, s[40:41]
	;; [unrolled: 8-line block ×4, first 2 shown]
	v_add_u32_e32 v8, s46, v38
	v_cmp_gt_u32_e64 s[38:39], s47, v8
	s_and_saveexec_b64 s[40:41], s[38:39]
; %bb.100:                              ;   in Loop: Header=BB1420_91 Depth=1
	v_add_u32_e32 v8, s50, v43
	ds_write_b32 v8, v17
; %bb.101:                              ;   in Loop: Header=BB1420_91 Depth=1
	s_or_b64 exec, exec, s[40:41]
	v_add_u32_e32 v8, s46, v42
	v_cmp_gt_u32_e64 s[38:39], s47, v8
	s_and_saveexec_b64 s[40:41], s[38:39]
; %bb.102:                              ;   in Loop: Header=BB1420_91 Depth=1
	v_add_u32_e32 v8, s50, v47
	ds_write_b32 v8, v16
; %bb.103:                              ;   in Loop: Header=BB1420_91 Depth=1
	s_or_b64 exec, exec, s[40:41]
	;; [unrolled: 8-line block ×12, first 2 shown]
	v_cmp_gt_u32_e64 s[38:39], s3, v59
	s_waitcnt lgkmcnt(0)
	s_barrier
	s_and_saveexec_b64 s[40:41], s[38:39]
	s_cbranch_execz .LBB1420_125
; %bb.124:                              ;   in Loop: Header=BB1420_91 Depth=1
	ds_read_b32 v8, v37 offset:1024
	s_waitcnt lgkmcnt(0)
	v_lshrrev_b32_e32 v60, s64, v8
	v_and_b32_e32 v62, s71, v60
	v_lshlrev_b32_e32 v60, 2, v62
	ds_read_b32 v60, v60
	v_xor_b32_e32 v63, 0x80000000, v8
	s_waitcnt lgkmcnt(0)
	v_add_u32_e32 v8, v59, v60
	v_lshl_add_u64 v[60:61], v[8:9], 2, s[54:55]
	global_store_dword v[60:61], v63, off
	scratch_store_dword off, v62, s43
.LBB1420_125:                           ;   in Loop: Header=BB1420_91 Depth=1
	s_or_b64 exec, exec, s[40:41]
	v_add_u32_e32 v8, 0x400, v59
	v_cmp_gt_u32_e64 s[38:39], s3, v8
	s_and_saveexec_b64 s[40:41], s[38:39]
	s_cbranch_execz .LBB1420_127
; %bb.126:                              ;   in Loop: Header=BB1420_91 Depth=1
	ds_read_b32 v8, v37 offset:5120
	s_add_i32 s38, s43, 4
	s_waitcnt lgkmcnt(0)
	v_lshrrev_b32_e32 v60, s64, v8
	v_and_b32_e32 v62, s71, v60
	v_lshlrev_b32_e32 v60, 2, v62
	ds_read_b32 v60, v60
	v_xor_b32_e32 v63, 0x80000000, v8
	s_waitcnt lgkmcnt(0)
	v_add3_u32 v8, v59, v60, s42
	v_lshl_add_u64 v[60:61], v[8:9], 2, s[54:55]
	global_store_dword v[60:61], v63, off
	scratch_store_dword off, v62, s38
.LBB1420_127:                           ;   in Loop: Header=BB1420_91 Depth=1
	s_or_b64 exec, exec, s[40:41]
	v_add_u32_e32 v8, 0x800, v59
	v_cmp_gt_u32_e64 s[38:39], s3, v8
	s_and_saveexec_b64 s[40:41], s[38:39]
	s_cbranch_execz .LBB1420_129
; %bb.128:                              ;   in Loop: Header=BB1420_91 Depth=1
	ds_read_b32 v8, v37 offset:9216
	s_add_i32 s38, s43, 8
	s_waitcnt lgkmcnt(0)
	v_lshrrev_b32_e32 v60, s64, v8
	v_and_b32_e32 v62, s71, v60
	v_lshlrev_b32_e32 v60, 2, v62
	ds_read_b32 v60, v60
	v_xor_b32_e32 v63, 0x80000000, v8
	s_waitcnt lgkmcnt(0)
	v_add3_u32 v8, v59, v60, s48
	v_lshl_add_u64 v[60:61], v[8:9], 2, s[54:55]
	global_store_dword v[60:61], v63, off
	scratch_store_dword off, v62, s38
.LBB1420_129:                           ;   in Loop: Header=BB1420_91 Depth=1
	s_or_b64 exec, exec, s[40:41]
	v_add_u32_e32 v8, 0xc00, v59
	v_cmp_gt_u32_e64 s[38:39], s3, v8
	s_and_saveexec_b64 s[40:41], s[38:39]
	s_cbranch_execz .LBB1420_90
; %bb.130:                              ;   in Loop: Header=BB1420_91 Depth=1
	ds_read_b32 v8, v37 offset:13312
	s_add_i32 s38, s43, 12
	s_waitcnt lgkmcnt(0)
	v_lshrrev_b32_e32 v60, s64, v8
	v_and_b32_e32 v62, s71, v60
	v_lshlrev_b32_e32 v60, 2, v62
	ds_read_b32 v60, v60
	v_xor_b32_e32 v63, 0x80000000, v8
	s_waitcnt lgkmcnt(0)
	v_add3_u32 v8, v59, v60, s49
	v_lshl_add_u64 v[60:61], v[8:9], 2, s[54:55]
	global_store_dword v[60:61], v63, off
	scratch_store_dword off, v62, s38
	s_branch .LBB1420_90
.LBB1420_131:
	s_add_u32 s38, s56, s66
	s_addc_u32 s39, s57, s67
	v_mov_b32_e32 v5, 0
	v_lshl_add_u64 v[8:9], s[38:39], 0, v[4:5]
	v_mov_b32_e32 v7, v5
	v_lshl_add_u64 v[4:5], v[8:9], 0, v[6:7]
                                        ; implicit-def: $vgpr6
	s_and_saveexec_b64 s[38:39], vcc
	s_cbranch_execz .LBB1420_147
; %bb.132:
	global_load_dword v6, v[4:5], off
	s_or_b64 exec, exec, s[38:39]
                                        ; implicit-def: $vgpr7
	s_and_saveexec_b64 s[38:39], s[4:5]
	s_cbranch_execnz .LBB1420_148
.LBB1420_133:
	s_or_b64 exec, exec, s[38:39]
                                        ; implicit-def: $vgpr8
	s_and_saveexec_b64 s[4:5], s[6:7]
	s_cbranch_execz .LBB1420_149
.LBB1420_134:
	global_load_dword v8, v[4:5], off offset:512
	s_or_b64 exec, exec, s[4:5]
                                        ; implicit-def: $vgpr9
	s_and_saveexec_b64 s[4:5], s[8:9]
	s_cbranch_execnz .LBB1420_150
.LBB1420_135:
	s_or_b64 exec, exec, s[4:5]
                                        ; implicit-def: $vgpr14
	s_and_saveexec_b64 s[4:5], s[10:11]
	s_cbranch_execz .LBB1420_151
.LBB1420_136:
	global_load_dword v14, v[4:5], off offset:1024
	s_or_b64 exec, exec, s[4:5]
                                        ; implicit-def: $vgpr15
	s_and_saveexec_b64 s[4:5], s[12:13]
	s_cbranch_execnz .LBB1420_152
.LBB1420_137:
	s_or_b64 exec, exec, s[4:5]
                                        ; implicit-def: $vgpr16
	s_and_saveexec_b64 s[4:5], s[14:15]
	s_cbranch_execz .LBB1420_153
.LBB1420_138:
	global_load_dword v16, v[4:5], off offset:1536
	s_or_b64 exec, exec, s[4:5]
                                        ; implicit-def: $vgpr17
	s_and_saveexec_b64 s[4:5], s[16:17]
	s_cbranch_execnz .LBB1420_154
.LBB1420_139:
	s_or_b64 exec, exec, s[4:5]
                                        ; implicit-def: $vgpr18
	s_and_saveexec_b64 s[4:5], s[18:19]
	s_cbranch_execz .LBB1420_155
.LBB1420_140:
	global_load_dword v18, v[4:5], off offset:2048
	s_or_b64 exec, exec, s[4:5]
                                        ; implicit-def: $vgpr19
	s_and_saveexec_b64 s[4:5], s[20:21]
	s_cbranch_execnz .LBB1420_156
.LBB1420_141:
	s_or_b64 exec, exec, s[4:5]
                                        ; implicit-def: $vgpr20
	s_and_saveexec_b64 s[4:5], s[22:23]
	s_cbranch_execz .LBB1420_157
.LBB1420_142:
	global_load_dword v20, v[4:5], off offset:2560
	s_or_b64 exec, exec, s[4:5]
                                        ; implicit-def: $vgpr21
	s_and_saveexec_b64 s[4:5], s[24:25]
	s_cbranch_execnz .LBB1420_158
.LBB1420_143:
	s_or_b64 exec, exec, s[4:5]
                                        ; implicit-def: $vgpr22
	s_and_saveexec_b64 s[4:5], s[26:27]
	s_cbranch_execz .LBB1420_159
.LBB1420_144:
	global_load_dword v22, v[4:5], off offset:3072
	s_or_b64 exec, exec, s[4:5]
                                        ; implicit-def: $vgpr23
	s_and_saveexec_b64 s[4:5], s[28:29]
	s_cbranch_execnz .LBB1420_160
.LBB1420_145:
	s_or_b64 exec, exec, s[4:5]
                                        ; implicit-def: $vgpr24
	s_and_saveexec_b64 s[4:5], s[30:31]
	s_cbranch_execz .LBB1420_161
.LBB1420_146:
	global_load_dword v24, v[4:5], off offset:3584
	s_or_b64 exec, exec, s[4:5]
                                        ; implicit-def: $vgpr25
	s_and_saveexec_b64 s[4:5], s[34:35]
	s_cbranch_execnz .LBB1420_162
	s_branch .LBB1420_163
.LBB1420_147:
	s_or_b64 exec, exec, s[38:39]
                                        ; implicit-def: $vgpr7
	s_and_saveexec_b64 s[38:39], s[4:5]
	s_cbranch_execz .LBB1420_133
.LBB1420_148:
	global_load_dword v7, v[4:5], off offset:256
	s_or_b64 exec, exec, s[38:39]
                                        ; implicit-def: $vgpr8
	s_and_saveexec_b64 s[4:5], s[6:7]
	s_cbranch_execnz .LBB1420_134
.LBB1420_149:
	s_or_b64 exec, exec, s[4:5]
                                        ; implicit-def: $vgpr9
	s_and_saveexec_b64 s[4:5], s[8:9]
	s_cbranch_execz .LBB1420_135
.LBB1420_150:
	global_load_dword v9, v[4:5], off offset:768
	s_or_b64 exec, exec, s[4:5]
                                        ; implicit-def: $vgpr14
	s_and_saveexec_b64 s[4:5], s[10:11]
	s_cbranch_execnz .LBB1420_136
.LBB1420_151:
	s_or_b64 exec, exec, s[4:5]
                                        ; implicit-def: $vgpr15
	s_and_saveexec_b64 s[4:5], s[12:13]
	s_cbranch_execz .LBB1420_137
.LBB1420_152:
	global_load_dword v15, v[4:5], off offset:1280
	s_or_b64 exec, exec, s[4:5]
                                        ; implicit-def: $vgpr16
	s_and_saveexec_b64 s[4:5], s[14:15]
	s_cbranch_execnz .LBB1420_138
.LBB1420_153:
	s_or_b64 exec, exec, s[4:5]
                                        ; implicit-def: $vgpr17
	s_and_saveexec_b64 s[4:5], s[16:17]
	s_cbranch_execz .LBB1420_139
.LBB1420_154:
	global_load_dword v17, v[4:5], off offset:1792
	s_or_b64 exec, exec, s[4:5]
                                        ; implicit-def: $vgpr18
	s_and_saveexec_b64 s[4:5], s[18:19]
	s_cbranch_execnz .LBB1420_140
.LBB1420_155:
	s_or_b64 exec, exec, s[4:5]
                                        ; implicit-def: $vgpr19
	s_and_saveexec_b64 s[4:5], s[20:21]
	s_cbranch_execz .LBB1420_141
.LBB1420_156:
	global_load_dword v19, v[4:5], off offset:2304
	s_or_b64 exec, exec, s[4:5]
                                        ; implicit-def: $vgpr20
	s_and_saveexec_b64 s[4:5], s[22:23]
	s_cbranch_execnz .LBB1420_142
.LBB1420_157:
	s_or_b64 exec, exec, s[4:5]
                                        ; implicit-def: $vgpr21
	s_and_saveexec_b64 s[4:5], s[24:25]
	s_cbranch_execz .LBB1420_143
.LBB1420_158:
	global_load_dword v21, v[4:5], off offset:2816
	s_or_b64 exec, exec, s[4:5]
                                        ; implicit-def: $vgpr22
	s_and_saveexec_b64 s[4:5], s[26:27]
	s_cbranch_execnz .LBB1420_144
.LBB1420_159:
	s_or_b64 exec, exec, s[4:5]
                                        ; implicit-def: $vgpr23
	s_and_saveexec_b64 s[4:5], s[28:29]
	s_cbranch_execz .LBB1420_145
.LBB1420_160:
	global_load_dword v23, v[4:5], off offset:3328
	s_or_b64 exec, exec, s[4:5]
                                        ; implicit-def: $vgpr24
	s_and_saveexec_b64 s[4:5], s[30:31]
	s_cbranch_execnz .LBB1420_146
.LBB1420_161:
	s_or_b64 exec, exec, s[4:5]
                                        ; implicit-def: $vgpr25
	s_and_saveexec_b64 s[4:5], s[34:35]
	s_cbranch_execz .LBB1420_163
.LBB1420_162:
	global_load_dword v25, v[4:5], off offset:3840
.LBB1420_163:
	s_or_b64 exec, exec, s[4:5]
	s_mov_b32 s6, 0
	s_mov_b32 s7, 0
	s_movk_i32 s8, 0x1000
	v_mov_b32_e32 v5, 0
	s_movk_i32 s9, 0x400
	s_movk_i32 s10, 0x800
	;; [unrolled: 1-line block ×3, first 2 shown]
	s_mov_b32 s12, 0
	v_mov_b32_e32 v26, v2
	s_branch .LBB1420_165
.LBB1420_164:                           ;   in Loop: Header=BB1420_165 Depth=1
	s_or_b64 exec, exec, s[4:5]
	s_addk_i32 s12, 0xc000
	s_addk_i32 s7, 0xf000
	s_add_i32 s6, s6, 16
	s_cmp_eq_u32 s12, 0xffff0000
	v_add_u32_e32 v26, 0x1000, v26
	s_barrier
	s_cbranch_scc1 .LBB1420_205
.LBB1420_165:                           ; =>This Inner Loop Header: Depth=1
	v_add_u32_e32 v4, s7, v10
	v_cmp_gt_u32_e32 vcc, s8, v4
	s_and_saveexec_b64 s[4:5], vcc
	s_cbranch_execz .LBB1420_167
; %bb.166:                              ;   in Loop: Header=BB1420_165 Depth=1
	v_add_u32_e32 v4, s12, v30
	s_waitcnt vmcnt(0)
	ds_write_b32 v4, v6
.LBB1420_167:                           ;   in Loop: Header=BB1420_165 Depth=1
	s_or_b64 exec, exec, s[4:5]
	v_add_u32_e32 v4, s7, v28
	v_cmp_gt_u32_e32 vcc, s8, v4
	s_and_saveexec_b64 s[4:5], vcc
	s_cbranch_execz .LBB1420_169
; %bb.168:                              ;   in Loop: Header=BB1420_165 Depth=1
	v_add_u32_e32 v4, s12, v33
	s_waitcnt vmcnt(0)
	ds_write_b32 v4, v7
.LBB1420_169:                           ;   in Loop: Header=BB1420_165 Depth=1
	s_or_b64 exec, exec, s[4:5]
	v_add_u32_e32 v4, s7, v31
	v_cmp_gt_u32_e32 vcc, s8, v4
	s_and_saveexec_b64 s[4:5], vcc
	s_cbranch_execz .LBB1420_171
; %bb.170:                              ;   in Loop: Header=BB1420_165 Depth=1
	v_add_u32_e32 v4, s12, v36
	s_waitcnt vmcnt(0)
	ds_write_b32 v4, v8
.LBB1420_171:                           ;   in Loop: Header=BB1420_165 Depth=1
	s_or_b64 exec, exec, s[4:5]
	v_add_u32_e32 v4, s7, v35
	v_cmp_gt_u32_e32 vcc, s8, v4
	s_and_saveexec_b64 s[4:5], vcc
	s_cbranch_execz .LBB1420_173
; %bb.172:                              ;   in Loop: Header=BB1420_165 Depth=1
	v_add_u32_e32 v4, s12, v40
	s_waitcnt vmcnt(0)
	ds_write_b32 v4, v9
.LBB1420_173:                           ;   in Loop: Header=BB1420_165 Depth=1
	s_or_b64 exec, exec, s[4:5]
	v_add_u32_e32 v4, s7, v38
	v_cmp_gt_u32_e32 vcc, s8, v4
	s_and_saveexec_b64 s[4:5], vcc
	s_cbranch_execz .LBB1420_175
; %bb.174:                              ;   in Loop: Header=BB1420_165 Depth=1
	v_add_u32_e32 v4, s12, v43
	s_waitcnt vmcnt(0)
	ds_write_b32 v4, v14
.LBB1420_175:                           ;   in Loop: Header=BB1420_165 Depth=1
	s_or_b64 exec, exec, s[4:5]
	v_add_u32_e32 v4, s7, v42
	v_cmp_gt_u32_e32 vcc, s8, v4
	s_and_saveexec_b64 s[4:5], vcc
	s_cbranch_execz .LBB1420_177
; %bb.176:                              ;   in Loop: Header=BB1420_165 Depth=1
	v_add_u32_e32 v4, s12, v47
	s_waitcnt vmcnt(0)
	ds_write_b32 v4, v15
.LBB1420_177:                           ;   in Loop: Header=BB1420_165 Depth=1
	s_or_b64 exec, exec, s[4:5]
	v_add_u32_e32 v4, s7, v45
	v_cmp_gt_u32_e32 vcc, s8, v4
	s_and_saveexec_b64 s[4:5], vcc
	s_cbranch_execz .LBB1420_179
; %bb.178:                              ;   in Loop: Header=BB1420_165 Depth=1
	v_add_u32_e32 v4, s12, v50
	s_waitcnt vmcnt(0)
	ds_write_b32 v4, v16
.LBB1420_179:                           ;   in Loop: Header=BB1420_165 Depth=1
	s_or_b64 exec, exec, s[4:5]
	v_add_u32_e32 v4, s7, v48
	v_cmp_gt_u32_e32 vcc, s8, v4
	s_and_saveexec_b64 s[4:5], vcc
	s_cbranch_execz .LBB1420_181
; %bb.180:                              ;   in Loop: Header=BB1420_165 Depth=1
	v_add_u32_e32 v4, s12, v53
	s_waitcnt vmcnt(0)
	ds_write_b32 v4, v17
.LBB1420_181:                           ;   in Loop: Header=BB1420_165 Depth=1
	s_or_b64 exec, exec, s[4:5]
	v_add_u32_e32 v4, s7, v51
	v_cmp_gt_u32_e32 vcc, s8, v4
	s_and_saveexec_b64 s[4:5], vcc
	s_cbranch_execz .LBB1420_183
; %bb.182:                              ;   in Loop: Header=BB1420_165 Depth=1
	v_add_u32_e32 v4, s12, v56
	s_waitcnt vmcnt(0)
	ds_write_b32 v4, v18
.LBB1420_183:                           ;   in Loop: Header=BB1420_165 Depth=1
	s_or_b64 exec, exec, s[4:5]
	v_add_u32_e32 v4, s7, v54
	v_cmp_gt_u32_e32 vcc, s8, v4
	s_and_saveexec_b64 s[4:5], vcc
	s_cbranch_execz .LBB1420_185
; %bb.184:                              ;   in Loop: Header=BB1420_165 Depth=1
	v_add_u32_e32 v4, s12, v58
	s_waitcnt vmcnt(0)
	ds_write_b32 v4, v19
.LBB1420_185:                           ;   in Loop: Header=BB1420_165 Depth=1
	s_or_b64 exec, exec, s[4:5]
	v_add_u32_e32 v4, s7, v57
	v_cmp_gt_u32_e32 vcc, s8, v4
	s_and_saveexec_b64 s[4:5], vcc
	s_cbranch_execz .LBB1420_187
; %bb.186:                              ;   in Loop: Header=BB1420_165 Depth=1
	v_add_u32_e32 v4, s12, v55
	s_waitcnt vmcnt(0)
	ds_write_b32 v4, v20
.LBB1420_187:                           ;   in Loop: Header=BB1420_165 Depth=1
	s_or_b64 exec, exec, s[4:5]
	v_add_u32_e32 v4, s7, v52
	v_cmp_gt_u32_e32 vcc, s8, v4
	s_and_saveexec_b64 s[4:5], vcc
	s_cbranch_execz .LBB1420_189
; %bb.188:                              ;   in Loop: Header=BB1420_165 Depth=1
	v_add_u32_e32 v4, s12, v49
	s_waitcnt vmcnt(0)
	ds_write_b32 v4, v21
.LBB1420_189:                           ;   in Loop: Header=BB1420_165 Depth=1
	s_or_b64 exec, exec, s[4:5]
	v_add_u32_e32 v4, s7, v46
	v_cmp_gt_u32_e32 vcc, s8, v4
	s_and_saveexec_b64 s[4:5], vcc
	s_cbranch_execz .LBB1420_191
; %bb.190:                              ;   in Loop: Header=BB1420_165 Depth=1
	v_add_u32_e32 v4, s12, v44
	s_waitcnt vmcnt(0)
	ds_write_b32 v4, v22
.LBB1420_191:                           ;   in Loop: Header=BB1420_165 Depth=1
	s_or_b64 exec, exec, s[4:5]
	v_add_u32_e32 v4, s7, v41
	v_cmp_gt_u32_e32 vcc, s8, v4
	s_and_saveexec_b64 s[4:5], vcc
	s_cbranch_execz .LBB1420_193
; %bb.192:                              ;   in Loop: Header=BB1420_165 Depth=1
	v_add_u32_e32 v4, s12, v39
	s_waitcnt vmcnt(0)
	ds_write_b32 v4, v23
.LBB1420_193:                           ;   in Loop: Header=BB1420_165 Depth=1
	s_or_b64 exec, exec, s[4:5]
	v_add_u32_e32 v4, s7, v29
	v_cmp_gt_u32_e32 vcc, s8, v4
	s_and_saveexec_b64 s[4:5], vcc
	s_cbranch_execz .LBB1420_195
; %bb.194:                              ;   in Loop: Header=BB1420_165 Depth=1
	v_add_u32_e32 v4, s12, v13
	s_waitcnt vmcnt(0)
	ds_write_b32 v4, v24
.LBB1420_195:                           ;   in Loop: Header=BB1420_165 Depth=1
	s_or_b64 exec, exec, s[4:5]
	v_add_u32_e32 v4, s7, v12
	v_cmp_gt_u32_e32 vcc, s8, v4
	s_and_saveexec_b64 s[4:5], vcc
	s_cbranch_execz .LBB1420_197
; %bb.196:                              ;   in Loop: Header=BB1420_165 Depth=1
	v_add_u32_e32 v4, s12, v11
	s_waitcnt vmcnt(0)
	ds_write_b32 v4, v25
.LBB1420_197:                           ;   in Loop: Header=BB1420_165 Depth=1
	s_or_b64 exec, exec, s[4:5]
	v_cmp_gt_u32_e32 vcc, s3, v26
	s_waitcnt lgkmcnt(0)
	s_barrier
	s_and_saveexec_b64 s[4:5], vcc
	s_cbranch_execz .LBB1420_199
; %bb.198:                              ;   in Loop: Header=BB1420_165 Depth=1
	scratch_load_dword v4, off, s6
	s_waitcnt vmcnt(0)
	v_lshlrev_b32_e32 v4, 2, v4
	ds_read_b32 v4, v4
	ds_read_b32 v27, v37 offset:1024
	s_waitcnt lgkmcnt(1)
	v_add_u32_e32 v4, v26, v4
	v_lshl_add_u64 v[60:61], v[4:5], 2, s[58:59]
	s_waitcnt lgkmcnt(0)
	global_store_dword v[60:61], v27, off
.LBB1420_199:                           ;   in Loop: Header=BB1420_165 Depth=1
	s_or_b64 exec, exec, s[4:5]
	v_add_u32_e32 v4, 0x400, v26
	v_cmp_gt_u32_e32 vcc, s3, v4
	s_and_saveexec_b64 s[4:5], vcc
	s_cbranch_execz .LBB1420_201
; %bb.200:                              ;   in Loop: Header=BB1420_165 Depth=1
	s_add_i32 s13, s6, 4
	scratch_load_dword v4, off, s13
	s_waitcnt vmcnt(0)
	v_lshlrev_b32_e32 v4, 2, v4
	ds_read_b32 v4, v4
	ds_read_b32 v27, v37 offset:5120
	s_waitcnt lgkmcnt(1)
	v_add3_u32 v4, v26, v4, s9
	v_lshl_add_u64 v[60:61], v[4:5], 2, s[58:59]
	s_waitcnt lgkmcnt(0)
	global_store_dword v[60:61], v27, off
.LBB1420_201:                           ;   in Loop: Header=BB1420_165 Depth=1
	s_or_b64 exec, exec, s[4:5]
	v_add_u32_e32 v4, 0x800, v26
	v_cmp_gt_u32_e32 vcc, s3, v4
	s_and_saveexec_b64 s[4:5], vcc
	s_cbranch_execz .LBB1420_203
; %bb.202:                              ;   in Loop: Header=BB1420_165 Depth=1
	s_add_i32 s13, s6, 8
	scratch_load_dword v4, off, s13
	s_waitcnt vmcnt(0)
	v_lshlrev_b32_e32 v4, 2, v4
	ds_read_b32 v4, v4
	ds_read_b32 v27, v37 offset:9216
	s_waitcnt lgkmcnt(1)
	v_add3_u32 v4, v26, v4, s10
	v_lshl_add_u64 v[60:61], v[4:5], 2, s[58:59]
	s_waitcnt lgkmcnt(0)
	global_store_dword v[60:61], v27, off
.LBB1420_203:                           ;   in Loop: Header=BB1420_165 Depth=1
	s_or_b64 exec, exec, s[4:5]
	v_add_u32_e32 v4, 0xc00, v26
	v_cmp_gt_u32_e32 vcc, s3, v4
	s_and_saveexec_b64 s[4:5], vcc
	s_cbranch_execz .LBB1420_164
; %bb.204:                              ;   in Loop: Header=BB1420_165 Depth=1
	s_add_i32 s13, s6, 12
	scratch_load_dword v4, off, s13
	s_waitcnt vmcnt(0)
	v_lshlrev_b32_e32 v4, 2, v4
	ds_read_b32 v4, v4
	ds_read_b32 v27, v37 offset:13312
	s_waitcnt lgkmcnt(1)
	v_add3_u32 v4, v26, v4, s11
	v_lshl_add_u64 v[60:61], v[4:5], 2, s[58:59]
	s_waitcnt lgkmcnt(0)
	global_store_dword v[60:61], v27, off
	s_branch .LBB1420_164
.LBB1420_205:
	s_add_i32 s70, s70, -1
	s_cmp_eq_u32 s33, s70
	s_cselect_b64 s[4:5], -1, 0
	s_xor_b64 s[6:7], s[36:37], -1
	s_and_b64 s[6:7], s[6:7], s[4:5]
	s_and_saveexec_b64 s[4:5], s[6:7]
	s_cbranch_execz .LBB1420_207
; %bb.206:
	ds_read_b32 v4, v37
	s_waitcnt lgkmcnt(0)
	v_add3_u32 v4, v32, v34, v4
	global_store_dword v37, v4, s[62:63]
.LBB1420_207:
	s_or_b64 exec, exec, s[4:5]
	s_mov_b64 s[4:5], 0
.LBB1420_208:
	s_and_b64 vcc, exec, s[4:5]
	s_cbranch_vccz .LBB1420_331
; %bb.209:
	s_lshl_b32 s4, s33, 14
	s_mov_b32 s5, 0
	s_load_dword s12, s[0:1], 0x58
	s_load_dword s3, s[0:1], 0x64
	s_lshl_b64 s[8:9], s[4:5], 2
	v_mbcnt_hi_u32_b32 v10, -1, v3
	s_add_u32 s4, s52, s8
	v_and_b32_e32 v3, 63, v10
	s_waitcnt vmcnt(0)
	v_and_b32_e32 v6, 0x3c00, v1
	v_mov_b32_e32 v1, 0
	s_addc_u32 s5, s53, s9
	v_lshlrev_b32_e32 v4, 2, v3
	v_mov_b32_e32 v5, v1
	v_lshl_add_u64 v[8:9], s[4:5], 0, v[4:5]
	v_lshlrev_b32_e32 v6, 2, v6
	v_mov_b32_e32 v7, v1
	s_add_u32 s0, s0, 0x58
	v_lshl_add_u64 v[8:9], v[8:9], 0, v[6:7]
	s_addc_u32 s1, s1, 0
	s_waitcnt lgkmcnt(0)
	s_lshr_b32 s3, s3, 16
	global_load_dword v3, v[8:9], off
	s_cmp_lt_u32 s2, s12
	s_cselect_b32 s2, 12, 18
	s_add_u32 s0, s0, s2
	s_addc_u32 s1, s1, 0
	global_load_ushort v13, v1, s[0:1]
	v_mul_u32_u24_e32 v11, 20, v2
	ds_write2_b32 v11, v1, v1 offset0:16 offset1:17
	ds_write2_b32 v11, v1, v1 offset0:18 offset1:19
	ds_write_b32 v11, v1 offset:80
	global_load_dword v5, v[8:9], off offset:256
	global_load_dword v7, v[8:9], off offset:512
	;; [unrolled: 1-line block ×15, first 2 shown]
	v_bfe_u32 v14, v0, 10, 10
	v_bfe_u32 v0, v0, 20, 10
	v_mad_u32_u24 v8, v0, s3, v14
	s_lshl_b32 s0, -1, s65
	v_mov_b32_e32 v16, v1
	v_mov_b32_e32 v26, v1
	s_not_b32 s13, s0
	v_mov_b32_e32 v20, v1
	s_movk_i32 s6, 0x44
	s_waitcnt lgkmcnt(0)
	s_barrier
	s_waitcnt vmcnt(16)
	; wave barrier
	v_xor_b32_e32 v3, 0x80000000, v3
	v_lshrrev_b32_e32 v0, s64, v3
	v_bitop3_b32 v14, v0, s0, v0 bitop3:0x30
	v_and_b32_e32 v0, 1, v14
	v_lshlrev_b32_e32 v17, 30, v14
	v_lshlrev_b32_e32 v21, 29, v14
	;; [unrolled: 1-line block ×3, first 2 shown]
	s_waitcnt vmcnt(15)
	v_mad_u64_u32 v[8:9], s[0:1], v8, v13, v[2:3]
	v_lshl_add_u64 v[32:33], v[0:1], 0, -1
	v_cmp_ne_u32_e32 vcc, 0, v0
	v_not_b32_e32 v0, v17
	v_cmp_gt_i64_e64 s[0:1], 0, v[16:17]
	v_not_b32_e32 v9, v21
	v_cmp_gt_i64_e64 s[4:5], 0, v[26:27]
	v_not_b32_e32 v13, v27
	v_lshrrev_b32_e32 v27, 6, v8
	v_xor_b32_e32 v8, vcc_hi, v33
	v_ashrrev_i32_e32 v0, 31, v0
	v_cmp_gt_i64_e64 s[2:3], 0, v[20:21]
	v_xor_b32_e32 v16, vcc_lo, v32
	v_ashrrev_i32_e32 v9, 31, v9
	v_and_b32_e32 v8, exec_hi, v8
	v_xor_b32_e32 v17, s1, v0
	v_ashrrev_i32_e32 v13, 31, v13
	v_and_b32_e32 v16, exec_lo, v16
	v_xor_b32_e32 v0, s0, v0
	v_xor_b32_e32 v20, s3, v9
	v_and_b32_e32 v8, v8, v17
	v_xor_b32_e32 v9, s2, v9
	v_xor_b32_e32 v21, s5, v13
	v_and_b32_e32 v0, v16, v0
	v_and_b32_e32 v8, v8, v20
	;; [unrolled: 1-line block ×4, first 2 shown]
	v_lshlrev_b32_e32 v9, 27, v14
	v_mov_b32_e32 v8, v1
	v_cmp_gt_i64_e32 vcc, 0, v[8:9]
	v_not_b32_e32 v8, v9
	v_xor_b32_e32 v13, s4, v13
	v_ashrrev_i32_e32 v8, 31, v8
	v_and_b32_e32 v0, v0, v13
	v_xor_b32_e32 v9, vcc_hi, v8
	v_xor_b32_e32 v8, vcc_lo, v8
	v_and_b32_e32 v13, v16, v9
	v_and_b32_e32 v0, v0, v8
	v_lshlrev_b32_e32 v9, 26, v14
	v_mov_b32_e32 v8, v1
	v_cmp_gt_i64_e32 vcc, 0, v[8:9]
	v_not_b32_e32 v8, v9
	v_ashrrev_i32_e32 v8, 31, v8
	v_xor_b32_e32 v9, vcc_hi, v8
	v_xor_b32_e32 v8, vcc_lo, v8
	v_and_b32_e32 v13, v13, v9
	v_and_b32_e32 v0, v0, v8
	v_lshlrev_b32_e32 v9, 25, v14
	v_mov_b32_e32 v8, v1
	v_cmp_gt_i64_e32 vcc, 0, v[8:9]
	v_not_b32_e32 v8, v9
	v_ashrrev_i32_e32 v8, 31, v8
	;; [unrolled: 9-line block ×3, first 2 shown]
	v_xor_b32_e32 v9, vcc_hi, v8
	v_xor_b32_e32 v8, vcc_lo, v8
	v_and_b32_e32 v8, v0, v8
	v_and_b32_e32 v9, v13, v9
	v_mbcnt_lo_u32_b32 v0, v8, 0
	v_mul_lo_u32 v18, v14, s6
	v_mbcnt_hi_u32_b32 v14, v9, v0
	v_cmp_eq_u32_e32 vcc, 0, v14
	v_cmp_ne_u64_e64 s[0:1], 0, v[8:9]
	v_lshl_add_u32 v18, v27, 2, v18
	s_and_b64 s[2:3], s[0:1], vcc
	s_and_saveexec_b64 s[0:1], s[2:3]
; %bb.210:
	v_bcnt_u32_b32 v0, v8, 0
	v_bcnt_u32_b32 v0, v9, v0
	ds_write_b32 v18, v0 offset:64
; %bb.211:
	s_or_b64 exec, exec, s[0:1]
	s_waitcnt vmcnt(14)
	v_xor_b32_e32 v5, 0x80000000, v5
	v_lshrrev_b32_e32 v0, s64, v5
	v_and_b32_e32 v16, s13, v0
	v_mul_lo_u32 v0, v16, s6
	v_lshl_add_u32 v21, v27, 2, v0
	v_and_b32_e32 v0, 1, v16
	v_lshl_add_u64 v[8:9], v[0:1], 0, -1
	v_cmp_ne_u32_e32 vcc, 0, v0
	; wave barrier
	s_nop 1
	v_xor_b32_e32 v8, vcc_lo, v8
	v_xor_b32_e32 v0, vcc_hi, v9
	v_and_b32_e32 v17, exec_lo, v8
	v_lshlrev_b32_e32 v9, 30, v16
	v_mov_b32_e32 v8, v1
	v_cmp_gt_i64_e32 vcc, 0, v[8:9]
	v_not_b32_e32 v8, v9
	v_ashrrev_i32_e32 v8, 31, v8
	v_and_b32_e32 v0, exec_hi, v0
	v_xor_b32_e32 v9, vcc_hi, v8
	v_xor_b32_e32 v8, vcc_lo, v8
	v_and_b32_e32 v0, v0, v9
	v_and_b32_e32 v17, v17, v8
	v_lshlrev_b32_e32 v9, 29, v16
	v_mov_b32_e32 v8, v1
	v_cmp_gt_i64_e32 vcc, 0, v[8:9]
	v_not_b32_e32 v8, v9
	v_ashrrev_i32_e32 v8, 31, v8
	v_xor_b32_e32 v9, vcc_hi, v8
	v_xor_b32_e32 v8, vcc_lo, v8
	v_and_b32_e32 v0, v0, v9
	v_and_b32_e32 v17, v17, v8
	v_lshlrev_b32_e32 v9, 28, v16
	v_mov_b32_e32 v8, v1
	v_cmp_gt_i64_e32 vcc, 0, v[8:9]
	v_not_b32_e32 v8, v9
	v_ashrrev_i32_e32 v8, 31, v8
	;; [unrolled: 9-line block ×5, first 2 shown]
	v_xor_b32_e32 v9, vcc_hi, v8
	v_xor_b32_e32 v8, vcc_lo, v8
	v_and_b32_e32 v0, v0, v9
	v_lshlrev_b32_e32 v9, 24, v16
	v_and_b32_e32 v17, v17, v8
	v_mov_b32_e32 v8, v1
	v_not_b32_e32 v1, v9
	v_cmp_gt_i64_e32 vcc, 0, v[8:9]
	v_ashrrev_i32_e32 v1, 31, v1
	ds_read_b32 v13, v21 offset:64
	v_xor_b32_e32 v8, vcc_hi, v1
	v_xor_b32_e32 v9, vcc_lo, v1
	v_and_b32_e32 v1, v0, v8
	v_and_b32_e32 v0, v17, v9
	v_mbcnt_lo_u32_b32 v8, v0, 0
	v_mbcnt_hi_u32_b32 v16, v1, v8
	v_cmp_eq_u32_e32 vcc, 0, v16
	v_cmp_ne_u64_e64 s[0:1], 0, v[0:1]
	s_and_b64 s[2:3], s[0:1], vcc
	; wave barrier
	s_and_saveexec_b64 s[0:1], s[2:3]
	s_cbranch_execz .LBB1420_213
; %bb.212:
	v_bcnt_u32_b32 v0, v0, 0
	v_bcnt_u32_b32 v0, v1, v0
	s_waitcnt lgkmcnt(0)
	v_add_u32_e32 v0, v13, v0
	ds_write_b32 v21, v0 offset:64
.LBB1420_213:
	s_or_b64 exec, exec, s[0:1]
	s_waitcnt vmcnt(13)
	v_xor_b32_e32 v7, 0x80000000, v7
	v_lshrrev_b32_e32 v0, s64, v7
	v_and_b32_e32 v20, s13, v0
	s_movk_i32 s2, 0x44
	v_mul_lo_u32 v0, v20, s2
	v_lshl_add_u32 v26, v27, 2, v0
	v_and_b32_e32 v0, 1, v20
	v_mov_b32_e32 v1, 0
	v_lshl_add_u64 v[8:9], v[0:1], 0, -1
	v_cmp_ne_u32_e32 vcc, 0, v0
	; wave barrier
	s_nop 1
	v_xor_b32_e32 v8, vcc_lo, v8
	v_xor_b32_e32 v0, vcc_hi, v9
	v_and_b32_e32 v22, exec_lo, v8
	v_lshlrev_b32_e32 v9, 30, v20
	v_mov_b32_e32 v8, v1
	v_cmp_gt_i64_e32 vcc, 0, v[8:9]
	v_not_b32_e32 v8, v9
	v_ashrrev_i32_e32 v8, 31, v8
	v_and_b32_e32 v0, exec_hi, v0
	v_xor_b32_e32 v9, vcc_hi, v8
	v_xor_b32_e32 v8, vcc_lo, v8
	v_and_b32_e32 v0, v0, v9
	v_and_b32_e32 v22, v22, v8
	v_lshlrev_b32_e32 v9, 29, v20
	v_mov_b32_e32 v8, v1
	v_cmp_gt_i64_e32 vcc, 0, v[8:9]
	v_not_b32_e32 v8, v9
	v_ashrrev_i32_e32 v8, 31, v8
	v_xor_b32_e32 v9, vcc_hi, v8
	v_xor_b32_e32 v8, vcc_lo, v8
	v_and_b32_e32 v0, v0, v9
	v_and_b32_e32 v22, v22, v8
	v_lshlrev_b32_e32 v9, 28, v20
	v_mov_b32_e32 v8, v1
	v_cmp_gt_i64_e32 vcc, 0, v[8:9]
	v_not_b32_e32 v8, v9
	v_ashrrev_i32_e32 v8, 31, v8
	;; [unrolled: 9-line block ×6, first 2 shown]
	v_xor_b32_e32 v9, vcc_hi, v8
	v_xor_b32_e32 v8, vcc_lo, v8
	ds_read_b32 v17, v26 offset:64
	v_and_b32_e32 v8, v22, v8
	v_and_b32_e32 v9, v0, v9
	v_mbcnt_lo_u32_b32 v0, v8, 0
	v_mbcnt_hi_u32_b32 v20, v9, v0
	v_cmp_eq_u32_e32 vcc, 0, v20
	v_cmp_ne_u64_e64 s[0:1], 0, v[8:9]
	s_and_b64 s[4:5], s[0:1], vcc
	; wave barrier
	s_and_saveexec_b64 s[0:1], s[4:5]
	s_cbranch_execz .LBB1420_215
; %bb.214:
	v_bcnt_u32_b32 v0, v8, 0
	v_bcnt_u32_b32 v0, v9, v0
	s_waitcnt lgkmcnt(0)
	v_add_u32_e32 v0, v17, v0
	ds_write_b32 v26, v0 offset:64
.LBB1420_215:
	s_or_b64 exec, exec, s[0:1]
	s_waitcnt vmcnt(12)
	v_xor_b32_e32 v12, 0x80000000, v12
	v_lshrrev_b32_e32 v0, s64, v12
	v_and_b32_e32 v24, s13, v0
	v_mul_lo_u32 v0, v24, s2
	v_lshl_add_u32 v32, v27, 2, v0
	v_and_b32_e32 v0, 1, v24
	v_lshl_add_u64 v[8:9], v[0:1], 0, -1
	v_cmp_ne_u32_e32 vcc, 0, v0
	; wave barrier
	s_nop 1
	v_xor_b32_e32 v8, vcc_lo, v8
	v_xor_b32_e32 v0, vcc_hi, v9
	v_and_b32_e32 v28, exec_lo, v8
	v_lshlrev_b32_e32 v9, 30, v24
	v_mov_b32_e32 v8, v1
	v_cmp_gt_i64_e32 vcc, 0, v[8:9]
	v_not_b32_e32 v8, v9
	v_ashrrev_i32_e32 v8, 31, v8
	v_and_b32_e32 v0, exec_hi, v0
	v_xor_b32_e32 v9, vcc_hi, v8
	v_xor_b32_e32 v8, vcc_lo, v8
	v_and_b32_e32 v0, v0, v9
	v_and_b32_e32 v28, v28, v8
	v_lshlrev_b32_e32 v9, 29, v24
	v_mov_b32_e32 v8, v1
	v_cmp_gt_i64_e32 vcc, 0, v[8:9]
	v_not_b32_e32 v8, v9
	v_ashrrev_i32_e32 v8, 31, v8
	v_xor_b32_e32 v9, vcc_hi, v8
	v_xor_b32_e32 v8, vcc_lo, v8
	v_and_b32_e32 v0, v0, v9
	v_and_b32_e32 v28, v28, v8
	v_lshlrev_b32_e32 v9, 28, v24
	v_mov_b32_e32 v8, v1
	v_cmp_gt_i64_e32 vcc, 0, v[8:9]
	v_not_b32_e32 v8, v9
	v_ashrrev_i32_e32 v8, 31, v8
	;; [unrolled: 9-line block ×5, first 2 shown]
	v_xor_b32_e32 v9, vcc_hi, v8
	v_xor_b32_e32 v8, vcc_lo, v8
	v_and_b32_e32 v0, v0, v9
	v_lshlrev_b32_e32 v9, 24, v24
	v_and_b32_e32 v28, v28, v8
	v_mov_b32_e32 v8, v1
	v_not_b32_e32 v1, v9
	v_cmp_gt_i64_e32 vcc, 0, v[8:9]
	v_ashrrev_i32_e32 v1, 31, v1
	ds_read_b32 v22, v32 offset:64
	v_xor_b32_e32 v8, vcc_hi, v1
	v_xor_b32_e32 v9, vcc_lo, v1
	v_and_b32_e32 v1, v0, v8
	v_and_b32_e32 v0, v28, v9
	v_mbcnt_lo_u32_b32 v8, v0, 0
	v_mbcnt_hi_u32_b32 v24, v1, v8
	v_cmp_eq_u32_e32 vcc, 0, v24
	v_cmp_ne_u64_e64 s[0:1], 0, v[0:1]
	s_and_b64 s[2:3], s[0:1], vcc
	; wave barrier
	s_and_saveexec_b64 s[0:1], s[2:3]
	s_cbranch_execz .LBB1420_217
; %bb.216:
	v_bcnt_u32_b32 v0, v0, 0
	v_bcnt_u32_b32 v0, v1, v0
	s_waitcnt lgkmcnt(0)
	v_add_u32_e32 v0, v22, v0
	ds_write_b32 v32, v0 offset:64
.LBB1420_217:
	s_or_b64 exec, exec, s[0:1]
	s_waitcnt vmcnt(11)
	v_xor_b32_e32 v15, 0x80000000, v15
	v_lshrrev_b32_e32 v0, s64, v15
	v_and_b32_e32 v30, s13, v0
	s_movk_i32 s2, 0x44
	v_mul_lo_u32 v0, v30, s2
	v_lshl_add_u32 v37, v27, 2, v0
	v_and_b32_e32 v0, 1, v30
	v_mov_b32_e32 v1, 0
	v_lshl_add_u64 v[8:9], v[0:1], 0, -1
	v_cmp_ne_u32_e32 vcc, 0, v0
	; wave barrier
	s_nop 1
	v_xor_b32_e32 v8, vcc_lo, v8
	v_xor_b32_e32 v0, vcc_hi, v9
	v_and_b32_e32 v33, exec_lo, v8
	v_lshlrev_b32_e32 v9, 30, v30
	v_mov_b32_e32 v8, v1
	v_cmp_gt_i64_e32 vcc, 0, v[8:9]
	v_not_b32_e32 v8, v9
	v_ashrrev_i32_e32 v8, 31, v8
	v_and_b32_e32 v0, exec_hi, v0
	v_xor_b32_e32 v9, vcc_hi, v8
	v_xor_b32_e32 v8, vcc_lo, v8
	v_and_b32_e32 v0, v0, v9
	v_and_b32_e32 v33, v33, v8
	v_lshlrev_b32_e32 v9, 29, v30
	v_mov_b32_e32 v8, v1
	v_cmp_gt_i64_e32 vcc, 0, v[8:9]
	v_not_b32_e32 v8, v9
	v_ashrrev_i32_e32 v8, 31, v8
	v_xor_b32_e32 v9, vcc_hi, v8
	v_xor_b32_e32 v8, vcc_lo, v8
	v_and_b32_e32 v0, v0, v9
	v_and_b32_e32 v33, v33, v8
	v_lshlrev_b32_e32 v9, 28, v30
	v_mov_b32_e32 v8, v1
	v_cmp_gt_i64_e32 vcc, 0, v[8:9]
	v_not_b32_e32 v8, v9
	v_ashrrev_i32_e32 v8, 31, v8
	;; [unrolled: 9-line block ×6, first 2 shown]
	v_xor_b32_e32 v9, vcc_hi, v8
	v_xor_b32_e32 v8, vcc_lo, v8
	ds_read_b32 v28, v37 offset:64
	v_and_b32_e32 v8, v33, v8
	v_and_b32_e32 v9, v0, v9
	v_mbcnt_lo_u32_b32 v0, v8, 0
	v_mbcnt_hi_u32_b32 v30, v9, v0
	v_cmp_eq_u32_e32 vcc, 0, v30
	v_cmp_ne_u64_e64 s[0:1], 0, v[8:9]
	s_and_b64 s[4:5], s[0:1], vcc
	; wave barrier
	s_and_saveexec_b64 s[0:1], s[4:5]
	s_cbranch_execz .LBB1420_219
; %bb.218:
	v_bcnt_u32_b32 v0, v8, 0
	v_bcnt_u32_b32 v0, v9, v0
	s_waitcnt lgkmcnt(0)
	v_add_u32_e32 v0, v28, v0
	ds_write_b32 v37, v0 offset:64
.LBB1420_219:
	s_or_b64 exec, exec, s[0:1]
	s_waitcnt vmcnt(10)
	v_xor_b32_e32 v19, 0x80000000, v19
	v_lshrrev_b32_e32 v0, s64, v19
	v_and_b32_e32 v35, s13, v0
	v_mul_lo_u32 v0, v35, s2
	v_lshl_add_u32 v41, v27, 2, v0
	v_and_b32_e32 v0, 1, v35
	v_lshl_add_u64 v[8:9], v[0:1], 0, -1
	v_cmp_ne_u32_e32 vcc, 0, v0
	; wave barrier
	s_nop 1
	v_xor_b32_e32 v8, vcc_lo, v8
	v_xor_b32_e32 v0, vcc_hi, v9
	v_and_b32_e32 v38, exec_lo, v8
	v_lshlrev_b32_e32 v9, 30, v35
	v_mov_b32_e32 v8, v1
	v_cmp_gt_i64_e32 vcc, 0, v[8:9]
	v_not_b32_e32 v8, v9
	v_ashrrev_i32_e32 v8, 31, v8
	v_and_b32_e32 v0, exec_hi, v0
	v_xor_b32_e32 v9, vcc_hi, v8
	v_xor_b32_e32 v8, vcc_lo, v8
	v_and_b32_e32 v0, v0, v9
	v_and_b32_e32 v38, v38, v8
	v_lshlrev_b32_e32 v9, 29, v35
	v_mov_b32_e32 v8, v1
	v_cmp_gt_i64_e32 vcc, 0, v[8:9]
	v_not_b32_e32 v8, v9
	v_ashrrev_i32_e32 v8, 31, v8
	v_xor_b32_e32 v9, vcc_hi, v8
	v_xor_b32_e32 v8, vcc_lo, v8
	v_and_b32_e32 v0, v0, v9
	v_and_b32_e32 v38, v38, v8
	v_lshlrev_b32_e32 v9, 28, v35
	v_mov_b32_e32 v8, v1
	v_cmp_gt_i64_e32 vcc, 0, v[8:9]
	v_not_b32_e32 v8, v9
	v_ashrrev_i32_e32 v8, 31, v8
	;; [unrolled: 9-line block ×5, first 2 shown]
	v_xor_b32_e32 v9, vcc_hi, v8
	v_xor_b32_e32 v8, vcc_lo, v8
	v_and_b32_e32 v0, v0, v9
	v_lshlrev_b32_e32 v9, 24, v35
	v_and_b32_e32 v38, v38, v8
	v_mov_b32_e32 v8, v1
	v_not_b32_e32 v1, v9
	v_cmp_gt_i64_e32 vcc, 0, v[8:9]
	v_ashrrev_i32_e32 v1, 31, v1
	ds_read_b32 v33, v41 offset:64
	v_xor_b32_e32 v8, vcc_hi, v1
	v_xor_b32_e32 v9, vcc_lo, v1
	v_and_b32_e32 v1, v0, v8
	v_and_b32_e32 v0, v38, v9
	v_mbcnt_lo_u32_b32 v8, v0, 0
	v_mbcnt_hi_u32_b32 v35, v1, v8
	v_cmp_eq_u32_e32 vcc, 0, v35
	v_cmp_ne_u64_e64 s[0:1], 0, v[0:1]
	s_and_b64 s[2:3], s[0:1], vcc
	; wave barrier
	s_and_saveexec_b64 s[0:1], s[2:3]
	s_cbranch_execz .LBB1420_221
; %bb.220:
	v_bcnt_u32_b32 v0, v0, 0
	v_bcnt_u32_b32 v0, v1, v0
	s_waitcnt lgkmcnt(0)
	v_add_u32_e32 v0, v33, v0
	ds_write_b32 v41, v0 offset:64
.LBB1420_221:
	s_or_b64 exec, exec, s[0:1]
	s_waitcnt vmcnt(9)
	v_xor_b32_e32 v23, 0x80000000, v23
	v_lshrrev_b32_e32 v0, s64, v23
	v_and_b32_e32 v42, s13, v0
	s_movk_i32 s2, 0x44
	v_mul_lo_u32 v0, v42, s2
	v_lshl_add_u32 v46, v27, 2, v0
	v_and_b32_e32 v0, 1, v42
	v_mov_b32_e32 v1, 0
	v_lshl_add_u64 v[8:9], v[0:1], 0, -1
	v_cmp_ne_u32_e32 vcc, 0, v0
	; wave barrier
	s_nop 1
	v_xor_b32_e32 v8, vcc_lo, v8
	v_xor_b32_e32 v0, vcc_hi, v9
	v_and_b32_e32 v43, exec_lo, v8
	v_lshlrev_b32_e32 v9, 30, v42
	v_mov_b32_e32 v8, v1
	v_cmp_gt_i64_e32 vcc, 0, v[8:9]
	v_not_b32_e32 v8, v9
	v_ashrrev_i32_e32 v8, 31, v8
	v_and_b32_e32 v0, exec_hi, v0
	v_xor_b32_e32 v9, vcc_hi, v8
	v_xor_b32_e32 v8, vcc_lo, v8
	v_and_b32_e32 v0, v0, v9
	v_and_b32_e32 v43, v43, v8
	v_lshlrev_b32_e32 v9, 29, v42
	v_mov_b32_e32 v8, v1
	v_cmp_gt_i64_e32 vcc, 0, v[8:9]
	v_not_b32_e32 v8, v9
	v_ashrrev_i32_e32 v8, 31, v8
	v_xor_b32_e32 v9, vcc_hi, v8
	v_xor_b32_e32 v8, vcc_lo, v8
	v_and_b32_e32 v0, v0, v9
	v_and_b32_e32 v43, v43, v8
	v_lshlrev_b32_e32 v9, 28, v42
	v_mov_b32_e32 v8, v1
	v_cmp_gt_i64_e32 vcc, 0, v[8:9]
	v_not_b32_e32 v8, v9
	v_ashrrev_i32_e32 v8, 31, v8
	;; [unrolled: 9-line block ×6, first 2 shown]
	v_xor_b32_e32 v9, vcc_hi, v8
	v_xor_b32_e32 v8, vcc_lo, v8
	ds_read_b32 v38, v46 offset:64
	v_and_b32_e32 v8, v43, v8
	v_and_b32_e32 v9, v0, v9
	v_mbcnt_lo_u32_b32 v0, v8, 0
	v_mbcnt_hi_u32_b32 v42, v9, v0
	v_cmp_eq_u32_e32 vcc, 0, v42
	v_cmp_ne_u64_e64 s[0:1], 0, v[8:9]
	s_and_b64 s[4:5], s[0:1], vcc
	; wave barrier
	s_and_saveexec_b64 s[0:1], s[4:5]
	s_cbranch_execz .LBB1420_223
; %bb.222:
	v_bcnt_u32_b32 v0, v8, 0
	v_bcnt_u32_b32 v0, v9, v0
	s_waitcnt lgkmcnt(0)
	v_add_u32_e32 v0, v38, v0
	ds_write_b32 v46, v0 offset:64
.LBB1420_223:
	s_or_b64 exec, exec, s[0:1]
	s_waitcnt vmcnt(8)
	v_xor_b32_e32 v29, 0x80000000, v29
	v_lshrrev_b32_e32 v0, s64, v29
	v_and_b32_e32 v47, s13, v0
	v_mul_lo_u32 v0, v47, s2
	v_lshl_add_u32 v49, v27, 2, v0
	v_and_b32_e32 v0, 1, v47
	v_lshl_add_u64 v[8:9], v[0:1], 0, -1
	v_cmp_ne_u32_e32 vcc, 0, v0
	; wave barrier
	s_nop 1
	v_xor_b32_e32 v8, vcc_lo, v8
	v_xor_b32_e32 v0, vcc_hi, v9
	v_and_b32_e32 v48, exec_lo, v8
	v_lshlrev_b32_e32 v9, 30, v47
	v_mov_b32_e32 v8, v1
	v_cmp_gt_i64_e32 vcc, 0, v[8:9]
	v_not_b32_e32 v8, v9
	v_ashrrev_i32_e32 v8, 31, v8
	v_and_b32_e32 v0, exec_hi, v0
	v_xor_b32_e32 v9, vcc_hi, v8
	v_xor_b32_e32 v8, vcc_lo, v8
	v_and_b32_e32 v0, v0, v9
	v_and_b32_e32 v48, v48, v8
	v_lshlrev_b32_e32 v9, 29, v47
	v_mov_b32_e32 v8, v1
	v_cmp_gt_i64_e32 vcc, 0, v[8:9]
	v_not_b32_e32 v8, v9
	v_ashrrev_i32_e32 v8, 31, v8
	v_xor_b32_e32 v9, vcc_hi, v8
	v_xor_b32_e32 v8, vcc_lo, v8
	v_and_b32_e32 v0, v0, v9
	v_and_b32_e32 v48, v48, v8
	v_lshlrev_b32_e32 v9, 28, v47
	v_mov_b32_e32 v8, v1
	v_cmp_gt_i64_e32 vcc, 0, v[8:9]
	v_not_b32_e32 v8, v9
	v_ashrrev_i32_e32 v8, 31, v8
	;; [unrolled: 9-line block ×5, first 2 shown]
	v_xor_b32_e32 v9, vcc_hi, v8
	v_xor_b32_e32 v8, vcc_lo, v8
	v_and_b32_e32 v0, v0, v9
	v_lshlrev_b32_e32 v9, 24, v47
	v_and_b32_e32 v48, v48, v8
	v_mov_b32_e32 v8, v1
	v_not_b32_e32 v1, v9
	v_cmp_gt_i64_e32 vcc, 0, v[8:9]
	v_ashrrev_i32_e32 v1, 31, v1
	ds_read_b32 v43, v49 offset:64
	v_xor_b32_e32 v8, vcc_hi, v1
	v_xor_b32_e32 v9, vcc_lo, v1
	v_and_b32_e32 v1, v0, v8
	v_and_b32_e32 v0, v48, v9
	v_mbcnt_lo_u32_b32 v8, v0, 0
	v_mbcnt_hi_u32_b32 v47, v1, v8
	v_cmp_eq_u32_e32 vcc, 0, v47
	v_cmp_ne_u64_e64 s[0:1], 0, v[0:1]
	s_and_b64 s[2:3], s[0:1], vcc
	; wave barrier
	s_and_saveexec_b64 s[0:1], s[2:3]
	s_cbranch_execz .LBB1420_225
; %bb.224:
	v_bcnt_u32_b32 v0, v0, 0
	v_bcnt_u32_b32 v0, v1, v0
	s_waitcnt lgkmcnt(0)
	v_add_u32_e32 v0, v43, v0
	ds_write_b32 v49, v0 offset:64
.LBB1420_225:
	s_or_b64 exec, exec, s[0:1]
	s_waitcnt vmcnt(7)
	v_xor_b32_e32 v34, 0x80000000, v34
	v_lshrrev_b32_e32 v0, s64, v34
	v_and_b32_e32 v50, s13, v0
	s_movk_i32 s2, 0x44
	v_mul_lo_u32 v0, v50, s2
	v_lshl_add_u32 v52, v27, 2, v0
	v_and_b32_e32 v0, 1, v50
	v_mov_b32_e32 v1, 0
	v_lshl_add_u64 v[8:9], v[0:1], 0, -1
	v_cmp_ne_u32_e32 vcc, 0, v0
	; wave barrier
	s_nop 1
	v_xor_b32_e32 v8, vcc_lo, v8
	v_xor_b32_e32 v0, vcc_hi, v9
	v_and_b32_e32 v51, exec_lo, v8
	v_lshlrev_b32_e32 v9, 30, v50
	v_mov_b32_e32 v8, v1
	v_cmp_gt_i64_e32 vcc, 0, v[8:9]
	v_not_b32_e32 v8, v9
	v_ashrrev_i32_e32 v8, 31, v8
	v_and_b32_e32 v0, exec_hi, v0
	v_xor_b32_e32 v9, vcc_hi, v8
	v_xor_b32_e32 v8, vcc_lo, v8
	v_and_b32_e32 v0, v0, v9
	v_and_b32_e32 v51, v51, v8
	v_lshlrev_b32_e32 v9, 29, v50
	v_mov_b32_e32 v8, v1
	v_cmp_gt_i64_e32 vcc, 0, v[8:9]
	v_not_b32_e32 v8, v9
	v_ashrrev_i32_e32 v8, 31, v8
	v_xor_b32_e32 v9, vcc_hi, v8
	v_xor_b32_e32 v8, vcc_lo, v8
	v_and_b32_e32 v0, v0, v9
	v_and_b32_e32 v51, v51, v8
	v_lshlrev_b32_e32 v9, 28, v50
	v_mov_b32_e32 v8, v1
	v_cmp_gt_i64_e32 vcc, 0, v[8:9]
	v_not_b32_e32 v8, v9
	v_ashrrev_i32_e32 v8, 31, v8
	;; [unrolled: 9-line block ×6, first 2 shown]
	v_xor_b32_e32 v9, vcc_hi, v8
	v_xor_b32_e32 v8, vcc_lo, v8
	ds_read_b32 v48, v52 offset:64
	v_and_b32_e32 v8, v51, v8
	v_and_b32_e32 v9, v0, v9
	v_mbcnt_lo_u32_b32 v0, v8, 0
	v_mbcnt_hi_u32_b32 v50, v9, v0
	v_cmp_eq_u32_e32 vcc, 0, v50
	v_cmp_ne_u64_e64 s[0:1], 0, v[8:9]
	s_and_b64 s[4:5], s[0:1], vcc
	; wave barrier
	s_and_saveexec_b64 s[0:1], s[4:5]
	s_cbranch_execz .LBB1420_227
; %bb.226:
	v_bcnt_u32_b32 v0, v8, 0
	v_bcnt_u32_b32 v0, v9, v0
	s_waitcnt lgkmcnt(0)
	v_add_u32_e32 v0, v48, v0
	ds_write_b32 v52, v0 offset:64
.LBB1420_227:
	s_or_b64 exec, exec, s[0:1]
	s_waitcnt vmcnt(6)
	v_xor_b32_e32 v39, 0x80000000, v39
	v_lshrrev_b32_e32 v0, s64, v39
	v_and_b32_e32 v53, s13, v0
	v_mul_lo_u32 v0, v53, s2
	v_lshl_add_u32 v55, v27, 2, v0
	v_and_b32_e32 v0, 1, v53
	v_lshl_add_u64 v[8:9], v[0:1], 0, -1
	v_cmp_ne_u32_e32 vcc, 0, v0
	; wave barrier
	s_nop 1
	v_xor_b32_e32 v8, vcc_lo, v8
	v_xor_b32_e32 v0, vcc_hi, v9
	v_and_b32_e32 v54, exec_lo, v8
	v_lshlrev_b32_e32 v9, 30, v53
	v_mov_b32_e32 v8, v1
	v_cmp_gt_i64_e32 vcc, 0, v[8:9]
	v_not_b32_e32 v8, v9
	v_ashrrev_i32_e32 v8, 31, v8
	v_and_b32_e32 v0, exec_hi, v0
	v_xor_b32_e32 v9, vcc_hi, v8
	v_xor_b32_e32 v8, vcc_lo, v8
	v_and_b32_e32 v0, v0, v9
	v_and_b32_e32 v54, v54, v8
	v_lshlrev_b32_e32 v9, 29, v53
	v_mov_b32_e32 v8, v1
	v_cmp_gt_i64_e32 vcc, 0, v[8:9]
	v_not_b32_e32 v8, v9
	v_ashrrev_i32_e32 v8, 31, v8
	v_xor_b32_e32 v9, vcc_hi, v8
	v_xor_b32_e32 v8, vcc_lo, v8
	v_and_b32_e32 v0, v0, v9
	v_and_b32_e32 v54, v54, v8
	v_lshlrev_b32_e32 v9, 28, v53
	v_mov_b32_e32 v8, v1
	v_cmp_gt_i64_e32 vcc, 0, v[8:9]
	v_not_b32_e32 v8, v9
	v_ashrrev_i32_e32 v8, 31, v8
	;; [unrolled: 9-line block ×5, first 2 shown]
	v_xor_b32_e32 v9, vcc_hi, v8
	v_xor_b32_e32 v8, vcc_lo, v8
	v_and_b32_e32 v0, v0, v9
	v_lshlrev_b32_e32 v9, 24, v53
	v_and_b32_e32 v54, v54, v8
	v_mov_b32_e32 v8, v1
	v_not_b32_e32 v1, v9
	v_cmp_gt_i64_e32 vcc, 0, v[8:9]
	v_ashrrev_i32_e32 v1, 31, v1
	ds_read_b32 v51, v55 offset:64
	v_xor_b32_e32 v8, vcc_hi, v1
	v_xor_b32_e32 v9, vcc_lo, v1
	v_and_b32_e32 v1, v0, v8
	v_and_b32_e32 v0, v54, v9
	v_mbcnt_lo_u32_b32 v8, v0, 0
	v_mbcnt_hi_u32_b32 v53, v1, v8
	v_cmp_eq_u32_e32 vcc, 0, v53
	v_cmp_ne_u64_e64 s[0:1], 0, v[0:1]
	s_and_b64 s[2:3], s[0:1], vcc
	; wave barrier
	s_and_saveexec_b64 s[0:1], s[2:3]
	s_cbranch_execz .LBB1420_229
; %bb.228:
	v_bcnt_u32_b32 v0, v0, 0
	v_bcnt_u32_b32 v0, v1, v0
	s_waitcnt lgkmcnt(0)
	v_add_u32_e32 v0, v51, v0
	ds_write_b32 v55, v0 offset:64
.LBB1420_229:
	s_or_b64 exec, exec, s[0:1]
	s_waitcnt vmcnt(5)
	v_xor_b32_e32 v44, 0x80000000, v44
	v_lshrrev_b32_e32 v0, s64, v44
	v_and_b32_e32 v56, s13, v0
	s_movk_i32 s2, 0x44
	v_mul_lo_u32 v0, v56, s2
	v_lshl_add_u32 v58, v27, 2, v0
	v_and_b32_e32 v0, 1, v56
	v_mov_b32_e32 v1, 0
	v_lshl_add_u64 v[8:9], v[0:1], 0, -1
	v_cmp_ne_u32_e32 vcc, 0, v0
	; wave barrier
	s_nop 1
	v_xor_b32_e32 v8, vcc_lo, v8
	v_xor_b32_e32 v0, vcc_hi, v9
	v_and_b32_e32 v57, exec_lo, v8
	v_lshlrev_b32_e32 v9, 30, v56
	v_mov_b32_e32 v8, v1
	v_cmp_gt_i64_e32 vcc, 0, v[8:9]
	v_not_b32_e32 v8, v9
	v_ashrrev_i32_e32 v8, 31, v8
	v_and_b32_e32 v0, exec_hi, v0
	v_xor_b32_e32 v9, vcc_hi, v8
	v_xor_b32_e32 v8, vcc_lo, v8
	v_and_b32_e32 v0, v0, v9
	v_and_b32_e32 v57, v57, v8
	v_lshlrev_b32_e32 v9, 29, v56
	v_mov_b32_e32 v8, v1
	v_cmp_gt_i64_e32 vcc, 0, v[8:9]
	v_not_b32_e32 v8, v9
	v_ashrrev_i32_e32 v8, 31, v8
	v_xor_b32_e32 v9, vcc_hi, v8
	v_xor_b32_e32 v8, vcc_lo, v8
	v_and_b32_e32 v0, v0, v9
	v_and_b32_e32 v57, v57, v8
	v_lshlrev_b32_e32 v9, 28, v56
	v_mov_b32_e32 v8, v1
	v_cmp_gt_i64_e32 vcc, 0, v[8:9]
	v_not_b32_e32 v8, v9
	v_ashrrev_i32_e32 v8, 31, v8
	;; [unrolled: 9-line block ×6, first 2 shown]
	v_xor_b32_e32 v9, vcc_hi, v8
	v_xor_b32_e32 v8, vcc_lo, v8
	ds_read_b32 v54, v58 offset:64
	v_and_b32_e32 v8, v57, v8
	v_and_b32_e32 v9, v0, v9
	v_mbcnt_lo_u32_b32 v0, v8, 0
	v_mbcnt_hi_u32_b32 v56, v9, v0
	v_cmp_eq_u32_e32 vcc, 0, v56
	v_cmp_ne_u64_e64 s[0:1], 0, v[8:9]
	s_and_b64 s[4:5], s[0:1], vcc
	; wave barrier
	s_and_saveexec_b64 s[0:1], s[4:5]
	s_cbranch_execz .LBB1420_231
; %bb.230:
	v_bcnt_u32_b32 v0, v8, 0
	v_bcnt_u32_b32 v0, v9, v0
	s_waitcnt lgkmcnt(0)
	v_add_u32_e32 v0, v54, v0
	ds_write_b32 v58, v0 offset:64
.LBB1420_231:
	s_or_b64 exec, exec, s[0:1]
	s_waitcnt vmcnt(4)
	v_xor_b32_e32 v45, 0x80000000, v45
	v_lshrrev_b32_e32 v0, s64, v45
	v_and_b32_e32 v59, s13, v0
	v_mul_lo_u32 v0, v59, s2
	v_lshl_add_u32 v62, v27, 2, v0
	v_and_b32_e32 v0, 1, v59
	v_lshl_add_u64 v[8:9], v[0:1], 0, -1
	v_cmp_ne_u32_e32 vcc, 0, v0
	; wave barrier
	s_nop 1
	v_xor_b32_e32 v8, vcc_lo, v8
	v_xor_b32_e32 v0, vcc_hi, v9
	v_and_b32_e32 v60, exec_lo, v8
	v_lshlrev_b32_e32 v9, 30, v59
	v_mov_b32_e32 v8, v1
	v_cmp_gt_i64_e32 vcc, 0, v[8:9]
	v_not_b32_e32 v8, v9
	v_ashrrev_i32_e32 v8, 31, v8
	v_and_b32_e32 v0, exec_hi, v0
	v_xor_b32_e32 v9, vcc_hi, v8
	v_xor_b32_e32 v8, vcc_lo, v8
	v_and_b32_e32 v0, v0, v9
	v_and_b32_e32 v60, v60, v8
	v_lshlrev_b32_e32 v9, 29, v59
	v_mov_b32_e32 v8, v1
	v_cmp_gt_i64_e32 vcc, 0, v[8:9]
	v_not_b32_e32 v8, v9
	v_ashrrev_i32_e32 v8, 31, v8
	v_xor_b32_e32 v9, vcc_hi, v8
	v_xor_b32_e32 v8, vcc_lo, v8
	v_and_b32_e32 v0, v0, v9
	v_and_b32_e32 v60, v60, v8
	v_lshlrev_b32_e32 v9, 28, v59
	v_mov_b32_e32 v8, v1
	v_cmp_gt_i64_e32 vcc, 0, v[8:9]
	v_not_b32_e32 v8, v9
	v_ashrrev_i32_e32 v8, 31, v8
	;; [unrolled: 9-line block ×5, first 2 shown]
	v_xor_b32_e32 v9, vcc_hi, v8
	v_xor_b32_e32 v8, vcc_lo, v8
	v_and_b32_e32 v0, v0, v9
	v_lshlrev_b32_e32 v9, 24, v59
	v_and_b32_e32 v60, v60, v8
	v_mov_b32_e32 v8, v1
	v_not_b32_e32 v1, v9
	v_cmp_gt_i64_e32 vcc, 0, v[8:9]
	v_ashrrev_i32_e32 v1, 31, v1
	ds_read_b32 v57, v62 offset:64
	v_xor_b32_e32 v8, vcc_hi, v1
	v_xor_b32_e32 v9, vcc_lo, v1
	v_and_b32_e32 v1, v0, v8
	v_and_b32_e32 v0, v60, v9
	v_mbcnt_lo_u32_b32 v8, v0, 0
	v_mbcnt_hi_u32_b32 v59, v1, v8
	v_cmp_eq_u32_e32 vcc, 0, v59
	v_cmp_ne_u64_e64 s[0:1], 0, v[0:1]
	s_and_b64 s[2:3], s[0:1], vcc
	; wave barrier
	s_and_saveexec_b64 s[0:1], s[2:3]
	s_cbranch_execz .LBB1420_233
; %bb.232:
	v_bcnt_u32_b32 v0, v0, 0
	v_bcnt_u32_b32 v0, v1, v0
	s_waitcnt lgkmcnt(0)
	v_add_u32_e32 v0, v57, v0
	ds_write_b32 v62, v0 offset:64
.LBB1420_233:
	s_or_b64 exec, exec, s[0:1]
	s_waitcnt vmcnt(3)
	v_xor_b32_e32 v40, 0x80000000, v40
	v_lshrrev_b32_e32 v0, s64, v40
	v_and_b32_e32 v61, s13, v0
	s_movk_i32 s2, 0x44
	v_mul_lo_u32 v0, v61, s2
	v_lshl_add_u32 v65, v27, 2, v0
	v_and_b32_e32 v0, 1, v61
	v_mov_b32_e32 v1, 0
	v_lshl_add_u64 v[8:9], v[0:1], 0, -1
	v_cmp_ne_u32_e32 vcc, 0, v0
	; wave barrier
	s_nop 1
	v_xor_b32_e32 v8, vcc_lo, v8
	v_xor_b32_e32 v0, vcc_hi, v9
	v_and_b32_e32 v63, exec_lo, v8
	v_lshlrev_b32_e32 v9, 30, v61
	v_mov_b32_e32 v8, v1
	v_cmp_gt_i64_e32 vcc, 0, v[8:9]
	v_not_b32_e32 v8, v9
	v_ashrrev_i32_e32 v8, 31, v8
	v_and_b32_e32 v0, exec_hi, v0
	v_xor_b32_e32 v9, vcc_hi, v8
	v_xor_b32_e32 v8, vcc_lo, v8
	v_and_b32_e32 v0, v0, v9
	v_and_b32_e32 v63, v63, v8
	v_lshlrev_b32_e32 v9, 29, v61
	v_mov_b32_e32 v8, v1
	v_cmp_gt_i64_e32 vcc, 0, v[8:9]
	v_not_b32_e32 v8, v9
	v_ashrrev_i32_e32 v8, 31, v8
	v_xor_b32_e32 v9, vcc_hi, v8
	v_xor_b32_e32 v8, vcc_lo, v8
	v_and_b32_e32 v0, v0, v9
	v_and_b32_e32 v63, v63, v8
	v_lshlrev_b32_e32 v9, 28, v61
	v_mov_b32_e32 v8, v1
	v_cmp_gt_i64_e32 vcc, 0, v[8:9]
	v_not_b32_e32 v8, v9
	v_ashrrev_i32_e32 v8, 31, v8
	;; [unrolled: 9-line block ×6, first 2 shown]
	v_xor_b32_e32 v9, vcc_hi, v8
	v_xor_b32_e32 v8, vcc_lo, v8
	ds_read_b32 v60, v65 offset:64
	v_and_b32_e32 v8, v63, v8
	v_and_b32_e32 v9, v0, v9
	v_mbcnt_lo_u32_b32 v0, v8, 0
	v_mbcnt_hi_u32_b32 v63, v9, v0
	v_cmp_eq_u32_e32 vcc, 0, v63
	v_cmp_ne_u64_e64 s[0:1], 0, v[8:9]
	s_and_b64 s[4:5], s[0:1], vcc
	; wave barrier
	s_and_saveexec_b64 s[0:1], s[4:5]
	s_cbranch_execz .LBB1420_235
; %bb.234:
	v_bcnt_u32_b32 v0, v8, 0
	v_bcnt_u32_b32 v0, v9, v0
	s_waitcnt lgkmcnt(0)
	v_add_u32_e32 v0, v60, v0
	ds_write_b32 v65, v0 offset:64
.LBB1420_235:
	s_or_b64 exec, exec, s[0:1]
	s_waitcnt vmcnt(2)
	v_xor_b32_e32 v36, 0x80000000, v36
	v_lshrrev_b32_e32 v0, s64, v36
	v_and_b32_e32 v61, s13, v0
	v_mul_lo_u32 v0, v61, s2
	v_lshl_add_u32 v68, v27, 2, v0
	v_and_b32_e32 v0, 1, v61
	v_lshl_add_u64 v[8:9], v[0:1], 0, -1
	v_cmp_ne_u32_e32 vcc, 0, v0
	; wave barrier
	s_nop 1
	v_xor_b32_e32 v8, vcc_lo, v8
	v_xor_b32_e32 v0, vcc_hi, v9
	v_and_b32_e32 v66, exec_lo, v8
	v_lshlrev_b32_e32 v9, 30, v61
	v_mov_b32_e32 v8, v1
	v_cmp_gt_i64_e32 vcc, 0, v[8:9]
	v_not_b32_e32 v8, v9
	v_ashrrev_i32_e32 v8, 31, v8
	v_and_b32_e32 v0, exec_hi, v0
	v_xor_b32_e32 v9, vcc_hi, v8
	v_xor_b32_e32 v8, vcc_lo, v8
	v_and_b32_e32 v0, v0, v9
	v_and_b32_e32 v66, v66, v8
	v_lshlrev_b32_e32 v9, 29, v61
	v_mov_b32_e32 v8, v1
	v_cmp_gt_i64_e32 vcc, 0, v[8:9]
	v_not_b32_e32 v8, v9
	v_ashrrev_i32_e32 v8, 31, v8
	v_xor_b32_e32 v9, vcc_hi, v8
	v_xor_b32_e32 v8, vcc_lo, v8
	v_and_b32_e32 v0, v0, v9
	v_and_b32_e32 v66, v66, v8
	v_lshlrev_b32_e32 v9, 28, v61
	v_mov_b32_e32 v8, v1
	v_cmp_gt_i64_e32 vcc, 0, v[8:9]
	v_not_b32_e32 v8, v9
	v_ashrrev_i32_e32 v8, 31, v8
	;; [unrolled: 9-line block ×5, first 2 shown]
	v_xor_b32_e32 v9, vcc_hi, v8
	v_xor_b32_e32 v8, vcc_lo, v8
	v_and_b32_e32 v0, v0, v9
	v_lshlrev_b32_e32 v9, 24, v61
	v_and_b32_e32 v66, v66, v8
	v_mov_b32_e32 v8, v1
	v_not_b32_e32 v1, v9
	v_cmp_gt_i64_e32 vcc, 0, v[8:9]
	v_ashrrev_i32_e32 v1, 31, v1
	ds_read_b32 v64, v68 offset:64
	v_xor_b32_e32 v8, vcc_hi, v1
	v_xor_b32_e32 v9, vcc_lo, v1
	v_and_b32_e32 v1, v0, v8
	v_and_b32_e32 v0, v66, v9
	v_mbcnt_lo_u32_b32 v8, v0, 0
	v_mbcnt_hi_u32_b32 v66, v1, v8
	v_cmp_eq_u32_e32 vcc, 0, v66
	v_cmp_ne_u64_e64 s[0:1], 0, v[0:1]
	s_and_b64 s[2:3], s[0:1], vcc
	; wave barrier
	s_and_saveexec_b64 s[0:1], s[2:3]
	s_cbranch_execz .LBB1420_237
; %bb.236:
	v_bcnt_u32_b32 v0, v0, 0
	v_bcnt_u32_b32 v0, v1, v0
	s_waitcnt lgkmcnt(0)
	v_add_u32_e32 v0, v64, v0
	ds_write_b32 v68, v0 offset:64
.LBB1420_237:
	s_or_b64 exec, exec, s[0:1]
	s_waitcnt vmcnt(1)
	v_xor_b32_e32 v31, 0x80000000, v31
	v_lshrrev_b32_e32 v0, s64, v31
	v_and_b32_e32 v61, s13, v0
	s_movk_i32 s2, 0x44
	v_mul_lo_u32 v0, v61, s2
	v_lshl_add_u32 v70, v27, 2, v0
	v_and_b32_e32 v0, 1, v61
	v_mov_b32_e32 v1, 0
	v_lshl_add_u64 v[8:9], v[0:1], 0, -1
	v_cmp_ne_u32_e32 vcc, 0, v0
	; wave barrier
	s_nop 1
	v_xor_b32_e32 v8, vcc_lo, v8
	v_xor_b32_e32 v0, vcc_hi, v9
	v_and_b32_e32 v69, exec_lo, v8
	v_lshlrev_b32_e32 v9, 30, v61
	v_mov_b32_e32 v8, v1
	v_cmp_gt_i64_e32 vcc, 0, v[8:9]
	v_not_b32_e32 v8, v9
	v_ashrrev_i32_e32 v8, 31, v8
	v_and_b32_e32 v0, exec_hi, v0
	v_xor_b32_e32 v9, vcc_hi, v8
	v_xor_b32_e32 v8, vcc_lo, v8
	v_and_b32_e32 v0, v0, v9
	v_and_b32_e32 v69, v69, v8
	v_lshlrev_b32_e32 v9, 29, v61
	v_mov_b32_e32 v8, v1
	v_cmp_gt_i64_e32 vcc, 0, v[8:9]
	v_not_b32_e32 v8, v9
	v_ashrrev_i32_e32 v8, 31, v8
	v_xor_b32_e32 v9, vcc_hi, v8
	v_xor_b32_e32 v8, vcc_lo, v8
	v_and_b32_e32 v0, v0, v9
	v_and_b32_e32 v69, v69, v8
	v_lshlrev_b32_e32 v9, 28, v61
	v_mov_b32_e32 v8, v1
	v_cmp_gt_i64_e32 vcc, 0, v[8:9]
	v_not_b32_e32 v8, v9
	v_ashrrev_i32_e32 v8, 31, v8
	;; [unrolled: 9-line block ×6, first 2 shown]
	v_xor_b32_e32 v9, vcc_hi, v8
	v_xor_b32_e32 v8, vcc_lo, v8
	ds_read_b32 v67, v70 offset:64
	v_and_b32_e32 v8, v69, v8
	v_and_b32_e32 v9, v0, v9
	v_mbcnt_lo_u32_b32 v0, v8, 0
	v_mbcnt_hi_u32_b32 v69, v9, v0
	v_cmp_eq_u32_e32 vcc, 0, v69
	v_cmp_ne_u64_e64 s[0:1], 0, v[8:9]
	s_and_b64 s[4:5], s[0:1], vcc
	; wave barrier
	s_and_saveexec_b64 s[0:1], s[4:5]
	s_cbranch_execz .LBB1420_239
; %bb.238:
	v_bcnt_u32_b32 v0, v8, 0
	v_bcnt_u32_b32 v0, v9, v0
	s_waitcnt lgkmcnt(0)
	v_add_u32_e32 v0, v67, v0
	ds_write_b32 v70, v0 offset:64
.LBB1420_239:
	s_or_b64 exec, exec, s[0:1]
	s_waitcnt vmcnt(0)
	v_xor_b32_e32 v61, 0x80000000, v25
	v_lshrrev_b32_e32 v0, s64, v61
	v_and_b32_e32 v25, s13, v0
	v_mul_lo_u32 v0, v25, s2
	v_lshl_add_u32 v72, v27, 2, v0
	v_and_b32_e32 v0, 1, v25
	v_lshl_add_u64 v[8:9], v[0:1], 0, -1
	v_cmp_ne_u32_e32 vcc, 0, v0
	; wave barrier
	s_nop 1
	v_xor_b32_e32 v8, vcc_lo, v8
	v_xor_b32_e32 v0, vcc_hi, v9
	v_and_b32_e32 v71, exec_lo, v8
	v_lshlrev_b32_e32 v9, 30, v25
	v_mov_b32_e32 v8, v1
	v_cmp_gt_i64_e32 vcc, 0, v[8:9]
	v_not_b32_e32 v8, v9
	v_ashrrev_i32_e32 v8, 31, v8
	v_and_b32_e32 v0, exec_hi, v0
	v_xor_b32_e32 v9, vcc_hi, v8
	v_xor_b32_e32 v8, vcc_lo, v8
	v_and_b32_e32 v0, v0, v9
	v_and_b32_e32 v71, v71, v8
	v_lshlrev_b32_e32 v9, 29, v25
	v_mov_b32_e32 v8, v1
	v_cmp_gt_i64_e32 vcc, 0, v[8:9]
	v_not_b32_e32 v8, v9
	v_ashrrev_i32_e32 v8, 31, v8
	v_xor_b32_e32 v9, vcc_hi, v8
	v_xor_b32_e32 v8, vcc_lo, v8
	v_and_b32_e32 v0, v0, v9
	v_and_b32_e32 v71, v71, v8
	v_lshlrev_b32_e32 v9, 28, v25
	v_mov_b32_e32 v8, v1
	v_cmp_gt_i64_e32 vcc, 0, v[8:9]
	v_not_b32_e32 v8, v9
	v_ashrrev_i32_e32 v8, 31, v8
	;; [unrolled: 9-line block ×5, first 2 shown]
	v_xor_b32_e32 v9, vcc_hi, v8
	v_xor_b32_e32 v8, vcc_lo, v8
	v_and_b32_e32 v0, v0, v9
	v_lshlrev_b32_e32 v9, 24, v25
	v_and_b32_e32 v71, v71, v8
	v_mov_b32_e32 v8, v1
	v_not_b32_e32 v1, v9
	v_cmp_gt_i64_e32 vcc, 0, v[8:9]
	v_ashrrev_i32_e32 v1, 31, v1
	ds_read_b32 v27, v72 offset:64
	v_xor_b32_e32 v8, vcc_hi, v1
	v_xor_b32_e32 v9, vcc_lo, v1
	v_and_b32_e32 v1, v0, v8
	v_and_b32_e32 v0, v71, v9
	v_mbcnt_lo_u32_b32 v8, v0, 0
	v_mbcnt_hi_u32_b32 v71, v1, v8
	v_cmp_eq_u32_e32 vcc, 0, v71
	v_cmp_ne_u64_e64 s[0:1], 0, v[0:1]
	s_and_b64 s[2:3], s[0:1], vcc
	; wave barrier
	s_and_saveexec_b64 s[0:1], s[2:3]
	s_cbranch_execz .LBB1420_241
; %bb.240:
	v_bcnt_u32_b32 v0, v0, 0
	v_bcnt_u32_b32 v0, v1, v0
	s_waitcnt lgkmcnt(0)
	v_add_u32_e32 v0, v27, v0
	ds_write_b32 v72, v0 offset:64
.LBB1420_241:
	s_or_b64 exec, exec, s[0:1]
	; wave barrier
	s_waitcnt lgkmcnt(0)
	s_barrier
	ds_read2_b32 v[8:9], v11 offset0:16 offset1:17
	ds_read2_b32 v[0:1], v11 offset0:18 offset1:19
	ds_read_b32 v25, v11 offset:80
	v_cmp_lt_u32_e64 s[2:3], 31, v10
	s_waitcnt lgkmcnt(1)
	v_add3_u32 v73, v9, v8, v0
	s_waitcnt lgkmcnt(0)
	v_add3_u32 v25, v73, v1, v25
	v_and_b32_e32 v73, 15, v10
	v_cmp_eq_u32_e32 vcc, 0, v73
	v_mov_b32_dpp v74, v25 row_shr:1 row_mask:0xf bank_mask:0xf
	v_cmp_lt_u32_e64 s[0:1], 1, v73
	v_cndmask_b32_e64 v74, v74, 0, vcc
	v_add_u32_e32 v25, v74, v25
	v_cmp_lt_u32_e64 s[4:5], 3, v73
	v_cmp_lt_u32_e64 s[6:7], 7, v73
	v_mov_b32_dpp v74, v25 row_shr:2 row_mask:0xf bank_mask:0xf
	v_cndmask_b32_e64 v74, 0, v74, s[0:1]
	v_add_u32_e32 v25, v25, v74
	s_nop 1
	v_mov_b32_dpp v74, v25 row_shr:4 row_mask:0xf bank_mask:0xf
	v_cndmask_b32_e64 v74, 0, v74, s[4:5]
	v_add_u32_e32 v25, v25, v74
	s_nop 1
	v_mov_b32_dpp v74, v25 row_shr:8 row_mask:0xf bank_mask:0xf
	v_cndmask_b32_e64 v73, 0, v74, s[6:7]
	v_add_u32_e32 v25, v25, v73
	v_bfe_i32 v74, v10, 4, 1
	s_nop 0
	v_mov_b32_dpp v73, v25 row_bcast:15 row_mask:0xf bank_mask:0xf
	v_and_b32_e32 v73, v74, v73
	v_add_u32_e32 v25, v25, v73
	v_lshrrev_b32_e32 v74, 6, v2
	s_nop 0
	v_mov_b32_dpp v73, v25 row_bcast:31 row_mask:0xf bank_mask:0xf
	v_cndmask_b32_e64 v73, 0, v73, s[2:3]
	v_add_u32_e32 v73, v25, v73
	v_and_b32_e32 v25, 63, v2
	v_cmp_eq_u32_e64 s[2:3], 63, v25
	s_and_saveexec_b64 s[10:11], s[2:3]
; %bb.242:
	v_lshlrev_b32_e32 v25, 2, v74
	ds_write_b32 v25, v73
; %bb.243:
	s_or_b64 exec, exec, s[10:11]
	v_cmp_gt_u32_e64 s[2:3], 16, v2
	v_lshlrev_b32_e32 v25, 2, v2
	s_waitcnt lgkmcnt(0)
	s_barrier
	s_and_saveexec_b64 s[10:11], s[2:3]
	s_cbranch_execz .LBB1420_245
; %bb.244:
	ds_read_b32 v75, v25
	s_waitcnt lgkmcnt(0)
	s_nop 0
	v_mov_b32_dpp v76, v75 row_shr:1 row_mask:0xf bank_mask:0xf
	v_cndmask_b32_e64 v76, v76, 0, vcc
	v_add_u32_e32 v75, v76, v75
	s_nop 1
	v_mov_b32_dpp v76, v75 row_shr:2 row_mask:0xf bank_mask:0xf
	v_cndmask_b32_e64 v76, 0, v76, s[0:1]
	v_add_u32_e32 v75, v75, v76
	s_nop 1
	v_mov_b32_dpp v76, v75 row_shr:4 row_mask:0xf bank_mask:0xf
	v_cndmask_b32_e64 v76, 0, v76, s[4:5]
	;; [unrolled: 4-line block ×3, first 2 shown]
	v_add_u32_e32 v75, v75, v76
	ds_write_b32 v25, v75
.LBB1420_245:
	s_or_b64 exec, exec, s[10:11]
	v_cmp_lt_u32_e32 vcc, 63, v2
	v_mov_b32_e32 v75, 0
	s_waitcnt lgkmcnt(0)
	s_barrier
	s_and_saveexec_b64 s[0:1], vcc
; %bb.246:
	v_lshl_add_u32 v74, v74, 2, -4
	ds_read_b32 v75, v74
; %bb.247:
	s_or_b64 exec, exec, s[0:1]
	v_subrev_co_u32_e32 v74, vcc, 1, v10
	v_and_b32_e32 v76, 64, v10
	v_cmp_lt_i32_e64 s[0:1], v74, v76
	s_waitcnt lgkmcnt(0)
	v_add_u32_e32 v73, v75, v73
	s_movk_i32 s2, 0x100
	v_cndmask_b32_e64 v10, v74, v10, s[0:1]
	v_lshlrev_b32_e32 v10, 2, v10
	ds_bpermute_b32 v10, v10, v73
	s_movk_i32 s0, 0xff
	s_waitcnt lgkmcnt(0)
	v_cndmask_b32_e32 v10, v10, v75, vcc
	v_cndmask_b32_e64 v10, v10, 0, s[44:45]
	v_add_u32_e32 v8, v10, v8
	v_add_u32_e32 v9, v8, v9
	;; [unrolled: 1-line block ×4, first 2 shown]
	ds_write2_b32 v11, v10, v8 offset0:16 offset1:17
	ds_write2_b32 v11, v9, v0 offset0:18 offset1:19
	ds_write_b32 v11, v1 offset:80
	s_waitcnt lgkmcnt(0)
	s_barrier
	ds_read_b32 v81, v18 offset:64
	ds_read_b32 v73, v21 offset:64
	;; [unrolled: 1-line block ×16, first 2 shown]
	v_cmp_lt_u32_e32 vcc, s0, v2
	v_cmp_gt_u32_e64 s[0:1], s2, v2
                                        ; implicit-def: $vgpr18
                                        ; implicit-def: $vgpr21
	s_and_saveexec_b64 s[4:5], s[0:1]
	s_cbranch_execz .LBB1420_251
; %bb.248:
	v_mul_u32_u24_e32 v0, 0x44, v2
	ds_read_b32 v18, v0 offset:64
	v_add_u32_e32 v1, 1, v2
	v_cmp_ne_u32_e64 s[2:3], s2, v1
	v_mov_b32_e32 v0, 0x4000
	s_and_saveexec_b64 s[6:7], s[2:3]
; %bb.249:
	v_mul_u32_u24_e32 v0, 0x44, v1
	ds_read_b32 v0, v0 offset:64
; %bb.250:
	s_or_b64 exec, exec, s[6:7]
	s_waitcnt lgkmcnt(0)
	v_sub_u32_e32 v21, v0, v18
.LBB1420_251:
	s_or_b64 exec, exec, s[4:5]
	v_mov_b32_e32 v1, 0
	s_waitcnt lgkmcnt(0)
	s_barrier
	s_and_saveexec_b64 s[2:3], s[0:1]
	s_cbranch_execz .LBB1420_261
; %bb.252:
	v_lshl_add_u32 v0, s33, 8, v2
	v_lshl_add_u64 v[8:9], v[0:1], 2, s[68:69]
	v_or_b32_e32 v0, 2.0, v21
	s_mov_b64 s[4:5], 0
	s_brev_b32 s14, -4
	s_mov_b32 s15, s33
	v_mov_b32_e32 v49, 0
	global_store_dword v[8:9], v0, off sc1
                                        ; implicit-def: $sgpr0_sgpr1
	s_branch .LBB1420_255
.LBB1420_253:                           ;   in Loop: Header=BB1420_255 Depth=1
	s_or_b64 exec, exec, s[10:11]
.LBB1420_254:                           ;   in Loop: Header=BB1420_255 Depth=1
	s_or_b64 exec, exec, s[6:7]
	v_and_b32_e32 v10, 0x3fffffff, v0
	v_add_u32_e32 v49, v10, v49
	v_cmp_gt_i32_e64 s[0:1], -2.0, v0
	s_and_b64 s[6:7], exec, s[0:1]
	s_or_b64 s[4:5], s[6:7], s[4:5]
	s_andn2_b64 exec, exec, s[4:5]
	s_cbranch_execz .LBB1420_260
.LBB1420_255:                           ; =>This Loop Header: Depth=1
                                        ;     Child Loop BB1420_258 Depth 2
	s_or_b64 s[0:1], s[0:1], exec
	s_cmp_eq_u32 s15, 0
	s_cbranch_scc1 .LBB1420_259
; %bb.256:                              ;   in Loop: Header=BB1420_255 Depth=1
	s_add_i32 s15, s15, -1
	v_lshl_or_b32 v0, s15, 8, v2
	v_lshl_add_u64 v[10:11], v[0:1], 2, s[68:69]
	global_load_dword v0, v[10:11], off sc1
	s_waitcnt vmcnt(0)
	v_cmp_gt_u32_e64 s[0:1], 2.0, v0
	s_and_saveexec_b64 s[6:7], s[0:1]
	s_cbranch_execz .LBB1420_254
; %bb.257:                              ;   in Loop: Header=BB1420_255 Depth=1
	s_mov_b64 s[10:11], 0
.LBB1420_258:                           ;   Parent Loop BB1420_255 Depth=1
                                        ; =>  This Inner Loop Header: Depth=2
	global_load_dword v0, v[10:11], off sc1
	s_waitcnt vmcnt(0)
	v_cmp_lt_u32_e64 s[0:1], s14, v0
	s_or_b64 s[10:11], s[0:1], s[10:11]
	s_andn2_b64 exec, exec, s[10:11]
	s_cbranch_execnz .LBB1420_258
	s_branch .LBB1420_253
.LBB1420_259:                           ;   in Loop: Header=BB1420_255 Depth=1
                                        ; implicit-def: $sgpr15
	s_and_b64 s[6:7], exec, s[0:1]
	s_or_b64 s[4:5], s[6:7], s[4:5]
	s_andn2_b64 exec, exec, s[4:5]
	s_cbranch_execnz .LBB1420_255
.LBB1420_260:
	s_or_b64 exec, exec, s[4:5]
	v_add_u32_e32 v0, v49, v21
	v_or_b32_e32 v0, 0x80000000, v0
	global_store_dword v[8:9], v0, off sc1
	global_load_dword v0, v25, s[60:61]
	v_sub_u32_e32 v1, v49, v18
	s_waitcnt vmcnt(0)
	v_add_u32_e32 v0, v1, v0
	ds_write_b32 v25, v0
.LBB1420_261:
	s_or_b64 exec, exec, s[2:3]
	v_add_u32_e32 v8, v81, v14
	v_add3_u32 v0, v16, v13, v73
	v_add3_u32 v1, v20, v17, v74
	;; [unrolled: 1-line block ×15, first 2 shown]
	v_mov_b32_e32 v85, 0x400
	s_mov_b32 s4, s64
	s_mov_b32 s5, s13
	s_movk_i32 s6, 0x400
	v_lshl_add_u32 v9, v9, 2, v85
	v_add3_u32 v10, v71, v41, v27
	v_lshl_add_u32 v11, v11, 2, v85
	v_add3_u32 v14, v69, v26, v67
	v_lshl_add_u32 v26, v84, 2, v85
	v_add3_u32 v27, v66, v32, v64
	v_lshl_add_u32 v32, v83, 2, v85
	v_add3_u32 v37, v63, v37, v60
	v_lshl_add_u32 v41, v82, 2, v85
	v_add3_u32 v46, v59, v46, v57
	v_lshl_add_u32 v49, v49, 2, v85
	v_add3_u32 v52, v56, v52, v54
	v_lshl_add_u32 v54, v81, 2, v85
	v_add3_u32 v51, v53, v55, v51
	v_lshl_add_u32 v53, v72, 2, v85
	v_add3_u32 v48, v50, v80, v48
	v_lshl_add_u32 v50, v70, 2, v85
	v_add3_u32 v43, v47, v79, v43
	v_lshl_add_u32 v47, v68, 2, v85
	v_add3_u32 v38, v42, v78, v38
	v_lshl_add_u32 v42, v65, 2, v85
	v_add3_u32 v33, v35, v77, v33
	v_lshl_add_u32 v35, v62, 2, v85
	v_add3_u32 v28, v30, v76, v28
	v_lshl_add_u32 v30, v58, 2, v85
	v_add3_u32 v22, v24, v75, v22
	v_lshl_add_u32 v24, v1, 2, v85
	v_add3_u32 v17, v20, v74, v17
	v_lshl_add_u32 v20, v0, 2, v85
	v_add3_u32 v13, v16, v73, v13
	v_lshl_add_u32 v16, v8, 2, v85
	s_mov_b32 s7, 0
	s_mov_b32 s10, 0
	s_movk_i32 s11, 0x1000
	v_mov_b32_e32 v1, 0
	s_movk_i32 s14, 0x800
	s_movk_i32 s15, 0xc00
	v_mov_b32_e32 v55, v2
	s_mov_b32 s16, 0
	s_branch .LBB1420_263
.LBB1420_262:                           ;   in Loop: Header=BB1420_263 Depth=1
	s_or_b64 exec, exec, s[2:3]
	s_waitcnt lgkmcnt(0)
	s_barrier
	ds_read2st64_b32 v[56:57], v25 offset0:4 offset1:20
	ds_read2st64_b32 v[62:63], v25 offset0:36 offset1:52
	s_addk_i32 s16, 0xc000
	s_addk_i32 s10, 0xf000
	s_waitcnt lgkmcnt(1)
	v_xor_b32_e32 v60, 0x80000000, v56
	v_lshrrev_b32_e32 v56, s64, v56
	v_lshrrev_b32_e32 v0, s4, v57
	v_and_b32_e32 v56, s13, v56
	v_xor_b32_e32 v66, 0x80000000, v57
	v_and_b32_e32 v57, s5, v0
	v_lshlrev_b32_e32 v0, 2, v56
	ds_read_b32 v0, v0
	s_waitcnt lgkmcnt(1)
	v_lshrrev_b32_e32 v58, s4, v63
	v_lshrrev_b32_e32 v65, s64, v62
	v_and_b32_e32 v59, s5, v58
	v_lshlrev_b32_e32 v64, 2, v57
	v_and_b32_e32 v58, s13, v65
	v_lshlrev_b32_e32 v67, 2, v59
	v_lshlrev_b32_e32 v65, 2, v58
	ds_read_b32 v68, v64
	ds_read_b32 v69, v65
	ds_read_b32 v67, v67
	s_waitcnt lgkmcnt(3)
	v_add_u32_e32 v0, v55, v0
	v_lshl_add_u64 v[64:65], v[0:1], 2, s[54:55]
	s_waitcnt lgkmcnt(2)
	v_add3_u32 v0, v55, v68, s6
	global_store_dword v[64:65], v60, off
	v_lshl_add_u64 v[64:65], v[0:1], 2, s[54:55]
	s_waitcnt lgkmcnt(1)
	v_add3_u32 v0, v55, v69, s14
	global_store_dword v[64:65], v66, off
	v_xor_b32_e32 v60, 0x80000000, v62
	v_xor_b32_e32 v64, 0x80000000, v63
	v_lshl_add_u64 v[62:63], v[0:1], 2, s[54:55]
	s_waitcnt lgkmcnt(0)
	v_add3_u32 v0, v55, v67, s15
	global_store_dword v[62:63], v60, off
	v_lshl_add_u64 v[62:63], v[0:1], 2, s[54:55]
	global_store_dword v[62:63], v64, off
	scratch_store_dwordx4 off, v[56:59], s7
	s_add_i32 s7, s7, 16
	s_cmp_eq_u32 s16, 0xffff0000
	v_add_u32_e32 v55, 0x1000, v55
	s_barrier
	s_cbranch_scc1 .LBB1420_295
.LBB1420_263:                           ; =>This Inner Loop Header: Depth=1
	v_add_u32_e32 v0, s10, v8
	v_cmp_gt_u32_e64 s[0:1], s11, v0
	s_and_saveexec_b64 s[2:3], s[0:1]
; %bb.264:                              ;   in Loop: Header=BB1420_263 Depth=1
	v_add_u32_e32 v0, s16, v16
	ds_write_b32 v0, v3
; %bb.265:                              ;   in Loop: Header=BB1420_263 Depth=1
	s_or_b64 exec, exec, s[2:3]
	v_add_u32_e32 v0, s10, v13
	v_cmp_gt_u32_e64 s[0:1], s11, v0
	s_and_saveexec_b64 s[2:3], s[0:1]
; %bb.266:                              ;   in Loop: Header=BB1420_263 Depth=1
	v_add_u32_e32 v0, s16, v20
	ds_write_b32 v0, v5
; %bb.267:                              ;   in Loop: Header=BB1420_263 Depth=1
	s_or_b64 exec, exec, s[2:3]
	;; [unrolled: 8-line block ×15, first 2 shown]
	v_add_u32_e32 v0, s10, v10
	v_cmp_gt_u32_e64 s[0:1], s11, v0
	s_and_saveexec_b64 s[2:3], s[0:1]
	s_cbranch_execz .LBB1420_262
; %bb.294:                              ;   in Loop: Header=BB1420_263 Depth=1
	v_add_u32_e32 v0, s16, v9
	ds_write_b32 v0, v61
	s_branch .LBB1420_262
.LBB1420_295:
	s_add_u32 s0, s56, s8
	s_addc_u32 s1, s57, s9
	v_mov_b32_e32 v5, 0
	v_lshl_add_u64 v[0:1], s[0:1], 0, v[4:5]
	v_mov_b32_e32 v7, v5
	v_lshl_add_u64 v[44:45], v[0:1], 0, v[6:7]
	global_load_dword v0, v[44:45], off
	global_load_dword v1, v[44:45], off offset:256
	global_load_dword v3, v[44:45], off offset:512
	;; [unrolled: 1-line block ×14, first 2 shown]
	s_nop 0
	global_load_dword v44, v[44:45], off offset:3840
	s_mov_b32 s4, 0
	s_mov_b32 s5, 0
	s_movk_i32 s6, 0x1000
	s_movk_i32 s7, 0x400
	;; [unrolled: 1-line block ×4, first 2 shown]
	s_mov_b32 s10, 0
	s_branch .LBB1420_297
.LBB1420_296:                           ;   in Loop: Header=BB1420_297 Depth=1
	s_or_b64 exec, exec, s[2:3]
	s_waitcnt lgkmcnt(0)
	s_barrier
	scratch_load_dwordx4 v[56:59], off, s4
	ds_read2st64_b32 v[60:61], v25 offset0:4 offset1:20
	ds_read2st64_b32 v[62:63], v25 offset0:36 offset1:52
	s_addk_i32 s10, 0xc000
	s_addk_i32 s5, 0xf000
	s_add_i32 s4, s4, 16
	s_cmp_eq_u32 s10, 0xffff0000
	s_waitcnt vmcnt(0)
	v_lshlrev_b32_e32 v4, 2, v56
	ds_read_b32 v4, v4
	v_lshlrev_b32_e32 v45, 2, v57
	v_lshlrev_b32_e32 v55, 2, v58
	;; [unrolled: 1-line block ×3, first 2 shown]
	ds_read_b32 v45, v45
	ds_read_b32 v55, v55
	ds_read_b32 v58, v56
	s_waitcnt lgkmcnt(3)
	v_add_u32_e32 v4, v2, v4
	v_lshl_add_u64 v[56:57], v[4:5], 2, s[58:59]
	s_waitcnt lgkmcnt(2)
	v_add3_u32 v4, v2, v45, s7
	global_store_dword v[56:57], v60, off
	v_lshl_add_u64 v[56:57], v[4:5], 2, s[58:59]
	s_waitcnt lgkmcnt(1)
	v_add3_u32 v4, v2, v55, s8
	global_store_dword v[56:57], v61, off
	;; [unrolled: 4-line block ×3, first 2 shown]
	v_lshl_add_u64 v[56:57], v[4:5], 2, s[58:59]
	v_add_u32_e32 v2, 0x1000, v2
	global_store_dword v[56:57], v63, off
	s_barrier
	s_cbranch_scc1 .LBB1420_329
.LBB1420_297:                           ; =>This Inner Loop Header: Depth=1
	v_add_u32_e32 v4, s5, v8
	v_cmp_gt_u32_e64 s[0:1], s6, v4
	s_and_saveexec_b64 s[2:3], s[0:1]
	s_cbranch_execz .LBB1420_299
; %bb.298:                              ;   in Loop: Header=BB1420_297 Depth=1
	v_add_u32_e32 v4, s10, v16
	s_waitcnt vmcnt(15)
	ds_write_b32 v4, v0
.LBB1420_299:                           ;   in Loop: Header=BB1420_297 Depth=1
	s_or_b64 exec, exec, s[2:3]
	v_add_u32_e32 v4, s5, v13
	v_cmp_gt_u32_e64 s[0:1], s6, v4
	s_and_saveexec_b64 s[2:3], s[0:1]
	s_cbranch_execz .LBB1420_301
; %bb.300:                              ;   in Loop: Header=BB1420_297 Depth=1
	v_add_u32_e32 v4, s10, v20
	s_waitcnt vmcnt(14)
	ds_write_b32 v4, v1
.LBB1420_301:                           ;   in Loop: Header=BB1420_297 Depth=1
	s_or_b64 exec, exec, s[2:3]
	v_add_u32_e32 v4, s5, v17
	v_cmp_gt_u32_e64 s[0:1], s6, v4
	s_and_saveexec_b64 s[2:3], s[0:1]
	s_cbranch_execz .LBB1420_303
; %bb.302:                              ;   in Loop: Header=BB1420_297 Depth=1
	v_add_u32_e32 v4, s10, v24
	s_waitcnt vmcnt(13)
	ds_write_b32 v4, v3
.LBB1420_303:                           ;   in Loop: Header=BB1420_297 Depth=1
	s_or_b64 exec, exec, s[2:3]
	v_add_u32_e32 v4, s5, v22
	v_cmp_gt_u32_e64 s[0:1], s6, v4
	s_and_saveexec_b64 s[2:3], s[0:1]
	s_cbranch_execz .LBB1420_305
; %bb.304:                              ;   in Loop: Header=BB1420_297 Depth=1
	v_add_u32_e32 v4, s10, v30
	s_waitcnt vmcnt(12)
	ds_write_b32 v4, v6
.LBB1420_305:                           ;   in Loop: Header=BB1420_297 Depth=1
	s_or_b64 exec, exec, s[2:3]
	v_add_u32_e32 v4, s5, v28
	v_cmp_gt_u32_e64 s[0:1], s6, v4
	s_and_saveexec_b64 s[2:3], s[0:1]
	s_cbranch_execz .LBB1420_307
; %bb.306:                              ;   in Loop: Header=BB1420_297 Depth=1
	v_add_u32_e32 v4, s10, v35
	s_waitcnt vmcnt(11)
	ds_write_b32 v4, v7
.LBB1420_307:                           ;   in Loop: Header=BB1420_297 Depth=1
	s_or_b64 exec, exec, s[2:3]
	v_add_u32_e32 v4, s5, v33
	v_cmp_gt_u32_e64 s[0:1], s6, v4
	s_and_saveexec_b64 s[2:3], s[0:1]
	s_cbranch_execz .LBB1420_309
; %bb.308:                              ;   in Loop: Header=BB1420_297 Depth=1
	v_add_u32_e32 v4, s10, v42
	s_waitcnt vmcnt(10)
	ds_write_b32 v4, v12
.LBB1420_309:                           ;   in Loop: Header=BB1420_297 Depth=1
	s_or_b64 exec, exec, s[2:3]
	v_add_u32_e32 v4, s5, v38
	v_cmp_gt_u32_e64 s[0:1], s6, v4
	s_and_saveexec_b64 s[2:3], s[0:1]
	s_cbranch_execz .LBB1420_311
; %bb.310:                              ;   in Loop: Header=BB1420_297 Depth=1
	v_add_u32_e32 v4, s10, v47
	s_waitcnt vmcnt(9)
	ds_write_b32 v4, v15
.LBB1420_311:                           ;   in Loop: Header=BB1420_297 Depth=1
	s_or_b64 exec, exec, s[2:3]
	v_add_u32_e32 v4, s5, v43
	v_cmp_gt_u32_e64 s[0:1], s6, v4
	s_and_saveexec_b64 s[2:3], s[0:1]
	s_cbranch_execz .LBB1420_313
; %bb.312:                              ;   in Loop: Header=BB1420_297 Depth=1
	v_add_u32_e32 v4, s10, v50
	s_waitcnt vmcnt(8)
	ds_write_b32 v4, v19
.LBB1420_313:                           ;   in Loop: Header=BB1420_297 Depth=1
	s_or_b64 exec, exec, s[2:3]
	v_add_u32_e32 v4, s5, v48
	v_cmp_gt_u32_e64 s[0:1], s6, v4
	s_and_saveexec_b64 s[2:3], s[0:1]
	s_cbranch_execz .LBB1420_315
; %bb.314:                              ;   in Loop: Header=BB1420_297 Depth=1
	v_add_u32_e32 v4, s10, v53
	s_waitcnt vmcnt(7)
	ds_write_b32 v4, v23
.LBB1420_315:                           ;   in Loop: Header=BB1420_297 Depth=1
	s_or_b64 exec, exec, s[2:3]
	v_add_u32_e32 v4, s5, v51
	v_cmp_gt_u32_e64 s[0:1], s6, v4
	s_and_saveexec_b64 s[2:3], s[0:1]
	s_cbranch_execz .LBB1420_317
; %bb.316:                              ;   in Loop: Header=BB1420_297 Depth=1
	v_add_u32_e32 v4, s10, v54
	s_waitcnt vmcnt(6)
	ds_write_b32 v4, v29
.LBB1420_317:                           ;   in Loop: Header=BB1420_297 Depth=1
	s_or_b64 exec, exec, s[2:3]
	v_add_u32_e32 v4, s5, v52
	v_cmp_gt_u32_e64 s[0:1], s6, v4
	s_and_saveexec_b64 s[2:3], s[0:1]
	s_cbranch_execz .LBB1420_319
; %bb.318:                              ;   in Loop: Header=BB1420_297 Depth=1
	v_add_u32_e32 v4, s10, v49
	s_waitcnt vmcnt(5)
	ds_write_b32 v4, v31
.LBB1420_319:                           ;   in Loop: Header=BB1420_297 Depth=1
	s_or_b64 exec, exec, s[2:3]
	v_add_u32_e32 v4, s5, v46
	v_cmp_gt_u32_e64 s[0:1], s6, v4
	s_and_saveexec_b64 s[2:3], s[0:1]
	s_cbranch_execz .LBB1420_321
; %bb.320:                              ;   in Loop: Header=BB1420_297 Depth=1
	v_add_u32_e32 v4, s10, v41
	s_waitcnt vmcnt(4)
	ds_write_b32 v4, v34
.LBB1420_321:                           ;   in Loop: Header=BB1420_297 Depth=1
	s_or_b64 exec, exec, s[2:3]
	v_add_u32_e32 v4, s5, v37
	v_cmp_gt_u32_e64 s[0:1], s6, v4
	s_and_saveexec_b64 s[2:3], s[0:1]
	s_cbranch_execz .LBB1420_323
; %bb.322:                              ;   in Loop: Header=BB1420_297 Depth=1
	v_add_u32_e32 v4, s10, v32
	s_waitcnt vmcnt(3)
	ds_write_b32 v4, v36
.LBB1420_323:                           ;   in Loop: Header=BB1420_297 Depth=1
	s_or_b64 exec, exec, s[2:3]
	v_add_u32_e32 v4, s5, v27
	v_cmp_gt_u32_e64 s[0:1], s6, v4
	s_and_saveexec_b64 s[2:3], s[0:1]
	s_cbranch_execz .LBB1420_325
; %bb.324:                              ;   in Loop: Header=BB1420_297 Depth=1
	v_add_u32_e32 v4, s10, v26
	s_waitcnt vmcnt(2)
	ds_write_b32 v4, v39
.LBB1420_325:                           ;   in Loop: Header=BB1420_297 Depth=1
	s_or_b64 exec, exec, s[2:3]
	v_add_u32_e32 v4, s5, v14
	v_cmp_gt_u32_e64 s[0:1], s6, v4
	s_and_saveexec_b64 s[2:3], s[0:1]
	s_cbranch_execz .LBB1420_327
; %bb.326:                              ;   in Loop: Header=BB1420_297 Depth=1
	v_add_u32_e32 v4, s10, v11
	s_waitcnt vmcnt(1)
	ds_write_b32 v4, v40
.LBB1420_327:                           ;   in Loop: Header=BB1420_297 Depth=1
	s_or_b64 exec, exec, s[2:3]
	v_add_u32_e32 v4, s5, v10
	v_cmp_gt_u32_e64 s[0:1], s6, v4
	s_and_saveexec_b64 s[2:3], s[0:1]
	s_cbranch_execz .LBB1420_296
; %bb.328:                              ;   in Loop: Header=BB1420_297 Depth=1
	v_add_u32_e32 v4, s10, v9
	s_waitcnt vmcnt(0)
	ds_write_b32 v4, v44
	s_branch .LBB1420_296
.LBB1420_329:
	s_add_i32 s12, s12, -1
	s_cmp_eq_u32 s33, s12
	s_cselect_b64 s[0:1], -1, 0
	s_xor_b64 s[2:3], vcc, -1
	s_and_b64 s[0:1], s[2:3], s[0:1]
	s_and_saveexec_b64 s[2:3], s[0:1]
	s_cbranch_execz .LBB1420_331
; %bb.330:
	ds_read_b32 v0, v25
	s_waitcnt lgkmcnt(0)
	v_add3_u32 v0, v18, v21, v0
	global_store_dword v25, v0, s[62:63]
.LBB1420_331:
	s_endpgm
	.section	.rodata,"a",@progbits
	.p2align	6, 0x0
	.amdhsa_kernel _ZN7rocprim17ROCPRIM_400000_NS6detail17trampoline_kernelINS0_14default_configENS1_35radix_sort_onesweep_config_selectorIiiEEZZNS1_29radix_sort_onesweep_iterationIS3_Lb0EN6thrust23THRUST_200600_302600_NS6detail15normal_iteratorINS8_10device_ptrIiEEEESD_SD_SD_jNS0_19identity_decomposerENS1_16block_id_wrapperIjLb1EEEEE10hipError_tT1_PNSt15iterator_traitsISI_E10value_typeET2_T3_PNSJ_ISO_E10value_typeET4_T5_PST_SU_PNS1_23onesweep_lookback_stateEbbT6_jjT7_P12ihipStream_tbENKUlT_T0_SI_SN_E_clISD_SD_SD_SD_EEDaS11_S12_SI_SN_EUlS11_E_NS1_11comp_targetILNS1_3genE6ELNS1_11target_archE950ELNS1_3gpuE13ELNS1_3repE0EEENS1_47radix_sort_onesweep_sort_config_static_selectorELNS0_4arch9wavefront6targetE1EEEvSI_
		.amdhsa_group_segment_fixed_size 20552
		.amdhsa_private_segment_fixed_size 80
		.amdhsa_kernarg_size 344
		.amdhsa_user_sgpr_count 2
		.amdhsa_user_sgpr_dispatch_ptr 0
		.amdhsa_user_sgpr_queue_ptr 0
		.amdhsa_user_sgpr_kernarg_segment_ptr 1
		.amdhsa_user_sgpr_dispatch_id 0
		.amdhsa_user_sgpr_kernarg_preload_length 0
		.amdhsa_user_sgpr_kernarg_preload_offset 0
		.amdhsa_user_sgpr_private_segment_size 0
		.amdhsa_uses_dynamic_stack 0
		.amdhsa_enable_private_segment 1
		.amdhsa_system_sgpr_workgroup_id_x 1
		.amdhsa_system_sgpr_workgroup_id_y 0
		.amdhsa_system_sgpr_workgroup_id_z 0
		.amdhsa_system_sgpr_workgroup_info 0
		.amdhsa_system_vgpr_workitem_id 2
		.amdhsa_next_free_vgpr 89
		.amdhsa_next_free_sgpr 73
		.amdhsa_accum_offset 92
		.amdhsa_reserve_vcc 1
		.amdhsa_float_round_mode_32 0
		.amdhsa_float_round_mode_16_64 0
		.amdhsa_float_denorm_mode_32 3
		.amdhsa_float_denorm_mode_16_64 3
		.amdhsa_dx10_clamp 1
		.amdhsa_ieee_mode 1
		.amdhsa_fp16_overflow 0
		.amdhsa_tg_split 0
		.amdhsa_exception_fp_ieee_invalid_op 0
		.amdhsa_exception_fp_denorm_src 0
		.amdhsa_exception_fp_ieee_div_zero 0
		.amdhsa_exception_fp_ieee_overflow 0
		.amdhsa_exception_fp_ieee_underflow 0
		.amdhsa_exception_fp_ieee_inexact 0
		.amdhsa_exception_int_div_zero 0
	.end_amdhsa_kernel
	.section	.text._ZN7rocprim17ROCPRIM_400000_NS6detail17trampoline_kernelINS0_14default_configENS1_35radix_sort_onesweep_config_selectorIiiEEZZNS1_29radix_sort_onesweep_iterationIS3_Lb0EN6thrust23THRUST_200600_302600_NS6detail15normal_iteratorINS8_10device_ptrIiEEEESD_SD_SD_jNS0_19identity_decomposerENS1_16block_id_wrapperIjLb1EEEEE10hipError_tT1_PNSt15iterator_traitsISI_E10value_typeET2_T3_PNSJ_ISO_E10value_typeET4_T5_PST_SU_PNS1_23onesweep_lookback_stateEbbT6_jjT7_P12ihipStream_tbENKUlT_T0_SI_SN_E_clISD_SD_SD_SD_EEDaS11_S12_SI_SN_EUlS11_E_NS1_11comp_targetILNS1_3genE6ELNS1_11target_archE950ELNS1_3gpuE13ELNS1_3repE0EEENS1_47radix_sort_onesweep_sort_config_static_selectorELNS0_4arch9wavefront6targetE1EEEvSI_,"axG",@progbits,_ZN7rocprim17ROCPRIM_400000_NS6detail17trampoline_kernelINS0_14default_configENS1_35radix_sort_onesweep_config_selectorIiiEEZZNS1_29radix_sort_onesweep_iterationIS3_Lb0EN6thrust23THRUST_200600_302600_NS6detail15normal_iteratorINS8_10device_ptrIiEEEESD_SD_SD_jNS0_19identity_decomposerENS1_16block_id_wrapperIjLb1EEEEE10hipError_tT1_PNSt15iterator_traitsISI_E10value_typeET2_T3_PNSJ_ISO_E10value_typeET4_T5_PST_SU_PNS1_23onesweep_lookback_stateEbbT6_jjT7_P12ihipStream_tbENKUlT_T0_SI_SN_E_clISD_SD_SD_SD_EEDaS11_S12_SI_SN_EUlS11_E_NS1_11comp_targetILNS1_3genE6ELNS1_11target_archE950ELNS1_3gpuE13ELNS1_3repE0EEENS1_47radix_sort_onesweep_sort_config_static_selectorELNS0_4arch9wavefront6targetE1EEEvSI_,comdat
.Lfunc_end1420:
	.size	_ZN7rocprim17ROCPRIM_400000_NS6detail17trampoline_kernelINS0_14default_configENS1_35radix_sort_onesweep_config_selectorIiiEEZZNS1_29radix_sort_onesweep_iterationIS3_Lb0EN6thrust23THRUST_200600_302600_NS6detail15normal_iteratorINS8_10device_ptrIiEEEESD_SD_SD_jNS0_19identity_decomposerENS1_16block_id_wrapperIjLb1EEEEE10hipError_tT1_PNSt15iterator_traitsISI_E10value_typeET2_T3_PNSJ_ISO_E10value_typeET4_T5_PST_SU_PNS1_23onesweep_lookback_stateEbbT6_jjT7_P12ihipStream_tbENKUlT_T0_SI_SN_E_clISD_SD_SD_SD_EEDaS11_S12_SI_SN_EUlS11_E_NS1_11comp_targetILNS1_3genE6ELNS1_11target_archE950ELNS1_3gpuE13ELNS1_3repE0EEENS1_47radix_sort_onesweep_sort_config_static_selectorELNS0_4arch9wavefront6targetE1EEEvSI_, .Lfunc_end1420-_ZN7rocprim17ROCPRIM_400000_NS6detail17trampoline_kernelINS0_14default_configENS1_35radix_sort_onesweep_config_selectorIiiEEZZNS1_29radix_sort_onesweep_iterationIS3_Lb0EN6thrust23THRUST_200600_302600_NS6detail15normal_iteratorINS8_10device_ptrIiEEEESD_SD_SD_jNS0_19identity_decomposerENS1_16block_id_wrapperIjLb1EEEEE10hipError_tT1_PNSt15iterator_traitsISI_E10value_typeET2_T3_PNSJ_ISO_E10value_typeET4_T5_PST_SU_PNS1_23onesweep_lookback_stateEbbT6_jjT7_P12ihipStream_tbENKUlT_T0_SI_SN_E_clISD_SD_SD_SD_EEDaS11_S12_SI_SN_EUlS11_E_NS1_11comp_targetILNS1_3genE6ELNS1_11target_archE950ELNS1_3gpuE13ELNS1_3repE0EEENS1_47radix_sort_onesweep_sort_config_static_selectorELNS0_4arch9wavefront6targetE1EEEvSI_
                                        ; -- End function
	.set _ZN7rocprim17ROCPRIM_400000_NS6detail17trampoline_kernelINS0_14default_configENS1_35radix_sort_onesweep_config_selectorIiiEEZZNS1_29radix_sort_onesweep_iterationIS3_Lb0EN6thrust23THRUST_200600_302600_NS6detail15normal_iteratorINS8_10device_ptrIiEEEESD_SD_SD_jNS0_19identity_decomposerENS1_16block_id_wrapperIjLb1EEEEE10hipError_tT1_PNSt15iterator_traitsISI_E10value_typeET2_T3_PNSJ_ISO_E10value_typeET4_T5_PST_SU_PNS1_23onesweep_lookback_stateEbbT6_jjT7_P12ihipStream_tbENKUlT_T0_SI_SN_E_clISD_SD_SD_SD_EEDaS11_S12_SI_SN_EUlS11_E_NS1_11comp_targetILNS1_3genE6ELNS1_11target_archE950ELNS1_3gpuE13ELNS1_3repE0EEENS1_47radix_sort_onesweep_sort_config_static_selectorELNS0_4arch9wavefront6targetE1EEEvSI_.num_vgpr, 89
	.set _ZN7rocprim17ROCPRIM_400000_NS6detail17trampoline_kernelINS0_14default_configENS1_35radix_sort_onesweep_config_selectorIiiEEZZNS1_29radix_sort_onesweep_iterationIS3_Lb0EN6thrust23THRUST_200600_302600_NS6detail15normal_iteratorINS8_10device_ptrIiEEEESD_SD_SD_jNS0_19identity_decomposerENS1_16block_id_wrapperIjLb1EEEEE10hipError_tT1_PNSt15iterator_traitsISI_E10value_typeET2_T3_PNSJ_ISO_E10value_typeET4_T5_PST_SU_PNS1_23onesweep_lookback_stateEbbT6_jjT7_P12ihipStream_tbENKUlT_T0_SI_SN_E_clISD_SD_SD_SD_EEDaS11_S12_SI_SN_EUlS11_E_NS1_11comp_targetILNS1_3genE6ELNS1_11target_archE950ELNS1_3gpuE13ELNS1_3repE0EEENS1_47radix_sort_onesweep_sort_config_static_selectorELNS0_4arch9wavefront6targetE1EEEvSI_.num_agpr, 0
	.set _ZN7rocprim17ROCPRIM_400000_NS6detail17trampoline_kernelINS0_14default_configENS1_35radix_sort_onesweep_config_selectorIiiEEZZNS1_29radix_sort_onesweep_iterationIS3_Lb0EN6thrust23THRUST_200600_302600_NS6detail15normal_iteratorINS8_10device_ptrIiEEEESD_SD_SD_jNS0_19identity_decomposerENS1_16block_id_wrapperIjLb1EEEEE10hipError_tT1_PNSt15iterator_traitsISI_E10value_typeET2_T3_PNSJ_ISO_E10value_typeET4_T5_PST_SU_PNS1_23onesweep_lookback_stateEbbT6_jjT7_P12ihipStream_tbENKUlT_T0_SI_SN_E_clISD_SD_SD_SD_EEDaS11_S12_SI_SN_EUlS11_E_NS1_11comp_targetILNS1_3genE6ELNS1_11target_archE950ELNS1_3gpuE13ELNS1_3repE0EEENS1_47radix_sort_onesweep_sort_config_static_selectorELNS0_4arch9wavefront6targetE1EEEvSI_.numbered_sgpr, 73
	.set _ZN7rocprim17ROCPRIM_400000_NS6detail17trampoline_kernelINS0_14default_configENS1_35radix_sort_onesweep_config_selectorIiiEEZZNS1_29radix_sort_onesweep_iterationIS3_Lb0EN6thrust23THRUST_200600_302600_NS6detail15normal_iteratorINS8_10device_ptrIiEEEESD_SD_SD_jNS0_19identity_decomposerENS1_16block_id_wrapperIjLb1EEEEE10hipError_tT1_PNSt15iterator_traitsISI_E10value_typeET2_T3_PNSJ_ISO_E10value_typeET4_T5_PST_SU_PNS1_23onesweep_lookback_stateEbbT6_jjT7_P12ihipStream_tbENKUlT_T0_SI_SN_E_clISD_SD_SD_SD_EEDaS11_S12_SI_SN_EUlS11_E_NS1_11comp_targetILNS1_3genE6ELNS1_11target_archE950ELNS1_3gpuE13ELNS1_3repE0EEENS1_47radix_sort_onesweep_sort_config_static_selectorELNS0_4arch9wavefront6targetE1EEEvSI_.num_named_barrier, 0
	.set _ZN7rocprim17ROCPRIM_400000_NS6detail17trampoline_kernelINS0_14default_configENS1_35radix_sort_onesweep_config_selectorIiiEEZZNS1_29radix_sort_onesweep_iterationIS3_Lb0EN6thrust23THRUST_200600_302600_NS6detail15normal_iteratorINS8_10device_ptrIiEEEESD_SD_SD_jNS0_19identity_decomposerENS1_16block_id_wrapperIjLb1EEEEE10hipError_tT1_PNSt15iterator_traitsISI_E10value_typeET2_T3_PNSJ_ISO_E10value_typeET4_T5_PST_SU_PNS1_23onesweep_lookback_stateEbbT6_jjT7_P12ihipStream_tbENKUlT_T0_SI_SN_E_clISD_SD_SD_SD_EEDaS11_S12_SI_SN_EUlS11_E_NS1_11comp_targetILNS1_3genE6ELNS1_11target_archE950ELNS1_3gpuE13ELNS1_3repE0EEENS1_47radix_sort_onesweep_sort_config_static_selectorELNS0_4arch9wavefront6targetE1EEEvSI_.private_seg_size, 80
	.set _ZN7rocprim17ROCPRIM_400000_NS6detail17trampoline_kernelINS0_14default_configENS1_35radix_sort_onesweep_config_selectorIiiEEZZNS1_29radix_sort_onesweep_iterationIS3_Lb0EN6thrust23THRUST_200600_302600_NS6detail15normal_iteratorINS8_10device_ptrIiEEEESD_SD_SD_jNS0_19identity_decomposerENS1_16block_id_wrapperIjLb1EEEEE10hipError_tT1_PNSt15iterator_traitsISI_E10value_typeET2_T3_PNSJ_ISO_E10value_typeET4_T5_PST_SU_PNS1_23onesweep_lookback_stateEbbT6_jjT7_P12ihipStream_tbENKUlT_T0_SI_SN_E_clISD_SD_SD_SD_EEDaS11_S12_SI_SN_EUlS11_E_NS1_11comp_targetILNS1_3genE6ELNS1_11target_archE950ELNS1_3gpuE13ELNS1_3repE0EEENS1_47radix_sort_onesweep_sort_config_static_selectorELNS0_4arch9wavefront6targetE1EEEvSI_.uses_vcc, 1
	.set _ZN7rocprim17ROCPRIM_400000_NS6detail17trampoline_kernelINS0_14default_configENS1_35radix_sort_onesweep_config_selectorIiiEEZZNS1_29radix_sort_onesweep_iterationIS3_Lb0EN6thrust23THRUST_200600_302600_NS6detail15normal_iteratorINS8_10device_ptrIiEEEESD_SD_SD_jNS0_19identity_decomposerENS1_16block_id_wrapperIjLb1EEEEE10hipError_tT1_PNSt15iterator_traitsISI_E10value_typeET2_T3_PNSJ_ISO_E10value_typeET4_T5_PST_SU_PNS1_23onesweep_lookback_stateEbbT6_jjT7_P12ihipStream_tbENKUlT_T0_SI_SN_E_clISD_SD_SD_SD_EEDaS11_S12_SI_SN_EUlS11_E_NS1_11comp_targetILNS1_3genE6ELNS1_11target_archE950ELNS1_3gpuE13ELNS1_3repE0EEENS1_47radix_sort_onesweep_sort_config_static_selectorELNS0_4arch9wavefront6targetE1EEEvSI_.uses_flat_scratch, 0
	.set _ZN7rocprim17ROCPRIM_400000_NS6detail17trampoline_kernelINS0_14default_configENS1_35radix_sort_onesweep_config_selectorIiiEEZZNS1_29radix_sort_onesweep_iterationIS3_Lb0EN6thrust23THRUST_200600_302600_NS6detail15normal_iteratorINS8_10device_ptrIiEEEESD_SD_SD_jNS0_19identity_decomposerENS1_16block_id_wrapperIjLb1EEEEE10hipError_tT1_PNSt15iterator_traitsISI_E10value_typeET2_T3_PNSJ_ISO_E10value_typeET4_T5_PST_SU_PNS1_23onesweep_lookback_stateEbbT6_jjT7_P12ihipStream_tbENKUlT_T0_SI_SN_E_clISD_SD_SD_SD_EEDaS11_S12_SI_SN_EUlS11_E_NS1_11comp_targetILNS1_3genE6ELNS1_11target_archE950ELNS1_3gpuE13ELNS1_3repE0EEENS1_47radix_sort_onesweep_sort_config_static_selectorELNS0_4arch9wavefront6targetE1EEEvSI_.has_dyn_sized_stack, 0
	.set _ZN7rocprim17ROCPRIM_400000_NS6detail17trampoline_kernelINS0_14default_configENS1_35radix_sort_onesweep_config_selectorIiiEEZZNS1_29radix_sort_onesweep_iterationIS3_Lb0EN6thrust23THRUST_200600_302600_NS6detail15normal_iteratorINS8_10device_ptrIiEEEESD_SD_SD_jNS0_19identity_decomposerENS1_16block_id_wrapperIjLb1EEEEE10hipError_tT1_PNSt15iterator_traitsISI_E10value_typeET2_T3_PNSJ_ISO_E10value_typeET4_T5_PST_SU_PNS1_23onesweep_lookback_stateEbbT6_jjT7_P12ihipStream_tbENKUlT_T0_SI_SN_E_clISD_SD_SD_SD_EEDaS11_S12_SI_SN_EUlS11_E_NS1_11comp_targetILNS1_3genE6ELNS1_11target_archE950ELNS1_3gpuE13ELNS1_3repE0EEENS1_47radix_sort_onesweep_sort_config_static_selectorELNS0_4arch9wavefront6targetE1EEEvSI_.has_recursion, 0
	.set _ZN7rocprim17ROCPRIM_400000_NS6detail17trampoline_kernelINS0_14default_configENS1_35radix_sort_onesweep_config_selectorIiiEEZZNS1_29radix_sort_onesweep_iterationIS3_Lb0EN6thrust23THRUST_200600_302600_NS6detail15normal_iteratorINS8_10device_ptrIiEEEESD_SD_SD_jNS0_19identity_decomposerENS1_16block_id_wrapperIjLb1EEEEE10hipError_tT1_PNSt15iterator_traitsISI_E10value_typeET2_T3_PNSJ_ISO_E10value_typeET4_T5_PST_SU_PNS1_23onesweep_lookback_stateEbbT6_jjT7_P12ihipStream_tbENKUlT_T0_SI_SN_E_clISD_SD_SD_SD_EEDaS11_S12_SI_SN_EUlS11_E_NS1_11comp_targetILNS1_3genE6ELNS1_11target_archE950ELNS1_3gpuE13ELNS1_3repE0EEENS1_47radix_sort_onesweep_sort_config_static_selectorELNS0_4arch9wavefront6targetE1EEEvSI_.has_indirect_call, 0
	.section	.AMDGPU.csdata,"",@progbits
; Kernel info:
; codeLenInByte = 22700
; TotalNumSgprs: 79
; NumVgprs: 89
; NumAgprs: 0
; TotalNumVgprs: 89
; ScratchSize: 80
; MemoryBound: 0
; FloatMode: 240
; IeeeMode: 1
; LDSByteSize: 20552 bytes/workgroup (compile time only)
; SGPRBlocks: 9
; VGPRBlocks: 11
; NumSGPRsForWavesPerEU: 79
; NumVGPRsForWavesPerEU: 89
; AccumOffset: 92
; Occupancy: 5
; WaveLimiterHint : 1
; COMPUTE_PGM_RSRC2:SCRATCH_EN: 1
; COMPUTE_PGM_RSRC2:USER_SGPR: 2
; COMPUTE_PGM_RSRC2:TRAP_HANDLER: 0
; COMPUTE_PGM_RSRC2:TGID_X_EN: 1
; COMPUTE_PGM_RSRC2:TGID_Y_EN: 0
; COMPUTE_PGM_RSRC2:TGID_Z_EN: 0
; COMPUTE_PGM_RSRC2:TIDIG_COMP_CNT: 2
; COMPUTE_PGM_RSRC3_GFX90A:ACCUM_OFFSET: 22
; COMPUTE_PGM_RSRC3_GFX90A:TG_SPLIT: 0
	.section	.text._ZN7rocprim17ROCPRIM_400000_NS6detail17trampoline_kernelINS0_14default_configENS1_35radix_sort_onesweep_config_selectorIiiEEZZNS1_29radix_sort_onesweep_iterationIS3_Lb0EN6thrust23THRUST_200600_302600_NS6detail15normal_iteratorINS8_10device_ptrIiEEEESD_SD_SD_jNS0_19identity_decomposerENS1_16block_id_wrapperIjLb1EEEEE10hipError_tT1_PNSt15iterator_traitsISI_E10value_typeET2_T3_PNSJ_ISO_E10value_typeET4_T5_PST_SU_PNS1_23onesweep_lookback_stateEbbT6_jjT7_P12ihipStream_tbENKUlT_T0_SI_SN_E_clISD_SD_SD_SD_EEDaS11_S12_SI_SN_EUlS11_E_NS1_11comp_targetILNS1_3genE5ELNS1_11target_archE942ELNS1_3gpuE9ELNS1_3repE0EEENS1_47radix_sort_onesweep_sort_config_static_selectorELNS0_4arch9wavefront6targetE1EEEvSI_,"axG",@progbits,_ZN7rocprim17ROCPRIM_400000_NS6detail17trampoline_kernelINS0_14default_configENS1_35radix_sort_onesweep_config_selectorIiiEEZZNS1_29radix_sort_onesweep_iterationIS3_Lb0EN6thrust23THRUST_200600_302600_NS6detail15normal_iteratorINS8_10device_ptrIiEEEESD_SD_SD_jNS0_19identity_decomposerENS1_16block_id_wrapperIjLb1EEEEE10hipError_tT1_PNSt15iterator_traitsISI_E10value_typeET2_T3_PNSJ_ISO_E10value_typeET4_T5_PST_SU_PNS1_23onesweep_lookback_stateEbbT6_jjT7_P12ihipStream_tbENKUlT_T0_SI_SN_E_clISD_SD_SD_SD_EEDaS11_S12_SI_SN_EUlS11_E_NS1_11comp_targetILNS1_3genE5ELNS1_11target_archE942ELNS1_3gpuE9ELNS1_3repE0EEENS1_47radix_sort_onesweep_sort_config_static_selectorELNS0_4arch9wavefront6targetE1EEEvSI_,comdat
	.protected	_ZN7rocprim17ROCPRIM_400000_NS6detail17trampoline_kernelINS0_14default_configENS1_35radix_sort_onesweep_config_selectorIiiEEZZNS1_29radix_sort_onesweep_iterationIS3_Lb0EN6thrust23THRUST_200600_302600_NS6detail15normal_iteratorINS8_10device_ptrIiEEEESD_SD_SD_jNS0_19identity_decomposerENS1_16block_id_wrapperIjLb1EEEEE10hipError_tT1_PNSt15iterator_traitsISI_E10value_typeET2_T3_PNSJ_ISO_E10value_typeET4_T5_PST_SU_PNS1_23onesweep_lookback_stateEbbT6_jjT7_P12ihipStream_tbENKUlT_T0_SI_SN_E_clISD_SD_SD_SD_EEDaS11_S12_SI_SN_EUlS11_E_NS1_11comp_targetILNS1_3genE5ELNS1_11target_archE942ELNS1_3gpuE9ELNS1_3repE0EEENS1_47radix_sort_onesweep_sort_config_static_selectorELNS0_4arch9wavefront6targetE1EEEvSI_ ; -- Begin function _ZN7rocprim17ROCPRIM_400000_NS6detail17trampoline_kernelINS0_14default_configENS1_35radix_sort_onesweep_config_selectorIiiEEZZNS1_29radix_sort_onesweep_iterationIS3_Lb0EN6thrust23THRUST_200600_302600_NS6detail15normal_iteratorINS8_10device_ptrIiEEEESD_SD_SD_jNS0_19identity_decomposerENS1_16block_id_wrapperIjLb1EEEEE10hipError_tT1_PNSt15iterator_traitsISI_E10value_typeET2_T3_PNSJ_ISO_E10value_typeET4_T5_PST_SU_PNS1_23onesweep_lookback_stateEbbT6_jjT7_P12ihipStream_tbENKUlT_T0_SI_SN_E_clISD_SD_SD_SD_EEDaS11_S12_SI_SN_EUlS11_E_NS1_11comp_targetILNS1_3genE5ELNS1_11target_archE942ELNS1_3gpuE9ELNS1_3repE0EEENS1_47radix_sort_onesweep_sort_config_static_selectorELNS0_4arch9wavefront6targetE1EEEvSI_
	.globl	_ZN7rocprim17ROCPRIM_400000_NS6detail17trampoline_kernelINS0_14default_configENS1_35radix_sort_onesweep_config_selectorIiiEEZZNS1_29radix_sort_onesweep_iterationIS3_Lb0EN6thrust23THRUST_200600_302600_NS6detail15normal_iteratorINS8_10device_ptrIiEEEESD_SD_SD_jNS0_19identity_decomposerENS1_16block_id_wrapperIjLb1EEEEE10hipError_tT1_PNSt15iterator_traitsISI_E10value_typeET2_T3_PNSJ_ISO_E10value_typeET4_T5_PST_SU_PNS1_23onesweep_lookback_stateEbbT6_jjT7_P12ihipStream_tbENKUlT_T0_SI_SN_E_clISD_SD_SD_SD_EEDaS11_S12_SI_SN_EUlS11_E_NS1_11comp_targetILNS1_3genE5ELNS1_11target_archE942ELNS1_3gpuE9ELNS1_3repE0EEENS1_47radix_sort_onesweep_sort_config_static_selectorELNS0_4arch9wavefront6targetE1EEEvSI_
	.p2align	8
	.type	_ZN7rocprim17ROCPRIM_400000_NS6detail17trampoline_kernelINS0_14default_configENS1_35radix_sort_onesweep_config_selectorIiiEEZZNS1_29radix_sort_onesweep_iterationIS3_Lb0EN6thrust23THRUST_200600_302600_NS6detail15normal_iteratorINS8_10device_ptrIiEEEESD_SD_SD_jNS0_19identity_decomposerENS1_16block_id_wrapperIjLb1EEEEE10hipError_tT1_PNSt15iterator_traitsISI_E10value_typeET2_T3_PNSJ_ISO_E10value_typeET4_T5_PST_SU_PNS1_23onesweep_lookback_stateEbbT6_jjT7_P12ihipStream_tbENKUlT_T0_SI_SN_E_clISD_SD_SD_SD_EEDaS11_S12_SI_SN_EUlS11_E_NS1_11comp_targetILNS1_3genE5ELNS1_11target_archE942ELNS1_3gpuE9ELNS1_3repE0EEENS1_47radix_sort_onesweep_sort_config_static_selectorELNS0_4arch9wavefront6targetE1EEEvSI_,@function
_ZN7rocprim17ROCPRIM_400000_NS6detail17trampoline_kernelINS0_14default_configENS1_35radix_sort_onesweep_config_selectorIiiEEZZNS1_29radix_sort_onesweep_iterationIS3_Lb0EN6thrust23THRUST_200600_302600_NS6detail15normal_iteratorINS8_10device_ptrIiEEEESD_SD_SD_jNS0_19identity_decomposerENS1_16block_id_wrapperIjLb1EEEEE10hipError_tT1_PNSt15iterator_traitsISI_E10value_typeET2_T3_PNSJ_ISO_E10value_typeET4_T5_PST_SU_PNS1_23onesweep_lookback_stateEbbT6_jjT7_P12ihipStream_tbENKUlT_T0_SI_SN_E_clISD_SD_SD_SD_EEDaS11_S12_SI_SN_EUlS11_E_NS1_11comp_targetILNS1_3genE5ELNS1_11target_archE942ELNS1_3gpuE9ELNS1_3repE0EEENS1_47radix_sort_onesweep_sort_config_static_selectorELNS0_4arch9wavefront6targetE1EEEvSI_: ; @_ZN7rocprim17ROCPRIM_400000_NS6detail17trampoline_kernelINS0_14default_configENS1_35radix_sort_onesweep_config_selectorIiiEEZZNS1_29radix_sort_onesweep_iterationIS3_Lb0EN6thrust23THRUST_200600_302600_NS6detail15normal_iteratorINS8_10device_ptrIiEEEESD_SD_SD_jNS0_19identity_decomposerENS1_16block_id_wrapperIjLb1EEEEE10hipError_tT1_PNSt15iterator_traitsISI_E10value_typeET2_T3_PNSJ_ISO_E10value_typeET4_T5_PST_SU_PNS1_23onesweep_lookback_stateEbbT6_jjT7_P12ihipStream_tbENKUlT_T0_SI_SN_E_clISD_SD_SD_SD_EEDaS11_S12_SI_SN_EUlS11_E_NS1_11comp_targetILNS1_3genE5ELNS1_11target_archE942ELNS1_3gpuE9ELNS1_3repE0EEENS1_47radix_sort_onesweep_sort_config_static_selectorELNS0_4arch9wavefront6targetE1EEEvSI_
; %bb.0:
	.section	.rodata,"a",@progbits
	.p2align	6, 0x0
	.amdhsa_kernel _ZN7rocprim17ROCPRIM_400000_NS6detail17trampoline_kernelINS0_14default_configENS1_35radix_sort_onesweep_config_selectorIiiEEZZNS1_29radix_sort_onesweep_iterationIS3_Lb0EN6thrust23THRUST_200600_302600_NS6detail15normal_iteratorINS8_10device_ptrIiEEEESD_SD_SD_jNS0_19identity_decomposerENS1_16block_id_wrapperIjLb1EEEEE10hipError_tT1_PNSt15iterator_traitsISI_E10value_typeET2_T3_PNSJ_ISO_E10value_typeET4_T5_PST_SU_PNS1_23onesweep_lookback_stateEbbT6_jjT7_P12ihipStream_tbENKUlT_T0_SI_SN_E_clISD_SD_SD_SD_EEDaS11_S12_SI_SN_EUlS11_E_NS1_11comp_targetILNS1_3genE5ELNS1_11target_archE942ELNS1_3gpuE9ELNS1_3repE0EEENS1_47radix_sort_onesweep_sort_config_static_selectorELNS0_4arch9wavefront6targetE1EEEvSI_
		.amdhsa_group_segment_fixed_size 0
		.amdhsa_private_segment_fixed_size 0
		.amdhsa_kernarg_size 88
		.amdhsa_user_sgpr_count 2
		.amdhsa_user_sgpr_dispatch_ptr 0
		.amdhsa_user_sgpr_queue_ptr 0
		.amdhsa_user_sgpr_kernarg_segment_ptr 1
		.amdhsa_user_sgpr_dispatch_id 0
		.amdhsa_user_sgpr_kernarg_preload_length 0
		.amdhsa_user_sgpr_kernarg_preload_offset 0
		.amdhsa_user_sgpr_private_segment_size 0
		.amdhsa_uses_dynamic_stack 0
		.amdhsa_enable_private_segment 0
		.amdhsa_system_sgpr_workgroup_id_x 1
		.amdhsa_system_sgpr_workgroup_id_y 0
		.amdhsa_system_sgpr_workgroup_id_z 0
		.amdhsa_system_sgpr_workgroup_info 0
		.amdhsa_system_vgpr_workitem_id 0
		.amdhsa_next_free_vgpr 1
		.amdhsa_next_free_sgpr 0
		.amdhsa_accum_offset 4
		.amdhsa_reserve_vcc 0
		.amdhsa_float_round_mode_32 0
		.amdhsa_float_round_mode_16_64 0
		.amdhsa_float_denorm_mode_32 3
		.amdhsa_float_denorm_mode_16_64 3
		.amdhsa_dx10_clamp 1
		.amdhsa_ieee_mode 1
		.amdhsa_fp16_overflow 0
		.amdhsa_tg_split 0
		.amdhsa_exception_fp_ieee_invalid_op 0
		.amdhsa_exception_fp_denorm_src 0
		.amdhsa_exception_fp_ieee_div_zero 0
		.amdhsa_exception_fp_ieee_overflow 0
		.amdhsa_exception_fp_ieee_underflow 0
		.amdhsa_exception_fp_ieee_inexact 0
		.amdhsa_exception_int_div_zero 0
	.end_amdhsa_kernel
	.section	.text._ZN7rocprim17ROCPRIM_400000_NS6detail17trampoline_kernelINS0_14default_configENS1_35radix_sort_onesweep_config_selectorIiiEEZZNS1_29radix_sort_onesweep_iterationIS3_Lb0EN6thrust23THRUST_200600_302600_NS6detail15normal_iteratorINS8_10device_ptrIiEEEESD_SD_SD_jNS0_19identity_decomposerENS1_16block_id_wrapperIjLb1EEEEE10hipError_tT1_PNSt15iterator_traitsISI_E10value_typeET2_T3_PNSJ_ISO_E10value_typeET4_T5_PST_SU_PNS1_23onesweep_lookback_stateEbbT6_jjT7_P12ihipStream_tbENKUlT_T0_SI_SN_E_clISD_SD_SD_SD_EEDaS11_S12_SI_SN_EUlS11_E_NS1_11comp_targetILNS1_3genE5ELNS1_11target_archE942ELNS1_3gpuE9ELNS1_3repE0EEENS1_47radix_sort_onesweep_sort_config_static_selectorELNS0_4arch9wavefront6targetE1EEEvSI_,"axG",@progbits,_ZN7rocprim17ROCPRIM_400000_NS6detail17trampoline_kernelINS0_14default_configENS1_35radix_sort_onesweep_config_selectorIiiEEZZNS1_29radix_sort_onesweep_iterationIS3_Lb0EN6thrust23THRUST_200600_302600_NS6detail15normal_iteratorINS8_10device_ptrIiEEEESD_SD_SD_jNS0_19identity_decomposerENS1_16block_id_wrapperIjLb1EEEEE10hipError_tT1_PNSt15iterator_traitsISI_E10value_typeET2_T3_PNSJ_ISO_E10value_typeET4_T5_PST_SU_PNS1_23onesweep_lookback_stateEbbT6_jjT7_P12ihipStream_tbENKUlT_T0_SI_SN_E_clISD_SD_SD_SD_EEDaS11_S12_SI_SN_EUlS11_E_NS1_11comp_targetILNS1_3genE5ELNS1_11target_archE942ELNS1_3gpuE9ELNS1_3repE0EEENS1_47radix_sort_onesweep_sort_config_static_selectorELNS0_4arch9wavefront6targetE1EEEvSI_,comdat
.Lfunc_end1421:
	.size	_ZN7rocprim17ROCPRIM_400000_NS6detail17trampoline_kernelINS0_14default_configENS1_35radix_sort_onesweep_config_selectorIiiEEZZNS1_29radix_sort_onesweep_iterationIS3_Lb0EN6thrust23THRUST_200600_302600_NS6detail15normal_iteratorINS8_10device_ptrIiEEEESD_SD_SD_jNS0_19identity_decomposerENS1_16block_id_wrapperIjLb1EEEEE10hipError_tT1_PNSt15iterator_traitsISI_E10value_typeET2_T3_PNSJ_ISO_E10value_typeET4_T5_PST_SU_PNS1_23onesweep_lookback_stateEbbT6_jjT7_P12ihipStream_tbENKUlT_T0_SI_SN_E_clISD_SD_SD_SD_EEDaS11_S12_SI_SN_EUlS11_E_NS1_11comp_targetILNS1_3genE5ELNS1_11target_archE942ELNS1_3gpuE9ELNS1_3repE0EEENS1_47radix_sort_onesweep_sort_config_static_selectorELNS0_4arch9wavefront6targetE1EEEvSI_, .Lfunc_end1421-_ZN7rocprim17ROCPRIM_400000_NS6detail17trampoline_kernelINS0_14default_configENS1_35radix_sort_onesweep_config_selectorIiiEEZZNS1_29radix_sort_onesweep_iterationIS3_Lb0EN6thrust23THRUST_200600_302600_NS6detail15normal_iteratorINS8_10device_ptrIiEEEESD_SD_SD_jNS0_19identity_decomposerENS1_16block_id_wrapperIjLb1EEEEE10hipError_tT1_PNSt15iterator_traitsISI_E10value_typeET2_T3_PNSJ_ISO_E10value_typeET4_T5_PST_SU_PNS1_23onesweep_lookback_stateEbbT6_jjT7_P12ihipStream_tbENKUlT_T0_SI_SN_E_clISD_SD_SD_SD_EEDaS11_S12_SI_SN_EUlS11_E_NS1_11comp_targetILNS1_3genE5ELNS1_11target_archE942ELNS1_3gpuE9ELNS1_3repE0EEENS1_47radix_sort_onesweep_sort_config_static_selectorELNS0_4arch9wavefront6targetE1EEEvSI_
                                        ; -- End function
	.set _ZN7rocprim17ROCPRIM_400000_NS6detail17trampoline_kernelINS0_14default_configENS1_35radix_sort_onesweep_config_selectorIiiEEZZNS1_29radix_sort_onesweep_iterationIS3_Lb0EN6thrust23THRUST_200600_302600_NS6detail15normal_iteratorINS8_10device_ptrIiEEEESD_SD_SD_jNS0_19identity_decomposerENS1_16block_id_wrapperIjLb1EEEEE10hipError_tT1_PNSt15iterator_traitsISI_E10value_typeET2_T3_PNSJ_ISO_E10value_typeET4_T5_PST_SU_PNS1_23onesweep_lookback_stateEbbT6_jjT7_P12ihipStream_tbENKUlT_T0_SI_SN_E_clISD_SD_SD_SD_EEDaS11_S12_SI_SN_EUlS11_E_NS1_11comp_targetILNS1_3genE5ELNS1_11target_archE942ELNS1_3gpuE9ELNS1_3repE0EEENS1_47radix_sort_onesweep_sort_config_static_selectorELNS0_4arch9wavefront6targetE1EEEvSI_.num_vgpr, 0
	.set _ZN7rocprim17ROCPRIM_400000_NS6detail17trampoline_kernelINS0_14default_configENS1_35radix_sort_onesweep_config_selectorIiiEEZZNS1_29radix_sort_onesweep_iterationIS3_Lb0EN6thrust23THRUST_200600_302600_NS6detail15normal_iteratorINS8_10device_ptrIiEEEESD_SD_SD_jNS0_19identity_decomposerENS1_16block_id_wrapperIjLb1EEEEE10hipError_tT1_PNSt15iterator_traitsISI_E10value_typeET2_T3_PNSJ_ISO_E10value_typeET4_T5_PST_SU_PNS1_23onesweep_lookback_stateEbbT6_jjT7_P12ihipStream_tbENKUlT_T0_SI_SN_E_clISD_SD_SD_SD_EEDaS11_S12_SI_SN_EUlS11_E_NS1_11comp_targetILNS1_3genE5ELNS1_11target_archE942ELNS1_3gpuE9ELNS1_3repE0EEENS1_47radix_sort_onesweep_sort_config_static_selectorELNS0_4arch9wavefront6targetE1EEEvSI_.num_agpr, 0
	.set _ZN7rocprim17ROCPRIM_400000_NS6detail17trampoline_kernelINS0_14default_configENS1_35radix_sort_onesweep_config_selectorIiiEEZZNS1_29radix_sort_onesweep_iterationIS3_Lb0EN6thrust23THRUST_200600_302600_NS6detail15normal_iteratorINS8_10device_ptrIiEEEESD_SD_SD_jNS0_19identity_decomposerENS1_16block_id_wrapperIjLb1EEEEE10hipError_tT1_PNSt15iterator_traitsISI_E10value_typeET2_T3_PNSJ_ISO_E10value_typeET4_T5_PST_SU_PNS1_23onesweep_lookback_stateEbbT6_jjT7_P12ihipStream_tbENKUlT_T0_SI_SN_E_clISD_SD_SD_SD_EEDaS11_S12_SI_SN_EUlS11_E_NS1_11comp_targetILNS1_3genE5ELNS1_11target_archE942ELNS1_3gpuE9ELNS1_3repE0EEENS1_47radix_sort_onesweep_sort_config_static_selectorELNS0_4arch9wavefront6targetE1EEEvSI_.numbered_sgpr, 0
	.set _ZN7rocprim17ROCPRIM_400000_NS6detail17trampoline_kernelINS0_14default_configENS1_35radix_sort_onesweep_config_selectorIiiEEZZNS1_29radix_sort_onesweep_iterationIS3_Lb0EN6thrust23THRUST_200600_302600_NS6detail15normal_iteratorINS8_10device_ptrIiEEEESD_SD_SD_jNS0_19identity_decomposerENS1_16block_id_wrapperIjLb1EEEEE10hipError_tT1_PNSt15iterator_traitsISI_E10value_typeET2_T3_PNSJ_ISO_E10value_typeET4_T5_PST_SU_PNS1_23onesweep_lookback_stateEbbT6_jjT7_P12ihipStream_tbENKUlT_T0_SI_SN_E_clISD_SD_SD_SD_EEDaS11_S12_SI_SN_EUlS11_E_NS1_11comp_targetILNS1_3genE5ELNS1_11target_archE942ELNS1_3gpuE9ELNS1_3repE0EEENS1_47radix_sort_onesweep_sort_config_static_selectorELNS0_4arch9wavefront6targetE1EEEvSI_.num_named_barrier, 0
	.set _ZN7rocprim17ROCPRIM_400000_NS6detail17trampoline_kernelINS0_14default_configENS1_35radix_sort_onesweep_config_selectorIiiEEZZNS1_29radix_sort_onesweep_iterationIS3_Lb0EN6thrust23THRUST_200600_302600_NS6detail15normal_iteratorINS8_10device_ptrIiEEEESD_SD_SD_jNS0_19identity_decomposerENS1_16block_id_wrapperIjLb1EEEEE10hipError_tT1_PNSt15iterator_traitsISI_E10value_typeET2_T3_PNSJ_ISO_E10value_typeET4_T5_PST_SU_PNS1_23onesweep_lookback_stateEbbT6_jjT7_P12ihipStream_tbENKUlT_T0_SI_SN_E_clISD_SD_SD_SD_EEDaS11_S12_SI_SN_EUlS11_E_NS1_11comp_targetILNS1_3genE5ELNS1_11target_archE942ELNS1_3gpuE9ELNS1_3repE0EEENS1_47radix_sort_onesweep_sort_config_static_selectorELNS0_4arch9wavefront6targetE1EEEvSI_.private_seg_size, 0
	.set _ZN7rocprim17ROCPRIM_400000_NS6detail17trampoline_kernelINS0_14default_configENS1_35radix_sort_onesweep_config_selectorIiiEEZZNS1_29radix_sort_onesweep_iterationIS3_Lb0EN6thrust23THRUST_200600_302600_NS6detail15normal_iteratorINS8_10device_ptrIiEEEESD_SD_SD_jNS0_19identity_decomposerENS1_16block_id_wrapperIjLb1EEEEE10hipError_tT1_PNSt15iterator_traitsISI_E10value_typeET2_T3_PNSJ_ISO_E10value_typeET4_T5_PST_SU_PNS1_23onesweep_lookback_stateEbbT6_jjT7_P12ihipStream_tbENKUlT_T0_SI_SN_E_clISD_SD_SD_SD_EEDaS11_S12_SI_SN_EUlS11_E_NS1_11comp_targetILNS1_3genE5ELNS1_11target_archE942ELNS1_3gpuE9ELNS1_3repE0EEENS1_47radix_sort_onesweep_sort_config_static_selectorELNS0_4arch9wavefront6targetE1EEEvSI_.uses_vcc, 0
	.set _ZN7rocprim17ROCPRIM_400000_NS6detail17trampoline_kernelINS0_14default_configENS1_35radix_sort_onesweep_config_selectorIiiEEZZNS1_29radix_sort_onesweep_iterationIS3_Lb0EN6thrust23THRUST_200600_302600_NS6detail15normal_iteratorINS8_10device_ptrIiEEEESD_SD_SD_jNS0_19identity_decomposerENS1_16block_id_wrapperIjLb1EEEEE10hipError_tT1_PNSt15iterator_traitsISI_E10value_typeET2_T3_PNSJ_ISO_E10value_typeET4_T5_PST_SU_PNS1_23onesweep_lookback_stateEbbT6_jjT7_P12ihipStream_tbENKUlT_T0_SI_SN_E_clISD_SD_SD_SD_EEDaS11_S12_SI_SN_EUlS11_E_NS1_11comp_targetILNS1_3genE5ELNS1_11target_archE942ELNS1_3gpuE9ELNS1_3repE0EEENS1_47radix_sort_onesweep_sort_config_static_selectorELNS0_4arch9wavefront6targetE1EEEvSI_.uses_flat_scratch, 0
	.set _ZN7rocprim17ROCPRIM_400000_NS6detail17trampoline_kernelINS0_14default_configENS1_35radix_sort_onesweep_config_selectorIiiEEZZNS1_29radix_sort_onesweep_iterationIS3_Lb0EN6thrust23THRUST_200600_302600_NS6detail15normal_iteratorINS8_10device_ptrIiEEEESD_SD_SD_jNS0_19identity_decomposerENS1_16block_id_wrapperIjLb1EEEEE10hipError_tT1_PNSt15iterator_traitsISI_E10value_typeET2_T3_PNSJ_ISO_E10value_typeET4_T5_PST_SU_PNS1_23onesweep_lookback_stateEbbT6_jjT7_P12ihipStream_tbENKUlT_T0_SI_SN_E_clISD_SD_SD_SD_EEDaS11_S12_SI_SN_EUlS11_E_NS1_11comp_targetILNS1_3genE5ELNS1_11target_archE942ELNS1_3gpuE9ELNS1_3repE0EEENS1_47radix_sort_onesweep_sort_config_static_selectorELNS0_4arch9wavefront6targetE1EEEvSI_.has_dyn_sized_stack, 0
	.set _ZN7rocprim17ROCPRIM_400000_NS6detail17trampoline_kernelINS0_14default_configENS1_35radix_sort_onesweep_config_selectorIiiEEZZNS1_29radix_sort_onesweep_iterationIS3_Lb0EN6thrust23THRUST_200600_302600_NS6detail15normal_iteratorINS8_10device_ptrIiEEEESD_SD_SD_jNS0_19identity_decomposerENS1_16block_id_wrapperIjLb1EEEEE10hipError_tT1_PNSt15iterator_traitsISI_E10value_typeET2_T3_PNSJ_ISO_E10value_typeET4_T5_PST_SU_PNS1_23onesweep_lookback_stateEbbT6_jjT7_P12ihipStream_tbENKUlT_T0_SI_SN_E_clISD_SD_SD_SD_EEDaS11_S12_SI_SN_EUlS11_E_NS1_11comp_targetILNS1_3genE5ELNS1_11target_archE942ELNS1_3gpuE9ELNS1_3repE0EEENS1_47radix_sort_onesweep_sort_config_static_selectorELNS0_4arch9wavefront6targetE1EEEvSI_.has_recursion, 0
	.set _ZN7rocprim17ROCPRIM_400000_NS6detail17trampoline_kernelINS0_14default_configENS1_35radix_sort_onesweep_config_selectorIiiEEZZNS1_29radix_sort_onesweep_iterationIS3_Lb0EN6thrust23THRUST_200600_302600_NS6detail15normal_iteratorINS8_10device_ptrIiEEEESD_SD_SD_jNS0_19identity_decomposerENS1_16block_id_wrapperIjLb1EEEEE10hipError_tT1_PNSt15iterator_traitsISI_E10value_typeET2_T3_PNSJ_ISO_E10value_typeET4_T5_PST_SU_PNS1_23onesweep_lookback_stateEbbT6_jjT7_P12ihipStream_tbENKUlT_T0_SI_SN_E_clISD_SD_SD_SD_EEDaS11_S12_SI_SN_EUlS11_E_NS1_11comp_targetILNS1_3genE5ELNS1_11target_archE942ELNS1_3gpuE9ELNS1_3repE0EEENS1_47radix_sort_onesweep_sort_config_static_selectorELNS0_4arch9wavefront6targetE1EEEvSI_.has_indirect_call, 0
	.section	.AMDGPU.csdata,"",@progbits
; Kernel info:
; codeLenInByte = 0
; TotalNumSgprs: 6
; NumVgprs: 0
; NumAgprs: 0
; TotalNumVgprs: 0
; ScratchSize: 0
; MemoryBound: 0
; FloatMode: 240
; IeeeMode: 1
; LDSByteSize: 0 bytes/workgroup (compile time only)
; SGPRBlocks: 0
; VGPRBlocks: 0
; NumSGPRsForWavesPerEU: 6
; NumVGPRsForWavesPerEU: 1
; AccumOffset: 4
; Occupancy: 8
; WaveLimiterHint : 0
; COMPUTE_PGM_RSRC2:SCRATCH_EN: 0
; COMPUTE_PGM_RSRC2:USER_SGPR: 2
; COMPUTE_PGM_RSRC2:TRAP_HANDLER: 0
; COMPUTE_PGM_RSRC2:TGID_X_EN: 1
; COMPUTE_PGM_RSRC2:TGID_Y_EN: 0
; COMPUTE_PGM_RSRC2:TGID_Z_EN: 0
; COMPUTE_PGM_RSRC2:TIDIG_COMP_CNT: 0
; COMPUTE_PGM_RSRC3_GFX90A:ACCUM_OFFSET: 0
; COMPUTE_PGM_RSRC3_GFX90A:TG_SPLIT: 0
	.section	.text._ZN7rocprim17ROCPRIM_400000_NS6detail17trampoline_kernelINS0_14default_configENS1_35radix_sort_onesweep_config_selectorIiiEEZZNS1_29radix_sort_onesweep_iterationIS3_Lb0EN6thrust23THRUST_200600_302600_NS6detail15normal_iteratorINS8_10device_ptrIiEEEESD_SD_SD_jNS0_19identity_decomposerENS1_16block_id_wrapperIjLb1EEEEE10hipError_tT1_PNSt15iterator_traitsISI_E10value_typeET2_T3_PNSJ_ISO_E10value_typeET4_T5_PST_SU_PNS1_23onesweep_lookback_stateEbbT6_jjT7_P12ihipStream_tbENKUlT_T0_SI_SN_E_clISD_SD_SD_SD_EEDaS11_S12_SI_SN_EUlS11_E_NS1_11comp_targetILNS1_3genE2ELNS1_11target_archE906ELNS1_3gpuE6ELNS1_3repE0EEENS1_47radix_sort_onesweep_sort_config_static_selectorELNS0_4arch9wavefront6targetE1EEEvSI_,"axG",@progbits,_ZN7rocprim17ROCPRIM_400000_NS6detail17trampoline_kernelINS0_14default_configENS1_35radix_sort_onesweep_config_selectorIiiEEZZNS1_29radix_sort_onesweep_iterationIS3_Lb0EN6thrust23THRUST_200600_302600_NS6detail15normal_iteratorINS8_10device_ptrIiEEEESD_SD_SD_jNS0_19identity_decomposerENS1_16block_id_wrapperIjLb1EEEEE10hipError_tT1_PNSt15iterator_traitsISI_E10value_typeET2_T3_PNSJ_ISO_E10value_typeET4_T5_PST_SU_PNS1_23onesweep_lookback_stateEbbT6_jjT7_P12ihipStream_tbENKUlT_T0_SI_SN_E_clISD_SD_SD_SD_EEDaS11_S12_SI_SN_EUlS11_E_NS1_11comp_targetILNS1_3genE2ELNS1_11target_archE906ELNS1_3gpuE6ELNS1_3repE0EEENS1_47radix_sort_onesweep_sort_config_static_selectorELNS0_4arch9wavefront6targetE1EEEvSI_,comdat
	.protected	_ZN7rocprim17ROCPRIM_400000_NS6detail17trampoline_kernelINS0_14default_configENS1_35radix_sort_onesweep_config_selectorIiiEEZZNS1_29radix_sort_onesweep_iterationIS3_Lb0EN6thrust23THRUST_200600_302600_NS6detail15normal_iteratorINS8_10device_ptrIiEEEESD_SD_SD_jNS0_19identity_decomposerENS1_16block_id_wrapperIjLb1EEEEE10hipError_tT1_PNSt15iterator_traitsISI_E10value_typeET2_T3_PNSJ_ISO_E10value_typeET4_T5_PST_SU_PNS1_23onesweep_lookback_stateEbbT6_jjT7_P12ihipStream_tbENKUlT_T0_SI_SN_E_clISD_SD_SD_SD_EEDaS11_S12_SI_SN_EUlS11_E_NS1_11comp_targetILNS1_3genE2ELNS1_11target_archE906ELNS1_3gpuE6ELNS1_3repE0EEENS1_47radix_sort_onesweep_sort_config_static_selectorELNS0_4arch9wavefront6targetE1EEEvSI_ ; -- Begin function _ZN7rocprim17ROCPRIM_400000_NS6detail17trampoline_kernelINS0_14default_configENS1_35radix_sort_onesweep_config_selectorIiiEEZZNS1_29radix_sort_onesweep_iterationIS3_Lb0EN6thrust23THRUST_200600_302600_NS6detail15normal_iteratorINS8_10device_ptrIiEEEESD_SD_SD_jNS0_19identity_decomposerENS1_16block_id_wrapperIjLb1EEEEE10hipError_tT1_PNSt15iterator_traitsISI_E10value_typeET2_T3_PNSJ_ISO_E10value_typeET4_T5_PST_SU_PNS1_23onesweep_lookback_stateEbbT6_jjT7_P12ihipStream_tbENKUlT_T0_SI_SN_E_clISD_SD_SD_SD_EEDaS11_S12_SI_SN_EUlS11_E_NS1_11comp_targetILNS1_3genE2ELNS1_11target_archE906ELNS1_3gpuE6ELNS1_3repE0EEENS1_47radix_sort_onesweep_sort_config_static_selectorELNS0_4arch9wavefront6targetE1EEEvSI_
	.globl	_ZN7rocprim17ROCPRIM_400000_NS6detail17trampoline_kernelINS0_14default_configENS1_35radix_sort_onesweep_config_selectorIiiEEZZNS1_29radix_sort_onesweep_iterationIS3_Lb0EN6thrust23THRUST_200600_302600_NS6detail15normal_iteratorINS8_10device_ptrIiEEEESD_SD_SD_jNS0_19identity_decomposerENS1_16block_id_wrapperIjLb1EEEEE10hipError_tT1_PNSt15iterator_traitsISI_E10value_typeET2_T3_PNSJ_ISO_E10value_typeET4_T5_PST_SU_PNS1_23onesweep_lookback_stateEbbT6_jjT7_P12ihipStream_tbENKUlT_T0_SI_SN_E_clISD_SD_SD_SD_EEDaS11_S12_SI_SN_EUlS11_E_NS1_11comp_targetILNS1_3genE2ELNS1_11target_archE906ELNS1_3gpuE6ELNS1_3repE0EEENS1_47radix_sort_onesweep_sort_config_static_selectorELNS0_4arch9wavefront6targetE1EEEvSI_
	.p2align	8
	.type	_ZN7rocprim17ROCPRIM_400000_NS6detail17trampoline_kernelINS0_14default_configENS1_35radix_sort_onesweep_config_selectorIiiEEZZNS1_29radix_sort_onesweep_iterationIS3_Lb0EN6thrust23THRUST_200600_302600_NS6detail15normal_iteratorINS8_10device_ptrIiEEEESD_SD_SD_jNS0_19identity_decomposerENS1_16block_id_wrapperIjLb1EEEEE10hipError_tT1_PNSt15iterator_traitsISI_E10value_typeET2_T3_PNSJ_ISO_E10value_typeET4_T5_PST_SU_PNS1_23onesweep_lookback_stateEbbT6_jjT7_P12ihipStream_tbENKUlT_T0_SI_SN_E_clISD_SD_SD_SD_EEDaS11_S12_SI_SN_EUlS11_E_NS1_11comp_targetILNS1_3genE2ELNS1_11target_archE906ELNS1_3gpuE6ELNS1_3repE0EEENS1_47radix_sort_onesweep_sort_config_static_selectorELNS0_4arch9wavefront6targetE1EEEvSI_,@function
_ZN7rocprim17ROCPRIM_400000_NS6detail17trampoline_kernelINS0_14default_configENS1_35radix_sort_onesweep_config_selectorIiiEEZZNS1_29radix_sort_onesweep_iterationIS3_Lb0EN6thrust23THRUST_200600_302600_NS6detail15normal_iteratorINS8_10device_ptrIiEEEESD_SD_SD_jNS0_19identity_decomposerENS1_16block_id_wrapperIjLb1EEEEE10hipError_tT1_PNSt15iterator_traitsISI_E10value_typeET2_T3_PNSJ_ISO_E10value_typeET4_T5_PST_SU_PNS1_23onesweep_lookback_stateEbbT6_jjT7_P12ihipStream_tbENKUlT_T0_SI_SN_E_clISD_SD_SD_SD_EEDaS11_S12_SI_SN_EUlS11_E_NS1_11comp_targetILNS1_3genE2ELNS1_11target_archE906ELNS1_3gpuE6ELNS1_3repE0EEENS1_47radix_sort_onesweep_sort_config_static_selectorELNS0_4arch9wavefront6targetE1EEEvSI_: ; @_ZN7rocprim17ROCPRIM_400000_NS6detail17trampoline_kernelINS0_14default_configENS1_35radix_sort_onesweep_config_selectorIiiEEZZNS1_29radix_sort_onesweep_iterationIS3_Lb0EN6thrust23THRUST_200600_302600_NS6detail15normal_iteratorINS8_10device_ptrIiEEEESD_SD_SD_jNS0_19identity_decomposerENS1_16block_id_wrapperIjLb1EEEEE10hipError_tT1_PNSt15iterator_traitsISI_E10value_typeET2_T3_PNSJ_ISO_E10value_typeET4_T5_PST_SU_PNS1_23onesweep_lookback_stateEbbT6_jjT7_P12ihipStream_tbENKUlT_T0_SI_SN_E_clISD_SD_SD_SD_EEDaS11_S12_SI_SN_EUlS11_E_NS1_11comp_targetILNS1_3genE2ELNS1_11target_archE906ELNS1_3gpuE6ELNS1_3repE0EEENS1_47radix_sort_onesweep_sort_config_static_selectorELNS0_4arch9wavefront6targetE1EEEvSI_
; %bb.0:
	.section	.rodata,"a",@progbits
	.p2align	6, 0x0
	.amdhsa_kernel _ZN7rocprim17ROCPRIM_400000_NS6detail17trampoline_kernelINS0_14default_configENS1_35radix_sort_onesweep_config_selectorIiiEEZZNS1_29radix_sort_onesweep_iterationIS3_Lb0EN6thrust23THRUST_200600_302600_NS6detail15normal_iteratorINS8_10device_ptrIiEEEESD_SD_SD_jNS0_19identity_decomposerENS1_16block_id_wrapperIjLb1EEEEE10hipError_tT1_PNSt15iterator_traitsISI_E10value_typeET2_T3_PNSJ_ISO_E10value_typeET4_T5_PST_SU_PNS1_23onesweep_lookback_stateEbbT6_jjT7_P12ihipStream_tbENKUlT_T0_SI_SN_E_clISD_SD_SD_SD_EEDaS11_S12_SI_SN_EUlS11_E_NS1_11comp_targetILNS1_3genE2ELNS1_11target_archE906ELNS1_3gpuE6ELNS1_3repE0EEENS1_47radix_sort_onesweep_sort_config_static_selectorELNS0_4arch9wavefront6targetE1EEEvSI_
		.amdhsa_group_segment_fixed_size 0
		.amdhsa_private_segment_fixed_size 0
		.amdhsa_kernarg_size 88
		.amdhsa_user_sgpr_count 2
		.amdhsa_user_sgpr_dispatch_ptr 0
		.amdhsa_user_sgpr_queue_ptr 0
		.amdhsa_user_sgpr_kernarg_segment_ptr 1
		.amdhsa_user_sgpr_dispatch_id 0
		.amdhsa_user_sgpr_kernarg_preload_length 0
		.amdhsa_user_sgpr_kernarg_preload_offset 0
		.amdhsa_user_sgpr_private_segment_size 0
		.amdhsa_uses_dynamic_stack 0
		.amdhsa_enable_private_segment 0
		.amdhsa_system_sgpr_workgroup_id_x 1
		.amdhsa_system_sgpr_workgroup_id_y 0
		.amdhsa_system_sgpr_workgroup_id_z 0
		.amdhsa_system_sgpr_workgroup_info 0
		.amdhsa_system_vgpr_workitem_id 0
		.amdhsa_next_free_vgpr 1
		.amdhsa_next_free_sgpr 0
		.amdhsa_accum_offset 4
		.amdhsa_reserve_vcc 0
		.amdhsa_float_round_mode_32 0
		.amdhsa_float_round_mode_16_64 0
		.amdhsa_float_denorm_mode_32 3
		.amdhsa_float_denorm_mode_16_64 3
		.amdhsa_dx10_clamp 1
		.amdhsa_ieee_mode 1
		.amdhsa_fp16_overflow 0
		.amdhsa_tg_split 0
		.amdhsa_exception_fp_ieee_invalid_op 0
		.amdhsa_exception_fp_denorm_src 0
		.amdhsa_exception_fp_ieee_div_zero 0
		.amdhsa_exception_fp_ieee_overflow 0
		.amdhsa_exception_fp_ieee_underflow 0
		.amdhsa_exception_fp_ieee_inexact 0
		.amdhsa_exception_int_div_zero 0
	.end_amdhsa_kernel
	.section	.text._ZN7rocprim17ROCPRIM_400000_NS6detail17trampoline_kernelINS0_14default_configENS1_35radix_sort_onesweep_config_selectorIiiEEZZNS1_29radix_sort_onesweep_iterationIS3_Lb0EN6thrust23THRUST_200600_302600_NS6detail15normal_iteratorINS8_10device_ptrIiEEEESD_SD_SD_jNS0_19identity_decomposerENS1_16block_id_wrapperIjLb1EEEEE10hipError_tT1_PNSt15iterator_traitsISI_E10value_typeET2_T3_PNSJ_ISO_E10value_typeET4_T5_PST_SU_PNS1_23onesweep_lookback_stateEbbT6_jjT7_P12ihipStream_tbENKUlT_T0_SI_SN_E_clISD_SD_SD_SD_EEDaS11_S12_SI_SN_EUlS11_E_NS1_11comp_targetILNS1_3genE2ELNS1_11target_archE906ELNS1_3gpuE6ELNS1_3repE0EEENS1_47radix_sort_onesweep_sort_config_static_selectorELNS0_4arch9wavefront6targetE1EEEvSI_,"axG",@progbits,_ZN7rocprim17ROCPRIM_400000_NS6detail17trampoline_kernelINS0_14default_configENS1_35radix_sort_onesweep_config_selectorIiiEEZZNS1_29radix_sort_onesweep_iterationIS3_Lb0EN6thrust23THRUST_200600_302600_NS6detail15normal_iteratorINS8_10device_ptrIiEEEESD_SD_SD_jNS0_19identity_decomposerENS1_16block_id_wrapperIjLb1EEEEE10hipError_tT1_PNSt15iterator_traitsISI_E10value_typeET2_T3_PNSJ_ISO_E10value_typeET4_T5_PST_SU_PNS1_23onesweep_lookback_stateEbbT6_jjT7_P12ihipStream_tbENKUlT_T0_SI_SN_E_clISD_SD_SD_SD_EEDaS11_S12_SI_SN_EUlS11_E_NS1_11comp_targetILNS1_3genE2ELNS1_11target_archE906ELNS1_3gpuE6ELNS1_3repE0EEENS1_47radix_sort_onesweep_sort_config_static_selectorELNS0_4arch9wavefront6targetE1EEEvSI_,comdat
.Lfunc_end1422:
	.size	_ZN7rocprim17ROCPRIM_400000_NS6detail17trampoline_kernelINS0_14default_configENS1_35radix_sort_onesweep_config_selectorIiiEEZZNS1_29radix_sort_onesweep_iterationIS3_Lb0EN6thrust23THRUST_200600_302600_NS6detail15normal_iteratorINS8_10device_ptrIiEEEESD_SD_SD_jNS0_19identity_decomposerENS1_16block_id_wrapperIjLb1EEEEE10hipError_tT1_PNSt15iterator_traitsISI_E10value_typeET2_T3_PNSJ_ISO_E10value_typeET4_T5_PST_SU_PNS1_23onesweep_lookback_stateEbbT6_jjT7_P12ihipStream_tbENKUlT_T0_SI_SN_E_clISD_SD_SD_SD_EEDaS11_S12_SI_SN_EUlS11_E_NS1_11comp_targetILNS1_3genE2ELNS1_11target_archE906ELNS1_3gpuE6ELNS1_3repE0EEENS1_47radix_sort_onesweep_sort_config_static_selectorELNS0_4arch9wavefront6targetE1EEEvSI_, .Lfunc_end1422-_ZN7rocprim17ROCPRIM_400000_NS6detail17trampoline_kernelINS0_14default_configENS1_35radix_sort_onesweep_config_selectorIiiEEZZNS1_29radix_sort_onesweep_iterationIS3_Lb0EN6thrust23THRUST_200600_302600_NS6detail15normal_iteratorINS8_10device_ptrIiEEEESD_SD_SD_jNS0_19identity_decomposerENS1_16block_id_wrapperIjLb1EEEEE10hipError_tT1_PNSt15iterator_traitsISI_E10value_typeET2_T3_PNSJ_ISO_E10value_typeET4_T5_PST_SU_PNS1_23onesweep_lookback_stateEbbT6_jjT7_P12ihipStream_tbENKUlT_T0_SI_SN_E_clISD_SD_SD_SD_EEDaS11_S12_SI_SN_EUlS11_E_NS1_11comp_targetILNS1_3genE2ELNS1_11target_archE906ELNS1_3gpuE6ELNS1_3repE0EEENS1_47radix_sort_onesweep_sort_config_static_selectorELNS0_4arch9wavefront6targetE1EEEvSI_
                                        ; -- End function
	.set _ZN7rocprim17ROCPRIM_400000_NS6detail17trampoline_kernelINS0_14default_configENS1_35radix_sort_onesweep_config_selectorIiiEEZZNS1_29radix_sort_onesweep_iterationIS3_Lb0EN6thrust23THRUST_200600_302600_NS6detail15normal_iteratorINS8_10device_ptrIiEEEESD_SD_SD_jNS0_19identity_decomposerENS1_16block_id_wrapperIjLb1EEEEE10hipError_tT1_PNSt15iterator_traitsISI_E10value_typeET2_T3_PNSJ_ISO_E10value_typeET4_T5_PST_SU_PNS1_23onesweep_lookback_stateEbbT6_jjT7_P12ihipStream_tbENKUlT_T0_SI_SN_E_clISD_SD_SD_SD_EEDaS11_S12_SI_SN_EUlS11_E_NS1_11comp_targetILNS1_3genE2ELNS1_11target_archE906ELNS1_3gpuE6ELNS1_3repE0EEENS1_47radix_sort_onesweep_sort_config_static_selectorELNS0_4arch9wavefront6targetE1EEEvSI_.num_vgpr, 0
	.set _ZN7rocprim17ROCPRIM_400000_NS6detail17trampoline_kernelINS0_14default_configENS1_35radix_sort_onesweep_config_selectorIiiEEZZNS1_29radix_sort_onesweep_iterationIS3_Lb0EN6thrust23THRUST_200600_302600_NS6detail15normal_iteratorINS8_10device_ptrIiEEEESD_SD_SD_jNS0_19identity_decomposerENS1_16block_id_wrapperIjLb1EEEEE10hipError_tT1_PNSt15iterator_traitsISI_E10value_typeET2_T3_PNSJ_ISO_E10value_typeET4_T5_PST_SU_PNS1_23onesweep_lookback_stateEbbT6_jjT7_P12ihipStream_tbENKUlT_T0_SI_SN_E_clISD_SD_SD_SD_EEDaS11_S12_SI_SN_EUlS11_E_NS1_11comp_targetILNS1_3genE2ELNS1_11target_archE906ELNS1_3gpuE6ELNS1_3repE0EEENS1_47radix_sort_onesweep_sort_config_static_selectorELNS0_4arch9wavefront6targetE1EEEvSI_.num_agpr, 0
	.set _ZN7rocprim17ROCPRIM_400000_NS6detail17trampoline_kernelINS0_14default_configENS1_35radix_sort_onesweep_config_selectorIiiEEZZNS1_29radix_sort_onesweep_iterationIS3_Lb0EN6thrust23THRUST_200600_302600_NS6detail15normal_iteratorINS8_10device_ptrIiEEEESD_SD_SD_jNS0_19identity_decomposerENS1_16block_id_wrapperIjLb1EEEEE10hipError_tT1_PNSt15iterator_traitsISI_E10value_typeET2_T3_PNSJ_ISO_E10value_typeET4_T5_PST_SU_PNS1_23onesweep_lookback_stateEbbT6_jjT7_P12ihipStream_tbENKUlT_T0_SI_SN_E_clISD_SD_SD_SD_EEDaS11_S12_SI_SN_EUlS11_E_NS1_11comp_targetILNS1_3genE2ELNS1_11target_archE906ELNS1_3gpuE6ELNS1_3repE0EEENS1_47radix_sort_onesweep_sort_config_static_selectorELNS0_4arch9wavefront6targetE1EEEvSI_.numbered_sgpr, 0
	.set _ZN7rocprim17ROCPRIM_400000_NS6detail17trampoline_kernelINS0_14default_configENS1_35radix_sort_onesweep_config_selectorIiiEEZZNS1_29radix_sort_onesweep_iterationIS3_Lb0EN6thrust23THRUST_200600_302600_NS6detail15normal_iteratorINS8_10device_ptrIiEEEESD_SD_SD_jNS0_19identity_decomposerENS1_16block_id_wrapperIjLb1EEEEE10hipError_tT1_PNSt15iterator_traitsISI_E10value_typeET2_T3_PNSJ_ISO_E10value_typeET4_T5_PST_SU_PNS1_23onesweep_lookback_stateEbbT6_jjT7_P12ihipStream_tbENKUlT_T0_SI_SN_E_clISD_SD_SD_SD_EEDaS11_S12_SI_SN_EUlS11_E_NS1_11comp_targetILNS1_3genE2ELNS1_11target_archE906ELNS1_3gpuE6ELNS1_3repE0EEENS1_47radix_sort_onesweep_sort_config_static_selectorELNS0_4arch9wavefront6targetE1EEEvSI_.num_named_barrier, 0
	.set _ZN7rocprim17ROCPRIM_400000_NS6detail17trampoline_kernelINS0_14default_configENS1_35radix_sort_onesweep_config_selectorIiiEEZZNS1_29radix_sort_onesweep_iterationIS3_Lb0EN6thrust23THRUST_200600_302600_NS6detail15normal_iteratorINS8_10device_ptrIiEEEESD_SD_SD_jNS0_19identity_decomposerENS1_16block_id_wrapperIjLb1EEEEE10hipError_tT1_PNSt15iterator_traitsISI_E10value_typeET2_T3_PNSJ_ISO_E10value_typeET4_T5_PST_SU_PNS1_23onesweep_lookback_stateEbbT6_jjT7_P12ihipStream_tbENKUlT_T0_SI_SN_E_clISD_SD_SD_SD_EEDaS11_S12_SI_SN_EUlS11_E_NS1_11comp_targetILNS1_3genE2ELNS1_11target_archE906ELNS1_3gpuE6ELNS1_3repE0EEENS1_47radix_sort_onesweep_sort_config_static_selectorELNS0_4arch9wavefront6targetE1EEEvSI_.private_seg_size, 0
	.set _ZN7rocprim17ROCPRIM_400000_NS6detail17trampoline_kernelINS0_14default_configENS1_35radix_sort_onesweep_config_selectorIiiEEZZNS1_29radix_sort_onesweep_iterationIS3_Lb0EN6thrust23THRUST_200600_302600_NS6detail15normal_iteratorINS8_10device_ptrIiEEEESD_SD_SD_jNS0_19identity_decomposerENS1_16block_id_wrapperIjLb1EEEEE10hipError_tT1_PNSt15iterator_traitsISI_E10value_typeET2_T3_PNSJ_ISO_E10value_typeET4_T5_PST_SU_PNS1_23onesweep_lookback_stateEbbT6_jjT7_P12ihipStream_tbENKUlT_T0_SI_SN_E_clISD_SD_SD_SD_EEDaS11_S12_SI_SN_EUlS11_E_NS1_11comp_targetILNS1_3genE2ELNS1_11target_archE906ELNS1_3gpuE6ELNS1_3repE0EEENS1_47radix_sort_onesweep_sort_config_static_selectorELNS0_4arch9wavefront6targetE1EEEvSI_.uses_vcc, 0
	.set _ZN7rocprim17ROCPRIM_400000_NS6detail17trampoline_kernelINS0_14default_configENS1_35radix_sort_onesweep_config_selectorIiiEEZZNS1_29radix_sort_onesweep_iterationIS3_Lb0EN6thrust23THRUST_200600_302600_NS6detail15normal_iteratorINS8_10device_ptrIiEEEESD_SD_SD_jNS0_19identity_decomposerENS1_16block_id_wrapperIjLb1EEEEE10hipError_tT1_PNSt15iterator_traitsISI_E10value_typeET2_T3_PNSJ_ISO_E10value_typeET4_T5_PST_SU_PNS1_23onesweep_lookback_stateEbbT6_jjT7_P12ihipStream_tbENKUlT_T0_SI_SN_E_clISD_SD_SD_SD_EEDaS11_S12_SI_SN_EUlS11_E_NS1_11comp_targetILNS1_3genE2ELNS1_11target_archE906ELNS1_3gpuE6ELNS1_3repE0EEENS1_47radix_sort_onesweep_sort_config_static_selectorELNS0_4arch9wavefront6targetE1EEEvSI_.uses_flat_scratch, 0
	.set _ZN7rocprim17ROCPRIM_400000_NS6detail17trampoline_kernelINS0_14default_configENS1_35radix_sort_onesweep_config_selectorIiiEEZZNS1_29radix_sort_onesweep_iterationIS3_Lb0EN6thrust23THRUST_200600_302600_NS6detail15normal_iteratorINS8_10device_ptrIiEEEESD_SD_SD_jNS0_19identity_decomposerENS1_16block_id_wrapperIjLb1EEEEE10hipError_tT1_PNSt15iterator_traitsISI_E10value_typeET2_T3_PNSJ_ISO_E10value_typeET4_T5_PST_SU_PNS1_23onesweep_lookback_stateEbbT6_jjT7_P12ihipStream_tbENKUlT_T0_SI_SN_E_clISD_SD_SD_SD_EEDaS11_S12_SI_SN_EUlS11_E_NS1_11comp_targetILNS1_3genE2ELNS1_11target_archE906ELNS1_3gpuE6ELNS1_3repE0EEENS1_47radix_sort_onesweep_sort_config_static_selectorELNS0_4arch9wavefront6targetE1EEEvSI_.has_dyn_sized_stack, 0
	.set _ZN7rocprim17ROCPRIM_400000_NS6detail17trampoline_kernelINS0_14default_configENS1_35radix_sort_onesweep_config_selectorIiiEEZZNS1_29radix_sort_onesweep_iterationIS3_Lb0EN6thrust23THRUST_200600_302600_NS6detail15normal_iteratorINS8_10device_ptrIiEEEESD_SD_SD_jNS0_19identity_decomposerENS1_16block_id_wrapperIjLb1EEEEE10hipError_tT1_PNSt15iterator_traitsISI_E10value_typeET2_T3_PNSJ_ISO_E10value_typeET4_T5_PST_SU_PNS1_23onesweep_lookback_stateEbbT6_jjT7_P12ihipStream_tbENKUlT_T0_SI_SN_E_clISD_SD_SD_SD_EEDaS11_S12_SI_SN_EUlS11_E_NS1_11comp_targetILNS1_3genE2ELNS1_11target_archE906ELNS1_3gpuE6ELNS1_3repE0EEENS1_47radix_sort_onesweep_sort_config_static_selectorELNS0_4arch9wavefront6targetE1EEEvSI_.has_recursion, 0
	.set _ZN7rocprim17ROCPRIM_400000_NS6detail17trampoline_kernelINS0_14default_configENS1_35radix_sort_onesweep_config_selectorIiiEEZZNS1_29radix_sort_onesweep_iterationIS3_Lb0EN6thrust23THRUST_200600_302600_NS6detail15normal_iteratorINS8_10device_ptrIiEEEESD_SD_SD_jNS0_19identity_decomposerENS1_16block_id_wrapperIjLb1EEEEE10hipError_tT1_PNSt15iterator_traitsISI_E10value_typeET2_T3_PNSJ_ISO_E10value_typeET4_T5_PST_SU_PNS1_23onesweep_lookback_stateEbbT6_jjT7_P12ihipStream_tbENKUlT_T0_SI_SN_E_clISD_SD_SD_SD_EEDaS11_S12_SI_SN_EUlS11_E_NS1_11comp_targetILNS1_3genE2ELNS1_11target_archE906ELNS1_3gpuE6ELNS1_3repE0EEENS1_47radix_sort_onesweep_sort_config_static_selectorELNS0_4arch9wavefront6targetE1EEEvSI_.has_indirect_call, 0
	.section	.AMDGPU.csdata,"",@progbits
; Kernel info:
; codeLenInByte = 0
; TotalNumSgprs: 6
; NumVgprs: 0
; NumAgprs: 0
; TotalNumVgprs: 0
; ScratchSize: 0
; MemoryBound: 0
; FloatMode: 240
; IeeeMode: 1
; LDSByteSize: 0 bytes/workgroup (compile time only)
; SGPRBlocks: 0
; VGPRBlocks: 0
; NumSGPRsForWavesPerEU: 6
; NumVGPRsForWavesPerEU: 1
; AccumOffset: 4
; Occupancy: 8
; WaveLimiterHint : 0
; COMPUTE_PGM_RSRC2:SCRATCH_EN: 0
; COMPUTE_PGM_RSRC2:USER_SGPR: 2
; COMPUTE_PGM_RSRC2:TRAP_HANDLER: 0
; COMPUTE_PGM_RSRC2:TGID_X_EN: 1
; COMPUTE_PGM_RSRC2:TGID_Y_EN: 0
; COMPUTE_PGM_RSRC2:TGID_Z_EN: 0
; COMPUTE_PGM_RSRC2:TIDIG_COMP_CNT: 0
; COMPUTE_PGM_RSRC3_GFX90A:ACCUM_OFFSET: 0
; COMPUTE_PGM_RSRC3_GFX90A:TG_SPLIT: 0
	.section	.text._ZN7rocprim17ROCPRIM_400000_NS6detail17trampoline_kernelINS0_14default_configENS1_35radix_sort_onesweep_config_selectorIiiEEZZNS1_29radix_sort_onesweep_iterationIS3_Lb0EN6thrust23THRUST_200600_302600_NS6detail15normal_iteratorINS8_10device_ptrIiEEEESD_SD_SD_jNS0_19identity_decomposerENS1_16block_id_wrapperIjLb1EEEEE10hipError_tT1_PNSt15iterator_traitsISI_E10value_typeET2_T3_PNSJ_ISO_E10value_typeET4_T5_PST_SU_PNS1_23onesweep_lookback_stateEbbT6_jjT7_P12ihipStream_tbENKUlT_T0_SI_SN_E_clISD_SD_SD_SD_EEDaS11_S12_SI_SN_EUlS11_E_NS1_11comp_targetILNS1_3genE4ELNS1_11target_archE910ELNS1_3gpuE8ELNS1_3repE0EEENS1_47radix_sort_onesweep_sort_config_static_selectorELNS0_4arch9wavefront6targetE1EEEvSI_,"axG",@progbits,_ZN7rocprim17ROCPRIM_400000_NS6detail17trampoline_kernelINS0_14default_configENS1_35radix_sort_onesweep_config_selectorIiiEEZZNS1_29radix_sort_onesweep_iterationIS3_Lb0EN6thrust23THRUST_200600_302600_NS6detail15normal_iteratorINS8_10device_ptrIiEEEESD_SD_SD_jNS0_19identity_decomposerENS1_16block_id_wrapperIjLb1EEEEE10hipError_tT1_PNSt15iterator_traitsISI_E10value_typeET2_T3_PNSJ_ISO_E10value_typeET4_T5_PST_SU_PNS1_23onesweep_lookback_stateEbbT6_jjT7_P12ihipStream_tbENKUlT_T0_SI_SN_E_clISD_SD_SD_SD_EEDaS11_S12_SI_SN_EUlS11_E_NS1_11comp_targetILNS1_3genE4ELNS1_11target_archE910ELNS1_3gpuE8ELNS1_3repE0EEENS1_47radix_sort_onesweep_sort_config_static_selectorELNS0_4arch9wavefront6targetE1EEEvSI_,comdat
	.protected	_ZN7rocprim17ROCPRIM_400000_NS6detail17trampoline_kernelINS0_14default_configENS1_35radix_sort_onesweep_config_selectorIiiEEZZNS1_29radix_sort_onesweep_iterationIS3_Lb0EN6thrust23THRUST_200600_302600_NS6detail15normal_iteratorINS8_10device_ptrIiEEEESD_SD_SD_jNS0_19identity_decomposerENS1_16block_id_wrapperIjLb1EEEEE10hipError_tT1_PNSt15iterator_traitsISI_E10value_typeET2_T3_PNSJ_ISO_E10value_typeET4_T5_PST_SU_PNS1_23onesweep_lookback_stateEbbT6_jjT7_P12ihipStream_tbENKUlT_T0_SI_SN_E_clISD_SD_SD_SD_EEDaS11_S12_SI_SN_EUlS11_E_NS1_11comp_targetILNS1_3genE4ELNS1_11target_archE910ELNS1_3gpuE8ELNS1_3repE0EEENS1_47radix_sort_onesweep_sort_config_static_selectorELNS0_4arch9wavefront6targetE1EEEvSI_ ; -- Begin function _ZN7rocprim17ROCPRIM_400000_NS6detail17trampoline_kernelINS0_14default_configENS1_35radix_sort_onesweep_config_selectorIiiEEZZNS1_29radix_sort_onesweep_iterationIS3_Lb0EN6thrust23THRUST_200600_302600_NS6detail15normal_iteratorINS8_10device_ptrIiEEEESD_SD_SD_jNS0_19identity_decomposerENS1_16block_id_wrapperIjLb1EEEEE10hipError_tT1_PNSt15iterator_traitsISI_E10value_typeET2_T3_PNSJ_ISO_E10value_typeET4_T5_PST_SU_PNS1_23onesweep_lookback_stateEbbT6_jjT7_P12ihipStream_tbENKUlT_T0_SI_SN_E_clISD_SD_SD_SD_EEDaS11_S12_SI_SN_EUlS11_E_NS1_11comp_targetILNS1_3genE4ELNS1_11target_archE910ELNS1_3gpuE8ELNS1_3repE0EEENS1_47radix_sort_onesweep_sort_config_static_selectorELNS0_4arch9wavefront6targetE1EEEvSI_
	.globl	_ZN7rocprim17ROCPRIM_400000_NS6detail17trampoline_kernelINS0_14default_configENS1_35radix_sort_onesweep_config_selectorIiiEEZZNS1_29radix_sort_onesweep_iterationIS3_Lb0EN6thrust23THRUST_200600_302600_NS6detail15normal_iteratorINS8_10device_ptrIiEEEESD_SD_SD_jNS0_19identity_decomposerENS1_16block_id_wrapperIjLb1EEEEE10hipError_tT1_PNSt15iterator_traitsISI_E10value_typeET2_T3_PNSJ_ISO_E10value_typeET4_T5_PST_SU_PNS1_23onesweep_lookback_stateEbbT6_jjT7_P12ihipStream_tbENKUlT_T0_SI_SN_E_clISD_SD_SD_SD_EEDaS11_S12_SI_SN_EUlS11_E_NS1_11comp_targetILNS1_3genE4ELNS1_11target_archE910ELNS1_3gpuE8ELNS1_3repE0EEENS1_47radix_sort_onesweep_sort_config_static_selectorELNS0_4arch9wavefront6targetE1EEEvSI_
	.p2align	8
	.type	_ZN7rocprim17ROCPRIM_400000_NS6detail17trampoline_kernelINS0_14default_configENS1_35radix_sort_onesweep_config_selectorIiiEEZZNS1_29radix_sort_onesweep_iterationIS3_Lb0EN6thrust23THRUST_200600_302600_NS6detail15normal_iteratorINS8_10device_ptrIiEEEESD_SD_SD_jNS0_19identity_decomposerENS1_16block_id_wrapperIjLb1EEEEE10hipError_tT1_PNSt15iterator_traitsISI_E10value_typeET2_T3_PNSJ_ISO_E10value_typeET4_T5_PST_SU_PNS1_23onesweep_lookback_stateEbbT6_jjT7_P12ihipStream_tbENKUlT_T0_SI_SN_E_clISD_SD_SD_SD_EEDaS11_S12_SI_SN_EUlS11_E_NS1_11comp_targetILNS1_3genE4ELNS1_11target_archE910ELNS1_3gpuE8ELNS1_3repE0EEENS1_47radix_sort_onesweep_sort_config_static_selectorELNS0_4arch9wavefront6targetE1EEEvSI_,@function
_ZN7rocprim17ROCPRIM_400000_NS6detail17trampoline_kernelINS0_14default_configENS1_35radix_sort_onesweep_config_selectorIiiEEZZNS1_29radix_sort_onesweep_iterationIS3_Lb0EN6thrust23THRUST_200600_302600_NS6detail15normal_iteratorINS8_10device_ptrIiEEEESD_SD_SD_jNS0_19identity_decomposerENS1_16block_id_wrapperIjLb1EEEEE10hipError_tT1_PNSt15iterator_traitsISI_E10value_typeET2_T3_PNSJ_ISO_E10value_typeET4_T5_PST_SU_PNS1_23onesweep_lookback_stateEbbT6_jjT7_P12ihipStream_tbENKUlT_T0_SI_SN_E_clISD_SD_SD_SD_EEDaS11_S12_SI_SN_EUlS11_E_NS1_11comp_targetILNS1_3genE4ELNS1_11target_archE910ELNS1_3gpuE8ELNS1_3repE0EEENS1_47radix_sort_onesweep_sort_config_static_selectorELNS0_4arch9wavefront6targetE1EEEvSI_: ; @_ZN7rocprim17ROCPRIM_400000_NS6detail17trampoline_kernelINS0_14default_configENS1_35radix_sort_onesweep_config_selectorIiiEEZZNS1_29radix_sort_onesweep_iterationIS3_Lb0EN6thrust23THRUST_200600_302600_NS6detail15normal_iteratorINS8_10device_ptrIiEEEESD_SD_SD_jNS0_19identity_decomposerENS1_16block_id_wrapperIjLb1EEEEE10hipError_tT1_PNSt15iterator_traitsISI_E10value_typeET2_T3_PNSJ_ISO_E10value_typeET4_T5_PST_SU_PNS1_23onesweep_lookback_stateEbbT6_jjT7_P12ihipStream_tbENKUlT_T0_SI_SN_E_clISD_SD_SD_SD_EEDaS11_S12_SI_SN_EUlS11_E_NS1_11comp_targetILNS1_3genE4ELNS1_11target_archE910ELNS1_3gpuE8ELNS1_3repE0EEENS1_47radix_sort_onesweep_sort_config_static_selectorELNS0_4arch9wavefront6targetE1EEEvSI_
; %bb.0:
	.section	.rodata,"a",@progbits
	.p2align	6, 0x0
	.amdhsa_kernel _ZN7rocprim17ROCPRIM_400000_NS6detail17trampoline_kernelINS0_14default_configENS1_35radix_sort_onesweep_config_selectorIiiEEZZNS1_29radix_sort_onesweep_iterationIS3_Lb0EN6thrust23THRUST_200600_302600_NS6detail15normal_iteratorINS8_10device_ptrIiEEEESD_SD_SD_jNS0_19identity_decomposerENS1_16block_id_wrapperIjLb1EEEEE10hipError_tT1_PNSt15iterator_traitsISI_E10value_typeET2_T3_PNSJ_ISO_E10value_typeET4_T5_PST_SU_PNS1_23onesweep_lookback_stateEbbT6_jjT7_P12ihipStream_tbENKUlT_T0_SI_SN_E_clISD_SD_SD_SD_EEDaS11_S12_SI_SN_EUlS11_E_NS1_11comp_targetILNS1_3genE4ELNS1_11target_archE910ELNS1_3gpuE8ELNS1_3repE0EEENS1_47radix_sort_onesweep_sort_config_static_selectorELNS0_4arch9wavefront6targetE1EEEvSI_
		.amdhsa_group_segment_fixed_size 0
		.amdhsa_private_segment_fixed_size 0
		.amdhsa_kernarg_size 88
		.amdhsa_user_sgpr_count 2
		.amdhsa_user_sgpr_dispatch_ptr 0
		.amdhsa_user_sgpr_queue_ptr 0
		.amdhsa_user_sgpr_kernarg_segment_ptr 1
		.amdhsa_user_sgpr_dispatch_id 0
		.amdhsa_user_sgpr_kernarg_preload_length 0
		.amdhsa_user_sgpr_kernarg_preload_offset 0
		.amdhsa_user_sgpr_private_segment_size 0
		.amdhsa_uses_dynamic_stack 0
		.amdhsa_enable_private_segment 0
		.amdhsa_system_sgpr_workgroup_id_x 1
		.amdhsa_system_sgpr_workgroup_id_y 0
		.amdhsa_system_sgpr_workgroup_id_z 0
		.amdhsa_system_sgpr_workgroup_info 0
		.amdhsa_system_vgpr_workitem_id 0
		.amdhsa_next_free_vgpr 1
		.amdhsa_next_free_sgpr 0
		.amdhsa_accum_offset 4
		.amdhsa_reserve_vcc 0
		.amdhsa_float_round_mode_32 0
		.amdhsa_float_round_mode_16_64 0
		.amdhsa_float_denorm_mode_32 3
		.amdhsa_float_denorm_mode_16_64 3
		.amdhsa_dx10_clamp 1
		.amdhsa_ieee_mode 1
		.amdhsa_fp16_overflow 0
		.amdhsa_tg_split 0
		.amdhsa_exception_fp_ieee_invalid_op 0
		.amdhsa_exception_fp_denorm_src 0
		.amdhsa_exception_fp_ieee_div_zero 0
		.amdhsa_exception_fp_ieee_overflow 0
		.amdhsa_exception_fp_ieee_underflow 0
		.amdhsa_exception_fp_ieee_inexact 0
		.amdhsa_exception_int_div_zero 0
	.end_amdhsa_kernel
	.section	.text._ZN7rocprim17ROCPRIM_400000_NS6detail17trampoline_kernelINS0_14default_configENS1_35radix_sort_onesweep_config_selectorIiiEEZZNS1_29radix_sort_onesweep_iterationIS3_Lb0EN6thrust23THRUST_200600_302600_NS6detail15normal_iteratorINS8_10device_ptrIiEEEESD_SD_SD_jNS0_19identity_decomposerENS1_16block_id_wrapperIjLb1EEEEE10hipError_tT1_PNSt15iterator_traitsISI_E10value_typeET2_T3_PNSJ_ISO_E10value_typeET4_T5_PST_SU_PNS1_23onesweep_lookback_stateEbbT6_jjT7_P12ihipStream_tbENKUlT_T0_SI_SN_E_clISD_SD_SD_SD_EEDaS11_S12_SI_SN_EUlS11_E_NS1_11comp_targetILNS1_3genE4ELNS1_11target_archE910ELNS1_3gpuE8ELNS1_3repE0EEENS1_47radix_sort_onesweep_sort_config_static_selectorELNS0_4arch9wavefront6targetE1EEEvSI_,"axG",@progbits,_ZN7rocprim17ROCPRIM_400000_NS6detail17trampoline_kernelINS0_14default_configENS1_35radix_sort_onesweep_config_selectorIiiEEZZNS1_29radix_sort_onesweep_iterationIS3_Lb0EN6thrust23THRUST_200600_302600_NS6detail15normal_iteratorINS8_10device_ptrIiEEEESD_SD_SD_jNS0_19identity_decomposerENS1_16block_id_wrapperIjLb1EEEEE10hipError_tT1_PNSt15iterator_traitsISI_E10value_typeET2_T3_PNSJ_ISO_E10value_typeET4_T5_PST_SU_PNS1_23onesweep_lookback_stateEbbT6_jjT7_P12ihipStream_tbENKUlT_T0_SI_SN_E_clISD_SD_SD_SD_EEDaS11_S12_SI_SN_EUlS11_E_NS1_11comp_targetILNS1_3genE4ELNS1_11target_archE910ELNS1_3gpuE8ELNS1_3repE0EEENS1_47radix_sort_onesweep_sort_config_static_selectorELNS0_4arch9wavefront6targetE1EEEvSI_,comdat
.Lfunc_end1423:
	.size	_ZN7rocprim17ROCPRIM_400000_NS6detail17trampoline_kernelINS0_14default_configENS1_35radix_sort_onesweep_config_selectorIiiEEZZNS1_29radix_sort_onesweep_iterationIS3_Lb0EN6thrust23THRUST_200600_302600_NS6detail15normal_iteratorINS8_10device_ptrIiEEEESD_SD_SD_jNS0_19identity_decomposerENS1_16block_id_wrapperIjLb1EEEEE10hipError_tT1_PNSt15iterator_traitsISI_E10value_typeET2_T3_PNSJ_ISO_E10value_typeET4_T5_PST_SU_PNS1_23onesweep_lookback_stateEbbT6_jjT7_P12ihipStream_tbENKUlT_T0_SI_SN_E_clISD_SD_SD_SD_EEDaS11_S12_SI_SN_EUlS11_E_NS1_11comp_targetILNS1_3genE4ELNS1_11target_archE910ELNS1_3gpuE8ELNS1_3repE0EEENS1_47radix_sort_onesweep_sort_config_static_selectorELNS0_4arch9wavefront6targetE1EEEvSI_, .Lfunc_end1423-_ZN7rocprim17ROCPRIM_400000_NS6detail17trampoline_kernelINS0_14default_configENS1_35radix_sort_onesweep_config_selectorIiiEEZZNS1_29radix_sort_onesweep_iterationIS3_Lb0EN6thrust23THRUST_200600_302600_NS6detail15normal_iteratorINS8_10device_ptrIiEEEESD_SD_SD_jNS0_19identity_decomposerENS1_16block_id_wrapperIjLb1EEEEE10hipError_tT1_PNSt15iterator_traitsISI_E10value_typeET2_T3_PNSJ_ISO_E10value_typeET4_T5_PST_SU_PNS1_23onesweep_lookback_stateEbbT6_jjT7_P12ihipStream_tbENKUlT_T0_SI_SN_E_clISD_SD_SD_SD_EEDaS11_S12_SI_SN_EUlS11_E_NS1_11comp_targetILNS1_3genE4ELNS1_11target_archE910ELNS1_3gpuE8ELNS1_3repE0EEENS1_47radix_sort_onesweep_sort_config_static_selectorELNS0_4arch9wavefront6targetE1EEEvSI_
                                        ; -- End function
	.set _ZN7rocprim17ROCPRIM_400000_NS6detail17trampoline_kernelINS0_14default_configENS1_35radix_sort_onesweep_config_selectorIiiEEZZNS1_29radix_sort_onesweep_iterationIS3_Lb0EN6thrust23THRUST_200600_302600_NS6detail15normal_iteratorINS8_10device_ptrIiEEEESD_SD_SD_jNS0_19identity_decomposerENS1_16block_id_wrapperIjLb1EEEEE10hipError_tT1_PNSt15iterator_traitsISI_E10value_typeET2_T3_PNSJ_ISO_E10value_typeET4_T5_PST_SU_PNS1_23onesweep_lookback_stateEbbT6_jjT7_P12ihipStream_tbENKUlT_T0_SI_SN_E_clISD_SD_SD_SD_EEDaS11_S12_SI_SN_EUlS11_E_NS1_11comp_targetILNS1_3genE4ELNS1_11target_archE910ELNS1_3gpuE8ELNS1_3repE0EEENS1_47radix_sort_onesweep_sort_config_static_selectorELNS0_4arch9wavefront6targetE1EEEvSI_.num_vgpr, 0
	.set _ZN7rocprim17ROCPRIM_400000_NS6detail17trampoline_kernelINS0_14default_configENS1_35radix_sort_onesweep_config_selectorIiiEEZZNS1_29radix_sort_onesweep_iterationIS3_Lb0EN6thrust23THRUST_200600_302600_NS6detail15normal_iteratorINS8_10device_ptrIiEEEESD_SD_SD_jNS0_19identity_decomposerENS1_16block_id_wrapperIjLb1EEEEE10hipError_tT1_PNSt15iterator_traitsISI_E10value_typeET2_T3_PNSJ_ISO_E10value_typeET4_T5_PST_SU_PNS1_23onesweep_lookback_stateEbbT6_jjT7_P12ihipStream_tbENKUlT_T0_SI_SN_E_clISD_SD_SD_SD_EEDaS11_S12_SI_SN_EUlS11_E_NS1_11comp_targetILNS1_3genE4ELNS1_11target_archE910ELNS1_3gpuE8ELNS1_3repE0EEENS1_47radix_sort_onesweep_sort_config_static_selectorELNS0_4arch9wavefront6targetE1EEEvSI_.num_agpr, 0
	.set _ZN7rocprim17ROCPRIM_400000_NS6detail17trampoline_kernelINS0_14default_configENS1_35radix_sort_onesweep_config_selectorIiiEEZZNS1_29radix_sort_onesweep_iterationIS3_Lb0EN6thrust23THRUST_200600_302600_NS6detail15normal_iteratorINS8_10device_ptrIiEEEESD_SD_SD_jNS0_19identity_decomposerENS1_16block_id_wrapperIjLb1EEEEE10hipError_tT1_PNSt15iterator_traitsISI_E10value_typeET2_T3_PNSJ_ISO_E10value_typeET4_T5_PST_SU_PNS1_23onesweep_lookback_stateEbbT6_jjT7_P12ihipStream_tbENKUlT_T0_SI_SN_E_clISD_SD_SD_SD_EEDaS11_S12_SI_SN_EUlS11_E_NS1_11comp_targetILNS1_3genE4ELNS1_11target_archE910ELNS1_3gpuE8ELNS1_3repE0EEENS1_47radix_sort_onesweep_sort_config_static_selectorELNS0_4arch9wavefront6targetE1EEEvSI_.numbered_sgpr, 0
	.set _ZN7rocprim17ROCPRIM_400000_NS6detail17trampoline_kernelINS0_14default_configENS1_35radix_sort_onesweep_config_selectorIiiEEZZNS1_29radix_sort_onesweep_iterationIS3_Lb0EN6thrust23THRUST_200600_302600_NS6detail15normal_iteratorINS8_10device_ptrIiEEEESD_SD_SD_jNS0_19identity_decomposerENS1_16block_id_wrapperIjLb1EEEEE10hipError_tT1_PNSt15iterator_traitsISI_E10value_typeET2_T3_PNSJ_ISO_E10value_typeET4_T5_PST_SU_PNS1_23onesweep_lookback_stateEbbT6_jjT7_P12ihipStream_tbENKUlT_T0_SI_SN_E_clISD_SD_SD_SD_EEDaS11_S12_SI_SN_EUlS11_E_NS1_11comp_targetILNS1_3genE4ELNS1_11target_archE910ELNS1_3gpuE8ELNS1_3repE0EEENS1_47radix_sort_onesweep_sort_config_static_selectorELNS0_4arch9wavefront6targetE1EEEvSI_.num_named_barrier, 0
	.set _ZN7rocprim17ROCPRIM_400000_NS6detail17trampoline_kernelINS0_14default_configENS1_35radix_sort_onesweep_config_selectorIiiEEZZNS1_29radix_sort_onesweep_iterationIS3_Lb0EN6thrust23THRUST_200600_302600_NS6detail15normal_iteratorINS8_10device_ptrIiEEEESD_SD_SD_jNS0_19identity_decomposerENS1_16block_id_wrapperIjLb1EEEEE10hipError_tT1_PNSt15iterator_traitsISI_E10value_typeET2_T3_PNSJ_ISO_E10value_typeET4_T5_PST_SU_PNS1_23onesweep_lookback_stateEbbT6_jjT7_P12ihipStream_tbENKUlT_T0_SI_SN_E_clISD_SD_SD_SD_EEDaS11_S12_SI_SN_EUlS11_E_NS1_11comp_targetILNS1_3genE4ELNS1_11target_archE910ELNS1_3gpuE8ELNS1_3repE0EEENS1_47radix_sort_onesweep_sort_config_static_selectorELNS0_4arch9wavefront6targetE1EEEvSI_.private_seg_size, 0
	.set _ZN7rocprim17ROCPRIM_400000_NS6detail17trampoline_kernelINS0_14default_configENS1_35radix_sort_onesweep_config_selectorIiiEEZZNS1_29radix_sort_onesweep_iterationIS3_Lb0EN6thrust23THRUST_200600_302600_NS6detail15normal_iteratorINS8_10device_ptrIiEEEESD_SD_SD_jNS0_19identity_decomposerENS1_16block_id_wrapperIjLb1EEEEE10hipError_tT1_PNSt15iterator_traitsISI_E10value_typeET2_T3_PNSJ_ISO_E10value_typeET4_T5_PST_SU_PNS1_23onesweep_lookback_stateEbbT6_jjT7_P12ihipStream_tbENKUlT_T0_SI_SN_E_clISD_SD_SD_SD_EEDaS11_S12_SI_SN_EUlS11_E_NS1_11comp_targetILNS1_3genE4ELNS1_11target_archE910ELNS1_3gpuE8ELNS1_3repE0EEENS1_47radix_sort_onesweep_sort_config_static_selectorELNS0_4arch9wavefront6targetE1EEEvSI_.uses_vcc, 0
	.set _ZN7rocprim17ROCPRIM_400000_NS6detail17trampoline_kernelINS0_14default_configENS1_35radix_sort_onesweep_config_selectorIiiEEZZNS1_29radix_sort_onesweep_iterationIS3_Lb0EN6thrust23THRUST_200600_302600_NS6detail15normal_iteratorINS8_10device_ptrIiEEEESD_SD_SD_jNS0_19identity_decomposerENS1_16block_id_wrapperIjLb1EEEEE10hipError_tT1_PNSt15iterator_traitsISI_E10value_typeET2_T3_PNSJ_ISO_E10value_typeET4_T5_PST_SU_PNS1_23onesweep_lookback_stateEbbT6_jjT7_P12ihipStream_tbENKUlT_T0_SI_SN_E_clISD_SD_SD_SD_EEDaS11_S12_SI_SN_EUlS11_E_NS1_11comp_targetILNS1_3genE4ELNS1_11target_archE910ELNS1_3gpuE8ELNS1_3repE0EEENS1_47radix_sort_onesweep_sort_config_static_selectorELNS0_4arch9wavefront6targetE1EEEvSI_.uses_flat_scratch, 0
	.set _ZN7rocprim17ROCPRIM_400000_NS6detail17trampoline_kernelINS0_14default_configENS1_35radix_sort_onesweep_config_selectorIiiEEZZNS1_29radix_sort_onesweep_iterationIS3_Lb0EN6thrust23THRUST_200600_302600_NS6detail15normal_iteratorINS8_10device_ptrIiEEEESD_SD_SD_jNS0_19identity_decomposerENS1_16block_id_wrapperIjLb1EEEEE10hipError_tT1_PNSt15iterator_traitsISI_E10value_typeET2_T3_PNSJ_ISO_E10value_typeET4_T5_PST_SU_PNS1_23onesweep_lookback_stateEbbT6_jjT7_P12ihipStream_tbENKUlT_T0_SI_SN_E_clISD_SD_SD_SD_EEDaS11_S12_SI_SN_EUlS11_E_NS1_11comp_targetILNS1_3genE4ELNS1_11target_archE910ELNS1_3gpuE8ELNS1_3repE0EEENS1_47radix_sort_onesweep_sort_config_static_selectorELNS0_4arch9wavefront6targetE1EEEvSI_.has_dyn_sized_stack, 0
	.set _ZN7rocprim17ROCPRIM_400000_NS6detail17trampoline_kernelINS0_14default_configENS1_35radix_sort_onesweep_config_selectorIiiEEZZNS1_29radix_sort_onesweep_iterationIS3_Lb0EN6thrust23THRUST_200600_302600_NS6detail15normal_iteratorINS8_10device_ptrIiEEEESD_SD_SD_jNS0_19identity_decomposerENS1_16block_id_wrapperIjLb1EEEEE10hipError_tT1_PNSt15iterator_traitsISI_E10value_typeET2_T3_PNSJ_ISO_E10value_typeET4_T5_PST_SU_PNS1_23onesweep_lookback_stateEbbT6_jjT7_P12ihipStream_tbENKUlT_T0_SI_SN_E_clISD_SD_SD_SD_EEDaS11_S12_SI_SN_EUlS11_E_NS1_11comp_targetILNS1_3genE4ELNS1_11target_archE910ELNS1_3gpuE8ELNS1_3repE0EEENS1_47radix_sort_onesweep_sort_config_static_selectorELNS0_4arch9wavefront6targetE1EEEvSI_.has_recursion, 0
	.set _ZN7rocprim17ROCPRIM_400000_NS6detail17trampoline_kernelINS0_14default_configENS1_35radix_sort_onesweep_config_selectorIiiEEZZNS1_29radix_sort_onesweep_iterationIS3_Lb0EN6thrust23THRUST_200600_302600_NS6detail15normal_iteratorINS8_10device_ptrIiEEEESD_SD_SD_jNS0_19identity_decomposerENS1_16block_id_wrapperIjLb1EEEEE10hipError_tT1_PNSt15iterator_traitsISI_E10value_typeET2_T3_PNSJ_ISO_E10value_typeET4_T5_PST_SU_PNS1_23onesweep_lookback_stateEbbT6_jjT7_P12ihipStream_tbENKUlT_T0_SI_SN_E_clISD_SD_SD_SD_EEDaS11_S12_SI_SN_EUlS11_E_NS1_11comp_targetILNS1_3genE4ELNS1_11target_archE910ELNS1_3gpuE8ELNS1_3repE0EEENS1_47radix_sort_onesweep_sort_config_static_selectorELNS0_4arch9wavefront6targetE1EEEvSI_.has_indirect_call, 0
	.section	.AMDGPU.csdata,"",@progbits
; Kernel info:
; codeLenInByte = 0
; TotalNumSgprs: 6
; NumVgprs: 0
; NumAgprs: 0
; TotalNumVgprs: 0
; ScratchSize: 0
; MemoryBound: 0
; FloatMode: 240
; IeeeMode: 1
; LDSByteSize: 0 bytes/workgroup (compile time only)
; SGPRBlocks: 0
; VGPRBlocks: 0
; NumSGPRsForWavesPerEU: 6
; NumVGPRsForWavesPerEU: 1
; AccumOffset: 4
; Occupancy: 8
; WaveLimiterHint : 0
; COMPUTE_PGM_RSRC2:SCRATCH_EN: 0
; COMPUTE_PGM_RSRC2:USER_SGPR: 2
; COMPUTE_PGM_RSRC2:TRAP_HANDLER: 0
; COMPUTE_PGM_RSRC2:TGID_X_EN: 1
; COMPUTE_PGM_RSRC2:TGID_Y_EN: 0
; COMPUTE_PGM_RSRC2:TGID_Z_EN: 0
; COMPUTE_PGM_RSRC2:TIDIG_COMP_CNT: 0
; COMPUTE_PGM_RSRC3_GFX90A:ACCUM_OFFSET: 0
; COMPUTE_PGM_RSRC3_GFX90A:TG_SPLIT: 0
	.section	.text._ZN7rocprim17ROCPRIM_400000_NS6detail17trampoline_kernelINS0_14default_configENS1_35radix_sort_onesweep_config_selectorIiiEEZZNS1_29radix_sort_onesweep_iterationIS3_Lb0EN6thrust23THRUST_200600_302600_NS6detail15normal_iteratorINS8_10device_ptrIiEEEESD_SD_SD_jNS0_19identity_decomposerENS1_16block_id_wrapperIjLb1EEEEE10hipError_tT1_PNSt15iterator_traitsISI_E10value_typeET2_T3_PNSJ_ISO_E10value_typeET4_T5_PST_SU_PNS1_23onesweep_lookback_stateEbbT6_jjT7_P12ihipStream_tbENKUlT_T0_SI_SN_E_clISD_SD_SD_SD_EEDaS11_S12_SI_SN_EUlS11_E_NS1_11comp_targetILNS1_3genE3ELNS1_11target_archE908ELNS1_3gpuE7ELNS1_3repE0EEENS1_47radix_sort_onesweep_sort_config_static_selectorELNS0_4arch9wavefront6targetE1EEEvSI_,"axG",@progbits,_ZN7rocprim17ROCPRIM_400000_NS6detail17trampoline_kernelINS0_14default_configENS1_35radix_sort_onesweep_config_selectorIiiEEZZNS1_29radix_sort_onesweep_iterationIS3_Lb0EN6thrust23THRUST_200600_302600_NS6detail15normal_iteratorINS8_10device_ptrIiEEEESD_SD_SD_jNS0_19identity_decomposerENS1_16block_id_wrapperIjLb1EEEEE10hipError_tT1_PNSt15iterator_traitsISI_E10value_typeET2_T3_PNSJ_ISO_E10value_typeET4_T5_PST_SU_PNS1_23onesweep_lookback_stateEbbT6_jjT7_P12ihipStream_tbENKUlT_T0_SI_SN_E_clISD_SD_SD_SD_EEDaS11_S12_SI_SN_EUlS11_E_NS1_11comp_targetILNS1_3genE3ELNS1_11target_archE908ELNS1_3gpuE7ELNS1_3repE0EEENS1_47radix_sort_onesweep_sort_config_static_selectorELNS0_4arch9wavefront6targetE1EEEvSI_,comdat
	.protected	_ZN7rocprim17ROCPRIM_400000_NS6detail17trampoline_kernelINS0_14default_configENS1_35radix_sort_onesweep_config_selectorIiiEEZZNS1_29radix_sort_onesweep_iterationIS3_Lb0EN6thrust23THRUST_200600_302600_NS6detail15normal_iteratorINS8_10device_ptrIiEEEESD_SD_SD_jNS0_19identity_decomposerENS1_16block_id_wrapperIjLb1EEEEE10hipError_tT1_PNSt15iterator_traitsISI_E10value_typeET2_T3_PNSJ_ISO_E10value_typeET4_T5_PST_SU_PNS1_23onesweep_lookback_stateEbbT6_jjT7_P12ihipStream_tbENKUlT_T0_SI_SN_E_clISD_SD_SD_SD_EEDaS11_S12_SI_SN_EUlS11_E_NS1_11comp_targetILNS1_3genE3ELNS1_11target_archE908ELNS1_3gpuE7ELNS1_3repE0EEENS1_47radix_sort_onesweep_sort_config_static_selectorELNS0_4arch9wavefront6targetE1EEEvSI_ ; -- Begin function _ZN7rocprim17ROCPRIM_400000_NS6detail17trampoline_kernelINS0_14default_configENS1_35radix_sort_onesweep_config_selectorIiiEEZZNS1_29radix_sort_onesweep_iterationIS3_Lb0EN6thrust23THRUST_200600_302600_NS6detail15normal_iteratorINS8_10device_ptrIiEEEESD_SD_SD_jNS0_19identity_decomposerENS1_16block_id_wrapperIjLb1EEEEE10hipError_tT1_PNSt15iterator_traitsISI_E10value_typeET2_T3_PNSJ_ISO_E10value_typeET4_T5_PST_SU_PNS1_23onesweep_lookback_stateEbbT6_jjT7_P12ihipStream_tbENKUlT_T0_SI_SN_E_clISD_SD_SD_SD_EEDaS11_S12_SI_SN_EUlS11_E_NS1_11comp_targetILNS1_3genE3ELNS1_11target_archE908ELNS1_3gpuE7ELNS1_3repE0EEENS1_47radix_sort_onesweep_sort_config_static_selectorELNS0_4arch9wavefront6targetE1EEEvSI_
	.globl	_ZN7rocprim17ROCPRIM_400000_NS6detail17trampoline_kernelINS0_14default_configENS1_35radix_sort_onesweep_config_selectorIiiEEZZNS1_29radix_sort_onesweep_iterationIS3_Lb0EN6thrust23THRUST_200600_302600_NS6detail15normal_iteratorINS8_10device_ptrIiEEEESD_SD_SD_jNS0_19identity_decomposerENS1_16block_id_wrapperIjLb1EEEEE10hipError_tT1_PNSt15iterator_traitsISI_E10value_typeET2_T3_PNSJ_ISO_E10value_typeET4_T5_PST_SU_PNS1_23onesweep_lookback_stateEbbT6_jjT7_P12ihipStream_tbENKUlT_T0_SI_SN_E_clISD_SD_SD_SD_EEDaS11_S12_SI_SN_EUlS11_E_NS1_11comp_targetILNS1_3genE3ELNS1_11target_archE908ELNS1_3gpuE7ELNS1_3repE0EEENS1_47radix_sort_onesweep_sort_config_static_selectorELNS0_4arch9wavefront6targetE1EEEvSI_
	.p2align	8
	.type	_ZN7rocprim17ROCPRIM_400000_NS6detail17trampoline_kernelINS0_14default_configENS1_35radix_sort_onesweep_config_selectorIiiEEZZNS1_29radix_sort_onesweep_iterationIS3_Lb0EN6thrust23THRUST_200600_302600_NS6detail15normal_iteratorINS8_10device_ptrIiEEEESD_SD_SD_jNS0_19identity_decomposerENS1_16block_id_wrapperIjLb1EEEEE10hipError_tT1_PNSt15iterator_traitsISI_E10value_typeET2_T3_PNSJ_ISO_E10value_typeET4_T5_PST_SU_PNS1_23onesweep_lookback_stateEbbT6_jjT7_P12ihipStream_tbENKUlT_T0_SI_SN_E_clISD_SD_SD_SD_EEDaS11_S12_SI_SN_EUlS11_E_NS1_11comp_targetILNS1_3genE3ELNS1_11target_archE908ELNS1_3gpuE7ELNS1_3repE0EEENS1_47radix_sort_onesweep_sort_config_static_selectorELNS0_4arch9wavefront6targetE1EEEvSI_,@function
_ZN7rocprim17ROCPRIM_400000_NS6detail17trampoline_kernelINS0_14default_configENS1_35radix_sort_onesweep_config_selectorIiiEEZZNS1_29radix_sort_onesweep_iterationIS3_Lb0EN6thrust23THRUST_200600_302600_NS6detail15normal_iteratorINS8_10device_ptrIiEEEESD_SD_SD_jNS0_19identity_decomposerENS1_16block_id_wrapperIjLb1EEEEE10hipError_tT1_PNSt15iterator_traitsISI_E10value_typeET2_T3_PNSJ_ISO_E10value_typeET4_T5_PST_SU_PNS1_23onesweep_lookback_stateEbbT6_jjT7_P12ihipStream_tbENKUlT_T0_SI_SN_E_clISD_SD_SD_SD_EEDaS11_S12_SI_SN_EUlS11_E_NS1_11comp_targetILNS1_3genE3ELNS1_11target_archE908ELNS1_3gpuE7ELNS1_3repE0EEENS1_47radix_sort_onesweep_sort_config_static_selectorELNS0_4arch9wavefront6targetE1EEEvSI_: ; @_ZN7rocprim17ROCPRIM_400000_NS6detail17trampoline_kernelINS0_14default_configENS1_35radix_sort_onesweep_config_selectorIiiEEZZNS1_29radix_sort_onesweep_iterationIS3_Lb0EN6thrust23THRUST_200600_302600_NS6detail15normal_iteratorINS8_10device_ptrIiEEEESD_SD_SD_jNS0_19identity_decomposerENS1_16block_id_wrapperIjLb1EEEEE10hipError_tT1_PNSt15iterator_traitsISI_E10value_typeET2_T3_PNSJ_ISO_E10value_typeET4_T5_PST_SU_PNS1_23onesweep_lookback_stateEbbT6_jjT7_P12ihipStream_tbENKUlT_T0_SI_SN_E_clISD_SD_SD_SD_EEDaS11_S12_SI_SN_EUlS11_E_NS1_11comp_targetILNS1_3genE3ELNS1_11target_archE908ELNS1_3gpuE7ELNS1_3repE0EEENS1_47radix_sort_onesweep_sort_config_static_selectorELNS0_4arch9wavefront6targetE1EEEvSI_
; %bb.0:
	.section	.rodata,"a",@progbits
	.p2align	6, 0x0
	.amdhsa_kernel _ZN7rocprim17ROCPRIM_400000_NS6detail17trampoline_kernelINS0_14default_configENS1_35radix_sort_onesweep_config_selectorIiiEEZZNS1_29radix_sort_onesweep_iterationIS3_Lb0EN6thrust23THRUST_200600_302600_NS6detail15normal_iteratorINS8_10device_ptrIiEEEESD_SD_SD_jNS0_19identity_decomposerENS1_16block_id_wrapperIjLb1EEEEE10hipError_tT1_PNSt15iterator_traitsISI_E10value_typeET2_T3_PNSJ_ISO_E10value_typeET4_T5_PST_SU_PNS1_23onesweep_lookback_stateEbbT6_jjT7_P12ihipStream_tbENKUlT_T0_SI_SN_E_clISD_SD_SD_SD_EEDaS11_S12_SI_SN_EUlS11_E_NS1_11comp_targetILNS1_3genE3ELNS1_11target_archE908ELNS1_3gpuE7ELNS1_3repE0EEENS1_47radix_sort_onesweep_sort_config_static_selectorELNS0_4arch9wavefront6targetE1EEEvSI_
		.amdhsa_group_segment_fixed_size 0
		.amdhsa_private_segment_fixed_size 0
		.amdhsa_kernarg_size 88
		.amdhsa_user_sgpr_count 2
		.amdhsa_user_sgpr_dispatch_ptr 0
		.amdhsa_user_sgpr_queue_ptr 0
		.amdhsa_user_sgpr_kernarg_segment_ptr 1
		.amdhsa_user_sgpr_dispatch_id 0
		.amdhsa_user_sgpr_kernarg_preload_length 0
		.amdhsa_user_sgpr_kernarg_preload_offset 0
		.amdhsa_user_sgpr_private_segment_size 0
		.amdhsa_uses_dynamic_stack 0
		.amdhsa_enable_private_segment 0
		.amdhsa_system_sgpr_workgroup_id_x 1
		.amdhsa_system_sgpr_workgroup_id_y 0
		.amdhsa_system_sgpr_workgroup_id_z 0
		.amdhsa_system_sgpr_workgroup_info 0
		.amdhsa_system_vgpr_workitem_id 0
		.amdhsa_next_free_vgpr 1
		.amdhsa_next_free_sgpr 0
		.amdhsa_accum_offset 4
		.amdhsa_reserve_vcc 0
		.amdhsa_float_round_mode_32 0
		.amdhsa_float_round_mode_16_64 0
		.amdhsa_float_denorm_mode_32 3
		.amdhsa_float_denorm_mode_16_64 3
		.amdhsa_dx10_clamp 1
		.amdhsa_ieee_mode 1
		.amdhsa_fp16_overflow 0
		.amdhsa_tg_split 0
		.amdhsa_exception_fp_ieee_invalid_op 0
		.amdhsa_exception_fp_denorm_src 0
		.amdhsa_exception_fp_ieee_div_zero 0
		.amdhsa_exception_fp_ieee_overflow 0
		.amdhsa_exception_fp_ieee_underflow 0
		.amdhsa_exception_fp_ieee_inexact 0
		.amdhsa_exception_int_div_zero 0
	.end_amdhsa_kernel
	.section	.text._ZN7rocprim17ROCPRIM_400000_NS6detail17trampoline_kernelINS0_14default_configENS1_35radix_sort_onesweep_config_selectorIiiEEZZNS1_29radix_sort_onesweep_iterationIS3_Lb0EN6thrust23THRUST_200600_302600_NS6detail15normal_iteratorINS8_10device_ptrIiEEEESD_SD_SD_jNS0_19identity_decomposerENS1_16block_id_wrapperIjLb1EEEEE10hipError_tT1_PNSt15iterator_traitsISI_E10value_typeET2_T3_PNSJ_ISO_E10value_typeET4_T5_PST_SU_PNS1_23onesweep_lookback_stateEbbT6_jjT7_P12ihipStream_tbENKUlT_T0_SI_SN_E_clISD_SD_SD_SD_EEDaS11_S12_SI_SN_EUlS11_E_NS1_11comp_targetILNS1_3genE3ELNS1_11target_archE908ELNS1_3gpuE7ELNS1_3repE0EEENS1_47radix_sort_onesweep_sort_config_static_selectorELNS0_4arch9wavefront6targetE1EEEvSI_,"axG",@progbits,_ZN7rocprim17ROCPRIM_400000_NS6detail17trampoline_kernelINS0_14default_configENS1_35radix_sort_onesweep_config_selectorIiiEEZZNS1_29radix_sort_onesweep_iterationIS3_Lb0EN6thrust23THRUST_200600_302600_NS6detail15normal_iteratorINS8_10device_ptrIiEEEESD_SD_SD_jNS0_19identity_decomposerENS1_16block_id_wrapperIjLb1EEEEE10hipError_tT1_PNSt15iterator_traitsISI_E10value_typeET2_T3_PNSJ_ISO_E10value_typeET4_T5_PST_SU_PNS1_23onesweep_lookback_stateEbbT6_jjT7_P12ihipStream_tbENKUlT_T0_SI_SN_E_clISD_SD_SD_SD_EEDaS11_S12_SI_SN_EUlS11_E_NS1_11comp_targetILNS1_3genE3ELNS1_11target_archE908ELNS1_3gpuE7ELNS1_3repE0EEENS1_47radix_sort_onesweep_sort_config_static_selectorELNS0_4arch9wavefront6targetE1EEEvSI_,comdat
.Lfunc_end1424:
	.size	_ZN7rocprim17ROCPRIM_400000_NS6detail17trampoline_kernelINS0_14default_configENS1_35radix_sort_onesweep_config_selectorIiiEEZZNS1_29radix_sort_onesweep_iterationIS3_Lb0EN6thrust23THRUST_200600_302600_NS6detail15normal_iteratorINS8_10device_ptrIiEEEESD_SD_SD_jNS0_19identity_decomposerENS1_16block_id_wrapperIjLb1EEEEE10hipError_tT1_PNSt15iterator_traitsISI_E10value_typeET2_T3_PNSJ_ISO_E10value_typeET4_T5_PST_SU_PNS1_23onesweep_lookback_stateEbbT6_jjT7_P12ihipStream_tbENKUlT_T0_SI_SN_E_clISD_SD_SD_SD_EEDaS11_S12_SI_SN_EUlS11_E_NS1_11comp_targetILNS1_3genE3ELNS1_11target_archE908ELNS1_3gpuE7ELNS1_3repE0EEENS1_47radix_sort_onesweep_sort_config_static_selectorELNS0_4arch9wavefront6targetE1EEEvSI_, .Lfunc_end1424-_ZN7rocprim17ROCPRIM_400000_NS6detail17trampoline_kernelINS0_14default_configENS1_35radix_sort_onesweep_config_selectorIiiEEZZNS1_29radix_sort_onesweep_iterationIS3_Lb0EN6thrust23THRUST_200600_302600_NS6detail15normal_iteratorINS8_10device_ptrIiEEEESD_SD_SD_jNS0_19identity_decomposerENS1_16block_id_wrapperIjLb1EEEEE10hipError_tT1_PNSt15iterator_traitsISI_E10value_typeET2_T3_PNSJ_ISO_E10value_typeET4_T5_PST_SU_PNS1_23onesweep_lookback_stateEbbT6_jjT7_P12ihipStream_tbENKUlT_T0_SI_SN_E_clISD_SD_SD_SD_EEDaS11_S12_SI_SN_EUlS11_E_NS1_11comp_targetILNS1_3genE3ELNS1_11target_archE908ELNS1_3gpuE7ELNS1_3repE0EEENS1_47radix_sort_onesweep_sort_config_static_selectorELNS0_4arch9wavefront6targetE1EEEvSI_
                                        ; -- End function
	.set _ZN7rocprim17ROCPRIM_400000_NS6detail17trampoline_kernelINS0_14default_configENS1_35radix_sort_onesweep_config_selectorIiiEEZZNS1_29radix_sort_onesweep_iterationIS3_Lb0EN6thrust23THRUST_200600_302600_NS6detail15normal_iteratorINS8_10device_ptrIiEEEESD_SD_SD_jNS0_19identity_decomposerENS1_16block_id_wrapperIjLb1EEEEE10hipError_tT1_PNSt15iterator_traitsISI_E10value_typeET2_T3_PNSJ_ISO_E10value_typeET4_T5_PST_SU_PNS1_23onesweep_lookback_stateEbbT6_jjT7_P12ihipStream_tbENKUlT_T0_SI_SN_E_clISD_SD_SD_SD_EEDaS11_S12_SI_SN_EUlS11_E_NS1_11comp_targetILNS1_3genE3ELNS1_11target_archE908ELNS1_3gpuE7ELNS1_3repE0EEENS1_47radix_sort_onesweep_sort_config_static_selectorELNS0_4arch9wavefront6targetE1EEEvSI_.num_vgpr, 0
	.set _ZN7rocprim17ROCPRIM_400000_NS6detail17trampoline_kernelINS0_14default_configENS1_35radix_sort_onesweep_config_selectorIiiEEZZNS1_29radix_sort_onesweep_iterationIS3_Lb0EN6thrust23THRUST_200600_302600_NS6detail15normal_iteratorINS8_10device_ptrIiEEEESD_SD_SD_jNS0_19identity_decomposerENS1_16block_id_wrapperIjLb1EEEEE10hipError_tT1_PNSt15iterator_traitsISI_E10value_typeET2_T3_PNSJ_ISO_E10value_typeET4_T5_PST_SU_PNS1_23onesweep_lookback_stateEbbT6_jjT7_P12ihipStream_tbENKUlT_T0_SI_SN_E_clISD_SD_SD_SD_EEDaS11_S12_SI_SN_EUlS11_E_NS1_11comp_targetILNS1_3genE3ELNS1_11target_archE908ELNS1_3gpuE7ELNS1_3repE0EEENS1_47radix_sort_onesweep_sort_config_static_selectorELNS0_4arch9wavefront6targetE1EEEvSI_.num_agpr, 0
	.set _ZN7rocprim17ROCPRIM_400000_NS6detail17trampoline_kernelINS0_14default_configENS1_35radix_sort_onesweep_config_selectorIiiEEZZNS1_29radix_sort_onesweep_iterationIS3_Lb0EN6thrust23THRUST_200600_302600_NS6detail15normal_iteratorINS8_10device_ptrIiEEEESD_SD_SD_jNS0_19identity_decomposerENS1_16block_id_wrapperIjLb1EEEEE10hipError_tT1_PNSt15iterator_traitsISI_E10value_typeET2_T3_PNSJ_ISO_E10value_typeET4_T5_PST_SU_PNS1_23onesweep_lookback_stateEbbT6_jjT7_P12ihipStream_tbENKUlT_T0_SI_SN_E_clISD_SD_SD_SD_EEDaS11_S12_SI_SN_EUlS11_E_NS1_11comp_targetILNS1_3genE3ELNS1_11target_archE908ELNS1_3gpuE7ELNS1_3repE0EEENS1_47radix_sort_onesweep_sort_config_static_selectorELNS0_4arch9wavefront6targetE1EEEvSI_.numbered_sgpr, 0
	.set _ZN7rocprim17ROCPRIM_400000_NS6detail17trampoline_kernelINS0_14default_configENS1_35radix_sort_onesweep_config_selectorIiiEEZZNS1_29radix_sort_onesweep_iterationIS3_Lb0EN6thrust23THRUST_200600_302600_NS6detail15normal_iteratorINS8_10device_ptrIiEEEESD_SD_SD_jNS0_19identity_decomposerENS1_16block_id_wrapperIjLb1EEEEE10hipError_tT1_PNSt15iterator_traitsISI_E10value_typeET2_T3_PNSJ_ISO_E10value_typeET4_T5_PST_SU_PNS1_23onesweep_lookback_stateEbbT6_jjT7_P12ihipStream_tbENKUlT_T0_SI_SN_E_clISD_SD_SD_SD_EEDaS11_S12_SI_SN_EUlS11_E_NS1_11comp_targetILNS1_3genE3ELNS1_11target_archE908ELNS1_3gpuE7ELNS1_3repE0EEENS1_47radix_sort_onesweep_sort_config_static_selectorELNS0_4arch9wavefront6targetE1EEEvSI_.num_named_barrier, 0
	.set _ZN7rocprim17ROCPRIM_400000_NS6detail17trampoline_kernelINS0_14default_configENS1_35radix_sort_onesweep_config_selectorIiiEEZZNS1_29radix_sort_onesweep_iterationIS3_Lb0EN6thrust23THRUST_200600_302600_NS6detail15normal_iteratorINS8_10device_ptrIiEEEESD_SD_SD_jNS0_19identity_decomposerENS1_16block_id_wrapperIjLb1EEEEE10hipError_tT1_PNSt15iterator_traitsISI_E10value_typeET2_T3_PNSJ_ISO_E10value_typeET4_T5_PST_SU_PNS1_23onesweep_lookback_stateEbbT6_jjT7_P12ihipStream_tbENKUlT_T0_SI_SN_E_clISD_SD_SD_SD_EEDaS11_S12_SI_SN_EUlS11_E_NS1_11comp_targetILNS1_3genE3ELNS1_11target_archE908ELNS1_3gpuE7ELNS1_3repE0EEENS1_47radix_sort_onesweep_sort_config_static_selectorELNS0_4arch9wavefront6targetE1EEEvSI_.private_seg_size, 0
	.set _ZN7rocprim17ROCPRIM_400000_NS6detail17trampoline_kernelINS0_14default_configENS1_35radix_sort_onesweep_config_selectorIiiEEZZNS1_29radix_sort_onesweep_iterationIS3_Lb0EN6thrust23THRUST_200600_302600_NS6detail15normal_iteratorINS8_10device_ptrIiEEEESD_SD_SD_jNS0_19identity_decomposerENS1_16block_id_wrapperIjLb1EEEEE10hipError_tT1_PNSt15iterator_traitsISI_E10value_typeET2_T3_PNSJ_ISO_E10value_typeET4_T5_PST_SU_PNS1_23onesweep_lookback_stateEbbT6_jjT7_P12ihipStream_tbENKUlT_T0_SI_SN_E_clISD_SD_SD_SD_EEDaS11_S12_SI_SN_EUlS11_E_NS1_11comp_targetILNS1_3genE3ELNS1_11target_archE908ELNS1_3gpuE7ELNS1_3repE0EEENS1_47radix_sort_onesweep_sort_config_static_selectorELNS0_4arch9wavefront6targetE1EEEvSI_.uses_vcc, 0
	.set _ZN7rocprim17ROCPRIM_400000_NS6detail17trampoline_kernelINS0_14default_configENS1_35radix_sort_onesweep_config_selectorIiiEEZZNS1_29radix_sort_onesweep_iterationIS3_Lb0EN6thrust23THRUST_200600_302600_NS6detail15normal_iteratorINS8_10device_ptrIiEEEESD_SD_SD_jNS0_19identity_decomposerENS1_16block_id_wrapperIjLb1EEEEE10hipError_tT1_PNSt15iterator_traitsISI_E10value_typeET2_T3_PNSJ_ISO_E10value_typeET4_T5_PST_SU_PNS1_23onesweep_lookback_stateEbbT6_jjT7_P12ihipStream_tbENKUlT_T0_SI_SN_E_clISD_SD_SD_SD_EEDaS11_S12_SI_SN_EUlS11_E_NS1_11comp_targetILNS1_3genE3ELNS1_11target_archE908ELNS1_3gpuE7ELNS1_3repE0EEENS1_47radix_sort_onesweep_sort_config_static_selectorELNS0_4arch9wavefront6targetE1EEEvSI_.uses_flat_scratch, 0
	.set _ZN7rocprim17ROCPRIM_400000_NS6detail17trampoline_kernelINS0_14default_configENS1_35radix_sort_onesweep_config_selectorIiiEEZZNS1_29radix_sort_onesweep_iterationIS3_Lb0EN6thrust23THRUST_200600_302600_NS6detail15normal_iteratorINS8_10device_ptrIiEEEESD_SD_SD_jNS0_19identity_decomposerENS1_16block_id_wrapperIjLb1EEEEE10hipError_tT1_PNSt15iterator_traitsISI_E10value_typeET2_T3_PNSJ_ISO_E10value_typeET4_T5_PST_SU_PNS1_23onesweep_lookback_stateEbbT6_jjT7_P12ihipStream_tbENKUlT_T0_SI_SN_E_clISD_SD_SD_SD_EEDaS11_S12_SI_SN_EUlS11_E_NS1_11comp_targetILNS1_3genE3ELNS1_11target_archE908ELNS1_3gpuE7ELNS1_3repE0EEENS1_47radix_sort_onesweep_sort_config_static_selectorELNS0_4arch9wavefront6targetE1EEEvSI_.has_dyn_sized_stack, 0
	.set _ZN7rocprim17ROCPRIM_400000_NS6detail17trampoline_kernelINS0_14default_configENS1_35radix_sort_onesweep_config_selectorIiiEEZZNS1_29radix_sort_onesweep_iterationIS3_Lb0EN6thrust23THRUST_200600_302600_NS6detail15normal_iteratorINS8_10device_ptrIiEEEESD_SD_SD_jNS0_19identity_decomposerENS1_16block_id_wrapperIjLb1EEEEE10hipError_tT1_PNSt15iterator_traitsISI_E10value_typeET2_T3_PNSJ_ISO_E10value_typeET4_T5_PST_SU_PNS1_23onesweep_lookback_stateEbbT6_jjT7_P12ihipStream_tbENKUlT_T0_SI_SN_E_clISD_SD_SD_SD_EEDaS11_S12_SI_SN_EUlS11_E_NS1_11comp_targetILNS1_3genE3ELNS1_11target_archE908ELNS1_3gpuE7ELNS1_3repE0EEENS1_47radix_sort_onesweep_sort_config_static_selectorELNS0_4arch9wavefront6targetE1EEEvSI_.has_recursion, 0
	.set _ZN7rocprim17ROCPRIM_400000_NS6detail17trampoline_kernelINS0_14default_configENS1_35radix_sort_onesweep_config_selectorIiiEEZZNS1_29radix_sort_onesweep_iterationIS3_Lb0EN6thrust23THRUST_200600_302600_NS6detail15normal_iteratorINS8_10device_ptrIiEEEESD_SD_SD_jNS0_19identity_decomposerENS1_16block_id_wrapperIjLb1EEEEE10hipError_tT1_PNSt15iterator_traitsISI_E10value_typeET2_T3_PNSJ_ISO_E10value_typeET4_T5_PST_SU_PNS1_23onesweep_lookback_stateEbbT6_jjT7_P12ihipStream_tbENKUlT_T0_SI_SN_E_clISD_SD_SD_SD_EEDaS11_S12_SI_SN_EUlS11_E_NS1_11comp_targetILNS1_3genE3ELNS1_11target_archE908ELNS1_3gpuE7ELNS1_3repE0EEENS1_47radix_sort_onesweep_sort_config_static_selectorELNS0_4arch9wavefront6targetE1EEEvSI_.has_indirect_call, 0
	.section	.AMDGPU.csdata,"",@progbits
; Kernel info:
; codeLenInByte = 0
; TotalNumSgprs: 6
; NumVgprs: 0
; NumAgprs: 0
; TotalNumVgprs: 0
; ScratchSize: 0
; MemoryBound: 0
; FloatMode: 240
; IeeeMode: 1
; LDSByteSize: 0 bytes/workgroup (compile time only)
; SGPRBlocks: 0
; VGPRBlocks: 0
; NumSGPRsForWavesPerEU: 6
; NumVGPRsForWavesPerEU: 1
; AccumOffset: 4
; Occupancy: 8
; WaveLimiterHint : 0
; COMPUTE_PGM_RSRC2:SCRATCH_EN: 0
; COMPUTE_PGM_RSRC2:USER_SGPR: 2
; COMPUTE_PGM_RSRC2:TRAP_HANDLER: 0
; COMPUTE_PGM_RSRC2:TGID_X_EN: 1
; COMPUTE_PGM_RSRC2:TGID_Y_EN: 0
; COMPUTE_PGM_RSRC2:TGID_Z_EN: 0
; COMPUTE_PGM_RSRC2:TIDIG_COMP_CNT: 0
; COMPUTE_PGM_RSRC3_GFX90A:ACCUM_OFFSET: 0
; COMPUTE_PGM_RSRC3_GFX90A:TG_SPLIT: 0
	.section	.text._ZN7rocprim17ROCPRIM_400000_NS6detail17trampoline_kernelINS0_14default_configENS1_35radix_sort_onesweep_config_selectorIiiEEZZNS1_29radix_sort_onesweep_iterationIS3_Lb0EN6thrust23THRUST_200600_302600_NS6detail15normal_iteratorINS8_10device_ptrIiEEEESD_SD_SD_jNS0_19identity_decomposerENS1_16block_id_wrapperIjLb1EEEEE10hipError_tT1_PNSt15iterator_traitsISI_E10value_typeET2_T3_PNSJ_ISO_E10value_typeET4_T5_PST_SU_PNS1_23onesweep_lookback_stateEbbT6_jjT7_P12ihipStream_tbENKUlT_T0_SI_SN_E_clISD_SD_SD_SD_EEDaS11_S12_SI_SN_EUlS11_E_NS1_11comp_targetILNS1_3genE10ELNS1_11target_archE1201ELNS1_3gpuE5ELNS1_3repE0EEENS1_47radix_sort_onesweep_sort_config_static_selectorELNS0_4arch9wavefront6targetE1EEEvSI_,"axG",@progbits,_ZN7rocprim17ROCPRIM_400000_NS6detail17trampoline_kernelINS0_14default_configENS1_35radix_sort_onesweep_config_selectorIiiEEZZNS1_29radix_sort_onesweep_iterationIS3_Lb0EN6thrust23THRUST_200600_302600_NS6detail15normal_iteratorINS8_10device_ptrIiEEEESD_SD_SD_jNS0_19identity_decomposerENS1_16block_id_wrapperIjLb1EEEEE10hipError_tT1_PNSt15iterator_traitsISI_E10value_typeET2_T3_PNSJ_ISO_E10value_typeET4_T5_PST_SU_PNS1_23onesweep_lookback_stateEbbT6_jjT7_P12ihipStream_tbENKUlT_T0_SI_SN_E_clISD_SD_SD_SD_EEDaS11_S12_SI_SN_EUlS11_E_NS1_11comp_targetILNS1_3genE10ELNS1_11target_archE1201ELNS1_3gpuE5ELNS1_3repE0EEENS1_47radix_sort_onesweep_sort_config_static_selectorELNS0_4arch9wavefront6targetE1EEEvSI_,comdat
	.protected	_ZN7rocprim17ROCPRIM_400000_NS6detail17trampoline_kernelINS0_14default_configENS1_35radix_sort_onesweep_config_selectorIiiEEZZNS1_29radix_sort_onesweep_iterationIS3_Lb0EN6thrust23THRUST_200600_302600_NS6detail15normal_iteratorINS8_10device_ptrIiEEEESD_SD_SD_jNS0_19identity_decomposerENS1_16block_id_wrapperIjLb1EEEEE10hipError_tT1_PNSt15iterator_traitsISI_E10value_typeET2_T3_PNSJ_ISO_E10value_typeET4_T5_PST_SU_PNS1_23onesweep_lookback_stateEbbT6_jjT7_P12ihipStream_tbENKUlT_T0_SI_SN_E_clISD_SD_SD_SD_EEDaS11_S12_SI_SN_EUlS11_E_NS1_11comp_targetILNS1_3genE10ELNS1_11target_archE1201ELNS1_3gpuE5ELNS1_3repE0EEENS1_47radix_sort_onesweep_sort_config_static_selectorELNS0_4arch9wavefront6targetE1EEEvSI_ ; -- Begin function _ZN7rocprim17ROCPRIM_400000_NS6detail17trampoline_kernelINS0_14default_configENS1_35radix_sort_onesweep_config_selectorIiiEEZZNS1_29radix_sort_onesweep_iterationIS3_Lb0EN6thrust23THRUST_200600_302600_NS6detail15normal_iteratorINS8_10device_ptrIiEEEESD_SD_SD_jNS0_19identity_decomposerENS1_16block_id_wrapperIjLb1EEEEE10hipError_tT1_PNSt15iterator_traitsISI_E10value_typeET2_T3_PNSJ_ISO_E10value_typeET4_T5_PST_SU_PNS1_23onesweep_lookback_stateEbbT6_jjT7_P12ihipStream_tbENKUlT_T0_SI_SN_E_clISD_SD_SD_SD_EEDaS11_S12_SI_SN_EUlS11_E_NS1_11comp_targetILNS1_3genE10ELNS1_11target_archE1201ELNS1_3gpuE5ELNS1_3repE0EEENS1_47radix_sort_onesweep_sort_config_static_selectorELNS0_4arch9wavefront6targetE1EEEvSI_
	.globl	_ZN7rocprim17ROCPRIM_400000_NS6detail17trampoline_kernelINS0_14default_configENS1_35radix_sort_onesweep_config_selectorIiiEEZZNS1_29radix_sort_onesweep_iterationIS3_Lb0EN6thrust23THRUST_200600_302600_NS6detail15normal_iteratorINS8_10device_ptrIiEEEESD_SD_SD_jNS0_19identity_decomposerENS1_16block_id_wrapperIjLb1EEEEE10hipError_tT1_PNSt15iterator_traitsISI_E10value_typeET2_T3_PNSJ_ISO_E10value_typeET4_T5_PST_SU_PNS1_23onesweep_lookback_stateEbbT6_jjT7_P12ihipStream_tbENKUlT_T0_SI_SN_E_clISD_SD_SD_SD_EEDaS11_S12_SI_SN_EUlS11_E_NS1_11comp_targetILNS1_3genE10ELNS1_11target_archE1201ELNS1_3gpuE5ELNS1_3repE0EEENS1_47radix_sort_onesweep_sort_config_static_selectorELNS0_4arch9wavefront6targetE1EEEvSI_
	.p2align	8
	.type	_ZN7rocprim17ROCPRIM_400000_NS6detail17trampoline_kernelINS0_14default_configENS1_35radix_sort_onesweep_config_selectorIiiEEZZNS1_29radix_sort_onesweep_iterationIS3_Lb0EN6thrust23THRUST_200600_302600_NS6detail15normal_iteratorINS8_10device_ptrIiEEEESD_SD_SD_jNS0_19identity_decomposerENS1_16block_id_wrapperIjLb1EEEEE10hipError_tT1_PNSt15iterator_traitsISI_E10value_typeET2_T3_PNSJ_ISO_E10value_typeET4_T5_PST_SU_PNS1_23onesweep_lookback_stateEbbT6_jjT7_P12ihipStream_tbENKUlT_T0_SI_SN_E_clISD_SD_SD_SD_EEDaS11_S12_SI_SN_EUlS11_E_NS1_11comp_targetILNS1_3genE10ELNS1_11target_archE1201ELNS1_3gpuE5ELNS1_3repE0EEENS1_47radix_sort_onesweep_sort_config_static_selectorELNS0_4arch9wavefront6targetE1EEEvSI_,@function
_ZN7rocprim17ROCPRIM_400000_NS6detail17trampoline_kernelINS0_14default_configENS1_35radix_sort_onesweep_config_selectorIiiEEZZNS1_29radix_sort_onesweep_iterationIS3_Lb0EN6thrust23THRUST_200600_302600_NS6detail15normal_iteratorINS8_10device_ptrIiEEEESD_SD_SD_jNS0_19identity_decomposerENS1_16block_id_wrapperIjLb1EEEEE10hipError_tT1_PNSt15iterator_traitsISI_E10value_typeET2_T3_PNSJ_ISO_E10value_typeET4_T5_PST_SU_PNS1_23onesweep_lookback_stateEbbT6_jjT7_P12ihipStream_tbENKUlT_T0_SI_SN_E_clISD_SD_SD_SD_EEDaS11_S12_SI_SN_EUlS11_E_NS1_11comp_targetILNS1_3genE10ELNS1_11target_archE1201ELNS1_3gpuE5ELNS1_3repE0EEENS1_47radix_sort_onesweep_sort_config_static_selectorELNS0_4arch9wavefront6targetE1EEEvSI_: ; @_ZN7rocprim17ROCPRIM_400000_NS6detail17trampoline_kernelINS0_14default_configENS1_35radix_sort_onesweep_config_selectorIiiEEZZNS1_29radix_sort_onesweep_iterationIS3_Lb0EN6thrust23THRUST_200600_302600_NS6detail15normal_iteratorINS8_10device_ptrIiEEEESD_SD_SD_jNS0_19identity_decomposerENS1_16block_id_wrapperIjLb1EEEEE10hipError_tT1_PNSt15iterator_traitsISI_E10value_typeET2_T3_PNSJ_ISO_E10value_typeET4_T5_PST_SU_PNS1_23onesweep_lookback_stateEbbT6_jjT7_P12ihipStream_tbENKUlT_T0_SI_SN_E_clISD_SD_SD_SD_EEDaS11_S12_SI_SN_EUlS11_E_NS1_11comp_targetILNS1_3genE10ELNS1_11target_archE1201ELNS1_3gpuE5ELNS1_3repE0EEENS1_47radix_sort_onesweep_sort_config_static_selectorELNS0_4arch9wavefront6targetE1EEEvSI_
; %bb.0:
	.section	.rodata,"a",@progbits
	.p2align	6, 0x0
	.amdhsa_kernel _ZN7rocprim17ROCPRIM_400000_NS6detail17trampoline_kernelINS0_14default_configENS1_35radix_sort_onesweep_config_selectorIiiEEZZNS1_29radix_sort_onesweep_iterationIS3_Lb0EN6thrust23THRUST_200600_302600_NS6detail15normal_iteratorINS8_10device_ptrIiEEEESD_SD_SD_jNS0_19identity_decomposerENS1_16block_id_wrapperIjLb1EEEEE10hipError_tT1_PNSt15iterator_traitsISI_E10value_typeET2_T3_PNSJ_ISO_E10value_typeET4_T5_PST_SU_PNS1_23onesweep_lookback_stateEbbT6_jjT7_P12ihipStream_tbENKUlT_T0_SI_SN_E_clISD_SD_SD_SD_EEDaS11_S12_SI_SN_EUlS11_E_NS1_11comp_targetILNS1_3genE10ELNS1_11target_archE1201ELNS1_3gpuE5ELNS1_3repE0EEENS1_47radix_sort_onesweep_sort_config_static_selectorELNS0_4arch9wavefront6targetE1EEEvSI_
		.amdhsa_group_segment_fixed_size 0
		.amdhsa_private_segment_fixed_size 0
		.amdhsa_kernarg_size 88
		.amdhsa_user_sgpr_count 2
		.amdhsa_user_sgpr_dispatch_ptr 0
		.amdhsa_user_sgpr_queue_ptr 0
		.amdhsa_user_sgpr_kernarg_segment_ptr 1
		.amdhsa_user_sgpr_dispatch_id 0
		.amdhsa_user_sgpr_kernarg_preload_length 0
		.amdhsa_user_sgpr_kernarg_preload_offset 0
		.amdhsa_user_sgpr_private_segment_size 0
		.amdhsa_uses_dynamic_stack 0
		.amdhsa_enable_private_segment 0
		.amdhsa_system_sgpr_workgroup_id_x 1
		.amdhsa_system_sgpr_workgroup_id_y 0
		.amdhsa_system_sgpr_workgroup_id_z 0
		.amdhsa_system_sgpr_workgroup_info 0
		.amdhsa_system_vgpr_workitem_id 0
		.amdhsa_next_free_vgpr 1
		.amdhsa_next_free_sgpr 0
		.amdhsa_accum_offset 4
		.amdhsa_reserve_vcc 0
		.amdhsa_float_round_mode_32 0
		.amdhsa_float_round_mode_16_64 0
		.amdhsa_float_denorm_mode_32 3
		.amdhsa_float_denorm_mode_16_64 3
		.amdhsa_dx10_clamp 1
		.amdhsa_ieee_mode 1
		.amdhsa_fp16_overflow 0
		.amdhsa_tg_split 0
		.amdhsa_exception_fp_ieee_invalid_op 0
		.amdhsa_exception_fp_denorm_src 0
		.amdhsa_exception_fp_ieee_div_zero 0
		.amdhsa_exception_fp_ieee_overflow 0
		.amdhsa_exception_fp_ieee_underflow 0
		.amdhsa_exception_fp_ieee_inexact 0
		.amdhsa_exception_int_div_zero 0
	.end_amdhsa_kernel
	.section	.text._ZN7rocprim17ROCPRIM_400000_NS6detail17trampoline_kernelINS0_14default_configENS1_35radix_sort_onesweep_config_selectorIiiEEZZNS1_29radix_sort_onesweep_iterationIS3_Lb0EN6thrust23THRUST_200600_302600_NS6detail15normal_iteratorINS8_10device_ptrIiEEEESD_SD_SD_jNS0_19identity_decomposerENS1_16block_id_wrapperIjLb1EEEEE10hipError_tT1_PNSt15iterator_traitsISI_E10value_typeET2_T3_PNSJ_ISO_E10value_typeET4_T5_PST_SU_PNS1_23onesweep_lookback_stateEbbT6_jjT7_P12ihipStream_tbENKUlT_T0_SI_SN_E_clISD_SD_SD_SD_EEDaS11_S12_SI_SN_EUlS11_E_NS1_11comp_targetILNS1_3genE10ELNS1_11target_archE1201ELNS1_3gpuE5ELNS1_3repE0EEENS1_47radix_sort_onesweep_sort_config_static_selectorELNS0_4arch9wavefront6targetE1EEEvSI_,"axG",@progbits,_ZN7rocprim17ROCPRIM_400000_NS6detail17trampoline_kernelINS0_14default_configENS1_35radix_sort_onesweep_config_selectorIiiEEZZNS1_29radix_sort_onesweep_iterationIS3_Lb0EN6thrust23THRUST_200600_302600_NS6detail15normal_iteratorINS8_10device_ptrIiEEEESD_SD_SD_jNS0_19identity_decomposerENS1_16block_id_wrapperIjLb1EEEEE10hipError_tT1_PNSt15iterator_traitsISI_E10value_typeET2_T3_PNSJ_ISO_E10value_typeET4_T5_PST_SU_PNS1_23onesweep_lookback_stateEbbT6_jjT7_P12ihipStream_tbENKUlT_T0_SI_SN_E_clISD_SD_SD_SD_EEDaS11_S12_SI_SN_EUlS11_E_NS1_11comp_targetILNS1_3genE10ELNS1_11target_archE1201ELNS1_3gpuE5ELNS1_3repE0EEENS1_47radix_sort_onesweep_sort_config_static_selectorELNS0_4arch9wavefront6targetE1EEEvSI_,comdat
.Lfunc_end1425:
	.size	_ZN7rocprim17ROCPRIM_400000_NS6detail17trampoline_kernelINS0_14default_configENS1_35radix_sort_onesweep_config_selectorIiiEEZZNS1_29radix_sort_onesweep_iterationIS3_Lb0EN6thrust23THRUST_200600_302600_NS6detail15normal_iteratorINS8_10device_ptrIiEEEESD_SD_SD_jNS0_19identity_decomposerENS1_16block_id_wrapperIjLb1EEEEE10hipError_tT1_PNSt15iterator_traitsISI_E10value_typeET2_T3_PNSJ_ISO_E10value_typeET4_T5_PST_SU_PNS1_23onesweep_lookback_stateEbbT6_jjT7_P12ihipStream_tbENKUlT_T0_SI_SN_E_clISD_SD_SD_SD_EEDaS11_S12_SI_SN_EUlS11_E_NS1_11comp_targetILNS1_3genE10ELNS1_11target_archE1201ELNS1_3gpuE5ELNS1_3repE0EEENS1_47radix_sort_onesweep_sort_config_static_selectorELNS0_4arch9wavefront6targetE1EEEvSI_, .Lfunc_end1425-_ZN7rocprim17ROCPRIM_400000_NS6detail17trampoline_kernelINS0_14default_configENS1_35radix_sort_onesweep_config_selectorIiiEEZZNS1_29radix_sort_onesweep_iterationIS3_Lb0EN6thrust23THRUST_200600_302600_NS6detail15normal_iteratorINS8_10device_ptrIiEEEESD_SD_SD_jNS0_19identity_decomposerENS1_16block_id_wrapperIjLb1EEEEE10hipError_tT1_PNSt15iterator_traitsISI_E10value_typeET2_T3_PNSJ_ISO_E10value_typeET4_T5_PST_SU_PNS1_23onesweep_lookback_stateEbbT6_jjT7_P12ihipStream_tbENKUlT_T0_SI_SN_E_clISD_SD_SD_SD_EEDaS11_S12_SI_SN_EUlS11_E_NS1_11comp_targetILNS1_3genE10ELNS1_11target_archE1201ELNS1_3gpuE5ELNS1_3repE0EEENS1_47radix_sort_onesweep_sort_config_static_selectorELNS0_4arch9wavefront6targetE1EEEvSI_
                                        ; -- End function
	.set _ZN7rocprim17ROCPRIM_400000_NS6detail17trampoline_kernelINS0_14default_configENS1_35radix_sort_onesweep_config_selectorIiiEEZZNS1_29radix_sort_onesweep_iterationIS3_Lb0EN6thrust23THRUST_200600_302600_NS6detail15normal_iteratorINS8_10device_ptrIiEEEESD_SD_SD_jNS0_19identity_decomposerENS1_16block_id_wrapperIjLb1EEEEE10hipError_tT1_PNSt15iterator_traitsISI_E10value_typeET2_T3_PNSJ_ISO_E10value_typeET4_T5_PST_SU_PNS1_23onesweep_lookback_stateEbbT6_jjT7_P12ihipStream_tbENKUlT_T0_SI_SN_E_clISD_SD_SD_SD_EEDaS11_S12_SI_SN_EUlS11_E_NS1_11comp_targetILNS1_3genE10ELNS1_11target_archE1201ELNS1_3gpuE5ELNS1_3repE0EEENS1_47radix_sort_onesweep_sort_config_static_selectorELNS0_4arch9wavefront6targetE1EEEvSI_.num_vgpr, 0
	.set _ZN7rocprim17ROCPRIM_400000_NS6detail17trampoline_kernelINS0_14default_configENS1_35radix_sort_onesweep_config_selectorIiiEEZZNS1_29radix_sort_onesweep_iterationIS3_Lb0EN6thrust23THRUST_200600_302600_NS6detail15normal_iteratorINS8_10device_ptrIiEEEESD_SD_SD_jNS0_19identity_decomposerENS1_16block_id_wrapperIjLb1EEEEE10hipError_tT1_PNSt15iterator_traitsISI_E10value_typeET2_T3_PNSJ_ISO_E10value_typeET4_T5_PST_SU_PNS1_23onesweep_lookback_stateEbbT6_jjT7_P12ihipStream_tbENKUlT_T0_SI_SN_E_clISD_SD_SD_SD_EEDaS11_S12_SI_SN_EUlS11_E_NS1_11comp_targetILNS1_3genE10ELNS1_11target_archE1201ELNS1_3gpuE5ELNS1_3repE0EEENS1_47radix_sort_onesweep_sort_config_static_selectorELNS0_4arch9wavefront6targetE1EEEvSI_.num_agpr, 0
	.set _ZN7rocprim17ROCPRIM_400000_NS6detail17trampoline_kernelINS0_14default_configENS1_35radix_sort_onesweep_config_selectorIiiEEZZNS1_29radix_sort_onesweep_iterationIS3_Lb0EN6thrust23THRUST_200600_302600_NS6detail15normal_iteratorINS8_10device_ptrIiEEEESD_SD_SD_jNS0_19identity_decomposerENS1_16block_id_wrapperIjLb1EEEEE10hipError_tT1_PNSt15iterator_traitsISI_E10value_typeET2_T3_PNSJ_ISO_E10value_typeET4_T5_PST_SU_PNS1_23onesweep_lookback_stateEbbT6_jjT7_P12ihipStream_tbENKUlT_T0_SI_SN_E_clISD_SD_SD_SD_EEDaS11_S12_SI_SN_EUlS11_E_NS1_11comp_targetILNS1_3genE10ELNS1_11target_archE1201ELNS1_3gpuE5ELNS1_3repE0EEENS1_47radix_sort_onesweep_sort_config_static_selectorELNS0_4arch9wavefront6targetE1EEEvSI_.numbered_sgpr, 0
	.set _ZN7rocprim17ROCPRIM_400000_NS6detail17trampoline_kernelINS0_14default_configENS1_35radix_sort_onesweep_config_selectorIiiEEZZNS1_29radix_sort_onesweep_iterationIS3_Lb0EN6thrust23THRUST_200600_302600_NS6detail15normal_iteratorINS8_10device_ptrIiEEEESD_SD_SD_jNS0_19identity_decomposerENS1_16block_id_wrapperIjLb1EEEEE10hipError_tT1_PNSt15iterator_traitsISI_E10value_typeET2_T3_PNSJ_ISO_E10value_typeET4_T5_PST_SU_PNS1_23onesweep_lookback_stateEbbT6_jjT7_P12ihipStream_tbENKUlT_T0_SI_SN_E_clISD_SD_SD_SD_EEDaS11_S12_SI_SN_EUlS11_E_NS1_11comp_targetILNS1_3genE10ELNS1_11target_archE1201ELNS1_3gpuE5ELNS1_3repE0EEENS1_47radix_sort_onesweep_sort_config_static_selectorELNS0_4arch9wavefront6targetE1EEEvSI_.num_named_barrier, 0
	.set _ZN7rocprim17ROCPRIM_400000_NS6detail17trampoline_kernelINS0_14default_configENS1_35radix_sort_onesweep_config_selectorIiiEEZZNS1_29radix_sort_onesweep_iterationIS3_Lb0EN6thrust23THRUST_200600_302600_NS6detail15normal_iteratorINS8_10device_ptrIiEEEESD_SD_SD_jNS0_19identity_decomposerENS1_16block_id_wrapperIjLb1EEEEE10hipError_tT1_PNSt15iterator_traitsISI_E10value_typeET2_T3_PNSJ_ISO_E10value_typeET4_T5_PST_SU_PNS1_23onesweep_lookback_stateEbbT6_jjT7_P12ihipStream_tbENKUlT_T0_SI_SN_E_clISD_SD_SD_SD_EEDaS11_S12_SI_SN_EUlS11_E_NS1_11comp_targetILNS1_3genE10ELNS1_11target_archE1201ELNS1_3gpuE5ELNS1_3repE0EEENS1_47radix_sort_onesweep_sort_config_static_selectorELNS0_4arch9wavefront6targetE1EEEvSI_.private_seg_size, 0
	.set _ZN7rocprim17ROCPRIM_400000_NS6detail17trampoline_kernelINS0_14default_configENS1_35radix_sort_onesweep_config_selectorIiiEEZZNS1_29radix_sort_onesweep_iterationIS3_Lb0EN6thrust23THRUST_200600_302600_NS6detail15normal_iteratorINS8_10device_ptrIiEEEESD_SD_SD_jNS0_19identity_decomposerENS1_16block_id_wrapperIjLb1EEEEE10hipError_tT1_PNSt15iterator_traitsISI_E10value_typeET2_T3_PNSJ_ISO_E10value_typeET4_T5_PST_SU_PNS1_23onesweep_lookback_stateEbbT6_jjT7_P12ihipStream_tbENKUlT_T0_SI_SN_E_clISD_SD_SD_SD_EEDaS11_S12_SI_SN_EUlS11_E_NS1_11comp_targetILNS1_3genE10ELNS1_11target_archE1201ELNS1_3gpuE5ELNS1_3repE0EEENS1_47radix_sort_onesweep_sort_config_static_selectorELNS0_4arch9wavefront6targetE1EEEvSI_.uses_vcc, 0
	.set _ZN7rocprim17ROCPRIM_400000_NS6detail17trampoline_kernelINS0_14default_configENS1_35radix_sort_onesweep_config_selectorIiiEEZZNS1_29radix_sort_onesweep_iterationIS3_Lb0EN6thrust23THRUST_200600_302600_NS6detail15normal_iteratorINS8_10device_ptrIiEEEESD_SD_SD_jNS0_19identity_decomposerENS1_16block_id_wrapperIjLb1EEEEE10hipError_tT1_PNSt15iterator_traitsISI_E10value_typeET2_T3_PNSJ_ISO_E10value_typeET4_T5_PST_SU_PNS1_23onesweep_lookback_stateEbbT6_jjT7_P12ihipStream_tbENKUlT_T0_SI_SN_E_clISD_SD_SD_SD_EEDaS11_S12_SI_SN_EUlS11_E_NS1_11comp_targetILNS1_3genE10ELNS1_11target_archE1201ELNS1_3gpuE5ELNS1_3repE0EEENS1_47radix_sort_onesweep_sort_config_static_selectorELNS0_4arch9wavefront6targetE1EEEvSI_.uses_flat_scratch, 0
	.set _ZN7rocprim17ROCPRIM_400000_NS6detail17trampoline_kernelINS0_14default_configENS1_35radix_sort_onesweep_config_selectorIiiEEZZNS1_29radix_sort_onesweep_iterationIS3_Lb0EN6thrust23THRUST_200600_302600_NS6detail15normal_iteratorINS8_10device_ptrIiEEEESD_SD_SD_jNS0_19identity_decomposerENS1_16block_id_wrapperIjLb1EEEEE10hipError_tT1_PNSt15iterator_traitsISI_E10value_typeET2_T3_PNSJ_ISO_E10value_typeET4_T5_PST_SU_PNS1_23onesweep_lookback_stateEbbT6_jjT7_P12ihipStream_tbENKUlT_T0_SI_SN_E_clISD_SD_SD_SD_EEDaS11_S12_SI_SN_EUlS11_E_NS1_11comp_targetILNS1_3genE10ELNS1_11target_archE1201ELNS1_3gpuE5ELNS1_3repE0EEENS1_47radix_sort_onesweep_sort_config_static_selectorELNS0_4arch9wavefront6targetE1EEEvSI_.has_dyn_sized_stack, 0
	.set _ZN7rocprim17ROCPRIM_400000_NS6detail17trampoline_kernelINS0_14default_configENS1_35radix_sort_onesweep_config_selectorIiiEEZZNS1_29radix_sort_onesweep_iterationIS3_Lb0EN6thrust23THRUST_200600_302600_NS6detail15normal_iteratorINS8_10device_ptrIiEEEESD_SD_SD_jNS0_19identity_decomposerENS1_16block_id_wrapperIjLb1EEEEE10hipError_tT1_PNSt15iterator_traitsISI_E10value_typeET2_T3_PNSJ_ISO_E10value_typeET4_T5_PST_SU_PNS1_23onesweep_lookback_stateEbbT6_jjT7_P12ihipStream_tbENKUlT_T0_SI_SN_E_clISD_SD_SD_SD_EEDaS11_S12_SI_SN_EUlS11_E_NS1_11comp_targetILNS1_3genE10ELNS1_11target_archE1201ELNS1_3gpuE5ELNS1_3repE0EEENS1_47radix_sort_onesweep_sort_config_static_selectorELNS0_4arch9wavefront6targetE1EEEvSI_.has_recursion, 0
	.set _ZN7rocprim17ROCPRIM_400000_NS6detail17trampoline_kernelINS0_14default_configENS1_35radix_sort_onesweep_config_selectorIiiEEZZNS1_29radix_sort_onesweep_iterationIS3_Lb0EN6thrust23THRUST_200600_302600_NS6detail15normal_iteratorINS8_10device_ptrIiEEEESD_SD_SD_jNS0_19identity_decomposerENS1_16block_id_wrapperIjLb1EEEEE10hipError_tT1_PNSt15iterator_traitsISI_E10value_typeET2_T3_PNSJ_ISO_E10value_typeET4_T5_PST_SU_PNS1_23onesweep_lookback_stateEbbT6_jjT7_P12ihipStream_tbENKUlT_T0_SI_SN_E_clISD_SD_SD_SD_EEDaS11_S12_SI_SN_EUlS11_E_NS1_11comp_targetILNS1_3genE10ELNS1_11target_archE1201ELNS1_3gpuE5ELNS1_3repE0EEENS1_47radix_sort_onesweep_sort_config_static_selectorELNS0_4arch9wavefront6targetE1EEEvSI_.has_indirect_call, 0
	.section	.AMDGPU.csdata,"",@progbits
; Kernel info:
; codeLenInByte = 0
; TotalNumSgprs: 6
; NumVgprs: 0
; NumAgprs: 0
; TotalNumVgprs: 0
; ScratchSize: 0
; MemoryBound: 0
; FloatMode: 240
; IeeeMode: 1
; LDSByteSize: 0 bytes/workgroup (compile time only)
; SGPRBlocks: 0
; VGPRBlocks: 0
; NumSGPRsForWavesPerEU: 6
; NumVGPRsForWavesPerEU: 1
; AccumOffset: 4
; Occupancy: 8
; WaveLimiterHint : 0
; COMPUTE_PGM_RSRC2:SCRATCH_EN: 0
; COMPUTE_PGM_RSRC2:USER_SGPR: 2
; COMPUTE_PGM_RSRC2:TRAP_HANDLER: 0
; COMPUTE_PGM_RSRC2:TGID_X_EN: 1
; COMPUTE_PGM_RSRC2:TGID_Y_EN: 0
; COMPUTE_PGM_RSRC2:TGID_Z_EN: 0
; COMPUTE_PGM_RSRC2:TIDIG_COMP_CNT: 0
; COMPUTE_PGM_RSRC3_GFX90A:ACCUM_OFFSET: 0
; COMPUTE_PGM_RSRC3_GFX90A:TG_SPLIT: 0
	.section	.text._ZN7rocprim17ROCPRIM_400000_NS6detail17trampoline_kernelINS0_14default_configENS1_35radix_sort_onesweep_config_selectorIiiEEZZNS1_29radix_sort_onesweep_iterationIS3_Lb0EN6thrust23THRUST_200600_302600_NS6detail15normal_iteratorINS8_10device_ptrIiEEEESD_SD_SD_jNS0_19identity_decomposerENS1_16block_id_wrapperIjLb1EEEEE10hipError_tT1_PNSt15iterator_traitsISI_E10value_typeET2_T3_PNSJ_ISO_E10value_typeET4_T5_PST_SU_PNS1_23onesweep_lookback_stateEbbT6_jjT7_P12ihipStream_tbENKUlT_T0_SI_SN_E_clISD_SD_SD_SD_EEDaS11_S12_SI_SN_EUlS11_E_NS1_11comp_targetILNS1_3genE9ELNS1_11target_archE1100ELNS1_3gpuE3ELNS1_3repE0EEENS1_47radix_sort_onesweep_sort_config_static_selectorELNS0_4arch9wavefront6targetE1EEEvSI_,"axG",@progbits,_ZN7rocprim17ROCPRIM_400000_NS6detail17trampoline_kernelINS0_14default_configENS1_35radix_sort_onesweep_config_selectorIiiEEZZNS1_29radix_sort_onesweep_iterationIS3_Lb0EN6thrust23THRUST_200600_302600_NS6detail15normal_iteratorINS8_10device_ptrIiEEEESD_SD_SD_jNS0_19identity_decomposerENS1_16block_id_wrapperIjLb1EEEEE10hipError_tT1_PNSt15iterator_traitsISI_E10value_typeET2_T3_PNSJ_ISO_E10value_typeET4_T5_PST_SU_PNS1_23onesweep_lookback_stateEbbT6_jjT7_P12ihipStream_tbENKUlT_T0_SI_SN_E_clISD_SD_SD_SD_EEDaS11_S12_SI_SN_EUlS11_E_NS1_11comp_targetILNS1_3genE9ELNS1_11target_archE1100ELNS1_3gpuE3ELNS1_3repE0EEENS1_47radix_sort_onesweep_sort_config_static_selectorELNS0_4arch9wavefront6targetE1EEEvSI_,comdat
	.protected	_ZN7rocprim17ROCPRIM_400000_NS6detail17trampoline_kernelINS0_14default_configENS1_35radix_sort_onesweep_config_selectorIiiEEZZNS1_29radix_sort_onesweep_iterationIS3_Lb0EN6thrust23THRUST_200600_302600_NS6detail15normal_iteratorINS8_10device_ptrIiEEEESD_SD_SD_jNS0_19identity_decomposerENS1_16block_id_wrapperIjLb1EEEEE10hipError_tT1_PNSt15iterator_traitsISI_E10value_typeET2_T3_PNSJ_ISO_E10value_typeET4_T5_PST_SU_PNS1_23onesweep_lookback_stateEbbT6_jjT7_P12ihipStream_tbENKUlT_T0_SI_SN_E_clISD_SD_SD_SD_EEDaS11_S12_SI_SN_EUlS11_E_NS1_11comp_targetILNS1_3genE9ELNS1_11target_archE1100ELNS1_3gpuE3ELNS1_3repE0EEENS1_47radix_sort_onesweep_sort_config_static_selectorELNS0_4arch9wavefront6targetE1EEEvSI_ ; -- Begin function _ZN7rocprim17ROCPRIM_400000_NS6detail17trampoline_kernelINS0_14default_configENS1_35radix_sort_onesweep_config_selectorIiiEEZZNS1_29radix_sort_onesweep_iterationIS3_Lb0EN6thrust23THRUST_200600_302600_NS6detail15normal_iteratorINS8_10device_ptrIiEEEESD_SD_SD_jNS0_19identity_decomposerENS1_16block_id_wrapperIjLb1EEEEE10hipError_tT1_PNSt15iterator_traitsISI_E10value_typeET2_T3_PNSJ_ISO_E10value_typeET4_T5_PST_SU_PNS1_23onesweep_lookback_stateEbbT6_jjT7_P12ihipStream_tbENKUlT_T0_SI_SN_E_clISD_SD_SD_SD_EEDaS11_S12_SI_SN_EUlS11_E_NS1_11comp_targetILNS1_3genE9ELNS1_11target_archE1100ELNS1_3gpuE3ELNS1_3repE0EEENS1_47radix_sort_onesweep_sort_config_static_selectorELNS0_4arch9wavefront6targetE1EEEvSI_
	.globl	_ZN7rocprim17ROCPRIM_400000_NS6detail17trampoline_kernelINS0_14default_configENS1_35radix_sort_onesweep_config_selectorIiiEEZZNS1_29radix_sort_onesweep_iterationIS3_Lb0EN6thrust23THRUST_200600_302600_NS6detail15normal_iteratorINS8_10device_ptrIiEEEESD_SD_SD_jNS0_19identity_decomposerENS1_16block_id_wrapperIjLb1EEEEE10hipError_tT1_PNSt15iterator_traitsISI_E10value_typeET2_T3_PNSJ_ISO_E10value_typeET4_T5_PST_SU_PNS1_23onesweep_lookback_stateEbbT6_jjT7_P12ihipStream_tbENKUlT_T0_SI_SN_E_clISD_SD_SD_SD_EEDaS11_S12_SI_SN_EUlS11_E_NS1_11comp_targetILNS1_3genE9ELNS1_11target_archE1100ELNS1_3gpuE3ELNS1_3repE0EEENS1_47radix_sort_onesweep_sort_config_static_selectorELNS0_4arch9wavefront6targetE1EEEvSI_
	.p2align	8
	.type	_ZN7rocprim17ROCPRIM_400000_NS6detail17trampoline_kernelINS0_14default_configENS1_35radix_sort_onesweep_config_selectorIiiEEZZNS1_29radix_sort_onesweep_iterationIS3_Lb0EN6thrust23THRUST_200600_302600_NS6detail15normal_iteratorINS8_10device_ptrIiEEEESD_SD_SD_jNS0_19identity_decomposerENS1_16block_id_wrapperIjLb1EEEEE10hipError_tT1_PNSt15iterator_traitsISI_E10value_typeET2_T3_PNSJ_ISO_E10value_typeET4_T5_PST_SU_PNS1_23onesweep_lookback_stateEbbT6_jjT7_P12ihipStream_tbENKUlT_T0_SI_SN_E_clISD_SD_SD_SD_EEDaS11_S12_SI_SN_EUlS11_E_NS1_11comp_targetILNS1_3genE9ELNS1_11target_archE1100ELNS1_3gpuE3ELNS1_3repE0EEENS1_47radix_sort_onesweep_sort_config_static_selectorELNS0_4arch9wavefront6targetE1EEEvSI_,@function
_ZN7rocprim17ROCPRIM_400000_NS6detail17trampoline_kernelINS0_14default_configENS1_35radix_sort_onesweep_config_selectorIiiEEZZNS1_29radix_sort_onesweep_iterationIS3_Lb0EN6thrust23THRUST_200600_302600_NS6detail15normal_iteratorINS8_10device_ptrIiEEEESD_SD_SD_jNS0_19identity_decomposerENS1_16block_id_wrapperIjLb1EEEEE10hipError_tT1_PNSt15iterator_traitsISI_E10value_typeET2_T3_PNSJ_ISO_E10value_typeET4_T5_PST_SU_PNS1_23onesweep_lookback_stateEbbT6_jjT7_P12ihipStream_tbENKUlT_T0_SI_SN_E_clISD_SD_SD_SD_EEDaS11_S12_SI_SN_EUlS11_E_NS1_11comp_targetILNS1_3genE9ELNS1_11target_archE1100ELNS1_3gpuE3ELNS1_3repE0EEENS1_47radix_sort_onesweep_sort_config_static_selectorELNS0_4arch9wavefront6targetE1EEEvSI_: ; @_ZN7rocprim17ROCPRIM_400000_NS6detail17trampoline_kernelINS0_14default_configENS1_35radix_sort_onesweep_config_selectorIiiEEZZNS1_29radix_sort_onesweep_iterationIS3_Lb0EN6thrust23THRUST_200600_302600_NS6detail15normal_iteratorINS8_10device_ptrIiEEEESD_SD_SD_jNS0_19identity_decomposerENS1_16block_id_wrapperIjLb1EEEEE10hipError_tT1_PNSt15iterator_traitsISI_E10value_typeET2_T3_PNSJ_ISO_E10value_typeET4_T5_PST_SU_PNS1_23onesweep_lookback_stateEbbT6_jjT7_P12ihipStream_tbENKUlT_T0_SI_SN_E_clISD_SD_SD_SD_EEDaS11_S12_SI_SN_EUlS11_E_NS1_11comp_targetILNS1_3genE9ELNS1_11target_archE1100ELNS1_3gpuE3ELNS1_3repE0EEENS1_47radix_sort_onesweep_sort_config_static_selectorELNS0_4arch9wavefront6targetE1EEEvSI_
; %bb.0:
	.section	.rodata,"a",@progbits
	.p2align	6, 0x0
	.amdhsa_kernel _ZN7rocprim17ROCPRIM_400000_NS6detail17trampoline_kernelINS0_14default_configENS1_35radix_sort_onesweep_config_selectorIiiEEZZNS1_29radix_sort_onesweep_iterationIS3_Lb0EN6thrust23THRUST_200600_302600_NS6detail15normal_iteratorINS8_10device_ptrIiEEEESD_SD_SD_jNS0_19identity_decomposerENS1_16block_id_wrapperIjLb1EEEEE10hipError_tT1_PNSt15iterator_traitsISI_E10value_typeET2_T3_PNSJ_ISO_E10value_typeET4_T5_PST_SU_PNS1_23onesweep_lookback_stateEbbT6_jjT7_P12ihipStream_tbENKUlT_T0_SI_SN_E_clISD_SD_SD_SD_EEDaS11_S12_SI_SN_EUlS11_E_NS1_11comp_targetILNS1_3genE9ELNS1_11target_archE1100ELNS1_3gpuE3ELNS1_3repE0EEENS1_47radix_sort_onesweep_sort_config_static_selectorELNS0_4arch9wavefront6targetE1EEEvSI_
		.amdhsa_group_segment_fixed_size 0
		.amdhsa_private_segment_fixed_size 0
		.amdhsa_kernarg_size 88
		.amdhsa_user_sgpr_count 2
		.amdhsa_user_sgpr_dispatch_ptr 0
		.amdhsa_user_sgpr_queue_ptr 0
		.amdhsa_user_sgpr_kernarg_segment_ptr 1
		.amdhsa_user_sgpr_dispatch_id 0
		.amdhsa_user_sgpr_kernarg_preload_length 0
		.amdhsa_user_sgpr_kernarg_preload_offset 0
		.amdhsa_user_sgpr_private_segment_size 0
		.amdhsa_uses_dynamic_stack 0
		.amdhsa_enable_private_segment 0
		.amdhsa_system_sgpr_workgroup_id_x 1
		.amdhsa_system_sgpr_workgroup_id_y 0
		.amdhsa_system_sgpr_workgroup_id_z 0
		.amdhsa_system_sgpr_workgroup_info 0
		.amdhsa_system_vgpr_workitem_id 0
		.amdhsa_next_free_vgpr 1
		.amdhsa_next_free_sgpr 0
		.amdhsa_accum_offset 4
		.amdhsa_reserve_vcc 0
		.amdhsa_float_round_mode_32 0
		.amdhsa_float_round_mode_16_64 0
		.amdhsa_float_denorm_mode_32 3
		.amdhsa_float_denorm_mode_16_64 3
		.amdhsa_dx10_clamp 1
		.amdhsa_ieee_mode 1
		.amdhsa_fp16_overflow 0
		.amdhsa_tg_split 0
		.amdhsa_exception_fp_ieee_invalid_op 0
		.amdhsa_exception_fp_denorm_src 0
		.amdhsa_exception_fp_ieee_div_zero 0
		.amdhsa_exception_fp_ieee_overflow 0
		.amdhsa_exception_fp_ieee_underflow 0
		.amdhsa_exception_fp_ieee_inexact 0
		.amdhsa_exception_int_div_zero 0
	.end_amdhsa_kernel
	.section	.text._ZN7rocprim17ROCPRIM_400000_NS6detail17trampoline_kernelINS0_14default_configENS1_35radix_sort_onesweep_config_selectorIiiEEZZNS1_29radix_sort_onesweep_iterationIS3_Lb0EN6thrust23THRUST_200600_302600_NS6detail15normal_iteratorINS8_10device_ptrIiEEEESD_SD_SD_jNS0_19identity_decomposerENS1_16block_id_wrapperIjLb1EEEEE10hipError_tT1_PNSt15iterator_traitsISI_E10value_typeET2_T3_PNSJ_ISO_E10value_typeET4_T5_PST_SU_PNS1_23onesweep_lookback_stateEbbT6_jjT7_P12ihipStream_tbENKUlT_T0_SI_SN_E_clISD_SD_SD_SD_EEDaS11_S12_SI_SN_EUlS11_E_NS1_11comp_targetILNS1_3genE9ELNS1_11target_archE1100ELNS1_3gpuE3ELNS1_3repE0EEENS1_47radix_sort_onesweep_sort_config_static_selectorELNS0_4arch9wavefront6targetE1EEEvSI_,"axG",@progbits,_ZN7rocprim17ROCPRIM_400000_NS6detail17trampoline_kernelINS0_14default_configENS1_35radix_sort_onesweep_config_selectorIiiEEZZNS1_29radix_sort_onesweep_iterationIS3_Lb0EN6thrust23THRUST_200600_302600_NS6detail15normal_iteratorINS8_10device_ptrIiEEEESD_SD_SD_jNS0_19identity_decomposerENS1_16block_id_wrapperIjLb1EEEEE10hipError_tT1_PNSt15iterator_traitsISI_E10value_typeET2_T3_PNSJ_ISO_E10value_typeET4_T5_PST_SU_PNS1_23onesweep_lookback_stateEbbT6_jjT7_P12ihipStream_tbENKUlT_T0_SI_SN_E_clISD_SD_SD_SD_EEDaS11_S12_SI_SN_EUlS11_E_NS1_11comp_targetILNS1_3genE9ELNS1_11target_archE1100ELNS1_3gpuE3ELNS1_3repE0EEENS1_47radix_sort_onesweep_sort_config_static_selectorELNS0_4arch9wavefront6targetE1EEEvSI_,comdat
.Lfunc_end1426:
	.size	_ZN7rocprim17ROCPRIM_400000_NS6detail17trampoline_kernelINS0_14default_configENS1_35radix_sort_onesweep_config_selectorIiiEEZZNS1_29radix_sort_onesweep_iterationIS3_Lb0EN6thrust23THRUST_200600_302600_NS6detail15normal_iteratorINS8_10device_ptrIiEEEESD_SD_SD_jNS0_19identity_decomposerENS1_16block_id_wrapperIjLb1EEEEE10hipError_tT1_PNSt15iterator_traitsISI_E10value_typeET2_T3_PNSJ_ISO_E10value_typeET4_T5_PST_SU_PNS1_23onesweep_lookback_stateEbbT6_jjT7_P12ihipStream_tbENKUlT_T0_SI_SN_E_clISD_SD_SD_SD_EEDaS11_S12_SI_SN_EUlS11_E_NS1_11comp_targetILNS1_3genE9ELNS1_11target_archE1100ELNS1_3gpuE3ELNS1_3repE0EEENS1_47radix_sort_onesweep_sort_config_static_selectorELNS0_4arch9wavefront6targetE1EEEvSI_, .Lfunc_end1426-_ZN7rocprim17ROCPRIM_400000_NS6detail17trampoline_kernelINS0_14default_configENS1_35radix_sort_onesweep_config_selectorIiiEEZZNS1_29radix_sort_onesweep_iterationIS3_Lb0EN6thrust23THRUST_200600_302600_NS6detail15normal_iteratorINS8_10device_ptrIiEEEESD_SD_SD_jNS0_19identity_decomposerENS1_16block_id_wrapperIjLb1EEEEE10hipError_tT1_PNSt15iterator_traitsISI_E10value_typeET2_T3_PNSJ_ISO_E10value_typeET4_T5_PST_SU_PNS1_23onesweep_lookback_stateEbbT6_jjT7_P12ihipStream_tbENKUlT_T0_SI_SN_E_clISD_SD_SD_SD_EEDaS11_S12_SI_SN_EUlS11_E_NS1_11comp_targetILNS1_3genE9ELNS1_11target_archE1100ELNS1_3gpuE3ELNS1_3repE0EEENS1_47radix_sort_onesweep_sort_config_static_selectorELNS0_4arch9wavefront6targetE1EEEvSI_
                                        ; -- End function
	.set _ZN7rocprim17ROCPRIM_400000_NS6detail17trampoline_kernelINS0_14default_configENS1_35radix_sort_onesweep_config_selectorIiiEEZZNS1_29radix_sort_onesweep_iterationIS3_Lb0EN6thrust23THRUST_200600_302600_NS6detail15normal_iteratorINS8_10device_ptrIiEEEESD_SD_SD_jNS0_19identity_decomposerENS1_16block_id_wrapperIjLb1EEEEE10hipError_tT1_PNSt15iterator_traitsISI_E10value_typeET2_T3_PNSJ_ISO_E10value_typeET4_T5_PST_SU_PNS1_23onesweep_lookback_stateEbbT6_jjT7_P12ihipStream_tbENKUlT_T0_SI_SN_E_clISD_SD_SD_SD_EEDaS11_S12_SI_SN_EUlS11_E_NS1_11comp_targetILNS1_3genE9ELNS1_11target_archE1100ELNS1_3gpuE3ELNS1_3repE0EEENS1_47radix_sort_onesweep_sort_config_static_selectorELNS0_4arch9wavefront6targetE1EEEvSI_.num_vgpr, 0
	.set _ZN7rocprim17ROCPRIM_400000_NS6detail17trampoline_kernelINS0_14default_configENS1_35radix_sort_onesweep_config_selectorIiiEEZZNS1_29radix_sort_onesweep_iterationIS3_Lb0EN6thrust23THRUST_200600_302600_NS6detail15normal_iteratorINS8_10device_ptrIiEEEESD_SD_SD_jNS0_19identity_decomposerENS1_16block_id_wrapperIjLb1EEEEE10hipError_tT1_PNSt15iterator_traitsISI_E10value_typeET2_T3_PNSJ_ISO_E10value_typeET4_T5_PST_SU_PNS1_23onesweep_lookback_stateEbbT6_jjT7_P12ihipStream_tbENKUlT_T0_SI_SN_E_clISD_SD_SD_SD_EEDaS11_S12_SI_SN_EUlS11_E_NS1_11comp_targetILNS1_3genE9ELNS1_11target_archE1100ELNS1_3gpuE3ELNS1_3repE0EEENS1_47radix_sort_onesweep_sort_config_static_selectorELNS0_4arch9wavefront6targetE1EEEvSI_.num_agpr, 0
	.set _ZN7rocprim17ROCPRIM_400000_NS6detail17trampoline_kernelINS0_14default_configENS1_35radix_sort_onesweep_config_selectorIiiEEZZNS1_29radix_sort_onesweep_iterationIS3_Lb0EN6thrust23THRUST_200600_302600_NS6detail15normal_iteratorINS8_10device_ptrIiEEEESD_SD_SD_jNS0_19identity_decomposerENS1_16block_id_wrapperIjLb1EEEEE10hipError_tT1_PNSt15iterator_traitsISI_E10value_typeET2_T3_PNSJ_ISO_E10value_typeET4_T5_PST_SU_PNS1_23onesweep_lookback_stateEbbT6_jjT7_P12ihipStream_tbENKUlT_T0_SI_SN_E_clISD_SD_SD_SD_EEDaS11_S12_SI_SN_EUlS11_E_NS1_11comp_targetILNS1_3genE9ELNS1_11target_archE1100ELNS1_3gpuE3ELNS1_3repE0EEENS1_47radix_sort_onesweep_sort_config_static_selectorELNS0_4arch9wavefront6targetE1EEEvSI_.numbered_sgpr, 0
	.set _ZN7rocprim17ROCPRIM_400000_NS6detail17trampoline_kernelINS0_14default_configENS1_35radix_sort_onesweep_config_selectorIiiEEZZNS1_29radix_sort_onesweep_iterationIS3_Lb0EN6thrust23THRUST_200600_302600_NS6detail15normal_iteratorINS8_10device_ptrIiEEEESD_SD_SD_jNS0_19identity_decomposerENS1_16block_id_wrapperIjLb1EEEEE10hipError_tT1_PNSt15iterator_traitsISI_E10value_typeET2_T3_PNSJ_ISO_E10value_typeET4_T5_PST_SU_PNS1_23onesweep_lookback_stateEbbT6_jjT7_P12ihipStream_tbENKUlT_T0_SI_SN_E_clISD_SD_SD_SD_EEDaS11_S12_SI_SN_EUlS11_E_NS1_11comp_targetILNS1_3genE9ELNS1_11target_archE1100ELNS1_3gpuE3ELNS1_3repE0EEENS1_47radix_sort_onesweep_sort_config_static_selectorELNS0_4arch9wavefront6targetE1EEEvSI_.num_named_barrier, 0
	.set _ZN7rocprim17ROCPRIM_400000_NS6detail17trampoline_kernelINS0_14default_configENS1_35radix_sort_onesweep_config_selectorIiiEEZZNS1_29radix_sort_onesweep_iterationIS3_Lb0EN6thrust23THRUST_200600_302600_NS6detail15normal_iteratorINS8_10device_ptrIiEEEESD_SD_SD_jNS0_19identity_decomposerENS1_16block_id_wrapperIjLb1EEEEE10hipError_tT1_PNSt15iterator_traitsISI_E10value_typeET2_T3_PNSJ_ISO_E10value_typeET4_T5_PST_SU_PNS1_23onesweep_lookback_stateEbbT6_jjT7_P12ihipStream_tbENKUlT_T0_SI_SN_E_clISD_SD_SD_SD_EEDaS11_S12_SI_SN_EUlS11_E_NS1_11comp_targetILNS1_3genE9ELNS1_11target_archE1100ELNS1_3gpuE3ELNS1_3repE0EEENS1_47radix_sort_onesweep_sort_config_static_selectorELNS0_4arch9wavefront6targetE1EEEvSI_.private_seg_size, 0
	.set _ZN7rocprim17ROCPRIM_400000_NS6detail17trampoline_kernelINS0_14default_configENS1_35radix_sort_onesweep_config_selectorIiiEEZZNS1_29radix_sort_onesweep_iterationIS3_Lb0EN6thrust23THRUST_200600_302600_NS6detail15normal_iteratorINS8_10device_ptrIiEEEESD_SD_SD_jNS0_19identity_decomposerENS1_16block_id_wrapperIjLb1EEEEE10hipError_tT1_PNSt15iterator_traitsISI_E10value_typeET2_T3_PNSJ_ISO_E10value_typeET4_T5_PST_SU_PNS1_23onesweep_lookback_stateEbbT6_jjT7_P12ihipStream_tbENKUlT_T0_SI_SN_E_clISD_SD_SD_SD_EEDaS11_S12_SI_SN_EUlS11_E_NS1_11comp_targetILNS1_3genE9ELNS1_11target_archE1100ELNS1_3gpuE3ELNS1_3repE0EEENS1_47radix_sort_onesweep_sort_config_static_selectorELNS0_4arch9wavefront6targetE1EEEvSI_.uses_vcc, 0
	.set _ZN7rocprim17ROCPRIM_400000_NS6detail17trampoline_kernelINS0_14default_configENS1_35radix_sort_onesweep_config_selectorIiiEEZZNS1_29radix_sort_onesweep_iterationIS3_Lb0EN6thrust23THRUST_200600_302600_NS6detail15normal_iteratorINS8_10device_ptrIiEEEESD_SD_SD_jNS0_19identity_decomposerENS1_16block_id_wrapperIjLb1EEEEE10hipError_tT1_PNSt15iterator_traitsISI_E10value_typeET2_T3_PNSJ_ISO_E10value_typeET4_T5_PST_SU_PNS1_23onesweep_lookback_stateEbbT6_jjT7_P12ihipStream_tbENKUlT_T0_SI_SN_E_clISD_SD_SD_SD_EEDaS11_S12_SI_SN_EUlS11_E_NS1_11comp_targetILNS1_3genE9ELNS1_11target_archE1100ELNS1_3gpuE3ELNS1_3repE0EEENS1_47radix_sort_onesweep_sort_config_static_selectorELNS0_4arch9wavefront6targetE1EEEvSI_.uses_flat_scratch, 0
	.set _ZN7rocprim17ROCPRIM_400000_NS6detail17trampoline_kernelINS0_14default_configENS1_35radix_sort_onesweep_config_selectorIiiEEZZNS1_29radix_sort_onesweep_iterationIS3_Lb0EN6thrust23THRUST_200600_302600_NS6detail15normal_iteratorINS8_10device_ptrIiEEEESD_SD_SD_jNS0_19identity_decomposerENS1_16block_id_wrapperIjLb1EEEEE10hipError_tT1_PNSt15iterator_traitsISI_E10value_typeET2_T3_PNSJ_ISO_E10value_typeET4_T5_PST_SU_PNS1_23onesweep_lookback_stateEbbT6_jjT7_P12ihipStream_tbENKUlT_T0_SI_SN_E_clISD_SD_SD_SD_EEDaS11_S12_SI_SN_EUlS11_E_NS1_11comp_targetILNS1_3genE9ELNS1_11target_archE1100ELNS1_3gpuE3ELNS1_3repE0EEENS1_47radix_sort_onesweep_sort_config_static_selectorELNS0_4arch9wavefront6targetE1EEEvSI_.has_dyn_sized_stack, 0
	.set _ZN7rocprim17ROCPRIM_400000_NS6detail17trampoline_kernelINS0_14default_configENS1_35radix_sort_onesweep_config_selectorIiiEEZZNS1_29radix_sort_onesweep_iterationIS3_Lb0EN6thrust23THRUST_200600_302600_NS6detail15normal_iteratorINS8_10device_ptrIiEEEESD_SD_SD_jNS0_19identity_decomposerENS1_16block_id_wrapperIjLb1EEEEE10hipError_tT1_PNSt15iterator_traitsISI_E10value_typeET2_T3_PNSJ_ISO_E10value_typeET4_T5_PST_SU_PNS1_23onesweep_lookback_stateEbbT6_jjT7_P12ihipStream_tbENKUlT_T0_SI_SN_E_clISD_SD_SD_SD_EEDaS11_S12_SI_SN_EUlS11_E_NS1_11comp_targetILNS1_3genE9ELNS1_11target_archE1100ELNS1_3gpuE3ELNS1_3repE0EEENS1_47radix_sort_onesweep_sort_config_static_selectorELNS0_4arch9wavefront6targetE1EEEvSI_.has_recursion, 0
	.set _ZN7rocprim17ROCPRIM_400000_NS6detail17trampoline_kernelINS0_14default_configENS1_35radix_sort_onesweep_config_selectorIiiEEZZNS1_29radix_sort_onesweep_iterationIS3_Lb0EN6thrust23THRUST_200600_302600_NS6detail15normal_iteratorINS8_10device_ptrIiEEEESD_SD_SD_jNS0_19identity_decomposerENS1_16block_id_wrapperIjLb1EEEEE10hipError_tT1_PNSt15iterator_traitsISI_E10value_typeET2_T3_PNSJ_ISO_E10value_typeET4_T5_PST_SU_PNS1_23onesweep_lookback_stateEbbT6_jjT7_P12ihipStream_tbENKUlT_T0_SI_SN_E_clISD_SD_SD_SD_EEDaS11_S12_SI_SN_EUlS11_E_NS1_11comp_targetILNS1_3genE9ELNS1_11target_archE1100ELNS1_3gpuE3ELNS1_3repE0EEENS1_47radix_sort_onesweep_sort_config_static_selectorELNS0_4arch9wavefront6targetE1EEEvSI_.has_indirect_call, 0
	.section	.AMDGPU.csdata,"",@progbits
; Kernel info:
; codeLenInByte = 0
; TotalNumSgprs: 6
; NumVgprs: 0
; NumAgprs: 0
; TotalNumVgprs: 0
; ScratchSize: 0
; MemoryBound: 0
; FloatMode: 240
; IeeeMode: 1
; LDSByteSize: 0 bytes/workgroup (compile time only)
; SGPRBlocks: 0
; VGPRBlocks: 0
; NumSGPRsForWavesPerEU: 6
; NumVGPRsForWavesPerEU: 1
; AccumOffset: 4
; Occupancy: 8
; WaveLimiterHint : 0
; COMPUTE_PGM_RSRC2:SCRATCH_EN: 0
; COMPUTE_PGM_RSRC2:USER_SGPR: 2
; COMPUTE_PGM_RSRC2:TRAP_HANDLER: 0
; COMPUTE_PGM_RSRC2:TGID_X_EN: 1
; COMPUTE_PGM_RSRC2:TGID_Y_EN: 0
; COMPUTE_PGM_RSRC2:TGID_Z_EN: 0
; COMPUTE_PGM_RSRC2:TIDIG_COMP_CNT: 0
; COMPUTE_PGM_RSRC3_GFX90A:ACCUM_OFFSET: 0
; COMPUTE_PGM_RSRC3_GFX90A:TG_SPLIT: 0
	.section	.text._ZN7rocprim17ROCPRIM_400000_NS6detail17trampoline_kernelINS0_14default_configENS1_35radix_sort_onesweep_config_selectorIiiEEZZNS1_29radix_sort_onesweep_iterationIS3_Lb0EN6thrust23THRUST_200600_302600_NS6detail15normal_iteratorINS8_10device_ptrIiEEEESD_SD_SD_jNS0_19identity_decomposerENS1_16block_id_wrapperIjLb1EEEEE10hipError_tT1_PNSt15iterator_traitsISI_E10value_typeET2_T3_PNSJ_ISO_E10value_typeET4_T5_PST_SU_PNS1_23onesweep_lookback_stateEbbT6_jjT7_P12ihipStream_tbENKUlT_T0_SI_SN_E_clISD_SD_SD_SD_EEDaS11_S12_SI_SN_EUlS11_E_NS1_11comp_targetILNS1_3genE8ELNS1_11target_archE1030ELNS1_3gpuE2ELNS1_3repE0EEENS1_47radix_sort_onesweep_sort_config_static_selectorELNS0_4arch9wavefront6targetE1EEEvSI_,"axG",@progbits,_ZN7rocprim17ROCPRIM_400000_NS6detail17trampoline_kernelINS0_14default_configENS1_35radix_sort_onesweep_config_selectorIiiEEZZNS1_29radix_sort_onesweep_iterationIS3_Lb0EN6thrust23THRUST_200600_302600_NS6detail15normal_iteratorINS8_10device_ptrIiEEEESD_SD_SD_jNS0_19identity_decomposerENS1_16block_id_wrapperIjLb1EEEEE10hipError_tT1_PNSt15iterator_traitsISI_E10value_typeET2_T3_PNSJ_ISO_E10value_typeET4_T5_PST_SU_PNS1_23onesweep_lookback_stateEbbT6_jjT7_P12ihipStream_tbENKUlT_T0_SI_SN_E_clISD_SD_SD_SD_EEDaS11_S12_SI_SN_EUlS11_E_NS1_11comp_targetILNS1_3genE8ELNS1_11target_archE1030ELNS1_3gpuE2ELNS1_3repE0EEENS1_47radix_sort_onesweep_sort_config_static_selectorELNS0_4arch9wavefront6targetE1EEEvSI_,comdat
	.protected	_ZN7rocprim17ROCPRIM_400000_NS6detail17trampoline_kernelINS0_14default_configENS1_35radix_sort_onesweep_config_selectorIiiEEZZNS1_29radix_sort_onesweep_iterationIS3_Lb0EN6thrust23THRUST_200600_302600_NS6detail15normal_iteratorINS8_10device_ptrIiEEEESD_SD_SD_jNS0_19identity_decomposerENS1_16block_id_wrapperIjLb1EEEEE10hipError_tT1_PNSt15iterator_traitsISI_E10value_typeET2_T3_PNSJ_ISO_E10value_typeET4_T5_PST_SU_PNS1_23onesweep_lookback_stateEbbT6_jjT7_P12ihipStream_tbENKUlT_T0_SI_SN_E_clISD_SD_SD_SD_EEDaS11_S12_SI_SN_EUlS11_E_NS1_11comp_targetILNS1_3genE8ELNS1_11target_archE1030ELNS1_3gpuE2ELNS1_3repE0EEENS1_47radix_sort_onesweep_sort_config_static_selectorELNS0_4arch9wavefront6targetE1EEEvSI_ ; -- Begin function _ZN7rocprim17ROCPRIM_400000_NS6detail17trampoline_kernelINS0_14default_configENS1_35radix_sort_onesweep_config_selectorIiiEEZZNS1_29radix_sort_onesweep_iterationIS3_Lb0EN6thrust23THRUST_200600_302600_NS6detail15normal_iteratorINS8_10device_ptrIiEEEESD_SD_SD_jNS0_19identity_decomposerENS1_16block_id_wrapperIjLb1EEEEE10hipError_tT1_PNSt15iterator_traitsISI_E10value_typeET2_T3_PNSJ_ISO_E10value_typeET4_T5_PST_SU_PNS1_23onesweep_lookback_stateEbbT6_jjT7_P12ihipStream_tbENKUlT_T0_SI_SN_E_clISD_SD_SD_SD_EEDaS11_S12_SI_SN_EUlS11_E_NS1_11comp_targetILNS1_3genE8ELNS1_11target_archE1030ELNS1_3gpuE2ELNS1_3repE0EEENS1_47radix_sort_onesweep_sort_config_static_selectorELNS0_4arch9wavefront6targetE1EEEvSI_
	.globl	_ZN7rocprim17ROCPRIM_400000_NS6detail17trampoline_kernelINS0_14default_configENS1_35radix_sort_onesweep_config_selectorIiiEEZZNS1_29radix_sort_onesweep_iterationIS3_Lb0EN6thrust23THRUST_200600_302600_NS6detail15normal_iteratorINS8_10device_ptrIiEEEESD_SD_SD_jNS0_19identity_decomposerENS1_16block_id_wrapperIjLb1EEEEE10hipError_tT1_PNSt15iterator_traitsISI_E10value_typeET2_T3_PNSJ_ISO_E10value_typeET4_T5_PST_SU_PNS1_23onesweep_lookback_stateEbbT6_jjT7_P12ihipStream_tbENKUlT_T0_SI_SN_E_clISD_SD_SD_SD_EEDaS11_S12_SI_SN_EUlS11_E_NS1_11comp_targetILNS1_3genE8ELNS1_11target_archE1030ELNS1_3gpuE2ELNS1_3repE0EEENS1_47radix_sort_onesweep_sort_config_static_selectorELNS0_4arch9wavefront6targetE1EEEvSI_
	.p2align	8
	.type	_ZN7rocprim17ROCPRIM_400000_NS6detail17trampoline_kernelINS0_14default_configENS1_35radix_sort_onesweep_config_selectorIiiEEZZNS1_29radix_sort_onesweep_iterationIS3_Lb0EN6thrust23THRUST_200600_302600_NS6detail15normal_iteratorINS8_10device_ptrIiEEEESD_SD_SD_jNS0_19identity_decomposerENS1_16block_id_wrapperIjLb1EEEEE10hipError_tT1_PNSt15iterator_traitsISI_E10value_typeET2_T3_PNSJ_ISO_E10value_typeET4_T5_PST_SU_PNS1_23onesweep_lookback_stateEbbT6_jjT7_P12ihipStream_tbENKUlT_T0_SI_SN_E_clISD_SD_SD_SD_EEDaS11_S12_SI_SN_EUlS11_E_NS1_11comp_targetILNS1_3genE8ELNS1_11target_archE1030ELNS1_3gpuE2ELNS1_3repE0EEENS1_47radix_sort_onesweep_sort_config_static_selectorELNS0_4arch9wavefront6targetE1EEEvSI_,@function
_ZN7rocprim17ROCPRIM_400000_NS6detail17trampoline_kernelINS0_14default_configENS1_35radix_sort_onesweep_config_selectorIiiEEZZNS1_29radix_sort_onesweep_iterationIS3_Lb0EN6thrust23THRUST_200600_302600_NS6detail15normal_iteratorINS8_10device_ptrIiEEEESD_SD_SD_jNS0_19identity_decomposerENS1_16block_id_wrapperIjLb1EEEEE10hipError_tT1_PNSt15iterator_traitsISI_E10value_typeET2_T3_PNSJ_ISO_E10value_typeET4_T5_PST_SU_PNS1_23onesweep_lookback_stateEbbT6_jjT7_P12ihipStream_tbENKUlT_T0_SI_SN_E_clISD_SD_SD_SD_EEDaS11_S12_SI_SN_EUlS11_E_NS1_11comp_targetILNS1_3genE8ELNS1_11target_archE1030ELNS1_3gpuE2ELNS1_3repE0EEENS1_47radix_sort_onesweep_sort_config_static_selectorELNS0_4arch9wavefront6targetE1EEEvSI_: ; @_ZN7rocprim17ROCPRIM_400000_NS6detail17trampoline_kernelINS0_14default_configENS1_35radix_sort_onesweep_config_selectorIiiEEZZNS1_29radix_sort_onesweep_iterationIS3_Lb0EN6thrust23THRUST_200600_302600_NS6detail15normal_iteratorINS8_10device_ptrIiEEEESD_SD_SD_jNS0_19identity_decomposerENS1_16block_id_wrapperIjLb1EEEEE10hipError_tT1_PNSt15iterator_traitsISI_E10value_typeET2_T3_PNSJ_ISO_E10value_typeET4_T5_PST_SU_PNS1_23onesweep_lookback_stateEbbT6_jjT7_P12ihipStream_tbENKUlT_T0_SI_SN_E_clISD_SD_SD_SD_EEDaS11_S12_SI_SN_EUlS11_E_NS1_11comp_targetILNS1_3genE8ELNS1_11target_archE1030ELNS1_3gpuE2ELNS1_3repE0EEENS1_47radix_sort_onesweep_sort_config_static_selectorELNS0_4arch9wavefront6targetE1EEEvSI_
; %bb.0:
	.section	.rodata,"a",@progbits
	.p2align	6, 0x0
	.amdhsa_kernel _ZN7rocprim17ROCPRIM_400000_NS6detail17trampoline_kernelINS0_14default_configENS1_35radix_sort_onesweep_config_selectorIiiEEZZNS1_29radix_sort_onesweep_iterationIS3_Lb0EN6thrust23THRUST_200600_302600_NS6detail15normal_iteratorINS8_10device_ptrIiEEEESD_SD_SD_jNS0_19identity_decomposerENS1_16block_id_wrapperIjLb1EEEEE10hipError_tT1_PNSt15iterator_traitsISI_E10value_typeET2_T3_PNSJ_ISO_E10value_typeET4_T5_PST_SU_PNS1_23onesweep_lookback_stateEbbT6_jjT7_P12ihipStream_tbENKUlT_T0_SI_SN_E_clISD_SD_SD_SD_EEDaS11_S12_SI_SN_EUlS11_E_NS1_11comp_targetILNS1_3genE8ELNS1_11target_archE1030ELNS1_3gpuE2ELNS1_3repE0EEENS1_47radix_sort_onesweep_sort_config_static_selectorELNS0_4arch9wavefront6targetE1EEEvSI_
		.amdhsa_group_segment_fixed_size 0
		.amdhsa_private_segment_fixed_size 0
		.amdhsa_kernarg_size 88
		.amdhsa_user_sgpr_count 2
		.amdhsa_user_sgpr_dispatch_ptr 0
		.amdhsa_user_sgpr_queue_ptr 0
		.amdhsa_user_sgpr_kernarg_segment_ptr 1
		.amdhsa_user_sgpr_dispatch_id 0
		.amdhsa_user_sgpr_kernarg_preload_length 0
		.amdhsa_user_sgpr_kernarg_preload_offset 0
		.amdhsa_user_sgpr_private_segment_size 0
		.amdhsa_uses_dynamic_stack 0
		.amdhsa_enable_private_segment 0
		.amdhsa_system_sgpr_workgroup_id_x 1
		.amdhsa_system_sgpr_workgroup_id_y 0
		.amdhsa_system_sgpr_workgroup_id_z 0
		.amdhsa_system_sgpr_workgroup_info 0
		.amdhsa_system_vgpr_workitem_id 0
		.amdhsa_next_free_vgpr 1
		.amdhsa_next_free_sgpr 0
		.amdhsa_accum_offset 4
		.amdhsa_reserve_vcc 0
		.amdhsa_float_round_mode_32 0
		.amdhsa_float_round_mode_16_64 0
		.amdhsa_float_denorm_mode_32 3
		.amdhsa_float_denorm_mode_16_64 3
		.amdhsa_dx10_clamp 1
		.amdhsa_ieee_mode 1
		.amdhsa_fp16_overflow 0
		.amdhsa_tg_split 0
		.amdhsa_exception_fp_ieee_invalid_op 0
		.amdhsa_exception_fp_denorm_src 0
		.amdhsa_exception_fp_ieee_div_zero 0
		.amdhsa_exception_fp_ieee_overflow 0
		.amdhsa_exception_fp_ieee_underflow 0
		.amdhsa_exception_fp_ieee_inexact 0
		.amdhsa_exception_int_div_zero 0
	.end_amdhsa_kernel
	.section	.text._ZN7rocprim17ROCPRIM_400000_NS6detail17trampoline_kernelINS0_14default_configENS1_35radix_sort_onesweep_config_selectorIiiEEZZNS1_29radix_sort_onesweep_iterationIS3_Lb0EN6thrust23THRUST_200600_302600_NS6detail15normal_iteratorINS8_10device_ptrIiEEEESD_SD_SD_jNS0_19identity_decomposerENS1_16block_id_wrapperIjLb1EEEEE10hipError_tT1_PNSt15iterator_traitsISI_E10value_typeET2_T3_PNSJ_ISO_E10value_typeET4_T5_PST_SU_PNS1_23onesweep_lookback_stateEbbT6_jjT7_P12ihipStream_tbENKUlT_T0_SI_SN_E_clISD_SD_SD_SD_EEDaS11_S12_SI_SN_EUlS11_E_NS1_11comp_targetILNS1_3genE8ELNS1_11target_archE1030ELNS1_3gpuE2ELNS1_3repE0EEENS1_47radix_sort_onesweep_sort_config_static_selectorELNS0_4arch9wavefront6targetE1EEEvSI_,"axG",@progbits,_ZN7rocprim17ROCPRIM_400000_NS6detail17trampoline_kernelINS0_14default_configENS1_35radix_sort_onesweep_config_selectorIiiEEZZNS1_29radix_sort_onesweep_iterationIS3_Lb0EN6thrust23THRUST_200600_302600_NS6detail15normal_iteratorINS8_10device_ptrIiEEEESD_SD_SD_jNS0_19identity_decomposerENS1_16block_id_wrapperIjLb1EEEEE10hipError_tT1_PNSt15iterator_traitsISI_E10value_typeET2_T3_PNSJ_ISO_E10value_typeET4_T5_PST_SU_PNS1_23onesweep_lookback_stateEbbT6_jjT7_P12ihipStream_tbENKUlT_T0_SI_SN_E_clISD_SD_SD_SD_EEDaS11_S12_SI_SN_EUlS11_E_NS1_11comp_targetILNS1_3genE8ELNS1_11target_archE1030ELNS1_3gpuE2ELNS1_3repE0EEENS1_47radix_sort_onesweep_sort_config_static_selectorELNS0_4arch9wavefront6targetE1EEEvSI_,comdat
.Lfunc_end1427:
	.size	_ZN7rocprim17ROCPRIM_400000_NS6detail17trampoline_kernelINS0_14default_configENS1_35radix_sort_onesweep_config_selectorIiiEEZZNS1_29radix_sort_onesweep_iterationIS3_Lb0EN6thrust23THRUST_200600_302600_NS6detail15normal_iteratorINS8_10device_ptrIiEEEESD_SD_SD_jNS0_19identity_decomposerENS1_16block_id_wrapperIjLb1EEEEE10hipError_tT1_PNSt15iterator_traitsISI_E10value_typeET2_T3_PNSJ_ISO_E10value_typeET4_T5_PST_SU_PNS1_23onesweep_lookback_stateEbbT6_jjT7_P12ihipStream_tbENKUlT_T0_SI_SN_E_clISD_SD_SD_SD_EEDaS11_S12_SI_SN_EUlS11_E_NS1_11comp_targetILNS1_3genE8ELNS1_11target_archE1030ELNS1_3gpuE2ELNS1_3repE0EEENS1_47radix_sort_onesweep_sort_config_static_selectorELNS0_4arch9wavefront6targetE1EEEvSI_, .Lfunc_end1427-_ZN7rocprim17ROCPRIM_400000_NS6detail17trampoline_kernelINS0_14default_configENS1_35radix_sort_onesweep_config_selectorIiiEEZZNS1_29radix_sort_onesweep_iterationIS3_Lb0EN6thrust23THRUST_200600_302600_NS6detail15normal_iteratorINS8_10device_ptrIiEEEESD_SD_SD_jNS0_19identity_decomposerENS1_16block_id_wrapperIjLb1EEEEE10hipError_tT1_PNSt15iterator_traitsISI_E10value_typeET2_T3_PNSJ_ISO_E10value_typeET4_T5_PST_SU_PNS1_23onesweep_lookback_stateEbbT6_jjT7_P12ihipStream_tbENKUlT_T0_SI_SN_E_clISD_SD_SD_SD_EEDaS11_S12_SI_SN_EUlS11_E_NS1_11comp_targetILNS1_3genE8ELNS1_11target_archE1030ELNS1_3gpuE2ELNS1_3repE0EEENS1_47radix_sort_onesweep_sort_config_static_selectorELNS0_4arch9wavefront6targetE1EEEvSI_
                                        ; -- End function
	.set _ZN7rocprim17ROCPRIM_400000_NS6detail17trampoline_kernelINS0_14default_configENS1_35radix_sort_onesweep_config_selectorIiiEEZZNS1_29radix_sort_onesweep_iterationIS3_Lb0EN6thrust23THRUST_200600_302600_NS6detail15normal_iteratorINS8_10device_ptrIiEEEESD_SD_SD_jNS0_19identity_decomposerENS1_16block_id_wrapperIjLb1EEEEE10hipError_tT1_PNSt15iterator_traitsISI_E10value_typeET2_T3_PNSJ_ISO_E10value_typeET4_T5_PST_SU_PNS1_23onesweep_lookback_stateEbbT6_jjT7_P12ihipStream_tbENKUlT_T0_SI_SN_E_clISD_SD_SD_SD_EEDaS11_S12_SI_SN_EUlS11_E_NS1_11comp_targetILNS1_3genE8ELNS1_11target_archE1030ELNS1_3gpuE2ELNS1_3repE0EEENS1_47radix_sort_onesweep_sort_config_static_selectorELNS0_4arch9wavefront6targetE1EEEvSI_.num_vgpr, 0
	.set _ZN7rocprim17ROCPRIM_400000_NS6detail17trampoline_kernelINS0_14default_configENS1_35radix_sort_onesweep_config_selectorIiiEEZZNS1_29radix_sort_onesweep_iterationIS3_Lb0EN6thrust23THRUST_200600_302600_NS6detail15normal_iteratorINS8_10device_ptrIiEEEESD_SD_SD_jNS0_19identity_decomposerENS1_16block_id_wrapperIjLb1EEEEE10hipError_tT1_PNSt15iterator_traitsISI_E10value_typeET2_T3_PNSJ_ISO_E10value_typeET4_T5_PST_SU_PNS1_23onesweep_lookback_stateEbbT6_jjT7_P12ihipStream_tbENKUlT_T0_SI_SN_E_clISD_SD_SD_SD_EEDaS11_S12_SI_SN_EUlS11_E_NS1_11comp_targetILNS1_3genE8ELNS1_11target_archE1030ELNS1_3gpuE2ELNS1_3repE0EEENS1_47radix_sort_onesweep_sort_config_static_selectorELNS0_4arch9wavefront6targetE1EEEvSI_.num_agpr, 0
	.set _ZN7rocprim17ROCPRIM_400000_NS6detail17trampoline_kernelINS0_14default_configENS1_35radix_sort_onesweep_config_selectorIiiEEZZNS1_29radix_sort_onesweep_iterationIS3_Lb0EN6thrust23THRUST_200600_302600_NS6detail15normal_iteratorINS8_10device_ptrIiEEEESD_SD_SD_jNS0_19identity_decomposerENS1_16block_id_wrapperIjLb1EEEEE10hipError_tT1_PNSt15iterator_traitsISI_E10value_typeET2_T3_PNSJ_ISO_E10value_typeET4_T5_PST_SU_PNS1_23onesweep_lookback_stateEbbT6_jjT7_P12ihipStream_tbENKUlT_T0_SI_SN_E_clISD_SD_SD_SD_EEDaS11_S12_SI_SN_EUlS11_E_NS1_11comp_targetILNS1_3genE8ELNS1_11target_archE1030ELNS1_3gpuE2ELNS1_3repE0EEENS1_47radix_sort_onesweep_sort_config_static_selectorELNS0_4arch9wavefront6targetE1EEEvSI_.numbered_sgpr, 0
	.set _ZN7rocprim17ROCPRIM_400000_NS6detail17trampoline_kernelINS0_14default_configENS1_35radix_sort_onesweep_config_selectorIiiEEZZNS1_29radix_sort_onesweep_iterationIS3_Lb0EN6thrust23THRUST_200600_302600_NS6detail15normal_iteratorINS8_10device_ptrIiEEEESD_SD_SD_jNS0_19identity_decomposerENS1_16block_id_wrapperIjLb1EEEEE10hipError_tT1_PNSt15iterator_traitsISI_E10value_typeET2_T3_PNSJ_ISO_E10value_typeET4_T5_PST_SU_PNS1_23onesweep_lookback_stateEbbT6_jjT7_P12ihipStream_tbENKUlT_T0_SI_SN_E_clISD_SD_SD_SD_EEDaS11_S12_SI_SN_EUlS11_E_NS1_11comp_targetILNS1_3genE8ELNS1_11target_archE1030ELNS1_3gpuE2ELNS1_3repE0EEENS1_47radix_sort_onesweep_sort_config_static_selectorELNS0_4arch9wavefront6targetE1EEEvSI_.num_named_barrier, 0
	.set _ZN7rocprim17ROCPRIM_400000_NS6detail17trampoline_kernelINS0_14default_configENS1_35radix_sort_onesweep_config_selectorIiiEEZZNS1_29radix_sort_onesweep_iterationIS3_Lb0EN6thrust23THRUST_200600_302600_NS6detail15normal_iteratorINS8_10device_ptrIiEEEESD_SD_SD_jNS0_19identity_decomposerENS1_16block_id_wrapperIjLb1EEEEE10hipError_tT1_PNSt15iterator_traitsISI_E10value_typeET2_T3_PNSJ_ISO_E10value_typeET4_T5_PST_SU_PNS1_23onesweep_lookback_stateEbbT6_jjT7_P12ihipStream_tbENKUlT_T0_SI_SN_E_clISD_SD_SD_SD_EEDaS11_S12_SI_SN_EUlS11_E_NS1_11comp_targetILNS1_3genE8ELNS1_11target_archE1030ELNS1_3gpuE2ELNS1_3repE0EEENS1_47radix_sort_onesweep_sort_config_static_selectorELNS0_4arch9wavefront6targetE1EEEvSI_.private_seg_size, 0
	.set _ZN7rocprim17ROCPRIM_400000_NS6detail17trampoline_kernelINS0_14default_configENS1_35radix_sort_onesweep_config_selectorIiiEEZZNS1_29radix_sort_onesweep_iterationIS3_Lb0EN6thrust23THRUST_200600_302600_NS6detail15normal_iteratorINS8_10device_ptrIiEEEESD_SD_SD_jNS0_19identity_decomposerENS1_16block_id_wrapperIjLb1EEEEE10hipError_tT1_PNSt15iterator_traitsISI_E10value_typeET2_T3_PNSJ_ISO_E10value_typeET4_T5_PST_SU_PNS1_23onesweep_lookback_stateEbbT6_jjT7_P12ihipStream_tbENKUlT_T0_SI_SN_E_clISD_SD_SD_SD_EEDaS11_S12_SI_SN_EUlS11_E_NS1_11comp_targetILNS1_3genE8ELNS1_11target_archE1030ELNS1_3gpuE2ELNS1_3repE0EEENS1_47radix_sort_onesweep_sort_config_static_selectorELNS0_4arch9wavefront6targetE1EEEvSI_.uses_vcc, 0
	.set _ZN7rocprim17ROCPRIM_400000_NS6detail17trampoline_kernelINS0_14default_configENS1_35radix_sort_onesweep_config_selectorIiiEEZZNS1_29radix_sort_onesweep_iterationIS3_Lb0EN6thrust23THRUST_200600_302600_NS6detail15normal_iteratorINS8_10device_ptrIiEEEESD_SD_SD_jNS0_19identity_decomposerENS1_16block_id_wrapperIjLb1EEEEE10hipError_tT1_PNSt15iterator_traitsISI_E10value_typeET2_T3_PNSJ_ISO_E10value_typeET4_T5_PST_SU_PNS1_23onesweep_lookback_stateEbbT6_jjT7_P12ihipStream_tbENKUlT_T0_SI_SN_E_clISD_SD_SD_SD_EEDaS11_S12_SI_SN_EUlS11_E_NS1_11comp_targetILNS1_3genE8ELNS1_11target_archE1030ELNS1_3gpuE2ELNS1_3repE0EEENS1_47radix_sort_onesweep_sort_config_static_selectorELNS0_4arch9wavefront6targetE1EEEvSI_.uses_flat_scratch, 0
	.set _ZN7rocprim17ROCPRIM_400000_NS6detail17trampoline_kernelINS0_14default_configENS1_35radix_sort_onesweep_config_selectorIiiEEZZNS1_29radix_sort_onesweep_iterationIS3_Lb0EN6thrust23THRUST_200600_302600_NS6detail15normal_iteratorINS8_10device_ptrIiEEEESD_SD_SD_jNS0_19identity_decomposerENS1_16block_id_wrapperIjLb1EEEEE10hipError_tT1_PNSt15iterator_traitsISI_E10value_typeET2_T3_PNSJ_ISO_E10value_typeET4_T5_PST_SU_PNS1_23onesweep_lookback_stateEbbT6_jjT7_P12ihipStream_tbENKUlT_T0_SI_SN_E_clISD_SD_SD_SD_EEDaS11_S12_SI_SN_EUlS11_E_NS1_11comp_targetILNS1_3genE8ELNS1_11target_archE1030ELNS1_3gpuE2ELNS1_3repE0EEENS1_47radix_sort_onesweep_sort_config_static_selectorELNS0_4arch9wavefront6targetE1EEEvSI_.has_dyn_sized_stack, 0
	.set _ZN7rocprim17ROCPRIM_400000_NS6detail17trampoline_kernelINS0_14default_configENS1_35radix_sort_onesweep_config_selectorIiiEEZZNS1_29radix_sort_onesweep_iterationIS3_Lb0EN6thrust23THRUST_200600_302600_NS6detail15normal_iteratorINS8_10device_ptrIiEEEESD_SD_SD_jNS0_19identity_decomposerENS1_16block_id_wrapperIjLb1EEEEE10hipError_tT1_PNSt15iterator_traitsISI_E10value_typeET2_T3_PNSJ_ISO_E10value_typeET4_T5_PST_SU_PNS1_23onesweep_lookback_stateEbbT6_jjT7_P12ihipStream_tbENKUlT_T0_SI_SN_E_clISD_SD_SD_SD_EEDaS11_S12_SI_SN_EUlS11_E_NS1_11comp_targetILNS1_3genE8ELNS1_11target_archE1030ELNS1_3gpuE2ELNS1_3repE0EEENS1_47radix_sort_onesweep_sort_config_static_selectorELNS0_4arch9wavefront6targetE1EEEvSI_.has_recursion, 0
	.set _ZN7rocprim17ROCPRIM_400000_NS6detail17trampoline_kernelINS0_14default_configENS1_35radix_sort_onesweep_config_selectorIiiEEZZNS1_29radix_sort_onesweep_iterationIS3_Lb0EN6thrust23THRUST_200600_302600_NS6detail15normal_iteratorINS8_10device_ptrIiEEEESD_SD_SD_jNS0_19identity_decomposerENS1_16block_id_wrapperIjLb1EEEEE10hipError_tT1_PNSt15iterator_traitsISI_E10value_typeET2_T3_PNSJ_ISO_E10value_typeET4_T5_PST_SU_PNS1_23onesweep_lookback_stateEbbT6_jjT7_P12ihipStream_tbENKUlT_T0_SI_SN_E_clISD_SD_SD_SD_EEDaS11_S12_SI_SN_EUlS11_E_NS1_11comp_targetILNS1_3genE8ELNS1_11target_archE1030ELNS1_3gpuE2ELNS1_3repE0EEENS1_47radix_sort_onesweep_sort_config_static_selectorELNS0_4arch9wavefront6targetE1EEEvSI_.has_indirect_call, 0
	.section	.AMDGPU.csdata,"",@progbits
; Kernel info:
; codeLenInByte = 0
; TotalNumSgprs: 6
; NumVgprs: 0
; NumAgprs: 0
; TotalNumVgprs: 0
; ScratchSize: 0
; MemoryBound: 0
; FloatMode: 240
; IeeeMode: 1
; LDSByteSize: 0 bytes/workgroup (compile time only)
; SGPRBlocks: 0
; VGPRBlocks: 0
; NumSGPRsForWavesPerEU: 6
; NumVGPRsForWavesPerEU: 1
; AccumOffset: 4
; Occupancy: 8
; WaveLimiterHint : 0
; COMPUTE_PGM_RSRC2:SCRATCH_EN: 0
; COMPUTE_PGM_RSRC2:USER_SGPR: 2
; COMPUTE_PGM_RSRC2:TRAP_HANDLER: 0
; COMPUTE_PGM_RSRC2:TGID_X_EN: 1
; COMPUTE_PGM_RSRC2:TGID_Y_EN: 0
; COMPUTE_PGM_RSRC2:TGID_Z_EN: 0
; COMPUTE_PGM_RSRC2:TIDIG_COMP_CNT: 0
; COMPUTE_PGM_RSRC3_GFX90A:ACCUM_OFFSET: 0
; COMPUTE_PGM_RSRC3_GFX90A:TG_SPLIT: 0
	.section	.text._ZN7rocprim17ROCPRIM_400000_NS6detail17trampoline_kernelINS0_14default_configENS1_35radix_sort_onesweep_config_selectorIiiEEZZNS1_29radix_sort_onesweep_iterationIS3_Lb0EN6thrust23THRUST_200600_302600_NS6detail15normal_iteratorINS8_10device_ptrIiEEEESD_SD_SD_jNS0_19identity_decomposerENS1_16block_id_wrapperIjLb1EEEEE10hipError_tT1_PNSt15iterator_traitsISI_E10value_typeET2_T3_PNSJ_ISO_E10value_typeET4_T5_PST_SU_PNS1_23onesweep_lookback_stateEbbT6_jjT7_P12ihipStream_tbENKUlT_T0_SI_SN_E_clISD_PiSD_S15_EEDaS11_S12_SI_SN_EUlS11_E_NS1_11comp_targetILNS1_3genE0ELNS1_11target_archE4294967295ELNS1_3gpuE0ELNS1_3repE0EEENS1_47radix_sort_onesweep_sort_config_static_selectorELNS0_4arch9wavefront6targetE1EEEvSI_,"axG",@progbits,_ZN7rocprim17ROCPRIM_400000_NS6detail17trampoline_kernelINS0_14default_configENS1_35radix_sort_onesweep_config_selectorIiiEEZZNS1_29radix_sort_onesweep_iterationIS3_Lb0EN6thrust23THRUST_200600_302600_NS6detail15normal_iteratorINS8_10device_ptrIiEEEESD_SD_SD_jNS0_19identity_decomposerENS1_16block_id_wrapperIjLb1EEEEE10hipError_tT1_PNSt15iterator_traitsISI_E10value_typeET2_T3_PNSJ_ISO_E10value_typeET4_T5_PST_SU_PNS1_23onesweep_lookback_stateEbbT6_jjT7_P12ihipStream_tbENKUlT_T0_SI_SN_E_clISD_PiSD_S15_EEDaS11_S12_SI_SN_EUlS11_E_NS1_11comp_targetILNS1_3genE0ELNS1_11target_archE4294967295ELNS1_3gpuE0ELNS1_3repE0EEENS1_47radix_sort_onesweep_sort_config_static_selectorELNS0_4arch9wavefront6targetE1EEEvSI_,comdat
	.protected	_ZN7rocprim17ROCPRIM_400000_NS6detail17trampoline_kernelINS0_14default_configENS1_35radix_sort_onesweep_config_selectorIiiEEZZNS1_29radix_sort_onesweep_iterationIS3_Lb0EN6thrust23THRUST_200600_302600_NS6detail15normal_iteratorINS8_10device_ptrIiEEEESD_SD_SD_jNS0_19identity_decomposerENS1_16block_id_wrapperIjLb1EEEEE10hipError_tT1_PNSt15iterator_traitsISI_E10value_typeET2_T3_PNSJ_ISO_E10value_typeET4_T5_PST_SU_PNS1_23onesweep_lookback_stateEbbT6_jjT7_P12ihipStream_tbENKUlT_T0_SI_SN_E_clISD_PiSD_S15_EEDaS11_S12_SI_SN_EUlS11_E_NS1_11comp_targetILNS1_3genE0ELNS1_11target_archE4294967295ELNS1_3gpuE0ELNS1_3repE0EEENS1_47radix_sort_onesweep_sort_config_static_selectorELNS0_4arch9wavefront6targetE1EEEvSI_ ; -- Begin function _ZN7rocprim17ROCPRIM_400000_NS6detail17trampoline_kernelINS0_14default_configENS1_35radix_sort_onesweep_config_selectorIiiEEZZNS1_29radix_sort_onesweep_iterationIS3_Lb0EN6thrust23THRUST_200600_302600_NS6detail15normal_iteratorINS8_10device_ptrIiEEEESD_SD_SD_jNS0_19identity_decomposerENS1_16block_id_wrapperIjLb1EEEEE10hipError_tT1_PNSt15iterator_traitsISI_E10value_typeET2_T3_PNSJ_ISO_E10value_typeET4_T5_PST_SU_PNS1_23onesweep_lookback_stateEbbT6_jjT7_P12ihipStream_tbENKUlT_T0_SI_SN_E_clISD_PiSD_S15_EEDaS11_S12_SI_SN_EUlS11_E_NS1_11comp_targetILNS1_3genE0ELNS1_11target_archE4294967295ELNS1_3gpuE0ELNS1_3repE0EEENS1_47radix_sort_onesweep_sort_config_static_selectorELNS0_4arch9wavefront6targetE1EEEvSI_
	.globl	_ZN7rocprim17ROCPRIM_400000_NS6detail17trampoline_kernelINS0_14default_configENS1_35radix_sort_onesweep_config_selectorIiiEEZZNS1_29radix_sort_onesweep_iterationIS3_Lb0EN6thrust23THRUST_200600_302600_NS6detail15normal_iteratorINS8_10device_ptrIiEEEESD_SD_SD_jNS0_19identity_decomposerENS1_16block_id_wrapperIjLb1EEEEE10hipError_tT1_PNSt15iterator_traitsISI_E10value_typeET2_T3_PNSJ_ISO_E10value_typeET4_T5_PST_SU_PNS1_23onesweep_lookback_stateEbbT6_jjT7_P12ihipStream_tbENKUlT_T0_SI_SN_E_clISD_PiSD_S15_EEDaS11_S12_SI_SN_EUlS11_E_NS1_11comp_targetILNS1_3genE0ELNS1_11target_archE4294967295ELNS1_3gpuE0ELNS1_3repE0EEENS1_47radix_sort_onesweep_sort_config_static_selectorELNS0_4arch9wavefront6targetE1EEEvSI_
	.p2align	8
	.type	_ZN7rocprim17ROCPRIM_400000_NS6detail17trampoline_kernelINS0_14default_configENS1_35radix_sort_onesweep_config_selectorIiiEEZZNS1_29radix_sort_onesweep_iterationIS3_Lb0EN6thrust23THRUST_200600_302600_NS6detail15normal_iteratorINS8_10device_ptrIiEEEESD_SD_SD_jNS0_19identity_decomposerENS1_16block_id_wrapperIjLb1EEEEE10hipError_tT1_PNSt15iterator_traitsISI_E10value_typeET2_T3_PNSJ_ISO_E10value_typeET4_T5_PST_SU_PNS1_23onesweep_lookback_stateEbbT6_jjT7_P12ihipStream_tbENKUlT_T0_SI_SN_E_clISD_PiSD_S15_EEDaS11_S12_SI_SN_EUlS11_E_NS1_11comp_targetILNS1_3genE0ELNS1_11target_archE4294967295ELNS1_3gpuE0ELNS1_3repE0EEENS1_47radix_sort_onesweep_sort_config_static_selectorELNS0_4arch9wavefront6targetE1EEEvSI_,@function
_ZN7rocprim17ROCPRIM_400000_NS6detail17trampoline_kernelINS0_14default_configENS1_35radix_sort_onesweep_config_selectorIiiEEZZNS1_29radix_sort_onesweep_iterationIS3_Lb0EN6thrust23THRUST_200600_302600_NS6detail15normal_iteratorINS8_10device_ptrIiEEEESD_SD_SD_jNS0_19identity_decomposerENS1_16block_id_wrapperIjLb1EEEEE10hipError_tT1_PNSt15iterator_traitsISI_E10value_typeET2_T3_PNSJ_ISO_E10value_typeET4_T5_PST_SU_PNS1_23onesweep_lookback_stateEbbT6_jjT7_P12ihipStream_tbENKUlT_T0_SI_SN_E_clISD_PiSD_S15_EEDaS11_S12_SI_SN_EUlS11_E_NS1_11comp_targetILNS1_3genE0ELNS1_11target_archE4294967295ELNS1_3gpuE0ELNS1_3repE0EEENS1_47radix_sort_onesweep_sort_config_static_selectorELNS0_4arch9wavefront6targetE1EEEvSI_: ; @_ZN7rocprim17ROCPRIM_400000_NS6detail17trampoline_kernelINS0_14default_configENS1_35radix_sort_onesweep_config_selectorIiiEEZZNS1_29radix_sort_onesweep_iterationIS3_Lb0EN6thrust23THRUST_200600_302600_NS6detail15normal_iteratorINS8_10device_ptrIiEEEESD_SD_SD_jNS0_19identity_decomposerENS1_16block_id_wrapperIjLb1EEEEE10hipError_tT1_PNSt15iterator_traitsISI_E10value_typeET2_T3_PNSJ_ISO_E10value_typeET4_T5_PST_SU_PNS1_23onesweep_lookback_stateEbbT6_jjT7_P12ihipStream_tbENKUlT_T0_SI_SN_E_clISD_PiSD_S15_EEDaS11_S12_SI_SN_EUlS11_E_NS1_11comp_targetILNS1_3genE0ELNS1_11target_archE4294967295ELNS1_3gpuE0ELNS1_3repE0EEENS1_47radix_sort_onesweep_sort_config_static_selectorELNS0_4arch9wavefront6targetE1EEEvSI_
; %bb.0:
	.section	.rodata,"a",@progbits
	.p2align	6, 0x0
	.amdhsa_kernel _ZN7rocprim17ROCPRIM_400000_NS6detail17trampoline_kernelINS0_14default_configENS1_35radix_sort_onesweep_config_selectorIiiEEZZNS1_29radix_sort_onesweep_iterationIS3_Lb0EN6thrust23THRUST_200600_302600_NS6detail15normal_iteratorINS8_10device_ptrIiEEEESD_SD_SD_jNS0_19identity_decomposerENS1_16block_id_wrapperIjLb1EEEEE10hipError_tT1_PNSt15iterator_traitsISI_E10value_typeET2_T3_PNSJ_ISO_E10value_typeET4_T5_PST_SU_PNS1_23onesweep_lookback_stateEbbT6_jjT7_P12ihipStream_tbENKUlT_T0_SI_SN_E_clISD_PiSD_S15_EEDaS11_S12_SI_SN_EUlS11_E_NS1_11comp_targetILNS1_3genE0ELNS1_11target_archE4294967295ELNS1_3gpuE0ELNS1_3repE0EEENS1_47radix_sort_onesweep_sort_config_static_selectorELNS0_4arch9wavefront6targetE1EEEvSI_
		.amdhsa_group_segment_fixed_size 0
		.amdhsa_private_segment_fixed_size 0
		.amdhsa_kernarg_size 88
		.amdhsa_user_sgpr_count 2
		.amdhsa_user_sgpr_dispatch_ptr 0
		.amdhsa_user_sgpr_queue_ptr 0
		.amdhsa_user_sgpr_kernarg_segment_ptr 1
		.amdhsa_user_sgpr_dispatch_id 0
		.amdhsa_user_sgpr_kernarg_preload_length 0
		.amdhsa_user_sgpr_kernarg_preload_offset 0
		.amdhsa_user_sgpr_private_segment_size 0
		.amdhsa_uses_dynamic_stack 0
		.amdhsa_enable_private_segment 0
		.amdhsa_system_sgpr_workgroup_id_x 1
		.amdhsa_system_sgpr_workgroup_id_y 0
		.amdhsa_system_sgpr_workgroup_id_z 0
		.amdhsa_system_sgpr_workgroup_info 0
		.amdhsa_system_vgpr_workitem_id 0
		.amdhsa_next_free_vgpr 1
		.amdhsa_next_free_sgpr 0
		.amdhsa_accum_offset 4
		.amdhsa_reserve_vcc 0
		.amdhsa_float_round_mode_32 0
		.amdhsa_float_round_mode_16_64 0
		.amdhsa_float_denorm_mode_32 3
		.amdhsa_float_denorm_mode_16_64 3
		.amdhsa_dx10_clamp 1
		.amdhsa_ieee_mode 1
		.amdhsa_fp16_overflow 0
		.amdhsa_tg_split 0
		.amdhsa_exception_fp_ieee_invalid_op 0
		.amdhsa_exception_fp_denorm_src 0
		.amdhsa_exception_fp_ieee_div_zero 0
		.amdhsa_exception_fp_ieee_overflow 0
		.amdhsa_exception_fp_ieee_underflow 0
		.amdhsa_exception_fp_ieee_inexact 0
		.amdhsa_exception_int_div_zero 0
	.end_amdhsa_kernel
	.section	.text._ZN7rocprim17ROCPRIM_400000_NS6detail17trampoline_kernelINS0_14default_configENS1_35radix_sort_onesweep_config_selectorIiiEEZZNS1_29radix_sort_onesweep_iterationIS3_Lb0EN6thrust23THRUST_200600_302600_NS6detail15normal_iteratorINS8_10device_ptrIiEEEESD_SD_SD_jNS0_19identity_decomposerENS1_16block_id_wrapperIjLb1EEEEE10hipError_tT1_PNSt15iterator_traitsISI_E10value_typeET2_T3_PNSJ_ISO_E10value_typeET4_T5_PST_SU_PNS1_23onesweep_lookback_stateEbbT6_jjT7_P12ihipStream_tbENKUlT_T0_SI_SN_E_clISD_PiSD_S15_EEDaS11_S12_SI_SN_EUlS11_E_NS1_11comp_targetILNS1_3genE0ELNS1_11target_archE4294967295ELNS1_3gpuE0ELNS1_3repE0EEENS1_47radix_sort_onesweep_sort_config_static_selectorELNS0_4arch9wavefront6targetE1EEEvSI_,"axG",@progbits,_ZN7rocprim17ROCPRIM_400000_NS6detail17trampoline_kernelINS0_14default_configENS1_35radix_sort_onesweep_config_selectorIiiEEZZNS1_29radix_sort_onesweep_iterationIS3_Lb0EN6thrust23THRUST_200600_302600_NS6detail15normal_iteratorINS8_10device_ptrIiEEEESD_SD_SD_jNS0_19identity_decomposerENS1_16block_id_wrapperIjLb1EEEEE10hipError_tT1_PNSt15iterator_traitsISI_E10value_typeET2_T3_PNSJ_ISO_E10value_typeET4_T5_PST_SU_PNS1_23onesweep_lookback_stateEbbT6_jjT7_P12ihipStream_tbENKUlT_T0_SI_SN_E_clISD_PiSD_S15_EEDaS11_S12_SI_SN_EUlS11_E_NS1_11comp_targetILNS1_3genE0ELNS1_11target_archE4294967295ELNS1_3gpuE0ELNS1_3repE0EEENS1_47radix_sort_onesweep_sort_config_static_selectorELNS0_4arch9wavefront6targetE1EEEvSI_,comdat
.Lfunc_end1428:
	.size	_ZN7rocprim17ROCPRIM_400000_NS6detail17trampoline_kernelINS0_14default_configENS1_35radix_sort_onesweep_config_selectorIiiEEZZNS1_29radix_sort_onesweep_iterationIS3_Lb0EN6thrust23THRUST_200600_302600_NS6detail15normal_iteratorINS8_10device_ptrIiEEEESD_SD_SD_jNS0_19identity_decomposerENS1_16block_id_wrapperIjLb1EEEEE10hipError_tT1_PNSt15iterator_traitsISI_E10value_typeET2_T3_PNSJ_ISO_E10value_typeET4_T5_PST_SU_PNS1_23onesweep_lookback_stateEbbT6_jjT7_P12ihipStream_tbENKUlT_T0_SI_SN_E_clISD_PiSD_S15_EEDaS11_S12_SI_SN_EUlS11_E_NS1_11comp_targetILNS1_3genE0ELNS1_11target_archE4294967295ELNS1_3gpuE0ELNS1_3repE0EEENS1_47radix_sort_onesweep_sort_config_static_selectorELNS0_4arch9wavefront6targetE1EEEvSI_, .Lfunc_end1428-_ZN7rocprim17ROCPRIM_400000_NS6detail17trampoline_kernelINS0_14default_configENS1_35radix_sort_onesweep_config_selectorIiiEEZZNS1_29radix_sort_onesweep_iterationIS3_Lb0EN6thrust23THRUST_200600_302600_NS6detail15normal_iteratorINS8_10device_ptrIiEEEESD_SD_SD_jNS0_19identity_decomposerENS1_16block_id_wrapperIjLb1EEEEE10hipError_tT1_PNSt15iterator_traitsISI_E10value_typeET2_T3_PNSJ_ISO_E10value_typeET4_T5_PST_SU_PNS1_23onesweep_lookback_stateEbbT6_jjT7_P12ihipStream_tbENKUlT_T0_SI_SN_E_clISD_PiSD_S15_EEDaS11_S12_SI_SN_EUlS11_E_NS1_11comp_targetILNS1_3genE0ELNS1_11target_archE4294967295ELNS1_3gpuE0ELNS1_3repE0EEENS1_47radix_sort_onesweep_sort_config_static_selectorELNS0_4arch9wavefront6targetE1EEEvSI_
                                        ; -- End function
	.set _ZN7rocprim17ROCPRIM_400000_NS6detail17trampoline_kernelINS0_14default_configENS1_35radix_sort_onesweep_config_selectorIiiEEZZNS1_29radix_sort_onesweep_iterationIS3_Lb0EN6thrust23THRUST_200600_302600_NS6detail15normal_iteratorINS8_10device_ptrIiEEEESD_SD_SD_jNS0_19identity_decomposerENS1_16block_id_wrapperIjLb1EEEEE10hipError_tT1_PNSt15iterator_traitsISI_E10value_typeET2_T3_PNSJ_ISO_E10value_typeET4_T5_PST_SU_PNS1_23onesweep_lookback_stateEbbT6_jjT7_P12ihipStream_tbENKUlT_T0_SI_SN_E_clISD_PiSD_S15_EEDaS11_S12_SI_SN_EUlS11_E_NS1_11comp_targetILNS1_3genE0ELNS1_11target_archE4294967295ELNS1_3gpuE0ELNS1_3repE0EEENS1_47radix_sort_onesweep_sort_config_static_selectorELNS0_4arch9wavefront6targetE1EEEvSI_.num_vgpr, 0
	.set _ZN7rocprim17ROCPRIM_400000_NS6detail17trampoline_kernelINS0_14default_configENS1_35radix_sort_onesweep_config_selectorIiiEEZZNS1_29radix_sort_onesweep_iterationIS3_Lb0EN6thrust23THRUST_200600_302600_NS6detail15normal_iteratorINS8_10device_ptrIiEEEESD_SD_SD_jNS0_19identity_decomposerENS1_16block_id_wrapperIjLb1EEEEE10hipError_tT1_PNSt15iterator_traitsISI_E10value_typeET2_T3_PNSJ_ISO_E10value_typeET4_T5_PST_SU_PNS1_23onesweep_lookback_stateEbbT6_jjT7_P12ihipStream_tbENKUlT_T0_SI_SN_E_clISD_PiSD_S15_EEDaS11_S12_SI_SN_EUlS11_E_NS1_11comp_targetILNS1_3genE0ELNS1_11target_archE4294967295ELNS1_3gpuE0ELNS1_3repE0EEENS1_47radix_sort_onesweep_sort_config_static_selectorELNS0_4arch9wavefront6targetE1EEEvSI_.num_agpr, 0
	.set _ZN7rocprim17ROCPRIM_400000_NS6detail17trampoline_kernelINS0_14default_configENS1_35radix_sort_onesweep_config_selectorIiiEEZZNS1_29radix_sort_onesweep_iterationIS3_Lb0EN6thrust23THRUST_200600_302600_NS6detail15normal_iteratorINS8_10device_ptrIiEEEESD_SD_SD_jNS0_19identity_decomposerENS1_16block_id_wrapperIjLb1EEEEE10hipError_tT1_PNSt15iterator_traitsISI_E10value_typeET2_T3_PNSJ_ISO_E10value_typeET4_T5_PST_SU_PNS1_23onesweep_lookback_stateEbbT6_jjT7_P12ihipStream_tbENKUlT_T0_SI_SN_E_clISD_PiSD_S15_EEDaS11_S12_SI_SN_EUlS11_E_NS1_11comp_targetILNS1_3genE0ELNS1_11target_archE4294967295ELNS1_3gpuE0ELNS1_3repE0EEENS1_47radix_sort_onesweep_sort_config_static_selectorELNS0_4arch9wavefront6targetE1EEEvSI_.numbered_sgpr, 0
	.set _ZN7rocprim17ROCPRIM_400000_NS6detail17trampoline_kernelINS0_14default_configENS1_35radix_sort_onesweep_config_selectorIiiEEZZNS1_29radix_sort_onesweep_iterationIS3_Lb0EN6thrust23THRUST_200600_302600_NS6detail15normal_iteratorINS8_10device_ptrIiEEEESD_SD_SD_jNS0_19identity_decomposerENS1_16block_id_wrapperIjLb1EEEEE10hipError_tT1_PNSt15iterator_traitsISI_E10value_typeET2_T3_PNSJ_ISO_E10value_typeET4_T5_PST_SU_PNS1_23onesweep_lookback_stateEbbT6_jjT7_P12ihipStream_tbENKUlT_T0_SI_SN_E_clISD_PiSD_S15_EEDaS11_S12_SI_SN_EUlS11_E_NS1_11comp_targetILNS1_3genE0ELNS1_11target_archE4294967295ELNS1_3gpuE0ELNS1_3repE0EEENS1_47radix_sort_onesweep_sort_config_static_selectorELNS0_4arch9wavefront6targetE1EEEvSI_.num_named_barrier, 0
	.set _ZN7rocprim17ROCPRIM_400000_NS6detail17trampoline_kernelINS0_14default_configENS1_35radix_sort_onesweep_config_selectorIiiEEZZNS1_29radix_sort_onesweep_iterationIS3_Lb0EN6thrust23THRUST_200600_302600_NS6detail15normal_iteratorINS8_10device_ptrIiEEEESD_SD_SD_jNS0_19identity_decomposerENS1_16block_id_wrapperIjLb1EEEEE10hipError_tT1_PNSt15iterator_traitsISI_E10value_typeET2_T3_PNSJ_ISO_E10value_typeET4_T5_PST_SU_PNS1_23onesweep_lookback_stateEbbT6_jjT7_P12ihipStream_tbENKUlT_T0_SI_SN_E_clISD_PiSD_S15_EEDaS11_S12_SI_SN_EUlS11_E_NS1_11comp_targetILNS1_3genE0ELNS1_11target_archE4294967295ELNS1_3gpuE0ELNS1_3repE0EEENS1_47radix_sort_onesweep_sort_config_static_selectorELNS0_4arch9wavefront6targetE1EEEvSI_.private_seg_size, 0
	.set _ZN7rocprim17ROCPRIM_400000_NS6detail17trampoline_kernelINS0_14default_configENS1_35radix_sort_onesweep_config_selectorIiiEEZZNS1_29radix_sort_onesweep_iterationIS3_Lb0EN6thrust23THRUST_200600_302600_NS6detail15normal_iteratorINS8_10device_ptrIiEEEESD_SD_SD_jNS0_19identity_decomposerENS1_16block_id_wrapperIjLb1EEEEE10hipError_tT1_PNSt15iterator_traitsISI_E10value_typeET2_T3_PNSJ_ISO_E10value_typeET4_T5_PST_SU_PNS1_23onesweep_lookback_stateEbbT6_jjT7_P12ihipStream_tbENKUlT_T0_SI_SN_E_clISD_PiSD_S15_EEDaS11_S12_SI_SN_EUlS11_E_NS1_11comp_targetILNS1_3genE0ELNS1_11target_archE4294967295ELNS1_3gpuE0ELNS1_3repE0EEENS1_47radix_sort_onesweep_sort_config_static_selectorELNS0_4arch9wavefront6targetE1EEEvSI_.uses_vcc, 0
	.set _ZN7rocprim17ROCPRIM_400000_NS6detail17trampoline_kernelINS0_14default_configENS1_35radix_sort_onesweep_config_selectorIiiEEZZNS1_29radix_sort_onesweep_iterationIS3_Lb0EN6thrust23THRUST_200600_302600_NS6detail15normal_iteratorINS8_10device_ptrIiEEEESD_SD_SD_jNS0_19identity_decomposerENS1_16block_id_wrapperIjLb1EEEEE10hipError_tT1_PNSt15iterator_traitsISI_E10value_typeET2_T3_PNSJ_ISO_E10value_typeET4_T5_PST_SU_PNS1_23onesweep_lookback_stateEbbT6_jjT7_P12ihipStream_tbENKUlT_T0_SI_SN_E_clISD_PiSD_S15_EEDaS11_S12_SI_SN_EUlS11_E_NS1_11comp_targetILNS1_3genE0ELNS1_11target_archE4294967295ELNS1_3gpuE0ELNS1_3repE0EEENS1_47radix_sort_onesweep_sort_config_static_selectorELNS0_4arch9wavefront6targetE1EEEvSI_.uses_flat_scratch, 0
	.set _ZN7rocprim17ROCPRIM_400000_NS6detail17trampoline_kernelINS0_14default_configENS1_35radix_sort_onesweep_config_selectorIiiEEZZNS1_29radix_sort_onesweep_iterationIS3_Lb0EN6thrust23THRUST_200600_302600_NS6detail15normal_iteratorINS8_10device_ptrIiEEEESD_SD_SD_jNS0_19identity_decomposerENS1_16block_id_wrapperIjLb1EEEEE10hipError_tT1_PNSt15iterator_traitsISI_E10value_typeET2_T3_PNSJ_ISO_E10value_typeET4_T5_PST_SU_PNS1_23onesweep_lookback_stateEbbT6_jjT7_P12ihipStream_tbENKUlT_T0_SI_SN_E_clISD_PiSD_S15_EEDaS11_S12_SI_SN_EUlS11_E_NS1_11comp_targetILNS1_3genE0ELNS1_11target_archE4294967295ELNS1_3gpuE0ELNS1_3repE0EEENS1_47radix_sort_onesweep_sort_config_static_selectorELNS0_4arch9wavefront6targetE1EEEvSI_.has_dyn_sized_stack, 0
	.set _ZN7rocprim17ROCPRIM_400000_NS6detail17trampoline_kernelINS0_14default_configENS1_35radix_sort_onesweep_config_selectorIiiEEZZNS1_29radix_sort_onesweep_iterationIS3_Lb0EN6thrust23THRUST_200600_302600_NS6detail15normal_iteratorINS8_10device_ptrIiEEEESD_SD_SD_jNS0_19identity_decomposerENS1_16block_id_wrapperIjLb1EEEEE10hipError_tT1_PNSt15iterator_traitsISI_E10value_typeET2_T3_PNSJ_ISO_E10value_typeET4_T5_PST_SU_PNS1_23onesweep_lookback_stateEbbT6_jjT7_P12ihipStream_tbENKUlT_T0_SI_SN_E_clISD_PiSD_S15_EEDaS11_S12_SI_SN_EUlS11_E_NS1_11comp_targetILNS1_3genE0ELNS1_11target_archE4294967295ELNS1_3gpuE0ELNS1_3repE0EEENS1_47radix_sort_onesweep_sort_config_static_selectorELNS0_4arch9wavefront6targetE1EEEvSI_.has_recursion, 0
	.set _ZN7rocprim17ROCPRIM_400000_NS6detail17trampoline_kernelINS0_14default_configENS1_35radix_sort_onesweep_config_selectorIiiEEZZNS1_29radix_sort_onesweep_iterationIS3_Lb0EN6thrust23THRUST_200600_302600_NS6detail15normal_iteratorINS8_10device_ptrIiEEEESD_SD_SD_jNS0_19identity_decomposerENS1_16block_id_wrapperIjLb1EEEEE10hipError_tT1_PNSt15iterator_traitsISI_E10value_typeET2_T3_PNSJ_ISO_E10value_typeET4_T5_PST_SU_PNS1_23onesweep_lookback_stateEbbT6_jjT7_P12ihipStream_tbENKUlT_T0_SI_SN_E_clISD_PiSD_S15_EEDaS11_S12_SI_SN_EUlS11_E_NS1_11comp_targetILNS1_3genE0ELNS1_11target_archE4294967295ELNS1_3gpuE0ELNS1_3repE0EEENS1_47radix_sort_onesweep_sort_config_static_selectorELNS0_4arch9wavefront6targetE1EEEvSI_.has_indirect_call, 0
	.section	.AMDGPU.csdata,"",@progbits
; Kernel info:
; codeLenInByte = 0
; TotalNumSgprs: 6
; NumVgprs: 0
; NumAgprs: 0
; TotalNumVgprs: 0
; ScratchSize: 0
; MemoryBound: 0
; FloatMode: 240
; IeeeMode: 1
; LDSByteSize: 0 bytes/workgroup (compile time only)
; SGPRBlocks: 0
; VGPRBlocks: 0
; NumSGPRsForWavesPerEU: 6
; NumVGPRsForWavesPerEU: 1
; AccumOffset: 4
; Occupancy: 8
; WaveLimiterHint : 0
; COMPUTE_PGM_RSRC2:SCRATCH_EN: 0
; COMPUTE_PGM_RSRC2:USER_SGPR: 2
; COMPUTE_PGM_RSRC2:TRAP_HANDLER: 0
; COMPUTE_PGM_RSRC2:TGID_X_EN: 1
; COMPUTE_PGM_RSRC2:TGID_Y_EN: 0
; COMPUTE_PGM_RSRC2:TGID_Z_EN: 0
; COMPUTE_PGM_RSRC2:TIDIG_COMP_CNT: 0
; COMPUTE_PGM_RSRC3_GFX90A:ACCUM_OFFSET: 0
; COMPUTE_PGM_RSRC3_GFX90A:TG_SPLIT: 0
	.section	.text._ZN7rocprim17ROCPRIM_400000_NS6detail17trampoline_kernelINS0_14default_configENS1_35radix_sort_onesweep_config_selectorIiiEEZZNS1_29radix_sort_onesweep_iterationIS3_Lb0EN6thrust23THRUST_200600_302600_NS6detail15normal_iteratorINS8_10device_ptrIiEEEESD_SD_SD_jNS0_19identity_decomposerENS1_16block_id_wrapperIjLb1EEEEE10hipError_tT1_PNSt15iterator_traitsISI_E10value_typeET2_T3_PNSJ_ISO_E10value_typeET4_T5_PST_SU_PNS1_23onesweep_lookback_stateEbbT6_jjT7_P12ihipStream_tbENKUlT_T0_SI_SN_E_clISD_PiSD_S15_EEDaS11_S12_SI_SN_EUlS11_E_NS1_11comp_targetILNS1_3genE6ELNS1_11target_archE950ELNS1_3gpuE13ELNS1_3repE0EEENS1_47radix_sort_onesweep_sort_config_static_selectorELNS0_4arch9wavefront6targetE1EEEvSI_,"axG",@progbits,_ZN7rocprim17ROCPRIM_400000_NS6detail17trampoline_kernelINS0_14default_configENS1_35radix_sort_onesweep_config_selectorIiiEEZZNS1_29radix_sort_onesweep_iterationIS3_Lb0EN6thrust23THRUST_200600_302600_NS6detail15normal_iteratorINS8_10device_ptrIiEEEESD_SD_SD_jNS0_19identity_decomposerENS1_16block_id_wrapperIjLb1EEEEE10hipError_tT1_PNSt15iterator_traitsISI_E10value_typeET2_T3_PNSJ_ISO_E10value_typeET4_T5_PST_SU_PNS1_23onesweep_lookback_stateEbbT6_jjT7_P12ihipStream_tbENKUlT_T0_SI_SN_E_clISD_PiSD_S15_EEDaS11_S12_SI_SN_EUlS11_E_NS1_11comp_targetILNS1_3genE6ELNS1_11target_archE950ELNS1_3gpuE13ELNS1_3repE0EEENS1_47radix_sort_onesweep_sort_config_static_selectorELNS0_4arch9wavefront6targetE1EEEvSI_,comdat
	.protected	_ZN7rocprim17ROCPRIM_400000_NS6detail17trampoline_kernelINS0_14default_configENS1_35radix_sort_onesweep_config_selectorIiiEEZZNS1_29radix_sort_onesweep_iterationIS3_Lb0EN6thrust23THRUST_200600_302600_NS6detail15normal_iteratorINS8_10device_ptrIiEEEESD_SD_SD_jNS0_19identity_decomposerENS1_16block_id_wrapperIjLb1EEEEE10hipError_tT1_PNSt15iterator_traitsISI_E10value_typeET2_T3_PNSJ_ISO_E10value_typeET4_T5_PST_SU_PNS1_23onesweep_lookback_stateEbbT6_jjT7_P12ihipStream_tbENKUlT_T0_SI_SN_E_clISD_PiSD_S15_EEDaS11_S12_SI_SN_EUlS11_E_NS1_11comp_targetILNS1_3genE6ELNS1_11target_archE950ELNS1_3gpuE13ELNS1_3repE0EEENS1_47radix_sort_onesweep_sort_config_static_selectorELNS0_4arch9wavefront6targetE1EEEvSI_ ; -- Begin function _ZN7rocprim17ROCPRIM_400000_NS6detail17trampoline_kernelINS0_14default_configENS1_35radix_sort_onesweep_config_selectorIiiEEZZNS1_29radix_sort_onesweep_iterationIS3_Lb0EN6thrust23THRUST_200600_302600_NS6detail15normal_iteratorINS8_10device_ptrIiEEEESD_SD_SD_jNS0_19identity_decomposerENS1_16block_id_wrapperIjLb1EEEEE10hipError_tT1_PNSt15iterator_traitsISI_E10value_typeET2_T3_PNSJ_ISO_E10value_typeET4_T5_PST_SU_PNS1_23onesweep_lookback_stateEbbT6_jjT7_P12ihipStream_tbENKUlT_T0_SI_SN_E_clISD_PiSD_S15_EEDaS11_S12_SI_SN_EUlS11_E_NS1_11comp_targetILNS1_3genE6ELNS1_11target_archE950ELNS1_3gpuE13ELNS1_3repE0EEENS1_47radix_sort_onesweep_sort_config_static_selectorELNS0_4arch9wavefront6targetE1EEEvSI_
	.globl	_ZN7rocprim17ROCPRIM_400000_NS6detail17trampoline_kernelINS0_14default_configENS1_35radix_sort_onesweep_config_selectorIiiEEZZNS1_29radix_sort_onesweep_iterationIS3_Lb0EN6thrust23THRUST_200600_302600_NS6detail15normal_iteratorINS8_10device_ptrIiEEEESD_SD_SD_jNS0_19identity_decomposerENS1_16block_id_wrapperIjLb1EEEEE10hipError_tT1_PNSt15iterator_traitsISI_E10value_typeET2_T3_PNSJ_ISO_E10value_typeET4_T5_PST_SU_PNS1_23onesweep_lookback_stateEbbT6_jjT7_P12ihipStream_tbENKUlT_T0_SI_SN_E_clISD_PiSD_S15_EEDaS11_S12_SI_SN_EUlS11_E_NS1_11comp_targetILNS1_3genE6ELNS1_11target_archE950ELNS1_3gpuE13ELNS1_3repE0EEENS1_47radix_sort_onesweep_sort_config_static_selectorELNS0_4arch9wavefront6targetE1EEEvSI_
	.p2align	8
	.type	_ZN7rocprim17ROCPRIM_400000_NS6detail17trampoline_kernelINS0_14default_configENS1_35radix_sort_onesweep_config_selectorIiiEEZZNS1_29radix_sort_onesweep_iterationIS3_Lb0EN6thrust23THRUST_200600_302600_NS6detail15normal_iteratorINS8_10device_ptrIiEEEESD_SD_SD_jNS0_19identity_decomposerENS1_16block_id_wrapperIjLb1EEEEE10hipError_tT1_PNSt15iterator_traitsISI_E10value_typeET2_T3_PNSJ_ISO_E10value_typeET4_T5_PST_SU_PNS1_23onesweep_lookback_stateEbbT6_jjT7_P12ihipStream_tbENKUlT_T0_SI_SN_E_clISD_PiSD_S15_EEDaS11_S12_SI_SN_EUlS11_E_NS1_11comp_targetILNS1_3genE6ELNS1_11target_archE950ELNS1_3gpuE13ELNS1_3repE0EEENS1_47radix_sort_onesweep_sort_config_static_selectorELNS0_4arch9wavefront6targetE1EEEvSI_,@function
_ZN7rocprim17ROCPRIM_400000_NS6detail17trampoline_kernelINS0_14default_configENS1_35radix_sort_onesweep_config_selectorIiiEEZZNS1_29radix_sort_onesweep_iterationIS3_Lb0EN6thrust23THRUST_200600_302600_NS6detail15normal_iteratorINS8_10device_ptrIiEEEESD_SD_SD_jNS0_19identity_decomposerENS1_16block_id_wrapperIjLb1EEEEE10hipError_tT1_PNSt15iterator_traitsISI_E10value_typeET2_T3_PNSJ_ISO_E10value_typeET4_T5_PST_SU_PNS1_23onesweep_lookback_stateEbbT6_jjT7_P12ihipStream_tbENKUlT_T0_SI_SN_E_clISD_PiSD_S15_EEDaS11_S12_SI_SN_EUlS11_E_NS1_11comp_targetILNS1_3genE6ELNS1_11target_archE950ELNS1_3gpuE13ELNS1_3repE0EEENS1_47radix_sort_onesweep_sort_config_static_selectorELNS0_4arch9wavefront6targetE1EEEvSI_: ; @_ZN7rocprim17ROCPRIM_400000_NS6detail17trampoline_kernelINS0_14default_configENS1_35radix_sort_onesweep_config_selectorIiiEEZZNS1_29radix_sort_onesweep_iterationIS3_Lb0EN6thrust23THRUST_200600_302600_NS6detail15normal_iteratorINS8_10device_ptrIiEEEESD_SD_SD_jNS0_19identity_decomposerENS1_16block_id_wrapperIjLb1EEEEE10hipError_tT1_PNSt15iterator_traitsISI_E10value_typeET2_T3_PNSJ_ISO_E10value_typeET4_T5_PST_SU_PNS1_23onesweep_lookback_stateEbbT6_jjT7_P12ihipStream_tbENKUlT_T0_SI_SN_E_clISD_PiSD_S15_EEDaS11_S12_SI_SN_EUlS11_E_NS1_11comp_targetILNS1_3genE6ELNS1_11target_archE950ELNS1_3gpuE13ELNS1_3repE0EEENS1_47radix_sort_onesweep_sort_config_static_selectorELNS0_4arch9wavefront6targetE1EEEvSI_
; %bb.0:
	s_load_dwordx4 s[60:63], s[0:1], 0x28
	s_load_dwordx2 s[68:69], s[0:1], 0x38
	s_load_dwordx4 s[64:67], s[0:1], 0x44
	v_and_b32_e32 v2, 0x3ff, v0
	v_cmp_eq_u32_e64 s[44:45], 0, v2
	s_and_saveexec_b64 s[4:5], s[44:45]
	s_cbranch_execz .LBB1429_4
; %bb.1:
	s_mov_b64 s[8:9], exec
	v_mbcnt_lo_u32_b32 v1, s8, 0
	v_mbcnt_hi_u32_b32 v1, s9, v1
	v_cmp_eq_u32_e32 vcc, 0, v1
                                        ; implicit-def: $vgpr3
	s_and_saveexec_b64 s[6:7], vcc
	s_cbranch_execz .LBB1429_3
; %bb.2:
	s_load_dwordx2 s[10:11], s[0:1], 0x50
	s_bcnt1_i32_b64 s3, s[8:9]
	v_mov_b32_e32 v3, 0
	v_mov_b32_e32 v4, s3
	s_waitcnt lgkmcnt(0)
	global_atomic_add v3, v3, v4, s[10:11] sc0
.LBB1429_3:
	s_or_b64 exec, exec, s[6:7]
	s_waitcnt vmcnt(0)
	v_readfirstlane_b32 s3, v3
	v_mov_b32_e32 v3, 0
	s_nop 0
	v_add_u32_e32 v1, s3, v1
	ds_write_b32 v3, v1 offset:20544
.LBB1429_4:
	s_or_b64 exec, exec, s[4:5]
	v_mov_b32_e32 v5, 0
	s_load_dwordx8 s[52:59], s[0:1], 0x0
	s_load_dword s3, s[0:1], 0x20
	s_waitcnt lgkmcnt(0)
	s_barrier
	ds_read_b32 v1, v5 offset:20544
	s_mov_b64 s[4:5], -1
	v_mbcnt_lo_u32_b32 v3, -1, 0
	s_waitcnt lgkmcnt(0)
	s_barrier
	v_cmp_le_u32_e32 vcc, s66, v1
	v_readfirstlane_b32 s33, v1
	v_lshlrev_b32_e32 v1, 4, v2
	s_cbranch_vccz .LBB1429_208
; %bb.5:
	s_lshl_b32 s4, s66, 14
	s_sub_i32 s3, s3, s4
	s_lshl_b32 s4, s33, 14
	s_mov_b32 s5, 0
	s_lshl_b64 s[66:67], s[4:5], 2
	v_mbcnt_hi_u32_b32 v12, -1, v3
	s_add_u32 s4, s52, s66
	v_and_b32_e32 v10, 63, v12
	s_addc_u32 s5, s53, s67
	v_and_b32_e32 v11, 0x3c00, v1
	v_lshlrev_b32_e32 v4, 2, v10
	v_lshl_add_u64 v[8:9], s[4:5], 0, v[4:5]
	v_lshlrev_b32_e32 v6, 2, v11
	v_mov_b32_e32 v7, v5
	v_or_b32_e32 v10, v10, v11
	v_mov_b32_e32 v14, -1
	v_lshl_add_u64 v[8:9], v[8:9], 0, v[6:7]
	v_cmp_gt_u32_e32 vcc, s3, v10
	v_mov_b32_e32 v5, -1
	s_and_saveexec_b64 s[4:5], vcc
	s_cbranch_execz .LBB1429_7
; %bb.6:
	global_load_dword v5, v[8:9], off
	s_waitcnt vmcnt(0)
	v_xor_b32_e32 v5, 0x80000000, v5
.LBB1429_7:
	s_or_b64 exec, exec, s[4:5]
	v_or_b32_e32 v7, 64, v10
	v_cmp_gt_u32_e64 s[4:5], s3, v7
	s_and_saveexec_b64 s[6:7], s[4:5]
	s_cbranch_execz .LBB1429_9
; %bb.8:
	global_load_dword v7, v[8:9], off offset:256
	s_waitcnt vmcnt(0)
	v_xor_b32_e32 v14, 0x80000000, v7
.LBB1429_9:
	s_or_b64 exec, exec, s[6:7]
	v_or_b32_e32 v7, 0x80, v10
	v_cmp_gt_u32_e64 s[6:7], s3, v7
	v_mov_b32_e32 v7, -1
	v_mov_b32_e32 v15, -1
	s_and_saveexec_b64 s[8:9], s[6:7]
	s_cbranch_execz .LBB1429_11
; %bb.10:
	global_load_dword v11, v[8:9], off offset:512
	s_waitcnt vmcnt(0)
	v_xor_b32_e32 v15, 0x80000000, v11
.LBB1429_11:
	s_or_b64 exec, exec, s[8:9]
	v_or_b32_e32 v11, 0xc0, v10
	v_cmp_gt_u32_e64 s[8:9], s3, v11
	s_and_saveexec_b64 s[10:11], s[8:9]
	s_cbranch_execz .LBB1429_13
; %bb.12:
	global_load_dword v7, v[8:9], off offset:768
	s_waitcnt vmcnt(0)
	v_xor_b32_e32 v7, 0x80000000, v7
.LBB1429_13:
	s_or_b64 exec, exec, s[10:11]
	v_or_b32_e32 v11, 0x100, v10
	v_cmp_gt_u32_e64 s[10:11], s3, v11
	v_mov_b32_e32 v16, -1
	v_mov_b32_e32 v17, -1
	s_and_saveexec_b64 s[12:13], s[10:11]
	s_cbranch_execz .LBB1429_15
; %bb.14:
	global_load_dword v11, v[8:9], off offset:1024
	s_waitcnt vmcnt(0)
	v_xor_b32_e32 v17, 0x80000000, v11
.LBB1429_15:
	;; [unrolled: 22-line block ×7, first 2 shown]
	s_or_b64 exec, exec, s[34:35]
	v_or_b32_e32 v10, 0x3c0, v10
	v_cmp_gt_u32_e64 s[34:35], s3, v10
	s_and_saveexec_b64 s[36:37], s[34:35]
	s_cbranch_execz .LBB1429_37
; %bb.36:
	global_load_dword v8, v[8:9], off offset:3840
	s_waitcnt vmcnt(0)
	v_xor_b32_e32 v26, 0x80000000, v8
.LBB1429_37:
	s_or_b64 exec, exec, s[36:37]
	s_load_dword s36, s[0:1], 0x64
	s_load_dword s70, s[0:1], 0x58
	s_add_u32 s37, s0, 0x58
	s_addc_u32 s38, s1, 0
	v_mov_b32_e32 v9, 0
	s_waitcnt lgkmcnt(0)
	s_lshr_b32 s39, s36, 16
	s_cmp_lt_u32 s2, s70
	s_cselect_b32 s36, 12, 18
	s_add_u32 s36, s37, s36
	s_addc_u32 s37, s38, 0
	global_load_ushort v40, v9, s[36:37]
	v_lshrrev_b32_e32 v29, s64, v5
	s_lshl_b32 s36, -1, s65
	v_bfe_u32 v8, v0, 10, 10
	v_bfe_u32 v11, v0, 20, 10
	v_bitop3_b32 v38, v29, s36, v29 bitop3:0x30
	s_movk_i32 s72, 0x44
	v_mad_u32_u24 v42, v11, s39, v8
	v_and_b32_e32 v8, 1, v38
	v_lshlrev_b32_e32 v11, 30, v38
	v_mov_b32_e32 v10, v9
	v_mov_b32_e32 v30, v9
	s_not_b32 s71, s36
	v_mul_lo_u32 v43, v38, s72
	v_lshlrev_b32_e32 v29, 29, v38
	v_lshlrev_b32_e32 v31, 28, v38
	;; [unrolled: 1-line block ×6, first 2 shown]
	v_lshl_add_u64 v[38:39], v[8:9], 0, -1
	v_cmp_ne_u32_e64 s[36:37], 0, v8
	v_not_b32_e32 v8, v11
	v_mov_b32_e32 v28, v9
	v_mov_b32_e32 v32, v9
	v_cmp_gt_i64_e64 s[38:39], 0, v[10:11]
	v_not_b32_e32 v10, v29
	v_cmp_gt_i64_e64 s[42:43], 0, v[30:31]
	v_not_b32_e32 v11, v31
	v_xor_b32_e32 v31, s37, v39
	v_ashrrev_i32_e32 v8, 31, v8
	v_mov_b32_e32 v34, v9
	v_cmp_gt_i64_e64 s[40:41], 0, v[28:29]
	v_cmp_gt_i64_e64 s[46:47], 0, v[32:33]
	v_not_b32_e32 v28, v33
	v_xor_b32_e32 v32, s36, v38
	v_ashrrev_i32_e32 v10, 31, v10
	v_and_b32_e32 v31, exec_hi, v31
	v_xor_b32_e32 v33, s39, v8
	v_cmp_gt_i64_e64 s[48:49], 0, v[34:35]
	v_ashrrev_i32_e32 v11, 31, v11
	v_and_b32_e32 v32, exec_lo, v32
	v_xor_b32_e32 v8, s38, v8
	v_xor_b32_e32 v34, s41, v10
	v_and_b32_e32 v31, v31, v33
	v_mov_b32_e32 v36, v9
	v_not_b32_e32 v29, v35
	v_ashrrev_i32_e32 v28, 31, v28
	v_xor_b32_e32 v10, s40, v10
	v_xor_b32_e32 v35, s43, v11
	v_and_b32_e32 v8, v32, v8
	v_and_b32_e32 v31, v31, v34
	v_cmp_gt_i64_e64 s[50:51], 0, v[36:37]
	v_not_b32_e32 v30, v37
	v_ashrrev_i32_e32 v29, 31, v29
	v_xor_b32_e32 v36, s47, v28
	v_and_b32_e32 v8, v8, v10
	v_and_b32_e32 v10, v31, v35
	v_ashrrev_i32_e32 v30, 31, v30
	v_xor_b32_e32 v11, s42, v11
	v_xor_b32_e32 v37, s49, v29
	v_and_b32_e32 v10, v10, v36
	v_xor_b32_e32 v28, s46, v28
	v_xor_b32_e32 v38, s51, v30
	v_and_b32_e32 v8, v8, v11
	v_and_b32_e32 v10, v10, v37
	;; [unrolled: 1-line block ×4, first 2 shown]
	v_xor_b32_e32 v29, s48, v29
	v_xor_b32_e32 v30, s50, v30
	v_and_b32_e32 v8, v8, v29
	v_and_b32_e32 v8, v8, v30
	v_mul_u32_u24_e32 v13, 20, v2
	ds_write2_b32 v13, v9, v9 offset0:16 offset1:17
	ds_write2_b32 v13, v9, v9 offset0:18 offset1:19
	ds_write_b32 v13, v9 offset:80
	s_waitcnt lgkmcnt(0)
	s_barrier
	s_waitcnt vmcnt(0)
	; wave barrier
	v_mad_u64_u32 v[10:11], s[36:37], v42, v40, v[2:3]
	v_lshrrev_b32_e32 v39, 6, v10
	v_mov_b32_e32 v40, v9
	v_not_b32_e32 v10, v41
	v_cmp_gt_i64_e64 s[36:37], 0, v[40:41]
	v_ashrrev_i32_e32 v10, 31, v10
	v_lshl_add_u32 v32, v39, 2, v43
	v_xor_b32_e32 v11, s37, v10
	v_xor_b32_e32 v10, s36, v10
	v_and_b32_e32 v10, v8, v10
	v_and_b32_e32 v11, v28, v11
	v_mbcnt_lo_u32_b32 v8, v10, 0
	v_mbcnt_hi_u32_b32 v29, v11, v8
	v_cmp_eq_u32_e64 s[36:37], 0, v29
	v_cmp_ne_u64_e64 s[38:39], 0, v[10:11]
	s_and_b64 s[38:39], s[38:39], s[36:37]
	s_and_saveexec_b64 s[36:37], s[38:39]
; %bb.38:
	v_bcnt_u32_b32 v8, v10, 0
	v_bcnt_u32_b32 v8, v11, v8
	ds_write_b32 v32, v8 offset:64
; %bb.39:
	s_or_b64 exec, exec, s[36:37]
	v_lshrrev_b32_e32 v8, s64, v14
	v_and_b32_e32 v30, s71, v8
	v_mul_lo_u32 v8, v30, s72
	v_lshl_add_u32 v34, v39, 2, v8
	v_and_b32_e32 v8, 1, v30
	v_lshl_add_u64 v[10:11], v[8:9], 0, -1
	v_cmp_ne_u32_e64 s[36:37], 0, v8
	; wave barrier
	s_nop 1
	v_xor_b32_e32 v10, s36, v10
	v_xor_b32_e32 v8, s37, v11
	v_and_b32_e32 v31, exec_lo, v10
	v_lshlrev_b32_e32 v11, 30, v30
	v_mov_b32_e32 v10, v9
	v_cmp_gt_i64_e64 s[36:37], 0, v[10:11]
	v_not_b32_e32 v10, v11
	v_ashrrev_i32_e32 v10, 31, v10
	v_and_b32_e32 v8, exec_hi, v8
	v_xor_b32_e32 v11, s37, v10
	v_xor_b32_e32 v10, s36, v10
	v_and_b32_e32 v8, v8, v11
	v_and_b32_e32 v31, v31, v10
	v_lshlrev_b32_e32 v11, 29, v30
	v_mov_b32_e32 v10, v9
	v_cmp_gt_i64_e64 s[36:37], 0, v[10:11]
	v_not_b32_e32 v10, v11
	v_ashrrev_i32_e32 v10, 31, v10
	v_xor_b32_e32 v11, s37, v10
	v_xor_b32_e32 v10, s36, v10
	v_and_b32_e32 v8, v8, v11
	v_and_b32_e32 v31, v31, v10
	v_lshlrev_b32_e32 v11, 28, v30
	v_mov_b32_e32 v10, v9
	v_cmp_gt_i64_e64 s[36:37], 0, v[10:11]
	v_not_b32_e32 v10, v11
	v_ashrrev_i32_e32 v10, 31, v10
	;; [unrolled: 9-line block ×5, first 2 shown]
	v_xor_b32_e32 v11, s37, v10
	v_xor_b32_e32 v10, s36, v10
	v_and_b32_e32 v8, v8, v11
	v_lshlrev_b32_e32 v11, 24, v30
	v_and_b32_e32 v31, v31, v10
	v_mov_b32_e32 v10, v9
	v_not_b32_e32 v9, v11
	v_cmp_gt_i64_e64 s[36:37], 0, v[10:11]
	v_ashrrev_i32_e32 v9, 31, v9
	ds_read_b32 v28, v34 offset:64
	v_xor_b32_e32 v10, s37, v9
	v_xor_b32_e32 v11, s36, v9
	v_and_b32_e32 v9, v8, v10
	v_and_b32_e32 v8, v31, v11
	v_mbcnt_lo_u32_b32 v10, v8, 0
	v_mbcnt_hi_u32_b32 v30, v9, v10
	v_cmp_eq_u32_e64 s[36:37], 0, v30
	v_cmp_ne_u64_e64 s[38:39], 0, v[8:9]
	s_and_b64 s[38:39], s[38:39], s[36:37]
	; wave barrier
	s_and_saveexec_b64 s[36:37], s[38:39]
	s_cbranch_execz .LBB1429_41
; %bb.40:
	v_bcnt_u32_b32 v8, v8, 0
	v_bcnt_u32_b32 v8, v9, v8
	s_waitcnt lgkmcnt(0)
	v_add_u32_e32 v8, v28, v8
	ds_write_b32 v34, v8 offset:64
.LBB1429_41:
	s_or_b64 exec, exec, s[36:37]
	v_lshrrev_b32_e32 v8, s64, v15
	v_and_b32_e32 v33, s71, v8
	s_movk_i32 s40, 0x44
	v_mul_lo_u32 v8, v33, s40
	v_lshl_add_u32 v37, v39, 2, v8
	v_and_b32_e32 v8, 1, v33
	v_mov_b32_e32 v9, 0
	v_lshl_add_u64 v[10:11], v[8:9], 0, -1
	v_cmp_ne_u32_e64 s[36:37], 0, v8
	; wave barrier
	s_nop 1
	v_xor_b32_e32 v10, s36, v10
	v_xor_b32_e32 v8, s37, v11
	v_and_b32_e32 v35, exec_lo, v10
	v_lshlrev_b32_e32 v11, 30, v33
	v_mov_b32_e32 v10, v9
	v_cmp_gt_i64_e64 s[36:37], 0, v[10:11]
	v_not_b32_e32 v10, v11
	v_ashrrev_i32_e32 v10, 31, v10
	v_and_b32_e32 v8, exec_hi, v8
	v_xor_b32_e32 v11, s37, v10
	v_xor_b32_e32 v10, s36, v10
	v_and_b32_e32 v8, v8, v11
	v_and_b32_e32 v35, v35, v10
	v_lshlrev_b32_e32 v11, 29, v33
	v_mov_b32_e32 v10, v9
	v_cmp_gt_i64_e64 s[36:37], 0, v[10:11]
	v_not_b32_e32 v10, v11
	v_ashrrev_i32_e32 v10, 31, v10
	v_xor_b32_e32 v11, s37, v10
	v_xor_b32_e32 v10, s36, v10
	v_and_b32_e32 v8, v8, v11
	v_and_b32_e32 v35, v35, v10
	v_lshlrev_b32_e32 v11, 28, v33
	v_mov_b32_e32 v10, v9
	v_cmp_gt_i64_e64 s[36:37], 0, v[10:11]
	v_not_b32_e32 v10, v11
	v_ashrrev_i32_e32 v10, 31, v10
	;; [unrolled: 9-line block ×6, first 2 shown]
	v_xor_b32_e32 v11, s37, v10
	v_xor_b32_e32 v10, s36, v10
	ds_read_b32 v31, v37 offset:64
	v_and_b32_e32 v10, v35, v10
	v_and_b32_e32 v11, v8, v11
	v_mbcnt_lo_u32_b32 v8, v10, 0
	v_mbcnt_hi_u32_b32 v33, v11, v8
	v_cmp_eq_u32_e64 s[36:37], 0, v33
	v_cmp_ne_u64_e64 s[38:39], 0, v[10:11]
	s_and_b64 s[38:39], s[38:39], s[36:37]
	; wave barrier
	s_and_saveexec_b64 s[36:37], s[38:39]
	s_cbranch_execz .LBB1429_43
; %bb.42:
	v_bcnt_u32_b32 v8, v10, 0
	v_bcnt_u32_b32 v8, v11, v8
	s_waitcnt lgkmcnt(0)
	v_add_u32_e32 v8, v31, v8
	ds_write_b32 v37, v8 offset:64
.LBB1429_43:
	s_or_b64 exec, exec, s[36:37]
	v_lshrrev_b32_e32 v8, s64, v7
	v_and_b32_e32 v36, s71, v8
	v_mul_lo_u32 v8, v36, s40
	v_lshl_add_u32 v41, v39, 2, v8
	v_and_b32_e32 v8, 1, v36
	v_lshl_add_u64 v[10:11], v[8:9], 0, -1
	v_cmp_ne_u32_e64 s[36:37], 0, v8
	; wave barrier
	s_nop 1
	v_xor_b32_e32 v10, s36, v10
	v_xor_b32_e32 v8, s37, v11
	v_and_b32_e32 v38, exec_lo, v10
	v_lshlrev_b32_e32 v11, 30, v36
	v_mov_b32_e32 v10, v9
	v_cmp_gt_i64_e64 s[36:37], 0, v[10:11]
	v_not_b32_e32 v10, v11
	v_ashrrev_i32_e32 v10, 31, v10
	v_and_b32_e32 v8, exec_hi, v8
	v_xor_b32_e32 v11, s37, v10
	v_xor_b32_e32 v10, s36, v10
	v_and_b32_e32 v8, v8, v11
	v_and_b32_e32 v38, v38, v10
	v_lshlrev_b32_e32 v11, 29, v36
	v_mov_b32_e32 v10, v9
	v_cmp_gt_i64_e64 s[36:37], 0, v[10:11]
	v_not_b32_e32 v10, v11
	v_ashrrev_i32_e32 v10, 31, v10
	v_xor_b32_e32 v11, s37, v10
	v_xor_b32_e32 v10, s36, v10
	v_and_b32_e32 v8, v8, v11
	v_and_b32_e32 v38, v38, v10
	v_lshlrev_b32_e32 v11, 28, v36
	v_mov_b32_e32 v10, v9
	v_cmp_gt_i64_e64 s[36:37], 0, v[10:11]
	v_not_b32_e32 v10, v11
	v_ashrrev_i32_e32 v10, 31, v10
	;; [unrolled: 9-line block ×5, first 2 shown]
	v_xor_b32_e32 v11, s37, v10
	v_xor_b32_e32 v10, s36, v10
	v_and_b32_e32 v8, v8, v11
	v_lshlrev_b32_e32 v11, 24, v36
	v_and_b32_e32 v38, v38, v10
	v_mov_b32_e32 v10, v9
	v_not_b32_e32 v9, v11
	v_cmp_gt_i64_e64 s[36:37], 0, v[10:11]
	v_ashrrev_i32_e32 v9, 31, v9
	ds_read_b32 v35, v41 offset:64
	v_xor_b32_e32 v10, s37, v9
	v_xor_b32_e32 v11, s36, v9
	v_and_b32_e32 v9, v8, v10
	v_and_b32_e32 v8, v38, v11
	v_mbcnt_lo_u32_b32 v10, v8, 0
	v_mbcnt_hi_u32_b32 v36, v9, v10
	v_cmp_eq_u32_e64 s[36:37], 0, v36
	v_cmp_ne_u64_e64 s[38:39], 0, v[8:9]
	s_and_b64 s[38:39], s[38:39], s[36:37]
	; wave barrier
	s_and_saveexec_b64 s[36:37], s[38:39]
	s_cbranch_execz .LBB1429_45
; %bb.44:
	v_bcnt_u32_b32 v8, v8, 0
	v_bcnt_u32_b32 v8, v9, v8
	s_waitcnt lgkmcnt(0)
	v_add_u32_e32 v8, v35, v8
	ds_write_b32 v41, v8 offset:64
.LBB1429_45:
	s_or_b64 exec, exec, s[36:37]
	v_lshrrev_b32_e32 v8, s64, v17
	v_and_b32_e32 v40, s71, v8
	v_mul_lo_u32 v8, v40, s40
	v_lshl_add_u32 v44, v39, 2, v8
	v_and_b32_e32 v8, 1, v40
	v_mov_b32_e32 v9, 0
	v_lshl_add_u64 v[10:11], v[8:9], 0, -1
	v_cmp_ne_u32_e64 s[36:37], 0, v8
	; wave barrier
	s_nop 1
	v_xor_b32_e32 v10, s36, v10
	v_xor_b32_e32 v8, s37, v11
	v_and_b32_e32 v42, exec_lo, v10
	v_lshlrev_b32_e32 v11, 30, v40
	v_mov_b32_e32 v10, v9
	v_cmp_gt_i64_e64 s[36:37], 0, v[10:11]
	v_not_b32_e32 v10, v11
	v_ashrrev_i32_e32 v10, 31, v10
	v_and_b32_e32 v8, exec_hi, v8
	v_xor_b32_e32 v11, s37, v10
	v_xor_b32_e32 v10, s36, v10
	v_and_b32_e32 v8, v8, v11
	v_and_b32_e32 v42, v42, v10
	v_lshlrev_b32_e32 v11, 29, v40
	v_mov_b32_e32 v10, v9
	v_cmp_gt_i64_e64 s[36:37], 0, v[10:11]
	v_not_b32_e32 v10, v11
	v_ashrrev_i32_e32 v10, 31, v10
	v_xor_b32_e32 v11, s37, v10
	v_xor_b32_e32 v10, s36, v10
	v_and_b32_e32 v8, v8, v11
	v_and_b32_e32 v42, v42, v10
	v_lshlrev_b32_e32 v11, 28, v40
	v_mov_b32_e32 v10, v9
	v_cmp_gt_i64_e64 s[36:37], 0, v[10:11]
	v_not_b32_e32 v10, v11
	v_ashrrev_i32_e32 v10, 31, v10
	;; [unrolled: 9-line block ×6, first 2 shown]
	v_xor_b32_e32 v11, s37, v10
	v_xor_b32_e32 v10, s36, v10
	ds_read_b32 v38, v44 offset:64
	v_and_b32_e32 v10, v42, v10
	v_and_b32_e32 v11, v8, v11
	v_mbcnt_lo_u32_b32 v8, v10, 0
	v_mbcnt_hi_u32_b32 v40, v11, v8
	v_cmp_eq_u32_e64 s[36:37], 0, v40
	v_cmp_ne_u64_e64 s[38:39], 0, v[10:11]
	s_and_b64 s[38:39], s[38:39], s[36:37]
	; wave barrier
	s_and_saveexec_b64 s[36:37], s[38:39]
	s_cbranch_execz .LBB1429_47
; %bb.46:
	v_bcnt_u32_b32 v8, v10, 0
	v_bcnt_u32_b32 v8, v11, v8
	s_waitcnt lgkmcnt(0)
	v_add_u32_e32 v8, v38, v8
	ds_write_b32 v44, v8 offset:64
.LBB1429_47:
	s_or_b64 exec, exec, s[36:37]
	v_lshrrev_b32_e32 v8, s64, v16
	v_and_b32_e32 v43, s71, v8
	v_mul_lo_u32 v8, v43, s40
	v_lshl_add_u32 v46, v39, 2, v8
	v_and_b32_e32 v8, 1, v43
	v_lshl_add_u64 v[10:11], v[8:9], 0, -1
	v_cmp_ne_u32_e64 s[36:37], 0, v8
	; wave barrier
	s_nop 1
	v_xor_b32_e32 v10, s36, v10
	v_xor_b32_e32 v8, s37, v11
	v_and_b32_e32 v45, exec_lo, v10
	v_lshlrev_b32_e32 v11, 30, v43
	v_mov_b32_e32 v10, v9
	v_cmp_gt_i64_e64 s[36:37], 0, v[10:11]
	v_not_b32_e32 v10, v11
	v_ashrrev_i32_e32 v10, 31, v10
	v_and_b32_e32 v8, exec_hi, v8
	v_xor_b32_e32 v11, s37, v10
	v_xor_b32_e32 v10, s36, v10
	v_and_b32_e32 v8, v8, v11
	v_and_b32_e32 v45, v45, v10
	v_lshlrev_b32_e32 v11, 29, v43
	v_mov_b32_e32 v10, v9
	v_cmp_gt_i64_e64 s[36:37], 0, v[10:11]
	v_not_b32_e32 v10, v11
	v_ashrrev_i32_e32 v10, 31, v10
	v_xor_b32_e32 v11, s37, v10
	v_xor_b32_e32 v10, s36, v10
	v_and_b32_e32 v8, v8, v11
	v_and_b32_e32 v45, v45, v10
	v_lshlrev_b32_e32 v11, 28, v43
	v_mov_b32_e32 v10, v9
	v_cmp_gt_i64_e64 s[36:37], 0, v[10:11]
	v_not_b32_e32 v10, v11
	v_ashrrev_i32_e32 v10, 31, v10
	;; [unrolled: 9-line block ×5, first 2 shown]
	v_xor_b32_e32 v11, s37, v10
	v_xor_b32_e32 v10, s36, v10
	v_and_b32_e32 v8, v8, v11
	v_lshlrev_b32_e32 v11, 24, v43
	v_and_b32_e32 v45, v45, v10
	v_mov_b32_e32 v10, v9
	v_not_b32_e32 v9, v11
	v_cmp_gt_i64_e64 s[36:37], 0, v[10:11]
	v_ashrrev_i32_e32 v9, 31, v9
	ds_read_b32 v42, v46 offset:64
	v_xor_b32_e32 v10, s37, v9
	v_xor_b32_e32 v11, s36, v9
	v_and_b32_e32 v9, v8, v10
	v_and_b32_e32 v8, v45, v11
	v_mbcnt_lo_u32_b32 v10, v8, 0
	v_mbcnt_hi_u32_b32 v43, v9, v10
	v_cmp_eq_u32_e64 s[36:37], 0, v43
	v_cmp_ne_u64_e64 s[38:39], 0, v[8:9]
	s_and_b64 s[38:39], s[38:39], s[36:37]
	; wave barrier
	s_and_saveexec_b64 s[36:37], s[38:39]
	s_cbranch_execz .LBB1429_49
; %bb.48:
	v_bcnt_u32_b32 v8, v8, 0
	v_bcnt_u32_b32 v8, v9, v8
	s_waitcnt lgkmcnt(0)
	v_add_u32_e32 v8, v42, v8
	ds_write_b32 v46, v8 offset:64
.LBB1429_49:
	s_or_b64 exec, exec, s[36:37]
	v_lshrrev_b32_e32 v8, s64, v19
	v_and_b32_e32 v47, s71, v8
	v_mul_lo_u32 v8, v47, s40
	v_lshl_add_u32 v49, v39, 2, v8
	v_and_b32_e32 v8, 1, v47
	v_mov_b32_e32 v9, 0
	v_lshl_add_u64 v[10:11], v[8:9], 0, -1
	v_cmp_ne_u32_e64 s[36:37], 0, v8
	; wave barrier
	s_nop 1
	v_xor_b32_e32 v10, s36, v10
	v_xor_b32_e32 v8, s37, v11
	v_and_b32_e32 v48, exec_lo, v10
	v_lshlrev_b32_e32 v11, 30, v47
	v_mov_b32_e32 v10, v9
	v_cmp_gt_i64_e64 s[36:37], 0, v[10:11]
	v_not_b32_e32 v10, v11
	v_ashrrev_i32_e32 v10, 31, v10
	v_and_b32_e32 v8, exec_hi, v8
	v_xor_b32_e32 v11, s37, v10
	v_xor_b32_e32 v10, s36, v10
	v_and_b32_e32 v8, v8, v11
	v_and_b32_e32 v48, v48, v10
	v_lshlrev_b32_e32 v11, 29, v47
	v_mov_b32_e32 v10, v9
	v_cmp_gt_i64_e64 s[36:37], 0, v[10:11]
	v_not_b32_e32 v10, v11
	v_ashrrev_i32_e32 v10, 31, v10
	v_xor_b32_e32 v11, s37, v10
	v_xor_b32_e32 v10, s36, v10
	v_and_b32_e32 v8, v8, v11
	v_and_b32_e32 v48, v48, v10
	v_lshlrev_b32_e32 v11, 28, v47
	v_mov_b32_e32 v10, v9
	v_cmp_gt_i64_e64 s[36:37], 0, v[10:11]
	v_not_b32_e32 v10, v11
	v_ashrrev_i32_e32 v10, 31, v10
	;; [unrolled: 9-line block ×6, first 2 shown]
	v_xor_b32_e32 v11, s37, v10
	v_xor_b32_e32 v10, s36, v10
	ds_read_b32 v45, v49 offset:64
	v_and_b32_e32 v10, v48, v10
	v_and_b32_e32 v11, v8, v11
	v_mbcnt_lo_u32_b32 v8, v10, 0
	v_mbcnt_hi_u32_b32 v47, v11, v8
	v_cmp_eq_u32_e64 s[36:37], 0, v47
	v_cmp_ne_u64_e64 s[38:39], 0, v[10:11]
	s_and_b64 s[38:39], s[38:39], s[36:37]
	; wave barrier
	s_and_saveexec_b64 s[36:37], s[38:39]
	s_cbranch_execz .LBB1429_51
; %bb.50:
	v_bcnt_u32_b32 v8, v10, 0
	v_bcnt_u32_b32 v8, v11, v8
	s_waitcnt lgkmcnt(0)
	v_add_u32_e32 v8, v45, v8
	ds_write_b32 v49, v8 offset:64
.LBB1429_51:
	s_or_b64 exec, exec, s[36:37]
	v_lshrrev_b32_e32 v8, s64, v18
	v_and_b32_e32 v50, s71, v8
	v_mul_lo_u32 v8, v50, s40
	v_lshl_add_u32 v52, v39, 2, v8
	v_and_b32_e32 v8, 1, v50
	v_lshl_add_u64 v[10:11], v[8:9], 0, -1
	v_cmp_ne_u32_e64 s[36:37], 0, v8
	; wave barrier
	s_nop 1
	v_xor_b32_e32 v10, s36, v10
	v_xor_b32_e32 v8, s37, v11
	v_and_b32_e32 v51, exec_lo, v10
	v_lshlrev_b32_e32 v11, 30, v50
	v_mov_b32_e32 v10, v9
	v_cmp_gt_i64_e64 s[36:37], 0, v[10:11]
	v_not_b32_e32 v10, v11
	v_ashrrev_i32_e32 v10, 31, v10
	v_and_b32_e32 v8, exec_hi, v8
	v_xor_b32_e32 v11, s37, v10
	v_xor_b32_e32 v10, s36, v10
	v_and_b32_e32 v8, v8, v11
	v_and_b32_e32 v51, v51, v10
	v_lshlrev_b32_e32 v11, 29, v50
	v_mov_b32_e32 v10, v9
	v_cmp_gt_i64_e64 s[36:37], 0, v[10:11]
	v_not_b32_e32 v10, v11
	v_ashrrev_i32_e32 v10, 31, v10
	v_xor_b32_e32 v11, s37, v10
	v_xor_b32_e32 v10, s36, v10
	v_and_b32_e32 v8, v8, v11
	v_and_b32_e32 v51, v51, v10
	v_lshlrev_b32_e32 v11, 28, v50
	v_mov_b32_e32 v10, v9
	v_cmp_gt_i64_e64 s[36:37], 0, v[10:11]
	v_not_b32_e32 v10, v11
	v_ashrrev_i32_e32 v10, 31, v10
	;; [unrolled: 9-line block ×5, first 2 shown]
	v_xor_b32_e32 v11, s37, v10
	v_xor_b32_e32 v10, s36, v10
	v_and_b32_e32 v8, v8, v11
	v_lshlrev_b32_e32 v11, 24, v50
	v_and_b32_e32 v51, v51, v10
	v_mov_b32_e32 v10, v9
	v_not_b32_e32 v9, v11
	v_cmp_gt_i64_e64 s[36:37], 0, v[10:11]
	v_ashrrev_i32_e32 v9, 31, v9
	ds_read_b32 v48, v52 offset:64
	v_xor_b32_e32 v10, s37, v9
	v_xor_b32_e32 v11, s36, v9
	v_and_b32_e32 v9, v8, v10
	v_and_b32_e32 v8, v51, v11
	v_mbcnt_lo_u32_b32 v10, v8, 0
	v_mbcnt_hi_u32_b32 v50, v9, v10
	v_cmp_eq_u32_e64 s[36:37], 0, v50
	v_cmp_ne_u64_e64 s[38:39], 0, v[8:9]
	s_and_b64 s[38:39], s[38:39], s[36:37]
	; wave barrier
	s_and_saveexec_b64 s[36:37], s[38:39]
	s_cbranch_execz .LBB1429_53
; %bb.52:
	v_bcnt_u32_b32 v8, v8, 0
	v_bcnt_u32_b32 v8, v9, v8
	s_waitcnt lgkmcnt(0)
	v_add_u32_e32 v8, v48, v8
	ds_write_b32 v52, v8 offset:64
.LBB1429_53:
	s_or_b64 exec, exec, s[36:37]
	v_lshrrev_b32_e32 v8, s64, v21
	v_and_b32_e32 v53, s71, v8
	v_mul_lo_u32 v8, v53, s40
	v_lshl_add_u32 v55, v39, 2, v8
	v_and_b32_e32 v8, 1, v53
	v_mov_b32_e32 v9, 0
	v_lshl_add_u64 v[10:11], v[8:9], 0, -1
	v_cmp_ne_u32_e64 s[36:37], 0, v8
	; wave barrier
	s_nop 1
	v_xor_b32_e32 v10, s36, v10
	v_xor_b32_e32 v8, s37, v11
	v_and_b32_e32 v54, exec_lo, v10
	v_lshlrev_b32_e32 v11, 30, v53
	v_mov_b32_e32 v10, v9
	v_cmp_gt_i64_e64 s[36:37], 0, v[10:11]
	v_not_b32_e32 v10, v11
	v_ashrrev_i32_e32 v10, 31, v10
	v_and_b32_e32 v8, exec_hi, v8
	v_xor_b32_e32 v11, s37, v10
	v_xor_b32_e32 v10, s36, v10
	v_and_b32_e32 v8, v8, v11
	v_and_b32_e32 v54, v54, v10
	v_lshlrev_b32_e32 v11, 29, v53
	v_mov_b32_e32 v10, v9
	v_cmp_gt_i64_e64 s[36:37], 0, v[10:11]
	v_not_b32_e32 v10, v11
	v_ashrrev_i32_e32 v10, 31, v10
	v_xor_b32_e32 v11, s37, v10
	v_xor_b32_e32 v10, s36, v10
	v_and_b32_e32 v8, v8, v11
	v_and_b32_e32 v54, v54, v10
	v_lshlrev_b32_e32 v11, 28, v53
	v_mov_b32_e32 v10, v9
	v_cmp_gt_i64_e64 s[36:37], 0, v[10:11]
	v_not_b32_e32 v10, v11
	v_ashrrev_i32_e32 v10, 31, v10
	;; [unrolled: 9-line block ×6, first 2 shown]
	v_xor_b32_e32 v11, s37, v10
	v_xor_b32_e32 v10, s36, v10
	ds_read_b32 v51, v55 offset:64
	v_and_b32_e32 v10, v54, v10
	v_and_b32_e32 v11, v8, v11
	v_mbcnt_lo_u32_b32 v8, v10, 0
	v_mbcnt_hi_u32_b32 v53, v11, v8
	v_cmp_eq_u32_e64 s[36:37], 0, v53
	v_cmp_ne_u64_e64 s[38:39], 0, v[10:11]
	s_and_b64 s[38:39], s[38:39], s[36:37]
	; wave barrier
	s_and_saveexec_b64 s[36:37], s[38:39]
	s_cbranch_execz .LBB1429_55
; %bb.54:
	v_bcnt_u32_b32 v8, v10, 0
	v_bcnt_u32_b32 v8, v11, v8
	s_waitcnt lgkmcnt(0)
	v_add_u32_e32 v8, v51, v8
	ds_write_b32 v55, v8 offset:64
.LBB1429_55:
	s_or_b64 exec, exec, s[36:37]
	v_lshrrev_b32_e32 v8, s64, v20
	v_and_b32_e32 v56, s71, v8
	v_mul_lo_u32 v8, v56, s40
	v_lshl_add_u32 v58, v39, 2, v8
	v_and_b32_e32 v8, 1, v56
	v_lshl_add_u64 v[10:11], v[8:9], 0, -1
	v_cmp_ne_u32_e64 s[36:37], 0, v8
	; wave barrier
	s_nop 1
	v_xor_b32_e32 v10, s36, v10
	v_xor_b32_e32 v8, s37, v11
	v_and_b32_e32 v57, exec_lo, v10
	v_lshlrev_b32_e32 v11, 30, v56
	v_mov_b32_e32 v10, v9
	v_cmp_gt_i64_e64 s[36:37], 0, v[10:11]
	v_not_b32_e32 v10, v11
	v_ashrrev_i32_e32 v10, 31, v10
	v_and_b32_e32 v8, exec_hi, v8
	v_xor_b32_e32 v11, s37, v10
	v_xor_b32_e32 v10, s36, v10
	v_and_b32_e32 v8, v8, v11
	v_and_b32_e32 v57, v57, v10
	v_lshlrev_b32_e32 v11, 29, v56
	v_mov_b32_e32 v10, v9
	v_cmp_gt_i64_e64 s[36:37], 0, v[10:11]
	v_not_b32_e32 v10, v11
	v_ashrrev_i32_e32 v10, 31, v10
	v_xor_b32_e32 v11, s37, v10
	v_xor_b32_e32 v10, s36, v10
	v_and_b32_e32 v8, v8, v11
	v_and_b32_e32 v57, v57, v10
	v_lshlrev_b32_e32 v11, 28, v56
	v_mov_b32_e32 v10, v9
	v_cmp_gt_i64_e64 s[36:37], 0, v[10:11]
	v_not_b32_e32 v10, v11
	v_ashrrev_i32_e32 v10, 31, v10
	;; [unrolled: 9-line block ×5, first 2 shown]
	v_xor_b32_e32 v11, s37, v10
	v_xor_b32_e32 v10, s36, v10
	v_and_b32_e32 v8, v8, v11
	v_lshlrev_b32_e32 v11, 24, v56
	v_and_b32_e32 v57, v57, v10
	v_mov_b32_e32 v10, v9
	v_not_b32_e32 v9, v11
	v_cmp_gt_i64_e64 s[36:37], 0, v[10:11]
	v_ashrrev_i32_e32 v9, 31, v9
	ds_read_b32 v54, v58 offset:64
	v_xor_b32_e32 v10, s37, v9
	v_xor_b32_e32 v11, s36, v9
	v_and_b32_e32 v9, v8, v10
	v_and_b32_e32 v8, v57, v11
	v_mbcnt_lo_u32_b32 v10, v8, 0
	v_mbcnt_hi_u32_b32 v56, v9, v10
	v_cmp_eq_u32_e64 s[36:37], 0, v56
	v_cmp_ne_u64_e64 s[38:39], 0, v[8:9]
	s_and_b64 s[38:39], s[38:39], s[36:37]
	; wave barrier
	s_and_saveexec_b64 s[36:37], s[38:39]
	s_cbranch_execz .LBB1429_57
; %bb.56:
	v_bcnt_u32_b32 v8, v8, 0
	v_bcnt_u32_b32 v8, v9, v8
	s_waitcnt lgkmcnt(0)
	v_add_u32_e32 v8, v54, v8
	ds_write_b32 v58, v8 offset:64
.LBB1429_57:
	s_or_b64 exec, exec, s[36:37]
	v_lshrrev_b32_e32 v8, s64, v23
	v_and_b32_e32 v59, s71, v8
	v_mul_lo_u32 v8, v59, s40
	v_lshl_add_u32 v61, v39, 2, v8
	v_and_b32_e32 v8, 1, v59
	v_mov_b32_e32 v9, 0
	v_lshl_add_u64 v[10:11], v[8:9], 0, -1
	v_cmp_ne_u32_e64 s[36:37], 0, v8
	; wave barrier
	s_nop 1
	v_xor_b32_e32 v10, s36, v10
	v_xor_b32_e32 v8, s37, v11
	v_and_b32_e32 v60, exec_lo, v10
	v_lshlrev_b32_e32 v11, 30, v59
	v_mov_b32_e32 v10, v9
	v_cmp_gt_i64_e64 s[36:37], 0, v[10:11]
	v_not_b32_e32 v10, v11
	v_ashrrev_i32_e32 v10, 31, v10
	v_and_b32_e32 v8, exec_hi, v8
	v_xor_b32_e32 v11, s37, v10
	v_xor_b32_e32 v10, s36, v10
	v_and_b32_e32 v8, v8, v11
	v_and_b32_e32 v60, v60, v10
	v_lshlrev_b32_e32 v11, 29, v59
	v_mov_b32_e32 v10, v9
	v_cmp_gt_i64_e64 s[36:37], 0, v[10:11]
	v_not_b32_e32 v10, v11
	v_ashrrev_i32_e32 v10, 31, v10
	v_xor_b32_e32 v11, s37, v10
	v_xor_b32_e32 v10, s36, v10
	v_and_b32_e32 v8, v8, v11
	v_and_b32_e32 v60, v60, v10
	v_lshlrev_b32_e32 v11, 28, v59
	v_mov_b32_e32 v10, v9
	v_cmp_gt_i64_e64 s[36:37], 0, v[10:11]
	v_not_b32_e32 v10, v11
	v_ashrrev_i32_e32 v10, 31, v10
	;; [unrolled: 9-line block ×6, first 2 shown]
	v_xor_b32_e32 v11, s37, v10
	v_xor_b32_e32 v10, s36, v10
	ds_read_b32 v57, v61 offset:64
	v_and_b32_e32 v10, v60, v10
	v_and_b32_e32 v11, v8, v11
	v_mbcnt_lo_u32_b32 v8, v10, 0
	v_mbcnt_hi_u32_b32 v59, v11, v8
	v_cmp_eq_u32_e64 s[36:37], 0, v59
	v_cmp_ne_u64_e64 s[38:39], 0, v[10:11]
	s_and_b64 s[38:39], s[38:39], s[36:37]
	; wave barrier
	s_and_saveexec_b64 s[36:37], s[38:39]
	s_cbranch_execz .LBB1429_59
; %bb.58:
	v_bcnt_u32_b32 v8, v10, 0
	v_bcnt_u32_b32 v8, v11, v8
	s_waitcnt lgkmcnt(0)
	v_add_u32_e32 v8, v57, v8
	ds_write_b32 v61, v8 offset:64
.LBB1429_59:
	s_or_b64 exec, exec, s[36:37]
	v_lshrrev_b32_e32 v8, s64, v22
	v_and_b32_e32 v62, s71, v8
	v_mul_lo_u32 v8, v62, s40
	v_lshl_add_u32 v64, v39, 2, v8
	v_and_b32_e32 v8, 1, v62
	v_lshl_add_u64 v[10:11], v[8:9], 0, -1
	v_cmp_ne_u32_e64 s[36:37], 0, v8
	; wave barrier
	s_nop 1
	v_xor_b32_e32 v10, s36, v10
	v_xor_b32_e32 v8, s37, v11
	v_and_b32_e32 v63, exec_lo, v10
	v_lshlrev_b32_e32 v11, 30, v62
	v_mov_b32_e32 v10, v9
	v_cmp_gt_i64_e64 s[36:37], 0, v[10:11]
	v_not_b32_e32 v10, v11
	v_ashrrev_i32_e32 v10, 31, v10
	v_and_b32_e32 v8, exec_hi, v8
	v_xor_b32_e32 v11, s37, v10
	v_xor_b32_e32 v10, s36, v10
	v_and_b32_e32 v8, v8, v11
	v_and_b32_e32 v63, v63, v10
	v_lshlrev_b32_e32 v11, 29, v62
	v_mov_b32_e32 v10, v9
	v_cmp_gt_i64_e64 s[36:37], 0, v[10:11]
	v_not_b32_e32 v10, v11
	v_ashrrev_i32_e32 v10, 31, v10
	v_xor_b32_e32 v11, s37, v10
	v_xor_b32_e32 v10, s36, v10
	v_and_b32_e32 v8, v8, v11
	v_and_b32_e32 v63, v63, v10
	v_lshlrev_b32_e32 v11, 28, v62
	v_mov_b32_e32 v10, v9
	v_cmp_gt_i64_e64 s[36:37], 0, v[10:11]
	v_not_b32_e32 v10, v11
	v_ashrrev_i32_e32 v10, 31, v10
	;; [unrolled: 9-line block ×5, first 2 shown]
	v_xor_b32_e32 v11, s37, v10
	v_xor_b32_e32 v10, s36, v10
	v_and_b32_e32 v8, v8, v11
	v_lshlrev_b32_e32 v11, 24, v62
	v_and_b32_e32 v63, v63, v10
	v_mov_b32_e32 v10, v9
	v_not_b32_e32 v9, v11
	v_cmp_gt_i64_e64 s[36:37], 0, v[10:11]
	v_ashrrev_i32_e32 v9, 31, v9
	ds_read_b32 v60, v64 offset:64
	v_xor_b32_e32 v10, s37, v9
	v_xor_b32_e32 v11, s36, v9
	v_and_b32_e32 v9, v8, v10
	v_and_b32_e32 v8, v63, v11
	v_mbcnt_lo_u32_b32 v10, v8, 0
	v_mbcnt_hi_u32_b32 v62, v9, v10
	v_cmp_eq_u32_e64 s[36:37], 0, v62
	v_cmp_ne_u64_e64 s[38:39], 0, v[8:9]
	s_and_b64 s[38:39], s[38:39], s[36:37]
	; wave barrier
	s_and_saveexec_b64 s[36:37], s[38:39]
	s_cbranch_execz .LBB1429_61
; %bb.60:
	v_bcnt_u32_b32 v8, v8, 0
	v_bcnt_u32_b32 v8, v9, v8
	s_waitcnt lgkmcnt(0)
	v_add_u32_e32 v8, v60, v8
	ds_write_b32 v64, v8 offset:64
.LBB1429_61:
	s_or_b64 exec, exec, s[36:37]
	v_lshrrev_b32_e32 v8, s64, v25
	v_and_b32_e32 v65, s71, v8
	v_mul_lo_u32 v8, v65, s40
	v_lshl_add_u32 v67, v39, 2, v8
	v_and_b32_e32 v8, 1, v65
	v_mov_b32_e32 v9, 0
	v_lshl_add_u64 v[10:11], v[8:9], 0, -1
	v_cmp_ne_u32_e64 s[36:37], 0, v8
	; wave barrier
	s_nop 1
	v_xor_b32_e32 v10, s36, v10
	v_xor_b32_e32 v8, s37, v11
	v_and_b32_e32 v66, exec_lo, v10
	v_lshlrev_b32_e32 v11, 30, v65
	v_mov_b32_e32 v10, v9
	v_cmp_gt_i64_e64 s[36:37], 0, v[10:11]
	v_not_b32_e32 v10, v11
	v_ashrrev_i32_e32 v10, 31, v10
	v_and_b32_e32 v8, exec_hi, v8
	v_xor_b32_e32 v11, s37, v10
	v_xor_b32_e32 v10, s36, v10
	v_and_b32_e32 v8, v8, v11
	v_and_b32_e32 v66, v66, v10
	v_lshlrev_b32_e32 v11, 29, v65
	v_mov_b32_e32 v10, v9
	v_cmp_gt_i64_e64 s[36:37], 0, v[10:11]
	v_not_b32_e32 v10, v11
	v_ashrrev_i32_e32 v10, 31, v10
	v_xor_b32_e32 v11, s37, v10
	v_xor_b32_e32 v10, s36, v10
	v_and_b32_e32 v8, v8, v11
	v_and_b32_e32 v66, v66, v10
	v_lshlrev_b32_e32 v11, 28, v65
	v_mov_b32_e32 v10, v9
	v_cmp_gt_i64_e64 s[36:37], 0, v[10:11]
	v_not_b32_e32 v10, v11
	v_ashrrev_i32_e32 v10, 31, v10
	;; [unrolled: 9-line block ×6, first 2 shown]
	v_xor_b32_e32 v11, s37, v10
	v_xor_b32_e32 v10, s36, v10
	ds_read_b32 v63, v67 offset:64
	v_and_b32_e32 v10, v66, v10
	v_and_b32_e32 v11, v8, v11
	v_mbcnt_lo_u32_b32 v8, v10, 0
	v_mbcnt_hi_u32_b32 v65, v11, v8
	v_cmp_eq_u32_e64 s[36:37], 0, v65
	v_cmp_ne_u64_e64 s[38:39], 0, v[10:11]
	s_and_b64 s[38:39], s[38:39], s[36:37]
	; wave barrier
	s_and_saveexec_b64 s[36:37], s[38:39]
	s_cbranch_execz .LBB1429_63
; %bb.62:
	v_bcnt_u32_b32 v8, v10, 0
	v_bcnt_u32_b32 v8, v11, v8
	s_waitcnt lgkmcnt(0)
	v_add_u32_e32 v8, v63, v8
	ds_write_b32 v67, v8 offset:64
.LBB1429_63:
	s_or_b64 exec, exec, s[36:37]
	v_lshrrev_b32_e32 v8, s64, v24
	v_and_b32_e32 v68, s71, v8
	v_mul_lo_u32 v8, v68, s40
	v_lshl_add_u32 v70, v39, 2, v8
	v_and_b32_e32 v8, 1, v68
	v_lshl_add_u64 v[10:11], v[8:9], 0, -1
	v_cmp_ne_u32_e64 s[36:37], 0, v8
	; wave barrier
	s_nop 1
	v_xor_b32_e32 v10, s36, v10
	v_xor_b32_e32 v8, s37, v11
	v_and_b32_e32 v69, exec_lo, v10
	v_lshlrev_b32_e32 v11, 30, v68
	v_mov_b32_e32 v10, v9
	v_cmp_gt_i64_e64 s[36:37], 0, v[10:11]
	v_not_b32_e32 v10, v11
	v_ashrrev_i32_e32 v10, 31, v10
	v_and_b32_e32 v8, exec_hi, v8
	v_xor_b32_e32 v11, s37, v10
	v_xor_b32_e32 v10, s36, v10
	v_and_b32_e32 v8, v8, v11
	v_and_b32_e32 v69, v69, v10
	v_lshlrev_b32_e32 v11, 29, v68
	v_mov_b32_e32 v10, v9
	v_cmp_gt_i64_e64 s[36:37], 0, v[10:11]
	v_not_b32_e32 v10, v11
	v_ashrrev_i32_e32 v10, 31, v10
	v_xor_b32_e32 v11, s37, v10
	v_xor_b32_e32 v10, s36, v10
	v_and_b32_e32 v8, v8, v11
	v_and_b32_e32 v69, v69, v10
	v_lshlrev_b32_e32 v11, 28, v68
	v_mov_b32_e32 v10, v9
	v_cmp_gt_i64_e64 s[36:37], 0, v[10:11]
	v_not_b32_e32 v10, v11
	v_ashrrev_i32_e32 v10, 31, v10
	;; [unrolled: 9-line block ×5, first 2 shown]
	v_xor_b32_e32 v11, s37, v10
	v_xor_b32_e32 v10, s36, v10
	v_and_b32_e32 v8, v8, v11
	v_lshlrev_b32_e32 v11, 24, v68
	v_and_b32_e32 v69, v69, v10
	v_mov_b32_e32 v10, v9
	v_not_b32_e32 v9, v11
	v_cmp_gt_i64_e64 s[36:37], 0, v[10:11]
	v_ashrrev_i32_e32 v9, 31, v9
	ds_read_b32 v66, v70 offset:64
	v_xor_b32_e32 v10, s37, v9
	v_xor_b32_e32 v11, s36, v9
	v_and_b32_e32 v9, v8, v10
	v_and_b32_e32 v8, v69, v11
	v_mbcnt_lo_u32_b32 v10, v8, 0
	v_mbcnt_hi_u32_b32 v68, v9, v10
	v_cmp_eq_u32_e64 s[36:37], 0, v68
	v_cmp_ne_u64_e64 s[38:39], 0, v[8:9]
	s_and_b64 s[38:39], s[38:39], s[36:37]
	; wave barrier
	s_and_saveexec_b64 s[36:37], s[38:39]
	s_cbranch_execz .LBB1429_65
; %bb.64:
	v_bcnt_u32_b32 v8, v8, 0
	v_bcnt_u32_b32 v8, v9, v8
	s_waitcnt lgkmcnt(0)
	v_add_u32_e32 v8, v66, v8
	ds_write_b32 v70, v8 offset:64
.LBB1429_65:
	s_or_b64 exec, exec, s[36:37]
	v_lshrrev_b32_e32 v8, s64, v27
	v_and_b32_e32 v71, s71, v8
	v_mul_lo_u32 v8, v71, s40
	v_lshl_add_u32 v72, v39, 2, v8
	v_and_b32_e32 v8, 1, v71
	v_mov_b32_e32 v9, 0
	v_lshl_add_u64 v[10:11], v[8:9], 0, -1
	v_cmp_ne_u32_e64 s[36:37], 0, v8
	; wave barrier
	s_nop 1
	v_xor_b32_e32 v10, s36, v10
	v_xor_b32_e32 v8, s37, v11
	v_and_b32_e32 v73, exec_lo, v10
	v_lshlrev_b32_e32 v11, 30, v71
	v_mov_b32_e32 v10, v9
	v_cmp_gt_i64_e64 s[36:37], 0, v[10:11]
	v_not_b32_e32 v10, v11
	v_ashrrev_i32_e32 v10, 31, v10
	v_and_b32_e32 v8, exec_hi, v8
	v_xor_b32_e32 v11, s37, v10
	v_xor_b32_e32 v10, s36, v10
	v_and_b32_e32 v8, v8, v11
	v_and_b32_e32 v73, v73, v10
	v_lshlrev_b32_e32 v11, 29, v71
	v_mov_b32_e32 v10, v9
	v_cmp_gt_i64_e64 s[36:37], 0, v[10:11]
	v_not_b32_e32 v10, v11
	v_ashrrev_i32_e32 v10, 31, v10
	v_xor_b32_e32 v11, s37, v10
	v_xor_b32_e32 v10, s36, v10
	v_and_b32_e32 v8, v8, v11
	v_and_b32_e32 v73, v73, v10
	v_lshlrev_b32_e32 v11, 28, v71
	v_mov_b32_e32 v10, v9
	v_cmp_gt_i64_e64 s[36:37], 0, v[10:11]
	v_not_b32_e32 v10, v11
	v_ashrrev_i32_e32 v10, 31, v10
	;; [unrolled: 9-line block ×6, first 2 shown]
	v_xor_b32_e32 v11, s37, v10
	v_xor_b32_e32 v10, s36, v10
	ds_read_b32 v69, v72 offset:64
	v_and_b32_e32 v10, v73, v10
	v_and_b32_e32 v11, v8, v11
	v_mbcnt_lo_u32_b32 v8, v10, 0
	v_mbcnt_hi_u32_b32 v71, v11, v8
	v_cmp_eq_u32_e64 s[36:37], 0, v71
	v_cmp_ne_u64_e64 s[38:39], 0, v[10:11]
	s_and_b64 s[38:39], s[38:39], s[36:37]
	; wave barrier
	s_and_saveexec_b64 s[36:37], s[38:39]
	s_cbranch_execz .LBB1429_67
; %bb.66:
	v_bcnt_u32_b32 v8, v10, 0
	v_bcnt_u32_b32 v8, v11, v8
	s_waitcnt lgkmcnt(0)
	v_add_u32_e32 v8, v69, v8
	ds_write_b32 v72, v8 offset:64
.LBB1429_67:
	s_or_b64 exec, exec, s[36:37]
	v_lshrrev_b32_e32 v8, s64, v26
	v_and_b32_e32 v73, s71, v8
	v_mul_lo_u32 v8, v73, s40
	v_lshl_add_u32 v74, v39, 2, v8
	v_and_b32_e32 v8, 1, v73
	v_lshl_add_u64 v[10:11], v[8:9], 0, -1
	v_cmp_ne_u32_e64 s[36:37], 0, v8
	; wave barrier
	s_nop 1
	v_xor_b32_e32 v10, s36, v10
	v_xor_b32_e32 v8, s37, v11
	v_and_b32_e32 v75, exec_lo, v10
	v_lshlrev_b32_e32 v11, 30, v73
	v_mov_b32_e32 v10, v9
	v_cmp_gt_i64_e64 s[36:37], 0, v[10:11]
	v_not_b32_e32 v10, v11
	v_ashrrev_i32_e32 v10, 31, v10
	v_and_b32_e32 v8, exec_hi, v8
	v_xor_b32_e32 v11, s37, v10
	v_xor_b32_e32 v10, s36, v10
	v_and_b32_e32 v8, v8, v11
	v_and_b32_e32 v75, v75, v10
	v_lshlrev_b32_e32 v11, 29, v73
	v_mov_b32_e32 v10, v9
	v_cmp_gt_i64_e64 s[36:37], 0, v[10:11]
	v_not_b32_e32 v10, v11
	v_ashrrev_i32_e32 v10, 31, v10
	v_xor_b32_e32 v11, s37, v10
	v_xor_b32_e32 v10, s36, v10
	v_and_b32_e32 v8, v8, v11
	v_and_b32_e32 v75, v75, v10
	v_lshlrev_b32_e32 v11, 28, v73
	v_mov_b32_e32 v10, v9
	v_cmp_gt_i64_e64 s[36:37], 0, v[10:11]
	v_not_b32_e32 v10, v11
	v_ashrrev_i32_e32 v10, 31, v10
	;; [unrolled: 9-line block ×5, first 2 shown]
	v_xor_b32_e32 v11, s37, v10
	v_xor_b32_e32 v10, s36, v10
	v_and_b32_e32 v8, v8, v11
	v_lshlrev_b32_e32 v11, 24, v73
	v_and_b32_e32 v75, v75, v10
	v_mov_b32_e32 v10, v9
	v_not_b32_e32 v9, v11
	v_cmp_gt_i64_e64 s[36:37], 0, v[10:11]
	v_ashrrev_i32_e32 v9, 31, v9
	ds_read_b32 v39, v74 offset:64
	v_xor_b32_e32 v10, s37, v9
	v_xor_b32_e32 v11, s36, v9
	v_and_b32_e32 v9, v8, v10
	v_and_b32_e32 v8, v75, v11
	v_mbcnt_lo_u32_b32 v10, v8, 0
	v_mbcnt_hi_u32_b32 v73, v9, v10
	v_cmp_eq_u32_e64 s[36:37], 0, v73
	v_cmp_ne_u64_e64 s[38:39], 0, v[8:9]
	s_and_b64 s[38:39], s[38:39], s[36:37]
	; wave barrier
	s_and_saveexec_b64 s[36:37], s[38:39]
	s_cbranch_execz .LBB1429_69
; %bb.68:
	v_bcnt_u32_b32 v8, v8, 0
	v_bcnt_u32_b32 v8, v9, v8
	s_waitcnt lgkmcnt(0)
	v_add_u32_e32 v8, v39, v8
	ds_write_b32 v74, v8 offset:64
.LBB1429_69:
	s_or_b64 exec, exec, s[36:37]
	; wave barrier
	s_waitcnt lgkmcnt(0)
	s_barrier
	ds_read2_b32 v[10:11], v13 offset0:16 offset1:17
	ds_read2_b32 v[8:9], v13 offset0:18 offset1:19
	ds_read_b32 v75, v13 offset:80
	v_cmp_lt_u32_e64 s[46:47], 31, v12
	s_waitcnt lgkmcnt(1)
	v_add3_u32 v76, v11, v10, v8
	s_waitcnt lgkmcnt(0)
	v_add3_u32 v75, v76, v9, v75
	v_and_b32_e32 v76, 15, v12
	v_cmp_eq_u32_e64 s[36:37], 0, v76
	v_mov_b32_dpp v77, v75 row_shr:1 row_mask:0xf bank_mask:0xf
	v_cmp_lt_u32_e64 s[38:39], 1, v76
	v_cndmask_b32_e64 v77, v77, 0, s[36:37]
	v_add_u32_e32 v75, v77, v75
	v_cmp_lt_u32_e64 s[40:41], 3, v76
	v_cmp_lt_u32_e64 s[42:43], 7, v76
	v_mov_b32_dpp v77, v75 row_shr:2 row_mask:0xf bank_mask:0xf
	v_cndmask_b32_e64 v77, 0, v77, s[38:39]
	v_add_u32_e32 v75, v75, v77
	s_nop 1
	v_mov_b32_dpp v77, v75 row_shr:4 row_mask:0xf bank_mask:0xf
	v_cndmask_b32_e64 v77, 0, v77, s[40:41]
	v_add_u32_e32 v75, v75, v77
	s_nop 1
	v_mov_b32_dpp v77, v75 row_shr:8 row_mask:0xf bank_mask:0xf
	v_cndmask_b32_e64 v76, 0, v77, s[42:43]
	v_add_u32_e32 v75, v75, v76
	v_bfe_i32 v77, v12, 4, 1
	s_nop 0
	v_mov_b32_dpp v76, v75 row_bcast:15 row_mask:0xf bank_mask:0xf
	v_and_b32_e32 v76, v77, v76
	v_add_u32_e32 v75, v75, v76
	v_and_b32_e32 v77, 63, v2
	s_nop 0
	v_mov_b32_dpp v76, v75 row_bcast:31 row_mask:0xf bank_mask:0xf
	v_cndmask_b32_e64 v76, 0, v76, s[46:47]
	v_add_u32_e32 v75, v75, v76
	v_lshrrev_b32_e32 v76, 6, v2
	v_cmp_eq_u32_e64 s[46:47], 63, v77
	s_and_saveexec_b64 s[48:49], s[46:47]
; %bb.70:
	v_lshlrev_b32_e32 v77, 2, v76
	ds_write_b32 v77, v75
; %bb.71:
	s_or_b64 exec, exec, s[48:49]
	v_cmp_gt_u32_e64 s[46:47], 16, v2
	s_waitcnt lgkmcnt(0)
	s_barrier
	s_and_saveexec_b64 s[48:49], s[46:47]
	s_cbranch_execz .LBB1429_73
; %bb.72:
	v_lshlrev_b32_e32 v77, 2, v2
	ds_read_b32 v78, v77
	s_waitcnt lgkmcnt(0)
	s_nop 0
	v_mov_b32_dpp v79, v78 row_shr:1 row_mask:0xf bank_mask:0xf
	v_cndmask_b32_e64 v79, v79, 0, s[36:37]
	v_add_u32_e32 v78, v79, v78
	s_nop 1
	v_mov_b32_dpp v79, v78 row_shr:2 row_mask:0xf bank_mask:0xf
	v_cndmask_b32_e64 v79, 0, v79, s[38:39]
	v_add_u32_e32 v78, v78, v79
	;; [unrolled: 4-line block ×4, first 2 shown]
	ds_write_b32 v77, v78
.LBB1429_73:
	s_or_b64 exec, exec, s[48:49]
	v_cmp_lt_u32_e64 s[36:37], 63, v2
	v_mov_b32_e32 v77, 0
	s_waitcnt lgkmcnt(0)
	s_barrier
	s_and_saveexec_b64 s[38:39], s[36:37]
; %bb.74:
	v_lshl_add_u32 v76, v76, 2, -4
	ds_read_b32 v77, v76
; %bb.75:
	s_or_b64 exec, exec, s[38:39]
	v_subrev_co_u32_e64 v76, s[36:37], 1, v12
	v_and_b32_e32 v78, 64, v12
	v_cmp_lt_i32_e64 s[38:39], v76, v78
	s_waitcnt lgkmcnt(0)
	v_add_u32_e32 v75, v77, v75
	s_movk_i32 s40, 0x100
	v_cndmask_b32_e64 v12, v76, v12, s[38:39]
	v_lshlrev_b32_e32 v12, 2, v12
	ds_bpermute_b32 v12, v12, v75
	v_cmp_gt_u32_e64 s[38:39], s40, v2
	s_waitcnt lgkmcnt(0)
	v_cndmask_b32_e64 v12, v12, v77, s[36:37]
	v_cndmask_b32_e64 v12, v12, 0, s[44:45]
	v_add_u32_e32 v10, v12, v10
	v_add_u32_e32 v11, v10, v11
	;; [unrolled: 1-line block ×4, first 2 shown]
	ds_write2_b32 v13, v12, v10 offset0:16 offset1:17
	ds_write2_b32 v13, v11, v8 offset0:18 offset1:19
	ds_write_b32 v13, v9 offset:80
	s_waitcnt lgkmcnt(0)
	s_barrier
	ds_read_b32 v84, v32 offset:64
	ds_read_b32 v75, v34 offset:64
	;; [unrolled: 1-line block ×16, first 2 shown]
	s_movk_i32 s36, 0xff
	v_cmp_lt_u32_e64 s[36:37], s36, v2
                                        ; implicit-def: $vgpr32
                                        ; implicit-def: $vgpr34
	s_and_saveexec_b64 s[42:43], s[38:39]
	s_cbranch_execz .LBB1429_79
; %bb.76:
	v_mul_u32_u24_e32 v8, 0x44, v2
	ds_read_b32 v32, v8 offset:64
	v_add_u32_e32 v9, 1, v2
	v_cmp_ne_u32_e64 s[40:41], s40, v9
	v_mov_b32_e32 v8, 0x4000
	s_and_saveexec_b64 s[46:47], s[40:41]
; %bb.77:
	v_mul_u32_u24_e32 v8, 0x44, v9
	ds_read_b32 v8, v8 offset:64
; %bb.78:
	s_or_b64 exec, exec, s[46:47]
	s_waitcnt lgkmcnt(0)
	v_sub_u32_e32 v34, v8, v32
.LBB1429_79:
	s_or_b64 exec, exec, s[42:43]
	v_mov_b32_e32 v9, 0
	v_lshlrev_b32_e32 v37, 2, v2
	s_waitcnt lgkmcnt(0)
	s_barrier
	s_and_saveexec_b64 s[40:41], s[38:39]
	s_cbranch_execz .LBB1429_89
; %bb.80:
	v_lshl_add_u32 v8, s33, 8, v2
	v_lshl_add_u64 v[10:11], v[8:9], 2, s[68:69]
	v_or_b32_e32 v8, 2.0, v34
	s_mov_b64 s[42:43], 0
	s_brev_b32 s50, -4
	s_mov_b32 s51, s33
	v_mov_b32_e32 v55, 0
	global_store_dword v[10:11], v8, off sc1
                                        ; implicit-def: $sgpr38_sgpr39
	s_branch .LBB1429_83
.LBB1429_81:                            ;   in Loop: Header=BB1429_83 Depth=1
	s_or_b64 exec, exec, s[48:49]
.LBB1429_82:                            ;   in Loop: Header=BB1429_83 Depth=1
	s_or_b64 exec, exec, s[46:47]
	v_and_b32_e32 v12, 0x3fffffff, v8
	v_add_u32_e32 v55, v12, v55
	v_cmp_gt_i32_e64 s[38:39], -2.0, v8
	s_and_b64 s[46:47], exec, s[38:39]
	s_or_b64 s[42:43], s[46:47], s[42:43]
	s_andn2_b64 exec, exec, s[42:43]
	s_cbranch_execz .LBB1429_88
.LBB1429_83:                            ; =>This Loop Header: Depth=1
                                        ;     Child Loop BB1429_86 Depth 2
	s_or_b64 s[38:39], s[38:39], exec
	s_cmp_eq_u32 s51, 0
	s_cbranch_scc1 .LBB1429_87
; %bb.84:                               ;   in Loop: Header=BB1429_83 Depth=1
	s_add_i32 s51, s51, -1
	v_lshl_or_b32 v8, s51, 8, v2
	v_lshl_add_u64 v[12:13], v[8:9], 2, s[68:69]
	global_load_dword v8, v[12:13], off sc1
	s_waitcnt vmcnt(0)
	v_cmp_gt_u32_e64 s[38:39], 2.0, v8
	s_and_saveexec_b64 s[46:47], s[38:39]
	s_cbranch_execz .LBB1429_82
; %bb.85:                               ;   in Loop: Header=BB1429_83 Depth=1
	s_mov_b64 s[48:49], 0
.LBB1429_86:                            ;   Parent Loop BB1429_83 Depth=1
                                        ; =>  This Inner Loop Header: Depth=2
	global_load_dword v8, v[12:13], off sc1
	s_waitcnt vmcnt(0)
	v_cmp_lt_u32_e64 s[38:39], s50, v8
	s_or_b64 s[48:49], s[38:39], s[48:49]
	s_andn2_b64 exec, exec, s[48:49]
	s_cbranch_execnz .LBB1429_86
	s_branch .LBB1429_81
.LBB1429_87:                            ;   in Loop: Header=BB1429_83 Depth=1
                                        ; implicit-def: $sgpr51
	s_and_b64 s[46:47], exec, s[38:39]
	s_or_b64 s[42:43], s[46:47], s[42:43]
	s_andn2_b64 exec, exec, s[42:43]
	s_cbranch_execnz .LBB1429_83
.LBB1429_88:
	s_or_b64 exec, exec, s[42:43]
	v_add_u32_e32 v8, v55, v34
	v_or_b32_e32 v8, 0x80000000, v8
	global_store_dword v[10:11], v8, off sc1
	global_load_dword v8, v37, s[60:61]
	v_sub_u32_e32 v9, v55, v32
	s_waitcnt vmcnt(0)
	v_add_u32_e32 v8, v9, v8
	ds_write_b32 v37, v8
.LBB1429_89:
	s_or_b64 exec, exec, s[40:41]
	v_add_u32_e32 v10, v84, v29
	v_add3_u32 v8, v30, v28, v75
	v_add3_u32 v9, v33, v31, v76
	;; [unrolled: 1-line block ×15, first 2 shown]
	v_mov_b32_e32 v88, 0x400
	s_movk_i32 s42, 0x400
	v_lshl_add_u32 v11, v11, 2, v88
	v_add3_u32 v12, v73, v49, v39
	v_lshl_add_u32 v13, v13, 2, v88
	v_add3_u32 v29, v71, v44, v69
	;; [unrolled: 2-line block ×15, first 2 shown]
	v_lshl_add_u32 v30, v10, 2, v88
	s_mov_b32 s43, 0
	s_mov_b32 s46, 0
	s_movk_i32 s47, 0x1000
	v_mov_b32_e32 v9, 0
	s_movk_i32 s48, 0x800
	s_movk_i32 s49, 0xc00
	v_mov_b32_e32 v59, v2
	s_mov_b32 s50, 0
	s_branch .LBB1429_91
.LBB1429_90:                            ;   in Loop: Header=BB1429_91 Depth=1
	s_or_b64 exec, exec, s[40:41]
	s_addk_i32 s50, 0xc000
	s_add_i32 s43, s43, 16
	s_addk_i32 s46, 0xf000
	s_cmp_eq_u32 s50, 0xffff0000
	v_add_u32_e32 v59, 0x1000, v59
	s_barrier
	s_cbranch_scc1 .LBB1429_131
.LBB1429_91:                            ; =>This Inner Loop Header: Depth=1
	v_add_u32_e32 v8, s46, v10
	v_cmp_gt_u32_e64 s[38:39], s47, v8
	s_and_saveexec_b64 s[40:41], s[38:39]
; %bb.92:                               ;   in Loop: Header=BB1429_91 Depth=1
	v_add_u32_e32 v8, s50, v30
	ds_write_b32 v8, v5
; %bb.93:                               ;   in Loop: Header=BB1429_91 Depth=1
	s_or_b64 exec, exec, s[40:41]
	v_add_u32_e32 v8, s46, v28
	v_cmp_gt_u32_e64 s[38:39], s47, v8
	s_and_saveexec_b64 s[40:41], s[38:39]
; %bb.94:                               ;   in Loop: Header=BB1429_91 Depth=1
	v_add_u32_e32 v8, s50, v33
	ds_write_b32 v8, v14
; %bb.95:                               ;   in Loop: Header=BB1429_91 Depth=1
	s_or_b64 exec, exec, s[40:41]
	v_add_u32_e32 v8, s46, v31
	v_cmp_gt_u32_e64 s[38:39], s47, v8
	s_and_saveexec_b64 s[40:41], s[38:39]
; %bb.96:                               ;   in Loop: Header=BB1429_91 Depth=1
	v_add_u32_e32 v8, s50, v36
	ds_write_b32 v8, v15
; %bb.97:                               ;   in Loop: Header=BB1429_91 Depth=1
	s_or_b64 exec, exec, s[40:41]
	v_add_u32_e32 v8, s46, v35
	v_cmp_gt_u32_e64 s[38:39], s47, v8
	s_and_saveexec_b64 s[40:41], s[38:39]
; %bb.98:                               ;   in Loop: Header=BB1429_91 Depth=1
	v_add_u32_e32 v8, s50, v40
	ds_write_b32 v8, v7
; %bb.99:                               ;   in Loop: Header=BB1429_91 Depth=1
	s_or_b64 exec, exec, s[40:41]
	v_add_u32_e32 v8, s46, v38
	v_cmp_gt_u32_e64 s[38:39], s47, v8
	s_and_saveexec_b64 s[40:41], s[38:39]
; %bb.100:                              ;   in Loop: Header=BB1429_91 Depth=1
	v_add_u32_e32 v8, s50, v43
	ds_write_b32 v8, v17
; %bb.101:                              ;   in Loop: Header=BB1429_91 Depth=1
	s_or_b64 exec, exec, s[40:41]
	v_add_u32_e32 v8, s46, v42
	v_cmp_gt_u32_e64 s[38:39], s47, v8
	s_and_saveexec_b64 s[40:41], s[38:39]
; %bb.102:                              ;   in Loop: Header=BB1429_91 Depth=1
	v_add_u32_e32 v8, s50, v47
	ds_write_b32 v8, v16
; %bb.103:                              ;   in Loop: Header=BB1429_91 Depth=1
	s_or_b64 exec, exec, s[40:41]
	;; [unrolled: 8-line block ×12, first 2 shown]
	v_cmp_gt_u32_e64 s[38:39], s3, v59
	s_waitcnt lgkmcnt(0)
	s_barrier
	s_and_saveexec_b64 s[40:41], s[38:39]
	s_cbranch_execz .LBB1429_125
; %bb.124:                              ;   in Loop: Header=BB1429_91 Depth=1
	ds_read_b32 v8, v37 offset:1024
	s_waitcnt lgkmcnt(0)
	v_lshrrev_b32_e32 v60, s64, v8
	v_and_b32_e32 v62, s71, v60
	v_lshlrev_b32_e32 v60, 2, v62
	ds_read_b32 v60, v60
	v_xor_b32_e32 v63, 0x80000000, v8
	s_waitcnt lgkmcnt(0)
	v_add_u32_e32 v8, v59, v60
	v_lshl_add_u64 v[60:61], v[8:9], 2, s[54:55]
	global_store_dword v[60:61], v63, off
	scratch_store_dword off, v62, s43
.LBB1429_125:                           ;   in Loop: Header=BB1429_91 Depth=1
	s_or_b64 exec, exec, s[40:41]
	v_add_u32_e32 v8, 0x400, v59
	v_cmp_gt_u32_e64 s[38:39], s3, v8
	s_and_saveexec_b64 s[40:41], s[38:39]
	s_cbranch_execz .LBB1429_127
; %bb.126:                              ;   in Loop: Header=BB1429_91 Depth=1
	ds_read_b32 v8, v37 offset:5120
	s_add_i32 s38, s43, 4
	s_waitcnt lgkmcnt(0)
	v_lshrrev_b32_e32 v60, s64, v8
	v_and_b32_e32 v62, s71, v60
	v_lshlrev_b32_e32 v60, 2, v62
	ds_read_b32 v60, v60
	v_xor_b32_e32 v63, 0x80000000, v8
	s_waitcnt lgkmcnt(0)
	v_add3_u32 v8, v59, v60, s42
	v_lshl_add_u64 v[60:61], v[8:9], 2, s[54:55]
	global_store_dword v[60:61], v63, off
	scratch_store_dword off, v62, s38
.LBB1429_127:                           ;   in Loop: Header=BB1429_91 Depth=1
	s_or_b64 exec, exec, s[40:41]
	v_add_u32_e32 v8, 0x800, v59
	v_cmp_gt_u32_e64 s[38:39], s3, v8
	s_and_saveexec_b64 s[40:41], s[38:39]
	s_cbranch_execz .LBB1429_129
; %bb.128:                              ;   in Loop: Header=BB1429_91 Depth=1
	ds_read_b32 v8, v37 offset:9216
	s_add_i32 s38, s43, 8
	s_waitcnt lgkmcnt(0)
	v_lshrrev_b32_e32 v60, s64, v8
	v_and_b32_e32 v62, s71, v60
	v_lshlrev_b32_e32 v60, 2, v62
	ds_read_b32 v60, v60
	v_xor_b32_e32 v63, 0x80000000, v8
	s_waitcnt lgkmcnt(0)
	v_add3_u32 v8, v59, v60, s48
	v_lshl_add_u64 v[60:61], v[8:9], 2, s[54:55]
	global_store_dword v[60:61], v63, off
	scratch_store_dword off, v62, s38
.LBB1429_129:                           ;   in Loop: Header=BB1429_91 Depth=1
	s_or_b64 exec, exec, s[40:41]
	v_add_u32_e32 v8, 0xc00, v59
	v_cmp_gt_u32_e64 s[38:39], s3, v8
	s_and_saveexec_b64 s[40:41], s[38:39]
	s_cbranch_execz .LBB1429_90
; %bb.130:                              ;   in Loop: Header=BB1429_91 Depth=1
	ds_read_b32 v8, v37 offset:13312
	s_add_i32 s38, s43, 12
	s_waitcnt lgkmcnt(0)
	v_lshrrev_b32_e32 v60, s64, v8
	v_and_b32_e32 v62, s71, v60
	v_lshlrev_b32_e32 v60, 2, v62
	ds_read_b32 v60, v60
	v_xor_b32_e32 v63, 0x80000000, v8
	s_waitcnt lgkmcnt(0)
	v_add3_u32 v8, v59, v60, s49
	v_lshl_add_u64 v[60:61], v[8:9], 2, s[54:55]
	global_store_dword v[60:61], v63, off
	scratch_store_dword off, v62, s38
	s_branch .LBB1429_90
.LBB1429_131:
	s_add_u32 s38, s56, s66
	s_addc_u32 s39, s57, s67
	v_mov_b32_e32 v5, 0
	v_lshl_add_u64 v[8:9], s[38:39], 0, v[4:5]
	v_mov_b32_e32 v7, v5
	v_lshl_add_u64 v[4:5], v[8:9], 0, v[6:7]
                                        ; implicit-def: $vgpr6
	s_and_saveexec_b64 s[38:39], vcc
	s_cbranch_execz .LBB1429_147
; %bb.132:
	global_load_dword v6, v[4:5], off
	s_or_b64 exec, exec, s[38:39]
                                        ; implicit-def: $vgpr7
	s_and_saveexec_b64 s[38:39], s[4:5]
	s_cbranch_execnz .LBB1429_148
.LBB1429_133:
	s_or_b64 exec, exec, s[38:39]
                                        ; implicit-def: $vgpr8
	s_and_saveexec_b64 s[4:5], s[6:7]
	s_cbranch_execz .LBB1429_149
.LBB1429_134:
	global_load_dword v8, v[4:5], off offset:512
	s_or_b64 exec, exec, s[4:5]
                                        ; implicit-def: $vgpr9
	s_and_saveexec_b64 s[4:5], s[8:9]
	s_cbranch_execnz .LBB1429_150
.LBB1429_135:
	s_or_b64 exec, exec, s[4:5]
                                        ; implicit-def: $vgpr14
	s_and_saveexec_b64 s[4:5], s[10:11]
	s_cbranch_execz .LBB1429_151
.LBB1429_136:
	global_load_dword v14, v[4:5], off offset:1024
	s_or_b64 exec, exec, s[4:5]
                                        ; implicit-def: $vgpr15
	s_and_saveexec_b64 s[4:5], s[12:13]
	s_cbranch_execnz .LBB1429_152
.LBB1429_137:
	s_or_b64 exec, exec, s[4:5]
                                        ; implicit-def: $vgpr16
	s_and_saveexec_b64 s[4:5], s[14:15]
	s_cbranch_execz .LBB1429_153
.LBB1429_138:
	global_load_dword v16, v[4:5], off offset:1536
	s_or_b64 exec, exec, s[4:5]
                                        ; implicit-def: $vgpr17
	s_and_saveexec_b64 s[4:5], s[16:17]
	s_cbranch_execnz .LBB1429_154
.LBB1429_139:
	s_or_b64 exec, exec, s[4:5]
                                        ; implicit-def: $vgpr18
	s_and_saveexec_b64 s[4:5], s[18:19]
	s_cbranch_execz .LBB1429_155
.LBB1429_140:
	global_load_dword v18, v[4:5], off offset:2048
	s_or_b64 exec, exec, s[4:5]
                                        ; implicit-def: $vgpr19
	s_and_saveexec_b64 s[4:5], s[20:21]
	s_cbranch_execnz .LBB1429_156
.LBB1429_141:
	s_or_b64 exec, exec, s[4:5]
                                        ; implicit-def: $vgpr20
	s_and_saveexec_b64 s[4:5], s[22:23]
	s_cbranch_execz .LBB1429_157
.LBB1429_142:
	global_load_dword v20, v[4:5], off offset:2560
	s_or_b64 exec, exec, s[4:5]
                                        ; implicit-def: $vgpr21
	s_and_saveexec_b64 s[4:5], s[24:25]
	s_cbranch_execnz .LBB1429_158
.LBB1429_143:
	s_or_b64 exec, exec, s[4:5]
                                        ; implicit-def: $vgpr22
	s_and_saveexec_b64 s[4:5], s[26:27]
	s_cbranch_execz .LBB1429_159
.LBB1429_144:
	global_load_dword v22, v[4:5], off offset:3072
	s_or_b64 exec, exec, s[4:5]
                                        ; implicit-def: $vgpr23
	s_and_saveexec_b64 s[4:5], s[28:29]
	s_cbranch_execnz .LBB1429_160
.LBB1429_145:
	s_or_b64 exec, exec, s[4:5]
                                        ; implicit-def: $vgpr24
	s_and_saveexec_b64 s[4:5], s[30:31]
	s_cbranch_execz .LBB1429_161
.LBB1429_146:
	global_load_dword v24, v[4:5], off offset:3584
	s_or_b64 exec, exec, s[4:5]
                                        ; implicit-def: $vgpr25
	s_and_saveexec_b64 s[4:5], s[34:35]
	s_cbranch_execnz .LBB1429_162
	s_branch .LBB1429_163
.LBB1429_147:
	s_or_b64 exec, exec, s[38:39]
                                        ; implicit-def: $vgpr7
	s_and_saveexec_b64 s[38:39], s[4:5]
	s_cbranch_execz .LBB1429_133
.LBB1429_148:
	global_load_dword v7, v[4:5], off offset:256
	s_or_b64 exec, exec, s[38:39]
                                        ; implicit-def: $vgpr8
	s_and_saveexec_b64 s[4:5], s[6:7]
	s_cbranch_execnz .LBB1429_134
.LBB1429_149:
	s_or_b64 exec, exec, s[4:5]
                                        ; implicit-def: $vgpr9
	s_and_saveexec_b64 s[4:5], s[8:9]
	s_cbranch_execz .LBB1429_135
.LBB1429_150:
	global_load_dword v9, v[4:5], off offset:768
	s_or_b64 exec, exec, s[4:5]
                                        ; implicit-def: $vgpr14
	s_and_saveexec_b64 s[4:5], s[10:11]
	s_cbranch_execnz .LBB1429_136
.LBB1429_151:
	s_or_b64 exec, exec, s[4:5]
                                        ; implicit-def: $vgpr15
	s_and_saveexec_b64 s[4:5], s[12:13]
	s_cbranch_execz .LBB1429_137
.LBB1429_152:
	global_load_dword v15, v[4:5], off offset:1280
	s_or_b64 exec, exec, s[4:5]
                                        ; implicit-def: $vgpr16
	s_and_saveexec_b64 s[4:5], s[14:15]
	s_cbranch_execnz .LBB1429_138
.LBB1429_153:
	s_or_b64 exec, exec, s[4:5]
                                        ; implicit-def: $vgpr17
	s_and_saveexec_b64 s[4:5], s[16:17]
	s_cbranch_execz .LBB1429_139
.LBB1429_154:
	global_load_dword v17, v[4:5], off offset:1792
	s_or_b64 exec, exec, s[4:5]
                                        ; implicit-def: $vgpr18
	s_and_saveexec_b64 s[4:5], s[18:19]
	s_cbranch_execnz .LBB1429_140
.LBB1429_155:
	s_or_b64 exec, exec, s[4:5]
                                        ; implicit-def: $vgpr19
	s_and_saveexec_b64 s[4:5], s[20:21]
	s_cbranch_execz .LBB1429_141
.LBB1429_156:
	global_load_dword v19, v[4:5], off offset:2304
	s_or_b64 exec, exec, s[4:5]
                                        ; implicit-def: $vgpr20
	s_and_saveexec_b64 s[4:5], s[22:23]
	s_cbranch_execnz .LBB1429_142
.LBB1429_157:
	s_or_b64 exec, exec, s[4:5]
                                        ; implicit-def: $vgpr21
	s_and_saveexec_b64 s[4:5], s[24:25]
	s_cbranch_execz .LBB1429_143
.LBB1429_158:
	global_load_dword v21, v[4:5], off offset:2816
	s_or_b64 exec, exec, s[4:5]
                                        ; implicit-def: $vgpr22
	s_and_saveexec_b64 s[4:5], s[26:27]
	s_cbranch_execnz .LBB1429_144
.LBB1429_159:
	s_or_b64 exec, exec, s[4:5]
                                        ; implicit-def: $vgpr23
	s_and_saveexec_b64 s[4:5], s[28:29]
	s_cbranch_execz .LBB1429_145
.LBB1429_160:
	global_load_dword v23, v[4:5], off offset:3328
	s_or_b64 exec, exec, s[4:5]
                                        ; implicit-def: $vgpr24
	s_and_saveexec_b64 s[4:5], s[30:31]
	s_cbranch_execnz .LBB1429_146
.LBB1429_161:
	s_or_b64 exec, exec, s[4:5]
                                        ; implicit-def: $vgpr25
	s_and_saveexec_b64 s[4:5], s[34:35]
	s_cbranch_execz .LBB1429_163
.LBB1429_162:
	global_load_dword v25, v[4:5], off offset:3840
.LBB1429_163:
	s_or_b64 exec, exec, s[4:5]
	s_mov_b32 s6, 0
	s_mov_b32 s7, 0
	s_movk_i32 s8, 0x1000
	v_mov_b32_e32 v5, 0
	s_movk_i32 s9, 0x400
	s_movk_i32 s10, 0x800
	;; [unrolled: 1-line block ×3, first 2 shown]
	s_mov_b32 s12, 0
	v_mov_b32_e32 v26, v2
	s_branch .LBB1429_165
.LBB1429_164:                           ;   in Loop: Header=BB1429_165 Depth=1
	s_or_b64 exec, exec, s[4:5]
	s_addk_i32 s12, 0xc000
	s_addk_i32 s7, 0xf000
	s_add_i32 s6, s6, 16
	s_cmp_eq_u32 s12, 0xffff0000
	v_add_u32_e32 v26, 0x1000, v26
	s_barrier
	s_cbranch_scc1 .LBB1429_205
.LBB1429_165:                           ; =>This Inner Loop Header: Depth=1
	v_add_u32_e32 v4, s7, v10
	v_cmp_gt_u32_e32 vcc, s8, v4
	s_and_saveexec_b64 s[4:5], vcc
	s_cbranch_execz .LBB1429_167
; %bb.166:                              ;   in Loop: Header=BB1429_165 Depth=1
	v_add_u32_e32 v4, s12, v30
	s_waitcnt vmcnt(0)
	ds_write_b32 v4, v6
.LBB1429_167:                           ;   in Loop: Header=BB1429_165 Depth=1
	s_or_b64 exec, exec, s[4:5]
	v_add_u32_e32 v4, s7, v28
	v_cmp_gt_u32_e32 vcc, s8, v4
	s_and_saveexec_b64 s[4:5], vcc
	s_cbranch_execz .LBB1429_169
; %bb.168:                              ;   in Loop: Header=BB1429_165 Depth=1
	v_add_u32_e32 v4, s12, v33
	s_waitcnt vmcnt(0)
	ds_write_b32 v4, v7
.LBB1429_169:                           ;   in Loop: Header=BB1429_165 Depth=1
	s_or_b64 exec, exec, s[4:5]
	;; [unrolled: 10-line block ×16, first 2 shown]
	v_cmp_gt_u32_e32 vcc, s3, v26
	s_waitcnt lgkmcnt(0)
	s_barrier
	s_and_saveexec_b64 s[4:5], vcc
	s_cbranch_execz .LBB1429_199
; %bb.198:                              ;   in Loop: Header=BB1429_165 Depth=1
	scratch_load_dword v4, off, s6
	s_waitcnt vmcnt(0)
	v_lshlrev_b32_e32 v4, 2, v4
	ds_read_b32 v4, v4
	ds_read_b32 v27, v37 offset:1024
	s_waitcnt lgkmcnt(1)
	v_add_u32_e32 v4, v26, v4
	v_lshl_add_u64 v[60:61], v[4:5], 2, s[58:59]
	s_waitcnt lgkmcnt(0)
	global_store_dword v[60:61], v27, off
.LBB1429_199:                           ;   in Loop: Header=BB1429_165 Depth=1
	s_or_b64 exec, exec, s[4:5]
	v_add_u32_e32 v4, 0x400, v26
	v_cmp_gt_u32_e32 vcc, s3, v4
	s_and_saveexec_b64 s[4:5], vcc
	s_cbranch_execz .LBB1429_201
; %bb.200:                              ;   in Loop: Header=BB1429_165 Depth=1
	s_add_i32 s13, s6, 4
	scratch_load_dword v4, off, s13
	s_waitcnt vmcnt(0)
	v_lshlrev_b32_e32 v4, 2, v4
	ds_read_b32 v4, v4
	ds_read_b32 v27, v37 offset:5120
	s_waitcnt lgkmcnt(1)
	v_add3_u32 v4, v26, v4, s9
	v_lshl_add_u64 v[60:61], v[4:5], 2, s[58:59]
	s_waitcnt lgkmcnt(0)
	global_store_dword v[60:61], v27, off
.LBB1429_201:                           ;   in Loop: Header=BB1429_165 Depth=1
	s_or_b64 exec, exec, s[4:5]
	v_add_u32_e32 v4, 0x800, v26
	v_cmp_gt_u32_e32 vcc, s3, v4
	s_and_saveexec_b64 s[4:5], vcc
	s_cbranch_execz .LBB1429_203
; %bb.202:                              ;   in Loop: Header=BB1429_165 Depth=1
	s_add_i32 s13, s6, 8
	scratch_load_dword v4, off, s13
	s_waitcnt vmcnt(0)
	v_lshlrev_b32_e32 v4, 2, v4
	ds_read_b32 v4, v4
	ds_read_b32 v27, v37 offset:9216
	s_waitcnt lgkmcnt(1)
	v_add3_u32 v4, v26, v4, s10
	v_lshl_add_u64 v[60:61], v[4:5], 2, s[58:59]
	s_waitcnt lgkmcnt(0)
	global_store_dword v[60:61], v27, off
.LBB1429_203:                           ;   in Loop: Header=BB1429_165 Depth=1
	s_or_b64 exec, exec, s[4:5]
	v_add_u32_e32 v4, 0xc00, v26
	v_cmp_gt_u32_e32 vcc, s3, v4
	s_and_saveexec_b64 s[4:5], vcc
	s_cbranch_execz .LBB1429_164
; %bb.204:                              ;   in Loop: Header=BB1429_165 Depth=1
	s_add_i32 s13, s6, 12
	scratch_load_dword v4, off, s13
	s_waitcnt vmcnt(0)
	v_lshlrev_b32_e32 v4, 2, v4
	ds_read_b32 v4, v4
	ds_read_b32 v27, v37 offset:13312
	s_waitcnt lgkmcnt(1)
	v_add3_u32 v4, v26, v4, s11
	v_lshl_add_u64 v[60:61], v[4:5], 2, s[58:59]
	s_waitcnt lgkmcnt(0)
	global_store_dword v[60:61], v27, off
	s_branch .LBB1429_164
.LBB1429_205:
	s_add_i32 s70, s70, -1
	s_cmp_eq_u32 s33, s70
	s_cselect_b64 s[4:5], -1, 0
	s_xor_b64 s[6:7], s[36:37], -1
	s_and_b64 s[6:7], s[6:7], s[4:5]
	s_and_saveexec_b64 s[4:5], s[6:7]
	s_cbranch_execz .LBB1429_207
; %bb.206:
	ds_read_b32 v4, v37
	s_waitcnt lgkmcnt(0)
	v_add3_u32 v4, v32, v34, v4
	global_store_dword v37, v4, s[62:63]
.LBB1429_207:
	s_or_b64 exec, exec, s[4:5]
	s_mov_b64 s[4:5], 0
.LBB1429_208:
	s_and_b64 vcc, exec, s[4:5]
	s_cbranch_vccz .LBB1429_331
; %bb.209:
	s_lshl_b32 s4, s33, 14
	s_mov_b32 s5, 0
	s_load_dword s12, s[0:1], 0x58
	s_load_dword s3, s[0:1], 0x64
	s_lshl_b64 s[8:9], s[4:5], 2
	v_mbcnt_hi_u32_b32 v10, -1, v3
	s_add_u32 s4, s52, s8
	v_and_b32_e32 v3, 63, v10
	s_waitcnt vmcnt(0)
	v_and_b32_e32 v6, 0x3c00, v1
	v_mov_b32_e32 v1, 0
	s_addc_u32 s5, s53, s9
	v_lshlrev_b32_e32 v4, 2, v3
	v_mov_b32_e32 v5, v1
	v_lshl_add_u64 v[8:9], s[4:5], 0, v[4:5]
	v_lshlrev_b32_e32 v6, 2, v6
	v_mov_b32_e32 v7, v1
	s_add_u32 s0, s0, 0x58
	v_lshl_add_u64 v[8:9], v[8:9], 0, v[6:7]
	s_addc_u32 s1, s1, 0
	s_waitcnt lgkmcnt(0)
	s_lshr_b32 s3, s3, 16
	global_load_dword v3, v[8:9], off
	s_cmp_lt_u32 s2, s12
	s_cselect_b32 s2, 12, 18
	s_add_u32 s0, s0, s2
	s_addc_u32 s1, s1, 0
	global_load_ushort v13, v1, s[0:1]
	v_mul_u32_u24_e32 v11, 20, v2
	ds_write2_b32 v11, v1, v1 offset0:16 offset1:17
	ds_write2_b32 v11, v1, v1 offset0:18 offset1:19
	ds_write_b32 v11, v1 offset:80
	global_load_dword v5, v[8:9], off offset:256
	global_load_dword v7, v[8:9], off offset:512
	;; [unrolled: 1-line block ×15, first 2 shown]
	v_bfe_u32 v14, v0, 10, 10
	v_bfe_u32 v0, v0, 20, 10
	v_mad_u32_u24 v8, v0, s3, v14
	s_lshl_b32 s0, -1, s65
	v_mov_b32_e32 v16, v1
	v_mov_b32_e32 v26, v1
	s_not_b32 s13, s0
	v_mov_b32_e32 v20, v1
	s_movk_i32 s6, 0x44
	s_waitcnt lgkmcnt(0)
	s_barrier
	s_waitcnt vmcnt(16)
	; wave barrier
	v_xor_b32_e32 v3, 0x80000000, v3
	v_lshrrev_b32_e32 v0, s64, v3
	v_bitop3_b32 v14, v0, s0, v0 bitop3:0x30
	v_and_b32_e32 v0, 1, v14
	v_lshlrev_b32_e32 v17, 30, v14
	v_lshlrev_b32_e32 v21, 29, v14
	;; [unrolled: 1-line block ×3, first 2 shown]
	s_waitcnt vmcnt(15)
	v_mad_u64_u32 v[8:9], s[0:1], v8, v13, v[2:3]
	v_lshl_add_u64 v[32:33], v[0:1], 0, -1
	v_cmp_ne_u32_e32 vcc, 0, v0
	v_not_b32_e32 v0, v17
	v_cmp_gt_i64_e64 s[0:1], 0, v[16:17]
	v_not_b32_e32 v9, v21
	v_cmp_gt_i64_e64 s[4:5], 0, v[26:27]
	v_not_b32_e32 v13, v27
	v_lshrrev_b32_e32 v27, 6, v8
	v_xor_b32_e32 v8, vcc_hi, v33
	v_ashrrev_i32_e32 v0, 31, v0
	v_cmp_gt_i64_e64 s[2:3], 0, v[20:21]
	v_xor_b32_e32 v16, vcc_lo, v32
	v_ashrrev_i32_e32 v9, 31, v9
	v_and_b32_e32 v8, exec_hi, v8
	v_xor_b32_e32 v17, s1, v0
	v_ashrrev_i32_e32 v13, 31, v13
	v_and_b32_e32 v16, exec_lo, v16
	v_xor_b32_e32 v0, s0, v0
	v_xor_b32_e32 v20, s3, v9
	v_and_b32_e32 v8, v8, v17
	v_xor_b32_e32 v9, s2, v9
	v_xor_b32_e32 v21, s5, v13
	v_and_b32_e32 v0, v16, v0
	v_and_b32_e32 v8, v8, v20
	;; [unrolled: 1-line block ×4, first 2 shown]
	v_lshlrev_b32_e32 v9, 27, v14
	v_mov_b32_e32 v8, v1
	v_cmp_gt_i64_e32 vcc, 0, v[8:9]
	v_not_b32_e32 v8, v9
	v_xor_b32_e32 v13, s4, v13
	v_ashrrev_i32_e32 v8, 31, v8
	v_and_b32_e32 v0, v0, v13
	v_xor_b32_e32 v9, vcc_hi, v8
	v_xor_b32_e32 v8, vcc_lo, v8
	v_and_b32_e32 v13, v16, v9
	v_and_b32_e32 v0, v0, v8
	v_lshlrev_b32_e32 v9, 26, v14
	v_mov_b32_e32 v8, v1
	v_cmp_gt_i64_e32 vcc, 0, v[8:9]
	v_not_b32_e32 v8, v9
	v_ashrrev_i32_e32 v8, 31, v8
	v_xor_b32_e32 v9, vcc_hi, v8
	v_xor_b32_e32 v8, vcc_lo, v8
	v_and_b32_e32 v13, v13, v9
	v_and_b32_e32 v0, v0, v8
	v_lshlrev_b32_e32 v9, 25, v14
	v_mov_b32_e32 v8, v1
	v_cmp_gt_i64_e32 vcc, 0, v[8:9]
	v_not_b32_e32 v8, v9
	v_ashrrev_i32_e32 v8, 31, v8
	;; [unrolled: 9-line block ×3, first 2 shown]
	v_xor_b32_e32 v9, vcc_hi, v8
	v_xor_b32_e32 v8, vcc_lo, v8
	v_and_b32_e32 v8, v0, v8
	v_and_b32_e32 v9, v13, v9
	v_mbcnt_lo_u32_b32 v0, v8, 0
	v_mul_lo_u32 v18, v14, s6
	v_mbcnt_hi_u32_b32 v14, v9, v0
	v_cmp_eq_u32_e32 vcc, 0, v14
	v_cmp_ne_u64_e64 s[0:1], 0, v[8:9]
	v_lshl_add_u32 v18, v27, 2, v18
	s_and_b64 s[2:3], s[0:1], vcc
	s_and_saveexec_b64 s[0:1], s[2:3]
; %bb.210:
	v_bcnt_u32_b32 v0, v8, 0
	v_bcnt_u32_b32 v0, v9, v0
	ds_write_b32 v18, v0 offset:64
; %bb.211:
	s_or_b64 exec, exec, s[0:1]
	s_waitcnt vmcnt(14)
	v_xor_b32_e32 v5, 0x80000000, v5
	v_lshrrev_b32_e32 v0, s64, v5
	v_and_b32_e32 v16, s13, v0
	v_mul_lo_u32 v0, v16, s6
	v_lshl_add_u32 v21, v27, 2, v0
	v_and_b32_e32 v0, 1, v16
	v_lshl_add_u64 v[8:9], v[0:1], 0, -1
	v_cmp_ne_u32_e32 vcc, 0, v0
	; wave barrier
	s_nop 1
	v_xor_b32_e32 v8, vcc_lo, v8
	v_xor_b32_e32 v0, vcc_hi, v9
	v_and_b32_e32 v17, exec_lo, v8
	v_lshlrev_b32_e32 v9, 30, v16
	v_mov_b32_e32 v8, v1
	v_cmp_gt_i64_e32 vcc, 0, v[8:9]
	v_not_b32_e32 v8, v9
	v_ashrrev_i32_e32 v8, 31, v8
	v_and_b32_e32 v0, exec_hi, v0
	v_xor_b32_e32 v9, vcc_hi, v8
	v_xor_b32_e32 v8, vcc_lo, v8
	v_and_b32_e32 v0, v0, v9
	v_and_b32_e32 v17, v17, v8
	v_lshlrev_b32_e32 v9, 29, v16
	v_mov_b32_e32 v8, v1
	v_cmp_gt_i64_e32 vcc, 0, v[8:9]
	v_not_b32_e32 v8, v9
	v_ashrrev_i32_e32 v8, 31, v8
	v_xor_b32_e32 v9, vcc_hi, v8
	v_xor_b32_e32 v8, vcc_lo, v8
	v_and_b32_e32 v0, v0, v9
	v_and_b32_e32 v17, v17, v8
	v_lshlrev_b32_e32 v9, 28, v16
	v_mov_b32_e32 v8, v1
	v_cmp_gt_i64_e32 vcc, 0, v[8:9]
	v_not_b32_e32 v8, v9
	v_ashrrev_i32_e32 v8, 31, v8
	;; [unrolled: 9-line block ×5, first 2 shown]
	v_xor_b32_e32 v9, vcc_hi, v8
	v_xor_b32_e32 v8, vcc_lo, v8
	v_and_b32_e32 v0, v0, v9
	v_lshlrev_b32_e32 v9, 24, v16
	v_and_b32_e32 v17, v17, v8
	v_mov_b32_e32 v8, v1
	v_not_b32_e32 v1, v9
	v_cmp_gt_i64_e32 vcc, 0, v[8:9]
	v_ashrrev_i32_e32 v1, 31, v1
	ds_read_b32 v13, v21 offset:64
	v_xor_b32_e32 v8, vcc_hi, v1
	v_xor_b32_e32 v9, vcc_lo, v1
	v_and_b32_e32 v1, v0, v8
	v_and_b32_e32 v0, v17, v9
	v_mbcnt_lo_u32_b32 v8, v0, 0
	v_mbcnt_hi_u32_b32 v16, v1, v8
	v_cmp_eq_u32_e32 vcc, 0, v16
	v_cmp_ne_u64_e64 s[0:1], 0, v[0:1]
	s_and_b64 s[2:3], s[0:1], vcc
	; wave barrier
	s_and_saveexec_b64 s[0:1], s[2:3]
	s_cbranch_execz .LBB1429_213
; %bb.212:
	v_bcnt_u32_b32 v0, v0, 0
	v_bcnt_u32_b32 v0, v1, v0
	s_waitcnt lgkmcnt(0)
	v_add_u32_e32 v0, v13, v0
	ds_write_b32 v21, v0 offset:64
.LBB1429_213:
	s_or_b64 exec, exec, s[0:1]
	s_waitcnt vmcnt(13)
	v_xor_b32_e32 v7, 0x80000000, v7
	v_lshrrev_b32_e32 v0, s64, v7
	v_and_b32_e32 v20, s13, v0
	s_movk_i32 s2, 0x44
	v_mul_lo_u32 v0, v20, s2
	v_lshl_add_u32 v26, v27, 2, v0
	v_and_b32_e32 v0, 1, v20
	v_mov_b32_e32 v1, 0
	v_lshl_add_u64 v[8:9], v[0:1], 0, -1
	v_cmp_ne_u32_e32 vcc, 0, v0
	; wave barrier
	s_nop 1
	v_xor_b32_e32 v8, vcc_lo, v8
	v_xor_b32_e32 v0, vcc_hi, v9
	v_and_b32_e32 v22, exec_lo, v8
	v_lshlrev_b32_e32 v9, 30, v20
	v_mov_b32_e32 v8, v1
	v_cmp_gt_i64_e32 vcc, 0, v[8:9]
	v_not_b32_e32 v8, v9
	v_ashrrev_i32_e32 v8, 31, v8
	v_and_b32_e32 v0, exec_hi, v0
	v_xor_b32_e32 v9, vcc_hi, v8
	v_xor_b32_e32 v8, vcc_lo, v8
	v_and_b32_e32 v0, v0, v9
	v_and_b32_e32 v22, v22, v8
	v_lshlrev_b32_e32 v9, 29, v20
	v_mov_b32_e32 v8, v1
	v_cmp_gt_i64_e32 vcc, 0, v[8:9]
	v_not_b32_e32 v8, v9
	v_ashrrev_i32_e32 v8, 31, v8
	v_xor_b32_e32 v9, vcc_hi, v8
	v_xor_b32_e32 v8, vcc_lo, v8
	v_and_b32_e32 v0, v0, v9
	v_and_b32_e32 v22, v22, v8
	v_lshlrev_b32_e32 v9, 28, v20
	v_mov_b32_e32 v8, v1
	v_cmp_gt_i64_e32 vcc, 0, v[8:9]
	v_not_b32_e32 v8, v9
	v_ashrrev_i32_e32 v8, 31, v8
	;; [unrolled: 9-line block ×6, first 2 shown]
	v_xor_b32_e32 v9, vcc_hi, v8
	v_xor_b32_e32 v8, vcc_lo, v8
	ds_read_b32 v17, v26 offset:64
	v_and_b32_e32 v8, v22, v8
	v_and_b32_e32 v9, v0, v9
	v_mbcnt_lo_u32_b32 v0, v8, 0
	v_mbcnt_hi_u32_b32 v20, v9, v0
	v_cmp_eq_u32_e32 vcc, 0, v20
	v_cmp_ne_u64_e64 s[0:1], 0, v[8:9]
	s_and_b64 s[4:5], s[0:1], vcc
	; wave barrier
	s_and_saveexec_b64 s[0:1], s[4:5]
	s_cbranch_execz .LBB1429_215
; %bb.214:
	v_bcnt_u32_b32 v0, v8, 0
	v_bcnt_u32_b32 v0, v9, v0
	s_waitcnt lgkmcnt(0)
	v_add_u32_e32 v0, v17, v0
	ds_write_b32 v26, v0 offset:64
.LBB1429_215:
	s_or_b64 exec, exec, s[0:1]
	s_waitcnt vmcnt(12)
	v_xor_b32_e32 v12, 0x80000000, v12
	v_lshrrev_b32_e32 v0, s64, v12
	v_and_b32_e32 v24, s13, v0
	v_mul_lo_u32 v0, v24, s2
	v_lshl_add_u32 v32, v27, 2, v0
	v_and_b32_e32 v0, 1, v24
	v_lshl_add_u64 v[8:9], v[0:1], 0, -1
	v_cmp_ne_u32_e32 vcc, 0, v0
	; wave barrier
	s_nop 1
	v_xor_b32_e32 v8, vcc_lo, v8
	v_xor_b32_e32 v0, vcc_hi, v9
	v_and_b32_e32 v28, exec_lo, v8
	v_lshlrev_b32_e32 v9, 30, v24
	v_mov_b32_e32 v8, v1
	v_cmp_gt_i64_e32 vcc, 0, v[8:9]
	v_not_b32_e32 v8, v9
	v_ashrrev_i32_e32 v8, 31, v8
	v_and_b32_e32 v0, exec_hi, v0
	v_xor_b32_e32 v9, vcc_hi, v8
	v_xor_b32_e32 v8, vcc_lo, v8
	v_and_b32_e32 v0, v0, v9
	v_and_b32_e32 v28, v28, v8
	v_lshlrev_b32_e32 v9, 29, v24
	v_mov_b32_e32 v8, v1
	v_cmp_gt_i64_e32 vcc, 0, v[8:9]
	v_not_b32_e32 v8, v9
	v_ashrrev_i32_e32 v8, 31, v8
	v_xor_b32_e32 v9, vcc_hi, v8
	v_xor_b32_e32 v8, vcc_lo, v8
	v_and_b32_e32 v0, v0, v9
	v_and_b32_e32 v28, v28, v8
	v_lshlrev_b32_e32 v9, 28, v24
	v_mov_b32_e32 v8, v1
	v_cmp_gt_i64_e32 vcc, 0, v[8:9]
	v_not_b32_e32 v8, v9
	v_ashrrev_i32_e32 v8, 31, v8
	;; [unrolled: 9-line block ×5, first 2 shown]
	v_xor_b32_e32 v9, vcc_hi, v8
	v_xor_b32_e32 v8, vcc_lo, v8
	v_and_b32_e32 v0, v0, v9
	v_lshlrev_b32_e32 v9, 24, v24
	v_and_b32_e32 v28, v28, v8
	v_mov_b32_e32 v8, v1
	v_not_b32_e32 v1, v9
	v_cmp_gt_i64_e32 vcc, 0, v[8:9]
	v_ashrrev_i32_e32 v1, 31, v1
	ds_read_b32 v22, v32 offset:64
	v_xor_b32_e32 v8, vcc_hi, v1
	v_xor_b32_e32 v9, vcc_lo, v1
	v_and_b32_e32 v1, v0, v8
	v_and_b32_e32 v0, v28, v9
	v_mbcnt_lo_u32_b32 v8, v0, 0
	v_mbcnt_hi_u32_b32 v24, v1, v8
	v_cmp_eq_u32_e32 vcc, 0, v24
	v_cmp_ne_u64_e64 s[0:1], 0, v[0:1]
	s_and_b64 s[2:3], s[0:1], vcc
	; wave barrier
	s_and_saveexec_b64 s[0:1], s[2:3]
	s_cbranch_execz .LBB1429_217
; %bb.216:
	v_bcnt_u32_b32 v0, v0, 0
	v_bcnt_u32_b32 v0, v1, v0
	s_waitcnt lgkmcnt(0)
	v_add_u32_e32 v0, v22, v0
	ds_write_b32 v32, v0 offset:64
.LBB1429_217:
	s_or_b64 exec, exec, s[0:1]
	s_waitcnt vmcnt(11)
	v_xor_b32_e32 v15, 0x80000000, v15
	v_lshrrev_b32_e32 v0, s64, v15
	v_and_b32_e32 v30, s13, v0
	s_movk_i32 s2, 0x44
	v_mul_lo_u32 v0, v30, s2
	v_lshl_add_u32 v37, v27, 2, v0
	v_and_b32_e32 v0, 1, v30
	v_mov_b32_e32 v1, 0
	v_lshl_add_u64 v[8:9], v[0:1], 0, -1
	v_cmp_ne_u32_e32 vcc, 0, v0
	; wave barrier
	s_nop 1
	v_xor_b32_e32 v8, vcc_lo, v8
	v_xor_b32_e32 v0, vcc_hi, v9
	v_and_b32_e32 v33, exec_lo, v8
	v_lshlrev_b32_e32 v9, 30, v30
	v_mov_b32_e32 v8, v1
	v_cmp_gt_i64_e32 vcc, 0, v[8:9]
	v_not_b32_e32 v8, v9
	v_ashrrev_i32_e32 v8, 31, v8
	v_and_b32_e32 v0, exec_hi, v0
	v_xor_b32_e32 v9, vcc_hi, v8
	v_xor_b32_e32 v8, vcc_lo, v8
	v_and_b32_e32 v0, v0, v9
	v_and_b32_e32 v33, v33, v8
	v_lshlrev_b32_e32 v9, 29, v30
	v_mov_b32_e32 v8, v1
	v_cmp_gt_i64_e32 vcc, 0, v[8:9]
	v_not_b32_e32 v8, v9
	v_ashrrev_i32_e32 v8, 31, v8
	v_xor_b32_e32 v9, vcc_hi, v8
	v_xor_b32_e32 v8, vcc_lo, v8
	v_and_b32_e32 v0, v0, v9
	v_and_b32_e32 v33, v33, v8
	v_lshlrev_b32_e32 v9, 28, v30
	v_mov_b32_e32 v8, v1
	v_cmp_gt_i64_e32 vcc, 0, v[8:9]
	v_not_b32_e32 v8, v9
	v_ashrrev_i32_e32 v8, 31, v8
	;; [unrolled: 9-line block ×6, first 2 shown]
	v_xor_b32_e32 v9, vcc_hi, v8
	v_xor_b32_e32 v8, vcc_lo, v8
	ds_read_b32 v28, v37 offset:64
	v_and_b32_e32 v8, v33, v8
	v_and_b32_e32 v9, v0, v9
	v_mbcnt_lo_u32_b32 v0, v8, 0
	v_mbcnt_hi_u32_b32 v30, v9, v0
	v_cmp_eq_u32_e32 vcc, 0, v30
	v_cmp_ne_u64_e64 s[0:1], 0, v[8:9]
	s_and_b64 s[4:5], s[0:1], vcc
	; wave barrier
	s_and_saveexec_b64 s[0:1], s[4:5]
	s_cbranch_execz .LBB1429_219
; %bb.218:
	v_bcnt_u32_b32 v0, v8, 0
	v_bcnt_u32_b32 v0, v9, v0
	s_waitcnt lgkmcnt(0)
	v_add_u32_e32 v0, v28, v0
	ds_write_b32 v37, v0 offset:64
.LBB1429_219:
	s_or_b64 exec, exec, s[0:1]
	s_waitcnt vmcnt(10)
	v_xor_b32_e32 v19, 0x80000000, v19
	v_lshrrev_b32_e32 v0, s64, v19
	v_and_b32_e32 v35, s13, v0
	v_mul_lo_u32 v0, v35, s2
	v_lshl_add_u32 v41, v27, 2, v0
	v_and_b32_e32 v0, 1, v35
	v_lshl_add_u64 v[8:9], v[0:1], 0, -1
	v_cmp_ne_u32_e32 vcc, 0, v0
	; wave barrier
	s_nop 1
	v_xor_b32_e32 v8, vcc_lo, v8
	v_xor_b32_e32 v0, vcc_hi, v9
	v_and_b32_e32 v38, exec_lo, v8
	v_lshlrev_b32_e32 v9, 30, v35
	v_mov_b32_e32 v8, v1
	v_cmp_gt_i64_e32 vcc, 0, v[8:9]
	v_not_b32_e32 v8, v9
	v_ashrrev_i32_e32 v8, 31, v8
	v_and_b32_e32 v0, exec_hi, v0
	v_xor_b32_e32 v9, vcc_hi, v8
	v_xor_b32_e32 v8, vcc_lo, v8
	v_and_b32_e32 v0, v0, v9
	v_and_b32_e32 v38, v38, v8
	v_lshlrev_b32_e32 v9, 29, v35
	v_mov_b32_e32 v8, v1
	v_cmp_gt_i64_e32 vcc, 0, v[8:9]
	v_not_b32_e32 v8, v9
	v_ashrrev_i32_e32 v8, 31, v8
	v_xor_b32_e32 v9, vcc_hi, v8
	v_xor_b32_e32 v8, vcc_lo, v8
	v_and_b32_e32 v0, v0, v9
	v_and_b32_e32 v38, v38, v8
	v_lshlrev_b32_e32 v9, 28, v35
	v_mov_b32_e32 v8, v1
	v_cmp_gt_i64_e32 vcc, 0, v[8:9]
	v_not_b32_e32 v8, v9
	v_ashrrev_i32_e32 v8, 31, v8
	v_xor_b32_e32 v9, vcc_hi, v8
	v_xor_b32_e32 v8, vcc_lo, v8
	v_and_b32_e32 v0, v0, v9
	v_and_b32_e32 v38, v38, v8
	v_lshlrev_b32_e32 v9, 27, v35
	v_mov_b32_e32 v8, v1
	v_cmp_gt_i64_e32 vcc, 0, v[8:9]
	v_not_b32_e32 v8, v9
	v_ashrrev_i32_e32 v8, 31, v8
	v_xor_b32_e32 v9, vcc_hi, v8
	v_xor_b32_e32 v8, vcc_lo, v8
	v_and_b32_e32 v0, v0, v9
	v_and_b32_e32 v38, v38, v8
	v_lshlrev_b32_e32 v9, 26, v35
	v_mov_b32_e32 v8, v1
	v_cmp_gt_i64_e32 vcc, 0, v[8:9]
	v_not_b32_e32 v8, v9
	v_ashrrev_i32_e32 v8, 31, v8
	v_xor_b32_e32 v9, vcc_hi, v8
	v_xor_b32_e32 v8, vcc_lo, v8
	v_and_b32_e32 v0, v0, v9
	v_and_b32_e32 v38, v38, v8
	v_lshlrev_b32_e32 v9, 25, v35
	v_mov_b32_e32 v8, v1
	v_cmp_gt_i64_e32 vcc, 0, v[8:9]
	v_not_b32_e32 v8, v9
	v_ashrrev_i32_e32 v8, 31, v8
	v_xor_b32_e32 v9, vcc_hi, v8
	v_xor_b32_e32 v8, vcc_lo, v8
	v_and_b32_e32 v0, v0, v9
	v_lshlrev_b32_e32 v9, 24, v35
	v_and_b32_e32 v38, v38, v8
	v_mov_b32_e32 v8, v1
	v_not_b32_e32 v1, v9
	v_cmp_gt_i64_e32 vcc, 0, v[8:9]
	v_ashrrev_i32_e32 v1, 31, v1
	ds_read_b32 v33, v41 offset:64
	v_xor_b32_e32 v8, vcc_hi, v1
	v_xor_b32_e32 v9, vcc_lo, v1
	v_and_b32_e32 v1, v0, v8
	v_and_b32_e32 v0, v38, v9
	v_mbcnt_lo_u32_b32 v8, v0, 0
	v_mbcnt_hi_u32_b32 v35, v1, v8
	v_cmp_eq_u32_e32 vcc, 0, v35
	v_cmp_ne_u64_e64 s[0:1], 0, v[0:1]
	s_and_b64 s[2:3], s[0:1], vcc
	; wave barrier
	s_and_saveexec_b64 s[0:1], s[2:3]
	s_cbranch_execz .LBB1429_221
; %bb.220:
	v_bcnt_u32_b32 v0, v0, 0
	v_bcnt_u32_b32 v0, v1, v0
	s_waitcnt lgkmcnt(0)
	v_add_u32_e32 v0, v33, v0
	ds_write_b32 v41, v0 offset:64
.LBB1429_221:
	s_or_b64 exec, exec, s[0:1]
	s_waitcnt vmcnt(9)
	v_xor_b32_e32 v23, 0x80000000, v23
	v_lshrrev_b32_e32 v0, s64, v23
	v_and_b32_e32 v42, s13, v0
	s_movk_i32 s2, 0x44
	v_mul_lo_u32 v0, v42, s2
	v_lshl_add_u32 v46, v27, 2, v0
	v_and_b32_e32 v0, 1, v42
	v_mov_b32_e32 v1, 0
	v_lshl_add_u64 v[8:9], v[0:1], 0, -1
	v_cmp_ne_u32_e32 vcc, 0, v0
	; wave barrier
	s_nop 1
	v_xor_b32_e32 v8, vcc_lo, v8
	v_xor_b32_e32 v0, vcc_hi, v9
	v_and_b32_e32 v43, exec_lo, v8
	v_lshlrev_b32_e32 v9, 30, v42
	v_mov_b32_e32 v8, v1
	v_cmp_gt_i64_e32 vcc, 0, v[8:9]
	v_not_b32_e32 v8, v9
	v_ashrrev_i32_e32 v8, 31, v8
	v_and_b32_e32 v0, exec_hi, v0
	v_xor_b32_e32 v9, vcc_hi, v8
	v_xor_b32_e32 v8, vcc_lo, v8
	v_and_b32_e32 v0, v0, v9
	v_and_b32_e32 v43, v43, v8
	v_lshlrev_b32_e32 v9, 29, v42
	v_mov_b32_e32 v8, v1
	v_cmp_gt_i64_e32 vcc, 0, v[8:9]
	v_not_b32_e32 v8, v9
	v_ashrrev_i32_e32 v8, 31, v8
	v_xor_b32_e32 v9, vcc_hi, v8
	v_xor_b32_e32 v8, vcc_lo, v8
	v_and_b32_e32 v0, v0, v9
	v_and_b32_e32 v43, v43, v8
	v_lshlrev_b32_e32 v9, 28, v42
	v_mov_b32_e32 v8, v1
	v_cmp_gt_i64_e32 vcc, 0, v[8:9]
	v_not_b32_e32 v8, v9
	v_ashrrev_i32_e32 v8, 31, v8
	;; [unrolled: 9-line block ×6, first 2 shown]
	v_xor_b32_e32 v9, vcc_hi, v8
	v_xor_b32_e32 v8, vcc_lo, v8
	ds_read_b32 v38, v46 offset:64
	v_and_b32_e32 v8, v43, v8
	v_and_b32_e32 v9, v0, v9
	v_mbcnt_lo_u32_b32 v0, v8, 0
	v_mbcnt_hi_u32_b32 v42, v9, v0
	v_cmp_eq_u32_e32 vcc, 0, v42
	v_cmp_ne_u64_e64 s[0:1], 0, v[8:9]
	s_and_b64 s[4:5], s[0:1], vcc
	; wave barrier
	s_and_saveexec_b64 s[0:1], s[4:5]
	s_cbranch_execz .LBB1429_223
; %bb.222:
	v_bcnt_u32_b32 v0, v8, 0
	v_bcnt_u32_b32 v0, v9, v0
	s_waitcnt lgkmcnt(0)
	v_add_u32_e32 v0, v38, v0
	ds_write_b32 v46, v0 offset:64
.LBB1429_223:
	s_or_b64 exec, exec, s[0:1]
	s_waitcnt vmcnt(8)
	v_xor_b32_e32 v29, 0x80000000, v29
	v_lshrrev_b32_e32 v0, s64, v29
	v_and_b32_e32 v47, s13, v0
	v_mul_lo_u32 v0, v47, s2
	v_lshl_add_u32 v49, v27, 2, v0
	v_and_b32_e32 v0, 1, v47
	v_lshl_add_u64 v[8:9], v[0:1], 0, -1
	v_cmp_ne_u32_e32 vcc, 0, v0
	; wave barrier
	s_nop 1
	v_xor_b32_e32 v8, vcc_lo, v8
	v_xor_b32_e32 v0, vcc_hi, v9
	v_and_b32_e32 v48, exec_lo, v8
	v_lshlrev_b32_e32 v9, 30, v47
	v_mov_b32_e32 v8, v1
	v_cmp_gt_i64_e32 vcc, 0, v[8:9]
	v_not_b32_e32 v8, v9
	v_ashrrev_i32_e32 v8, 31, v8
	v_and_b32_e32 v0, exec_hi, v0
	v_xor_b32_e32 v9, vcc_hi, v8
	v_xor_b32_e32 v8, vcc_lo, v8
	v_and_b32_e32 v0, v0, v9
	v_and_b32_e32 v48, v48, v8
	v_lshlrev_b32_e32 v9, 29, v47
	v_mov_b32_e32 v8, v1
	v_cmp_gt_i64_e32 vcc, 0, v[8:9]
	v_not_b32_e32 v8, v9
	v_ashrrev_i32_e32 v8, 31, v8
	v_xor_b32_e32 v9, vcc_hi, v8
	v_xor_b32_e32 v8, vcc_lo, v8
	v_and_b32_e32 v0, v0, v9
	v_and_b32_e32 v48, v48, v8
	v_lshlrev_b32_e32 v9, 28, v47
	v_mov_b32_e32 v8, v1
	v_cmp_gt_i64_e32 vcc, 0, v[8:9]
	v_not_b32_e32 v8, v9
	v_ashrrev_i32_e32 v8, 31, v8
	;; [unrolled: 9-line block ×5, first 2 shown]
	v_xor_b32_e32 v9, vcc_hi, v8
	v_xor_b32_e32 v8, vcc_lo, v8
	v_and_b32_e32 v0, v0, v9
	v_lshlrev_b32_e32 v9, 24, v47
	v_and_b32_e32 v48, v48, v8
	v_mov_b32_e32 v8, v1
	v_not_b32_e32 v1, v9
	v_cmp_gt_i64_e32 vcc, 0, v[8:9]
	v_ashrrev_i32_e32 v1, 31, v1
	ds_read_b32 v43, v49 offset:64
	v_xor_b32_e32 v8, vcc_hi, v1
	v_xor_b32_e32 v9, vcc_lo, v1
	v_and_b32_e32 v1, v0, v8
	v_and_b32_e32 v0, v48, v9
	v_mbcnt_lo_u32_b32 v8, v0, 0
	v_mbcnt_hi_u32_b32 v47, v1, v8
	v_cmp_eq_u32_e32 vcc, 0, v47
	v_cmp_ne_u64_e64 s[0:1], 0, v[0:1]
	s_and_b64 s[2:3], s[0:1], vcc
	; wave barrier
	s_and_saveexec_b64 s[0:1], s[2:3]
	s_cbranch_execz .LBB1429_225
; %bb.224:
	v_bcnt_u32_b32 v0, v0, 0
	v_bcnt_u32_b32 v0, v1, v0
	s_waitcnt lgkmcnt(0)
	v_add_u32_e32 v0, v43, v0
	ds_write_b32 v49, v0 offset:64
.LBB1429_225:
	s_or_b64 exec, exec, s[0:1]
	s_waitcnt vmcnt(7)
	v_xor_b32_e32 v34, 0x80000000, v34
	v_lshrrev_b32_e32 v0, s64, v34
	v_and_b32_e32 v50, s13, v0
	s_movk_i32 s2, 0x44
	v_mul_lo_u32 v0, v50, s2
	v_lshl_add_u32 v52, v27, 2, v0
	v_and_b32_e32 v0, 1, v50
	v_mov_b32_e32 v1, 0
	v_lshl_add_u64 v[8:9], v[0:1], 0, -1
	v_cmp_ne_u32_e32 vcc, 0, v0
	; wave barrier
	s_nop 1
	v_xor_b32_e32 v8, vcc_lo, v8
	v_xor_b32_e32 v0, vcc_hi, v9
	v_and_b32_e32 v51, exec_lo, v8
	v_lshlrev_b32_e32 v9, 30, v50
	v_mov_b32_e32 v8, v1
	v_cmp_gt_i64_e32 vcc, 0, v[8:9]
	v_not_b32_e32 v8, v9
	v_ashrrev_i32_e32 v8, 31, v8
	v_and_b32_e32 v0, exec_hi, v0
	v_xor_b32_e32 v9, vcc_hi, v8
	v_xor_b32_e32 v8, vcc_lo, v8
	v_and_b32_e32 v0, v0, v9
	v_and_b32_e32 v51, v51, v8
	v_lshlrev_b32_e32 v9, 29, v50
	v_mov_b32_e32 v8, v1
	v_cmp_gt_i64_e32 vcc, 0, v[8:9]
	v_not_b32_e32 v8, v9
	v_ashrrev_i32_e32 v8, 31, v8
	v_xor_b32_e32 v9, vcc_hi, v8
	v_xor_b32_e32 v8, vcc_lo, v8
	v_and_b32_e32 v0, v0, v9
	v_and_b32_e32 v51, v51, v8
	v_lshlrev_b32_e32 v9, 28, v50
	v_mov_b32_e32 v8, v1
	v_cmp_gt_i64_e32 vcc, 0, v[8:9]
	v_not_b32_e32 v8, v9
	v_ashrrev_i32_e32 v8, 31, v8
	;; [unrolled: 9-line block ×6, first 2 shown]
	v_xor_b32_e32 v9, vcc_hi, v8
	v_xor_b32_e32 v8, vcc_lo, v8
	ds_read_b32 v48, v52 offset:64
	v_and_b32_e32 v8, v51, v8
	v_and_b32_e32 v9, v0, v9
	v_mbcnt_lo_u32_b32 v0, v8, 0
	v_mbcnt_hi_u32_b32 v50, v9, v0
	v_cmp_eq_u32_e32 vcc, 0, v50
	v_cmp_ne_u64_e64 s[0:1], 0, v[8:9]
	s_and_b64 s[4:5], s[0:1], vcc
	; wave barrier
	s_and_saveexec_b64 s[0:1], s[4:5]
	s_cbranch_execz .LBB1429_227
; %bb.226:
	v_bcnt_u32_b32 v0, v8, 0
	v_bcnt_u32_b32 v0, v9, v0
	s_waitcnt lgkmcnt(0)
	v_add_u32_e32 v0, v48, v0
	ds_write_b32 v52, v0 offset:64
.LBB1429_227:
	s_or_b64 exec, exec, s[0:1]
	s_waitcnt vmcnt(6)
	v_xor_b32_e32 v39, 0x80000000, v39
	v_lshrrev_b32_e32 v0, s64, v39
	v_and_b32_e32 v53, s13, v0
	v_mul_lo_u32 v0, v53, s2
	v_lshl_add_u32 v55, v27, 2, v0
	v_and_b32_e32 v0, 1, v53
	v_lshl_add_u64 v[8:9], v[0:1], 0, -1
	v_cmp_ne_u32_e32 vcc, 0, v0
	; wave barrier
	s_nop 1
	v_xor_b32_e32 v8, vcc_lo, v8
	v_xor_b32_e32 v0, vcc_hi, v9
	v_and_b32_e32 v54, exec_lo, v8
	v_lshlrev_b32_e32 v9, 30, v53
	v_mov_b32_e32 v8, v1
	v_cmp_gt_i64_e32 vcc, 0, v[8:9]
	v_not_b32_e32 v8, v9
	v_ashrrev_i32_e32 v8, 31, v8
	v_and_b32_e32 v0, exec_hi, v0
	v_xor_b32_e32 v9, vcc_hi, v8
	v_xor_b32_e32 v8, vcc_lo, v8
	v_and_b32_e32 v0, v0, v9
	v_and_b32_e32 v54, v54, v8
	v_lshlrev_b32_e32 v9, 29, v53
	v_mov_b32_e32 v8, v1
	v_cmp_gt_i64_e32 vcc, 0, v[8:9]
	v_not_b32_e32 v8, v9
	v_ashrrev_i32_e32 v8, 31, v8
	v_xor_b32_e32 v9, vcc_hi, v8
	v_xor_b32_e32 v8, vcc_lo, v8
	v_and_b32_e32 v0, v0, v9
	v_and_b32_e32 v54, v54, v8
	v_lshlrev_b32_e32 v9, 28, v53
	v_mov_b32_e32 v8, v1
	v_cmp_gt_i64_e32 vcc, 0, v[8:9]
	v_not_b32_e32 v8, v9
	v_ashrrev_i32_e32 v8, 31, v8
	;; [unrolled: 9-line block ×5, first 2 shown]
	v_xor_b32_e32 v9, vcc_hi, v8
	v_xor_b32_e32 v8, vcc_lo, v8
	v_and_b32_e32 v0, v0, v9
	v_lshlrev_b32_e32 v9, 24, v53
	v_and_b32_e32 v54, v54, v8
	v_mov_b32_e32 v8, v1
	v_not_b32_e32 v1, v9
	v_cmp_gt_i64_e32 vcc, 0, v[8:9]
	v_ashrrev_i32_e32 v1, 31, v1
	ds_read_b32 v51, v55 offset:64
	v_xor_b32_e32 v8, vcc_hi, v1
	v_xor_b32_e32 v9, vcc_lo, v1
	v_and_b32_e32 v1, v0, v8
	v_and_b32_e32 v0, v54, v9
	v_mbcnt_lo_u32_b32 v8, v0, 0
	v_mbcnt_hi_u32_b32 v53, v1, v8
	v_cmp_eq_u32_e32 vcc, 0, v53
	v_cmp_ne_u64_e64 s[0:1], 0, v[0:1]
	s_and_b64 s[2:3], s[0:1], vcc
	; wave barrier
	s_and_saveexec_b64 s[0:1], s[2:3]
	s_cbranch_execz .LBB1429_229
; %bb.228:
	v_bcnt_u32_b32 v0, v0, 0
	v_bcnt_u32_b32 v0, v1, v0
	s_waitcnt lgkmcnt(0)
	v_add_u32_e32 v0, v51, v0
	ds_write_b32 v55, v0 offset:64
.LBB1429_229:
	s_or_b64 exec, exec, s[0:1]
	s_waitcnt vmcnt(5)
	v_xor_b32_e32 v44, 0x80000000, v44
	v_lshrrev_b32_e32 v0, s64, v44
	v_and_b32_e32 v56, s13, v0
	s_movk_i32 s2, 0x44
	v_mul_lo_u32 v0, v56, s2
	v_lshl_add_u32 v58, v27, 2, v0
	v_and_b32_e32 v0, 1, v56
	v_mov_b32_e32 v1, 0
	v_lshl_add_u64 v[8:9], v[0:1], 0, -1
	v_cmp_ne_u32_e32 vcc, 0, v0
	; wave barrier
	s_nop 1
	v_xor_b32_e32 v8, vcc_lo, v8
	v_xor_b32_e32 v0, vcc_hi, v9
	v_and_b32_e32 v57, exec_lo, v8
	v_lshlrev_b32_e32 v9, 30, v56
	v_mov_b32_e32 v8, v1
	v_cmp_gt_i64_e32 vcc, 0, v[8:9]
	v_not_b32_e32 v8, v9
	v_ashrrev_i32_e32 v8, 31, v8
	v_and_b32_e32 v0, exec_hi, v0
	v_xor_b32_e32 v9, vcc_hi, v8
	v_xor_b32_e32 v8, vcc_lo, v8
	v_and_b32_e32 v0, v0, v9
	v_and_b32_e32 v57, v57, v8
	v_lshlrev_b32_e32 v9, 29, v56
	v_mov_b32_e32 v8, v1
	v_cmp_gt_i64_e32 vcc, 0, v[8:9]
	v_not_b32_e32 v8, v9
	v_ashrrev_i32_e32 v8, 31, v8
	v_xor_b32_e32 v9, vcc_hi, v8
	v_xor_b32_e32 v8, vcc_lo, v8
	v_and_b32_e32 v0, v0, v9
	v_and_b32_e32 v57, v57, v8
	v_lshlrev_b32_e32 v9, 28, v56
	v_mov_b32_e32 v8, v1
	v_cmp_gt_i64_e32 vcc, 0, v[8:9]
	v_not_b32_e32 v8, v9
	v_ashrrev_i32_e32 v8, 31, v8
	;; [unrolled: 9-line block ×6, first 2 shown]
	v_xor_b32_e32 v9, vcc_hi, v8
	v_xor_b32_e32 v8, vcc_lo, v8
	ds_read_b32 v54, v58 offset:64
	v_and_b32_e32 v8, v57, v8
	v_and_b32_e32 v9, v0, v9
	v_mbcnt_lo_u32_b32 v0, v8, 0
	v_mbcnt_hi_u32_b32 v56, v9, v0
	v_cmp_eq_u32_e32 vcc, 0, v56
	v_cmp_ne_u64_e64 s[0:1], 0, v[8:9]
	s_and_b64 s[4:5], s[0:1], vcc
	; wave barrier
	s_and_saveexec_b64 s[0:1], s[4:5]
	s_cbranch_execz .LBB1429_231
; %bb.230:
	v_bcnt_u32_b32 v0, v8, 0
	v_bcnt_u32_b32 v0, v9, v0
	s_waitcnt lgkmcnt(0)
	v_add_u32_e32 v0, v54, v0
	ds_write_b32 v58, v0 offset:64
.LBB1429_231:
	s_or_b64 exec, exec, s[0:1]
	s_waitcnt vmcnt(4)
	v_xor_b32_e32 v45, 0x80000000, v45
	v_lshrrev_b32_e32 v0, s64, v45
	v_and_b32_e32 v59, s13, v0
	v_mul_lo_u32 v0, v59, s2
	v_lshl_add_u32 v62, v27, 2, v0
	v_and_b32_e32 v0, 1, v59
	v_lshl_add_u64 v[8:9], v[0:1], 0, -1
	v_cmp_ne_u32_e32 vcc, 0, v0
	; wave barrier
	s_nop 1
	v_xor_b32_e32 v8, vcc_lo, v8
	v_xor_b32_e32 v0, vcc_hi, v9
	v_and_b32_e32 v60, exec_lo, v8
	v_lshlrev_b32_e32 v9, 30, v59
	v_mov_b32_e32 v8, v1
	v_cmp_gt_i64_e32 vcc, 0, v[8:9]
	v_not_b32_e32 v8, v9
	v_ashrrev_i32_e32 v8, 31, v8
	v_and_b32_e32 v0, exec_hi, v0
	v_xor_b32_e32 v9, vcc_hi, v8
	v_xor_b32_e32 v8, vcc_lo, v8
	v_and_b32_e32 v0, v0, v9
	v_and_b32_e32 v60, v60, v8
	v_lshlrev_b32_e32 v9, 29, v59
	v_mov_b32_e32 v8, v1
	v_cmp_gt_i64_e32 vcc, 0, v[8:9]
	v_not_b32_e32 v8, v9
	v_ashrrev_i32_e32 v8, 31, v8
	v_xor_b32_e32 v9, vcc_hi, v8
	v_xor_b32_e32 v8, vcc_lo, v8
	v_and_b32_e32 v0, v0, v9
	v_and_b32_e32 v60, v60, v8
	v_lshlrev_b32_e32 v9, 28, v59
	v_mov_b32_e32 v8, v1
	v_cmp_gt_i64_e32 vcc, 0, v[8:9]
	v_not_b32_e32 v8, v9
	v_ashrrev_i32_e32 v8, 31, v8
	;; [unrolled: 9-line block ×5, first 2 shown]
	v_xor_b32_e32 v9, vcc_hi, v8
	v_xor_b32_e32 v8, vcc_lo, v8
	v_and_b32_e32 v0, v0, v9
	v_lshlrev_b32_e32 v9, 24, v59
	v_and_b32_e32 v60, v60, v8
	v_mov_b32_e32 v8, v1
	v_not_b32_e32 v1, v9
	v_cmp_gt_i64_e32 vcc, 0, v[8:9]
	v_ashrrev_i32_e32 v1, 31, v1
	ds_read_b32 v57, v62 offset:64
	v_xor_b32_e32 v8, vcc_hi, v1
	v_xor_b32_e32 v9, vcc_lo, v1
	v_and_b32_e32 v1, v0, v8
	v_and_b32_e32 v0, v60, v9
	v_mbcnt_lo_u32_b32 v8, v0, 0
	v_mbcnt_hi_u32_b32 v59, v1, v8
	v_cmp_eq_u32_e32 vcc, 0, v59
	v_cmp_ne_u64_e64 s[0:1], 0, v[0:1]
	s_and_b64 s[2:3], s[0:1], vcc
	; wave barrier
	s_and_saveexec_b64 s[0:1], s[2:3]
	s_cbranch_execz .LBB1429_233
; %bb.232:
	v_bcnt_u32_b32 v0, v0, 0
	v_bcnt_u32_b32 v0, v1, v0
	s_waitcnt lgkmcnt(0)
	v_add_u32_e32 v0, v57, v0
	ds_write_b32 v62, v0 offset:64
.LBB1429_233:
	s_or_b64 exec, exec, s[0:1]
	s_waitcnt vmcnt(3)
	v_xor_b32_e32 v40, 0x80000000, v40
	v_lshrrev_b32_e32 v0, s64, v40
	v_and_b32_e32 v61, s13, v0
	s_movk_i32 s2, 0x44
	v_mul_lo_u32 v0, v61, s2
	v_lshl_add_u32 v65, v27, 2, v0
	v_and_b32_e32 v0, 1, v61
	v_mov_b32_e32 v1, 0
	v_lshl_add_u64 v[8:9], v[0:1], 0, -1
	v_cmp_ne_u32_e32 vcc, 0, v0
	; wave barrier
	s_nop 1
	v_xor_b32_e32 v8, vcc_lo, v8
	v_xor_b32_e32 v0, vcc_hi, v9
	v_and_b32_e32 v63, exec_lo, v8
	v_lshlrev_b32_e32 v9, 30, v61
	v_mov_b32_e32 v8, v1
	v_cmp_gt_i64_e32 vcc, 0, v[8:9]
	v_not_b32_e32 v8, v9
	v_ashrrev_i32_e32 v8, 31, v8
	v_and_b32_e32 v0, exec_hi, v0
	v_xor_b32_e32 v9, vcc_hi, v8
	v_xor_b32_e32 v8, vcc_lo, v8
	v_and_b32_e32 v0, v0, v9
	v_and_b32_e32 v63, v63, v8
	v_lshlrev_b32_e32 v9, 29, v61
	v_mov_b32_e32 v8, v1
	v_cmp_gt_i64_e32 vcc, 0, v[8:9]
	v_not_b32_e32 v8, v9
	v_ashrrev_i32_e32 v8, 31, v8
	v_xor_b32_e32 v9, vcc_hi, v8
	v_xor_b32_e32 v8, vcc_lo, v8
	v_and_b32_e32 v0, v0, v9
	v_and_b32_e32 v63, v63, v8
	v_lshlrev_b32_e32 v9, 28, v61
	v_mov_b32_e32 v8, v1
	v_cmp_gt_i64_e32 vcc, 0, v[8:9]
	v_not_b32_e32 v8, v9
	v_ashrrev_i32_e32 v8, 31, v8
	;; [unrolled: 9-line block ×6, first 2 shown]
	v_xor_b32_e32 v9, vcc_hi, v8
	v_xor_b32_e32 v8, vcc_lo, v8
	ds_read_b32 v60, v65 offset:64
	v_and_b32_e32 v8, v63, v8
	v_and_b32_e32 v9, v0, v9
	v_mbcnt_lo_u32_b32 v0, v8, 0
	v_mbcnt_hi_u32_b32 v63, v9, v0
	v_cmp_eq_u32_e32 vcc, 0, v63
	v_cmp_ne_u64_e64 s[0:1], 0, v[8:9]
	s_and_b64 s[4:5], s[0:1], vcc
	; wave barrier
	s_and_saveexec_b64 s[0:1], s[4:5]
	s_cbranch_execz .LBB1429_235
; %bb.234:
	v_bcnt_u32_b32 v0, v8, 0
	v_bcnt_u32_b32 v0, v9, v0
	s_waitcnt lgkmcnt(0)
	v_add_u32_e32 v0, v60, v0
	ds_write_b32 v65, v0 offset:64
.LBB1429_235:
	s_or_b64 exec, exec, s[0:1]
	s_waitcnt vmcnt(2)
	v_xor_b32_e32 v36, 0x80000000, v36
	v_lshrrev_b32_e32 v0, s64, v36
	v_and_b32_e32 v61, s13, v0
	v_mul_lo_u32 v0, v61, s2
	v_lshl_add_u32 v68, v27, 2, v0
	v_and_b32_e32 v0, 1, v61
	v_lshl_add_u64 v[8:9], v[0:1], 0, -1
	v_cmp_ne_u32_e32 vcc, 0, v0
	; wave barrier
	s_nop 1
	v_xor_b32_e32 v8, vcc_lo, v8
	v_xor_b32_e32 v0, vcc_hi, v9
	v_and_b32_e32 v66, exec_lo, v8
	v_lshlrev_b32_e32 v9, 30, v61
	v_mov_b32_e32 v8, v1
	v_cmp_gt_i64_e32 vcc, 0, v[8:9]
	v_not_b32_e32 v8, v9
	v_ashrrev_i32_e32 v8, 31, v8
	v_and_b32_e32 v0, exec_hi, v0
	v_xor_b32_e32 v9, vcc_hi, v8
	v_xor_b32_e32 v8, vcc_lo, v8
	v_and_b32_e32 v0, v0, v9
	v_and_b32_e32 v66, v66, v8
	v_lshlrev_b32_e32 v9, 29, v61
	v_mov_b32_e32 v8, v1
	v_cmp_gt_i64_e32 vcc, 0, v[8:9]
	v_not_b32_e32 v8, v9
	v_ashrrev_i32_e32 v8, 31, v8
	v_xor_b32_e32 v9, vcc_hi, v8
	v_xor_b32_e32 v8, vcc_lo, v8
	v_and_b32_e32 v0, v0, v9
	v_and_b32_e32 v66, v66, v8
	v_lshlrev_b32_e32 v9, 28, v61
	v_mov_b32_e32 v8, v1
	v_cmp_gt_i64_e32 vcc, 0, v[8:9]
	v_not_b32_e32 v8, v9
	v_ashrrev_i32_e32 v8, 31, v8
	;; [unrolled: 9-line block ×5, first 2 shown]
	v_xor_b32_e32 v9, vcc_hi, v8
	v_xor_b32_e32 v8, vcc_lo, v8
	v_and_b32_e32 v0, v0, v9
	v_lshlrev_b32_e32 v9, 24, v61
	v_and_b32_e32 v66, v66, v8
	v_mov_b32_e32 v8, v1
	v_not_b32_e32 v1, v9
	v_cmp_gt_i64_e32 vcc, 0, v[8:9]
	v_ashrrev_i32_e32 v1, 31, v1
	ds_read_b32 v64, v68 offset:64
	v_xor_b32_e32 v8, vcc_hi, v1
	v_xor_b32_e32 v9, vcc_lo, v1
	v_and_b32_e32 v1, v0, v8
	v_and_b32_e32 v0, v66, v9
	v_mbcnt_lo_u32_b32 v8, v0, 0
	v_mbcnt_hi_u32_b32 v66, v1, v8
	v_cmp_eq_u32_e32 vcc, 0, v66
	v_cmp_ne_u64_e64 s[0:1], 0, v[0:1]
	s_and_b64 s[2:3], s[0:1], vcc
	; wave barrier
	s_and_saveexec_b64 s[0:1], s[2:3]
	s_cbranch_execz .LBB1429_237
; %bb.236:
	v_bcnt_u32_b32 v0, v0, 0
	v_bcnt_u32_b32 v0, v1, v0
	s_waitcnt lgkmcnt(0)
	v_add_u32_e32 v0, v64, v0
	ds_write_b32 v68, v0 offset:64
.LBB1429_237:
	s_or_b64 exec, exec, s[0:1]
	s_waitcnt vmcnt(1)
	v_xor_b32_e32 v31, 0x80000000, v31
	v_lshrrev_b32_e32 v0, s64, v31
	v_and_b32_e32 v61, s13, v0
	s_movk_i32 s2, 0x44
	v_mul_lo_u32 v0, v61, s2
	v_lshl_add_u32 v70, v27, 2, v0
	v_and_b32_e32 v0, 1, v61
	v_mov_b32_e32 v1, 0
	v_lshl_add_u64 v[8:9], v[0:1], 0, -1
	v_cmp_ne_u32_e32 vcc, 0, v0
	; wave barrier
	s_nop 1
	v_xor_b32_e32 v8, vcc_lo, v8
	v_xor_b32_e32 v0, vcc_hi, v9
	v_and_b32_e32 v69, exec_lo, v8
	v_lshlrev_b32_e32 v9, 30, v61
	v_mov_b32_e32 v8, v1
	v_cmp_gt_i64_e32 vcc, 0, v[8:9]
	v_not_b32_e32 v8, v9
	v_ashrrev_i32_e32 v8, 31, v8
	v_and_b32_e32 v0, exec_hi, v0
	v_xor_b32_e32 v9, vcc_hi, v8
	v_xor_b32_e32 v8, vcc_lo, v8
	v_and_b32_e32 v0, v0, v9
	v_and_b32_e32 v69, v69, v8
	v_lshlrev_b32_e32 v9, 29, v61
	v_mov_b32_e32 v8, v1
	v_cmp_gt_i64_e32 vcc, 0, v[8:9]
	v_not_b32_e32 v8, v9
	v_ashrrev_i32_e32 v8, 31, v8
	v_xor_b32_e32 v9, vcc_hi, v8
	v_xor_b32_e32 v8, vcc_lo, v8
	v_and_b32_e32 v0, v0, v9
	v_and_b32_e32 v69, v69, v8
	v_lshlrev_b32_e32 v9, 28, v61
	v_mov_b32_e32 v8, v1
	v_cmp_gt_i64_e32 vcc, 0, v[8:9]
	v_not_b32_e32 v8, v9
	v_ashrrev_i32_e32 v8, 31, v8
	;; [unrolled: 9-line block ×6, first 2 shown]
	v_xor_b32_e32 v9, vcc_hi, v8
	v_xor_b32_e32 v8, vcc_lo, v8
	ds_read_b32 v67, v70 offset:64
	v_and_b32_e32 v8, v69, v8
	v_and_b32_e32 v9, v0, v9
	v_mbcnt_lo_u32_b32 v0, v8, 0
	v_mbcnt_hi_u32_b32 v69, v9, v0
	v_cmp_eq_u32_e32 vcc, 0, v69
	v_cmp_ne_u64_e64 s[0:1], 0, v[8:9]
	s_and_b64 s[4:5], s[0:1], vcc
	; wave barrier
	s_and_saveexec_b64 s[0:1], s[4:5]
	s_cbranch_execz .LBB1429_239
; %bb.238:
	v_bcnt_u32_b32 v0, v8, 0
	v_bcnt_u32_b32 v0, v9, v0
	s_waitcnt lgkmcnt(0)
	v_add_u32_e32 v0, v67, v0
	ds_write_b32 v70, v0 offset:64
.LBB1429_239:
	s_or_b64 exec, exec, s[0:1]
	s_waitcnt vmcnt(0)
	v_xor_b32_e32 v61, 0x80000000, v25
	v_lshrrev_b32_e32 v0, s64, v61
	v_and_b32_e32 v25, s13, v0
	v_mul_lo_u32 v0, v25, s2
	v_lshl_add_u32 v72, v27, 2, v0
	v_and_b32_e32 v0, 1, v25
	v_lshl_add_u64 v[8:9], v[0:1], 0, -1
	v_cmp_ne_u32_e32 vcc, 0, v0
	; wave barrier
	s_nop 1
	v_xor_b32_e32 v8, vcc_lo, v8
	v_xor_b32_e32 v0, vcc_hi, v9
	v_and_b32_e32 v71, exec_lo, v8
	v_lshlrev_b32_e32 v9, 30, v25
	v_mov_b32_e32 v8, v1
	v_cmp_gt_i64_e32 vcc, 0, v[8:9]
	v_not_b32_e32 v8, v9
	v_ashrrev_i32_e32 v8, 31, v8
	v_and_b32_e32 v0, exec_hi, v0
	v_xor_b32_e32 v9, vcc_hi, v8
	v_xor_b32_e32 v8, vcc_lo, v8
	v_and_b32_e32 v0, v0, v9
	v_and_b32_e32 v71, v71, v8
	v_lshlrev_b32_e32 v9, 29, v25
	v_mov_b32_e32 v8, v1
	v_cmp_gt_i64_e32 vcc, 0, v[8:9]
	v_not_b32_e32 v8, v9
	v_ashrrev_i32_e32 v8, 31, v8
	v_xor_b32_e32 v9, vcc_hi, v8
	v_xor_b32_e32 v8, vcc_lo, v8
	v_and_b32_e32 v0, v0, v9
	v_and_b32_e32 v71, v71, v8
	v_lshlrev_b32_e32 v9, 28, v25
	v_mov_b32_e32 v8, v1
	v_cmp_gt_i64_e32 vcc, 0, v[8:9]
	v_not_b32_e32 v8, v9
	v_ashrrev_i32_e32 v8, 31, v8
	;; [unrolled: 9-line block ×5, first 2 shown]
	v_xor_b32_e32 v9, vcc_hi, v8
	v_xor_b32_e32 v8, vcc_lo, v8
	v_and_b32_e32 v0, v0, v9
	v_lshlrev_b32_e32 v9, 24, v25
	v_and_b32_e32 v71, v71, v8
	v_mov_b32_e32 v8, v1
	v_not_b32_e32 v1, v9
	v_cmp_gt_i64_e32 vcc, 0, v[8:9]
	v_ashrrev_i32_e32 v1, 31, v1
	ds_read_b32 v27, v72 offset:64
	v_xor_b32_e32 v8, vcc_hi, v1
	v_xor_b32_e32 v9, vcc_lo, v1
	v_and_b32_e32 v1, v0, v8
	v_and_b32_e32 v0, v71, v9
	v_mbcnt_lo_u32_b32 v8, v0, 0
	v_mbcnt_hi_u32_b32 v71, v1, v8
	v_cmp_eq_u32_e32 vcc, 0, v71
	v_cmp_ne_u64_e64 s[0:1], 0, v[0:1]
	s_and_b64 s[2:3], s[0:1], vcc
	; wave barrier
	s_and_saveexec_b64 s[0:1], s[2:3]
	s_cbranch_execz .LBB1429_241
; %bb.240:
	v_bcnt_u32_b32 v0, v0, 0
	v_bcnt_u32_b32 v0, v1, v0
	s_waitcnt lgkmcnt(0)
	v_add_u32_e32 v0, v27, v0
	ds_write_b32 v72, v0 offset:64
.LBB1429_241:
	s_or_b64 exec, exec, s[0:1]
	; wave barrier
	s_waitcnt lgkmcnt(0)
	s_barrier
	ds_read2_b32 v[8:9], v11 offset0:16 offset1:17
	ds_read2_b32 v[0:1], v11 offset0:18 offset1:19
	ds_read_b32 v25, v11 offset:80
	v_cmp_lt_u32_e64 s[2:3], 31, v10
	s_waitcnt lgkmcnt(1)
	v_add3_u32 v73, v9, v8, v0
	s_waitcnt lgkmcnt(0)
	v_add3_u32 v25, v73, v1, v25
	v_and_b32_e32 v73, 15, v10
	v_cmp_eq_u32_e32 vcc, 0, v73
	v_mov_b32_dpp v74, v25 row_shr:1 row_mask:0xf bank_mask:0xf
	v_cmp_lt_u32_e64 s[0:1], 1, v73
	v_cndmask_b32_e64 v74, v74, 0, vcc
	v_add_u32_e32 v25, v74, v25
	v_cmp_lt_u32_e64 s[4:5], 3, v73
	v_cmp_lt_u32_e64 s[6:7], 7, v73
	v_mov_b32_dpp v74, v25 row_shr:2 row_mask:0xf bank_mask:0xf
	v_cndmask_b32_e64 v74, 0, v74, s[0:1]
	v_add_u32_e32 v25, v25, v74
	s_nop 1
	v_mov_b32_dpp v74, v25 row_shr:4 row_mask:0xf bank_mask:0xf
	v_cndmask_b32_e64 v74, 0, v74, s[4:5]
	v_add_u32_e32 v25, v25, v74
	s_nop 1
	v_mov_b32_dpp v74, v25 row_shr:8 row_mask:0xf bank_mask:0xf
	v_cndmask_b32_e64 v73, 0, v74, s[6:7]
	v_add_u32_e32 v25, v25, v73
	v_bfe_i32 v74, v10, 4, 1
	s_nop 0
	v_mov_b32_dpp v73, v25 row_bcast:15 row_mask:0xf bank_mask:0xf
	v_and_b32_e32 v73, v74, v73
	v_add_u32_e32 v25, v25, v73
	v_lshrrev_b32_e32 v74, 6, v2
	s_nop 0
	v_mov_b32_dpp v73, v25 row_bcast:31 row_mask:0xf bank_mask:0xf
	v_cndmask_b32_e64 v73, 0, v73, s[2:3]
	v_add_u32_e32 v73, v25, v73
	v_and_b32_e32 v25, 63, v2
	v_cmp_eq_u32_e64 s[2:3], 63, v25
	s_and_saveexec_b64 s[10:11], s[2:3]
; %bb.242:
	v_lshlrev_b32_e32 v25, 2, v74
	ds_write_b32 v25, v73
; %bb.243:
	s_or_b64 exec, exec, s[10:11]
	v_cmp_gt_u32_e64 s[2:3], 16, v2
	v_lshlrev_b32_e32 v25, 2, v2
	s_waitcnt lgkmcnt(0)
	s_barrier
	s_and_saveexec_b64 s[10:11], s[2:3]
	s_cbranch_execz .LBB1429_245
; %bb.244:
	ds_read_b32 v75, v25
	s_waitcnt lgkmcnt(0)
	s_nop 0
	v_mov_b32_dpp v76, v75 row_shr:1 row_mask:0xf bank_mask:0xf
	v_cndmask_b32_e64 v76, v76, 0, vcc
	v_add_u32_e32 v75, v76, v75
	s_nop 1
	v_mov_b32_dpp v76, v75 row_shr:2 row_mask:0xf bank_mask:0xf
	v_cndmask_b32_e64 v76, 0, v76, s[0:1]
	v_add_u32_e32 v75, v75, v76
	s_nop 1
	v_mov_b32_dpp v76, v75 row_shr:4 row_mask:0xf bank_mask:0xf
	v_cndmask_b32_e64 v76, 0, v76, s[4:5]
	;; [unrolled: 4-line block ×3, first 2 shown]
	v_add_u32_e32 v75, v75, v76
	ds_write_b32 v25, v75
.LBB1429_245:
	s_or_b64 exec, exec, s[10:11]
	v_cmp_lt_u32_e32 vcc, 63, v2
	v_mov_b32_e32 v75, 0
	s_waitcnt lgkmcnt(0)
	s_barrier
	s_and_saveexec_b64 s[0:1], vcc
; %bb.246:
	v_lshl_add_u32 v74, v74, 2, -4
	ds_read_b32 v75, v74
; %bb.247:
	s_or_b64 exec, exec, s[0:1]
	v_subrev_co_u32_e32 v74, vcc, 1, v10
	v_and_b32_e32 v76, 64, v10
	v_cmp_lt_i32_e64 s[0:1], v74, v76
	s_waitcnt lgkmcnt(0)
	v_add_u32_e32 v73, v75, v73
	s_movk_i32 s2, 0x100
	v_cndmask_b32_e64 v10, v74, v10, s[0:1]
	v_lshlrev_b32_e32 v10, 2, v10
	ds_bpermute_b32 v10, v10, v73
	s_movk_i32 s0, 0xff
	s_waitcnt lgkmcnt(0)
	v_cndmask_b32_e32 v10, v10, v75, vcc
	v_cndmask_b32_e64 v10, v10, 0, s[44:45]
	v_add_u32_e32 v8, v10, v8
	v_add_u32_e32 v9, v8, v9
	;; [unrolled: 1-line block ×4, first 2 shown]
	ds_write2_b32 v11, v10, v8 offset0:16 offset1:17
	ds_write2_b32 v11, v9, v0 offset0:18 offset1:19
	ds_write_b32 v11, v1 offset:80
	s_waitcnt lgkmcnt(0)
	s_barrier
	ds_read_b32 v81, v18 offset:64
	ds_read_b32 v73, v21 offset:64
	;; [unrolled: 1-line block ×16, first 2 shown]
	v_cmp_lt_u32_e32 vcc, s0, v2
	v_cmp_gt_u32_e64 s[0:1], s2, v2
                                        ; implicit-def: $vgpr18
                                        ; implicit-def: $vgpr21
	s_and_saveexec_b64 s[4:5], s[0:1]
	s_cbranch_execz .LBB1429_251
; %bb.248:
	v_mul_u32_u24_e32 v0, 0x44, v2
	ds_read_b32 v18, v0 offset:64
	v_add_u32_e32 v1, 1, v2
	v_cmp_ne_u32_e64 s[2:3], s2, v1
	v_mov_b32_e32 v0, 0x4000
	s_and_saveexec_b64 s[6:7], s[2:3]
; %bb.249:
	v_mul_u32_u24_e32 v0, 0x44, v1
	ds_read_b32 v0, v0 offset:64
; %bb.250:
	s_or_b64 exec, exec, s[6:7]
	s_waitcnt lgkmcnt(0)
	v_sub_u32_e32 v21, v0, v18
.LBB1429_251:
	s_or_b64 exec, exec, s[4:5]
	v_mov_b32_e32 v1, 0
	s_waitcnt lgkmcnt(0)
	s_barrier
	s_and_saveexec_b64 s[2:3], s[0:1]
	s_cbranch_execz .LBB1429_261
; %bb.252:
	v_lshl_add_u32 v0, s33, 8, v2
	v_lshl_add_u64 v[8:9], v[0:1], 2, s[68:69]
	v_or_b32_e32 v0, 2.0, v21
	s_mov_b64 s[4:5], 0
	s_brev_b32 s14, -4
	s_mov_b32 s15, s33
	v_mov_b32_e32 v49, 0
	global_store_dword v[8:9], v0, off sc1
                                        ; implicit-def: $sgpr0_sgpr1
	s_branch .LBB1429_255
.LBB1429_253:                           ;   in Loop: Header=BB1429_255 Depth=1
	s_or_b64 exec, exec, s[10:11]
.LBB1429_254:                           ;   in Loop: Header=BB1429_255 Depth=1
	s_or_b64 exec, exec, s[6:7]
	v_and_b32_e32 v10, 0x3fffffff, v0
	v_add_u32_e32 v49, v10, v49
	v_cmp_gt_i32_e64 s[0:1], -2.0, v0
	s_and_b64 s[6:7], exec, s[0:1]
	s_or_b64 s[4:5], s[6:7], s[4:5]
	s_andn2_b64 exec, exec, s[4:5]
	s_cbranch_execz .LBB1429_260
.LBB1429_255:                           ; =>This Loop Header: Depth=1
                                        ;     Child Loop BB1429_258 Depth 2
	s_or_b64 s[0:1], s[0:1], exec
	s_cmp_eq_u32 s15, 0
	s_cbranch_scc1 .LBB1429_259
; %bb.256:                              ;   in Loop: Header=BB1429_255 Depth=1
	s_add_i32 s15, s15, -1
	v_lshl_or_b32 v0, s15, 8, v2
	v_lshl_add_u64 v[10:11], v[0:1], 2, s[68:69]
	global_load_dword v0, v[10:11], off sc1
	s_waitcnt vmcnt(0)
	v_cmp_gt_u32_e64 s[0:1], 2.0, v0
	s_and_saveexec_b64 s[6:7], s[0:1]
	s_cbranch_execz .LBB1429_254
; %bb.257:                              ;   in Loop: Header=BB1429_255 Depth=1
	s_mov_b64 s[10:11], 0
.LBB1429_258:                           ;   Parent Loop BB1429_255 Depth=1
                                        ; =>  This Inner Loop Header: Depth=2
	global_load_dword v0, v[10:11], off sc1
	s_waitcnt vmcnt(0)
	v_cmp_lt_u32_e64 s[0:1], s14, v0
	s_or_b64 s[10:11], s[0:1], s[10:11]
	s_andn2_b64 exec, exec, s[10:11]
	s_cbranch_execnz .LBB1429_258
	s_branch .LBB1429_253
.LBB1429_259:                           ;   in Loop: Header=BB1429_255 Depth=1
                                        ; implicit-def: $sgpr15
	s_and_b64 s[6:7], exec, s[0:1]
	s_or_b64 s[4:5], s[6:7], s[4:5]
	s_andn2_b64 exec, exec, s[4:5]
	s_cbranch_execnz .LBB1429_255
.LBB1429_260:
	s_or_b64 exec, exec, s[4:5]
	v_add_u32_e32 v0, v49, v21
	v_or_b32_e32 v0, 0x80000000, v0
	global_store_dword v[8:9], v0, off sc1
	global_load_dword v0, v25, s[60:61]
	v_sub_u32_e32 v1, v49, v18
	s_waitcnt vmcnt(0)
	v_add_u32_e32 v0, v1, v0
	ds_write_b32 v25, v0
.LBB1429_261:
	s_or_b64 exec, exec, s[2:3]
	v_add_u32_e32 v8, v81, v14
	v_add3_u32 v0, v16, v13, v73
	v_add3_u32 v1, v20, v17, v74
	;; [unrolled: 1-line block ×15, first 2 shown]
	v_mov_b32_e32 v85, 0x400
	s_mov_b32 s4, s64
	s_mov_b32 s5, s13
	s_movk_i32 s6, 0x400
	v_lshl_add_u32 v9, v9, 2, v85
	v_add3_u32 v10, v71, v41, v27
	v_lshl_add_u32 v11, v11, 2, v85
	v_add3_u32 v14, v69, v26, v67
	;; [unrolled: 2-line block ×15, first 2 shown]
	v_lshl_add_u32 v16, v8, 2, v85
	s_mov_b32 s7, 0
	s_mov_b32 s10, 0
	s_movk_i32 s11, 0x1000
	v_mov_b32_e32 v1, 0
	s_movk_i32 s14, 0x800
	s_movk_i32 s15, 0xc00
	v_mov_b32_e32 v55, v2
	s_mov_b32 s16, 0
	s_branch .LBB1429_263
.LBB1429_262:                           ;   in Loop: Header=BB1429_263 Depth=1
	s_or_b64 exec, exec, s[2:3]
	s_waitcnt lgkmcnt(0)
	s_barrier
	ds_read2st64_b32 v[56:57], v25 offset0:4 offset1:20
	ds_read2st64_b32 v[62:63], v25 offset0:36 offset1:52
	s_addk_i32 s16, 0xc000
	s_addk_i32 s10, 0xf000
	s_waitcnt lgkmcnt(1)
	v_xor_b32_e32 v60, 0x80000000, v56
	v_lshrrev_b32_e32 v56, s64, v56
	v_lshrrev_b32_e32 v0, s4, v57
	v_and_b32_e32 v56, s13, v56
	v_xor_b32_e32 v66, 0x80000000, v57
	v_and_b32_e32 v57, s5, v0
	v_lshlrev_b32_e32 v0, 2, v56
	ds_read_b32 v0, v0
	s_waitcnt lgkmcnt(1)
	v_lshrrev_b32_e32 v58, s4, v63
	v_lshrrev_b32_e32 v65, s64, v62
	v_and_b32_e32 v59, s5, v58
	v_lshlrev_b32_e32 v64, 2, v57
	v_and_b32_e32 v58, s13, v65
	v_lshlrev_b32_e32 v67, 2, v59
	v_lshlrev_b32_e32 v65, 2, v58
	ds_read_b32 v68, v64
	ds_read_b32 v69, v65
	;; [unrolled: 1-line block ×3, first 2 shown]
	s_waitcnt lgkmcnt(3)
	v_add_u32_e32 v0, v55, v0
	v_lshl_add_u64 v[64:65], v[0:1], 2, s[54:55]
	s_waitcnt lgkmcnt(2)
	v_add3_u32 v0, v55, v68, s6
	global_store_dword v[64:65], v60, off
	v_lshl_add_u64 v[64:65], v[0:1], 2, s[54:55]
	s_waitcnt lgkmcnt(1)
	v_add3_u32 v0, v55, v69, s14
	global_store_dword v[64:65], v66, off
	v_xor_b32_e32 v60, 0x80000000, v62
	v_xor_b32_e32 v64, 0x80000000, v63
	v_lshl_add_u64 v[62:63], v[0:1], 2, s[54:55]
	s_waitcnt lgkmcnt(0)
	v_add3_u32 v0, v55, v67, s15
	global_store_dword v[62:63], v60, off
	v_lshl_add_u64 v[62:63], v[0:1], 2, s[54:55]
	global_store_dword v[62:63], v64, off
	scratch_store_dwordx4 off, v[56:59], s7
	s_add_i32 s7, s7, 16
	s_cmp_eq_u32 s16, 0xffff0000
	v_add_u32_e32 v55, 0x1000, v55
	s_barrier
	s_cbranch_scc1 .LBB1429_295
.LBB1429_263:                           ; =>This Inner Loop Header: Depth=1
	v_add_u32_e32 v0, s10, v8
	v_cmp_gt_u32_e64 s[0:1], s11, v0
	s_and_saveexec_b64 s[2:3], s[0:1]
; %bb.264:                              ;   in Loop: Header=BB1429_263 Depth=1
	v_add_u32_e32 v0, s16, v16
	ds_write_b32 v0, v3
; %bb.265:                              ;   in Loop: Header=BB1429_263 Depth=1
	s_or_b64 exec, exec, s[2:3]
	v_add_u32_e32 v0, s10, v13
	v_cmp_gt_u32_e64 s[0:1], s11, v0
	s_and_saveexec_b64 s[2:3], s[0:1]
; %bb.266:                              ;   in Loop: Header=BB1429_263 Depth=1
	v_add_u32_e32 v0, s16, v20
	ds_write_b32 v0, v5
; %bb.267:                              ;   in Loop: Header=BB1429_263 Depth=1
	s_or_b64 exec, exec, s[2:3]
	;; [unrolled: 8-line block ×15, first 2 shown]
	v_add_u32_e32 v0, s10, v10
	v_cmp_gt_u32_e64 s[0:1], s11, v0
	s_and_saveexec_b64 s[2:3], s[0:1]
	s_cbranch_execz .LBB1429_262
; %bb.294:                              ;   in Loop: Header=BB1429_263 Depth=1
	v_add_u32_e32 v0, s16, v9
	ds_write_b32 v0, v61
	s_branch .LBB1429_262
.LBB1429_295:
	s_add_u32 s0, s56, s8
	s_addc_u32 s1, s57, s9
	v_mov_b32_e32 v5, 0
	v_lshl_add_u64 v[0:1], s[0:1], 0, v[4:5]
	v_mov_b32_e32 v7, v5
	v_lshl_add_u64 v[44:45], v[0:1], 0, v[6:7]
	global_load_dword v0, v[44:45], off
	global_load_dword v1, v[44:45], off offset:256
	global_load_dword v3, v[44:45], off offset:512
	;; [unrolled: 1-line block ×14, first 2 shown]
	s_nop 0
	global_load_dword v44, v[44:45], off offset:3840
	s_mov_b32 s4, 0
	s_mov_b32 s5, 0
	s_movk_i32 s6, 0x1000
	s_movk_i32 s7, 0x400
	s_movk_i32 s8, 0x800
	s_movk_i32 s9, 0xc00
	s_mov_b32 s10, 0
	s_branch .LBB1429_297
.LBB1429_296:                           ;   in Loop: Header=BB1429_297 Depth=1
	s_or_b64 exec, exec, s[2:3]
	s_waitcnt lgkmcnt(0)
	s_barrier
	scratch_load_dwordx4 v[56:59], off, s4
	ds_read2st64_b32 v[60:61], v25 offset0:4 offset1:20
	ds_read2st64_b32 v[62:63], v25 offset0:36 offset1:52
	s_addk_i32 s10, 0xc000
	s_addk_i32 s5, 0xf000
	s_add_i32 s4, s4, 16
	s_cmp_eq_u32 s10, 0xffff0000
	s_waitcnt vmcnt(0)
	v_lshlrev_b32_e32 v4, 2, v56
	ds_read_b32 v4, v4
	v_lshlrev_b32_e32 v45, 2, v57
	v_lshlrev_b32_e32 v55, 2, v58
	;; [unrolled: 1-line block ×3, first 2 shown]
	ds_read_b32 v45, v45
	ds_read_b32 v55, v55
	;; [unrolled: 1-line block ×3, first 2 shown]
	s_waitcnt lgkmcnt(3)
	v_add_u32_e32 v4, v2, v4
	v_lshl_add_u64 v[56:57], v[4:5], 2, s[58:59]
	s_waitcnt lgkmcnt(2)
	v_add3_u32 v4, v2, v45, s7
	global_store_dword v[56:57], v60, off
	v_lshl_add_u64 v[56:57], v[4:5], 2, s[58:59]
	s_waitcnt lgkmcnt(1)
	v_add3_u32 v4, v2, v55, s8
	global_store_dword v[56:57], v61, off
	;; [unrolled: 4-line block ×3, first 2 shown]
	v_lshl_add_u64 v[56:57], v[4:5], 2, s[58:59]
	v_add_u32_e32 v2, 0x1000, v2
	global_store_dword v[56:57], v63, off
	s_barrier
	s_cbranch_scc1 .LBB1429_329
.LBB1429_297:                           ; =>This Inner Loop Header: Depth=1
	v_add_u32_e32 v4, s5, v8
	v_cmp_gt_u32_e64 s[0:1], s6, v4
	s_and_saveexec_b64 s[2:3], s[0:1]
	s_cbranch_execz .LBB1429_299
; %bb.298:                              ;   in Loop: Header=BB1429_297 Depth=1
	v_add_u32_e32 v4, s10, v16
	s_waitcnt vmcnt(15)
	ds_write_b32 v4, v0
.LBB1429_299:                           ;   in Loop: Header=BB1429_297 Depth=1
	s_or_b64 exec, exec, s[2:3]
	v_add_u32_e32 v4, s5, v13
	v_cmp_gt_u32_e64 s[0:1], s6, v4
	s_and_saveexec_b64 s[2:3], s[0:1]
	s_cbranch_execz .LBB1429_301
; %bb.300:                              ;   in Loop: Header=BB1429_297 Depth=1
	v_add_u32_e32 v4, s10, v20
	s_waitcnt vmcnt(14)
	ds_write_b32 v4, v1
.LBB1429_301:                           ;   in Loop: Header=BB1429_297 Depth=1
	s_or_b64 exec, exec, s[2:3]
	v_add_u32_e32 v4, s5, v17
	v_cmp_gt_u32_e64 s[0:1], s6, v4
	s_and_saveexec_b64 s[2:3], s[0:1]
	s_cbranch_execz .LBB1429_303
; %bb.302:                              ;   in Loop: Header=BB1429_297 Depth=1
	v_add_u32_e32 v4, s10, v24
	s_waitcnt vmcnt(13)
	ds_write_b32 v4, v3
.LBB1429_303:                           ;   in Loop: Header=BB1429_297 Depth=1
	s_or_b64 exec, exec, s[2:3]
	v_add_u32_e32 v4, s5, v22
	v_cmp_gt_u32_e64 s[0:1], s6, v4
	s_and_saveexec_b64 s[2:3], s[0:1]
	s_cbranch_execz .LBB1429_305
; %bb.304:                              ;   in Loop: Header=BB1429_297 Depth=1
	v_add_u32_e32 v4, s10, v30
	s_waitcnt vmcnt(12)
	ds_write_b32 v4, v6
.LBB1429_305:                           ;   in Loop: Header=BB1429_297 Depth=1
	s_or_b64 exec, exec, s[2:3]
	v_add_u32_e32 v4, s5, v28
	v_cmp_gt_u32_e64 s[0:1], s6, v4
	s_and_saveexec_b64 s[2:3], s[0:1]
	s_cbranch_execz .LBB1429_307
; %bb.306:                              ;   in Loop: Header=BB1429_297 Depth=1
	v_add_u32_e32 v4, s10, v35
	s_waitcnt vmcnt(11)
	ds_write_b32 v4, v7
.LBB1429_307:                           ;   in Loop: Header=BB1429_297 Depth=1
	s_or_b64 exec, exec, s[2:3]
	v_add_u32_e32 v4, s5, v33
	v_cmp_gt_u32_e64 s[0:1], s6, v4
	s_and_saveexec_b64 s[2:3], s[0:1]
	s_cbranch_execz .LBB1429_309
; %bb.308:                              ;   in Loop: Header=BB1429_297 Depth=1
	v_add_u32_e32 v4, s10, v42
	s_waitcnt vmcnt(10)
	ds_write_b32 v4, v12
.LBB1429_309:                           ;   in Loop: Header=BB1429_297 Depth=1
	s_or_b64 exec, exec, s[2:3]
	v_add_u32_e32 v4, s5, v38
	v_cmp_gt_u32_e64 s[0:1], s6, v4
	s_and_saveexec_b64 s[2:3], s[0:1]
	s_cbranch_execz .LBB1429_311
; %bb.310:                              ;   in Loop: Header=BB1429_297 Depth=1
	v_add_u32_e32 v4, s10, v47
	s_waitcnt vmcnt(9)
	ds_write_b32 v4, v15
.LBB1429_311:                           ;   in Loop: Header=BB1429_297 Depth=1
	s_or_b64 exec, exec, s[2:3]
	v_add_u32_e32 v4, s5, v43
	v_cmp_gt_u32_e64 s[0:1], s6, v4
	s_and_saveexec_b64 s[2:3], s[0:1]
	s_cbranch_execz .LBB1429_313
; %bb.312:                              ;   in Loop: Header=BB1429_297 Depth=1
	v_add_u32_e32 v4, s10, v50
	s_waitcnt vmcnt(8)
	ds_write_b32 v4, v19
.LBB1429_313:                           ;   in Loop: Header=BB1429_297 Depth=1
	s_or_b64 exec, exec, s[2:3]
	v_add_u32_e32 v4, s5, v48
	v_cmp_gt_u32_e64 s[0:1], s6, v4
	s_and_saveexec_b64 s[2:3], s[0:1]
	s_cbranch_execz .LBB1429_315
; %bb.314:                              ;   in Loop: Header=BB1429_297 Depth=1
	v_add_u32_e32 v4, s10, v53
	s_waitcnt vmcnt(7)
	ds_write_b32 v4, v23
.LBB1429_315:                           ;   in Loop: Header=BB1429_297 Depth=1
	s_or_b64 exec, exec, s[2:3]
	v_add_u32_e32 v4, s5, v51
	v_cmp_gt_u32_e64 s[0:1], s6, v4
	s_and_saveexec_b64 s[2:3], s[0:1]
	s_cbranch_execz .LBB1429_317
; %bb.316:                              ;   in Loop: Header=BB1429_297 Depth=1
	v_add_u32_e32 v4, s10, v54
	s_waitcnt vmcnt(6)
	ds_write_b32 v4, v29
.LBB1429_317:                           ;   in Loop: Header=BB1429_297 Depth=1
	s_or_b64 exec, exec, s[2:3]
	v_add_u32_e32 v4, s5, v52
	v_cmp_gt_u32_e64 s[0:1], s6, v4
	s_and_saveexec_b64 s[2:3], s[0:1]
	s_cbranch_execz .LBB1429_319
; %bb.318:                              ;   in Loop: Header=BB1429_297 Depth=1
	v_add_u32_e32 v4, s10, v49
	s_waitcnt vmcnt(5)
	ds_write_b32 v4, v31
.LBB1429_319:                           ;   in Loop: Header=BB1429_297 Depth=1
	s_or_b64 exec, exec, s[2:3]
	v_add_u32_e32 v4, s5, v46
	v_cmp_gt_u32_e64 s[0:1], s6, v4
	s_and_saveexec_b64 s[2:3], s[0:1]
	s_cbranch_execz .LBB1429_321
; %bb.320:                              ;   in Loop: Header=BB1429_297 Depth=1
	v_add_u32_e32 v4, s10, v41
	s_waitcnt vmcnt(4)
	ds_write_b32 v4, v34
.LBB1429_321:                           ;   in Loop: Header=BB1429_297 Depth=1
	s_or_b64 exec, exec, s[2:3]
	v_add_u32_e32 v4, s5, v37
	v_cmp_gt_u32_e64 s[0:1], s6, v4
	s_and_saveexec_b64 s[2:3], s[0:1]
	s_cbranch_execz .LBB1429_323
; %bb.322:                              ;   in Loop: Header=BB1429_297 Depth=1
	v_add_u32_e32 v4, s10, v32
	s_waitcnt vmcnt(3)
	ds_write_b32 v4, v36
.LBB1429_323:                           ;   in Loop: Header=BB1429_297 Depth=1
	s_or_b64 exec, exec, s[2:3]
	v_add_u32_e32 v4, s5, v27
	v_cmp_gt_u32_e64 s[0:1], s6, v4
	s_and_saveexec_b64 s[2:3], s[0:1]
	s_cbranch_execz .LBB1429_325
; %bb.324:                              ;   in Loop: Header=BB1429_297 Depth=1
	v_add_u32_e32 v4, s10, v26
	s_waitcnt vmcnt(2)
	ds_write_b32 v4, v39
.LBB1429_325:                           ;   in Loop: Header=BB1429_297 Depth=1
	s_or_b64 exec, exec, s[2:3]
	v_add_u32_e32 v4, s5, v14
	v_cmp_gt_u32_e64 s[0:1], s6, v4
	s_and_saveexec_b64 s[2:3], s[0:1]
	s_cbranch_execz .LBB1429_327
; %bb.326:                              ;   in Loop: Header=BB1429_297 Depth=1
	v_add_u32_e32 v4, s10, v11
	s_waitcnt vmcnt(1)
	ds_write_b32 v4, v40
.LBB1429_327:                           ;   in Loop: Header=BB1429_297 Depth=1
	s_or_b64 exec, exec, s[2:3]
	v_add_u32_e32 v4, s5, v10
	v_cmp_gt_u32_e64 s[0:1], s6, v4
	s_and_saveexec_b64 s[2:3], s[0:1]
	s_cbranch_execz .LBB1429_296
; %bb.328:                              ;   in Loop: Header=BB1429_297 Depth=1
	v_add_u32_e32 v4, s10, v9
	s_waitcnt vmcnt(0)
	ds_write_b32 v4, v44
	s_branch .LBB1429_296
.LBB1429_329:
	s_add_i32 s12, s12, -1
	s_cmp_eq_u32 s33, s12
	s_cselect_b64 s[0:1], -1, 0
	s_xor_b64 s[2:3], vcc, -1
	s_and_b64 s[0:1], s[2:3], s[0:1]
	s_and_saveexec_b64 s[2:3], s[0:1]
	s_cbranch_execz .LBB1429_331
; %bb.330:
	ds_read_b32 v0, v25
	s_waitcnt lgkmcnt(0)
	v_add3_u32 v0, v18, v21, v0
	global_store_dword v25, v0, s[62:63]
.LBB1429_331:
	s_endpgm
	.section	.rodata,"a",@progbits
	.p2align	6, 0x0
	.amdhsa_kernel _ZN7rocprim17ROCPRIM_400000_NS6detail17trampoline_kernelINS0_14default_configENS1_35radix_sort_onesweep_config_selectorIiiEEZZNS1_29radix_sort_onesweep_iterationIS3_Lb0EN6thrust23THRUST_200600_302600_NS6detail15normal_iteratorINS8_10device_ptrIiEEEESD_SD_SD_jNS0_19identity_decomposerENS1_16block_id_wrapperIjLb1EEEEE10hipError_tT1_PNSt15iterator_traitsISI_E10value_typeET2_T3_PNSJ_ISO_E10value_typeET4_T5_PST_SU_PNS1_23onesweep_lookback_stateEbbT6_jjT7_P12ihipStream_tbENKUlT_T0_SI_SN_E_clISD_PiSD_S15_EEDaS11_S12_SI_SN_EUlS11_E_NS1_11comp_targetILNS1_3genE6ELNS1_11target_archE950ELNS1_3gpuE13ELNS1_3repE0EEENS1_47radix_sort_onesweep_sort_config_static_selectorELNS0_4arch9wavefront6targetE1EEEvSI_
		.amdhsa_group_segment_fixed_size 20552
		.amdhsa_private_segment_fixed_size 80
		.amdhsa_kernarg_size 344
		.amdhsa_user_sgpr_count 2
		.amdhsa_user_sgpr_dispatch_ptr 0
		.amdhsa_user_sgpr_queue_ptr 0
		.amdhsa_user_sgpr_kernarg_segment_ptr 1
		.amdhsa_user_sgpr_dispatch_id 0
		.amdhsa_user_sgpr_kernarg_preload_length 0
		.amdhsa_user_sgpr_kernarg_preload_offset 0
		.amdhsa_user_sgpr_private_segment_size 0
		.amdhsa_uses_dynamic_stack 0
		.amdhsa_enable_private_segment 1
		.amdhsa_system_sgpr_workgroup_id_x 1
		.amdhsa_system_sgpr_workgroup_id_y 0
		.amdhsa_system_sgpr_workgroup_id_z 0
		.amdhsa_system_sgpr_workgroup_info 0
		.amdhsa_system_vgpr_workitem_id 2
		.amdhsa_next_free_vgpr 89
		.amdhsa_next_free_sgpr 73
		.amdhsa_accum_offset 92
		.amdhsa_reserve_vcc 1
		.amdhsa_float_round_mode_32 0
		.amdhsa_float_round_mode_16_64 0
		.amdhsa_float_denorm_mode_32 3
		.amdhsa_float_denorm_mode_16_64 3
		.amdhsa_dx10_clamp 1
		.amdhsa_ieee_mode 1
		.amdhsa_fp16_overflow 0
		.amdhsa_tg_split 0
		.amdhsa_exception_fp_ieee_invalid_op 0
		.amdhsa_exception_fp_denorm_src 0
		.amdhsa_exception_fp_ieee_div_zero 0
		.amdhsa_exception_fp_ieee_overflow 0
		.amdhsa_exception_fp_ieee_underflow 0
		.amdhsa_exception_fp_ieee_inexact 0
		.amdhsa_exception_int_div_zero 0
	.end_amdhsa_kernel
	.section	.text._ZN7rocprim17ROCPRIM_400000_NS6detail17trampoline_kernelINS0_14default_configENS1_35radix_sort_onesweep_config_selectorIiiEEZZNS1_29radix_sort_onesweep_iterationIS3_Lb0EN6thrust23THRUST_200600_302600_NS6detail15normal_iteratorINS8_10device_ptrIiEEEESD_SD_SD_jNS0_19identity_decomposerENS1_16block_id_wrapperIjLb1EEEEE10hipError_tT1_PNSt15iterator_traitsISI_E10value_typeET2_T3_PNSJ_ISO_E10value_typeET4_T5_PST_SU_PNS1_23onesweep_lookback_stateEbbT6_jjT7_P12ihipStream_tbENKUlT_T0_SI_SN_E_clISD_PiSD_S15_EEDaS11_S12_SI_SN_EUlS11_E_NS1_11comp_targetILNS1_3genE6ELNS1_11target_archE950ELNS1_3gpuE13ELNS1_3repE0EEENS1_47radix_sort_onesweep_sort_config_static_selectorELNS0_4arch9wavefront6targetE1EEEvSI_,"axG",@progbits,_ZN7rocprim17ROCPRIM_400000_NS6detail17trampoline_kernelINS0_14default_configENS1_35radix_sort_onesweep_config_selectorIiiEEZZNS1_29radix_sort_onesweep_iterationIS3_Lb0EN6thrust23THRUST_200600_302600_NS6detail15normal_iteratorINS8_10device_ptrIiEEEESD_SD_SD_jNS0_19identity_decomposerENS1_16block_id_wrapperIjLb1EEEEE10hipError_tT1_PNSt15iterator_traitsISI_E10value_typeET2_T3_PNSJ_ISO_E10value_typeET4_T5_PST_SU_PNS1_23onesweep_lookback_stateEbbT6_jjT7_P12ihipStream_tbENKUlT_T0_SI_SN_E_clISD_PiSD_S15_EEDaS11_S12_SI_SN_EUlS11_E_NS1_11comp_targetILNS1_3genE6ELNS1_11target_archE950ELNS1_3gpuE13ELNS1_3repE0EEENS1_47radix_sort_onesweep_sort_config_static_selectorELNS0_4arch9wavefront6targetE1EEEvSI_,comdat
.Lfunc_end1429:
	.size	_ZN7rocprim17ROCPRIM_400000_NS6detail17trampoline_kernelINS0_14default_configENS1_35radix_sort_onesweep_config_selectorIiiEEZZNS1_29radix_sort_onesweep_iterationIS3_Lb0EN6thrust23THRUST_200600_302600_NS6detail15normal_iteratorINS8_10device_ptrIiEEEESD_SD_SD_jNS0_19identity_decomposerENS1_16block_id_wrapperIjLb1EEEEE10hipError_tT1_PNSt15iterator_traitsISI_E10value_typeET2_T3_PNSJ_ISO_E10value_typeET4_T5_PST_SU_PNS1_23onesweep_lookback_stateEbbT6_jjT7_P12ihipStream_tbENKUlT_T0_SI_SN_E_clISD_PiSD_S15_EEDaS11_S12_SI_SN_EUlS11_E_NS1_11comp_targetILNS1_3genE6ELNS1_11target_archE950ELNS1_3gpuE13ELNS1_3repE0EEENS1_47radix_sort_onesweep_sort_config_static_selectorELNS0_4arch9wavefront6targetE1EEEvSI_, .Lfunc_end1429-_ZN7rocprim17ROCPRIM_400000_NS6detail17trampoline_kernelINS0_14default_configENS1_35radix_sort_onesweep_config_selectorIiiEEZZNS1_29radix_sort_onesweep_iterationIS3_Lb0EN6thrust23THRUST_200600_302600_NS6detail15normal_iteratorINS8_10device_ptrIiEEEESD_SD_SD_jNS0_19identity_decomposerENS1_16block_id_wrapperIjLb1EEEEE10hipError_tT1_PNSt15iterator_traitsISI_E10value_typeET2_T3_PNSJ_ISO_E10value_typeET4_T5_PST_SU_PNS1_23onesweep_lookback_stateEbbT6_jjT7_P12ihipStream_tbENKUlT_T0_SI_SN_E_clISD_PiSD_S15_EEDaS11_S12_SI_SN_EUlS11_E_NS1_11comp_targetILNS1_3genE6ELNS1_11target_archE950ELNS1_3gpuE13ELNS1_3repE0EEENS1_47radix_sort_onesweep_sort_config_static_selectorELNS0_4arch9wavefront6targetE1EEEvSI_
                                        ; -- End function
	.set _ZN7rocprim17ROCPRIM_400000_NS6detail17trampoline_kernelINS0_14default_configENS1_35radix_sort_onesweep_config_selectorIiiEEZZNS1_29radix_sort_onesweep_iterationIS3_Lb0EN6thrust23THRUST_200600_302600_NS6detail15normal_iteratorINS8_10device_ptrIiEEEESD_SD_SD_jNS0_19identity_decomposerENS1_16block_id_wrapperIjLb1EEEEE10hipError_tT1_PNSt15iterator_traitsISI_E10value_typeET2_T3_PNSJ_ISO_E10value_typeET4_T5_PST_SU_PNS1_23onesweep_lookback_stateEbbT6_jjT7_P12ihipStream_tbENKUlT_T0_SI_SN_E_clISD_PiSD_S15_EEDaS11_S12_SI_SN_EUlS11_E_NS1_11comp_targetILNS1_3genE6ELNS1_11target_archE950ELNS1_3gpuE13ELNS1_3repE0EEENS1_47radix_sort_onesweep_sort_config_static_selectorELNS0_4arch9wavefront6targetE1EEEvSI_.num_vgpr, 89
	.set _ZN7rocprim17ROCPRIM_400000_NS6detail17trampoline_kernelINS0_14default_configENS1_35radix_sort_onesweep_config_selectorIiiEEZZNS1_29radix_sort_onesweep_iterationIS3_Lb0EN6thrust23THRUST_200600_302600_NS6detail15normal_iteratorINS8_10device_ptrIiEEEESD_SD_SD_jNS0_19identity_decomposerENS1_16block_id_wrapperIjLb1EEEEE10hipError_tT1_PNSt15iterator_traitsISI_E10value_typeET2_T3_PNSJ_ISO_E10value_typeET4_T5_PST_SU_PNS1_23onesweep_lookback_stateEbbT6_jjT7_P12ihipStream_tbENKUlT_T0_SI_SN_E_clISD_PiSD_S15_EEDaS11_S12_SI_SN_EUlS11_E_NS1_11comp_targetILNS1_3genE6ELNS1_11target_archE950ELNS1_3gpuE13ELNS1_3repE0EEENS1_47radix_sort_onesweep_sort_config_static_selectorELNS0_4arch9wavefront6targetE1EEEvSI_.num_agpr, 0
	.set _ZN7rocprim17ROCPRIM_400000_NS6detail17trampoline_kernelINS0_14default_configENS1_35radix_sort_onesweep_config_selectorIiiEEZZNS1_29radix_sort_onesweep_iterationIS3_Lb0EN6thrust23THRUST_200600_302600_NS6detail15normal_iteratorINS8_10device_ptrIiEEEESD_SD_SD_jNS0_19identity_decomposerENS1_16block_id_wrapperIjLb1EEEEE10hipError_tT1_PNSt15iterator_traitsISI_E10value_typeET2_T3_PNSJ_ISO_E10value_typeET4_T5_PST_SU_PNS1_23onesweep_lookback_stateEbbT6_jjT7_P12ihipStream_tbENKUlT_T0_SI_SN_E_clISD_PiSD_S15_EEDaS11_S12_SI_SN_EUlS11_E_NS1_11comp_targetILNS1_3genE6ELNS1_11target_archE950ELNS1_3gpuE13ELNS1_3repE0EEENS1_47radix_sort_onesweep_sort_config_static_selectorELNS0_4arch9wavefront6targetE1EEEvSI_.numbered_sgpr, 73
	.set _ZN7rocprim17ROCPRIM_400000_NS6detail17trampoline_kernelINS0_14default_configENS1_35radix_sort_onesweep_config_selectorIiiEEZZNS1_29radix_sort_onesweep_iterationIS3_Lb0EN6thrust23THRUST_200600_302600_NS6detail15normal_iteratorINS8_10device_ptrIiEEEESD_SD_SD_jNS0_19identity_decomposerENS1_16block_id_wrapperIjLb1EEEEE10hipError_tT1_PNSt15iterator_traitsISI_E10value_typeET2_T3_PNSJ_ISO_E10value_typeET4_T5_PST_SU_PNS1_23onesweep_lookback_stateEbbT6_jjT7_P12ihipStream_tbENKUlT_T0_SI_SN_E_clISD_PiSD_S15_EEDaS11_S12_SI_SN_EUlS11_E_NS1_11comp_targetILNS1_3genE6ELNS1_11target_archE950ELNS1_3gpuE13ELNS1_3repE0EEENS1_47radix_sort_onesweep_sort_config_static_selectorELNS0_4arch9wavefront6targetE1EEEvSI_.num_named_barrier, 0
	.set _ZN7rocprim17ROCPRIM_400000_NS6detail17trampoline_kernelINS0_14default_configENS1_35radix_sort_onesweep_config_selectorIiiEEZZNS1_29radix_sort_onesweep_iterationIS3_Lb0EN6thrust23THRUST_200600_302600_NS6detail15normal_iteratorINS8_10device_ptrIiEEEESD_SD_SD_jNS0_19identity_decomposerENS1_16block_id_wrapperIjLb1EEEEE10hipError_tT1_PNSt15iterator_traitsISI_E10value_typeET2_T3_PNSJ_ISO_E10value_typeET4_T5_PST_SU_PNS1_23onesweep_lookback_stateEbbT6_jjT7_P12ihipStream_tbENKUlT_T0_SI_SN_E_clISD_PiSD_S15_EEDaS11_S12_SI_SN_EUlS11_E_NS1_11comp_targetILNS1_3genE6ELNS1_11target_archE950ELNS1_3gpuE13ELNS1_3repE0EEENS1_47radix_sort_onesweep_sort_config_static_selectorELNS0_4arch9wavefront6targetE1EEEvSI_.private_seg_size, 80
	.set _ZN7rocprim17ROCPRIM_400000_NS6detail17trampoline_kernelINS0_14default_configENS1_35radix_sort_onesweep_config_selectorIiiEEZZNS1_29radix_sort_onesweep_iterationIS3_Lb0EN6thrust23THRUST_200600_302600_NS6detail15normal_iteratorINS8_10device_ptrIiEEEESD_SD_SD_jNS0_19identity_decomposerENS1_16block_id_wrapperIjLb1EEEEE10hipError_tT1_PNSt15iterator_traitsISI_E10value_typeET2_T3_PNSJ_ISO_E10value_typeET4_T5_PST_SU_PNS1_23onesweep_lookback_stateEbbT6_jjT7_P12ihipStream_tbENKUlT_T0_SI_SN_E_clISD_PiSD_S15_EEDaS11_S12_SI_SN_EUlS11_E_NS1_11comp_targetILNS1_3genE6ELNS1_11target_archE950ELNS1_3gpuE13ELNS1_3repE0EEENS1_47radix_sort_onesweep_sort_config_static_selectorELNS0_4arch9wavefront6targetE1EEEvSI_.uses_vcc, 1
	.set _ZN7rocprim17ROCPRIM_400000_NS6detail17trampoline_kernelINS0_14default_configENS1_35radix_sort_onesweep_config_selectorIiiEEZZNS1_29radix_sort_onesweep_iterationIS3_Lb0EN6thrust23THRUST_200600_302600_NS6detail15normal_iteratorINS8_10device_ptrIiEEEESD_SD_SD_jNS0_19identity_decomposerENS1_16block_id_wrapperIjLb1EEEEE10hipError_tT1_PNSt15iterator_traitsISI_E10value_typeET2_T3_PNSJ_ISO_E10value_typeET4_T5_PST_SU_PNS1_23onesweep_lookback_stateEbbT6_jjT7_P12ihipStream_tbENKUlT_T0_SI_SN_E_clISD_PiSD_S15_EEDaS11_S12_SI_SN_EUlS11_E_NS1_11comp_targetILNS1_3genE6ELNS1_11target_archE950ELNS1_3gpuE13ELNS1_3repE0EEENS1_47radix_sort_onesweep_sort_config_static_selectorELNS0_4arch9wavefront6targetE1EEEvSI_.uses_flat_scratch, 0
	.set _ZN7rocprim17ROCPRIM_400000_NS6detail17trampoline_kernelINS0_14default_configENS1_35radix_sort_onesweep_config_selectorIiiEEZZNS1_29radix_sort_onesweep_iterationIS3_Lb0EN6thrust23THRUST_200600_302600_NS6detail15normal_iteratorINS8_10device_ptrIiEEEESD_SD_SD_jNS0_19identity_decomposerENS1_16block_id_wrapperIjLb1EEEEE10hipError_tT1_PNSt15iterator_traitsISI_E10value_typeET2_T3_PNSJ_ISO_E10value_typeET4_T5_PST_SU_PNS1_23onesweep_lookback_stateEbbT6_jjT7_P12ihipStream_tbENKUlT_T0_SI_SN_E_clISD_PiSD_S15_EEDaS11_S12_SI_SN_EUlS11_E_NS1_11comp_targetILNS1_3genE6ELNS1_11target_archE950ELNS1_3gpuE13ELNS1_3repE0EEENS1_47radix_sort_onesweep_sort_config_static_selectorELNS0_4arch9wavefront6targetE1EEEvSI_.has_dyn_sized_stack, 0
	.set _ZN7rocprim17ROCPRIM_400000_NS6detail17trampoline_kernelINS0_14default_configENS1_35radix_sort_onesweep_config_selectorIiiEEZZNS1_29radix_sort_onesweep_iterationIS3_Lb0EN6thrust23THRUST_200600_302600_NS6detail15normal_iteratorINS8_10device_ptrIiEEEESD_SD_SD_jNS0_19identity_decomposerENS1_16block_id_wrapperIjLb1EEEEE10hipError_tT1_PNSt15iterator_traitsISI_E10value_typeET2_T3_PNSJ_ISO_E10value_typeET4_T5_PST_SU_PNS1_23onesweep_lookback_stateEbbT6_jjT7_P12ihipStream_tbENKUlT_T0_SI_SN_E_clISD_PiSD_S15_EEDaS11_S12_SI_SN_EUlS11_E_NS1_11comp_targetILNS1_3genE6ELNS1_11target_archE950ELNS1_3gpuE13ELNS1_3repE0EEENS1_47radix_sort_onesweep_sort_config_static_selectorELNS0_4arch9wavefront6targetE1EEEvSI_.has_recursion, 0
	.set _ZN7rocprim17ROCPRIM_400000_NS6detail17trampoline_kernelINS0_14default_configENS1_35radix_sort_onesweep_config_selectorIiiEEZZNS1_29radix_sort_onesweep_iterationIS3_Lb0EN6thrust23THRUST_200600_302600_NS6detail15normal_iteratorINS8_10device_ptrIiEEEESD_SD_SD_jNS0_19identity_decomposerENS1_16block_id_wrapperIjLb1EEEEE10hipError_tT1_PNSt15iterator_traitsISI_E10value_typeET2_T3_PNSJ_ISO_E10value_typeET4_T5_PST_SU_PNS1_23onesweep_lookback_stateEbbT6_jjT7_P12ihipStream_tbENKUlT_T0_SI_SN_E_clISD_PiSD_S15_EEDaS11_S12_SI_SN_EUlS11_E_NS1_11comp_targetILNS1_3genE6ELNS1_11target_archE950ELNS1_3gpuE13ELNS1_3repE0EEENS1_47radix_sort_onesweep_sort_config_static_selectorELNS0_4arch9wavefront6targetE1EEEvSI_.has_indirect_call, 0
	.section	.AMDGPU.csdata,"",@progbits
; Kernel info:
; codeLenInByte = 22700
; TotalNumSgprs: 79
; NumVgprs: 89
; NumAgprs: 0
; TotalNumVgprs: 89
; ScratchSize: 80
; MemoryBound: 0
; FloatMode: 240
; IeeeMode: 1
; LDSByteSize: 20552 bytes/workgroup (compile time only)
; SGPRBlocks: 9
; VGPRBlocks: 11
; NumSGPRsForWavesPerEU: 79
; NumVGPRsForWavesPerEU: 89
; AccumOffset: 92
; Occupancy: 5
; WaveLimiterHint : 1
; COMPUTE_PGM_RSRC2:SCRATCH_EN: 1
; COMPUTE_PGM_RSRC2:USER_SGPR: 2
; COMPUTE_PGM_RSRC2:TRAP_HANDLER: 0
; COMPUTE_PGM_RSRC2:TGID_X_EN: 1
; COMPUTE_PGM_RSRC2:TGID_Y_EN: 0
; COMPUTE_PGM_RSRC2:TGID_Z_EN: 0
; COMPUTE_PGM_RSRC2:TIDIG_COMP_CNT: 2
; COMPUTE_PGM_RSRC3_GFX90A:ACCUM_OFFSET: 22
; COMPUTE_PGM_RSRC3_GFX90A:TG_SPLIT: 0
	.section	.text._ZN7rocprim17ROCPRIM_400000_NS6detail17trampoline_kernelINS0_14default_configENS1_35radix_sort_onesweep_config_selectorIiiEEZZNS1_29radix_sort_onesweep_iterationIS3_Lb0EN6thrust23THRUST_200600_302600_NS6detail15normal_iteratorINS8_10device_ptrIiEEEESD_SD_SD_jNS0_19identity_decomposerENS1_16block_id_wrapperIjLb1EEEEE10hipError_tT1_PNSt15iterator_traitsISI_E10value_typeET2_T3_PNSJ_ISO_E10value_typeET4_T5_PST_SU_PNS1_23onesweep_lookback_stateEbbT6_jjT7_P12ihipStream_tbENKUlT_T0_SI_SN_E_clISD_PiSD_S15_EEDaS11_S12_SI_SN_EUlS11_E_NS1_11comp_targetILNS1_3genE5ELNS1_11target_archE942ELNS1_3gpuE9ELNS1_3repE0EEENS1_47radix_sort_onesweep_sort_config_static_selectorELNS0_4arch9wavefront6targetE1EEEvSI_,"axG",@progbits,_ZN7rocprim17ROCPRIM_400000_NS6detail17trampoline_kernelINS0_14default_configENS1_35radix_sort_onesweep_config_selectorIiiEEZZNS1_29radix_sort_onesweep_iterationIS3_Lb0EN6thrust23THRUST_200600_302600_NS6detail15normal_iteratorINS8_10device_ptrIiEEEESD_SD_SD_jNS0_19identity_decomposerENS1_16block_id_wrapperIjLb1EEEEE10hipError_tT1_PNSt15iterator_traitsISI_E10value_typeET2_T3_PNSJ_ISO_E10value_typeET4_T5_PST_SU_PNS1_23onesweep_lookback_stateEbbT6_jjT7_P12ihipStream_tbENKUlT_T0_SI_SN_E_clISD_PiSD_S15_EEDaS11_S12_SI_SN_EUlS11_E_NS1_11comp_targetILNS1_3genE5ELNS1_11target_archE942ELNS1_3gpuE9ELNS1_3repE0EEENS1_47radix_sort_onesweep_sort_config_static_selectorELNS0_4arch9wavefront6targetE1EEEvSI_,comdat
	.protected	_ZN7rocprim17ROCPRIM_400000_NS6detail17trampoline_kernelINS0_14default_configENS1_35radix_sort_onesweep_config_selectorIiiEEZZNS1_29radix_sort_onesweep_iterationIS3_Lb0EN6thrust23THRUST_200600_302600_NS6detail15normal_iteratorINS8_10device_ptrIiEEEESD_SD_SD_jNS0_19identity_decomposerENS1_16block_id_wrapperIjLb1EEEEE10hipError_tT1_PNSt15iterator_traitsISI_E10value_typeET2_T3_PNSJ_ISO_E10value_typeET4_T5_PST_SU_PNS1_23onesweep_lookback_stateEbbT6_jjT7_P12ihipStream_tbENKUlT_T0_SI_SN_E_clISD_PiSD_S15_EEDaS11_S12_SI_SN_EUlS11_E_NS1_11comp_targetILNS1_3genE5ELNS1_11target_archE942ELNS1_3gpuE9ELNS1_3repE0EEENS1_47radix_sort_onesweep_sort_config_static_selectorELNS0_4arch9wavefront6targetE1EEEvSI_ ; -- Begin function _ZN7rocprim17ROCPRIM_400000_NS6detail17trampoline_kernelINS0_14default_configENS1_35radix_sort_onesweep_config_selectorIiiEEZZNS1_29radix_sort_onesweep_iterationIS3_Lb0EN6thrust23THRUST_200600_302600_NS6detail15normal_iteratorINS8_10device_ptrIiEEEESD_SD_SD_jNS0_19identity_decomposerENS1_16block_id_wrapperIjLb1EEEEE10hipError_tT1_PNSt15iterator_traitsISI_E10value_typeET2_T3_PNSJ_ISO_E10value_typeET4_T5_PST_SU_PNS1_23onesweep_lookback_stateEbbT6_jjT7_P12ihipStream_tbENKUlT_T0_SI_SN_E_clISD_PiSD_S15_EEDaS11_S12_SI_SN_EUlS11_E_NS1_11comp_targetILNS1_3genE5ELNS1_11target_archE942ELNS1_3gpuE9ELNS1_3repE0EEENS1_47radix_sort_onesweep_sort_config_static_selectorELNS0_4arch9wavefront6targetE1EEEvSI_
	.globl	_ZN7rocprim17ROCPRIM_400000_NS6detail17trampoline_kernelINS0_14default_configENS1_35radix_sort_onesweep_config_selectorIiiEEZZNS1_29radix_sort_onesweep_iterationIS3_Lb0EN6thrust23THRUST_200600_302600_NS6detail15normal_iteratorINS8_10device_ptrIiEEEESD_SD_SD_jNS0_19identity_decomposerENS1_16block_id_wrapperIjLb1EEEEE10hipError_tT1_PNSt15iterator_traitsISI_E10value_typeET2_T3_PNSJ_ISO_E10value_typeET4_T5_PST_SU_PNS1_23onesweep_lookback_stateEbbT6_jjT7_P12ihipStream_tbENKUlT_T0_SI_SN_E_clISD_PiSD_S15_EEDaS11_S12_SI_SN_EUlS11_E_NS1_11comp_targetILNS1_3genE5ELNS1_11target_archE942ELNS1_3gpuE9ELNS1_3repE0EEENS1_47radix_sort_onesweep_sort_config_static_selectorELNS0_4arch9wavefront6targetE1EEEvSI_
	.p2align	8
	.type	_ZN7rocprim17ROCPRIM_400000_NS6detail17trampoline_kernelINS0_14default_configENS1_35radix_sort_onesweep_config_selectorIiiEEZZNS1_29radix_sort_onesweep_iterationIS3_Lb0EN6thrust23THRUST_200600_302600_NS6detail15normal_iteratorINS8_10device_ptrIiEEEESD_SD_SD_jNS0_19identity_decomposerENS1_16block_id_wrapperIjLb1EEEEE10hipError_tT1_PNSt15iterator_traitsISI_E10value_typeET2_T3_PNSJ_ISO_E10value_typeET4_T5_PST_SU_PNS1_23onesweep_lookback_stateEbbT6_jjT7_P12ihipStream_tbENKUlT_T0_SI_SN_E_clISD_PiSD_S15_EEDaS11_S12_SI_SN_EUlS11_E_NS1_11comp_targetILNS1_3genE5ELNS1_11target_archE942ELNS1_3gpuE9ELNS1_3repE0EEENS1_47radix_sort_onesweep_sort_config_static_selectorELNS0_4arch9wavefront6targetE1EEEvSI_,@function
_ZN7rocprim17ROCPRIM_400000_NS6detail17trampoline_kernelINS0_14default_configENS1_35radix_sort_onesweep_config_selectorIiiEEZZNS1_29radix_sort_onesweep_iterationIS3_Lb0EN6thrust23THRUST_200600_302600_NS6detail15normal_iteratorINS8_10device_ptrIiEEEESD_SD_SD_jNS0_19identity_decomposerENS1_16block_id_wrapperIjLb1EEEEE10hipError_tT1_PNSt15iterator_traitsISI_E10value_typeET2_T3_PNSJ_ISO_E10value_typeET4_T5_PST_SU_PNS1_23onesweep_lookback_stateEbbT6_jjT7_P12ihipStream_tbENKUlT_T0_SI_SN_E_clISD_PiSD_S15_EEDaS11_S12_SI_SN_EUlS11_E_NS1_11comp_targetILNS1_3genE5ELNS1_11target_archE942ELNS1_3gpuE9ELNS1_3repE0EEENS1_47radix_sort_onesweep_sort_config_static_selectorELNS0_4arch9wavefront6targetE1EEEvSI_: ; @_ZN7rocprim17ROCPRIM_400000_NS6detail17trampoline_kernelINS0_14default_configENS1_35radix_sort_onesweep_config_selectorIiiEEZZNS1_29radix_sort_onesweep_iterationIS3_Lb0EN6thrust23THRUST_200600_302600_NS6detail15normal_iteratorINS8_10device_ptrIiEEEESD_SD_SD_jNS0_19identity_decomposerENS1_16block_id_wrapperIjLb1EEEEE10hipError_tT1_PNSt15iterator_traitsISI_E10value_typeET2_T3_PNSJ_ISO_E10value_typeET4_T5_PST_SU_PNS1_23onesweep_lookback_stateEbbT6_jjT7_P12ihipStream_tbENKUlT_T0_SI_SN_E_clISD_PiSD_S15_EEDaS11_S12_SI_SN_EUlS11_E_NS1_11comp_targetILNS1_3genE5ELNS1_11target_archE942ELNS1_3gpuE9ELNS1_3repE0EEENS1_47radix_sort_onesweep_sort_config_static_selectorELNS0_4arch9wavefront6targetE1EEEvSI_
; %bb.0:
	.section	.rodata,"a",@progbits
	.p2align	6, 0x0
	.amdhsa_kernel _ZN7rocprim17ROCPRIM_400000_NS6detail17trampoline_kernelINS0_14default_configENS1_35radix_sort_onesweep_config_selectorIiiEEZZNS1_29radix_sort_onesweep_iterationIS3_Lb0EN6thrust23THRUST_200600_302600_NS6detail15normal_iteratorINS8_10device_ptrIiEEEESD_SD_SD_jNS0_19identity_decomposerENS1_16block_id_wrapperIjLb1EEEEE10hipError_tT1_PNSt15iterator_traitsISI_E10value_typeET2_T3_PNSJ_ISO_E10value_typeET4_T5_PST_SU_PNS1_23onesweep_lookback_stateEbbT6_jjT7_P12ihipStream_tbENKUlT_T0_SI_SN_E_clISD_PiSD_S15_EEDaS11_S12_SI_SN_EUlS11_E_NS1_11comp_targetILNS1_3genE5ELNS1_11target_archE942ELNS1_3gpuE9ELNS1_3repE0EEENS1_47radix_sort_onesweep_sort_config_static_selectorELNS0_4arch9wavefront6targetE1EEEvSI_
		.amdhsa_group_segment_fixed_size 0
		.amdhsa_private_segment_fixed_size 0
		.amdhsa_kernarg_size 88
		.amdhsa_user_sgpr_count 2
		.amdhsa_user_sgpr_dispatch_ptr 0
		.amdhsa_user_sgpr_queue_ptr 0
		.amdhsa_user_sgpr_kernarg_segment_ptr 1
		.amdhsa_user_sgpr_dispatch_id 0
		.amdhsa_user_sgpr_kernarg_preload_length 0
		.amdhsa_user_sgpr_kernarg_preload_offset 0
		.amdhsa_user_sgpr_private_segment_size 0
		.amdhsa_uses_dynamic_stack 0
		.amdhsa_enable_private_segment 0
		.amdhsa_system_sgpr_workgroup_id_x 1
		.amdhsa_system_sgpr_workgroup_id_y 0
		.amdhsa_system_sgpr_workgroup_id_z 0
		.amdhsa_system_sgpr_workgroup_info 0
		.amdhsa_system_vgpr_workitem_id 0
		.amdhsa_next_free_vgpr 1
		.amdhsa_next_free_sgpr 0
		.amdhsa_accum_offset 4
		.amdhsa_reserve_vcc 0
		.amdhsa_float_round_mode_32 0
		.amdhsa_float_round_mode_16_64 0
		.amdhsa_float_denorm_mode_32 3
		.amdhsa_float_denorm_mode_16_64 3
		.amdhsa_dx10_clamp 1
		.amdhsa_ieee_mode 1
		.amdhsa_fp16_overflow 0
		.amdhsa_tg_split 0
		.amdhsa_exception_fp_ieee_invalid_op 0
		.amdhsa_exception_fp_denorm_src 0
		.amdhsa_exception_fp_ieee_div_zero 0
		.amdhsa_exception_fp_ieee_overflow 0
		.amdhsa_exception_fp_ieee_underflow 0
		.amdhsa_exception_fp_ieee_inexact 0
		.amdhsa_exception_int_div_zero 0
	.end_amdhsa_kernel
	.section	.text._ZN7rocprim17ROCPRIM_400000_NS6detail17trampoline_kernelINS0_14default_configENS1_35radix_sort_onesweep_config_selectorIiiEEZZNS1_29radix_sort_onesweep_iterationIS3_Lb0EN6thrust23THRUST_200600_302600_NS6detail15normal_iteratorINS8_10device_ptrIiEEEESD_SD_SD_jNS0_19identity_decomposerENS1_16block_id_wrapperIjLb1EEEEE10hipError_tT1_PNSt15iterator_traitsISI_E10value_typeET2_T3_PNSJ_ISO_E10value_typeET4_T5_PST_SU_PNS1_23onesweep_lookback_stateEbbT6_jjT7_P12ihipStream_tbENKUlT_T0_SI_SN_E_clISD_PiSD_S15_EEDaS11_S12_SI_SN_EUlS11_E_NS1_11comp_targetILNS1_3genE5ELNS1_11target_archE942ELNS1_3gpuE9ELNS1_3repE0EEENS1_47radix_sort_onesweep_sort_config_static_selectorELNS0_4arch9wavefront6targetE1EEEvSI_,"axG",@progbits,_ZN7rocprim17ROCPRIM_400000_NS6detail17trampoline_kernelINS0_14default_configENS1_35radix_sort_onesweep_config_selectorIiiEEZZNS1_29radix_sort_onesweep_iterationIS3_Lb0EN6thrust23THRUST_200600_302600_NS6detail15normal_iteratorINS8_10device_ptrIiEEEESD_SD_SD_jNS0_19identity_decomposerENS1_16block_id_wrapperIjLb1EEEEE10hipError_tT1_PNSt15iterator_traitsISI_E10value_typeET2_T3_PNSJ_ISO_E10value_typeET4_T5_PST_SU_PNS1_23onesweep_lookback_stateEbbT6_jjT7_P12ihipStream_tbENKUlT_T0_SI_SN_E_clISD_PiSD_S15_EEDaS11_S12_SI_SN_EUlS11_E_NS1_11comp_targetILNS1_3genE5ELNS1_11target_archE942ELNS1_3gpuE9ELNS1_3repE0EEENS1_47radix_sort_onesweep_sort_config_static_selectorELNS0_4arch9wavefront6targetE1EEEvSI_,comdat
.Lfunc_end1430:
	.size	_ZN7rocprim17ROCPRIM_400000_NS6detail17trampoline_kernelINS0_14default_configENS1_35radix_sort_onesweep_config_selectorIiiEEZZNS1_29radix_sort_onesweep_iterationIS3_Lb0EN6thrust23THRUST_200600_302600_NS6detail15normal_iteratorINS8_10device_ptrIiEEEESD_SD_SD_jNS0_19identity_decomposerENS1_16block_id_wrapperIjLb1EEEEE10hipError_tT1_PNSt15iterator_traitsISI_E10value_typeET2_T3_PNSJ_ISO_E10value_typeET4_T5_PST_SU_PNS1_23onesweep_lookback_stateEbbT6_jjT7_P12ihipStream_tbENKUlT_T0_SI_SN_E_clISD_PiSD_S15_EEDaS11_S12_SI_SN_EUlS11_E_NS1_11comp_targetILNS1_3genE5ELNS1_11target_archE942ELNS1_3gpuE9ELNS1_3repE0EEENS1_47radix_sort_onesweep_sort_config_static_selectorELNS0_4arch9wavefront6targetE1EEEvSI_, .Lfunc_end1430-_ZN7rocprim17ROCPRIM_400000_NS6detail17trampoline_kernelINS0_14default_configENS1_35radix_sort_onesweep_config_selectorIiiEEZZNS1_29radix_sort_onesweep_iterationIS3_Lb0EN6thrust23THRUST_200600_302600_NS6detail15normal_iteratorINS8_10device_ptrIiEEEESD_SD_SD_jNS0_19identity_decomposerENS1_16block_id_wrapperIjLb1EEEEE10hipError_tT1_PNSt15iterator_traitsISI_E10value_typeET2_T3_PNSJ_ISO_E10value_typeET4_T5_PST_SU_PNS1_23onesweep_lookback_stateEbbT6_jjT7_P12ihipStream_tbENKUlT_T0_SI_SN_E_clISD_PiSD_S15_EEDaS11_S12_SI_SN_EUlS11_E_NS1_11comp_targetILNS1_3genE5ELNS1_11target_archE942ELNS1_3gpuE9ELNS1_3repE0EEENS1_47radix_sort_onesweep_sort_config_static_selectorELNS0_4arch9wavefront6targetE1EEEvSI_
                                        ; -- End function
	.set _ZN7rocprim17ROCPRIM_400000_NS6detail17trampoline_kernelINS0_14default_configENS1_35radix_sort_onesweep_config_selectorIiiEEZZNS1_29radix_sort_onesweep_iterationIS3_Lb0EN6thrust23THRUST_200600_302600_NS6detail15normal_iteratorINS8_10device_ptrIiEEEESD_SD_SD_jNS0_19identity_decomposerENS1_16block_id_wrapperIjLb1EEEEE10hipError_tT1_PNSt15iterator_traitsISI_E10value_typeET2_T3_PNSJ_ISO_E10value_typeET4_T5_PST_SU_PNS1_23onesweep_lookback_stateEbbT6_jjT7_P12ihipStream_tbENKUlT_T0_SI_SN_E_clISD_PiSD_S15_EEDaS11_S12_SI_SN_EUlS11_E_NS1_11comp_targetILNS1_3genE5ELNS1_11target_archE942ELNS1_3gpuE9ELNS1_3repE0EEENS1_47radix_sort_onesweep_sort_config_static_selectorELNS0_4arch9wavefront6targetE1EEEvSI_.num_vgpr, 0
	.set _ZN7rocprim17ROCPRIM_400000_NS6detail17trampoline_kernelINS0_14default_configENS1_35radix_sort_onesweep_config_selectorIiiEEZZNS1_29radix_sort_onesweep_iterationIS3_Lb0EN6thrust23THRUST_200600_302600_NS6detail15normal_iteratorINS8_10device_ptrIiEEEESD_SD_SD_jNS0_19identity_decomposerENS1_16block_id_wrapperIjLb1EEEEE10hipError_tT1_PNSt15iterator_traitsISI_E10value_typeET2_T3_PNSJ_ISO_E10value_typeET4_T5_PST_SU_PNS1_23onesweep_lookback_stateEbbT6_jjT7_P12ihipStream_tbENKUlT_T0_SI_SN_E_clISD_PiSD_S15_EEDaS11_S12_SI_SN_EUlS11_E_NS1_11comp_targetILNS1_3genE5ELNS1_11target_archE942ELNS1_3gpuE9ELNS1_3repE0EEENS1_47radix_sort_onesweep_sort_config_static_selectorELNS0_4arch9wavefront6targetE1EEEvSI_.num_agpr, 0
	.set _ZN7rocprim17ROCPRIM_400000_NS6detail17trampoline_kernelINS0_14default_configENS1_35radix_sort_onesweep_config_selectorIiiEEZZNS1_29radix_sort_onesweep_iterationIS3_Lb0EN6thrust23THRUST_200600_302600_NS6detail15normal_iteratorINS8_10device_ptrIiEEEESD_SD_SD_jNS0_19identity_decomposerENS1_16block_id_wrapperIjLb1EEEEE10hipError_tT1_PNSt15iterator_traitsISI_E10value_typeET2_T3_PNSJ_ISO_E10value_typeET4_T5_PST_SU_PNS1_23onesweep_lookback_stateEbbT6_jjT7_P12ihipStream_tbENKUlT_T0_SI_SN_E_clISD_PiSD_S15_EEDaS11_S12_SI_SN_EUlS11_E_NS1_11comp_targetILNS1_3genE5ELNS1_11target_archE942ELNS1_3gpuE9ELNS1_3repE0EEENS1_47radix_sort_onesweep_sort_config_static_selectorELNS0_4arch9wavefront6targetE1EEEvSI_.numbered_sgpr, 0
	.set _ZN7rocprim17ROCPRIM_400000_NS6detail17trampoline_kernelINS0_14default_configENS1_35radix_sort_onesweep_config_selectorIiiEEZZNS1_29radix_sort_onesweep_iterationIS3_Lb0EN6thrust23THRUST_200600_302600_NS6detail15normal_iteratorINS8_10device_ptrIiEEEESD_SD_SD_jNS0_19identity_decomposerENS1_16block_id_wrapperIjLb1EEEEE10hipError_tT1_PNSt15iterator_traitsISI_E10value_typeET2_T3_PNSJ_ISO_E10value_typeET4_T5_PST_SU_PNS1_23onesweep_lookback_stateEbbT6_jjT7_P12ihipStream_tbENKUlT_T0_SI_SN_E_clISD_PiSD_S15_EEDaS11_S12_SI_SN_EUlS11_E_NS1_11comp_targetILNS1_3genE5ELNS1_11target_archE942ELNS1_3gpuE9ELNS1_3repE0EEENS1_47radix_sort_onesweep_sort_config_static_selectorELNS0_4arch9wavefront6targetE1EEEvSI_.num_named_barrier, 0
	.set _ZN7rocprim17ROCPRIM_400000_NS6detail17trampoline_kernelINS0_14default_configENS1_35radix_sort_onesweep_config_selectorIiiEEZZNS1_29radix_sort_onesweep_iterationIS3_Lb0EN6thrust23THRUST_200600_302600_NS6detail15normal_iteratorINS8_10device_ptrIiEEEESD_SD_SD_jNS0_19identity_decomposerENS1_16block_id_wrapperIjLb1EEEEE10hipError_tT1_PNSt15iterator_traitsISI_E10value_typeET2_T3_PNSJ_ISO_E10value_typeET4_T5_PST_SU_PNS1_23onesweep_lookback_stateEbbT6_jjT7_P12ihipStream_tbENKUlT_T0_SI_SN_E_clISD_PiSD_S15_EEDaS11_S12_SI_SN_EUlS11_E_NS1_11comp_targetILNS1_3genE5ELNS1_11target_archE942ELNS1_3gpuE9ELNS1_3repE0EEENS1_47radix_sort_onesweep_sort_config_static_selectorELNS0_4arch9wavefront6targetE1EEEvSI_.private_seg_size, 0
	.set _ZN7rocprim17ROCPRIM_400000_NS6detail17trampoline_kernelINS0_14default_configENS1_35radix_sort_onesweep_config_selectorIiiEEZZNS1_29radix_sort_onesweep_iterationIS3_Lb0EN6thrust23THRUST_200600_302600_NS6detail15normal_iteratorINS8_10device_ptrIiEEEESD_SD_SD_jNS0_19identity_decomposerENS1_16block_id_wrapperIjLb1EEEEE10hipError_tT1_PNSt15iterator_traitsISI_E10value_typeET2_T3_PNSJ_ISO_E10value_typeET4_T5_PST_SU_PNS1_23onesweep_lookback_stateEbbT6_jjT7_P12ihipStream_tbENKUlT_T0_SI_SN_E_clISD_PiSD_S15_EEDaS11_S12_SI_SN_EUlS11_E_NS1_11comp_targetILNS1_3genE5ELNS1_11target_archE942ELNS1_3gpuE9ELNS1_3repE0EEENS1_47radix_sort_onesweep_sort_config_static_selectorELNS0_4arch9wavefront6targetE1EEEvSI_.uses_vcc, 0
	.set _ZN7rocprim17ROCPRIM_400000_NS6detail17trampoline_kernelINS0_14default_configENS1_35radix_sort_onesweep_config_selectorIiiEEZZNS1_29radix_sort_onesweep_iterationIS3_Lb0EN6thrust23THRUST_200600_302600_NS6detail15normal_iteratorINS8_10device_ptrIiEEEESD_SD_SD_jNS0_19identity_decomposerENS1_16block_id_wrapperIjLb1EEEEE10hipError_tT1_PNSt15iterator_traitsISI_E10value_typeET2_T3_PNSJ_ISO_E10value_typeET4_T5_PST_SU_PNS1_23onesweep_lookback_stateEbbT6_jjT7_P12ihipStream_tbENKUlT_T0_SI_SN_E_clISD_PiSD_S15_EEDaS11_S12_SI_SN_EUlS11_E_NS1_11comp_targetILNS1_3genE5ELNS1_11target_archE942ELNS1_3gpuE9ELNS1_3repE0EEENS1_47radix_sort_onesweep_sort_config_static_selectorELNS0_4arch9wavefront6targetE1EEEvSI_.uses_flat_scratch, 0
	.set _ZN7rocprim17ROCPRIM_400000_NS6detail17trampoline_kernelINS0_14default_configENS1_35radix_sort_onesweep_config_selectorIiiEEZZNS1_29radix_sort_onesweep_iterationIS3_Lb0EN6thrust23THRUST_200600_302600_NS6detail15normal_iteratorINS8_10device_ptrIiEEEESD_SD_SD_jNS0_19identity_decomposerENS1_16block_id_wrapperIjLb1EEEEE10hipError_tT1_PNSt15iterator_traitsISI_E10value_typeET2_T3_PNSJ_ISO_E10value_typeET4_T5_PST_SU_PNS1_23onesweep_lookback_stateEbbT6_jjT7_P12ihipStream_tbENKUlT_T0_SI_SN_E_clISD_PiSD_S15_EEDaS11_S12_SI_SN_EUlS11_E_NS1_11comp_targetILNS1_3genE5ELNS1_11target_archE942ELNS1_3gpuE9ELNS1_3repE0EEENS1_47radix_sort_onesweep_sort_config_static_selectorELNS0_4arch9wavefront6targetE1EEEvSI_.has_dyn_sized_stack, 0
	.set _ZN7rocprim17ROCPRIM_400000_NS6detail17trampoline_kernelINS0_14default_configENS1_35radix_sort_onesweep_config_selectorIiiEEZZNS1_29radix_sort_onesweep_iterationIS3_Lb0EN6thrust23THRUST_200600_302600_NS6detail15normal_iteratorINS8_10device_ptrIiEEEESD_SD_SD_jNS0_19identity_decomposerENS1_16block_id_wrapperIjLb1EEEEE10hipError_tT1_PNSt15iterator_traitsISI_E10value_typeET2_T3_PNSJ_ISO_E10value_typeET4_T5_PST_SU_PNS1_23onesweep_lookback_stateEbbT6_jjT7_P12ihipStream_tbENKUlT_T0_SI_SN_E_clISD_PiSD_S15_EEDaS11_S12_SI_SN_EUlS11_E_NS1_11comp_targetILNS1_3genE5ELNS1_11target_archE942ELNS1_3gpuE9ELNS1_3repE0EEENS1_47radix_sort_onesweep_sort_config_static_selectorELNS0_4arch9wavefront6targetE1EEEvSI_.has_recursion, 0
	.set _ZN7rocprim17ROCPRIM_400000_NS6detail17trampoline_kernelINS0_14default_configENS1_35radix_sort_onesweep_config_selectorIiiEEZZNS1_29radix_sort_onesweep_iterationIS3_Lb0EN6thrust23THRUST_200600_302600_NS6detail15normal_iteratorINS8_10device_ptrIiEEEESD_SD_SD_jNS0_19identity_decomposerENS1_16block_id_wrapperIjLb1EEEEE10hipError_tT1_PNSt15iterator_traitsISI_E10value_typeET2_T3_PNSJ_ISO_E10value_typeET4_T5_PST_SU_PNS1_23onesweep_lookback_stateEbbT6_jjT7_P12ihipStream_tbENKUlT_T0_SI_SN_E_clISD_PiSD_S15_EEDaS11_S12_SI_SN_EUlS11_E_NS1_11comp_targetILNS1_3genE5ELNS1_11target_archE942ELNS1_3gpuE9ELNS1_3repE0EEENS1_47radix_sort_onesweep_sort_config_static_selectorELNS0_4arch9wavefront6targetE1EEEvSI_.has_indirect_call, 0
	.section	.AMDGPU.csdata,"",@progbits
; Kernel info:
; codeLenInByte = 0
; TotalNumSgprs: 6
; NumVgprs: 0
; NumAgprs: 0
; TotalNumVgprs: 0
; ScratchSize: 0
; MemoryBound: 0
; FloatMode: 240
; IeeeMode: 1
; LDSByteSize: 0 bytes/workgroup (compile time only)
; SGPRBlocks: 0
; VGPRBlocks: 0
; NumSGPRsForWavesPerEU: 6
; NumVGPRsForWavesPerEU: 1
; AccumOffset: 4
; Occupancy: 8
; WaveLimiterHint : 0
; COMPUTE_PGM_RSRC2:SCRATCH_EN: 0
; COMPUTE_PGM_RSRC2:USER_SGPR: 2
; COMPUTE_PGM_RSRC2:TRAP_HANDLER: 0
; COMPUTE_PGM_RSRC2:TGID_X_EN: 1
; COMPUTE_PGM_RSRC2:TGID_Y_EN: 0
; COMPUTE_PGM_RSRC2:TGID_Z_EN: 0
; COMPUTE_PGM_RSRC2:TIDIG_COMP_CNT: 0
; COMPUTE_PGM_RSRC3_GFX90A:ACCUM_OFFSET: 0
; COMPUTE_PGM_RSRC3_GFX90A:TG_SPLIT: 0
	.section	.text._ZN7rocprim17ROCPRIM_400000_NS6detail17trampoline_kernelINS0_14default_configENS1_35radix_sort_onesweep_config_selectorIiiEEZZNS1_29radix_sort_onesweep_iterationIS3_Lb0EN6thrust23THRUST_200600_302600_NS6detail15normal_iteratorINS8_10device_ptrIiEEEESD_SD_SD_jNS0_19identity_decomposerENS1_16block_id_wrapperIjLb1EEEEE10hipError_tT1_PNSt15iterator_traitsISI_E10value_typeET2_T3_PNSJ_ISO_E10value_typeET4_T5_PST_SU_PNS1_23onesweep_lookback_stateEbbT6_jjT7_P12ihipStream_tbENKUlT_T0_SI_SN_E_clISD_PiSD_S15_EEDaS11_S12_SI_SN_EUlS11_E_NS1_11comp_targetILNS1_3genE2ELNS1_11target_archE906ELNS1_3gpuE6ELNS1_3repE0EEENS1_47radix_sort_onesweep_sort_config_static_selectorELNS0_4arch9wavefront6targetE1EEEvSI_,"axG",@progbits,_ZN7rocprim17ROCPRIM_400000_NS6detail17trampoline_kernelINS0_14default_configENS1_35radix_sort_onesweep_config_selectorIiiEEZZNS1_29radix_sort_onesweep_iterationIS3_Lb0EN6thrust23THRUST_200600_302600_NS6detail15normal_iteratorINS8_10device_ptrIiEEEESD_SD_SD_jNS0_19identity_decomposerENS1_16block_id_wrapperIjLb1EEEEE10hipError_tT1_PNSt15iterator_traitsISI_E10value_typeET2_T3_PNSJ_ISO_E10value_typeET4_T5_PST_SU_PNS1_23onesweep_lookback_stateEbbT6_jjT7_P12ihipStream_tbENKUlT_T0_SI_SN_E_clISD_PiSD_S15_EEDaS11_S12_SI_SN_EUlS11_E_NS1_11comp_targetILNS1_3genE2ELNS1_11target_archE906ELNS1_3gpuE6ELNS1_3repE0EEENS1_47radix_sort_onesweep_sort_config_static_selectorELNS0_4arch9wavefront6targetE1EEEvSI_,comdat
	.protected	_ZN7rocprim17ROCPRIM_400000_NS6detail17trampoline_kernelINS0_14default_configENS1_35radix_sort_onesweep_config_selectorIiiEEZZNS1_29radix_sort_onesweep_iterationIS3_Lb0EN6thrust23THRUST_200600_302600_NS6detail15normal_iteratorINS8_10device_ptrIiEEEESD_SD_SD_jNS0_19identity_decomposerENS1_16block_id_wrapperIjLb1EEEEE10hipError_tT1_PNSt15iterator_traitsISI_E10value_typeET2_T3_PNSJ_ISO_E10value_typeET4_T5_PST_SU_PNS1_23onesweep_lookback_stateEbbT6_jjT7_P12ihipStream_tbENKUlT_T0_SI_SN_E_clISD_PiSD_S15_EEDaS11_S12_SI_SN_EUlS11_E_NS1_11comp_targetILNS1_3genE2ELNS1_11target_archE906ELNS1_3gpuE6ELNS1_3repE0EEENS1_47radix_sort_onesweep_sort_config_static_selectorELNS0_4arch9wavefront6targetE1EEEvSI_ ; -- Begin function _ZN7rocprim17ROCPRIM_400000_NS6detail17trampoline_kernelINS0_14default_configENS1_35radix_sort_onesweep_config_selectorIiiEEZZNS1_29radix_sort_onesweep_iterationIS3_Lb0EN6thrust23THRUST_200600_302600_NS6detail15normal_iteratorINS8_10device_ptrIiEEEESD_SD_SD_jNS0_19identity_decomposerENS1_16block_id_wrapperIjLb1EEEEE10hipError_tT1_PNSt15iterator_traitsISI_E10value_typeET2_T3_PNSJ_ISO_E10value_typeET4_T5_PST_SU_PNS1_23onesweep_lookback_stateEbbT6_jjT7_P12ihipStream_tbENKUlT_T0_SI_SN_E_clISD_PiSD_S15_EEDaS11_S12_SI_SN_EUlS11_E_NS1_11comp_targetILNS1_3genE2ELNS1_11target_archE906ELNS1_3gpuE6ELNS1_3repE0EEENS1_47radix_sort_onesweep_sort_config_static_selectorELNS0_4arch9wavefront6targetE1EEEvSI_
	.globl	_ZN7rocprim17ROCPRIM_400000_NS6detail17trampoline_kernelINS0_14default_configENS1_35radix_sort_onesweep_config_selectorIiiEEZZNS1_29radix_sort_onesweep_iterationIS3_Lb0EN6thrust23THRUST_200600_302600_NS6detail15normal_iteratorINS8_10device_ptrIiEEEESD_SD_SD_jNS0_19identity_decomposerENS1_16block_id_wrapperIjLb1EEEEE10hipError_tT1_PNSt15iterator_traitsISI_E10value_typeET2_T3_PNSJ_ISO_E10value_typeET4_T5_PST_SU_PNS1_23onesweep_lookback_stateEbbT6_jjT7_P12ihipStream_tbENKUlT_T0_SI_SN_E_clISD_PiSD_S15_EEDaS11_S12_SI_SN_EUlS11_E_NS1_11comp_targetILNS1_3genE2ELNS1_11target_archE906ELNS1_3gpuE6ELNS1_3repE0EEENS1_47radix_sort_onesweep_sort_config_static_selectorELNS0_4arch9wavefront6targetE1EEEvSI_
	.p2align	8
	.type	_ZN7rocprim17ROCPRIM_400000_NS6detail17trampoline_kernelINS0_14default_configENS1_35radix_sort_onesweep_config_selectorIiiEEZZNS1_29radix_sort_onesweep_iterationIS3_Lb0EN6thrust23THRUST_200600_302600_NS6detail15normal_iteratorINS8_10device_ptrIiEEEESD_SD_SD_jNS0_19identity_decomposerENS1_16block_id_wrapperIjLb1EEEEE10hipError_tT1_PNSt15iterator_traitsISI_E10value_typeET2_T3_PNSJ_ISO_E10value_typeET4_T5_PST_SU_PNS1_23onesweep_lookback_stateEbbT6_jjT7_P12ihipStream_tbENKUlT_T0_SI_SN_E_clISD_PiSD_S15_EEDaS11_S12_SI_SN_EUlS11_E_NS1_11comp_targetILNS1_3genE2ELNS1_11target_archE906ELNS1_3gpuE6ELNS1_3repE0EEENS1_47radix_sort_onesweep_sort_config_static_selectorELNS0_4arch9wavefront6targetE1EEEvSI_,@function
_ZN7rocprim17ROCPRIM_400000_NS6detail17trampoline_kernelINS0_14default_configENS1_35radix_sort_onesweep_config_selectorIiiEEZZNS1_29radix_sort_onesweep_iterationIS3_Lb0EN6thrust23THRUST_200600_302600_NS6detail15normal_iteratorINS8_10device_ptrIiEEEESD_SD_SD_jNS0_19identity_decomposerENS1_16block_id_wrapperIjLb1EEEEE10hipError_tT1_PNSt15iterator_traitsISI_E10value_typeET2_T3_PNSJ_ISO_E10value_typeET4_T5_PST_SU_PNS1_23onesweep_lookback_stateEbbT6_jjT7_P12ihipStream_tbENKUlT_T0_SI_SN_E_clISD_PiSD_S15_EEDaS11_S12_SI_SN_EUlS11_E_NS1_11comp_targetILNS1_3genE2ELNS1_11target_archE906ELNS1_3gpuE6ELNS1_3repE0EEENS1_47radix_sort_onesweep_sort_config_static_selectorELNS0_4arch9wavefront6targetE1EEEvSI_: ; @_ZN7rocprim17ROCPRIM_400000_NS6detail17trampoline_kernelINS0_14default_configENS1_35radix_sort_onesweep_config_selectorIiiEEZZNS1_29radix_sort_onesweep_iterationIS3_Lb0EN6thrust23THRUST_200600_302600_NS6detail15normal_iteratorINS8_10device_ptrIiEEEESD_SD_SD_jNS0_19identity_decomposerENS1_16block_id_wrapperIjLb1EEEEE10hipError_tT1_PNSt15iterator_traitsISI_E10value_typeET2_T3_PNSJ_ISO_E10value_typeET4_T5_PST_SU_PNS1_23onesweep_lookback_stateEbbT6_jjT7_P12ihipStream_tbENKUlT_T0_SI_SN_E_clISD_PiSD_S15_EEDaS11_S12_SI_SN_EUlS11_E_NS1_11comp_targetILNS1_3genE2ELNS1_11target_archE906ELNS1_3gpuE6ELNS1_3repE0EEENS1_47radix_sort_onesweep_sort_config_static_selectorELNS0_4arch9wavefront6targetE1EEEvSI_
; %bb.0:
	.section	.rodata,"a",@progbits
	.p2align	6, 0x0
	.amdhsa_kernel _ZN7rocprim17ROCPRIM_400000_NS6detail17trampoline_kernelINS0_14default_configENS1_35radix_sort_onesweep_config_selectorIiiEEZZNS1_29radix_sort_onesweep_iterationIS3_Lb0EN6thrust23THRUST_200600_302600_NS6detail15normal_iteratorINS8_10device_ptrIiEEEESD_SD_SD_jNS0_19identity_decomposerENS1_16block_id_wrapperIjLb1EEEEE10hipError_tT1_PNSt15iterator_traitsISI_E10value_typeET2_T3_PNSJ_ISO_E10value_typeET4_T5_PST_SU_PNS1_23onesweep_lookback_stateEbbT6_jjT7_P12ihipStream_tbENKUlT_T0_SI_SN_E_clISD_PiSD_S15_EEDaS11_S12_SI_SN_EUlS11_E_NS1_11comp_targetILNS1_3genE2ELNS1_11target_archE906ELNS1_3gpuE6ELNS1_3repE0EEENS1_47radix_sort_onesweep_sort_config_static_selectorELNS0_4arch9wavefront6targetE1EEEvSI_
		.amdhsa_group_segment_fixed_size 0
		.amdhsa_private_segment_fixed_size 0
		.amdhsa_kernarg_size 88
		.amdhsa_user_sgpr_count 2
		.amdhsa_user_sgpr_dispatch_ptr 0
		.amdhsa_user_sgpr_queue_ptr 0
		.amdhsa_user_sgpr_kernarg_segment_ptr 1
		.amdhsa_user_sgpr_dispatch_id 0
		.amdhsa_user_sgpr_kernarg_preload_length 0
		.amdhsa_user_sgpr_kernarg_preload_offset 0
		.amdhsa_user_sgpr_private_segment_size 0
		.amdhsa_uses_dynamic_stack 0
		.amdhsa_enable_private_segment 0
		.amdhsa_system_sgpr_workgroup_id_x 1
		.amdhsa_system_sgpr_workgroup_id_y 0
		.amdhsa_system_sgpr_workgroup_id_z 0
		.amdhsa_system_sgpr_workgroup_info 0
		.amdhsa_system_vgpr_workitem_id 0
		.amdhsa_next_free_vgpr 1
		.amdhsa_next_free_sgpr 0
		.amdhsa_accum_offset 4
		.amdhsa_reserve_vcc 0
		.amdhsa_float_round_mode_32 0
		.amdhsa_float_round_mode_16_64 0
		.amdhsa_float_denorm_mode_32 3
		.amdhsa_float_denorm_mode_16_64 3
		.amdhsa_dx10_clamp 1
		.amdhsa_ieee_mode 1
		.amdhsa_fp16_overflow 0
		.amdhsa_tg_split 0
		.amdhsa_exception_fp_ieee_invalid_op 0
		.amdhsa_exception_fp_denorm_src 0
		.amdhsa_exception_fp_ieee_div_zero 0
		.amdhsa_exception_fp_ieee_overflow 0
		.amdhsa_exception_fp_ieee_underflow 0
		.amdhsa_exception_fp_ieee_inexact 0
		.amdhsa_exception_int_div_zero 0
	.end_amdhsa_kernel
	.section	.text._ZN7rocprim17ROCPRIM_400000_NS6detail17trampoline_kernelINS0_14default_configENS1_35radix_sort_onesweep_config_selectorIiiEEZZNS1_29radix_sort_onesweep_iterationIS3_Lb0EN6thrust23THRUST_200600_302600_NS6detail15normal_iteratorINS8_10device_ptrIiEEEESD_SD_SD_jNS0_19identity_decomposerENS1_16block_id_wrapperIjLb1EEEEE10hipError_tT1_PNSt15iterator_traitsISI_E10value_typeET2_T3_PNSJ_ISO_E10value_typeET4_T5_PST_SU_PNS1_23onesweep_lookback_stateEbbT6_jjT7_P12ihipStream_tbENKUlT_T0_SI_SN_E_clISD_PiSD_S15_EEDaS11_S12_SI_SN_EUlS11_E_NS1_11comp_targetILNS1_3genE2ELNS1_11target_archE906ELNS1_3gpuE6ELNS1_3repE0EEENS1_47radix_sort_onesweep_sort_config_static_selectorELNS0_4arch9wavefront6targetE1EEEvSI_,"axG",@progbits,_ZN7rocprim17ROCPRIM_400000_NS6detail17trampoline_kernelINS0_14default_configENS1_35radix_sort_onesweep_config_selectorIiiEEZZNS1_29radix_sort_onesweep_iterationIS3_Lb0EN6thrust23THRUST_200600_302600_NS6detail15normal_iteratorINS8_10device_ptrIiEEEESD_SD_SD_jNS0_19identity_decomposerENS1_16block_id_wrapperIjLb1EEEEE10hipError_tT1_PNSt15iterator_traitsISI_E10value_typeET2_T3_PNSJ_ISO_E10value_typeET4_T5_PST_SU_PNS1_23onesweep_lookback_stateEbbT6_jjT7_P12ihipStream_tbENKUlT_T0_SI_SN_E_clISD_PiSD_S15_EEDaS11_S12_SI_SN_EUlS11_E_NS1_11comp_targetILNS1_3genE2ELNS1_11target_archE906ELNS1_3gpuE6ELNS1_3repE0EEENS1_47radix_sort_onesweep_sort_config_static_selectorELNS0_4arch9wavefront6targetE1EEEvSI_,comdat
.Lfunc_end1431:
	.size	_ZN7rocprim17ROCPRIM_400000_NS6detail17trampoline_kernelINS0_14default_configENS1_35radix_sort_onesweep_config_selectorIiiEEZZNS1_29radix_sort_onesweep_iterationIS3_Lb0EN6thrust23THRUST_200600_302600_NS6detail15normal_iteratorINS8_10device_ptrIiEEEESD_SD_SD_jNS0_19identity_decomposerENS1_16block_id_wrapperIjLb1EEEEE10hipError_tT1_PNSt15iterator_traitsISI_E10value_typeET2_T3_PNSJ_ISO_E10value_typeET4_T5_PST_SU_PNS1_23onesweep_lookback_stateEbbT6_jjT7_P12ihipStream_tbENKUlT_T0_SI_SN_E_clISD_PiSD_S15_EEDaS11_S12_SI_SN_EUlS11_E_NS1_11comp_targetILNS1_3genE2ELNS1_11target_archE906ELNS1_3gpuE6ELNS1_3repE0EEENS1_47radix_sort_onesweep_sort_config_static_selectorELNS0_4arch9wavefront6targetE1EEEvSI_, .Lfunc_end1431-_ZN7rocprim17ROCPRIM_400000_NS6detail17trampoline_kernelINS0_14default_configENS1_35radix_sort_onesweep_config_selectorIiiEEZZNS1_29radix_sort_onesweep_iterationIS3_Lb0EN6thrust23THRUST_200600_302600_NS6detail15normal_iteratorINS8_10device_ptrIiEEEESD_SD_SD_jNS0_19identity_decomposerENS1_16block_id_wrapperIjLb1EEEEE10hipError_tT1_PNSt15iterator_traitsISI_E10value_typeET2_T3_PNSJ_ISO_E10value_typeET4_T5_PST_SU_PNS1_23onesweep_lookback_stateEbbT6_jjT7_P12ihipStream_tbENKUlT_T0_SI_SN_E_clISD_PiSD_S15_EEDaS11_S12_SI_SN_EUlS11_E_NS1_11comp_targetILNS1_3genE2ELNS1_11target_archE906ELNS1_3gpuE6ELNS1_3repE0EEENS1_47radix_sort_onesweep_sort_config_static_selectorELNS0_4arch9wavefront6targetE1EEEvSI_
                                        ; -- End function
	.set _ZN7rocprim17ROCPRIM_400000_NS6detail17trampoline_kernelINS0_14default_configENS1_35radix_sort_onesweep_config_selectorIiiEEZZNS1_29radix_sort_onesweep_iterationIS3_Lb0EN6thrust23THRUST_200600_302600_NS6detail15normal_iteratorINS8_10device_ptrIiEEEESD_SD_SD_jNS0_19identity_decomposerENS1_16block_id_wrapperIjLb1EEEEE10hipError_tT1_PNSt15iterator_traitsISI_E10value_typeET2_T3_PNSJ_ISO_E10value_typeET4_T5_PST_SU_PNS1_23onesweep_lookback_stateEbbT6_jjT7_P12ihipStream_tbENKUlT_T0_SI_SN_E_clISD_PiSD_S15_EEDaS11_S12_SI_SN_EUlS11_E_NS1_11comp_targetILNS1_3genE2ELNS1_11target_archE906ELNS1_3gpuE6ELNS1_3repE0EEENS1_47radix_sort_onesweep_sort_config_static_selectorELNS0_4arch9wavefront6targetE1EEEvSI_.num_vgpr, 0
	.set _ZN7rocprim17ROCPRIM_400000_NS6detail17trampoline_kernelINS0_14default_configENS1_35radix_sort_onesweep_config_selectorIiiEEZZNS1_29radix_sort_onesweep_iterationIS3_Lb0EN6thrust23THRUST_200600_302600_NS6detail15normal_iteratorINS8_10device_ptrIiEEEESD_SD_SD_jNS0_19identity_decomposerENS1_16block_id_wrapperIjLb1EEEEE10hipError_tT1_PNSt15iterator_traitsISI_E10value_typeET2_T3_PNSJ_ISO_E10value_typeET4_T5_PST_SU_PNS1_23onesweep_lookback_stateEbbT6_jjT7_P12ihipStream_tbENKUlT_T0_SI_SN_E_clISD_PiSD_S15_EEDaS11_S12_SI_SN_EUlS11_E_NS1_11comp_targetILNS1_3genE2ELNS1_11target_archE906ELNS1_3gpuE6ELNS1_3repE0EEENS1_47radix_sort_onesweep_sort_config_static_selectorELNS0_4arch9wavefront6targetE1EEEvSI_.num_agpr, 0
	.set _ZN7rocprim17ROCPRIM_400000_NS6detail17trampoline_kernelINS0_14default_configENS1_35radix_sort_onesweep_config_selectorIiiEEZZNS1_29radix_sort_onesweep_iterationIS3_Lb0EN6thrust23THRUST_200600_302600_NS6detail15normal_iteratorINS8_10device_ptrIiEEEESD_SD_SD_jNS0_19identity_decomposerENS1_16block_id_wrapperIjLb1EEEEE10hipError_tT1_PNSt15iterator_traitsISI_E10value_typeET2_T3_PNSJ_ISO_E10value_typeET4_T5_PST_SU_PNS1_23onesweep_lookback_stateEbbT6_jjT7_P12ihipStream_tbENKUlT_T0_SI_SN_E_clISD_PiSD_S15_EEDaS11_S12_SI_SN_EUlS11_E_NS1_11comp_targetILNS1_3genE2ELNS1_11target_archE906ELNS1_3gpuE6ELNS1_3repE0EEENS1_47radix_sort_onesweep_sort_config_static_selectorELNS0_4arch9wavefront6targetE1EEEvSI_.numbered_sgpr, 0
	.set _ZN7rocprim17ROCPRIM_400000_NS6detail17trampoline_kernelINS0_14default_configENS1_35radix_sort_onesweep_config_selectorIiiEEZZNS1_29radix_sort_onesweep_iterationIS3_Lb0EN6thrust23THRUST_200600_302600_NS6detail15normal_iteratorINS8_10device_ptrIiEEEESD_SD_SD_jNS0_19identity_decomposerENS1_16block_id_wrapperIjLb1EEEEE10hipError_tT1_PNSt15iterator_traitsISI_E10value_typeET2_T3_PNSJ_ISO_E10value_typeET4_T5_PST_SU_PNS1_23onesweep_lookback_stateEbbT6_jjT7_P12ihipStream_tbENKUlT_T0_SI_SN_E_clISD_PiSD_S15_EEDaS11_S12_SI_SN_EUlS11_E_NS1_11comp_targetILNS1_3genE2ELNS1_11target_archE906ELNS1_3gpuE6ELNS1_3repE0EEENS1_47radix_sort_onesweep_sort_config_static_selectorELNS0_4arch9wavefront6targetE1EEEvSI_.num_named_barrier, 0
	.set _ZN7rocprim17ROCPRIM_400000_NS6detail17trampoline_kernelINS0_14default_configENS1_35radix_sort_onesweep_config_selectorIiiEEZZNS1_29radix_sort_onesweep_iterationIS3_Lb0EN6thrust23THRUST_200600_302600_NS6detail15normal_iteratorINS8_10device_ptrIiEEEESD_SD_SD_jNS0_19identity_decomposerENS1_16block_id_wrapperIjLb1EEEEE10hipError_tT1_PNSt15iterator_traitsISI_E10value_typeET2_T3_PNSJ_ISO_E10value_typeET4_T5_PST_SU_PNS1_23onesweep_lookback_stateEbbT6_jjT7_P12ihipStream_tbENKUlT_T0_SI_SN_E_clISD_PiSD_S15_EEDaS11_S12_SI_SN_EUlS11_E_NS1_11comp_targetILNS1_3genE2ELNS1_11target_archE906ELNS1_3gpuE6ELNS1_3repE0EEENS1_47radix_sort_onesweep_sort_config_static_selectorELNS0_4arch9wavefront6targetE1EEEvSI_.private_seg_size, 0
	.set _ZN7rocprim17ROCPRIM_400000_NS6detail17trampoline_kernelINS0_14default_configENS1_35radix_sort_onesweep_config_selectorIiiEEZZNS1_29radix_sort_onesweep_iterationIS3_Lb0EN6thrust23THRUST_200600_302600_NS6detail15normal_iteratorINS8_10device_ptrIiEEEESD_SD_SD_jNS0_19identity_decomposerENS1_16block_id_wrapperIjLb1EEEEE10hipError_tT1_PNSt15iterator_traitsISI_E10value_typeET2_T3_PNSJ_ISO_E10value_typeET4_T5_PST_SU_PNS1_23onesweep_lookback_stateEbbT6_jjT7_P12ihipStream_tbENKUlT_T0_SI_SN_E_clISD_PiSD_S15_EEDaS11_S12_SI_SN_EUlS11_E_NS1_11comp_targetILNS1_3genE2ELNS1_11target_archE906ELNS1_3gpuE6ELNS1_3repE0EEENS1_47radix_sort_onesweep_sort_config_static_selectorELNS0_4arch9wavefront6targetE1EEEvSI_.uses_vcc, 0
	.set _ZN7rocprim17ROCPRIM_400000_NS6detail17trampoline_kernelINS0_14default_configENS1_35radix_sort_onesweep_config_selectorIiiEEZZNS1_29radix_sort_onesweep_iterationIS3_Lb0EN6thrust23THRUST_200600_302600_NS6detail15normal_iteratorINS8_10device_ptrIiEEEESD_SD_SD_jNS0_19identity_decomposerENS1_16block_id_wrapperIjLb1EEEEE10hipError_tT1_PNSt15iterator_traitsISI_E10value_typeET2_T3_PNSJ_ISO_E10value_typeET4_T5_PST_SU_PNS1_23onesweep_lookback_stateEbbT6_jjT7_P12ihipStream_tbENKUlT_T0_SI_SN_E_clISD_PiSD_S15_EEDaS11_S12_SI_SN_EUlS11_E_NS1_11comp_targetILNS1_3genE2ELNS1_11target_archE906ELNS1_3gpuE6ELNS1_3repE0EEENS1_47radix_sort_onesweep_sort_config_static_selectorELNS0_4arch9wavefront6targetE1EEEvSI_.uses_flat_scratch, 0
	.set _ZN7rocprim17ROCPRIM_400000_NS6detail17trampoline_kernelINS0_14default_configENS1_35radix_sort_onesweep_config_selectorIiiEEZZNS1_29radix_sort_onesweep_iterationIS3_Lb0EN6thrust23THRUST_200600_302600_NS6detail15normal_iteratorINS8_10device_ptrIiEEEESD_SD_SD_jNS0_19identity_decomposerENS1_16block_id_wrapperIjLb1EEEEE10hipError_tT1_PNSt15iterator_traitsISI_E10value_typeET2_T3_PNSJ_ISO_E10value_typeET4_T5_PST_SU_PNS1_23onesweep_lookback_stateEbbT6_jjT7_P12ihipStream_tbENKUlT_T0_SI_SN_E_clISD_PiSD_S15_EEDaS11_S12_SI_SN_EUlS11_E_NS1_11comp_targetILNS1_3genE2ELNS1_11target_archE906ELNS1_3gpuE6ELNS1_3repE0EEENS1_47radix_sort_onesweep_sort_config_static_selectorELNS0_4arch9wavefront6targetE1EEEvSI_.has_dyn_sized_stack, 0
	.set _ZN7rocprim17ROCPRIM_400000_NS6detail17trampoline_kernelINS0_14default_configENS1_35radix_sort_onesweep_config_selectorIiiEEZZNS1_29radix_sort_onesweep_iterationIS3_Lb0EN6thrust23THRUST_200600_302600_NS6detail15normal_iteratorINS8_10device_ptrIiEEEESD_SD_SD_jNS0_19identity_decomposerENS1_16block_id_wrapperIjLb1EEEEE10hipError_tT1_PNSt15iterator_traitsISI_E10value_typeET2_T3_PNSJ_ISO_E10value_typeET4_T5_PST_SU_PNS1_23onesweep_lookback_stateEbbT6_jjT7_P12ihipStream_tbENKUlT_T0_SI_SN_E_clISD_PiSD_S15_EEDaS11_S12_SI_SN_EUlS11_E_NS1_11comp_targetILNS1_3genE2ELNS1_11target_archE906ELNS1_3gpuE6ELNS1_3repE0EEENS1_47radix_sort_onesweep_sort_config_static_selectorELNS0_4arch9wavefront6targetE1EEEvSI_.has_recursion, 0
	.set _ZN7rocprim17ROCPRIM_400000_NS6detail17trampoline_kernelINS0_14default_configENS1_35radix_sort_onesweep_config_selectorIiiEEZZNS1_29radix_sort_onesweep_iterationIS3_Lb0EN6thrust23THRUST_200600_302600_NS6detail15normal_iteratorINS8_10device_ptrIiEEEESD_SD_SD_jNS0_19identity_decomposerENS1_16block_id_wrapperIjLb1EEEEE10hipError_tT1_PNSt15iterator_traitsISI_E10value_typeET2_T3_PNSJ_ISO_E10value_typeET4_T5_PST_SU_PNS1_23onesweep_lookback_stateEbbT6_jjT7_P12ihipStream_tbENKUlT_T0_SI_SN_E_clISD_PiSD_S15_EEDaS11_S12_SI_SN_EUlS11_E_NS1_11comp_targetILNS1_3genE2ELNS1_11target_archE906ELNS1_3gpuE6ELNS1_3repE0EEENS1_47radix_sort_onesweep_sort_config_static_selectorELNS0_4arch9wavefront6targetE1EEEvSI_.has_indirect_call, 0
	.section	.AMDGPU.csdata,"",@progbits
; Kernel info:
; codeLenInByte = 0
; TotalNumSgprs: 6
; NumVgprs: 0
; NumAgprs: 0
; TotalNumVgprs: 0
; ScratchSize: 0
; MemoryBound: 0
; FloatMode: 240
; IeeeMode: 1
; LDSByteSize: 0 bytes/workgroup (compile time only)
; SGPRBlocks: 0
; VGPRBlocks: 0
; NumSGPRsForWavesPerEU: 6
; NumVGPRsForWavesPerEU: 1
; AccumOffset: 4
; Occupancy: 8
; WaveLimiterHint : 0
; COMPUTE_PGM_RSRC2:SCRATCH_EN: 0
; COMPUTE_PGM_RSRC2:USER_SGPR: 2
; COMPUTE_PGM_RSRC2:TRAP_HANDLER: 0
; COMPUTE_PGM_RSRC2:TGID_X_EN: 1
; COMPUTE_PGM_RSRC2:TGID_Y_EN: 0
; COMPUTE_PGM_RSRC2:TGID_Z_EN: 0
; COMPUTE_PGM_RSRC2:TIDIG_COMP_CNT: 0
; COMPUTE_PGM_RSRC3_GFX90A:ACCUM_OFFSET: 0
; COMPUTE_PGM_RSRC3_GFX90A:TG_SPLIT: 0
	.section	.text._ZN7rocprim17ROCPRIM_400000_NS6detail17trampoline_kernelINS0_14default_configENS1_35radix_sort_onesweep_config_selectorIiiEEZZNS1_29radix_sort_onesweep_iterationIS3_Lb0EN6thrust23THRUST_200600_302600_NS6detail15normal_iteratorINS8_10device_ptrIiEEEESD_SD_SD_jNS0_19identity_decomposerENS1_16block_id_wrapperIjLb1EEEEE10hipError_tT1_PNSt15iterator_traitsISI_E10value_typeET2_T3_PNSJ_ISO_E10value_typeET4_T5_PST_SU_PNS1_23onesweep_lookback_stateEbbT6_jjT7_P12ihipStream_tbENKUlT_T0_SI_SN_E_clISD_PiSD_S15_EEDaS11_S12_SI_SN_EUlS11_E_NS1_11comp_targetILNS1_3genE4ELNS1_11target_archE910ELNS1_3gpuE8ELNS1_3repE0EEENS1_47radix_sort_onesweep_sort_config_static_selectorELNS0_4arch9wavefront6targetE1EEEvSI_,"axG",@progbits,_ZN7rocprim17ROCPRIM_400000_NS6detail17trampoline_kernelINS0_14default_configENS1_35radix_sort_onesweep_config_selectorIiiEEZZNS1_29radix_sort_onesweep_iterationIS3_Lb0EN6thrust23THRUST_200600_302600_NS6detail15normal_iteratorINS8_10device_ptrIiEEEESD_SD_SD_jNS0_19identity_decomposerENS1_16block_id_wrapperIjLb1EEEEE10hipError_tT1_PNSt15iterator_traitsISI_E10value_typeET2_T3_PNSJ_ISO_E10value_typeET4_T5_PST_SU_PNS1_23onesweep_lookback_stateEbbT6_jjT7_P12ihipStream_tbENKUlT_T0_SI_SN_E_clISD_PiSD_S15_EEDaS11_S12_SI_SN_EUlS11_E_NS1_11comp_targetILNS1_3genE4ELNS1_11target_archE910ELNS1_3gpuE8ELNS1_3repE0EEENS1_47radix_sort_onesweep_sort_config_static_selectorELNS0_4arch9wavefront6targetE1EEEvSI_,comdat
	.protected	_ZN7rocprim17ROCPRIM_400000_NS6detail17trampoline_kernelINS0_14default_configENS1_35radix_sort_onesweep_config_selectorIiiEEZZNS1_29radix_sort_onesweep_iterationIS3_Lb0EN6thrust23THRUST_200600_302600_NS6detail15normal_iteratorINS8_10device_ptrIiEEEESD_SD_SD_jNS0_19identity_decomposerENS1_16block_id_wrapperIjLb1EEEEE10hipError_tT1_PNSt15iterator_traitsISI_E10value_typeET2_T3_PNSJ_ISO_E10value_typeET4_T5_PST_SU_PNS1_23onesweep_lookback_stateEbbT6_jjT7_P12ihipStream_tbENKUlT_T0_SI_SN_E_clISD_PiSD_S15_EEDaS11_S12_SI_SN_EUlS11_E_NS1_11comp_targetILNS1_3genE4ELNS1_11target_archE910ELNS1_3gpuE8ELNS1_3repE0EEENS1_47radix_sort_onesweep_sort_config_static_selectorELNS0_4arch9wavefront6targetE1EEEvSI_ ; -- Begin function _ZN7rocprim17ROCPRIM_400000_NS6detail17trampoline_kernelINS0_14default_configENS1_35radix_sort_onesweep_config_selectorIiiEEZZNS1_29radix_sort_onesweep_iterationIS3_Lb0EN6thrust23THRUST_200600_302600_NS6detail15normal_iteratorINS8_10device_ptrIiEEEESD_SD_SD_jNS0_19identity_decomposerENS1_16block_id_wrapperIjLb1EEEEE10hipError_tT1_PNSt15iterator_traitsISI_E10value_typeET2_T3_PNSJ_ISO_E10value_typeET4_T5_PST_SU_PNS1_23onesweep_lookback_stateEbbT6_jjT7_P12ihipStream_tbENKUlT_T0_SI_SN_E_clISD_PiSD_S15_EEDaS11_S12_SI_SN_EUlS11_E_NS1_11comp_targetILNS1_3genE4ELNS1_11target_archE910ELNS1_3gpuE8ELNS1_3repE0EEENS1_47radix_sort_onesweep_sort_config_static_selectorELNS0_4arch9wavefront6targetE1EEEvSI_
	.globl	_ZN7rocprim17ROCPRIM_400000_NS6detail17trampoline_kernelINS0_14default_configENS1_35radix_sort_onesweep_config_selectorIiiEEZZNS1_29radix_sort_onesweep_iterationIS3_Lb0EN6thrust23THRUST_200600_302600_NS6detail15normal_iteratorINS8_10device_ptrIiEEEESD_SD_SD_jNS0_19identity_decomposerENS1_16block_id_wrapperIjLb1EEEEE10hipError_tT1_PNSt15iterator_traitsISI_E10value_typeET2_T3_PNSJ_ISO_E10value_typeET4_T5_PST_SU_PNS1_23onesweep_lookback_stateEbbT6_jjT7_P12ihipStream_tbENKUlT_T0_SI_SN_E_clISD_PiSD_S15_EEDaS11_S12_SI_SN_EUlS11_E_NS1_11comp_targetILNS1_3genE4ELNS1_11target_archE910ELNS1_3gpuE8ELNS1_3repE0EEENS1_47radix_sort_onesweep_sort_config_static_selectorELNS0_4arch9wavefront6targetE1EEEvSI_
	.p2align	8
	.type	_ZN7rocprim17ROCPRIM_400000_NS6detail17trampoline_kernelINS0_14default_configENS1_35radix_sort_onesweep_config_selectorIiiEEZZNS1_29radix_sort_onesweep_iterationIS3_Lb0EN6thrust23THRUST_200600_302600_NS6detail15normal_iteratorINS8_10device_ptrIiEEEESD_SD_SD_jNS0_19identity_decomposerENS1_16block_id_wrapperIjLb1EEEEE10hipError_tT1_PNSt15iterator_traitsISI_E10value_typeET2_T3_PNSJ_ISO_E10value_typeET4_T5_PST_SU_PNS1_23onesweep_lookback_stateEbbT6_jjT7_P12ihipStream_tbENKUlT_T0_SI_SN_E_clISD_PiSD_S15_EEDaS11_S12_SI_SN_EUlS11_E_NS1_11comp_targetILNS1_3genE4ELNS1_11target_archE910ELNS1_3gpuE8ELNS1_3repE0EEENS1_47radix_sort_onesweep_sort_config_static_selectorELNS0_4arch9wavefront6targetE1EEEvSI_,@function
_ZN7rocprim17ROCPRIM_400000_NS6detail17trampoline_kernelINS0_14default_configENS1_35radix_sort_onesweep_config_selectorIiiEEZZNS1_29radix_sort_onesweep_iterationIS3_Lb0EN6thrust23THRUST_200600_302600_NS6detail15normal_iteratorINS8_10device_ptrIiEEEESD_SD_SD_jNS0_19identity_decomposerENS1_16block_id_wrapperIjLb1EEEEE10hipError_tT1_PNSt15iterator_traitsISI_E10value_typeET2_T3_PNSJ_ISO_E10value_typeET4_T5_PST_SU_PNS1_23onesweep_lookback_stateEbbT6_jjT7_P12ihipStream_tbENKUlT_T0_SI_SN_E_clISD_PiSD_S15_EEDaS11_S12_SI_SN_EUlS11_E_NS1_11comp_targetILNS1_3genE4ELNS1_11target_archE910ELNS1_3gpuE8ELNS1_3repE0EEENS1_47radix_sort_onesweep_sort_config_static_selectorELNS0_4arch9wavefront6targetE1EEEvSI_: ; @_ZN7rocprim17ROCPRIM_400000_NS6detail17trampoline_kernelINS0_14default_configENS1_35radix_sort_onesweep_config_selectorIiiEEZZNS1_29radix_sort_onesweep_iterationIS3_Lb0EN6thrust23THRUST_200600_302600_NS6detail15normal_iteratorINS8_10device_ptrIiEEEESD_SD_SD_jNS0_19identity_decomposerENS1_16block_id_wrapperIjLb1EEEEE10hipError_tT1_PNSt15iterator_traitsISI_E10value_typeET2_T3_PNSJ_ISO_E10value_typeET4_T5_PST_SU_PNS1_23onesweep_lookback_stateEbbT6_jjT7_P12ihipStream_tbENKUlT_T0_SI_SN_E_clISD_PiSD_S15_EEDaS11_S12_SI_SN_EUlS11_E_NS1_11comp_targetILNS1_3genE4ELNS1_11target_archE910ELNS1_3gpuE8ELNS1_3repE0EEENS1_47radix_sort_onesweep_sort_config_static_selectorELNS0_4arch9wavefront6targetE1EEEvSI_
; %bb.0:
	.section	.rodata,"a",@progbits
	.p2align	6, 0x0
	.amdhsa_kernel _ZN7rocprim17ROCPRIM_400000_NS6detail17trampoline_kernelINS0_14default_configENS1_35radix_sort_onesweep_config_selectorIiiEEZZNS1_29radix_sort_onesweep_iterationIS3_Lb0EN6thrust23THRUST_200600_302600_NS6detail15normal_iteratorINS8_10device_ptrIiEEEESD_SD_SD_jNS0_19identity_decomposerENS1_16block_id_wrapperIjLb1EEEEE10hipError_tT1_PNSt15iterator_traitsISI_E10value_typeET2_T3_PNSJ_ISO_E10value_typeET4_T5_PST_SU_PNS1_23onesweep_lookback_stateEbbT6_jjT7_P12ihipStream_tbENKUlT_T0_SI_SN_E_clISD_PiSD_S15_EEDaS11_S12_SI_SN_EUlS11_E_NS1_11comp_targetILNS1_3genE4ELNS1_11target_archE910ELNS1_3gpuE8ELNS1_3repE0EEENS1_47radix_sort_onesweep_sort_config_static_selectorELNS0_4arch9wavefront6targetE1EEEvSI_
		.amdhsa_group_segment_fixed_size 0
		.amdhsa_private_segment_fixed_size 0
		.amdhsa_kernarg_size 88
		.amdhsa_user_sgpr_count 2
		.amdhsa_user_sgpr_dispatch_ptr 0
		.amdhsa_user_sgpr_queue_ptr 0
		.amdhsa_user_sgpr_kernarg_segment_ptr 1
		.amdhsa_user_sgpr_dispatch_id 0
		.amdhsa_user_sgpr_kernarg_preload_length 0
		.amdhsa_user_sgpr_kernarg_preload_offset 0
		.amdhsa_user_sgpr_private_segment_size 0
		.amdhsa_uses_dynamic_stack 0
		.amdhsa_enable_private_segment 0
		.amdhsa_system_sgpr_workgroup_id_x 1
		.amdhsa_system_sgpr_workgroup_id_y 0
		.amdhsa_system_sgpr_workgroup_id_z 0
		.amdhsa_system_sgpr_workgroup_info 0
		.amdhsa_system_vgpr_workitem_id 0
		.amdhsa_next_free_vgpr 1
		.amdhsa_next_free_sgpr 0
		.amdhsa_accum_offset 4
		.amdhsa_reserve_vcc 0
		.amdhsa_float_round_mode_32 0
		.amdhsa_float_round_mode_16_64 0
		.amdhsa_float_denorm_mode_32 3
		.amdhsa_float_denorm_mode_16_64 3
		.amdhsa_dx10_clamp 1
		.amdhsa_ieee_mode 1
		.amdhsa_fp16_overflow 0
		.amdhsa_tg_split 0
		.amdhsa_exception_fp_ieee_invalid_op 0
		.amdhsa_exception_fp_denorm_src 0
		.amdhsa_exception_fp_ieee_div_zero 0
		.amdhsa_exception_fp_ieee_overflow 0
		.amdhsa_exception_fp_ieee_underflow 0
		.amdhsa_exception_fp_ieee_inexact 0
		.amdhsa_exception_int_div_zero 0
	.end_amdhsa_kernel
	.section	.text._ZN7rocprim17ROCPRIM_400000_NS6detail17trampoline_kernelINS0_14default_configENS1_35radix_sort_onesweep_config_selectorIiiEEZZNS1_29radix_sort_onesweep_iterationIS3_Lb0EN6thrust23THRUST_200600_302600_NS6detail15normal_iteratorINS8_10device_ptrIiEEEESD_SD_SD_jNS0_19identity_decomposerENS1_16block_id_wrapperIjLb1EEEEE10hipError_tT1_PNSt15iterator_traitsISI_E10value_typeET2_T3_PNSJ_ISO_E10value_typeET4_T5_PST_SU_PNS1_23onesweep_lookback_stateEbbT6_jjT7_P12ihipStream_tbENKUlT_T0_SI_SN_E_clISD_PiSD_S15_EEDaS11_S12_SI_SN_EUlS11_E_NS1_11comp_targetILNS1_3genE4ELNS1_11target_archE910ELNS1_3gpuE8ELNS1_3repE0EEENS1_47radix_sort_onesweep_sort_config_static_selectorELNS0_4arch9wavefront6targetE1EEEvSI_,"axG",@progbits,_ZN7rocprim17ROCPRIM_400000_NS6detail17trampoline_kernelINS0_14default_configENS1_35radix_sort_onesweep_config_selectorIiiEEZZNS1_29radix_sort_onesweep_iterationIS3_Lb0EN6thrust23THRUST_200600_302600_NS6detail15normal_iteratorINS8_10device_ptrIiEEEESD_SD_SD_jNS0_19identity_decomposerENS1_16block_id_wrapperIjLb1EEEEE10hipError_tT1_PNSt15iterator_traitsISI_E10value_typeET2_T3_PNSJ_ISO_E10value_typeET4_T5_PST_SU_PNS1_23onesweep_lookback_stateEbbT6_jjT7_P12ihipStream_tbENKUlT_T0_SI_SN_E_clISD_PiSD_S15_EEDaS11_S12_SI_SN_EUlS11_E_NS1_11comp_targetILNS1_3genE4ELNS1_11target_archE910ELNS1_3gpuE8ELNS1_3repE0EEENS1_47radix_sort_onesweep_sort_config_static_selectorELNS0_4arch9wavefront6targetE1EEEvSI_,comdat
.Lfunc_end1432:
	.size	_ZN7rocprim17ROCPRIM_400000_NS6detail17trampoline_kernelINS0_14default_configENS1_35radix_sort_onesweep_config_selectorIiiEEZZNS1_29radix_sort_onesweep_iterationIS3_Lb0EN6thrust23THRUST_200600_302600_NS6detail15normal_iteratorINS8_10device_ptrIiEEEESD_SD_SD_jNS0_19identity_decomposerENS1_16block_id_wrapperIjLb1EEEEE10hipError_tT1_PNSt15iterator_traitsISI_E10value_typeET2_T3_PNSJ_ISO_E10value_typeET4_T5_PST_SU_PNS1_23onesweep_lookback_stateEbbT6_jjT7_P12ihipStream_tbENKUlT_T0_SI_SN_E_clISD_PiSD_S15_EEDaS11_S12_SI_SN_EUlS11_E_NS1_11comp_targetILNS1_3genE4ELNS1_11target_archE910ELNS1_3gpuE8ELNS1_3repE0EEENS1_47radix_sort_onesweep_sort_config_static_selectorELNS0_4arch9wavefront6targetE1EEEvSI_, .Lfunc_end1432-_ZN7rocprim17ROCPRIM_400000_NS6detail17trampoline_kernelINS0_14default_configENS1_35radix_sort_onesweep_config_selectorIiiEEZZNS1_29radix_sort_onesweep_iterationIS3_Lb0EN6thrust23THRUST_200600_302600_NS6detail15normal_iteratorINS8_10device_ptrIiEEEESD_SD_SD_jNS0_19identity_decomposerENS1_16block_id_wrapperIjLb1EEEEE10hipError_tT1_PNSt15iterator_traitsISI_E10value_typeET2_T3_PNSJ_ISO_E10value_typeET4_T5_PST_SU_PNS1_23onesweep_lookback_stateEbbT6_jjT7_P12ihipStream_tbENKUlT_T0_SI_SN_E_clISD_PiSD_S15_EEDaS11_S12_SI_SN_EUlS11_E_NS1_11comp_targetILNS1_3genE4ELNS1_11target_archE910ELNS1_3gpuE8ELNS1_3repE0EEENS1_47radix_sort_onesweep_sort_config_static_selectorELNS0_4arch9wavefront6targetE1EEEvSI_
                                        ; -- End function
	.set _ZN7rocprim17ROCPRIM_400000_NS6detail17trampoline_kernelINS0_14default_configENS1_35radix_sort_onesweep_config_selectorIiiEEZZNS1_29radix_sort_onesweep_iterationIS3_Lb0EN6thrust23THRUST_200600_302600_NS6detail15normal_iteratorINS8_10device_ptrIiEEEESD_SD_SD_jNS0_19identity_decomposerENS1_16block_id_wrapperIjLb1EEEEE10hipError_tT1_PNSt15iterator_traitsISI_E10value_typeET2_T3_PNSJ_ISO_E10value_typeET4_T5_PST_SU_PNS1_23onesweep_lookback_stateEbbT6_jjT7_P12ihipStream_tbENKUlT_T0_SI_SN_E_clISD_PiSD_S15_EEDaS11_S12_SI_SN_EUlS11_E_NS1_11comp_targetILNS1_3genE4ELNS1_11target_archE910ELNS1_3gpuE8ELNS1_3repE0EEENS1_47radix_sort_onesweep_sort_config_static_selectorELNS0_4arch9wavefront6targetE1EEEvSI_.num_vgpr, 0
	.set _ZN7rocprim17ROCPRIM_400000_NS6detail17trampoline_kernelINS0_14default_configENS1_35radix_sort_onesweep_config_selectorIiiEEZZNS1_29radix_sort_onesweep_iterationIS3_Lb0EN6thrust23THRUST_200600_302600_NS6detail15normal_iteratorINS8_10device_ptrIiEEEESD_SD_SD_jNS0_19identity_decomposerENS1_16block_id_wrapperIjLb1EEEEE10hipError_tT1_PNSt15iterator_traitsISI_E10value_typeET2_T3_PNSJ_ISO_E10value_typeET4_T5_PST_SU_PNS1_23onesweep_lookback_stateEbbT6_jjT7_P12ihipStream_tbENKUlT_T0_SI_SN_E_clISD_PiSD_S15_EEDaS11_S12_SI_SN_EUlS11_E_NS1_11comp_targetILNS1_3genE4ELNS1_11target_archE910ELNS1_3gpuE8ELNS1_3repE0EEENS1_47radix_sort_onesweep_sort_config_static_selectorELNS0_4arch9wavefront6targetE1EEEvSI_.num_agpr, 0
	.set _ZN7rocprim17ROCPRIM_400000_NS6detail17trampoline_kernelINS0_14default_configENS1_35radix_sort_onesweep_config_selectorIiiEEZZNS1_29radix_sort_onesweep_iterationIS3_Lb0EN6thrust23THRUST_200600_302600_NS6detail15normal_iteratorINS8_10device_ptrIiEEEESD_SD_SD_jNS0_19identity_decomposerENS1_16block_id_wrapperIjLb1EEEEE10hipError_tT1_PNSt15iterator_traitsISI_E10value_typeET2_T3_PNSJ_ISO_E10value_typeET4_T5_PST_SU_PNS1_23onesweep_lookback_stateEbbT6_jjT7_P12ihipStream_tbENKUlT_T0_SI_SN_E_clISD_PiSD_S15_EEDaS11_S12_SI_SN_EUlS11_E_NS1_11comp_targetILNS1_3genE4ELNS1_11target_archE910ELNS1_3gpuE8ELNS1_3repE0EEENS1_47radix_sort_onesweep_sort_config_static_selectorELNS0_4arch9wavefront6targetE1EEEvSI_.numbered_sgpr, 0
	.set _ZN7rocprim17ROCPRIM_400000_NS6detail17trampoline_kernelINS0_14default_configENS1_35radix_sort_onesweep_config_selectorIiiEEZZNS1_29radix_sort_onesweep_iterationIS3_Lb0EN6thrust23THRUST_200600_302600_NS6detail15normal_iteratorINS8_10device_ptrIiEEEESD_SD_SD_jNS0_19identity_decomposerENS1_16block_id_wrapperIjLb1EEEEE10hipError_tT1_PNSt15iterator_traitsISI_E10value_typeET2_T3_PNSJ_ISO_E10value_typeET4_T5_PST_SU_PNS1_23onesweep_lookback_stateEbbT6_jjT7_P12ihipStream_tbENKUlT_T0_SI_SN_E_clISD_PiSD_S15_EEDaS11_S12_SI_SN_EUlS11_E_NS1_11comp_targetILNS1_3genE4ELNS1_11target_archE910ELNS1_3gpuE8ELNS1_3repE0EEENS1_47radix_sort_onesweep_sort_config_static_selectorELNS0_4arch9wavefront6targetE1EEEvSI_.num_named_barrier, 0
	.set _ZN7rocprim17ROCPRIM_400000_NS6detail17trampoline_kernelINS0_14default_configENS1_35radix_sort_onesweep_config_selectorIiiEEZZNS1_29radix_sort_onesweep_iterationIS3_Lb0EN6thrust23THRUST_200600_302600_NS6detail15normal_iteratorINS8_10device_ptrIiEEEESD_SD_SD_jNS0_19identity_decomposerENS1_16block_id_wrapperIjLb1EEEEE10hipError_tT1_PNSt15iterator_traitsISI_E10value_typeET2_T3_PNSJ_ISO_E10value_typeET4_T5_PST_SU_PNS1_23onesweep_lookback_stateEbbT6_jjT7_P12ihipStream_tbENKUlT_T0_SI_SN_E_clISD_PiSD_S15_EEDaS11_S12_SI_SN_EUlS11_E_NS1_11comp_targetILNS1_3genE4ELNS1_11target_archE910ELNS1_3gpuE8ELNS1_3repE0EEENS1_47radix_sort_onesweep_sort_config_static_selectorELNS0_4arch9wavefront6targetE1EEEvSI_.private_seg_size, 0
	.set _ZN7rocprim17ROCPRIM_400000_NS6detail17trampoline_kernelINS0_14default_configENS1_35radix_sort_onesweep_config_selectorIiiEEZZNS1_29radix_sort_onesweep_iterationIS3_Lb0EN6thrust23THRUST_200600_302600_NS6detail15normal_iteratorINS8_10device_ptrIiEEEESD_SD_SD_jNS0_19identity_decomposerENS1_16block_id_wrapperIjLb1EEEEE10hipError_tT1_PNSt15iterator_traitsISI_E10value_typeET2_T3_PNSJ_ISO_E10value_typeET4_T5_PST_SU_PNS1_23onesweep_lookback_stateEbbT6_jjT7_P12ihipStream_tbENKUlT_T0_SI_SN_E_clISD_PiSD_S15_EEDaS11_S12_SI_SN_EUlS11_E_NS1_11comp_targetILNS1_3genE4ELNS1_11target_archE910ELNS1_3gpuE8ELNS1_3repE0EEENS1_47radix_sort_onesweep_sort_config_static_selectorELNS0_4arch9wavefront6targetE1EEEvSI_.uses_vcc, 0
	.set _ZN7rocprim17ROCPRIM_400000_NS6detail17trampoline_kernelINS0_14default_configENS1_35radix_sort_onesweep_config_selectorIiiEEZZNS1_29radix_sort_onesweep_iterationIS3_Lb0EN6thrust23THRUST_200600_302600_NS6detail15normal_iteratorINS8_10device_ptrIiEEEESD_SD_SD_jNS0_19identity_decomposerENS1_16block_id_wrapperIjLb1EEEEE10hipError_tT1_PNSt15iterator_traitsISI_E10value_typeET2_T3_PNSJ_ISO_E10value_typeET4_T5_PST_SU_PNS1_23onesweep_lookback_stateEbbT6_jjT7_P12ihipStream_tbENKUlT_T0_SI_SN_E_clISD_PiSD_S15_EEDaS11_S12_SI_SN_EUlS11_E_NS1_11comp_targetILNS1_3genE4ELNS1_11target_archE910ELNS1_3gpuE8ELNS1_3repE0EEENS1_47radix_sort_onesweep_sort_config_static_selectorELNS0_4arch9wavefront6targetE1EEEvSI_.uses_flat_scratch, 0
	.set _ZN7rocprim17ROCPRIM_400000_NS6detail17trampoline_kernelINS0_14default_configENS1_35radix_sort_onesweep_config_selectorIiiEEZZNS1_29radix_sort_onesweep_iterationIS3_Lb0EN6thrust23THRUST_200600_302600_NS6detail15normal_iteratorINS8_10device_ptrIiEEEESD_SD_SD_jNS0_19identity_decomposerENS1_16block_id_wrapperIjLb1EEEEE10hipError_tT1_PNSt15iterator_traitsISI_E10value_typeET2_T3_PNSJ_ISO_E10value_typeET4_T5_PST_SU_PNS1_23onesweep_lookback_stateEbbT6_jjT7_P12ihipStream_tbENKUlT_T0_SI_SN_E_clISD_PiSD_S15_EEDaS11_S12_SI_SN_EUlS11_E_NS1_11comp_targetILNS1_3genE4ELNS1_11target_archE910ELNS1_3gpuE8ELNS1_3repE0EEENS1_47radix_sort_onesweep_sort_config_static_selectorELNS0_4arch9wavefront6targetE1EEEvSI_.has_dyn_sized_stack, 0
	.set _ZN7rocprim17ROCPRIM_400000_NS6detail17trampoline_kernelINS0_14default_configENS1_35radix_sort_onesweep_config_selectorIiiEEZZNS1_29radix_sort_onesweep_iterationIS3_Lb0EN6thrust23THRUST_200600_302600_NS6detail15normal_iteratorINS8_10device_ptrIiEEEESD_SD_SD_jNS0_19identity_decomposerENS1_16block_id_wrapperIjLb1EEEEE10hipError_tT1_PNSt15iterator_traitsISI_E10value_typeET2_T3_PNSJ_ISO_E10value_typeET4_T5_PST_SU_PNS1_23onesweep_lookback_stateEbbT6_jjT7_P12ihipStream_tbENKUlT_T0_SI_SN_E_clISD_PiSD_S15_EEDaS11_S12_SI_SN_EUlS11_E_NS1_11comp_targetILNS1_3genE4ELNS1_11target_archE910ELNS1_3gpuE8ELNS1_3repE0EEENS1_47radix_sort_onesweep_sort_config_static_selectorELNS0_4arch9wavefront6targetE1EEEvSI_.has_recursion, 0
	.set _ZN7rocprim17ROCPRIM_400000_NS6detail17trampoline_kernelINS0_14default_configENS1_35radix_sort_onesweep_config_selectorIiiEEZZNS1_29radix_sort_onesweep_iterationIS3_Lb0EN6thrust23THRUST_200600_302600_NS6detail15normal_iteratorINS8_10device_ptrIiEEEESD_SD_SD_jNS0_19identity_decomposerENS1_16block_id_wrapperIjLb1EEEEE10hipError_tT1_PNSt15iterator_traitsISI_E10value_typeET2_T3_PNSJ_ISO_E10value_typeET4_T5_PST_SU_PNS1_23onesweep_lookback_stateEbbT6_jjT7_P12ihipStream_tbENKUlT_T0_SI_SN_E_clISD_PiSD_S15_EEDaS11_S12_SI_SN_EUlS11_E_NS1_11comp_targetILNS1_3genE4ELNS1_11target_archE910ELNS1_3gpuE8ELNS1_3repE0EEENS1_47radix_sort_onesweep_sort_config_static_selectorELNS0_4arch9wavefront6targetE1EEEvSI_.has_indirect_call, 0
	.section	.AMDGPU.csdata,"",@progbits
; Kernel info:
; codeLenInByte = 0
; TotalNumSgprs: 6
; NumVgprs: 0
; NumAgprs: 0
; TotalNumVgprs: 0
; ScratchSize: 0
; MemoryBound: 0
; FloatMode: 240
; IeeeMode: 1
; LDSByteSize: 0 bytes/workgroup (compile time only)
; SGPRBlocks: 0
; VGPRBlocks: 0
; NumSGPRsForWavesPerEU: 6
; NumVGPRsForWavesPerEU: 1
; AccumOffset: 4
; Occupancy: 8
; WaveLimiterHint : 0
; COMPUTE_PGM_RSRC2:SCRATCH_EN: 0
; COMPUTE_PGM_RSRC2:USER_SGPR: 2
; COMPUTE_PGM_RSRC2:TRAP_HANDLER: 0
; COMPUTE_PGM_RSRC2:TGID_X_EN: 1
; COMPUTE_PGM_RSRC2:TGID_Y_EN: 0
; COMPUTE_PGM_RSRC2:TGID_Z_EN: 0
; COMPUTE_PGM_RSRC2:TIDIG_COMP_CNT: 0
; COMPUTE_PGM_RSRC3_GFX90A:ACCUM_OFFSET: 0
; COMPUTE_PGM_RSRC3_GFX90A:TG_SPLIT: 0
	.section	.text._ZN7rocprim17ROCPRIM_400000_NS6detail17trampoline_kernelINS0_14default_configENS1_35radix_sort_onesweep_config_selectorIiiEEZZNS1_29radix_sort_onesweep_iterationIS3_Lb0EN6thrust23THRUST_200600_302600_NS6detail15normal_iteratorINS8_10device_ptrIiEEEESD_SD_SD_jNS0_19identity_decomposerENS1_16block_id_wrapperIjLb1EEEEE10hipError_tT1_PNSt15iterator_traitsISI_E10value_typeET2_T3_PNSJ_ISO_E10value_typeET4_T5_PST_SU_PNS1_23onesweep_lookback_stateEbbT6_jjT7_P12ihipStream_tbENKUlT_T0_SI_SN_E_clISD_PiSD_S15_EEDaS11_S12_SI_SN_EUlS11_E_NS1_11comp_targetILNS1_3genE3ELNS1_11target_archE908ELNS1_3gpuE7ELNS1_3repE0EEENS1_47radix_sort_onesweep_sort_config_static_selectorELNS0_4arch9wavefront6targetE1EEEvSI_,"axG",@progbits,_ZN7rocprim17ROCPRIM_400000_NS6detail17trampoline_kernelINS0_14default_configENS1_35radix_sort_onesweep_config_selectorIiiEEZZNS1_29radix_sort_onesweep_iterationIS3_Lb0EN6thrust23THRUST_200600_302600_NS6detail15normal_iteratorINS8_10device_ptrIiEEEESD_SD_SD_jNS0_19identity_decomposerENS1_16block_id_wrapperIjLb1EEEEE10hipError_tT1_PNSt15iterator_traitsISI_E10value_typeET2_T3_PNSJ_ISO_E10value_typeET4_T5_PST_SU_PNS1_23onesweep_lookback_stateEbbT6_jjT7_P12ihipStream_tbENKUlT_T0_SI_SN_E_clISD_PiSD_S15_EEDaS11_S12_SI_SN_EUlS11_E_NS1_11comp_targetILNS1_3genE3ELNS1_11target_archE908ELNS1_3gpuE7ELNS1_3repE0EEENS1_47radix_sort_onesweep_sort_config_static_selectorELNS0_4arch9wavefront6targetE1EEEvSI_,comdat
	.protected	_ZN7rocprim17ROCPRIM_400000_NS6detail17trampoline_kernelINS0_14default_configENS1_35radix_sort_onesweep_config_selectorIiiEEZZNS1_29radix_sort_onesweep_iterationIS3_Lb0EN6thrust23THRUST_200600_302600_NS6detail15normal_iteratorINS8_10device_ptrIiEEEESD_SD_SD_jNS0_19identity_decomposerENS1_16block_id_wrapperIjLb1EEEEE10hipError_tT1_PNSt15iterator_traitsISI_E10value_typeET2_T3_PNSJ_ISO_E10value_typeET4_T5_PST_SU_PNS1_23onesweep_lookback_stateEbbT6_jjT7_P12ihipStream_tbENKUlT_T0_SI_SN_E_clISD_PiSD_S15_EEDaS11_S12_SI_SN_EUlS11_E_NS1_11comp_targetILNS1_3genE3ELNS1_11target_archE908ELNS1_3gpuE7ELNS1_3repE0EEENS1_47radix_sort_onesweep_sort_config_static_selectorELNS0_4arch9wavefront6targetE1EEEvSI_ ; -- Begin function _ZN7rocprim17ROCPRIM_400000_NS6detail17trampoline_kernelINS0_14default_configENS1_35radix_sort_onesweep_config_selectorIiiEEZZNS1_29radix_sort_onesweep_iterationIS3_Lb0EN6thrust23THRUST_200600_302600_NS6detail15normal_iteratorINS8_10device_ptrIiEEEESD_SD_SD_jNS0_19identity_decomposerENS1_16block_id_wrapperIjLb1EEEEE10hipError_tT1_PNSt15iterator_traitsISI_E10value_typeET2_T3_PNSJ_ISO_E10value_typeET4_T5_PST_SU_PNS1_23onesweep_lookback_stateEbbT6_jjT7_P12ihipStream_tbENKUlT_T0_SI_SN_E_clISD_PiSD_S15_EEDaS11_S12_SI_SN_EUlS11_E_NS1_11comp_targetILNS1_3genE3ELNS1_11target_archE908ELNS1_3gpuE7ELNS1_3repE0EEENS1_47radix_sort_onesweep_sort_config_static_selectorELNS0_4arch9wavefront6targetE1EEEvSI_
	.globl	_ZN7rocprim17ROCPRIM_400000_NS6detail17trampoline_kernelINS0_14default_configENS1_35radix_sort_onesweep_config_selectorIiiEEZZNS1_29radix_sort_onesweep_iterationIS3_Lb0EN6thrust23THRUST_200600_302600_NS6detail15normal_iteratorINS8_10device_ptrIiEEEESD_SD_SD_jNS0_19identity_decomposerENS1_16block_id_wrapperIjLb1EEEEE10hipError_tT1_PNSt15iterator_traitsISI_E10value_typeET2_T3_PNSJ_ISO_E10value_typeET4_T5_PST_SU_PNS1_23onesweep_lookback_stateEbbT6_jjT7_P12ihipStream_tbENKUlT_T0_SI_SN_E_clISD_PiSD_S15_EEDaS11_S12_SI_SN_EUlS11_E_NS1_11comp_targetILNS1_3genE3ELNS1_11target_archE908ELNS1_3gpuE7ELNS1_3repE0EEENS1_47radix_sort_onesweep_sort_config_static_selectorELNS0_4arch9wavefront6targetE1EEEvSI_
	.p2align	8
	.type	_ZN7rocprim17ROCPRIM_400000_NS6detail17trampoline_kernelINS0_14default_configENS1_35radix_sort_onesweep_config_selectorIiiEEZZNS1_29radix_sort_onesweep_iterationIS3_Lb0EN6thrust23THRUST_200600_302600_NS6detail15normal_iteratorINS8_10device_ptrIiEEEESD_SD_SD_jNS0_19identity_decomposerENS1_16block_id_wrapperIjLb1EEEEE10hipError_tT1_PNSt15iterator_traitsISI_E10value_typeET2_T3_PNSJ_ISO_E10value_typeET4_T5_PST_SU_PNS1_23onesweep_lookback_stateEbbT6_jjT7_P12ihipStream_tbENKUlT_T0_SI_SN_E_clISD_PiSD_S15_EEDaS11_S12_SI_SN_EUlS11_E_NS1_11comp_targetILNS1_3genE3ELNS1_11target_archE908ELNS1_3gpuE7ELNS1_3repE0EEENS1_47radix_sort_onesweep_sort_config_static_selectorELNS0_4arch9wavefront6targetE1EEEvSI_,@function
_ZN7rocprim17ROCPRIM_400000_NS6detail17trampoline_kernelINS0_14default_configENS1_35radix_sort_onesweep_config_selectorIiiEEZZNS1_29radix_sort_onesweep_iterationIS3_Lb0EN6thrust23THRUST_200600_302600_NS6detail15normal_iteratorINS8_10device_ptrIiEEEESD_SD_SD_jNS0_19identity_decomposerENS1_16block_id_wrapperIjLb1EEEEE10hipError_tT1_PNSt15iterator_traitsISI_E10value_typeET2_T3_PNSJ_ISO_E10value_typeET4_T5_PST_SU_PNS1_23onesweep_lookback_stateEbbT6_jjT7_P12ihipStream_tbENKUlT_T0_SI_SN_E_clISD_PiSD_S15_EEDaS11_S12_SI_SN_EUlS11_E_NS1_11comp_targetILNS1_3genE3ELNS1_11target_archE908ELNS1_3gpuE7ELNS1_3repE0EEENS1_47radix_sort_onesweep_sort_config_static_selectorELNS0_4arch9wavefront6targetE1EEEvSI_: ; @_ZN7rocprim17ROCPRIM_400000_NS6detail17trampoline_kernelINS0_14default_configENS1_35radix_sort_onesweep_config_selectorIiiEEZZNS1_29radix_sort_onesweep_iterationIS3_Lb0EN6thrust23THRUST_200600_302600_NS6detail15normal_iteratorINS8_10device_ptrIiEEEESD_SD_SD_jNS0_19identity_decomposerENS1_16block_id_wrapperIjLb1EEEEE10hipError_tT1_PNSt15iterator_traitsISI_E10value_typeET2_T3_PNSJ_ISO_E10value_typeET4_T5_PST_SU_PNS1_23onesweep_lookback_stateEbbT6_jjT7_P12ihipStream_tbENKUlT_T0_SI_SN_E_clISD_PiSD_S15_EEDaS11_S12_SI_SN_EUlS11_E_NS1_11comp_targetILNS1_3genE3ELNS1_11target_archE908ELNS1_3gpuE7ELNS1_3repE0EEENS1_47radix_sort_onesweep_sort_config_static_selectorELNS0_4arch9wavefront6targetE1EEEvSI_
; %bb.0:
	.section	.rodata,"a",@progbits
	.p2align	6, 0x0
	.amdhsa_kernel _ZN7rocprim17ROCPRIM_400000_NS6detail17trampoline_kernelINS0_14default_configENS1_35radix_sort_onesweep_config_selectorIiiEEZZNS1_29radix_sort_onesweep_iterationIS3_Lb0EN6thrust23THRUST_200600_302600_NS6detail15normal_iteratorINS8_10device_ptrIiEEEESD_SD_SD_jNS0_19identity_decomposerENS1_16block_id_wrapperIjLb1EEEEE10hipError_tT1_PNSt15iterator_traitsISI_E10value_typeET2_T3_PNSJ_ISO_E10value_typeET4_T5_PST_SU_PNS1_23onesweep_lookback_stateEbbT6_jjT7_P12ihipStream_tbENKUlT_T0_SI_SN_E_clISD_PiSD_S15_EEDaS11_S12_SI_SN_EUlS11_E_NS1_11comp_targetILNS1_3genE3ELNS1_11target_archE908ELNS1_3gpuE7ELNS1_3repE0EEENS1_47radix_sort_onesweep_sort_config_static_selectorELNS0_4arch9wavefront6targetE1EEEvSI_
		.amdhsa_group_segment_fixed_size 0
		.amdhsa_private_segment_fixed_size 0
		.amdhsa_kernarg_size 88
		.amdhsa_user_sgpr_count 2
		.amdhsa_user_sgpr_dispatch_ptr 0
		.amdhsa_user_sgpr_queue_ptr 0
		.amdhsa_user_sgpr_kernarg_segment_ptr 1
		.amdhsa_user_sgpr_dispatch_id 0
		.amdhsa_user_sgpr_kernarg_preload_length 0
		.amdhsa_user_sgpr_kernarg_preload_offset 0
		.amdhsa_user_sgpr_private_segment_size 0
		.amdhsa_uses_dynamic_stack 0
		.amdhsa_enable_private_segment 0
		.amdhsa_system_sgpr_workgroup_id_x 1
		.amdhsa_system_sgpr_workgroup_id_y 0
		.amdhsa_system_sgpr_workgroup_id_z 0
		.amdhsa_system_sgpr_workgroup_info 0
		.amdhsa_system_vgpr_workitem_id 0
		.amdhsa_next_free_vgpr 1
		.amdhsa_next_free_sgpr 0
		.amdhsa_accum_offset 4
		.amdhsa_reserve_vcc 0
		.amdhsa_float_round_mode_32 0
		.amdhsa_float_round_mode_16_64 0
		.amdhsa_float_denorm_mode_32 3
		.amdhsa_float_denorm_mode_16_64 3
		.amdhsa_dx10_clamp 1
		.amdhsa_ieee_mode 1
		.amdhsa_fp16_overflow 0
		.amdhsa_tg_split 0
		.amdhsa_exception_fp_ieee_invalid_op 0
		.amdhsa_exception_fp_denorm_src 0
		.amdhsa_exception_fp_ieee_div_zero 0
		.amdhsa_exception_fp_ieee_overflow 0
		.amdhsa_exception_fp_ieee_underflow 0
		.amdhsa_exception_fp_ieee_inexact 0
		.amdhsa_exception_int_div_zero 0
	.end_amdhsa_kernel
	.section	.text._ZN7rocprim17ROCPRIM_400000_NS6detail17trampoline_kernelINS0_14default_configENS1_35radix_sort_onesweep_config_selectorIiiEEZZNS1_29radix_sort_onesweep_iterationIS3_Lb0EN6thrust23THRUST_200600_302600_NS6detail15normal_iteratorINS8_10device_ptrIiEEEESD_SD_SD_jNS0_19identity_decomposerENS1_16block_id_wrapperIjLb1EEEEE10hipError_tT1_PNSt15iterator_traitsISI_E10value_typeET2_T3_PNSJ_ISO_E10value_typeET4_T5_PST_SU_PNS1_23onesweep_lookback_stateEbbT6_jjT7_P12ihipStream_tbENKUlT_T0_SI_SN_E_clISD_PiSD_S15_EEDaS11_S12_SI_SN_EUlS11_E_NS1_11comp_targetILNS1_3genE3ELNS1_11target_archE908ELNS1_3gpuE7ELNS1_3repE0EEENS1_47radix_sort_onesweep_sort_config_static_selectorELNS0_4arch9wavefront6targetE1EEEvSI_,"axG",@progbits,_ZN7rocprim17ROCPRIM_400000_NS6detail17trampoline_kernelINS0_14default_configENS1_35radix_sort_onesweep_config_selectorIiiEEZZNS1_29radix_sort_onesweep_iterationIS3_Lb0EN6thrust23THRUST_200600_302600_NS6detail15normal_iteratorINS8_10device_ptrIiEEEESD_SD_SD_jNS0_19identity_decomposerENS1_16block_id_wrapperIjLb1EEEEE10hipError_tT1_PNSt15iterator_traitsISI_E10value_typeET2_T3_PNSJ_ISO_E10value_typeET4_T5_PST_SU_PNS1_23onesweep_lookback_stateEbbT6_jjT7_P12ihipStream_tbENKUlT_T0_SI_SN_E_clISD_PiSD_S15_EEDaS11_S12_SI_SN_EUlS11_E_NS1_11comp_targetILNS1_3genE3ELNS1_11target_archE908ELNS1_3gpuE7ELNS1_3repE0EEENS1_47radix_sort_onesweep_sort_config_static_selectorELNS0_4arch9wavefront6targetE1EEEvSI_,comdat
.Lfunc_end1433:
	.size	_ZN7rocprim17ROCPRIM_400000_NS6detail17trampoline_kernelINS0_14default_configENS1_35radix_sort_onesweep_config_selectorIiiEEZZNS1_29radix_sort_onesweep_iterationIS3_Lb0EN6thrust23THRUST_200600_302600_NS6detail15normal_iteratorINS8_10device_ptrIiEEEESD_SD_SD_jNS0_19identity_decomposerENS1_16block_id_wrapperIjLb1EEEEE10hipError_tT1_PNSt15iterator_traitsISI_E10value_typeET2_T3_PNSJ_ISO_E10value_typeET4_T5_PST_SU_PNS1_23onesweep_lookback_stateEbbT6_jjT7_P12ihipStream_tbENKUlT_T0_SI_SN_E_clISD_PiSD_S15_EEDaS11_S12_SI_SN_EUlS11_E_NS1_11comp_targetILNS1_3genE3ELNS1_11target_archE908ELNS1_3gpuE7ELNS1_3repE0EEENS1_47radix_sort_onesweep_sort_config_static_selectorELNS0_4arch9wavefront6targetE1EEEvSI_, .Lfunc_end1433-_ZN7rocprim17ROCPRIM_400000_NS6detail17trampoline_kernelINS0_14default_configENS1_35radix_sort_onesweep_config_selectorIiiEEZZNS1_29radix_sort_onesweep_iterationIS3_Lb0EN6thrust23THRUST_200600_302600_NS6detail15normal_iteratorINS8_10device_ptrIiEEEESD_SD_SD_jNS0_19identity_decomposerENS1_16block_id_wrapperIjLb1EEEEE10hipError_tT1_PNSt15iterator_traitsISI_E10value_typeET2_T3_PNSJ_ISO_E10value_typeET4_T5_PST_SU_PNS1_23onesweep_lookback_stateEbbT6_jjT7_P12ihipStream_tbENKUlT_T0_SI_SN_E_clISD_PiSD_S15_EEDaS11_S12_SI_SN_EUlS11_E_NS1_11comp_targetILNS1_3genE3ELNS1_11target_archE908ELNS1_3gpuE7ELNS1_3repE0EEENS1_47radix_sort_onesweep_sort_config_static_selectorELNS0_4arch9wavefront6targetE1EEEvSI_
                                        ; -- End function
	.set _ZN7rocprim17ROCPRIM_400000_NS6detail17trampoline_kernelINS0_14default_configENS1_35radix_sort_onesweep_config_selectorIiiEEZZNS1_29radix_sort_onesweep_iterationIS3_Lb0EN6thrust23THRUST_200600_302600_NS6detail15normal_iteratorINS8_10device_ptrIiEEEESD_SD_SD_jNS0_19identity_decomposerENS1_16block_id_wrapperIjLb1EEEEE10hipError_tT1_PNSt15iterator_traitsISI_E10value_typeET2_T3_PNSJ_ISO_E10value_typeET4_T5_PST_SU_PNS1_23onesweep_lookback_stateEbbT6_jjT7_P12ihipStream_tbENKUlT_T0_SI_SN_E_clISD_PiSD_S15_EEDaS11_S12_SI_SN_EUlS11_E_NS1_11comp_targetILNS1_3genE3ELNS1_11target_archE908ELNS1_3gpuE7ELNS1_3repE0EEENS1_47radix_sort_onesweep_sort_config_static_selectorELNS0_4arch9wavefront6targetE1EEEvSI_.num_vgpr, 0
	.set _ZN7rocprim17ROCPRIM_400000_NS6detail17trampoline_kernelINS0_14default_configENS1_35radix_sort_onesweep_config_selectorIiiEEZZNS1_29radix_sort_onesweep_iterationIS3_Lb0EN6thrust23THRUST_200600_302600_NS6detail15normal_iteratorINS8_10device_ptrIiEEEESD_SD_SD_jNS0_19identity_decomposerENS1_16block_id_wrapperIjLb1EEEEE10hipError_tT1_PNSt15iterator_traitsISI_E10value_typeET2_T3_PNSJ_ISO_E10value_typeET4_T5_PST_SU_PNS1_23onesweep_lookback_stateEbbT6_jjT7_P12ihipStream_tbENKUlT_T0_SI_SN_E_clISD_PiSD_S15_EEDaS11_S12_SI_SN_EUlS11_E_NS1_11comp_targetILNS1_3genE3ELNS1_11target_archE908ELNS1_3gpuE7ELNS1_3repE0EEENS1_47radix_sort_onesweep_sort_config_static_selectorELNS0_4arch9wavefront6targetE1EEEvSI_.num_agpr, 0
	.set _ZN7rocprim17ROCPRIM_400000_NS6detail17trampoline_kernelINS0_14default_configENS1_35radix_sort_onesweep_config_selectorIiiEEZZNS1_29radix_sort_onesweep_iterationIS3_Lb0EN6thrust23THRUST_200600_302600_NS6detail15normal_iteratorINS8_10device_ptrIiEEEESD_SD_SD_jNS0_19identity_decomposerENS1_16block_id_wrapperIjLb1EEEEE10hipError_tT1_PNSt15iterator_traitsISI_E10value_typeET2_T3_PNSJ_ISO_E10value_typeET4_T5_PST_SU_PNS1_23onesweep_lookback_stateEbbT6_jjT7_P12ihipStream_tbENKUlT_T0_SI_SN_E_clISD_PiSD_S15_EEDaS11_S12_SI_SN_EUlS11_E_NS1_11comp_targetILNS1_3genE3ELNS1_11target_archE908ELNS1_3gpuE7ELNS1_3repE0EEENS1_47radix_sort_onesweep_sort_config_static_selectorELNS0_4arch9wavefront6targetE1EEEvSI_.numbered_sgpr, 0
	.set _ZN7rocprim17ROCPRIM_400000_NS6detail17trampoline_kernelINS0_14default_configENS1_35radix_sort_onesweep_config_selectorIiiEEZZNS1_29radix_sort_onesweep_iterationIS3_Lb0EN6thrust23THRUST_200600_302600_NS6detail15normal_iteratorINS8_10device_ptrIiEEEESD_SD_SD_jNS0_19identity_decomposerENS1_16block_id_wrapperIjLb1EEEEE10hipError_tT1_PNSt15iterator_traitsISI_E10value_typeET2_T3_PNSJ_ISO_E10value_typeET4_T5_PST_SU_PNS1_23onesweep_lookback_stateEbbT6_jjT7_P12ihipStream_tbENKUlT_T0_SI_SN_E_clISD_PiSD_S15_EEDaS11_S12_SI_SN_EUlS11_E_NS1_11comp_targetILNS1_3genE3ELNS1_11target_archE908ELNS1_3gpuE7ELNS1_3repE0EEENS1_47radix_sort_onesweep_sort_config_static_selectorELNS0_4arch9wavefront6targetE1EEEvSI_.num_named_barrier, 0
	.set _ZN7rocprim17ROCPRIM_400000_NS6detail17trampoline_kernelINS0_14default_configENS1_35radix_sort_onesweep_config_selectorIiiEEZZNS1_29radix_sort_onesweep_iterationIS3_Lb0EN6thrust23THRUST_200600_302600_NS6detail15normal_iteratorINS8_10device_ptrIiEEEESD_SD_SD_jNS0_19identity_decomposerENS1_16block_id_wrapperIjLb1EEEEE10hipError_tT1_PNSt15iterator_traitsISI_E10value_typeET2_T3_PNSJ_ISO_E10value_typeET4_T5_PST_SU_PNS1_23onesweep_lookback_stateEbbT6_jjT7_P12ihipStream_tbENKUlT_T0_SI_SN_E_clISD_PiSD_S15_EEDaS11_S12_SI_SN_EUlS11_E_NS1_11comp_targetILNS1_3genE3ELNS1_11target_archE908ELNS1_3gpuE7ELNS1_3repE0EEENS1_47radix_sort_onesweep_sort_config_static_selectorELNS0_4arch9wavefront6targetE1EEEvSI_.private_seg_size, 0
	.set _ZN7rocprim17ROCPRIM_400000_NS6detail17trampoline_kernelINS0_14default_configENS1_35radix_sort_onesweep_config_selectorIiiEEZZNS1_29radix_sort_onesweep_iterationIS3_Lb0EN6thrust23THRUST_200600_302600_NS6detail15normal_iteratorINS8_10device_ptrIiEEEESD_SD_SD_jNS0_19identity_decomposerENS1_16block_id_wrapperIjLb1EEEEE10hipError_tT1_PNSt15iterator_traitsISI_E10value_typeET2_T3_PNSJ_ISO_E10value_typeET4_T5_PST_SU_PNS1_23onesweep_lookback_stateEbbT6_jjT7_P12ihipStream_tbENKUlT_T0_SI_SN_E_clISD_PiSD_S15_EEDaS11_S12_SI_SN_EUlS11_E_NS1_11comp_targetILNS1_3genE3ELNS1_11target_archE908ELNS1_3gpuE7ELNS1_3repE0EEENS1_47radix_sort_onesweep_sort_config_static_selectorELNS0_4arch9wavefront6targetE1EEEvSI_.uses_vcc, 0
	.set _ZN7rocprim17ROCPRIM_400000_NS6detail17trampoline_kernelINS0_14default_configENS1_35radix_sort_onesweep_config_selectorIiiEEZZNS1_29radix_sort_onesweep_iterationIS3_Lb0EN6thrust23THRUST_200600_302600_NS6detail15normal_iteratorINS8_10device_ptrIiEEEESD_SD_SD_jNS0_19identity_decomposerENS1_16block_id_wrapperIjLb1EEEEE10hipError_tT1_PNSt15iterator_traitsISI_E10value_typeET2_T3_PNSJ_ISO_E10value_typeET4_T5_PST_SU_PNS1_23onesweep_lookback_stateEbbT6_jjT7_P12ihipStream_tbENKUlT_T0_SI_SN_E_clISD_PiSD_S15_EEDaS11_S12_SI_SN_EUlS11_E_NS1_11comp_targetILNS1_3genE3ELNS1_11target_archE908ELNS1_3gpuE7ELNS1_3repE0EEENS1_47radix_sort_onesweep_sort_config_static_selectorELNS0_4arch9wavefront6targetE1EEEvSI_.uses_flat_scratch, 0
	.set _ZN7rocprim17ROCPRIM_400000_NS6detail17trampoline_kernelINS0_14default_configENS1_35radix_sort_onesweep_config_selectorIiiEEZZNS1_29radix_sort_onesweep_iterationIS3_Lb0EN6thrust23THRUST_200600_302600_NS6detail15normal_iteratorINS8_10device_ptrIiEEEESD_SD_SD_jNS0_19identity_decomposerENS1_16block_id_wrapperIjLb1EEEEE10hipError_tT1_PNSt15iterator_traitsISI_E10value_typeET2_T3_PNSJ_ISO_E10value_typeET4_T5_PST_SU_PNS1_23onesweep_lookback_stateEbbT6_jjT7_P12ihipStream_tbENKUlT_T0_SI_SN_E_clISD_PiSD_S15_EEDaS11_S12_SI_SN_EUlS11_E_NS1_11comp_targetILNS1_3genE3ELNS1_11target_archE908ELNS1_3gpuE7ELNS1_3repE0EEENS1_47radix_sort_onesweep_sort_config_static_selectorELNS0_4arch9wavefront6targetE1EEEvSI_.has_dyn_sized_stack, 0
	.set _ZN7rocprim17ROCPRIM_400000_NS6detail17trampoline_kernelINS0_14default_configENS1_35radix_sort_onesweep_config_selectorIiiEEZZNS1_29radix_sort_onesweep_iterationIS3_Lb0EN6thrust23THRUST_200600_302600_NS6detail15normal_iteratorINS8_10device_ptrIiEEEESD_SD_SD_jNS0_19identity_decomposerENS1_16block_id_wrapperIjLb1EEEEE10hipError_tT1_PNSt15iterator_traitsISI_E10value_typeET2_T3_PNSJ_ISO_E10value_typeET4_T5_PST_SU_PNS1_23onesweep_lookback_stateEbbT6_jjT7_P12ihipStream_tbENKUlT_T0_SI_SN_E_clISD_PiSD_S15_EEDaS11_S12_SI_SN_EUlS11_E_NS1_11comp_targetILNS1_3genE3ELNS1_11target_archE908ELNS1_3gpuE7ELNS1_3repE0EEENS1_47radix_sort_onesweep_sort_config_static_selectorELNS0_4arch9wavefront6targetE1EEEvSI_.has_recursion, 0
	.set _ZN7rocprim17ROCPRIM_400000_NS6detail17trampoline_kernelINS0_14default_configENS1_35radix_sort_onesweep_config_selectorIiiEEZZNS1_29radix_sort_onesweep_iterationIS3_Lb0EN6thrust23THRUST_200600_302600_NS6detail15normal_iteratorINS8_10device_ptrIiEEEESD_SD_SD_jNS0_19identity_decomposerENS1_16block_id_wrapperIjLb1EEEEE10hipError_tT1_PNSt15iterator_traitsISI_E10value_typeET2_T3_PNSJ_ISO_E10value_typeET4_T5_PST_SU_PNS1_23onesweep_lookback_stateEbbT6_jjT7_P12ihipStream_tbENKUlT_T0_SI_SN_E_clISD_PiSD_S15_EEDaS11_S12_SI_SN_EUlS11_E_NS1_11comp_targetILNS1_3genE3ELNS1_11target_archE908ELNS1_3gpuE7ELNS1_3repE0EEENS1_47radix_sort_onesweep_sort_config_static_selectorELNS0_4arch9wavefront6targetE1EEEvSI_.has_indirect_call, 0
	.section	.AMDGPU.csdata,"",@progbits
; Kernel info:
; codeLenInByte = 0
; TotalNumSgprs: 6
; NumVgprs: 0
; NumAgprs: 0
; TotalNumVgprs: 0
; ScratchSize: 0
; MemoryBound: 0
; FloatMode: 240
; IeeeMode: 1
; LDSByteSize: 0 bytes/workgroup (compile time only)
; SGPRBlocks: 0
; VGPRBlocks: 0
; NumSGPRsForWavesPerEU: 6
; NumVGPRsForWavesPerEU: 1
; AccumOffset: 4
; Occupancy: 8
; WaveLimiterHint : 0
; COMPUTE_PGM_RSRC2:SCRATCH_EN: 0
; COMPUTE_PGM_RSRC2:USER_SGPR: 2
; COMPUTE_PGM_RSRC2:TRAP_HANDLER: 0
; COMPUTE_PGM_RSRC2:TGID_X_EN: 1
; COMPUTE_PGM_RSRC2:TGID_Y_EN: 0
; COMPUTE_PGM_RSRC2:TGID_Z_EN: 0
; COMPUTE_PGM_RSRC2:TIDIG_COMP_CNT: 0
; COMPUTE_PGM_RSRC3_GFX90A:ACCUM_OFFSET: 0
; COMPUTE_PGM_RSRC3_GFX90A:TG_SPLIT: 0
	.section	.text._ZN7rocprim17ROCPRIM_400000_NS6detail17trampoline_kernelINS0_14default_configENS1_35radix_sort_onesweep_config_selectorIiiEEZZNS1_29radix_sort_onesweep_iterationIS3_Lb0EN6thrust23THRUST_200600_302600_NS6detail15normal_iteratorINS8_10device_ptrIiEEEESD_SD_SD_jNS0_19identity_decomposerENS1_16block_id_wrapperIjLb1EEEEE10hipError_tT1_PNSt15iterator_traitsISI_E10value_typeET2_T3_PNSJ_ISO_E10value_typeET4_T5_PST_SU_PNS1_23onesweep_lookback_stateEbbT6_jjT7_P12ihipStream_tbENKUlT_T0_SI_SN_E_clISD_PiSD_S15_EEDaS11_S12_SI_SN_EUlS11_E_NS1_11comp_targetILNS1_3genE10ELNS1_11target_archE1201ELNS1_3gpuE5ELNS1_3repE0EEENS1_47radix_sort_onesweep_sort_config_static_selectorELNS0_4arch9wavefront6targetE1EEEvSI_,"axG",@progbits,_ZN7rocprim17ROCPRIM_400000_NS6detail17trampoline_kernelINS0_14default_configENS1_35radix_sort_onesweep_config_selectorIiiEEZZNS1_29radix_sort_onesweep_iterationIS3_Lb0EN6thrust23THRUST_200600_302600_NS6detail15normal_iteratorINS8_10device_ptrIiEEEESD_SD_SD_jNS0_19identity_decomposerENS1_16block_id_wrapperIjLb1EEEEE10hipError_tT1_PNSt15iterator_traitsISI_E10value_typeET2_T3_PNSJ_ISO_E10value_typeET4_T5_PST_SU_PNS1_23onesweep_lookback_stateEbbT6_jjT7_P12ihipStream_tbENKUlT_T0_SI_SN_E_clISD_PiSD_S15_EEDaS11_S12_SI_SN_EUlS11_E_NS1_11comp_targetILNS1_3genE10ELNS1_11target_archE1201ELNS1_3gpuE5ELNS1_3repE0EEENS1_47radix_sort_onesweep_sort_config_static_selectorELNS0_4arch9wavefront6targetE1EEEvSI_,comdat
	.protected	_ZN7rocprim17ROCPRIM_400000_NS6detail17trampoline_kernelINS0_14default_configENS1_35radix_sort_onesweep_config_selectorIiiEEZZNS1_29radix_sort_onesweep_iterationIS3_Lb0EN6thrust23THRUST_200600_302600_NS6detail15normal_iteratorINS8_10device_ptrIiEEEESD_SD_SD_jNS0_19identity_decomposerENS1_16block_id_wrapperIjLb1EEEEE10hipError_tT1_PNSt15iterator_traitsISI_E10value_typeET2_T3_PNSJ_ISO_E10value_typeET4_T5_PST_SU_PNS1_23onesweep_lookback_stateEbbT6_jjT7_P12ihipStream_tbENKUlT_T0_SI_SN_E_clISD_PiSD_S15_EEDaS11_S12_SI_SN_EUlS11_E_NS1_11comp_targetILNS1_3genE10ELNS1_11target_archE1201ELNS1_3gpuE5ELNS1_3repE0EEENS1_47radix_sort_onesweep_sort_config_static_selectorELNS0_4arch9wavefront6targetE1EEEvSI_ ; -- Begin function _ZN7rocprim17ROCPRIM_400000_NS6detail17trampoline_kernelINS0_14default_configENS1_35radix_sort_onesweep_config_selectorIiiEEZZNS1_29radix_sort_onesweep_iterationIS3_Lb0EN6thrust23THRUST_200600_302600_NS6detail15normal_iteratorINS8_10device_ptrIiEEEESD_SD_SD_jNS0_19identity_decomposerENS1_16block_id_wrapperIjLb1EEEEE10hipError_tT1_PNSt15iterator_traitsISI_E10value_typeET2_T3_PNSJ_ISO_E10value_typeET4_T5_PST_SU_PNS1_23onesweep_lookback_stateEbbT6_jjT7_P12ihipStream_tbENKUlT_T0_SI_SN_E_clISD_PiSD_S15_EEDaS11_S12_SI_SN_EUlS11_E_NS1_11comp_targetILNS1_3genE10ELNS1_11target_archE1201ELNS1_3gpuE5ELNS1_3repE0EEENS1_47radix_sort_onesweep_sort_config_static_selectorELNS0_4arch9wavefront6targetE1EEEvSI_
	.globl	_ZN7rocprim17ROCPRIM_400000_NS6detail17trampoline_kernelINS0_14default_configENS1_35radix_sort_onesweep_config_selectorIiiEEZZNS1_29radix_sort_onesweep_iterationIS3_Lb0EN6thrust23THRUST_200600_302600_NS6detail15normal_iteratorINS8_10device_ptrIiEEEESD_SD_SD_jNS0_19identity_decomposerENS1_16block_id_wrapperIjLb1EEEEE10hipError_tT1_PNSt15iterator_traitsISI_E10value_typeET2_T3_PNSJ_ISO_E10value_typeET4_T5_PST_SU_PNS1_23onesweep_lookback_stateEbbT6_jjT7_P12ihipStream_tbENKUlT_T0_SI_SN_E_clISD_PiSD_S15_EEDaS11_S12_SI_SN_EUlS11_E_NS1_11comp_targetILNS1_3genE10ELNS1_11target_archE1201ELNS1_3gpuE5ELNS1_3repE0EEENS1_47radix_sort_onesweep_sort_config_static_selectorELNS0_4arch9wavefront6targetE1EEEvSI_
	.p2align	8
	.type	_ZN7rocprim17ROCPRIM_400000_NS6detail17trampoline_kernelINS0_14default_configENS1_35radix_sort_onesweep_config_selectorIiiEEZZNS1_29radix_sort_onesweep_iterationIS3_Lb0EN6thrust23THRUST_200600_302600_NS6detail15normal_iteratorINS8_10device_ptrIiEEEESD_SD_SD_jNS0_19identity_decomposerENS1_16block_id_wrapperIjLb1EEEEE10hipError_tT1_PNSt15iterator_traitsISI_E10value_typeET2_T3_PNSJ_ISO_E10value_typeET4_T5_PST_SU_PNS1_23onesweep_lookback_stateEbbT6_jjT7_P12ihipStream_tbENKUlT_T0_SI_SN_E_clISD_PiSD_S15_EEDaS11_S12_SI_SN_EUlS11_E_NS1_11comp_targetILNS1_3genE10ELNS1_11target_archE1201ELNS1_3gpuE5ELNS1_3repE0EEENS1_47radix_sort_onesweep_sort_config_static_selectorELNS0_4arch9wavefront6targetE1EEEvSI_,@function
_ZN7rocprim17ROCPRIM_400000_NS6detail17trampoline_kernelINS0_14default_configENS1_35radix_sort_onesweep_config_selectorIiiEEZZNS1_29radix_sort_onesweep_iterationIS3_Lb0EN6thrust23THRUST_200600_302600_NS6detail15normal_iteratorINS8_10device_ptrIiEEEESD_SD_SD_jNS0_19identity_decomposerENS1_16block_id_wrapperIjLb1EEEEE10hipError_tT1_PNSt15iterator_traitsISI_E10value_typeET2_T3_PNSJ_ISO_E10value_typeET4_T5_PST_SU_PNS1_23onesweep_lookback_stateEbbT6_jjT7_P12ihipStream_tbENKUlT_T0_SI_SN_E_clISD_PiSD_S15_EEDaS11_S12_SI_SN_EUlS11_E_NS1_11comp_targetILNS1_3genE10ELNS1_11target_archE1201ELNS1_3gpuE5ELNS1_3repE0EEENS1_47radix_sort_onesweep_sort_config_static_selectorELNS0_4arch9wavefront6targetE1EEEvSI_: ; @_ZN7rocprim17ROCPRIM_400000_NS6detail17trampoline_kernelINS0_14default_configENS1_35radix_sort_onesweep_config_selectorIiiEEZZNS1_29radix_sort_onesweep_iterationIS3_Lb0EN6thrust23THRUST_200600_302600_NS6detail15normal_iteratorINS8_10device_ptrIiEEEESD_SD_SD_jNS0_19identity_decomposerENS1_16block_id_wrapperIjLb1EEEEE10hipError_tT1_PNSt15iterator_traitsISI_E10value_typeET2_T3_PNSJ_ISO_E10value_typeET4_T5_PST_SU_PNS1_23onesweep_lookback_stateEbbT6_jjT7_P12ihipStream_tbENKUlT_T0_SI_SN_E_clISD_PiSD_S15_EEDaS11_S12_SI_SN_EUlS11_E_NS1_11comp_targetILNS1_3genE10ELNS1_11target_archE1201ELNS1_3gpuE5ELNS1_3repE0EEENS1_47radix_sort_onesweep_sort_config_static_selectorELNS0_4arch9wavefront6targetE1EEEvSI_
; %bb.0:
	.section	.rodata,"a",@progbits
	.p2align	6, 0x0
	.amdhsa_kernel _ZN7rocprim17ROCPRIM_400000_NS6detail17trampoline_kernelINS0_14default_configENS1_35radix_sort_onesweep_config_selectorIiiEEZZNS1_29radix_sort_onesweep_iterationIS3_Lb0EN6thrust23THRUST_200600_302600_NS6detail15normal_iteratorINS8_10device_ptrIiEEEESD_SD_SD_jNS0_19identity_decomposerENS1_16block_id_wrapperIjLb1EEEEE10hipError_tT1_PNSt15iterator_traitsISI_E10value_typeET2_T3_PNSJ_ISO_E10value_typeET4_T5_PST_SU_PNS1_23onesweep_lookback_stateEbbT6_jjT7_P12ihipStream_tbENKUlT_T0_SI_SN_E_clISD_PiSD_S15_EEDaS11_S12_SI_SN_EUlS11_E_NS1_11comp_targetILNS1_3genE10ELNS1_11target_archE1201ELNS1_3gpuE5ELNS1_3repE0EEENS1_47radix_sort_onesweep_sort_config_static_selectorELNS0_4arch9wavefront6targetE1EEEvSI_
		.amdhsa_group_segment_fixed_size 0
		.amdhsa_private_segment_fixed_size 0
		.amdhsa_kernarg_size 88
		.amdhsa_user_sgpr_count 2
		.amdhsa_user_sgpr_dispatch_ptr 0
		.amdhsa_user_sgpr_queue_ptr 0
		.amdhsa_user_sgpr_kernarg_segment_ptr 1
		.amdhsa_user_sgpr_dispatch_id 0
		.amdhsa_user_sgpr_kernarg_preload_length 0
		.amdhsa_user_sgpr_kernarg_preload_offset 0
		.amdhsa_user_sgpr_private_segment_size 0
		.amdhsa_uses_dynamic_stack 0
		.amdhsa_enable_private_segment 0
		.amdhsa_system_sgpr_workgroup_id_x 1
		.amdhsa_system_sgpr_workgroup_id_y 0
		.amdhsa_system_sgpr_workgroup_id_z 0
		.amdhsa_system_sgpr_workgroup_info 0
		.amdhsa_system_vgpr_workitem_id 0
		.amdhsa_next_free_vgpr 1
		.amdhsa_next_free_sgpr 0
		.amdhsa_accum_offset 4
		.amdhsa_reserve_vcc 0
		.amdhsa_float_round_mode_32 0
		.amdhsa_float_round_mode_16_64 0
		.amdhsa_float_denorm_mode_32 3
		.amdhsa_float_denorm_mode_16_64 3
		.amdhsa_dx10_clamp 1
		.amdhsa_ieee_mode 1
		.amdhsa_fp16_overflow 0
		.amdhsa_tg_split 0
		.amdhsa_exception_fp_ieee_invalid_op 0
		.amdhsa_exception_fp_denorm_src 0
		.amdhsa_exception_fp_ieee_div_zero 0
		.amdhsa_exception_fp_ieee_overflow 0
		.amdhsa_exception_fp_ieee_underflow 0
		.amdhsa_exception_fp_ieee_inexact 0
		.amdhsa_exception_int_div_zero 0
	.end_amdhsa_kernel
	.section	.text._ZN7rocprim17ROCPRIM_400000_NS6detail17trampoline_kernelINS0_14default_configENS1_35radix_sort_onesweep_config_selectorIiiEEZZNS1_29radix_sort_onesweep_iterationIS3_Lb0EN6thrust23THRUST_200600_302600_NS6detail15normal_iteratorINS8_10device_ptrIiEEEESD_SD_SD_jNS0_19identity_decomposerENS1_16block_id_wrapperIjLb1EEEEE10hipError_tT1_PNSt15iterator_traitsISI_E10value_typeET2_T3_PNSJ_ISO_E10value_typeET4_T5_PST_SU_PNS1_23onesweep_lookback_stateEbbT6_jjT7_P12ihipStream_tbENKUlT_T0_SI_SN_E_clISD_PiSD_S15_EEDaS11_S12_SI_SN_EUlS11_E_NS1_11comp_targetILNS1_3genE10ELNS1_11target_archE1201ELNS1_3gpuE5ELNS1_3repE0EEENS1_47radix_sort_onesweep_sort_config_static_selectorELNS0_4arch9wavefront6targetE1EEEvSI_,"axG",@progbits,_ZN7rocprim17ROCPRIM_400000_NS6detail17trampoline_kernelINS0_14default_configENS1_35radix_sort_onesweep_config_selectorIiiEEZZNS1_29radix_sort_onesweep_iterationIS3_Lb0EN6thrust23THRUST_200600_302600_NS6detail15normal_iteratorINS8_10device_ptrIiEEEESD_SD_SD_jNS0_19identity_decomposerENS1_16block_id_wrapperIjLb1EEEEE10hipError_tT1_PNSt15iterator_traitsISI_E10value_typeET2_T3_PNSJ_ISO_E10value_typeET4_T5_PST_SU_PNS1_23onesweep_lookback_stateEbbT6_jjT7_P12ihipStream_tbENKUlT_T0_SI_SN_E_clISD_PiSD_S15_EEDaS11_S12_SI_SN_EUlS11_E_NS1_11comp_targetILNS1_3genE10ELNS1_11target_archE1201ELNS1_3gpuE5ELNS1_3repE0EEENS1_47radix_sort_onesweep_sort_config_static_selectorELNS0_4arch9wavefront6targetE1EEEvSI_,comdat
.Lfunc_end1434:
	.size	_ZN7rocprim17ROCPRIM_400000_NS6detail17trampoline_kernelINS0_14default_configENS1_35radix_sort_onesweep_config_selectorIiiEEZZNS1_29radix_sort_onesweep_iterationIS3_Lb0EN6thrust23THRUST_200600_302600_NS6detail15normal_iteratorINS8_10device_ptrIiEEEESD_SD_SD_jNS0_19identity_decomposerENS1_16block_id_wrapperIjLb1EEEEE10hipError_tT1_PNSt15iterator_traitsISI_E10value_typeET2_T3_PNSJ_ISO_E10value_typeET4_T5_PST_SU_PNS1_23onesweep_lookback_stateEbbT6_jjT7_P12ihipStream_tbENKUlT_T0_SI_SN_E_clISD_PiSD_S15_EEDaS11_S12_SI_SN_EUlS11_E_NS1_11comp_targetILNS1_3genE10ELNS1_11target_archE1201ELNS1_3gpuE5ELNS1_3repE0EEENS1_47radix_sort_onesweep_sort_config_static_selectorELNS0_4arch9wavefront6targetE1EEEvSI_, .Lfunc_end1434-_ZN7rocprim17ROCPRIM_400000_NS6detail17trampoline_kernelINS0_14default_configENS1_35radix_sort_onesweep_config_selectorIiiEEZZNS1_29radix_sort_onesweep_iterationIS3_Lb0EN6thrust23THRUST_200600_302600_NS6detail15normal_iteratorINS8_10device_ptrIiEEEESD_SD_SD_jNS0_19identity_decomposerENS1_16block_id_wrapperIjLb1EEEEE10hipError_tT1_PNSt15iterator_traitsISI_E10value_typeET2_T3_PNSJ_ISO_E10value_typeET4_T5_PST_SU_PNS1_23onesweep_lookback_stateEbbT6_jjT7_P12ihipStream_tbENKUlT_T0_SI_SN_E_clISD_PiSD_S15_EEDaS11_S12_SI_SN_EUlS11_E_NS1_11comp_targetILNS1_3genE10ELNS1_11target_archE1201ELNS1_3gpuE5ELNS1_3repE0EEENS1_47radix_sort_onesweep_sort_config_static_selectorELNS0_4arch9wavefront6targetE1EEEvSI_
                                        ; -- End function
	.set _ZN7rocprim17ROCPRIM_400000_NS6detail17trampoline_kernelINS0_14default_configENS1_35radix_sort_onesweep_config_selectorIiiEEZZNS1_29radix_sort_onesweep_iterationIS3_Lb0EN6thrust23THRUST_200600_302600_NS6detail15normal_iteratorINS8_10device_ptrIiEEEESD_SD_SD_jNS0_19identity_decomposerENS1_16block_id_wrapperIjLb1EEEEE10hipError_tT1_PNSt15iterator_traitsISI_E10value_typeET2_T3_PNSJ_ISO_E10value_typeET4_T5_PST_SU_PNS1_23onesweep_lookback_stateEbbT6_jjT7_P12ihipStream_tbENKUlT_T0_SI_SN_E_clISD_PiSD_S15_EEDaS11_S12_SI_SN_EUlS11_E_NS1_11comp_targetILNS1_3genE10ELNS1_11target_archE1201ELNS1_3gpuE5ELNS1_3repE0EEENS1_47radix_sort_onesweep_sort_config_static_selectorELNS0_4arch9wavefront6targetE1EEEvSI_.num_vgpr, 0
	.set _ZN7rocprim17ROCPRIM_400000_NS6detail17trampoline_kernelINS0_14default_configENS1_35radix_sort_onesweep_config_selectorIiiEEZZNS1_29radix_sort_onesweep_iterationIS3_Lb0EN6thrust23THRUST_200600_302600_NS6detail15normal_iteratorINS8_10device_ptrIiEEEESD_SD_SD_jNS0_19identity_decomposerENS1_16block_id_wrapperIjLb1EEEEE10hipError_tT1_PNSt15iterator_traitsISI_E10value_typeET2_T3_PNSJ_ISO_E10value_typeET4_T5_PST_SU_PNS1_23onesweep_lookback_stateEbbT6_jjT7_P12ihipStream_tbENKUlT_T0_SI_SN_E_clISD_PiSD_S15_EEDaS11_S12_SI_SN_EUlS11_E_NS1_11comp_targetILNS1_3genE10ELNS1_11target_archE1201ELNS1_3gpuE5ELNS1_3repE0EEENS1_47radix_sort_onesweep_sort_config_static_selectorELNS0_4arch9wavefront6targetE1EEEvSI_.num_agpr, 0
	.set _ZN7rocprim17ROCPRIM_400000_NS6detail17trampoline_kernelINS0_14default_configENS1_35radix_sort_onesweep_config_selectorIiiEEZZNS1_29radix_sort_onesweep_iterationIS3_Lb0EN6thrust23THRUST_200600_302600_NS6detail15normal_iteratorINS8_10device_ptrIiEEEESD_SD_SD_jNS0_19identity_decomposerENS1_16block_id_wrapperIjLb1EEEEE10hipError_tT1_PNSt15iterator_traitsISI_E10value_typeET2_T3_PNSJ_ISO_E10value_typeET4_T5_PST_SU_PNS1_23onesweep_lookback_stateEbbT6_jjT7_P12ihipStream_tbENKUlT_T0_SI_SN_E_clISD_PiSD_S15_EEDaS11_S12_SI_SN_EUlS11_E_NS1_11comp_targetILNS1_3genE10ELNS1_11target_archE1201ELNS1_3gpuE5ELNS1_3repE0EEENS1_47radix_sort_onesweep_sort_config_static_selectorELNS0_4arch9wavefront6targetE1EEEvSI_.numbered_sgpr, 0
	.set _ZN7rocprim17ROCPRIM_400000_NS6detail17trampoline_kernelINS0_14default_configENS1_35radix_sort_onesweep_config_selectorIiiEEZZNS1_29radix_sort_onesweep_iterationIS3_Lb0EN6thrust23THRUST_200600_302600_NS6detail15normal_iteratorINS8_10device_ptrIiEEEESD_SD_SD_jNS0_19identity_decomposerENS1_16block_id_wrapperIjLb1EEEEE10hipError_tT1_PNSt15iterator_traitsISI_E10value_typeET2_T3_PNSJ_ISO_E10value_typeET4_T5_PST_SU_PNS1_23onesweep_lookback_stateEbbT6_jjT7_P12ihipStream_tbENKUlT_T0_SI_SN_E_clISD_PiSD_S15_EEDaS11_S12_SI_SN_EUlS11_E_NS1_11comp_targetILNS1_3genE10ELNS1_11target_archE1201ELNS1_3gpuE5ELNS1_3repE0EEENS1_47radix_sort_onesweep_sort_config_static_selectorELNS0_4arch9wavefront6targetE1EEEvSI_.num_named_barrier, 0
	.set _ZN7rocprim17ROCPRIM_400000_NS6detail17trampoline_kernelINS0_14default_configENS1_35radix_sort_onesweep_config_selectorIiiEEZZNS1_29radix_sort_onesweep_iterationIS3_Lb0EN6thrust23THRUST_200600_302600_NS6detail15normal_iteratorINS8_10device_ptrIiEEEESD_SD_SD_jNS0_19identity_decomposerENS1_16block_id_wrapperIjLb1EEEEE10hipError_tT1_PNSt15iterator_traitsISI_E10value_typeET2_T3_PNSJ_ISO_E10value_typeET4_T5_PST_SU_PNS1_23onesweep_lookback_stateEbbT6_jjT7_P12ihipStream_tbENKUlT_T0_SI_SN_E_clISD_PiSD_S15_EEDaS11_S12_SI_SN_EUlS11_E_NS1_11comp_targetILNS1_3genE10ELNS1_11target_archE1201ELNS1_3gpuE5ELNS1_3repE0EEENS1_47radix_sort_onesweep_sort_config_static_selectorELNS0_4arch9wavefront6targetE1EEEvSI_.private_seg_size, 0
	.set _ZN7rocprim17ROCPRIM_400000_NS6detail17trampoline_kernelINS0_14default_configENS1_35radix_sort_onesweep_config_selectorIiiEEZZNS1_29radix_sort_onesweep_iterationIS3_Lb0EN6thrust23THRUST_200600_302600_NS6detail15normal_iteratorINS8_10device_ptrIiEEEESD_SD_SD_jNS0_19identity_decomposerENS1_16block_id_wrapperIjLb1EEEEE10hipError_tT1_PNSt15iterator_traitsISI_E10value_typeET2_T3_PNSJ_ISO_E10value_typeET4_T5_PST_SU_PNS1_23onesweep_lookback_stateEbbT6_jjT7_P12ihipStream_tbENKUlT_T0_SI_SN_E_clISD_PiSD_S15_EEDaS11_S12_SI_SN_EUlS11_E_NS1_11comp_targetILNS1_3genE10ELNS1_11target_archE1201ELNS1_3gpuE5ELNS1_3repE0EEENS1_47radix_sort_onesweep_sort_config_static_selectorELNS0_4arch9wavefront6targetE1EEEvSI_.uses_vcc, 0
	.set _ZN7rocprim17ROCPRIM_400000_NS6detail17trampoline_kernelINS0_14default_configENS1_35radix_sort_onesweep_config_selectorIiiEEZZNS1_29radix_sort_onesweep_iterationIS3_Lb0EN6thrust23THRUST_200600_302600_NS6detail15normal_iteratorINS8_10device_ptrIiEEEESD_SD_SD_jNS0_19identity_decomposerENS1_16block_id_wrapperIjLb1EEEEE10hipError_tT1_PNSt15iterator_traitsISI_E10value_typeET2_T3_PNSJ_ISO_E10value_typeET4_T5_PST_SU_PNS1_23onesweep_lookback_stateEbbT6_jjT7_P12ihipStream_tbENKUlT_T0_SI_SN_E_clISD_PiSD_S15_EEDaS11_S12_SI_SN_EUlS11_E_NS1_11comp_targetILNS1_3genE10ELNS1_11target_archE1201ELNS1_3gpuE5ELNS1_3repE0EEENS1_47radix_sort_onesweep_sort_config_static_selectorELNS0_4arch9wavefront6targetE1EEEvSI_.uses_flat_scratch, 0
	.set _ZN7rocprim17ROCPRIM_400000_NS6detail17trampoline_kernelINS0_14default_configENS1_35radix_sort_onesweep_config_selectorIiiEEZZNS1_29radix_sort_onesweep_iterationIS3_Lb0EN6thrust23THRUST_200600_302600_NS6detail15normal_iteratorINS8_10device_ptrIiEEEESD_SD_SD_jNS0_19identity_decomposerENS1_16block_id_wrapperIjLb1EEEEE10hipError_tT1_PNSt15iterator_traitsISI_E10value_typeET2_T3_PNSJ_ISO_E10value_typeET4_T5_PST_SU_PNS1_23onesweep_lookback_stateEbbT6_jjT7_P12ihipStream_tbENKUlT_T0_SI_SN_E_clISD_PiSD_S15_EEDaS11_S12_SI_SN_EUlS11_E_NS1_11comp_targetILNS1_3genE10ELNS1_11target_archE1201ELNS1_3gpuE5ELNS1_3repE0EEENS1_47radix_sort_onesweep_sort_config_static_selectorELNS0_4arch9wavefront6targetE1EEEvSI_.has_dyn_sized_stack, 0
	.set _ZN7rocprim17ROCPRIM_400000_NS6detail17trampoline_kernelINS0_14default_configENS1_35radix_sort_onesweep_config_selectorIiiEEZZNS1_29radix_sort_onesweep_iterationIS3_Lb0EN6thrust23THRUST_200600_302600_NS6detail15normal_iteratorINS8_10device_ptrIiEEEESD_SD_SD_jNS0_19identity_decomposerENS1_16block_id_wrapperIjLb1EEEEE10hipError_tT1_PNSt15iterator_traitsISI_E10value_typeET2_T3_PNSJ_ISO_E10value_typeET4_T5_PST_SU_PNS1_23onesweep_lookback_stateEbbT6_jjT7_P12ihipStream_tbENKUlT_T0_SI_SN_E_clISD_PiSD_S15_EEDaS11_S12_SI_SN_EUlS11_E_NS1_11comp_targetILNS1_3genE10ELNS1_11target_archE1201ELNS1_3gpuE5ELNS1_3repE0EEENS1_47radix_sort_onesweep_sort_config_static_selectorELNS0_4arch9wavefront6targetE1EEEvSI_.has_recursion, 0
	.set _ZN7rocprim17ROCPRIM_400000_NS6detail17trampoline_kernelINS0_14default_configENS1_35radix_sort_onesweep_config_selectorIiiEEZZNS1_29radix_sort_onesweep_iterationIS3_Lb0EN6thrust23THRUST_200600_302600_NS6detail15normal_iteratorINS8_10device_ptrIiEEEESD_SD_SD_jNS0_19identity_decomposerENS1_16block_id_wrapperIjLb1EEEEE10hipError_tT1_PNSt15iterator_traitsISI_E10value_typeET2_T3_PNSJ_ISO_E10value_typeET4_T5_PST_SU_PNS1_23onesweep_lookback_stateEbbT6_jjT7_P12ihipStream_tbENKUlT_T0_SI_SN_E_clISD_PiSD_S15_EEDaS11_S12_SI_SN_EUlS11_E_NS1_11comp_targetILNS1_3genE10ELNS1_11target_archE1201ELNS1_3gpuE5ELNS1_3repE0EEENS1_47radix_sort_onesweep_sort_config_static_selectorELNS0_4arch9wavefront6targetE1EEEvSI_.has_indirect_call, 0
	.section	.AMDGPU.csdata,"",@progbits
; Kernel info:
; codeLenInByte = 0
; TotalNumSgprs: 6
; NumVgprs: 0
; NumAgprs: 0
; TotalNumVgprs: 0
; ScratchSize: 0
; MemoryBound: 0
; FloatMode: 240
; IeeeMode: 1
; LDSByteSize: 0 bytes/workgroup (compile time only)
; SGPRBlocks: 0
; VGPRBlocks: 0
; NumSGPRsForWavesPerEU: 6
; NumVGPRsForWavesPerEU: 1
; AccumOffset: 4
; Occupancy: 8
; WaveLimiterHint : 0
; COMPUTE_PGM_RSRC2:SCRATCH_EN: 0
; COMPUTE_PGM_RSRC2:USER_SGPR: 2
; COMPUTE_PGM_RSRC2:TRAP_HANDLER: 0
; COMPUTE_PGM_RSRC2:TGID_X_EN: 1
; COMPUTE_PGM_RSRC2:TGID_Y_EN: 0
; COMPUTE_PGM_RSRC2:TGID_Z_EN: 0
; COMPUTE_PGM_RSRC2:TIDIG_COMP_CNT: 0
; COMPUTE_PGM_RSRC3_GFX90A:ACCUM_OFFSET: 0
; COMPUTE_PGM_RSRC3_GFX90A:TG_SPLIT: 0
	.section	.text._ZN7rocprim17ROCPRIM_400000_NS6detail17trampoline_kernelINS0_14default_configENS1_35radix_sort_onesweep_config_selectorIiiEEZZNS1_29radix_sort_onesweep_iterationIS3_Lb0EN6thrust23THRUST_200600_302600_NS6detail15normal_iteratorINS8_10device_ptrIiEEEESD_SD_SD_jNS0_19identity_decomposerENS1_16block_id_wrapperIjLb1EEEEE10hipError_tT1_PNSt15iterator_traitsISI_E10value_typeET2_T3_PNSJ_ISO_E10value_typeET4_T5_PST_SU_PNS1_23onesweep_lookback_stateEbbT6_jjT7_P12ihipStream_tbENKUlT_T0_SI_SN_E_clISD_PiSD_S15_EEDaS11_S12_SI_SN_EUlS11_E_NS1_11comp_targetILNS1_3genE9ELNS1_11target_archE1100ELNS1_3gpuE3ELNS1_3repE0EEENS1_47radix_sort_onesweep_sort_config_static_selectorELNS0_4arch9wavefront6targetE1EEEvSI_,"axG",@progbits,_ZN7rocprim17ROCPRIM_400000_NS6detail17trampoline_kernelINS0_14default_configENS1_35radix_sort_onesweep_config_selectorIiiEEZZNS1_29radix_sort_onesweep_iterationIS3_Lb0EN6thrust23THRUST_200600_302600_NS6detail15normal_iteratorINS8_10device_ptrIiEEEESD_SD_SD_jNS0_19identity_decomposerENS1_16block_id_wrapperIjLb1EEEEE10hipError_tT1_PNSt15iterator_traitsISI_E10value_typeET2_T3_PNSJ_ISO_E10value_typeET4_T5_PST_SU_PNS1_23onesweep_lookback_stateEbbT6_jjT7_P12ihipStream_tbENKUlT_T0_SI_SN_E_clISD_PiSD_S15_EEDaS11_S12_SI_SN_EUlS11_E_NS1_11comp_targetILNS1_3genE9ELNS1_11target_archE1100ELNS1_3gpuE3ELNS1_3repE0EEENS1_47radix_sort_onesweep_sort_config_static_selectorELNS0_4arch9wavefront6targetE1EEEvSI_,comdat
	.protected	_ZN7rocprim17ROCPRIM_400000_NS6detail17trampoline_kernelINS0_14default_configENS1_35radix_sort_onesweep_config_selectorIiiEEZZNS1_29radix_sort_onesweep_iterationIS3_Lb0EN6thrust23THRUST_200600_302600_NS6detail15normal_iteratorINS8_10device_ptrIiEEEESD_SD_SD_jNS0_19identity_decomposerENS1_16block_id_wrapperIjLb1EEEEE10hipError_tT1_PNSt15iterator_traitsISI_E10value_typeET2_T3_PNSJ_ISO_E10value_typeET4_T5_PST_SU_PNS1_23onesweep_lookback_stateEbbT6_jjT7_P12ihipStream_tbENKUlT_T0_SI_SN_E_clISD_PiSD_S15_EEDaS11_S12_SI_SN_EUlS11_E_NS1_11comp_targetILNS1_3genE9ELNS1_11target_archE1100ELNS1_3gpuE3ELNS1_3repE0EEENS1_47radix_sort_onesweep_sort_config_static_selectorELNS0_4arch9wavefront6targetE1EEEvSI_ ; -- Begin function _ZN7rocprim17ROCPRIM_400000_NS6detail17trampoline_kernelINS0_14default_configENS1_35radix_sort_onesweep_config_selectorIiiEEZZNS1_29radix_sort_onesweep_iterationIS3_Lb0EN6thrust23THRUST_200600_302600_NS6detail15normal_iteratorINS8_10device_ptrIiEEEESD_SD_SD_jNS0_19identity_decomposerENS1_16block_id_wrapperIjLb1EEEEE10hipError_tT1_PNSt15iterator_traitsISI_E10value_typeET2_T3_PNSJ_ISO_E10value_typeET4_T5_PST_SU_PNS1_23onesweep_lookback_stateEbbT6_jjT7_P12ihipStream_tbENKUlT_T0_SI_SN_E_clISD_PiSD_S15_EEDaS11_S12_SI_SN_EUlS11_E_NS1_11comp_targetILNS1_3genE9ELNS1_11target_archE1100ELNS1_3gpuE3ELNS1_3repE0EEENS1_47radix_sort_onesweep_sort_config_static_selectorELNS0_4arch9wavefront6targetE1EEEvSI_
	.globl	_ZN7rocprim17ROCPRIM_400000_NS6detail17trampoline_kernelINS0_14default_configENS1_35radix_sort_onesweep_config_selectorIiiEEZZNS1_29radix_sort_onesweep_iterationIS3_Lb0EN6thrust23THRUST_200600_302600_NS6detail15normal_iteratorINS8_10device_ptrIiEEEESD_SD_SD_jNS0_19identity_decomposerENS1_16block_id_wrapperIjLb1EEEEE10hipError_tT1_PNSt15iterator_traitsISI_E10value_typeET2_T3_PNSJ_ISO_E10value_typeET4_T5_PST_SU_PNS1_23onesweep_lookback_stateEbbT6_jjT7_P12ihipStream_tbENKUlT_T0_SI_SN_E_clISD_PiSD_S15_EEDaS11_S12_SI_SN_EUlS11_E_NS1_11comp_targetILNS1_3genE9ELNS1_11target_archE1100ELNS1_3gpuE3ELNS1_3repE0EEENS1_47radix_sort_onesweep_sort_config_static_selectorELNS0_4arch9wavefront6targetE1EEEvSI_
	.p2align	8
	.type	_ZN7rocprim17ROCPRIM_400000_NS6detail17trampoline_kernelINS0_14default_configENS1_35radix_sort_onesweep_config_selectorIiiEEZZNS1_29radix_sort_onesweep_iterationIS3_Lb0EN6thrust23THRUST_200600_302600_NS6detail15normal_iteratorINS8_10device_ptrIiEEEESD_SD_SD_jNS0_19identity_decomposerENS1_16block_id_wrapperIjLb1EEEEE10hipError_tT1_PNSt15iterator_traitsISI_E10value_typeET2_T3_PNSJ_ISO_E10value_typeET4_T5_PST_SU_PNS1_23onesweep_lookback_stateEbbT6_jjT7_P12ihipStream_tbENKUlT_T0_SI_SN_E_clISD_PiSD_S15_EEDaS11_S12_SI_SN_EUlS11_E_NS1_11comp_targetILNS1_3genE9ELNS1_11target_archE1100ELNS1_3gpuE3ELNS1_3repE0EEENS1_47radix_sort_onesweep_sort_config_static_selectorELNS0_4arch9wavefront6targetE1EEEvSI_,@function
_ZN7rocprim17ROCPRIM_400000_NS6detail17trampoline_kernelINS0_14default_configENS1_35radix_sort_onesweep_config_selectorIiiEEZZNS1_29radix_sort_onesweep_iterationIS3_Lb0EN6thrust23THRUST_200600_302600_NS6detail15normal_iteratorINS8_10device_ptrIiEEEESD_SD_SD_jNS0_19identity_decomposerENS1_16block_id_wrapperIjLb1EEEEE10hipError_tT1_PNSt15iterator_traitsISI_E10value_typeET2_T3_PNSJ_ISO_E10value_typeET4_T5_PST_SU_PNS1_23onesweep_lookback_stateEbbT6_jjT7_P12ihipStream_tbENKUlT_T0_SI_SN_E_clISD_PiSD_S15_EEDaS11_S12_SI_SN_EUlS11_E_NS1_11comp_targetILNS1_3genE9ELNS1_11target_archE1100ELNS1_3gpuE3ELNS1_3repE0EEENS1_47radix_sort_onesweep_sort_config_static_selectorELNS0_4arch9wavefront6targetE1EEEvSI_: ; @_ZN7rocprim17ROCPRIM_400000_NS6detail17trampoline_kernelINS0_14default_configENS1_35radix_sort_onesweep_config_selectorIiiEEZZNS1_29radix_sort_onesweep_iterationIS3_Lb0EN6thrust23THRUST_200600_302600_NS6detail15normal_iteratorINS8_10device_ptrIiEEEESD_SD_SD_jNS0_19identity_decomposerENS1_16block_id_wrapperIjLb1EEEEE10hipError_tT1_PNSt15iterator_traitsISI_E10value_typeET2_T3_PNSJ_ISO_E10value_typeET4_T5_PST_SU_PNS1_23onesweep_lookback_stateEbbT6_jjT7_P12ihipStream_tbENKUlT_T0_SI_SN_E_clISD_PiSD_S15_EEDaS11_S12_SI_SN_EUlS11_E_NS1_11comp_targetILNS1_3genE9ELNS1_11target_archE1100ELNS1_3gpuE3ELNS1_3repE0EEENS1_47radix_sort_onesweep_sort_config_static_selectorELNS0_4arch9wavefront6targetE1EEEvSI_
; %bb.0:
	.section	.rodata,"a",@progbits
	.p2align	6, 0x0
	.amdhsa_kernel _ZN7rocprim17ROCPRIM_400000_NS6detail17trampoline_kernelINS0_14default_configENS1_35radix_sort_onesweep_config_selectorIiiEEZZNS1_29radix_sort_onesweep_iterationIS3_Lb0EN6thrust23THRUST_200600_302600_NS6detail15normal_iteratorINS8_10device_ptrIiEEEESD_SD_SD_jNS0_19identity_decomposerENS1_16block_id_wrapperIjLb1EEEEE10hipError_tT1_PNSt15iterator_traitsISI_E10value_typeET2_T3_PNSJ_ISO_E10value_typeET4_T5_PST_SU_PNS1_23onesweep_lookback_stateEbbT6_jjT7_P12ihipStream_tbENKUlT_T0_SI_SN_E_clISD_PiSD_S15_EEDaS11_S12_SI_SN_EUlS11_E_NS1_11comp_targetILNS1_3genE9ELNS1_11target_archE1100ELNS1_3gpuE3ELNS1_3repE0EEENS1_47radix_sort_onesweep_sort_config_static_selectorELNS0_4arch9wavefront6targetE1EEEvSI_
		.amdhsa_group_segment_fixed_size 0
		.amdhsa_private_segment_fixed_size 0
		.amdhsa_kernarg_size 88
		.amdhsa_user_sgpr_count 2
		.amdhsa_user_sgpr_dispatch_ptr 0
		.amdhsa_user_sgpr_queue_ptr 0
		.amdhsa_user_sgpr_kernarg_segment_ptr 1
		.amdhsa_user_sgpr_dispatch_id 0
		.amdhsa_user_sgpr_kernarg_preload_length 0
		.amdhsa_user_sgpr_kernarg_preload_offset 0
		.amdhsa_user_sgpr_private_segment_size 0
		.amdhsa_uses_dynamic_stack 0
		.amdhsa_enable_private_segment 0
		.amdhsa_system_sgpr_workgroup_id_x 1
		.amdhsa_system_sgpr_workgroup_id_y 0
		.amdhsa_system_sgpr_workgroup_id_z 0
		.amdhsa_system_sgpr_workgroup_info 0
		.amdhsa_system_vgpr_workitem_id 0
		.amdhsa_next_free_vgpr 1
		.amdhsa_next_free_sgpr 0
		.amdhsa_accum_offset 4
		.amdhsa_reserve_vcc 0
		.amdhsa_float_round_mode_32 0
		.amdhsa_float_round_mode_16_64 0
		.amdhsa_float_denorm_mode_32 3
		.amdhsa_float_denorm_mode_16_64 3
		.amdhsa_dx10_clamp 1
		.amdhsa_ieee_mode 1
		.amdhsa_fp16_overflow 0
		.amdhsa_tg_split 0
		.amdhsa_exception_fp_ieee_invalid_op 0
		.amdhsa_exception_fp_denorm_src 0
		.amdhsa_exception_fp_ieee_div_zero 0
		.amdhsa_exception_fp_ieee_overflow 0
		.amdhsa_exception_fp_ieee_underflow 0
		.amdhsa_exception_fp_ieee_inexact 0
		.amdhsa_exception_int_div_zero 0
	.end_amdhsa_kernel
	.section	.text._ZN7rocprim17ROCPRIM_400000_NS6detail17trampoline_kernelINS0_14default_configENS1_35radix_sort_onesweep_config_selectorIiiEEZZNS1_29radix_sort_onesweep_iterationIS3_Lb0EN6thrust23THRUST_200600_302600_NS6detail15normal_iteratorINS8_10device_ptrIiEEEESD_SD_SD_jNS0_19identity_decomposerENS1_16block_id_wrapperIjLb1EEEEE10hipError_tT1_PNSt15iterator_traitsISI_E10value_typeET2_T3_PNSJ_ISO_E10value_typeET4_T5_PST_SU_PNS1_23onesweep_lookback_stateEbbT6_jjT7_P12ihipStream_tbENKUlT_T0_SI_SN_E_clISD_PiSD_S15_EEDaS11_S12_SI_SN_EUlS11_E_NS1_11comp_targetILNS1_3genE9ELNS1_11target_archE1100ELNS1_3gpuE3ELNS1_3repE0EEENS1_47radix_sort_onesweep_sort_config_static_selectorELNS0_4arch9wavefront6targetE1EEEvSI_,"axG",@progbits,_ZN7rocprim17ROCPRIM_400000_NS6detail17trampoline_kernelINS0_14default_configENS1_35radix_sort_onesweep_config_selectorIiiEEZZNS1_29radix_sort_onesweep_iterationIS3_Lb0EN6thrust23THRUST_200600_302600_NS6detail15normal_iteratorINS8_10device_ptrIiEEEESD_SD_SD_jNS0_19identity_decomposerENS1_16block_id_wrapperIjLb1EEEEE10hipError_tT1_PNSt15iterator_traitsISI_E10value_typeET2_T3_PNSJ_ISO_E10value_typeET4_T5_PST_SU_PNS1_23onesweep_lookback_stateEbbT6_jjT7_P12ihipStream_tbENKUlT_T0_SI_SN_E_clISD_PiSD_S15_EEDaS11_S12_SI_SN_EUlS11_E_NS1_11comp_targetILNS1_3genE9ELNS1_11target_archE1100ELNS1_3gpuE3ELNS1_3repE0EEENS1_47radix_sort_onesweep_sort_config_static_selectorELNS0_4arch9wavefront6targetE1EEEvSI_,comdat
.Lfunc_end1435:
	.size	_ZN7rocprim17ROCPRIM_400000_NS6detail17trampoline_kernelINS0_14default_configENS1_35radix_sort_onesweep_config_selectorIiiEEZZNS1_29radix_sort_onesweep_iterationIS3_Lb0EN6thrust23THRUST_200600_302600_NS6detail15normal_iteratorINS8_10device_ptrIiEEEESD_SD_SD_jNS0_19identity_decomposerENS1_16block_id_wrapperIjLb1EEEEE10hipError_tT1_PNSt15iterator_traitsISI_E10value_typeET2_T3_PNSJ_ISO_E10value_typeET4_T5_PST_SU_PNS1_23onesweep_lookback_stateEbbT6_jjT7_P12ihipStream_tbENKUlT_T0_SI_SN_E_clISD_PiSD_S15_EEDaS11_S12_SI_SN_EUlS11_E_NS1_11comp_targetILNS1_3genE9ELNS1_11target_archE1100ELNS1_3gpuE3ELNS1_3repE0EEENS1_47radix_sort_onesweep_sort_config_static_selectorELNS0_4arch9wavefront6targetE1EEEvSI_, .Lfunc_end1435-_ZN7rocprim17ROCPRIM_400000_NS6detail17trampoline_kernelINS0_14default_configENS1_35radix_sort_onesweep_config_selectorIiiEEZZNS1_29radix_sort_onesweep_iterationIS3_Lb0EN6thrust23THRUST_200600_302600_NS6detail15normal_iteratorINS8_10device_ptrIiEEEESD_SD_SD_jNS0_19identity_decomposerENS1_16block_id_wrapperIjLb1EEEEE10hipError_tT1_PNSt15iterator_traitsISI_E10value_typeET2_T3_PNSJ_ISO_E10value_typeET4_T5_PST_SU_PNS1_23onesweep_lookback_stateEbbT6_jjT7_P12ihipStream_tbENKUlT_T0_SI_SN_E_clISD_PiSD_S15_EEDaS11_S12_SI_SN_EUlS11_E_NS1_11comp_targetILNS1_3genE9ELNS1_11target_archE1100ELNS1_3gpuE3ELNS1_3repE0EEENS1_47radix_sort_onesweep_sort_config_static_selectorELNS0_4arch9wavefront6targetE1EEEvSI_
                                        ; -- End function
	.set _ZN7rocprim17ROCPRIM_400000_NS6detail17trampoline_kernelINS0_14default_configENS1_35radix_sort_onesweep_config_selectorIiiEEZZNS1_29radix_sort_onesweep_iterationIS3_Lb0EN6thrust23THRUST_200600_302600_NS6detail15normal_iteratorINS8_10device_ptrIiEEEESD_SD_SD_jNS0_19identity_decomposerENS1_16block_id_wrapperIjLb1EEEEE10hipError_tT1_PNSt15iterator_traitsISI_E10value_typeET2_T3_PNSJ_ISO_E10value_typeET4_T5_PST_SU_PNS1_23onesweep_lookback_stateEbbT6_jjT7_P12ihipStream_tbENKUlT_T0_SI_SN_E_clISD_PiSD_S15_EEDaS11_S12_SI_SN_EUlS11_E_NS1_11comp_targetILNS1_3genE9ELNS1_11target_archE1100ELNS1_3gpuE3ELNS1_3repE0EEENS1_47radix_sort_onesweep_sort_config_static_selectorELNS0_4arch9wavefront6targetE1EEEvSI_.num_vgpr, 0
	.set _ZN7rocprim17ROCPRIM_400000_NS6detail17trampoline_kernelINS0_14default_configENS1_35radix_sort_onesweep_config_selectorIiiEEZZNS1_29radix_sort_onesweep_iterationIS3_Lb0EN6thrust23THRUST_200600_302600_NS6detail15normal_iteratorINS8_10device_ptrIiEEEESD_SD_SD_jNS0_19identity_decomposerENS1_16block_id_wrapperIjLb1EEEEE10hipError_tT1_PNSt15iterator_traitsISI_E10value_typeET2_T3_PNSJ_ISO_E10value_typeET4_T5_PST_SU_PNS1_23onesweep_lookback_stateEbbT6_jjT7_P12ihipStream_tbENKUlT_T0_SI_SN_E_clISD_PiSD_S15_EEDaS11_S12_SI_SN_EUlS11_E_NS1_11comp_targetILNS1_3genE9ELNS1_11target_archE1100ELNS1_3gpuE3ELNS1_3repE0EEENS1_47radix_sort_onesweep_sort_config_static_selectorELNS0_4arch9wavefront6targetE1EEEvSI_.num_agpr, 0
	.set _ZN7rocprim17ROCPRIM_400000_NS6detail17trampoline_kernelINS0_14default_configENS1_35radix_sort_onesweep_config_selectorIiiEEZZNS1_29radix_sort_onesweep_iterationIS3_Lb0EN6thrust23THRUST_200600_302600_NS6detail15normal_iteratorINS8_10device_ptrIiEEEESD_SD_SD_jNS0_19identity_decomposerENS1_16block_id_wrapperIjLb1EEEEE10hipError_tT1_PNSt15iterator_traitsISI_E10value_typeET2_T3_PNSJ_ISO_E10value_typeET4_T5_PST_SU_PNS1_23onesweep_lookback_stateEbbT6_jjT7_P12ihipStream_tbENKUlT_T0_SI_SN_E_clISD_PiSD_S15_EEDaS11_S12_SI_SN_EUlS11_E_NS1_11comp_targetILNS1_3genE9ELNS1_11target_archE1100ELNS1_3gpuE3ELNS1_3repE0EEENS1_47radix_sort_onesweep_sort_config_static_selectorELNS0_4arch9wavefront6targetE1EEEvSI_.numbered_sgpr, 0
	.set _ZN7rocprim17ROCPRIM_400000_NS6detail17trampoline_kernelINS0_14default_configENS1_35radix_sort_onesweep_config_selectorIiiEEZZNS1_29radix_sort_onesweep_iterationIS3_Lb0EN6thrust23THRUST_200600_302600_NS6detail15normal_iteratorINS8_10device_ptrIiEEEESD_SD_SD_jNS0_19identity_decomposerENS1_16block_id_wrapperIjLb1EEEEE10hipError_tT1_PNSt15iterator_traitsISI_E10value_typeET2_T3_PNSJ_ISO_E10value_typeET4_T5_PST_SU_PNS1_23onesweep_lookback_stateEbbT6_jjT7_P12ihipStream_tbENKUlT_T0_SI_SN_E_clISD_PiSD_S15_EEDaS11_S12_SI_SN_EUlS11_E_NS1_11comp_targetILNS1_3genE9ELNS1_11target_archE1100ELNS1_3gpuE3ELNS1_3repE0EEENS1_47radix_sort_onesweep_sort_config_static_selectorELNS0_4arch9wavefront6targetE1EEEvSI_.num_named_barrier, 0
	.set _ZN7rocprim17ROCPRIM_400000_NS6detail17trampoline_kernelINS0_14default_configENS1_35radix_sort_onesweep_config_selectorIiiEEZZNS1_29radix_sort_onesweep_iterationIS3_Lb0EN6thrust23THRUST_200600_302600_NS6detail15normal_iteratorINS8_10device_ptrIiEEEESD_SD_SD_jNS0_19identity_decomposerENS1_16block_id_wrapperIjLb1EEEEE10hipError_tT1_PNSt15iterator_traitsISI_E10value_typeET2_T3_PNSJ_ISO_E10value_typeET4_T5_PST_SU_PNS1_23onesweep_lookback_stateEbbT6_jjT7_P12ihipStream_tbENKUlT_T0_SI_SN_E_clISD_PiSD_S15_EEDaS11_S12_SI_SN_EUlS11_E_NS1_11comp_targetILNS1_3genE9ELNS1_11target_archE1100ELNS1_3gpuE3ELNS1_3repE0EEENS1_47radix_sort_onesweep_sort_config_static_selectorELNS0_4arch9wavefront6targetE1EEEvSI_.private_seg_size, 0
	.set _ZN7rocprim17ROCPRIM_400000_NS6detail17trampoline_kernelINS0_14default_configENS1_35radix_sort_onesweep_config_selectorIiiEEZZNS1_29radix_sort_onesweep_iterationIS3_Lb0EN6thrust23THRUST_200600_302600_NS6detail15normal_iteratorINS8_10device_ptrIiEEEESD_SD_SD_jNS0_19identity_decomposerENS1_16block_id_wrapperIjLb1EEEEE10hipError_tT1_PNSt15iterator_traitsISI_E10value_typeET2_T3_PNSJ_ISO_E10value_typeET4_T5_PST_SU_PNS1_23onesweep_lookback_stateEbbT6_jjT7_P12ihipStream_tbENKUlT_T0_SI_SN_E_clISD_PiSD_S15_EEDaS11_S12_SI_SN_EUlS11_E_NS1_11comp_targetILNS1_3genE9ELNS1_11target_archE1100ELNS1_3gpuE3ELNS1_3repE0EEENS1_47radix_sort_onesweep_sort_config_static_selectorELNS0_4arch9wavefront6targetE1EEEvSI_.uses_vcc, 0
	.set _ZN7rocprim17ROCPRIM_400000_NS6detail17trampoline_kernelINS0_14default_configENS1_35radix_sort_onesweep_config_selectorIiiEEZZNS1_29radix_sort_onesweep_iterationIS3_Lb0EN6thrust23THRUST_200600_302600_NS6detail15normal_iteratorINS8_10device_ptrIiEEEESD_SD_SD_jNS0_19identity_decomposerENS1_16block_id_wrapperIjLb1EEEEE10hipError_tT1_PNSt15iterator_traitsISI_E10value_typeET2_T3_PNSJ_ISO_E10value_typeET4_T5_PST_SU_PNS1_23onesweep_lookback_stateEbbT6_jjT7_P12ihipStream_tbENKUlT_T0_SI_SN_E_clISD_PiSD_S15_EEDaS11_S12_SI_SN_EUlS11_E_NS1_11comp_targetILNS1_3genE9ELNS1_11target_archE1100ELNS1_3gpuE3ELNS1_3repE0EEENS1_47radix_sort_onesweep_sort_config_static_selectorELNS0_4arch9wavefront6targetE1EEEvSI_.uses_flat_scratch, 0
	.set _ZN7rocprim17ROCPRIM_400000_NS6detail17trampoline_kernelINS0_14default_configENS1_35radix_sort_onesweep_config_selectorIiiEEZZNS1_29radix_sort_onesweep_iterationIS3_Lb0EN6thrust23THRUST_200600_302600_NS6detail15normal_iteratorINS8_10device_ptrIiEEEESD_SD_SD_jNS0_19identity_decomposerENS1_16block_id_wrapperIjLb1EEEEE10hipError_tT1_PNSt15iterator_traitsISI_E10value_typeET2_T3_PNSJ_ISO_E10value_typeET4_T5_PST_SU_PNS1_23onesweep_lookback_stateEbbT6_jjT7_P12ihipStream_tbENKUlT_T0_SI_SN_E_clISD_PiSD_S15_EEDaS11_S12_SI_SN_EUlS11_E_NS1_11comp_targetILNS1_3genE9ELNS1_11target_archE1100ELNS1_3gpuE3ELNS1_3repE0EEENS1_47radix_sort_onesweep_sort_config_static_selectorELNS0_4arch9wavefront6targetE1EEEvSI_.has_dyn_sized_stack, 0
	.set _ZN7rocprim17ROCPRIM_400000_NS6detail17trampoline_kernelINS0_14default_configENS1_35radix_sort_onesweep_config_selectorIiiEEZZNS1_29radix_sort_onesweep_iterationIS3_Lb0EN6thrust23THRUST_200600_302600_NS6detail15normal_iteratorINS8_10device_ptrIiEEEESD_SD_SD_jNS0_19identity_decomposerENS1_16block_id_wrapperIjLb1EEEEE10hipError_tT1_PNSt15iterator_traitsISI_E10value_typeET2_T3_PNSJ_ISO_E10value_typeET4_T5_PST_SU_PNS1_23onesweep_lookback_stateEbbT6_jjT7_P12ihipStream_tbENKUlT_T0_SI_SN_E_clISD_PiSD_S15_EEDaS11_S12_SI_SN_EUlS11_E_NS1_11comp_targetILNS1_3genE9ELNS1_11target_archE1100ELNS1_3gpuE3ELNS1_3repE0EEENS1_47radix_sort_onesweep_sort_config_static_selectorELNS0_4arch9wavefront6targetE1EEEvSI_.has_recursion, 0
	.set _ZN7rocprim17ROCPRIM_400000_NS6detail17trampoline_kernelINS0_14default_configENS1_35radix_sort_onesweep_config_selectorIiiEEZZNS1_29radix_sort_onesweep_iterationIS3_Lb0EN6thrust23THRUST_200600_302600_NS6detail15normal_iteratorINS8_10device_ptrIiEEEESD_SD_SD_jNS0_19identity_decomposerENS1_16block_id_wrapperIjLb1EEEEE10hipError_tT1_PNSt15iterator_traitsISI_E10value_typeET2_T3_PNSJ_ISO_E10value_typeET4_T5_PST_SU_PNS1_23onesweep_lookback_stateEbbT6_jjT7_P12ihipStream_tbENKUlT_T0_SI_SN_E_clISD_PiSD_S15_EEDaS11_S12_SI_SN_EUlS11_E_NS1_11comp_targetILNS1_3genE9ELNS1_11target_archE1100ELNS1_3gpuE3ELNS1_3repE0EEENS1_47radix_sort_onesweep_sort_config_static_selectorELNS0_4arch9wavefront6targetE1EEEvSI_.has_indirect_call, 0
	.section	.AMDGPU.csdata,"",@progbits
; Kernel info:
; codeLenInByte = 0
; TotalNumSgprs: 6
; NumVgprs: 0
; NumAgprs: 0
; TotalNumVgprs: 0
; ScratchSize: 0
; MemoryBound: 0
; FloatMode: 240
; IeeeMode: 1
; LDSByteSize: 0 bytes/workgroup (compile time only)
; SGPRBlocks: 0
; VGPRBlocks: 0
; NumSGPRsForWavesPerEU: 6
; NumVGPRsForWavesPerEU: 1
; AccumOffset: 4
; Occupancy: 8
; WaveLimiterHint : 0
; COMPUTE_PGM_RSRC2:SCRATCH_EN: 0
; COMPUTE_PGM_RSRC2:USER_SGPR: 2
; COMPUTE_PGM_RSRC2:TRAP_HANDLER: 0
; COMPUTE_PGM_RSRC2:TGID_X_EN: 1
; COMPUTE_PGM_RSRC2:TGID_Y_EN: 0
; COMPUTE_PGM_RSRC2:TGID_Z_EN: 0
; COMPUTE_PGM_RSRC2:TIDIG_COMP_CNT: 0
; COMPUTE_PGM_RSRC3_GFX90A:ACCUM_OFFSET: 0
; COMPUTE_PGM_RSRC3_GFX90A:TG_SPLIT: 0
	.section	.text._ZN7rocprim17ROCPRIM_400000_NS6detail17trampoline_kernelINS0_14default_configENS1_35radix_sort_onesweep_config_selectorIiiEEZZNS1_29radix_sort_onesweep_iterationIS3_Lb0EN6thrust23THRUST_200600_302600_NS6detail15normal_iteratorINS8_10device_ptrIiEEEESD_SD_SD_jNS0_19identity_decomposerENS1_16block_id_wrapperIjLb1EEEEE10hipError_tT1_PNSt15iterator_traitsISI_E10value_typeET2_T3_PNSJ_ISO_E10value_typeET4_T5_PST_SU_PNS1_23onesweep_lookback_stateEbbT6_jjT7_P12ihipStream_tbENKUlT_T0_SI_SN_E_clISD_PiSD_S15_EEDaS11_S12_SI_SN_EUlS11_E_NS1_11comp_targetILNS1_3genE8ELNS1_11target_archE1030ELNS1_3gpuE2ELNS1_3repE0EEENS1_47radix_sort_onesweep_sort_config_static_selectorELNS0_4arch9wavefront6targetE1EEEvSI_,"axG",@progbits,_ZN7rocprim17ROCPRIM_400000_NS6detail17trampoline_kernelINS0_14default_configENS1_35radix_sort_onesweep_config_selectorIiiEEZZNS1_29radix_sort_onesweep_iterationIS3_Lb0EN6thrust23THRUST_200600_302600_NS6detail15normal_iteratorINS8_10device_ptrIiEEEESD_SD_SD_jNS0_19identity_decomposerENS1_16block_id_wrapperIjLb1EEEEE10hipError_tT1_PNSt15iterator_traitsISI_E10value_typeET2_T3_PNSJ_ISO_E10value_typeET4_T5_PST_SU_PNS1_23onesweep_lookback_stateEbbT6_jjT7_P12ihipStream_tbENKUlT_T0_SI_SN_E_clISD_PiSD_S15_EEDaS11_S12_SI_SN_EUlS11_E_NS1_11comp_targetILNS1_3genE8ELNS1_11target_archE1030ELNS1_3gpuE2ELNS1_3repE0EEENS1_47radix_sort_onesweep_sort_config_static_selectorELNS0_4arch9wavefront6targetE1EEEvSI_,comdat
	.protected	_ZN7rocprim17ROCPRIM_400000_NS6detail17trampoline_kernelINS0_14default_configENS1_35radix_sort_onesweep_config_selectorIiiEEZZNS1_29radix_sort_onesweep_iterationIS3_Lb0EN6thrust23THRUST_200600_302600_NS6detail15normal_iteratorINS8_10device_ptrIiEEEESD_SD_SD_jNS0_19identity_decomposerENS1_16block_id_wrapperIjLb1EEEEE10hipError_tT1_PNSt15iterator_traitsISI_E10value_typeET2_T3_PNSJ_ISO_E10value_typeET4_T5_PST_SU_PNS1_23onesweep_lookback_stateEbbT6_jjT7_P12ihipStream_tbENKUlT_T0_SI_SN_E_clISD_PiSD_S15_EEDaS11_S12_SI_SN_EUlS11_E_NS1_11comp_targetILNS1_3genE8ELNS1_11target_archE1030ELNS1_3gpuE2ELNS1_3repE0EEENS1_47radix_sort_onesweep_sort_config_static_selectorELNS0_4arch9wavefront6targetE1EEEvSI_ ; -- Begin function _ZN7rocprim17ROCPRIM_400000_NS6detail17trampoline_kernelINS0_14default_configENS1_35radix_sort_onesweep_config_selectorIiiEEZZNS1_29radix_sort_onesweep_iterationIS3_Lb0EN6thrust23THRUST_200600_302600_NS6detail15normal_iteratorINS8_10device_ptrIiEEEESD_SD_SD_jNS0_19identity_decomposerENS1_16block_id_wrapperIjLb1EEEEE10hipError_tT1_PNSt15iterator_traitsISI_E10value_typeET2_T3_PNSJ_ISO_E10value_typeET4_T5_PST_SU_PNS1_23onesweep_lookback_stateEbbT6_jjT7_P12ihipStream_tbENKUlT_T0_SI_SN_E_clISD_PiSD_S15_EEDaS11_S12_SI_SN_EUlS11_E_NS1_11comp_targetILNS1_3genE8ELNS1_11target_archE1030ELNS1_3gpuE2ELNS1_3repE0EEENS1_47radix_sort_onesweep_sort_config_static_selectorELNS0_4arch9wavefront6targetE1EEEvSI_
	.globl	_ZN7rocprim17ROCPRIM_400000_NS6detail17trampoline_kernelINS0_14default_configENS1_35radix_sort_onesweep_config_selectorIiiEEZZNS1_29radix_sort_onesweep_iterationIS3_Lb0EN6thrust23THRUST_200600_302600_NS6detail15normal_iteratorINS8_10device_ptrIiEEEESD_SD_SD_jNS0_19identity_decomposerENS1_16block_id_wrapperIjLb1EEEEE10hipError_tT1_PNSt15iterator_traitsISI_E10value_typeET2_T3_PNSJ_ISO_E10value_typeET4_T5_PST_SU_PNS1_23onesweep_lookback_stateEbbT6_jjT7_P12ihipStream_tbENKUlT_T0_SI_SN_E_clISD_PiSD_S15_EEDaS11_S12_SI_SN_EUlS11_E_NS1_11comp_targetILNS1_3genE8ELNS1_11target_archE1030ELNS1_3gpuE2ELNS1_3repE0EEENS1_47radix_sort_onesweep_sort_config_static_selectorELNS0_4arch9wavefront6targetE1EEEvSI_
	.p2align	8
	.type	_ZN7rocprim17ROCPRIM_400000_NS6detail17trampoline_kernelINS0_14default_configENS1_35radix_sort_onesweep_config_selectorIiiEEZZNS1_29radix_sort_onesweep_iterationIS3_Lb0EN6thrust23THRUST_200600_302600_NS6detail15normal_iteratorINS8_10device_ptrIiEEEESD_SD_SD_jNS0_19identity_decomposerENS1_16block_id_wrapperIjLb1EEEEE10hipError_tT1_PNSt15iterator_traitsISI_E10value_typeET2_T3_PNSJ_ISO_E10value_typeET4_T5_PST_SU_PNS1_23onesweep_lookback_stateEbbT6_jjT7_P12ihipStream_tbENKUlT_T0_SI_SN_E_clISD_PiSD_S15_EEDaS11_S12_SI_SN_EUlS11_E_NS1_11comp_targetILNS1_3genE8ELNS1_11target_archE1030ELNS1_3gpuE2ELNS1_3repE0EEENS1_47radix_sort_onesweep_sort_config_static_selectorELNS0_4arch9wavefront6targetE1EEEvSI_,@function
_ZN7rocprim17ROCPRIM_400000_NS6detail17trampoline_kernelINS0_14default_configENS1_35radix_sort_onesweep_config_selectorIiiEEZZNS1_29radix_sort_onesweep_iterationIS3_Lb0EN6thrust23THRUST_200600_302600_NS6detail15normal_iteratorINS8_10device_ptrIiEEEESD_SD_SD_jNS0_19identity_decomposerENS1_16block_id_wrapperIjLb1EEEEE10hipError_tT1_PNSt15iterator_traitsISI_E10value_typeET2_T3_PNSJ_ISO_E10value_typeET4_T5_PST_SU_PNS1_23onesweep_lookback_stateEbbT6_jjT7_P12ihipStream_tbENKUlT_T0_SI_SN_E_clISD_PiSD_S15_EEDaS11_S12_SI_SN_EUlS11_E_NS1_11comp_targetILNS1_3genE8ELNS1_11target_archE1030ELNS1_3gpuE2ELNS1_3repE0EEENS1_47radix_sort_onesweep_sort_config_static_selectorELNS0_4arch9wavefront6targetE1EEEvSI_: ; @_ZN7rocprim17ROCPRIM_400000_NS6detail17trampoline_kernelINS0_14default_configENS1_35radix_sort_onesweep_config_selectorIiiEEZZNS1_29radix_sort_onesweep_iterationIS3_Lb0EN6thrust23THRUST_200600_302600_NS6detail15normal_iteratorINS8_10device_ptrIiEEEESD_SD_SD_jNS0_19identity_decomposerENS1_16block_id_wrapperIjLb1EEEEE10hipError_tT1_PNSt15iterator_traitsISI_E10value_typeET2_T3_PNSJ_ISO_E10value_typeET4_T5_PST_SU_PNS1_23onesweep_lookback_stateEbbT6_jjT7_P12ihipStream_tbENKUlT_T0_SI_SN_E_clISD_PiSD_S15_EEDaS11_S12_SI_SN_EUlS11_E_NS1_11comp_targetILNS1_3genE8ELNS1_11target_archE1030ELNS1_3gpuE2ELNS1_3repE0EEENS1_47radix_sort_onesweep_sort_config_static_selectorELNS0_4arch9wavefront6targetE1EEEvSI_
; %bb.0:
	.section	.rodata,"a",@progbits
	.p2align	6, 0x0
	.amdhsa_kernel _ZN7rocprim17ROCPRIM_400000_NS6detail17trampoline_kernelINS0_14default_configENS1_35radix_sort_onesweep_config_selectorIiiEEZZNS1_29radix_sort_onesweep_iterationIS3_Lb0EN6thrust23THRUST_200600_302600_NS6detail15normal_iteratorINS8_10device_ptrIiEEEESD_SD_SD_jNS0_19identity_decomposerENS1_16block_id_wrapperIjLb1EEEEE10hipError_tT1_PNSt15iterator_traitsISI_E10value_typeET2_T3_PNSJ_ISO_E10value_typeET4_T5_PST_SU_PNS1_23onesweep_lookback_stateEbbT6_jjT7_P12ihipStream_tbENKUlT_T0_SI_SN_E_clISD_PiSD_S15_EEDaS11_S12_SI_SN_EUlS11_E_NS1_11comp_targetILNS1_3genE8ELNS1_11target_archE1030ELNS1_3gpuE2ELNS1_3repE0EEENS1_47radix_sort_onesweep_sort_config_static_selectorELNS0_4arch9wavefront6targetE1EEEvSI_
		.amdhsa_group_segment_fixed_size 0
		.amdhsa_private_segment_fixed_size 0
		.amdhsa_kernarg_size 88
		.amdhsa_user_sgpr_count 2
		.amdhsa_user_sgpr_dispatch_ptr 0
		.amdhsa_user_sgpr_queue_ptr 0
		.amdhsa_user_sgpr_kernarg_segment_ptr 1
		.amdhsa_user_sgpr_dispatch_id 0
		.amdhsa_user_sgpr_kernarg_preload_length 0
		.amdhsa_user_sgpr_kernarg_preload_offset 0
		.amdhsa_user_sgpr_private_segment_size 0
		.amdhsa_uses_dynamic_stack 0
		.amdhsa_enable_private_segment 0
		.amdhsa_system_sgpr_workgroup_id_x 1
		.amdhsa_system_sgpr_workgroup_id_y 0
		.amdhsa_system_sgpr_workgroup_id_z 0
		.amdhsa_system_sgpr_workgroup_info 0
		.amdhsa_system_vgpr_workitem_id 0
		.amdhsa_next_free_vgpr 1
		.amdhsa_next_free_sgpr 0
		.amdhsa_accum_offset 4
		.amdhsa_reserve_vcc 0
		.amdhsa_float_round_mode_32 0
		.amdhsa_float_round_mode_16_64 0
		.amdhsa_float_denorm_mode_32 3
		.amdhsa_float_denorm_mode_16_64 3
		.amdhsa_dx10_clamp 1
		.amdhsa_ieee_mode 1
		.amdhsa_fp16_overflow 0
		.amdhsa_tg_split 0
		.amdhsa_exception_fp_ieee_invalid_op 0
		.amdhsa_exception_fp_denorm_src 0
		.amdhsa_exception_fp_ieee_div_zero 0
		.amdhsa_exception_fp_ieee_overflow 0
		.amdhsa_exception_fp_ieee_underflow 0
		.amdhsa_exception_fp_ieee_inexact 0
		.amdhsa_exception_int_div_zero 0
	.end_amdhsa_kernel
	.section	.text._ZN7rocprim17ROCPRIM_400000_NS6detail17trampoline_kernelINS0_14default_configENS1_35radix_sort_onesweep_config_selectorIiiEEZZNS1_29radix_sort_onesweep_iterationIS3_Lb0EN6thrust23THRUST_200600_302600_NS6detail15normal_iteratorINS8_10device_ptrIiEEEESD_SD_SD_jNS0_19identity_decomposerENS1_16block_id_wrapperIjLb1EEEEE10hipError_tT1_PNSt15iterator_traitsISI_E10value_typeET2_T3_PNSJ_ISO_E10value_typeET4_T5_PST_SU_PNS1_23onesweep_lookback_stateEbbT6_jjT7_P12ihipStream_tbENKUlT_T0_SI_SN_E_clISD_PiSD_S15_EEDaS11_S12_SI_SN_EUlS11_E_NS1_11comp_targetILNS1_3genE8ELNS1_11target_archE1030ELNS1_3gpuE2ELNS1_3repE0EEENS1_47radix_sort_onesweep_sort_config_static_selectorELNS0_4arch9wavefront6targetE1EEEvSI_,"axG",@progbits,_ZN7rocprim17ROCPRIM_400000_NS6detail17trampoline_kernelINS0_14default_configENS1_35radix_sort_onesweep_config_selectorIiiEEZZNS1_29radix_sort_onesweep_iterationIS3_Lb0EN6thrust23THRUST_200600_302600_NS6detail15normal_iteratorINS8_10device_ptrIiEEEESD_SD_SD_jNS0_19identity_decomposerENS1_16block_id_wrapperIjLb1EEEEE10hipError_tT1_PNSt15iterator_traitsISI_E10value_typeET2_T3_PNSJ_ISO_E10value_typeET4_T5_PST_SU_PNS1_23onesweep_lookback_stateEbbT6_jjT7_P12ihipStream_tbENKUlT_T0_SI_SN_E_clISD_PiSD_S15_EEDaS11_S12_SI_SN_EUlS11_E_NS1_11comp_targetILNS1_3genE8ELNS1_11target_archE1030ELNS1_3gpuE2ELNS1_3repE0EEENS1_47radix_sort_onesweep_sort_config_static_selectorELNS0_4arch9wavefront6targetE1EEEvSI_,comdat
.Lfunc_end1436:
	.size	_ZN7rocprim17ROCPRIM_400000_NS6detail17trampoline_kernelINS0_14default_configENS1_35radix_sort_onesweep_config_selectorIiiEEZZNS1_29radix_sort_onesweep_iterationIS3_Lb0EN6thrust23THRUST_200600_302600_NS6detail15normal_iteratorINS8_10device_ptrIiEEEESD_SD_SD_jNS0_19identity_decomposerENS1_16block_id_wrapperIjLb1EEEEE10hipError_tT1_PNSt15iterator_traitsISI_E10value_typeET2_T3_PNSJ_ISO_E10value_typeET4_T5_PST_SU_PNS1_23onesweep_lookback_stateEbbT6_jjT7_P12ihipStream_tbENKUlT_T0_SI_SN_E_clISD_PiSD_S15_EEDaS11_S12_SI_SN_EUlS11_E_NS1_11comp_targetILNS1_3genE8ELNS1_11target_archE1030ELNS1_3gpuE2ELNS1_3repE0EEENS1_47radix_sort_onesweep_sort_config_static_selectorELNS0_4arch9wavefront6targetE1EEEvSI_, .Lfunc_end1436-_ZN7rocprim17ROCPRIM_400000_NS6detail17trampoline_kernelINS0_14default_configENS1_35radix_sort_onesweep_config_selectorIiiEEZZNS1_29radix_sort_onesweep_iterationIS3_Lb0EN6thrust23THRUST_200600_302600_NS6detail15normal_iteratorINS8_10device_ptrIiEEEESD_SD_SD_jNS0_19identity_decomposerENS1_16block_id_wrapperIjLb1EEEEE10hipError_tT1_PNSt15iterator_traitsISI_E10value_typeET2_T3_PNSJ_ISO_E10value_typeET4_T5_PST_SU_PNS1_23onesweep_lookback_stateEbbT6_jjT7_P12ihipStream_tbENKUlT_T0_SI_SN_E_clISD_PiSD_S15_EEDaS11_S12_SI_SN_EUlS11_E_NS1_11comp_targetILNS1_3genE8ELNS1_11target_archE1030ELNS1_3gpuE2ELNS1_3repE0EEENS1_47radix_sort_onesweep_sort_config_static_selectorELNS0_4arch9wavefront6targetE1EEEvSI_
                                        ; -- End function
	.set _ZN7rocprim17ROCPRIM_400000_NS6detail17trampoline_kernelINS0_14default_configENS1_35radix_sort_onesweep_config_selectorIiiEEZZNS1_29radix_sort_onesweep_iterationIS3_Lb0EN6thrust23THRUST_200600_302600_NS6detail15normal_iteratorINS8_10device_ptrIiEEEESD_SD_SD_jNS0_19identity_decomposerENS1_16block_id_wrapperIjLb1EEEEE10hipError_tT1_PNSt15iterator_traitsISI_E10value_typeET2_T3_PNSJ_ISO_E10value_typeET4_T5_PST_SU_PNS1_23onesweep_lookback_stateEbbT6_jjT7_P12ihipStream_tbENKUlT_T0_SI_SN_E_clISD_PiSD_S15_EEDaS11_S12_SI_SN_EUlS11_E_NS1_11comp_targetILNS1_3genE8ELNS1_11target_archE1030ELNS1_3gpuE2ELNS1_3repE0EEENS1_47radix_sort_onesweep_sort_config_static_selectorELNS0_4arch9wavefront6targetE1EEEvSI_.num_vgpr, 0
	.set _ZN7rocprim17ROCPRIM_400000_NS6detail17trampoline_kernelINS0_14default_configENS1_35radix_sort_onesweep_config_selectorIiiEEZZNS1_29radix_sort_onesweep_iterationIS3_Lb0EN6thrust23THRUST_200600_302600_NS6detail15normal_iteratorINS8_10device_ptrIiEEEESD_SD_SD_jNS0_19identity_decomposerENS1_16block_id_wrapperIjLb1EEEEE10hipError_tT1_PNSt15iterator_traitsISI_E10value_typeET2_T3_PNSJ_ISO_E10value_typeET4_T5_PST_SU_PNS1_23onesweep_lookback_stateEbbT6_jjT7_P12ihipStream_tbENKUlT_T0_SI_SN_E_clISD_PiSD_S15_EEDaS11_S12_SI_SN_EUlS11_E_NS1_11comp_targetILNS1_3genE8ELNS1_11target_archE1030ELNS1_3gpuE2ELNS1_3repE0EEENS1_47radix_sort_onesweep_sort_config_static_selectorELNS0_4arch9wavefront6targetE1EEEvSI_.num_agpr, 0
	.set _ZN7rocprim17ROCPRIM_400000_NS6detail17trampoline_kernelINS0_14default_configENS1_35radix_sort_onesweep_config_selectorIiiEEZZNS1_29radix_sort_onesweep_iterationIS3_Lb0EN6thrust23THRUST_200600_302600_NS6detail15normal_iteratorINS8_10device_ptrIiEEEESD_SD_SD_jNS0_19identity_decomposerENS1_16block_id_wrapperIjLb1EEEEE10hipError_tT1_PNSt15iterator_traitsISI_E10value_typeET2_T3_PNSJ_ISO_E10value_typeET4_T5_PST_SU_PNS1_23onesweep_lookback_stateEbbT6_jjT7_P12ihipStream_tbENKUlT_T0_SI_SN_E_clISD_PiSD_S15_EEDaS11_S12_SI_SN_EUlS11_E_NS1_11comp_targetILNS1_3genE8ELNS1_11target_archE1030ELNS1_3gpuE2ELNS1_3repE0EEENS1_47radix_sort_onesweep_sort_config_static_selectorELNS0_4arch9wavefront6targetE1EEEvSI_.numbered_sgpr, 0
	.set _ZN7rocprim17ROCPRIM_400000_NS6detail17trampoline_kernelINS0_14default_configENS1_35radix_sort_onesweep_config_selectorIiiEEZZNS1_29radix_sort_onesweep_iterationIS3_Lb0EN6thrust23THRUST_200600_302600_NS6detail15normal_iteratorINS8_10device_ptrIiEEEESD_SD_SD_jNS0_19identity_decomposerENS1_16block_id_wrapperIjLb1EEEEE10hipError_tT1_PNSt15iterator_traitsISI_E10value_typeET2_T3_PNSJ_ISO_E10value_typeET4_T5_PST_SU_PNS1_23onesweep_lookback_stateEbbT6_jjT7_P12ihipStream_tbENKUlT_T0_SI_SN_E_clISD_PiSD_S15_EEDaS11_S12_SI_SN_EUlS11_E_NS1_11comp_targetILNS1_3genE8ELNS1_11target_archE1030ELNS1_3gpuE2ELNS1_3repE0EEENS1_47radix_sort_onesweep_sort_config_static_selectorELNS0_4arch9wavefront6targetE1EEEvSI_.num_named_barrier, 0
	.set _ZN7rocprim17ROCPRIM_400000_NS6detail17trampoline_kernelINS0_14default_configENS1_35radix_sort_onesweep_config_selectorIiiEEZZNS1_29radix_sort_onesweep_iterationIS3_Lb0EN6thrust23THRUST_200600_302600_NS6detail15normal_iteratorINS8_10device_ptrIiEEEESD_SD_SD_jNS0_19identity_decomposerENS1_16block_id_wrapperIjLb1EEEEE10hipError_tT1_PNSt15iterator_traitsISI_E10value_typeET2_T3_PNSJ_ISO_E10value_typeET4_T5_PST_SU_PNS1_23onesweep_lookback_stateEbbT6_jjT7_P12ihipStream_tbENKUlT_T0_SI_SN_E_clISD_PiSD_S15_EEDaS11_S12_SI_SN_EUlS11_E_NS1_11comp_targetILNS1_3genE8ELNS1_11target_archE1030ELNS1_3gpuE2ELNS1_3repE0EEENS1_47radix_sort_onesweep_sort_config_static_selectorELNS0_4arch9wavefront6targetE1EEEvSI_.private_seg_size, 0
	.set _ZN7rocprim17ROCPRIM_400000_NS6detail17trampoline_kernelINS0_14default_configENS1_35radix_sort_onesweep_config_selectorIiiEEZZNS1_29radix_sort_onesweep_iterationIS3_Lb0EN6thrust23THRUST_200600_302600_NS6detail15normal_iteratorINS8_10device_ptrIiEEEESD_SD_SD_jNS0_19identity_decomposerENS1_16block_id_wrapperIjLb1EEEEE10hipError_tT1_PNSt15iterator_traitsISI_E10value_typeET2_T3_PNSJ_ISO_E10value_typeET4_T5_PST_SU_PNS1_23onesweep_lookback_stateEbbT6_jjT7_P12ihipStream_tbENKUlT_T0_SI_SN_E_clISD_PiSD_S15_EEDaS11_S12_SI_SN_EUlS11_E_NS1_11comp_targetILNS1_3genE8ELNS1_11target_archE1030ELNS1_3gpuE2ELNS1_3repE0EEENS1_47radix_sort_onesweep_sort_config_static_selectorELNS0_4arch9wavefront6targetE1EEEvSI_.uses_vcc, 0
	.set _ZN7rocprim17ROCPRIM_400000_NS6detail17trampoline_kernelINS0_14default_configENS1_35radix_sort_onesweep_config_selectorIiiEEZZNS1_29radix_sort_onesweep_iterationIS3_Lb0EN6thrust23THRUST_200600_302600_NS6detail15normal_iteratorINS8_10device_ptrIiEEEESD_SD_SD_jNS0_19identity_decomposerENS1_16block_id_wrapperIjLb1EEEEE10hipError_tT1_PNSt15iterator_traitsISI_E10value_typeET2_T3_PNSJ_ISO_E10value_typeET4_T5_PST_SU_PNS1_23onesweep_lookback_stateEbbT6_jjT7_P12ihipStream_tbENKUlT_T0_SI_SN_E_clISD_PiSD_S15_EEDaS11_S12_SI_SN_EUlS11_E_NS1_11comp_targetILNS1_3genE8ELNS1_11target_archE1030ELNS1_3gpuE2ELNS1_3repE0EEENS1_47radix_sort_onesweep_sort_config_static_selectorELNS0_4arch9wavefront6targetE1EEEvSI_.uses_flat_scratch, 0
	.set _ZN7rocprim17ROCPRIM_400000_NS6detail17trampoline_kernelINS0_14default_configENS1_35radix_sort_onesweep_config_selectorIiiEEZZNS1_29radix_sort_onesweep_iterationIS3_Lb0EN6thrust23THRUST_200600_302600_NS6detail15normal_iteratorINS8_10device_ptrIiEEEESD_SD_SD_jNS0_19identity_decomposerENS1_16block_id_wrapperIjLb1EEEEE10hipError_tT1_PNSt15iterator_traitsISI_E10value_typeET2_T3_PNSJ_ISO_E10value_typeET4_T5_PST_SU_PNS1_23onesweep_lookback_stateEbbT6_jjT7_P12ihipStream_tbENKUlT_T0_SI_SN_E_clISD_PiSD_S15_EEDaS11_S12_SI_SN_EUlS11_E_NS1_11comp_targetILNS1_3genE8ELNS1_11target_archE1030ELNS1_3gpuE2ELNS1_3repE0EEENS1_47radix_sort_onesweep_sort_config_static_selectorELNS0_4arch9wavefront6targetE1EEEvSI_.has_dyn_sized_stack, 0
	.set _ZN7rocprim17ROCPRIM_400000_NS6detail17trampoline_kernelINS0_14default_configENS1_35radix_sort_onesweep_config_selectorIiiEEZZNS1_29radix_sort_onesweep_iterationIS3_Lb0EN6thrust23THRUST_200600_302600_NS6detail15normal_iteratorINS8_10device_ptrIiEEEESD_SD_SD_jNS0_19identity_decomposerENS1_16block_id_wrapperIjLb1EEEEE10hipError_tT1_PNSt15iterator_traitsISI_E10value_typeET2_T3_PNSJ_ISO_E10value_typeET4_T5_PST_SU_PNS1_23onesweep_lookback_stateEbbT6_jjT7_P12ihipStream_tbENKUlT_T0_SI_SN_E_clISD_PiSD_S15_EEDaS11_S12_SI_SN_EUlS11_E_NS1_11comp_targetILNS1_3genE8ELNS1_11target_archE1030ELNS1_3gpuE2ELNS1_3repE0EEENS1_47radix_sort_onesweep_sort_config_static_selectorELNS0_4arch9wavefront6targetE1EEEvSI_.has_recursion, 0
	.set _ZN7rocprim17ROCPRIM_400000_NS6detail17trampoline_kernelINS0_14default_configENS1_35radix_sort_onesweep_config_selectorIiiEEZZNS1_29radix_sort_onesweep_iterationIS3_Lb0EN6thrust23THRUST_200600_302600_NS6detail15normal_iteratorINS8_10device_ptrIiEEEESD_SD_SD_jNS0_19identity_decomposerENS1_16block_id_wrapperIjLb1EEEEE10hipError_tT1_PNSt15iterator_traitsISI_E10value_typeET2_T3_PNSJ_ISO_E10value_typeET4_T5_PST_SU_PNS1_23onesweep_lookback_stateEbbT6_jjT7_P12ihipStream_tbENKUlT_T0_SI_SN_E_clISD_PiSD_S15_EEDaS11_S12_SI_SN_EUlS11_E_NS1_11comp_targetILNS1_3genE8ELNS1_11target_archE1030ELNS1_3gpuE2ELNS1_3repE0EEENS1_47radix_sort_onesweep_sort_config_static_selectorELNS0_4arch9wavefront6targetE1EEEvSI_.has_indirect_call, 0
	.section	.AMDGPU.csdata,"",@progbits
; Kernel info:
; codeLenInByte = 0
; TotalNumSgprs: 6
; NumVgprs: 0
; NumAgprs: 0
; TotalNumVgprs: 0
; ScratchSize: 0
; MemoryBound: 0
; FloatMode: 240
; IeeeMode: 1
; LDSByteSize: 0 bytes/workgroup (compile time only)
; SGPRBlocks: 0
; VGPRBlocks: 0
; NumSGPRsForWavesPerEU: 6
; NumVGPRsForWavesPerEU: 1
; AccumOffset: 4
; Occupancy: 8
; WaveLimiterHint : 0
; COMPUTE_PGM_RSRC2:SCRATCH_EN: 0
; COMPUTE_PGM_RSRC2:USER_SGPR: 2
; COMPUTE_PGM_RSRC2:TRAP_HANDLER: 0
; COMPUTE_PGM_RSRC2:TGID_X_EN: 1
; COMPUTE_PGM_RSRC2:TGID_Y_EN: 0
; COMPUTE_PGM_RSRC2:TGID_Z_EN: 0
; COMPUTE_PGM_RSRC2:TIDIG_COMP_CNT: 0
; COMPUTE_PGM_RSRC3_GFX90A:ACCUM_OFFSET: 0
; COMPUTE_PGM_RSRC3_GFX90A:TG_SPLIT: 0
	.section	.text._ZN7rocprim17ROCPRIM_400000_NS6detail17trampoline_kernelINS0_14default_configENS1_35radix_sort_onesweep_config_selectorIiiEEZZNS1_29radix_sort_onesweep_iterationIS3_Lb0EN6thrust23THRUST_200600_302600_NS6detail15normal_iteratorINS8_10device_ptrIiEEEESD_SD_SD_jNS0_19identity_decomposerENS1_16block_id_wrapperIjLb1EEEEE10hipError_tT1_PNSt15iterator_traitsISI_E10value_typeET2_T3_PNSJ_ISO_E10value_typeET4_T5_PST_SU_PNS1_23onesweep_lookback_stateEbbT6_jjT7_P12ihipStream_tbENKUlT_T0_SI_SN_E_clIPiSD_S15_SD_EEDaS11_S12_SI_SN_EUlS11_E_NS1_11comp_targetILNS1_3genE0ELNS1_11target_archE4294967295ELNS1_3gpuE0ELNS1_3repE0EEENS1_47radix_sort_onesweep_sort_config_static_selectorELNS0_4arch9wavefront6targetE1EEEvSI_,"axG",@progbits,_ZN7rocprim17ROCPRIM_400000_NS6detail17trampoline_kernelINS0_14default_configENS1_35radix_sort_onesweep_config_selectorIiiEEZZNS1_29radix_sort_onesweep_iterationIS3_Lb0EN6thrust23THRUST_200600_302600_NS6detail15normal_iteratorINS8_10device_ptrIiEEEESD_SD_SD_jNS0_19identity_decomposerENS1_16block_id_wrapperIjLb1EEEEE10hipError_tT1_PNSt15iterator_traitsISI_E10value_typeET2_T3_PNSJ_ISO_E10value_typeET4_T5_PST_SU_PNS1_23onesweep_lookback_stateEbbT6_jjT7_P12ihipStream_tbENKUlT_T0_SI_SN_E_clIPiSD_S15_SD_EEDaS11_S12_SI_SN_EUlS11_E_NS1_11comp_targetILNS1_3genE0ELNS1_11target_archE4294967295ELNS1_3gpuE0ELNS1_3repE0EEENS1_47radix_sort_onesweep_sort_config_static_selectorELNS0_4arch9wavefront6targetE1EEEvSI_,comdat
	.protected	_ZN7rocprim17ROCPRIM_400000_NS6detail17trampoline_kernelINS0_14default_configENS1_35radix_sort_onesweep_config_selectorIiiEEZZNS1_29radix_sort_onesweep_iterationIS3_Lb0EN6thrust23THRUST_200600_302600_NS6detail15normal_iteratorINS8_10device_ptrIiEEEESD_SD_SD_jNS0_19identity_decomposerENS1_16block_id_wrapperIjLb1EEEEE10hipError_tT1_PNSt15iterator_traitsISI_E10value_typeET2_T3_PNSJ_ISO_E10value_typeET4_T5_PST_SU_PNS1_23onesweep_lookback_stateEbbT6_jjT7_P12ihipStream_tbENKUlT_T0_SI_SN_E_clIPiSD_S15_SD_EEDaS11_S12_SI_SN_EUlS11_E_NS1_11comp_targetILNS1_3genE0ELNS1_11target_archE4294967295ELNS1_3gpuE0ELNS1_3repE0EEENS1_47radix_sort_onesweep_sort_config_static_selectorELNS0_4arch9wavefront6targetE1EEEvSI_ ; -- Begin function _ZN7rocprim17ROCPRIM_400000_NS6detail17trampoline_kernelINS0_14default_configENS1_35radix_sort_onesweep_config_selectorIiiEEZZNS1_29radix_sort_onesweep_iterationIS3_Lb0EN6thrust23THRUST_200600_302600_NS6detail15normal_iteratorINS8_10device_ptrIiEEEESD_SD_SD_jNS0_19identity_decomposerENS1_16block_id_wrapperIjLb1EEEEE10hipError_tT1_PNSt15iterator_traitsISI_E10value_typeET2_T3_PNSJ_ISO_E10value_typeET4_T5_PST_SU_PNS1_23onesweep_lookback_stateEbbT6_jjT7_P12ihipStream_tbENKUlT_T0_SI_SN_E_clIPiSD_S15_SD_EEDaS11_S12_SI_SN_EUlS11_E_NS1_11comp_targetILNS1_3genE0ELNS1_11target_archE4294967295ELNS1_3gpuE0ELNS1_3repE0EEENS1_47radix_sort_onesweep_sort_config_static_selectorELNS0_4arch9wavefront6targetE1EEEvSI_
	.globl	_ZN7rocprim17ROCPRIM_400000_NS6detail17trampoline_kernelINS0_14default_configENS1_35radix_sort_onesweep_config_selectorIiiEEZZNS1_29radix_sort_onesweep_iterationIS3_Lb0EN6thrust23THRUST_200600_302600_NS6detail15normal_iteratorINS8_10device_ptrIiEEEESD_SD_SD_jNS0_19identity_decomposerENS1_16block_id_wrapperIjLb1EEEEE10hipError_tT1_PNSt15iterator_traitsISI_E10value_typeET2_T3_PNSJ_ISO_E10value_typeET4_T5_PST_SU_PNS1_23onesweep_lookback_stateEbbT6_jjT7_P12ihipStream_tbENKUlT_T0_SI_SN_E_clIPiSD_S15_SD_EEDaS11_S12_SI_SN_EUlS11_E_NS1_11comp_targetILNS1_3genE0ELNS1_11target_archE4294967295ELNS1_3gpuE0ELNS1_3repE0EEENS1_47radix_sort_onesweep_sort_config_static_selectorELNS0_4arch9wavefront6targetE1EEEvSI_
	.p2align	8
	.type	_ZN7rocprim17ROCPRIM_400000_NS6detail17trampoline_kernelINS0_14default_configENS1_35radix_sort_onesweep_config_selectorIiiEEZZNS1_29radix_sort_onesweep_iterationIS3_Lb0EN6thrust23THRUST_200600_302600_NS6detail15normal_iteratorINS8_10device_ptrIiEEEESD_SD_SD_jNS0_19identity_decomposerENS1_16block_id_wrapperIjLb1EEEEE10hipError_tT1_PNSt15iterator_traitsISI_E10value_typeET2_T3_PNSJ_ISO_E10value_typeET4_T5_PST_SU_PNS1_23onesweep_lookback_stateEbbT6_jjT7_P12ihipStream_tbENKUlT_T0_SI_SN_E_clIPiSD_S15_SD_EEDaS11_S12_SI_SN_EUlS11_E_NS1_11comp_targetILNS1_3genE0ELNS1_11target_archE4294967295ELNS1_3gpuE0ELNS1_3repE0EEENS1_47radix_sort_onesweep_sort_config_static_selectorELNS0_4arch9wavefront6targetE1EEEvSI_,@function
_ZN7rocprim17ROCPRIM_400000_NS6detail17trampoline_kernelINS0_14default_configENS1_35radix_sort_onesweep_config_selectorIiiEEZZNS1_29radix_sort_onesweep_iterationIS3_Lb0EN6thrust23THRUST_200600_302600_NS6detail15normal_iteratorINS8_10device_ptrIiEEEESD_SD_SD_jNS0_19identity_decomposerENS1_16block_id_wrapperIjLb1EEEEE10hipError_tT1_PNSt15iterator_traitsISI_E10value_typeET2_T3_PNSJ_ISO_E10value_typeET4_T5_PST_SU_PNS1_23onesweep_lookback_stateEbbT6_jjT7_P12ihipStream_tbENKUlT_T0_SI_SN_E_clIPiSD_S15_SD_EEDaS11_S12_SI_SN_EUlS11_E_NS1_11comp_targetILNS1_3genE0ELNS1_11target_archE4294967295ELNS1_3gpuE0ELNS1_3repE0EEENS1_47radix_sort_onesweep_sort_config_static_selectorELNS0_4arch9wavefront6targetE1EEEvSI_: ; @_ZN7rocprim17ROCPRIM_400000_NS6detail17trampoline_kernelINS0_14default_configENS1_35radix_sort_onesweep_config_selectorIiiEEZZNS1_29radix_sort_onesweep_iterationIS3_Lb0EN6thrust23THRUST_200600_302600_NS6detail15normal_iteratorINS8_10device_ptrIiEEEESD_SD_SD_jNS0_19identity_decomposerENS1_16block_id_wrapperIjLb1EEEEE10hipError_tT1_PNSt15iterator_traitsISI_E10value_typeET2_T3_PNSJ_ISO_E10value_typeET4_T5_PST_SU_PNS1_23onesweep_lookback_stateEbbT6_jjT7_P12ihipStream_tbENKUlT_T0_SI_SN_E_clIPiSD_S15_SD_EEDaS11_S12_SI_SN_EUlS11_E_NS1_11comp_targetILNS1_3genE0ELNS1_11target_archE4294967295ELNS1_3gpuE0ELNS1_3repE0EEENS1_47radix_sort_onesweep_sort_config_static_selectorELNS0_4arch9wavefront6targetE1EEEvSI_
; %bb.0:
	.section	.rodata,"a",@progbits
	.p2align	6, 0x0
	.amdhsa_kernel _ZN7rocprim17ROCPRIM_400000_NS6detail17trampoline_kernelINS0_14default_configENS1_35radix_sort_onesweep_config_selectorIiiEEZZNS1_29radix_sort_onesweep_iterationIS3_Lb0EN6thrust23THRUST_200600_302600_NS6detail15normal_iteratorINS8_10device_ptrIiEEEESD_SD_SD_jNS0_19identity_decomposerENS1_16block_id_wrapperIjLb1EEEEE10hipError_tT1_PNSt15iterator_traitsISI_E10value_typeET2_T3_PNSJ_ISO_E10value_typeET4_T5_PST_SU_PNS1_23onesweep_lookback_stateEbbT6_jjT7_P12ihipStream_tbENKUlT_T0_SI_SN_E_clIPiSD_S15_SD_EEDaS11_S12_SI_SN_EUlS11_E_NS1_11comp_targetILNS1_3genE0ELNS1_11target_archE4294967295ELNS1_3gpuE0ELNS1_3repE0EEENS1_47radix_sort_onesweep_sort_config_static_selectorELNS0_4arch9wavefront6targetE1EEEvSI_
		.amdhsa_group_segment_fixed_size 0
		.amdhsa_private_segment_fixed_size 0
		.amdhsa_kernarg_size 88
		.amdhsa_user_sgpr_count 2
		.amdhsa_user_sgpr_dispatch_ptr 0
		.amdhsa_user_sgpr_queue_ptr 0
		.amdhsa_user_sgpr_kernarg_segment_ptr 1
		.amdhsa_user_sgpr_dispatch_id 0
		.amdhsa_user_sgpr_kernarg_preload_length 0
		.amdhsa_user_sgpr_kernarg_preload_offset 0
		.amdhsa_user_sgpr_private_segment_size 0
		.amdhsa_uses_dynamic_stack 0
		.amdhsa_enable_private_segment 0
		.amdhsa_system_sgpr_workgroup_id_x 1
		.amdhsa_system_sgpr_workgroup_id_y 0
		.amdhsa_system_sgpr_workgroup_id_z 0
		.amdhsa_system_sgpr_workgroup_info 0
		.amdhsa_system_vgpr_workitem_id 0
		.amdhsa_next_free_vgpr 1
		.amdhsa_next_free_sgpr 0
		.amdhsa_accum_offset 4
		.amdhsa_reserve_vcc 0
		.amdhsa_float_round_mode_32 0
		.amdhsa_float_round_mode_16_64 0
		.amdhsa_float_denorm_mode_32 3
		.amdhsa_float_denorm_mode_16_64 3
		.amdhsa_dx10_clamp 1
		.amdhsa_ieee_mode 1
		.amdhsa_fp16_overflow 0
		.amdhsa_tg_split 0
		.amdhsa_exception_fp_ieee_invalid_op 0
		.amdhsa_exception_fp_denorm_src 0
		.amdhsa_exception_fp_ieee_div_zero 0
		.amdhsa_exception_fp_ieee_overflow 0
		.amdhsa_exception_fp_ieee_underflow 0
		.amdhsa_exception_fp_ieee_inexact 0
		.amdhsa_exception_int_div_zero 0
	.end_amdhsa_kernel
	.section	.text._ZN7rocprim17ROCPRIM_400000_NS6detail17trampoline_kernelINS0_14default_configENS1_35radix_sort_onesweep_config_selectorIiiEEZZNS1_29radix_sort_onesweep_iterationIS3_Lb0EN6thrust23THRUST_200600_302600_NS6detail15normal_iteratorINS8_10device_ptrIiEEEESD_SD_SD_jNS0_19identity_decomposerENS1_16block_id_wrapperIjLb1EEEEE10hipError_tT1_PNSt15iterator_traitsISI_E10value_typeET2_T3_PNSJ_ISO_E10value_typeET4_T5_PST_SU_PNS1_23onesweep_lookback_stateEbbT6_jjT7_P12ihipStream_tbENKUlT_T0_SI_SN_E_clIPiSD_S15_SD_EEDaS11_S12_SI_SN_EUlS11_E_NS1_11comp_targetILNS1_3genE0ELNS1_11target_archE4294967295ELNS1_3gpuE0ELNS1_3repE0EEENS1_47radix_sort_onesweep_sort_config_static_selectorELNS0_4arch9wavefront6targetE1EEEvSI_,"axG",@progbits,_ZN7rocprim17ROCPRIM_400000_NS6detail17trampoline_kernelINS0_14default_configENS1_35radix_sort_onesweep_config_selectorIiiEEZZNS1_29radix_sort_onesweep_iterationIS3_Lb0EN6thrust23THRUST_200600_302600_NS6detail15normal_iteratorINS8_10device_ptrIiEEEESD_SD_SD_jNS0_19identity_decomposerENS1_16block_id_wrapperIjLb1EEEEE10hipError_tT1_PNSt15iterator_traitsISI_E10value_typeET2_T3_PNSJ_ISO_E10value_typeET4_T5_PST_SU_PNS1_23onesweep_lookback_stateEbbT6_jjT7_P12ihipStream_tbENKUlT_T0_SI_SN_E_clIPiSD_S15_SD_EEDaS11_S12_SI_SN_EUlS11_E_NS1_11comp_targetILNS1_3genE0ELNS1_11target_archE4294967295ELNS1_3gpuE0ELNS1_3repE0EEENS1_47radix_sort_onesweep_sort_config_static_selectorELNS0_4arch9wavefront6targetE1EEEvSI_,comdat
.Lfunc_end1437:
	.size	_ZN7rocprim17ROCPRIM_400000_NS6detail17trampoline_kernelINS0_14default_configENS1_35radix_sort_onesweep_config_selectorIiiEEZZNS1_29radix_sort_onesweep_iterationIS3_Lb0EN6thrust23THRUST_200600_302600_NS6detail15normal_iteratorINS8_10device_ptrIiEEEESD_SD_SD_jNS0_19identity_decomposerENS1_16block_id_wrapperIjLb1EEEEE10hipError_tT1_PNSt15iterator_traitsISI_E10value_typeET2_T3_PNSJ_ISO_E10value_typeET4_T5_PST_SU_PNS1_23onesweep_lookback_stateEbbT6_jjT7_P12ihipStream_tbENKUlT_T0_SI_SN_E_clIPiSD_S15_SD_EEDaS11_S12_SI_SN_EUlS11_E_NS1_11comp_targetILNS1_3genE0ELNS1_11target_archE4294967295ELNS1_3gpuE0ELNS1_3repE0EEENS1_47radix_sort_onesweep_sort_config_static_selectorELNS0_4arch9wavefront6targetE1EEEvSI_, .Lfunc_end1437-_ZN7rocprim17ROCPRIM_400000_NS6detail17trampoline_kernelINS0_14default_configENS1_35radix_sort_onesweep_config_selectorIiiEEZZNS1_29radix_sort_onesweep_iterationIS3_Lb0EN6thrust23THRUST_200600_302600_NS6detail15normal_iteratorINS8_10device_ptrIiEEEESD_SD_SD_jNS0_19identity_decomposerENS1_16block_id_wrapperIjLb1EEEEE10hipError_tT1_PNSt15iterator_traitsISI_E10value_typeET2_T3_PNSJ_ISO_E10value_typeET4_T5_PST_SU_PNS1_23onesweep_lookback_stateEbbT6_jjT7_P12ihipStream_tbENKUlT_T0_SI_SN_E_clIPiSD_S15_SD_EEDaS11_S12_SI_SN_EUlS11_E_NS1_11comp_targetILNS1_3genE0ELNS1_11target_archE4294967295ELNS1_3gpuE0ELNS1_3repE0EEENS1_47radix_sort_onesweep_sort_config_static_selectorELNS0_4arch9wavefront6targetE1EEEvSI_
                                        ; -- End function
	.set _ZN7rocprim17ROCPRIM_400000_NS6detail17trampoline_kernelINS0_14default_configENS1_35radix_sort_onesweep_config_selectorIiiEEZZNS1_29radix_sort_onesweep_iterationIS3_Lb0EN6thrust23THRUST_200600_302600_NS6detail15normal_iteratorINS8_10device_ptrIiEEEESD_SD_SD_jNS0_19identity_decomposerENS1_16block_id_wrapperIjLb1EEEEE10hipError_tT1_PNSt15iterator_traitsISI_E10value_typeET2_T3_PNSJ_ISO_E10value_typeET4_T5_PST_SU_PNS1_23onesweep_lookback_stateEbbT6_jjT7_P12ihipStream_tbENKUlT_T0_SI_SN_E_clIPiSD_S15_SD_EEDaS11_S12_SI_SN_EUlS11_E_NS1_11comp_targetILNS1_3genE0ELNS1_11target_archE4294967295ELNS1_3gpuE0ELNS1_3repE0EEENS1_47radix_sort_onesweep_sort_config_static_selectorELNS0_4arch9wavefront6targetE1EEEvSI_.num_vgpr, 0
	.set _ZN7rocprim17ROCPRIM_400000_NS6detail17trampoline_kernelINS0_14default_configENS1_35radix_sort_onesweep_config_selectorIiiEEZZNS1_29radix_sort_onesweep_iterationIS3_Lb0EN6thrust23THRUST_200600_302600_NS6detail15normal_iteratorINS8_10device_ptrIiEEEESD_SD_SD_jNS0_19identity_decomposerENS1_16block_id_wrapperIjLb1EEEEE10hipError_tT1_PNSt15iterator_traitsISI_E10value_typeET2_T3_PNSJ_ISO_E10value_typeET4_T5_PST_SU_PNS1_23onesweep_lookback_stateEbbT6_jjT7_P12ihipStream_tbENKUlT_T0_SI_SN_E_clIPiSD_S15_SD_EEDaS11_S12_SI_SN_EUlS11_E_NS1_11comp_targetILNS1_3genE0ELNS1_11target_archE4294967295ELNS1_3gpuE0ELNS1_3repE0EEENS1_47radix_sort_onesweep_sort_config_static_selectorELNS0_4arch9wavefront6targetE1EEEvSI_.num_agpr, 0
	.set _ZN7rocprim17ROCPRIM_400000_NS6detail17trampoline_kernelINS0_14default_configENS1_35radix_sort_onesweep_config_selectorIiiEEZZNS1_29radix_sort_onesweep_iterationIS3_Lb0EN6thrust23THRUST_200600_302600_NS6detail15normal_iteratorINS8_10device_ptrIiEEEESD_SD_SD_jNS0_19identity_decomposerENS1_16block_id_wrapperIjLb1EEEEE10hipError_tT1_PNSt15iterator_traitsISI_E10value_typeET2_T3_PNSJ_ISO_E10value_typeET4_T5_PST_SU_PNS1_23onesweep_lookback_stateEbbT6_jjT7_P12ihipStream_tbENKUlT_T0_SI_SN_E_clIPiSD_S15_SD_EEDaS11_S12_SI_SN_EUlS11_E_NS1_11comp_targetILNS1_3genE0ELNS1_11target_archE4294967295ELNS1_3gpuE0ELNS1_3repE0EEENS1_47radix_sort_onesweep_sort_config_static_selectorELNS0_4arch9wavefront6targetE1EEEvSI_.numbered_sgpr, 0
	.set _ZN7rocprim17ROCPRIM_400000_NS6detail17trampoline_kernelINS0_14default_configENS1_35radix_sort_onesweep_config_selectorIiiEEZZNS1_29radix_sort_onesweep_iterationIS3_Lb0EN6thrust23THRUST_200600_302600_NS6detail15normal_iteratorINS8_10device_ptrIiEEEESD_SD_SD_jNS0_19identity_decomposerENS1_16block_id_wrapperIjLb1EEEEE10hipError_tT1_PNSt15iterator_traitsISI_E10value_typeET2_T3_PNSJ_ISO_E10value_typeET4_T5_PST_SU_PNS1_23onesweep_lookback_stateEbbT6_jjT7_P12ihipStream_tbENKUlT_T0_SI_SN_E_clIPiSD_S15_SD_EEDaS11_S12_SI_SN_EUlS11_E_NS1_11comp_targetILNS1_3genE0ELNS1_11target_archE4294967295ELNS1_3gpuE0ELNS1_3repE0EEENS1_47radix_sort_onesweep_sort_config_static_selectorELNS0_4arch9wavefront6targetE1EEEvSI_.num_named_barrier, 0
	.set _ZN7rocprim17ROCPRIM_400000_NS6detail17trampoline_kernelINS0_14default_configENS1_35radix_sort_onesweep_config_selectorIiiEEZZNS1_29radix_sort_onesweep_iterationIS3_Lb0EN6thrust23THRUST_200600_302600_NS6detail15normal_iteratorINS8_10device_ptrIiEEEESD_SD_SD_jNS0_19identity_decomposerENS1_16block_id_wrapperIjLb1EEEEE10hipError_tT1_PNSt15iterator_traitsISI_E10value_typeET2_T3_PNSJ_ISO_E10value_typeET4_T5_PST_SU_PNS1_23onesweep_lookback_stateEbbT6_jjT7_P12ihipStream_tbENKUlT_T0_SI_SN_E_clIPiSD_S15_SD_EEDaS11_S12_SI_SN_EUlS11_E_NS1_11comp_targetILNS1_3genE0ELNS1_11target_archE4294967295ELNS1_3gpuE0ELNS1_3repE0EEENS1_47radix_sort_onesweep_sort_config_static_selectorELNS0_4arch9wavefront6targetE1EEEvSI_.private_seg_size, 0
	.set _ZN7rocprim17ROCPRIM_400000_NS6detail17trampoline_kernelINS0_14default_configENS1_35radix_sort_onesweep_config_selectorIiiEEZZNS1_29radix_sort_onesweep_iterationIS3_Lb0EN6thrust23THRUST_200600_302600_NS6detail15normal_iteratorINS8_10device_ptrIiEEEESD_SD_SD_jNS0_19identity_decomposerENS1_16block_id_wrapperIjLb1EEEEE10hipError_tT1_PNSt15iterator_traitsISI_E10value_typeET2_T3_PNSJ_ISO_E10value_typeET4_T5_PST_SU_PNS1_23onesweep_lookback_stateEbbT6_jjT7_P12ihipStream_tbENKUlT_T0_SI_SN_E_clIPiSD_S15_SD_EEDaS11_S12_SI_SN_EUlS11_E_NS1_11comp_targetILNS1_3genE0ELNS1_11target_archE4294967295ELNS1_3gpuE0ELNS1_3repE0EEENS1_47radix_sort_onesweep_sort_config_static_selectorELNS0_4arch9wavefront6targetE1EEEvSI_.uses_vcc, 0
	.set _ZN7rocprim17ROCPRIM_400000_NS6detail17trampoline_kernelINS0_14default_configENS1_35radix_sort_onesweep_config_selectorIiiEEZZNS1_29radix_sort_onesweep_iterationIS3_Lb0EN6thrust23THRUST_200600_302600_NS6detail15normal_iteratorINS8_10device_ptrIiEEEESD_SD_SD_jNS0_19identity_decomposerENS1_16block_id_wrapperIjLb1EEEEE10hipError_tT1_PNSt15iterator_traitsISI_E10value_typeET2_T3_PNSJ_ISO_E10value_typeET4_T5_PST_SU_PNS1_23onesweep_lookback_stateEbbT6_jjT7_P12ihipStream_tbENKUlT_T0_SI_SN_E_clIPiSD_S15_SD_EEDaS11_S12_SI_SN_EUlS11_E_NS1_11comp_targetILNS1_3genE0ELNS1_11target_archE4294967295ELNS1_3gpuE0ELNS1_3repE0EEENS1_47radix_sort_onesweep_sort_config_static_selectorELNS0_4arch9wavefront6targetE1EEEvSI_.uses_flat_scratch, 0
	.set _ZN7rocprim17ROCPRIM_400000_NS6detail17trampoline_kernelINS0_14default_configENS1_35radix_sort_onesweep_config_selectorIiiEEZZNS1_29radix_sort_onesweep_iterationIS3_Lb0EN6thrust23THRUST_200600_302600_NS6detail15normal_iteratorINS8_10device_ptrIiEEEESD_SD_SD_jNS0_19identity_decomposerENS1_16block_id_wrapperIjLb1EEEEE10hipError_tT1_PNSt15iterator_traitsISI_E10value_typeET2_T3_PNSJ_ISO_E10value_typeET4_T5_PST_SU_PNS1_23onesweep_lookback_stateEbbT6_jjT7_P12ihipStream_tbENKUlT_T0_SI_SN_E_clIPiSD_S15_SD_EEDaS11_S12_SI_SN_EUlS11_E_NS1_11comp_targetILNS1_3genE0ELNS1_11target_archE4294967295ELNS1_3gpuE0ELNS1_3repE0EEENS1_47radix_sort_onesweep_sort_config_static_selectorELNS0_4arch9wavefront6targetE1EEEvSI_.has_dyn_sized_stack, 0
	.set _ZN7rocprim17ROCPRIM_400000_NS6detail17trampoline_kernelINS0_14default_configENS1_35radix_sort_onesweep_config_selectorIiiEEZZNS1_29radix_sort_onesweep_iterationIS3_Lb0EN6thrust23THRUST_200600_302600_NS6detail15normal_iteratorINS8_10device_ptrIiEEEESD_SD_SD_jNS0_19identity_decomposerENS1_16block_id_wrapperIjLb1EEEEE10hipError_tT1_PNSt15iterator_traitsISI_E10value_typeET2_T3_PNSJ_ISO_E10value_typeET4_T5_PST_SU_PNS1_23onesweep_lookback_stateEbbT6_jjT7_P12ihipStream_tbENKUlT_T0_SI_SN_E_clIPiSD_S15_SD_EEDaS11_S12_SI_SN_EUlS11_E_NS1_11comp_targetILNS1_3genE0ELNS1_11target_archE4294967295ELNS1_3gpuE0ELNS1_3repE0EEENS1_47radix_sort_onesweep_sort_config_static_selectorELNS0_4arch9wavefront6targetE1EEEvSI_.has_recursion, 0
	.set _ZN7rocprim17ROCPRIM_400000_NS6detail17trampoline_kernelINS0_14default_configENS1_35radix_sort_onesweep_config_selectorIiiEEZZNS1_29radix_sort_onesweep_iterationIS3_Lb0EN6thrust23THRUST_200600_302600_NS6detail15normal_iteratorINS8_10device_ptrIiEEEESD_SD_SD_jNS0_19identity_decomposerENS1_16block_id_wrapperIjLb1EEEEE10hipError_tT1_PNSt15iterator_traitsISI_E10value_typeET2_T3_PNSJ_ISO_E10value_typeET4_T5_PST_SU_PNS1_23onesweep_lookback_stateEbbT6_jjT7_P12ihipStream_tbENKUlT_T0_SI_SN_E_clIPiSD_S15_SD_EEDaS11_S12_SI_SN_EUlS11_E_NS1_11comp_targetILNS1_3genE0ELNS1_11target_archE4294967295ELNS1_3gpuE0ELNS1_3repE0EEENS1_47radix_sort_onesweep_sort_config_static_selectorELNS0_4arch9wavefront6targetE1EEEvSI_.has_indirect_call, 0
	.section	.AMDGPU.csdata,"",@progbits
; Kernel info:
; codeLenInByte = 0
; TotalNumSgprs: 6
; NumVgprs: 0
; NumAgprs: 0
; TotalNumVgprs: 0
; ScratchSize: 0
; MemoryBound: 0
; FloatMode: 240
; IeeeMode: 1
; LDSByteSize: 0 bytes/workgroup (compile time only)
; SGPRBlocks: 0
; VGPRBlocks: 0
; NumSGPRsForWavesPerEU: 6
; NumVGPRsForWavesPerEU: 1
; AccumOffset: 4
; Occupancy: 8
; WaveLimiterHint : 0
; COMPUTE_PGM_RSRC2:SCRATCH_EN: 0
; COMPUTE_PGM_RSRC2:USER_SGPR: 2
; COMPUTE_PGM_RSRC2:TRAP_HANDLER: 0
; COMPUTE_PGM_RSRC2:TGID_X_EN: 1
; COMPUTE_PGM_RSRC2:TGID_Y_EN: 0
; COMPUTE_PGM_RSRC2:TGID_Z_EN: 0
; COMPUTE_PGM_RSRC2:TIDIG_COMP_CNT: 0
; COMPUTE_PGM_RSRC3_GFX90A:ACCUM_OFFSET: 0
; COMPUTE_PGM_RSRC3_GFX90A:TG_SPLIT: 0
	.section	.text._ZN7rocprim17ROCPRIM_400000_NS6detail17trampoline_kernelINS0_14default_configENS1_35radix_sort_onesweep_config_selectorIiiEEZZNS1_29radix_sort_onesweep_iterationIS3_Lb0EN6thrust23THRUST_200600_302600_NS6detail15normal_iteratorINS8_10device_ptrIiEEEESD_SD_SD_jNS0_19identity_decomposerENS1_16block_id_wrapperIjLb1EEEEE10hipError_tT1_PNSt15iterator_traitsISI_E10value_typeET2_T3_PNSJ_ISO_E10value_typeET4_T5_PST_SU_PNS1_23onesweep_lookback_stateEbbT6_jjT7_P12ihipStream_tbENKUlT_T0_SI_SN_E_clIPiSD_S15_SD_EEDaS11_S12_SI_SN_EUlS11_E_NS1_11comp_targetILNS1_3genE6ELNS1_11target_archE950ELNS1_3gpuE13ELNS1_3repE0EEENS1_47radix_sort_onesweep_sort_config_static_selectorELNS0_4arch9wavefront6targetE1EEEvSI_,"axG",@progbits,_ZN7rocprim17ROCPRIM_400000_NS6detail17trampoline_kernelINS0_14default_configENS1_35radix_sort_onesweep_config_selectorIiiEEZZNS1_29radix_sort_onesweep_iterationIS3_Lb0EN6thrust23THRUST_200600_302600_NS6detail15normal_iteratorINS8_10device_ptrIiEEEESD_SD_SD_jNS0_19identity_decomposerENS1_16block_id_wrapperIjLb1EEEEE10hipError_tT1_PNSt15iterator_traitsISI_E10value_typeET2_T3_PNSJ_ISO_E10value_typeET4_T5_PST_SU_PNS1_23onesweep_lookback_stateEbbT6_jjT7_P12ihipStream_tbENKUlT_T0_SI_SN_E_clIPiSD_S15_SD_EEDaS11_S12_SI_SN_EUlS11_E_NS1_11comp_targetILNS1_3genE6ELNS1_11target_archE950ELNS1_3gpuE13ELNS1_3repE0EEENS1_47radix_sort_onesweep_sort_config_static_selectorELNS0_4arch9wavefront6targetE1EEEvSI_,comdat
	.protected	_ZN7rocprim17ROCPRIM_400000_NS6detail17trampoline_kernelINS0_14default_configENS1_35radix_sort_onesweep_config_selectorIiiEEZZNS1_29radix_sort_onesweep_iterationIS3_Lb0EN6thrust23THRUST_200600_302600_NS6detail15normal_iteratorINS8_10device_ptrIiEEEESD_SD_SD_jNS0_19identity_decomposerENS1_16block_id_wrapperIjLb1EEEEE10hipError_tT1_PNSt15iterator_traitsISI_E10value_typeET2_T3_PNSJ_ISO_E10value_typeET4_T5_PST_SU_PNS1_23onesweep_lookback_stateEbbT6_jjT7_P12ihipStream_tbENKUlT_T0_SI_SN_E_clIPiSD_S15_SD_EEDaS11_S12_SI_SN_EUlS11_E_NS1_11comp_targetILNS1_3genE6ELNS1_11target_archE950ELNS1_3gpuE13ELNS1_3repE0EEENS1_47radix_sort_onesweep_sort_config_static_selectorELNS0_4arch9wavefront6targetE1EEEvSI_ ; -- Begin function _ZN7rocprim17ROCPRIM_400000_NS6detail17trampoline_kernelINS0_14default_configENS1_35radix_sort_onesweep_config_selectorIiiEEZZNS1_29radix_sort_onesweep_iterationIS3_Lb0EN6thrust23THRUST_200600_302600_NS6detail15normal_iteratorINS8_10device_ptrIiEEEESD_SD_SD_jNS0_19identity_decomposerENS1_16block_id_wrapperIjLb1EEEEE10hipError_tT1_PNSt15iterator_traitsISI_E10value_typeET2_T3_PNSJ_ISO_E10value_typeET4_T5_PST_SU_PNS1_23onesweep_lookback_stateEbbT6_jjT7_P12ihipStream_tbENKUlT_T0_SI_SN_E_clIPiSD_S15_SD_EEDaS11_S12_SI_SN_EUlS11_E_NS1_11comp_targetILNS1_3genE6ELNS1_11target_archE950ELNS1_3gpuE13ELNS1_3repE0EEENS1_47radix_sort_onesweep_sort_config_static_selectorELNS0_4arch9wavefront6targetE1EEEvSI_
	.globl	_ZN7rocprim17ROCPRIM_400000_NS6detail17trampoline_kernelINS0_14default_configENS1_35radix_sort_onesweep_config_selectorIiiEEZZNS1_29radix_sort_onesweep_iterationIS3_Lb0EN6thrust23THRUST_200600_302600_NS6detail15normal_iteratorINS8_10device_ptrIiEEEESD_SD_SD_jNS0_19identity_decomposerENS1_16block_id_wrapperIjLb1EEEEE10hipError_tT1_PNSt15iterator_traitsISI_E10value_typeET2_T3_PNSJ_ISO_E10value_typeET4_T5_PST_SU_PNS1_23onesweep_lookback_stateEbbT6_jjT7_P12ihipStream_tbENKUlT_T0_SI_SN_E_clIPiSD_S15_SD_EEDaS11_S12_SI_SN_EUlS11_E_NS1_11comp_targetILNS1_3genE6ELNS1_11target_archE950ELNS1_3gpuE13ELNS1_3repE0EEENS1_47radix_sort_onesweep_sort_config_static_selectorELNS0_4arch9wavefront6targetE1EEEvSI_
	.p2align	8
	.type	_ZN7rocprim17ROCPRIM_400000_NS6detail17trampoline_kernelINS0_14default_configENS1_35radix_sort_onesweep_config_selectorIiiEEZZNS1_29radix_sort_onesweep_iterationIS3_Lb0EN6thrust23THRUST_200600_302600_NS6detail15normal_iteratorINS8_10device_ptrIiEEEESD_SD_SD_jNS0_19identity_decomposerENS1_16block_id_wrapperIjLb1EEEEE10hipError_tT1_PNSt15iterator_traitsISI_E10value_typeET2_T3_PNSJ_ISO_E10value_typeET4_T5_PST_SU_PNS1_23onesweep_lookback_stateEbbT6_jjT7_P12ihipStream_tbENKUlT_T0_SI_SN_E_clIPiSD_S15_SD_EEDaS11_S12_SI_SN_EUlS11_E_NS1_11comp_targetILNS1_3genE6ELNS1_11target_archE950ELNS1_3gpuE13ELNS1_3repE0EEENS1_47radix_sort_onesweep_sort_config_static_selectorELNS0_4arch9wavefront6targetE1EEEvSI_,@function
_ZN7rocprim17ROCPRIM_400000_NS6detail17trampoline_kernelINS0_14default_configENS1_35radix_sort_onesweep_config_selectorIiiEEZZNS1_29radix_sort_onesweep_iterationIS3_Lb0EN6thrust23THRUST_200600_302600_NS6detail15normal_iteratorINS8_10device_ptrIiEEEESD_SD_SD_jNS0_19identity_decomposerENS1_16block_id_wrapperIjLb1EEEEE10hipError_tT1_PNSt15iterator_traitsISI_E10value_typeET2_T3_PNSJ_ISO_E10value_typeET4_T5_PST_SU_PNS1_23onesweep_lookback_stateEbbT6_jjT7_P12ihipStream_tbENKUlT_T0_SI_SN_E_clIPiSD_S15_SD_EEDaS11_S12_SI_SN_EUlS11_E_NS1_11comp_targetILNS1_3genE6ELNS1_11target_archE950ELNS1_3gpuE13ELNS1_3repE0EEENS1_47radix_sort_onesweep_sort_config_static_selectorELNS0_4arch9wavefront6targetE1EEEvSI_: ; @_ZN7rocprim17ROCPRIM_400000_NS6detail17trampoline_kernelINS0_14default_configENS1_35radix_sort_onesweep_config_selectorIiiEEZZNS1_29radix_sort_onesweep_iterationIS3_Lb0EN6thrust23THRUST_200600_302600_NS6detail15normal_iteratorINS8_10device_ptrIiEEEESD_SD_SD_jNS0_19identity_decomposerENS1_16block_id_wrapperIjLb1EEEEE10hipError_tT1_PNSt15iterator_traitsISI_E10value_typeET2_T3_PNSJ_ISO_E10value_typeET4_T5_PST_SU_PNS1_23onesweep_lookback_stateEbbT6_jjT7_P12ihipStream_tbENKUlT_T0_SI_SN_E_clIPiSD_S15_SD_EEDaS11_S12_SI_SN_EUlS11_E_NS1_11comp_targetILNS1_3genE6ELNS1_11target_archE950ELNS1_3gpuE13ELNS1_3repE0EEENS1_47radix_sort_onesweep_sort_config_static_selectorELNS0_4arch9wavefront6targetE1EEEvSI_
; %bb.0:
	s_load_dwordx4 s[60:63], s[0:1], 0x28
	s_load_dwordx2 s[68:69], s[0:1], 0x38
	s_load_dwordx4 s[64:67], s[0:1], 0x44
	v_and_b32_e32 v2, 0x3ff, v0
	v_cmp_eq_u32_e64 s[44:45], 0, v2
	s_and_saveexec_b64 s[4:5], s[44:45]
	s_cbranch_execz .LBB1438_4
; %bb.1:
	s_mov_b64 s[8:9], exec
	v_mbcnt_lo_u32_b32 v1, s8, 0
	v_mbcnt_hi_u32_b32 v1, s9, v1
	v_cmp_eq_u32_e32 vcc, 0, v1
                                        ; implicit-def: $vgpr3
	s_and_saveexec_b64 s[6:7], vcc
	s_cbranch_execz .LBB1438_3
; %bb.2:
	s_load_dwordx2 s[10:11], s[0:1], 0x50
	s_bcnt1_i32_b64 s3, s[8:9]
	v_mov_b32_e32 v3, 0
	v_mov_b32_e32 v4, s3
	s_waitcnt lgkmcnt(0)
	global_atomic_add v3, v3, v4, s[10:11] sc0
.LBB1438_3:
	s_or_b64 exec, exec, s[6:7]
	s_waitcnt vmcnt(0)
	v_readfirstlane_b32 s3, v3
	v_mov_b32_e32 v3, 0
	s_nop 0
	v_add_u32_e32 v1, s3, v1
	ds_write_b32 v3, v1 offset:20544
.LBB1438_4:
	s_or_b64 exec, exec, s[4:5]
	v_mov_b32_e32 v5, 0
	s_load_dwordx8 s[52:59], s[0:1], 0x0
	s_load_dword s3, s[0:1], 0x20
	s_waitcnt lgkmcnt(0)
	s_barrier
	ds_read_b32 v1, v5 offset:20544
	s_mov_b64 s[4:5], -1
	v_mbcnt_lo_u32_b32 v3, -1, 0
	s_waitcnt lgkmcnt(0)
	s_barrier
	v_cmp_le_u32_e32 vcc, s66, v1
	v_readfirstlane_b32 s33, v1
	v_lshlrev_b32_e32 v1, 4, v2
	s_cbranch_vccz .LBB1438_208
; %bb.5:
	s_lshl_b32 s4, s66, 14
	s_sub_i32 s3, s3, s4
	s_lshl_b32 s4, s33, 14
	s_mov_b32 s5, 0
	s_lshl_b64 s[66:67], s[4:5], 2
	v_mbcnt_hi_u32_b32 v12, -1, v3
	s_add_u32 s4, s52, s66
	v_and_b32_e32 v10, 63, v12
	s_addc_u32 s5, s53, s67
	v_and_b32_e32 v11, 0x3c00, v1
	v_lshlrev_b32_e32 v4, 2, v10
	v_lshl_add_u64 v[8:9], s[4:5], 0, v[4:5]
	v_lshlrev_b32_e32 v6, 2, v11
	v_mov_b32_e32 v7, v5
	v_or_b32_e32 v10, v10, v11
	v_mov_b32_e32 v14, -1
	v_lshl_add_u64 v[8:9], v[8:9], 0, v[6:7]
	v_cmp_gt_u32_e32 vcc, s3, v10
	v_mov_b32_e32 v5, -1
	s_and_saveexec_b64 s[4:5], vcc
	s_cbranch_execz .LBB1438_7
; %bb.6:
	global_load_dword v5, v[8:9], off
	s_waitcnt vmcnt(0)
	v_xor_b32_e32 v5, 0x80000000, v5
.LBB1438_7:
	s_or_b64 exec, exec, s[4:5]
	v_or_b32_e32 v7, 64, v10
	v_cmp_gt_u32_e64 s[4:5], s3, v7
	s_and_saveexec_b64 s[6:7], s[4:5]
	s_cbranch_execz .LBB1438_9
; %bb.8:
	global_load_dword v7, v[8:9], off offset:256
	s_waitcnt vmcnt(0)
	v_xor_b32_e32 v14, 0x80000000, v7
.LBB1438_9:
	s_or_b64 exec, exec, s[6:7]
	v_or_b32_e32 v7, 0x80, v10
	v_cmp_gt_u32_e64 s[6:7], s3, v7
	v_mov_b32_e32 v7, -1
	v_mov_b32_e32 v15, -1
	s_and_saveexec_b64 s[8:9], s[6:7]
	s_cbranch_execz .LBB1438_11
; %bb.10:
	global_load_dword v11, v[8:9], off offset:512
	s_waitcnt vmcnt(0)
	v_xor_b32_e32 v15, 0x80000000, v11
.LBB1438_11:
	s_or_b64 exec, exec, s[8:9]
	v_or_b32_e32 v11, 0xc0, v10
	v_cmp_gt_u32_e64 s[8:9], s3, v11
	s_and_saveexec_b64 s[10:11], s[8:9]
	s_cbranch_execz .LBB1438_13
; %bb.12:
	global_load_dword v7, v[8:9], off offset:768
	s_waitcnt vmcnt(0)
	v_xor_b32_e32 v7, 0x80000000, v7
.LBB1438_13:
	s_or_b64 exec, exec, s[10:11]
	v_or_b32_e32 v11, 0x100, v10
	v_cmp_gt_u32_e64 s[10:11], s3, v11
	v_mov_b32_e32 v16, -1
	v_mov_b32_e32 v17, -1
	s_and_saveexec_b64 s[12:13], s[10:11]
	s_cbranch_execz .LBB1438_15
; %bb.14:
	global_load_dword v11, v[8:9], off offset:1024
	s_waitcnt vmcnt(0)
	v_xor_b32_e32 v17, 0x80000000, v11
.LBB1438_15:
	;; [unrolled: 22-line block ×7, first 2 shown]
	s_or_b64 exec, exec, s[34:35]
	v_or_b32_e32 v10, 0x3c0, v10
	v_cmp_gt_u32_e64 s[34:35], s3, v10
	s_and_saveexec_b64 s[36:37], s[34:35]
	s_cbranch_execz .LBB1438_37
; %bb.36:
	global_load_dword v8, v[8:9], off offset:3840
	s_waitcnt vmcnt(0)
	v_xor_b32_e32 v26, 0x80000000, v8
.LBB1438_37:
	s_or_b64 exec, exec, s[36:37]
	s_load_dword s36, s[0:1], 0x64
	s_load_dword s70, s[0:1], 0x58
	s_add_u32 s37, s0, 0x58
	s_addc_u32 s38, s1, 0
	v_mov_b32_e32 v9, 0
	s_waitcnt lgkmcnt(0)
	s_lshr_b32 s39, s36, 16
	s_cmp_lt_u32 s2, s70
	s_cselect_b32 s36, 12, 18
	s_add_u32 s36, s37, s36
	s_addc_u32 s37, s38, 0
	global_load_ushort v40, v9, s[36:37]
	v_lshrrev_b32_e32 v29, s64, v5
	s_lshl_b32 s36, -1, s65
	v_bfe_u32 v8, v0, 10, 10
	v_bfe_u32 v11, v0, 20, 10
	v_bitop3_b32 v38, v29, s36, v29 bitop3:0x30
	s_movk_i32 s72, 0x44
	v_mad_u32_u24 v42, v11, s39, v8
	v_and_b32_e32 v8, 1, v38
	v_lshlrev_b32_e32 v11, 30, v38
	v_mov_b32_e32 v10, v9
	v_mov_b32_e32 v30, v9
	s_not_b32 s71, s36
	v_mul_lo_u32 v43, v38, s72
	v_lshlrev_b32_e32 v29, 29, v38
	v_lshlrev_b32_e32 v31, 28, v38
	;; [unrolled: 1-line block ×6, first 2 shown]
	v_lshl_add_u64 v[38:39], v[8:9], 0, -1
	v_cmp_ne_u32_e64 s[36:37], 0, v8
	v_not_b32_e32 v8, v11
	v_mov_b32_e32 v28, v9
	v_mov_b32_e32 v32, v9
	v_cmp_gt_i64_e64 s[38:39], 0, v[10:11]
	v_not_b32_e32 v10, v29
	v_cmp_gt_i64_e64 s[42:43], 0, v[30:31]
	v_not_b32_e32 v11, v31
	v_xor_b32_e32 v31, s37, v39
	v_ashrrev_i32_e32 v8, 31, v8
	v_mov_b32_e32 v34, v9
	v_cmp_gt_i64_e64 s[40:41], 0, v[28:29]
	v_cmp_gt_i64_e64 s[46:47], 0, v[32:33]
	v_not_b32_e32 v28, v33
	v_xor_b32_e32 v32, s36, v38
	v_ashrrev_i32_e32 v10, 31, v10
	v_and_b32_e32 v31, exec_hi, v31
	v_xor_b32_e32 v33, s39, v8
	v_cmp_gt_i64_e64 s[48:49], 0, v[34:35]
	v_ashrrev_i32_e32 v11, 31, v11
	v_and_b32_e32 v32, exec_lo, v32
	v_xor_b32_e32 v8, s38, v8
	v_xor_b32_e32 v34, s41, v10
	v_and_b32_e32 v31, v31, v33
	v_mov_b32_e32 v36, v9
	v_not_b32_e32 v29, v35
	v_ashrrev_i32_e32 v28, 31, v28
	v_xor_b32_e32 v10, s40, v10
	v_xor_b32_e32 v35, s43, v11
	v_and_b32_e32 v8, v32, v8
	v_and_b32_e32 v31, v31, v34
	v_cmp_gt_i64_e64 s[50:51], 0, v[36:37]
	v_not_b32_e32 v30, v37
	v_ashrrev_i32_e32 v29, 31, v29
	v_xor_b32_e32 v36, s47, v28
	v_and_b32_e32 v8, v8, v10
	v_and_b32_e32 v10, v31, v35
	v_ashrrev_i32_e32 v30, 31, v30
	v_xor_b32_e32 v11, s42, v11
	v_xor_b32_e32 v37, s49, v29
	v_and_b32_e32 v10, v10, v36
	v_xor_b32_e32 v28, s46, v28
	v_xor_b32_e32 v38, s51, v30
	v_and_b32_e32 v8, v8, v11
	v_and_b32_e32 v10, v10, v37
	;; [unrolled: 1-line block ×4, first 2 shown]
	v_xor_b32_e32 v29, s48, v29
	v_xor_b32_e32 v30, s50, v30
	v_and_b32_e32 v8, v8, v29
	v_and_b32_e32 v8, v8, v30
	v_mul_u32_u24_e32 v13, 20, v2
	ds_write2_b32 v13, v9, v9 offset0:16 offset1:17
	ds_write2_b32 v13, v9, v9 offset0:18 offset1:19
	ds_write_b32 v13, v9 offset:80
	s_waitcnt lgkmcnt(0)
	s_barrier
	s_waitcnt vmcnt(0)
	; wave barrier
	v_mad_u64_u32 v[10:11], s[36:37], v42, v40, v[2:3]
	v_lshrrev_b32_e32 v39, 6, v10
	v_mov_b32_e32 v40, v9
	v_not_b32_e32 v10, v41
	v_cmp_gt_i64_e64 s[36:37], 0, v[40:41]
	v_ashrrev_i32_e32 v10, 31, v10
	v_lshl_add_u32 v32, v39, 2, v43
	v_xor_b32_e32 v11, s37, v10
	v_xor_b32_e32 v10, s36, v10
	v_and_b32_e32 v10, v8, v10
	v_and_b32_e32 v11, v28, v11
	v_mbcnt_lo_u32_b32 v8, v10, 0
	v_mbcnt_hi_u32_b32 v29, v11, v8
	v_cmp_eq_u32_e64 s[36:37], 0, v29
	v_cmp_ne_u64_e64 s[38:39], 0, v[10:11]
	s_and_b64 s[38:39], s[38:39], s[36:37]
	s_and_saveexec_b64 s[36:37], s[38:39]
; %bb.38:
	v_bcnt_u32_b32 v8, v10, 0
	v_bcnt_u32_b32 v8, v11, v8
	ds_write_b32 v32, v8 offset:64
; %bb.39:
	s_or_b64 exec, exec, s[36:37]
	v_lshrrev_b32_e32 v8, s64, v14
	v_and_b32_e32 v30, s71, v8
	v_mul_lo_u32 v8, v30, s72
	v_lshl_add_u32 v34, v39, 2, v8
	v_and_b32_e32 v8, 1, v30
	v_lshl_add_u64 v[10:11], v[8:9], 0, -1
	v_cmp_ne_u32_e64 s[36:37], 0, v8
	; wave barrier
	s_nop 1
	v_xor_b32_e32 v10, s36, v10
	v_xor_b32_e32 v8, s37, v11
	v_and_b32_e32 v31, exec_lo, v10
	v_lshlrev_b32_e32 v11, 30, v30
	v_mov_b32_e32 v10, v9
	v_cmp_gt_i64_e64 s[36:37], 0, v[10:11]
	v_not_b32_e32 v10, v11
	v_ashrrev_i32_e32 v10, 31, v10
	v_and_b32_e32 v8, exec_hi, v8
	v_xor_b32_e32 v11, s37, v10
	v_xor_b32_e32 v10, s36, v10
	v_and_b32_e32 v8, v8, v11
	v_and_b32_e32 v31, v31, v10
	v_lshlrev_b32_e32 v11, 29, v30
	v_mov_b32_e32 v10, v9
	v_cmp_gt_i64_e64 s[36:37], 0, v[10:11]
	v_not_b32_e32 v10, v11
	v_ashrrev_i32_e32 v10, 31, v10
	v_xor_b32_e32 v11, s37, v10
	v_xor_b32_e32 v10, s36, v10
	v_and_b32_e32 v8, v8, v11
	v_and_b32_e32 v31, v31, v10
	v_lshlrev_b32_e32 v11, 28, v30
	v_mov_b32_e32 v10, v9
	v_cmp_gt_i64_e64 s[36:37], 0, v[10:11]
	v_not_b32_e32 v10, v11
	v_ashrrev_i32_e32 v10, 31, v10
	;; [unrolled: 9-line block ×5, first 2 shown]
	v_xor_b32_e32 v11, s37, v10
	v_xor_b32_e32 v10, s36, v10
	v_and_b32_e32 v8, v8, v11
	v_lshlrev_b32_e32 v11, 24, v30
	v_and_b32_e32 v31, v31, v10
	v_mov_b32_e32 v10, v9
	v_not_b32_e32 v9, v11
	v_cmp_gt_i64_e64 s[36:37], 0, v[10:11]
	v_ashrrev_i32_e32 v9, 31, v9
	ds_read_b32 v28, v34 offset:64
	v_xor_b32_e32 v10, s37, v9
	v_xor_b32_e32 v11, s36, v9
	v_and_b32_e32 v9, v8, v10
	v_and_b32_e32 v8, v31, v11
	v_mbcnt_lo_u32_b32 v10, v8, 0
	v_mbcnt_hi_u32_b32 v30, v9, v10
	v_cmp_eq_u32_e64 s[36:37], 0, v30
	v_cmp_ne_u64_e64 s[38:39], 0, v[8:9]
	s_and_b64 s[38:39], s[38:39], s[36:37]
	; wave barrier
	s_and_saveexec_b64 s[36:37], s[38:39]
	s_cbranch_execz .LBB1438_41
; %bb.40:
	v_bcnt_u32_b32 v8, v8, 0
	v_bcnt_u32_b32 v8, v9, v8
	s_waitcnt lgkmcnt(0)
	v_add_u32_e32 v8, v28, v8
	ds_write_b32 v34, v8 offset:64
.LBB1438_41:
	s_or_b64 exec, exec, s[36:37]
	v_lshrrev_b32_e32 v8, s64, v15
	v_and_b32_e32 v33, s71, v8
	s_movk_i32 s40, 0x44
	v_mul_lo_u32 v8, v33, s40
	v_lshl_add_u32 v37, v39, 2, v8
	v_and_b32_e32 v8, 1, v33
	v_mov_b32_e32 v9, 0
	v_lshl_add_u64 v[10:11], v[8:9], 0, -1
	v_cmp_ne_u32_e64 s[36:37], 0, v8
	; wave barrier
	s_nop 1
	v_xor_b32_e32 v10, s36, v10
	v_xor_b32_e32 v8, s37, v11
	v_and_b32_e32 v35, exec_lo, v10
	v_lshlrev_b32_e32 v11, 30, v33
	v_mov_b32_e32 v10, v9
	v_cmp_gt_i64_e64 s[36:37], 0, v[10:11]
	v_not_b32_e32 v10, v11
	v_ashrrev_i32_e32 v10, 31, v10
	v_and_b32_e32 v8, exec_hi, v8
	v_xor_b32_e32 v11, s37, v10
	v_xor_b32_e32 v10, s36, v10
	v_and_b32_e32 v8, v8, v11
	v_and_b32_e32 v35, v35, v10
	v_lshlrev_b32_e32 v11, 29, v33
	v_mov_b32_e32 v10, v9
	v_cmp_gt_i64_e64 s[36:37], 0, v[10:11]
	v_not_b32_e32 v10, v11
	v_ashrrev_i32_e32 v10, 31, v10
	v_xor_b32_e32 v11, s37, v10
	v_xor_b32_e32 v10, s36, v10
	v_and_b32_e32 v8, v8, v11
	v_and_b32_e32 v35, v35, v10
	v_lshlrev_b32_e32 v11, 28, v33
	v_mov_b32_e32 v10, v9
	v_cmp_gt_i64_e64 s[36:37], 0, v[10:11]
	v_not_b32_e32 v10, v11
	v_ashrrev_i32_e32 v10, 31, v10
	;; [unrolled: 9-line block ×6, first 2 shown]
	v_xor_b32_e32 v11, s37, v10
	v_xor_b32_e32 v10, s36, v10
	ds_read_b32 v31, v37 offset:64
	v_and_b32_e32 v10, v35, v10
	v_and_b32_e32 v11, v8, v11
	v_mbcnt_lo_u32_b32 v8, v10, 0
	v_mbcnt_hi_u32_b32 v33, v11, v8
	v_cmp_eq_u32_e64 s[36:37], 0, v33
	v_cmp_ne_u64_e64 s[38:39], 0, v[10:11]
	s_and_b64 s[38:39], s[38:39], s[36:37]
	; wave barrier
	s_and_saveexec_b64 s[36:37], s[38:39]
	s_cbranch_execz .LBB1438_43
; %bb.42:
	v_bcnt_u32_b32 v8, v10, 0
	v_bcnt_u32_b32 v8, v11, v8
	s_waitcnt lgkmcnt(0)
	v_add_u32_e32 v8, v31, v8
	ds_write_b32 v37, v8 offset:64
.LBB1438_43:
	s_or_b64 exec, exec, s[36:37]
	v_lshrrev_b32_e32 v8, s64, v7
	v_and_b32_e32 v36, s71, v8
	v_mul_lo_u32 v8, v36, s40
	v_lshl_add_u32 v41, v39, 2, v8
	v_and_b32_e32 v8, 1, v36
	v_lshl_add_u64 v[10:11], v[8:9], 0, -1
	v_cmp_ne_u32_e64 s[36:37], 0, v8
	; wave barrier
	s_nop 1
	v_xor_b32_e32 v10, s36, v10
	v_xor_b32_e32 v8, s37, v11
	v_and_b32_e32 v38, exec_lo, v10
	v_lshlrev_b32_e32 v11, 30, v36
	v_mov_b32_e32 v10, v9
	v_cmp_gt_i64_e64 s[36:37], 0, v[10:11]
	v_not_b32_e32 v10, v11
	v_ashrrev_i32_e32 v10, 31, v10
	v_and_b32_e32 v8, exec_hi, v8
	v_xor_b32_e32 v11, s37, v10
	v_xor_b32_e32 v10, s36, v10
	v_and_b32_e32 v8, v8, v11
	v_and_b32_e32 v38, v38, v10
	v_lshlrev_b32_e32 v11, 29, v36
	v_mov_b32_e32 v10, v9
	v_cmp_gt_i64_e64 s[36:37], 0, v[10:11]
	v_not_b32_e32 v10, v11
	v_ashrrev_i32_e32 v10, 31, v10
	v_xor_b32_e32 v11, s37, v10
	v_xor_b32_e32 v10, s36, v10
	v_and_b32_e32 v8, v8, v11
	v_and_b32_e32 v38, v38, v10
	v_lshlrev_b32_e32 v11, 28, v36
	v_mov_b32_e32 v10, v9
	v_cmp_gt_i64_e64 s[36:37], 0, v[10:11]
	v_not_b32_e32 v10, v11
	v_ashrrev_i32_e32 v10, 31, v10
	;; [unrolled: 9-line block ×5, first 2 shown]
	v_xor_b32_e32 v11, s37, v10
	v_xor_b32_e32 v10, s36, v10
	v_and_b32_e32 v8, v8, v11
	v_lshlrev_b32_e32 v11, 24, v36
	v_and_b32_e32 v38, v38, v10
	v_mov_b32_e32 v10, v9
	v_not_b32_e32 v9, v11
	v_cmp_gt_i64_e64 s[36:37], 0, v[10:11]
	v_ashrrev_i32_e32 v9, 31, v9
	ds_read_b32 v35, v41 offset:64
	v_xor_b32_e32 v10, s37, v9
	v_xor_b32_e32 v11, s36, v9
	v_and_b32_e32 v9, v8, v10
	v_and_b32_e32 v8, v38, v11
	v_mbcnt_lo_u32_b32 v10, v8, 0
	v_mbcnt_hi_u32_b32 v36, v9, v10
	v_cmp_eq_u32_e64 s[36:37], 0, v36
	v_cmp_ne_u64_e64 s[38:39], 0, v[8:9]
	s_and_b64 s[38:39], s[38:39], s[36:37]
	; wave barrier
	s_and_saveexec_b64 s[36:37], s[38:39]
	s_cbranch_execz .LBB1438_45
; %bb.44:
	v_bcnt_u32_b32 v8, v8, 0
	v_bcnt_u32_b32 v8, v9, v8
	s_waitcnt lgkmcnt(0)
	v_add_u32_e32 v8, v35, v8
	ds_write_b32 v41, v8 offset:64
.LBB1438_45:
	s_or_b64 exec, exec, s[36:37]
	v_lshrrev_b32_e32 v8, s64, v17
	v_and_b32_e32 v40, s71, v8
	v_mul_lo_u32 v8, v40, s40
	v_lshl_add_u32 v44, v39, 2, v8
	v_and_b32_e32 v8, 1, v40
	v_mov_b32_e32 v9, 0
	v_lshl_add_u64 v[10:11], v[8:9], 0, -1
	v_cmp_ne_u32_e64 s[36:37], 0, v8
	; wave barrier
	s_nop 1
	v_xor_b32_e32 v10, s36, v10
	v_xor_b32_e32 v8, s37, v11
	v_and_b32_e32 v42, exec_lo, v10
	v_lshlrev_b32_e32 v11, 30, v40
	v_mov_b32_e32 v10, v9
	v_cmp_gt_i64_e64 s[36:37], 0, v[10:11]
	v_not_b32_e32 v10, v11
	v_ashrrev_i32_e32 v10, 31, v10
	v_and_b32_e32 v8, exec_hi, v8
	v_xor_b32_e32 v11, s37, v10
	v_xor_b32_e32 v10, s36, v10
	v_and_b32_e32 v8, v8, v11
	v_and_b32_e32 v42, v42, v10
	v_lshlrev_b32_e32 v11, 29, v40
	v_mov_b32_e32 v10, v9
	v_cmp_gt_i64_e64 s[36:37], 0, v[10:11]
	v_not_b32_e32 v10, v11
	v_ashrrev_i32_e32 v10, 31, v10
	v_xor_b32_e32 v11, s37, v10
	v_xor_b32_e32 v10, s36, v10
	v_and_b32_e32 v8, v8, v11
	v_and_b32_e32 v42, v42, v10
	v_lshlrev_b32_e32 v11, 28, v40
	v_mov_b32_e32 v10, v9
	v_cmp_gt_i64_e64 s[36:37], 0, v[10:11]
	v_not_b32_e32 v10, v11
	v_ashrrev_i32_e32 v10, 31, v10
	;; [unrolled: 9-line block ×6, first 2 shown]
	v_xor_b32_e32 v11, s37, v10
	v_xor_b32_e32 v10, s36, v10
	ds_read_b32 v38, v44 offset:64
	v_and_b32_e32 v10, v42, v10
	v_and_b32_e32 v11, v8, v11
	v_mbcnt_lo_u32_b32 v8, v10, 0
	v_mbcnt_hi_u32_b32 v40, v11, v8
	v_cmp_eq_u32_e64 s[36:37], 0, v40
	v_cmp_ne_u64_e64 s[38:39], 0, v[10:11]
	s_and_b64 s[38:39], s[38:39], s[36:37]
	; wave barrier
	s_and_saveexec_b64 s[36:37], s[38:39]
	s_cbranch_execz .LBB1438_47
; %bb.46:
	v_bcnt_u32_b32 v8, v10, 0
	v_bcnt_u32_b32 v8, v11, v8
	s_waitcnt lgkmcnt(0)
	v_add_u32_e32 v8, v38, v8
	ds_write_b32 v44, v8 offset:64
.LBB1438_47:
	s_or_b64 exec, exec, s[36:37]
	v_lshrrev_b32_e32 v8, s64, v16
	v_and_b32_e32 v43, s71, v8
	v_mul_lo_u32 v8, v43, s40
	v_lshl_add_u32 v46, v39, 2, v8
	v_and_b32_e32 v8, 1, v43
	v_lshl_add_u64 v[10:11], v[8:9], 0, -1
	v_cmp_ne_u32_e64 s[36:37], 0, v8
	; wave barrier
	s_nop 1
	v_xor_b32_e32 v10, s36, v10
	v_xor_b32_e32 v8, s37, v11
	v_and_b32_e32 v45, exec_lo, v10
	v_lshlrev_b32_e32 v11, 30, v43
	v_mov_b32_e32 v10, v9
	v_cmp_gt_i64_e64 s[36:37], 0, v[10:11]
	v_not_b32_e32 v10, v11
	v_ashrrev_i32_e32 v10, 31, v10
	v_and_b32_e32 v8, exec_hi, v8
	v_xor_b32_e32 v11, s37, v10
	v_xor_b32_e32 v10, s36, v10
	v_and_b32_e32 v8, v8, v11
	v_and_b32_e32 v45, v45, v10
	v_lshlrev_b32_e32 v11, 29, v43
	v_mov_b32_e32 v10, v9
	v_cmp_gt_i64_e64 s[36:37], 0, v[10:11]
	v_not_b32_e32 v10, v11
	v_ashrrev_i32_e32 v10, 31, v10
	v_xor_b32_e32 v11, s37, v10
	v_xor_b32_e32 v10, s36, v10
	v_and_b32_e32 v8, v8, v11
	v_and_b32_e32 v45, v45, v10
	v_lshlrev_b32_e32 v11, 28, v43
	v_mov_b32_e32 v10, v9
	v_cmp_gt_i64_e64 s[36:37], 0, v[10:11]
	v_not_b32_e32 v10, v11
	v_ashrrev_i32_e32 v10, 31, v10
	;; [unrolled: 9-line block ×5, first 2 shown]
	v_xor_b32_e32 v11, s37, v10
	v_xor_b32_e32 v10, s36, v10
	v_and_b32_e32 v8, v8, v11
	v_lshlrev_b32_e32 v11, 24, v43
	v_and_b32_e32 v45, v45, v10
	v_mov_b32_e32 v10, v9
	v_not_b32_e32 v9, v11
	v_cmp_gt_i64_e64 s[36:37], 0, v[10:11]
	v_ashrrev_i32_e32 v9, 31, v9
	ds_read_b32 v42, v46 offset:64
	v_xor_b32_e32 v10, s37, v9
	v_xor_b32_e32 v11, s36, v9
	v_and_b32_e32 v9, v8, v10
	v_and_b32_e32 v8, v45, v11
	v_mbcnt_lo_u32_b32 v10, v8, 0
	v_mbcnt_hi_u32_b32 v43, v9, v10
	v_cmp_eq_u32_e64 s[36:37], 0, v43
	v_cmp_ne_u64_e64 s[38:39], 0, v[8:9]
	s_and_b64 s[38:39], s[38:39], s[36:37]
	; wave barrier
	s_and_saveexec_b64 s[36:37], s[38:39]
	s_cbranch_execz .LBB1438_49
; %bb.48:
	v_bcnt_u32_b32 v8, v8, 0
	v_bcnt_u32_b32 v8, v9, v8
	s_waitcnt lgkmcnt(0)
	v_add_u32_e32 v8, v42, v8
	ds_write_b32 v46, v8 offset:64
.LBB1438_49:
	s_or_b64 exec, exec, s[36:37]
	v_lshrrev_b32_e32 v8, s64, v19
	v_and_b32_e32 v47, s71, v8
	v_mul_lo_u32 v8, v47, s40
	v_lshl_add_u32 v49, v39, 2, v8
	v_and_b32_e32 v8, 1, v47
	v_mov_b32_e32 v9, 0
	v_lshl_add_u64 v[10:11], v[8:9], 0, -1
	v_cmp_ne_u32_e64 s[36:37], 0, v8
	; wave barrier
	s_nop 1
	v_xor_b32_e32 v10, s36, v10
	v_xor_b32_e32 v8, s37, v11
	v_and_b32_e32 v48, exec_lo, v10
	v_lshlrev_b32_e32 v11, 30, v47
	v_mov_b32_e32 v10, v9
	v_cmp_gt_i64_e64 s[36:37], 0, v[10:11]
	v_not_b32_e32 v10, v11
	v_ashrrev_i32_e32 v10, 31, v10
	v_and_b32_e32 v8, exec_hi, v8
	v_xor_b32_e32 v11, s37, v10
	v_xor_b32_e32 v10, s36, v10
	v_and_b32_e32 v8, v8, v11
	v_and_b32_e32 v48, v48, v10
	v_lshlrev_b32_e32 v11, 29, v47
	v_mov_b32_e32 v10, v9
	v_cmp_gt_i64_e64 s[36:37], 0, v[10:11]
	v_not_b32_e32 v10, v11
	v_ashrrev_i32_e32 v10, 31, v10
	v_xor_b32_e32 v11, s37, v10
	v_xor_b32_e32 v10, s36, v10
	v_and_b32_e32 v8, v8, v11
	v_and_b32_e32 v48, v48, v10
	v_lshlrev_b32_e32 v11, 28, v47
	v_mov_b32_e32 v10, v9
	v_cmp_gt_i64_e64 s[36:37], 0, v[10:11]
	v_not_b32_e32 v10, v11
	v_ashrrev_i32_e32 v10, 31, v10
	;; [unrolled: 9-line block ×6, first 2 shown]
	v_xor_b32_e32 v11, s37, v10
	v_xor_b32_e32 v10, s36, v10
	ds_read_b32 v45, v49 offset:64
	v_and_b32_e32 v10, v48, v10
	v_and_b32_e32 v11, v8, v11
	v_mbcnt_lo_u32_b32 v8, v10, 0
	v_mbcnt_hi_u32_b32 v47, v11, v8
	v_cmp_eq_u32_e64 s[36:37], 0, v47
	v_cmp_ne_u64_e64 s[38:39], 0, v[10:11]
	s_and_b64 s[38:39], s[38:39], s[36:37]
	; wave barrier
	s_and_saveexec_b64 s[36:37], s[38:39]
	s_cbranch_execz .LBB1438_51
; %bb.50:
	v_bcnt_u32_b32 v8, v10, 0
	v_bcnt_u32_b32 v8, v11, v8
	s_waitcnt lgkmcnt(0)
	v_add_u32_e32 v8, v45, v8
	ds_write_b32 v49, v8 offset:64
.LBB1438_51:
	s_or_b64 exec, exec, s[36:37]
	v_lshrrev_b32_e32 v8, s64, v18
	v_and_b32_e32 v50, s71, v8
	v_mul_lo_u32 v8, v50, s40
	v_lshl_add_u32 v52, v39, 2, v8
	v_and_b32_e32 v8, 1, v50
	v_lshl_add_u64 v[10:11], v[8:9], 0, -1
	v_cmp_ne_u32_e64 s[36:37], 0, v8
	; wave barrier
	s_nop 1
	v_xor_b32_e32 v10, s36, v10
	v_xor_b32_e32 v8, s37, v11
	v_and_b32_e32 v51, exec_lo, v10
	v_lshlrev_b32_e32 v11, 30, v50
	v_mov_b32_e32 v10, v9
	v_cmp_gt_i64_e64 s[36:37], 0, v[10:11]
	v_not_b32_e32 v10, v11
	v_ashrrev_i32_e32 v10, 31, v10
	v_and_b32_e32 v8, exec_hi, v8
	v_xor_b32_e32 v11, s37, v10
	v_xor_b32_e32 v10, s36, v10
	v_and_b32_e32 v8, v8, v11
	v_and_b32_e32 v51, v51, v10
	v_lshlrev_b32_e32 v11, 29, v50
	v_mov_b32_e32 v10, v9
	v_cmp_gt_i64_e64 s[36:37], 0, v[10:11]
	v_not_b32_e32 v10, v11
	v_ashrrev_i32_e32 v10, 31, v10
	v_xor_b32_e32 v11, s37, v10
	v_xor_b32_e32 v10, s36, v10
	v_and_b32_e32 v8, v8, v11
	v_and_b32_e32 v51, v51, v10
	v_lshlrev_b32_e32 v11, 28, v50
	v_mov_b32_e32 v10, v9
	v_cmp_gt_i64_e64 s[36:37], 0, v[10:11]
	v_not_b32_e32 v10, v11
	v_ashrrev_i32_e32 v10, 31, v10
	;; [unrolled: 9-line block ×5, first 2 shown]
	v_xor_b32_e32 v11, s37, v10
	v_xor_b32_e32 v10, s36, v10
	v_and_b32_e32 v8, v8, v11
	v_lshlrev_b32_e32 v11, 24, v50
	v_and_b32_e32 v51, v51, v10
	v_mov_b32_e32 v10, v9
	v_not_b32_e32 v9, v11
	v_cmp_gt_i64_e64 s[36:37], 0, v[10:11]
	v_ashrrev_i32_e32 v9, 31, v9
	ds_read_b32 v48, v52 offset:64
	v_xor_b32_e32 v10, s37, v9
	v_xor_b32_e32 v11, s36, v9
	v_and_b32_e32 v9, v8, v10
	v_and_b32_e32 v8, v51, v11
	v_mbcnt_lo_u32_b32 v10, v8, 0
	v_mbcnt_hi_u32_b32 v50, v9, v10
	v_cmp_eq_u32_e64 s[36:37], 0, v50
	v_cmp_ne_u64_e64 s[38:39], 0, v[8:9]
	s_and_b64 s[38:39], s[38:39], s[36:37]
	; wave barrier
	s_and_saveexec_b64 s[36:37], s[38:39]
	s_cbranch_execz .LBB1438_53
; %bb.52:
	v_bcnt_u32_b32 v8, v8, 0
	v_bcnt_u32_b32 v8, v9, v8
	s_waitcnt lgkmcnt(0)
	v_add_u32_e32 v8, v48, v8
	ds_write_b32 v52, v8 offset:64
.LBB1438_53:
	s_or_b64 exec, exec, s[36:37]
	v_lshrrev_b32_e32 v8, s64, v21
	v_and_b32_e32 v53, s71, v8
	v_mul_lo_u32 v8, v53, s40
	v_lshl_add_u32 v55, v39, 2, v8
	v_and_b32_e32 v8, 1, v53
	v_mov_b32_e32 v9, 0
	v_lshl_add_u64 v[10:11], v[8:9], 0, -1
	v_cmp_ne_u32_e64 s[36:37], 0, v8
	; wave barrier
	s_nop 1
	v_xor_b32_e32 v10, s36, v10
	v_xor_b32_e32 v8, s37, v11
	v_and_b32_e32 v54, exec_lo, v10
	v_lshlrev_b32_e32 v11, 30, v53
	v_mov_b32_e32 v10, v9
	v_cmp_gt_i64_e64 s[36:37], 0, v[10:11]
	v_not_b32_e32 v10, v11
	v_ashrrev_i32_e32 v10, 31, v10
	v_and_b32_e32 v8, exec_hi, v8
	v_xor_b32_e32 v11, s37, v10
	v_xor_b32_e32 v10, s36, v10
	v_and_b32_e32 v8, v8, v11
	v_and_b32_e32 v54, v54, v10
	v_lshlrev_b32_e32 v11, 29, v53
	v_mov_b32_e32 v10, v9
	v_cmp_gt_i64_e64 s[36:37], 0, v[10:11]
	v_not_b32_e32 v10, v11
	v_ashrrev_i32_e32 v10, 31, v10
	v_xor_b32_e32 v11, s37, v10
	v_xor_b32_e32 v10, s36, v10
	v_and_b32_e32 v8, v8, v11
	v_and_b32_e32 v54, v54, v10
	v_lshlrev_b32_e32 v11, 28, v53
	v_mov_b32_e32 v10, v9
	v_cmp_gt_i64_e64 s[36:37], 0, v[10:11]
	v_not_b32_e32 v10, v11
	v_ashrrev_i32_e32 v10, 31, v10
	;; [unrolled: 9-line block ×6, first 2 shown]
	v_xor_b32_e32 v11, s37, v10
	v_xor_b32_e32 v10, s36, v10
	ds_read_b32 v51, v55 offset:64
	v_and_b32_e32 v10, v54, v10
	v_and_b32_e32 v11, v8, v11
	v_mbcnt_lo_u32_b32 v8, v10, 0
	v_mbcnt_hi_u32_b32 v53, v11, v8
	v_cmp_eq_u32_e64 s[36:37], 0, v53
	v_cmp_ne_u64_e64 s[38:39], 0, v[10:11]
	s_and_b64 s[38:39], s[38:39], s[36:37]
	; wave barrier
	s_and_saveexec_b64 s[36:37], s[38:39]
	s_cbranch_execz .LBB1438_55
; %bb.54:
	v_bcnt_u32_b32 v8, v10, 0
	v_bcnt_u32_b32 v8, v11, v8
	s_waitcnt lgkmcnt(0)
	v_add_u32_e32 v8, v51, v8
	ds_write_b32 v55, v8 offset:64
.LBB1438_55:
	s_or_b64 exec, exec, s[36:37]
	v_lshrrev_b32_e32 v8, s64, v20
	v_and_b32_e32 v56, s71, v8
	v_mul_lo_u32 v8, v56, s40
	v_lshl_add_u32 v58, v39, 2, v8
	v_and_b32_e32 v8, 1, v56
	v_lshl_add_u64 v[10:11], v[8:9], 0, -1
	v_cmp_ne_u32_e64 s[36:37], 0, v8
	; wave barrier
	s_nop 1
	v_xor_b32_e32 v10, s36, v10
	v_xor_b32_e32 v8, s37, v11
	v_and_b32_e32 v57, exec_lo, v10
	v_lshlrev_b32_e32 v11, 30, v56
	v_mov_b32_e32 v10, v9
	v_cmp_gt_i64_e64 s[36:37], 0, v[10:11]
	v_not_b32_e32 v10, v11
	v_ashrrev_i32_e32 v10, 31, v10
	v_and_b32_e32 v8, exec_hi, v8
	v_xor_b32_e32 v11, s37, v10
	v_xor_b32_e32 v10, s36, v10
	v_and_b32_e32 v8, v8, v11
	v_and_b32_e32 v57, v57, v10
	v_lshlrev_b32_e32 v11, 29, v56
	v_mov_b32_e32 v10, v9
	v_cmp_gt_i64_e64 s[36:37], 0, v[10:11]
	v_not_b32_e32 v10, v11
	v_ashrrev_i32_e32 v10, 31, v10
	v_xor_b32_e32 v11, s37, v10
	v_xor_b32_e32 v10, s36, v10
	v_and_b32_e32 v8, v8, v11
	v_and_b32_e32 v57, v57, v10
	v_lshlrev_b32_e32 v11, 28, v56
	v_mov_b32_e32 v10, v9
	v_cmp_gt_i64_e64 s[36:37], 0, v[10:11]
	v_not_b32_e32 v10, v11
	v_ashrrev_i32_e32 v10, 31, v10
	;; [unrolled: 9-line block ×5, first 2 shown]
	v_xor_b32_e32 v11, s37, v10
	v_xor_b32_e32 v10, s36, v10
	v_and_b32_e32 v8, v8, v11
	v_lshlrev_b32_e32 v11, 24, v56
	v_and_b32_e32 v57, v57, v10
	v_mov_b32_e32 v10, v9
	v_not_b32_e32 v9, v11
	v_cmp_gt_i64_e64 s[36:37], 0, v[10:11]
	v_ashrrev_i32_e32 v9, 31, v9
	ds_read_b32 v54, v58 offset:64
	v_xor_b32_e32 v10, s37, v9
	v_xor_b32_e32 v11, s36, v9
	v_and_b32_e32 v9, v8, v10
	v_and_b32_e32 v8, v57, v11
	v_mbcnt_lo_u32_b32 v10, v8, 0
	v_mbcnt_hi_u32_b32 v56, v9, v10
	v_cmp_eq_u32_e64 s[36:37], 0, v56
	v_cmp_ne_u64_e64 s[38:39], 0, v[8:9]
	s_and_b64 s[38:39], s[38:39], s[36:37]
	; wave barrier
	s_and_saveexec_b64 s[36:37], s[38:39]
	s_cbranch_execz .LBB1438_57
; %bb.56:
	v_bcnt_u32_b32 v8, v8, 0
	v_bcnt_u32_b32 v8, v9, v8
	s_waitcnt lgkmcnt(0)
	v_add_u32_e32 v8, v54, v8
	ds_write_b32 v58, v8 offset:64
.LBB1438_57:
	s_or_b64 exec, exec, s[36:37]
	v_lshrrev_b32_e32 v8, s64, v23
	v_and_b32_e32 v59, s71, v8
	v_mul_lo_u32 v8, v59, s40
	v_lshl_add_u32 v61, v39, 2, v8
	v_and_b32_e32 v8, 1, v59
	v_mov_b32_e32 v9, 0
	v_lshl_add_u64 v[10:11], v[8:9], 0, -1
	v_cmp_ne_u32_e64 s[36:37], 0, v8
	; wave barrier
	s_nop 1
	v_xor_b32_e32 v10, s36, v10
	v_xor_b32_e32 v8, s37, v11
	v_and_b32_e32 v60, exec_lo, v10
	v_lshlrev_b32_e32 v11, 30, v59
	v_mov_b32_e32 v10, v9
	v_cmp_gt_i64_e64 s[36:37], 0, v[10:11]
	v_not_b32_e32 v10, v11
	v_ashrrev_i32_e32 v10, 31, v10
	v_and_b32_e32 v8, exec_hi, v8
	v_xor_b32_e32 v11, s37, v10
	v_xor_b32_e32 v10, s36, v10
	v_and_b32_e32 v8, v8, v11
	v_and_b32_e32 v60, v60, v10
	v_lshlrev_b32_e32 v11, 29, v59
	v_mov_b32_e32 v10, v9
	v_cmp_gt_i64_e64 s[36:37], 0, v[10:11]
	v_not_b32_e32 v10, v11
	v_ashrrev_i32_e32 v10, 31, v10
	v_xor_b32_e32 v11, s37, v10
	v_xor_b32_e32 v10, s36, v10
	v_and_b32_e32 v8, v8, v11
	v_and_b32_e32 v60, v60, v10
	v_lshlrev_b32_e32 v11, 28, v59
	v_mov_b32_e32 v10, v9
	v_cmp_gt_i64_e64 s[36:37], 0, v[10:11]
	v_not_b32_e32 v10, v11
	v_ashrrev_i32_e32 v10, 31, v10
	;; [unrolled: 9-line block ×6, first 2 shown]
	v_xor_b32_e32 v11, s37, v10
	v_xor_b32_e32 v10, s36, v10
	ds_read_b32 v57, v61 offset:64
	v_and_b32_e32 v10, v60, v10
	v_and_b32_e32 v11, v8, v11
	v_mbcnt_lo_u32_b32 v8, v10, 0
	v_mbcnt_hi_u32_b32 v59, v11, v8
	v_cmp_eq_u32_e64 s[36:37], 0, v59
	v_cmp_ne_u64_e64 s[38:39], 0, v[10:11]
	s_and_b64 s[38:39], s[38:39], s[36:37]
	; wave barrier
	s_and_saveexec_b64 s[36:37], s[38:39]
	s_cbranch_execz .LBB1438_59
; %bb.58:
	v_bcnt_u32_b32 v8, v10, 0
	v_bcnt_u32_b32 v8, v11, v8
	s_waitcnt lgkmcnt(0)
	v_add_u32_e32 v8, v57, v8
	ds_write_b32 v61, v8 offset:64
.LBB1438_59:
	s_or_b64 exec, exec, s[36:37]
	v_lshrrev_b32_e32 v8, s64, v22
	v_and_b32_e32 v62, s71, v8
	v_mul_lo_u32 v8, v62, s40
	v_lshl_add_u32 v64, v39, 2, v8
	v_and_b32_e32 v8, 1, v62
	v_lshl_add_u64 v[10:11], v[8:9], 0, -1
	v_cmp_ne_u32_e64 s[36:37], 0, v8
	; wave barrier
	s_nop 1
	v_xor_b32_e32 v10, s36, v10
	v_xor_b32_e32 v8, s37, v11
	v_and_b32_e32 v63, exec_lo, v10
	v_lshlrev_b32_e32 v11, 30, v62
	v_mov_b32_e32 v10, v9
	v_cmp_gt_i64_e64 s[36:37], 0, v[10:11]
	v_not_b32_e32 v10, v11
	v_ashrrev_i32_e32 v10, 31, v10
	v_and_b32_e32 v8, exec_hi, v8
	v_xor_b32_e32 v11, s37, v10
	v_xor_b32_e32 v10, s36, v10
	v_and_b32_e32 v8, v8, v11
	v_and_b32_e32 v63, v63, v10
	v_lshlrev_b32_e32 v11, 29, v62
	v_mov_b32_e32 v10, v9
	v_cmp_gt_i64_e64 s[36:37], 0, v[10:11]
	v_not_b32_e32 v10, v11
	v_ashrrev_i32_e32 v10, 31, v10
	v_xor_b32_e32 v11, s37, v10
	v_xor_b32_e32 v10, s36, v10
	v_and_b32_e32 v8, v8, v11
	v_and_b32_e32 v63, v63, v10
	v_lshlrev_b32_e32 v11, 28, v62
	v_mov_b32_e32 v10, v9
	v_cmp_gt_i64_e64 s[36:37], 0, v[10:11]
	v_not_b32_e32 v10, v11
	v_ashrrev_i32_e32 v10, 31, v10
	;; [unrolled: 9-line block ×5, first 2 shown]
	v_xor_b32_e32 v11, s37, v10
	v_xor_b32_e32 v10, s36, v10
	v_and_b32_e32 v8, v8, v11
	v_lshlrev_b32_e32 v11, 24, v62
	v_and_b32_e32 v63, v63, v10
	v_mov_b32_e32 v10, v9
	v_not_b32_e32 v9, v11
	v_cmp_gt_i64_e64 s[36:37], 0, v[10:11]
	v_ashrrev_i32_e32 v9, 31, v9
	ds_read_b32 v60, v64 offset:64
	v_xor_b32_e32 v10, s37, v9
	v_xor_b32_e32 v11, s36, v9
	v_and_b32_e32 v9, v8, v10
	v_and_b32_e32 v8, v63, v11
	v_mbcnt_lo_u32_b32 v10, v8, 0
	v_mbcnt_hi_u32_b32 v62, v9, v10
	v_cmp_eq_u32_e64 s[36:37], 0, v62
	v_cmp_ne_u64_e64 s[38:39], 0, v[8:9]
	s_and_b64 s[38:39], s[38:39], s[36:37]
	; wave barrier
	s_and_saveexec_b64 s[36:37], s[38:39]
	s_cbranch_execz .LBB1438_61
; %bb.60:
	v_bcnt_u32_b32 v8, v8, 0
	v_bcnt_u32_b32 v8, v9, v8
	s_waitcnt lgkmcnt(0)
	v_add_u32_e32 v8, v60, v8
	ds_write_b32 v64, v8 offset:64
.LBB1438_61:
	s_or_b64 exec, exec, s[36:37]
	v_lshrrev_b32_e32 v8, s64, v25
	v_and_b32_e32 v65, s71, v8
	v_mul_lo_u32 v8, v65, s40
	v_lshl_add_u32 v67, v39, 2, v8
	v_and_b32_e32 v8, 1, v65
	v_mov_b32_e32 v9, 0
	v_lshl_add_u64 v[10:11], v[8:9], 0, -1
	v_cmp_ne_u32_e64 s[36:37], 0, v8
	; wave barrier
	s_nop 1
	v_xor_b32_e32 v10, s36, v10
	v_xor_b32_e32 v8, s37, v11
	v_and_b32_e32 v66, exec_lo, v10
	v_lshlrev_b32_e32 v11, 30, v65
	v_mov_b32_e32 v10, v9
	v_cmp_gt_i64_e64 s[36:37], 0, v[10:11]
	v_not_b32_e32 v10, v11
	v_ashrrev_i32_e32 v10, 31, v10
	v_and_b32_e32 v8, exec_hi, v8
	v_xor_b32_e32 v11, s37, v10
	v_xor_b32_e32 v10, s36, v10
	v_and_b32_e32 v8, v8, v11
	v_and_b32_e32 v66, v66, v10
	v_lshlrev_b32_e32 v11, 29, v65
	v_mov_b32_e32 v10, v9
	v_cmp_gt_i64_e64 s[36:37], 0, v[10:11]
	v_not_b32_e32 v10, v11
	v_ashrrev_i32_e32 v10, 31, v10
	v_xor_b32_e32 v11, s37, v10
	v_xor_b32_e32 v10, s36, v10
	v_and_b32_e32 v8, v8, v11
	v_and_b32_e32 v66, v66, v10
	v_lshlrev_b32_e32 v11, 28, v65
	v_mov_b32_e32 v10, v9
	v_cmp_gt_i64_e64 s[36:37], 0, v[10:11]
	v_not_b32_e32 v10, v11
	v_ashrrev_i32_e32 v10, 31, v10
	;; [unrolled: 9-line block ×6, first 2 shown]
	v_xor_b32_e32 v11, s37, v10
	v_xor_b32_e32 v10, s36, v10
	ds_read_b32 v63, v67 offset:64
	v_and_b32_e32 v10, v66, v10
	v_and_b32_e32 v11, v8, v11
	v_mbcnt_lo_u32_b32 v8, v10, 0
	v_mbcnt_hi_u32_b32 v65, v11, v8
	v_cmp_eq_u32_e64 s[36:37], 0, v65
	v_cmp_ne_u64_e64 s[38:39], 0, v[10:11]
	s_and_b64 s[38:39], s[38:39], s[36:37]
	; wave barrier
	s_and_saveexec_b64 s[36:37], s[38:39]
	s_cbranch_execz .LBB1438_63
; %bb.62:
	v_bcnt_u32_b32 v8, v10, 0
	v_bcnt_u32_b32 v8, v11, v8
	s_waitcnt lgkmcnt(0)
	v_add_u32_e32 v8, v63, v8
	ds_write_b32 v67, v8 offset:64
.LBB1438_63:
	s_or_b64 exec, exec, s[36:37]
	v_lshrrev_b32_e32 v8, s64, v24
	v_and_b32_e32 v68, s71, v8
	v_mul_lo_u32 v8, v68, s40
	v_lshl_add_u32 v70, v39, 2, v8
	v_and_b32_e32 v8, 1, v68
	v_lshl_add_u64 v[10:11], v[8:9], 0, -1
	v_cmp_ne_u32_e64 s[36:37], 0, v8
	; wave barrier
	s_nop 1
	v_xor_b32_e32 v10, s36, v10
	v_xor_b32_e32 v8, s37, v11
	v_and_b32_e32 v69, exec_lo, v10
	v_lshlrev_b32_e32 v11, 30, v68
	v_mov_b32_e32 v10, v9
	v_cmp_gt_i64_e64 s[36:37], 0, v[10:11]
	v_not_b32_e32 v10, v11
	v_ashrrev_i32_e32 v10, 31, v10
	v_and_b32_e32 v8, exec_hi, v8
	v_xor_b32_e32 v11, s37, v10
	v_xor_b32_e32 v10, s36, v10
	v_and_b32_e32 v8, v8, v11
	v_and_b32_e32 v69, v69, v10
	v_lshlrev_b32_e32 v11, 29, v68
	v_mov_b32_e32 v10, v9
	v_cmp_gt_i64_e64 s[36:37], 0, v[10:11]
	v_not_b32_e32 v10, v11
	v_ashrrev_i32_e32 v10, 31, v10
	v_xor_b32_e32 v11, s37, v10
	v_xor_b32_e32 v10, s36, v10
	v_and_b32_e32 v8, v8, v11
	v_and_b32_e32 v69, v69, v10
	v_lshlrev_b32_e32 v11, 28, v68
	v_mov_b32_e32 v10, v9
	v_cmp_gt_i64_e64 s[36:37], 0, v[10:11]
	v_not_b32_e32 v10, v11
	v_ashrrev_i32_e32 v10, 31, v10
	;; [unrolled: 9-line block ×5, first 2 shown]
	v_xor_b32_e32 v11, s37, v10
	v_xor_b32_e32 v10, s36, v10
	v_and_b32_e32 v8, v8, v11
	v_lshlrev_b32_e32 v11, 24, v68
	v_and_b32_e32 v69, v69, v10
	v_mov_b32_e32 v10, v9
	v_not_b32_e32 v9, v11
	v_cmp_gt_i64_e64 s[36:37], 0, v[10:11]
	v_ashrrev_i32_e32 v9, 31, v9
	ds_read_b32 v66, v70 offset:64
	v_xor_b32_e32 v10, s37, v9
	v_xor_b32_e32 v11, s36, v9
	v_and_b32_e32 v9, v8, v10
	v_and_b32_e32 v8, v69, v11
	v_mbcnt_lo_u32_b32 v10, v8, 0
	v_mbcnt_hi_u32_b32 v68, v9, v10
	v_cmp_eq_u32_e64 s[36:37], 0, v68
	v_cmp_ne_u64_e64 s[38:39], 0, v[8:9]
	s_and_b64 s[38:39], s[38:39], s[36:37]
	; wave barrier
	s_and_saveexec_b64 s[36:37], s[38:39]
	s_cbranch_execz .LBB1438_65
; %bb.64:
	v_bcnt_u32_b32 v8, v8, 0
	v_bcnt_u32_b32 v8, v9, v8
	s_waitcnt lgkmcnt(0)
	v_add_u32_e32 v8, v66, v8
	ds_write_b32 v70, v8 offset:64
.LBB1438_65:
	s_or_b64 exec, exec, s[36:37]
	v_lshrrev_b32_e32 v8, s64, v27
	v_and_b32_e32 v71, s71, v8
	v_mul_lo_u32 v8, v71, s40
	v_lshl_add_u32 v72, v39, 2, v8
	v_and_b32_e32 v8, 1, v71
	v_mov_b32_e32 v9, 0
	v_lshl_add_u64 v[10:11], v[8:9], 0, -1
	v_cmp_ne_u32_e64 s[36:37], 0, v8
	; wave barrier
	s_nop 1
	v_xor_b32_e32 v10, s36, v10
	v_xor_b32_e32 v8, s37, v11
	v_and_b32_e32 v73, exec_lo, v10
	v_lshlrev_b32_e32 v11, 30, v71
	v_mov_b32_e32 v10, v9
	v_cmp_gt_i64_e64 s[36:37], 0, v[10:11]
	v_not_b32_e32 v10, v11
	v_ashrrev_i32_e32 v10, 31, v10
	v_and_b32_e32 v8, exec_hi, v8
	v_xor_b32_e32 v11, s37, v10
	v_xor_b32_e32 v10, s36, v10
	v_and_b32_e32 v8, v8, v11
	v_and_b32_e32 v73, v73, v10
	v_lshlrev_b32_e32 v11, 29, v71
	v_mov_b32_e32 v10, v9
	v_cmp_gt_i64_e64 s[36:37], 0, v[10:11]
	v_not_b32_e32 v10, v11
	v_ashrrev_i32_e32 v10, 31, v10
	v_xor_b32_e32 v11, s37, v10
	v_xor_b32_e32 v10, s36, v10
	v_and_b32_e32 v8, v8, v11
	v_and_b32_e32 v73, v73, v10
	v_lshlrev_b32_e32 v11, 28, v71
	v_mov_b32_e32 v10, v9
	v_cmp_gt_i64_e64 s[36:37], 0, v[10:11]
	v_not_b32_e32 v10, v11
	v_ashrrev_i32_e32 v10, 31, v10
	;; [unrolled: 9-line block ×6, first 2 shown]
	v_xor_b32_e32 v11, s37, v10
	v_xor_b32_e32 v10, s36, v10
	ds_read_b32 v69, v72 offset:64
	v_and_b32_e32 v10, v73, v10
	v_and_b32_e32 v11, v8, v11
	v_mbcnt_lo_u32_b32 v8, v10, 0
	v_mbcnt_hi_u32_b32 v71, v11, v8
	v_cmp_eq_u32_e64 s[36:37], 0, v71
	v_cmp_ne_u64_e64 s[38:39], 0, v[10:11]
	s_and_b64 s[38:39], s[38:39], s[36:37]
	; wave barrier
	s_and_saveexec_b64 s[36:37], s[38:39]
	s_cbranch_execz .LBB1438_67
; %bb.66:
	v_bcnt_u32_b32 v8, v10, 0
	v_bcnt_u32_b32 v8, v11, v8
	s_waitcnt lgkmcnt(0)
	v_add_u32_e32 v8, v69, v8
	ds_write_b32 v72, v8 offset:64
.LBB1438_67:
	s_or_b64 exec, exec, s[36:37]
	v_lshrrev_b32_e32 v8, s64, v26
	v_and_b32_e32 v73, s71, v8
	v_mul_lo_u32 v8, v73, s40
	v_lshl_add_u32 v74, v39, 2, v8
	v_and_b32_e32 v8, 1, v73
	v_lshl_add_u64 v[10:11], v[8:9], 0, -1
	v_cmp_ne_u32_e64 s[36:37], 0, v8
	; wave barrier
	s_nop 1
	v_xor_b32_e32 v10, s36, v10
	v_xor_b32_e32 v8, s37, v11
	v_and_b32_e32 v75, exec_lo, v10
	v_lshlrev_b32_e32 v11, 30, v73
	v_mov_b32_e32 v10, v9
	v_cmp_gt_i64_e64 s[36:37], 0, v[10:11]
	v_not_b32_e32 v10, v11
	v_ashrrev_i32_e32 v10, 31, v10
	v_and_b32_e32 v8, exec_hi, v8
	v_xor_b32_e32 v11, s37, v10
	v_xor_b32_e32 v10, s36, v10
	v_and_b32_e32 v8, v8, v11
	v_and_b32_e32 v75, v75, v10
	v_lshlrev_b32_e32 v11, 29, v73
	v_mov_b32_e32 v10, v9
	v_cmp_gt_i64_e64 s[36:37], 0, v[10:11]
	v_not_b32_e32 v10, v11
	v_ashrrev_i32_e32 v10, 31, v10
	v_xor_b32_e32 v11, s37, v10
	v_xor_b32_e32 v10, s36, v10
	v_and_b32_e32 v8, v8, v11
	v_and_b32_e32 v75, v75, v10
	v_lshlrev_b32_e32 v11, 28, v73
	v_mov_b32_e32 v10, v9
	v_cmp_gt_i64_e64 s[36:37], 0, v[10:11]
	v_not_b32_e32 v10, v11
	v_ashrrev_i32_e32 v10, 31, v10
	;; [unrolled: 9-line block ×5, first 2 shown]
	v_xor_b32_e32 v11, s37, v10
	v_xor_b32_e32 v10, s36, v10
	v_and_b32_e32 v8, v8, v11
	v_lshlrev_b32_e32 v11, 24, v73
	v_and_b32_e32 v75, v75, v10
	v_mov_b32_e32 v10, v9
	v_not_b32_e32 v9, v11
	v_cmp_gt_i64_e64 s[36:37], 0, v[10:11]
	v_ashrrev_i32_e32 v9, 31, v9
	ds_read_b32 v39, v74 offset:64
	v_xor_b32_e32 v10, s37, v9
	v_xor_b32_e32 v11, s36, v9
	v_and_b32_e32 v9, v8, v10
	v_and_b32_e32 v8, v75, v11
	v_mbcnt_lo_u32_b32 v10, v8, 0
	v_mbcnt_hi_u32_b32 v73, v9, v10
	v_cmp_eq_u32_e64 s[36:37], 0, v73
	v_cmp_ne_u64_e64 s[38:39], 0, v[8:9]
	s_and_b64 s[38:39], s[38:39], s[36:37]
	; wave barrier
	s_and_saveexec_b64 s[36:37], s[38:39]
	s_cbranch_execz .LBB1438_69
; %bb.68:
	v_bcnt_u32_b32 v8, v8, 0
	v_bcnt_u32_b32 v8, v9, v8
	s_waitcnt lgkmcnt(0)
	v_add_u32_e32 v8, v39, v8
	ds_write_b32 v74, v8 offset:64
.LBB1438_69:
	s_or_b64 exec, exec, s[36:37]
	; wave barrier
	s_waitcnt lgkmcnt(0)
	s_barrier
	ds_read2_b32 v[10:11], v13 offset0:16 offset1:17
	ds_read2_b32 v[8:9], v13 offset0:18 offset1:19
	ds_read_b32 v75, v13 offset:80
	v_cmp_lt_u32_e64 s[46:47], 31, v12
	s_waitcnt lgkmcnt(1)
	v_add3_u32 v76, v11, v10, v8
	s_waitcnt lgkmcnt(0)
	v_add3_u32 v75, v76, v9, v75
	v_and_b32_e32 v76, 15, v12
	v_cmp_eq_u32_e64 s[36:37], 0, v76
	v_mov_b32_dpp v77, v75 row_shr:1 row_mask:0xf bank_mask:0xf
	v_cmp_lt_u32_e64 s[38:39], 1, v76
	v_cndmask_b32_e64 v77, v77, 0, s[36:37]
	v_add_u32_e32 v75, v77, v75
	v_cmp_lt_u32_e64 s[40:41], 3, v76
	v_cmp_lt_u32_e64 s[42:43], 7, v76
	v_mov_b32_dpp v77, v75 row_shr:2 row_mask:0xf bank_mask:0xf
	v_cndmask_b32_e64 v77, 0, v77, s[38:39]
	v_add_u32_e32 v75, v75, v77
	s_nop 1
	v_mov_b32_dpp v77, v75 row_shr:4 row_mask:0xf bank_mask:0xf
	v_cndmask_b32_e64 v77, 0, v77, s[40:41]
	v_add_u32_e32 v75, v75, v77
	s_nop 1
	v_mov_b32_dpp v77, v75 row_shr:8 row_mask:0xf bank_mask:0xf
	v_cndmask_b32_e64 v76, 0, v77, s[42:43]
	v_add_u32_e32 v75, v75, v76
	v_bfe_i32 v77, v12, 4, 1
	s_nop 0
	v_mov_b32_dpp v76, v75 row_bcast:15 row_mask:0xf bank_mask:0xf
	v_and_b32_e32 v76, v77, v76
	v_add_u32_e32 v75, v75, v76
	v_and_b32_e32 v77, 63, v2
	s_nop 0
	v_mov_b32_dpp v76, v75 row_bcast:31 row_mask:0xf bank_mask:0xf
	v_cndmask_b32_e64 v76, 0, v76, s[46:47]
	v_add_u32_e32 v75, v75, v76
	v_lshrrev_b32_e32 v76, 6, v2
	v_cmp_eq_u32_e64 s[46:47], 63, v77
	s_and_saveexec_b64 s[48:49], s[46:47]
; %bb.70:
	v_lshlrev_b32_e32 v77, 2, v76
	ds_write_b32 v77, v75
; %bb.71:
	s_or_b64 exec, exec, s[48:49]
	v_cmp_gt_u32_e64 s[46:47], 16, v2
	s_waitcnt lgkmcnt(0)
	s_barrier
	s_and_saveexec_b64 s[48:49], s[46:47]
	s_cbranch_execz .LBB1438_73
; %bb.72:
	v_lshlrev_b32_e32 v77, 2, v2
	ds_read_b32 v78, v77
	s_waitcnt lgkmcnt(0)
	s_nop 0
	v_mov_b32_dpp v79, v78 row_shr:1 row_mask:0xf bank_mask:0xf
	v_cndmask_b32_e64 v79, v79, 0, s[36:37]
	v_add_u32_e32 v78, v79, v78
	s_nop 1
	v_mov_b32_dpp v79, v78 row_shr:2 row_mask:0xf bank_mask:0xf
	v_cndmask_b32_e64 v79, 0, v79, s[38:39]
	v_add_u32_e32 v78, v78, v79
	;; [unrolled: 4-line block ×4, first 2 shown]
	ds_write_b32 v77, v78
.LBB1438_73:
	s_or_b64 exec, exec, s[48:49]
	v_cmp_lt_u32_e64 s[36:37], 63, v2
	v_mov_b32_e32 v77, 0
	s_waitcnt lgkmcnt(0)
	s_barrier
	s_and_saveexec_b64 s[38:39], s[36:37]
; %bb.74:
	v_lshl_add_u32 v76, v76, 2, -4
	ds_read_b32 v77, v76
; %bb.75:
	s_or_b64 exec, exec, s[38:39]
	v_subrev_co_u32_e64 v76, s[36:37], 1, v12
	v_and_b32_e32 v78, 64, v12
	v_cmp_lt_i32_e64 s[38:39], v76, v78
	s_waitcnt lgkmcnt(0)
	v_add_u32_e32 v75, v77, v75
	s_movk_i32 s40, 0x100
	v_cndmask_b32_e64 v12, v76, v12, s[38:39]
	v_lshlrev_b32_e32 v12, 2, v12
	ds_bpermute_b32 v12, v12, v75
	v_cmp_gt_u32_e64 s[38:39], s40, v2
	s_waitcnt lgkmcnt(0)
	v_cndmask_b32_e64 v12, v12, v77, s[36:37]
	v_cndmask_b32_e64 v12, v12, 0, s[44:45]
	v_add_u32_e32 v10, v12, v10
	v_add_u32_e32 v11, v10, v11
	;; [unrolled: 1-line block ×4, first 2 shown]
	ds_write2_b32 v13, v12, v10 offset0:16 offset1:17
	ds_write2_b32 v13, v11, v8 offset0:18 offset1:19
	ds_write_b32 v13, v9 offset:80
	s_waitcnt lgkmcnt(0)
	s_barrier
	ds_read_b32 v84, v32 offset:64
	ds_read_b32 v75, v34 offset:64
	ds_read_b32 v76, v37 offset:64
	ds_read_b32 v77, v41 offset:64
	ds_read_b32 v78, v44 offset:64
	ds_read_b32 v79, v46 offset:64
	ds_read_b32 v80, v49 offset:64
	ds_read_b32 v81, v52 offset:64
	ds_read_b32 v82, v55 offset:64
	ds_read_b32 v83, v58 offset:64
	ds_read_b32 v58, v61 offset:64
	ds_read_b32 v52, v64 offset:64
	ds_read_b32 v46, v67 offset:64
	ds_read_b32 v41, v70 offset:64
	ds_read_b32 v44, v72 offset:64
	ds_read_b32 v49, v74 offset:64
	s_movk_i32 s36, 0xff
	v_cmp_lt_u32_e64 s[36:37], s36, v2
                                        ; implicit-def: $vgpr32
                                        ; implicit-def: $vgpr34
	s_and_saveexec_b64 s[42:43], s[38:39]
	s_cbranch_execz .LBB1438_79
; %bb.76:
	v_mul_u32_u24_e32 v8, 0x44, v2
	ds_read_b32 v32, v8 offset:64
	v_add_u32_e32 v9, 1, v2
	v_cmp_ne_u32_e64 s[40:41], s40, v9
	v_mov_b32_e32 v8, 0x4000
	s_and_saveexec_b64 s[46:47], s[40:41]
; %bb.77:
	v_mul_u32_u24_e32 v8, 0x44, v9
	ds_read_b32 v8, v8 offset:64
; %bb.78:
	s_or_b64 exec, exec, s[46:47]
	s_waitcnt lgkmcnt(0)
	v_sub_u32_e32 v34, v8, v32
.LBB1438_79:
	s_or_b64 exec, exec, s[42:43]
	v_mov_b32_e32 v9, 0
	v_lshlrev_b32_e32 v37, 2, v2
	s_waitcnt lgkmcnt(0)
	s_barrier
	s_and_saveexec_b64 s[40:41], s[38:39]
	s_cbranch_execz .LBB1438_89
; %bb.80:
	v_lshl_add_u32 v8, s33, 8, v2
	v_lshl_add_u64 v[10:11], v[8:9], 2, s[68:69]
	v_or_b32_e32 v8, 2.0, v34
	s_mov_b64 s[42:43], 0
	s_brev_b32 s50, -4
	s_mov_b32 s51, s33
	v_mov_b32_e32 v55, 0
	global_store_dword v[10:11], v8, off sc1
                                        ; implicit-def: $sgpr38_sgpr39
	s_branch .LBB1438_83
.LBB1438_81:                            ;   in Loop: Header=BB1438_83 Depth=1
	s_or_b64 exec, exec, s[48:49]
.LBB1438_82:                            ;   in Loop: Header=BB1438_83 Depth=1
	s_or_b64 exec, exec, s[46:47]
	v_and_b32_e32 v12, 0x3fffffff, v8
	v_add_u32_e32 v55, v12, v55
	v_cmp_gt_i32_e64 s[38:39], -2.0, v8
	s_and_b64 s[46:47], exec, s[38:39]
	s_or_b64 s[42:43], s[46:47], s[42:43]
	s_andn2_b64 exec, exec, s[42:43]
	s_cbranch_execz .LBB1438_88
.LBB1438_83:                            ; =>This Loop Header: Depth=1
                                        ;     Child Loop BB1438_86 Depth 2
	s_or_b64 s[38:39], s[38:39], exec
	s_cmp_eq_u32 s51, 0
	s_cbranch_scc1 .LBB1438_87
; %bb.84:                               ;   in Loop: Header=BB1438_83 Depth=1
	s_add_i32 s51, s51, -1
	v_lshl_or_b32 v8, s51, 8, v2
	v_lshl_add_u64 v[12:13], v[8:9], 2, s[68:69]
	global_load_dword v8, v[12:13], off sc1
	s_waitcnt vmcnt(0)
	v_cmp_gt_u32_e64 s[38:39], 2.0, v8
	s_and_saveexec_b64 s[46:47], s[38:39]
	s_cbranch_execz .LBB1438_82
; %bb.85:                               ;   in Loop: Header=BB1438_83 Depth=1
	s_mov_b64 s[48:49], 0
.LBB1438_86:                            ;   Parent Loop BB1438_83 Depth=1
                                        ; =>  This Inner Loop Header: Depth=2
	global_load_dword v8, v[12:13], off sc1
	s_waitcnt vmcnt(0)
	v_cmp_lt_u32_e64 s[38:39], s50, v8
	s_or_b64 s[48:49], s[38:39], s[48:49]
	s_andn2_b64 exec, exec, s[48:49]
	s_cbranch_execnz .LBB1438_86
	s_branch .LBB1438_81
.LBB1438_87:                            ;   in Loop: Header=BB1438_83 Depth=1
                                        ; implicit-def: $sgpr51
	s_and_b64 s[46:47], exec, s[38:39]
	s_or_b64 s[42:43], s[46:47], s[42:43]
	s_andn2_b64 exec, exec, s[42:43]
	s_cbranch_execnz .LBB1438_83
.LBB1438_88:
	s_or_b64 exec, exec, s[42:43]
	v_add_u32_e32 v8, v55, v34
	v_or_b32_e32 v8, 0x80000000, v8
	global_store_dword v[10:11], v8, off sc1
	global_load_dword v8, v37, s[60:61]
	v_sub_u32_e32 v9, v55, v32
	s_waitcnt vmcnt(0)
	v_add_u32_e32 v8, v9, v8
	ds_write_b32 v37, v8
.LBB1438_89:
	s_or_b64 exec, exec, s[40:41]
	v_add_u32_e32 v10, v84, v29
	v_add3_u32 v8, v30, v28, v75
	v_add3_u32 v9, v33, v31, v76
	;; [unrolled: 1-line block ×15, first 2 shown]
	v_mov_b32_e32 v88, 0x400
	s_movk_i32 s42, 0x400
	v_lshl_add_u32 v11, v11, 2, v88
	v_add3_u32 v12, v73, v49, v39
	v_lshl_add_u32 v13, v13, 2, v88
	v_add3_u32 v29, v71, v44, v69
	;; [unrolled: 2-line block ×15, first 2 shown]
	v_lshl_add_u32 v30, v10, 2, v88
	s_mov_b32 s43, 0
	s_mov_b32 s46, 0
	s_movk_i32 s47, 0x1000
	v_mov_b32_e32 v9, 0
	s_movk_i32 s48, 0x800
	s_movk_i32 s49, 0xc00
	v_mov_b32_e32 v59, v2
	s_mov_b32 s50, 0
	s_branch .LBB1438_91
.LBB1438_90:                            ;   in Loop: Header=BB1438_91 Depth=1
	s_or_b64 exec, exec, s[40:41]
	s_addk_i32 s50, 0xc000
	s_add_i32 s43, s43, 16
	s_addk_i32 s46, 0xf000
	s_cmp_eq_u32 s50, 0xffff0000
	v_add_u32_e32 v59, 0x1000, v59
	s_barrier
	s_cbranch_scc1 .LBB1438_131
.LBB1438_91:                            ; =>This Inner Loop Header: Depth=1
	v_add_u32_e32 v8, s46, v10
	v_cmp_gt_u32_e64 s[38:39], s47, v8
	s_and_saveexec_b64 s[40:41], s[38:39]
; %bb.92:                               ;   in Loop: Header=BB1438_91 Depth=1
	v_add_u32_e32 v8, s50, v30
	ds_write_b32 v8, v5
; %bb.93:                               ;   in Loop: Header=BB1438_91 Depth=1
	s_or_b64 exec, exec, s[40:41]
	v_add_u32_e32 v8, s46, v28
	v_cmp_gt_u32_e64 s[38:39], s47, v8
	s_and_saveexec_b64 s[40:41], s[38:39]
; %bb.94:                               ;   in Loop: Header=BB1438_91 Depth=1
	v_add_u32_e32 v8, s50, v33
	ds_write_b32 v8, v14
; %bb.95:                               ;   in Loop: Header=BB1438_91 Depth=1
	s_or_b64 exec, exec, s[40:41]
	;; [unrolled: 8-line block ×4, first 2 shown]
	v_add_u32_e32 v8, s46, v38
	v_cmp_gt_u32_e64 s[38:39], s47, v8
	s_and_saveexec_b64 s[40:41], s[38:39]
; %bb.100:                              ;   in Loop: Header=BB1438_91 Depth=1
	v_add_u32_e32 v8, s50, v43
	ds_write_b32 v8, v17
; %bb.101:                              ;   in Loop: Header=BB1438_91 Depth=1
	s_or_b64 exec, exec, s[40:41]
	v_add_u32_e32 v8, s46, v42
	v_cmp_gt_u32_e64 s[38:39], s47, v8
	s_and_saveexec_b64 s[40:41], s[38:39]
; %bb.102:                              ;   in Loop: Header=BB1438_91 Depth=1
	v_add_u32_e32 v8, s50, v47
	ds_write_b32 v8, v16
; %bb.103:                              ;   in Loop: Header=BB1438_91 Depth=1
	s_or_b64 exec, exec, s[40:41]
	;; [unrolled: 8-line block ×12, first 2 shown]
	v_cmp_gt_u32_e64 s[38:39], s3, v59
	s_waitcnt lgkmcnt(0)
	s_barrier
	s_and_saveexec_b64 s[40:41], s[38:39]
	s_cbranch_execz .LBB1438_125
; %bb.124:                              ;   in Loop: Header=BB1438_91 Depth=1
	ds_read_b32 v8, v37 offset:1024
	s_waitcnt lgkmcnt(0)
	v_lshrrev_b32_e32 v60, s64, v8
	v_and_b32_e32 v62, s71, v60
	v_lshlrev_b32_e32 v60, 2, v62
	ds_read_b32 v60, v60
	v_xor_b32_e32 v63, 0x80000000, v8
	s_waitcnt lgkmcnt(0)
	v_add_u32_e32 v8, v59, v60
	v_lshl_add_u64 v[60:61], v[8:9], 2, s[54:55]
	global_store_dword v[60:61], v63, off
	scratch_store_dword off, v62, s43
.LBB1438_125:                           ;   in Loop: Header=BB1438_91 Depth=1
	s_or_b64 exec, exec, s[40:41]
	v_add_u32_e32 v8, 0x400, v59
	v_cmp_gt_u32_e64 s[38:39], s3, v8
	s_and_saveexec_b64 s[40:41], s[38:39]
	s_cbranch_execz .LBB1438_127
; %bb.126:                              ;   in Loop: Header=BB1438_91 Depth=1
	ds_read_b32 v8, v37 offset:5120
	s_add_i32 s38, s43, 4
	s_waitcnt lgkmcnt(0)
	v_lshrrev_b32_e32 v60, s64, v8
	v_and_b32_e32 v62, s71, v60
	v_lshlrev_b32_e32 v60, 2, v62
	ds_read_b32 v60, v60
	v_xor_b32_e32 v63, 0x80000000, v8
	s_waitcnt lgkmcnt(0)
	v_add3_u32 v8, v59, v60, s42
	v_lshl_add_u64 v[60:61], v[8:9], 2, s[54:55]
	global_store_dword v[60:61], v63, off
	scratch_store_dword off, v62, s38
.LBB1438_127:                           ;   in Loop: Header=BB1438_91 Depth=1
	s_or_b64 exec, exec, s[40:41]
	v_add_u32_e32 v8, 0x800, v59
	v_cmp_gt_u32_e64 s[38:39], s3, v8
	s_and_saveexec_b64 s[40:41], s[38:39]
	s_cbranch_execz .LBB1438_129
; %bb.128:                              ;   in Loop: Header=BB1438_91 Depth=1
	ds_read_b32 v8, v37 offset:9216
	s_add_i32 s38, s43, 8
	s_waitcnt lgkmcnt(0)
	v_lshrrev_b32_e32 v60, s64, v8
	v_and_b32_e32 v62, s71, v60
	v_lshlrev_b32_e32 v60, 2, v62
	ds_read_b32 v60, v60
	v_xor_b32_e32 v63, 0x80000000, v8
	s_waitcnt lgkmcnt(0)
	v_add3_u32 v8, v59, v60, s48
	v_lshl_add_u64 v[60:61], v[8:9], 2, s[54:55]
	global_store_dword v[60:61], v63, off
	scratch_store_dword off, v62, s38
.LBB1438_129:                           ;   in Loop: Header=BB1438_91 Depth=1
	s_or_b64 exec, exec, s[40:41]
	v_add_u32_e32 v8, 0xc00, v59
	v_cmp_gt_u32_e64 s[38:39], s3, v8
	s_and_saveexec_b64 s[40:41], s[38:39]
	s_cbranch_execz .LBB1438_90
; %bb.130:                              ;   in Loop: Header=BB1438_91 Depth=1
	ds_read_b32 v8, v37 offset:13312
	s_add_i32 s38, s43, 12
	s_waitcnt lgkmcnt(0)
	v_lshrrev_b32_e32 v60, s64, v8
	v_and_b32_e32 v62, s71, v60
	v_lshlrev_b32_e32 v60, 2, v62
	ds_read_b32 v60, v60
	v_xor_b32_e32 v63, 0x80000000, v8
	s_waitcnt lgkmcnt(0)
	v_add3_u32 v8, v59, v60, s49
	v_lshl_add_u64 v[60:61], v[8:9], 2, s[54:55]
	global_store_dword v[60:61], v63, off
	scratch_store_dword off, v62, s38
	s_branch .LBB1438_90
.LBB1438_131:
	s_add_u32 s38, s56, s66
	s_addc_u32 s39, s57, s67
	v_mov_b32_e32 v5, 0
	v_lshl_add_u64 v[8:9], s[38:39], 0, v[4:5]
	v_mov_b32_e32 v7, v5
	v_lshl_add_u64 v[4:5], v[8:9], 0, v[6:7]
                                        ; implicit-def: $vgpr6
	s_and_saveexec_b64 s[38:39], vcc
	s_cbranch_execz .LBB1438_147
; %bb.132:
	global_load_dword v6, v[4:5], off
	s_or_b64 exec, exec, s[38:39]
                                        ; implicit-def: $vgpr7
	s_and_saveexec_b64 s[38:39], s[4:5]
	s_cbranch_execnz .LBB1438_148
.LBB1438_133:
	s_or_b64 exec, exec, s[38:39]
                                        ; implicit-def: $vgpr8
	s_and_saveexec_b64 s[4:5], s[6:7]
	s_cbranch_execz .LBB1438_149
.LBB1438_134:
	global_load_dword v8, v[4:5], off offset:512
	s_or_b64 exec, exec, s[4:5]
                                        ; implicit-def: $vgpr9
	s_and_saveexec_b64 s[4:5], s[8:9]
	s_cbranch_execnz .LBB1438_150
.LBB1438_135:
	s_or_b64 exec, exec, s[4:5]
                                        ; implicit-def: $vgpr14
	s_and_saveexec_b64 s[4:5], s[10:11]
	s_cbranch_execz .LBB1438_151
.LBB1438_136:
	global_load_dword v14, v[4:5], off offset:1024
	s_or_b64 exec, exec, s[4:5]
                                        ; implicit-def: $vgpr15
	s_and_saveexec_b64 s[4:5], s[12:13]
	s_cbranch_execnz .LBB1438_152
.LBB1438_137:
	s_or_b64 exec, exec, s[4:5]
                                        ; implicit-def: $vgpr16
	s_and_saveexec_b64 s[4:5], s[14:15]
	s_cbranch_execz .LBB1438_153
.LBB1438_138:
	global_load_dword v16, v[4:5], off offset:1536
	s_or_b64 exec, exec, s[4:5]
                                        ; implicit-def: $vgpr17
	s_and_saveexec_b64 s[4:5], s[16:17]
	s_cbranch_execnz .LBB1438_154
.LBB1438_139:
	s_or_b64 exec, exec, s[4:5]
                                        ; implicit-def: $vgpr18
	s_and_saveexec_b64 s[4:5], s[18:19]
	s_cbranch_execz .LBB1438_155
.LBB1438_140:
	global_load_dword v18, v[4:5], off offset:2048
	s_or_b64 exec, exec, s[4:5]
                                        ; implicit-def: $vgpr19
	s_and_saveexec_b64 s[4:5], s[20:21]
	s_cbranch_execnz .LBB1438_156
.LBB1438_141:
	s_or_b64 exec, exec, s[4:5]
                                        ; implicit-def: $vgpr20
	s_and_saveexec_b64 s[4:5], s[22:23]
	s_cbranch_execz .LBB1438_157
.LBB1438_142:
	global_load_dword v20, v[4:5], off offset:2560
	s_or_b64 exec, exec, s[4:5]
                                        ; implicit-def: $vgpr21
	s_and_saveexec_b64 s[4:5], s[24:25]
	s_cbranch_execnz .LBB1438_158
.LBB1438_143:
	s_or_b64 exec, exec, s[4:5]
                                        ; implicit-def: $vgpr22
	s_and_saveexec_b64 s[4:5], s[26:27]
	s_cbranch_execz .LBB1438_159
.LBB1438_144:
	global_load_dword v22, v[4:5], off offset:3072
	s_or_b64 exec, exec, s[4:5]
                                        ; implicit-def: $vgpr23
	s_and_saveexec_b64 s[4:5], s[28:29]
	s_cbranch_execnz .LBB1438_160
.LBB1438_145:
	s_or_b64 exec, exec, s[4:5]
                                        ; implicit-def: $vgpr24
	s_and_saveexec_b64 s[4:5], s[30:31]
	s_cbranch_execz .LBB1438_161
.LBB1438_146:
	global_load_dword v24, v[4:5], off offset:3584
	s_or_b64 exec, exec, s[4:5]
                                        ; implicit-def: $vgpr25
	s_and_saveexec_b64 s[4:5], s[34:35]
	s_cbranch_execnz .LBB1438_162
	s_branch .LBB1438_163
.LBB1438_147:
	s_or_b64 exec, exec, s[38:39]
                                        ; implicit-def: $vgpr7
	s_and_saveexec_b64 s[38:39], s[4:5]
	s_cbranch_execz .LBB1438_133
.LBB1438_148:
	global_load_dword v7, v[4:5], off offset:256
	s_or_b64 exec, exec, s[38:39]
                                        ; implicit-def: $vgpr8
	s_and_saveexec_b64 s[4:5], s[6:7]
	s_cbranch_execnz .LBB1438_134
.LBB1438_149:
	s_or_b64 exec, exec, s[4:5]
                                        ; implicit-def: $vgpr9
	s_and_saveexec_b64 s[4:5], s[8:9]
	s_cbranch_execz .LBB1438_135
.LBB1438_150:
	global_load_dword v9, v[4:5], off offset:768
	s_or_b64 exec, exec, s[4:5]
                                        ; implicit-def: $vgpr14
	s_and_saveexec_b64 s[4:5], s[10:11]
	s_cbranch_execnz .LBB1438_136
.LBB1438_151:
	s_or_b64 exec, exec, s[4:5]
                                        ; implicit-def: $vgpr15
	s_and_saveexec_b64 s[4:5], s[12:13]
	s_cbranch_execz .LBB1438_137
.LBB1438_152:
	global_load_dword v15, v[4:5], off offset:1280
	s_or_b64 exec, exec, s[4:5]
                                        ; implicit-def: $vgpr16
	s_and_saveexec_b64 s[4:5], s[14:15]
	s_cbranch_execnz .LBB1438_138
.LBB1438_153:
	s_or_b64 exec, exec, s[4:5]
                                        ; implicit-def: $vgpr17
	s_and_saveexec_b64 s[4:5], s[16:17]
	s_cbranch_execz .LBB1438_139
.LBB1438_154:
	global_load_dword v17, v[4:5], off offset:1792
	s_or_b64 exec, exec, s[4:5]
                                        ; implicit-def: $vgpr18
	s_and_saveexec_b64 s[4:5], s[18:19]
	s_cbranch_execnz .LBB1438_140
.LBB1438_155:
	s_or_b64 exec, exec, s[4:5]
                                        ; implicit-def: $vgpr19
	s_and_saveexec_b64 s[4:5], s[20:21]
	s_cbranch_execz .LBB1438_141
.LBB1438_156:
	global_load_dword v19, v[4:5], off offset:2304
	s_or_b64 exec, exec, s[4:5]
                                        ; implicit-def: $vgpr20
	s_and_saveexec_b64 s[4:5], s[22:23]
	s_cbranch_execnz .LBB1438_142
.LBB1438_157:
	s_or_b64 exec, exec, s[4:5]
                                        ; implicit-def: $vgpr21
	s_and_saveexec_b64 s[4:5], s[24:25]
	s_cbranch_execz .LBB1438_143
.LBB1438_158:
	global_load_dword v21, v[4:5], off offset:2816
	s_or_b64 exec, exec, s[4:5]
                                        ; implicit-def: $vgpr22
	s_and_saveexec_b64 s[4:5], s[26:27]
	s_cbranch_execnz .LBB1438_144
.LBB1438_159:
	s_or_b64 exec, exec, s[4:5]
                                        ; implicit-def: $vgpr23
	s_and_saveexec_b64 s[4:5], s[28:29]
	s_cbranch_execz .LBB1438_145
.LBB1438_160:
	global_load_dword v23, v[4:5], off offset:3328
	s_or_b64 exec, exec, s[4:5]
                                        ; implicit-def: $vgpr24
	s_and_saveexec_b64 s[4:5], s[30:31]
	s_cbranch_execnz .LBB1438_146
.LBB1438_161:
	s_or_b64 exec, exec, s[4:5]
                                        ; implicit-def: $vgpr25
	s_and_saveexec_b64 s[4:5], s[34:35]
	s_cbranch_execz .LBB1438_163
.LBB1438_162:
	global_load_dword v25, v[4:5], off offset:3840
.LBB1438_163:
	s_or_b64 exec, exec, s[4:5]
	s_mov_b32 s6, 0
	s_mov_b32 s7, 0
	s_movk_i32 s8, 0x1000
	v_mov_b32_e32 v5, 0
	s_movk_i32 s9, 0x400
	s_movk_i32 s10, 0x800
	;; [unrolled: 1-line block ×3, first 2 shown]
	s_mov_b32 s12, 0
	v_mov_b32_e32 v26, v2
	s_branch .LBB1438_165
.LBB1438_164:                           ;   in Loop: Header=BB1438_165 Depth=1
	s_or_b64 exec, exec, s[4:5]
	s_addk_i32 s12, 0xc000
	s_addk_i32 s7, 0xf000
	s_add_i32 s6, s6, 16
	s_cmp_eq_u32 s12, 0xffff0000
	v_add_u32_e32 v26, 0x1000, v26
	s_barrier
	s_cbranch_scc1 .LBB1438_205
.LBB1438_165:                           ; =>This Inner Loop Header: Depth=1
	v_add_u32_e32 v4, s7, v10
	v_cmp_gt_u32_e32 vcc, s8, v4
	s_and_saveexec_b64 s[4:5], vcc
	s_cbranch_execz .LBB1438_167
; %bb.166:                              ;   in Loop: Header=BB1438_165 Depth=1
	v_add_u32_e32 v4, s12, v30
	s_waitcnt vmcnt(0)
	ds_write_b32 v4, v6
.LBB1438_167:                           ;   in Loop: Header=BB1438_165 Depth=1
	s_or_b64 exec, exec, s[4:5]
	v_add_u32_e32 v4, s7, v28
	v_cmp_gt_u32_e32 vcc, s8, v4
	s_and_saveexec_b64 s[4:5], vcc
	s_cbranch_execz .LBB1438_169
; %bb.168:                              ;   in Loop: Header=BB1438_165 Depth=1
	v_add_u32_e32 v4, s12, v33
	s_waitcnt vmcnt(0)
	ds_write_b32 v4, v7
.LBB1438_169:                           ;   in Loop: Header=BB1438_165 Depth=1
	s_or_b64 exec, exec, s[4:5]
	;; [unrolled: 10-line block ×16, first 2 shown]
	v_cmp_gt_u32_e32 vcc, s3, v26
	s_waitcnt lgkmcnt(0)
	s_barrier
	s_and_saveexec_b64 s[4:5], vcc
	s_cbranch_execz .LBB1438_199
; %bb.198:                              ;   in Loop: Header=BB1438_165 Depth=1
	scratch_load_dword v4, off, s6
	s_waitcnt vmcnt(0)
	v_lshlrev_b32_e32 v4, 2, v4
	ds_read_b32 v4, v4
	ds_read_b32 v27, v37 offset:1024
	s_waitcnt lgkmcnt(1)
	v_add_u32_e32 v4, v26, v4
	v_lshl_add_u64 v[60:61], v[4:5], 2, s[58:59]
	s_waitcnt lgkmcnt(0)
	global_store_dword v[60:61], v27, off
.LBB1438_199:                           ;   in Loop: Header=BB1438_165 Depth=1
	s_or_b64 exec, exec, s[4:5]
	v_add_u32_e32 v4, 0x400, v26
	v_cmp_gt_u32_e32 vcc, s3, v4
	s_and_saveexec_b64 s[4:5], vcc
	s_cbranch_execz .LBB1438_201
; %bb.200:                              ;   in Loop: Header=BB1438_165 Depth=1
	s_add_i32 s13, s6, 4
	scratch_load_dword v4, off, s13
	s_waitcnt vmcnt(0)
	v_lshlrev_b32_e32 v4, 2, v4
	ds_read_b32 v4, v4
	ds_read_b32 v27, v37 offset:5120
	s_waitcnt lgkmcnt(1)
	v_add3_u32 v4, v26, v4, s9
	v_lshl_add_u64 v[60:61], v[4:5], 2, s[58:59]
	s_waitcnt lgkmcnt(0)
	global_store_dword v[60:61], v27, off
.LBB1438_201:                           ;   in Loop: Header=BB1438_165 Depth=1
	s_or_b64 exec, exec, s[4:5]
	v_add_u32_e32 v4, 0x800, v26
	v_cmp_gt_u32_e32 vcc, s3, v4
	s_and_saveexec_b64 s[4:5], vcc
	s_cbranch_execz .LBB1438_203
; %bb.202:                              ;   in Loop: Header=BB1438_165 Depth=1
	s_add_i32 s13, s6, 8
	scratch_load_dword v4, off, s13
	s_waitcnt vmcnt(0)
	v_lshlrev_b32_e32 v4, 2, v4
	ds_read_b32 v4, v4
	ds_read_b32 v27, v37 offset:9216
	s_waitcnt lgkmcnt(1)
	v_add3_u32 v4, v26, v4, s10
	v_lshl_add_u64 v[60:61], v[4:5], 2, s[58:59]
	s_waitcnt lgkmcnt(0)
	global_store_dword v[60:61], v27, off
.LBB1438_203:                           ;   in Loop: Header=BB1438_165 Depth=1
	s_or_b64 exec, exec, s[4:5]
	v_add_u32_e32 v4, 0xc00, v26
	v_cmp_gt_u32_e32 vcc, s3, v4
	s_and_saveexec_b64 s[4:5], vcc
	s_cbranch_execz .LBB1438_164
; %bb.204:                              ;   in Loop: Header=BB1438_165 Depth=1
	s_add_i32 s13, s6, 12
	scratch_load_dword v4, off, s13
	s_waitcnt vmcnt(0)
	v_lshlrev_b32_e32 v4, 2, v4
	ds_read_b32 v4, v4
	ds_read_b32 v27, v37 offset:13312
	s_waitcnt lgkmcnt(1)
	v_add3_u32 v4, v26, v4, s11
	v_lshl_add_u64 v[60:61], v[4:5], 2, s[58:59]
	s_waitcnt lgkmcnt(0)
	global_store_dword v[60:61], v27, off
	s_branch .LBB1438_164
.LBB1438_205:
	s_add_i32 s70, s70, -1
	s_cmp_eq_u32 s33, s70
	s_cselect_b64 s[4:5], -1, 0
	s_xor_b64 s[6:7], s[36:37], -1
	s_and_b64 s[6:7], s[6:7], s[4:5]
	s_and_saveexec_b64 s[4:5], s[6:7]
	s_cbranch_execz .LBB1438_207
; %bb.206:
	ds_read_b32 v4, v37
	s_waitcnt lgkmcnt(0)
	v_add3_u32 v4, v32, v34, v4
	global_store_dword v37, v4, s[62:63]
.LBB1438_207:
	s_or_b64 exec, exec, s[4:5]
	s_mov_b64 s[4:5], 0
.LBB1438_208:
	s_and_b64 vcc, exec, s[4:5]
	s_cbranch_vccz .LBB1438_331
; %bb.209:
	s_lshl_b32 s4, s33, 14
	s_mov_b32 s5, 0
	s_load_dword s12, s[0:1], 0x58
	s_load_dword s3, s[0:1], 0x64
	s_lshl_b64 s[8:9], s[4:5], 2
	v_mbcnt_hi_u32_b32 v10, -1, v3
	s_add_u32 s4, s52, s8
	v_and_b32_e32 v3, 63, v10
	s_waitcnt vmcnt(0)
	v_and_b32_e32 v6, 0x3c00, v1
	v_mov_b32_e32 v1, 0
	s_addc_u32 s5, s53, s9
	v_lshlrev_b32_e32 v4, 2, v3
	v_mov_b32_e32 v5, v1
	v_lshl_add_u64 v[8:9], s[4:5], 0, v[4:5]
	v_lshlrev_b32_e32 v6, 2, v6
	v_mov_b32_e32 v7, v1
	s_add_u32 s0, s0, 0x58
	v_lshl_add_u64 v[8:9], v[8:9], 0, v[6:7]
	s_addc_u32 s1, s1, 0
	s_waitcnt lgkmcnt(0)
	s_lshr_b32 s3, s3, 16
	global_load_dword v3, v[8:9], off
	s_cmp_lt_u32 s2, s12
	s_cselect_b32 s2, 12, 18
	s_add_u32 s0, s0, s2
	s_addc_u32 s1, s1, 0
	global_load_ushort v13, v1, s[0:1]
	v_mul_u32_u24_e32 v11, 20, v2
	ds_write2_b32 v11, v1, v1 offset0:16 offset1:17
	ds_write2_b32 v11, v1, v1 offset0:18 offset1:19
	ds_write_b32 v11, v1 offset:80
	global_load_dword v5, v[8:9], off offset:256
	global_load_dword v7, v[8:9], off offset:512
	global_load_dword v12, v[8:9], off offset:768
	global_load_dword v15, v[8:9], off offset:1024
	global_load_dword v19, v[8:9], off offset:1280
	global_load_dword v23, v[8:9], off offset:1536
	global_load_dword v29, v[8:9], off offset:1792
	global_load_dword v34, v[8:9], off offset:2048
	global_load_dword v39, v[8:9], off offset:2304
	global_load_dword v44, v[8:9], off offset:2560
	global_load_dword v45, v[8:9], off offset:2816
	global_load_dword v40, v[8:9], off offset:3072
	global_load_dword v36, v[8:9], off offset:3328
	global_load_dword v31, v[8:9], off offset:3584
	global_load_dword v25, v[8:9], off offset:3840
	v_bfe_u32 v14, v0, 10, 10
	v_bfe_u32 v0, v0, 20, 10
	v_mad_u32_u24 v8, v0, s3, v14
	s_lshl_b32 s0, -1, s65
	v_mov_b32_e32 v16, v1
	v_mov_b32_e32 v26, v1
	s_not_b32 s13, s0
	v_mov_b32_e32 v20, v1
	s_movk_i32 s6, 0x44
	s_waitcnt lgkmcnt(0)
	s_barrier
	s_waitcnt vmcnt(16)
	; wave barrier
	v_xor_b32_e32 v3, 0x80000000, v3
	v_lshrrev_b32_e32 v0, s64, v3
	v_bitop3_b32 v14, v0, s0, v0 bitop3:0x30
	v_and_b32_e32 v0, 1, v14
	v_lshlrev_b32_e32 v17, 30, v14
	v_lshlrev_b32_e32 v21, 29, v14
	;; [unrolled: 1-line block ×3, first 2 shown]
	s_waitcnt vmcnt(15)
	v_mad_u64_u32 v[8:9], s[0:1], v8, v13, v[2:3]
	v_lshl_add_u64 v[32:33], v[0:1], 0, -1
	v_cmp_ne_u32_e32 vcc, 0, v0
	v_not_b32_e32 v0, v17
	v_cmp_gt_i64_e64 s[0:1], 0, v[16:17]
	v_not_b32_e32 v9, v21
	v_cmp_gt_i64_e64 s[4:5], 0, v[26:27]
	v_not_b32_e32 v13, v27
	v_lshrrev_b32_e32 v27, 6, v8
	v_xor_b32_e32 v8, vcc_hi, v33
	v_ashrrev_i32_e32 v0, 31, v0
	v_cmp_gt_i64_e64 s[2:3], 0, v[20:21]
	v_xor_b32_e32 v16, vcc_lo, v32
	v_ashrrev_i32_e32 v9, 31, v9
	v_and_b32_e32 v8, exec_hi, v8
	v_xor_b32_e32 v17, s1, v0
	v_ashrrev_i32_e32 v13, 31, v13
	v_and_b32_e32 v16, exec_lo, v16
	v_xor_b32_e32 v0, s0, v0
	v_xor_b32_e32 v20, s3, v9
	v_and_b32_e32 v8, v8, v17
	v_xor_b32_e32 v9, s2, v9
	v_xor_b32_e32 v21, s5, v13
	v_and_b32_e32 v0, v16, v0
	v_and_b32_e32 v8, v8, v20
	;; [unrolled: 1-line block ×4, first 2 shown]
	v_lshlrev_b32_e32 v9, 27, v14
	v_mov_b32_e32 v8, v1
	v_cmp_gt_i64_e32 vcc, 0, v[8:9]
	v_not_b32_e32 v8, v9
	v_xor_b32_e32 v13, s4, v13
	v_ashrrev_i32_e32 v8, 31, v8
	v_and_b32_e32 v0, v0, v13
	v_xor_b32_e32 v9, vcc_hi, v8
	v_xor_b32_e32 v8, vcc_lo, v8
	v_and_b32_e32 v13, v16, v9
	v_and_b32_e32 v0, v0, v8
	v_lshlrev_b32_e32 v9, 26, v14
	v_mov_b32_e32 v8, v1
	v_cmp_gt_i64_e32 vcc, 0, v[8:9]
	v_not_b32_e32 v8, v9
	v_ashrrev_i32_e32 v8, 31, v8
	v_xor_b32_e32 v9, vcc_hi, v8
	v_xor_b32_e32 v8, vcc_lo, v8
	v_and_b32_e32 v13, v13, v9
	v_and_b32_e32 v0, v0, v8
	v_lshlrev_b32_e32 v9, 25, v14
	v_mov_b32_e32 v8, v1
	v_cmp_gt_i64_e32 vcc, 0, v[8:9]
	v_not_b32_e32 v8, v9
	v_ashrrev_i32_e32 v8, 31, v8
	;; [unrolled: 9-line block ×3, first 2 shown]
	v_xor_b32_e32 v9, vcc_hi, v8
	v_xor_b32_e32 v8, vcc_lo, v8
	v_and_b32_e32 v8, v0, v8
	v_and_b32_e32 v9, v13, v9
	v_mbcnt_lo_u32_b32 v0, v8, 0
	v_mul_lo_u32 v18, v14, s6
	v_mbcnt_hi_u32_b32 v14, v9, v0
	v_cmp_eq_u32_e32 vcc, 0, v14
	v_cmp_ne_u64_e64 s[0:1], 0, v[8:9]
	v_lshl_add_u32 v18, v27, 2, v18
	s_and_b64 s[2:3], s[0:1], vcc
	s_and_saveexec_b64 s[0:1], s[2:3]
; %bb.210:
	v_bcnt_u32_b32 v0, v8, 0
	v_bcnt_u32_b32 v0, v9, v0
	ds_write_b32 v18, v0 offset:64
; %bb.211:
	s_or_b64 exec, exec, s[0:1]
	s_waitcnt vmcnt(14)
	v_xor_b32_e32 v5, 0x80000000, v5
	v_lshrrev_b32_e32 v0, s64, v5
	v_and_b32_e32 v16, s13, v0
	v_mul_lo_u32 v0, v16, s6
	v_lshl_add_u32 v21, v27, 2, v0
	v_and_b32_e32 v0, 1, v16
	v_lshl_add_u64 v[8:9], v[0:1], 0, -1
	v_cmp_ne_u32_e32 vcc, 0, v0
	; wave barrier
	s_nop 1
	v_xor_b32_e32 v8, vcc_lo, v8
	v_xor_b32_e32 v0, vcc_hi, v9
	v_and_b32_e32 v17, exec_lo, v8
	v_lshlrev_b32_e32 v9, 30, v16
	v_mov_b32_e32 v8, v1
	v_cmp_gt_i64_e32 vcc, 0, v[8:9]
	v_not_b32_e32 v8, v9
	v_ashrrev_i32_e32 v8, 31, v8
	v_and_b32_e32 v0, exec_hi, v0
	v_xor_b32_e32 v9, vcc_hi, v8
	v_xor_b32_e32 v8, vcc_lo, v8
	v_and_b32_e32 v0, v0, v9
	v_and_b32_e32 v17, v17, v8
	v_lshlrev_b32_e32 v9, 29, v16
	v_mov_b32_e32 v8, v1
	v_cmp_gt_i64_e32 vcc, 0, v[8:9]
	v_not_b32_e32 v8, v9
	v_ashrrev_i32_e32 v8, 31, v8
	v_xor_b32_e32 v9, vcc_hi, v8
	v_xor_b32_e32 v8, vcc_lo, v8
	v_and_b32_e32 v0, v0, v9
	v_and_b32_e32 v17, v17, v8
	v_lshlrev_b32_e32 v9, 28, v16
	v_mov_b32_e32 v8, v1
	v_cmp_gt_i64_e32 vcc, 0, v[8:9]
	v_not_b32_e32 v8, v9
	v_ashrrev_i32_e32 v8, 31, v8
	;; [unrolled: 9-line block ×5, first 2 shown]
	v_xor_b32_e32 v9, vcc_hi, v8
	v_xor_b32_e32 v8, vcc_lo, v8
	v_and_b32_e32 v0, v0, v9
	v_lshlrev_b32_e32 v9, 24, v16
	v_and_b32_e32 v17, v17, v8
	v_mov_b32_e32 v8, v1
	v_not_b32_e32 v1, v9
	v_cmp_gt_i64_e32 vcc, 0, v[8:9]
	v_ashrrev_i32_e32 v1, 31, v1
	ds_read_b32 v13, v21 offset:64
	v_xor_b32_e32 v8, vcc_hi, v1
	v_xor_b32_e32 v9, vcc_lo, v1
	v_and_b32_e32 v1, v0, v8
	v_and_b32_e32 v0, v17, v9
	v_mbcnt_lo_u32_b32 v8, v0, 0
	v_mbcnt_hi_u32_b32 v16, v1, v8
	v_cmp_eq_u32_e32 vcc, 0, v16
	v_cmp_ne_u64_e64 s[0:1], 0, v[0:1]
	s_and_b64 s[2:3], s[0:1], vcc
	; wave barrier
	s_and_saveexec_b64 s[0:1], s[2:3]
	s_cbranch_execz .LBB1438_213
; %bb.212:
	v_bcnt_u32_b32 v0, v0, 0
	v_bcnt_u32_b32 v0, v1, v0
	s_waitcnt lgkmcnt(0)
	v_add_u32_e32 v0, v13, v0
	ds_write_b32 v21, v0 offset:64
.LBB1438_213:
	s_or_b64 exec, exec, s[0:1]
	s_waitcnt vmcnt(13)
	v_xor_b32_e32 v7, 0x80000000, v7
	v_lshrrev_b32_e32 v0, s64, v7
	v_and_b32_e32 v20, s13, v0
	s_movk_i32 s2, 0x44
	v_mul_lo_u32 v0, v20, s2
	v_lshl_add_u32 v26, v27, 2, v0
	v_and_b32_e32 v0, 1, v20
	v_mov_b32_e32 v1, 0
	v_lshl_add_u64 v[8:9], v[0:1], 0, -1
	v_cmp_ne_u32_e32 vcc, 0, v0
	; wave barrier
	s_nop 1
	v_xor_b32_e32 v8, vcc_lo, v8
	v_xor_b32_e32 v0, vcc_hi, v9
	v_and_b32_e32 v22, exec_lo, v8
	v_lshlrev_b32_e32 v9, 30, v20
	v_mov_b32_e32 v8, v1
	v_cmp_gt_i64_e32 vcc, 0, v[8:9]
	v_not_b32_e32 v8, v9
	v_ashrrev_i32_e32 v8, 31, v8
	v_and_b32_e32 v0, exec_hi, v0
	v_xor_b32_e32 v9, vcc_hi, v8
	v_xor_b32_e32 v8, vcc_lo, v8
	v_and_b32_e32 v0, v0, v9
	v_and_b32_e32 v22, v22, v8
	v_lshlrev_b32_e32 v9, 29, v20
	v_mov_b32_e32 v8, v1
	v_cmp_gt_i64_e32 vcc, 0, v[8:9]
	v_not_b32_e32 v8, v9
	v_ashrrev_i32_e32 v8, 31, v8
	v_xor_b32_e32 v9, vcc_hi, v8
	v_xor_b32_e32 v8, vcc_lo, v8
	v_and_b32_e32 v0, v0, v9
	v_and_b32_e32 v22, v22, v8
	v_lshlrev_b32_e32 v9, 28, v20
	v_mov_b32_e32 v8, v1
	v_cmp_gt_i64_e32 vcc, 0, v[8:9]
	v_not_b32_e32 v8, v9
	v_ashrrev_i32_e32 v8, 31, v8
	;; [unrolled: 9-line block ×6, first 2 shown]
	v_xor_b32_e32 v9, vcc_hi, v8
	v_xor_b32_e32 v8, vcc_lo, v8
	ds_read_b32 v17, v26 offset:64
	v_and_b32_e32 v8, v22, v8
	v_and_b32_e32 v9, v0, v9
	v_mbcnt_lo_u32_b32 v0, v8, 0
	v_mbcnt_hi_u32_b32 v20, v9, v0
	v_cmp_eq_u32_e32 vcc, 0, v20
	v_cmp_ne_u64_e64 s[0:1], 0, v[8:9]
	s_and_b64 s[4:5], s[0:1], vcc
	; wave barrier
	s_and_saveexec_b64 s[0:1], s[4:5]
	s_cbranch_execz .LBB1438_215
; %bb.214:
	v_bcnt_u32_b32 v0, v8, 0
	v_bcnt_u32_b32 v0, v9, v0
	s_waitcnt lgkmcnt(0)
	v_add_u32_e32 v0, v17, v0
	ds_write_b32 v26, v0 offset:64
.LBB1438_215:
	s_or_b64 exec, exec, s[0:1]
	s_waitcnt vmcnt(12)
	v_xor_b32_e32 v12, 0x80000000, v12
	v_lshrrev_b32_e32 v0, s64, v12
	v_and_b32_e32 v24, s13, v0
	v_mul_lo_u32 v0, v24, s2
	v_lshl_add_u32 v32, v27, 2, v0
	v_and_b32_e32 v0, 1, v24
	v_lshl_add_u64 v[8:9], v[0:1], 0, -1
	v_cmp_ne_u32_e32 vcc, 0, v0
	; wave barrier
	s_nop 1
	v_xor_b32_e32 v8, vcc_lo, v8
	v_xor_b32_e32 v0, vcc_hi, v9
	v_and_b32_e32 v28, exec_lo, v8
	v_lshlrev_b32_e32 v9, 30, v24
	v_mov_b32_e32 v8, v1
	v_cmp_gt_i64_e32 vcc, 0, v[8:9]
	v_not_b32_e32 v8, v9
	v_ashrrev_i32_e32 v8, 31, v8
	v_and_b32_e32 v0, exec_hi, v0
	v_xor_b32_e32 v9, vcc_hi, v8
	v_xor_b32_e32 v8, vcc_lo, v8
	v_and_b32_e32 v0, v0, v9
	v_and_b32_e32 v28, v28, v8
	v_lshlrev_b32_e32 v9, 29, v24
	v_mov_b32_e32 v8, v1
	v_cmp_gt_i64_e32 vcc, 0, v[8:9]
	v_not_b32_e32 v8, v9
	v_ashrrev_i32_e32 v8, 31, v8
	v_xor_b32_e32 v9, vcc_hi, v8
	v_xor_b32_e32 v8, vcc_lo, v8
	v_and_b32_e32 v0, v0, v9
	v_and_b32_e32 v28, v28, v8
	v_lshlrev_b32_e32 v9, 28, v24
	v_mov_b32_e32 v8, v1
	v_cmp_gt_i64_e32 vcc, 0, v[8:9]
	v_not_b32_e32 v8, v9
	v_ashrrev_i32_e32 v8, 31, v8
	;; [unrolled: 9-line block ×5, first 2 shown]
	v_xor_b32_e32 v9, vcc_hi, v8
	v_xor_b32_e32 v8, vcc_lo, v8
	v_and_b32_e32 v0, v0, v9
	v_lshlrev_b32_e32 v9, 24, v24
	v_and_b32_e32 v28, v28, v8
	v_mov_b32_e32 v8, v1
	v_not_b32_e32 v1, v9
	v_cmp_gt_i64_e32 vcc, 0, v[8:9]
	v_ashrrev_i32_e32 v1, 31, v1
	ds_read_b32 v22, v32 offset:64
	v_xor_b32_e32 v8, vcc_hi, v1
	v_xor_b32_e32 v9, vcc_lo, v1
	v_and_b32_e32 v1, v0, v8
	v_and_b32_e32 v0, v28, v9
	v_mbcnt_lo_u32_b32 v8, v0, 0
	v_mbcnt_hi_u32_b32 v24, v1, v8
	v_cmp_eq_u32_e32 vcc, 0, v24
	v_cmp_ne_u64_e64 s[0:1], 0, v[0:1]
	s_and_b64 s[2:3], s[0:1], vcc
	; wave barrier
	s_and_saveexec_b64 s[0:1], s[2:3]
	s_cbranch_execz .LBB1438_217
; %bb.216:
	v_bcnt_u32_b32 v0, v0, 0
	v_bcnt_u32_b32 v0, v1, v0
	s_waitcnt lgkmcnt(0)
	v_add_u32_e32 v0, v22, v0
	ds_write_b32 v32, v0 offset:64
.LBB1438_217:
	s_or_b64 exec, exec, s[0:1]
	s_waitcnt vmcnt(11)
	v_xor_b32_e32 v15, 0x80000000, v15
	v_lshrrev_b32_e32 v0, s64, v15
	v_and_b32_e32 v30, s13, v0
	s_movk_i32 s2, 0x44
	v_mul_lo_u32 v0, v30, s2
	v_lshl_add_u32 v37, v27, 2, v0
	v_and_b32_e32 v0, 1, v30
	v_mov_b32_e32 v1, 0
	v_lshl_add_u64 v[8:9], v[0:1], 0, -1
	v_cmp_ne_u32_e32 vcc, 0, v0
	; wave barrier
	s_nop 1
	v_xor_b32_e32 v8, vcc_lo, v8
	v_xor_b32_e32 v0, vcc_hi, v9
	v_and_b32_e32 v33, exec_lo, v8
	v_lshlrev_b32_e32 v9, 30, v30
	v_mov_b32_e32 v8, v1
	v_cmp_gt_i64_e32 vcc, 0, v[8:9]
	v_not_b32_e32 v8, v9
	v_ashrrev_i32_e32 v8, 31, v8
	v_and_b32_e32 v0, exec_hi, v0
	v_xor_b32_e32 v9, vcc_hi, v8
	v_xor_b32_e32 v8, vcc_lo, v8
	v_and_b32_e32 v0, v0, v9
	v_and_b32_e32 v33, v33, v8
	v_lshlrev_b32_e32 v9, 29, v30
	v_mov_b32_e32 v8, v1
	v_cmp_gt_i64_e32 vcc, 0, v[8:9]
	v_not_b32_e32 v8, v9
	v_ashrrev_i32_e32 v8, 31, v8
	v_xor_b32_e32 v9, vcc_hi, v8
	v_xor_b32_e32 v8, vcc_lo, v8
	v_and_b32_e32 v0, v0, v9
	v_and_b32_e32 v33, v33, v8
	v_lshlrev_b32_e32 v9, 28, v30
	v_mov_b32_e32 v8, v1
	v_cmp_gt_i64_e32 vcc, 0, v[8:9]
	v_not_b32_e32 v8, v9
	v_ashrrev_i32_e32 v8, 31, v8
	;; [unrolled: 9-line block ×6, first 2 shown]
	v_xor_b32_e32 v9, vcc_hi, v8
	v_xor_b32_e32 v8, vcc_lo, v8
	ds_read_b32 v28, v37 offset:64
	v_and_b32_e32 v8, v33, v8
	v_and_b32_e32 v9, v0, v9
	v_mbcnt_lo_u32_b32 v0, v8, 0
	v_mbcnt_hi_u32_b32 v30, v9, v0
	v_cmp_eq_u32_e32 vcc, 0, v30
	v_cmp_ne_u64_e64 s[0:1], 0, v[8:9]
	s_and_b64 s[4:5], s[0:1], vcc
	; wave barrier
	s_and_saveexec_b64 s[0:1], s[4:5]
	s_cbranch_execz .LBB1438_219
; %bb.218:
	v_bcnt_u32_b32 v0, v8, 0
	v_bcnt_u32_b32 v0, v9, v0
	s_waitcnt lgkmcnt(0)
	v_add_u32_e32 v0, v28, v0
	ds_write_b32 v37, v0 offset:64
.LBB1438_219:
	s_or_b64 exec, exec, s[0:1]
	s_waitcnt vmcnt(10)
	v_xor_b32_e32 v19, 0x80000000, v19
	v_lshrrev_b32_e32 v0, s64, v19
	v_and_b32_e32 v35, s13, v0
	v_mul_lo_u32 v0, v35, s2
	v_lshl_add_u32 v41, v27, 2, v0
	v_and_b32_e32 v0, 1, v35
	v_lshl_add_u64 v[8:9], v[0:1], 0, -1
	v_cmp_ne_u32_e32 vcc, 0, v0
	; wave barrier
	s_nop 1
	v_xor_b32_e32 v8, vcc_lo, v8
	v_xor_b32_e32 v0, vcc_hi, v9
	v_and_b32_e32 v38, exec_lo, v8
	v_lshlrev_b32_e32 v9, 30, v35
	v_mov_b32_e32 v8, v1
	v_cmp_gt_i64_e32 vcc, 0, v[8:9]
	v_not_b32_e32 v8, v9
	v_ashrrev_i32_e32 v8, 31, v8
	v_and_b32_e32 v0, exec_hi, v0
	v_xor_b32_e32 v9, vcc_hi, v8
	v_xor_b32_e32 v8, vcc_lo, v8
	v_and_b32_e32 v0, v0, v9
	v_and_b32_e32 v38, v38, v8
	v_lshlrev_b32_e32 v9, 29, v35
	v_mov_b32_e32 v8, v1
	v_cmp_gt_i64_e32 vcc, 0, v[8:9]
	v_not_b32_e32 v8, v9
	v_ashrrev_i32_e32 v8, 31, v8
	v_xor_b32_e32 v9, vcc_hi, v8
	v_xor_b32_e32 v8, vcc_lo, v8
	v_and_b32_e32 v0, v0, v9
	v_and_b32_e32 v38, v38, v8
	v_lshlrev_b32_e32 v9, 28, v35
	v_mov_b32_e32 v8, v1
	v_cmp_gt_i64_e32 vcc, 0, v[8:9]
	v_not_b32_e32 v8, v9
	v_ashrrev_i32_e32 v8, 31, v8
	;; [unrolled: 9-line block ×5, first 2 shown]
	v_xor_b32_e32 v9, vcc_hi, v8
	v_xor_b32_e32 v8, vcc_lo, v8
	v_and_b32_e32 v0, v0, v9
	v_lshlrev_b32_e32 v9, 24, v35
	v_and_b32_e32 v38, v38, v8
	v_mov_b32_e32 v8, v1
	v_not_b32_e32 v1, v9
	v_cmp_gt_i64_e32 vcc, 0, v[8:9]
	v_ashrrev_i32_e32 v1, 31, v1
	ds_read_b32 v33, v41 offset:64
	v_xor_b32_e32 v8, vcc_hi, v1
	v_xor_b32_e32 v9, vcc_lo, v1
	v_and_b32_e32 v1, v0, v8
	v_and_b32_e32 v0, v38, v9
	v_mbcnt_lo_u32_b32 v8, v0, 0
	v_mbcnt_hi_u32_b32 v35, v1, v8
	v_cmp_eq_u32_e32 vcc, 0, v35
	v_cmp_ne_u64_e64 s[0:1], 0, v[0:1]
	s_and_b64 s[2:3], s[0:1], vcc
	; wave barrier
	s_and_saveexec_b64 s[0:1], s[2:3]
	s_cbranch_execz .LBB1438_221
; %bb.220:
	v_bcnt_u32_b32 v0, v0, 0
	v_bcnt_u32_b32 v0, v1, v0
	s_waitcnt lgkmcnt(0)
	v_add_u32_e32 v0, v33, v0
	ds_write_b32 v41, v0 offset:64
.LBB1438_221:
	s_or_b64 exec, exec, s[0:1]
	s_waitcnt vmcnt(9)
	v_xor_b32_e32 v23, 0x80000000, v23
	v_lshrrev_b32_e32 v0, s64, v23
	v_and_b32_e32 v42, s13, v0
	s_movk_i32 s2, 0x44
	v_mul_lo_u32 v0, v42, s2
	v_lshl_add_u32 v46, v27, 2, v0
	v_and_b32_e32 v0, 1, v42
	v_mov_b32_e32 v1, 0
	v_lshl_add_u64 v[8:9], v[0:1], 0, -1
	v_cmp_ne_u32_e32 vcc, 0, v0
	; wave barrier
	s_nop 1
	v_xor_b32_e32 v8, vcc_lo, v8
	v_xor_b32_e32 v0, vcc_hi, v9
	v_and_b32_e32 v43, exec_lo, v8
	v_lshlrev_b32_e32 v9, 30, v42
	v_mov_b32_e32 v8, v1
	v_cmp_gt_i64_e32 vcc, 0, v[8:9]
	v_not_b32_e32 v8, v9
	v_ashrrev_i32_e32 v8, 31, v8
	v_and_b32_e32 v0, exec_hi, v0
	v_xor_b32_e32 v9, vcc_hi, v8
	v_xor_b32_e32 v8, vcc_lo, v8
	v_and_b32_e32 v0, v0, v9
	v_and_b32_e32 v43, v43, v8
	v_lshlrev_b32_e32 v9, 29, v42
	v_mov_b32_e32 v8, v1
	v_cmp_gt_i64_e32 vcc, 0, v[8:9]
	v_not_b32_e32 v8, v9
	v_ashrrev_i32_e32 v8, 31, v8
	v_xor_b32_e32 v9, vcc_hi, v8
	v_xor_b32_e32 v8, vcc_lo, v8
	v_and_b32_e32 v0, v0, v9
	v_and_b32_e32 v43, v43, v8
	v_lshlrev_b32_e32 v9, 28, v42
	v_mov_b32_e32 v8, v1
	v_cmp_gt_i64_e32 vcc, 0, v[8:9]
	v_not_b32_e32 v8, v9
	v_ashrrev_i32_e32 v8, 31, v8
	;; [unrolled: 9-line block ×6, first 2 shown]
	v_xor_b32_e32 v9, vcc_hi, v8
	v_xor_b32_e32 v8, vcc_lo, v8
	ds_read_b32 v38, v46 offset:64
	v_and_b32_e32 v8, v43, v8
	v_and_b32_e32 v9, v0, v9
	v_mbcnt_lo_u32_b32 v0, v8, 0
	v_mbcnt_hi_u32_b32 v42, v9, v0
	v_cmp_eq_u32_e32 vcc, 0, v42
	v_cmp_ne_u64_e64 s[0:1], 0, v[8:9]
	s_and_b64 s[4:5], s[0:1], vcc
	; wave barrier
	s_and_saveexec_b64 s[0:1], s[4:5]
	s_cbranch_execz .LBB1438_223
; %bb.222:
	v_bcnt_u32_b32 v0, v8, 0
	v_bcnt_u32_b32 v0, v9, v0
	s_waitcnt lgkmcnt(0)
	v_add_u32_e32 v0, v38, v0
	ds_write_b32 v46, v0 offset:64
.LBB1438_223:
	s_or_b64 exec, exec, s[0:1]
	s_waitcnt vmcnt(8)
	v_xor_b32_e32 v29, 0x80000000, v29
	v_lshrrev_b32_e32 v0, s64, v29
	v_and_b32_e32 v47, s13, v0
	v_mul_lo_u32 v0, v47, s2
	v_lshl_add_u32 v49, v27, 2, v0
	v_and_b32_e32 v0, 1, v47
	v_lshl_add_u64 v[8:9], v[0:1], 0, -1
	v_cmp_ne_u32_e32 vcc, 0, v0
	; wave barrier
	s_nop 1
	v_xor_b32_e32 v8, vcc_lo, v8
	v_xor_b32_e32 v0, vcc_hi, v9
	v_and_b32_e32 v48, exec_lo, v8
	v_lshlrev_b32_e32 v9, 30, v47
	v_mov_b32_e32 v8, v1
	v_cmp_gt_i64_e32 vcc, 0, v[8:9]
	v_not_b32_e32 v8, v9
	v_ashrrev_i32_e32 v8, 31, v8
	v_and_b32_e32 v0, exec_hi, v0
	v_xor_b32_e32 v9, vcc_hi, v8
	v_xor_b32_e32 v8, vcc_lo, v8
	v_and_b32_e32 v0, v0, v9
	v_and_b32_e32 v48, v48, v8
	v_lshlrev_b32_e32 v9, 29, v47
	v_mov_b32_e32 v8, v1
	v_cmp_gt_i64_e32 vcc, 0, v[8:9]
	v_not_b32_e32 v8, v9
	v_ashrrev_i32_e32 v8, 31, v8
	v_xor_b32_e32 v9, vcc_hi, v8
	v_xor_b32_e32 v8, vcc_lo, v8
	v_and_b32_e32 v0, v0, v9
	v_and_b32_e32 v48, v48, v8
	v_lshlrev_b32_e32 v9, 28, v47
	v_mov_b32_e32 v8, v1
	v_cmp_gt_i64_e32 vcc, 0, v[8:9]
	v_not_b32_e32 v8, v9
	v_ashrrev_i32_e32 v8, 31, v8
	;; [unrolled: 9-line block ×5, first 2 shown]
	v_xor_b32_e32 v9, vcc_hi, v8
	v_xor_b32_e32 v8, vcc_lo, v8
	v_and_b32_e32 v0, v0, v9
	v_lshlrev_b32_e32 v9, 24, v47
	v_and_b32_e32 v48, v48, v8
	v_mov_b32_e32 v8, v1
	v_not_b32_e32 v1, v9
	v_cmp_gt_i64_e32 vcc, 0, v[8:9]
	v_ashrrev_i32_e32 v1, 31, v1
	ds_read_b32 v43, v49 offset:64
	v_xor_b32_e32 v8, vcc_hi, v1
	v_xor_b32_e32 v9, vcc_lo, v1
	v_and_b32_e32 v1, v0, v8
	v_and_b32_e32 v0, v48, v9
	v_mbcnt_lo_u32_b32 v8, v0, 0
	v_mbcnt_hi_u32_b32 v47, v1, v8
	v_cmp_eq_u32_e32 vcc, 0, v47
	v_cmp_ne_u64_e64 s[0:1], 0, v[0:1]
	s_and_b64 s[2:3], s[0:1], vcc
	; wave barrier
	s_and_saveexec_b64 s[0:1], s[2:3]
	s_cbranch_execz .LBB1438_225
; %bb.224:
	v_bcnt_u32_b32 v0, v0, 0
	v_bcnt_u32_b32 v0, v1, v0
	s_waitcnt lgkmcnt(0)
	v_add_u32_e32 v0, v43, v0
	ds_write_b32 v49, v0 offset:64
.LBB1438_225:
	s_or_b64 exec, exec, s[0:1]
	s_waitcnt vmcnt(7)
	v_xor_b32_e32 v34, 0x80000000, v34
	v_lshrrev_b32_e32 v0, s64, v34
	v_and_b32_e32 v50, s13, v0
	s_movk_i32 s2, 0x44
	v_mul_lo_u32 v0, v50, s2
	v_lshl_add_u32 v52, v27, 2, v0
	v_and_b32_e32 v0, 1, v50
	v_mov_b32_e32 v1, 0
	v_lshl_add_u64 v[8:9], v[0:1], 0, -1
	v_cmp_ne_u32_e32 vcc, 0, v0
	; wave barrier
	s_nop 1
	v_xor_b32_e32 v8, vcc_lo, v8
	v_xor_b32_e32 v0, vcc_hi, v9
	v_and_b32_e32 v51, exec_lo, v8
	v_lshlrev_b32_e32 v9, 30, v50
	v_mov_b32_e32 v8, v1
	v_cmp_gt_i64_e32 vcc, 0, v[8:9]
	v_not_b32_e32 v8, v9
	v_ashrrev_i32_e32 v8, 31, v8
	v_and_b32_e32 v0, exec_hi, v0
	v_xor_b32_e32 v9, vcc_hi, v8
	v_xor_b32_e32 v8, vcc_lo, v8
	v_and_b32_e32 v0, v0, v9
	v_and_b32_e32 v51, v51, v8
	v_lshlrev_b32_e32 v9, 29, v50
	v_mov_b32_e32 v8, v1
	v_cmp_gt_i64_e32 vcc, 0, v[8:9]
	v_not_b32_e32 v8, v9
	v_ashrrev_i32_e32 v8, 31, v8
	v_xor_b32_e32 v9, vcc_hi, v8
	v_xor_b32_e32 v8, vcc_lo, v8
	v_and_b32_e32 v0, v0, v9
	v_and_b32_e32 v51, v51, v8
	v_lshlrev_b32_e32 v9, 28, v50
	v_mov_b32_e32 v8, v1
	v_cmp_gt_i64_e32 vcc, 0, v[8:9]
	v_not_b32_e32 v8, v9
	v_ashrrev_i32_e32 v8, 31, v8
	;; [unrolled: 9-line block ×6, first 2 shown]
	v_xor_b32_e32 v9, vcc_hi, v8
	v_xor_b32_e32 v8, vcc_lo, v8
	ds_read_b32 v48, v52 offset:64
	v_and_b32_e32 v8, v51, v8
	v_and_b32_e32 v9, v0, v9
	v_mbcnt_lo_u32_b32 v0, v8, 0
	v_mbcnt_hi_u32_b32 v50, v9, v0
	v_cmp_eq_u32_e32 vcc, 0, v50
	v_cmp_ne_u64_e64 s[0:1], 0, v[8:9]
	s_and_b64 s[4:5], s[0:1], vcc
	; wave barrier
	s_and_saveexec_b64 s[0:1], s[4:5]
	s_cbranch_execz .LBB1438_227
; %bb.226:
	v_bcnt_u32_b32 v0, v8, 0
	v_bcnt_u32_b32 v0, v9, v0
	s_waitcnt lgkmcnt(0)
	v_add_u32_e32 v0, v48, v0
	ds_write_b32 v52, v0 offset:64
.LBB1438_227:
	s_or_b64 exec, exec, s[0:1]
	s_waitcnt vmcnt(6)
	v_xor_b32_e32 v39, 0x80000000, v39
	v_lshrrev_b32_e32 v0, s64, v39
	v_and_b32_e32 v53, s13, v0
	v_mul_lo_u32 v0, v53, s2
	v_lshl_add_u32 v55, v27, 2, v0
	v_and_b32_e32 v0, 1, v53
	v_lshl_add_u64 v[8:9], v[0:1], 0, -1
	v_cmp_ne_u32_e32 vcc, 0, v0
	; wave barrier
	s_nop 1
	v_xor_b32_e32 v8, vcc_lo, v8
	v_xor_b32_e32 v0, vcc_hi, v9
	v_and_b32_e32 v54, exec_lo, v8
	v_lshlrev_b32_e32 v9, 30, v53
	v_mov_b32_e32 v8, v1
	v_cmp_gt_i64_e32 vcc, 0, v[8:9]
	v_not_b32_e32 v8, v9
	v_ashrrev_i32_e32 v8, 31, v8
	v_and_b32_e32 v0, exec_hi, v0
	v_xor_b32_e32 v9, vcc_hi, v8
	v_xor_b32_e32 v8, vcc_lo, v8
	v_and_b32_e32 v0, v0, v9
	v_and_b32_e32 v54, v54, v8
	v_lshlrev_b32_e32 v9, 29, v53
	v_mov_b32_e32 v8, v1
	v_cmp_gt_i64_e32 vcc, 0, v[8:9]
	v_not_b32_e32 v8, v9
	v_ashrrev_i32_e32 v8, 31, v8
	v_xor_b32_e32 v9, vcc_hi, v8
	v_xor_b32_e32 v8, vcc_lo, v8
	v_and_b32_e32 v0, v0, v9
	v_and_b32_e32 v54, v54, v8
	v_lshlrev_b32_e32 v9, 28, v53
	v_mov_b32_e32 v8, v1
	v_cmp_gt_i64_e32 vcc, 0, v[8:9]
	v_not_b32_e32 v8, v9
	v_ashrrev_i32_e32 v8, 31, v8
	;; [unrolled: 9-line block ×5, first 2 shown]
	v_xor_b32_e32 v9, vcc_hi, v8
	v_xor_b32_e32 v8, vcc_lo, v8
	v_and_b32_e32 v0, v0, v9
	v_lshlrev_b32_e32 v9, 24, v53
	v_and_b32_e32 v54, v54, v8
	v_mov_b32_e32 v8, v1
	v_not_b32_e32 v1, v9
	v_cmp_gt_i64_e32 vcc, 0, v[8:9]
	v_ashrrev_i32_e32 v1, 31, v1
	ds_read_b32 v51, v55 offset:64
	v_xor_b32_e32 v8, vcc_hi, v1
	v_xor_b32_e32 v9, vcc_lo, v1
	v_and_b32_e32 v1, v0, v8
	v_and_b32_e32 v0, v54, v9
	v_mbcnt_lo_u32_b32 v8, v0, 0
	v_mbcnt_hi_u32_b32 v53, v1, v8
	v_cmp_eq_u32_e32 vcc, 0, v53
	v_cmp_ne_u64_e64 s[0:1], 0, v[0:1]
	s_and_b64 s[2:3], s[0:1], vcc
	; wave barrier
	s_and_saveexec_b64 s[0:1], s[2:3]
	s_cbranch_execz .LBB1438_229
; %bb.228:
	v_bcnt_u32_b32 v0, v0, 0
	v_bcnt_u32_b32 v0, v1, v0
	s_waitcnt lgkmcnt(0)
	v_add_u32_e32 v0, v51, v0
	ds_write_b32 v55, v0 offset:64
.LBB1438_229:
	s_or_b64 exec, exec, s[0:1]
	s_waitcnt vmcnt(5)
	v_xor_b32_e32 v44, 0x80000000, v44
	v_lshrrev_b32_e32 v0, s64, v44
	v_and_b32_e32 v56, s13, v0
	s_movk_i32 s2, 0x44
	v_mul_lo_u32 v0, v56, s2
	v_lshl_add_u32 v58, v27, 2, v0
	v_and_b32_e32 v0, 1, v56
	v_mov_b32_e32 v1, 0
	v_lshl_add_u64 v[8:9], v[0:1], 0, -1
	v_cmp_ne_u32_e32 vcc, 0, v0
	; wave barrier
	s_nop 1
	v_xor_b32_e32 v8, vcc_lo, v8
	v_xor_b32_e32 v0, vcc_hi, v9
	v_and_b32_e32 v57, exec_lo, v8
	v_lshlrev_b32_e32 v9, 30, v56
	v_mov_b32_e32 v8, v1
	v_cmp_gt_i64_e32 vcc, 0, v[8:9]
	v_not_b32_e32 v8, v9
	v_ashrrev_i32_e32 v8, 31, v8
	v_and_b32_e32 v0, exec_hi, v0
	v_xor_b32_e32 v9, vcc_hi, v8
	v_xor_b32_e32 v8, vcc_lo, v8
	v_and_b32_e32 v0, v0, v9
	v_and_b32_e32 v57, v57, v8
	v_lshlrev_b32_e32 v9, 29, v56
	v_mov_b32_e32 v8, v1
	v_cmp_gt_i64_e32 vcc, 0, v[8:9]
	v_not_b32_e32 v8, v9
	v_ashrrev_i32_e32 v8, 31, v8
	v_xor_b32_e32 v9, vcc_hi, v8
	v_xor_b32_e32 v8, vcc_lo, v8
	v_and_b32_e32 v0, v0, v9
	v_and_b32_e32 v57, v57, v8
	v_lshlrev_b32_e32 v9, 28, v56
	v_mov_b32_e32 v8, v1
	v_cmp_gt_i64_e32 vcc, 0, v[8:9]
	v_not_b32_e32 v8, v9
	v_ashrrev_i32_e32 v8, 31, v8
	;; [unrolled: 9-line block ×6, first 2 shown]
	v_xor_b32_e32 v9, vcc_hi, v8
	v_xor_b32_e32 v8, vcc_lo, v8
	ds_read_b32 v54, v58 offset:64
	v_and_b32_e32 v8, v57, v8
	v_and_b32_e32 v9, v0, v9
	v_mbcnt_lo_u32_b32 v0, v8, 0
	v_mbcnt_hi_u32_b32 v56, v9, v0
	v_cmp_eq_u32_e32 vcc, 0, v56
	v_cmp_ne_u64_e64 s[0:1], 0, v[8:9]
	s_and_b64 s[4:5], s[0:1], vcc
	; wave barrier
	s_and_saveexec_b64 s[0:1], s[4:5]
	s_cbranch_execz .LBB1438_231
; %bb.230:
	v_bcnt_u32_b32 v0, v8, 0
	v_bcnt_u32_b32 v0, v9, v0
	s_waitcnt lgkmcnt(0)
	v_add_u32_e32 v0, v54, v0
	ds_write_b32 v58, v0 offset:64
.LBB1438_231:
	s_or_b64 exec, exec, s[0:1]
	s_waitcnt vmcnt(4)
	v_xor_b32_e32 v45, 0x80000000, v45
	v_lshrrev_b32_e32 v0, s64, v45
	v_and_b32_e32 v59, s13, v0
	v_mul_lo_u32 v0, v59, s2
	v_lshl_add_u32 v62, v27, 2, v0
	v_and_b32_e32 v0, 1, v59
	v_lshl_add_u64 v[8:9], v[0:1], 0, -1
	v_cmp_ne_u32_e32 vcc, 0, v0
	; wave barrier
	s_nop 1
	v_xor_b32_e32 v8, vcc_lo, v8
	v_xor_b32_e32 v0, vcc_hi, v9
	v_and_b32_e32 v60, exec_lo, v8
	v_lshlrev_b32_e32 v9, 30, v59
	v_mov_b32_e32 v8, v1
	v_cmp_gt_i64_e32 vcc, 0, v[8:9]
	v_not_b32_e32 v8, v9
	v_ashrrev_i32_e32 v8, 31, v8
	v_and_b32_e32 v0, exec_hi, v0
	v_xor_b32_e32 v9, vcc_hi, v8
	v_xor_b32_e32 v8, vcc_lo, v8
	v_and_b32_e32 v0, v0, v9
	v_and_b32_e32 v60, v60, v8
	v_lshlrev_b32_e32 v9, 29, v59
	v_mov_b32_e32 v8, v1
	v_cmp_gt_i64_e32 vcc, 0, v[8:9]
	v_not_b32_e32 v8, v9
	v_ashrrev_i32_e32 v8, 31, v8
	v_xor_b32_e32 v9, vcc_hi, v8
	v_xor_b32_e32 v8, vcc_lo, v8
	v_and_b32_e32 v0, v0, v9
	v_and_b32_e32 v60, v60, v8
	v_lshlrev_b32_e32 v9, 28, v59
	v_mov_b32_e32 v8, v1
	v_cmp_gt_i64_e32 vcc, 0, v[8:9]
	v_not_b32_e32 v8, v9
	v_ashrrev_i32_e32 v8, 31, v8
	;; [unrolled: 9-line block ×5, first 2 shown]
	v_xor_b32_e32 v9, vcc_hi, v8
	v_xor_b32_e32 v8, vcc_lo, v8
	v_and_b32_e32 v0, v0, v9
	v_lshlrev_b32_e32 v9, 24, v59
	v_and_b32_e32 v60, v60, v8
	v_mov_b32_e32 v8, v1
	v_not_b32_e32 v1, v9
	v_cmp_gt_i64_e32 vcc, 0, v[8:9]
	v_ashrrev_i32_e32 v1, 31, v1
	ds_read_b32 v57, v62 offset:64
	v_xor_b32_e32 v8, vcc_hi, v1
	v_xor_b32_e32 v9, vcc_lo, v1
	v_and_b32_e32 v1, v0, v8
	v_and_b32_e32 v0, v60, v9
	v_mbcnt_lo_u32_b32 v8, v0, 0
	v_mbcnt_hi_u32_b32 v59, v1, v8
	v_cmp_eq_u32_e32 vcc, 0, v59
	v_cmp_ne_u64_e64 s[0:1], 0, v[0:1]
	s_and_b64 s[2:3], s[0:1], vcc
	; wave barrier
	s_and_saveexec_b64 s[0:1], s[2:3]
	s_cbranch_execz .LBB1438_233
; %bb.232:
	v_bcnt_u32_b32 v0, v0, 0
	v_bcnt_u32_b32 v0, v1, v0
	s_waitcnt lgkmcnt(0)
	v_add_u32_e32 v0, v57, v0
	ds_write_b32 v62, v0 offset:64
.LBB1438_233:
	s_or_b64 exec, exec, s[0:1]
	s_waitcnt vmcnt(3)
	v_xor_b32_e32 v40, 0x80000000, v40
	v_lshrrev_b32_e32 v0, s64, v40
	v_and_b32_e32 v61, s13, v0
	s_movk_i32 s2, 0x44
	v_mul_lo_u32 v0, v61, s2
	v_lshl_add_u32 v65, v27, 2, v0
	v_and_b32_e32 v0, 1, v61
	v_mov_b32_e32 v1, 0
	v_lshl_add_u64 v[8:9], v[0:1], 0, -1
	v_cmp_ne_u32_e32 vcc, 0, v0
	; wave barrier
	s_nop 1
	v_xor_b32_e32 v8, vcc_lo, v8
	v_xor_b32_e32 v0, vcc_hi, v9
	v_and_b32_e32 v63, exec_lo, v8
	v_lshlrev_b32_e32 v9, 30, v61
	v_mov_b32_e32 v8, v1
	v_cmp_gt_i64_e32 vcc, 0, v[8:9]
	v_not_b32_e32 v8, v9
	v_ashrrev_i32_e32 v8, 31, v8
	v_and_b32_e32 v0, exec_hi, v0
	v_xor_b32_e32 v9, vcc_hi, v8
	v_xor_b32_e32 v8, vcc_lo, v8
	v_and_b32_e32 v0, v0, v9
	v_and_b32_e32 v63, v63, v8
	v_lshlrev_b32_e32 v9, 29, v61
	v_mov_b32_e32 v8, v1
	v_cmp_gt_i64_e32 vcc, 0, v[8:9]
	v_not_b32_e32 v8, v9
	v_ashrrev_i32_e32 v8, 31, v8
	v_xor_b32_e32 v9, vcc_hi, v8
	v_xor_b32_e32 v8, vcc_lo, v8
	v_and_b32_e32 v0, v0, v9
	v_and_b32_e32 v63, v63, v8
	v_lshlrev_b32_e32 v9, 28, v61
	v_mov_b32_e32 v8, v1
	v_cmp_gt_i64_e32 vcc, 0, v[8:9]
	v_not_b32_e32 v8, v9
	v_ashrrev_i32_e32 v8, 31, v8
	;; [unrolled: 9-line block ×6, first 2 shown]
	v_xor_b32_e32 v9, vcc_hi, v8
	v_xor_b32_e32 v8, vcc_lo, v8
	ds_read_b32 v60, v65 offset:64
	v_and_b32_e32 v8, v63, v8
	v_and_b32_e32 v9, v0, v9
	v_mbcnt_lo_u32_b32 v0, v8, 0
	v_mbcnt_hi_u32_b32 v63, v9, v0
	v_cmp_eq_u32_e32 vcc, 0, v63
	v_cmp_ne_u64_e64 s[0:1], 0, v[8:9]
	s_and_b64 s[4:5], s[0:1], vcc
	; wave barrier
	s_and_saveexec_b64 s[0:1], s[4:5]
	s_cbranch_execz .LBB1438_235
; %bb.234:
	v_bcnt_u32_b32 v0, v8, 0
	v_bcnt_u32_b32 v0, v9, v0
	s_waitcnt lgkmcnt(0)
	v_add_u32_e32 v0, v60, v0
	ds_write_b32 v65, v0 offset:64
.LBB1438_235:
	s_or_b64 exec, exec, s[0:1]
	s_waitcnt vmcnt(2)
	v_xor_b32_e32 v36, 0x80000000, v36
	v_lshrrev_b32_e32 v0, s64, v36
	v_and_b32_e32 v61, s13, v0
	v_mul_lo_u32 v0, v61, s2
	v_lshl_add_u32 v68, v27, 2, v0
	v_and_b32_e32 v0, 1, v61
	v_lshl_add_u64 v[8:9], v[0:1], 0, -1
	v_cmp_ne_u32_e32 vcc, 0, v0
	; wave barrier
	s_nop 1
	v_xor_b32_e32 v8, vcc_lo, v8
	v_xor_b32_e32 v0, vcc_hi, v9
	v_and_b32_e32 v66, exec_lo, v8
	v_lshlrev_b32_e32 v9, 30, v61
	v_mov_b32_e32 v8, v1
	v_cmp_gt_i64_e32 vcc, 0, v[8:9]
	v_not_b32_e32 v8, v9
	v_ashrrev_i32_e32 v8, 31, v8
	v_and_b32_e32 v0, exec_hi, v0
	v_xor_b32_e32 v9, vcc_hi, v8
	v_xor_b32_e32 v8, vcc_lo, v8
	v_and_b32_e32 v0, v0, v9
	v_and_b32_e32 v66, v66, v8
	v_lshlrev_b32_e32 v9, 29, v61
	v_mov_b32_e32 v8, v1
	v_cmp_gt_i64_e32 vcc, 0, v[8:9]
	v_not_b32_e32 v8, v9
	v_ashrrev_i32_e32 v8, 31, v8
	v_xor_b32_e32 v9, vcc_hi, v8
	v_xor_b32_e32 v8, vcc_lo, v8
	v_and_b32_e32 v0, v0, v9
	v_and_b32_e32 v66, v66, v8
	v_lshlrev_b32_e32 v9, 28, v61
	v_mov_b32_e32 v8, v1
	v_cmp_gt_i64_e32 vcc, 0, v[8:9]
	v_not_b32_e32 v8, v9
	v_ashrrev_i32_e32 v8, 31, v8
	;; [unrolled: 9-line block ×5, first 2 shown]
	v_xor_b32_e32 v9, vcc_hi, v8
	v_xor_b32_e32 v8, vcc_lo, v8
	v_and_b32_e32 v0, v0, v9
	v_lshlrev_b32_e32 v9, 24, v61
	v_and_b32_e32 v66, v66, v8
	v_mov_b32_e32 v8, v1
	v_not_b32_e32 v1, v9
	v_cmp_gt_i64_e32 vcc, 0, v[8:9]
	v_ashrrev_i32_e32 v1, 31, v1
	ds_read_b32 v64, v68 offset:64
	v_xor_b32_e32 v8, vcc_hi, v1
	v_xor_b32_e32 v9, vcc_lo, v1
	v_and_b32_e32 v1, v0, v8
	v_and_b32_e32 v0, v66, v9
	v_mbcnt_lo_u32_b32 v8, v0, 0
	v_mbcnt_hi_u32_b32 v66, v1, v8
	v_cmp_eq_u32_e32 vcc, 0, v66
	v_cmp_ne_u64_e64 s[0:1], 0, v[0:1]
	s_and_b64 s[2:3], s[0:1], vcc
	; wave barrier
	s_and_saveexec_b64 s[0:1], s[2:3]
	s_cbranch_execz .LBB1438_237
; %bb.236:
	v_bcnt_u32_b32 v0, v0, 0
	v_bcnt_u32_b32 v0, v1, v0
	s_waitcnt lgkmcnt(0)
	v_add_u32_e32 v0, v64, v0
	ds_write_b32 v68, v0 offset:64
.LBB1438_237:
	s_or_b64 exec, exec, s[0:1]
	s_waitcnt vmcnt(1)
	v_xor_b32_e32 v31, 0x80000000, v31
	v_lshrrev_b32_e32 v0, s64, v31
	v_and_b32_e32 v61, s13, v0
	s_movk_i32 s2, 0x44
	v_mul_lo_u32 v0, v61, s2
	v_lshl_add_u32 v70, v27, 2, v0
	v_and_b32_e32 v0, 1, v61
	v_mov_b32_e32 v1, 0
	v_lshl_add_u64 v[8:9], v[0:1], 0, -1
	v_cmp_ne_u32_e32 vcc, 0, v0
	; wave barrier
	s_nop 1
	v_xor_b32_e32 v8, vcc_lo, v8
	v_xor_b32_e32 v0, vcc_hi, v9
	v_and_b32_e32 v69, exec_lo, v8
	v_lshlrev_b32_e32 v9, 30, v61
	v_mov_b32_e32 v8, v1
	v_cmp_gt_i64_e32 vcc, 0, v[8:9]
	v_not_b32_e32 v8, v9
	v_ashrrev_i32_e32 v8, 31, v8
	v_and_b32_e32 v0, exec_hi, v0
	v_xor_b32_e32 v9, vcc_hi, v8
	v_xor_b32_e32 v8, vcc_lo, v8
	v_and_b32_e32 v0, v0, v9
	v_and_b32_e32 v69, v69, v8
	v_lshlrev_b32_e32 v9, 29, v61
	v_mov_b32_e32 v8, v1
	v_cmp_gt_i64_e32 vcc, 0, v[8:9]
	v_not_b32_e32 v8, v9
	v_ashrrev_i32_e32 v8, 31, v8
	v_xor_b32_e32 v9, vcc_hi, v8
	v_xor_b32_e32 v8, vcc_lo, v8
	v_and_b32_e32 v0, v0, v9
	v_and_b32_e32 v69, v69, v8
	v_lshlrev_b32_e32 v9, 28, v61
	v_mov_b32_e32 v8, v1
	v_cmp_gt_i64_e32 vcc, 0, v[8:9]
	v_not_b32_e32 v8, v9
	v_ashrrev_i32_e32 v8, 31, v8
	;; [unrolled: 9-line block ×6, first 2 shown]
	v_xor_b32_e32 v9, vcc_hi, v8
	v_xor_b32_e32 v8, vcc_lo, v8
	ds_read_b32 v67, v70 offset:64
	v_and_b32_e32 v8, v69, v8
	v_and_b32_e32 v9, v0, v9
	v_mbcnt_lo_u32_b32 v0, v8, 0
	v_mbcnt_hi_u32_b32 v69, v9, v0
	v_cmp_eq_u32_e32 vcc, 0, v69
	v_cmp_ne_u64_e64 s[0:1], 0, v[8:9]
	s_and_b64 s[4:5], s[0:1], vcc
	; wave barrier
	s_and_saveexec_b64 s[0:1], s[4:5]
	s_cbranch_execz .LBB1438_239
; %bb.238:
	v_bcnt_u32_b32 v0, v8, 0
	v_bcnt_u32_b32 v0, v9, v0
	s_waitcnt lgkmcnt(0)
	v_add_u32_e32 v0, v67, v0
	ds_write_b32 v70, v0 offset:64
.LBB1438_239:
	s_or_b64 exec, exec, s[0:1]
	s_waitcnt vmcnt(0)
	v_xor_b32_e32 v61, 0x80000000, v25
	v_lshrrev_b32_e32 v0, s64, v61
	v_and_b32_e32 v25, s13, v0
	v_mul_lo_u32 v0, v25, s2
	v_lshl_add_u32 v72, v27, 2, v0
	v_and_b32_e32 v0, 1, v25
	v_lshl_add_u64 v[8:9], v[0:1], 0, -1
	v_cmp_ne_u32_e32 vcc, 0, v0
	; wave barrier
	s_nop 1
	v_xor_b32_e32 v8, vcc_lo, v8
	v_xor_b32_e32 v0, vcc_hi, v9
	v_and_b32_e32 v71, exec_lo, v8
	v_lshlrev_b32_e32 v9, 30, v25
	v_mov_b32_e32 v8, v1
	v_cmp_gt_i64_e32 vcc, 0, v[8:9]
	v_not_b32_e32 v8, v9
	v_ashrrev_i32_e32 v8, 31, v8
	v_and_b32_e32 v0, exec_hi, v0
	v_xor_b32_e32 v9, vcc_hi, v8
	v_xor_b32_e32 v8, vcc_lo, v8
	v_and_b32_e32 v0, v0, v9
	v_and_b32_e32 v71, v71, v8
	v_lshlrev_b32_e32 v9, 29, v25
	v_mov_b32_e32 v8, v1
	v_cmp_gt_i64_e32 vcc, 0, v[8:9]
	v_not_b32_e32 v8, v9
	v_ashrrev_i32_e32 v8, 31, v8
	v_xor_b32_e32 v9, vcc_hi, v8
	v_xor_b32_e32 v8, vcc_lo, v8
	v_and_b32_e32 v0, v0, v9
	v_and_b32_e32 v71, v71, v8
	v_lshlrev_b32_e32 v9, 28, v25
	v_mov_b32_e32 v8, v1
	v_cmp_gt_i64_e32 vcc, 0, v[8:9]
	v_not_b32_e32 v8, v9
	v_ashrrev_i32_e32 v8, 31, v8
	;; [unrolled: 9-line block ×5, first 2 shown]
	v_xor_b32_e32 v9, vcc_hi, v8
	v_xor_b32_e32 v8, vcc_lo, v8
	v_and_b32_e32 v0, v0, v9
	v_lshlrev_b32_e32 v9, 24, v25
	v_and_b32_e32 v71, v71, v8
	v_mov_b32_e32 v8, v1
	v_not_b32_e32 v1, v9
	v_cmp_gt_i64_e32 vcc, 0, v[8:9]
	v_ashrrev_i32_e32 v1, 31, v1
	ds_read_b32 v27, v72 offset:64
	v_xor_b32_e32 v8, vcc_hi, v1
	v_xor_b32_e32 v9, vcc_lo, v1
	v_and_b32_e32 v1, v0, v8
	v_and_b32_e32 v0, v71, v9
	v_mbcnt_lo_u32_b32 v8, v0, 0
	v_mbcnt_hi_u32_b32 v71, v1, v8
	v_cmp_eq_u32_e32 vcc, 0, v71
	v_cmp_ne_u64_e64 s[0:1], 0, v[0:1]
	s_and_b64 s[2:3], s[0:1], vcc
	; wave barrier
	s_and_saveexec_b64 s[0:1], s[2:3]
	s_cbranch_execz .LBB1438_241
; %bb.240:
	v_bcnt_u32_b32 v0, v0, 0
	v_bcnt_u32_b32 v0, v1, v0
	s_waitcnt lgkmcnt(0)
	v_add_u32_e32 v0, v27, v0
	ds_write_b32 v72, v0 offset:64
.LBB1438_241:
	s_or_b64 exec, exec, s[0:1]
	; wave barrier
	s_waitcnt lgkmcnt(0)
	s_barrier
	ds_read2_b32 v[8:9], v11 offset0:16 offset1:17
	ds_read2_b32 v[0:1], v11 offset0:18 offset1:19
	ds_read_b32 v25, v11 offset:80
	v_cmp_lt_u32_e64 s[2:3], 31, v10
	s_waitcnt lgkmcnt(1)
	v_add3_u32 v73, v9, v8, v0
	s_waitcnt lgkmcnt(0)
	v_add3_u32 v25, v73, v1, v25
	v_and_b32_e32 v73, 15, v10
	v_cmp_eq_u32_e32 vcc, 0, v73
	v_mov_b32_dpp v74, v25 row_shr:1 row_mask:0xf bank_mask:0xf
	v_cmp_lt_u32_e64 s[0:1], 1, v73
	v_cndmask_b32_e64 v74, v74, 0, vcc
	v_add_u32_e32 v25, v74, v25
	v_cmp_lt_u32_e64 s[4:5], 3, v73
	v_cmp_lt_u32_e64 s[6:7], 7, v73
	v_mov_b32_dpp v74, v25 row_shr:2 row_mask:0xf bank_mask:0xf
	v_cndmask_b32_e64 v74, 0, v74, s[0:1]
	v_add_u32_e32 v25, v25, v74
	s_nop 1
	v_mov_b32_dpp v74, v25 row_shr:4 row_mask:0xf bank_mask:0xf
	v_cndmask_b32_e64 v74, 0, v74, s[4:5]
	v_add_u32_e32 v25, v25, v74
	s_nop 1
	v_mov_b32_dpp v74, v25 row_shr:8 row_mask:0xf bank_mask:0xf
	v_cndmask_b32_e64 v73, 0, v74, s[6:7]
	v_add_u32_e32 v25, v25, v73
	v_bfe_i32 v74, v10, 4, 1
	s_nop 0
	v_mov_b32_dpp v73, v25 row_bcast:15 row_mask:0xf bank_mask:0xf
	v_and_b32_e32 v73, v74, v73
	v_add_u32_e32 v25, v25, v73
	v_lshrrev_b32_e32 v74, 6, v2
	s_nop 0
	v_mov_b32_dpp v73, v25 row_bcast:31 row_mask:0xf bank_mask:0xf
	v_cndmask_b32_e64 v73, 0, v73, s[2:3]
	v_add_u32_e32 v73, v25, v73
	v_and_b32_e32 v25, 63, v2
	v_cmp_eq_u32_e64 s[2:3], 63, v25
	s_and_saveexec_b64 s[10:11], s[2:3]
; %bb.242:
	v_lshlrev_b32_e32 v25, 2, v74
	ds_write_b32 v25, v73
; %bb.243:
	s_or_b64 exec, exec, s[10:11]
	v_cmp_gt_u32_e64 s[2:3], 16, v2
	v_lshlrev_b32_e32 v25, 2, v2
	s_waitcnt lgkmcnt(0)
	s_barrier
	s_and_saveexec_b64 s[10:11], s[2:3]
	s_cbranch_execz .LBB1438_245
; %bb.244:
	ds_read_b32 v75, v25
	s_waitcnt lgkmcnt(0)
	s_nop 0
	v_mov_b32_dpp v76, v75 row_shr:1 row_mask:0xf bank_mask:0xf
	v_cndmask_b32_e64 v76, v76, 0, vcc
	v_add_u32_e32 v75, v76, v75
	s_nop 1
	v_mov_b32_dpp v76, v75 row_shr:2 row_mask:0xf bank_mask:0xf
	v_cndmask_b32_e64 v76, 0, v76, s[0:1]
	v_add_u32_e32 v75, v75, v76
	s_nop 1
	v_mov_b32_dpp v76, v75 row_shr:4 row_mask:0xf bank_mask:0xf
	v_cndmask_b32_e64 v76, 0, v76, s[4:5]
	;; [unrolled: 4-line block ×3, first 2 shown]
	v_add_u32_e32 v75, v75, v76
	ds_write_b32 v25, v75
.LBB1438_245:
	s_or_b64 exec, exec, s[10:11]
	v_cmp_lt_u32_e32 vcc, 63, v2
	v_mov_b32_e32 v75, 0
	s_waitcnt lgkmcnt(0)
	s_barrier
	s_and_saveexec_b64 s[0:1], vcc
; %bb.246:
	v_lshl_add_u32 v74, v74, 2, -4
	ds_read_b32 v75, v74
; %bb.247:
	s_or_b64 exec, exec, s[0:1]
	v_subrev_co_u32_e32 v74, vcc, 1, v10
	v_and_b32_e32 v76, 64, v10
	v_cmp_lt_i32_e64 s[0:1], v74, v76
	s_waitcnt lgkmcnt(0)
	v_add_u32_e32 v73, v75, v73
	s_movk_i32 s2, 0x100
	v_cndmask_b32_e64 v10, v74, v10, s[0:1]
	v_lshlrev_b32_e32 v10, 2, v10
	ds_bpermute_b32 v10, v10, v73
	s_movk_i32 s0, 0xff
	s_waitcnt lgkmcnt(0)
	v_cndmask_b32_e32 v10, v10, v75, vcc
	v_cndmask_b32_e64 v10, v10, 0, s[44:45]
	v_add_u32_e32 v8, v10, v8
	v_add_u32_e32 v9, v8, v9
	v_add_u32_e32 v0, v9, v0
	v_add_u32_e32 v1, v0, v1
	ds_write2_b32 v11, v10, v8 offset0:16 offset1:17
	ds_write2_b32 v11, v9, v0 offset0:18 offset1:19
	ds_write_b32 v11, v1 offset:80
	s_waitcnt lgkmcnt(0)
	s_barrier
	ds_read_b32 v81, v18 offset:64
	ds_read_b32 v73, v21 offset:64
	;; [unrolled: 1-line block ×16, first 2 shown]
	v_cmp_lt_u32_e32 vcc, s0, v2
	v_cmp_gt_u32_e64 s[0:1], s2, v2
                                        ; implicit-def: $vgpr18
                                        ; implicit-def: $vgpr21
	s_and_saveexec_b64 s[4:5], s[0:1]
	s_cbranch_execz .LBB1438_251
; %bb.248:
	v_mul_u32_u24_e32 v0, 0x44, v2
	ds_read_b32 v18, v0 offset:64
	v_add_u32_e32 v1, 1, v2
	v_cmp_ne_u32_e64 s[2:3], s2, v1
	v_mov_b32_e32 v0, 0x4000
	s_and_saveexec_b64 s[6:7], s[2:3]
; %bb.249:
	v_mul_u32_u24_e32 v0, 0x44, v1
	ds_read_b32 v0, v0 offset:64
; %bb.250:
	s_or_b64 exec, exec, s[6:7]
	s_waitcnt lgkmcnt(0)
	v_sub_u32_e32 v21, v0, v18
.LBB1438_251:
	s_or_b64 exec, exec, s[4:5]
	v_mov_b32_e32 v1, 0
	s_waitcnt lgkmcnt(0)
	s_barrier
	s_and_saveexec_b64 s[2:3], s[0:1]
	s_cbranch_execz .LBB1438_261
; %bb.252:
	v_lshl_add_u32 v0, s33, 8, v2
	v_lshl_add_u64 v[8:9], v[0:1], 2, s[68:69]
	v_or_b32_e32 v0, 2.0, v21
	s_mov_b64 s[4:5], 0
	s_brev_b32 s14, -4
	s_mov_b32 s15, s33
	v_mov_b32_e32 v49, 0
	global_store_dword v[8:9], v0, off sc1
                                        ; implicit-def: $sgpr0_sgpr1
	s_branch .LBB1438_255
.LBB1438_253:                           ;   in Loop: Header=BB1438_255 Depth=1
	s_or_b64 exec, exec, s[10:11]
.LBB1438_254:                           ;   in Loop: Header=BB1438_255 Depth=1
	s_or_b64 exec, exec, s[6:7]
	v_and_b32_e32 v10, 0x3fffffff, v0
	v_add_u32_e32 v49, v10, v49
	v_cmp_gt_i32_e64 s[0:1], -2.0, v0
	s_and_b64 s[6:7], exec, s[0:1]
	s_or_b64 s[4:5], s[6:7], s[4:5]
	s_andn2_b64 exec, exec, s[4:5]
	s_cbranch_execz .LBB1438_260
.LBB1438_255:                           ; =>This Loop Header: Depth=1
                                        ;     Child Loop BB1438_258 Depth 2
	s_or_b64 s[0:1], s[0:1], exec
	s_cmp_eq_u32 s15, 0
	s_cbranch_scc1 .LBB1438_259
; %bb.256:                              ;   in Loop: Header=BB1438_255 Depth=1
	s_add_i32 s15, s15, -1
	v_lshl_or_b32 v0, s15, 8, v2
	v_lshl_add_u64 v[10:11], v[0:1], 2, s[68:69]
	global_load_dword v0, v[10:11], off sc1
	s_waitcnt vmcnt(0)
	v_cmp_gt_u32_e64 s[0:1], 2.0, v0
	s_and_saveexec_b64 s[6:7], s[0:1]
	s_cbranch_execz .LBB1438_254
; %bb.257:                              ;   in Loop: Header=BB1438_255 Depth=1
	s_mov_b64 s[10:11], 0
.LBB1438_258:                           ;   Parent Loop BB1438_255 Depth=1
                                        ; =>  This Inner Loop Header: Depth=2
	global_load_dword v0, v[10:11], off sc1
	s_waitcnt vmcnt(0)
	v_cmp_lt_u32_e64 s[0:1], s14, v0
	s_or_b64 s[10:11], s[0:1], s[10:11]
	s_andn2_b64 exec, exec, s[10:11]
	s_cbranch_execnz .LBB1438_258
	s_branch .LBB1438_253
.LBB1438_259:                           ;   in Loop: Header=BB1438_255 Depth=1
                                        ; implicit-def: $sgpr15
	s_and_b64 s[6:7], exec, s[0:1]
	s_or_b64 s[4:5], s[6:7], s[4:5]
	s_andn2_b64 exec, exec, s[4:5]
	s_cbranch_execnz .LBB1438_255
.LBB1438_260:
	s_or_b64 exec, exec, s[4:5]
	v_add_u32_e32 v0, v49, v21
	v_or_b32_e32 v0, 0x80000000, v0
	global_store_dword v[8:9], v0, off sc1
	global_load_dword v0, v25, s[60:61]
	v_sub_u32_e32 v1, v49, v18
	s_waitcnt vmcnt(0)
	v_add_u32_e32 v0, v1, v0
	ds_write_b32 v25, v0
.LBB1438_261:
	s_or_b64 exec, exec, s[2:3]
	v_add_u32_e32 v8, v81, v14
	v_add3_u32 v0, v16, v13, v73
	v_add3_u32 v1, v20, v17, v74
	;; [unrolled: 1-line block ×15, first 2 shown]
	v_mov_b32_e32 v85, 0x400
	s_mov_b32 s4, s64
	s_mov_b32 s5, s13
	s_movk_i32 s6, 0x400
	v_lshl_add_u32 v9, v9, 2, v85
	v_add3_u32 v10, v71, v41, v27
	v_lshl_add_u32 v11, v11, 2, v85
	v_add3_u32 v14, v69, v26, v67
	;; [unrolled: 2-line block ×15, first 2 shown]
	v_lshl_add_u32 v16, v8, 2, v85
	s_mov_b32 s7, 0
	s_mov_b32 s10, 0
	s_movk_i32 s11, 0x1000
	v_mov_b32_e32 v1, 0
	s_movk_i32 s14, 0x800
	s_movk_i32 s15, 0xc00
	v_mov_b32_e32 v55, v2
	s_mov_b32 s16, 0
	s_branch .LBB1438_263
.LBB1438_262:                           ;   in Loop: Header=BB1438_263 Depth=1
	s_or_b64 exec, exec, s[2:3]
	s_waitcnt lgkmcnt(0)
	s_barrier
	ds_read2st64_b32 v[56:57], v25 offset0:4 offset1:20
	ds_read2st64_b32 v[62:63], v25 offset0:36 offset1:52
	s_addk_i32 s16, 0xc000
	s_addk_i32 s10, 0xf000
	s_waitcnt lgkmcnt(1)
	v_xor_b32_e32 v60, 0x80000000, v56
	v_lshrrev_b32_e32 v56, s64, v56
	v_lshrrev_b32_e32 v0, s4, v57
	v_and_b32_e32 v56, s13, v56
	v_xor_b32_e32 v66, 0x80000000, v57
	v_and_b32_e32 v57, s5, v0
	v_lshlrev_b32_e32 v0, 2, v56
	ds_read_b32 v0, v0
	s_waitcnt lgkmcnt(1)
	v_lshrrev_b32_e32 v58, s4, v63
	v_lshrrev_b32_e32 v65, s64, v62
	v_and_b32_e32 v59, s5, v58
	v_lshlrev_b32_e32 v64, 2, v57
	v_and_b32_e32 v58, s13, v65
	v_lshlrev_b32_e32 v67, 2, v59
	v_lshlrev_b32_e32 v65, 2, v58
	ds_read_b32 v68, v64
	ds_read_b32 v69, v65
	;; [unrolled: 1-line block ×3, first 2 shown]
	s_waitcnt lgkmcnt(3)
	v_add_u32_e32 v0, v55, v0
	v_lshl_add_u64 v[64:65], v[0:1], 2, s[54:55]
	s_waitcnt lgkmcnt(2)
	v_add3_u32 v0, v55, v68, s6
	global_store_dword v[64:65], v60, off
	v_lshl_add_u64 v[64:65], v[0:1], 2, s[54:55]
	s_waitcnt lgkmcnt(1)
	v_add3_u32 v0, v55, v69, s14
	global_store_dword v[64:65], v66, off
	v_xor_b32_e32 v60, 0x80000000, v62
	v_xor_b32_e32 v64, 0x80000000, v63
	v_lshl_add_u64 v[62:63], v[0:1], 2, s[54:55]
	s_waitcnt lgkmcnt(0)
	v_add3_u32 v0, v55, v67, s15
	global_store_dword v[62:63], v60, off
	v_lshl_add_u64 v[62:63], v[0:1], 2, s[54:55]
	global_store_dword v[62:63], v64, off
	scratch_store_dwordx4 off, v[56:59], s7
	s_add_i32 s7, s7, 16
	s_cmp_eq_u32 s16, 0xffff0000
	v_add_u32_e32 v55, 0x1000, v55
	s_barrier
	s_cbranch_scc1 .LBB1438_295
.LBB1438_263:                           ; =>This Inner Loop Header: Depth=1
	v_add_u32_e32 v0, s10, v8
	v_cmp_gt_u32_e64 s[0:1], s11, v0
	s_and_saveexec_b64 s[2:3], s[0:1]
; %bb.264:                              ;   in Loop: Header=BB1438_263 Depth=1
	v_add_u32_e32 v0, s16, v16
	ds_write_b32 v0, v3
; %bb.265:                              ;   in Loop: Header=BB1438_263 Depth=1
	s_or_b64 exec, exec, s[2:3]
	v_add_u32_e32 v0, s10, v13
	v_cmp_gt_u32_e64 s[0:1], s11, v0
	s_and_saveexec_b64 s[2:3], s[0:1]
; %bb.266:                              ;   in Loop: Header=BB1438_263 Depth=1
	v_add_u32_e32 v0, s16, v20
	ds_write_b32 v0, v5
; %bb.267:                              ;   in Loop: Header=BB1438_263 Depth=1
	s_or_b64 exec, exec, s[2:3]
	v_add_u32_e32 v0, s10, v17
	v_cmp_gt_u32_e64 s[0:1], s11, v0
	s_and_saveexec_b64 s[2:3], s[0:1]
; %bb.268:                              ;   in Loop: Header=BB1438_263 Depth=1
	v_add_u32_e32 v0, s16, v24
	ds_write_b32 v0, v7
; %bb.269:                              ;   in Loop: Header=BB1438_263 Depth=1
	s_or_b64 exec, exec, s[2:3]
	v_add_u32_e32 v0, s10, v22
	v_cmp_gt_u32_e64 s[0:1], s11, v0
	s_and_saveexec_b64 s[2:3], s[0:1]
; %bb.270:                              ;   in Loop: Header=BB1438_263 Depth=1
	v_add_u32_e32 v0, s16, v30
	ds_write_b32 v0, v12
; %bb.271:                              ;   in Loop: Header=BB1438_263 Depth=1
	s_or_b64 exec, exec, s[2:3]
	v_add_u32_e32 v0, s10, v28
	v_cmp_gt_u32_e64 s[0:1], s11, v0
	s_and_saveexec_b64 s[2:3], s[0:1]
; %bb.272:                              ;   in Loop: Header=BB1438_263 Depth=1
	v_add_u32_e32 v0, s16, v35
	ds_write_b32 v0, v15
; %bb.273:                              ;   in Loop: Header=BB1438_263 Depth=1
	s_or_b64 exec, exec, s[2:3]
	v_add_u32_e32 v0, s10, v33
	v_cmp_gt_u32_e64 s[0:1], s11, v0
	s_and_saveexec_b64 s[2:3], s[0:1]
; %bb.274:                              ;   in Loop: Header=BB1438_263 Depth=1
	v_add_u32_e32 v0, s16, v42
	ds_write_b32 v0, v19
; %bb.275:                              ;   in Loop: Header=BB1438_263 Depth=1
	s_or_b64 exec, exec, s[2:3]
	v_add_u32_e32 v0, s10, v38
	v_cmp_gt_u32_e64 s[0:1], s11, v0
	s_and_saveexec_b64 s[2:3], s[0:1]
; %bb.276:                              ;   in Loop: Header=BB1438_263 Depth=1
	v_add_u32_e32 v0, s16, v47
	ds_write_b32 v0, v23
; %bb.277:                              ;   in Loop: Header=BB1438_263 Depth=1
	s_or_b64 exec, exec, s[2:3]
	v_add_u32_e32 v0, s10, v43
	v_cmp_gt_u32_e64 s[0:1], s11, v0
	s_and_saveexec_b64 s[2:3], s[0:1]
; %bb.278:                              ;   in Loop: Header=BB1438_263 Depth=1
	v_add_u32_e32 v0, s16, v50
	ds_write_b32 v0, v29
; %bb.279:                              ;   in Loop: Header=BB1438_263 Depth=1
	s_or_b64 exec, exec, s[2:3]
	v_add_u32_e32 v0, s10, v48
	v_cmp_gt_u32_e64 s[0:1], s11, v0
	s_and_saveexec_b64 s[2:3], s[0:1]
; %bb.280:                              ;   in Loop: Header=BB1438_263 Depth=1
	v_add_u32_e32 v0, s16, v53
	ds_write_b32 v0, v34
; %bb.281:                              ;   in Loop: Header=BB1438_263 Depth=1
	s_or_b64 exec, exec, s[2:3]
	v_add_u32_e32 v0, s10, v51
	v_cmp_gt_u32_e64 s[0:1], s11, v0
	s_and_saveexec_b64 s[2:3], s[0:1]
; %bb.282:                              ;   in Loop: Header=BB1438_263 Depth=1
	v_add_u32_e32 v0, s16, v54
	ds_write_b32 v0, v39
; %bb.283:                              ;   in Loop: Header=BB1438_263 Depth=1
	s_or_b64 exec, exec, s[2:3]
	v_add_u32_e32 v0, s10, v52
	v_cmp_gt_u32_e64 s[0:1], s11, v0
	s_and_saveexec_b64 s[2:3], s[0:1]
; %bb.284:                              ;   in Loop: Header=BB1438_263 Depth=1
	v_add_u32_e32 v0, s16, v49
	ds_write_b32 v0, v44
; %bb.285:                              ;   in Loop: Header=BB1438_263 Depth=1
	s_or_b64 exec, exec, s[2:3]
	v_add_u32_e32 v0, s10, v46
	v_cmp_gt_u32_e64 s[0:1], s11, v0
	s_and_saveexec_b64 s[2:3], s[0:1]
; %bb.286:                              ;   in Loop: Header=BB1438_263 Depth=1
	v_add_u32_e32 v0, s16, v41
	ds_write_b32 v0, v45
; %bb.287:                              ;   in Loop: Header=BB1438_263 Depth=1
	s_or_b64 exec, exec, s[2:3]
	v_add_u32_e32 v0, s10, v37
	v_cmp_gt_u32_e64 s[0:1], s11, v0
	s_and_saveexec_b64 s[2:3], s[0:1]
; %bb.288:                              ;   in Loop: Header=BB1438_263 Depth=1
	v_add_u32_e32 v0, s16, v32
	ds_write_b32 v0, v40
; %bb.289:                              ;   in Loop: Header=BB1438_263 Depth=1
	s_or_b64 exec, exec, s[2:3]
	v_add_u32_e32 v0, s10, v27
	v_cmp_gt_u32_e64 s[0:1], s11, v0
	s_and_saveexec_b64 s[2:3], s[0:1]
; %bb.290:                              ;   in Loop: Header=BB1438_263 Depth=1
	v_add_u32_e32 v0, s16, v26
	ds_write_b32 v0, v36
; %bb.291:                              ;   in Loop: Header=BB1438_263 Depth=1
	s_or_b64 exec, exec, s[2:3]
	v_add_u32_e32 v0, s10, v14
	v_cmp_gt_u32_e64 s[0:1], s11, v0
	s_and_saveexec_b64 s[2:3], s[0:1]
; %bb.292:                              ;   in Loop: Header=BB1438_263 Depth=1
	v_add_u32_e32 v0, s16, v11
	ds_write_b32 v0, v31
; %bb.293:                              ;   in Loop: Header=BB1438_263 Depth=1
	s_or_b64 exec, exec, s[2:3]
	v_add_u32_e32 v0, s10, v10
	v_cmp_gt_u32_e64 s[0:1], s11, v0
	s_and_saveexec_b64 s[2:3], s[0:1]
	s_cbranch_execz .LBB1438_262
; %bb.294:                              ;   in Loop: Header=BB1438_263 Depth=1
	v_add_u32_e32 v0, s16, v9
	ds_write_b32 v0, v61
	s_branch .LBB1438_262
.LBB1438_295:
	s_add_u32 s0, s56, s8
	s_addc_u32 s1, s57, s9
	v_mov_b32_e32 v5, 0
	v_lshl_add_u64 v[0:1], s[0:1], 0, v[4:5]
	v_mov_b32_e32 v7, v5
	v_lshl_add_u64 v[44:45], v[0:1], 0, v[6:7]
	global_load_dword v0, v[44:45], off
	global_load_dword v1, v[44:45], off offset:256
	global_load_dword v3, v[44:45], off offset:512
	;; [unrolled: 1-line block ×14, first 2 shown]
	s_nop 0
	global_load_dword v44, v[44:45], off offset:3840
	s_mov_b32 s4, 0
	s_mov_b32 s5, 0
	s_movk_i32 s6, 0x1000
	s_movk_i32 s7, 0x400
	;; [unrolled: 1-line block ×4, first 2 shown]
	s_mov_b32 s10, 0
	s_branch .LBB1438_297
.LBB1438_296:                           ;   in Loop: Header=BB1438_297 Depth=1
	s_or_b64 exec, exec, s[2:3]
	s_waitcnt lgkmcnt(0)
	s_barrier
	scratch_load_dwordx4 v[56:59], off, s4
	ds_read2st64_b32 v[60:61], v25 offset0:4 offset1:20
	ds_read2st64_b32 v[62:63], v25 offset0:36 offset1:52
	s_addk_i32 s10, 0xc000
	s_addk_i32 s5, 0xf000
	s_add_i32 s4, s4, 16
	s_cmp_eq_u32 s10, 0xffff0000
	s_waitcnt vmcnt(0)
	v_lshlrev_b32_e32 v4, 2, v56
	ds_read_b32 v4, v4
	v_lshlrev_b32_e32 v45, 2, v57
	v_lshlrev_b32_e32 v55, 2, v58
	;; [unrolled: 1-line block ×3, first 2 shown]
	ds_read_b32 v45, v45
	ds_read_b32 v55, v55
	;; [unrolled: 1-line block ×3, first 2 shown]
	s_waitcnt lgkmcnt(3)
	v_add_u32_e32 v4, v2, v4
	v_lshl_add_u64 v[56:57], v[4:5], 2, s[58:59]
	s_waitcnt lgkmcnt(2)
	v_add3_u32 v4, v2, v45, s7
	global_store_dword v[56:57], v60, off
	v_lshl_add_u64 v[56:57], v[4:5], 2, s[58:59]
	s_waitcnt lgkmcnt(1)
	v_add3_u32 v4, v2, v55, s8
	global_store_dword v[56:57], v61, off
	;; [unrolled: 4-line block ×3, first 2 shown]
	v_lshl_add_u64 v[56:57], v[4:5], 2, s[58:59]
	v_add_u32_e32 v2, 0x1000, v2
	global_store_dword v[56:57], v63, off
	s_barrier
	s_cbranch_scc1 .LBB1438_329
.LBB1438_297:                           ; =>This Inner Loop Header: Depth=1
	v_add_u32_e32 v4, s5, v8
	v_cmp_gt_u32_e64 s[0:1], s6, v4
	s_and_saveexec_b64 s[2:3], s[0:1]
	s_cbranch_execz .LBB1438_299
; %bb.298:                              ;   in Loop: Header=BB1438_297 Depth=1
	v_add_u32_e32 v4, s10, v16
	s_waitcnt vmcnt(15)
	ds_write_b32 v4, v0
.LBB1438_299:                           ;   in Loop: Header=BB1438_297 Depth=1
	s_or_b64 exec, exec, s[2:3]
	v_add_u32_e32 v4, s5, v13
	v_cmp_gt_u32_e64 s[0:1], s6, v4
	s_and_saveexec_b64 s[2:3], s[0:1]
	s_cbranch_execz .LBB1438_301
; %bb.300:                              ;   in Loop: Header=BB1438_297 Depth=1
	v_add_u32_e32 v4, s10, v20
	s_waitcnt vmcnt(14)
	ds_write_b32 v4, v1
.LBB1438_301:                           ;   in Loop: Header=BB1438_297 Depth=1
	s_or_b64 exec, exec, s[2:3]
	;; [unrolled: 10-line block ×15, first 2 shown]
	v_add_u32_e32 v4, s5, v10
	v_cmp_gt_u32_e64 s[0:1], s6, v4
	s_and_saveexec_b64 s[2:3], s[0:1]
	s_cbranch_execz .LBB1438_296
; %bb.328:                              ;   in Loop: Header=BB1438_297 Depth=1
	v_add_u32_e32 v4, s10, v9
	s_waitcnt vmcnt(0)
	ds_write_b32 v4, v44
	s_branch .LBB1438_296
.LBB1438_329:
	s_add_i32 s12, s12, -1
	s_cmp_eq_u32 s33, s12
	s_cselect_b64 s[0:1], -1, 0
	s_xor_b64 s[2:3], vcc, -1
	s_and_b64 s[0:1], s[2:3], s[0:1]
	s_and_saveexec_b64 s[2:3], s[0:1]
	s_cbranch_execz .LBB1438_331
; %bb.330:
	ds_read_b32 v0, v25
	s_waitcnt lgkmcnt(0)
	v_add3_u32 v0, v18, v21, v0
	global_store_dword v25, v0, s[62:63]
.LBB1438_331:
	s_endpgm
	.section	.rodata,"a",@progbits
	.p2align	6, 0x0
	.amdhsa_kernel _ZN7rocprim17ROCPRIM_400000_NS6detail17trampoline_kernelINS0_14default_configENS1_35radix_sort_onesweep_config_selectorIiiEEZZNS1_29radix_sort_onesweep_iterationIS3_Lb0EN6thrust23THRUST_200600_302600_NS6detail15normal_iteratorINS8_10device_ptrIiEEEESD_SD_SD_jNS0_19identity_decomposerENS1_16block_id_wrapperIjLb1EEEEE10hipError_tT1_PNSt15iterator_traitsISI_E10value_typeET2_T3_PNSJ_ISO_E10value_typeET4_T5_PST_SU_PNS1_23onesweep_lookback_stateEbbT6_jjT7_P12ihipStream_tbENKUlT_T0_SI_SN_E_clIPiSD_S15_SD_EEDaS11_S12_SI_SN_EUlS11_E_NS1_11comp_targetILNS1_3genE6ELNS1_11target_archE950ELNS1_3gpuE13ELNS1_3repE0EEENS1_47radix_sort_onesweep_sort_config_static_selectorELNS0_4arch9wavefront6targetE1EEEvSI_
		.amdhsa_group_segment_fixed_size 20552
		.amdhsa_private_segment_fixed_size 80
		.amdhsa_kernarg_size 344
		.amdhsa_user_sgpr_count 2
		.amdhsa_user_sgpr_dispatch_ptr 0
		.amdhsa_user_sgpr_queue_ptr 0
		.amdhsa_user_sgpr_kernarg_segment_ptr 1
		.amdhsa_user_sgpr_dispatch_id 0
		.amdhsa_user_sgpr_kernarg_preload_length 0
		.amdhsa_user_sgpr_kernarg_preload_offset 0
		.amdhsa_user_sgpr_private_segment_size 0
		.amdhsa_uses_dynamic_stack 0
		.amdhsa_enable_private_segment 1
		.amdhsa_system_sgpr_workgroup_id_x 1
		.amdhsa_system_sgpr_workgroup_id_y 0
		.amdhsa_system_sgpr_workgroup_id_z 0
		.amdhsa_system_sgpr_workgroup_info 0
		.amdhsa_system_vgpr_workitem_id 2
		.amdhsa_next_free_vgpr 89
		.amdhsa_next_free_sgpr 73
		.amdhsa_accum_offset 92
		.amdhsa_reserve_vcc 1
		.amdhsa_float_round_mode_32 0
		.amdhsa_float_round_mode_16_64 0
		.amdhsa_float_denorm_mode_32 3
		.amdhsa_float_denorm_mode_16_64 3
		.amdhsa_dx10_clamp 1
		.amdhsa_ieee_mode 1
		.amdhsa_fp16_overflow 0
		.amdhsa_tg_split 0
		.amdhsa_exception_fp_ieee_invalid_op 0
		.amdhsa_exception_fp_denorm_src 0
		.amdhsa_exception_fp_ieee_div_zero 0
		.amdhsa_exception_fp_ieee_overflow 0
		.amdhsa_exception_fp_ieee_underflow 0
		.amdhsa_exception_fp_ieee_inexact 0
		.amdhsa_exception_int_div_zero 0
	.end_amdhsa_kernel
	.section	.text._ZN7rocprim17ROCPRIM_400000_NS6detail17trampoline_kernelINS0_14default_configENS1_35radix_sort_onesweep_config_selectorIiiEEZZNS1_29radix_sort_onesweep_iterationIS3_Lb0EN6thrust23THRUST_200600_302600_NS6detail15normal_iteratorINS8_10device_ptrIiEEEESD_SD_SD_jNS0_19identity_decomposerENS1_16block_id_wrapperIjLb1EEEEE10hipError_tT1_PNSt15iterator_traitsISI_E10value_typeET2_T3_PNSJ_ISO_E10value_typeET4_T5_PST_SU_PNS1_23onesweep_lookback_stateEbbT6_jjT7_P12ihipStream_tbENKUlT_T0_SI_SN_E_clIPiSD_S15_SD_EEDaS11_S12_SI_SN_EUlS11_E_NS1_11comp_targetILNS1_3genE6ELNS1_11target_archE950ELNS1_3gpuE13ELNS1_3repE0EEENS1_47radix_sort_onesweep_sort_config_static_selectorELNS0_4arch9wavefront6targetE1EEEvSI_,"axG",@progbits,_ZN7rocprim17ROCPRIM_400000_NS6detail17trampoline_kernelINS0_14default_configENS1_35radix_sort_onesweep_config_selectorIiiEEZZNS1_29radix_sort_onesweep_iterationIS3_Lb0EN6thrust23THRUST_200600_302600_NS6detail15normal_iteratorINS8_10device_ptrIiEEEESD_SD_SD_jNS0_19identity_decomposerENS1_16block_id_wrapperIjLb1EEEEE10hipError_tT1_PNSt15iterator_traitsISI_E10value_typeET2_T3_PNSJ_ISO_E10value_typeET4_T5_PST_SU_PNS1_23onesweep_lookback_stateEbbT6_jjT7_P12ihipStream_tbENKUlT_T0_SI_SN_E_clIPiSD_S15_SD_EEDaS11_S12_SI_SN_EUlS11_E_NS1_11comp_targetILNS1_3genE6ELNS1_11target_archE950ELNS1_3gpuE13ELNS1_3repE0EEENS1_47radix_sort_onesweep_sort_config_static_selectorELNS0_4arch9wavefront6targetE1EEEvSI_,comdat
.Lfunc_end1438:
	.size	_ZN7rocprim17ROCPRIM_400000_NS6detail17trampoline_kernelINS0_14default_configENS1_35radix_sort_onesweep_config_selectorIiiEEZZNS1_29radix_sort_onesweep_iterationIS3_Lb0EN6thrust23THRUST_200600_302600_NS6detail15normal_iteratorINS8_10device_ptrIiEEEESD_SD_SD_jNS0_19identity_decomposerENS1_16block_id_wrapperIjLb1EEEEE10hipError_tT1_PNSt15iterator_traitsISI_E10value_typeET2_T3_PNSJ_ISO_E10value_typeET4_T5_PST_SU_PNS1_23onesweep_lookback_stateEbbT6_jjT7_P12ihipStream_tbENKUlT_T0_SI_SN_E_clIPiSD_S15_SD_EEDaS11_S12_SI_SN_EUlS11_E_NS1_11comp_targetILNS1_3genE6ELNS1_11target_archE950ELNS1_3gpuE13ELNS1_3repE0EEENS1_47radix_sort_onesweep_sort_config_static_selectorELNS0_4arch9wavefront6targetE1EEEvSI_, .Lfunc_end1438-_ZN7rocprim17ROCPRIM_400000_NS6detail17trampoline_kernelINS0_14default_configENS1_35radix_sort_onesweep_config_selectorIiiEEZZNS1_29radix_sort_onesweep_iterationIS3_Lb0EN6thrust23THRUST_200600_302600_NS6detail15normal_iteratorINS8_10device_ptrIiEEEESD_SD_SD_jNS0_19identity_decomposerENS1_16block_id_wrapperIjLb1EEEEE10hipError_tT1_PNSt15iterator_traitsISI_E10value_typeET2_T3_PNSJ_ISO_E10value_typeET4_T5_PST_SU_PNS1_23onesweep_lookback_stateEbbT6_jjT7_P12ihipStream_tbENKUlT_T0_SI_SN_E_clIPiSD_S15_SD_EEDaS11_S12_SI_SN_EUlS11_E_NS1_11comp_targetILNS1_3genE6ELNS1_11target_archE950ELNS1_3gpuE13ELNS1_3repE0EEENS1_47radix_sort_onesweep_sort_config_static_selectorELNS0_4arch9wavefront6targetE1EEEvSI_
                                        ; -- End function
	.set _ZN7rocprim17ROCPRIM_400000_NS6detail17trampoline_kernelINS0_14default_configENS1_35radix_sort_onesweep_config_selectorIiiEEZZNS1_29radix_sort_onesweep_iterationIS3_Lb0EN6thrust23THRUST_200600_302600_NS6detail15normal_iteratorINS8_10device_ptrIiEEEESD_SD_SD_jNS0_19identity_decomposerENS1_16block_id_wrapperIjLb1EEEEE10hipError_tT1_PNSt15iterator_traitsISI_E10value_typeET2_T3_PNSJ_ISO_E10value_typeET4_T5_PST_SU_PNS1_23onesweep_lookback_stateEbbT6_jjT7_P12ihipStream_tbENKUlT_T0_SI_SN_E_clIPiSD_S15_SD_EEDaS11_S12_SI_SN_EUlS11_E_NS1_11comp_targetILNS1_3genE6ELNS1_11target_archE950ELNS1_3gpuE13ELNS1_3repE0EEENS1_47radix_sort_onesweep_sort_config_static_selectorELNS0_4arch9wavefront6targetE1EEEvSI_.num_vgpr, 89
	.set _ZN7rocprim17ROCPRIM_400000_NS6detail17trampoline_kernelINS0_14default_configENS1_35radix_sort_onesweep_config_selectorIiiEEZZNS1_29radix_sort_onesweep_iterationIS3_Lb0EN6thrust23THRUST_200600_302600_NS6detail15normal_iteratorINS8_10device_ptrIiEEEESD_SD_SD_jNS0_19identity_decomposerENS1_16block_id_wrapperIjLb1EEEEE10hipError_tT1_PNSt15iterator_traitsISI_E10value_typeET2_T3_PNSJ_ISO_E10value_typeET4_T5_PST_SU_PNS1_23onesweep_lookback_stateEbbT6_jjT7_P12ihipStream_tbENKUlT_T0_SI_SN_E_clIPiSD_S15_SD_EEDaS11_S12_SI_SN_EUlS11_E_NS1_11comp_targetILNS1_3genE6ELNS1_11target_archE950ELNS1_3gpuE13ELNS1_3repE0EEENS1_47radix_sort_onesweep_sort_config_static_selectorELNS0_4arch9wavefront6targetE1EEEvSI_.num_agpr, 0
	.set _ZN7rocprim17ROCPRIM_400000_NS6detail17trampoline_kernelINS0_14default_configENS1_35radix_sort_onesweep_config_selectorIiiEEZZNS1_29radix_sort_onesweep_iterationIS3_Lb0EN6thrust23THRUST_200600_302600_NS6detail15normal_iteratorINS8_10device_ptrIiEEEESD_SD_SD_jNS0_19identity_decomposerENS1_16block_id_wrapperIjLb1EEEEE10hipError_tT1_PNSt15iterator_traitsISI_E10value_typeET2_T3_PNSJ_ISO_E10value_typeET4_T5_PST_SU_PNS1_23onesweep_lookback_stateEbbT6_jjT7_P12ihipStream_tbENKUlT_T0_SI_SN_E_clIPiSD_S15_SD_EEDaS11_S12_SI_SN_EUlS11_E_NS1_11comp_targetILNS1_3genE6ELNS1_11target_archE950ELNS1_3gpuE13ELNS1_3repE0EEENS1_47radix_sort_onesweep_sort_config_static_selectorELNS0_4arch9wavefront6targetE1EEEvSI_.numbered_sgpr, 73
	.set _ZN7rocprim17ROCPRIM_400000_NS6detail17trampoline_kernelINS0_14default_configENS1_35radix_sort_onesweep_config_selectorIiiEEZZNS1_29radix_sort_onesweep_iterationIS3_Lb0EN6thrust23THRUST_200600_302600_NS6detail15normal_iteratorINS8_10device_ptrIiEEEESD_SD_SD_jNS0_19identity_decomposerENS1_16block_id_wrapperIjLb1EEEEE10hipError_tT1_PNSt15iterator_traitsISI_E10value_typeET2_T3_PNSJ_ISO_E10value_typeET4_T5_PST_SU_PNS1_23onesweep_lookback_stateEbbT6_jjT7_P12ihipStream_tbENKUlT_T0_SI_SN_E_clIPiSD_S15_SD_EEDaS11_S12_SI_SN_EUlS11_E_NS1_11comp_targetILNS1_3genE6ELNS1_11target_archE950ELNS1_3gpuE13ELNS1_3repE0EEENS1_47radix_sort_onesweep_sort_config_static_selectorELNS0_4arch9wavefront6targetE1EEEvSI_.num_named_barrier, 0
	.set _ZN7rocprim17ROCPRIM_400000_NS6detail17trampoline_kernelINS0_14default_configENS1_35radix_sort_onesweep_config_selectorIiiEEZZNS1_29radix_sort_onesweep_iterationIS3_Lb0EN6thrust23THRUST_200600_302600_NS6detail15normal_iteratorINS8_10device_ptrIiEEEESD_SD_SD_jNS0_19identity_decomposerENS1_16block_id_wrapperIjLb1EEEEE10hipError_tT1_PNSt15iterator_traitsISI_E10value_typeET2_T3_PNSJ_ISO_E10value_typeET4_T5_PST_SU_PNS1_23onesweep_lookback_stateEbbT6_jjT7_P12ihipStream_tbENKUlT_T0_SI_SN_E_clIPiSD_S15_SD_EEDaS11_S12_SI_SN_EUlS11_E_NS1_11comp_targetILNS1_3genE6ELNS1_11target_archE950ELNS1_3gpuE13ELNS1_3repE0EEENS1_47radix_sort_onesweep_sort_config_static_selectorELNS0_4arch9wavefront6targetE1EEEvSI_.private_seg_size, 80
	.set _ZN7rocprim17ROCPRIM_400000_NS6detail17trampoline_kernelINS0_14default_configENS1_35radix_sort_onesweep_config_selectorIiiEEZZNS1_29radix_sort_onesweep_iterationIS3_Lb0EN6thrust23THRUST_200600_302600_NS6detail15normal_iteratorINS8_10device_ptrIiEEEESD_SD_SD_jNS0_19identity_decomposerENS1_16block_id_wrapperIjLb1EEEEE10hipError_tT1_PNSt15iterator_traitsISI_E10value_typeET2_T3_PNSJ_ISO_E10value_typeET4_T5_PST_SU_PNS1_23onesweep_lookback_stateEbbT6_jjT7_P12ihipStream_tbENKUlT_T0_SI_SN_E_clIPiSD_S15_SD_EEDaS11_S12_SI_SN_EUlS11_E_NS1_11comp_targetILNS1_3genE6ELNS1_11target_archE950ELNS1_3gpuE13ELNS1_3repE0EEENS1_47radix_sort_onesweep_sort_config_static_selectorELNS0_4arch9wavefront6targetE1EEEvSI_.uses_vcc, 1
	.set _ZN7rocprim17ROCPRIM_400000_NS6detail17trampoline_kernelINS0_14default_configENS1_35radix_sort_onesweep_config_selectorIiiEEZZNS1_29radix_sort_onesweep_iterationIS3_Lb0EN6thrust23THRUST_200600_302600_NS6detail15normal_iteratorINS8_10device_ptrIiEEEESD_SD_SD_jNS0_19identity_decomposerENS1_16block_id_wrapperIjLb1EEEEE10hipError_tT1_PNSt15iterator_traitsISI_E10value_typeET2_T3_PNSJ_ISO_E10value_typeET4_T5_PST_SU_PNS1_23onesweep_lookback_stateEbbT6_jjT7_P12ihipStream_tbENKUlT_T0_SI_SN_E_clIPiSD_S15_SD_EEDaS11_S12_SI_SN_EUlS11_E_NS1_11comp_targetILNS1_3genE6ELNS1_11target_archE950ELNS1_3gpuE13ELNS1_3repE0EEENS1_47radix_sort_onesweep_sort_config_static_selectorELNS0_4arch9wavefront6targetE1EEEvSI_.uses_flat_scratch, 0
	.set _ZN7rocprim17ROCPRIM_400000_NS6detail17trampoline_kernelINS0_14default_configENS1_35radix_sort_onesweep_config_selectorIiiEEZZNS1_29radix_sort_onesweep_iterationIS3_Lb0EN6thrust23THRUST_200600_302600_NS6detail15normal_iteratorINS8_10device_ptrIiEEEESD_SD_SD_jNS0_19identity_decomposerENS1_16block_id_wrapperIjLb1EEEEE10hipError_tT1_PNSt15iterator_traitsISI_E10value_typeET2_T3_PNSJ_ISO_E10value_typeET4_T5_PST_SU_PNS1_23onesweep_lookback_stateEbbT6_jjT7_P12ihipStream_tbENKUlT_T0_SI_SN_E_clIPiSD_S15_SD_EEDaS11_S12_SI_SN_EUlS11_E_NS1_11comp_targetILNS1_3genE6ELNS1_11target_archE950ELNS1_3gpuE13ELNS1_3repE0EEENS1_47radix_sort_onesweep_sort_config_static_selectorELNS0_4arch9wavefront6targetE1EEEvSI_.has_dyn_sized_stack, 0
	.set _ZN7rocprim17ROCPRIM_400000_NS6detail17trampoline_kernelINS0_14default_configENS1_35radix_sort_onesweep_config_selectorIiiEEZZNS1_29radix_sort_onesweep_iterationIS3_Lb0EN6thrust23THRUST_200600_302600_NS6detail15normal_iteratorINS8_10device_ptrIiEEEESD_SD_SD_jNS0_19identity_decomposerENS1_16block_id_wrapperIjLb1EEEEE10hipError_tT1_PNSt15iterator_traitsISI_E10value_typeET2_T3_PNSJ_ISO_E10value_typeET4_T5_PST_SU_PNS1_23onesweep_lookback_stateEbbT6_jjT7_P12ihipStream_tbENKUlT_T0_SI_SN_E_clIPiSD_S15_SD_EEDaS11_S12_SI_SN_EUlS11_E_NS1_11comp_targetILNS1_3genE6ELNS1_11target_archE950ELNS1_3gpuE13ELNS1_3repE0EEENS1_47radix_sort_onesweep_sort_config_static_selectorELNS0_4arch9wavefront6targetE1EEEvSI_.has_recursion, 0
	.set _ZN7rocprim17ROCPRIM_400000_NS6detail17trampoline_kernelINS0_14default_configENS1_35radix_sort_onesweep_config_selectorIiiEEZZNS1_29radix_sort_onesweep_iterationIS3_Lb0EN6thrust23THRUST_200600_302600_NS6detail15normal_iteratorINS8_10device_ptrIiEEEESD_SD_SD_jNS0_19identity_decomposerENS1_16block_id_wrapperIjLb1EEEEE10hipError_tT1_PNSt15iterator_traitsISI_E10value_typeET2_T3_PNSJ_ISO_E10value_typeET4_T5_PST_SU_PNS1_23onesweep_lookback_stateEbbT6_jjT7_P12ihipStream_tbENKUlT_T0_SI_SN_E_clIPiSD_S15_SD_EEDaS11_S12_SI_SN_EUlS11_E_NS1_11comp_targetILNS1_3genE6ELNS1_11target_archE950ELNS1_3gpuE13ELNS1_3repE0EEENS1_47radix_sort_onesweep_sort_config_static_selectorELNS0_4arch9wavefront6targetE1EEEvSI_.has_indirect_call, 0
	.section	.AMDGPU.csdata,"",@progbits
; Kernel info:
; codeLenInByte = 22700
; TotalNumSgprs: 79
; NumVgprs: 89
; NumAgprs: 0
; TotalNumVgprs: 89
; ScratchSize: 80
; MemoryBound: 0
; FloatMode: 240
; IeeeMode: 1
; LDSByteSize: 20552 bytes/workgroup (compile time only)
; SGPRBlocks: 9
; VGPRBlocks: 11
; NumSGPRsForWavesPerEU: 79
; NumVGPRsForWavesPerEU: 89
; AccumOffset: 92
; Occupancy: 5
; WaveLimiterHint : 1
; COMPUTE_PGM_RSRC2:SCRATCH_EN: 1
; COMPUTE_PGM_RSRC2:USER_SGPR: 2
; COMPUTE_PGM_RSRC2:TRAP_HANDLER: 0
; COMPUTE_PGM_RSRC2:TGID_X_EN: 1
; COMPUTE_PGM_RSRC2:TGID_Y_EN: 0
; COMPUTE_PGM_RSRC2:TGID_Z_EN: 0
; COMPUTE_PGM_RSRC2:TIDIG_COMP_CNT: 2
; COMPUTE_PGM_RSRC3_GFX90A:ACCUM_OFFSET: 22
; COMPUTE_PGM_RSRC3_GFX90A:TG_SPLIT: 0
	.section	.text._ZN7rocprim17ROCPRIM_400000_NS6detail17trampoline_kernelINS0_14default_configENS1_35radix_sort_onesweep_config_selectorIiiEEZZNS1_29radix_sort_onesweep_iterationIS3_Lb0EN6thrust23THRUST_200600_302600_NS6detail15normal_iteratorINS8_10device_ptrIiEEEESD_SD_SD_jNS0_19identity_decomposerENS1_16block_id_wrapperIjLb1EEEEE10hipError_tT1_PNSt15iterator_traitsISI_E10value_typeET2_T3_PNSJ_ISO_E10value_typeET4_T5_PST_SU_PNS1_23onesweep_lookback_stateEbbT6_jjT7_P12ihipStream_tbENKUlT_T0_SI_SN_E_clIPiSD_S15_SD_EEDaS11_S12_SI_SN_EUlS11_E_NS1_11comp_targetILNS1_3genE5ELNS1_11target_archE942ELNS1_3gpuE9ELNS1_3repE0EEENS1_47radix_sort_onesweep_sort_config_static_selectorELNS0_4arch9wavefront6targetE1EEEvSI_,"axG",@progbits,_ZN7rocprim17ROCPRIM_400000_NS6detail17trampoline_kernelINS0_14default_configENS1_35radix_sort_onesweep_config_selectorIiiEEZZNS1_29radix_sort_onesweep_iterationIS3_Lb0EN6thrust23THRUST_200600_302600_NS6detail15normal_iteratorINS8_10device_ptrIiEEEESD_SD_SD_jNS0_19identity_decomposerENS1_16block_id_wrapperIjLb1EEEEE10hipError_tT1_PNSt15iterator_traitsISI_E10value_typeET2_T3_PNSJ_ISO_E10value_typeET4_T5_PST_SU_PNS1_23onesweep_lookback_stateEbbT6_jjT7_P12ihipStream_tbENKUlT_T0_SI_SN_E_clIPiSD_S15_SD_EEDaS11_S12_SI_SN_EUlS11_E_NS1_11comp_targetILNS1_3genE5ELNS1_11target_archE942ELNS1_3gpuE9ELNS1_3repE0EEENS1_47radix_sort_onesweep_sort_config_static_selectorELNS0_4arch9wavefront6targetE1EEEvSI_,comdat
	.protected	_ZN7rocprim17ROCPRIM_400000_NS6detail17trampoline_kernelINS0_14default_configENS1_35radix_sort_onesweep_config_selectorIiiEEZZNS1_29radix_sort_onesweep_iterationIS3_Lb0EN6thrust23THRUST_200600_302600_NS6detail15normal_iteratorINS8_10device_ptrIiEEEESD_SD_SD_jNS0_19identity_decomposerENS1_16block_id_wrapperIjLb1EEEEE10hipError_tT1_PNSt15iterator_traitsISI_E10value_typeET2_T3_PNSJ_ISO_E10value_typeET4_T5_PST_SU_PNS1_23onesweep_lookback_stateEbbT6_jjT7_P12ihipStream_tbENKUlT_T0_SI_SN_E_clIPiSD_S15_SD_EEDaS11_S12_SI_SN_EUlS11_E_NS1_11comp_targetILNS1_3genE5ELNS1_11target_archE942ELNS1_3gpuE9ELNS1_3repE0EEENS1_47radix_sort_onesweep_sort_config_static_selectorELNS0_4arch9wavefront6targetE1EEEvSI_ ; -- Begin function _ZN7rocprim17ROCPRIM_400000_NS6detail17trampoline_kernelINS0_14default_configENS1_35radix_sort_onesweep_config_selectorIiiEEZZNS1_29radix_sort_onesweep_iterationIS3_Lb0EN6thrust23THRUST_200600_302600_NS6detail15normal_iteratorINS8_10device_ptrIiEEEESD_SD_SD_jNS0_19identity_decomposerENS1_16block_id_wrapperIjLb1EEEEE10hipError_tT1_PNSt15iterator_traitsISI_E10value_typeET2_T3_PNSJ_ISO_E10value_typeET4_T5_PST_SU_PNS1_23onesweep_lookback_stateEbbT6_jjT7_P12ihipStream_tbENKUlT_T0_SI_SN_E_clIPiSD_S15_SD_EEDaS11_S12_SI_SN_EUlS11_E_NS1_11comp_targetILNS1_3genE5ELNS1_11target_archE942ELNS1_3gpuE9ELNS1_3repE0EEENS1_47radix_sort_onesweep_sort_config_static_selectorELNS0_4arch9wavefront6targetE1EEEvSI_
	.globl	_ZN7rocprim17ROCPRIM_400000_NS6detail17trampoline_kernelINS0_14default_configENS1_35radix_sort_onesweep_config_selectorIiiEEZZNS1_29radix_sort_onesweep_iterationIS3_Lb0EN6thrust23THRUST_200600_302600_NS6detail15normal_iteratorINS8_10device_ptrIiEEEESD_SD_SD_jNS0_19identity_decomposerENS1_16block_id_wrapperIjLb1EEEEE10hipError_tT1_PNSt15iterator_traitsISI_E10value_typeET2_T3_PNSJ_ISO_E10value_typeET4_T5_PST_SU_PNS1_23onesweep_lookback_stateEbbT6_jjT7_P12ihipStream_tbENKUlT_T0_SI_SN_E_clIPiSD_S15_SD_EEDaS11_S12_SI_SN_EUlS11_E_NS1_11comp_targetILNS1_3genE5ELNS1_11target_archE942ELNS1_3gpuE9ELNS1_3repE0EEENS1_47radix_sort_onesweep_sort_config_static_selectorELNS0_4arch9wavefront6targetE1EEEvSI_
	.p2align	8
	.type	_ZN7rocprim17ROCPRIM_400000_NS6detail17trampoline_kernelINS0_14default_configENS1_35radix_sort_onesweep_config_selectorIiiEEZZNS1_29radix_sort_onesweep_iterationIS3_Lb0EN6thrust23THRUST_200600_302600_NS6detail15normal_iteratorINS8_10device_ptrIiEEEESD_SD_SD_jNS0_19identity_decomposerENS1_16block_id_wrapperIjLb1EEEEE10hipError_tT1_PNSt15iterator_traitsISI_E10value_typeET2_T3_PNSJ_ISO_E10value_typeET4_T5_PST_SU_PNS1_23onesweep_lookback_stateEbbT6_jjT7_P12ihipStream_tbENKUlT_T0_SI_SN_E_clIPiSD_S15_SD_EEDaS11_S12_SI_SN_EUlS11_E_NS1_11comp_targetILNS1_3genE5ELNS1_11target_archE942ELNS1_3gpuE9ELNS1_3repE0EEENS1_47radix_sort_onesweep_sort_config_static_selectorELNS0_4arch9wavefront6targetE1EEEvSI_,@function
_ZN7rocprim17ROCPRIM_400000_NS6detail17trampoline_kernelINS0_14default_configENS1_35radix_sort_onesweep_config_selectorIiiEEZZNS1_29radix_sort_onesweep_iterationIS3_Lb0EN6thrust23THRUST_200600_302600_NS6detail15normal_iteratorINS8_10device_ptrIiEEEESD_SD_SD_jNS0_19identity_decomposerENS1_16block_id_wrapperIjLb1EEEEE10hipError_tT1_PNSt15iterator_traitsISI_E10value_typeET2_T3_PNSJ_ISO_E10value_typeET4_T5_PST_SU_PNS1_23onesweep_lookback_stateEbbT6_jjT7_P12ihipStream_tbENKUlT_T0_SI_SN_E_clIPiSD_S15_SD_EEDaS11_S12_SI_SN_EUlS11_E_NS1_11comp_targetILNS1_3genE5ELNS1_11target_archE942ELNS1_3gpuE9ELNS1_3repE0EEENS1_47radix_sort_onesweep_sort_config_static_selectorELNS0_4arch9wavefront6targetE1EEEvSI_: ; @_ZN7rocprim17ROCPRIM_400000_NS6detail17trampoline_kernelINS0_14default_configENS1_35radix_sort_onesweep_config_selectorIiiEEZZNS1_29radix_sort_onesweep_iterationIS3_Lb0EN6thrust23THRUST_200600_302600_NS6detail15normal_iteratorINS8_10device_ptrIiEEEESD_SD_SD_jNS0_19identity_decomposerENS1_16block_id_wrapperIjLb1EEEEE10hipError_tT1_PNSt15iterator_traitsISI_E10value_typeET2_T3_PNSJ_ISO_E10value_typeET4_T5_PST_SU_PNS1_23onesweep_lookback_stateEbbT6_jjT7_P12ihipStream_tbENKUlT_T0_SI_SN_E_clIPiSD_S15_SD_EEDaS11_S12_SI_SN_EUlS11_E_NS1_11comp_targetILNS1_3genE5ELNS1_11target_archE942ELNS1_3gpuE9ELNS1_3repE0EEENS1_47radix_sort_onesweep_sort_config_static_selectorELNS0_4arch9wavefront6targetE1EEEvSI_
; %bb.0:
	.section	.rodata,"a",@progbits
	.p2align	6, 0x0
	.amdhsa_kernel _ZN7rocprim17ROCPRIM_400000_NS6detail17trampoline_kernelINS0_14default_configENS1_35radix_sort_onesweep_config_selectorIiiEEZZNS1_29radix_sort_onesweep_iterationIS3_Lb0EN6thrust23THRUST_200600_302600_NS6detail15normal_iteratorINS8_10device_ptrIiEEEESD_SD_SD_jNS0_19identity_decomposerENS1_16block_id_wrapperIjLb1EEEEE10hipError_tT1_PNSt15iterator_traitsISI_E10value_typeET2_T3_PNSJ_ISO_E10value_typeET4_T5_PST_SU_PNS1_23onesweep_lookback_stateEbbT6_jjT7_P12ihipStream_tbENKUlT_T0_SI_SN_E_clIPiSD_S15_SD_EEDaS11_S12_SI_SN_EUlS11_E_NS1_11comp_targetILNS1_3genE5ELNS1_11target_archE942ELNS1_3gpuE9ELNS1_3repE0EEENS1_47radix_sort_onesweep_sort_config_static_selectorELNS0_4arch9wavefront6targetE1EEEvSI_
		.amdhsa_group_segment_fixed_size 0
		.amdhsa_private_segment_fixed_size 0
		.amdhsa_kernarg_size 88
		.amdhsa_user_sgpr_count 2
		.amdhsa_user_sgpr_dispatch_ptr 0
		.amdhsa_user_sgpr_queue_ptr 0
		.amdhsa_user_sgpr_kernarg_segment_ptr 1
		.amdhsa_user_sgpr_dispatch_id 0
		.amdhsa_user_sgpr_kernarg_preload_length 0
		.amdhsa_user_sgpr_kernarg_preload_offset 0
		.amdhsa_user_sgpr_private_segment_size 0
		.amdhsa_uses_dynamic_stack 0
		.amdhsa_enable_private_segment 0
		.amdhsa_system_sgpr_workgroup_id_x 1
		.amdhsa_system_sgpr_workgroup_id_y 0
		.amdhsa_system_sgpr_workgroup_id_z 0
		.amdhsa_system_sgpr_workgroup_info 0
		.amdhsa_system_vgpr_workitem_id 0
		.amdhsa_next_free_vgpr 1
		.amdhsa_next_free_sgpr 0
		.amdhsa_accum_offset 4
		.amdhsa_reserve_vcc 0
		.amdhsa_float_round_mode_32 0
		.amdhsa_float_round_mode_16_64 0
		.amdhsa_float_denorm_mode_32 3
		.amdhsa_float_denorm_mode_16_64 3
		.amdhsa_dx10_clamp 1
		.amdhsa_ieee_mode 1
		.amdhsa_fp16_overflow 0
		.amdhsa_tg_split 0
		.amdhsa_exception_fp_ieee_invalid_op 0
		.amdhsa_exception_fp_denorm_src 0
		.amdhsa_exception_fp_ieee_div_zero 0
		.amdhsa_exception_fp_ieee_overflow 0
		.amdhsa_exception_fp_ieee_underflow 0
		.amdhsa_exception_fp_ieee_inexact 0
		.amdhsa_exception_int_div_zero 0
	.end_amdhsa_kernel
	.section	.text._ZN7rocprim17ROCPRIM_400000_NS6detail17trampoline_kernelINS0_14default_configENS1_35radix_sort_onesweep_config_selectorIiiEEZZNS1_29radix_sort_onesweep_iterationIS3_Lb0EN6thrust23THRUST_200600_302600_NS6detail15normal_iteratorINS8_10device_ptrIiEEEESD_SD_SD_jNS0_19identity_decomposerENS1_16block_id_wrapperIjLb1EEEEE10hipError_tT1_PNSt15iterator_traitsISI_E10value_typeET2_T3_PNSJ_ISO_E10value_typeET4_T5_PST_SU_PNS1_23onesweep_lookback_stateEbbT6_jjT7_P12ihipStream_tbENKUlT_T0_SI_SN_E_clIPiSD_S15_SD_EEDaS11_S12_SI_SN_EUlS11_E_NS1_11comp_targetILNS1_3genE5ELNS1_11target_archE942ELNS1_3gpuE9ELNS1_3repE0EEENS1_47radix_sort_onesweep_sort_config_static_selectorELNS0_4arch9wavefront6targetE1EEEvSI_,"axG",@progbits,_ZN7rocprim17ROCPRIM_400000_NS6detail17trampoline_kernelINS0_14default_configENS1_35radix_sort_onesweep_config_selectorIiiEEZZNS1_29radix_sort_onesweep_iterationIS3_Lb0EN6thrust23THRUST_200600_302600_NS6detail15normal_iteratorINS8_10device_ptrIiEEEESD_SD_SD_jNS0_19identity_decomposerENS1_16block_id_wrapperIjLb1EEEEE10hipError_tT1_PNSt15iterator_traitsISI_E10value_typeET2_T3_PNSJ_ISO_E10value_typeET4_T5_PST_SU_PNS1_23onesweep_lookback_stateEbbT6_jjT7_P12ihipStream_tbENKUlT_T0_SI_SN_E_clIPiSD_S15_SD_EEDaS11_S12_SI_SN_EUlS11_E_NS1_11comp_targetILNS1_3genE5ELNS1_11target_archE942ELNS1_3gpuE9ELNS1_3repE0EEENS1_47radix_sort_onesweep_sort_config_static_selectorELNS0_4arch9wavefront6targetE1EEEvSI_,comdat
.Lfunc_end1439:
	.size	_ZN7rocprim17ROCPRIM_400000_NS6detail17trampoline_kernelINS0_14default_configENS1_35radix_sort_onesweep_config_selectorIiiEEZZNS1_29radix_sort_onesweep_iterationIS3_Lb0EN6thrust23THRUST_200600_302600_NS6detail15normal_iteratorINS8_10device_ptrIiEEEESD_SD_SD_jNS0_19identity_decomposerENS1_16block_id_wrapperIjLb1EEEEE10hipError_tT1_PNSt15iterator_traitsISI_E10value_typeET2_T3_PNSJ_ISO_E10value_typeET4_T5_PST_SU_PNS1_23onesweep_lookback_stateEbbT6_jjT7_P12ihipStream_tbENKUlT_T0_SI_SN_E_clIPiSD_S15_SD_EEDaS11_S12_SI_SN_EUlS11_E_NS1_11comp_targetILNS1_3genE5ELNS1_11target_archE942ELNS1_3gpuE9ELNS1_3repE0EEENS1_47radix_sort_onesweep_sort_config_static_selectorELNS0_4arch9wavefront6targetE1EEEvSI_, .Lfunc_end1439-_ZN7rocprim17ROCPRIM_400000_NS6detail17trampoline_kernelINS0_14default_configENS1_35radix_sort_onesweep_config_selectorIiiEEZZNS1_29radix_sort_onesweep_iterationIS3_Lb0EN6thrust23THRUST_200600_302600_NS6detail15normal_iteratorINS8_10device_ptrIiEEEESD_SD_SD_jNS0_19identity_decomposerENS1_16block_id_wrapperIjLb1EEEEE10hipError_tT1_PNSt15iterator_traitsISI_E10value_typeET2_T3_PNSJ_ISO_E10value_typeET4_T5_PST_SU_PNS1_23onesweep_lookback_stateEbbT6_jjT7_P12ihipStream_tbENKUlT_T0_SI_SN_E_clIPiSD_S15_SD_EEDaS11_S12_SI_SN_EUlS11_E_NS1_11comp_targetILNS1_3genE5ELNS1_11target_archE942ELNS1_3gpuE9ELNS1_3repE0EEENS1_47radix_sort_onesweep_sort_config_static_selectorELNS0_4arch9wavefront6targetE1EEEvSI_
                                        ; -- End function
	.set _ZN7rocprim17ROCPRIM_400000_NS6detail17trampoline_kernelINS0_14default_configENS1_35radix_sort_onesweep_config_selectorIiiEEZZNS1_29radix_sort_onesweep_iterationIS3_Lb0EN6thrust23THRUST_200600_302600_NS6detail15normal_iteratorINS8_10device_ptrIiEEEESD_SD_SD_jNS0_19identity_decomposerENS1_16block_id_wrapperIjLb1EEEEE10hipError_tT1_PNSt15iterator_traitsISI_E10value_typeET2_T3_PNSJ_ISO_E10value_typeET4_T5_PST_SU_PNS1_23onesweep_lookback_stateEbbT6_jjT7_P12ihipStream_tbENKUlT_T0_SI_SN_E_clIPiSD_S15_SD_EEDaS11_S12_SI_SN_EUlS11_E_NS1_11comp_targetILNS1_3genE5ELNS1_11target_archE942ELNS1_3gpuE9ELNS1_3repE0EEENS1_47radix_sort_onesweep_sort_config_static_selectorELNS0_4arch9wavefront6targetE1EEEvSI_.num_vgpr, 0
	.set _ZN7rocprim17ROCPRIM_400000_NS6detail17trampoline_kernelINS0_14default_configENS1_35radix_sort_onesweep_config_selectorIiiEEZZNS1_29radix_sort_onesweep_iterationIS3_Lb0EN6thrust23THRUST_200600_302600_NS6detail15normal_iteratorINS8_10device_ptrIiEEEESD_SD_SD_jNS0_19identity_decomposerENS1_16block_id_wrapperIjLb1EEEEE10hipError_tT1_PNSt15iterator_traitsISI_E10value_typeET2_T3_PNSJ_ISO_E10value_typeET4_T5_PST_SU_PNS1_23onesweep_lookback_stateEbbT6_jjT7_P12ihipStream_tbENKUlT_T0_SI_SN_E_clIPiSD_S15_SD_EEDaS11_S12_SI_SN_EUlS11_E_NS1_11comp_targetILNS1_3genE5ELNS1_11target_archE942ELNS1_3gpuE9ELNS1_3repE0EEENS1_47radix_sort_onesweep_sort_config_static_selectorELNS0_4arch9wavefront6targetE1EEEvSI_.num_agpr, 0
	.set _ZN7rocprim17ROCPRIM_400000_NS6detail17trampoline_kernelINS0_14default_configENS1_35radix_sort_onesweep_config_selectorIiiEEZZNS1_29radix_sort_onesweep_iterationIS3_Lb0EN6thrust23THRUST_200600_302600_NS6detail15normal_iteratorINS8_10device_ptrIiEEEESD_SD_SD_jNS0_19identity_decomposerENS1_16block_id_wrapperIjLb1EEEEE10hipError_tT1_PNSt15iterator_traitsISI_E10value_typeET2_T3_PNSJ_ISO_E10value_typeET4_T5_PST_SU_PNS1_23onesweep_lookback_stateEbbT6_jjT7_P12ihipStream_tbENKUlT_T0_SI_SN_E_clIPiSD_S15_SD_EEDaS11_S12_SI_SN_EUlS11_E_NS1_11comp_targetILNS1_3genE5ELNS1_11target_archE942ELNS1_3gpuE9ELNS1_3repE0EEENS1_47radix_sort_onesweep_sort_config_static_selectorELNS0_4arch9wavefront6targetE1EEEvSI_.numbered_sgpr, 0
	.set _ZN7rocprim17ROCPRIM_400000_NS6detail17trampoline_kernelINS0_14default_configENS1_35radix_sort_onesweep_config_selectorIiiEEZZNS1_29radix_sort_onesweep_iterationIS3_Lb0EN6thrust23THRUST_200600_302600_NS6detail15normal_iteratorINS8_10device_ptrIiEEEESD_SD_SD_jNS0_19identity_decomposerENS1_16block_id_wrapperIjLb1EEEEE10hipError_tT1_PNSt15iterator_traitsISI_E10value_typeET2_T3_PNSJ_ISO_E10value_typeET4_T5_PST_SU_PNS1_23onesweep_lookback_stateEbbT6_jjT7_P12ihipStream_tbENKUlT_T0_SI_SN_E_clIPiSD_S15_SD_EEDaS11_S12_SI_SN_EUlS11_E_NS1_11comp_targetILNS1_3genE5ELNS1_11target_archE942ELNS1_3gpuE9ELNS1_3repE0EEENS1_47radix_sort_onesweep_sort_config_static_selectorELNS0_4arch9wavefront6targetE1EEEvSI_.num_named_barrier, 0
	.set _ZN7rocprim17ROCPRIM_400000_NS6detail17trampoline_kernelINS0_14default_configENS1_35radix_sort_onesweep_config_selectorIiiEEZZNS1_29radix_sort_onesweep_iterationIS3_Lb0EN6thrust23THRUST_200600_302600_NS6detail15normal_iteratorINS8_10device_ptrIiEEEESD_SD_SD_jNS0_19identity_decomposerENS1_16block_id_wrapperIjLb1EEEEE10hipError_tT1_PNSt15iterator_traitsISI_E10value_typeET2_T3_PNSJ_ISO_E10value_typeET4_T5_PST_SU_PNS1_23onesweep_lookback_stateEbbT6_jjT7_P12ihipStream_tbENKUlT_T0_SI_SN_E_clIPiSD_S15_SD_EEDaS11_S12_SI_SN_EUlS11_E_NS1_11comp_targetILNS1_3genE5ELNS1_11target_archE942ELNS1_3gpuE9ELNS1_3repE0EEENS1_47radix_sort_onesweep_sort_config_static_selectorELNS0_4arch9wavefront6targetE1EEEvSI_.private_seg_size, 0
	.set _ZN7rocprim17ROCPRIM_400000_NS6detail17trampoline_kernelINS0_14default_configENS1_35radix_sort_onesweep_config_selectorIiiEEZZNS1_29radix_sort_onesweep_iterationIS3_Lb0EN6thrust23THRUST_200600_302600_NS6detail15normal_iteratorINS8_10device_ptrIiEEEESD_SD_SD_jNS0_19identity_decomposerENS1_16block_id_wrapperIjLb1EEEEE10hipError_tT1_PNSt15iterator_traitsISI_E10value_typeET2_T3_PNSJ_ISO_E10value_typeET4_T5_PST_SU_PNS1_23onesweep_lookback_stateEbbT6_jjT7_P12ihipStream_tbENKUlT_T0_SI_SN_E_clIPiSD_S15_SD_EEDaS11_S12_SI_SN_EUlS11_E_NS1_11comp_targetILNS1_3genE5ELNS1_11target_archE942ELNS1_3gpuE9ELNS1_3repE0EEENS1_47radix_sort_onesweep_sort_config_static_selectorELNS0_4arch9wavefront6targetE1EEEvSI_.uses_vcc, 0
	.set _ZN7rocprim17ROCPRIM_400000_NS6detail17trampoline_kernelINS0_14default_configENS1_35radix_sort_onesweep_config_selectorIiiEEZZNS1_29radix_sort_onesweep_iterationIS3_Lb0EN6thrust23THRUST_200600_302600_NS6detail15normal_iteratorINS8_10device_ptrIiEEEESD_SD_SD_jNS0_19identity_decomposerENS1_16block_id_wrapperIjLb1EEEEE10hipError_tT1_PNSt15iterator_traitsISI_E10value_typeET2_T3_PNSJ_ISO_E10value_typeET4_T5_PST_SU_PNS1_23onesweep_lookback_stateEbbT6_jjT7_P12ihipStream_tbENKUlT_T0_SI_SN_E_clIPiSD_S15_SD_EEDaS11_S12_SI_SN_EUlS11_E_NS1_11comp_targetILNS1_3genE5ELNS1_11target_archE942ELNS1_3gpuE9ELNS1_3repE0EEENS1_47radix_sort_onesweep_sort_config_static_selectorELNS0_4arch9wavefront6targetE1EEEvSI_.uses_flat_scratch, 0
	.set _ZN7rocprim17ROCPRIM_400000_NS6detail17trampoline_kernelINS0_14default_configENS1_35radix_sort_onesweep_config_selectorIiiEEZZNS1_29radix_sort_onesweep_iterationIS3_Lb0EN6thrust23THRUST_200600_302600_NS6detail15normal_iteratorINS8_10device_ptrIiEEEESD_SD_SD_jNS0_19identity_decomposerENS1_16block_id_wrapperIjLb1EEEEE10hipError_tT1_PNSt15iterator_traitsISI_E10value_typeET2_T3_PNSJ_ISO_E10value_typeET4_T5_PST_SU_PNS1_23onesweep_lookback_stateEbbT6_jjT7_P12ihipStream_tbENKUlT_T0_SI_SN_E_clIPiSD_S15_SD_EEDaS11_S12_SI_SN_EUlS11_E_NS1_11comp_targetILNS1_3genE5ELNS1_11target_archE942ELNS1_3gpuE9ELNS1_3repE0EEENS1_47radix_sort_onesweep_sort_config_static_selectorELNS0_4arch9wavefront6targetE1EEEvSI_.has_dyn_sized_stack, 0
	.set _ZN7rocprim17ROCPRIM_400000_NS6detail17trampoline_kernelINS0_14default_configENS1_35radix_sort_onesweep_config_selectorIiiEEZZNS1_29radix_sort_onesweep_iterationIS3_Lb0EN6thrust23THRUST_200600_302600_NS6detail15normal_iteratorINS8_10device_ptrIiEEEESD_SD_SD_jNS0_19identity_decomposerENS1_16block_id_wrapperIjLb1EEEEE10hipError_tT1_PNSt15iterator_traitsISI_E10value_typeET2_T3_PNSJ_ISO_E10value_typeET4_T5_PST_SU_PNS1_23onesweep_lookback_stateEbbT6_jjT7_P12ihipStream_tbENKUlT_T0_SI_SN_E_clIPiSD_S15_SD_EEDaS11_S12_SI_SN_EUlS11_E_NS1_11comp_targetILNS1_3genE5ELNS1_11target_archE942ELNS1_3gpuE9ELNS1_3repE0EEENS1_47radix_sort_onesweep_sort_config_static_selectorELNS0_4arch9wavefront6targetE1EEEvSI_.has_recursion, 0
	.set _ZN7rocprim17ROCPRIM_400000_NS6detail17trampoline_kernelINS0_14default_configENS1_35radix_sort_onesweep_config_selectorIiiEEZZNS1_29radix_sort_onesweep_iterationIS3_Lb0EN6thrust23THRUST_200600_302600_NS6detail15normal_iteratorINS8_10device_ptrIiEEEESD_SD_SD_jNS0_19identity_decomposerENS1_16block_id_wrapperIjLb1EEEEE10hipError_tT1_PNSt15iterator_traitsISI_E10value_typeET2_T3_PNSJ_ISO_E10value_typeET4_T5_PST_SU_PNS1_23onesweep_lookback_stateEbbT6_jjT7_P12ihipStream_tbENKUlT_T0_SI_SN_E_clIPiSD_S15_SD_EEDaS11_S12_SI_SN_EUlS11_E_NS1_11comp_targetILNS1_3genE5ELNS1_11target_archE942ELNS1_3gpuE9ELNS1_3repE0EEENS1_47radix_sort_onesweep_sort_config_static_selectorELNS0_4arch9wavefront6targetE1EEEvSI_.has_indirect_call, 0
	.section	.AMDGPU.csdata,"",@progbits
; Kernel info:
; codeLenInByte = 0
; TotalNumSgprs: 6
; NumVgprs: 0
; NumAgprs: 0
; TotalNumVgprs: 0
; ScratchSize: 0
; MemoryBound: 0
; FloatMode: 240
; IeeeMode: 1
; LDSByteSize: 0 bytes/workgroup (compile time only)
; SGPRBlocks: 0
; VGPRBlocks: 0
; NumSGPRsForWavesPerEU: 6
; NumVGPRsForWavesPerEU: 1
; AccumOffset: 4
; Occupancy: 8
; WaveLimiterHint : 0
; COMPUTE_PGM_RSRC2:SCRATCH_EN: 0
; COMPUTE_PGM_RSRC2:USER_SGPR: 2
; COMPUTE_PGM_RSRC2:TRAP_HANDLER: 0
; COMPUTE_PGM_RSRC2:TGID_X_EN: 1
; COMPUTE_PGM_RSRC2:TGID_Y_EN: 0
; COMPUTE_PGM_RSRC2:TGID_Z_EN: 0
; COMPUTE_PGM_RSRC2:TIDIG_COMP_CNT: 0
; COMPUTE_PGM_RSRC3_GFX90A:ACCUM_OFFSET: 0
; COMPUTE_PGM_RSRC3_GFX90A:TG_SPLIT: 0
	.section	.text._ZN7rocprim17ROCPRIM_400000_NS6detail17trampoline_kernelINS0_14default_configENS1_35radix_sort_onesweep_config_selectorIiiEEZZNS1_29radix_sort_onesweep_iterationIS3_Lb0EN6thrust23THRUST_200600_302600_NS6detail15normal_iteratorINS8_10device_ptrIiEEEESD_SD_SD_jNS0_19identity_decomposerENS1_16block_id_wrapperIjLb1EEEEE10hipError_tT1_PNSt15iterator_traitsISI_E10value_typeET2_T3_PNSJ_ISO_E10value_typeET4_T5_PST_SU_PNS1_23onesweep_lookback_stateEbbT6_jjT7_P12ihipStream_tbENKUlT_T0_SI_SN_E_clIPiSD_S15_SD_EEDaS11_S12_SI_SN_EUlS11_E_NS1_11comp_targetILNS1_3genE2ELNS1_11target_archE906ELNS1_3gpuE6ELNS1_3repE0EEENS1_47radix_sort_onesweep_sort_config_static_selectorELNS0_4arch9wavefront6targetE1EEEvSI_,"axG",@progbits,_ZN7rocprim17ROCPRIM_400000_NS6detail17trampoline_kernelINS0_14default_configENS1_35radix_sort_onesweep_config_selectorIiiEEZZNS1_29radix_sort_onesweep_iterationIS3_Lb0EN6thrust23THRUST_200600_302600_NS6detail15normal_iteratorINS8_10device_ptrIiEEEESD_SD_SD_jNS0_19identity_decomposerENS1_16block_id_wrapperIjLb1EEEEE10hipError_tT1_PNSt15iterator_traitsISI_E10value_typeET2_T3_PNSJ_ISO_E10value_typeET4_T5_PST_SU_PNS1_23onesweep_lookback_stateEbbT6_jjT7_P12ihipStream_tbENKUlT_T0_SI_SN_E_clIPiSD_S15_SD_EEDaS11_S12_SI_SN_EUlS11_E_NS1_11comp_targetILNS1_3genE2ELNS1_11target_archE906ELNS1_3gpuE6ELNS1_3repE0EEENS1_47radix_sort_onesweep_sort_config_static_selectorELNS0_4arch9wavefront6targetE1EEEvSI_,comdat
	.protected	_ZN7rocprim17ROCPRIM_400000_NS6detail17trampoline_kernelINS0_14default_configENS1_35radix_sort_onesweep_config_selectorIiiEEZZNS1_29radix_sort_onesweep_iterationIS3_Lb0EN6thrust23THRUST_200600_302600_NS6detail15normal_iteratorINS8_10device_ptrIiEEEESD_SD_SD_jNS0_19identity_decomposerENS1_16block_id_wrapperIjLb1EEEEE10hipError_tT1_PNSt15iterator_traitsISI_E10value_typeET2_T3_PNSJ_ISO_E10value_typeET4_T5_PST_SU_PNS1_23onesweep_lookback_stateEbbT6_jjT7_P12ihipStream_tbENKUlT_T0_SI_SN_E_clIPiSD_S15_SD_EEDaS11_S12_SI_SN_EUlS11_E_NS1_11comp_targetILNS1_3genE2ELNS1_11target_archE906ELNS1_3gpuE6ELNS1_3repE0EEENS1_47radix_sort_onesweep_sort_config_static_selectorELNS0_4arch9wavefront6targetE1EEEvSI_ ; -- Begin function _ZN7rocprim17ROCPRIM_400000_NS6detail17trampoline_kernelINS0_14default_configENS1_35radix_sort_onesweep_config_selectorIiiEEZZNS1_29radix_sort_onesweep_iterationIS3_Lb0EN6thrust23THRUST_200600_302600_NS6detail15normal_iteratorINS8_10device_ptrIiEEEESD_SD_SD_jNS0_19identity_decomposerENS1_16block_id_wrapperIjLb1EEEEE10hipError_tT1_PNSt15iterator_traitsISI_E10value_typeET2_T3_PNSJ_ISO_E10value_typeET4_T5_PST_SU_PNS1_23onesweep_lookback_stateEbbT6_jjT7_P12ihipStream_tbENKUlT_T0_SI_SN_E_clIPiSD_S15_SD_EEDaS11_S12_SI_SN_EUlS11_E_NS1_11comp_targetILNS1_3genE2ELNS1_11target_archE906ELNS1_3gpuE6ELNS1_3repE0EEENS1_47radix_sort_onesweep_sort_config_static_selectorELNS0_4arch9wavefront6targetE1EEEvSI_
	.globl	_ZN7rocprim17ROCPRIM_400000_NS6detail17trampoline_kernelINS0_14default_configENS1_35radix_sort_onesweep_config_selectorIiiEEZZNS1_29radix_sort_onesweep_iterationIS3_Lb0EN6thrust23THRUST_200600_302600_NS6detail15normal_iteratorINS8_10device_ptrIiEEEESD_SD_SD_jNS0_19identity_decomposerENS1_16block_id_wrapperIjLb1EEEEE10hipError_tT1_PNSt15iterator_traitsISI_E10value_typeET2_T3_PNSJ_ISO_E10value_typeET4_T5_PST_SU_PNS1_23onesweep_lookback_stateEbbT6_jjT7_P12ihipStream_tbENKUlT_T0_SI_SN_E_clIPiSD_S15_SD_EEDaS11_S12_SI_SN_EUlS11_E_NS1_11comp_targetILNS1_3genE2ELNS1_11target_archE906ELNS1_3gpuE6ELNS1_3repE0EEENS1_47radix_sort_onesweep_sort_config_static_selectorELNS0_4arch9wavefront6targetE1EEEvSI_
	.p2align	8
	.type	_ZN7rocprim17ROCPRIM_400000_NS6detail17trampoline_kernelINS0_14default_configENS1_35radix_sort_onesweep_config_selectorIiiEEZZNS1_29radix_sort_onesweep_iterationIS3_Lb0EN6thrust23THRUST_200600_302600_NS6detail15normal_iteratorINS8_10device_ptrIiEEEESD_SD_SD_jNS0_19identity_decomposerENS1_16block_id_wrapperIjLb1EEEEE10hipError_tT1_PNSt15iterator_traitsISI_E10value_typeET2_T3_PNSJ_ISO_E10value_typeET4_T5_PST_SU_PNS1_23onesweep_lookback_stateEbbT6_jjT7_P12ihipStream_tbENKUlT_T0_SI_SN_E_clIPiSD_S15_SD_EEDaS11_S12_SI_SN_EUlS11_E_NS1_11comp_targetILNS1_3genE2ELNS1_11target_archE906ELNS1_3gpuE6ELNS1_3repE0EEENS1_47radix_sort_onesweep_sort_config_static_selectorELNS0_4arch9wavefront6targetE1EEEvSI_,@function
_ZN7rocprim17ROCPRIM_400000_NS6detail17trampoline_kernelINS0_14default_configENS1_35radix_sort_onesweep_config_selectorIiiEEZZNS1_29radix_sort_onesweep_iterationIS3_Lb0EN6thrust23THRUST_200600_302600_NS6detail15normal_iteratorINS8_10device_ptrIiEEEESD_SD_SD_jNS0_19identity_decomposerENS1_16block_id_wrapperIjLb1EEEEE10hipError_tT1_PNSt15iterator_traitsISI_E10value_typeET2_T3_PNSJ_ISO_E10value_typeET4_T5_PST_SU_PNS1_23onesweep_lookback_stateEbbT6_jjT7_P12ihipStream_tbENKUlT_T0_SI_SN_E_clIPiSD_S15_SD_EEDaS11_S12_SI_SN_EUlS11_E_NS1_11comp_targetILNS1_3genE2ELNS1_11target_archE906ELNS1_3gpuE6ELNS1_3repE0EEENS1_47radix_sort_onesweep_sort_config_static_selectorELNS0_4arch9wavefront6targetE1EEEvSI_: ; @_ZN7rocprim17ROCPRIM_400000_NS6detail17trampoline_kernelINS0_14default_configENS1_35radix_sort_onesweep_config_selectorIiiEEZZNS1_29radix_sort_onesweep_iterationIS3_Lb0EN6thrust23THRUST_200600_302600_NS6detail15normal_iteratorINS8_10device_ptrIiEEEESD_SD_SD_jNS0_19identity_decomposerENS1_16block_id_wrapperIjLb1EEEEE10hipError_tT1_PNSt15iterator_traitsISI_E10value_typeET2_T3_PNSJ_ISO_E10value_typeET4_T5_PST_SU_PNS1_23onesweep_lookback_stateEbbT6_jjT7_P12ihipStream_tbENKUlT_T0_SI_SN_E_clIPiSD_S15_SD_EEDaS11_S12_SI_SN_EUlS11_E_NS1_11comp_targetILNS1_3genE2ELNS1_11target_archE906ELNS1_3gpuE6ELNS1_3repE0EEENS1_47radix_sort_onesweep_sort_config_static_selectorELNS0_4arch9wavefront6targetE1EEEvSI_
; %bb.0:
	.section	.rodata,"a",@progbits
	.p2align	6, 0x0
	.amdhsa_kernel _ZN7rocprim17ROCPRIM_400000_NS6detail17trampoline_kernelINS0_14default_configENS1_35radix_sort_onesweep_config_selectorIiiEEZZNS1_29radix_sort_onesweep_iterationIS3_Lb0EN6thrust23THRUST_200600_302600_NS6detail15normal_iteratorINS8_10device_ptrIiEEEESD_SD_SD_jNS0_19identity_decomposerENS1_16block_id_wrapperIjLb1EEEEE10hipError_tT1_PNSt15iterator_traitsISI_E10value_typeET2_T3_PNSJ_ISO_E10value_typeET4_T5_PST_SU_PNS1_23onesweep_lookback_stateEbbT6_jjT7_P12ihipStream_tbENKUlT_T0_SI_SN_E_clIPiSD_S15_SD_EEDaS11_S12_SI_SN_EUlS11_E_NS1_11comp_targetILNS1_3genE2ELNS1_11target_archE906ELNS1_3gpuE6ELNS1_3repE0EEENS1_47radix_sort_onesweep_sort_config_static_selectorELNS0_4arch9wavefront6targetE1EEEvSI_
		.amdhsa_group_segment_fixed_size 0
		.amdhsa_private_segment_fixed_size 0
		.amdhsa_kernarg_size 88
		.amdhsa_user_sgpr_count 2
		.amdhsa_user_sgpr_dispatch_ptr 0
		.amdhsa_user_sgpr_queue_ptr 0
		.amdhsa_user_sgpr_kernarg_segment_ptr 1
		.amdhsa_user_sgpr_dispatch_id 0
		.amdhsa_user_sgpr_kernarg_preload_length 0
		.amdhsa_user_sgpr_kernarg_preload_offset 0
		.amdhsa_user_sgpr_private_segment_size 0
		.amdhsa_uses_dynamic_stack 0
		.amdhsa_enable_private_segment 0
		.amdhsa_system_sgpr_workgroup_id_x 1
		.amdhsa_system_sgpr_workgroup_id_y 0
		.amdhsa_system_sgpr_workgroup_id_z 0
		.amdhsa_system_sgpr_workgroup_info 0
		.amdhsa_system_vgpr_workitem_id 0
		.amdhsa_next_free_vgpr 1
		.amdhsa_next_free_sgpr 0
		.amdhsa_accum_offset 4
		.amdhsa_reserve_vcc 0
		.amdhsa_float_round_mode_32 0
		.amdhsa_float_round_mode_16_64 0
		.amdhsa_float_denorm_mode_32 3
		.amdhsa_float_denorm_mode_16_64 3
		.amdhsa_dx10_clamp 1
		.amdhsa_ieee_mode 1
		.amdhsa_fp16_overflow 0
		.amdhsa_tg_split 0
		.amdhsa_exception_fp_ieee_invalid_op 0
		.amdhsa_exception_fp_denorm_src 0
		.amdhsa_exception_fp_ieee_div_zero 0
		.amdhsa_exception_fp_ieee_overflow 0
		.amdhsa_exception_fp_ieee_underflow 0
		.amdhsa_exception_fp_ieee_inexact 0
		.amdhsa_exception_int_div_zero 0
	.end_amdhsa_kernel
	.section	.text._ZN7rocprim17ROCPRIM_400000_NS6detail17trampoline_kernelINS0_14default_configENS1_35radix_sort_onesweep_config_selectorIiiEEZZNS1_29radix_sort_onesweep_iterationIS3_Lb0EN6thrust23THRUST_200600_302600_NS6detail15normal_iteratorINS8_10device_ptrIiEEEESD_SD_SD_jNS0_19identity_decomposerENS1_16block_id_wrapperIjLb1EEEEE10hipError_tT1_PNSt15iterator_traitsISI_E10value_typeET2_T3_PNSJ_ISO_E10value_typeET4_T5_PST_SU_PNS1_23onesweep_lookback_stateEbbT6_jjT7_P12ihipStream_tbENKUlT_T0_SI_SN_E_clIPiSD_S15_SD_EEDaS11_S12_SI_SN_EUlS11_E_NS1_11comp_targetILNS1_3genE2ELNS1_11target_archE906ELNS1_3gpuE6ELNS1_3repE0EEENS1_47radix_sort_onesweep_sort_config_static_selectorELNS0_4arch9wavefront6targetE1EEEvSI_,"axG",@progbits,_ZN7rocprim17ROCPRIM_400000_NS6detail17trampoline_kernelINS0_14default_configENS1_35radix_sort_onesweep_config_selectorIiiEEZZNS1_29radix_sort_onesweep_iterationIS3_Lb0EN6thrust23THRUST_200600_302600_NS6detail15normal_iteratorINS8_10device_ptrIiEEEESD_SD_SD_jNS0_19identity_decomposerENS1_16block_id_wrapperIjLb1EEEEE10hipError_tT1_PNSt15iterator_traitsISI_E10value_typeET2_T3_PNSJ_ISO_E10value_typeET4_T5_PST_SU_PNS1_23onesweep_lookback_stateEbbT6_jjT7_P12ihipStream_tbENKUlT_T0_SI_SN_E_clIPiSD_S15_SD_EEDaS11_S12_SI_SN_EUlS11_E_NS1_11comp_targetILNS1_3genE2ELNS1_11target_archE906ELNS1_3gpuE6ELNS1_3repE0EEENS1_47radix_sort_onesweep_sort_config_static_selectorELNS0_4arch9wavefront6targetE1EEEvSI_,comdat
.Lfunc_end1440:
	.size	_ZN7rocprim17ROCPRIM_400000_NS6detail17trampoline_kernelINS0_14default_configENS1_35radix_sort_onesweep_config_selectorIiiEEZZNS1_29radix_sort_onesweep_iterationIS3_Lb0EN6thrust23THRUST_200600_302600_NS6detail15normal_iteratorINS8_10device_ptrIiEEEESD_SD_SD_jNS0_19identity_decomposerENS1_16block_id_wrapperIjLb1EEEEE10hipError_tT1_PNSt15iterator_traitsISI_E10value_typeET2_T3_PNSJ_ISO_E10value_typeET4_T5_PST_SU_PNS1_23onesweep_lookback_stateEbbT6_jjT7_P12ihipStream_tbENKUlT_T0_SI_SN_E_clIPiSD_S15_SD_EEDaS11_S12_SI_SN_EUlS11_E_NS1_11comp_targetILNS1_3genE2ELNS1_11target_archE906ELNS1_3gpuE6ELNS1_3repE0EEENS1_47radix_sort_onesweep_sort_config_static_selectorELNS0_4arch9wavefront6targetE1EEEvSI_, .Lfunc_end1440-_ZN7rocprim17ROCPRIM_400000_NS6detail17trampoline_kernelINS0_14default_configENS1_35radix_sort_onesweep_config_selectorIiiEEZZNS1_29radix_sort_onesweep_iterationIS3_Lb0EN6thrust23THRUST_200600_302600_NS6detail15normal_iteratorINS8_10device_ptrIiEEEESD_SD_SD_jNS0_19identity_decomposerENS1_16block_id_wrapperIjLb1EEEEE10hipError_tT1_PNSt15iterator_traitsISI_E10value_typeET2_T3_PNSJ_ISO_E10value_typeET4_T5_PST_SU_PNS1_23onesweep_lookback_stateEbbT6_jjT7_P12ihipStream_tbENKUlT_T0_SI_SN_E_clIPiSD_S15_SD_EEDaS11_S12_SI_SN_EUlS11_E_NS1_11comp_targetILNS1_3genE2ELNS1_11target_archE906ELNS1_3gpuE6ELNS1_3repE0EEENS1_47radix_sort_onesweep_sort_config_static_selectorELNS0_4arch9wavefront6targetE1EEEvSI_
                                        ; -- End function
	.set _ZN7rocprim17ROCPRIM_400000_NS6detail17trampoline_kernelINS0_14default_configENS1_35radix_sort_onesweep_config_selectorIiiEEZZNS1_29radix_sort_onesweep_iterationIS3_Lb0EN6thrust23THRUST_200600_302600_NS6detail15normal_iteratorINS8_10device_ptrIiEEEESD_SD_SD_jNS0_19identity_decomposerENS1_16block_id_wrapperIjLb1EEEEE10hipError_tT1_PNSt15iterator_traitsISI_E10value_typeET2_T3_PNSJ_ISO_E10value_typeET4_T5_PST_SU_PNS1_23onesweep_lookback_stateEbbT6_jjT7_P12ihipStream_tbENKUlT_T0_SI_SN_E_clIPiSD_S15_SD_EEDaS11_S12_SI_SN_EUlS11_E_NS1_11comp_targetILNS1_3genE2ELNS1_11target_archE906ELNS1_3gpuE6ELNS1_3repE0EEENS1_47radix_sort_onesweep_sort_config_static_selectorELNS0_4arch9wavefront6targetE1EEEvSI_.num_vgpr, 0
	.set _ZN7rocprim17ROCPRIM_400000_NS6detail17trampoline_kernelINS0_14default_configENS1_35radix_sort_onesweep_config_selectorIiiEEZZNS1_29radix_sort_onesweep_iterationIS3_Lb0EN6thrust23THRUST_200600_302600_NS6detail15normal_iteratorINS8_10device_ptrIiEEEESD_SD_SD_jNS0_19identity_decomposerENS1_16block_id_wrapperIjLb1EEEEE10hipError_tT1_PNSt15iterator_traitsISI_E10value_typeET2_T3_PNSJ_ISO_E10value_typeET4_T5_PST_SU_PNS1_23onesweep_lookback_stateEbbT6_jjT7_P12ihipStream_tbENKUlT_T0_SI_SN_E_clIPiSD_S15_SD_EEDaS11_S12_SI_SN_EUlS11_E_NS1_11comp_targetILNS1_3genE2ELNS1_11target_archE906ELNS1_3gpuE6ELNS1_3repE0EEENS1_47radix_sort_onesweep_sort_config_static_selectorELNS0_4arch9wavefront6targetE1EEEvSI_.num_agpr, 0
	.set _ZN7rocprim17ROCPRIM_400000_NS6detail17trampoline_kernelINS0_14default_configENS1_35radix_sort_onesweep_config_selectorIiiEEZZNS1_29radix_sort_onesweep_iterationIS3_Lb0EN6thrust23THRUST_200600_302600_NS6detail15normal_iteratorINS8_10device_ptrIiEEEESD_SD_SD_jNS0_19identity_decomposerENS1_16block_id_wrapperIjLb1EEEEE10hipError_tT1_PNSt15iterator_traitsISI_E10value_typeET2_T3_PNSJ_ISO_E10value_typeET4_T5_PST_SU_PNS1_23onesweep_lookback_stateEbbT6_jjT7_P12ihipStream_tbENKUlT_T0_SI_SN_E_clIPiSD_S15_SD_EEDaS11_S12_SI_SN_EUlS11_E_NS1_11comp_targetILNS1_3genE2ELNS1_11target_archE906ELNS1_3gpuE6ELNS1_3repE0EEENS1_47radix_sort_onesweep_sort_config_static_selectorELNS0_4arch9wavefront6targetE1EEEvSI_.numbered_sgpr, 0
	.set _ZN7rocprim17ROCPRIM_400000_NS6detail17trampoline_kernelINS0_14default_configENS1_35radix_sort_onesweep_config_selectorIiiEEZZNS1_29radix_sort_onesweep_iterationIS3_Lb0EN6thrust23THRUST_200600_302600_NS6detail15normal_iteratorINS8_10device_ptrIiEEEESD_SD_SD_jNS0_19identity_decomposerENS1_16block_id_wrapperIjLb1EEEEE10hipError_tT1_PNSt15iterator_traitsISI_E10value_typeET2_T3_PNSJ_ISO_E10value_typeET4_T5_PST_SU_PNS1_23onesweep_lookback_stateEbbT6_jjT7_P12ihipStream_tbENKUlT_T0_SI_SN_E_clIPiSD_S15_SD_EEDaS11_S12_SI_SN_EUlS11_E_NS1_11comp_targetILNS1_3genE2ELNS1_11target_archE906ELNS1_3gpuE6ELNS1_3repE0EEENS1_47radix_sort_onesweep_sort_config_static_selectorELNS0_4arch9wavefront6targetE1EEEvSI_.num_named_barrier, 0
	.set _ZN7rocprim17ROCPRIM_400000_NS6detail17trampoline_kernelINS0_14default_configENS1_35radix_sort_onesweep_config_selectorIiiEEZZNS1_29radix_sort_onesweep_iterationIS3_Lb0EN6thrust23THRUST_200600_302600_NS6detail15normal_iteratorINS8_10device_ptrIiEEEESD_SD_SD_jNS0_19identity_decomposerENS1_16block_id_wrapperIjLb1EEEEE10hipError_tT1_PNSt15iterator_traitsISI_E10value_typeET2_T3_PNSJ_ISO_E10value_typeET4_T5_PST_SU_PNS1_23onesweep_lookback_stateEbbT6_jjT7_P12ihipStream_tbENKUlT_T0_SI_SN_E_clIPiSD_S15_SD_EEDaS11_S12_SI_SN_EUlS11_E_NS1_11comp_targetILNS1_3genE2ELNS1_11target_archE906ELNS1_3gpuE6ELNS1_3repE0EEENS1_47radix_sort_onesweep_sort_config_static_selectorELNS0_4arch9wavefront6targetE1EEEvSI_.private_seg_size, 0
	.set _ZN7rocprim17ROCPRIM_400000_NS6detail17trampoline_kernelINS0_14default_configENS1_35radix_sort_onesweep_config_selectorIiiEEZZNS1_29radix_sort_onesweep_iterationIS3_Lb0EN6thrust23THRUST_200600_302600_NS6detail15normal_iteratorINS8_10device_ptrIiEEEESD_SD_SD_jNS0_19identity_decomposerENS1_16block_id_wrapperIjLb1EEEEE10hipError_tT1_PNSt15iterator_traitsISI_E10value_typeET2_T3_PNSJ_ISO_E10value_typeET4_T5_PST_SU_PNS1_23onesweep_lookback_stateEbbT6_jjT7_P12ihipStream_tbENKUlT_T0_SI_SN_E_clIPiSD_S15_SD_EEDaS11_S12_SI_SN_EUlS11_E_NS1_11comp_targetILNS1_3genE2ELNS1_11target_archE906ELNS1_3gpuE6ELNS1_3repE0EEENS1_47radix_sort_onesweep_sort_config_static_selectorELNS0_4arch9wavefront6targetE1EEEvSI_.uses_vcc, 0
	.set _ZN7rocprim17ROCPRIM_400000_NS6detail17trampoline_kernelINS0_14default_configENS1_35radix_sort_onesweep_config_selectorIiiEEZZNS1_29radix_sort_onesweep_iterationIS3_Lb0EN6thrust23THRUST_200600_302600_NS6detail15normal_iteratorINS8_10device_ptrIiEEEESD_SD_SD_jNS0_19identity_decomposerENS1_16block_id_wrapperIjLb1EEEEE10hipError_tT1_PNSt15iterator_traitsISI_E10value_typeET2_T3_PNSJ_ISO_E10value_typeET4_T5_PST_SU_PNS1_23onesweep_lookback_stateEbbT6_jjT7_P12ihipStream_tbENKUlT_T0_SI_SN_E_clIPiSD_S15_SD_EEDaS11_S12_SI_SN_EUlS11_E_NS1_11comp_targetILNS1_3genE2ELNS1_11target_archE906ELNS1_3gpuE6ELNS1_3repE0EEENS1_47radix_sort_onesweep_sort_config_static_selectorELNS0_4arch9wavefront6targetE1EEEvSI_.uses_flat_scratch, 0
	.set _ZN7rocprim17ROCPRIM_400000_NS6detail17trampoline_kernelINS0_14default_configENS1_35radix_sort_onesweep_config_selectorIiiEEZZNS1_29radix_sort_onesweep_iterationIS3_Lb0EN6thrust23THRUST_200600_302600_NS6detail15normal_iteratorINS8_10device_ptrIiEEEESD_SD_SD_jNS0_19identity_decomposerENS1_16block_id_wrapperIjLb1EEEEE10hipError_tT1_PNSt15iterator_traitsISI_E10value_typeET2_T3_PNSJ_ISO_E10value_typeET4_T5_PST_SU_PNS1_23onesweep_lookback_stateEbbT6_jjT7_P12ihipStream_tbENKUlT_T0_SI_SN_E_clIPiSD_S15_SD_EEDaS11_S12_SI_SN_EUlS11_E_NS1_11comp_targetILNS1_3genE2ELNS1_11target_archE906ELNS1_3gpuE6ELNS1_3repE0EEENS1_47radix_sort_onesweep_sort_config_static_selectorELNS0_4arch9wavefront6targetE1EEEvSI_.has_dyn_sized_stack, 0
	.set _ZN7rocprim17ROCPRIM_400000_NS6detail17trampoline_kernelINS0_14default_configENS1_35radix_sort_onesweep_config_selectorIiiEEZZNS1_29radix_sort_onesweep_iterationIS3_Lb0EN6thrust23THRUST_200600_302600_NS6detail15normal_iteratorINS8_10device_ptrIiEEEESD_SD_SD_jNS0_19identity_decomposerENS1_16block_id_wrapperIjLb1EEEEE10hipError_tT1_PNSt15iterator_traitsISI_E10value_typeET2_T3_PNSJ_ISO_E10value_typeET4_T5_PST_SU_PNS1_23onesweep_lookback_stateEbbT6_jjT7_P12ihipStream_tbENKUlT_T0_SI_SN_E_clIPiSD_S15_SD_EEDaS11_S12_SI_SN_EUlS11_E_NS1_11comp_targetILNS1_3genE2ELNS1_11target_archE906ELNS1_3gpuE6ELNS1_3repE0EEENS1_47radix_sort_onesweep_sort_config_static_selectorELNS0_4arch9wavefront6targetE1EEEvSI_.has_recursion, 0
	.set _ZN7rocprim17ROCPRIM_400000_NS6detail17trampoline_kernelINS0_14default_configENS1_35radix_sort_onesweep_config_selectorIiiEEZZNS1_29radix_sort_onesweep_iterationIS3_Lb0EN6thrust23THRUST_200600_302600_NS6detail15normal_iteratorINS8_10device_ptrIiEEEESD_SD_SD_jNS0_19identity_decomposerENS1_16block_id_wrapperIjLb1EEEEE10hipError_tT1_PNSt15iterator_traitsISI_E10value_typeET2_T3_PNSJ_ISO_E10value_typeET4_T5_PST_SU_PNS1_23onesweep_lookback_stateEbbT6_jjT7_P12ihipStream_tbENKUlT_T0_SI_SN_E_clIPiSD_S15_SD_EEDaS11_S12_SI_SN_EUlS11_E_NS1_11comp_targetILNS1_3genE2ELNS1_11target_archE906ELNS1_3gpuE6ELNS1_3repE0EEENS1_47radix_sort_onesweep_sort_config_static_selectorELNS0_4arch9wavefront6targetE1EEEvSI_.has_indirect_call, 0
	.section	.AMDGPU.csdata,"",@progbits
; Kernel info:
; codeLenInByte = 0
; TotalNumSgprs: 6
; NumVgprs: 0
; NumAgprs: 0
; TotalNumVgprs: 0
; ScratchSize: 0
; MemoryBound: 0
; FloatMode: 240
; IeeeMode: 1
; LDSByteSize: 0 bytes/workgroup (compile time only)
; SGPRBlocks: 0
; VGPRBlocks: 0
; NumSGPRsForWavesPerEU: 6
; NumVGPRsForWavesPerEU: 1
; AccumOffset: 4
; Occupancy: 8
; WaveLimiterHint : 0
; COMPUTE_PGM_RSRC2:SCRATCH_EN: 0
; COMPUTE_PGM_RSRC2:USER_SGPR: 2
; COMPUTE_PGM_RSRC2:TRAP_HANDLER: 0
; COMPUTE_PGM_RSRC2:TGID_X_EN: 1
; COMPUTE_PGM_RSRC2:TGID_Y_EN: 0
; COMPUTE_PGM_RSRC2:TGID_Z_EN: 0
; COMPUTE_PGM_RSRC2:TIDIG_COMP_CNT: 0
; COMPUTE_PGM_RSRC3_GFX90A:ACCUM_OFFSET: 0
; COMPUTE_PGM_RSRC3_GFX90A:TG_SPLIT: 0
	.section	.text._ZN7rocprim17ROCPRIM_400000_NS6detail17trampoline_kernelINS0_14default_configENS1_35radix_sort_onesweep_config_selectorIiiEEZZNS1_29radix_sort_onesweep_iterationIS3_Lb0EN6thrust23THRUST_200600_302600_NS6detail15normal_iteratorINS8_10device_ptrIiEEEESD_SD_SD_jNS0_19identity_decomposerENS1_16block_id_wrapperIjLb1EEEEE10hipError_tT1_PNSt15iterator_traitsISI_E10value_typeET2_T3_PNSJ_ISO_E10value_typeET4_T5_PST_SU_PNS1_23onesweep_lookback_stateEbbT6_jjT7_P12ihipStream_tbENKUlT_T0_SI_SN_E_clIPiSD_S15_SD_EEDaS11_S12_SI_SN_EUlS11_E_NS1_11comp_targetILNS1_3genE4ELNS1_11target_archE910ELNS1_3gpuE8ELNS1_3repE0EEENS1_47radix_sort_onesweep_sort_config_static_selectorELNS0_4arch9wavefront6targetE1EEEvSI_,"axG",@progbits,_ZN7rocprim17ROCPRIM_400000_NS6detail17trampoline_kernelINS0_14default_configENS1_35radix_sort_onesweep_config_selectorIiiEEZZNS1_29radix_sort_onesweep_iterationIS3_Lb0EN6thrust23THRUST_200600_302600_NS6detail15normal_iteratorINS8_10device_ptrIiEEEESD_SD_SD_jNS0_19identity_decomposerENS1_16block_id_wrapperIjLb1EEEEE10hipError_tT1_PNSt15iterator_traitsISI_E10value_typeET2_T3_PNSJ_ISO_E10value_typeET4_T5_PST_SU_PNS1_23onesweep_lookback_stateEbbT6_jjT7_P12ihipStream_tbENKUlT_T0_SI_SN_E_clIPiSD_S15_SD_EEDaS11_S12_SI_SN_EUlS11_E_NS1_11comp_targetILNS1_3genE4ELNS1_11target_archE910ELNS1_3gpuE8ELNS1_3repE0EEENS1_47radix_sort_onesweep_sort_config_static_selectorELNS0_4arch9wavefront6targetE1EEEvSI_,comdat
	.protected	_ZN7rocprim17ROCPRIM_400000_NS6detail17trampoline_kernelINS0_14default_configENS1_35radix_sort_onesweep_config_selectorIiiEEZZNS1_29radix_sort_onesweep_iterationIS3_Lb0EN6thrust23THRUST_200600_302600_NS6detail15normal_iteratorINS8_10device_ptrIiEEEESD_SD_SD_jNS0_19identity_decomposerENS1_16block_id_wrapperIjLb1EEEEE10hipError_tT1_PNSt15iterator_traitsISI_E10value_typeET2_T3_PNSJ_ISO_E10value_typeET4_T5_PST_SU_PNS1_23onesweep_lookback_stateEbbT6_jjT7_P12ihipStream_tbENKUlT_T0_SI_SN_E_clIPiSD_S15_SD_EEDaS11_S12_SI_SN_EUlS11_E_NS1_11comp_targetILNS1_3genE4ELNS1_11target_archE910ELNS1_3gpuE8ELNS1_3repE0EEENS1_47radix_sort_onesweep_sort_config_static_selectorELNS0_4arch9wavefront6targetE1EEEvSI_ ; -- Begin function _ZN7rocprim17ROCPRIM_400000_NS6detail17trampoline_kernelINS0_14default_configENS1_35radix_sort_onesweep_config_selectorIiiEEZZNS1_29radix_sort_onesweep_iterationIS3_Lb0EN6thrust23THRUST_200600_302600_NS6detail15normal_iteratorINS8_10device_ptrIiEEEESD_SD_SD_jNS0_19identity_decomposerENS1_16block_id_wrapperIjLb1EEEEE10hipError_tT1_PNSt15iterator_traitsISI_E10value_typeET2_T3_PNSJ_ISO_E10value_typeET4_T5_PST_SU_PNS1_23onesweep_lookback_stateEbbT6_jjT7_P12ihipStream_tbENKUlT_T0_SI_SN_E_clIPiSD_S15_SD_EEDaS11_S12_SI_SN_EUlS11_E_NS1_11comp_targetILNS1_3genE4ELNS1_11target_archE910ELNS1_3gpuE8ELNS1_3repE0EEENS1_47radix_sort_onesweep_sort_config_static_selectorELNS0_4arch9wavefront6targetE1EEEvSI_
	.globl	_ZN7rocprim17ROCPRIM_400000_NS6detail17trampoline_kernelINS0_14default_configENS1_35radix_sort_onesweep_config_selectorIiiEEZZNS1_29radix_sort_onesweep_iterationIS3_Lb0EN6thrust23THRUST_200600_302600_NS6detail15normal_iteratorINS8_10device_ptrIiEEEESD_SD_SD_jNS0_19identity_decomposerENS1_16block_id_wrapperIjLb1EEEEE10hipError_tT1_PNSt15iterator_traitsISI_E10value_typeET2_T3_PNSJ_ISO_E10value_typeET4_T5_PST_SU_PNS1_23onesweep_lookback_stateEbbT6_jjT7_P12ihipStream_tbENKUlT_T0_SI_SN_E_clIPiSD_S15_SD_EEDaS11_S12_SI_SN_EUlS11_E_NS1_11comp_targetILNS1_3genE4ELNS1_11target_archE910ELNS1_3gpuE8ELNS1_3repE0EEENS1_47radix_sort_onesweep_sort_config_static_selectorELNS0_4arch9wavefront6targetE1EEEvSI_
	.p2align	8
	.type	_ZN7rocprim17ROCPRIM_400000_NS6detail17trampoline_kernelINS0_14default_configENS1_35radix_sort_onesweep_config_selectorIiiEEZZNS1_29radix_sort_onesweep_iterationIS3_Lb0EN6thrust23THRUST_200600_302600_NS6detail15normal_iteratorINS8_10device_ptrIiEEEESD_SD_SD_jNS0_19identity_decomposerENS1_16block_id_wrapperIjLb1EEEEE10hipError_tT1_PNSt15iterator_traitsISI_E10value_typeET2_T3_PNSJ_ISO_E10value_typeET4_T5_PST_SU_PNS1_23onesweep_lookback_stateEbbT6_jjT7_P12ihipStream_tbENKUlT_T0_SI_SN_E_clIPiSD_S15_SD_EEDaS11_S12_SI_SN_EUlS11_E_NS1_11comp_targetILNS1_3genE4ELNS1_11target_archE910ELNS1_3gpuE8ELNS1_3repE0EEENS1_47radix_sort_onesweep_sort_config_static_selectorELNS0_4arch9wavefront6targetE1EEEvSI_,@function
_ZN7rocprim17ROCPRIM_400000_NS6detail17trampoline_kernelINS0_14default_configENS1_35radix_sort_onesweep_config_selectorIiiEEZZNS1_29radix_sort_onesweep_iterationIS3_Lb0EN6thrust23THRUST_200600_302600_NS6detail15normal_iteratorINS8_10device_ptrIiEEEESD_SD_SD_jNS0_19identity_decomposerENS1_16block_id_wrapperIjLb1EEEEE10hipError_tT1_PNSt15iterator_traitsISI_E10value_typeET2_T3_PNSJ_ISO_E10value_typeET4_T5_PST_SU_PNS1_23onesweep_lookback_stateEbbT6_jjT7_P12ihipStream_tbENKUlT_T0_SI_SN_E_clIPiSD_S15_SD_EEDaS11_S12_SI_SN_EUlS11_E_NS1_11comp_targetILNS1_3genE4ELNS1_11target_archE910ELNS1_3gpuE8ELNS1_3repE0EEENS1_47radix_sort_onesweep_sort_config_static_selectorELNS0_4arch9wavefront6targetE1EEEvSI_: ; @_ZN7rocprim17ROCPRIM_400000_NS6detail17trampoline_kernelINS0_14default_configENS1_35radix_sort_onesweep_config_selectorIiiEEZZNS1_29radix_sort_onesweep_iterationIS3_Lb0EN6thrust23THRUST_200600_302600_NS6detail15normal_iteratorINS8_10device_ptrIiEEEESD_SD_SD_jNS0_19identity_decomposerENS1_16block_id_wrapperIjLb1EEEEE10hipError_tT1_PNSt15iterator_traitsISI_E10value_typeET2_T3_PNSJ_ISO_E10value_typeET4_T5_PST_SU_PNS1_23onesweep_lookback_stateEbbT6_jjT7_P12ihipStream_tbENKUlT_T0_SI_SN_E_clIPiSD_S15_SD_EEDaS11_S12_SI_SN_EUlS11_E_NS1_11comp_targetILNS1_3genE4ELNS1_11target_archE910ELNS1_3gpuE8ELNS1_3repE0EEENS1_47radix_sort_onesweep_sort_config_static_selectorELNS0_4arch9wavefront6targetE1EEEvSI_
; %bb.0:
	.section	.rodata,"a",@progbits
	.p2align	6, 0x0
	.amdhsa_kernel _ZN7rocprim17ROCPRIM_400000_NS6detail17trampoline_kernelINS0_14default_configENS1_35radix_sort_onesweep_config_selectorIiiEEZZNS1_29radix_sort_onesweep_iterationIS3_Lb0EN6thrust23THRUST_200600_302600_NS6detail15normal_iteratorINS8_10device_ptrIiEEEESD_SD_SD_jNS0_19identity_decomposerENS1_16block_id_wrapperIjLb1EEEEE10hipError_tT1_PNSt15iterator_traitsISI_E10value_typeET2_T3_PNSJ_ISO_E10value_typeET4_T5_PST_SU_PNS1_23onesweep_lookback_stateEbbT6_jjT7_P12ihipStream_tbENKUlT_T0_SI_SN_E_clIPiSD_S15_SD_EEDaS11_S12_SI_SN_EUlS11_E_NS1_11comp_targetILNS1_3genE4ELNS1_11target_archE910ELNS1_3gpuE8ELNS1_3repE0EEENS1_47radix_sort_onesweep_sort_config_static_selectorELNS0_4arch9wavefront6targetE1EEEvSI_
		.amdhsa_group_segment_fixed_size 0
		.amdhsa_private_segment_fixed_size 0
		.amdhsa_kernarg_size 88
		.amdhsa_user_sgpr_count 2
		.amdhsa_user_sgpr_dispatch_ptr 0
		.amdhsa_user_sgpr_queue_ptr 0
		.amdhsa_user_sgpr_kernarg_segment_ptr 1
		.amdhsa_user_sgpr_dispatch_id 0
		.amdhsa_user_sgpr_kernarg_preload_length 0
		.amdhsa_user_sgpr_kernarg_preload_offset 0
		.amdhsa_user_sgpr_private_segment_size 0
		.amdhsa_uses_dynamic_stack 0
		.amdhsa_enable_private_segment 0
		.amdhsa_system_sgpr_workgroup_id_x 1
		.amdhsa_system_sgpr_workgroup_id_y 0
		.amdhsa_system_sgpr_workgroup_id_z 0
		.amdhsa_system_sgpr_workgroup_info 0
		.amdhsa_system_vgpr_workitem_id 0
		.amdhsa_next_free_vgpr 1
		.amdhsa_next_free_sgpr 0
		.amdhsa_accum_offset 4
		.amdhsa_reserve_vcc 0
		.amdhsa_float_round_mode_32 0
		.amdhsa_float_round_mode_16_64 0
		.amdhsa_float_denorm_mode_32 3
		.amdhsa_float_denorm_mode_16_64 3
		.amdhsa_dx10_clamp 1
		.amdhsa_ieee_mode 1
		.amdhsa_fp16_overflow 0
		.amdhsa_tg_split 0
		.amdhsa_exception_fp_ieee_invalid_op 0
		.amdhsa_exception_fp_denorm_src 0
		.amdhsa_exception_fp_ieee_div_zero 0
		.amdhsa_exception_fp_ieee_overflow 0
		.amdhsa_exception_fp_ieee_underflow 0
		.amdhsa_exception_fp_ieee_inexact 0
		.amdhsa_exception_int_div_zero 0
	.end_amdhsa_kernel
	.section	.text._ZN7rocprim17ROCPRIM_400000_NS6detail17trampoline_kernelINS0_14default_configENS1_35radix_sort_onesweep_config_selectorIiiEEZZNS1_29radix_sort_onesweep_iterationIS3_Lb0EN6thrust23THRUST_200600_302600_NS6detail15normal_iteratorINS8_10device_ptrIiEEEESD_SD_SD_jNS0_19identity_decomposerENS1_16block_id_wrapperIjLb1EEEEE10hipError_tT1_PNSt15iterator_traitsISI_E10value_typeET2_T3_PNSJ_ISO_E10value_typeET4_T5_PST_SU_PNS1_23onesweep_lookback_stateEbbT6_jjT7_P12ihipStream_tbENKUlT_T0_SI_SN_E_clIPiSD_S15_SD_EEDaS11_S12_SI_SN_EUlS11_E_NS1_11comp_targetILNS1_3genE4ELNS1_11target_archE910ELNS1_3gpuE8ELNS1_3repE0EEENS1_47radix_sort_onesweep_sort_config_static_selectorELNS0_4arch9wavefront6targetE1EEEvSI_,"axG",@progbits,_ZN7rocprim17ROCPRIM_400000_NS6detail17trampoline_kernelINS0_14default_configENS1_35radix_sort_onesweep_config_selectorIiiEEZZNS1_29radix_sort_onesweep_iterationIS3_Lb0EN6thrust23THRUST_200600_302600_NS6detail15normal_iteratorINS8_10device_ptrIiEEEESD_SD_SD_jNS0_19identity_decomposerENS1_16block_id_wrapperIjLb1EEEEE10hipError_tT1_PNSt15iterator_traitsISI_E10value_typeET2_T3_PNSJ_ISO_E10value_typeET4_T5_PST_SU_PNS1_23onesweep_lookback_stateEbbT6_jjT7_P12ihipStream_tbENKUlT_T0_SI_SN_E_clIPiSD_S15_SD_EEDaS11_S12_SI_SN_EUlS11_E_NS1_11comp_targetILNS1_3genE4ELNS1_11target_archE910ELNS1_3gpuE8ELNS1_3repE0EEENS1_47radix_sort_onesweep_sort_config_static_selectorELNS0_4arch9wavefront6targetE1EEEvSI_,comdat
.Lfunc_end1441:
	.size	_ZN7rocprim17ROCPRIM_400000_NS6detail17trampoline_kernelINS0_14default_configENS1_35radix_sort_onesweep_config_selectorIiiEEZZNS1_29radix_sort_onesweep_iterationIS3_Lb0EN6thrust23THRUST_200600_302600_NS6detail15normal_iteratorINS8_10device_ptrIiEEEESD_SD_SD_jNS0_19identity_decomposerENS1_16block_id_wrapperIjLb1EEEEE10hipError_tT1_PNSt15iterator_traitsISI_E10value_typeET2_T3_PNSJ_ISO_E10value_typeET4_T5_PST_SU_PNS1_23onesweep_lookback_stateEbbT6_jjT7_P12ihipStream_tbENKUlT_T0_SI_SN_E_clIPiSD_S15_SD_EEDaS11_S12_SI_SN_EUlS11_E_NS1_11comp_targetILNS1_3genE4ELNS1_11target_archE910ELNS1_3gpuE8ELNS1_3repE0EEENS1_47radix_sort_onesweep_sort_config_static_selectorELNS0_4arch9wavefront6targetE1EEEvSI_, .Lfunc_end1441-_ZN7rocprim17ROCPRIM_400000_NS6detail17trampoline_kernelINS0_14default_configENS1_35radix_sort_onesweep_config_selectorIiiEEZZNS1_29radix_sort_onesweep_iterationIS3_Lb0EN6thrust23THRUST_200600_302600_NS6detail15normal_iteratorINS8_10device_ptrIiEEEESD_SD_SD_jNS0_19identity_decomposerENS1_16block_id_wrapperIjLb1EEEEE10hipError_tT1_PNSt15iterator_traitsISI_E10value_typeET2_T3_PNSJ_ISO_E10value_typeET4_T5_PST_SU_PNS1_23onesweep_lookback_stateEbbT6_jjT7_P12ihipStream_tbENKUlT_T0_SI_SN_E_clIPiSD_S15_SD_EEDaS11_S12_SI_SN_EUlS11_E_NS1_11comp_targetILNS1_3genE4ELNS1_11target_archE910ELNS1_3gpuE8ELNS1_3repE0EEENS1_47radix_sort_onesweep_sort_config_static_selectorELNS0_4arch9wavefront6targetE1EEEvSI_
                                        ; -- End function
	.set _ZN7rocprim17ROCPRIM_400000_NS6detail17trampoline_kernelINS0_14default_configENS1_35radix_sort_onesweep_config_selectorIiiEEZZNS1_29radix_sort_onesweep_iterationIS3_Lb0EN6thrust23THRUST_200600_302600_NS6detail15normal_iteratorINS8_10device_ptrIiEEEESD_SD_SD_jNS0_19identity_decomposerENS1_16block_id_wrapperIjLb1EEEEE10hipError_tT1_PNSt15iterator_traitsISI_E10value_typeET2_T3_PNSJ_ISO_E10value_typeET4_T5_PST_SU_PNS1_23onesweep_lookback_stateEbbT6_jjT7_P12ihipStream_tbENKUlT_T0_SI_SN_E_clIPiSD_S15_SD_EEDaS11_S12_SI_SN_EUlS11_E_NS1_11comp_targetILNS1_3genE4ELNS1_11target_archE910ELNS1_3gpuE8ELNS1_3repE0EEENS1_47radix_sort_onesweep_sort_config_static_selectorELNS0_4arch9wavefront6targetE1EEEvSI_.num_vgpr, 0
	.set _ZN7rocprim17ROCPRIM_400000_NS6detail17trampoline_kernelINS0_14default_configENS1_35radix_sort_onesweep_config_selectorIiiEEZZNS1_29radix_sort_onesweep_iterationIS3_Lb0EN6thrust23THRUST_200600_302600_NS6detail15normal_iteratorINS8_10device_ptrIiEEEESD_SD_SD_jNS0_19identity_decomposerENS1_16block_id_wrapperIjLb1EEEEE10hipError_tT1_PNSt15iterator_traitsISI_E10value_typeET2_T3_PNSJ_ISO_E10value_typeET4_T5_PST_SU_PNS1_23onesweep_lookback_stateEbbT6_jjT7_P12ihipStream_tbENKUlT_T0_SI_SN_E_clIPiSD_S15_SD_EEDaS11_S12_SI_SN_EUlS11_E_NS1_11comp_targetILNS1_3genE4ELNS1_11target_archE910ELNS1_3gpuE8ELNS1_3repE0EEENS1_47radix_sort_onesweep_sort_config_static_selectorELNS0_4arch9wavefront6targetE1EEEvSI_.num_agpr, 0
	.set _ZN7rocprim17ROCPRIM_400000_NS6detail17trampoline_kernelINS0_14default_configENS1_35radix_sort_onesweep_config_selectorIiiEEZZNS1_29radix_sort_onesweep_iterationIS3_Lb0EN6thrust23THRUST_200600_302600_NS6detail15normal_iteratorINS8_10device_ptrIiEEEESD_SD_SD_jNS0_19identity_decomposerENS1_16block_id_wrapperIjLb1EEEEE10hipError_tT1_PNSt15iterator_traitsISI_E10value_typeET2_T3_PNSJ_ISO_E10value_typeET4_T5_PST_SU_PNS1_23onesweep_lookback_stateEbbT6_jjT7_P12ihipStream_tbENKUlT_T0_SI_SN_E_clIPiSD_S15_SD_EEDaS11_S12_SI_SN_EUlS11_E_NS1_11comp_targetILNS1_3genE4ELNS1_11target_archE910ELNS1_3gpuE8ELNS1_3repE0EEENS1_47radix_sort_onesweep_sort_config_static_selectorELNS0_4arch9wavefront6targetE1EEEvSI_.numbered_sgpr, 0
	.set _ZN7rocprim17ROCPRIM_400000_NS6detail17trampoline_kernelINS0_14default_configENS1_35radix_sort_onesweep_config_selectorIiiEEZZNS1_29radix_sort_onesweep_iterationIS3_Lb0EN6thrust23THRUST_200600_302600_NS6detail15normal_iteratorINS8_10device_ptrIiEEEESD_SD_SD_jNS0_19identity_decomposerENS1_16block_id_wrapperIjLb1EEEEE10hipError_tT1_PNSt15iterator_traitsISI_E10value_typeET2_T3_PNSJ_ISO_E10value_typeET4_T5_PST_SU_PNS1_23onesweep_lookback_stateEbbT6_jjT7_P12ihipStream_tbENKUlT_T0_SI_SN_E_clIPiSD_S15_SD_EEDaS11_S12_SI_SN_EUlS11_E_NS1_11comp_targetILNS1_3genE4ELNS1_11target_archE910ELNS1_3gpuE8ELNS1_3repE0EEENS1_47radix_sort_onesweep_sort_config_static_selectorELNS0_4arch9wavefront6targetE1EEEvSI_.num_named_barrier, 0
	.set _ZN7rocprim17ROCPRIM_400000_NS6detail17trampoline_kernelINS0_14default_configENS1_35radix_sort_onesweep_config_selectorIiiEEZZNS1_29radix_sort_onesweep_iterationIS3_Lb0EN6thrust23THRUST_200600_302600_NS6detail15normal_iteratorINS8_10device_ptrIiEEEESD_SD_SD_jNS0_19identity_decomposerENS1_16block_id_wrapperIjLb1EEEEE10hipError_tT1_PNSt15iterator_traitsISI_E10value_typeET2_T3_PNSJ_ISO_E10value_typeET4_T5_PST_SU_PNS1_23onesweep_lookback_stateEbbT6_jjT7_P12ihipStream_tbENKUlT_T0_SI_SN_E_clIPiSD_S15_SD_EEDaS11_S12_SI_SN_EUlS11_E_NS1_11comp_targetILNS1_3genE4ELNS1_11target_archE910ELNS1_3gpuE8ELNS1_3repE0EEENS1_47radix_sort_onesweep_sort_config_static_selectorELNS0_4arch9wavefront6targetE1EEEvSI_.private_seg_size, 0
	.set _ZN7rocprim17ROCPRIM_400000_NS6detail17trampoline_kernelINS0_14default_configENS1_35radix_sort_onesweep_config_selectorIiiEEZZNS1_29radix_sort_onesweep_iterationIS3_Lb0EN6thrust23THRUST_200600_302600_NS6detail15normal_iteratorINS8_10device_ptrIiEEEESD_SD_SD_jNS0_19identity_decomposerENS1_16block_id_wrapperIjLb1EEEEE10hipError_tT1_PNSt15iterator_traitsISI_E10value_typeET2_T3_PNSJ_ISO_E10value_typeET4_T5_PST_SU_PNS1_23onesweep_lookback_stateEbbT6_jjT7_P12ihipStream_tbENKUlT_T0_SI_SN_E_clIPiSD_S15_SD_EEDaS11_S12_SI_SN_EUlS11_E_NS1_11comp_targetILNS1_3genE4ELNS1_11target_archE910ELNS1_3gpuE8ELNS1_3repE0EEENS1_47radix_sort_onesweep_sort_config_static_selectorELNS0_4arch9wavefront6targetE1EEEvSI_.uses_vcc, 0
	.set _ZN7rocprim17ROCPRIM_400000_NS6detail17trampoline_kernelINS0_14default_configENS1_35radix_sort_onesweep_config_selectorIiiEEZZNS1_29radix_sort_onesweep_iterationIS3_Lb0EN6thrust23THRUST_200600_302600_NS6detail15normal_iteratorINS8_10device_ptrIiEEEESD_SD_SD_jNS0_19identity_decomposerENS1_16block_id_wrapperIjLb1EEEEE10hipError_tT1_PNSt15iterator_traitsISI_E10value_typeET2_T3_PNSJ_ISO_E10value_typeET4_T5_PST_SU_PNS1_23onesweep_lookback_stateEbbT6_jjT7_P12ihipStream_tbENKUlT_T0_SI_SN_E_clIPiSD_S15_SD_EEDaS11_S12_SI_SN_EUlS11_E_NS1_11comp_targetILNS1_3genE4ELNS1_11target_archE910ELNS1_3gpuE8ELNS1_3repE0EEENS1_47radix_sort_onesweep_sort_config_static_selectorELNS0_4arch9wavefront6targetE1EEEvSI_.uses_flat_scratch, 0
	.set _ZN7rocprim17ROCPRIM_400000_NS6detail17trampoline_kernelINS0_14default_configENS1_35radix_sort_onesweep_config_selectorIiiEEZZNS1_29radix_sort_onesweep_iterationIS3_Lb0EN6thrust23THRUST_200600_302600_NS6detail15normal_iteratorINS8_10device_ptrIiEEEESD_SD_SD_jNS0_19identity_decomposerENS1_16block_id_wrapperIjLb1EEEEE10hipError_tT1_PNSt15iterator_traitsISI_E10value_typeET2_T3_PNSJ_ISO_E10value_typeET4_T5_PST_SU_PNS1_23onesweep_lookback_stateEbbT6_jjT7_P12ihipStream_tbENKUlT_T0_SI_SN_E_clIPiSD_S15_SD_EEDaS11_S12_SI_SN_EUlS11_E_NS1_11comp_targetILNS1_3genE4ELNS1_11target_archE910ELNS1_3gpuE8ELNS1_3repE0EEENS1_47radix_sort_onesweep_sort_config_static_selectorELNS0_4arch9wavefront6targetE1EEEvSI_.has_dyn_sized_stack, 0
	.set _ZN7rocprim17ROCPRIM_400000_NS6detail17trampoline_kernelINS0_14default_configENS1_35radix_sort_onesweep_config_selectorIiiEEZZNS1_29radix_sort_onesweep_iterationIS3_Lb0EN6thrust23THRUST_200600_302600_NS6detail15normal_iteratorINS8_10device_ptrIiEEEESD_SD_SD_jNS0_19identity_decomposerENS1_16block_id_wrapperIjLb1EEEEE10hipError_tT1_PNSt15iterator_traitsISI_E10value_typeET2_T3_PNSJ_ISO_E10value_typeET4_T5_PST_SU_PNS1_23onesweep_lookback_stateEbbT6_jjT7_P12ihipStream_tbENKUlT_T0_SI_SN_E_clIPiSD_S15_SD_EEDaS11_S12_SI_SN_EUlS11_E_NS1_11comp_targetILNS1_3genE4ELNS1_11target_archE910ELNS1_3gpuE8ELNS1_3repE0EEENS1_47radix_sort_onesweep_sort_config_static_selectorELNS0_4arch9wavefront6targetE1EEEvSI_.has_recursion, 0
	.set _ZN7rocprim17ROCPRIM_400000_NS6detail17trampoline_kernelINS0_14default_configENS1_35radix_sort_onesweep_config_selectorIiiEEZZNS1_29radix_sort_onesweep_iterationIS3_Lb0EN6thrust23THRUST_200600_302600_NS6detail15normal_iteratorINS8_10device_ptrIiEEEESD_SD_SD_jNS0_19identity_decomposerENS1_16block_id_wrapperIjLb1EEEEE10hipError_tT1_PNSt15iterator_traitsISI_E10value_typeET2_T3_PNSJ_ISO_E10value_typeET4_T5_PST_SU_PNS1_23onesweep_lookback_stateEbbT6_jjT7_P12ihipStream_tbENKUlT_T0_SI_SN_E_clIPiSD_S15_SD_EEDaS11_S12_SI_SN_EUlS11_E_NS1_11comp_targetILNS1_3genE4ELNS1_11target_archE910ELNS1_3gpuE8ELNS1_3repE0EEENS1_47radix_sort_onesweep_sort_config_static_selectorELNS0_4arch9wavefront6targetE1EEEvSI_.has_indirect_call, 0
	.section	.AMDGPU.csdata,"",@progbits
; Kernel info:
; codeLenInByte = 0
; TotalNumSgprs: 6
; NumVgprs: 0
; NumAgprs: 0
; TotalNumVgprs: 0
; ScratchSize: 0
; MemoryBound: 0
; FloatMode: 240
; IeeeMode: 1
; LDSByteSize: 0 bytes/workgroup (compile time only)
; SGPRBlocks: 0
; VGPRBlocks: 0
; NumSGPRsForWavesPerEU: 6
; NumVGPRsForWavesPerEU: 1
; AccumOffset: 4
; Occupancy: 8
; WaveLimiterHint : 0
; COMPUTE_PGM_RSRC2:SCRATCH_EN: 0
; COMPUTE_PGM_RSRC2:USER_SGPR: 2
; COMPUTE_PGM_RSRC2:TRAP_HANDLER: 0
; COMPUTE_PGM_RSRC2:TGID_X_EN: 1
; COMPUTE_PGM_RSRC2:TGID_Y_EN: 0
; COMPUTE_PGM_RSRC2:TGID_Z_EN: 0
; COMPUTE_PGM_RSRC2:TIDIG_COMP_CNT: 0
; COMPUTE_PGM_RSRC3_GFX90A:ACCUM_OFFSET: 0
; COMPUTE_PGM_RSRC3_GFX90A:TG_SPLIT: 0
	.section	.text._ZN7rocprim17ROCPRIM_400000_NS6detail17trampoline_kernelINS0_14default_configENS1_35radix_sort_onesweep_config_selectorIiiEEZZNS1_29radix_sort_onesweep_iterationIS3_Lb0EN6thrust23THRUST_200600_302600_NS6detail15normal_iteratorINS8_10device_ptrIiEEEESD_SD_SD_jNS0_19identity_decomposerENS1_16block_id_wrapperIjLb1EEEEE10hipError_tT1_PNSt15iterator_traitsISI_E10value_typeET2_T3_PNSJ_ISO_E10value_typeET4_T5_PST_SU_PNS1_23onesweep_lookback_stateEbbT6_jjT7_P12ihipStream_tbENKUlT_T0_SI_SN_E_clIPiSD_S15_SD_EEDaS11_S12_SI_SN_EUlS11_E_NS1_11comp_targetILNS1_3genE3ELNS1_11target_archE908ELNS1_3gpuE7ELNS1_3repE0EEENS1_47radix_sort_onesweep_sort_config_static_selectorELNS0_4arch9wavefront6targetE1EEEvSI_,"axG",@progbits,_ZN7rocprim17ROCPRIM_400000_NS6detail17trampoline_kernelINS0_14default_configENS1_35radix_sort_onesweep_config_selectorIiiEEZZNS1_29radix_sort_onesweep_iterationIS3_Lb0EN6thrust23THRUST_200600_302600_NS6detail15normal_iteratorINS8_10device_ptrIiEEEESD_SD_SD_jNS0_19identity_decomposerENS1_16block_id_wrapperIjLb1EEEEE10hipError_tT1_PNSt15iterator_traitsISI_E10value_typeET2_T3_PNSJ_ISO_E10value_typeET4_T5_PST_SU_PNS1_23onesweep_lookback_stateEbbT6_jjT7_P12ihipStream_tbENKUlT_T0_SI_SN_E_clIPiSD_S15_SD_EEDaS11_S12_SI_SN_EUlS11_E_NS1_11comp_targetILNS1_3genE3ELNS1_11target_archE908ELNS1_3gpuE7ELNS1_3repE0EEENS1_47radix_sort_onesweep_sort_config_static_selectorELNS0_4arch9wavefront6targetE1EEEvSI_,comdat
	.protected	_ZN7rocprim17ROCPRIM_400000_NS6detail17trampoline_kernelINS0_14default_configENS1_35radix_sort_onesweep_config_selectorIiiEEZZNS1_29radix_sort_onesweep_iterationIS3_Lb0EN6thrust23THRUST_200600_302600_NS6detail15normal_iteratorINS8_10device_ptrIiEEEESD_SD_SD_jNS0_19identity_decomposerENS1_16block_id_wrapperIjLb1EEEEE10hipError_tT1_PNSt15iterator_traitsISI_E10value_typeET2_T3_PNSJ_ISO_E10value_typeET4_T5_PST_SU_PNS1_23onesweep_lookback_stateEbbT6_jjT7_P12ihipStream_tbENKUlT_T0_SI_SN_E_clIPiSD_S15_SD_EEDaS11_S12_SI_SN_EUlS11_E_NS1_11comp_targetILNS1_3genE3ELNS1_11target_archE908ELNS1_3gpuE7ELNS1_3repE0EEENS1_47radix_sort_onesweep_sort_config_static_selectorELNS0_4arch9wavefront6targetE1EEEvSI_ ; -- Begin function _ZN7rocprim17ROCPRIM_400000_NS6detail17trampoline_kernelINS0_14default_configENS1_35radix_sort_onesweep_config_selectorIiiEEZZNS1_29radix_sort_onesweep_iterationIS3_Lb0EN6thrust23THRUST_200600_302600_NS6detail15normal_iteratorINS8_10device_ptrIiEEEESD_SD_SD_jNS0_19identity_decomposerENS1_16block_id_wrapperIjLb1EEEEE10hipError_tT1_PNSt15iterator_traitsISI_E10value_typeET2_T3_PNSJ_ISO_E10value_typeET4_T5_PST_SU_PNS1_23onesweep_lookback_stateEbbT6_jjT7_P12ihipStream_tbENKUlT_T0_SI_SN_E_clIPiSD_S15_SD_EEDaS11_S12_SI_SN_EUlS11_E_NS1_11comp_targetILNS1_3genE3ELNS1_11target_archE908ELNS1_3gpuE7ELNS1_3repE0EEENS1_47radix_sort_onesweep_sort_config_static_selectorELNS0_4arch9wavefront6targetE1EEEvSI_
	.globl	_ZN7rocprim17ROCPRIM_400000_NS6detail17trampoline_kernelINS0_14default_configENS1_35radix_sort_onesweep_config_selectorIiiEEZZNS1_29radix_sort_onesweep_iterationIS3_Lb0EN6thrust23THRUST_200600_302600_NS6detail15normal_iteratorINS8_10device_ptrIiEEEESD_SD_SD_jNS0_19identity_decomposerENS1_16block_id_wrapperIjLb1EEEEE10hipError_tT1_PNSt15iterator_traitsISI_E10value_typeET2_T3_PNSJ_ISO_E10value_typeET4_T5_PST_SU_PNS1_23onesweep_lookback_stateEbbT6_jjT7_P12ihipStream_tbENKUlT_T0_SI_SN_E_clIPiSD_S15_SD_EEDaS11_S12_SI_SN_EUlS11_E_NS1_11comp_targetILNS1_3genE3ELNS1_11target_archE908ELNS1_3gpuE7ELNS1_3repE0EEENS1_47radix_sort_onesweep_sort_config_static_selectorELNS0_4arch9wavefront6targetE1EEEvSI_
	.p2align	8
	.type	_ZN7rocprim17ROCPRIM_400000_NS6detail17trampoline_kernelINS0_14default_configENS1_35radix_sort_onesweep_config_selectorIiiEEZZNS1_29radix_sort_onesweep_iterationIS3_Lb0EN6thrust23THRUST_200600_302600_NS6detail15normal_iteratorINS8_10device_ptrIiEEEESD_SD_SD_jNS0_19identity_decomposerENS1_16block_id_wrapperIjLb1EEEEE10hipError_tT1_PNSt15iterator_traitsISI_E10value_typeET2_T3_PNSJ_ISO_E10value_typeET4_T5_PST_SU_PNS1_23onesweep_lookback_stateEbbT6_jjT7_P12ihipStream_tbENKUlT_T0_SI_SN_E_clIPiSD_S15_SD_EEDaS11_S12_SI_SN_EUlS11_E_NS1_11comp_targetILNS1_3genE3ELNS1_11target_archE908ELNS1_3gpuE7ELNS1_3repE0EEENS1_47radix_sort_onesweep_sort_config_static_selectorELNS0_4arch9wavefront6targetE1EEEvSI_,@function
_ZN7rocprim17ROCPRIM_400000_NS6detail17trampoline_kernelINS0_14default_configENS1_35radix_sort_onesweep_config_selectorIiiEEZZNS1_29radix_sort_onesweep_iterationIS3_Lb0EN6thrust23THRUST_200600_302600_NS6detail15normal_iteratorINS8_10device_ptrIiEEEESD_SD_SD_jNS0_19identity_decomposerENS1_16block_id_wrapperIjLb1EEEEE10hipError_tT1_PNSt15iterator_traitsISI_E10value_typeET2_T3_PNSJ_ISO_E10value_typeET4_T5_PST_SU_PNS1_23onesweep_lookback_stateEbbT6_jjT7_P12ihipStream_tbENKUlT_T0_SI_SN_E_clIPiSD_S15_SD_EEDaS11_S12_SI_SN_EUlS11_E_NS1_11comp_targetILNS1_3genE3ELNS1_11target_archE908ELNS1_3gpuE7ELNS1_3repE0EEENS1_47radix_sort_onesweep_sort_config_static_selectorELNS0_4arch9wavefront6targetE1EEEvSI_: ; @_ZN7rocprim17ROCPRIM_400000_NS6detail17trampoline_kernelINS0_14default_configENS1_35radix_sort_onesweep_config_selectorIiiEEZZNS1_29radix_sort_onesweep_iterationIS3_Lb0EN6thrust23THRUST_200600_302600_NS6detail15normal_iteratorINS8_10device_ptrIiEEEESD_SD_SD_jNS0_19identity_decomposerENS1_16block_id_wrapperIjLb1EEEEE10hipError_tT1_PNSt15iterator_traitsISI_E10value_typeET2_T3_PNSJ_ISO_E10value_typeET4_T5_PST_SU_PNS1_23onesweep_lookback_stateEbbT6_jjT7_P12ihipStream_tbENKUlT_T0_SI_SN_E_clIPiSD_S15_SD_EEDaS11_S12_SI_SN_EUlS11_E_NS1_11comp_targetILNS1_3genE3ELNS1_11target_archE908ELNS1_3gpuE7ELNS1_3repE0EEENS1_47radix_sort_onesweep_sort_config_static_selectorELNS0_4arch9wavefront6targetE1EEEvSI_
; %bb.0:
	.section	.rodata,"a",@progbits
	.p2align	6, 0x0
	.amdhsa_kernel _ZN7rocprim17ROCPRIM_400000_NS6detail17trampoline_kernelINS0_14default_configENS1_35radix_sort_onesweep_config_selectorIiiEEZZNS1_29radix_sort_onesweep_iterationIS3_Lb0EN6thrust23THRUST_200600_302600_NS6detail15normal_iteratorINS8_10device_ptrIiEEEESD_SD_SD_jNS0_19identity_decomposerENS1_16block_id_wrapperIjLb1EEEEE10hipError_tT1_PNSt15iterator_traitsISI_E10value_typeET2_T3_PNSJ_ISO_E10value_typeET4_T5_PST_SU_PNS1_23onesweep_lookback_stateEbbT6_jjT7_P12ihipStream_tbENKUlT_T0_SI_SN_E_clIPiSD_S15_SD_EEDaS11_S12_SI_SN_EUlS11_E_NS1_11comp_targetILNS1_3genE3ELNS1_11target_archE908ELNS1_3gpuE7ELNS1_3repE0EEENS1_47radix_sort_onesweep_sort_config_static_selectorELNS0_4arch9wavefront6targetE1EEEvSI_
		.amdhsa_group_segment_fixed_size 0
		.amdhsa_private_segment_fixed_size 0
		.amdhsa_kernarg_size 88
		.amdhsa_user_sgpr_count 2
		.amdhsa_user_sgpr_dispatch_ptr 0
		.amdhsa_user_sgpr_queue_ptr 0
		.amdhsa_user_sgpr_kernarg_segment_ptr 1
		.amdhsa_user_sgpr_dispatch_id 0
		.amdhsa_user_sgpr_kernarg_preload_length 0
		.amdhsa_user_sgpr_kernarg_preload_offset 0
		.amdhsa_user_sgpr_private_segment_size 0
		.amdhsa_uses_dynamic_stack 0
		.amdhsa_enable_private_segment 0
		.amdhsa_system_sgpr_workgroup_id_x 1
		.amdhsa_system_sgpr_workgroup_id_y 0
		.amdhsa_system_sgpr_workgroup_id_z 0
		.amdhsa_system_sgpr_workgroup_info 0
		.amdhsa_system_vgpr_workitem_id 0
		.amdhsa_next_free_vgpr 1
		.amdhsa_next_free_sgpr 0
		.amdhsa_accum_offset 4
		.amdhsa_reserve_vcc 0
		.amdhsa_float_round_mode_32 0
		.amdhsa_float_round_mode_16_64 0
		.amdhsa_float_denorm_mode_32 3
		.amdhsa_float_denorm_mode_16_64 3
		.amdhsa_dx10_clamp 1
		.amdhsa_ieee_mode 1
		.amdhsa_fp16_overflow 0
		.amdhsa_tg_split 0
		.amdhsa_exception_fp_ieee_invalid_op 0
		.amdhsa_exception_fp_denorm_src 0
		.amdhsa_exception_fp_ieee_div_zero 0
		.amdhsa_exception_fp_ieee_overflow 0
		.amdhsa_exception_fp_ieee_underflow 0
		.amdhsa_exception_fp_ieee_inexact 0
		.amdhsa_exception_int_div_zero 0
	.end_amdhsa_kernel
	.section	.text._ZN7rocprim17ROCPRIM_400000_NS6detail17trampoline_kernelINS0_14default_configENS1_35radix_sort_onesweep_config_selectorIiiEEZZNS1_29radix_sort_onesweep_iterationIS3_Lb0EN6thrust23THRUST_200600_302600_NS6detail15normal_iteratorINS8_10device_ptrIiEEEESD_SD_SD_jNS0_19identity_decomposerENS1_16block_id_wrapperIjLb1EEEEE10hipError_tT1_PNSt15iterator_traitsISI_E10value_typeET2_T3_PNSJ_ISO_E10value_typeET4_T5_PST_SU_PNS1_23onesweep_lookback_stateEbbT6_jjT7_P12ihipStream_tbENKUlT_T0_SI_SN_E_clIPiSD_S15_SD_EEDaS11_S12_SI_SN_EUlS11_E_NS1_11comp_targetILNS1_3genE3ELNS1_11target_archE908ELNS1_3gpuE7ELNS1_3repE0EEENS1_47radix_sort_onesweep_sort_config_static_selectorELNS0_4arch9wavefront6targetE1EEEvSI_,"axG",@progbits,_ZN7rocprim17ROCPRIM_400000_NS6detail17trampoline_kernelINS0_14default_configENS1_35radix_sort_onesweep_config_selectorIiiEEZZNS1_29radix_sort_onesweep_iterationIS3_Lb0EN6thrust23THRUST_200600_302600_NS6detail15normal_iteratorINS8_10device_ptrIiEEEESD_SD_SD_jNS0_19identity_decomposerENS1_16block_id_wrapperIjLb1EEEEE10hipError_tT1_PNSt15iterator_traitsISI_E10value_typeET2_T3_PNSJ_ISO_E10value_typeET4_T5_PST_SU_PNS1_23onesweep_lookback_stateEbbT6_jjT7_P12ihipStream_tbENKUlT_T0_SI_SN_E_clIPiSD_S15_SD_EEDaS11_S12_SI_SN_EUlS11_E_NS1_11comp_targetILNS1_3genE3ELNS1_11target_archE908ELNS1_3gpuE7ELNS1_3repE0EEENS1_47radix_sort_onesweep_sort_config_static_selectorELNS0_4arch9wavefront6targetE1EEEvSI_,comdat
.Lfunc_end1442:
	.size	_ZN7rocprim17ROCPRIM_400000_NS6detail17trampoline_kernelINS0_14default_configENS1_35radix_sort_onesweep_config_selectorIiiEEZZNS1_29radix_sort_onesweep_iterationIS3_Lb0EN6thrust23THRUST_200600_302600_NS6detail15normal_iteratorINS8_10device_ptrIiEEEESD_SD_SD_jNS0_19identity_decomposerENS1_16block_id_wrapperIjLb1EEEEE10hipError_tT1_PNSt15iterator_traitsISI_E10value_typeET2_T3_PNSJ_ISO_E10value_typeET4_T5_PST_SU_PNS1_23onesweep_lookback_stateEbbT6_jjT7_P12ihipStream_tbENKUlT_T0_SI_SN_E_clIPiSD_S15_SD_EEDaS11_S12_SI_SN_EUlS11_E_NS1_11comp_targetILNS1_3genE3ELNS1_11target_archE908ELNS1_3gpuE7ELNS1_3repE0EEENS1_47radix_sort_onesweep_sort_config_static_selectorELNS0_4arch9wavefront6targetE1EEEvSI_, .Lfunc_end1442-_ZN7rocprim17ROCPRIM_400000_NS6detail17trampoline_kernelINS0_14default_configENS1_35radix_sort_onesweep_config_selectorIiiEEZZNS1_29radix_sort_onesweep_iterationIS3_Lb0EN6thrust23THRUST_200600_302600_NS6detail15normal_iteratorINS8_10device_ptrIiEEEESD_SD_SD_jNS0_19identity_decomposerENS1_16block_id_wrapperIjLb1EEEEE10hipError_tT1_PNSt15iterator_traitsISI_E10value_typeET2_T3_PNSJ_ISO_E10value_typeET4_T5_PST_SU_PNS1_23onesweep_lookback_stateEbbT6_jjT7_P12ihipStream_tbENKUlT_T0_SI_SN_E_clIPiSD_S15_SD_EEDaS11_S12_SI_SN_EUlS11_E_NS1_11comp_targetILNS1_3genE3ELNS1_11target_archE908ELNS1_3gpuE7ELNS1_3repE0EEENS1_47radix_sort_onesweep_sort_config_static_selectorELNS0_4arch9wavefront6targetE1EEEvSI_
                                        ; -- End function
	.set _ZN7rocprim17ROCPRIM_400000_NS6detail17trampoline_kernelINS0_14default_configENS1_35radix_sort_onesweep_config_selectorIiiEEZZNS1_29radix_sort_onesweep_iterationIS3_Lb0EN6thrust23THRUST_200600_302600_NS6detail15normal_iteratorINS8_10device_ptrIiEEEESD_SD_SD_jNS0_19identity_decomposerENS1_16block_id_wrapperIjLb1EEEEE10hipError_tT1_PNSt15iterator_traitsISI_E10value_typeET2_T3_PNSJ_ISO_E10value_typeET4_T5_PST_SU_PNS1_23onesweep_lookback_stateEbbT6_jjT7_P12ihipStream_tbENKUlT_T0_SI_SN_E_clIPiSD_S15_SD_EEDaS11_S12_SI_SN_EUlS11_E_NS1_11comp_targetILNS1_3genE3ELNS1_11target_archE908ELNS1_3gpuE7ELNS1_3repE0EEENS1_47radix_sort_onesweep_sort_config_static_selectorELNS0_4arch9wavefront6targetE1EEEvSI_.num_vgpr, 0
	.set _ZN7rocprim17ROCPRIM_400000_NS6detail17trampoline_kernelINS0_14default_configENS1_35radix_sort_onesweep_config_selectorIiiEEZZNS1_29radix_sort_onesweep_iterationIS3_Lb0EN6thrust23THRUST_200600_302600_NS6detail15normal_iteratorINS8_10device_ptrIiEEEESD_SD_SD_jNS0_19identity_decomposerENS1_16block_id_wrapperIjLb1EEEEE10hipError_tT1_PNSt15iterator_traitsISI_E10value_typeET2_T3_PNSJ_ISO_E10value_typeET4_T5_PST_SU_PNS1_23onesweep_lookback_stateEbbT6_jjT7_P12ihipStream_tbENKUlT_T0_SI_SN_E_clIPiSD_S15_SD_EEDaS11_S12_SI_SN_EUlS11_E_NS1_11comp_targetILNS1_3genE3ELNS1_11target_archE908ELNS1_3gpuE7ELNS1_3repE0EEENS1_47radix_sort_onesweep_sort_config_static_selectorELNS0_4arch9wavefront6targetE1EEEvSI_.num_agpr, 0
	.set _ZN7rocprim17ROCPRIM_400000_NS6detail17trampoline_kernelINS0_14default_configENS1_35radix_sort_onesweep_config_selectorIiiEEZZNS1_29radix_sort_onesweep_iterationIS3_Lb0EN6thrust23THRUST_200600_302600_NS6detail15normal_iteratorINS8_10device_ptrIiEEEESD_SD_SD_jNS0_19identity_decomposerENS1_16block_id_wrapperIjLb1EEEEE10hipError_tT1_PNSt15iterator_traitsISI_E10value_typeET2_T3_PNSJ_ISO_E10value_typeET4_T5_PST_SU_PNS1_23onesweep_lookback_stateEbbT6_jjT7_P12ihipStream_tbENKUlT_T0_SI_SN_E_clIPiSD_S15_SD_EEDaS11_S12_SI_SN_EUlS11_E_NS1_11comp_targetILNS1_3genE3ELNS1_11target_archE908ELNS1_3gpuE7ELNS1_3repE0EEENS1_47radix_sort_onesweep_sort_config_static_selectorELNS0_4arch9wavefront6targetE1EEEvSI_.numbered_sgpr, 0
	.set _ZN7rocprim17ROCPRIM_400000_NS6detail17trampoline_kernelINS0_14default_configENS1_35radix_sort_onesweep_config_selectorIiiEEZZNS1_29radix_sort_onesweep_iterationIS3_Lb0EN6thrust23THRUST_200600_302600_NS6detail15normal_iteratorINS8_10device_ptrIiEEEESD_SD_SD_jNS0_19identity_decomposerENS1_16block_id_wrapperIjLb1EEEEE10hipError_tT1_PNSt15iterator_traitsISI_E10value_typeET2_T3_PNSJ_ISO_E10value_typeET4_T5_PST_SU_PNS1_23onesweep_lookback_stateEbbT6_jjT7_P12ihipStream_tbENKUlT_T0_SI_SN_E_clIPiSD_S15_SD_EEDaS11_S12_SI_SN_EUlS11_E_NS1_11comp_targetILNS1_3genE3ELNS1_11target_archE908ELNS1_3gpuE7ELNS1_3repE0EEENS1_47radix_sort_onesweep_sort_config_static_selectorELNS0_4arch9wavefront6targetE1EEEvSI_.num_named_barrier, 0
	.set _ZN7rocprim17ROCPRIM_400000_NS6detail17trampoline_kernelINS0_14default_configENS1_35radix_sort_onesweep_config_selectorIiiEEZZNS1_29radix_sort_onesweep_iterationIS3_Lb0EN6thrust23THRUST_200600_302600_NS6detail15normal_iteratorINS8_10device_ptrIiEEEESD_SD_SD_jNS0_19identity_decomposerENS1_16block_id_wrapperIjLb1EEEEE10hipError_tT1_PNSt15iterator_traitsISI_E10value_typeET2_T3_PNSJ_ISO_E10value_typeET4_T5_PST_SU_PNS1_23onesweep_lookback_stateEbbT6_jjT7_P12ihipStream_tbENKUlT_T0_SI_SN_E_clIPiSD_S15_SD_EEDaS11_S12_SI_SN_EUlS11_E_NS1_11comp_targetILNS1_3genE3ELNS1_11target_archE908ELNS1_3gpuE7ELNS1_3repE0EEENS1_47radix_sort_onesweep_sort_config_static_selectorELNS0_4arch9wavefront6targetE1EEEvSI_.private_seg_size, 0
	.set _ZN7rocprim17ROCPRIM_400000_NS6detail17trampoline_kernelINS0_14default_configENS1_35radix_sort_onesweep_config_selectorIiiEEZZNS1_29radix_sort_onesweep_iterationIS3_Lb0EN6thrust23THRUST_200600_302600_NS6detail15normal_iteratorINS8_10device_ptrIiEEEESD_SD_SD_jNS0_19identity_decomposerENS1_16block_id_wrapperIjLb1EEEEE10hipError_tT1_PNSt15iterator_traitsISI_E10value_typeET2_T3_PNSJ_ISO_E10value_typeET4_T5_PST_SU_PNS1_23onesweep_lookback_stateEbbT6_jjT7_P12ihipStream_tbENKUlT_T0_SI_SN_E_clIPiSD_S15_SD_EEDaS11_S12_SI_SN_EUlS11_E_NS1_11comp_targetILNS1_3genE3ELNS1_11target_archE908ELNS1_3gpuE7ELNS1_3repE0EEENS1_47radix_sort_onesweep_sort_config_static_selectorELNS0_4arch9wavefront6targetE1EEEvSI_.uses_vcc, 0
	.set _ZN7rocprim17ROCPRIM_400000_NS6detail17trampoline_kernelINS0_14default_configENS1_35radix_sort_onesweep_config_selectorIiiEEZZNS1_29radix_sort_onesweep_iterationIS3_Lb0EN6thrust23THRUST_200600_302600_NS6detail15normal_iteratorINS8_10device_ptrIiEEEESD_SD_SD_jNS0_19identity_decomposerENS1_16block_id_wrapperIjLb1EEEEE10hipError_tT1_PNSt15iterator_traitsISI_E10value_typeET2_T3_PNSJ_ISO_E10value_typeET4_T5_PST_SU_PNS1_23onesweep_lookback_stateEbbT6_jjT7_P12ihipStream_tbENKUlT_T0_SI_SN_E_clIPiSD_S15_SD_EEDaS11_S12_SI_SN_EUlS11_E_NS1_11comp_targetILNS1_3genE3ELNS1_11target_archE908ELNS1_3gpuE7ELNS1_3repE0EEENS1_47radix_sort_onesweep_sort_config_static_selectorELNS0_4arch9wavefront6targetE1EEEvSI_.uses_flat_scratch, 0
	.set _ZN7rocprim17ROCPRIM_400000_NS6detail17trampoline_kernelINS0_14default_configENS1_35radix_sort_onesweep_config_selectorIiiEEZZNS1_29radix_sort_onesweep_iterationIS3_Lb0EN6thrust23THRUST_200600_302600_NS6detail15normal_iteratorINS8_10device_ptrIiEEEESD_SD_SD_jNS0_19identity_decomposerENS1_16block_id_wrapperIjLb1EEEEE10hipError_tT1_PNSt15iterator_traitsISI_E10value_typeET2_T3_PNSJ_ISO_E10value_typeET4_T5_PST_SU_PNS1_23onesweep_lookback_stateEbbT6_jjT7_P12ihipStream_tbENKUlT_T0_SI_SN_E_clIPiSD_S15_SD_EEDaS11_S12_SI_SN_EUlS11_E_NS1_11comp_targetILNS1_3genE3ELNS1_11target_archE908ELNS1_3gpuE7ELNS1_3repE0EEENS1_47radix_sort_onesweep_sort_config_static_selectorELNS0_4arch9wavefront6targetE1EEEvSI_.has_dyn_sized_stack, 0
	.set _ZN7rocprim17ROCPRIM_400000_NS6detail17trampoline_kernelINS0_14default_configENS1_35radix_sort_onesweep_config_selectorIiiEEZZNS1_29radix_sort_onesweep_iterationIS3_Lb0EN6thrust23THRUST_200600_302600_NS6detail15normal_iteratorINS8_10device_ptrIiEEEESD_SD_SD_jNS0_19identity_decomposerENS1_16block_id_wrapperIjLb1EEEEE10hipError_tT1_PNSt15iterator_traitsISI_E10value_typeET2_T3_PNSJ_ISO_E10value_typeET4_T5_PST_SU_PNS1_23onesweep_lookback_stateEbbT6_jjT7_P12ihipStream_tbENKUlT_T0_SI_SN_E_clIPiSD_S15_SD_EEDaS11_S12_SI_SN_EUlS11_E_NS1_11comp_targetILNS1_3genE3ELNS1_11target_archE908ELNS1_3gpuE7ELNS1_3repE0EEENS1_47radix_sort_onesweep_sort_config_static_selectorELNS0_4arch9wavefront6targetE1EEEvSI_.has_recursion, 0
	.set _ZN7rocprim17ROCPRIM_400000_NS6detail17trampoline_kernelINS0_14default_configENS1_35radix_sort_onesweep_config_selectorIiiEEZZNS1_29radix_sort_onesweep_iterationIS3_Lb0EN6thrust23THRUST_200600_302600_NS6detail15normal_iteratorINS8_10device_ptrIiEEEESD_SD_SD_jNS0_19identity_decomposerENS1_16block_id_wrapperIjLb1EEEEE10hipError_tT1_PNSt15iterator_traitsISI_E10value_typeET2_T3_PNSJ_ISO_E10value_typeET4_T5_PST_SU_PNS1_23onesweep_lookback_stateEbbT6_jjT7_P12ihipStream_tbENKUlT_T0_SI_SN_E_clIPiSD_S15_SD_EEDaS11_S12_SI_SN_EUlS11_E_NS1_11comp_targetILNS1_3genE3ELNS1_11target_archE908ELNS1_3gpuE7ELNS1_3repE0EEENS1_47radix_sort_onesweep_sort_config_static_selectorELNS0_4arch9wavefront6targetE1EEEvSI_.has_indirect_call, 0
	.section	.AMDGPU.csdata,"",@progbits
; Kernel info:
; codeLenInByte = 0
; TotalNumSgprs: 6
; NumVgprs: 0
; NumAgprs: 0
; TotalNumVgprs: 0
; ScratchSize: 0
; MemoryBound: 0
; FloatMode: 240
; IeeeMode: 1
; LDSByteSize: 0 bytes/workgroup (compile time only)
; SGPRBlocks: 0
; VGPRBlocks: 0
; NumSGPRsForWavesPerEU: 6
; NumVGPRsForWavesPerEU: 1
; AccumOffset: 4
; Occupancy: 8
; WaveLimiterHint : 0
; COMPUTE_PGM_RSRC2:SCRATCH_EN: 0
; COMPUTE_PGM_RSRC2:USER_SGPR: 2
; COMPUTE_PGM_RSRC2:TRAP_HANDLER: 0
; COMPUTE_PGM_RSRC2:TGID_X_EN: 1
; COMPUTE_PGM_RSRC2:TGID_Y_EN: 0
; COMPUTE_PGM_RSRC2:TGID_Z_EN: 0
; COMPUTE_PGM_RSRC2:TIDIG_COMP_CNT: 0
; COMPUTE_PGM_RSRC3_GFX90A:ACCUM_OFFSET: 0
; COMPUTE_PGM_RSRC3_GFX90A:TG_SPLIT: 0
	.section	.text._ZN7rocprim17ROCPRIM_400000_NS6detail17trampoline_kernelINS0_14default_configENS1_35radix_sort_onesweep_config_selectorIiiEEZZNS1_29radix_sort_onesweep_iterationIS3_Lb0EN6thrust23THRUST_200600_302600_NS6detail15normal_iteratorINS8_10device_ptrIiEEEESD_SD_SD_jNS0_19identity_decomposerENS1_16block_id_wrapperIjLb1EEEEE10hipError_tT1_PNSt15iterator_traitsISI_E10value_typeET2_T3_PNSJ_ISO_E10value_typeET4_T5_PST_SU_PNS1_23onesweep_lookback_stateEbbT6_jjT7_P12ihipStream_tbENKUlT_T0_SI_SN_E_clIPiSD_S15_SD_EEDaS11_S12_SI_SN_EUlS11_E_NS1_11comp_targetILNS1_3genE10ELNS1_11target_archE1201ELNS1_3gpuE5ELNS1_3repE0EEENS1_47radix_sort_onesweep_sort_config_static_selectorELNS0_4arch9wavefront6targetE1EEEvSI_,"axG",@progbits,_ZN7rocprim17ROCPRIM_400000_NS6detail17trampoline_kernelINS0_14default_configENS1_35radix_sort_onesweep_config_selectorIiiEEZZNS1_29radix_sort_onesweep_iterationIS3_Lb0EN6thrust23THRUST_200600_302600_NS6detail15normal_iteratorINS8_10device_ptrIiEEEESD_SD_SD_jNS0_19identity_decomposerENS1_16block_id_wrapperIjLb1EEEEE10hipError_tT1_PNSt15iterator_traitsISI_E10value_typeET2_T3_PNSJ_ISO_E10value_typeET4_T5_PST_SU_PNS1_23onesweep_lookback_stateEbbT6_jjT7_P12ihipStream_tbENKUlT_T0_SI_SN_E_clIPiSD_S15_SD_EEDaS11_S12_SI_SN_EUlS11_E_NS1_11comp_targetILNS1_3genE10ELNS1_11target_archE1201ELNS1_3gpuE5ELNS1_3repE0EEENS1_47radix_sort_onesweep_sort_config_static_selectorELNS0_4arch9wavefront6targetE1EEEvSI_,comdat
	.protected	_ZN7rocprim17ROCPRIM_400000_NS6detail17trampoline_kernelINS0_14default_configENS1_35radix_sort_onesweep_config_selectorIiiEEZZNS1_29radix_sort_onesweep_iterationIS3_Lb0EN6thrust23THRUST_200600_302600_NS6detail15normal_iteratorINS8_10device_ptrIiEEEESD_SD_SD_jNS0_19identity_decomposerENS1_16block_id_wrapperIjLb1EEEEE10hipError_tT1_PNSt15iterator_traitsISI_E10value_typeET2_T3_PNSJ_ISO_E10value_typeET4_T5_PST_SU_PNS1_23onesweep_lookback_stateEbbT6_jjT7_P12ihipStream_tbENKUlT_T0_SI_SN_E_clIPiSD_S15_SD_EEDaS11_S12_SI_SN_EUlS11_E_NS1_11comp_targetILNS1_3genE10ELNS1_11target_archE1201ELNS1_3gpuE5ELNS1_3repE0EEENS1_47radix_sort_onesweep_sort_config_static_selectorELNS0_4arch9wavefront6targetE1EEEvSI_ ; -- Begin function _ZN7rocprim17ROCPRIM_400000_NS6detail17trampoline_kernelINS0_14default_configENS1_35radix_sort_onesweep_config_selectorIiiEEZZNS1_29radix_sort_onesweep_iterationIS3_Lb0EN6thrust23THRUST_200600_302600_NS6detail15normal_iteratorINS8_10device_ptrIiEEEESD_SD_SD_jNS0_19identity_decomposerENS1_16block_id_wrapperIjLb1EEEEE10hipError_tT1_PNSt15iterator_traitsISI_E10value_typeET2_T3_PNSJ_ISO_E10value_typeET4_T5_PST_SU_PNS1_23onesweep_lookback_stateEbbT6_jjT7_P12ihipStream_tbENKUlT_T0_SI_SN_E_clIPiSD_S15_SD_EEDaS11_S12_SI_SN_EUlS11_E_NS1_11comp_targetILNS1_3genE10ELNS1_11target_archE1201ELNS1_3gpuE5ELNS1_3repE0EEENS1_47radix_sort_onesweep_sort_config_static_selectorELNS0_4arch9wavefront6targetE1EEEvSI_
	.globl	_ZN7rocprim17ROCPRIM_400000_NS6detail17trampoline_kernelINS0_14default_configENS1_35radix_sort_onesweep_config_selectorIiiEEZZNS1_29radix_sort_onesweep_iterationIS3_Lb0EN6thrust23THRUST_200600_302600_NS6detail15normal_iteratorINS8_10device_ptrIiEEEESD_SD_SD_jNS0_19identity_decomposerENS1_16block_id_wrapperIjLb1EEEEE10hipError_tT1_PNSt15iterator_traitsISI_E10value_typeET2_T3_PNSJ_ISO_E10value_typeET4_T5_PST_SU_PNS1_23onesweep_lookback_stateEbbT6_jjT7_P12ihipStream_tbENKUlT_T0_SI_SN_E_clIPiSD_S15_SD_EEDaS11_S12_SI_SN_EUlS11_E_NS1_11comp_targetILNS1_3genE10ELNS1_11target_archE1201ELNS1_3gpuE5ELNS1_3repE0EEENS1_47radix_sort_onesweep_sort_config_static_selectorELNS0_4arch9wavefront6targetE1EEEvSI_
	.p2align	8
	.type	_ZN7rocprim17ROCPRIM_400000_NS6detail17trampoline_kernelINS0_14default_configENS1_35radix_sort_onesweep_config_selectorIiiEEZZNS1_29radix_sort_onesweep_iterationIS3_Lb0EN6thrust23THRUST_200600_302600_NS6detail15normal_iteratorINS8_10device_ptrIiEEEESD_SD_SD_jNS0_19identity_decomposerENS1_16block_id_wrapperIjLb1EEEEE10hipError_tT1_PNSt15iterator_traitsISI_E10value_typeET2_T3_PNSJ_ISO_E10value_typeET4_T5_PST_SU_PNS1_23onesweep_lookback_stateEbbT6_jjT7_P12ihipStream_tbENKUlT_T0_SI_SN_E_clIPiSD_S15_SD_EEDaS11_S12_SI_SN_EUlS11_E_NS1_11comp_targetILNS1_3genE10ELNS1_11target_archE1201ELNS1_3gpuE5ELNS1_3repE0EEENS1_47radix_sort_onesweep_sort_config_static_selectorELNS0_4arch9wavefront6targetE1EEEvSI_,@function
_ZN7rocprim17ROCPRIM_400000_NS6detail17trampoline_kernelINS0_14default_configENS1_35radix_sort_onesweep_config_selectorIiiEEZZNS1_29radix_sort_onesweep_iterationIS3_Lb0EN6thrust23THRUST_200600_302600_NS6detail15normal_iteratorINS8_10device_ptrIiEEEESD_SD_SD_jNS0_19identity_decomposerENS1_16block_id_wrapperIjLb1EEEEE10hipError_tT1_PNSt15iterator_traitsISI_E10value_typeET2_T3_PNSJ_ISO_E10value_typeET4_T5_PST_SU_PNS1_23onesweep_lookback_stateEbbT6_jjT7_P12ihipStream_tbENKUlT_T0_SI_SN_E_clIPiSD_S15_SD_EEDaS11_S12_SI_SN_EUlS11_E_NS1_11comp_targetILNS1_3genE10ELNS1_11target_archE1201ELNS1_3gpuE5ELNS1_3repE0EEENS1_47radix_sort_onesweep_sort_config_static_selectorELNS0_4arch9wavefront6targetE1EEEvSI_: ; @_ZN7rocprim17ROCPRIM_400000_NS6detail17trampoline_kernelINS0_14default_configENS1_35radix_sort_onesweep_config_selectorIiiEEZZNS1_29radix_sort_onesweep_iterationIS3_Lb0EN6thrust23THRUST_200600_302600_NS6detail15normal_iteratorINS8_10device_ptrIiEEEESD_SD_SD_jNS0_19identity_decomposerENS1_16block_id_wrapperIjLb1EEEEE10hipError_tT1_PNSt15iterator_traitsISI_E10value_typeET2_T3_PNSJ_ISO_E10value_typeET4_T5_PST_SU_PNS1_23onesweep_lookback_stateEbbT6_jjT7_P12ihipStream_tbENKUlT_T0_SI_SN_E_clIPiSD_S15_SD_EEDaS11_S12_SI_SN_EUlS11_E_NS1_11comp_targetILNS1_3genE10ELNS1_11target_archE1201ELNS1_3gpuE5ELNS1_3repE0EEENS1_47radix_sort_onesweep_sort_config_static_selectorELNS0_4arch9wavefront6targetE1EEEvSI_
; %bb.0:
	.section	.rodata,"a",@progbits
	.p2align	6, 0x0
	.amdhsa_kernel _ZN7rocprim17ROCPRIM_400000_NS6detail17trampoline_kernelINS0_14default_configENS1_35radix_sort_onesweep_config_selectorIiiEEZZNS1_29radix_sort_onesweep_iterationIS3_Lb0EN6thrust23THRUST_200600_302600_NS6detail15normal_iteratorINS8_10device_ptrIiEEEESD_SD_SD_jNS0_19identity_decomposerENS1_16block_id_wrapperIjLb1EEEEE10hipError_tT1_PNSt15iterator_traitsISI_E10value_typeET2_T3_PNSJ_ISO_E10value_typeET4_T5_PST_SU_PNS1_23onesweep_lookback_stateEbbT6_jjT7_P12ihipStream_tbENKUlT_T0_SI_SN_E_clIPiSD_S15_SD_EEDaS11_S12_SI_SN_EUlS11_E_NS1_11comp_targetILNS1_3genE10ELNS1_11target_archE1201ELNS1_3gpuE5ELNS1_3repE0EEENS1_47radix_sort_onesweep_sort_config_static_selectorELNS0_4arch9wavefront6targetE1EEEvSI_
		.amdhsa_group_segment_fixed_size 0
		.amdhsa_private_segment_fixed_size 0
		.amdhsa_kernarg_size 88
		.amdhsa_user_sgpr_count 2
		.amdhsa_user_sgpr_dispatch_ptr 0
		.amdhsa_user_sgpr_queue_ptr 0
		.amdhsa_user_sgpr_kernarg_segment_ptr 1
		.amdhsa_user_sgpr_dispatch_id 0
		.amdhsa_user_sgpr_kernarg_preload_length 0
		.amdhsa_user_sgpr_kernarg_preload_offset 0
		.amdhsa_user_sgpr_private_segment_size 0
		.amdhsa_uses_dynamic_stack 0
		.amdhsa_enable_private_segment 0
		.amdhsa_system_sgpr_workgroup_id_x 1
		.amdhsa_system_sgpr_workgroup_id_y 0
		.amdhsa_system_sgpr_workgroup_id_z 0
		.amdhsa_system_sgpr_workgroup_info 0
		.amdhsa_system_vgpr_workitem_id 0
		.amdhsa_next_free_vgpr 1
		.amdhsa_next_free_sgpr 0
		.amdhsa_accum_offset 4
		.amdhsa_reserve_vcc 0
		.amdhsa_float_round_mode_32 0
		.amdhsa_float_round_mode_16_64 0
		.amdhsa_float_denorm_mode_32 3
		.amdhsa_float_denorm_mode_16_64 3
		.amdhsa_dx10_clamp 1
		.amdhsa_ieee_mode 1
		.amdhsa_fp16_overflow 0
		.amdhsa_tg_split 0
		.amdhsa_exception_fp_ieee_invalid_op 0
		.amdhsa_exception_fp_denorm_src 0
		.amdhsa_exception_fp_ieee_div_zero 0
		.amdhsa_exception_fp_ieee_overflow 0
		.amdhsa_exception_fp_ieee_underflow 0
		.amdhsa_exception_fp_ieee_inexact 0
		.amdhsa_exception_int_div_zero 0
	.end_amdhsa_kernel
	.section	.text._ZN7rocprim17ROCPRIM_400000_NS6detail17trampoline_kernelINS0_14default_configENS1_35radix_sort_onesweep_config_selectorIiiEEZZNS1_29radix_sort_onesweep_iterationIS3_Lb0EN6thrust23THRUST_200600_302600_NS6detail15normal_iteratorINS8_10device_ptrIiEEEESD_SD_SD_jNS0_19identity_decomposerENS1_16block_id_wrapperIjLb1EEEEE10hipError_tT1_PNSt15iterator_traitsISI_E10value_typeET2_T3_PNSJ_ISO_E10value_typeET4_T5_PST_SU_PNS1_23onesweep_lookback_stateEbbT6_jjT7_P12ihipStream_tbENKUlT_T0_SI_SN_E_clIPiSD_S15_SD_EEDaS11_S12_SI_SN_EUlS11_E_NS1_11comp_targetILNS1_3genE10ELNS1_11target_archE1201ELNS1_3gpuE5ELNS1_3repE0EEENS1_47radix_sort_onesweep_sort_config_static_selectorELNS0_4arch9wavefront6targetE1EEEvSI_,"axG",@progbits,_ZN7rocprim17ROCPRIM_400000_NS6detail17trampoline_kernelINS0_14default_configENS1_35radix_sort_onesweep_config_selectorIiiEEZZNS1_29radix_sort_onesweep_iterationIS3_Lb0EN6thrust23THRUST_200600_302600_NS6detail15normal_iteratorINS8_10device_ptrIiEEEESD_SD_SD_jNS0_19identity_decomposerENS1_16block_id_wrapperIjLb1EEEEE10hipError_tT1_PNSt15iterator_traitsISI_E10value_typeET2_T3_PNSJ_ISO_E10value_typeET4_T5_PST_SU_PNS1_23onesweep_lookback_stateEbbT6_jjT7_P12ihipStream_tbENKUlT_T0_SI_SN_E_clIPiSD_S15_SD_EEDaS11_S12_SI_SN_EUlS11_E_NS1_11comp_targetILNS1_3genE10ELNS1_11target_archE1201ELNS1_3gpuE5ELNS1_3repE0EEENS1_47radix_sort_onesweep_sort_config_static_selectorELNS0_4arch9wavefront6targetE1EEEvSI_,comdat
.Lfunc_end1443:
	.size	_ZN7rocprim17ROCPRIM_400000_NS6detail17trampoline_kernelINS0_14default_configENS1_35radix_sort_onesweep_config_selectorIiiEEZZNS1_29radix_sort_onesweep_iterationIS3_Lb0EN6thrust23THRUST_200600_302600_NS6detail15normal_iteratorINS8_10device_ptrIiEEEESD_SD_SD_jNS0_19identity_decomposerENS1_16block_id_wrapperIjLb1EEEEE10hipError_tT1_PNSt15iterator_traitsISI_E10value_typeET2_T3_PNSJ_ISO_E10value_typeET4_T5_PST_SU_PNS1_23onesweep_lookback_stateEbbT6_jjT7_P12ihipStream_tbENKUlT_T0_SI_SN_E_clIPiSD_S15_SD_EEDaS11_S12_SI_SN_EUlS11_E_NS1_11comp_targetILNS1_3genE10ELNS1_11target_archE1201ELNS1_3gpuE5ELNS1_3repE0EEENS1_47radix_sort_onesweep_sort_config_static_selectorELNS0_4arch9wavefront6targetE1EEEvSI_, .Lfunc_end1443-_ZN7rocprim17ROCPRIM_400000_NS6detail17trampoline_kernelINS0_14default_configENS1_35radix_sort_onesweep_config_selectorIiiEEZZNS1_29radix_sort_onesweep_iterationIS3_Lb0EN6thrust23THRUST_200600_302600_NS6detail15normal_iteratorINS8_10device_ptrIiEEEESD_SD_SD_jNS0_19identity_decomposerENS1_16block_id_wrapperIjLb1EEEEE10hipError_tT1_PNSt15iterator_traitsISI_E10value_typeET2_T3_PNSJ_ISO_E10value_typeET4_T5_PST_SU_PNS1_23onesweep_lookback_stateEbbT6_jjT7_P12ihipStream_tbENKUlT_T0_SI_SN_E_clIPiSD_S15_SD_EEDaS11_S12_SI_SN_EUlS11_E_NS1_11comp_targetILNS1_3genE10ELNS1_11target_archE1201ELNS1_3gpuE5ELNS1_3repE0EEENS1_47radix_sort_onesweep_sort_config_static_selectorELNS0_4arch9wavefront6targetE1EEEvSI_
                                        ; -- End function
	.set _ZN7rocprim17ROCPRIM_400000_NS6detail17trampoline_kernelINS0_14default_configENS1_35radix_sort_onesweep_config_selectorIiiEEZZNS1_29radix_sort_onesweep_iterationIS3_Lb0EN6thrust23THRUST_200600_302600_NS6detail15normal_iteratorINS8_10device_ptrIiEEEESD_SD_SD_jNS0_19identity_decomposerENS1_16block_id_wrapperIjLb1EEEEE10hipError_tT1_PNSt15iterator_traitsISI_E10value_typeET2_T3_PNSJ_ISO_E10value_typeET4_T5_PST_SU_PNS1_23onesweep_lookback_stateEbbT6_jjT7_P12ihipStream_tbENKUlT_T0_SI_SN_E_clIPiSD_S15_SD_EEDaS11_S12_SI_SN_EUlS11_E_NS1_11comp_targetILNS1_3genE10ELNS1_11target_archE1201ELNS1_3gpuE5ELNS1_3repE0EEENS1_47radix_sort_onesweep_sort_config_static_selectorELNS0_4arch9wavefront6targetE1EEEvSI_.num_vgpr, 0
	.set _ZN7rocprim17ROCPRIM_400000_NS6detail17trampoline_kernelINS0_14default_configENS1_35radix_sort_onesweep_config_selectorIiiEEZZNS1_29radix_sort_onesweep_iterationIS3_Lb0EN6thrust23THRUST_200600_302600_NS6detail15normal_iteratorINS8_10device_ptrIiEEEESD_SD_SD_jNS0_19identity_decomposerENS1_16block_id_wrapperIjLb1EEEEE10hipError_tT1_PNSt15iterator_traitsISI_E10value_typeET2_T3_PNSJ_ISO_E10value_typeET4_T5_PST_SU_PNS1_23onesweep_lookback_stateEbbT6_jjT7_P12ihipStream_tbENKUlT_T0_SI_SN_E_clIPiSD_S15_SD_EEDaS11_S12_SI_SN_EUlS11_E_NS1_11comp_targetILNS1_3genE10ELNS1_11target_archE1201ELNS1_3gpuE5ELNS1_3repE0EEENS1_47radix_sort_onesweep_sort_config_static_selectorELNS0_4arch9wavefront6targetE1EEEvSI_.num_agpr, 0
	.set _ZN7rocprim17ROCPRIM_400000_NS6detail17trampoline_kernelINS0_14default_configENS1_35radix_sort_onesweep_config_selectorIiiEEZZNS1_29radix_sort_onesweep_iterationIS3_Lb0EN6thrust23THRUST_200600_302600_NS6detail15normal_iteratorINS8_10device_ptrIiEEEESD_SD_SD_jNS0_19identity_decomposerENS1_16block_id_wrapperIjLb1EEEEE10hipError_tT1_PNSt15iterator_traitsISI_E10value_typeET2_T3_PNSJ_ISO_E10value_typeET4_T5_PST_SU_PNS1_23onesweep_lookback_stateEbbT6_jjT7_P12ihipStream_tbENKUlT_T0_SI_SN_E_clIPiSD_S15_SD_EEDaS11_S12_SI_SN_EUlS11_E_NS1_11comp_targetILNS1_3genE10ELNS1_11target_archE1201ELNS1_3gpuE5ELNS1_3repE0EEENS1_47radix_sort_onesweep_sort_config_static_selectorELNS0_4arch9wavefront6targetE1EEEvSI_.numbered_sgpr, 0
	.set _ZN7rocprim17ROCPRIM_400000_NS6detail17trampoline_kernelINS0_14default_configENS1_35radix_sort_onesweep_config_selectorIiiEEZZNS1_29radix_sort_onesweep_iterationIS3_Lb0EN6thrust23THRUST_200600_302600_NS6detail15normal_iteratorINS8_10device_ptrIiEEEESD_SD_SD_jNS0_19identity_decomposerENS1_16block_id_wrapperIjLb1EEEEE10hipError_tT1_PNSt15iterator_traitsISI_E10value_typeET2_T3_PNSJ_ISO_E10value_typeET4_T5_PST_SU_PNS1_23onesweep_lookback_stateEbbT6_jjT7_P12ihipStream_tbENKUlT_T0_SI_SN_E_clIPiSD_S15_SD_EEDaS11_S12_SI_SN_EUlS11_E_NS1_11comp_targetILNS1_3genE10ELNS1_11target_archE1201ELNS1_3gpuE5ELNS1_3repE0EEENS1_47radix_sort_onesweep_sort_config_static_selectorELNS0_4arch9wavefront6targetE1EEEvSI_.num_named_barrier, 0
	.set _ZN7rocprim17ROCPRIM_400000_NS6detail17trampoline_kernelINS0_14default_configENS1_35radix_sort_onesweep_config_selectorIiiEEZZNS1_29radix_sort_onesweep_iterationIS3_Lb0EN6thrust23THRUST_200600_302600_NS6detail15normal_iteratorINS8_10device_ptrIiEEEESD_SD_SD_jNS0_19identity_decomposerENS1_16block_id_wrapperIjLb1EEEEE10hipError_tT1_PNSt15iterator_traitsISI_E10value_typeET2_T3_PNSJ_ISO_E10value_typeET4_T5_PST_SU_PNS1_23onesweep_lookback_stateEbbT6_jjT7_P12ihipStream_tbENKUlT_T0_SI_SN_E_clIPiSD_S15_SD_EEDaS11_S12_SI_SN_EUlS11_E_NS1_11comp_targetILNS1_3genE10ELNS1_11target_archE1201ELNS1_3gpuE5ELNS1_3repE0EEENS1_47radix_sort_onesweep_sort_config_static_selectorELNS0_4arch9wavefront6targetE1EEEvSI_.private_seg_size, 0
	.set _ZN7rocprim17ROCPRIM_400000_NS6detail17trampoline_kernelINS0_14default_configENS1_35radix_sort_onesweep_config_selectorIiiEEZZNS1_29radix_sort_onesweep_iterationIS3_Lb0EN6thrust23THRUST_200600_302600_NS6detail15normal_iteratorINS8_10device_ptrIiEEEESD_SD_SD_jNS0_19identity_decomposerENS1_16block_id_wrapperIjLb1EEEEE10hipError_tT1_PNSt15iterator_traitsISI_E10value_typeET2_T3_PNSJ_ISO_E10value_typeET4_T5_PST_SU_PNS1_23onesweep_lookback_stateEbbT6_jjT7_P12ihipStream_tbENKUlT_T0_SI_SN_E_clIPiSD_S15_SD_EEDaS11_S12_SI_SN_EUlS11_E_NS1_11comp_targetILNS1_3genE10ELNS1_11target_archE1201ELNS1_3gpuE5ELNS1_3repE0EEENS1_47radix_sort_onesweep_sort_config_static_selectorELNS0_4arch9wavefront6targetE1EEEvSI_.uses_vcc, 0
	.set _ZN7rocprim17ROCPRIM_400000_NS6detail17trampoline_kernelINS0_14default_configENS1_35radix_sort_onesweep_config_selectorIiiEEZZNS1_29radix_sort_onesweep_iterationIS3_Lb0EN6thrust23THRUST_200600_302600_NS6detail15normal_iteratorINS8_10device_ptrIiEEEESD_SD_SD_jNS0_19identity_decomposerENS1_16block_id_wrapperIjLb1EEEEE10hipError_tT1_PNSt15iterator_traitsISI_E10value_typeET2_T3_PNSJ_ISO_E10value_typeET4_T5_PST_SU_PNS1_23onesweep_lookback_stateEbbT6_jjT7_P12ihipStream_tbENKUlT_T0_SI_SN_E_clIPiSD_S15_SD_EEDaS11_S12_SI_SN_EUlS11_E_NS1_11comp_targetILNS1_3genE10ELNS1_11target_archE1201ELNS1_3gpuE5ELNS1_3repE0EEENS1_47radix_sort_onesweep_sort_config_static_selectorELNS0_4arch9wavefront6targetE1EEEvSI_.uses_flat_scratch, 0
	.set _ZN7rocprim17ROCPRIM_400000_NS6detail17trampoline_kernelINS0_14default_configENS1_35radix_sort_onesweep_config_selectorIiiEEZZNS1_29radix_sort_onesweep_iterationIS3_Lb0EN6thrust23THRUST_200600_302600_NS6detail15normal_iteratorINS8_10device_ptrIiEEEESD_SD_SD_jNS0_19identity_decomposerENS1_16block_id_wrapperIjLb1EEEEE10hipError_tT1_PNSt15iterator_traitsISI_E10value_typeET2_T3_PNSJ_ISO_E10value_typeET4_T5_PST_SU_PNS1_23onesweep_lookback_stateEbbT6_jjT7_P12ihipStream_tbENKUlT_T0_SI_SN_E_clIPiSD_S15_SD_EEDaS11_S12_SI_SN_EUlS11_E_NS1_11comp_targetILNS1_3genE10ELNS1_11target_archE1201ELNS1_3gpuE5ELNS1_3repE0EEENS1_47radix_sort_onesweep_sort_config_static_selectorELNS0_4arch9wavefront6targetE1EEEvSI_.has_dyn_sized_stack, 0
	.set _ZN7rocprim17ROCPRIM_400000_NS6detail17trampoline_kernelINS0_14default_configENS1_35radix_sort_onesweep_config_selectorIiiEEZZNS1_29radix_sort_onesweep_iterationIS3_Lb0EN6thrust23THRUST_200600_302600_NS6detail15normal_iteratorINS8_10device_ptrIiEEEESD_SD_SD_jNS0_19identity_decomposerENS1_16block_id_wrapperIjLb1EEEEE10hipError_tT1_PNSt15iterator_traitsISI_E10value_typeET2_T3_PNSJ_ISO_E10value_typeET4_T5_PST_SU_PNS1_23onesweep_lookback_stateEbbT6_jjT7_P12ihipStream_tbENKUlT_T0_SI_SN_E_clIPiSD_S15_SD_EEDaS11_S12_SI_SN_EUlS11_E_NS1_11comp_targetILNS1_3genE10ELNS1_11target_archE1201ELNS1_3gpuE5ELNS1_3repE0EEENS1_47radix_sort_onesweep_sort_config_static_selectorELNS0_4arch9wavefront6targetE1EEEvSI_.has_recursion, 0
	.set _ZN7rocprim17ROCPRIM_400000_NS6detail17trampoline_kernelINS0_14default_configENS1_35radix_sort_onesweep_config_selectorIiiEEZZNS1_29radix_sort_onesweep_iterationIS3_Lb0EN6thrust23THRUST_200600_302600_NS6detail15normal_iteratorINS8_10device_ptrIiEEEESD_SD_SD_jNS0_19identity_decomposerENS1_16block_id_wrapperIjLb1EEEEE10hipError_tT1_PNSt15iterator_traitsISI_E10value_typeET2_T3_PNSJ_ISO_E10value_typeET4_T5_PST_SU_PNS1_23onesweep_lookback_stateEbbT6_jjT7_P12ihipStream_tbENKUlT_T0_SI_SN_E_clIPiSD_S15_SD_EEDaS11_S12_SI_SN_EUlS11_E_NS1_11comp_targetILNS1_3genE10ELNS1_11target_archE1201ELNS1_3gpuE5ELNS1_3repE0EEENS1_47radix_sort_onesweep_sort_config_static_selectorELNS0_4arch9wavefront6targetE1EEEvSI_.has_indirect_call, 0
	.section	.AMDGPU.csdata,"",@progbits
; Kernel info:
; codeLenInByte = 0
; TotalNumSgprs: 6
; NumVgprs: 0
; NumAgprs: 0
; TotalNumVgprs: 0
; ScratchSize: 0
; MemoryBound: 0
; FloatMode: 240
; IeeeMode: 1
; LDSByteSize: 0 bytes/workgroup (compile time only)
; SGPRBlocks: 0
; VGPRBlocks: 0
; NumSGPRsForWavesPerEU: 6
; NumVGPRsForWavesPerEU: 1
; AccumOffset: 4
; Occupancy: 8
; WaveLimiterHint : 0
; COMPUTE_PGM_RSRC2:SCRATCH_EN: 0
; COMPUTE_PGM_RSRC2:USER_SGPR: 2
; COMPUTE_PGM_RSRC2:TRAP_HANDLER: 0
; COMPUTE_PGM_RSRC2:TGID_X_EN: 1
; COMPUTE_PGM_RSRC2:TGID_Y_EN: 0
; COMPUTE_PGM_RSRC2:TGID_Z_EN: 0
; COMPUTE_PGM_RSRC2:TIDIG_COMP_CNT: 0
; COMPUTE_PGM_RSRC3_GFX90A:ACCUM_OFFSET: 0
; COMPUTE_PGM_RSRC3_GFX90A:TG_SPLIT: 0
	.section	.text._ZN7rocprim17ROCPRIM_400000_NS6detail17trampoline_kernelINS0_14default_configENS1_35radix_sort_onesweep_config_selectorIiiEEZZNS1_29radix_sort_onesweep_iterationIS3_Lb0EN6thrust23THRUST_200600_302600_NS6detail15normal_iteratorINS8_10device_ptrIiEEEESD_SD_SD_jNS0_19identity_decomposerENS1_16block_id_wrapperIjLb1EEEEE10hipError_tT1_PNSt15iterator_traitsISI_E10value_typeET2_T3_PNSJ_ISO_E10value_typeET4_T5_PST_SU_PNS1_23onesweep_lookback_stateEbbT6_jjT7_P12ihipStream_tbENKUlT_T0_SI_SN_E_clIPiSD_S15_SD_EEDaS11_S12_SI_SN_EUlS11_E_NS1_11comp_targetILNS1_3genE9ELNS1_11target_archE1100ELNS1_3gpuE3ELNS1_3repE0EEENS1_47radix_sort_onesweep_sort_config_static_selectorELNS0_4arch9wavefront6targetE1EEEvSI_,"axG",@progbits,_ZN7rocprim17ROCPRIM_400000_NS6detail17trampoline_kernelINS0_14default_configENS1_35radix_sort_onesweep_config_selectorIiiEEZZNS1_29radix_sort_onesweep_iterationIS3_Lb0EN6thrust23THRUST_200600_302600_NS6detail15normal_iteratorINS8_10device_ptrIiEEEESD_SD_SD_jNS0_19identity_decomposerENS1_16block_id_wrapperIjLb1EEEEE10hipError_tT1_PNSt15iterator_traitsISI_E10value_typeET2_T3_PNSJ_ISO_E10value_typeET4_T5_PST_SU_PNS1_23onesweep_lookback_stateEbbT6_jjT7_P12ihipStream_tbENKUlT_T0_SI_SN_E_clIPiSD_S15_SD_EEDaS11_S12_SI_SN_EUlS11_E_NS1_11comp_targetILNS1_3genE9ELNS1_11target_archE1100ELNS1_3gpuE3ELNS1_3repE0EEENS1_47radix_sort_onesweep_sort_config_static_selectorELNS0_4arch9wavefront6targetE1EEEvSI_,comdat
	.protected	_ZN7rocprim17ROCPRIM_400000_NS6detail17trampoline_kernelINS0_14default_configENS1_35radix_sort_onesweep_config_selectorIiiEEZZNS1_29radix_sort_onesweep_iterationIS3_Lb0EN6thrust23THRUST_200600_302600_NS6detail15normal_iteratorINS8_10device_ptrIiEEEESD_SD_SD_jNS0_19identity_decomposerENS1_16block_id_wrapperIjLb1EEEEE10hipError_tT1_PNSt15iterator_traitsISI_E10value_typeET2_T3_PNSJ_ISO_E10value_typeET4_T5_PST_SU_PNS1_23onesweep_lookback_stateEbbT6_jjT7_P12ihipStream_tbENKUlT_T0_SI_SN_E_clIPiSD_S15_SD_EEDaS11_S12_SI_SN_EUlS11_E_NS1_11comp_targetILNS1_3genE9ELNS1_11target_archE1100ELNS1_3gpuE3ELNS1_3repE0EEENS1_47radix_sort_onesweep_sort_config_static_selectorELNS0_4arch9wavefront6targetE1EEEvSI_ ; -- Begin function _ZN7rocprim17ROCPRIM_400000_NS6detail17trampoline_kernelINS0_14default_configENS1_35radix_sort_onesweep_config_selectorIiiEEZZNS1_29radix_sort_onesweep_iterationIS3_Lb0EN6thrust23THRUST_200600_302600_NS6detail15normal_iteratorINS8_10device_ptrIiEEEESD_SD_SD_jNS0_19identity_decomposerENS1_16block_id_wrapperIjLb1EEEEE10hipError_tT1_PNSt15iterator_traitsISI_E10value_typeET2_T3_PNSJ_ISO_E10value_typeET4_T5_PST_SU_PNS1_23onesweep_lookback_stateEbbT6_jjT7_P12ihipStream_tbENKUlT_T0_SI_SN_E_clIPiSD_S15_SD_EEDaS11_S12_SI_SN_EUlS11_E_NS1_11comp_targetILNS1_3genE9ELNS1_11target_archE1100ELNS1_3gpuE3ELNS1_3repE0EEENS1_47radix_sort_onesweep_sort_config_static_selectorELNS0_4arch9wavefront6targetE1EEEvSI_
	.globl	_ZN7rocprim17ROCPRIM_400000_NS6detail17trampoline_kernelINS0_14default_configENS1_35radix_sort_onesweep_config_selectorIiiEEZZNS1_29radix_sort_onesweep_iterationIS3_Lb0EN6thrust23THRUST_200600_302600_NS6detail15normal_iteratorINS8_10device_ptrIiEEEESD_SD_SD_jNS0_19identity_decomposerENS1_16block_id_wrapperIjLb1EEEEE10hipError_tT1_PNSt15iterator_traitsISI_E10value_typeET2_T3_PNSJ_ISO_E10value_typeET4_T5_PST_SU_PNS1_23onesweep_lookback_stateEbbT6_jjT7_P12ihipStream_tbENKUlT_T0_SI_SN_E_clIPiSD_S15_SD_EEDaS11_S12_SI_SN_EUlS11_E_NS1_11comp_targetILNS1_3genE9ELNS1_11target_archE1100ELNS1_3gpuE3ELNS1_3repE0EEENS1_47radix_sort_onesweep_sort_config_static_selectorELNS0_4arch9wavefront6targetE1EEEvSI_
	.p2align	8
	.type	_ZN7rocprim17ROCPRIM_400000_NS6detail17trampoline_kernelINS0_14default_configENS1_35radix_sort_onesweep_config_selectorIiiEEZZNS1_29radix_sort_onesweep_iterationIS3_Lb0EN6thrust23THRUST_200600_302600_NS6detail15normal_iteratorINS8_10device_ptrIiEEEESD_SD_SD_jNS0_19identity_decomposerENS1_16block_id_wrapperIjLb1EEEEE10hipError_tT1_PNSt15iterator_traitsISI_E10value_typeET2_T3_PNSJ_ISO_E10value_typeET4_T5_PST_SU_PNS1_23onesweep_lookback_stateEbbT6_jjT7_P12ihipStream_tbENKUlT_T0_SI_SN_E_clIPiSD_S15_SD_EEDaS11_S12_SI_SN_EUlS11_E_NS1_11comp_targetILNS1_3genE9ELNS1_11target_archE1100ELNS1_3gpuE3ELNS1_3repE0EEENS1_47radix_sort_onesweep_sort_config_static_selectorELNS0_4arch9wavefront6targetE1EEEvSI_,@function
_ZN7rocprim17ROCPRIM_400000_NS6detail17trampoline_kernelINS0_14default_configENS1_35radix_sort_onesweep_config_selectorIiiEEZZNS1_29radix_sort_onesweep_iterationIS3_Lb0EN6thrust23THRUST_200600_302600_NS6detail15normal_iteratorINS8_10device_ptrIiEEEESD_SD_SD_jNS0_19identity_decomposerENS1_16block_id_wrapperIjLb1EEEEE10hipError_tT1_PNSt15iterator_traitsISI_E10value_typeET2_T3_PNSJ_ISO_E10value_typeET4_T5_PST_SU_PNS1_23onesweep_lookback_stateEbbT6_jjT7_P12ihipStream_tbENKUlT_T0_SI_SN_E_clIPiSD_S15_SD_EEDaS11_S12_SI_SN_EUlS11_E_NS1_11comp_targetILNS1_3genE9ELNS1_11target_archE1100ELNS1_3gpuE3ELNS1_3repE0EEENS1_47radix_sort_onesweep_sort_config_static_selectorELNS0_4arch9wavefront6targetE1EEEvSI_: ; @_ZN7rocprim17ROCPRIM_400000_NS6detail17trampoline_kernelINS0_14default_configENS1_35radix_sort_onesweep_config_selectorIiiEEZZNS1_29radix_sort_onesweep_iterationIS3_Lb0EN6thrust23THRUST_200600_302600_NS6detail15normal_iteratorINS8_10device_ptrIiEEEESD_SD_SD_jNS0_19identity_decomposerENS1_16block_id_wrapperIjLb1EEEEE10hipError_tT1_PNSt15iterator_traitsISI_E10value_typeET2_T3_PNSJ_ISO_E10value_typeET4_T5_PST_SU_PNS1_23onesweep_lookback_stateEbbT6_jjT7_P12ihipStream_tbENKUlT_T0_SI_SN_E_clIPiSD_S15_SD_EEDaS11_S12_SI_SN_EUlS11_E_NS1_11comp_targetILNS1_3genE9ELNS1_11target_archE1100ELNS1_3gpuE3ELNS1_3repE0EEENS1_47radix_sort_onesweep_sort_config_static_selectorELNS0_4arch9wavefront6targetE1EEEvSI_
; %bb.0:
	.section	.rodata,"a",@progbits
	.p2align	6, 0x0
	.amdhsa_kernel _ZN7rocprim17ROCPRIM_400000_NS6detail17trampoline_kernelINS0_14default_configENS1_35radix_sort_onesweep_config_selectorIiiEEZZNS1_29radix_sort_onesweep_iterationIS3_Lb0EN6thrust23THRUST_200600_302600_NS6detail15normal_iteratorINS8_10device_ptrIiEEEESD_SD_SD_jNS0_19identity_decomposerENS1_16block_id_wrapperIjLb1EEEEE10hipError_tT1_PNSt15iterator_traitsISI_E10value_typeET2_T3_PNSJ_ISO_E10value_typeET4_T5_PST_SU_PNS1_23onesweep_lookback_stateEbbT6_jjT7_P12ihipStream_tbENKUlT_T0_SI_SN_E_clIPiSD_S15_SD_EEDaS11_S12_SI_SN_EUlS11_E_NS1_11comp_targetILNS1_3genE9ELNS1_11target_archE1100ELNS1_3gpuE3ELNS1_3repE0EEENS1_47radix_sort_onesweep_sort_config_static_selectorELNS0_4arch9wavefront6targetE1EEEvSI_
		.amdhsa_group_segment_fixed_size 0
		.amdhsa_private_segment_fixed_size 0
		.amdhsa_kernarg_size 88
		.amdhsa_user_sgpr_count 2
		.amdhsa_user_sgpr_dispatch_ptr 0
		.amdhsa_user_sgpr_queue_ptr 0
		.amdhsa_user_sgpr_kernarg_segment_ptr 1
		.amdhsa_user_sgpr_dispatch_id 0
		.amdhsa_user_sgpr_kernarg_preload_length 0
		.amdhsa_user_sgpr_kernarg_preload_offset 0
		.amdhsa_user_sgpr_private_segment_size 0
		.amdhsa_uses_dynamic_stack 0
		.amdhsa_enable_private_segment 0
		.amdhsa_system_sgpr_workgroup_id_x 1
		.amdhsa_system_sgpr_workgroup_id_y 0
		.amdhsa_system_sgpr_workgroup_id_z 0
		.amdhsa_system_sgpr_workgroup_info 0
		.amdhsa_system_vgpr_workitem_id 0
		.amdhsa_next_free_vgpr 1
		.amdhsa_next_free_sgpr 0
		.amdhsa_accum_offset 4
		.amdhsa_reserve_vcc 0
		.amdhsa_float_round_mode_32 0
		.amdhsa_float_round_mode_16_64 0
		.amdhsa_float_denorm_mode_32 3
		.amdhsa_float_denorm_mode_16_64 3
		.amdhsa_dx10_clamp 1
		.amdhsa_ieee_mode 1
		.amdhsa_fp16_overflow 0
		.amdhsa_tg_split 0
		.amdhsa_exception_fp_ieee_invalid_op 0
		.amdhsa_exception_fp_denorm_src 0
		.amdhsa_exception_fp_ieee_div_zero 0
		.amdhsa_exception_fp_ieee_overflow 0
		.amdhsa_exception_fp_ieee_underflow 0
		.amdhsa_exception_fp_ieee_inexact 0
		.amdhsa_exception_int_div_zero 0
	.end_amdhsa_kernel
	.section	.text._ZN7rocprim17ROCPRIM_400000_NS6detail17trampoline_kernelINS0_14default_configENS1_35radix_sort_onesweep_config_selectorIiiEEZZNS1_29radix_sort_onesweep_iterationIS3_Lb0EN6thrust23THRUST_200600_302600_NS6detail15normal_iteratorINS8_10device_ptrIiEEEESD_SD_SD_jNS0_19identity_decomposerENS1_16block_id_wrapperIjLb1EEEEE10hipError_tT1_PNSt15iterator_traitsISI_E10value_typeET2_T3_PNSJ_ISO_E10value_typeET4_T5_PST_SU_PNS1_23onesweep_lookback_stateEbbT6_jjT7_P12ihipStream_tbENKUlT_T0_SI_SN_E_clIPiSD_S15_SD_EEDaS11_S12_SI_SN_EUlS11_E_NS1_11comp_targetILNS1_3genE9ELNS1_11target_archE1100ELNS1_3gpuE3ELNS1_3repE0EEENS1_47radix_sort_onesweep_sort_config_static_selectorELNS0_4arch9wavefront6targetE1EEEvSI_,"axG",@progbits,_ZN7rocprim17ROCPRIM_400000_NS6detail17trampoline_kernelINS0_14default_configENS1_35radix_sort_onesweep_config_selectorIiiEEZZNS1_29radix_sort_onesweep_iterationIS3_Lb0EN6thrust23THRUST_200600_302600_NS6detail15normal_iteratorINS8_10device_ptrIiEEEESD_SD_SD_jNS0_19identity_decomposerENS1_16block_id_wrapperIjLb1EEEEE10hipError_tT1_PNSt15iterator_traitsISI_E10value_typeET2_T3_PNSJ_ISO_E10value_typeET4_T5_PST_SU_PNS1_23onesweep_lookback_stateEbbT6_jjT7_P12ihipStream_tbENKUlT_T0_SI_SN_E_clIPiSD_S15_SD_EEDaS11_S12_SI_SN_EUlS11_E_NS1_11comp_targetILNS1_3genE9ELNS1_11target_archE1100ELNS1_3gpuE3ELNS1_3repE0EEENS1_47radix_sort_onesweep_sort_config_static_selectorELNS0_4arch9wavefront6targetE1EEEvSI_,comdat
.Lfunc_end1444:
	.size	_ZN7rocprim17ROCPRIM_400000_NS6detail17trampoline_kernelINS0_14default_configENS1_35radix_sort_onesweep_config_selectorIiiEEZZNS1_29radix_sort_onesweep_iterationIS3_Lb0EN6thrust23THRUST_200600_302600_NS6detail15normal_iteratorINS8_10device_ptrIiEEEESD_SD_SD_jNS0_19identity_decomposerENS1_16block_id_wrapperIjLb1EEEEE10hipError_tT1_PNSt15iterator_traitsISI_E10value_typeET2_T3_PNSJ_ISO_E10value_typeET4_T5_PST_SU_PNS1_23onesweep_lookback_stateEbbT6_jjT7_P12ihipStream_tbENKUlT_T0_SI_SN_E_clIPiSD_S15_SD_EEDaS11_S12_SI_SN_EUlS11_E_NS1_11comp_targetILNS1_3genE9ELNS1_11target_archE1100ELNS1_3gpuE3ELNS1_3repE0EEENS1_47radix_sort_onesweep_sort_config_static_selectorELNS0_4arch9wavefront6targetE1EEEvSI_, .Lfunc_end1444-_ZN7rocprim17ROCPRIM_400000_NS6detail17trampoline_kernelINS0_14default_configENS1_35radix_sort_onesweep_config_selectorIiiEEZZNS1_29radix_sort_onesweep_iterationIS3_Lb0EN6thrust23THRUST_200600_302600_NS6detail15normal_iteratorINS8_10device_ptrIiEEEESD_SD_SD_jNS0_19identity_decomposerENS1_16block_id_wrapperIjLb1EEEEE10hipError_tT1_PNSt15iterator_traitsISI_E10value_typeET2_T3_PNSJ_ISO_E10value_typeET4_T5_PST_SU_PNS1_23onesweep_lookback_stateEbbT6_jjT7_P12ihipStream_tbENKUlT_T0_SI_SN_E_clIPiSD_S15_SD_EEDaS11_S12_SI_SN_EUlS11_E_NS1_11comp_targetILNS1_3genE9ELNS1_11target_archE1100ELNS1_3gpuE3ELNS1_3repE0EEENS1_47radix_sort_onesweep_sort_config_static_selectorELNS0_4arch9wavefront6targetE1EEEvSI_
                                        ; -- End function
	.set _ZN7rocprim17ROCPRIM_400000_NS6detail17trampoline_kernelINS0_14default_configENS1_35radix_sort_onesweep_config_selectorIiiEEZZNS1_29radix_sort_onesweep_iterationIS3_Lb0EN6thrust23THRUST_200600_302600_NS6detail15normal_iteratorINS8_10device_ptrIiEEEESD_SD_SD_jNS0_19identity_decomposerENS1_16block_id_wrapperIjLb1EEEEE10hipError_tT1_PNSt15iterator_traitsISI_E10value_typeET2_T3_PNSJ_ISO_E10value_typeET4_T5_PST_SU_PNS1_23onesweep_lookback_stateEbbT6_jjT7_P12ihipStream_tbENKUlT_T0_SI_SN_E_clIPiSD_S15_SD_EEDaS11_S12_SI_SN_EUlS11_E_NS1_11comp_targetILNS1_3genE9ELNS1_11target_archE1100ELNS1_3gpuE3ELNS1_3repE0EEENS1_47radix_sort_onesweep_sort_config_static_selectorELNS0_4arch9wavefront6targetE1EEEvSI_.num_vgpr, 0
	.set _ZN7rocprim17ROCPRIM_400000_NS6detail17trampoline_kernelINS0_14default_configENS1_35radix_sort_onesweep_config_selectorIiiEEZZNS1_29radix_sort_onesweep_iterationIS3_Lb0EN6thrust23THRUST_200600_302600_NS6detail15normal_iteratorINS8_10device_ptrIiEEEESD_SD_SD_jNS0_19identity_decomposerENS1_16block_id_wrapperIjLb1EEEEE10hipError_tT1_PNSt15iterator_traitsISI_E10value_typeET2_T3_PNSJ_ISO_E10value_typeET4_T5_PST_SU_PNS1_23onesweep_lookback_stateEbbT6_jjT7_P12ihipStream_tbENKUlT_T0_SI_SN_E_clIPiSD_S15_SD_EEDaS11_S12_SI_SN_EUlS11_E_NS1_11comp_targetILNS1_3genE9ELNS1_11target_archE1100ELNS1_3gpuE3ELNS1_3repE0EEENS1_47radix_sort_onesweep_sort_config_static_selectorELNS0_4arch9wavefront6targetE1EEEvSI_.num_agpr, 0
	.set _ZN7rocprim17ROCPRIM_400000_NS6detail17trampoline_kernelINS0_14default_configENS1_35radix_sort_onesweep_config_selectorIiiEEZZNS1_29radix_sort_onesweep_iterationIS3_Lb0EN6thrust23THRUST_200600_302600_NS6detail15normal_iteratorINS8_10device_ptrIiEEEESD_SD_SD_jNS0_19identity_decomposerENS1_16block_id_wrapperIjLb1EEEEE10hipError_tT1_PNSt15iterator_traitsISI_E10value_typeET2_T3_PNSJ_ISO_E10value_typeET4_T5_PST_SU_PNS1_23onesweep_lookback_stateEbbT6_jjT7_P12ihipStream_tbENKUlT_T0_SI_SN_E_clIPiSD_S15_SD_EEDaS11_S12_SI_SN_EUlS11_E_NS1_11comp_targetILNS1_3genE9ELNS1_11target_archE1100ELNS1_3gpuE3ELNS1_3repE0EEENS1_47radix_sort_onesweep_sort_config_static_selectorELNS0_4arch9wavefront6targetE1EEEvSI_.numbered_sgpr, 0
	.set _ZN7rocprim17ROCPRIM_400000_NS6detail17trampoline_kernelINS0_14default_configENS1_35radix_sort_onesweep_config_selectorIiiEEZZNS1_29radix_sort_onesweep_iterationIS3_Lb0EN6thrust23THRUST_200600_302600_NS6detail15normal_iteratorINS8_10device_ptrIiEEEESD_SD_SD_jNS0_19identity_decomposerENS1_16block_id_wrapperIjLb1EEEEE10hipError_tT1_PNSt15iterator_traitsISI_E10value_typeET2_T3_PNSJ_ISO_E10value_typeET4_T5_PST_SU_PNS1_23onesweep_lookback_stateEbbT6_jjT7_P12ihipStream_tbENKUlT_T0_SI_SN_E_clIPiSD_S15_SD_EEDaS11_S12_SI_SN_EUlS11_E_NS1_11comp_targetILNS1_3genE9ELNS1_11target_archE1100ELNS1_3gpuE3ELNS1_3repE0EEENS1_47radix_sort_onesweep_sort_config_static_selectorELNS0_4arch9wavefront6targetE1EEEvSI_.num_named_barrier, 0
	.set _ZN7rocprim17ROCPRIM_400000_NS6detail17trampoline_kernelINS0_14default_configENS1_35radix_sort_onesweep_config_selectorIiiEEZZNS1_29radix_sort_onesweep_iterationIS3_Lb0EN6thrust23THRUST_200600_302600_NS6detail15normal_iteratorINS8_10device_ptrIiEEEESD_SD_SD_jNS0_19identity_decomposerENS1_16block_id_wrapperIjLb1EEEEE10hipError_tT1_PNSt15iterator_traitsISI_E10value_typeET2_T3_PNSJ_ISO_E10value_typeET4_T5_PST_SU_PNS1_23onesweep_lookback_stateEbbT6_jjT7_P12ihipStream_tbENKUlT_T0_SI_SN_E_clIPiSD_S15_SD_EEDaS11_S12_SI_SN_EUlS11_E_NS1_11comp_targetILNS1_3genE9ELNS1_11target_archE1100ELNS1_3gpuE3ELNS1_3repE0EEENS1_47radix_sort_onesweep_sort_config_static_selectorELNS0_4arch9wavefront6targetE1EEEvSI_.private_seg_size, 0
	.set _ZN7rocprim17ROCPRIM_400000_NS6detail17trampoline_kernelINS0_14default_configENS1_35radix_sort_onesweep_config_selectorIiiEEZZNS1_29radix_sort_onesweep_iterationIS3_Lb0EN6thrust23THRUST_200600_302600_NS6detail15normal_iteratorINS8_10device_ptrIiEEEESD_SD_SD_jNS0_19identity_decomposerENS1_16block_id_wrapperIjLb1EEEEE10hipError_tT1_PNSt15iterator_traitsISI_E10value_typeET2_T3_PNSJ_ISO_E10value_typeET4_T5_PST_SU_PNS1_23onesweep_lookback_stateEbbT6_jjT7_P12ihipStream_tbENKUlT_T0_SI_SN_E_clIPiSD_S15_SD_EEDaS11_S12_SI_SN_EUlS11_E_NS1_11comp_targetILNS1_3genE9ELNS1_11target_archE1100ELNS1_3gpuE3ELNS1_3repE0EEENS1_47radix_sort_onesweep_sort_config_static_selectorELNS0_4arch9wavefront6targetE1EEEvSI_.uses_vcc, 0
	.set _ZN7rocprim17ROCPRIM_400000_NS6detail17trampoline_kernelINS0_14default_configENS1_35radix_sort_onesweep_config_selectorIiiEEZZNS1_29radix_sort_onesweep_iterationIS3_Lb0EN6thrust23THRUST_200600_302600_NS6detail15normal_iteratorINS8_10device_ptrIiEEEESD_SD_SD_jNS0_19identity_decomposerENS1_16block_id_wrapperIjLb1EEEEE10hipError_tT1_PNSt15iterator_traitsISI_E10value_typeET2_T3_PNSJ_ISO_E10value_typeET4_T5_PST_SU_PNS1_23onesweep_lookback_stateEbbT6_jjT7_P12ihipStream_tbENKUlT_T0_SI_SN_E_clIPiSD_S15_SD_EEDaS11_S12_SI_SN_EUlS11_E_NS1_11comp_targetILNS1_3genE9ELNS1_11target_archE1100ELNS1_3gpuE3ELNS1_3repE0EEENS1_47radix_sort_onesweep_sort_config_static_selectorELNS0_4arch9wavefront6targetE1EEEvSI_.uses_flat_scratch, 0
	.set _ZN7rocprim17ROCPRIM_400000_NS6detail17trampoline_kernelINS0_14default_configENS1_35radix_sort_onesweep_config_selectorIiiEEZZNS1_29radix_sort_onesweep_iterationIS3_Lb0EN6thrust23THRUST_200600_302600_NS6detail15normal_iteratorINS8_10device_ptrIiEEEESD_SD_SD_jNS0_19identity_decomposerENS1_16block_id_wrapperIjLb1EEEEE10hipError_tT1_PNSt15iterator_traitsISI_E10value_typeET2_T3_PNSJ_ISO_E10value_typeET4_T5_PST_SU_PNS1_23onesweep_lookback_stateEbbT6_jjT7_P12ihipStream_tbENKUlT_T0_SI_SN_E_clIPiSD_S15_SD_EEDaS11_S12_SI_SN_EUlS11_E_NS1_11comp_targetILNS1_3genE9ELNS1_11target_archE1100ELNS1_3gpuE3ELNS1_3repE0EEENS1_47radix_sort_onesweep_sort_config_static_selectorELNS0_4arch9wavefront6targetE1EEEvSI_.has_dyn_sized_stack, 0
	.set _ZN7rocprim17ROCPRIM_400000_NS6detail17trampoline_kernelINS0_14default_configENS1_35radix_sort_onesweep_config_selectorIiiEEZZNS1_29radix_sort_onesweep_iterationIS3_Lb0EN6thrust23THRUST_200600_302600_NS6detail15normal_iteratorINS8_10device_ptrIiEEEESD_SD_SD_jNS0_19identity_decomposerENS1_16block_id_wrapperIjLb1EEEEE10hipError_tT1_PNSt15iterator_traitsISI_E10value_typeET2_T3_PNSJ_ISO_E10value_typeET4_T5_PST_SU_PNS1_23onesweep_lookback_stateEbbT6_jjT7_P12ihipStream_tbENKUlT_T0_SI_SN_E_clIPiSD_S15_SD_EEDaS11_S12_SI_SN_EUlS11_E_NS1_11comp_targetILNS1_3genE9ELNS1_11target_archE1100ELNS1_3gpuE3ELNS1_3repE0EEENS1_47radix_sort_onesweep_sort_config_static_selectorELNS0_4arch9wavefront6targetE1EEEvSI_.has_recursion, 0
	.set _ZN7rocprim17ROCPRIM_400000_NS6detail17trampoline_kernelINS0_14default_configENS1_35radix_sort_onesweep_config_selectorIiiEEZZNS1_29radix_sort_onesweep_iterationIS3_Lb0EN6thrust23THRUST_200600_302600_NS6detail15normal_iteratorINS8_10device_ptrIiEEEESD_SD_SD_jNS0_19identity_decomposerENS1_16block_id_wrapperIjLb1EEEEE10hipError_tT1_PNSt15iterator_traitsISI_E10value_typeET2_T3_PNSJ_ISO_E10value_typeET4_T5_PST_SU_PNS1_23onesweep_lookback_stateEbbT6_jjT7_P12ihipStream_tbENKUlT_T0_SI_SN_E_clIPiSD_S15_SD_EEDaS11_S12_SI_SN_EUlS11_E_NS1_11comp_targetILNS1_3genE9ELNS1_11target_archE1100ELNS1_3gpuE3ELNS1_3repE0EEENS1_47radix_sort_onesweep_sort_config_static_selectorELNS0_4arch9wavefront6targetE1EEEvSI_.has_indirect_call, 0
	.section	.AMDGPU.csdata,"",@progbits
; Kernel info:
; codeLenInByte = 0
; TotalNumSgprs: 6
; NumVgprs: 0
; NumAgprs: 0
; TotalNumVgprs: 0
; ScratchSize: 0
; MemoryBound: 0
; FloatMode: 240
; IeeeMode: 1
; LDSByteSize: 0 bytes/workgroup (compile time only)
; SGPRBlocks: 0
; VGPRBlocks: 0
; NumSGPRsForWavesPerEU: 6
; NumVGPRsForWavesPerEU: 1
; AccumOffset: 4
; Occupancy: 8
; WaveLimiterHint : 0
; COMPUTE_PGM_RSRC2:SCRATCH_EN: 0
; COMPUTE_PGM_RSRC2:USER_SGPR: 2
; COMPUTE_PGM_RSRC2:TRAP_HANDLER: 0
; COMPUTE_PGM_RSRC2:TGID_X_EN: 1
; COMPUTE_PGM_RSRC2:TGID_Y_EN: 0
; COMPUTE_PGM_RSRC2:TGID_Z_EN: 0
; COMPUTE_PGM_RSRC2:TIDIG_COMP_CNT: 0
; COMPUTE_PGM_RSRC3_GFX90A:ACCUM_OFFSET: 0
; COMPUTE_PGM_RSRC3_GFX90A:TG_SPLIT: 0
	.section	.text._ZN7rocprim17ROCPRIM_400000_NS6detail17trampoline_kernelINS0_14default_configENS1_35radix_sort_onesweep_config_selectorIiiEEZZNS1_29radix_sort_onesweep_iterationIS3_Lb0EN6thrust23THRUST_200600_302600_NS6detail15normal_iteratorINS8_10device_ptrIiEEEESD_SD_SD_jNS0_19identity_decomposerENS1_16block_id_wrapperIjLb1EEEEE10hipError_tT1_PNSt15iterator_traitsISI_E10value_typeET2_T3_PNSJ_ISO_E10value_typeET4_T5_PST_SU_PNS1_23onesweep_lookback_stateEbbT6_jjT7_P12ihipStream_tbENKUlT_T0_SI_SN_E_clIPiSD_S15_SD_EEDaS11_S12_SI_SN_EUlS11_E_NS1_11comp_targetILNS1_3genE8ELNS1_11target_archE1030ELNS1_3gpuE2ELNS1_3repE0EEENS1_47radix_sort_onesweep_sort_config_static_selectorELNS0_4arch9wavefront6targetE1EEEvSI_,"axG",@progbits,_ZN7rocprim17ROCPRIM_400000_NS6detail17trampoline_kernelINS0_14default_configENS1_35radix_sort_onesweep_config_selectorIiiEEZZNS1_29radix_sort_onesweep_iterationIS3_Lb0EN6thrust23THRUST_200600_302600_NS6detail15normal_iteratorINS8_10device_ptrIiEEEESD_SD_SD_jNS0_19identity_decomposerENS1_16block_id_wrapperIjLb1EEEEE10hipError_tT1_PNSt15iterator_traitsISI_E10value_typeET2_T3_PNSJ_ISO_E10value_typeET4_T5_PST_SU_PNS1_23onesweep_lookback_stateEbbT6_jjT7_P12ihipStream_tbENKUlT_T0_SI_SN_E_clIPiSD_S15_SD_EEDaS11_S12_SI_SN_EUlS11_E_NS1_11comp_targetILNS1_3genE8ELNS1_11target_archE1030ELNS1_3gpuE2ELNS1_3repE0EEENS1_47radix_sort_onesweep_sort_config_static_selectorELNS0_4arch9wavefront6targetE1EEEvSI_,comdat
	.protected	_ZN7rocprim17ROCPRIM_400000_NS6detail17trampoline_kernelINS0_14default_configENS1_35radix_sort_onesweep_config_selectorIiiEEZZNS1_29radix_sort_onesweep_iterationIS3_Lb0EN6thrust23THRUST_200600_302600_NS6detail15normal_iteratorINS8_10device_ptrIiEEEESD_SD_SD_jNS0_19identity_decomposerENS1_16block_id_wrapperIjLb1EEEEE10hipError_tT1_PNSt15iterator_traitsISI_E10value_typeET2_T3_PNSJ_ISO_E10value_typeET4_T5_PST_SU_PNS1_23onesweep_lookback_stateEbbT6_jjT7_P12ihipStream_tbENKUlT_T0_SI_SN_E_clIPiSD_S15_SD_EEDaS11_S12_SI_SN_EUlS11_E_NS1_11comp_targetILNS1_3genE8ELNS1_11target_archE1030ELNS1_3gpuE2ELNS1_3repE0EEENS1_47radix_sort_onesweep_sort_config_static_selectorELNS0_4arch9wavefront6targetE1EEEvSI_ ; -- Begin function _ZN7rocprim17ROCPRIM_400000_NS6detail17trampoline_kernelINS0_14default_configENS1_35radix_sort_onesweep_config_selectorIiiEEZZNS1_29radix_sort_onesweep_iterationIS3_Lb0EN6thrust23THRUST_200600_302600_NS6detail15normal_iteratorINS8_10device_ptrIiEEEESD_SD_SD_jNS0_19identity_decomposerENS1_16block_id_wrapperIjLb1EEEEE10hipError_tT1_PNSt15iterator_traitsISI_E10value_typeET2_T3_PNSJ_ISO_E10value_typeET4_T5_PST_SU_PNS1_23onesweep_lookback_stateEbbT6_jjT7_P12ihipStream_tbENKUlT_T0_SI_SN_E_clIPiSD_S15_SD_EEDaS11_S12_SI_SN_EUlS11_E_NS1_11comp_targetILNS1_3genE8ELNS1_11target_archE1030ELNS1_3gpuE2ELNS1_3repE0EEENS1_47radix_sort_onesweep_sort_config_static_selectorELNS0_4arch9wavefront6targetE1EEEvSI_
	.globl	_ZN7rocprim17ROCPRIM_400000_NS6detail17trampoline_kernelINS0_14default_configENS1_35radix_sort_onesweep_config_selectorIiiEEZZNS1_29radix_sort_onesweep_iterationIS3_Lb0EN6thrust23THRUST_200600_302600_NS6detail15normal_iteratorINS8_10device_ptrIiEEEESD_SD_SD_jNS0_19identity_decomposerENS1_16block_id_wrapperIjLb1EEEEE10hipError_tT1_PNSt15iterator_traitsISI_E10value_typeET2_T3_PNSJ_ISO_E10value_typeET4_T5_PST_SU_PNS1_23onesweep_lookback_stateEbbT6_jjT7_P12ihipStream_tbENKUlT_T0_SI_SN_E_clIPiSD_S15_SD_EEDaS11_S12_SI_SN_EUlS11_E_NS1_11comp_targetILNS1_3genE8ELNS1_11target_archE1030ELNS1_3gpuE2ELNS1_3repE0EEENS1_47radix_sort_onesweep_sort_config_static_selectorELNS0_4arch9wavefront6targetE1EEEvSI_
	.p2align	8
	.type	_ZN7rocprim17ROCPRIM_400000_NS6detail17trampoline_kernelINS0_14default_configENS1_35radix_sort_onesweep_config_selectorIiiEEZZNS1_29radix_sort_onesweep_iterationIS3_Lb0EN6thrust23THRUST_200600_302600_NS6detail15normal_iteratorINS8_10device_ptrIiEEEESD_SD_SD_jNS0_19identity_decomposerENS1_16block_id_wrapperIjLb1EEEEE10hipError_tT1_PNSt15iterator_traitsISI_E10value_typeET2_T3_PNSJ_ISO_E10value_typeET4_T5_PST_SU_PNS1_23onesweep_lookback_stateEbbT6_jjT7_P12ihipStream_tbENKUlT_T0_SI_SN_E_clIPiSD_S15_SD_EEDaS11_S12_SI_SN_EUlS11_E_NS1_11comp_targetILNS1_3genE8ELNS1_11target_archE1030ELNS1_3gpuE2ELNS1_3repE0EEENS1_47radix_sort_onesweep_sort_config_static_selectorELNS0_4arch9wavefront6targetE1EEEvSI_,@function
_ZN7rocprim17ROCPRIM_400000_NS6detail17trampoline_kernelINS0_14default_configENS1_35radix_sort_onesweep_config_selectorIiiEEZZNS1_29radix_sort_onesweep_iterationIS3_Lb0EN6thrust23THRUST_200600_302600_NS6detail15normal_iteratorINS8_10device_ptrIiEEEESD_SD_SD_jNS0_19identity_decomposerENS1_16block_id_wrapperIjLb1EEEEE10hipError_tT1_PNSt15iterator_traitsISI_E10value_typeET2_T3_PNSJ_ISO_E10value_typeET4_T5_PST_SU_PNS1_23onesweep_lookback_stateEbbT6_jjT7_P12ihipStream_tbENKUlT_T0_SI_SN_E_clIPiSD_S15_SD_EEDaS11_S12_SI_SN_EUlS11_E_NS1_11comp_targetILNS1_3genE8ELNS1_11target_archE1030ELNS1_3gpuE2ELNS1_3repE0EEENS1_47radix_sort_onesweep_sort_config_static_selectorELNS0_4arch9wavefront6targetE1EEEvSI_: ; @_ZN7rocprim17ROCPRIM_400000_NS6detail17trampoline_kernelINS0_14default_configENS1_35radix_sort_onesweep_config_selectorIiiEEZZNS1_29radix_sort_onesweep_iterationIS3_Lb0EN6thrust23THRUST_200600_302600_NS6detail15normal_iteratorINS8_10device_ptrIiEEEESD_SD_SD_jNS0_19identity_decomposerENS1_16block_id_wrapperIjLb1EEEEE10hipError_tT1_PNSt15iterator_traitsISI_E10value_typeET2_T3_PNSJ_ISO_E10value_typeET4_T5_PST_SU_PNS1_23onesweep_lookback_stateEbbT6_jjT7_P12ihipStream_tbENKUlT_T0_SI_SN_E_clIPiSD_S15_SD_EEDaS11_S12_SI_SN_EUlS11_E_NS1_11comp_targetILNS1_3genE8ELNS1_11target_archE1030ELNS1_3gpuE2ELNS1_3repE0EEENS1_47radix_sort_onesweep_sort_config_static_selectorELNS0_4arch9wavefront6targetE1EEEvSI_
; %bb.0:
	.section	.rodata,"a",@progbits
	.p2align	6, 0x0
	.amdhsa_kernel _ZN7rocprim17ROCPRIM_400000_NS6detail17trampoline_kernelINS0_14default_configENS1_35radix_sort_onesweep_config_selectorIiiEEZZNS1_29radix_sort_onesweep_iterationIS3_Lb0EN6thrust23THRUST_200600_302600_NS6detail15normal_iteratorINS8_10device_ptrIiEEEESD_SD_SD_jNS0_19identity_decomposerENS1_16block_id_wrapperIjLb1EEEEE10hipError_tT1_PNSt15iterator_traitsISI_E10value_typeET2_T3_PNSJ_ISO_E10value_typeET4_T5_PST_SU_PNS1_23onesweep_lookback_stateEbbT6_jjT7_P12ihipStream_tbENKUlT_T0_SI_SN_E_clIPiSD_S15_SD_EEDaS11_S12_SI_SN_EUlS11_E_NS1_11comp_targetILNS1_3genE8ELNS1_11target_archE1030ELNS1_3gpuE2ELNS1_3repE0EEENS1_47radix_sort_onesweep_sort_config_static_selectorELNS0_4arch9wavefront6targetE1EEEvSI_
		.amdhsa_group_segment_fixed_size 0
		.amdhsa_private_segment_fixed_size 0
		.amdhsa_kernarg_size 88
		.amdhsa_user_sgpr_count 2
		.amdhsa_user_sgpr_dispatch_ptr 0
		.amdhsa_user_sgpr_queue_ptr 0
		.amdhsa_user_sgpr_kernarg_segment_ptr 1
		.amdhsa_user_sgpr_dispatch_id 0
		.amdhsa_user_sgpr_kernarg_preload_length 0
		.amdhsa_user_sgpr_kernarg_preload_offset 0
		.amdhsa_user_sgpr_private_segment_size 0
		.amdhsa_uses_dynamic_stack 0
		.amdhsa_enable_private_segment 0
		.amdhsa_system_sgpr_workgroup_id_x 1
		.amdhsa_system_sgpr_workgroup_id_y 0
		.amdhsa_system_sgpr_workgroup_id_z 0
		.amdhsa_system_sgpr_workgroup_info 0
		.amdhsa_system_vgpr_workitem_id 0
		.amdhsa_next_free_vgpr 1
		.amdhsa_next_free_sgpr 0
		.amdhsa_accum_offset 4
		.amdhsa_reserve_vcc 0
		.amdhsa_float_round_mode_32 0
		.amdhsa_float_round_mode_16_64 0
		.amdhsa_float_denorm_mode_32 3
		.amdhsa_float_denorm_mode_16_64 3
		.amdhsa_dx10_clamp 1
		.amdhsa_ieee_mode 1
		.amdhsa_fp16_overflow 0
		.amdhsa_tg_split 0
		.amdhsa_exception_fp_ieee_invalid_op 0
		.amdhsa_exception_fp_denorm_src 0
		.amdhsa_exception_fp_ieee_div_zero 0
		.amdhsa_exception_fp_ieee_overflow 0
		.amdhsa_exception_fp_ieee_underflow 0
		.amdhsa_exception_fp_ieee_inexact 0
		.amdhsa_exception_int_div_zero 0
	.end_amdhsa_kernel
	.section	.text._ZN7rocprim17ROCPRIM_400000_NS6detail17trampoline_kernelINS0_14default_configENS1_35radix_sort_onesweep_config_selectorIiiEEZZNS1_29radix_sort_onesweep_iterationIS3_Lb0EN6thrust23THRUST_200600_302600_NS6detail15normal_iteratorINS8_10device_ptrIiEEEESD_SD_SD_jNS0_19identity_decomposerENS1_16block_id_wrapperIjLb1EEEEE10hipError_tT1_PNSt15iterator_traitsISI_E10value_typeET2_T3_PNSJ_ISO_E10value_typeET4_T5_PST_SU_PNS1_23onesweep_lookback_stateEbbT6_jjT7_P12ihipStream_tbENKUlT_T0_SI_SN_E_clIPiSD_S15_SD_EEDaS11_S12_SI_SN_EUlS11_E_NS1_11comp_targetILNS1_3genE8ELNS1_11target_archE1030ELNS1_3gpuE2ELNS1_3repE0EEENS1_47radix_sort_onesweep_sort_config_static_selectorELNS0_4arch9wavefront6targetE1EEEvSI_,"axG",@progbits,_ZN7rocprim17ROCPRIM_400000_NS6detail17trampoline_kernelINS0_14default_configENS1_35radix_sort_onesweep_config_selectorIiiEEZZNS1_29radix_sort_onesweep_iterationIS3_Lb0EN6thrust23THRUST_200600_302600_NS6detail15normal_iteratorINS8_10device_ptrIiEEEESD_SD_SD_jNS0_19identity_decomposerENS1_16block_id_wrapperIjLb1EEEEE10hipError_tT1_PNSt15iterator_traitsISI_E10value_typeET2_T3_PNSJ_ISO_E10value_typeET4_T5_PST_SU_PNS1_23onesweep_lookback_stateEbbT6_jjT7_P12ihipStream_tbENKUlT_T0_SI_SN_E_clIPiSD_S15_SD_EEDaS11_S12_SI_SN_EUlS11_E_NS1_11comp_targetILNS1_3genE8ELNS1_11target_archE1030ELNS1_3gpuE2ELNS1_3repE0EEENS1_47radix_sort_onesweep_sort_config_static_selectorELNS0_4arch9wavefront6targetE1EEEvSI_,comdat
.Lfunc_end1445:
	.size	_ZN7rocprim17ROCPRIM_400000_NS6detail17trampoline_kernelINS0_14default_configENS1_35radix_sort_onesweep_config_selectorIiiEEZZNS1_29radix_sort_onesweep_iterationIS3_Lb0EN6thrust23THRUST_200600_302600_NS6detail15normal_iteratorINS8_10device_ptrIiEEEESD_SD_SD_jNS0_19identity_decomposerENS1_16block_id_wrapperIjLb1EEEEE10hipError_tT1_PNSt15iterator_traitsISI_E10value_typeET2_T3_PNSJ_ISO_E10value_typeET4_T5_PST_SU_PNS1_23onesweep_lookback_stateEbbT6_jjT7_P12ihipStream_tbENKUlT_T0_SI_SN_E_clIPiSD_S15_SD_EEDaS11_S12_SI_SN_EUlS11_E_NS1_11comp_targetILNS1_3genE8ELNS1_11target_archE1030ELNS1_3gpuE2ELNS1_3repE0EEENS1_47radix_sort_onesweep_sort_config_static_selectorELNS0_4arch9wavefront6targetE1EEEvSI_, .Lfunc_end1445-_ZN7rocprim17ROCPRIM_400000_NS6detail17trampoline_kernelINS0_14default_configENS1_35radix_sort_onesweep_config_selectorIiiEEZZNS1_29radix_sort_onesweep_iterationIS3_Lb0EN6thrust23THRUST_200600_302600_NS6detail15normal_iteratorINS8_10device_ptrIiEEEESD_SD_SD_jNS0_19identity_decomposerENS1_16block_id_wrapperIjLb1EEEEE10hipError_tT1_PNSt15iterator_traitsISI_E10value_typeET2_T3_PNSJ_ISO_E10value_typeET4_T5_PST_SU_PNS1_23onesweep_lookback_stateEbbT6_jjT7_P12ihipStream_tbENKUlT_T0_SI_SN_E_clIPiSD_S15_SD_EEDaS11_S12_SI_SN_EUlS11_E_NS1_11comp_targetILNS1_3genE8ELNS1_11target_archE1030ELNS1_3gpuE2ELNS1_3repE0EEENS1_47radix_sort_onesweep_sort_config_static_selectorELNS0_4arch9wavefront6targetE1EEEvSI_
                                        ; -- End function
	.set _ZN7rocprim17ROCPRIM_400000_NS6detail17trampoline_kernelINS0_14default_configENS1_35radix_sort_onesweep_config_selectorIiiEEZZNS1_29radix_sort_onesweep_iterationIS3_Lb0EN6thrust23THRUST_200600_302600_NS6detail15normal_iteratorINS8_10device_ptrIiEEEESD_SD_SD_jNS0_19identity_decomposerENS1_16block_id_wrapperIjLb1EEEEE10hipError_tT1_PNSt15iterator_traitsISI_E10value_typeET2_T3_PNSJ_ISO_E10value_typeET4_T5_PST_SU_PNS1_23onesweep_lookback_stateEbbT6_jjT7_P12ihipStream_tbENKUlT_T0_SI_SN_E_clIPiSD_S15_SD_EEDaS11_S12_SI_SN_EUlS11_E_NS1_11comp_targetILNS1_3genE8ELNS1_11target_archE1030ELNS1_3gpuE2ELNS1_3repE0EEENS1_47radix_sort_onesweep_sort_config_static_selectorELNS0_4arch9wavefront6targetE1EEEvSI_.num_vgpr, 0
	.set _ZN7rocprim17ROCPRIM_400000_NS6detail17trampoline_kernelINS0_14default_configENS1_35radix_sort_onesweep_config_selectorIiiEEZZNS1_29radix_sort_onesweep_iterationIS3_Lb0EN6thrust23THRUST_200600_302600_NS6detail15normal_iteratorINS8_10device_ptrIiEEEESD_SD_SD_jNS0_19identity_decomposerENS1_16block_id_wrapperIjLb1EEEEE10hipError_tT1_PNSt15iterator_traitsISI_E10value_typeET2_T3_PNSJ_ISO_E10value_typeET4_T5_PST_SU_PNS1_23onesweep_lookback_stateEbbT6_jjT7_P12ihipStream_tbENKUlT_T0_SI_SN_E_clIPiSD_S15_SD_EEDaS11_S12_SI_SN_EUlS11_E_NS1_11comp_targetILNS1_3genE8ELNS1_11target_archE1030ELNS1_3gpuE2ELNS1_3repE0EEENS1_47radix_sort_onesweep_sort_config_static_selectorELNS0_4arch9wavefront6targetE1EEEvSI_.num_agpr, 0
	.set _ZN7rocprim17ROCPRIM_400000_NS6detail17trampoline_kernelINS0_14default_configENS1_35radix_sort_onesweep_config_selectorIiiEEZZNS1_29radix_sort_onesweep_iterationIS3_Lb0EN6thrust23THRUST_200600_302600_NS6detail15normal_iteratorINS8_10device_ptrIiEEEESD_SD_SD_jNS0_19identity_decomposerENS1_16block_id_wrapperIjLb1EEEEE10hipError_tT1_PNSt15iterator_traitsISI_E10value_typeET2_T3_PNSJ_ISO_E10value_typeET4_T5_PST_SU_PNS1_23onesweep_lookback_stateEbbT6_jjT7_P12ihipStream_tbENKUlT_T0_SI_SN_E_clIPiSD_S15_SD_EEDaS11_S12_SI_SN_EUlS11_E_NS1_11comp_targetILNS1_3genE8ELNS1_11target_archE1030ELNS1_3gpuE2ELNS1_3repE0EEENS1_47radix_sort_onesweep_sort_config_static_selectorELNS0_4arch9wavefront6targetE1EEEvSI_.numbered_sgpr, 0
	.set _ZN7rocprim17ROCPRIM_400000_NS6detail17trampoline_kernelINS0_14default_configENS1_35radix_sort_onesweep_config_selectorIiiEEZZNS1_29radix_sort_onesweep_iterationIS3_Lb0EN6thrust23THRUST_200600_302600_NS6detail15normal_iteratorINS8_10device_ptrIiEEEESD_SD_SD_jNS0_19identity_decomposerENS1_16block_id_wrapperIjLb1EEEEE10hipError_tT1_PNSt15iterator_traitsISI_E10value_typeET2_T3_PNSJ_ISO_E10value_typeET4_T5_PST_SU_PNS1_23onesweep_lookback_stateEbbT6_jjT7_P12ihipStream_tbENKUlT_T0_SI_SN_E_clIPiSD_S15_SD_EEDaS11_S12_SI_SN_EUlS11_E_NS1_11comp_targetILNS1_3genE8ELNS1_11target_archE1030ELNS1_3gpuE2ELNS1_3repE0EEENS1_47radix_sort_onesweep_sort_config_static_selectorELNS0_4arch9wavefront6targetE1EEEvSI_.num_named_barrier, 0
	.set _ZN7rocprim17ROCPRIM_400000_NS6detail17trampoline_kernelINS0_14default_configENS1_35radix_sort_onesweep_config_selectorIiiEEZZNS1_29radix_sort_onesweep_iterationIS3_Lb0EN6thrust23THRUST_200600_302600_NS6detail15normal_iteratorINS8_10device_ptrIiEEEESD_SD_SD_jNS0_19identity_decomposerENS1_16block_id_wrapperIjLb1EEEEE10hipError_tT1_PNSt15iterator_traitsISI_E10value_typeET2_T3_PNSJ_ISO_E10value_typeET4_T5_PST_SU_PNS1_23onesweep_lookback_stateEbbT6_jjT7_P12ihipStream_tbENKUlT_T0_SI_SN_E_clIPiSD_S15_SD_EEDaS11_S12_SI_SN_EUlS11_E_NS1_11comp_targetILNS1_3genE8ELNS1_11target_archE1030ELNS1_3gpuE2ELNS1_3repE0EEENS1_47radix_sort_onesweep_sort_config_static_selectorELNS0_4arch9wavefront6targetE1EEEvSI_.private_seg_size, 0
	.set _ZN7rocprim17ROCPRIM_400000_NS6detail17trampoline_kernelINS0_14default_configENS1_35radix_sort_onesweep_config_selectorIiiEEZZNS1_29radix_sort_onesweep_iterationIS3_Lb0EN6thrust23THRUST_200600_302600_NS6detail15normal_iteratorINS8_10device_ptrIiEEEESD_SD_SD_jNS0_19identity_decomposerENS1_16block_id_wrapperIjLb1EEEEE10hipError_tT1_PNSt15iterator_traitsISI_E10value_typeET2_T3_PNSJ_ISO_E10value_typeET4_T5_PST_SU_PNS1_23onesweep_lookback_stateEbbT6_jjT7_P12ihipStream_tbENKUlT_T0_SI_SN_E_clIPiSD_S15_SD_EEDaS11_S12_SI_SN_EUlS11_E_NS1_11comp_targetILNS1_3genE8ELNS1_11target_archE1030ELNS1_3gpuE2ELNS1_3repE0EEENS1_47radix_sort_onesweep_sort_config_static_selectorELNS0_4arch9wavefront6targetE1EEEvSI_.uses_vcc, 0
	.set _ZN7rocprim17ROCPRIM_400000_NS6detail17trampoline_kernelINS0_14default_configENS1_35radix_sort_onesweep_config_selectorIiiEEZZNS1_29radix_sort_onesweep_iterationIS3_Lb0EN6thrust23THRUST_200600_302600_NS6detail15normal_iteratorINS8_10device_ptrIiEEEESD_SD_SD_jNS0_19identity_decomposerENS1_16block_id_wrapperIjLb1EEEEE10hipError_tT1_PNSt15iterator_traitsISI_E10value_typeET2_T3_PNSJ_ISO_E10value_typeET4_T5_PST_SU_PNS1_23onesweep_lookback_stateEbbT6_jjT7_P12ihipStream_tbENKUlT_T0_SI_SN_E_clIPiSD_S15_SD_EEDaS11_S12_SI_SN_EUlS11_E_NS1_11comp_targetILNS1_3genE8ELNS1_11target_archE1030ELNS1_3gpuE2ELNS1_3repE0EEENS1_47radix_sort_onesweep_sort_config_static_selectorELNS0_4arch9wavefront6targetE1EEEvSI_.uses_flat_scratch, 0
	.set _ZN7rocprim17ROCPRIM_400000_NS6detail17trampoline_kernelINS0_14default_configENS1_35radix_sort_onesweep_config_selectorIiiEEZZNS1_29radix_sort_onesweep_iterationIS3_Lb0EN6thrust23THRUST_200600_302600_NS6detail15normal_iteratorINS8_10device_ptrIiEEEESD_SD_SD_jNS0_19identity_decomposerENS1_16block_id_wrapperIjLb1EEEEE10hipError_tT1_PNSt15iterator_traitsISI_E10value_typeET2_T3_PNSJ_ISO_E10value_typeET4_T5_PST_SU_PNS1_23onesweep_lookback_stateEbbT6_jjT7_P12ihipStream_tbENKUlT_T0_SI_SN_E_clIPiSD_S15_SD_EEDaS11_S12_SI_SN_EUlS11_E_NS1_11comp_targetILNS1_3genE8ELNS1_11target_archE1030ELNS1_3gpuE2ELNS1_3repE0EEENS1_47radix_sort_onesweep_sort_config_static_selectorELNS0_4arch9wavefront6targetE1EEEvSI_.has_dyn_sized_stack, 0
	.set _ZN7rocprim17ROCPRIM_400000_NS6detail17trampoline_kernelINS0_14default_configENS1_35radix_sort_onesweep_config_selectorIiiEEZZNS1_29radix_sort_onesweep_iterationIS3_Lb0EN6thrust23THRUST_200600_302600_NS6detail15normal_iteratorINS8_10device_ptrIiEEEESD_SD_SD_jNS0_19identity_decomposerENS1_16block_id_wrapperIjLb1EEEEE10hipError_tT1_PNSt15iterator_traitsISI_E10value_typeET2_T3_PNSJ_ISO_E10value_typeET4_T5_PST_SU_PNS1_23onesweep_lookback_stateEbbT6_jjT7_P12ihipStream_tbENKUlT_T0_SI_SN_E_clIPiSD_S15_SD_EEDaS11_S12_SI_SN_EUlS11_E_NS1_11comp_targetILNS1_3genE8ELNS1_11target_archE1030ELNS1_3gpuE2ELNS1_3repE0EEENS1_47radix_sort_onesweep_sort_config_static_selectorELNS0_4arch9wavefront6targetE1EEEvSI_.has_recursion, 0
	.set _ZN7rocprim17ROCPRIM_400000_NS6detail17trampoline_kernelINS0_14default_configENS1_35radix_sort_onesweep_config_selectorIiiEEZZNS1_29radix_sort_onesweep_iterationIS3_Lb0EN6thrust23THRUST_200600_302600_NS6detail15normal_iteratorINS8_10device_ptrIiEEEESD_SD_SD_jNS0_19identity_decomposerENS1_16block_id_wrapperIjLb1EEEEE10hipError_tT1_PNSt15iterator_traitsISI_E10value_typeET2_T3_PNSJ_ISO_E10value_typeET4_T5_PST_SU_PNS1_23onesweep_lookback_stateEbbT6_jjT7_P12ihipStream_tbENKUlT_T0_SI_SN_E_clIPiSD_S15_SD_EEDaS11_S12_SI_SN_EUlS11_E_NS1_11comp_targetILNS1_3genE8ELNS1_11target_archE1030ELNS1_3gpuE2ELNS1_3repE0EEENS1_47radix_sort_onesweep_sort_config_static_selectorELNS0_4arch9wavefront6targetE1EEEvSI_.has_indirect_call, 0
	.section	.AMDGPU.csdata,"",@progbits
; Kernel info:
; codeLenInByte = 0
; TotalNumSgprs: 6
; NumVgprs: 0
; NumAgprs: 0
; TotalNumVgprs: 0
; ScratchSize: 0
; MemoryBound: 0
; FloatMode: 240
; IeeeMode: 1
; LDSByteSize: 0 bytes/workgroup (compile time only)
; SGPRBlocks: 0
; VGPRBlocks: 0
; NumSGPRsForWavesPerEU: 6
; NumVGPRsForWavesPerEU: 1
; AccumOffset: 4
; Occupancy: 8
; WaveLimiterHint : 0
; COMPUTE_PGM_RSRC2:SCRATCH_EN: 0
; COMPUTE_PGM_RSRC2:USER_SGPR: 2
; COMPUTE_PGM_RSRC2:TRAP_HANDLER: 0
; COMPUTE_PGM_RSRC2:TGID_X_EN: 1
; COMPUTE_PGM_RSRC2:TGID_Y_EN: 0
; COMPUTE_PGM_RSRC2:TGID_Z_EN: 0
; COMPUTE_PGM_RSRC2:TIDIG_COMP_CNT: 0
; COMPUTE_PGM_RSRC3_GFX90A:ACCUM_OFFSET: 0
; COMPUTE_PGM_RSRC3_GFX90A:TG_SPLIT: 0
	.section	.text._ZN7rocprim17ROCPRIM_400000_NS6detail17trampoline_kernelINS0_14default_configENS1_35radix_sort_onesweep_config_selectorIiiEEZZNS1_29radix_sort_onesweep_iterationIS3_Lb0EN6thrust23THRUST_200600_302600_NS6detail15normal_iteratorINS8_10device_ptrIiEEEESD_SD_SD_jNS0_19identity_decomposerENS1_16block_id_wrapperIjLb0EEEEE10hipError_tT1_PNSt15iterator_traitsISI_E10value_typeET2_T3_PNSJ_ISO_E10value_typeET4_T5_PST_SU_PNS1_23onesweep_lookback_stateEbbT6_jjT7_P12ihipStream_tbENKUlT_T0_SI_SN_E_clISD_SD_SD_SD_EEDaS11_S12_SI_SN_EUlS11_E_NS1_11comp_targetILNS1_3genE0ELNS1_11target_archE4294967295ELNS1_3gpuE0ELNS1_3repE0EEENS1_47radix_sort_onesweep_sort_config_static_selectorELNS0_4arch9wavefront6targetE1EEEvSI_,"axG",@progbits,_ZN7rocprim17ROCPRIM_400000_NS6detail17trampoline_kernelINS0_14default_configENS1_35radix_sort_onesweep_config_selectorIiiEEZZNS1_29radix_sort_onesweep_iterationIS3_Lb0EN6thrust23THRUST_200600_302600_NS6detail15normal_iteratorINS8_10device_ptrIiEEEESD_SD_SD_jNS0_19identity_decomposerENS1_16block_id_wrapperIjLb0EEEEE10hipError_tT1_PNSt15iterator_traitsISI_E10value_typeET2_T3_PNSJ_ISO_E10value_typeET4_T5_PST_SU_PNS1_23onesweep_lookback_stateEbbT6_jjT7_P12ihipStream_tbENKUlT_T0_SI_SN_E_clISD_SD_SD_SD_EEDaS11_S12_SI_SN_EUlS11_E_NS1_11comp_targetILNS1_3genE0ELNS1_11target_archE4294967295ELNS1_3gpuE0ELNS1_3repE0EEENS1_47radix_sort_onesweep_sort_config_static_selectorELNS0_4arch9wavefront6targetE1EEEvSI_,comdat
	.protected	_ZN7rocprim17ROCPRIM_400000_NS6detail17trampoline_kernelINS0_14default_configENS1_35radix_sort_onesweep_config_selectorIiiEEZZNS1_29radix_sort_onesweep_iterationIS3_Lb0EN6thrust23THRUST_200600_302600_NS6detail15normal_iteratorINS8_10device_ptrIiEEEESD_SD_SD_jNS0_19identity_decomposerENS1_16block_id_wrapperIjLb0EEEEE10hipError_tT1_PNSt15iterator_traitsISI_E10value_typeET2_T3_PNSJ_ISO_E10value_typeET4_T5_PST_SU_PNS1_23onesweep_lookback_stateEbbT6_jjT7_P12ihipStream_tbENKUlT_T0_SI_SN_E_clISD_SD_SD_SD_EEDaS11_S12_SI_SN_EUlS11_E_NS1_11comp_targetILNS1_3genE0ELNS1_11target_archE4294967295ELNS1_3gpuE0ELNS1_3repE0EEENS1_47radix_sort_onesweep_sort_config_static_selectorELNS0_4arch9wavefront6targetE1EEEvSI_ ; -- Begin function _ZN7rocprim17ROCPRIM_400000_NS6detail17trampoline_kernelINS0_14default_configENS1_35radix_sort_onesweep_config_selectorIiiEEZZNS1_29radix_sort_onesweep_iterationIS3_Lb0EN6thrust23THRUST_200600_302600_NS6detail15normal_iteratorINS8_10device_ptrIiEEEESD_SD_SD_jNS0_19identity_decomposerENS1_16block_id_wrapperIjLb0EEEEE10hipError_tT1_PNSt15iterator_traitsISI_E10value_typeET2_T3_PNSJ_ISO_E10value_typeET4_T5_PST_SU_PNS1_23onesweep_lookback_stateEbbT6_jjT7_P12ihipStream_tbENKUlT_T0_SI_SN_E_clISD_SD_SD_SD_EEDaS11_S12_SI_SN_EUlS11_E_NS1_11comp_targetILNS1_3genE0ELNS1_11target_archE4294967295ELNS1_3gpuE0ELNS1_3repE0EEENS1_47radix_sort_onesweep_sort_config_static_selectorELNS0_4arch9wavefront6targetE1EEEvSI_
	.globl	_ZN7rocprim17ROCPRIM_400000_NS6detail17trampoline_kernelINS0_14default_configENS1_35radix_sort_onesweep_config_selectorIiiEEZZNS1_29radix_sort_onesweep_iterationIS3_Lb0EN6thrust23THRUST_200600_302600_NS6detail15normal_iteratorINS8_10device_ptrIiEEEESD_SD_SD_jNS0_19identity_decomposerENS1_16block_id_wrapperIjLb0EEEEE10hipError_tT1_PNSt15iterator_traitsISI_E10value_typeET2_T3_PNSJ_ISO_E10value_typeET4_T5_PST_SU_PNS1_23onesweep_lookback_stateEbbT6_jjT7_P12ihipStream_tbENKUlT_T0_SI_SN_E_clISD_SD_SD_SD_EEDaS11_S12_SI_SN_EUlS11_E_NS1_11comp_targetILNS1_3genE0ELNS1_11target_archE4294967295ELNS1_3gpuE0ELNS1_3repE0EEENS1_47radix_sort_onesweep_sort_config_static_selectorELNS0_4arch9wavefront6targetE1EEEvSI_
	.p2align	8
	.type	_ZN7rocprim17ROCPRIM_400000_NS6detail17trampoline_kernelINS0_14default_configENS1_35radix_sort_onesweep_config_selectorIiiEEZZNS1_29radix_sort_onesweep_iterationIS3_Lb0EN6thrust23THRUST_200600_302600_NS6detail15normal_iteratorINS8_10device_ptrIiEEEESD_SD_SD_jNS0_19identity_decomposerENS1_16block_id_wrapperIjLb0EEEEE10hipError_tT1_PNSt15iterator_traitsISI_E10value_typeET2_T3_PNSJ_ISO_E10value_typeET4_T5_PST_SU_PNS1_23onesweep_lookback_stateEbbT6_jjT7_P12ihipStream_tbENKUlT_T0_SI_SN_E_clISD_SD_SD_SD_EEDaS11_S12_SI_SN_EUlS11_E_NS1_11comp_targetILNS1_3genE0ELNS1_11target_archE4294967295ELNS1_3gpuE0ELNS1_3repE0EEENS1_47radix_sort_onesweep_sort_config_static_selectorELNS0_4arch9wavefront6targetE1EEEvSI_,@function
_ZN7rocprim17ROCPRIM_400000_NS6detail17trampoline_kernelINS0_14default_configENS1_35radix_sort_onesweep_config_selectorIiiEEZZNS1_29radix_sort_onesweep_iterationIS3_Lb0EN6thrust23THRUST_200600_302600_NS6detail15normal_iteratorINS8_10device_ptrIiEEEESD_SD_SD_jNS0_19identity_decomposerENS1_16block_id_wrapperIjLb0EEEEE10hipError_tT1_PNSt15iterator_traitsISI_E10value_typeET2_T3_PNSJ_ISO_E10value_typeET4_T5_PST_SU_PNS1_23onesweep_lookback_stateEbbT6_jjT7_P12ihipStream_tbENKUlT_T0_SI_SN_E_clISD_SD_SD_SD_EEDaS11_S12_SI_SN_EUlS11_E_NS1_11comp_targetILNS1_3genE0ELNS1_11target_archE4294967295ELNS1_3gpuE0ELNS1_3repE0EEENS1_47radix_sort_onesweep_sort_config_static_selectorELNS0_4arch9wavefront6targetE1EEEvSI_: ; @_ZN7rocprim17ROCPRIM_400000_NS6detail17trampoline_kernelINS0_14default_configENS1_35radix_sort_onesweep_config_selectorIiiEEZZNS1_29radix_sort_onesweep_iterationIS3_Lb0EN6thrust23THRUST_200600_302600_NS6detail15normal_iteratorINS8_10device_ptrIiEEEESD_SD_SD_jNS0_19identity_decomposerENS1_16block_id_wrapperIjLb0EEEEE10hipError_tT1_PNSt15iterator_traitsISI_E10value_typeET2_T3_PNSJ_ISO_E10value_typeET4_T5_PST_SU_PNS1_23onesweep_lookback_stateEbbT6_jjT7_P12ihipStream_tbENKUlT_T0_SI_SN_E_clISD_SD_SD_SD_EEDaS11_S12_SI_SN_EUlS11_E_NS1_11comp_targetILNS1_3genE0ELNS1_11target_archE4294967295ELNS1_3gpuE0ELNS1_3repE0EEENS1_47radix_sort_onesweep_sort_config_static_selectorELNS0_4arch9wavefront6targetE1EEEvSI_
; %bb.0:
	.section	.rodata,"a",@progbits
	.p2align	6, 0x0
	.amdhsa_kernel _ZN7rocprim17ROCPRIM_400000_NS6detail17trampoline_kernelINS0_14default_configENS1_35radix_sort_onesweep_config_selectorIiiEEZZNS1_29radix_sort_onesweep_iterationIS3_Lb0EN6thrust23THRUST_200600_302600_NS6detail15normal_iteratorINS8_10device_ptrIiEEEESD_SD_SD_jNS0_19identity_decomposerENS1_16block_id_wrapperIjLb0EEEEE10hipError_tT1_PNSt15iterator_traitsISI_E10value_typeET2_T3_PNSJ_ISO_E10value_typeET4_T5_PST_SU_PNS1_23onesweep_lookback_stateEbbT6_jjT7_P12ihipStream_tbENKUlT_T0_SI_SN_E_clISD_SD_SD_SD_EEDaS11_S12_SI_SN_EUlS11_E_NS1_11comp_targetILNS1_3genE0ELNS1_11target_archE4294967295ELNS1_3gpuE0ELNS1_3repE0EEENS1_47radix_sort_onesweep_sort_config_static_selectorELNS0_4arch9wavefront6targetE1EEEvSI_
		.amdhsa_group_segment_fixed_size 0
		.amdhsa_private_segment_fixed_size 0
		.amdhsa_kernarg_size 88
		.amdhsa_user_sgpr_count 2
		.amdhsa_user_sgpr_dispatch_ptr 0
		.amdhsa_user_sgpr_queue_ptr 0
		.amdhsa_user_sgpr_kernarg_segment_ptr 1
		.amdhsa_user_sgpr_dispatch_id 0
		.amdhsa_user_sgpr_kernarg_preload_length 0
		.amdhsa_user_sgpr_kernarg_preload_offset 0
		.amdhsa_user_sgpr_private_segment_size 0
		.amdhsa_uses_dynamic_stack 0
		.amdhsa_enable_private_segment 0
		.amdhsa_system_sgpr_workgroup_id_x 1
		.amdhsa_system_sgpr_workgroup_id_y 0
		.amdhsa_system_sgpr_workgroup_id_z 0
		.amdhsa_system_sgpr_workgroup_info 0
		.amdhsa_system_vgpr_workitem_id 0
		.amdhsa_next_free_vgpr 1
		.amdhsa_next_free_sgpr 0
		.amdhsa_accum_offset 4
		.amdhsa_reserve_vcc 0
		.amdhsa_float_round_mode_32 0
		.amdhsa_float_round_mode_16_64 0
		.amdhsa_float_denorm_mode_32 3
		.amdhsa_float_denorm_mode_16_64 3
		.amdhsa_dx10_clamp 1
		.amdhsa_ieee_mode 1
		.amdhsa_fp16_overflow 0
		.amdhsa_tg_split 0
		.amdhsa_exception_fp_ieee_invalid_op 0
		.amdhsa_exception_fp_denorm_src 0
		.amdhsa_exception_fp_ieee_div_zero 0
		.amdhsa_exception_fp_ieee_overflow 0
		.amdhsa_exception_fp_ieee_underflow 0
		.amdhsa_exception_fp_ieee_inexact 0
		.amdhsa_exception_int_div_zero 0
	.end_amdhsa_kernel
	.section	.text._ZN7rocprim17ROCPRIM_400000_NS6detail17trampoline_kernelINS0_14default_configENS1_35radix_sort_onesweep_config_selectorIiiEEZZNS1_29radix_sort_onesweep_iterationIS3_Lb0EN6thrust23THRUST_200600_302600_NS6detail15normal_iteratorINS8_10device_ptrIiEEEESD_SD_SD_jNS0_19identity_decomposerENS1_16block_id_wrapperIjLb0EEEEE10hipError_tT1_PNSt15iterator_traitsISI_E10value_typeET2_T3_PNSJ_ISO_E10value_typeET4_T5_PST_SU_PNS1_23onesweep_lookback_stateEbbT6_jjT7_P12ihipStream_tbENKUlT_T0_SI_SN_E_clISD_SD_SD_SD_EEDaS11_S12_SI_SN_EUlS11_E_NS1_11comp_targetILNS1_3genE0ELNS1_11target_archE4294967295ELNS1_3gpuE0ELNS1_3repE0EEENS1_47radix_sort_onesweep_sort_config_static_selectorELNS0_4arch9wavefront6targetE1EEEvSI_,"axG",@progbits,_ZN7rocprim17ROCPRIM_400000_NS6detail17trampoline_kernelINS0_14default_configENS1_35radix_sort_onesweep_config_selectorIiiEEZZNS1_29radix_sort_onesweep_iterationIS3_Lb0EN6thrust23THRUST_200600_302600_NS6detail15normal_iteratorINS8_10device_ptrIiEEEESD_SD_SD_jNS0_19identity_decomposerENS1_16block_id_wrapperIjLb0EEEEE10hipError_tT1_PNSt15iterator_traitsISI_E10value_typeET2_T3_PNSJ_ISO_E10value_typeET4_T5_PST_SU_PNS1_23onesweep_lookback_stateEbbT6_jjT7_P12ihipStream_tbENKUlT_T0_SI_SN_E_clISD_SD_SD_SD_EEDaS11_S12_SI_SN_EUlS11_E_NS1_11comp_targetILNS1_3genE0ELNS1_11target_archE4294967295ELNS1_3gpuE0ELNS1_3repE0EEENS1_47radix_sort_onesweep_sort_config_static_selectorELNS0_4arch9wavefront6targetE1EEEvSI_,comdat
.Lfunc_end1446:
	.size	_ZN7rocprim17ROCPRIM_400000_NS6detail17trampoline_kernelINS0_14default_configENS1_35radix_sort_onesweep_config_selectorIiiEEZZNS1_29radix_sort_onesweep_iterationIS3_Lb0EN6thrust23THRUST_200600_302600_NS6detail15normal_iteratorINS8_10device_ptrIiEEEESD_SD_SD_jNS0_19identity_decomposerENS1_16block_id_wrapperIjLb0EEEEE10hipError_tT1_PNSt15iterator_traitsISI_E10value_typeET2_T3_PNSJ_ISO_E10value_typeET4_T5_PST_SU_PNS1_23onesweep_lookback_stateEbbT6_jjT7_P12ihipStream_tbENKUlT_T0_SI_SN_E_clISD_SD_SD_SD_EEDaS11_S12_SI_SN_EUlS11_E_NS1_11comp_targetILNS1_3genE0ELNS1_11target_archE4294967295ELNS1_3gpuE0ELNS1_3repE0EEENS1_47radix_sort_onesweep_sort_config_static_selectorELNS0_4arch9wavefront6targetE1EEEvSI_, .Lfunc_end1446-_ZN7rocprim17ROCPRIM_400000_NS6detail17trampoline_kernelINS0_14default_configENS1_35radix_sort_onesweep_config_selectorIiiEEZZNS1_29radix_sort_onesweep_iterationIS3_Lb0EN6thrust23THRUST_200600_302600_NS6detail15normal_iteratorINS8_10device_ptrIiEEEESD_SD_SD_jNS0_19identity_decomposerENS1_16block_id_wrapperIjLb0EEEEE10hipError_tT1_PNSt15iterator_traitsISI_E10value_typeET2_T3_PNSJ_ISO_E10value_typeET4_T5_PST_SU_PNS1_23onesweep_lookback_stateEbbT6_jjT7_P12ihipStream_tbENKUlT_T0_SI_SN_E_clISD_SD_SD_SD_EEDaS11_S12_SI_SN_EUlS11_E_NS1_11comp_targetILNS1_3genE0ELNS1_11target_archE4294967295ELNS1_3gpuE0ELNS1_3repE0EEENS1_47radix_sort_onesweep_sort_config_static_selectorELNS0_4arch9wavefront6targetE1EEEvSI_
                                        ; -- End function
	.set _ZN7rocprim17ROCPRIM_400000_NS6detail17trampoline_kernelINS0_14default_configENS1_35radix_sort_onesweep_config_selectorIiiEEZZNS1_29radix_sort_onesweep_iterationIS3_Lb0EN6thrust23THRUST_200600_302600_NS6detail15normal_iteratorINS8_10device_ptrIiEEEESD_SD_SD_jNS0_19identity_decomposerENS1_16block_id_wrapperIjLb0EEEEE10hipError_tT1_PNSt15iterator_traitsISI_E10value_typeET2_T3_PNSJ_ISO_E10value_typeET4_T5_PST_SU_PNS1_23onesweep_lookback_stateEbbT6_jjT7_P12ihipStream_tbENKUlT_T0_SI_SN_E_clISD_SD_SD_SD_EEDaS11_S12_SI_SN_EUlS11_E_NS1_11comp_targetILNS1_3genE0ELNS1_11target_archE4294967295ELNS1_3gpuE0ELNS1_3repE0EEENS1_47radix_sort_onesweep_sort_config_static_selectorELNS0_4arch9wavefront6targetE1EEEvSI_.num_vgpr, 0
	.set _ZN7rocprim17ROCPRIM_400000_NS6detail17trampoline_kernelINS0_14default_configENS1_35radix_sort_onesweep_config_selectorIiiEEZZNS1_29radix_sort_onesweep_iterationIS3_Lb0EN6thrust23THRUST_200600_302600_NS6detail15normal_iteratorINS8_10device_ptrIiEEEESD_SD_SD_jNS0_19identity_decomposerENS1_16block_id_wrapperIjLb0EEEEE10hipError_tT1_PNSt15iterator_traitsISI_E10value_typeET2_T3_PNSJ_ISO_E10value_typeET4_T5_PST_SU_PNS1_23onesweep_lookback_stateEbbT6_jjT7_P12ihipStream_tbENKUlT_T0_SI_SN_E_clISD_SD_SD_SD_EEDaS11_S12_SI_SN_EUlS11_E_NS1_11comp_targetILNS1_3genE0ELNS1_11target_archE4294967295ELNS1_3gpuE0ELNS1_3repE0EEENS1_47radix_sort_onesweep_sort_config_static_selectorELNS0_4arch9wavefront6targetE1EEEvSI_.num_agpr, 0
	.set _ZN7rocprim17ROCPRIM_400000_NS6detail17trampoline_kernelINS0_14default_configENS1_35radix_sort_onesweep_config_selectorIiiEEZZNS1_29radix_sort_onesweep_iterationIS3_Lb0EN6thrust23THRUST_200600_302600_NS6detail15normal_iteratorINS8_10device_ptrIiEEEESD_SD_SD_jNS0_19identity_decomposerENS1_16block_id_wrapperIjLb0EEEEE10hipError_tT1_PNSt15iterator_traitsISI_E10value_typeET2_T3_PNSJ_ISO_E10value_typeET4_T5_PST_SU_PNS1_23onesweep_lookback_stateEbbT6_jjT7_P12ihipStream_tbENKUlT_T0_SI_SN_E_clISD_SD_SD_SD_EEDaS11_S12_SI_SN_EUlS11_E_NS1_11comp_targetILNS1_3genE0ELNS1_11target_archE4294967295ELNS1_3gpuE0ELNS1_3repE0EEENS1_47radix_sort_onesweep_sort_config_static_selectorELNS0_4arch9wavefront6targetE1EEEvSI_.numbered_sgpr, 0
	.set _ZN7rocprim17ROCPRIM_400000_NS6detail17trampoline_kernelINS0_14default_configENS1_35radix_sort_onesweep_config_selectorIiiEEZZNS1_29radix_sort_onesweep_iterationIS3_Lb0EN6thrust23THRUST_200600_302600_NS6detail15normal_iteratorINS8_10device_ptrIiEEEESD_SD_SD_jNS0_19identity_decomposerENS1_16block_id_wrapperIjLb0EEEEE10hipError_tT1_PNSt15iterator_traitsISI_E10value_typeET2_T3_PNSJ_ISO_E10value_typeET4_T5_PST_SU_PNS1_23onesweep_lookback_stateEbbT6_jjT7_P12ihipStream_tbENKUlT_T0_SI_SN_E_clISD_SD_SD_SD_EEDaS11_S12_SI_SN_EUlS11_E_NS1_11comp_targetILNS1_3genE0ELNS1_11target_archE4294967295ELNS1_3gpuE0ELNS1_3repE0EEENS1_47radix_sort_onesweep_sort_config_static_selectorELNS0_4arch9wavefront6targetE1EEEvSI_.num_named_barrier, 0
	.set _ZN7rocprim17ROCPRIM_400000_NS6detail17trampoline_kernelINS0_14default_configENS1_35radix_sort_onesweep_config_selectorIiiEEZZNS1_29radix_sort_onesweep_iterationIS3_Lb0EN6thrust23THRUST_200600_302600_NS6detail15normal_iteratorINS8_10device_ptrIiEEEESD_SD_SD_jNS0_19identity_decomposerENS1_16block_id_wrapperIjLb0EEEEE10hipError_tT1_PNSt15iterator_traitsISI_E10value_typeET2_T3_PNSJ_ISO_E10value_typeET4_T5_PST_SU_PNS1_23onesweep_lookback_stateEbbT6_jjT7_P12ihipStream_tbENKUlT_T0_SI_SN_E_clISD_SD_SD_SD_EEDaS11_S12_SI_SN_EUlS11_E_NS1_11comp_targetILNS1_3genE0ELNS1_11target_archE4294967295ELNS1_3gpuE0ELNS1_3repE0EEENS1_47radix_sort_onesweep_sort_config_static_selectorELNS0_4arch9wavefront6targetE1EEEvSI_.private_seg_size, 0
	.set _ZN7rocprim17ROCPRIM_400000_NS6detail17trampoline_kernelINS0_14default_configENS1_35radix_sort_onesweep_config_selectorIiiEEZZNS1_29radix_sort_onesweep_iterationIS3_Lb0EN6thrust23THRUST_200600_302600_NS6detail15normal_iteratorINS8_10device_ptrIiEEEESD_SD_SD_jNS0_19identity_decomposerENS1_16block_id_wrapperIjLb0EEEEE10hipError_tT1_PNSt15iterator_traitsISI_E10value_typeET2_T3_PNSJ_ISO_E10value_typeET4_T5_PST_SU_PNS1_23onesweep_lookback_stateEbbT6_jjT7_P12ihipStream_tbENKUlT_T0_SI_SN_E_clISD_SD_SD_SD_EEDaS11_S12_SI_SN_EUlS11_E_NS1_11comp_targetILNS1_3genE0ELNS1_11target_archE4294967295ELNS1_3gpuE0ELNS1_3repE0EEENS1_47radix_sort_onesweep_sort_config_static_selectorELNS0_4arch9wavefront6targetE1EEEvSI_.uses_vcc, 0
	.set _ZN7rocprim17ROCPRIM_400000_NS6detail17trampoline_kernelINS0_14default_configENS1_35radix_sort_onesweep_config_selectorIiiEEZZNS1_29radix_sort_onesweep_iterationIS3_Lb0EN6thrust23THRUST_200600_302600_NS6detail15normal_iteratorINS8_10device_ptrIiEEEESD_SD_SD_jNS0_19identity_decomposerENS1_16block_id_wrapperIjLb0EEEEE10hipError_tT1_PNSt15iterator_traitsISI_E10value_typeET2_T3_PNSJ_ISO_E10value_typeET4_T5_PST_SU_PNS1_23onesweep_lookback_stateEbbT6_jjT7_P12ihipStream_tbENKUlT_T0_SI_SN_E_clISD_SD_SD_SD_EEDaS11_S12_SI_SN_EUlS11_E_NS1_11comp_targetILNS1_3genE0ELNS1_11target_archE4294967295ELNS1_3gpuE0ELNS1_3repE0EEENS1_47radix_sort_onesweep_sort_config_static_selectorELNS0_4arch9wavefront6targetE1EEEvSI_.uses_flat_scratch, 0
	.set _ZN7rocprim17ROCPRIM_400000_NS6detail17trampoline_kernelINS0_14default_configENS1_35radix_sort_onesweep_config_selectorIiiEEZZNS1_29radix_sort_onesweep_iterationIS3_Lb0EN6thrust23THRUST_200600_302600_NS6detail15normal_iteratorINS8_10device_ptrIiEEEESD_SD_SD_jNS0_19identity_decomposerENS1_16block_id_wrapperIjLb0EEEEE10hipError_tT1_PNSt15iterator_traitsISI_E10value_typeET2_T3_PNSJ_ISO_E10value_typeET4_T5_PST_SU_PNS1_23onesweep_lookback_stateEbbT6_jjT7_P12ihipStream_tbENKUlT_T0_SI_SN_E_clISD_SD_SD_SD_EEDaS11_S12_SI_SN_EUlS11_E_NS1_11comp_targetILNS1_3genE0ELNS1_11target_archE4294967295ELNS1_3gpuE0ELNS1_3repE0EEENS1_47radix_sort_onesweep_sort_config_static_selectorELNS0_4arch9wavefront6targetE1EEEvSI_.has_dyn_sized_stack, 0
	.set _ZN7rocprim17ROCPRIM_400000_NS6detail17trampoline_kernelINS0_14default_configENS1_35radix_sort_onesweep_config_selectorIiiEEZZNS1_29radix_sort_onesweep_iterationIS3_Lb0EN6thrust23THRUST_200600_302600_NS6detail15normal_iteratorINS8_10device_ptrIiEEEESD_SD_SD_jNS0_19identity_decomposerENS1_16block_id_wrapperIjLb0EEEEE10hipError_tT1_PNSt15iterator_traitsISI_E10value_typeET2_T3_PNSJ_ISO_E10value_typeET4_T5_PST_SU_PNS1_23onesweep_lookback_stateEbbT6_jjT7_P12ihipStream_tbENKUlT_T0_SI_SN_E_clISD_SD_SD_SD_EEDaS11_S12_SI_SN_EUlS11_E_NS1_11comp_targetILNS1_3genE0ELNS1_11target_archE4294967295ELNS1_3gpuE0ELNS1_3repE0EEENS1_47radix_sort_onesweep_sort_config_static_selectorELNS0_4arch9wavefront6targetE1EEEvSI_.has_recursion, 0
	.set _ZN7rocprim17ROCPRIM_400000_NS6detail17trampoline_kernelINS0_14default_configENS1_35radix_sort_onesweep_config_selectorIiiEEZZNS1_29radix_sort_onesweep_iterationIS3_Lb0EN6thrust23THRUST_200600_302600_NS6detail15normal_iteratorINS8_10device_ptrIiEEEESD_SD_SD_jNS0_19identity_decomposerENS1_16block_id_wrapperIjLb0EEEEE10hipError_tT1_PNSt15iterator_traitsISI_E10value_typeET2_T3_PNSJ_ISO_E10value_typeET4_T5_PST_SU_PNS1_23onesweep_lookback_stateEbbT6_jjT7_P12ihipStream_tbENKUlT_T0_SI_SN_E_clISD_SD_SD_SD_EEDaS11_S12_SI_SN_EUlS11_E_NS1_11comp_targetILNS1_3genE0ELNS1_11target_archE4294967295ELNS1_3gpuE0ELNS1_3repE0EEENS1_47radix_sort_onesweep_sort_config_static_selectorELNS0_4arch9wavefront6targetE1EEEvSI_.has_indirect_call, 0
	.section	.AMDGPU.csdata,"",@progbits
; Kernel info:
; codeLenInByte = 0
; TotalNumSgprs: 6
; NumVgprs: 0
; NumAgprs: 0
; TotalNumVgprs: 0
; ScratchSize: 0
; MemoryBound: 0
; FloatMode: 240
; IeeeMode: 1
; LDSByteSize: 0 bytes/workgroup (compile time only)
; SGPRBlocks: 0
; VGPRBlocks: 0
; NumSGPRsForWavesPerEU: 6
; NumVGPRsForWavesPerEU: 1
; AccumOffset: 4
; Occupancy: 8
; WaveLimiterHint : 0
; COMPUTE_PGM_RSRC2:SCRATCH_EN: 0
; COMPUTE_PGM_RSRC2:USER_SGPR: 2
; COMPUTE_PGM_RSRC2:TRAP_HANDLER: 0
; COMPUTE_PGM_RSRC2:TGID_X_EN: 1
; COMPUTE_PGM_RSRC2:TGID_Y_EN: 0
; COMPUTE_PGM_RSRC2:TGID_Z_EN: 0
; COMPUTE_PGM_RSRC2:TIDIG_COMP_CNT: 0
; COMPUTE_PGM_RSRC3_GFX90A:ACCUM_OFFSET: 0
; COMPUTE_PGM_RSRC3_GFX90A:TG_SPLIT: 0
	.section	.text._ZN7rocprim17ROCPRIM_400000_NS6detail17trampoline_kernelINS0_14default_configENS1_35radix_sort_onesweep_config_selectorIiiEEZZNS1_29radix_sort_onesweep_iterationIS3_Lb0EN6thrust23THRUST_200600_302600_NS6detail15normal_iteratorINS8_10device_ptrIiEEEESD_SD_SD_jNS0_19identity_decomposerENS1_16block_id_wrapperIjLb0EEEEE10hipError_tT1_PNSt15iterator_traitsISI_E10value_typeET2_T3_PNSJ_ISO_E10value_typeET4_T5_PST_SU_PNS1_23onesweep_lookback_stateEbbT6_jjT7_P12ihipStream_tbENKUlT_T0_SI_SN_E_clISD_SD_SD_SD_EEDaS11_S12_SI_SN_EUlS11_E_NS1_11comp_targetILNS1_3genE6ELNS1_11target_archE950ELNS1_3gpuE13ELNS1_3repE0EEENS1_47radix_sort_onesweep_sort_config_static_selectorELNS0_4arch9wavefront6targetE1EEEvSI_,"axG",@progbits,_ZN7rocprim17ROCPRIM_400000_NS6detail17trampoline_kernelINS0_14default_configENS1_35radix_sort_onesweep_config_selectorIiiEEZZNS1_29radix_sort_onesweep_iterationIS3_Lb0EN6thrust23THRUST_200600_302600_NS6detail15normal_iteratorINS8_10device_ptrIiEEEESD_SD_SD_jNS0_19identity_decomposerENS1_16block_id_wrapperIjLb0EEEEE10hipError_tT1_PNSt15iterator_traitsISI_E10value_typeET2_T3_PNSJ_ISO_E10value_typeET4_T5_PST_SU_PNS1_23onesweep_lookback_stateEbbT6_jjT7_P12ihipStream_tbENKUlT_T0_SI_SN_E_clISD_SD_SD_SD_EEDaS11_S12_SI_SN_EUlS11_E_NS1_11comp_targetILNS1_3genE6ELNS1_11target_archE950ELNS1_3gpuE13ELNS1_3repE0EEENS1_47radix_sort_onesweep_sort_config_static_selectorELNS0_4arch9wavefront6targetE1EEEvSI_,comdat
	.protected	_ZN7rocprim17ROCPRIM_400000_NS6detail17trampoline_kernelINS0_14default_configENS1_35radix_sort_onesweep_config_selectorIiiEEZZNS1_29radix_sort_onesweep_iterationIS3_Lb0EN6thrust23THRUST_200600_302600_NS6detail15normal_iteratorINS8_10device_ptrIiEEEESD_SD_SD_jNS0_19identity_decomposerENS1_16block_id_wrapperIjLb0EEEEE10hipError_tT1_PNSt15iterator_traitsISI_E10value_typeET2_T3_PNSJ_ISO_E10value_typeET4_T5_PST_SU_PNS1_23onesweep_lookback_stateEbbT6_jjT7_P12ihipStream_tbENKUlT_T0_SI_SN_E_clISD_SD_SD_SD_EEDaS11_S12_SI_SN_EUlS11_E_NS1_11comp_targetILNS1_3genE6ELNS1_11target_archE950ELNS1_3gpuE13ELNS1_3repE0EEENS1_47radix_sort_onesweep_sort_config_static_selectorELNS0_4arch9wavefront6targetE1EEEvSI_ ; -- Begin function _ZN7rocprim17ROCPRIM_400000_NS6detail17trampoline_kernelINS0_14default_configENS1_35radix_sort_onesweep_config_selectorIiiEEZZNS1_29radix_sort_onesweep_iterationIS3_Lb0EN6thrust23THRUST_200600_302600_NS6detail15normal_iteratorINS8_10device_ptrIiEEEESD_SD_SD_jNS0_19identity_decomposerENS1_16block_id_wrapperIjLb0EEEEE10hipError_tT1_PNSt15iterator_traitsISI_E10value_typeET2_T3_PNSJ_ISO_E10value_typeET4_T5_PST_SU_PNS1_23onesweep_lookback_stateEbbT6_jjT7_P12ihipStream_tbENKUlT_T0_SI_SN_E_clISD_SD_SD_SD_EEDaS11_S12_SI_SN_EUlS11_E_NS1_11comp_targetILNS1_3genE6ELNS1_11target_archE950ELNS1_3gpuE13ELNS1_3repE0EEENS1_47radix_sort_onesweep_sort_config_static_selectorELNS0_4arch9wavefront6targetE1EEEvSI_
	.globl	_ZN7rocprim17ROCPRIM_400000_NS6detail17trampoline_kernelINS0_14default_configENS1_35radix_sort_onesweep_config_selectorIiiEEZZNS1_29radix_sort_onesweep_iterationIS3_Lb0EN6thrust23THRUST_200600_302600_NS6detail15normal_iteratorINS8_10device_ptrIiEEEESD_SD_SD_jNS0_19identity_decomposerENS1_16block_id_wrapperIjLb0EEEEE10hipError_tT1_PNSt15iterator_traitsISI_E10value_typeET2_T3_PNSJ_ISO_E10value_typeET4_T5_PST_SU_PNS1_23onesweep_lookback_stateEbbT6_jjT7_P12ihipStream_tbENKUlT_T0_SI_SN_E_clISD_SD_SD_SD_EEDaS11_S12_SI_SN_EUlS11_E_NS1_11comp_targetILNS1_3genE6ELNS1_11target_archE950ELNS1_3gpuE13ELNS1_3repE0EEENS1_47radix_sort_onesweep_sort_config_static_selectorELNS0_4arch9wavefront6targetE1EEEvSI_
	.p2align	8
	.type	_ZN7rocprim17ROCPRIM_400000_NS6detail17trampoline_kernelINS0_14default_configENS1_35radix_sort_onesweep_config_selectorIiiEEZZNS1_29radix_sort_onesweep_iterationIS3_Lb0EN6thrust23THRUST_200600_302600_NS6detail15normal_iteratorINS8_10device_ptrIiEEEESD_SD_SD_jNS0_19identity_decomposerENS1_16block_id_wrapperIjLb0EEEEE10hipError_tT1_PNSt15iterator_traitsISI_E10value_typeET2_T3_PNSJ_ISO_E10value_typeET4_T5_PST_SU_PNS1_23onesweep_lookback_stateEbbT6_jjT7_P12ihipStream_tbENKUlT_T0_SI_SN_E_clISD_SD_SD_SD_EEDaS11_S12_SI_SN_EUlS11_E_NS1_11comp_targetILNS1_3genE6ELNS1_11target_archE950ELNS1_3gpuE13ELNS1_3repE0EEENS1_47radix_sort_onesweep_sort_config_static_selectorELNS0_4arch9wavefront6targetE1EEEvSI_,@function
_ZN7rocprim17ROCPRIM_400000_NS6detail17trampoline_kernelINS0_14default_configENS1_35radix_sort_onesweep_config_selectorIiiEEZZNS1_29radix_sort_onesweep_iterationIS3_Lb0EN6thrust23THRUST_200600_302600_NS6detail15normal_iteratorINS8_10device_ptrIiEEEESD_SD_SD_jNS0_19identity_decomposerENS1_16block_id_wrapperIjLb0EEEEE10hipError_tT1_PNSt15iterator_traitsISI_E10value_typeET2_T3_PNSJ_ISO_E10value_typeET4_T5_PST_SU_PNS1_23onesweep_lookback_stateEbbT6_jjT7_P12ihipStream_tbENKUlT_T0_SI_SN_E_clISD_SD_SD_SD_EEDaS11_S12_SI_SN_EUlS11_E_NS1_11comp_targetILNS1_3genE6ELNS1_11target_archE950ELNS1_3gpuE13ELNS1_3repE0EEENS1_47radix_sort_onesweep_sort_config_static_selectorELNS0_4arch9wavefront6targetE1EEEvSI_: ; @_ZN7rocprim17ROCPRIM_400000_NS6detail17trampoline_kernelINS0_14default_configENS1_35radix_sort_onesweep_config_selectorIiiEEZZNS1_29radix_sort_onesweep_iterationIS3_Lb0EN6thrust23THRUST_200600_302600_NS6detail15normal_iteratorINS8_10device_ptrIiEEEESD_SD_SD_jNS0_19identity_decomposerENS1_16block_id_wrapperIjLb0EEEEE10hipError_tT1_PNSt15iterator_traitsISI_E10value_typeET2_T3_PNSJ_ISO_E10value_typeET4_T5_PST_SU_PNS1_23onesweep_lookback_stateEbbT6_jjT7_P12ihipStream_tbENKUlT_T0_SI_SN_E_clISD_SD_SD_SD_EEDaS11_S12_SI_SN_EUlS11_E_NS1_11comp_targetILNS1_3genE6ELNS1_11target_archE950ELNS1_3gpuE13ELNS1_3repE0EEENS1_47radix_sort_onesweep_sort_config_static_selectorELNS0_4arch9wavefront6targetE1EEEvSI_
; %bb.0:
	s_load_dwordx8 s[52:59], s[0:1], 0x0
	s_load_dwordx4 s[64:67], s[0:1], 0x44
	s_load_dwordx4 s[60:63], s[0:1], 0x28
	s_load_dwordx2 s[50:51], s[0:1], 0x38
	s_mov_b64 s[4:5], -1
	v_mbcnt_lo_u32_b32 v1, -1, 0
	s_waitcnt lgkmcnt(0)
	s_cmp_ge_u32 s2, s66
	s_cbranch_scc0 .LBB1447_204
; %bb.1:
	s_load_dword s3, s[0:1], 0x20
	s_lshl_b32 s6, s66, 14
	s_lshl_b32 s4, s2, 14
	s_mov_b32 s5, 0
	v_and_b32_e32 v2, 0x3ff, v0
	s_waitcnt lgkmcnt(0)
	s_sub_i32 s3, s3, s6
	s_lshl_b64 s[66:67], s[4:5], 2
	v_mbcnt_hi_u32_b32 v12, -1, v1
	s_add_u32 s4, s52, s66
	v_and_b32_e32 v10, 63, v12
	v_lshlrev_b32_e32 v4, 4, v2
	s_addc_u32 s5, s53, s67
	v_and_b32_e32 v11, 0x3c00, v4
	v_mov_b32_e32 v5, 0
	v_lshlrev_b32_e32 v4, 2, v10
	v_lshl_add_u64 v[8:9], s[4:5], 0, v[4:5]
	v_lshlrev_b32_e32 v6, 2, v11
	v_mov_b32_e32 v7, v5
	v_or_b32_e32 v10, v10, v11
	v_mov_b32_e32 v3, -1
	v_lshl_add_u64 v[8:9], v[8:9], 0, v[6:7]
	v_cmp_gt_u32_e32 vcc, s3, v10
	v_mov_b32_e32 v5, -1
	s_and_saveexec_b64 s[4:5], vcc
	s_cbranch_execz .LBB1447_3
; %bb.2:
	global_load_dword v5, v[8:9], off
	s_waitcnt vmcnt(0)
	v_xor_b32_e32 v5, 0x80000000, v5
.LBB1447_3:
	s_or_b64 exec, exec, s[4:5]
	v_or_b32_e32 v7, 64, v10
	v_cmp_gt_u32_e64 s[42:43], s3, v7
	s_and_saveexec_b64 s[4:5], s[42:43]
	s_cbranch_execz .LBB1447_5
; %bb.4:
	global_load_dword v3, v[8:9], off offset:256
	s_waitcnt vmcnt(0)
	v_xor_b32_e32 v3, 0x80000000, v3
.LBB1447_5:
	s_or_b64 exec, exec, s[4:5]
	v_or_b32_e32 v7, 0x80, v10
	v_cmp_gt_u32_e64 s[4:5], s3, v7
	v_mov_b32_e32 v7, -1
	v_mov_b32_e32 v14, -1
	s_and_saveexec_b64 s[6:7], s[4:5]
	s_cbranch_execz .LBB1447_7
; %bb.6:
	global_load_dword v11, v[8:9], off offset:512
	s_waitcnt vmcnt(0)
	v_xor_b32_e32 v14, 0x80000000, v11
.LBB1447_7:
	s_or_b64 exec, exec, s[6:7]
	v_or_b32_e32 v11, 0xc0, v10
	v_cmp_gt_u32_e64 s[6:7], s3, v11
	s_and_saveexec_b64 s[8:9], s[6:7]
	s_cbranch_execz .LBB1447_9
; %bb.8:
	global_load_dword v7, v[8:9], off offset:768
	s_waitcnt vmcnt(0)
	v_xor_b32_e32 v7, 0x80000000, v7
.LBB1447_9:
	s_or_b64 exec, exec, s[8:9]
	v_or_b32_e32 v11, 0x100, v10
	v_cmp_gt_u32_e64 s[8:9], s3, v11
	v_mov_b32_e32 v15, -1
	v_mov_b32_e32 v16, -1
	s_and_saveexec_b64 s[10:11], s[8:9]
	s_cbranch_execz .LBB1447_11
; %bb.10:
	global_load_dword v11, v[8:9], off offset:1024
	s_waitcnt vmcnt(0)
	v_xor_b32_e32 v16, 0x80000000, v11
.LBB1447_11:
	;; [unrolled: 22-line block ×7, first 2 shown]
	s_or_b64 exec, exec, s[30:31]
	v_or_b32_e32 v10, 0x3c0, v10
	v_cmp_gt_u32_e64 s[30:31], s3, v10
	s_and_saveexec_b64 s[34:35], s[30:31]
	s_cbranch_execz .LBB1447_33
; %bb.32:
	global_load_dword v8, v[8:9], off offset:3840
	s_waitcnt vmcnt(0)
	v_xor_b32_e32 v25, 0x80000000, v8
.LBB1447_33:
	s_or_b64 exec, exec, s[34:35]
	s_load_dword s34, s[0:1], 0x64
	s_load_dword s33, s[0:1], 0x58
	s_add_u32 s35, s0, 0x58
	s_addc_u32 s36, s1, 0
	v_mov_b32_e32 v9, 0
	s_waitcnt lgkmcnt(0)
	s_lshr_b32 s37, s34, 16
	s_cmp_lt_u32 s2, s33
	s_cselect_b32 s34, 12, 18
	s_add_u32 s34, s35, s34
	s_addc_u32 s35, s36, 0
	global_load_ushort v27, v9, s[34:35]
	v_lshrrev_b32_e32 v29, s64, v5
	s_lshl_b32 s34, -1, s65
	v_bfe_u32 v8, v0, 10, 10
	v_bfe_u32 v11, v0, 20, 10
	v_bitop3_b32 v38, v29, s34, v29 bitop3:0x30
	s_movk_i32 s69, 0x44
	v_mad_u32_u24 v40, v11, s37, v8
	v_and_b32_e32 v8, 1, v38
	v_lshlrev_b32_e32 v11, 30, v38
	v_mov_b32_e32 v10, v9
	v_mov_b32_e32 v30, v9
	s_not_b32 s68, s34
	v_mul_lo_u32 v42, v38, s69
	v_lshlrev_b32_e32 v29, 29, v38
	v_lshlrev_b32_e32 v31, 28, v38
	;; [unrolled: 1-line block ×6, first 2 shown]
	v_lshl_add_u64 v[38:39], v[8:9], 0, -1
	v_cmp_ne_u32_e64 s[34:35], 0, v8
	v_not_b32_e32 v8, v11
	v_mov_b32_e32 v28, v9
	v_mov_b32_e32 v32, v9
	v_cmp_gt_i64_e64 s[36:37], 0, v[10:11]
	v_not_b32_e32 v10, v29
	v_cmp_gt_i64_e64 s[40:41], 0, v[30:31]
	v_not_b32_e32 v11, v31
	v_xor_b32_e32 v31, s35, v39
	v_ashrrev_i32_e32 v8, 31, v8
	v_mov_b32_e32 v34, v9
	v_cmp_gt_i64_e64 s[38:39], 0, v[28:29]
	v_cmp_gt_i64_e64 s[44:45], 0, v[32:33]
	v_not_b32_e32 v28, v33
	v_xor_b32_e32 v32, s34, v38
	v_ashrrev_i32_e32 v10, 31, v10
	v_and_b32_e32 v31, exec_hi, v31
	v_xor_b32_e32 v33, s37, v8
	v_cmp_gt_i64_e64 s[46:47], 0, v[34:35]
	v_ashrrev_i32_e32 v11, 31, v11
	v_and_b32_e32 v32, exec_lo, v32
	v_xor_b32_e32 v8, s36, v8
	v_xor_b32_e32 v34, s39, v10
	v_and_b32_e32 v31, v31, v33
	v_mov_b32_e32 v36, v9
	v_not_b32_e32 v29, v35
	v_ashrrev_i32_e32 v28, 31, v28
	v_xor_b32_e32 v10, s38, v10
	v_xor_b32_e32 v35, s41, v11
	v_and_b32_e32 v8, v32, v8
	v_and_b32_e32 v31, v31, v34
	v_cmp_gt_i64_e64 s[48:49], 0, v[36:37]
	v_not_b32_e32 v30, v37
	v_ashrrev_i32_e32 v29, 31, v29
	v_xor_b32_e32 v36, s45, v28
	v_and_b32_e32 v8, v8, v10
	v_and_b32_e32 v10, v31, v35
	v_ashrrev_i32_e32 v30, 31, v30
	v_xor_b32_e32 v11, s40, v11
	v_xor_b32_e32 v37, s47, v29
	v_and_b32_e32 v10, v10, v36
	v_xor_b32_e32 v28, s44, v28
	v_xor_b32_e32 v38, s49, v30
	v_and_b32_e32 v8, v8, v11
	v_and_b32_e32 v10, v10, v37
	;; [unrolled: 1-line block ×4, first 2 shown]
	v_xor_b32_e32 v29, s46, v29
	v_xor_b32_e32 v30, s48, v30
	v_and_b32_e32 v8, v8, v29
	v_and_b32_e32 v8, v8, v30
	v_mul_u32_u24_e32 v13, 20, v2
	ds_write2_b32 v13, v9, v9 offset0:16 offset1:17
	ds_write2_b32 v13, v9, v9 offset0:18 offset1:19
	ds_write_b32 v13, v9 offset:80
	s_waitcnt lgkmcnt(0)
	s_barrier
	s_waitcnt vmcnt(0)
	; wave barrier
	v_mad_u64_u32 v[10:11], s[34:35], v40, v27, v[2:3]
	v_lshrrev_b32_e32 v38, 6, v10
	v_mov_b32_e32 v40, v9
	v_not_b32_e32 v10, v41
	v_cmp_gt_i64_e64 s[34:35], 0, v[40:41]
	v_ashrrev_i32_e32 v10, 31, v10
	v_lshl_add_u32 v31, v38, 2, v42
	v_xor_b32_e32 v11, s35, v10
	v_xor_b32_e32 v10, s34, v10
	v_and_b32_e32 v10, v8, v10
	v_and_b32_e32 v11, v28, v11
	v_mbcnt_lo_u32_b32 v8, v10, 0
	v_mbcnt_hi_u32_b32 v28, v11, v8
	v_cmp_eq_u32_e64 s[34:35], 0, v28
	v_cmp_ne_u64_e64 s[36:37], 0, v[10:11]
	s_and_b64 s[36:37], s[36:37], s[34:35]
	s_and_saveexec_b64 s[34:35], s[36:37]
; %bb.34:
	v_bcnt_u32_b32 v8, v10, 0
	v_bcnt_u32_b32 v8, v11, v8
	ds_write_b32 v31, v8 offset:64
; %bb.35:
	s_or_b64 exec, exec, s[34:35]
	v_lshrrev_b32_e32 v8, s64, v3
	v_and_b32_e32 v29, s68, v8
	v_mul_lo_u32 v8, v29, s69
	v_lshl_add_u32 v33, v38, 2, v8
	v_and_b32_e32 v8, 1, v29
	v_lshl_add_u64 v[10:11], v[8:9], 0, -1
	v_cmp_ne_u32_e64 s[34:35], 0, v8
	; wave barrier
	s_nop 1
	v_xor_b32_e32 v10, s34, v10
	v_xor_b32_e32 v8, s35, v11
	v_and_b32_e32 v30, exec_lo, v10
	v_lshlrev_b32_e32 v11, 30, v29
	v_mov_b32_e32 v10, v9
	v_cmp_gt_i64_e64 s[34:35], 0, v[10:11]
	v_not_b32_e32 v10, v11
	v_ashrrev_i32_e32 v10, 31, v10
	v_and_b32_e32 v8, exec_hi, v8
	v_xor_b32_e32 v11, s35, v10
	v_xor_b32_e32 v10, s34, v10
	v_and_b32_e32 v8, v8, v11
	v_and_b32_e32 v30, v30, v10
	v_lshlrev_b32_e32 v11, 29, v29
	v_mov_b32_e32 v10, v9
	v_cmp_gt_i64_e64 s[34:35], 0, v[10:11]
	v_not_b32_e32 v10, v11
	v_ashrrev_i32_e32 v10, 31, v10
	v_xor_b32_e32 v11, s35, v10
	v_xor_b32_e32 v10, s34, v10
	v_and_b32_e32 v8, v8, v11
	v_and_b32_e32 v30, v30, v10
	v_lshlrev_b32_e32 v11, 28, v29
	v_mov_b32_e32 v10, v9
	v_cmp_gt_i64_e64 s[34:35], 0, v[10:11]
	v_not_b32_e32 v10, v11
	v_ashrrev_i32_e32 v10, 31, v10
	;; [unrolled: 9-line block ×5, first 2 shown]
	v_xor_b32_e32 v11, s35, v10
	v_xor_b32_e32 v10, s34, v10
	v_and_b32_e32 v8, v8, v11
	v_lshlrev_b32_e32 v11, 24, v29
	v_and_b32_e32 v30, v30, v10
	v_mov_b32_e32 v10, v9
	v_not_b32_e32 v9, v11
	v_cmp_gt_i64_e64 s[34:35], 0, v[10:11]
	v_ashrrev_i32_e32 v9, 31, v9
	ds_read_b32 v27, v33 offset:64
	v_xor_b32_e32 v10, s35, v9
	v_xor_b32_e32 v11, s34, v9
	v_and_b32_e32 v9, v8, v10
	v_and_b32_e32 v8, v30, v11
	v_mbcnt_lo_u32_b32 v10, v8, 0
	v_mbcnt_hi_u32_b32 v29, v9, v10
	v_cmp_eq_u32_e64 s[34:35], 0, v29
	v_cmp_ne_u64_e64 s[36:37], 0, v[8:9]
	s_and_b64 s[36:37], s[36:37], s[34:35]
	; wave barrier
	s_and_saveexec_b64 s[34:35], s[36:37]
	s_cbranch_execz .LBB1447_37
; %bb.36:
	v_bcnt_u32_b32 v8, v8, 0
	v_bcnt_u32_b32 v8, v9, v8
	s_waitcnt lgkmcnt(0)
	v_add_u32_e32 v8, v27, v8
	ds_write_b32 v33, v8 offset:64
.LBB1447_37:
	s_or_b64 exec, exec, s[34:35]
	v_lshrrev_b32_e32 v8, s64, v14
	v_and_b32_e32 v32, s68, v8
	s_movk_i32 s38, 0x44
	v_mul_lo_u32 v8, v32, s38
	v_lshl_add_u32 v36, v38, 2, v8
	v_and_b32_e32 v8, 1, v32
	v_mov_b32_e32 v9, 0
	v_lshl_add_u64 v[10:11], v[8:9], 0, -1
	v_cmp_ne_u32_e64 s[34:35], 0, v8
	; wave barrier
	s_nop 1
	v_xor_b32_e32 v10, s34, v10
	v_xor_b32_e32 v8, s35, v11
	v_and_b32_e32 v34, exec_lo, v10
	v_lshlrev_b32_e32 v11, 30, v32
	v_mov_b32_e32 v10, v9
	v_cmp_gt_i64_e64 s[34:35], 0, v[10:11]
	v_not_b32_e32 v10, v11
	v_ashrrev_i32_e32 v10, 31, v10
	v_and_b32_e32 v8, exec_hi, v8
	v_xor_b32_e32 v11, s35, v10
	v_xor_b32_e32 v10, s34, v10
	v_and_b32_e32 v8, v8, v11
	v_and_b32_e32 v34, v34, v10
	v_lshlrev_b32_e32 v11, 29, v32
	v_mov_b32_e32 v10, v9
	v_cmp_gt_i64_e64 s[34:35], 0, v[10:11]
	v_not_b32_e32 v10, v11
	v_ashrrev_i32_e32 v10, 31, v10
	v_xor_b32_e32 v11, s35, v10
	v_xor_b32_e32 v10, s34, v10
	v_and_b32_e32 v8, v8, v11
	v_and_b32_e32 v34, v34, v10
	v_lshlrev_b32_e32 v11, 28, v32
	v_mov_b32_e32 v10, v9
	v_cmp_gt_i64_e64 s[34:35], 0, v[10:11]
	v_not_b32_e32 v10, v11
	v_ashrrev_i32_e32 v10, 31, v10
	;; [unrolled: 9-line block ×6, first 2 shown]
	v_xor_b32_e32 v11, s35, v10
	v_xor_b32_e32 v10, s34, v10
	ds_read_b32 v30, v36 offset:64
	v_and_b32_e32 v10, v34, v10
	v_and_b32_e32 v11, v8, v11
	v_mbcnt_lo_u32_b32 v8, v10, 0
	v_mbcnt_hi_u32_b32 v32, v11, v8
	v_cmp_eq_u32_e64 s[34:35], 0, v32
	v_cmp_ne_u64_e64 s[36:37], 0, v[10:11]
	s_and_b64 s[36:37], s[36:37], s[34:35]
	; wave barrier
	s_and_saveexec_b64 s[34:35], s[36:37]
	s_cbranch_execz .LBB1447_39
; %bb.38:
	v_bcnt_u32_b32 v8, v10, 0
	v_bcnt_u32_b32 v8, v11, v8
	s_waitcnt lgkmcnt(0)
	v_add_u32_e32 v8, v30, v8
	ds_write_b32 v36, v8 offset:64
.LBB1447_39:
	s_or_b64 exec, exec, s[34:35]
	v_lshrrev_b32_e32 v8, s64, v7
	v_and_b32_e32 v35, s68, v8
	v_mul_lo_u32 v8, v35, s38
	v_lshl_add_u32 v40, v38, 2, v8
	v_and_b32_e32 v8, 1, v35
	v_lshl_add_u64 v[10:11], v[8:9], 0, -1
	v_cmp_ne_u32_e64 s[34:35], 0, v8
	; wave barrier
	s_nop 1
	v_xor_b32_e32 v10, s34, v10
	v_xor_b32_e32 v8, s35, v11
	v_and_b32_e32 v37, exec_lo, v10
	v_lshlrev_b32_e32 v11, 30, v35
	v_mov_b32_e32 v10, v9
	v_cmp_gt_i64_e64 s[34:35], 0, v[10:11]
	v_not_b32_e32 v10, v11
	v_ashrrev_i32_e32 v10, 31, v10
	v_and_b32_e32 v8, exec_hi, v8
	v_xor_b32_e32 v11, s35, v10
	v_xor_b32_e32 v10, s34, v10
	v_and_b32_e32 v8, v8, v11
	v_and_b32_e32 v37, v37, v10
	v_lshlrev_b32_e32 v11, 29, v35
	v_mov_b32_e32 v10, v9
	v_cmp_gt_i64_e64 s[34:35], 0, v[10:11]
	v_not_b32_e32 v10, v11
	v_ashrrev_i32_e32 v10, 31, v10
	v_xor_b32_e32 v11, s35, v10
	v_xor_b32_e32 v10, s34, v10
	v_and_b32_e32 v8, v8, v11
	v_and_b32_e32 v37, v37, v10
	v_lshlrev_b32_e32 v11, 28, v35
	v_mov_b32_e32 v10, v9
	v_cmp_gt_i64_e64 s[34:35], 0, v[10:11]
	v_not_b32_e32 v10, v11
	v_ashrrev_i32_e32 v10, 31, v10
	;; [unrolled: 9-line block ×5, first 2 shown]
	v_xor_b32_e32 v11, s35, v10
	v_xor_b32_e32 v10, s34, v10
	v_and_b32_e32 v8, v8, v11
	v_lshlrev_b32_e32 v11, 24, v35
	v_and_b32_e32 v37, v37, v10
	v_mov_b32_e32 v10, v9
	v_not_b32_e32 v9, v11
	v_cmp_gt_i64_e64 s[34:35], 0, v[10:11]
	v_ashrrev_i32_e32 v9, 31, v9
	ds_read_b32 v34, v40 offset:64
	v_xor_b32_e32 v10, s35, v9
	v_xor_b32_e32 v11, s34, v9
	v_and_b32_e32 v9, v8, v10
	v_and_b32_e32 v8, v37, v11
	v_mbcnt_lo_u32_b32 v10, v8, 0
	v_mbcnt_hi_u32_b32 v35, v9, v10
	v_cmp_eq_u32_e64 s[34:35], 0, v35
	v_cmp_ne_u64_e64 s[36:37], 0, v[8:9]
	s_and_b64 s[36:37], s[36:37], s[34:35]
	; wave barrier
	s_and_saveexec_b64 s[34:35], s[36:37]
	s_cbranch_execz .LBB1447_41
; %bb.40:
	v_bcnt_u32_b32 v8, v8, 0
	v_bcnt_u32_b32 v8, v9, v8
	s_waitcnt lgkmcnt(0)
	v_add_u32_e32 v8, v34, v8
	ds_write_b32 v40, v8 offset:64
.LBB1447_41:
	s_or_b64 exec, exec, s[34:35]
	v_lshrrev_b32_e32 v8, s64, v16
	v_and_b32_e32 v39, s68, v8
	v_mul_lo_u32 v8, v39, s38
	v_lshl_add_u32 v43, v38, 2, v8
	v_and_b32_e32 v8, 1, v39
	v_mov_b32_e32 v9, 0
	v_lshl_add_u64 v[10:11], v[8:9], 0, -1
	v_cmp_ne_u32_e64 s[34:35], 0, v8
	; wave barrier
	s_nop 1
	v_xor_b32_e32 v10, s34, v10
	v_xor_b32_e32 v8, s35, v11
	v_and_b32_e32 v41, exec_lo, v10
	v_lshlrev_b32_e32 v11, 30, v39
	v_mov_b32_e32 v10, v9
	v_cmp_gt_i64_e64 s[34:35], 0, v[10:11]
	v_not_b32_e32 v10, v11
	v_ashrrev_i32_e32 v10, 31, v10
	v_and_b32_e32 v8, exec_hi, v8
	v_xor_b32_e32 v11, s35, v10
	v_xor_b32_e32 v10, s34, v10
	v_and_b32_e32 v8, v8, v11
	v_and_b32_e32 v41, v41, v10
	v_lshlrev_b32_e32 v11, 29, v39
	v_mov_b32_e32 v10, v9
	v_cmp_gt_i64_e64 s[34:35], 0, v[10:11]
	v_not_b32_e32 v10, v11
	v_ashrrev_i32_e32 v10, 31, v10
	v_xor_b32_e32 v11, s35, v10
	v_xor_b32_e32 v10, s34, v10
	v_and_b32_e32 v8, v8, v11
	v_and_b32_e32 v41, v41, v10
	v_lshlrev_b32_e32 v11, 28, v39
	v_mov_b32_e32 v10, v9
	v_cmp_gt_i64_e64 s[34:35], 0, v[10:11]
	v_not_b32_e32 v10, v11
	v_ashrrev_i32_e32 v10, 31, v10
	v_xor_b32_e32 v11, s35, v10
	v_xor_b32_e32 v10, s34, v10
	v_and_b32_e32 v8, v8, v11
	v_and_b32_e32 v41, v41, v10
	v_lshlrev_b32_e32 v11, 27, v39
	v_mov_b32_e32 v10, v9
	v_cmp_gt_i64_e64 s[34:35], 0, v[10:11]
	v_not_b32_e32 v10, v11
	v_ashrrev_i32_e32 v10, 31, v10
	v_xor_b32_e32 v11, s35, v10
	v_xor_b32_e32 v10, s34, v10
	v_and_b32_e32 v8, v8, v11
	v_and_b32_e32 v41, v41, v10
	v_lshlrev_b32_e32 v11, 26, v39
	v_mov_b32_e32 v10, v9
	v_cmp_gt_i64_e64 s[34:35], 0, v[10:11]
	v_not_b32_e32 v10, v11
	v_ashrrev_i32_e32 v10, 31, v10
	v_xor_b32_e32 v11, s35, v10
	v_xor_b32_e32 v10, s34, v10
	v_and_b32_e32 v8, v8, v11
	v_and_b32_e32 v41, v41, v10
	v_lshlrev_b32_e32 v11, 25, v39
	v_mov_b32_e32 v10, v9
	v_cmp_gt_i64_e64 s[34:35], 0, v[10:11]
	v_not_b32_e32 v10, v11
	v_ashrrev_i32_e32 v10, 31, v10
	v_xor_b32_e32 v11, s35, v10
	v_xor_b32_e32 v10, s34, v10
	v_and_b32_e32 v8, v8, v11
	v_and_b32_e32 v41, v41, v10
	v_lshlrev_b32_e32 v11, 24, v39
	v_mov_b32_e32 v10, v9
	v_cmp_gt_i64_e64 s[34:35], 0, v[10:11]
	v_not_b32_e32 v10, v11
	v_ashrrev_i32_e32 v10, 31, v10
	v_xor_b32_e32 v11, s35, v10
	v_xor_b32_e32 v10, s34, v10
	ds_read_b32 v37, v43 offset:64
	v_and_b32_e32 v10, v41, v10
	v_and_b32_e32 v11, v8, v11
	v_mbcnt_lo_u32_b32 v8, v10, 0
	v_mbcnt_hi_u32_b32 v39, v11, v8
	v_cmp_eq_u32_e64 s[34:35], 0, v39
	v_cmp_ne_u64_e64 s[36:37], 0, v[10:11]
	s_and_b64 s[36:37], s[36:37], s[34:35]
	; wave barrier
	s_and_saveexec_b64 s[34:35], s[36:37]
	s_cbranch_execz .LBB1447_43
; %bb.42:
	v_bcnt_u32_b32 v8, v10, 0
	v_bcnt_u32_b32 v8, v11, v8
	s_waitcnt lgkmcnt(0)
	v_add_u32_e32 v8, v37, v8
	ds_write_b32 v43, v8 offset:64
.LBB1447_43:
	s_or_b64 exec, exec, s[34:35]
	v_lshrrev_b32_e32 v8, s64, v15
	v_and_b32_e32 v42, s68, v8
	v_mul_lo_u32 v8, v42, s38
	v_lshl_add_u32 v45, v38, 2, v8
	v_and_b32_e32 v8, 1, v42
	v_lshl_add_u64 v[10:11], v[8:9], 0, -1
	v_cmp_ne_u32_e64 s[34:35], 0, v8
	; wave barrier
	s_nop 1
	v_xor_b32_e32 v10, s34, v10
	v_xor_b32_e32 v8, s35, v11
	v_and_b32_e32 v44, exec_lo, v10
	v_lshlrev_b32_e32 v11, 30, v42
	v_mov_b32_e32 v10, v9
	v_cmp_gt_i64_e64 s[34:35], 0, v[10:11]
	v_not_b32_e32 v10, v11
	v_ashrrev_i32_e32 v10, 31, v10
	v_and_b32_e32 v8, exec_hi, v8
	v_xor_b32_e32 v11, s35, v10
	v_xor_b32_e32 v10, s34, v10
	v_and_b32_e32 v8, v8, v11
	v_and_b32_e32 v44, v44, v10
	v_lshlrev_b32_e32 v11, 29, v42
	v_mov_b32_e32 v10, v9
	v_cmp_gt_i64_e64 s[34:35], 0, v[10:11]
	v_not_b32_e32 v10, v11
	v_ashrrev_i32_e32 v10, 31, v10
	v_xor_b32_e32 v11, s35, v10
	v_xor_b32_e32 v10, s34, v10
	v_and_b32_e32 v8, v8, v11
	v_and_b32_e32 v44, v44, v10
	v_lshlrev_b32_e32 v11, 28, v42
	v_mov_b32_e32 v10, v9
	v_cmp_gt_i64_e64 s[34:35], 0, v[10:11]
	v_not_b32_e32 v10, v11
	v_ashrrev_i32_e32 v10, 31, v10
	;; [unrolled: 9-line block ×5, first 2 shown]
	v_xor_b32_e32 v11, s35, v10
	v_xor_b32_e32 v10, s34, v10
	v_and_b32_e32 v8, v8, v11
	v_lshlrev_b32_e32 v11, 24, v42
	v_and_b32_e32 v44, v44, v10
	v_mov_b32_e32 v10, v9
	v_not_b32_e32 v9, v11
	v_cmp_gt_i64_e64 s[34:35], 0, v[10:11]
	v_ashrrev_i32_e32 v9, 31, v9
	ds_read_b32 v41, v45 offset:64
	v_xor_b32_e32 v10, s35, v9
	v_xor_b32_e32 v11, s34, v9
	v_and_b32_e32 v9, v8, v10
	v_and_b32_e32 v8, v44, v11
	v_mbcnt_lo_u32_b32 v10, v8, 0
	v_mbcnt_hi_u32_b32 v42, v9, v10
	v_cmp_eq_u32_e64 s[34:35], 0, v42
	v_cmp_ne_u64_e64 s[36:37], 0, v[8:9]
	s_and_b64 s[36:37], s[36:37], s[34:35]
	; wave barrier
	s_and_saveexec_b64 s[34:35], s[36:37]
	s_cbranch_execz .LBB1447_45
; %bb.44:
	v_bcnt_u32_b32 v8, v8, 0
	v_bcnt_u32_b32 v8, v9, v8
	s_waitcnt lgkmcnt(0)
	v_add_u32_e32 v8, v41, v8
	ds_write_b32 v45, v8 offset:64
.LBB1447_45:
	s_or_b64 exec, exec, s[34:35]
	v_lshrrev_b32_e32 v8, s64, v18
	v_and_b32_e32 v46, s68, v8
	v_mul_lo_u32 v8, v46, s38
	v_lshl_add_u32 v48, v38, 2, v8
	v_and_b32_e32 v8, 1, v46
	v_mov_b32_e32 v9, 0
	v_lshl_add_u64 v[10:11], v[8:9], 0, -1
	v_cmp_ne_u32_e64 s[34:35], 0, v8
	; wave barrier
	s_nop 1
	v_xor_b32_e32 v10, s34, v10
	v_xor_b32_e32 v8, s35, v11
	v_and_b32_e32 v47, exec_lo, v10
	v_lshlrev_b32_e32 v11, 30, v46
	v_mov_b32_e32 v10, v9
	v_cmp_gt_i64_e64 s[34:35], 0, v[10:11]
	v_not_b32_e32 v10, v11
	v_ashrrev_i32_e32 v10, 31, v10
	v_and_b32_e32 v8, exec_hi, v8
	v_xor_b32_e32 v11, s35, v10
	v_xor_b32_e32 v10, s34, v10
	v_and_b32_e32 v8, v8, v11
	v_and_b32_e32 v47, v47, v10
	v_lshlrev_b32_e32 v11, 29, v46
	v_mov_b32_e32 v10, v9
	v_cmp_gt_i64_e64 s[34:35], 0, v[10:11]
	v_not_b32_e32 v10, v11
	v_ashrrev_i32_e32 v10, 31, v10
	v_xor_b32_e32 v11, s35, v10
	v_xor_b32_e32 v10, s34, v10
	v_and_b32_e32 v8, v8, v11
	v_and_b32_e32 v47, v47, v10
	v_lshlrev_b32_e32 v11, 28, v46
	v_mov_b32_e32 v10, v9
	v_cmp_gt_i64_e64 s[34:35], 0, v[10:11]
	v_not_b32_e32 v10, v11
	v_ashrrev_i32_e32 v10, 31, v10
	v_xor_b32_e32 v11, s35, v10
	v_xor_b32_e32 v10, s34, v10
	v_and_b32_e32 v8, v8, v11
	v_and_b32_e32 v47, v47, v10
	v_lshlrev_b32_e32 v11, 27, v46
	v_mov_b32_e32 v10, v9
	v_cmp_gt_i64_e64 s[34:35], 0, v[10:11]
	v_not_b32_e32 v10, v11
	v_ashrrev_i32_e32 v10, 31, v10
	v_xor_b32_e32 v11, s35, v10
	v_xor_b32_e32 v10, s34, v10
	v_and_b32_e32 v8, v8, v11
	v_and_b32_e32 v47, v47, v10
	v_lshlrev_b32_e32 v11, 26, v46
	v_mov_b32_e32 v10, v9
	v_cmp_gt_i64_e64 s[34:35], 0, v[10:11]
	v_not_b32_e32 v10, v11
	v_ashrrev_i32_e32 v10, 31, v10
	v_xor_b32_e32 v11, s35, v10
	v_xor_b32_e32 v10, s34, v10
	v_and_b32_e32 v8, v8, v11
	v_and_b32_e32 v47, v47, v10
	v_lshlrev_b32_e32 v11, 25, v46
	v_mov_b32_e32 v10, v9
	v_cmp_gt_i64_e64 s[34:35], 0, v[10:11]
	v_not_b32_e32 v10, v11
	v_ashrrev_i32_e32 v10, 31, v10
	v_xor_b32_e32 v11, s35, v10
	v_xor_b32_e32 v10, s34, v10
	v_and_b32_e32 v8, v8, v11
	v_and_b32_e32 v47, v47, v10
	v_lshlrev_b32_e32 v11, 24, v46
	v_mov_b32_e32 v10, v9
	v_cmp_gt_i64_e64 s[34:35], 0, v[10:11]
	v_not_b32_e32 v10, v11
	v_ashrrev_i32_e32 v10, 31, v10
	v_xor_b32_e32 v11, s35, v10
	v_xor_b32_e32 v10, s34, v10
	ds_read_b32 v44, v48 offset:64
	v_and_b32_e32 v10, v47, v10
	v_and_b32_e32 v11, v8, v11
	v_mbcnt_lo_u32_b32 v8, v10, 0
	v_mbcnt_hi_u32_b32 v46, v11, v8
	v_cmp_eq_u32_e64 s[34:35], 0, v46
	v_cmp_ne_u64_e64 s[36:37], 0, v[10:11]
	s_and_b64 s[36:37], s[36:37], s[34:35]
	; wave barrier
	s_and_saveexec_b64 s[34:35], s[36:37]
	s_cbranch_execz .LBB1447_47
; %bb.46:
	v_bcnt_u32_b32 v8, v10, 0
	v_bcnt_u32_b32 v8, v11, v8
	s_waitcnt lgkmcnt(0)
	v_add_u32_e32 v8, v44, v8
	ds_write_b32 v48, v8 offset:64
.LBB1447_47:
	s_or_b64 exec, exec, s[34:35]
	v_lshrrev_b32_e32 v8, s64, v17
	v_and_b32_e32 v49, s68, v8
	v_mul_lo_u32 v8, v49, s38
	v_lshl_add_u32 v51, v38, 2, v8
	v_and_b32_e32 v8, 1, v49
	v_lshl_add_u64 v[10:11], v[8:9], 0, -1
	v_cmp_ne_u32_e64 s[34:35], 0, v8
	; wave barrier
	s_nop 1
	v_xor_b32_e32 v10, s34, v10
	v_xor_b32_e32 v8, s35, v11
	v_and_b32_e32 v50, exec_lo, v10
	v_lshlrev_b32_e32 v11, 30, v49
	v_mov_b32_e32 v10, v9
	v_cmp_gt_i64_e64 s[34:35], 0, v[10:11]
	v_not_b32_e32 v10, v11
	v_ashrrev_i32_e32 v10, 31, v10
	v_and_b32_e32 v8, exec_hi, v8
	v_xor_b32_e32 v11, s35, v10
	v_xor_b32_e32 v10, s34, v10
	v_and_b32_e32 v8, v8, v11
	v_and_b32_e32 v50, v50, v10
	v_lshlrev_b32_e32 v11, 29, v49
	v_mov_b32_e32 v10, v9
	v_cmp_gt_i64_e64 s[34:35], 0, v[10:11]
	v_not_b32_e32 v10, v11
	v_ashrrev_i32_e32 v10, 31, v10
	v_xor_b32_e32 v11, s35, v10
	v_xor_b32_e32 v10, s34, v10
	v_and_b32_e32 v8, v8, v11
	v_and_b32_e32 v50, v50, v10
	v_lshlrev_b32_e32 v11, 28, v49
	v_mov_b32_e32 v10, v9
	v_cmp_gt_i64_e64 s[34:35], 0, v[10:11]
	v_not_b32_e32 v10, v11
	v_ashrrev_i32_e32 v10, 31, v10
	;; [unrolled: 9-line block ×5, first 2 shown]
	v_xor_b32_e32 v11, s35, v10
	v_xor_b32_e32 v10, s34, v10
	v_and_b32_e32 v8, v8, v11
	v_lshlrev_b32_e32 v11, 24, v49
	v_and_b32_e32 v50, v50, v10
	v_mov_b32_e32 v10, v9
	v_not_b32_e32 v9, v11
	v_cmp_gt_i64_e64 s[34:35], 0, v[10:11]
	v_ashrrev_i32_e32 v9, 31, v9
	ds_read_b32 v47, v51 offset:64
	v_xor_b32_e32 v10, s35, v9
	v_xor_b32_e32 v11, s34, v9
	v_and_b32_e32 v9, v8, v10
	v_and_b32_e32 v8, v50, v11
	v_mbcnt_lo_u32_b32 v10, v8, 0
	v_mbcnt_hi_u32_b32 v49, v9, v10
	v_cmp_eq_u32_e64 s[34:35], 0, v49
	v_cmp_ne_u64_e64 s[36:37], 0, v[8:9]
	s_and_b64 s[36:37], s[36:37], s[34:35]
	; wave barrier
	s_and_saveexec_b64 s[34:35], s[36:37]
	s_cbranch_execz .LBB1447_49
; %bb.48:
	v_bcnt_u32_b32 v8, v8, 0
	v_bcnt_u32_b32 v8, v9, v8
	s_waitcnt lgkmcnt(0)
	v_add_u32_e32 v8, v47, v8
	ds_write_b32 v51, v8 offset:64
.LBB1447_49:
	s_or_b64 exec, exec, s[34:35]
	v_lshrrev_b32_e32 v8, s64, v20
	v_and_b32_e32 v52, s68, v8
	v_mul_lo_u32 v8, v52, s38
	v_lshl_add_u32 v54, v38, 2, v8
	v_and_b32_e32 v8, 1, v52
	v_mov_b32_e32 v9, 0
	v_lshl_add_u64 v[10:11], v[8:9], 0, -1
	v_cmp_ne_u32_e64 s[34:35], 0, v8
	; wave barrier
	s_nop 1
	v_xor_b32_e32 v10, s34, v10
	v_xor_b32_e32 v8, s35, v11
	v_and_b32_e32 v53, exec_lo, v10
	v_lshlrev_b32_e32 v11, 30, v52
	v_mov_b32_e32 v10, v9
	v_cmp_gt_i64_e64 s[34:35], 0, v[10:11]
	v_not_b32_e32 v10, v11
	v_ashrrev_i32_e32 v10, 31, v10
	v_and_b32_e32 v8, exec_hi, v8
	v_xor_b32_e32 v11, s35, v10
	v_xor_b32_e32 v10, s34, v10
	v_and_b32_e32 v8, v8, v11
	v_and_b32_e32 v53, v53, v10
	v_lshlrev_b32_e32 v11, 29, v52
	v_mov_b32_e32 v10, v9
	v_cmp_gt_i64_e64 s[34:35], 0, v[10:11]
	v_not_b32_e32 v10, v11
	v_ashrrev_i32_e32 v10, 31, v10
	v_xor_b32_e32 v11, s35, v10
	v_xor_b32_e32 v10, s34, v10
	v_and_b32_e32 v8, v8, v11
	v_and_b32_e32 v53, v53, v10
	v_lshlrev_b32_e32 v11, 28, v52
	v_mov_b32_e32 v10, v9
	v_cmp_gt_i64_e64 s[34:35], 0, v[10:11]
	v_not_b32_e32 v10, v11
	v_ashrrev_i32_e32 v10, 31, v10
	;; [unrolled: 9-line block ×6, first 2 shown]
	v_xor_b32_e32 v11, s35, v10
	v_xor_b32_e32 v10, s34, v10
	ds_read_b32 v50, v54 offset:64
	v_and_b32_e32 v10, v53, v10
	v_and_b32_e32 v11, v8, v11
	v_mbcnt_lo_u32_b32 v8, v10, 0
	v_mbcnt_hi_u32_b32 v52, v11, v8
	v_cmp_eq_u32_e64 s[34:35], 0, v52
	v_cmp_ne_u64_e64 s[36:37], 0, v[10:11]
	s_and_b64 s[36:37], s[36:37], s[34:35]
	; wave barrier
	s_and_saveexec_b64 s[34:35], s[36:37]
	s_cbranch_execz .LBB1447_51
; %bb.50:
	v_bcnt_u32_b32 v8, v10, 0
	v_bcnt_u32_b32 v8, v11, v8
	s_waitcnt lgkmcnt(0)
	v_add_u32_e32 v8, v50, v8
	ds_write_b32 v54, v8 offset:64
.LBB1447_51:
	s_or_b64 exec, exec, s[34:35]
	v_lshrrev_b32_e32 v8, s64, v19
	v_and_b32_e32 v55, s68, v8
	v_mul_lo_u32 v8, v55, s38
	v_lshl_add_u32 v57, v38, 2, v8
	v_and_b32_e32 v8, 1, v55
	v_lshl_add_u64 v[10:11], v[8:9], 0, -1
	v_cmp_ne_u32_e64 s[34:35], 0, v8
	; wave barrier
	s_nop 1
	v_xor_b32_e32 v10, s34, v10
	v_xor_b32_e32 v8, s35, v11
	v_and_b32_e32 v56, exec_lo, v10
	v_lshlrev_b32_e32 v11, 30, v55
	v_mov_b32_e32 v10, v9
	v_cmp_gt_i64_e64 s[34:35], 0, v[10:11]
	v_not_b32_e32 v10, v11
	v_ashrrev_i32_e32 v10, 31, v10
	v_and_b32_e32 v8, exec_hi, v8
	v_xor_b32_e32 v11, s35, v10
	v_xor_b32_e32 v10, s34, v10
	v_and_b32_e32 v8, v8, v11
	v_and_b32_e32 v56, v56, v10
	v_lshlrev_b32_e32 v11, 29, v55
	v_mov_b32_e32 v10, v9
	v_cmp_gt_i64_e64 s[34:35], 0, v[10:11]
	v_not_b32_e32 v10, v11
	v_ashrrev_i32_e32 v10, 31, v10
	v_xor_b32_e32 v11, s35, v10
	v_xor_b32_e32 v10, s34, v10
	v_and_b32_e32 v8, v8, v11
	v_and_b32_e32 v56, v56, v10
	v_lshlrev_b32_e32 v11, 28, v55
	v_mov_b32_e32 v10, v9
	v_cmp_gt_i64_e64 s[34:35], 0, v[10:11]
	v_not_b32_e32 v10, v11
	v_ashrrev_i32_e32 v10, 31, v10
	;; [unrolled: 9-line block ×5, first 2 shown]
	v_xor_b32_e32 v11, s35, v10
	v_xor_b32_e32 v10, s34, v10
	v_and_b32_e32 v8, v8, v11
	v_lshlrev_b32_e32 v11, 24, v55
	v_and_b32_e32 v56, v56, v10
	v_mov_b32_e32 v10, v9
	v_not_b32_e32 v9, v11
	v_cmp_gt_i64_e64 s[34:35], 0, v[10:11]
	v_ashrrev_i32_e32 v9, 31, v9
	ds_read_b32 v53, v57 offset:64
	v_xor_b32_e32 v10, s35, v9
	v_xor_b32_e32 v11, s34, v9
	v_and_b32_e32 v9, v8, v10
	v_and_b32_e32 v8, v56, v11
	v_mbcnt_lo_u32_b32 v10, v8, 0
	v_mbcnt_hi_u32_b32 v55, v9, v10
	v_cmp_eq_u32_e64 s[34:35], 0, v55
	v_cmp_ne_u64_e64 s[36:37], 0, v[8:9]
	s_and_b64 s[36:37], s[36:37], s[34:35]
	; wave barrier
	s_and_saveexec_b64 s[34:35], s[36:37]
	s_cbranch_execz .LBB1447_53
; %bb.52:
	v_bcnt_u32_b32 v8, v8, 0
	v_bcnt_u32_b32 v8, v9, v8
	s_waitcnt lgkmcnt(0)
	v_add_u32_e32 v8, v53, v8
	ds_write_b32 v57, v8 offset:64
.LBB1447_53:
	s_or_b64 exec, exec, s[34:35]
	v_lshrrev_b32_e32 v8, s64, v22
	v_and_b32_e32 v58, s68, v8
	v_mul_lo_u32 v8, v58, s38
	v_lshl_add_u32 v60, v38, 2, v8
	v_and_b32_e32 v8, 1, v58
	v_mov_b32_e32 v9, 0
	v_lshl_add_u64 v[10:11], v[8:9], 0, -1
	v_cmp_ne_u32_e64 s[34:35], 0, v8
	; wave barrier
	s_nop 1
	v_xor_b32_e32 v10, s34, v10
	v_xor_b32_e32 v8, s35, v11
	v_and_b32_e32 v59, exec_lo, v10
	v_lshlrev_b32_e32 v11, 30, v58
	v_mov_b32_e32 v10, v9
	v_cmp_gt_i64_e64 s[34:35], 0, v[10:11]
	v_not_b32_e32 v10, v11
	v_ashrrev_i32_e32 v10, 31, v10
	v_and_b32_e32 v8, exec_hi, v8
	v_xor_b32_e32 v11, s35, v10
	v_xor_b32_e32 v10, s34, v10
	v_and_b32_e32 v8, v8, v11
	v_and_b32_e32 v59, v59, v10
	v_lshlrev_b32_e32 v11, 29, v58
	v_mov_b32_e32 v10, v9
	v_cmp_gt_i64_e64 s[34:35], 0, v[10:11]
	v_not_b32_e32 v10, v11
	v_ashrrev_i32_e32 v10, 31, v10
	v_xor_b32_e32 v11, s35, v10
	v_xor_b32_e32 v10, s34, v10
	v_and_b32_e32 v8, v8, v11
	v_and_b32_e32 v59, v59, v10
	v_lshlrev_b32_e32 v11, 28, v58
	v_mov_b32_e32 v10, v9
	v_cmp_gt_i64_e64 s[34:35], 0, v[10:11]
	v_not_b32_e32 v10, v11
	v_ashrrev_i32_e32 v10, 31, v10
	v_xor_b32_e32 v11, s35, v10
	v_xor_b32_e32 v10, s34, v10
	v_and_b32_e32 v8, v8, v11
	v_and_b32_e32 v59, v59, v10
	v_lshlrev_b32_e32 v11, 27, v58
	v_mov_b32_e32 v10, v9
	v_cmp_gt_i64_e64 s[34:35], 0, v[10:11]
	v_not_b32_e32 v10, v11
	v_ashrrev_i32_e32 v10, 31, v10
	v_xor_b32_e32 v11, s35, v10
	v_xor_b32_e32 v10, s34, v10
	v_and_b32_e32 v8, v8, v11
	v_and_b32_e32 v59, v59, v10
	v_lshlrev_b32_e32 v11, 26, v58
	v_mov_b32_e32 v10, v9
	v_cmp_gt_i64_e64 s[34:35], 0, v[10:11]
	v_not_b32_e32 v10, v11
	v_ashrrev_i32_e32 v10, 31, v10
	v_xor_b32_e32 v11, s35, v10
	v_xor_b32_e32 v10, s34, v10
	v_and_b32_e32 v8, v8, v11
	v_and_b32_e32 v59, v59, v10
	v_lshlrev_b32_e32 v11, 25, v58
	v_mov_b32_e32 v10, v9
	v_cmp_gt_i64_e64 s[34:35], 0, v[10:11]
	v_not_b32_e32 v10, v11
	v_ashrrev_i32_e32 v10, 31, v10
	v_xor_b32_e32 v11, s35, v10
	v_xor_b32_e32 v10, s34, v10
	v_and_b32_e32 v8, v8, v11
	v_and_b32_e32 v59, v59, v10
	v_lshlrev_b32_e32 v11, 24, v58
	v_mov_b32_e32 v10, v9
	v_cmp_gt_i64_e64 s[34:35], 0, v[10:11]
	v_not_b32_e32 v10, v11
	v_ashrrev_i32_e32 v10, 31, v10
	v_xor_b32_e32 v11, s35, v10
	v_xor_b32_e32 v10, s34, v10
	ds_read_b32 v56, v60 offset:64
	v_and_b32_e32 v10, v59, v10
	v_and_b32_e32 v11, v8, v11
	v_mbcnt_lo_u32_b32 v8, v10, 0
	v_mbcnt_hi_u32_b32 v58, v11, v8
	v_cmp_eq_u32_e64 s[34:35], 0, v58
	v_cmp_ne_u64_e64 s[36:37], 0, v[10:11]
	s_and_b64 s[36:37], s[36:37], s[34:35]
	; wave barrier
	s_and_saveexec_b64 s[34:35], s[36:37]
	s_cbranch_execz .LBB1447_55
; %bb.54:
	v_bcnt_u32_b32 v8, v10, 0
	v_bcnt_u32_b32 v8, v11, v8
	s_waitcnt lgkmcnt(0)
	v_add_u32_e32 v8, v56, v8
	ds_write_b32 v60, v8 offset:64
.LBB1447_55:
	s_or_b64 exec, exec, s[34:35]
	v_lshrrev_b32_e32 v8, s64, v21
	v_and_b32_e32 v61, s68, v8
	v_mul_lo_u32 v8, v61, s38
	v_lshl_add_u32 v63, v38, 2, v8
	v_and_b32_e32 v8, 1, v61
	v_lshl_add_u64 v[10:11], v[8:9], 0, -1
	v_cmp_ne_u32_e64 s[34:35], 0, v8
	; wave barrier
	s_nop 1
	v_xor_b32_e32 v10, s34, v10
	v_xor_b32_e32 v8, s35, v11
	v_and_b32_e32 v62, exec_lo, v10
	v_lshlrev_b32_e32 v11, 30, v61
	v_mov_b32_e32 v10, v9
	v_cmp_gt_i64_e64 s[34:35], 0, v[10:11]
	v_not_b32_e32 v10, v11
	v_ashrrev_i32_e32 v10, 31, v10
	v_and_b32_e32 v8, exec_hi, v8
	v_xor_b32_e32 v11, s35, v10
	v_xor_b32_e32 v10, s34, v10
	v_and_b32_e32 v8, v8, v11
	v_and_b32_e32 v62, v62, v10
	v_lshlrev_b32_e32 v11, 29, v61
	v_mov_b32_e32 v10, v9
	v_cmp_gt_i64_e64 s[34:35], 0, v[10:11]
	v_not_b32_e32 v10, v11
	v_ashrrev_i32_e32 v10, 31, v10
	v_xor_b32_e32 v11, s35, v10
	v_xor_b32_e32 v10, s34, v10
	v_and_b32_e32 v8, v8, v11
	v_and_b32_e32 v62, v62, v10
	v_lshlrev_b32_e32 v11, 28, v61
	v_mov_b32_e32 v10, v9
	v_cmp_gt_i64_e64 s[34:35], 0, v[10:11]
	v_not_b32_e32 v10, v11
	v_ashrrev_i32_e32 v10, 31, v10
	;; [unrolled: 9-line block ×5, first 2 shown]
	v_xor_b32_e32 v11, s35, v10
	v_xor_b32_e32 v10, s34, v10
	v_and_b32_e32 v8, v8, v11
	v_lshlrev_b32_e32 v11, 24, v61
	v_and_b32_e32 v62, v62, v10
	v_mov_b32_e32 v10, v9
	v_not_b32_e32 v9, v11
	v_cmp_gt_i64_e64 s[34:35], 0, v[10:11]
	v_ashrrev_i32_e32 v9, 31, v9
	ds_read_b32 v59, v63 offset:64
	v_xor_b32_e32 v10, s35, v9
	v_xor_b32_e32 v11, s34, v9
	v_and_b32_e32 v9, v8, v10
	v_and_b32_e32 v8, v62, v11
	v_mbcnt_lo_u32_b32 v10, v8, 0
	v_mbcnt_hi_u32_b32 v61, v9, v10
	v_cmp_eq_u32_e64 s[34:35], 0, v61
	v_cmp_ne_u64_e64 s[36:37], 0, v[8:9]
	s_and_b64 s[36:37], s[36:37], s[34:35]
	; wave barrier
	s_and_saveexec_b64 s[34:35], s[36:37]
	s_cbranch_execz .LBB1447_57
; %bb.56:
	v_bcnt_u32_b32 v8, v8, 0
	v_bcnt_u32_b32 v8, v9, v8
	s_waitcnt lgkmcnt(0)
	v_add_u32_e32 v8, v59, v8
	ds_write_b32 v63, v8 offset:64
.LBB1447_57:
	s_or_b64 exec, exec, s[34:35]
	v_lshrrev_b32_e32 v8, s64, v24
	v_and_b32_e32 v64, s68, v8
	v_mul_lo_u32 v8, v64, s38
	v_lshl_add_u32 v66, v38, 2, v8
	v_and_b32_e32 v8, 1, v64
	v_mov_b32_e32 v9, 0
	v_lshl_add_u64 v[10:11], v[8:9], 0, -1
	v_cmp_ne_u32_e64 s[34:35], 0, v8
	; wave barrier
	s_nop 1
	v_xor_b32_e32 v10, s34, v10
	v_xor_b32_e32 v8, s35, v11
	v_and_b32_e32 v65, exec_lo, v10
	v_lshlrev_b32_e32 v11, 30, v64
	v_mov_b32_e32 v10, v9
	v_cmp_gt_i64_e64 s[34:35], 0, v[10:11]
	v_not_b32_e32 v10, v11
	v_ashrrev_i32_e32 v10, 31, v10
	v_and_b32_e32 v8, exec_hi, v8
	v_xor_b32_e32 v11, s35, v10
	v_xor_b32_e32 v10, s34, v10
	v_and_b32_e32 v8, v8, v11
	v_and_b32_e32 v65, v65, v10
	v_lshlrev_b32_e32 v11, 29, v64
	v_mov_b32_e32 v10, v9
	v_cmp_gt_i64_e64 s[34:35], 0, v[10:11]
	v_not_b32_e32 v10, v11
	v_ashrrev_i32_e32 v10, 31, v10
	v_xor_b32_e32 v11, s35, v10
	v_xor_b32_e32 v10, s34, v10
	v_and_b32_e32 v8, v8, v11
	v_and_b32_e32 v65, v65, v10
	v_lshlrev_b32_e32 v11, 28, v64
	v_mov_b32_e32 v10, v9
	v_cmp_gt_i64_e64 s[34:35], 0, v[10:11]
	v_not_b32_e32 v10, v11
	v_ashrrev_i32_e32 v10, 31, v10
	;; [unrolled: 9-line block ×6, first 2 shown]
	v_xor_b32_e32 v11, s35, v10
	v_xor_b32_e32 v10, s34, v10
	ds_read_b32 v62, v66 offset:64
	v_and_b32_e32 v10, v65, v10
	v_and_b32_e32 v11, v8, v11
	v_mbcnt_lo_u32_b32 v8, v10, 0
	v_mbcnt_hi_u32_b32 v64, v11, v8
	v_cmp_eq_u32_e64 s[34:35], 0, v64
	v_cmp_ne_u64_e64 s[36:37], 0, v[10:11]
	s_and_b64 s[36:37], s[36:37], s[34:35]
	; wave barrier
	s_and_saveexec_b64 s[34:35], s[36:37]
	s_cbranch_execz .LBB1447_59
; %bb.58:
	v_bcnt_u32_b32 v8, v10, 0
	v_bcnt_u32_b32 v8, v11, v8
	s_waitcnt lgkmcnt(0)
	v_add_u32_e32 v8, v62, v8
	ds_write_b32 v66, v8 offset:64
.LBB1447_59:
	s_or_b64 exec, exec, s[34:35]
	v_lshrrev_b32_e32 v8, s64, v23
	v_and_b32_e32 v67, s68, v8
	v_mul_lo_u32 v8, v67, s38
	v_lshl_add_u32 v69, v38, 2, v8
	v_and_b32_e32 v8, 1, v67
	v_lshl_add_u64 v[10:11], v[8:9], 0, -1
	v_cmp_ne_u32_e64 s[34:35], 0, v8
	; wave barrier
	s_nop 1
	v_xor_b32_e32 v10, s34, v10
	v_xor_b32_e32 v8, s35, v11
	v_and_b32_e32 v68, exec_lo, v10
	v_lshlrev_b32_e32 v11, 30, v67
	v_mov_b32_e32 v10, v9
	v_cmp_gt_i64_e64 s[34:35], 0, v[10:11]
	v_not_b32_e32 v10, v11
	v_ashrrev_i32_e32 v10, 31, v10
	v_and_b32_e32 v8, exec_hi, v8
	v_xor_b32_e32 v11, s35, v10
	v_xor_b32_e32 v10, s34, v10
	v_and_b32_e32 v8, v8, v11
	v_and_b32_e32 v68, v68, v10
	v_lshlrev_b32_e32 v11, 29, v67
	v_mov_b32_e32 v10, v9
	v_cmp_gt_i64_e64 s[34:35], 0, v[10:11]
	v_not_b32_e32 v10, v11
	v_ashrrev_i32_e32 v10, 31, v10
	v_xor_b32_e32 v11, s35, v10
	v_xor_b32_e32 v10, s34, v10
	v_and_b32_e32 v8, v8, v11
	v_and_b32_e32 v68, v68, v10
	v_lshlrev_b32_e32 v11, 28, v67
	v_mov_b32_e32 v10, v9
	v_cmp_gt_i64_e64 s[34:35], 0, v[10:11]
	v_not_b32_e32 v10, v11
	v_ashrrev_i32_e32 v10, 31, v10
	;; [unrolled: 9-line block ×5, first 2 shown]
	v_xor_b32_e32 v11, s35, v10
	v_xor_b32_e32 v10, s34, v10
	v_and_b32_e32 v8, v8, v11
	v_lshlrev_b32_e32 v11, 24, v67
	v_and_b32_e32 v68, v68, v10
	v_mov_b32_e32 v10, v9
	v_not_b32_e32 v9, v11
	v_cmp_gt_i64_e64 s[34:35], 0, v[10:11]
	v_ashrrev_i32_e32 v9, 31, v9
	ds_read_b32 v65, v69 offset:64
	v_xor_b32_e32 v10, s35, v9
	v_xor_b32_e32 v11, s34, v9
	v_and_b32_e32 v9, v8, v10
	v_and_b32_e32 v8, v68, v11
	v_mbcnt_lo_u32_b32 v10, v8, 0
	v_mbcnt_hi_u32_b32 v67, v9, v10
	v_cmp_eq_u32_e64 s[34:35], 0, v67
	v_cmp_ne_u64_e64 s[36:37], 0, v[8:9]
	s_and_b64 s[36:37], s[36:37], s[34:35]
	; wave barrier
	s_and_saveexec_b64 s[34:35], s[36:37]
	s_cbranch_execz .LBB1447_61
; %bb.60:
	v_bcnt_u32_b32 v8, v8, 0
	v_bcnt_u32_b32 v8, v9, v8
	s_waitcnt lgkmcnt(0)
	v_add_u32_e32 v8, v65, v8
	ds_write_b32 v69, v8 offset:64
.LBB1447_61:
	s_or_b64 exec, exec, s[34:35]
	v_lshrrev_b32_e32 v8, s64, v26
	v_and_b32_e32 v70, s68, v8
	v_mul_lo_u32 v8, v70, s38
	v_lshl_add_u32 v72, v38, 2, v8
	v_and_b32_e32 v8, 1, v70
	v_mov_b32_e32 v9, 0
	v_lshl_add_u64 v[10:11], v[8:9], 0, -1
	v_cmp_ne_u32_e64 s[34:35], 0, v8
	; wave barrier
	s_nop 1
	v_xor_b32_e32 v10, s34, v10
	v_xor_b32_e32 v8, s35, v11
	v_and_b32_e32 v71, exec_lo, v10
	v_lshlrev_b32_e32 v11, 30, v70
	v_mov_b32_e32 v10, v9
	v_cmp_gt_i64_e64 s[34:35], 0, v[10:11]
	v_not_b32_e32 v10, v11
	v_ashrrev_i32_e32 v10, 31, v10
	v_and_b32_e32 v8, exec_hi, v8
	v_xor_b32_e32 v11, s35, v10
	v_xor_b32_e32 v10, s34, v10
	v_and_b32_e32 v8, v8, v11
	v_and_b32_e32 v71, v71, v10
	v_lshlrev_b32_e32 v11, 29, v70
	v_mov_b32_e32 v10, v9
	v_cmp_gt_i64_e64 s[34:35], 0, v[10:11]
	v_not_b32_e32 v10, v11
	v_ashrrev_i32_e32 v10, 31, v10
	v_xor_b32_e32 v11, s35, v10
	v_xor_b32_e32 v10, s34, v10
	v_and_b32_e32 v8, v8, v11
	v_and_b32_e32 v71, v71, v10
	v_lshlrev_b32_e32 v11, 28, v70
	v_mov_b32_e32 v10, v9
	v_cmp_gt_i64_e64 s[34:35], 0, v[10:11]
	v_not_b32_e32 v10, v11
	v_ashrrev_i32_e32 v10, 31, v10
	;; [unrolled: 9-line block ×6, first 2 shown]
	v_xor_b32_e32 v11, s35, v10
	v_xor_b32_e32 v10, s34, v10
	ds_read_b32 v68, v72 offset:64
	v_and_b32_e32 v10, v71, v10
	v_and_b32_e32 v11, v8, v11
	v_mbcnt_lo_u32_b32 v8, v10, 0
	v_mbcnt_hi_u32_b32 v70, v11, v8
	v_cmp_eq_u32_e64 s[34:35], 0, v70
	v_cmp_ne_u64_e64 s[36:37], 0, v[10:11]
	s_and_b64 s[36:37], s[36:37], s[34:35]
	; wave barrier
	s_and_saveexec_b64 s[34:35], s[36:37]
	s_cbranch_execz .LBB1447_63
; %bb.62:
	v_bcnt_u32_b32 v8, v10, 0
	v_bcnt_u32_b32 v8, v11, v8
	s_waitcnt lgkmcnt(0)
	v_add_u32_e32 v8, v68, v8
	ds_write_b32 v72, v8 offset:64
.LBB1447_63:
	s_or_b64 exec, exec, s[34:35]
	v_lshrrev_b32_e32 v8, s64, v25
	v_and_b32_e32 v73, s68, v8
	v_mul_lo_u32 v8, v73, s38
	v_lshl_add_u32 v74, v38, 2, v8
	v_and_b32_e32 v8, 1, v73
	v_lshl_add_u64 v[10:11], v[8:9], 0, -1
	v_cmp_ne_u32_e64 s[34:35], 0, v8
	; wave barrier
	s_nop 1
	v_xor_b32_e32 v10, s34, v10
	v_xor_b32_e32 v8, s35, v11
	v_and_b32_e32 v38, exec_lo, v10
	v_lshlrev_b32_e32 v11, 30, v73
	v_mov_b32_e32 v10, v9
	v_cmp_gt_i64_e64 s[34:35], 0, v[10:11]
	v_not_b32_e32 v10, v11
	v_ashrrev_i32_e32 v10, 31, v10
	v_and_b32_e32 v8, exec_hi, v8
	v_xor_b32_e32 v11, s35, v10
	v_xor_b32_e32 v10, s34, v10
	v_and_b32_e32 v8, v8, v11
	v_and_b32_e32 v38, v38, v10
	v_lshlrev_b32_e32 v11, 29, v73
	v_mov_b32_e32 v10, v9
	v_cmp_gt_i64_e64 s[34:35], 0, v[10:11]
	v_not_b32_e32 v10, v11
	v_ashrrev_i32_e32 v10, 31, v10
	v_xor_b32_e32 v11, s35, v10
	v_xor_b32_e32 v10, s34, v10
	v_and_b32_e32 v8, v8, v11
	v_and_b32_e32 v38, v38, v10
	v_lshlrev_b32_e32 v11, 28, v73
	v_mov_b32_e32 v10, v9
	v_cmp_gt_i64_e64 s[34:35], 0, v[10:11]
	v_not_b32_e32 v10, v11
	v_ashrrev_i32_e32 v10, 31, v10
	;; [unrolled: 9-line block ×5, first 2 shown]
	v_xor_b32_e32 v11, s35, v10
	v_xor_b32_e32 v10, s34, v10
	v_and_b32_e32 v8, v8, v11
	v_lshlrev_b32_e32 v11, 24, v73
	v_and_b32_e32 v38, v38, v10
	v_mov_b32_e32 v10, v9
	v_not_b32_e32 v9, v11
	v_cmp_gt_i64_e64 s[34:35], 0, v[10:11]
	v_ashrrev_i32_e32 v9, 31, v9
	ds_read_b32 v71, v74 offset:64
	v_xor_b32_e32 v10, s35, v9
	v_xor_b32_e32 v11, s34, v9
	v_and_b32_e32 v9, v8, v10
	v_and_b32_e32 v8, v38, v11
	v_mbcnt_lo_u32_b32 v10, v8, 0
	v_mbcnt_hi_u32_b32 v73, v9, v10
	v_cmp_eq_u32_e64 s[34:35], 0, v73
	v_cmp_ne_u64_e64 s[36:37], 0, v[8:9]
	s_and_b64 s[36:37], s[36:37], s[34:35]
	; wave barrier
	s_and_saveexec_b64 s[34:35], s[36:37]
	s_cbranch_execz .LBB1447_65
; %bb.64:
	v_bcnt_u32_b32 v8, v8, 0
	v_bcnt_u32_b32 v8, v9, v8
	s_waitcnt lgkmcnt(0)
	v_add_u32_e32 v8, v71, v8
	ds_write_b32 v74, v8 offset:64
.LBB1447_65:
	s_or_b64 exec, exec, s[34:35]
	; wave barrier
	s_waitcnt lgkmcnt(0)
	s_barrier
	ds_read2_b32 v[10:11], v13 offset0:16 offset1:17
	ds_read2_b32 v[8:9], v13 offset0:18 offset1:19
	ds_read_b32 v38, v13 offset:80
	v_cmp_lt_u32_e64 s[44:45], 31, v12
	s_waitcnt lgkmcnt(1)
	v_add3_u32 v75, v11, v10, v8
	s_waitcnt lgkmcnt(0)
	v_add3_u32 v38, v75, v9, v38
	v_and_b32_e32 v75, 15, v12
	v_cmp_eq_u32_e64 s[34:35], 0, v75
	v_mov_b32_dpp v76, v38 row_shr:1 row_mask:0xf bank_mask:0xf
	v_cmp_lt_u32_e64 s[36:37], 1, v75
	v_cndmask_b32_e64 v76, v76, 0, s[34:35]
	v_add_u32_e32 v38, v76, v38
	v_cmp_lt_u32_e64 s[38:39], 3, v75
	v_cmp_lt_u32_e64 s[40:41], 7, v75
	v_mov_b32_dpp v76, v38 row_shr:2 row_mask:0xf bank_mask:0xf
	v_cndmask_b32_e64 v76, 0, v76, s[36:37]
	v_add_u32_e32 v38, v38, v76
	s_nop 1
	v_mov_b32_dpp v76, v38 row_shr:4 row_mask:0xf bank_mask:0xf
	v_cndmask_b32_e64 v76, 0, v76, s[38:39]
	v_add_u32_e32 v38, v38, v76
	s_nop 1
	v_mov_b32_dpp v76, v38 row_shr:8 row_mask:0xf bank_mask:0xf
	v_cndmask_b32_e64 v75, 0, v76, s[40:41]
	v_add_u32_e32 v38, v38, v75
	v_bfe_i32 v76, v12, 4, 1
	s_nop 0
	v_mov_b32_dpp v75, v38 row_bcast:15 row_mask:0xf bank_mask:0xf
	v_and_b32_e32 v75, v76, v75
	v_add_u32_e32 v38, v38, v75
	v_lshrrev_b32_e32 v76, 6, v2
	s_nop 0
	v_mov_b32_dpp v75, v38 row_bcast:31 row_mask:0xf bank_mask:0xf
	v_cndmask_b32_e64 v75, 0, v75, s[44:45]
	v_add_u32_e32 v75, v38, v75
	v_and_b32_e32 v38, 63, v2
	v_cmp_eq_u32_e64 s[44:45], 63, v38
	s_and_saveexec_b64 s[46:47], s[44:45]
; %bb.66:
	v_lshlrev_b32_e32 v38, 2, v76
	ds_write_b32 v38, v75
; %bb.67:
	s_or_b64 exec, exec, s[46:47]
	v_cmp_gt_u32_e64 s[44:45], 16, v2
	v_lshlrev_b32_e32 v38, 2, v2
	s_waitcnt lgkmcnt(0)
	s_barrier
	s_and_saveexec_b64 s[46:47], s[44:45]
	s_cbranch_execz .LBB1447_69
; %bb.68:
	ds_read_b32 v77, v38
	s_waitcnt lgkmcnt(0)
	s_nop 0
	v_mov_b32_dpp v78, v77 row_shr:1 row_mask:0xf bank_mask:0xf
	v_cndmask_b32_e64 v78, v78, 0, s[34:35]
	v_add_u32_e32 v77, v78, v77
	s_nop 1
	v_mov_b32_dpp v78, v77 row_shr:2 row_mask:0xf bank_mask:0xf
	v_cndmask_b32_e64 v78, 0, v78, s[36:37]
	v_add_u32_e32 v77, v77, v78
	;; [unrolled: 4-line block ×4, first 2 shown]
	ds_write_b32 v38, v77
.LBB1447_69:
	s_or_b64 exec, exec, s[46:47]
	v_cmp_lt_u32_e64 s[34:35], 63, v2
	v_mov_b32_e32 v77, 0
	s_waitcnt lgkmcnt(0)
	s_barrier
	s_and_saveexec_b64 s[36:37], s[34:35]
; %bb.70:
	v_lshl_add_u32 v76, v76, 2, -4
	ds_read_b32 v77, v76
; %bb.71:
	s_or_b64 exec, exec, s[36:37]
	v_subrev_co_u32_e64 v76, s[34:35], 1, v12
	v_and_b32_e32 v78, 64, v12
	v_cmp_lt_i32_e64 s[36:37], v76, v78
	s_waitcnt lgkmcnt(0)
	v_add_u32_e32 v75, v77, v75
	s_movk_i32 s38, 0x100
	v_cndmask_b32_e64 v12, v76, v12, s[36:37]
	v_lshlrev_b32_e32 v12, 2, v12
	ds_bpermute_b32 v12, v12, v75
	v_cmp_gt_u32_e64 s[36:37], s38, v2
	s_waitcnt lgkmcnt(0)
	v_cndmask_b32_e64 v12, v12, v77, s[34:35]
	v_cmp_ne_u32_e64 s[34:35], 0, v2
	s_nop 1
	v_cndmask_b32_e64 v12, 0, v12, s[34:35]
	v_add_u32_e32 v10, v12, v10
	v_add_u32_e32 v11, v10, v11
	;; [unrolled: 1-line block ×4, first 2 shown]
	ds_write2_b32 v13, v12, v10 offset0:16 offset1:17
	ds_write2_b32 v13, v11, v8 offset0:18 offset1:19
	ds_write_b32 v13, v9 offset:80
	s_waitcnt lgkmcnt(0)
	s_barrier
	ds_read_b32 v84, v31 offset:64
	ds_read_b32 v75, v33 offset:64
	;; [unrolled: 1-line block ×16, first 2 shown]
	s_movk_i32 s34, 0xff
	v_cmp_lt_u32_e64 s[34:35], s34, v2
                                        ; implicit-def: $vgpr31
                                        ; implicit-def: $vgpr33
	s_and_saveexec_b64 s[40:41], s[36:37]
	s_cbranch_execz .LBB1447_75
; %bb.72:
	v_mul_u32_u24_e32 v8, 0x44, v2
	ds_read_b32 v31, v8 offset:64
	v_add_u32_e32 v9, 1, v2
	v_cmp_ne_u32_e64 s[38:39], s38, v9
	v_mov_b32_e32 v8, 0x4000
	s_and_saveexec_b64 s[44:45], s[38:39]
; %bb.73:
	v_mul_u32_u24_e32 v8, 0x44, v9
	ds_read_b32 v8, v8 offset:64
; %bb.74:
	s_or_b64 exec, exec, s[44:45]
	s_waitcnt lgkmcnt(0)
	v_sub_u32_e32 v33, v8, v31
.LBB1447_75:
	s_or_b64 exec, exec, s[40:41]
	v_mov_b32_e32 v9, 0
	s_waitcnt lgkmcnt(0)
	s_barrier
	s_and_saveexec_b64 s[38:39], s[36:37]
	s_cbranch_execz .LBB1447_85
; %bb.76:
	v_lshl_add_u32 v8, s2, 8, v2
	v_lshl_add_u64 v[10:11], v[8:9], 2, s[50:51]
	v_or_b32_e32 v8, 2.0, v33
	s_mov_b64 s[40:41], 0
	s_brev_b32 s48, -4
	s_mov_b32 s49, s2
	v_mov_b32_e32 v48, 0
	global_store_dword v[10:11], v8, off sc1
                                        ; implicit-def: $sgpr36_sgpr37
	s_branch .LBB1447_79
.LBB1447_77:                            ;   in Loop: Header=BB1447_79 Depth=1
	s_or_b64 exec, exec, s[46:47]
.LBB1447_78:                            ;   in Loop: Header=BB1447_79 Depth=1
	s_or_b64 exec, exec, s[44:45]
	v_and_b32_e32 v12, 0x3fffffff, v8
	v_add_u32_e32 v48, v12, v48
	v_cmp_gt_i32_e64 s[36:37], -2.0, v8
	s_and_b64 s[44:45], exec, s[36:37]
	s_or_b64 s[40:41], s[44:45], s[40:41]
	s_andn2_b64 exec, exec, s[40:41]
	s_cbranch_execz .LBB1447_84
.LBB1447_79:                            ; =>This Loop Header: Depth=1
                                        ;     Child Loop BB1447_82 Depth 2
	s_or_b64 s[36:37], s[36:37], exec
	s_cmp_eq_u32 s49, 0
	s_cbranch_scc1 .LBB1447_83
; %bb.80:                               ;   in Loop: Header=BB1447_79 Depth=1
	s_add_i32 s49, s49, -1
	v_lshl_or_b32 v8, s49, 8, v2
	v_lshl_add_u64 v[12:13], v[8:9], 2, s[50:51]
	global_load_dword v8, v[12:13], off sc1
	s_waitcnt vmcnt(0)
	v_cmp_gt_u32_e64 s[36:37], 2.0, v8
	s_and_saveexec_b64 s[44:45], s[36:37]
	s_cbranch_execz .LBB1447_78
; %bb.81:                               ;   in Loop: Header=BB1447_79 Depth=1
	s_mov_b64 s[46:47], 0
.LBB1447_82:                            ;   Parent Loop BB1447_79 Depth=1
                                        ; =>  This Inner Loop Header: Depth=2
	global_load_dword v8, v[12:13], off sc1
	s_waitcnt vmcnt(0)
	v_cmp_lt_u32_e64 s[36:37], s48, v8
	s_or_b64 s[46:47], s[36:37], s[46:47]
	s_andn2_b64 exec, exec, s[46:47]
	s_cbranch_execnz .LBB1447_82
	s_branch .LBB1447_77
.LBB1447_83:                            ;   in Loop: Header=BB1447_79 Depth=1
                                        ; implicit-def: $sgpr49
	s_and_b64 s[44:45], exec, s[36:37]
	s_or_b64 s[40:41], s[44:45], s[40:41]
	s_andn2_b64 exec, exec, s[40:41]
	s_cbranch_execnz .LBB1447_79
.LBB1447_84:
	s_or_b64 exec, exec, s[40:41]
	v_add_u32_e32 v8, v48, v33
	v_or_b32_e32 v8, 0x80000000, v8
	global_store_dword v[10:11], v8, off sc1
	global_load_dword v8, v38, s[60:61]
	v_sub_u32_e32 v9, v48, v31
	s_waitcnt vmcnt(0)
	v_add_u32_e32 v8, v9, v8
	ds_write_b32 v38, v8
.LBB1447_85:
	s_or_b64 exec, exec, s[38:39]
	v_add_u32_e32 v10, v84, v28
	v_add3_u32 v8, v29, v27, v75
	v_add3_u32 v9, v32, v30, v76
	v_add3_u32 v60, v35, v34, v77
	v_add3_u32 v63, v39, v37, v78
	v_add3_u32 v66, v42, v41, v79
	v_add3_u32 v69, v46, v44, v80
	v_add3_u32 v72, v49, v47, v81
	v_add3_u32 v74, v52, v50, v82
	v_add3_u32 v84, v55, v53, v83
	v_add3_u32 v54, v58, v56, v57
	v_add3_u32 v48, v61, v59, v51
	v_add3_u32 v85, v64, v62, v45
	v_add3_u32 v86, v67, v65, v40
	v_add3_u32 v13, v70, v68, v36
	v_add3_u32 v11, v73, v71, v43
	v_mov_b32_e32 v87, 0x400
	s_movk_i32 s40, 0x400
	v_lshl_add_u32 v11, v11, 2, v87
	v_add3_u32 v12, v73, v43, v71
	v_lshl_add_u32 v13, v13, 2, v87
	v_add3_u32 v28, v70, v36, v68
	;; [unrolled: 2-line block ×15, first 2 shown]
	v_lshl_add_u32 v29, v10, 2, v87
	s_mov_b32 s41, 0
	s_mov_b32 s44, 0
	s_movk_i32 s45, 0x1000
	v_mov_b32_e32 v9, 0
	s_movk_i32 s46, 0x800
	s_movk_i32 s47, 0xc00
	v_mov_b32_e32 v58, v2
	s_mov_b32 s48, 0
	s_branch .LBB1447_87
.LBB1447_86:                            ;   in Loop: Header=BB1447_87 Depth=1
	s_or_b64 exec, exec, s[38:39]
	s_addk_i32 s48, 0xc000
	s_add_i32 s41, s41, 16
	s_addk_i32 s44, 0xf000
	s_cmp_eq_u32 s48, 0xffff0000
	v_add_u32_e32 v58, 0x1000, v58
	s_barrier
	s_cbranch_scc1 .LBB1447_127
.LBB1447_87:                            ; =>This Inner Loop Header: Depth=1
	v_add_u32_e32 v8, s44, v10
	v_cmp_gt_u32_e64 s[36:37], s45, v8
	s_and_saveexec_b64 s[38:39], s[36:37]
; %bb.88:                               ;   in Loop: Header=BB1447_87 Depth=1
	v_add_u32_e32 v8, s48, v29
	ds_write_b32 v8, v5
; %bb.89:                               ;   in Loop: Header=BB1447_87 Depth=1
	s_or_b64 exec, exec, s[38:39]
	v_add_u32_e32 v8, s44, v27
	v_cmp_gt_u32_e64 s[36:37], s45, v8
	s_and_saveexec_b64 s[38:39], s[36:37]
; %bb.90:                               ;   in Loop: Header=BB1447_87 Depth=1
	v_add_u32_e32 v8, s48, v32
	ds_write_b32 v8, v3
; %bb.91:                               ;   in Loop: Header=BB1447_87 Depth=1
	s_or_b64 exec, exec, s[38:39]
	;; [unrolled: 8-line block ×6, first 2 shown]
	v_add_u32_e32 v8, s44, v44
	v_cmp_gt_u32_e64 s[36:37], s45, v8
	s_and_saveexec_b64 s[38:39], s[36:37]
; %bb.100:                              ;   in Loop: Header=BB1447_87 Depth=1
	v_add_u32_e32 v8, s48, v49
	ds_write_b32 v8, v18
; %bb.101:                              ;   in Loop: Header=BB1447_87 Depth=1
	s_or_b64 exec, exec, s[38:39]
	v_add_u32_e32 v8, s44, v47
	v_cmp_gt_u32_e64 s[36:37], s45, v8
	s_and_saveexec_b64 s[38:39], s[36:37]
; %bb.102:                              ;   in Loop: Header=BB1447_87 Depth=1
	v_add_u32_e32 v8, s48, v52
	ds_write_b32 v8, v17
; %bb.103:                              ;   in Loop: Header=BB1447_87 Depth=1
	s_or_b64 exec, exec, s[38:39]
	;; [unrolled: 8-line block ×10, first 2 shown]
	v_cmp_gt_u32_e64 s[36:37], s3, v58
	s_waitcnt lgkmcnt(0)
	s_barrier
	s_and_saveexec_b64 s[38:39], s[36:37]
	s_cbranch_execz .LBB1447_121
; %bb.120:                              ;   in Loop: Header=BB1447_87 Depth=1
	ds_read_b32 v8, v38 offset:1024
	s_waitcnt lgkmcnt(0)
	v_lshrrev_b32_e32 v59, s64, v8
	v_and_b32_e32 v59, s68, v59
	v_lshlrev_b32_e32 v60, 2, v59
	ds_read_b32 v60, v60
	v_xor_b32_e32 v62, 0x80000000, v8
	s_waitcnt lgkmcnt(0)
	v_add_u32_e32 v8, v58, v60
	v_lshl_add_u64 v[60:61], v[8:9], 2, s[54:55]
	global_store_dword v[60:61], v62, off
	scratch_store_dword off, v59, s41
.LBB1447_121:                           ;   in Loop: Header=BB1447_87 Depth=1
	s_or_b64 exec, exec, s[38:39]
	v_add_u32_e32 v8, 0x400, v58
	v_cmp_gt_u32_e64 s[36:37], s3, v8
	s_and_saveexec_b64 s[38:39], s[36:37]
	s_cbranch_execz .LBB1447_123
; %bb.122:                              ;   in Loop: Header=BB1447_87 Depth=1
	ds_read_b32 v8, v38 offset:5120
	s_add_i32 s36, s41, 4
	s_waitcnt lgkmcnt(0)
	v_lshrrev_b32_e32 v59, s64, v8
	v_and_b32_e32 v59, s68, v59
	v_lshlrev_b32_e32 v60, 2, v59
	ds_read_b32 v60, v60
	v_xor_b32_e32 v62, 0x80000000, v8
	s_waitcnt lgkmcnt(0)
	v_add3_u32 v8, v58, v60, s40
	v_lshl_add_u64 v[60:61], v[8:9], 2, s[54:55]
	global_store_dword v[60:61], v62, off
	scratch_store_dword off, v59, s36
.LBB1447_123:                           ;   in Loop: Header=BB1447_87 Depth=1
	s_or_b64 exec, exec, s[38:39]
	v_add_u32_e32 v8, 0x800, v58
	v_cmp_gt_u32_e64 s[36:37], s3, v8
	s_and_saveexec_b64 s[38:39], s[36:37]
	s_cbranch_execz .LBB1447_125
; %bb.124:                              ;   in Loop: Header=BB1447_87 Depth=1
	ds_read_b32 v8, v38 offset:9216
	s_add_i32 s36, s41, 8
	s_waitcnt lgkmcnt(0)
	v_lshrrev_b32_e32 v59, s64, v8
	v_and_b32_e32 v59, s68, v59
	v_lshlrev_b32_e32 v60, 2, v59
	ds_read_b32 v60, v60
	v_xor_b32_e32 v62, 0x80000000, v8
	s_waitcnt lgkmcnt(0)
	v_add3_u32 v8, v58, v60, s46
	v_lshl_add_u64 v[60:61], v[8:9], 2, s[54:55]
	global_store_dword v[60:61], v62, off
	scratch_store_dword off, v59, s36
.LBB1447_125:                           ;   in Loop: Header=BB1447_87 Depth=1
	s_or_b64 exec, exec, s[38:39]
	v_add_u32_e32 v8, 0xc00, v58
	v_cmp_gt_u32_e64 s[36:37], s3, v8
	s_and_saveexec_b64 s[38:39], s[36:37]
	s_cbranch_execz .LBB1447_86
; %bb.126:                              ;   in Loop: Header=BB1447_87 Depth=1
	ds_read_b32 v8, v38 offset:13312
	s_add_i32 s36, s41, 12
	s_waitcnt lgkmcnt(0)
	v_lshrrev_b32_e32 v59, s64, v8
	v_and_b32_e32 v59, s68, v59
	v_lshlrev_b32_e32 v60, 2, v59
	ds_read_b32 v60, v60
	v_xor_b32_e32 v62, 0x80000000, v8
	s_waitcnt lgkmcnt(0)
	v_add3_u32 v8, v58, v60, s47
	v_lshl_add_u64 v[60:61], v[8:9], 2, s[54:55]
	global_store_dword v[60:61], v62, off
	scratch_store_dword off, v59, s36
	s_branch .LBB1447_86
.LBB1447_127:
	s_add_u32 s36, s56, s66
	s_addc_u32 s37, s57, s67
	v_mov_b32_e32 v5, 0
	v_lshl_add_u64 v[8:9], s[36:37], 0, v[4:5]
	v_mov_b32_e32 v7, v5
	v_lshl_add_u64 v[4:5], v[8:9], 0, v[6:7]
                                        ; implicit-def: $vgpr3
	s_and_saveexec_b64 s[36:37], vcc
	s_cbranch_execz .LBB1447_143
; %bb.128:
	global_load_dword v3, v[4:5], off
	s_or_b64 exec, exec, s[36:37]
                                        ; implicit-def: $vgpr6
	s_and_saveexec_b64 s[36:37], s[42:43]
	s_cbranch_execnz .LBB1447_144
.LBB1447_129:
	s_or_b64 exec, exec, s[36:37]
                                        ; implicit-def: $vgpr7
	s_and_saveexec_b64 s[36:37], s[4:5]
	s_cbranch_execz .LBB1447_145
.LBB1447_130:
	global_load_dword v7, v[4:5], off offset:512
	s_or_b64 exec, exec, s[36:37]
                                        ; implicit-def: $vgpr8
	s_and_saveexec_b64 s[4:5], s[6:7]
	s_cbranch_execnz .LBB1447_146
.LBB1447_131:
	s_or_b64 exec, exec, s[4:5]
                                        ; implicit-def: $vgpr9
	s_and_saveexec_b64 s[4:5], s[8:9]
	s_cbranch_execz .LBB1447_147
.LBB1447_132:
	global_load_dword v9, v[4:5], off offset:1024
	s_or_b64 exec, exec, s[4:5]
                                        ; implicit-def: $vgpr14
	s_and_saveexec_b64 s[4:5], s[10:11]
	s_cbranch_execnz .LBB1447_148
.LBB1447_133:
	s_or_b64 exec, exec, s[4:5]
                                        ; implicit-def: $vgpr15
	s_and_saveexec_b64 s[4:5], s[12:13]
	s_cbranch_execz .LBB1447_149
.LBB1447_134:
	global_load_dword v15, v[4:5], off offset:1536
	s_or_b64 exec, exec, s[4:5]
                                        ; implicit-def: $vgpr16
	s_and_saveexec_b64 s[4:5], s[14:15]
	s_cbranch_execnz .LBB1447_150
.LBB1447_135:
	s_or_b64 exec, exec, s[4:5]
                                        ; implicit-def: $vgpr17
	s_and_saveexec_b64 s[4:5], s[16:17]
	s_cbranch_execz .LBB1447_151
.LBB1447_136:
	global_load_dword v17, v[4:5], off offset:2048
	s_or_b64 exec, exec, s[4:5]
                                        ; implicit-def: $vgpr18
	s_and_saveexec_b64 s[4:5], s[18:19]
	s_cbranch_execnz .LBB1447_152
.LBB1447_137:
	s_or_b64 exec, exec, s[4:5]
                                        ; implicit-def: $vgpr19
	s_and_saveexec_b64 s[4:5], s[20:21]
	s_cbranch_execz .LBB1447_153
.LBB1447_138:
	global_load_dword v19, v[4:5], off offset:2560
	s_or_b64 exec, exec, s[4:5]
                                        ; implicit-def: $vgpr20
	s_and_saveexec_b64 s[4:5], s[22:23]
	s_cbranch_execnz .LBB1447_154
.LBB1447_139:
	s_or_b64 exec, exec, s[4:5]
                                        ; implicit-def: $vgpr21
	s_and_saveexec_b64 s[4:5], s[24:25]
	s_cbranch_execz .LBB1447_155
.LBB1447_140:
	global_load_dword v21, v[4:5], off offset:3072
	s_or_b64 exec, exec, s[4:5]
                                        ; implicit-def: $vgpr22
	s_and_saveexec_b64 s[4:5], s[26:27]
	s_cbranch_execnz .LBB1447_156
.LBB1447_141:
	s_or_b64 exec, exec, s[4:5]
                                        ; implicit-def: $vgpr23
	s_and_saveexec_b64 s[4:5], s[28:29]
	s_cbranch_execz .LBB1447_157
.LBB1447_142:
	global_load_dword v23, v[4:5], off offset:3584
	s_or_b64 exec, exec, s[4:5]
                                        ; implicit-def: $vgpr24
	s_and_saveexec_b64 s[4:5], s[30:31]
	s_cbranch_execnz .LBB1447_158
	s_branch .LBB1447_159
.LBB1447_143:
	s_or_b64 exec, exec, s[36:37]
                                        ; implicit-def: $vgpr6
	s_and_saveexec_b64 s[36:37], s[42:43]
	s_cbranch_execz .LBB1447_129
.LBB1447_144:
	global_load_dword v6, v[4:5], off offset:256
	s_or_b64 exec, exec, s[36:37]
                                        ; implicit-def: $vgpr7
	s_and_saveexec_b64 s[36:37], s[4:5]
	s_cbranch_execnz .LBB1447_130
.LBB1447_145:
	s_or_b64 exec, exec, s[36:37]
                                        ; implicit-def: $vgpr8
	s_and_saveexec_b64 s[4:5], s[6:7]
	s_cbranch_execz .LBB1447_131
.LBB1447_146:
	global_load_dword v8, v[4:5], off offset:768
	s_or_b64 exec, exec, s[4:5]
                                        ; implicit-def: $vgpr9
	s_and_saveexec_b64 s[4:5], s[8:9]
	s_cbranch_execnz .LBB1447_132
.LBB1447_147:
	s_or_b64 exec, exec, s[4:5]
                                        ; implicit-def: $vgpr14
	s_and_saveexec_b64 s[4:5], s[10:11]
	s_cbranch_execz .LBB1447_133
.LBB1447_148:
	global_load_dword v14, v[4:5], off offset:1280
	s_or_b64 exec, exec, s[4:5]
                                        ; implicit-def: $vgpr15
	s_and_saveexec_b64 s[4:5], s[12:13]
	s_cbranch_execnz .LBB1447_134
.LBB1447_149:
	s_or_b64 exec, exec, s[4:5]
                                        ; implicit-def: $vgpr16
	s_and_saveexec_b64 s[4:5], s[14:15]
	s_cbranch_execz .LBB1447_135
.LBB1447_150:
	global_load_dword v16, v[4:5], off offset:1792
	s_or_b64 exec, exec, s[4:5]
                                        ; implicit-def: $vgpr17
	s_and_saveexec_b64 s[4:5], s[16:17]
	s_cbranch_execnz .LBB1447_136
.LBB1447_151:
	s_or_b64 exec, exec, s[4:5]
                                        ; implicit-def: $vgpr18
	s_and_saveexec_b64 s[4:5], s[18:19]
	s_cbranch_execz .LBB1447_137
.LBB1447_152:
	global_load_dword v18, v[4:5], off offset:2304
	s_or_b64 exec, exec, s[4:5]
                                        ; implicit-def: $vgpr19
	s_and_saveexec_b64 s[4:5], s[20:21]
	s_cbranch_execnz .LBB1447_138
.LBB1447_153:
	s_or_b64 exec, exec, s[4:5]
                                        ; implicit-def: $vgpr20
	s_and_saveexec_b64 s[4:5], s[22:23]
	s_cbranch_execz .LBB1447_139
.LBB1447_154:
	global_load_dword v20, v[4:5], off offset:2816
	s_or_b64 exec, exec, s[4:5]
                                        ; implicit-def: $vgpr21
	s_and_saveexec_b64 s[4:5], s[24:25]
	s_cbranch_execnz .LBB1447_140
.LBB1447_155:
	s_or_b64 exec, exec, s[4:5]
                                        ; implicit-def: $vgpr22
	s_and_saveexec_b64 s[4:5], s[26:27]
	s_cbranch_execz .LBB1447_141
.LBB1447_156:
	global_load_dword v22, v[4:5], off offset:3328
	s_or_b64 exec, exec, s[4:5]
                                        ; implicit-def: $vgpr23
	s_and_saveexec_b64 s[4:5], s[28:29]
	s_cbranch_execnz .LBB1447_142
.LBB1447_157:
	s_or_b64 exec, exec, s[4:5]
                                        ; implicit-def: $vgpr24
	s_and_saveexec_b64 s[4:5], s[30:31]
	s_cbranch_execz .LBB1447_159
.LBB1447_158:
	global_load_dword v24, v[4:5], off offset:3840
.LBB1447_159:
	s_or_b64 exec, exec, s[4:5]
	s_mov_b32 s6, 0
	s_mov_b32 s7, 0
	s_movk_i32 s8, 0x1000
	v_mov_b32_e32 v5, 0
	s_movk_i32 s9, 0x400
	s_movk_i32 s10, 0x800
	;; [unrolled: 1-line block ×3, first 2 shown]
	s_mov_b32 s12, 0
	s_branch .LBB1447_161
.LBB1447_160:                           ;   in Loop: Header=BB1447_161 Depth=1
	s_or_b64 exec, exec, s[4:5]
	s_addk_i32 s12, 0xc000
	s_addk_i32 s7, 0xf000
	s_add_i32 s6, s6, 16
	s_cmp_eq_u32 s12, 0xffff0000
	v_add_u32_e32 v2, 0x1000, v2
	s_barrier
	s_cbranch_scc1 .LBB1447_201
.LBB1447_161:                           ; =>This Inner Loop Header: Depth=1
	v_add_u32_e32 v4, s7, v10
	v_cmp_gt_u32_e32 vcc, s8, v4
	s_and_saveexec_b64 s[4:5], vcc
	s_cbranch_execz .LBB1447_163
; %bb.162:                              ;   in Loop: Header=BB1447_161 Depth=1
	v_add_u32_e32 v4, s12, v29
	s_waitcnt vmcnt(0)
	ds_write_b32 v4, v3
.LBB1447_163:                           ;   in Loop: Header=BB1447_161 Depth=1
	s_or_b64 exec, exec, s[4:5]
	v_add_u32_e32 v4, s7, v27
	v_cmp_gt_u32_e32 vcc, s8, v4
	s_and_saveexec_b64 s[4:5], vcc
	s_cbranch_execz .LBB1447_165
; %bb.164:                              ;   in Loop: Header=BB1447_161 Depth=1
	v_add_u32_e32 v4, s12, v32
	s_waitcnt vmcnt(0)
	ds_write_b32 v4, v6
.LBB1447_165:                           ;   in Loop: Header=BB1447_161 Depth=1
	s_or_b64 exec, exec, s[4:5]
	;; [unrolled: 10-line block ×16, first 2 shown]
	v_cmp_gt_u32_e32 vcc, s3, v2
	s_waitcnt lgkmcnt(0)
	s_barrier
	s_and_saveexec_b64 s[4:5], vcc
	s_cbranch_execz .LBB1447_195
; %bb.194:                              ;   in Loop: Header=BB1447_161 Depth=1
	scratch_load_dword v4, off, s6
	s_waitcnt vmcnt(0)
	v_lshlrev_b32_e32 v4, 2, v4
	ds_read_b32 v4, v4
	ds_read_b32 v25, v38 offset:1024
	s_waitcnt lgkmcnt(1)
	v_add_u32_e32 v4, v2, v4
	v_lshl_add_u64 v[58:59], v[4:5], 2, s[58:59]
	s_waitcnt lgkmcnt(0)
	global_store_dword v[58:59], v25, off
.LBB1447_195:                           ;   in Loop: Header=BB1447_161 Depth=1
	s_or_b64 exec, exec, s[4:5]
	v_add_u32_e32 v4, 0x400, v2
	v_cmp_gt_u32_e32 vcc, s3, v4
	s_and_saveexec_b64 s[4:5], vcc
	s_cbranch_execz .LBB1447_197
; %bb.196:                              ;   in Loop: Header=BB1447_161 Depth=1
	s_add_i32 s13, s6, 4
	scratch_load_dword v4, off, s13
	s_waitcnt vmcnt(0)
	v_lshlrev_b32_e32 v4, 2, v4
	ds_read_b32 v4, v4
	ds_read_b32 v25, v38 offset:5120
	s_waitcnt lgkmcnt(1)
	v_add3_u32 v4, v2, v4, s9
	v_lshl_add_u64 v[58:59], v[4:5], 2, s[58:59]
	s_waitcnt lgkmcnt(0)
	global_store_dword v[58:59], v25, off
.LBB1447_197:                           ;   in Loop: Header=BB1447_161 Depth=1
	s_or_b64 exec, exec, s[4:5]
	v_add_u32_e32 v4, 0x800, v2
	v_cmp_gt_u32_e32 vcc, s3, v4
	s_and_saveexec_b64 s[4:5], vcc
	s_cbranch_execz .LBB1447_199
; %bb.198:                              ;   in Loop: Header=BB1447_161 Depth=1
	s_add_i32 s13, s6, 8
	scratch_load_dword v4, off, s13
	s_waitcnt vmcnt(0)
	v_lshlrev_b32_e32 v4, 2, v4
	ds_read_b32 v4, v4
	ds_read_b32 v25, v38 offset:9216
	s_waitcnt lgkmcnt(1)
	v_add3_u32 v4, v2, v4, s10
	v_lshl_add_u64 v[58:59], v[4:5], 2, s[58:59]
	s_waitcnt lgkmcnt(0)
	global_store_dword v[58:59], v25, off
.LBB1447_199:                           ;   in Loop: Header=BB1447_161 Depth=1
	s_or_b64 exec, exec, s[4:5]
	v_add_u32_e32 v4, 0xc00, v2
	v_cmp_gt_u32_e32 vcc, s3, v4
	s_and_saveexec_b64 s[4:5], vcc
	s_cbranch_execz .LBB1447_160
; %bb.200:                              ;   in Loop: Header=BB1447_161 Depth=1
	s_add_i32 s13, s6, 12
	scratch_load_dword v4, off, s13
	s_waitcnt vmcnt(0)
	v_lshlrev_b32_e32 v4, 2, v4
	ds_read_b32 v4, v4
	ds_read_b32 v25, v38 offset:13312
	s_waitcnt lgkmcnt(1)
	v_add3_u32 v4, v2, v4, s11
	v_lshl_add_u64 v[58:59], v[4:5], 2, s[58:59]
	s_waitcnt lgkmcnt(0)
	global_store_dword v[58:59], v25, off
	s_branch .LBB1447_160
.LBB1447_201:
	s_add_i32 s33, s33, -1
	s_cmp_eq_u32 s2, s33
	s_cselect_b64 s[4:5], -1, 0
	s_xor_b64 s[6:7], s[34:35], -1
	s_and_b64 s[6:7], s[6:7], s[4:5]
	s_and_saveexec_b64 s[4:5], s[6:7]
	s_cbranch_execz .LBB1447_203
; %bb.202:
	ds_read_b32 v2, v38
	s_waitcnt lgkmcnt(0)
	v_add3_u32 v2, v31, v33, v2
	global_store_dword v38, v2, s[62:63]
.LBB1447_203:
	s_or_b64 exec, exec, s[4:5]
	s_mov_b64 s[4:5], 0
.LBB1447_204:
	s_and_b64 vcc, exec, s[4:5]
	s_cbranch_vccz .LBB1447_327
; %bb.205:
	v_and_b32_e32 v2, 0x3ff, v0
	s_lshl_b32 s4, s2, 14
	s_mov_b32 s5, 0
	s_lshl_b64 s[10:11], s[4:5], 2
	v_mbcnt_hi_u32_b32 v10, -1, v1
	v_lshlrev_b32_e32 v1, 4, v2
	s_add_u32 s4, s52, s10
	s_waitcnt vmcnt(0)
	v_and_b32_e32 v3, 63, v10
	v_and_b32_e32 v6, 0x3c00, v1
	v_mov_b32_e32 v1, 0
	s_addc_u32 s5, s53, s11
	v_lshlrev_b32_e32 v4, 2, v3
	v_mov_b32_e32 v5, v1
	v_lshl_add_u64 v[8:9], s[4:5], 0, v[4:5]
	s_load_dword s3, s[0:1], 0x58
	s_load_dword s4, s[0:1], 0x64
	v_lshlrev_b32_e32 v6, 2, v6
	v_mov_b32_e32 v7, v1
	s_add_u32 s0, s0, 0x58
	v_lshl_add_u64 v[8:9], v[8:9], 0, v[6:7]
	s_addc_u32 s1, s1, 0
	s_waitcnt lgkmcnt(0)
	s_lshr_b32 s4, s4, 16
	global_load_dword v3, v[8:9], off
	s_cmp_lt_u32 s2, s3
	s_cselect_b32 s5, 12, 18
	s_add_u32 s0, s0, s5
	s_addc_u32 s1, s1, 0
	global_load_ushort v13, v1, s[0:1]
	v_mul_u32_u24_e32 v11, 20, v2
	ds_write2_b32 v11, v1, v1 offset0:16 offset1:17
	ds_write2_b32 v11, v1, v1 offset0:18 offset1:19
	ds_write_b32 v11, v1 offset:80
	global_load_dword v5, v[8:9], off offset:256
	global_load_dword v7, v[8:9], off offset:512
	;; [unrolled: 1-line block ×15, first 2 shown]
	v_bfe_u32 v14, v0, 10, 10
	v_bfe_u32 v0, v0, 20, 10
	v_mad_u32_u24 v8, v0, s4, v14
	s_lshl_b32 s0, -1, s65
	v_mov_b32_e32 v16, v1
	s_not_b32 s14, s0
	v_mov_b32_e32 v20, v1
	v_mov_b32_e32 v26, v1
	s_movk_i32 s8, 0x44
	s_waitcnt lgkmcnt(0)
	s_barrier
	s_waitcnt vmcnt(16)
	; wave barrier
	v_xor_b32_e32 v3, 0x80000000, v3
	v_lshrrev_b32_e32 v0, s64, v3
	v_bitop3_b32 v14, v0, s0, v0 bitop3:0x30
	v_and_b32_e32 v0, 1, v14
	v_lshlrev_b32_e32 v17, 30, v14
	v_lshlrev_b32_e32 v21, 29, v14
	s_waitcnt vmcnt(15)
	v_mad_u64_u32 v[8:9], s[0:1], v8, v13, v[2:3]
	v_lshl_add_u64 v[32:33], v[0:1], 0, -1
	v_cmp_ne_u32_e32 vcc, 0, v0
	v_not_b32_e32 v0, v17
	v_lshlrev_b32_e32 v27, 28, v14
	v_cmp_gt_i64_e64 s[0:1], 0, v[16:17]
	v_not_b32_e32 v9, v21
	v_lshrrev_b32_e32 v28, 6, v8
	v_xor_b32_e32 v8, vcc_hi, v33
	v_xor_b32_e32 v16, vcc_lo, v32
	v_ashrrev_i32_e32 v0, 31, v0
	v_cmp_gt_i64_e64 s[4:5], 0, v[20:21]
	v_not_b32_e32 v13, v27
	v_ashrrev_i32_e32 v9, 31, v9
	v_and_b32_e32 v8, exec_hi, v8
	v_and_b32_e32 v16, exec_lo, v16
	v_xor_b32_e32 v17, s1, v0
	v_xor_b32_e32 v0, s0, v0
	v_cmp_gt_i64_e64 s[6:7], 0, v[26:27]
	v_ashrrev_i32_e32 v13, 31, v13
	v_xor_b32_e32 v20, s5, v9
	v_xor_b32_e32 v9, s4, v9
	v_and_b32_e32 v8, v8, v17
	v_and_b32_e32 v0, v16, v0
	v_xor_b32_e32 v21, s7, v13
	v_and_b32_e32 v8, v8, v20
	v_and_b32_e32 v0, v0, v9
	;; [unrolled: 3-line block ×3, first 2 shown]
	v_lshlrev_b32_e32 v9, 27, v14
	v_mov_b32_e32 v8, v1
	v_cmp_gt_i64_e32 vcc, 0, v[8:9]
	v_not_b32_e32 v8, v9
	v_ashrrev_i32_e32 v8, 31, v8
	v_xor_b32_e32 v9, vcc_hi, v8
	v_xor_b32_e32 v8, vcc_lo, v8
	v_and_b32_e32 v13, v13, v9
	v_and_b32_e32 v0, v0, v8
	v_lshlrev_b32_e32 v9, 26, v14
	v_mov_b32_e32 v8, v1
	v_cmp_gt_i64_e32 vcc, 0, v[8:9]
	v_not_b32_e32 v8, v9
	v_ashrrev_i32_e32 v8, 31, v8
	v_xor_b32_e32 v9, vcc_hi, v8
	v_xor_b32_e32 v8, vcc_lo, v8
	v_and_b32_e32 v13, v13, v9
	v_and_b32_e32 v0, v0, v8
	;; [unrolled: 9-line block ×4, first 2 shown]
	v_mbcnt_lo_u32_b32 v0, v8, 0
	v_mul_lo_u32 v18, v14, s8
	v_mbcnt_hi_u32_b32 v14, v9, v0
	v_cmp_eq_u32_e32 vcc, 0, v14
	v_cmp_ne_u64_e64 s[0:1], 0, v[8:9]
	v_lshl_add_u32 v18, v28, 2, v18
	s_and_b64 s[4:5], s[0:1], vcc
	s_and_saveexec_b64 s[0:1], s[4:5]
; %bb.206:
	v_bcnt_u32_b32 v0, v8, 0
	v_bcnt_u32_b32 v0, v9, v0
	ds_write_b32 v18, v0 offset:64
; %bb.207:
	s_or_b64 exec, exec, s[0:1]
	s_waitcnt vmcnt(14)
	v_xor_b32_e32 v5, 0x80000000, v5
	v_lshrrev_b32_e32 v0, s64, v5
	v_and_b32_e32 v16, s14, v0
	v_mul_lo_u32 v0, v16, s8
	v_lshl_add_u32 v21, v28, 2, v0
	v_and_b32_e32 v0, 1, v16
	v_lshl_add_u64 v[8:9], v[0:1], 0, -1
	v_cmp_ne_u32_e32 vcc, 0, v0
	; wave barrier
	s_nop 1
	v_xor_b32_e32 v8, vcc_lo, v8
	v_xor_b32_e32 v0, vcc_hi, v9
	v_and_b32_e32 v17, exec_lo, v8
	v_lshlrev_b32_e32 v9, 30, v16
	v_mov_b32_e32 v8, v1
	v_cmp_gt_i64_e32 vcc, 0, v[8:9]
	v_not_b32_e32 v8, v9
	v_ashrrev_i32_e32 v8, 31, v8
	v_and_b32_e32 v0, exec_hi, v0
	v_xor_b32_e32 v9, vcc_hi, v8
	v_xor_b32_e32 v8, vcc_lo, v8
	v_and_b32_e32 v0, v0, v9
	v_and_b32_e32 v17, v17, v8
	v_lshlrev_b32_e32 v9, 29, v16
	v_mov_b32_e32 v8, v1
	v_cmp_gt_i64_e32 vcc, 0, v[8:9]
	v_not_b32_e32 v8, v9
	v_ashrrev_i32_e32 v8, 31, v8
	v_xor_b32_e32 v9, vcc_hi, v8
	v_xor_b32_e32 v8, vcc_lo, v8
	v_and_b32_e32 v0, v0, v9
	v_and_b32_e32 v17, v17, v8
	v_lshlrev_b32_e32 v9, 28, v16
	v_mov_b32_e32 v8, v1
	v_cmp_gt_i64_e32 vcc, 0, v[8:9]
	v_not_b32_e32 v8, v9
	v_ashrrev_i32_e32 v8, 31, v8
	;; [unrolled: 9-line block ×5, first 2 shown]
	v_xor_b32_e32 v9, vcc_hi, v8
	v_xor_b32_e32 v8, vcc_lo, v8
	v_and_b32_e32 v0, v0, v9
	v_lshlrev_b32_e32 v9, 24, v16
	v_and_b32_e32 v17, v17, v8
	v_mov_b32_e32 v8, v1
	v_not_b32_e32 v1, v9
	v_cmp_gt_i64_e32 vcc, 0, v[8:9]
	v_ashrrev_i32_e32 v1, 31, v1
	ds_read_b32 v13, v21 offset:64
	v_xor_b32_e32 v8, vcc_hi, v1
	v_xor_b32_e32 v9, vcc_lo, v1
	v_and_b32_e32 v1, v0, v8
	v_and_b32_e32 v0, v17, v9
	v_mbcnt_lo_u32_b32 v8, v0, 0
	v_mbcnt_hi_u32_b32 v16, v1, v8
	v_cmp_eq_u32_e32 vcc, 0, v16
	v_cmp_ne_u64_e64 s[0:1], 0, v[0:1]
	s_and_b64 s[4:5], s[0:1], vcc
	; wave barrier
	s_and_saveexec_b64 s[0:1], s[4:5]
	s_cbranch_execz .LBB1447_209
; %bb.208:
	v_bcnt_u32_b32 v0, v0, 0
	v_bcnt_u32_b32 v0, v1, v0
	s_waitcnt lgkmcnt(0)
	v_add_u32_e32 v0, v13, v0
	ds_write_b32 v21, v0 offset:64
.LBB1447_209:
	s_or_b64 exec, exec, s[0:1]
	s_waitcnt vmcnt(13)
	v_xor_b32_e32 v7, 0x80000000, v7
	v_lshrrev_b32_e32 v0, s64, v7
	v_and_b32_e32 v20, s14, v0
	s_movk_i32 s4, 0x44
	v_mul_lo_u32 v0, v20, s4
	v_lshl_add_u32 v26, v28, 2, v0
	v_and_b32_e32 v0, 1, v20
	v_mov_b32_e32 v1, 0
	v_lshl_add_u64 v[8:9], v[0:1], 0, -1
	v_cmp_ne_u32_e32 vcc, 0, v0
	; wave barrier
	s_nop 1
	v_xor_b32_e32 v8, vcc_lo, v8
	v_xor_b32_e32 v0, vcc_hi, v9
	v_and_b32_e32 v22, exec_lo, v8
	v_lshlrev_b32_e32 v9, 30, v20
	v_mov_b32_e32 v8, v1
	v_cmp_gt_i64_e32 vcc, 0, v[8:9]
	v_not_b32_e32 v8, v9
	v_ashrrev_i32_e32 v8, 31, v8
	v_and_b32_e32 v0, exec_hi, v0
	v_xor_b32_e32 v9, vcc_hi, v8
	v_xor_b32_e32 v8, vcc_lo, v8
	v_and_b32_e32 v0, v0, v9
	v_and_b32_e32 v22, v22, v8
	v_lshlrev_b32_e32 v9, 29, v20
	v_mov_b32_e32 v8, v1
	v_cmp_gt_i64_e32 vcc, 0, v[8:9]
	v_not_b32_e32 v8, v9
	v_ashrrev_i32_e32 v8, 31, v8
	v_xor_b32_e32 v9, vcc_hi, v8
	v_xor_b32_e32 v8, vcc_lo, v8
	v_and_b32_e32 v0, v0, v9
	v_and_b32_e32 v22, v22, v8
	v_lshlrev_b32_e32 v9, 28, v20
	v_mov_b32_e32 v8, v1
	v_cmp_gt_i64_e32 vcc, 0, v[8:9]
	v_not_b32_e32 v8, v9
	v_ashrrev_i32_e32 v8, 31, v8
	;; [unrolled: 9-line block ×6, first 2 shown]
	v_xor_b32_e32 v9, vcc_hi, v8
	v_xor_b32_e32 v8, vcc_lo, v8
	ds_read_b32 v17, v26 offset:64
	v_and_b32_e32 v8, v22, v8
	v_and_b32_e32 v9, v0, v9
	v_mbcnt_lo_u32_b32 v0, v8, 0
	v_mbcnt_hi_u32_b32 v20, v9, v0
	v_cmp_eq_u32_e32 vcc, 0, v20
	v_cmp_ne_u64_e64 s[0:1], 0, v[8:9]
	s_and_b64 s[6:7], s[0:1], vcc
	; wave barrier
	s_and_saveexec_b64 s[0:1], s[6:7]
	s_cbranch_execz .LBB1447_211
; %bb.210:
	v_bcnt_u32_b32 v0, v8, 0
	v_bcnt_u32_b32 v0, v9, v0
	s_waitcnt lgkmcnt(0)
	v_add_u32_e32 v0, v17, v0
	ds_write_b32 v26, v0 offset:64
.LBB1447_211:
	s_or_b64 exec, exec, s[0:1]
	s_waitcnt vmcnt(12)
	v_xor_b32_e32 v12, 0x80000000, v12
	v_lshrrev_b32_e32 v0, s64, v12
	v_and_b32_e32 v24, s14, v0
	v_mul_lo_u32 v0, v24, s4
	v_lshl_add_u32 v32, v28, 2, v0
	v_and_b32_e32 v0, 1, v24
	v_lshl_add_u64 v[8:9], v[0:1], 0, -1
	v_cmp_ne_u32_e32 vcc, 0, v0
	; wave barrier
	s_nop 1
	v_xor_b32_e32 v8, vcc_lo, v8
	v_xor_b32_e32 v0, vcc_hi, v9
	v_and_b32_e32 v27, exec_lo, v8
	v_lshlrev_b32_e32 v9, 30, v24
	v_mov_b32_e32 v8, v1
	v_cmp_gt_i64_e32 vcc, 0, v[8:9]
	v_not_b32_e32 v8, v9
	v_ashrrev_i32_e32 v8, 31, v8
	v_and_b32_e32 v0, exec_hi, v0
	v_xor_b32_e32 v9, vcc_hi, v8
	v_xor_b32_e32 v8, vcc_lo, v8
	v_and_b32_e32 v0, v0, v9
	v_and_b32_e32 v27, v27, v8
	v_lshlrev_b32_e32 v9, 29, v24
	v_mov_b32_e32 v8, v1
	v_cmp_gt_i64_e32 vcc, 0, v[8:9]
	v_not_b32_e32 v8, v9
	v_ashrrev_i32_e32 v8, 31, v8
	v_xor_b32_e32 v9, vcc_hi, v8
	v_xor_b32_e32 v8, vcc_lo, v8
	v_and_b32_e32 v0, v0, v9
	v_and_b32_e32 v27, v27, v8
	v_lshlrev_b32_e32 v9, 28, v24
	v_mov_b32_e32 v8, v1
	v_cmp_gt_i64_e32 vcc, 0, v[8:9]
	v_not_b32_e32 v8, v9
	v_ashrrev_i32_e32 v8, 31, v8
	;; [unrolled: 9-line block ×5, first 2 shown]
	v_xor_b32_e32 v9, vcc_hi, v8
	v_xor_b32_e32 v8, vcc_lo, v8
	v_and_b32_e32 v0, v0, v9
	v_lshlrev_b32_e32 v9, 24, v24
	v_and_b32_e32 v27, v27, v8
	v_mov_b32_e32 v8, v1
	v_not_b32_e32 v1, v9
	v_cmp_gt_i64_e32 vcc, 0, v[8:9]
	v_ashrrev_i32_e32 v1, 31, v1
	ds_read_b32 v22, v32 offset:64
	v_xor_b32_e32 v8, vcc_hi, v1
	v_xor_b32_e32 v9, vcc_lo, v1
	v_and_b32_e32 v1, v0, v8
	v_and_b32_e32 v0, v27, v9
	v_mbcnt_lo_u32_b32 v8, v0, 0
	v_mbcnt_hi_u32_b32 v24, v1, v8
	v_cmp_eq_u32_e32 vcc, 0, v24
	v_cmp_ne_u64_e64 s[0:1], 0, v[0:1]
	s_and_b64 s[4:5], s[0:1], vcc
	; wave barrier
	s_and_saveexec_b64 s[0:1], s[4:5]
	s_cbranch_execz .LBB1447_213
; %bb.212:
	v_bcnt_u32_b32 v0, v0, 0
	v_bcnt_u32_b32 v0, v1, v0
	s_waitcnt lgkmcnt(0)
	v_add_u32_e32 v0, v22, v0
	ds_write_b32 v32, v0 offset:64
.LBB1447_213:
	s_or_b64 exec, exec, s[0:1]
	s_waitcnt vmcnt(11)
	v_xor_b32_e32 v15, 0x80000000, v15
	v_lshrrev_b32_e32 v0, s64, v15
	v_and_b32_e32 v30, s14, v0
	s_movk_i32 s4, 0x44
	v_mul_lo_u32 v0, v30, s4
	v_lshl_add_u32 v37, v28, 2, v0
	v_and_b32_e32 v0, 1, v30
	v_mov_b32_e32 v1, 0
	v_lshl_add_u64 v[8:9], v[0:1], 0, -1
	v_cmp_ne_u32_e32 vcc, 0, v0
	; wave barrier
	s_nop 1
	v_xor_b32_e32 v8, vcc_lo, v8
	v_xor_b32_e32 v0, vcc_hi, v9
	v_and_b32_e32 v33, exec_lo, v8
	v_lshlrev_b32_e32 v9, 30, v30
	v_mov_b32_e32 v8, v1
	v_cmp_gt_i64_e32 vcc, 0, v[8:9]
	v_not_b32_e32 v8, v9
	v_ashrrev_i32_e32 v8, 31, v8
	v_and_b32_e32 v0, exec_hi, v0
	v_xor_b32_e32 v9, vcc_hi, v8
	v_xor_b32_e32 v8, vcc_lo, v8
	v_and_b32_e32 v0, v0, v9
	v_and_b32_e32 v33, v33, v8
	v_lshlrev_b32_e32 v9, 29, v30
	v_mov_b32_e32 v8, v1
	v_cmp_gt_i64_e32 vcc, 0, v[8:9]
	v_not_b32_e32 v8, v9
	v_ashrrev_i32_e32 v8, 31, v8
	v_xor_b32_e32 v9, vcc_hi, v8
	v_xor_b32_e32 v8, vcc_lo, v8
	v_and_b32_e32 v0, v0, v9
	v_and_b32_e32 v33, v33, v8
	v_lshlrev_b32_e32 v9, 28, v30
	v_mov_b32_e32 v8, v1
	v_cmp_gt_i64_e32 vcc, 0, v[8:9]
	v_not_b32_e32 v8, v9
	v_ashrrev_i32_e32 v8, 31, v8
	;; [unrolled: 9-line block ×6, first 2 shown]
	v_xor_b32_e32 v9, vcc_hi, v8
	v_xor_b32_e32 v8, vcc_lo, v8
	ds_read_b32 v27, v37 offset:64
	v_and_b32_e32 v8, v33, v8
	v_and_b32_e32 v9, v0, v9
	v_mbcnt_lo_u32_b32 v0, v8, 0
	v_mbcnt_hi_u32_b32 v30, v9, v0
	v_cmp_eq_u32_e32 vcc, 0, v30
	v_cmp_ne_u64_e64 s[0:1], 0, v[8:9]
	s_and_b64 s[6:7], s[0:1], vcc
	; wave barrier
	s_and_saveexec_b64 s[0:1], s[6:7]
	s_cbranch_execz .LBB1447_215
; %bb.214:
	v_bcnt_u32_b32 v0, v8, 0
	v_bcnt_u32_b32 v0, v9, v0
	s_waitcnt lgkmcnt(0)
	v_add_u32_e32 v0, v27, v0
	ds_write_b32 v37, v0 offset:64
.LBB1447_215:
	s_or_b64 exec, exec, s[0:1]
	s_waitcnt vmcnt(10)
	v_xor_b32_e32 v19, 0x80000000, v19
	v_lshrrev_b32_e32 v0, s64, v19
	v_and_b32_e32 v35, s14, v0
	v_mul_lo_u32 v0, v35, s4
	v_lshl_add_u32 v41, v28, 2, v0
	v_and_b32_e32 v0, 1, v35
	v_lshl_add_u64 v[8:9], v[0:1], 0, -1
	v_cmp_ne_u32_e32 vcc, 0, v0
	; wave barrier
	s_nop 1
	v_xor_b32_e32 v8, vcc_lo, v8
	v_xor_b32_e32 v0, vcc_hi, v9
	v_and_b32_e32 v38, exec_lo, v8
	v_lshlrev_b32_e32 v9, 30, v35
	v_mov_b32_e32 v8, v1
	v_cmp_gt_i64_e32 vcc, 0, v[8:9]
	v_not_b32_e32 v8, v9
	v_ashrrev_i32_e32 v8, 31, v8
	v_and_b32_e32 v0, exec_hi, v0
	v_xor_b32_e32 v9, vcc_hi, v8
	v_xor_b32_e32 v8, vcc_lo, v8
	v_and_b32_e32 v0, v0, v9
	v_and_b32_e32 v38, v38, v8
	v_lshlrev_b32_e32 v9, 29, v35
	v_mov_b32_e32 v8, v1
	v_cmp_gt_i64_e32 vcc, 0, v[8:9]
	v_not_b32_e32 v8, v9
	v_ashrrev_i32_e32 v8, 31, v8
	v_xor_b32_e32 v9, vcc_hi, v8
	v_xor_b32_e32 v8, vcc_lo, v8
	v_and_b32_e32 v0, v0, v9
	v_and_b32_e32 v38, v38, v8
	v_lshlrev_b32_e32 v9, 28, v35
	v_mov_b32_e32 v8, v1
	v_cmp_gt_i64_e32 vcc, 0, v[8:9]
	v_not_b32_e32 v8, v9
	v_ashrrev_i32_e32 v8, 31, v8
	;; [unrolled: 9-line block ×5, first 2 shown]
	v_xor_b32_e32 v9, vcc_hi, v8
	v_xor_b32_e32 v8, vcc_lo, v8
	v_and_b32_e32 v0, v0, v9
	v_lshlrev_b32_e32 v9, 24, v35
	v_and_b32_e32 v38, v38, v8
	v_mov_b32_e32 v8, v1
	v_not_b32_e32 v1, v9
	v_cmp_gt_i64_e32 vcc, 0, v[8:9]
	v_ashrrev_i32_e32 v1, 31, v1
	ds_read_b32 v33, v41 offset:64
	v_xor_b32_e32 v8, vcc_hi, v1
	v_xor_b32_e32 v9, vcc_lo, v1
	v_and_b32_e32 v1, v0, v8
	v_and_b32_e32 v0, v38, v9
	v_mbcnt_lo_u32_b32 v8, v0, 0
	v_mbcnt_hi_u32_b32 v35, v1, v8
	v_cmp_eq_u32_e32 vcc, 0, v35
	v_cmp_ne_u64_e64 s[0:1], 0, v[0:1]
	s_and_b64 s[4:5], s[0:1], vcc
	; wave barrier
	s_and_saveexec_b64 s[0:1], s[4:5]
	s_cbranch_execz .LBB1447_217
; %bb.216:
	v_bcnt_u32_b32 v0, v0, 0
	v_bcnt_u32_b32 v0, v1, v0
	s_waitcnt lgkmcnt(0)
	v_add_u32_e32 v0, v33, v0
	ds_write_b32 v41, v0 offset:64
.LBB1447_217:
	s_or_b64 exec, exec, s[0:1]
	s_waitcnt vmcnt(9)
	v_xor_b32_e32 v23, 0x80000000, v23
	v_lshrrev_b32_e32 v0, s64, v23
	v_and_b32_e32 v42, s14, v0
	s_movk_i32 s4, 0x44
	v_mul_lo_u32 v0, v42, s4
	v_lshl_add_u32 v46, v28, 2, v0
	v_and_b32_e32 v0, 1, v42
	v_mov_b32_e32 v1, 0
	v_lshl_add_u64 v[8:9], v[0:1], 0, -1
	v_cmp_ne_u32_e32 vcc, 0, v0
	; wave barrier
	s_nop 1
	v_xor_b32_e32 v8, vcc_lo, v8
	v_xor_b32_e32 v0, vcc_hi, v9
	v_and_b32_e32 v43, exec_lo, v8
	v_lshlrev_b32_e32 v9, 30, v42
	v_mov_b32_e32 v8, v1
	v_cmp_gt_i64_e32 vcc, 0, v[8:9]
	v_not_b32_e32 v8, v9
	v_ashrrev_i32_e32 v8, 31, v8
	v_and_b32_e32 v0, exec_hi, v0
	v_xor_b32_e32 v9, vcc_hi, v8
	v_xor_b32_e32 v8, vcc_lo, v8
	v_and_b32_e32 v0, v0, v9
	v_and_b32_e32 v43, v43, v8
	v_lshlrev_b32_e32 v9, 29, v42
	v_mov_b32_e32 v8, v1
	v_cmp_gt_i64_e32 vcc, 0, v[8:9]
	v_not_b32_e32 v8, v9
	v_ashrrev_i32_e32 v8, 31, v8
	v_xor_b32_e32 v9, vcc_hi, v8
	v_xor_b32_e32 v8, vcc_lo, v8
	v_and_b32_e32 v0, v0, v9
	v_and_b32_e32 v43, v43, v8
	v_lshlrev_b32_e32 v9, 28, v42
	v_mov_b32_e32 v8, v1
	v_cmp_gt_i64_e32 vcc, 0, v[8:9]
	v_not_b32_e32 v8, v9
	v_ashrrev_i32_e32 v8, 31, v8
	;; [unrolled: 9-line block ×6, first 2 shown]
	v_xor_b32_e32 v9, vcc_hi, v8
	v_xor_b32_e32 v8, vcc_lo, v8
	ds_read_b32 v38, v46 offset:64
	v_and_b32_e32 v8, v43, v8
	v_and_b32_e32 v9, v0, v9
	v_mbcnt_lo_u32_b32 v0, v8, 0
	v_mbcnt_hi_u32_b32 v42, v9, v0
	v_cmp_eq_u32_e32 vcc, 0, v42
	v_cmp_ne_u64_e64 s[0:1], 0, v[8:9]
	s_and_b64 s[6:7], s[0:1], vcc
	; wave barrier
	s_and_saveexec_b64 s[0:1], s[6:7]
	s_cbranch_execz .LBB1447_219
; %bb.218:
	v_bcnt_u32_b32 v0, v8, 0
	v_bcnt_u32_b32 v0, v9, v0
	s_waitcnt lgkmcnt(0)
	v_add_u32_e32 v0, v38, v0
	ds_write_b32 v46, v0 offset:64
.LBB1447_219:
	s_or_b64 exec, exec, s[0:1]
	s_waitcnt vmcnt(8)
	v_xor_b32_e32 v29, 0x80000000, v29
	v_lshrrev_b32_e32 v0, s64, v29
	v_and_b32_e32 v47, s14, v0
	v_mul_lo_u32 v0, v47, s4
	v_lshl_add_u32 v49, v28, 2, v0
	v_and_b32_e32 v0, 1, v47
	v_lshl_add_u64 v[8:9], v[0:1], 0, -1
	v_cmp_ne_u32_e32 vcc, 0, v0
	; wave barrier
	s_nop 1
	v_xor_b32_e32 v8, vcc_lo, v8
	v_xor_b32_e32 v0, vcc_hi, v9
	v_and_b32_e32 v48, exec_lo, v8
	v_lshlrev_b32_e32 v9, 30, v47
	v_mov_b32_e32 v8, v1
	v_cmp_gt_i64_e32 vcc, 0, v[8:9]
	v_not_b32_e32 v8, v9
	v_ashrrev_i32_e32 v8, 31, v8
	v_and_b32_e32 v0, exec_hi, v0
	v_xor_b32_e32 v9, vcc_hi, v8
	v_xor_b32_e32 v8, vcc_lo, v8
	v_and_b32_e32 v0, v0, v9
	v_and_b32_e32 v48, v48, v8
	v_lshlrev_b32_e32 v9, 29, v47
	v_mov_b32_e32 v8, v1
	v_cmp_gt_i64_e32 vcc, 0, v[8:9]
	v_not_b32_e32 v8, v9
	v_ashrrev_i32_e32 v8, 31, v8
	v_xor_b32_e32 v9, vcc_hi, v8
	v_xor_b32_e32 v8, vcc_lo, v8
	v_and_b32_e32 v0, v0, v9
	v_and_b32_e32 v48, v48, v8
	v_lshlrev_b32_e32 v9, 28, v47
	v_mov_b32_e32 v8, v1
	v_cmp_gt_i64_e32 vcc, 0, v[8:9]
	v_not_b32_e32 v8, v9
	v_ashrrev_i32_e32 v8, 31, v8
	v_xor_b32_e32 v9, vcc_hi, v8
	v_xor_b32_e32 v8, vcc_lo, v8
	v_and_b32_e32 v0, v0, v9
	v_and_b32_e32 v48, v48, v8
	v_lshlrev_b32_e32 v9, 27, v47
	v_mov_b32_e32 v8, v1
	v_cmp_gt_i64_e32 vcc, 0, v[8:9]
	v_not_b32_e32 v8, v9
	v_ashrrev_i32_e32 v8, 31, v8
	v_xor_b32_e32 v9, vcc_hi, v8
	v_xor_b32_e32 v8, vcc_lo, v8
	v_and_b32_e32 v0, v0, v9
	v_and_b32_e32 v48, v48, v8
	v_lshlrev_b32_e32 v9, 26, v47
	v_mov_b32_e32 v8, v1
	v_cmp_gt_i64_e32 vcc, 0, v[8:9]
	v_not_b32_e32 v8, v9
	v_ashrrev_i32_e32 v8, 31, v8
	v_xor_b32_e32 v9, vcc_hi, v8
	v_xor_b32_e32 v8, vcc_lo, v8
	v_and_b32_e32 v0, v0, v9
	v_and_b32_e32 v48, v48, v8
	v_lshlrev_b32_e32 v9, 25, v47
	v_mov_b32_e32 v8, v1
	v_cmp_gt_i64_e32 vcc, 0, v[8:9]
	v_not_b32_e32 v8, v9
	v_ashrrev_i32_e32 v8, 31, v8
	v_xor_b32_e32 v9, vcc_hi, v8
	v_xor_b32_e32 v8, vcc_lo, v8
	v_and_b32_e32 v0, v0, v9
	v_lshlrev_b32_e32 v9, 24, v47
	v_and_b32_e32 v48, v48, v8
	v_mov_b32_e32 v8, v1
	v_not_b32_e32 v1, v9
	v_cmp_gt_i64_e32 vcc, 0, v[8:9]
	v_ashrrev_i32_e32 v1, 31, v1
	ds_read_b32 v43, v49 offset:64
	v_xor_b32_e32 v8, vcc_hi, v1
	v_xor_b32_e32 v9, vcc_lo, v1
	v_and_b32_e32 v1, v0, v8
	v_and_b32_e32 v0, v48, v9
	v_mbcnt_lo_u32_b32 v8, v0, 0
	v_mbcnt_hi_u32_b32 v47, v1, v8
	v_cmp_eq_u32_e32 vcc, 0, v47
	v_cmp_ne_u64_e64 s[0:1], 0, v[0:1]
	s_and_b64 s[4:5], s[0:1], vcc
	; wave barrier
	s_and_saveexec_b64 s[0:1], s[4:5]
	s_cbranch_execz .LBB1447_221
; %bb.220:
	v_bcnt_u32_b32 v0, v0, 0
	v_bcnt_u32_b32 v0, v1, v0
	s_waitcnt lgkmcnt(0)
	v_add_u32_e32 v0, v43, v0
	ds_write_b32 v49, v0 offset:64
.LBB1447_221:
	s_or_b64 exec, exec, s[0:1]
	s_waitcnt vmcnt(7)
	v_xor_b32_e32 v34, 0x80000000, v34
	v_lshrrev_b32_e32 v0, s64, v34
	v_and_b32_e32 v50, s14, v0
	s_movk_i32 s4, 0x44
	v_mul_lo_u32 v0, v50, s4
	v_lshl_add_u32 v52, v28, 2, v0
	v_and_b32_e32 v0, 1, v50
	v_mov_b32_e32 v1, 0
	v_lshl_add_u64 v[8:9], v[0:1], 0, -1
	v_cmp_ne_u32_e32 vcc, 0, v0
	; wave barrier
	s_nop 1
	v_xor_b32_e32 v8, vcc_lo, v8
	v_xor_b32_e32 v0, vcc_hi, v9
	v_and_b32_e32 v51, exec_lo, v8
	v_lshlrev_b32_e32 v9, 30, v50
	v_mov_b32_e32 v8, v1
	v_cmp_gt_i64_e32 vcc, 0, v[8:9]
	v_not_b32_e32 v8, v9
	v_ashrrev_i32_e32 v8, 31, v8
	v_and_b32_e32 v0, exec_hi, v0
	v_xor_b32_e32 v9, vcc_hi, v8
	v_xor_b32_e32 v8, vcc_lo, v8
	v_and_b32_e32 v0, v0, v9
	v_and_b32_e32 v51, v51, v8
	v_lshlrev_b32_e32 v9, 29, v50
	v_mov_b32_e32 v8, v1
	v_cmp_gt_i64_e32 vcc, 0, v[8:9]
	v_not_b32_e32 v8, v9
	v_ashrrev_i32_e32 v8, 31, v8
	v_xor_b32_e32 v9, vcc_hi, v8
	v_xor_b32_e32 v8, vcc_lo, v8
	v_and_b32_e32 v0, v0, v9
	v_and_b32_e32 v51, v51, v8
	v_lshlrev_b32_e32 v9, 28, v50
	v_mov_b32_e32 v8, v1
	v_cmp_gt_i64_e32 vcc, 0, v[8:9]
	v_not_b32_e32 v8, v9
	v_ashrrev_i32_e32 v8, 31, v8
	;; [unrolled: 9-line block ×6, first 2 shown]
	v_xor_b32_e32 v9, vcc_hi, v8
	v_xor_b32_e32 v8, vcc_lo, v8
	ds_read_b32 v48, v52 offset:64
	v_and_b32_e32 v8, v51, v8
	v_and_b32_e32 v9, v0, v9
	v_mbcnt_lo_u32_b32 v0, v8, 0
	v_mbcnt_hi_u32_b32 v50, v9, v0
	v_cmp_eq_u32_e32 vcc, 0, v50
	v_cmp_ne_u64_e64 s[0:1], 0, v[8:9]
	s_and_b64 s[6:7], s[0:1], vcc
	; wave barrier
	s_and_saveexec_b64 s[0:1], s[6:7]
	s_cbranch_execz .LBB1447_223
; %bb.222:
	v_bcnt_u32_b32 v0, v8, 0
	v_bcnt_u32_b32 v0, v9, v0
	s_waitcnt lgkmcnt(0)
	v_add_u32_e32 v0, v48, v0
	ds_write_b32 v52, v0 offset:64
.LBB1447_223:
	s_or_b64 exec, exec, s[0:1]
	s_waitcnt vmcnt(6)
	v_xor_b32_e32 v39, 0x80000000, v39
	v_lshrrev_b32_e32 v0, s64, v39
	v_and_b32_e32 v53, s14, v0
	v_mul_lo_u32 v0, v53, s4
	v_lshl_add_u32 v55, v28, 2, v0
	v_and_b32_e32 v0, 1, v53
	v_lshl_add_u64 v[8:9], v[0:1], 0, -1
	v_cmp_ne_u32_e32 vcc, 0, v0
	; wave barrier
	s_nop 1
	v_xor_b32_e32 v8, vcc_lo, v8
	v_xor_b32_e32 v0, vcc_hi, v9
	v_and_b32_e32 v54, exec_lo, v8
	v_lshlrev_b32_e32 v9, 30, v53
	v_mov_b32_e32 v8, v1
	v_cmp_gt_i64_e32 vcc, 0, v[8:9]
	v_not_b32_e32 v8, v9
	v_ashrrev_i32_e32 v8, 31, v8
	v_and_b32_e32 v0, exec_hi, v0
	v_xor_b32_e32 v9, vcc_hi, v8
	v_xor_b32_e32 v8, vcc_lo, v8
	v_and_b32_e32 v0, v0, v9
	v_and_b32_e32 v54, v54, v8
	v_lshlrev_b32_e32 v9, 29, v53
	v_mov_b32_e32 v8, v1
	v_cmp_gt_i64_e32 vcc, 0, v[8:9]
	v_not_b32_e32 v8, v9
	v_ashrrev_i32_e32 v8, 31, v8
	v_xor_b32_e32 v9, vcc_hi, v8
	v_xor_b32_e32 v8, vcc_lo, v8
	v_and_b32_e32 v0, v0, v9
	v_and_b32_e32 v54, v54, v8
	v_lshlrev_b32_e32 v9, 28, v53
	v_mov_b32_e32 v8, v1
	v_cmp_gt_i64_e32 vcc, 0, v[8:9]
	v_not_b32_e32 v8, v9
	v_ashrrev_i32_e32 v8, 31, v8
	v_xor_b32_e32 v9, vcc_hi, v8
	v_xor_b32_e32 v8, vcc_lo, v8
	v_and_b32_e32 v0, v0, v9
	v_and_b32_e32 v54, v54, v8
	v_lshlrev_b32_e32 v9, 27, v53
	v_mov_b32_e32 v8, v1
	v_cmp_gt_i64_e32 vcc, 0, v[8:9]
	v_not_b32_e32 v8, v9
	v_ashrrev_i32_e32 v8, 31, v8
	v_xor_b32_e32 v9, vcc_hi, v8
	v_xor_b32_e32 v8, vcc_lo, v8
	v_and_b32_e32 v0, v0, v9
	v_and_b32_e32 v54, v54, v8
	v_lshlrev_b32_e32 v9, 26, v53
	v_mov_b32_e32 v8, v1
	v_cmp_gt_i64_e32 vcc, 0, v[8:9]
	v_not_b32_e32 v8, v9
	v_ashrrev_i32_e32 v8, 31, v8
	v_xor_b32_e32 v9, vcc_hi, v8
	v_xor_b32_e32 v8, vcc_lo, v8
	v_and_b32_e32 v0, v0, v9
	v_and_b32_e32 v54, v54, v8
	v_lshlrev_b32_e32 v9, 25, v53
	v_mov_b32_e32 v8, v1
	v_cmp_gt_i64_e32 vcc, 0, v[8:9]
	v_not_b32_e32 v8, v9
	v_ashrrev_i32_e32 v8, 31, v8
	v_xor_b32_e32 v9, vcc_hi, v8
	v_xor_b32_e32 v8, vcc_lo, v8
	v_and_b32_e32 v0, v0, v9
	v_lshlrev_b32_e32 v9, 24, v53
	v_and_b32_e32 v54, v54, v8
	v_mov_b32_e32 v8, v1
	v_not_b32_e32 v1, v9
	v_cmp_gt_i64_e32 vcc, 0, v[8:9]
	v_ashrrev_i32_e32 v1, 31, v1
	ds_read_b32 v51, v55 offset:64
	v_xor_b32_e32 v8, vcc_hi, v1
	v_xor_b32_e32 v9, vcc_lo, v1
	v_and_b32_e32 v1, v0, v8
	v_and_b32_e32 v0, v54, v9
	v_mbcnt_lo_u32_b32 v8, v0, 0
	v_mbcnt_hi_u32_b32 v53, v1, v8
	v_cmp_eq_u32_e32 vcc, 0, v53
	v_cmp_ne_u64_e64 s[0:1], 0, v[0:1]
	s_and_b64 s[4:5], s[0:1], vcc
	; wave barrier
	s_and_saveexec_b64 s[0:1], s[4:5]
	s_cbranch_execz .LBB1447_225
; %bb.224:
	v_bcnt_u32_b32 v0, v0, 0
	v_bcnt_u32_b32 v0, v1, v0
	s_waitcnt lgkmcnt(0)
	v_add_u32_e32 v0, v51, v0
	ds_write_b32 v55, v0 offset:64
.LBB1447_225:
	s_or_b64 exec, exec, s[0:1]
	s_waitcnt vmcnt(5)
	v_xor_b32_e32 v44, 0x80000000, v44
	v_lshrrev_b32_e32 v0, s64, v44
	v_and_b32_e32 v56, s14, v0
	s_movk_i32 s4, 0x44
	v_mul_lo_u32 v0, v56, s4
	v_lshl_add_u32 v58, v28, 2, v0
	v_and_b32_e32 v0, 1, v56
	v_mov_b32_e32 v1, 0
	v_lshl_add_u64 v[8:9], v[0:1], 0, -1
	v_cmp_ne_u32_e32 vcc, 0, v0
	; wave barrier
	s_nop 1
	v_xor_b32_e32 v8, vcc_lo, v8
	v_xor_b32_e32 v0, vcc_hi, v9
	v_and_b32_e32 v57, exec_lo, v8
	v_lshlrev_b32_e32 v9, 30, v56
	v_mov_b32_e32 v8, v1
	v_cmp_gt_i64_e32 vcc, 0, v[8:9]
	v_not_b32_e32 v8, v9
	v_ashrrev_i32_e32 v8, 31, v8
	v_and_b32_e32 v0, exec_hi, v0
	v_xor_b32_e32 v9, vcc_hi, v8
	v_xor_b32_e32 v8, vcc_lo, v8
	v_and_b32_e32 v0, v0, v9
	v_and_b32_e32 v57, v57, v8
	v_lshlrev_b32_e32 v9, 29, v56
	v_mov_b32_e32 v8, v1
	v_cmp_gt_i64_e32 vcc, 0, v[8:9]
	v_not_b32_e32 v8, v9
	v_ashrrev_i32_e32 v8, 31, v8
	v_xor_b32_e32 v9, vcc_hi, v8
	v_xor_b32_e32 v8, vcc_lo, v8
	v_and_b32_e32 v0, v0, v9
	v_and_b32_e32 v57, v57, v8
	v_lshlrev_b32_e32 v9, 28, v56
	v_mov_b32_e32 v8, v1
	v_cmp_gt_i64_e32 vcc, 0, v[8:9]
	v_not_b32_e32 v8, v9
	v_ashrrev_i32_e32 v8, 31, v8
	;; [unrolled: 9-line block ×6, first 2 shown]
	v_xor_b32_e32 v9, vcc_hi, v8
	v_xor_b32_e32 v8, vcc_lo, v8
	ds_read_b32 v54, v58 offset:64
	v_and_b32_e32 v8, v57, v8
	v_and_b32_e32 v9, v0, v9
	v_mbcnt_lo_u32_b32 v0, v8, 0
	v_mbcnt_hi_u32_b32 v56, v9, v0
	v_cmp_eq_u32_e32 vcc, 0, v56
	v_cmp_ne_u64_e64 s[0:1], 0, v[8:9]
	s_and_b64 s[6:7], s[0:1], vcc
	; wave barrier
	s_and_saveexec_b64 s[0:1], s[6:7]
	s_cbranch_execz .LBB1447_227
; %bb.226:
	v_bcnt_u32_b32 v0, v8, 0
	v_bcnt_u32_b32 v0, v9, v0
	s_waitcnt lgkmcnt(0)
	v_add_u32_e32 v0, v54, v0
	ds_write_b32 v58, v0 offset:64
.LBB1447_227:
	s_or_b64 exec, exec, s[0:1]
	s_waitcnt vmcnt(4)
	v_xor_b32_e32 v45, 0x80000000, v45
	v_lshrrev_b32_e32 v0, s64, v45
	v_and_b32_e32 v59, s14, v0
	v_mul_lo_u32 v0, v59, s4
	v_lshl_add_u32 v62, v28, 2, v0
	v_and_b32_e32 v0, 1, v59
	v_lshl_add_u64 v[8:9], v[0:1], 0, -1
	v_cmp_ne_u32_e32 vcc, 0, v0
	; wave barrier
	s_nop 1
	v_xor_b32_e32 v8, vcc_lo, v8
	v_xor_b32_e32 v0, vcc_hi, v9
	v_and_b32_e32 v60, exec_lo, v8
	v_lshlrev_b32_e32 v9, 30, v59
	v_mov_b32_e32 v8, v1
	v_cmp_gt_i64_e32 vcc, 0, v[8:9]
	v_not_b32_e32 v8, v9
	v_ashrrev_i32_e32 v8, 31, v8
	v_and_b32_e32 v0, exec_hi, v0
	v_xor_b32_e32 v9, vcc_hi, v8
	v_xor_b32_e32 v8, vcc_lo, v8
	v_and_b32_e32 v0, v0, v9
	v_and_b32_e32 v60, v60, v8
	v_lshlrev_b32_e32 v9, 29, v59
	v_mov_b32_e32 v8, v1
	v_cmp_gt_i64_e32 vcc, 0, v[8:9]
	v_not_b32_e32 v8, v9
	v_ashrrev_i32_e32 v8, 31, v8
	v_xor_b32_e32 v9, vcc_hi, v8
	v_xor_b32_e32 v8, vcc_lo, v8
	v_and_b32_e32 v0, v0, v9
	v_and_b32_e32 v60, v60, v8
	v_lshlrev_b32_e32 v9, 28, v59
	v_mov_b32_e32 v8, v1
	v_cmp_gt_i64_e32 vcc, 0, v[8:9]
	v_not_b32_e32 v8, v9
	v_ashrrev_i32_e32 v8, 31, v8
	;; [unrolled: 9-line block ×5, first 2 shown]
	v_xor_b32_e32 v9, vcc_hi, v8
	v_xor_b32_e32 v8, vcc_lo, v8
	v_and_b32_e32 v0, v0, v9
	v_lshlrev_b32_e32 v9, 24, v59
	v_and_b32_e32 v60, v60, v8
	v_mov_b32_e32 v8, v1
	v_not_b32_e32 v1, v9
	v_cmp_gt_i64_e32 vcc, 0, v[8:9]
	v_ashrrev_i32_e32 v1, 31, v1
	ds_read_b32 v57, v62 offset:64
	v_xor_b32_e32 v8, vcc_hi, v1
	v_xor_b32_e32 v9, vcc_lo, v1
	v_and_b32_e32 v1, v0, v8
	v_and_b32_e32 v0, v60, v9
	v_mbcnt_lo_u32_b32 v8, v0, 0
	v_mbcnt_hi_u32_b32 v59, v1, v8
	v_cmp_eq_u32_e32 vcc, 0, v59
	v_cmp_ne_u64_e64 s[0:1], 0, v[0:1]
	s_and_b64 s[4:5], s[0:1], vcc
	; wave barrier
	s_and_saveexec_b64 s[0:1], s[4:5]
	s_cbranch_execz .LBB1447_229
; %bb.228:
	v_bcnt_u32_b32 v0, v0, 0
	v_bcnt_u32_b32 v0, v1, v0
	s_waitcnt lgkmcnt(0)
	v_add_u32_e32 v0, v57, v0
	ds_write_b32 v62, v0 offset:64
.LBB1447_229:
	s_or_b64 exec, exec, s[0:1]
	s_waitcnt vmcnt(3)
	v_xor_b32_e32 v40, 0x80000000, v40
	v_lshrrev_b32_e32 v0, s64, v40
	v_and_b32_e32 v61, s14, v0
	s_movk_i32 s4, 0x44
	v_mul_lo_u32 v0, v61, s4
	v_lshl_add_u32 v65, v28, 2, v0
	v_and_b32_e32 v0, 1, v61
	v_mov_b32_e32 v1, 0
	v_lshl_add_u64 v[8:9], v[0:1], 0, -1
	v_cmp_ne_u32_e32 vcc, 0, v0
	; wave barrier
	s_nop 1
	v_xor_b32_e32 v8, vcc_lo, v8
	v_xor_b32_e32 v0, vcc_hi, v9
	v_and_b32_e32 v63, exec_lo, v8
	v_lshlrev_b32_e32 v9, 30, v61
	v_mov_b32_e32 v8, v1
	v_cmp_gt_i64_e32 vcc, 0, v[8:9]
	v_not_b32_e32 v8, v9
	v_ashrrev_i32_e32 v8, 31, v8
	v_and_b32_e32 v0, exec_hi, v0
	v_xor_b32_e32 v9, vcc_hi, v8
	v_xor_b32_e32 v8, vcc_lo, v8
	v_and_b32_e32 v0, v0, v9
	v_and_b32_e32 v63, v63, v8
	v_lshlrev_b32_e32 v9, 29, v61
	v_mov_b32_e32 v8, v1
	v_cmp_gt_i64_e32 vcc, 0, v[8:9]
	v_not_b32_e32 v8, v9
	v_ashrrev_i32_e32 v8, 31, v8
	v_xor_b32_e32 v9, vcc_hi, v8
	v_xor_b32_e32 v8, vcc_lo, v8
	v_and_b32_e32 v0, v0, v9
	v_and_b32_e32 v63, v63, v8
	v_lshlrev_b32_e32 v9, 28, v61
	v_mov_b32_e32 v8, v1
	v_cmp_gt_i64_e32 vcc, 0, v[8:9]
	v_not_b32_e32 v8, v9
	v_ashrrev_i32_e32 v8, 31, v8
	;; [unrolled: 9-line block ×6, first 2 shown]
	v_xor_b32_e32 v9, vcc_hi, v8
	v_xor_b32_e32 v8, vcc_lo, v8
	ds_read_b32 v60, v65 offset:64
	v_and_b32_e32 v8, v63, v8
	v_and_b32_e32 v9, v0, v9
	v_mbcnt_lo_u32_b32 v0, v8, 0
	v_mbcnt_hi_u32_b32 v63, v9, v0
	v_cmp_eq_u32_e32 vcc, 0, v63
	v_cmp_ne_u64_e64 s[0:1], 0, v[8:9]
	s_and_b64 s[6:7], s[0:1], vcc
	; wave barrier
	s_and_saveexec_b64 s[0:1], s[6:7]
	s_cbranch_execz .LBB1447_231
; %bb.230:
	v_bcnt_u32_b32 v0, v8, 0
	v_bcnt_u32_b32 v0, v9, v0
	s_waitcnt lgkmcnt(0)
	v_add_u32_e32 v0, v60, v0
	ds_write_b32 v65, v0 offset:64
.LBB1447_231:
	s_or_b64 exec, exec, s[0:1]
	s_waitcnt vmcnt(2)
	v_xor_b32_e32 v36, 0x80000000, v36
	v_lshrrev_b32_e32 v0, s64, v36
	v_and_b32_e32 v61, s14, v0
	v_mul_lo_u32 v0, v61, s4
	v_lshl_add_u32 v68, v28, 2, v0
	v_and_b32_e32 v0, 1, v61
	v_lshl_add_u64 v[8:9], v[0:1], 0, -1
	v_cmp_ne_u32_e32 vcc, 0, v0
	; wave barrier
	s_nop 1
	v_xor_b32_e32 v8, vcc_lo, v8
	v_xor_b32_e32 v0, vcc_hi, v9
	v_and_b32_e32 v66, exec_lo, v8
	v_lshlrev_b32_e32 v9, 30, v61
	v_mov_b32_e32 v8, v1
	v_cmp_gt_i64_e32 vcc, 0, v[8:9]
	v_not_b32_e32 v8, v9
	v_ashrrev_i32_e32 v8, 31, v8
	v_and_b32_e32 v0, exec_hi, v0
	v_xor_b32_e32 v9, vcc_hi, v8
	v_xor_b32_e32 v8, vcc_lo, v8
	v_and_b32_e32 v0, v0, v9
	v_and_b32_e32 v66, v66, v8
	v_lshlrev_b32_e32 v9, 29, v61
	v_mov_b32_e32 v8, v1
	v_cmp_gt_i64_e32 vcc, 0, v[8:9]
	v_not_b32_e32 v8, v9
	v_ashrrev_i32_e32 v8, 31, v8
	v_xor_b32_e32 v9, vcc_hi, v8
	v_xor_b32_e32 v8, vcc_lo, v8
	v_and_b32_e32 v0, v0, v9
	v_and_b32_e32 v66, v66, v8
	v_lshlrev_b32_e32 v9, 28, v61
	v_mov_b32_e32 v8, v1
	v_cmp_gt_i64_e32 vcc, 0, v[8:9]
	v_not_b32_e32 v8, v9
	v_ashrrev_i32_e32 v8, 31, v8
	;; [unrolled: 9-line block ×5, first 2 shown]
	v_xor_b32_e32 v9, vcc_hi, v8
	v_xor_b32_e32 v8, vcc_lo, v8
	v_and_b32_e32 v0, v0, v9
	v_lshlrev_b32_e32 v9, 24, v61
	v_and_b32_e32 v66, v66, v8
	v_mov_b32_e32 v8, v1
	v_not_b32_e32 v1, v9
	v_cmp_gt_i64_e32 vcc, 0, v[8:9]
	v_ashrrev_i32_e32 v1, 31, v1
	ds_read_b32 v64, v68 offset:64
	v_xor_b32_e32 v8, vcc_hi, v1
	v_xor_b32_e32 v9, vcc_lo, v1
	v_and_b32_e32 v1, v0, v8
	v_and_b32_e32 v0, v66, v9
	v_mbcnt_lo_u32_b32 v8, v0, 0
	v_mbcnt_hi_u32_b32 v66, v1, v8
	v_cmp_eq_u32_e32 vcc, 0, v66
	v_cmp_ne_u64_e64 s[0:1], 0, v[0:1]
	s_and_b64 s[4:5], s[0:1], vcc
	; wave barrier
	s_and_saveexec_b64 s[0:1], s[4:5]
	s_cbranch_execz .LBB1447_233
; %bb.232:
	v_bcnt_u32_b32 v0, v0, 0
	v_bcnt_u32_b32 v0, v1, v0
	s_waitcnt lgkmcnt(0)
	v_add_u32_e32 v0, v64, v0
	ds_write_b32 v68, v0 offset:64
.LBB1447_233:
	s_or_b64 exec, exec, s[0:1]
	s_waitcnt vmcnt(1)
	v_xor_b32_e32 v31, 0x80000000, v31
	v_lshrrev_b32_e32 v0, s64, v31
	v_and_b32_e32 v61, s14, v0
	s_movk_i32 s4, 0x44
	v_mul_lo_u32 v0, v61, s4
	v_lshl_add_u32 v70, v28, 2, v0
	v_and_b32_e32 v0, 1, v61
	v_mov_b32_e32 v1, 0
	v_lshl_add_u64 v[8:9], v[0:1], 0, -1
	v_cmp_ne_u32_e32 vcc, 0, v0
	; wave barrier
	s_nop 1
	v_xor_b32_e32 v8, vcc_lo, v8
	v_xor_b32_e32 v0, vcc_hi, v9
	v_and_b32_e32 v69, exec_lo, v8
	v_lshlrev_b32_e32 v9, 30, v61
	v_mov_b32_e32 v8, v1
	v_cmp_gt_i64_e32 vcc, 0, v[8:9]
	v_not_b32_e32 v8, v9
	v_ashrrev_i32_e32 v8, 31, v8
	v_and_b32_e32 v0, exec_hi, v0
	v_xor_b32_e32 v9, vcc_hi, v8
	v_xor_b32_e32 v8, vcc_lo, v8
	v_and_b32_e32 v0, v0, v9
	v_and_b32_e32 v69, v69, v8
	v_lshlrev_b32_e32 v9, 29, v61
	v_mov_b32_e32 v8, v1
	v_cmp_gt_i64_e32 vcc, 0, v[8:9]
	v_not_b32_e32 v8, v9
	v_ashrrev_i32_e32 v8, 31, v8
	v_xor_b32_e32 v9, vcc_hi, v8
	v_xor_b32_e32 v8, vcc_lo, v8
	v_and_b32_e32 v0, v0, v9
	v_and_b32_e32 v69, v69, v8
	v_lshlrev_b32_e32 v9, 28, v61
	v_mov_b32_e32 v8, v1
	v_cmp_gt_i64_e32 vcc, 0, v[8:9]
	v_not_b32_e32 v8, v9
	v_ashrrev_i32_e32 v8, 31, v8
	;; [unrolled: 9-line block ×6, first 2 shown]
	v_xor_b32_e32 v9, vcc_hi, v8
	v_xor_b32_e32 v8, vcc_lo, v8
	ds_read_b32 v67, v70 offset:64
	v_and_b32_e32 v8, v69, v8
	v_and_b32_e32 v9, v0, v9
	v_mbcnt_lo_u32_b32 v0, v8, 0
	v_mbcnt_hi_u32_b32 v69, v9, v0
	v_cmp_eq_u32_e32 vcc, 0, v69
	v_cmp_ne_u64_e64 s[0:1], 0, v[8:9]
	s_and_b64 s[6:7], s[0:1], vcc
	; wave barrier
	s_and_saveexec_b64 s[0:1], s[6:7]
	s_cbranch_execz .LBB1447_235
; %bb.234:
	v_bcnt_u32_b32 v0, v8, 0
	v_bcnt_u32_b32 v0, v9, v0
	s_waitcnt lgkmcnt(0)
	v_add_u32_e32 v0, v67, v0
	ds_write_b32 v70, v0 offset:64
.LBB1447_235:
	s_or_b64 exec, exec, s[0:1]
	s_waitcnt vmcnt(0)
	v_xor_b32_e32 v61, 0x80000000, v25
	v_lshrrev_b32_e32 v0, s64, v61
	v_and_b32_e32 v25, s14, v0
	v_mul_lo_u32 v0, v25, s4
	v_lshl_add_u32 v72, v28, 2, v0
	v_and_b32_e32 v0, 1, v25
	v_lshl_add_u64 v[8:9], v[0:1], 0, -1
	v_cmp_ne_u32_e32 vcc, 0, v0
	; wave barrier
	s_nop 1
	v_xor_b32_e32 v8, vcc_lo, v8
	v_xor_b32_e32 v0, vcc_hi, v9
	v_and_b32_e32 v71, exec_lo, v8
	v_lshlrev_b32_e32 v9, 30, v25
	v_mov_b32_e32 v8, v1
	v_cmp_gt_i64_e32 vcc, 0, v[8:9]
	v_not_b32_e32 v8, v9
	v_ashrrev_i32_e32 v8, 31, v8
	v_and_b32_e32 v0, exec_hi, v0
	v_xor_b32_e32 v9, vcc_hi, v8
	v_xor_b32_e32 v8, vcc_lo, v8
	v_and_b32_e32 v0, v0, v9
	v_and_b32_e32 v71, v71, v8
	v_lshlrev_b32_e32 v9, 29, v25
	v_mov_b32_e32 v8, v1
	v_cmp_gt_i64_e32 vcc, 0, v[8:9]
	v_not_b32_e32 v8, v9
	v_ashrrev_i32_e32 v8, 31, v8
	v_xor_b32_e32 v9, vcc_hi, v8
	v_xor_b32_e32 v8, vcc_lo, v8
	v_and_b32_e32 v0, v0, v9
	v_and_b32_e32 v71, v71, v8
	v_lshlrev_b32_e32 v9, 28, v25
	v_mov_b32_e32 v8, v1
	v_cmp_gt_i64_e32 vcc, 0, v[8:9]
	v_not_b32_e32 v8, v9
	v_ashrrev_i32_e32 v8, 31, v8
	;; [unrolled: 9-line block ×5, first 2 shown]
	v_xor_b32_e32 v9, vcc_hi, v8
	v_xor_b32_e32 v8, vcc_lo, v8
	v_and_b32_e32 v0, v0, v9
	v_lshlrev_b32_e32 v9, 24, v25
	v_and_b32_e32 v71, v71, v8
	v_mov_b32_e32 v8, v1
	v_not_b32_e32 v1, v9
	v_cmp_gt_i64_e32 vcc, 0, v[8:9]
	v_ashrrev_i32_e32 v1, 31, v1
	ds_read_b32 v28, v72 offset:64
	v_xor_b32_e32 v8, vcc_hi, v1
	v_xor_b32_e32 v9, vcc_lo, v1
	v_and_b32_e32 v1, v0, v8
	v_and_b32_e32 v0, v71, v9
	v_mbcnt_lo_u32_b32 v8, v0, 0
	v_mbcnt_hi_u32_b32 v71, v1, v8
	v_cmp_eq_u32_e32 vcc, 0, v71
	v_cmp_ne_u64_e64 s[0:1], 0, v[0:1]
	s_and_b64 s[4:5], s[0:1], vcc
	; wave barrier
	s_and_saveexec_b64 s[0:1], s[4:5]
	s_cbranch_execz .LBB1447_237
; %bb.236:
	v_bcnt_u32_b32 v0, v0, 0
	v_bcnt_u32_b32 v0, v1, v0
	s_waitcnt lgkmcnt(0)
	v_add_u32_e32 v0, v28, v0
	ds_write_b32 v72, v0 offset:64
.LBB1447_237:
	s_or_b64 exec, exec, s[0:1]
	; wave barrier
	s_waitcnt lgkmcnt(0)
	s_barrier
	ds_read2_b32 v[8:9], v11 offset0:16 offset1:17
	ds_read2_b32 v[0:1], v11 offset0:18 offset1:19
	ds_read_b32 v25, v11 offset:80
	v_cmp_lt_u32_e64 s[8:9], 31, v10
	s_waitcnt lgkmcnt(1)
	v_add3_u32 v73, v9, v8, v0
	s_waitcnt lgkmcnt(0)
	v_add3_u32 v25, v73, v1, v25
	v_and_b32_e32 v73, 15, v10
	v_cmp_eq_u32_e32 vcc, 0, v73
	v_mov_b32_dpp v74, v25 row_shr:1 row_mask:0xf bank_mask:0xf
	v_cmp_lt_u32_e64 s[0:1], 1, v73
	v_cndmask_b32_e64 v74, v74, 0, vcc
	v_add_u32_e32 v25, v74, v25
	v_cmp_lt_u32_e64 s[6:7], 3, v73
	v_cmp_lt_u32_e64 s[4:5], 7, v73
	v_mov_b32_dpp v74, v25 row_shr:2 row_mask:0xf bank_mask:0xf
	v_cndmask_b32_e64 v74, 0, v74, s[0:1]
	v_add_u32_e32 v25, v25, v74
	s_nop 1
	v_mov_b32_dpp v74, v25 row_shr:4 row_mask:0xf bank_mask:0xf
	v_cndmask_b32_e64 v74, 0, v74, s[6:7]
	v_add_u32_e32 v25, v25, v74
	s_nop 1
	v_mov_b32_dpp v74, v25 row_shr:8 row_mask:0xf bank_mask:0xf
	v_cndmask_b32_e64 v73, 0, v74, s[4:5]
	v_add_u32_e32 v25, v25, v73
	v_bfe_i32 v74, v10, 4, 1
	s_nop 0
	v_mov_b32_dpp v73, v25 row_bcast:15 row_mask:0xf bank_mask:0xf
	v_and_b32_e32 v73, v74, v73
	v_add_u32_e32 v25, v25, v73
	v_lshrrev_b32_e32 v74, 6, v2
	s_nop 0
	v_mov_b32_dpp v73, v25 row_bcast:31 row_mask:0xf bank_mask:0xf
	v_cndmask_b32_e64 v73, 0, v73, s[8:9]
	v_add_u32_e32 v73, v25, v73
	v_and_b32_e32 v25, 63, v2
	v_cmp_eq_u32_e64 s[8:9], 63, v25
	s_and_saveexec_b64 s[12:13], s[8:9]
; %bb.238:
	v_lshlrev_b32_e32 v25, 2, v74
	ds_write_b32 v25, v73
; %bb.239:
	s_or_b64 exec, exec, s[12:13]
	v_cmp_gt_u32_e64 s[8:9], 16, v2
	v_lshlrev_b32_e32 v25, 2, v2
	s_waitcnt lgkmcnt(0)
	s_barrier
	s_and_saveexec_b64 s[12:13], s[8:9]
	s_cbranch_execz .LBB1447_241
; %bb.240:
	ds_read_b32 v75, v25
	s_waitcnt lgkmcnt(0)
	s_nop 0
	v_mov_b32_dpp v76, v75 row_shr:1 row_mask:0xf bank_mask:0xf
	v_cndmask_b32_e64 v76, v76, 0, vcc
	v_add_u32_e32 v75, v76, v75
	s_nop 1
	v_mov_b32_dpp v76, v75 row_shr:2 row_mask:0xf bank_mask:0xf
	v_cndmask_b32_e64 v76, 0, v76, s[0:1]
	v_add_u32_e32 v75, v75, v76
	s_nop 1
	v_mov_b32_dpp v76, v75 row_shr:4 row_mask:0xf bank_mask:0xf
	v_cndmask_b32_e64 v76, 0, v76, s[6:7]
	;; [unrolled: 4-line block ×3, first 2 shown]
	v_add_u32_e32 v75, v75, v76
	ds_write_b32 v25, v75
.LBB1447_241:
	s_or_b64 exec, exec, s[12:13]
	v_cmp_lt_u32_e32 vcc, 63, v2
	v_mov_b32_e32 v75, 0
	s_waitcnt lgkmcnt(0)
	s_barrier
	s_and_saveexec_b64 s[0:1], vcc
; %bb.242:
	v_lshl_add_u32 v74, v74, 2, -4
	ds_read_b32 v75, v74
; %bb.243:
	s_or_b64 exec, exec, s[0:1]
	v_subrev_co_u32_e32 v74, vcc, 1, v10
	v_and_b32_e32 v76, 64, v10
	v_cmp_lt_i32_e64 s[0:1], v74, v76
	s_waitcnt lgkmcnt(0)
	v_add_u32_e32 v73, v75, v73
	s_movk_i32 s4, 0x100
	v_cndmask_b32_e64 v10, v74, v10, s[0:1]
	v_lshlrev_b32_e32 v10, 2, v10
	ds_bpermute_b32 v10, v10, v73
	s_movk_i32 s0, 0xff
	s_waitcnt lgkmcnt(0)
	v_cndmask_b32_e32 v10, v10, v75, vcc
	v_cmp_ne_u32_e32 vcc, 0, v2
	s_nop 1
	v_cndmask_b32_e32 v10, 0, v10, vcc
	v_add_u32_e32 v8, v10, v8
	v_add_u32_e32 v9, v8, v9
	;; [unrolled: 1-line block ×4, first 2 shown]
	ds_write2_b32 v11, v10, v8 offset0:16 offset1:17
	ds_write2_b32 v11, v9, v0 offset0:18 offset1:19
	ds_write_b32 v11, v1 offset:80
	s_waitcnt lgkmcnt(0)
	s_barrier
	ds_read_b32 v81, v18 offset:64
	ds_read_b32 v73, v21 offset:64
	;; [unrolled: 1-line block ×16, first 2 shown]
	v_cmp_lt_u32_e32 vcc, s0, v2
	v_cmp_gt_u32_e64 s[0:1], s4, v2
                                        ; implicit-def: $vgpr18
                                        ; implicit-def: $vgpr21
	s_and_saveexec_b64 s[6:7], s[0:1]
	s_cbranch_execz .LBB1447_247
; %bb.244:
	v_mul_u32_u24_e32 v0, 0x44, v2
	ds_read_b32 v18, v0 offset:64
	v_add_u32_e32 v1, 1, v2
	v_cmp_ne_u32_e64 s[4:5], s4, v1
	v_mov_b32_e32 v0, 0x4000
	s_and_saveexec_b64 s[8:9], s[4:5]
; %bb.245:
	v_mul_u32_u24_e32 v0, 0x44, v1
	ds_read_b32 v0, v0 offset:64
; %bb.246:
	s_or_b64 exec, exec, s[8:9]
	s_waitcnt lgkmcnt(0)
	v_sub_u32_e32 v21, v0, v18
.LBB1447_247:
	s_or_b64 exec, exec, s[6:7]
	v_mov_b32_e32 v1, 0
	s_waitcnt lgkmcnt(0)
	s_barrier
	s_and_saveexec_b64 s[4:5], s[0:1]
	s_cbranch_execz .LBB1447_257
; %bb.248:
	v_lshl_add_u32 v0, s2, 8, v2
	v_lshl_add_u64 v[8:9], v[0:1], 2, s[50:51]
	v_or_b32_e32 v0, 2.0, v21
	s_mov_b64 s[6:7], 0
	s_brev_b32 s15, -4
	s_mov_b32 s16, s2
	v_mov_b32_e32 v49, 0
	global_store_dword v[8:9], v0, off sc1
                                        ; implicit-def: $sgpr0_sgpr1
	s_branch .LBB1447_251
.LBB1447_249:                           ;   in Loop: Header=BB1447_251 Depth=1
	s_or_b64 exec, exec, s[12:13]
.LBB1447_250:                           ;   in Loop: Header=BB1447_251 Depth=1
	s_or_b64 exec, exec, s[8:9]
	v_and_b32_e32 v10, 0x3fffffff, v0
	v_add_u32_e32 v49, v10, v49
	v_cmp_gt_i32_e64 s[0:1], -2.0, v0
	s_and_b64 s[8:9], exec, s[0:1]
	s_or_b64 s[6:7], s[8:9], s[6:7]
	s_andn2_b64 exec, exec, s[6:7]
	s_cbranch_execz .LBB1447_256
.LBB1447_251:                           ; =>This Loop Header: Depth=1
                                        ;     Child Loop BB1447_254 Depth 2
	s_or_b64 s[0:1], s[0:1], exec
	s_cmp_eq_u32 s16, 0
	s_cbranch_scc1 .LBB1447_255
; %bb.252:                              ;   in Loop: Header=BB1447_251 Depth=1
	s_add_i32 s16, s16, -1
	v_lshl_or_b32 v0, s16, 8, v2
	v_lshl_add_u64 v[10:11], v[0:1], 2, s[50:51]
	global_load_dword v0, v[10:11], off sc1
	s_waitcnt vmcnt(0)
	v_cmp_gt_u32_e64 s[0:1], 2.0, v0
	s_and_saveexec_b64 s[8:9], s[0:1]
	s_cbranch_execz .LBB1447_250
; %bb.253:                              ;   in Loop: Header=BB1447_251 Depth=1
	s_mov_b64 s[12:13], 0
.LBB1447_254:                           ;   Parent Loop BB1447_251 Depth=1
                                        ; =>  This Inner Loop Header: Depth=2
	global_load_dword v0, v[10:11], off sc1
	s_waitcnt vmcnt(0)
	v_cmp_lt_u32_e64 s[0:1], s15, v0
	s_or_b64 s[12:13], s[0:1], s[12:13]
	s_andn2_b64 exec, exec, s[12:13]
	s_cbranch_execnz .LBB1447_254
	s_branch .LBB1447_249
.LBB1447_255:                           ;   in Loop: Header=BB1447_251 Depth=1
                                        ; implicit-def: $sgpr16
	s_and_b64 s[8:9], exec, s[0:1]
	s_or_b64 s[6:7], s[8:9], s[6:7]
	s_andn2_b64 exec, exec, s[6:7]
	s_cbranch_execnz .LBB1447_251
.LBB1447_256:
	s_or_b64 exec, exec, s[6:7]
	v_add_u32_e32 v0, v49, v21
	v_or_b32_e32 v0, 0x80000000, v0
	global_store_dword v[8:9], v0, off sc1
	global_load_dword v0, v25, s[60:61]
	v_sub_u32_e32 v1, v49, v18
	s_waitcnt vmcnt(0)
	v_add_u32_e32 v0, v1, v0
	ds_write_b32 v25, v0
.LBB1447_257:
	s_or_b64 exec, exec, s[4:5]
	v_add_u32_e32 v8, v81, v14
	v_add3_u32 v0, v16, v13, v73
	v_add3_u32 v1, v20, v17, v74
	;; [unrolled: 1-line block ×15, first 2 shown]
	v_mov_b32_e32 v85, 0x400
	s_mov_b32 s6, s64
	s_mov_b32 s7, s14
	s_movk_i32 s8, 0x400
	v_lshl_add_u32 v9, v9, 2, v85
	v_add3_u32 v10, v71, v41, v28
	v_lshl_add_u32 v11, v11, 2, v85
	v_add3_u32 v14, v69, v26, v67
	;; [unrolled: 2-line block ×15, first 2 shown]
	v_lshl_add_u32 v16, v8, 2, v85
	s_mov_b32 s9, 0
	s_mov_b32 s12, 0
	s_movk_i32 s13, 0x1000
	v_mov_b32_e32 v1, 0
	s_movk_i32 s15, 0x800
	s_movk_i32 s16, 0xc00
	v_mov_b32_e32 v55, v2
	s_mov_b32 s17, 0
	s_branch .LBB1447_259
.LBB1447_258:                           ;   in Loop: Header=BB1447_259 Depth=1
	s_or_b64 exec, exec, s[4:5]
	s_waitcnt lgkmcnt(0)
	s_barrier
	ds_read2st64_b32 v[56:57], v25 offset0:4 offset1:20
	ds_read2st64_b32 v[62:63], v25 offset0:36 offset1:52
	s_addk_i32 s17, 0xc000
	s_addk_i32 s12, 0xf000
	s_waitcnt lgkmcnt(1)
	v_xor_b32_e32 v60, 0x80000000, v56
	v_lshrrev_b32_e32 v56, s64, v56
	v_lshrrev_b32_e32 v0, s6, v57
	v_and_b32_e32 v56, s14, v56
	v_xor_b32_e32 v66, 0x80000000, v57
	v_and_b32_e32 v57, s7, v0
	v_lshlrev_b32_e32 v0, 2, v56
	ds_read_b32 v0, v0
	s_waitcnt lgkmcnt(1)
	v_lshrrev_b32_e32 v58, s6, v63
	v_lshrrev_b32_e32 v65, s64, v62
	v_and_b32_e32 v59, s7, v58
	v_lshlrev_b32_e32 v64, 2, v57
	v_and_b32_e32 v58, s14, v65
	v_lshlrev_b32_e32 v67, 2, v59
	v_lshlrev_b32_e32 v65, 2, v58
	ds_read_b32 v68, v64
	ds_read_b32 v69, v65
	;; [unrolled: 1-line block ×3, first 2 shown]
	s_waitcnt lgkmcnt(3)
	v_add_u32_e32 v0, v55, v0
	v_lshl_add_u64 v[64:65], v[0:1], 2, s[54:55]
	s_waitcnt lgkmcnt(2)
	v_add3_u32 v0, v55, v68, s8
	global_store_dword v[64:65], v60, off
	v_lshl_add_u64 v[64:65], v[0:1], 2, s[54:55]
	s_waitcnt lgkmcnt(1)
	v_add3_u32 v0, v55, v69, s15
	global_store_dword v[64:65], v66, off
	v_xor_b32_e32 v60, 0x80000000, v62
	v_xor_b32_e32 v64, 0x80000000, v63
	v_lshl_add_u64 v[62:63], v[0:1], 2, s[54:55]
	s_waitcnt lgkmcnt(0)
	v_add3_u32 v0, v55, v67, s16
	global_store_dword v[62:63], v60, off
	v_lshl_add_u64 v[62:63], v[0:1], 2, s[54:55]
	global_store_dword v[62:63], v64, off
	scratch_store_dwordx4 off, v[56:59], s9
	s_add_i32 s9, s9, 16
	s_cmp_eq_u32 s17, 0xffff0000
	v_add_u32_e32 v55, 0x1000, v55
	s_barrier
	s_cbranch_scc1 .LBB1447_291
.LBB1447_259:                           ; =>This Inner Loop Header: Depth=1
	v_add_u32_e32 v0, s12, v8
	v_cmp_gt_u32_e64 s[0:1], s13, v0
	s_and_saveexec_b64 s[4:5], s[0:1]
; %bb.260:                              ;   in Loop: Header=BB1447_259 Depth=1
	v_add_u32_e32 v0, s17, v16
	ds_write_b32 v0, v3
; %bb.261:                              ;   in Loop: Header=BB1447_259 Depth=1
	s_or_b64 exec, exec, s[4:5]
	v_add_u32_e32 v0, s12, v13
	v_cmp_gt_u32_e64 s[0:1], s13, v0
	s_and_saveexec_b64 s[4:5], s[0:1]
; %bb.262:                              ;   in Loop: Header=BB1447_259 Depth=1
	v_add_u32_e32 v0, s17, v20
	ds_write_b32 v0, v5
; %bb.263:                              ;   in Loop: Header=BB1447_259 Depth=1
	s_or_b64 exec, exec, s[4:5]
	;; [unrolled: 8-line block ×15, first 2 shown]
	v_add_u32_e32 v0, s12, v10
	v_cmp_gt_u32_e64 s[0:1], s13, v0
	s_and_saveexec_b64 s[4:5], s[0:1]
	s_cbranch_execz .LBB1447_258
; %bb.290:                              ;   in Loop: Header=BB1447_259 Depth=1
	v_add_u32_e32 v0, s17, v9
	ds_write_b32 v0, v61
	s_branch .LBB1447_258
.LBB1447_291:
	s_add_u32 s0, s56, s10
	s_addc_u32 s1, s57, s11
	v_mov_b32_e32 v5, 0
	v_lshl_add_u64 v[0:1], s[0:1], 0, v[4:5]
	v_mov_b32_e32 v7, v5
	v_lshl_add_u64 v[44:45], v[0:1], 0, v[6:7]
	global_load_dword v0, v[44:45], off
	global_load_dword v1, v[44:45], off offset:256
	global_load_dword v3, v[44:45], off offset:512
	;; [unrolled: 1-line block ×14, first 2 shown]
	s_nop 0
	global_load_dword v44, v[44:45], off offset:3840
	s_mov_b32 s6, 0
	s_mov_b32 s7, 0
	s_movk_i32 s8, 0x1000
	s_movk_i32 s9, 0x400
	;; [unrolled: 1-line block ×4, first 2 shown]
	s_mov_b32 s12, 0
	s_branch .LBB1447_293
.LBB1447_292:                           ;   in Loop: Header=BB1447_293 Depth=1
	s_or_b64 exec, exec, s[4:5]
	s_waitcnt lgkmcnt(0)
	s_barrier
	scratch_load_dwordx4 v[56:59], off, s6
	ds_read2st64_b32 v[60:61], v25 offset0:4 offset1:20
	ds_read2st64_b32 v[62:63], v25 offset0:36 offset1:52
	s_addk_i32 s12, 0xc000
	s_addk_i32 s7, 0xf000
	s_add_i32 s6, s6, 16
	s_cmp_eq_u32 s12, 0xffff0000
	s_waitcnt vmcnt(0)
	v_lshlrev_b32_e32 v4, 2, v56
	ds_read_b32 v4, v4
	v_lshlrev_b32_e32 v45, 2, v57
	v_lshlrev_b32_e32 v55, 2, v58
	;; [unrolled: 1-line block ×3, first 2 shown]
	ds_read_b32 v45, v45
	ds_read_b32 v55, v55
	;; [unrolled: 1-line block ×3, first 2 shown]
	s_waitcnt lgkmcnt(3)
	v_add_u32_e32 v4, v2, v4
	v_lshl_add_u64 v[56:57], v[4:5], 2, s[58:59]
	s_waitcnt lgkmcnt(2)
	v_add3_u32 v4, v2, v45, s9
	global_store_dword v[56:57], v60, off
	v_lshl_add_u64 v[56:57], v[4:5], 2, s[58:59]
	s_waitcnt lgkmcnt(1)
	v_add3_u32 v4, v2, v55, s10
	global_store_dword v[56:57], v61, off
	;; [unrolled: 4-line block ×3, first 2 shown]
	v_lshl_add_u64 v[56:57], v[4:5], 2, s[58:59]
	v_add_u32_e32 v2, 0x1000, v2
	global_store_dword v[56:57], v63, off
	s_barrier
	s_cbranch_scc1 .LBB1447_325
.LBB1447_293:                           ; =>This Inner Loop Header: Depth=1
	v_add_u32_e32 v4, s7, v8
	v_cmp_gt_u32_e64 s[0:1], s8, v4
	s_and_saveexec_b64 s[4:5], s[0:1]
	s_cbranch_execz .LBB1447_295
; %bb.294:                              ;   in Loop: Header=BB1447_293 Depth=1
	v_add_u32_e32 v4, s12, v16
	s_waitcnt vmcnt(15)
	ds_write_b32 v4, v0
.LBB1447_295:                           ;   in Loop: Header=BB1447_293 Depth=1
	s_or_b64 exec, exec, s[4:5]
	v_add_u32_e32 v4, s7, v13
	v_cmp_gt_u32_e64 s[0:1], s8, v4
	s_and_saveexec_b64 s[4:5], s[0:1]
	s_cbranch_execz .LBB1447_297
; %bb.296:                              ;   in Loop: Header=BB1447_293 Depth=1
	v_add_u32_e32 v4, s12, v20
	s_waitcnt vmcnt(14)
	ds_write_b32 v4, v1
.LBB1447_297:                           ;   in Loop: Header=BB1447_293 Depth=1
	s_or_b64 exec, exec, s[4:5]
	;; [unrolled: 10-line block ×15, first 2 shown]
	v_add_u32_e32 v4, s7, v10
	v_cmp_gt_u32_e64 s[0:1], s8, v4
	s_and_saveexec_b64 s[4:5], s[0:1]
	s_cbranch_execz .LBB1447_292
; %bb.324:                              ;   in Loop: Header=BB1447_293 Depth=1
	v_add_u32_e32 v4, s12, v9
	s_waitcnt vmcnt(0)
	ds_write_b32 v4, v44
	s_branch .LBB1447_292
.LBB1447_325:
	s_add_i32 s3, s3, -1
	s_cmp_eq_u32 s2, s3
	s_cselect_b64 s[0:1], -1, 0
	s_xor_b64 s[2:3], vcc, -1
	s_and_b64 s[0:1], s[2:3], s[0:1]
	s_and_saveexec_b64 s[2:3], s[0:1]
	s_cbranch_execz .LBB1447_327
; %bb.326:
	ds_read_b32 v0, v25
	s_waitcnt lgkmcnt(0)
	v_add3_u32 v0, v18, v21, v0
	global_store_dword v25, v0, s[62:63]
.LBB1447_327:
	s_endpgm
	.section	.rodata,"a",@progbits
	.p2align	6, 0x0
	.amdhsa_kernel _ZN7rocprim17ROCPRIM_400000_NS6detail17trampoline_kernelINS0_14default_configENS1_35radix_sort_onesweep_config_selectorIiiEEZZNS1_29radix_sort_onesweep_iterationIS3_Lb0EN6thrust23THRUST_200600_302600_NS6detail15normal_iteratorINS8_10device_ptrIiEEEESD_SD_SD_jNS0_19identity_decomposerENS1_16block_id_wrapperIjLb0EEEEE10hipError_tT1_PNSt15iterator_traitsISI_E10value_typeET2_T3_PNSJ_ISO_E10value_typeET4_T5_PST_SU_PNS1_23onesweep_lookback_stateEbbT6_jjT7_P12ihipStream_tbENKUlT_T0_SI_SN_E_clISD_SD_SD_SD_EEDaS11_S12_SI_SN_EUlS11_E_NS1_11comp_targetILNS1_3genE6ELNS1_11target_archE950ELNS1_3gpuE13ELNS1_3repE0EEENS1_47radix_sort_onesweep_sort_config_static_selectorELNS0_4arch9wavefront6targetE1EEEvSI_
		.amdhsa_group_segment_fixed_size 20552
		.amdhsa_private_segment_fixed_size 80
		.amdhsa_kernarg_size 344
		.amdhsa_user_sgpr_count 2
		.amdhsa_user_sgpr_dispatch_ptr 0
		.amdhsa_user_sgpr_queue_ptr 0
		.amdhsa_user_sgpr_kernarg_segment_ptr 1
		.amdhsa_user_sgpr_dispatch_id 0
		.amdhsa_user_sgpr_kernarg_preload_length 0
		.amdhsa_user_sgpr_kernarg_preload_offset 0
		.amdhsa_user_sgpr_private_segment_size 0
		.amdhsa_uses_dynamic_stack 0
		.amdhsa_enable_private_segment 1
		.amdhsa_system_sgpr_workgroup_id_x 1
		.amdhsa_system_sgpr_workgroup_id_y 0
		.amdhsa_system_sgpr_workgroup_id_z 0
		.amdhsa_system_sgpr_workgroup_info 0
		.amdhsa_system_vgpr_workitem_id 2
		.amdhsa_next_free_vgpr 88
		.amdhsa_next_free_sgpr 70
		.amdhsa_accum_offset 88
		.amdhsa_reserve_vcc 1
		.amdhsa_float_round_mode_32 0
		.amdhsa_float_round_mode_16_64 0
		.amdhsa_float_denorm_mode_32 3
		.amdhsa_float_denorm_mode_16_64 3
		.amdhsa_dx10_clamp 1
		.amdhsa_ieee_mode 1
		.amdhsa_fp16_overflow 0
		.amdhsa_tg_split 0
		.amdhsa_exception_fp_ieee_invalid_op 0
		.amdhsa_exception_fp_denorm_src 0
		.amdhsa_exception_fp_ieee_div_zero 0
		.amdhsa_exception_fp_ieee_overflow 0
		.amdhsa_exception_fp_ieee_underflow 0
		.amdhsa_exception_fp_ieee_inexact 0
		.amdhsa_exception_int_div_zero 0
	.end_amdhsa_kernel
	.section	.text._ZN7rocprim17ROCPRIM_400000_NS6detail17trampoline_kernelINS0_14default_configENS1_35radix_sort_onesweep_config_selectorIiiEEZZNS1_29radix_sort_onesweep_iterationIS3_Lb0EN6thrust23THRUST_200600_302600_NS6detail15normal_iteratorINS8_10device_ptrIiEEEESD_SD_SD_jNS0_19identity_decomposerENS1_16block_id_wrapperIjLb0EEEEE10hipError_tT1_PNSt15iterator_traitsISI_E10value_typeET2_T3_PNSJ_ISO_E10value_typeET4_T5_PST_SU_PNS1_23onesweep_lookback_stateEbbT6_jjT7_P12ihipStream_tbENKUlT_T0_SI_SN_E_clISD_SD_SD_SD_EEDaS11_S12_SI_SN_EUlS11_E_NS1_11comp_targetILNS1_3genE6ELNS1_11target_archE950ELNS1_3gpuE13ELNS1_3repE0EEENS1_47radix_sort_onesweep_sort_config_static_selectorELNS0_4arch9wavefront6targetE1EEEvSI_,"axG",@progbits,_ZN7rocprim17ROCPRIM_400000_NS6detail17trampoline_kernelINS0_14default_configENS1_35radix_sort_onesweep_config_selectorIiiEEZZNS1_29radix_sort_onesweep_iterationIS3_Lb0EN6thrust23THRUST_200600_302600_NS6detail15normal_iteratorINS8_10device_ptrIiEEEESD_SD_SD_jNS0_19identity_decomposerENS1_16block_id_wrapperIjLb0EEEEE10hipError_tT1_PNSt15iterator_traitsISI_E10value_typeET2_T3_PNSJ_ISO_E10value_typeET4_T5_PST_SU_PNS1_23onesweep_lookback_stateEbbT6_jjT7_P12ihipStream_tbENKUlT_T0_SI_SN_E_clISD_SD_SD_SD_EEDaS11_S12_SI_SN_EUlS11_E_NS1_11comp_targetILNS1_3genE6ELNS1_11target_archE950ELNS1_3gpuE13ELNS1_3repE0EEENS1_47radix_sort_onesweep_sort_config_static_selectorELNS0_4arch9wavefront6targetE1EEEvSI_,comdat
.Lfunc_end1447:
	.size	_ZN7rocprim17ROCPRIM_400000_NS6detail17trampoline_kernelINS0_14default_configENS1_35radix_sort_onesweep_config_selectorIiiEEZZNS1_29radix_sort_onesweep_iterationIS3_Lb0EN6thrust23THRUST_200600_302600_NS6detail15normal_iteratorINS8_10device_ptrIiEEEESD_SD_SD_jNS0_19identity_decomposerENS1_16block_id_wrapperIjLb0EEEEE10hipError_tT1_PNSt15iterator_traitsISI_E10value_typeET2_T3_PNSJ_ISO_E10value_typeET4_T5_PST_SU_PNS1_23onesweep_lookback_stateEbbT6_jjT7_P12ihipStream_tbENKUlT_T0_SI_SN_E_clISD_SD_SD_SD_EEDaS11_S12_SI_SN_EUlS11_E_NS1_11comp_targetILNS1_3genE6ELNS1_11target_archE950ELNS1_3gpuE13ELNS1_3repE0EEENS1_47radix_sort_onesweep_sort_config_static_selectorELNS0_4arch9wavefront6targetE1EEEvSI_, .Lfunc_end1447-_ZN7rocprim17ROCPRIM_400000_NS6detail17trampoline_kernelINS0_14default_configENS1_35radix_sort_onesweep_config_selectorIiiEEZZNS1_29radix_sort_onesweep_iterationIS3_Lb0EN6thrust23THRUST_200600_302600_NS6detail15normal_iteratorINS8_10device_ptrIiEEEESD_SD_SD_jNS0_19identity_decomposerENS1_16block_id_wrapperIjLb0EEEEE10hipError_tT1_PNSt15iterator_traitsISI_E10value_typeET2_T3_PNSJ_ISO_E10value_typeET4_T5_PST_SU_PNS1_23onesweep_lookback_stateEbbT6_jjT7_P12ihipStream_tbENKUlT_T0_SI_SN_E_clISD_SD_SD_SD_EEDaS11_S12_SI_SN_EUlS11_E_NS1_11comp_targetILNS1_3genE6ELNS1_11target_archE950ELNS1_3gpuE13ELNS1_3repE0EEENS1_47radix_sort_onesweep_sort_config_static_selectorELNS0_4arch9wavefront6targetE1EEEvSI_
                                        ; -- End function
	.set _ZN7rocprim17ROCPRIM_400000_NS6detail17trampoline_kernelINS0_14default_configENS1_35radix_sort_onesweep_config_selectorIiiEEZZNS1_29radix_sort_onesweep_iterationIS3_Lb0EN6thrust23THRUST_200600_302600_NS6detail15normal_iteratorINS8_10device_ptrIiEEEESD_SD_SD_jNS0_19identity_decomposerENS1_16block_id_wrapperIjLb0EEEEE10hipError_tT1_PNSt15iterator_traitsISI_E10value_typeET2_T3_PNSJ_ISO_E10value_typeET4_T5_PST_SU_PNS1_23onesweep_lookback_stateEbbT6_jjT7_P12ihipStream_tbENKUlT_T0_SI_SN_E_clISD_SD_SD_SD_EEDaS11_S12_SI_SN_EUlS11_E_NS1_11comp_targetILNS1_3genE6ELNS1_11target_archE950ELNS1_3gpuE13ELNS1_3repE0EEENS1_47radix_sort_onesweep_sort_config_static_selectorELNS0_4arch9wavefront6targetE1EEEvSI_.num_vgpr, 88
	.set _ZN7rocprim17ROCPRIM_400000_NS6detail17trampoline_kernelINS0_14default_configENS1_35radix_sort_onesweep_config_selectorIiiEEZZNS1_29radix_sort_onesweep_iterationIS3_Lb0EN6thrust23THRUST_200600_302600_NS6detail15normal_iteratorINS8_10device_ptrIiEEEESD_SD_SD_jNS0_19identity_decomposerENS1_16block_id_wrapperIjLb0EEEEE10hipError_tT1_PNSt15iterator_traitsISI_E10value_typeET2_T3_PNSJ_ISO_E10value_typeET4_T5_PST_SU_PNS1_23onesweep_lookback_stateEbbT6_jjT7_P12ihipStream_tbENKUlT_T0_SI_SN_E_clISD_SD_SD_SD_EEDaS11_S12_SI_SN_EUlS11_E_NS1_11comp_targetILNS1_3genE6ELNS1_11target_archE950ELNS1_3gpuE13ELNS1_3repE0EEENS1_47radix_sort_onesweep_sort_config_static_selectorELNS0_4arch9wavefront6targetE1EEEvSI_.num_agpr, 0
	.set _ZN7rocprim17ROCPRIM_400000_NS6detail17trampoline_kernelINS0_14default_configENS1_35radix_sort_onesweep_config_selectorIiiEEZZNS1_29radix_sort_onesweep_iterationIS3_Lb0EN6thrust23THRUST_200600_302600_NS6detail15normal_iteratorINS8_10device_ptrIiEEEESD_SD_SD_jNS0_19identity_decomposerENS1_16block_id_wrapperIjLb0EEEEE10hipError_tT1_PNSt15iterator_traitsISI_E10value_typeET2_T3_PNSJ_ISO_E10value_typeET4_T5_PST_SU_PNS1_23onesweep_lookback_stateEbbT6_jjT7_P12ihipStream_tbENKUlT_T0_SI_SN_E_clISD_SD_SD_SD_EEDaS11_S12_SI_SN_EUlS11_E_NS1_11comp_targetILNS1_3genE6ELNS1_11target_archE950ELNS1_3gpuE13ELNS1_3repE0EEENS1_47radix_sort_onesweep_sort_config_static_selectorELNS0_4arch9wavefront6targetE1EEEvSI_.numbered_sgpr, 70
	.set _ZN7rocprim17ROCPRIM_400000_NS6detail17trampoline_kernelINS0_14default_configENS1_35radix_sort_onesweep_config_selectorIiiEEZZNS1_29radix_sort_onesweep_iterationIS3_Lb0EN6thrust23THRUST_200600_302600_NS6detail15normal_iteratorINS8_10device_ptrIiEEEESD_SD_SD_jNS0_19identity_decomposerENS1_16block_id_wrapperIjLb0EEEEE10hipError_tT1_PNSt15iterator_traitsISI_E10value_typeET2_T3_PNSJ_ISO_E10value_typeET4_T5_PST_SU_PNS1_23onesweep_lookback_stateEbbT6_jjT7_P12ihipStream_tbENKUlT_T0_SI_SN_E_clISD_SD_SD_SD_EEDaS11_S12_SI_SN_EUlS11_E_NS1_11comp_targetILNS1_3genE6ELNS1_11target_archE950ELNS1_3gpuE13ELNS1_3repE0EEENS1_47radix_sort_onesweep_sort_config_static_selectorELNS0_4arch9wavefront6targetE1EEEvSI_.num_named_barrier, 0
	.set _ZN7rocprim17ROCPRIM_400000_NS6detail17trampoline_kernelINS0_14default_configENS1_35radix_sort_onesweep_config_selectorIiiEEZZNS1_29radix_sort_onesweep_iterationIS3_Lb0EN6thrust23THRUST_200600_302600_NS6detail15normal_iteratorINS8_10device_ptrIiEEEESD_SD_SD_jNS0_19identity_decomposerENS1_16block_id_wrapperIjLb0EEEEE10hipError_tT1_PNSt15iterator_traitsISI_E10value_typeET2_T3_PNSJ_ISO_E10value_typeET4_T5_PST_SU_PNS1_23onesweep_lookback_stateEbbT6_jjT7_P12ihipStream_tbENKUlT_T0_SI_SN_E_clISD_SD_SD_SD_EEDaS11_S12_SI_SN_EUlS11_E_NS1_11comp_targetILNS1_3genE6ELNS1_11target_archE950ELNS1_3gpuE13ELNS1_3repE0EEENS1_47radix_sort_onesweep_sort_config_static_selectorELNS0_4arch9wavefront6targetE1EEEvSI_.private_seg_size, 80
	.set _ZN7rocprim17ROCPRIM_400000_NS6detail17trampoline_kernelINS0_14default_configENS1_35radix_sort_onesweep_config_selectorIiiEEZZNS1_29radix_sort_onesweep_iterationIS3_Lb0EN6thrust23THRUST_200600_302600_NS6detail15normal_iteratorINS8_10device_ptrIiEEEESD_SD_SD_jNS0_19identity_decomposerENS1_16block_id_wrapperIjLb0EEEEE10hipError_tT1_PNSt15iterator_traitsISI_E10value_typeET2_T3_PNSJ_ISO_E10value_typeET4_T5_PST_SU_PNS1_23onesweep_lookback_stateEbbT6_jjT7_P12ihipStream_tbENKUlT_T0_SI_SN_E_clISD_SD_SD_SD_EEDaS11_S12_SI_SN_EUlS11_E_NS1_11comp_targetILNS1_3genE6ELNS1_11target_archE950ELNS1_3gpuE13ELNS1_3repE0EEENS1_47radix_sort_onesweep_sort_config_static_selectorELNS0_4arch9wavefront6targetE1EEEvSI_.uses_vcc, 1
	.set _ZN7rocprim17ROCPRIM_400000_NS6detail17trampoline_kernelINS0_14default_configENS1_35radix_sort_onesweep_config_selectorIiiEEZZNS1_29radix_sort_onesweep_iterationIS3_Lb0EN6thrust23THRUST_200600_302600_NS6detail15normal_iteratorINS8_10device_ptrIiEEEESD_SD_SD_jNS0_19identity_decomposerENS1_16block_id_wrapperIjLb0EEEEE10hipError_tT1_PNSt15iterator_traitsISI_E10value_typeET2_T3_PNSJ_ISO_E10value_typeET4_T5_PST_SU_PNS1_23onesweep_lookback_stateEbbT6_jjT7_P12ihipStream_tbENKUlT_T0_SI_SN_E_clISD_SD_SD_SD_EEDaS11_S12_SI_SN_EUlS11_E_NS1_11comp_targetILNS1_3genE6ELNS1_11target_archE950ELNS1_3gpuE13ELNS1_3repE0EEENS1_47radix_sort_onesweep_sort_config_static_selectorELNS0_4arch9wavefront6targetE1EEEvSI_.uses_flat_scratch, 0
	.set _ZN7rocprim17ROCPRIM_400000_NS6detail17trampoline_kernelINS0_14default_configENS1_35radix_sort_onesweep_config_selectorIiiEEZZNS1_29radix_sort_onesweep_iterationIS3_Lb0EN6thrust23THRUST_200600_302600_NS6detail15normal_iteratorINS8_10device_ptrIiEEEESD_SD_SD_jNS0_19identity_decomposerENS1_16block_id_wrapperIjLb0EEEEE10hipError_tT1_PNSt15iterator_traitsISI_E10value_typeET2_T3_PNSJ_ISO_E10value_typeET4_T5_PST_SU_PNS1_23onesweep_lookback_stateEbbT6_jjT7_P12ihipStream_tbENKUlT_T0_SI_SN_E_clISD_SD_SD_SD_EEDaS11_S12_SI_SN_EUlS11_E_NS1_11comp_targetILNS1_3genE6ELNS1_11target_archE950ELNS1_3gpuE13ELNS1_3repE0EEENS1_47radix_sort_onesweep_sort_config_static_selectorELNS0_4arch9wavefront6targetE1EEEvSI_.has_dyn_sized_stack, 0
	.set _ZN7rocprim17ROCPRIM_400000_NS6detail17trampoline_kernelINS0_14default_configENS1_35radix_sort_onesweep_config_selectorIiiEEZZNS1_29radix_sort_onesweep_iterationIS3_Lb0EN6thrust23THRUST_200600_302600_NS6detail15normal_iteratorINS8_10device_ptrIiEEEESD_SD_SD_jNS0_19identity_decomposerENS1_16block_id_wrapperIjLb0EEEEE10hipError_tT1_PNSt15iterator_traitsISI_E10value_typeET2_T3_PNSJ_ISO_E10value_typeET4_T5_PST_SU_PNS1_23onesweep_lookback_stateEbbT6_jjT7_P12ihipStream_tbENKUlT_T0_SI_SN_E_clISD_SD_SD_SD_EEDaS11_S12_SI_SN_EUlS11_E_NS1_11comp_targetILNS1_3genE6ELNS1_11target_archE950ELNS1_3gpuE13ELNS1_3repE0EEENS1_47radix_sort_onesweep_sort_config_static_selectorELNS0_4arch9wavefront6targetE1EEEvSI_.has_recursion, 0
	.set _ZN7rocprim17ROCPRIM_400000_NS6detail17trampoline_kernelINS0_14default_configENS1_35radix_sort_onesweep_config_selectorIiiEEZZNS1_29radix_sort_onesweep_iterationIS3_Lb0EN6thrust23THRUST_200600_302600_NS6detail15normal_iteratorINS8_10device_ptrIiEEEESD_SD_SD_jNS0_19identity_decomposerENS1_16block_id_wrapperIjLb0EEEEE10hipError_tT1_PNSt15iterator_traitsISI_E10value_typeET2_T3_PNSJ_ISO_E10value_typeET4_T5_PST_SU_PNS1_23onesweep_lookback_stateEbbT6_jjT7_P12ihipStream_tbENKUlT_T0_SI_SN_E_clISD_SD_SD_SD_EEDaS11_S12_SI_SN_EUlS11_E_NS1_11comp_targetILNS1_3genE6ELNS1_11target_archE950ELNS1_3gpuE13ELNS1_3repE0EEENS1_47radix_sort_onesweep_sort_config_static_selectorELNS0_4arch9wavefront6targetE1EEEvSI_.has_indirect_call, 0
	.section	.AMDGPU.csdata,"",@progbits
; Kernel info:
; codeLenInByte = 22584
; TotalNumSgprs: 76
; NumVgprs: 88
; NumAgprs: 0
; TotalNumVgprs: 88
; ScratchSize: 80
; MemoryBound: 0
; FloatMode: 240
; IeeeMode: 1
; LDSByteSize: 20552 bytes/workgroup (compile time only)
; SGPRBlocks: 9
; VGPRBlocks: 10
; NumSGPRsForWavesPerEU: 76
; NumVGPRsForWavesPerEU: 88
; AccumOffset: 88
; Occupancy: 5
; WaveLimiterHint : 1
; COMPUTE_PGM_RSRC2:SCRATCH_EN: 1
; COMPUTE_PGM_RSRC2:USER_SGPR: 2
; COMPUTE_PGM_RSRC2:TRAP_HANDLER: 0
; COMPUTE_PGM_RSRC2:TGID_X_EN: 1
; COMPUTE_PGM_RSRC2:TGID_Y_EN: 0
; COMPUTE_PGM_RSRC2:TGID_Z_EN: 0
; COMPUTE_PGM_RSRC2:TIDIG_COMP_CNT: 2
; COMPUTE_PGM_RSRC3_GFX90A:ACCUM_OFFSET: 21
; COMPUTE_PGM_RSRC3_GFX90A:TG_SPLIT: 0
	.section	.text._ZN7rocprim17ROCPRIM_400000_NS6detail17trampoline_kernelINS0_14default_configENS1_35radix_sort_onesweep_config_selectorIiiEEZZNS1_29radix_sort_onesweep_iterationIS3_Lb0EN6thrust23THRUST_200600_302600_NS6detail15normal_iteratorINS8_10device_ptrIiEEEESD_SD_SD_jNS0_19identity_decomposerENS1_16block_id_wrapperIjLb0EEEEE10hipError_tT1_PNSt15iterator_traitsISI_E10value_typeET2_T3_PNSJ_ISO_E10value_typeET4_T5_PST_SU_PNS1_23onesweep_lookback_stateEbbT6_jjT7_P12ihipStream_tbENKUlT_T0_SI_SN_E_clISD_SD_SD_SD_EEDaS11_S12_SI_SN_EUlS11_E_NS1_11comp_targetILNS1_3genE5ELNS1_11target_archE942ELNS1_3gpuE9ELNS1_3repE0EEENS1_47radix_sort_onesweep_sort_config_static_selectorELNS0_4arch9wavefront6targetE1EEEvSI_,"axG",@progbits,_ZN7rocprim17ROCPRIM_400000_NS6detail17trampoline_kernelINS0_14default_configENS1_35radix_sort_onesweep_config_selectorIiiEEZZNS1_29radix_sort_onesweep_iterationIS3_Lb0EN6thrust23THRUST_200600_302600_NS6detail15normal_iteratorINS8_10device_ptrIiEEEESD_SD_SD_jNS0_19identity_decomposerENS1_16block_id_wrapperIjLb0EEEEE10hipError_tT1_PNSt15iterator_traitsISI_E10value_typeET2_T3_PNSJ_ISO_E10value_typeET4_T5_PST_SU_PNS1_23onesweep_lookback_stateEbbT6_jjT7_P12ihipStream_tbENKUlT_T0_SI_SN_E_clISD_SD_SD_SD_EEDaS11_S12_SI_SN_EUlS11_E_NS1_11comp_targetILNS1_3genE5ELNS1_11target_archE942ELNS1_3gpuE9ELNS1_3repE0EEENS1_47radix_sort_onesweep_sort_config_static_selectorELNS0_4arch9wavefront6targetE1EEEvSI_,comdat
	.protected	_ZN7rocprim17ROCPRIM_400000_NS6detail17trampoline_kernelINS0_14default_configENS1_35radix_sort_onesweep_config_selectorIiiEEZZNS1_29radix_sort_onesweep_iterationIS3_Lb0EN6thrust23THRUST_200600_302600_NS6detail15normal_iteratorINS8_10device_ptrIiEEEESD_SD_SD_jNS0_19identity_decomposerENS1_16block_id_wrapperIjLb0EEEEE10hipError_tT1_PNSt15iterator_traitsISI_E10value_typeET2_T3_PNSJ_ISO_E10value_typeET4_T5_PST_SU_PNS1_23onesweep_lookback_stateEbbT6_jjT7_P12ihipStream_tbENKUlT_T0_SI_SN_E_clISD_SD_SD_SD_EEDaS11_S12_SI_SN_EUlS11_E_NS1_11comp_targetILNS1_3genE5ELNS1_11target_archE942ELNS1_3gpuE9ELNS1_3repE0EEENS1_47radix_sort_onesweep_sort_config_static_selectorELNS0_4arch9wavefront6targetE1EEEvSI_ ; -- Begin function _ZN7rocprim17ROCPRIM_400000_NS6detail17trampoline_kernelINS0_14default_configENS1_35radix_sort_onesweep_config_selectorIiiEEZZNS1_29radix_sort_onesweep_iterationIS3_Lb0EN6thrust23THRUST_200600_302600_NS6detail15normal_iteratorINS8_10device_ptrIiEEEESD_SD_SD_jNS0_19identity_decomposerENS1_16block_id_wrapperIjLb0EEEEE10hipError_tT1_PNSt15iterator_traitsISI_E10value_typeET2_T3_PNSJ_ISO_E10value_typeET4_T5_PST_SU_PNS1_23onesweep_lookback_stateEbbT6_jjT7_P12ihipStream_tbENKUlT_T0_SI_SN_E_clISD_SD_SD_SD_EEDaS11_S12_SI_SN_EUlS11_E_NS1_11comp_targetILNS1_3genE5ELNS1_11target_archE942ELNS1_3gpuE9ELNS1_3repE0EEENS1_47radix_sort_onesweep_sort_config_static_selectorELNS0_4arch9wavefront6targetE1EEEvSI_
	.globl	_ZN7rocprim17ROCPRIM_400000_NS6detail17trampoline_kernelINS0_14default_configENS1_35radix_sort_onesweep_config_selectorIiiEEZZNS1_29radix_sort_onesweep_iterationIS3_Lb0EN6thrust23THRUST_200600_302600_NS6detail15normal_iteratorINS8_10device_ptrIiEEEESD_SD_SD_jNS0_19identity_decomposerENS1_16block_id_wrapperIjLb0EEEEE10hipError_tT1_PNSt15iterator_traitsISI_E10value_typeET2_T3_PNSJ_ISO_E10value_typeET4_T5_PST_SU_PNS1_23onesweep_lookback_stateEbbT6_jjT7_P12ihipStream_tbENKUlT_T0_SI_SN_E_clISD_SD_SD_SD_EEDaS11_S12_SI_SN_EUlS11_E_NS1_11comp_targetILNS1_3genE5ELNS1_11target_archE942ELNS1_3gpuE9ELNS1_3repE0EEENS1_47radix_sort_onesweep_sort_config_static_selectorELNS0_4arch9wavefront6targetE1EEEvSI_
	.p2align	8
	.type	_ZN7rocprim17ROCPRIM_400000_NS6detail17trampoline_kernelINS0_14default_configENS1_35radix_sort_onesweep_config_selectorIiiEEZZNS1_29radix_sort_onesweep_iterationIS3_Lb0EN6thrust23THRUST_200600_302600_NS6detail15normal_iteratorINS8_10device_ptrIiEEEESD_SD_SD_jNS0_19identity_decomposerENS1_16block_id_wrapperIjLb0EEEEE10hipError_tT1_PNSt15iterator_traitsISI_E10value_typeET2_T3_PNSJ_ISO_E10value_typeET4_T5_PST_SU_PNS1_23onesweep_lookback_stateEbbT6_jjT7_P12ihipStream_tbENKUlT_T0_SI_SN_E_clISD_SD_SD_SD_EEDaS11_S12_SI_SN_EUlS11_E_NS1_11comp_targetILNS1_3genE5ELNS1_11target_archE942ELNS1_3gpuE9ELNS1_3repE0EEENS1_47radix_sort_onesweep_sort_config_static_selectorELNS0_4arch9wavefront6targetE1EEEvSI_,@function
_ZN7rocprim17ROCPRIM_400000_NS6detail17trampoline_kernelINS0_14default_configENS1_35radix_sort_onesweep_config_selectorIiiEEZZNS1_29radix_sort_onesweep_iterationIS3_Lb0EN6thrust23THRUST_200600_302600_NS6detail15normal_iteratorINS8_10device_ptrIiEEEESD_SD_SD_jNS0_19identity_decomposerENS1_16block_id_wrapperIjLb0EEEEE10hipError_tT1_PNSt15iterator_traitsISI_E10value_typeET2_T3_PNSJ_ISO_E10value_typeET4_T5_PST_SU_PNS1_23onesweep_lookback_stateEbbT6_jjT7_P12ihipStream_tbENKUlT_T0_SI_SN_E_clISD_SD_SD_SD_EEDaS11_S12_SI_SN_EUlS11_E_NS1_11comp_targetILNS1_3genE5ELNS1_11target_archE942ELNS1_3gpuE9ELNS1_3repE0EEENS1_47radix_sort_onesweep_sort_config_static_selectorELNS0_4arch9wavefront6targetE1EEEvSI_: ; @_ZN7rocprim17ROCPRIM_400000_NS6detail17trampoline_kernelINS0_14default_configENS1_35radix_sort_onesweep_config_selectorIiiEEZZNS1_29radix_sort_onesweep_iterationIS3_Lb0EN6thrust23THRUST_200600_302600_NS6detail15normal_iteratorINS8_10device_ptrIiEEEESD_SD_SD_jNS0_19identity_decomposerENS1_16block_id_wrapperIjLb0EEEEE10hipError_tT1_PNSt15iterator_traitsISI_E10value_typeET2_T3_PNSJ_ISO_E10value_typeET4_T5_PST_SU_PNS1_23onesweep_lookback_stateEbbT6_jjT7_P12ihipStream_tbENKUlT_T0_SI_SN_E_clISD_SD_SD_SD_EEDaS11_S12_SI_SN_EUlS11_E_NS1_11comp_targetILNS1_3genE5ELNS1_11target_archE942ELNS1_3gpuE9ELNS1_3repE0EEENS1_47radix_sort_onesweep_sort_config_static_selectorELNS0_4arch9wavefront6targetE1EEEvSI_
; %bb.0:
	.section	.rodata,"a",@progbits
	.p2align	6, 0x0
	.amdhsa_kernel _ZN7rocprim17ROCPRIM_400000_NS6detail17trampoline_kernelINS0_14default_configENS1_35radix_sort_onesweep_config_selectorIiiEEZZNS1_29radix_sort_onesweep_iterationIS3_Lb0EN6thrust23THRUST_200600_302600_NS6detail15normal_iteratorINS8_10device_ptrIiEEEESD_SD_SD_jNS0_19identity_decomposerENS1_16block_id_wrapperIjLb0EEEEE10hipError_tT1_PNSt15iterator_traitsISI_E10value_typeET2_T3_PNSJ_ISO_E10value_typeET4_T5_PST_SU_PNS1_23onesweep_lookback_stateEbbT6_jjT7_P12ihipStream_tbENKUlT_T0_SI_SN_E_clISD_SD_SD_SD_EEDaS11_S12_SI_SN_EUlS11_E_NS1_11comp_targetILNS1_3genE5ELNS1_11target_archE942ELNS1_3gpuE9ELNS1_3repE0EEENS1_47radix_sort_onesweep_sort_config_static_selectorELNS0_4arch9wavefront6targetE1EEEvSI_
		.amdhsa_group_segment_fixed_size 0
		.amdhsa_private_segment_fixed_size 0
		.amdhsa_kernarg_size 88
		.amdhsa_user_sgpr_count 2
		.amdhsa_user_sgpr_dispatch_ptr 0
		.amdhsa_user_sgpr_queue_ptr 0
		.amdhsa_user_sgpr_kernarg_segment_ptr 1
		.amdhsa_user_sgpr_dispatch_id 0
		.amdhsa_user_sgpr_kernarg_preload_length 0
		.amdhsa_user_sgpr_kernarg_preload_offset 0
		.amdhsa_user_sgpr_private_segment_size 0
		.amdhsa_uses_dynamic_stack 0
		.amdhsa_enable_private_segment 0
		.amdhsa_system_sgpr_workgroup_id_x 1
		.amdhsa_system_sgpr_workgroup_id_y 0
		.amdhsa_system_sgpr_workgroup_id_z 0
		.amdhsa_system_sgpr_workgroup_info 0
		.amdhsa_system_vgpr_workitem_id 0
		.amdhsa_next_free_vgpr 1
		.amdhsa_next_free_sgpr 0
		.amdhsa_accum_offset 4
		.amdhsa_reserve_vcc 0
		.amdhsa_float_round_mode_32 0
		.amdhsa_float_round_mode_16_64 0
		.amdhsa_float_denorm_mode_32 3
		.amdhsa_float_denorm_mode_16_64 3
		.amdhsa_dx10_clamp 1
		.amdhsa_ieee_mode 1
		.amdhsa_fp16_overflow 0
		.amdhsa_tg_split 0
		.amdhsa_exception_fp_ieee_invalid_op 0
		.amdhsa_exception_fp_denorm_src 0
		.amdhsa_exception_fp_ieee_div_zero 0
		.amdhsa_exception_fp_ieee_overflow 0
		.amdhsa_exception_fp_ieee_underflow 0
		.amdhsa_exception_fp_ieee_inexact 0
		.amdhsa_exception_int_div_zero 0
	.end_amdhsa_kernel
	.section	.text._ZN7rocprim17ROCPRIM_400000_NS6detail17trampoline_kernelINS0_14default_configENS1_35radix_sort_onesweep_config_selectorIiiEEZZNS1_29radix_sort_onesweep_iterationIS3_Lb0EN6thrust23THRUST_200600_302600_NS6detail15normal_iteratorINS8_10device_ptrIiEEEESD_SD_SD_jNS0_19identity_decomposerENS1_16block_id_wrapperIjLb0EEEEE10hipError_tT1_PNSt15iterator_traitsISI_E10value_typeET2_T3_PNSJ_ISO_E10value_typeET4_T5_PST_SU_PNS1_23onesweep_lookback_stateEbbT6_jjT7_P12ihipStream_tbENKUlT_T0_SI_SN_E_clISD_SD_SD_SD_EEDaS11_S12_SI_SN_EUlS11_E_NS1_11comp_targetILNS1_3genE5ELNS1_11target_archE942ELNS1_3gpuE9ELNS1_3repE0EEENS1_47radix_sort_onesweep_sort_config_static_selectorELNS0_4arch9wavefront6targetE1EEEvSI_,"axG",@progbits,_ZN7rocprim17ROCPRIM_400000_NS6detail17trampoline_kernelINS0_14default_configENS1_35radix_sort_onesweep_config_selectorIiiEEZZNS1_29radix_sort_onesweep_iterationIS3_Lb0EN6thrust23THRUST_200600_302600_NS6detail15normal_iteratorINS8_10device_ptrIiEEEESD_SD_SD_jNS0_19identity_decomposerENS1_16block_id_wrapperIjLb0EEEEE10hipError_tT1_PNSt15iterator_traitsISI_E10value_typeET2_T3_PNSJ_ISO_E10value_typeET4_T5_PST_SU_PNS1_23onesweep_lookback_stateEbbT6_jjT7_P12ihipStream_tbENKUlT_T0_SI_SN_E_clISD_SD_SD_SD_EEDaS11_S12_SI_SN_EUlS11_E_NS1_11comp_targetILNS1_3genE5ELNS1_11target_archE942ELNS1_3gpuE9ELNS1_3repE0EEENS1_47radix_sort_onesweep_sort_config_static_selectorELNS0_4arch9wavefront6targetE1EEEvSI_,comdat
.Lfunc_end1448:
	.size	_ZN7rocprim17ROCPRIM_400000_NS6detail17trampoline_kernelINS0_14default_configENS1_35radix_sort_onesweep_config_selectorIiiEEZZNS1_29radix_sort_onesweep_iterationIS3_Lb0EN6thrust23THRUST_200600_302600_NS6detail15normal_iteratorINS8_10device_ptrIiEEEESD_SD_SD_jNS0_19identity_decomposerENS1_16block_id_wrapperIjLb0EEEEE10hipError_tT1_PNSt15iterator_traitsISI_E10value_typeET2_T3_PNSJ_ISO_E10value_typeET4_T5_PST_SU_PNS1_23onesweep_lookback_stateEbbT6_jjT7_P12ihipStream_tbENKUlT_T0_SI_SN_E_clISD_SD_SD_SD_EEDaS11_S12_SI_SN_EUlS11_E_NS1_11comp_targetILNS1_3genE5ELNS1_11target_archE942ELNS1_3gpuE9ELNS1_3repE0EEENS1_47radix_sort_onesweep_sort_config_static_selectorELNS0_4arch9wavefront6targetE1EEEvSI_, .Lfunc_end1448-_ZN7rocprim17ROCPRIM_400000_NS6detail17trampoline_kernelINS0_14default_configENS1_35radix_sort_onesweep_config_selectorIiiEEZZNS1_29radix_sort_onesweep_iterationIS3_Lb0EN6thrust23THRUST_200600_302600_NS6detail15normal_iteratorINS8_10device_ptrIiEEEESD_SD_SD_jNS0_19identity_decomposerENS1_16block_id_wrapperIjLb0EEEEE10hipError_tT1_PNSt15iterator_traitsISI_E10value_typeET2_T3_PNSJ_ISO_E10value_typeET4_T5_PST_SU_PNS1_23onesweep_lookback_stateEbbT6_jjT7_P12ihipStream_tbENKUlT_T0_SI_SN_E_clISD_SD_SD_SD_EEDaS11_S12_SI_SN_EUlS11_E_NS1_11comp_targetILNS1_3genE5ELNS1_11target_archE942ELNS1_3gpuE9ELNS1_3repE0EEENS1_47radix_sort_onesweep_sort_config_static_selectorELNS0_4arch9wavefront6targetE1EEEvSI_
                                        ; -- End function
	.set _ZN7rocprim17ROCPRIM_400000_NS6detail17trampoline_kernelINS0_14default_configENS1_35radix_sort_onesweep_config_selectorIiiEEZZNS1_29radix_sort_onesweep_iterationIS3_Lb0EN6thrust23THRUST_200600_302600_NS6detail15normal_iteratorINS8_10device_ptrIiEEEESD_SD_SD_jNS0_19identity_decomposerENS1_16block_id_wrapperIjLb0EEEEE10hipError_tT1_PNSt15iterator_traitsISI_E10value_typeET2_T3_PNSJ_ISO_E10value_typeET4_T5_PST_SU_PNS1_23onesweep_lookback_stateEbbT6_jjT7_P12ihipStream_tbENKUlT_T0_SI_SN_E_clISD_SD_SD_SD_EEDaS11_S12_SI_SN_EUlS11_E_NS1_11comp_targetILNS1_3genE5ELNS1_11target_archE942ELNS1_3gpuE9ELNS1_3repE0EEENS1_47radix_sort_onesweep_sort_config_static_selectorELNS0_4arch9wavefront6targetE1EEEvSI_.num_vgpr, 0
	.set _ZN7rocprim17ROCPRIM_400000_NS6detail17trampoline_kernelINS0_14default_configENS1_35radix_sort_onesweep_config_selectorIiiEEZZNS1_29radix_sort_onesweep_iterationIS3_Lb0EN6thrust23THRUST_200600_302600_NS6detail15normal_iteratorINS8_10device_ptrIiEEEESD_SD_SD_jNS0_19identity_decomposerENS1_16block_id_wrapperIjLb0EEEEE10hipError_tT1_PNSt15iterator_traitsISI_E10value_typeET2_T3_PNSJ_ISO_E10value_typeET4_T5_PST_SU_PNS1_23onesweep_lookback_stateEbbT6_jjT7_P12ihipStream_tbENKUlT_T0_SI_SN_E_clISD_SD_SD_SD_EEDaS11_S12_SI_SN_EUlS11_E_NS1_11comp_targetILNS1_3genE5ELNS1_11target_archE942ELNS1_3gpuE9ELNS1_3repE0EEENS1_47radix_sort_onesweep_sort_config_static_selectorELNS0_4arch9wavefront6targetE1EEEvSI_.num_agpr, 0
	.set _ZN7rocprim17ROCPRIM_400000_NS6detail17trampoline_kernelINS0_14default_configENS1_35radix_sort_onesweep_config_selectorIiiEEZZNS1_29radix_sort_onesweep_iterationIS3_Lb0EN6thrust23THRUST_200600_302600_NS6detail15normal_iteratorINS8_10device_ptrIiEEEESD_SD_SD_jNS0_19identity_decomposerENS1_16block_id_wrapperIjLb0EEEEE10hipError_tT1_PNSt15iterator_traitsISI_E10value_typeET2_T3_PNSJ_ISO_E10value_typeET4_T5_PST_SU_PNS1_23onesweep_lookback_stateEbbT6_jjT7_P12ihipStream_tbENKUlT_T0_SI_SN_E_clISD_SD_SD_SD_EEDaS11_S12_SI_SN_EUlS11_E_NS1_11comp_targetILNS1_3genE5ELNS1_11target_archE942ELNS1_3gpuE9ELNS1_3repE0EEENS1_47radix_sort_onesweep_sort_config_static_selectorELNS0_4arch9wavefront6targetE1EEEvSI_.numbered_sgpr, 0
	.set _ZN7rocprim17ROCPRIM_400000_NS6detail17trampoline_kernelINS0_14default_configENS1_35radix_sort_onesweep_config_selectorIiiEEZZNS1_29radix_sort_onesweep_iterationIS3_Lb0EN6thrust23THRUST_200600_302600_NS6detail15normal_iteratorINS8_10device_ptrIiEEEESD_SD_SD_jNS0_19identity_decomposerENS1_16block_id_wrapperIjLb0EEEEE10hipError_tT1_PNSt15iterator_traitsISI_E10value_typeET2_T3_PNSJ_ISO_E10value_typeET4_T5_PST_SU_PNS1_23onesweep_lookback_stateEbbT6_jjT7_P12ihipStream_tbENKUlT_T0_SI_SN_E_clISD_SD_SD_SD_EEDaS11_S12_SI_SN_EUlS11_E_NS1_11comp_targetILNS1_3genE5ELNS1_11target_archE942ELNS1_3gpuE9ELNS1_3repE0EEENS1_47radix_sort_onesweep_sort_config_static_selectorELNS0_4arch9wavefront6targetE1EEEvSI_.num_named_barrier, 0
	.set _ZN7rocprim17ROCPRIM_400000_NS6detail17trampoline_kernelINS0_14default_configENS1_35radix_sort_onesweep_config_selectorIiiEEZZNS1_29radix_sort_onesweep_iterationIS3_Lb0EN6thrust23THRUST_200600_302600_NS6detail15normal_iteratorINS8_10device_ptrIiEEEESD_SD_SD_jNS0_19identity_decomposerENS1_16block_id_wrapperIjLb0EEEEE10hipError_tT1_PNSt15iterator_traitsISI_E10value_typeET2_T3_PNSJ_ISO_E10value_typeET4_T5_PST_SU_PNS1_23onesweep_lookback_stateEbbT6_jjT7_P12ihipStream_tbENKUlT_T0_SI_SN_E_clISD_SD_SD_SD_EEDaS11_S12_SI_SN_EUlS11_E_NS1_11comp_targetILNS1_3genE5ELNS1_11target_archE942ELNS1_3gpuE9ELNS1_3repE0EEENS1_47radix_sort_onesweep_sort_config_static_selectorELNS0_4arch9wavefront6targetE1EEEvSI_.private_seg_size, 0
	.set _ZN7rocprim17ROCPRIM_400000_NS6detail17trampoline_kernelINS0_14default_configENS1_35radix_sort_onesweep_config_selectorIiiEEZZNS1_29radix_sort_onesweep_iterationIS3_Lb0EN6thrust23THRUST_200600_302600_NS6detail15normal_iteratorINS8_10device_ptrIiEEEESD_SD_SD_jNS0_19identity_decomposerENS1_16block_id_wrapperIjLb0EEEEE10hipError_tT1_PNSt15iterator_traitsISI_E10value_typeET2_T3_PNSJ_ISO_E10value_typeET4_T5_PST_SU_PNS1_23onesweep_lookback_stateEbbT6_jjT7_P12ihipStream_tbENKUlT_T0_SI_SN_E_clISD_SD_SD_SD_EEDaS11_S12_SI_SN_EUlS11_E_NS1_11comp_targetILNS1_3genE5ELNS1_11target_archE942ELNS1_3gpuE9ELNS1_3repE0EEENS1_47radix_sort_onesweep_sort_config_static_selectorELNS0_4arch9wavefront6targetE1EEEvSI_.uses_vcc, 0
	.set _ZN7rocprim17ROCPRIM_400000_NS6detail17trampoline_kernelINS0_14default_configENS1_35radix_sort_onesweep_config_selectorIiiEEZZNS1_29radix_sort_onesweep_iterationIS3_Lb0EN6thrust23THRUST_200600_302600_NS6detail15normal_iteratorINS8_10device_ptrIiEEEESD_SD_SD_jNS0_19identity_decomposerENS1_16block_id_wrapperIjLb0EEEEE10hipError_tT1_PNSt15iterator_traitsISI_E10value_typeET2_T3_PNSJ_ISO_E10value_typeET4_T5_PST_SU_PNS1_23onesweep_lookback_stateEbbT6_jjT7_P12ihipStream_tbENKUlT_T0_SI_SN_E_clISD_SD_SD_SD_EEDaS11_S12_SI_SN_EUlS11_E_NS1_11comp_targetILNS1_3genE5ELNS1_11target_archE942ELNS1_3gpuE9ELNS1_3repE0EEENS1_47radix_sort_onesweep_sort_config_static_selectorELNS0_4arch9wavefront6targetE1EEEvSI_.uses_flat_scratch, 0
	.set _ZN7rocprim17ROCPRIM_400000_NS6detail17trampoline_kernelINS0_14default_configENS1_35radix_sort_onesweep_config_selectorIiiEEZZNS1_29radix_sort_onesweep_iterationIS3_Lb0EN6thrust23THRUST_200600_302600_NS6detail15normal_iteratorINS8_10device_ptrIiEEEESD_SD_SD_jNS0_19identity_decomposerENS1_16block_id_wrapperIjLb0EEEEE10hipError_tT1_PNSt15iterator_traitsISI_E10value_typeET2_T3_PNSJ_ISO_E10value_typeET4_T5_PST_SU_PNS1_23onesweep_lookback_stateEbbT6_jjT7_P12ihipStream_tbENKUlT_T0_SI_SN_E_clISD_SD_SD_SD_EEDaS11_S12_SI_SN_EUlS11_E_NS1_11comp_targetILNS1_3genE5ELNS1_11target_archE942ELNS1_3gpuE9ELNS1_3repE0EEENS1_47radix_sort_onesweep_sort_config_static_selectorELNS0_4arch9wavefront6targetE1EEEvSI_.has_dyn_sized_stack, 0
	.set _ZN7rocprim17ROCPRIM_400000_NS6detail17trampoline_kernelINS0_14default_configENS1_35radix_sort_onesweep_config_selectorIiiEEZZNS1_29radix_sort_onesweep_iterationIS3_Lb0EN6thrust23THRUST_200600_302600_NS6detail15normal_iteratorINS8_10device_ptrIiEEEESD_SD_SD_jNS0_19identity_decomposerENS1_16block_id_wrapperIjLb0EEEEE10hipError_tT1_PNSt15iterator_traitsISI_E10value_typeET2_T3_PNSJ_ISO_E10value_typeET4_T5_PST_SU_PNS1_23onesweep_lookback_stateEbbT6_jjT7_P12ihipStream_tbENKUlT_T0_SI_SN_E_clISD_SD_SD_SD_EEDaS11_S12_SI_SN_EUlS11_E_NS1_11comp_targetILNS1_3genE5ELNS1_11target_archE942ELNS1_3gpuE9ELNS1_3repE0EEENS1_47radix_sort_onesweep_sort_config_static_selectorELNS0_4arch9wavefront6targetE1EEEvSI_.has_recursion, 0
	.set _ZN7rocprim17ROCPRIM_400000_NS6detail17trampoline_kernelINS0_14default_configENS1_35radix_sort_onesweep_config_selectorIiiEEZZNS1_29radix_sort_onesweep_iterationIS3_Lb0EN6thrust23THRUST_200600_302600_NS6detail15normal_iteratorINS8_10device_ptrIiEEEESD_SD_SD_jNS0_19identity_decomposerENS1_16block_id_wrapperIjLb0EEEEE10hipError_tT1_PNSt15iterator_traitsISI_E10value_typeET2_T3_PNSJ_ISO_E10value_typeET4_T5_PST_SU_PNS1_23onesweep_lookback_stateEbbT6_jjT7_P12ihipStream_tbENKUlT_T0_SI_SN_E_clISD_SD_SD_SD_EEDaS11_S12_SI_SN_EUlS11_E_NS1_11comp_targetILNS1_3genE5ELNS1_11target_archE942ELNS1_3gpuE9ELNS1_3repE0EEENS1_47radix_sort_onesweep_sort_config_static_selectorELNS0_4arch9wavefront6targetE1EEEvSI_.has_indirect_call, 0
	.section	.AMDGPU.csdata,"",@progbits
; Kernel info:
; codeLenInByte = 0
; TotalNumSgprs: 6
; NumVgprs: 0
; NumAgprs: 0
; TotalNumVgprs: 0
; ScratchSize: 0
; MemoryBound: 0
; FloatMode: 240
; IeeeMode: 1
; LDSByteSize: 0 bytes/workgroup (compile time only)
; SGPRBlocks: 0
; VGPRBlocks: 0
; NumSGPRsForWavesPerEU: 6
; NumVGPRsForWavesPerEU: 1
; AccumOffset: 4
; Occupancy: 8
; WaveLimiterHint : 0
; COMPUTE_PGM_RSRC2:SCRATCH_EN: 0
; COMPUTE_PGM_RSRC2:USER_SGPR: 2
; COMPUTE_PGM_RSRC2:TRAP_HANDLER: 0
; COMPUTE_PGM_RSRC2:TGID_X_EN: 1
; COMPUTE_PGM_RSRC2:TGID_Y_EN: 0
; COMPUTE_PGM_RSRC2:TGID_Z_EN: 0
; COMPUTE_PGM_RSRC2:TIDIG_COMP_CNT: 0
; COMPUTE_PGM_RSRC3_GFX90A:ACCUM_OFFSET: 0
; COMPUTE_PGM_RSRC3_GFX90A:TG_SPLIT: 0
	.section	.text._ZN7rocprim17ROCPRIM_400000_NS6detail17trampoline_kernelINS0_14default_configENS1_35radix_sort_onesweep_config_selectorIiiEEZZNS1_29radix_sort_onesweep_iterationIS3_Lb0EN6thrust23THRUST_200600_302600_NS6detail15normal_iteratorINS8_10device_ptrIiEEEESD_SD_SD_jNS0_19identity_decomposerENS1_16block_id_wrapperIjLb0EEEEE10hipError_tT1_PNSt15iterator_traitsISI_E10value_typeET2_T3_PNSJ_ISO_E10value_typeET4_T5_PST_SU_PNS1_23onesweep_lookback_stateEbbT6_jjT7_P12ihipStream_tbENKUlT_T0_SI_SN_E_clISD_SD_SD_SD_EEDaS11_S12_SI_SN_EUlS11_E_NS1_11comp_targetILNS1_3genE2ELNS1_11target_archE906ELNS1_3gpuE6ELNS1_3repE0EEENS1_47radix_sort_onesweep_sort_config_static_selectorELNS0_4arch9wavefront6targetE1EEEvSI_,"axG",@progbits,_ZN7rocprim17ROCPRIM_400000_NS6detail17trampoline_kernelINS0_14default_configENS1_35radix_sort_onesweep_config_selectorIiiEEZZNS1_29radix_sort_onesweep_iterationIS3_Lb0EN6thrust23THRUST_200600_302600_NS6detail15normal_iteratorINS8_10device_ptrIiEEEESD_SD_SD_jNS0_19identity_decomposerENS1_16block_id_wrapperIjLb0EEEEE10hipError_tT1_PNSt15iterator_traitsISI_E10value_typeET2_T3_PNSJ_ISO_E10value_typeET4_T5_PST_SU_PNS1_23onesweep_lookback_stateEbbT6_jjT7_P12ihipStream_tbENKUlT_T0_SI_SN_E_clISD_SD_SD_SD_EEDaS11_S12_SI_SN_EUlS11_E_NS1_11comp_targetILNS1_3genE2ELNS1_11target_archE906ELNS1_3gpuE6ELNS1_3repE0EEENS1_47radix_sort_onesweep_sort_config_static_selectorELNS0_4arch9wavefront6targetE1EEEvSI_,comdat
	.protected	_ZN7rocprim17ROCPRIM_400000_NS6detail17trampoline_kernelINS0_14default_configENS1_35radix_sort_onesweep_config_selectorIiiEEZZNS1_29radix_sort_onesweep_iterationIS3_Lb0EN6thrust23THRUST_200600_302600_NS6detail15normal_iteratorINS8_10device_ptrIiEEEESD_SD_SD_jNS0_19identity_decomposerENS1_16block_id_wrapperIjLb0EEEEE10hipError_tT1_PNSt15iterator_traitsISI_E10value_typeET2_T3_PNSJ_ISO_E10value_typeET4_T5_PST_SU_PNS1_23onesweep_lookback_stateEbbT6_jjT7_P12ihipStream_tbENKUlT_T0_SI_SN_E_clISD_SD_SD_SD_EEDaS11_S12_SI_SN_EUlS11_E_NS1_11comp_targetILNS1_3genE2ELNS1_11target_archE906ELNS1_3gpuE6ELNS1_3repE0EEENS1_47radix_sort_onesweep_sort_config_static_selectorELNS0_4arch9wavefront6targetE1EEEvSI_ ; -- Begin function _ZN7rocprim17ROCPRIM_400000_NS6detail17trampoline_kernelINS0_14default_configENS1_35radix_sort_onesweep_config_selectorIiiEEZZNS1_29radix_sort_onesweep_iterationIS3_Lb0EN6thrust23THRUST_200600_302600_NS6detail15normal_iteratorINS8_10device_ptrIiEEEESD_SD_SD_jNS0_19identity_decomposerENS1_16block_id_wrapperIjLb0EEEEE10hipError_tT1_PNSt15iterator_traitsISI_E10value_typeET2_T3_PNSJ_ISO_E10value_typeET4_T5_PST_SU_PNS1_23onesweep_lookback_stateEbbT6_jjT7_P12ihipStream_tbENKUlT_T0_SI_SN_E_clISD_SD_SD_SD_EEDaS11_S12_SI_SN_EUlS11_E_NS1_11comp_targetILNS1_3genE2ELNS1_11target_archE906ELNS1_3gpuE6ELNS1_3repE0EEENS1_47radix_sort_onesweep_sort_config_static_selectorELNS0_4arch9wavefront6targetE1EEEvSI_
	.globl	_ZN7rocprim17ROCPRIM_400000_NS6detail17trampoline_kernelINS0_14default_configENS1_35radix_sort_onesweep_config_selectorIiiEEZZNS1_29radix_sort_onesweep_iterationIS3_Lb0EN6thrust23THRUST_200600_302600_NS6detail15normal_iteratorINS8_10device_ptrIiEEEESD_SD_SD_jNS0_19identity_decomposerENS1_16block_id_wrapperIjLb0EEEEE10hipError_tT1_PNSt15iterator_traitsISI_E10value_typeET2_T3_PNSJ_ISO_E10value_typeET4_T5_PST_SU_PNS1_23onesweep_lookback_stateEbbT6_jjT7_P12ihipStream_tbENKUlT_T0_SI_SN_E_clISD_SD_SD_SD_EEDaS11_S12_SI_SN_EUlS11_E_NS1_11comp_targetILNS1_3genE2ELNS1_11target_archE906ELNS1_3gpuE6ELNS1_3repE0EEENS1_47radix_sort_onesweep_sort_config_static_selectorELNS0_4arch9wavefront6targetE1EEEvSI_
	.p2align	8
	.type	_ZN7rocprim17ROCPRIM_400000_NS6detail17trampoline_kernelINS0_14default_configENS1_35radix_sort_onesweep_config_selectorIiiEEZZNS1_29radix_sort_onesweep_iterationIS3_Lb0EN6thrust23THRUST_200600_302600_NS6detail15normal_iteratorINS8_10device_ptrIiEEEESD_SD_SD_jNS0_19identity_decomposerENS1_16block_id_wrapperIjLb0EEEEE10hipError_tT1_PNSt15iterator_traitsISI_E10value_typeET2_T3_PNSJ_ISO_E10value_typeET4_T5_PST_SU_PNS1_23onesweep_lookback_stateEbbT6_jjT7_P12ihipStream_tbENKUlT_T0_SI_SN_E_clISD_SD_SD_SD_EEDaS11_S12_SI_SN_EUlS11_E_NS1_11comp_targetILNS1_3genE2ELNS1_11target_archE906ELNS1_3gpuE6ELNS1_3repE0EEENS1_47radix_sort_onesweep_sort_config_static_selectorELNS0_4arch9wavefront6targetE1EEEvSI_,@function
_ZN7rocprim17ROCPRIM_400000_NS6detail17trampoline_kernelINS0_14default_configENS1_35radix_sort_onesweep_config_selectorIiiEEZZNS1_29radix_sort_onesweep_iterationIS3_Lb0EN6thrust23THRUST_200600_302600_NS6detail15normal_iteratorINS8_10device_ptrIiEEEESD_SD_SD_jNS0_19identity_decomposerENS1_16block_id_wrapperIjLb0EEEEE10hipError_tT1_PNSt15iterator_traitsISI_E10value_typeET2_T3_PNSJ_ISO_E10value_typeET4_T5_PST_SU_PNS1_23onesweep_lookback_stateEbbT6_jjT7_P12ihipStream_tbENKUlT_T0_SI_SN_E_clISD_SD_SD_SD_EEDaS11_S12_SI_SN_EUlS11_E_NS1_11comp_targetILNS1_3genE2ELNS1_11target_archE906ELNS1_3gpuE6ELNS1_3repE0EEENS1_47radix_sort_onesweep_sort_config_static_selectorELNS0_4arch9wavefront6targetE1EEEvSI_: ; @_ZN7rocprim17ROCPRIM_400000_NS6detail17trampoline_kernelINS0_14default_configENS1_35radix_sort_onesweep_config_selectorIiiEEZZNS1_29radix_sort_onesweep_iterationIS3_Lb0EN6thrust23THRUST_200600_302600_NS6detail15normal_iteratorINS8_10device_ptrIiEEEESD_SD_SD_jNS0_19identity_decomposerENS1_16block_id_wrapperIjLb0EEEEE10hipError_tT1_PNSt15iterator_traitsISI_E10value_typeET2_T3_PNSJ_ISO_E10value_typeET4_T5_PST_SU_PNS1_23onesweep_lookback_stateEbbT6_jjT7_P12ihipStream_tbENKUlT_T0_SI_SN_E_clISD_SD_SD_SD_EEDaS11_S12_SI_SN_EUlS11_E_NS1_11comp_targetILNS1_3genE2ELNS1_11target_archE906ELNS1_3gpuE6ELNS1_3repE0EEENS1_47radix_sort_onesweep_sort_config_static_selectorELNS0_4arch9wavefront6targetE1EEEvSI_
; %bb.0:
	.section	.rodata,"a",@progbits
	.p2align	6, 0x0
	.amdhsa_kernel _ZN7rocprim17ROCPRIM_400000_NS6detail17trampoline_kernelINS0_14default_configENS1_35radix_sort_onesweep_config_selectorIiiEEZZNS1_29radix_sort_onesweep_iterationIS3_Lb0EN6thrust23THRUST_200600_302600_NS6detail15normal_iteratorINS8_10device_ptrIiEEEESD_SD_SD_jNS0_19identity_decomposerENS1_16block_id_wrapperIjLb0EEEEE10hipError_tT1_PNSt15iterator_traitsISI_E10value_typeET2_T3_PNSJ_ISO_E10value_typeET4_T5_PST_SU_PNS1_23onesweep_lookback_stateEbbT6_jjT7_P12ihipStream_tbENKUlT_T0_SI_SN_E_clISD_SD_SD_SD_EEDaS11_S12_SI_SN_EUlS11_E_NS1_11comp_targetILNS1_3genE2ELNS1_11target_archE906ELNS1_3gpuE6ELNS1_3repE0EEENS1_47radix_sort_onesweep_sort_config_static_selectorELNS0_4arch9wavefront6targetE1EEEvSI_
		.amdhsa_group_segment_fixed_size 0
		.amdhsa_private_segment_fixed_size 0
		.amdhsa_kernarg_size 88
		.amdhsa_user_sgpr_count 2
		.amdhsa_user_sgpr_dispatch_ptr 0
		.amdhsa_user_sgpr_queue_ptr 0
		.amdhsa_user_sgpr_kernarg_segment_ptr 1
		.amdhsa_user_sgpr_dispatch_id 0
		.amdhsa_user_sgpr_kernarg_preload_length 0
		.amdhsa_user_sgpr_kernarg_preload_offset 0
		.amdhsa_user_sgpr_private_segment_size 0
		.amdhsa_uses_dynamic_stack 0
		.amdhsa_enable_private_segment 0
		.amdhsa_system_sgpr_workgroup_id_x 1
		.amdhsa_system_sgpr_workgroup_id_y 0
		.amdhsa_system_sgpr_workgroup_id_z 0
		.amdhsa_system_sgpr_workgroup_info 0
		.amdhsa_system_vgpr_workitem_id 0
		.amdhsa_next_free_vgpr 1
		.amdhsa_next_free_sgpr 0
		.amdhsa_accum_offset 4
		.amdhsa_reserve_vcc 0
		.amdhsa_float_round_mode_32 0
		.amdhsa_float_round_mode_16_64 0
		.amdhsa_float_denorm_mode_32 3
		.amdhsa_float_denorm_mode_16_64 3
		.amdhsa_dx10_clamp 1
		.amdhsa_ieee_mode 1
		.amdhsa_fp16_overflow 0
		.amdhsa_tg_split 0
		.amdhsa_exception_fp_ieee_invalid_op 0
		.amdhsa_exception_fp_denorm_src 0
		.amdhsa_exception_fp_ieee_div_zero 0
		.amdhsa_exception_fp_ieee_overflow 0
		.amdhsa_exception_fp_ieee_underflow 0
		.amdhsa_exception_fp_ieee_inexact 0
		.amdhsa_exception_int_div_zero 0
	.end_amdhsa_kernel
	.section	.text._ZN7rocprim17ROCPRIM_400000_NS6detail17trampoline_kernelINS0_14default_configENS1_35radix_sort_onesweep_config_selectorIiiEEZZNS1_29radix_sort_onesweep_iterationIS3_Lb0EN6thrust23THRUST_200600_302600_NS6detail15normal_iteratorINS8_10device_ptrIiEEEESD_SD_SD_jNS0_19identity_decomposerENS1_16block_id_wrapperIjLb0EEEEE10hipError_tT1_PNSt15iterator_traitsISI_E10value_typeET2_T3_PNSJ_ISO_E10value_typeET4_T5_PST_SU_PNS1_23onesweep_lookback_stateEbbT6_jjT7_P12ihipStream_tbENKUlT_T0_SI_SN_E_clISD_SD_SD_SD_EEDaS11_S12_SI_SN_EUlS11_E_NS1_11comp_targetILNS1_3genE2ELNS1_11target_archE906ELNS1_3gpuE6ELNS1_3repE0EEENS1_47radix_sort_onesweep_sort_config_static_selectorELNS0_4arch9wavefront6targetE1EEEvSI_,"axG",@progbits,_ZN7rocprim17ROCPRIM_400000_NS6detail17trampoline_kernelINS0_14default_configENS1_35radix_sort_onesweep_config_selectorIiiEEZZNS1_29radix_sort_onesweep_iterationIS3_Lb0EN6thrust23THRUST_200600_302600_NS6detail15normal_iteratorINS8_10device_ptrIiEEEESD_SD_SD_jNS0_19identity_decomposerENS1_16block_id_wrapperIjLb0EEEEE10hipError_tT1_PNSt15iterator_traitsISI_E10value_typeET2_T3_PNSJ_ISO_E10value_typeET4_T5_PST_SU_PNS1_23onesweep_lookback_stateEbbT6_jjT7_P12ihipStream_tbENKUlT_T0_SI_SN_E_clISD_SD_SD_SD_EEDaS11_S12_SI_SN_EUlS11_E_NS1_11comp_targetILNS1_3genE2ELNS1_11target_archE906ELNS1_3gpuE6ELNS1_3repE0EEENS1_47radix_sort_onesweep_sort_config_static_selectorELNS0_4arch9wavefront6targetE1EEEvSI_,comdat
.Lfunc_end1449:
	.size	_ZN7rocprim17ROCPRIM_400000_NS6detail17trampoline_kernelINS0_14default_configENS1_35radix_sort_onesweep_config_selectorIiiEEZZNS1_29radix_sort_onesweep_iterationIS3_Lb0EN6thrust23THRUST_200600_302600_NS6detail15normal_iteratorINS8_10device_ptrIiEEEESD_SD_SD_jNS0_19identity_decomposerENS1_16block_id_wrapperIjLb0EEEEE10hipError_tT1_PNSt15iterator_traitsISI_E10value_typeET2_T3_PNSJ_ISO_E10value_typeET4_T5_PST_SU_PNS1_23onesweep_lookback_stateEbbT6_jjT7_P12ihipStream_tbENKUlT_T0_SI_SN_E_clISD_SD_SD_SD_EEDaS11_S12_SI_SN_EUlS11_E_NS1_11comp_targetILNS1_3genE2ELNS1_11target_archE906ELNS1_3gpuE6ELNS1_3repE0EEENS1_47radix_sort_onesweep_sort_config_static_selectorELNS0_4arch9wavefront6targetE1EEEvSI_, .Lfunc_end1449-_ZN7rocprim17ROCPRIM_400000_NS6detail17trampoline_kernelINS0_14default_configENS1_35radix_sort_onesweep_config_selectorIiiEEZZNS1_29radix_sort_onesweep_iterationIS3_Lb0EN6thrust23THRUST_200600_302600_NS6detail15normal_iteratorINS8_10device_ptrIiEEEESD_SD_SD_jNS0_19identity_decomposerENS1_16block_id_wrapperIjLb0EEEEE10hipError_tT1_PNSt15iterator_traitsISI_E10value_typeET2_T3_PNSJ_ISO_E10value_typeET4_T5_PST_SU_PNS1_23onesweep_lookback_stateEbbT6_jjT7_P12ihipStream_tbENKUlT_T0_SI_SN_E_clISD_SD_SD_SD_EEDaS11_S12_SI_SN_EUlS11_E_NS1_11comp_targetILNS1_3genE2ELNS1_11target_archE906ELNS1_3gpuE6ELNS1_3repE0EEENS1_47radix_sort_onesweep_sort_config_static_selectorELNS0_4arch9wavefront6targetE1EEEvSI_
                                        ; -- End function
	.set _ZN7rocprim17ROCPRIM_400000_NS6detail17trampoline_kernelINS0_14default_configENS1_35radix_sort_onesweep_config_selectorIiiEEZZNS1_29radix_sort_onesweep_iterationIS3_Lb0EN6thrust23THRUST_200600_302600_NS6detail15normal_iteratorINS8_10device_ptrIiEEEESD_SD_SD_jNS0_19identity_decomposerENS1_16block_id_wrapperIjLb0EEEEE10hipError_tT1_PNSt15iterator_traitsISI_E10value_typeET2_T3_PNSJ_ISO_E10value_typeET4_T5_PST_SU_PNS1_23onesweep_lookback_stateEbbT6_jjT7_P12ihipStream_tbENKUlT_T0_SI_SN_E_clISD_SD_SD_SD_EEDaS11_S12_SI_SN_EUlS11_E_NS1_11comp_targetILNS1_3genE2ELNS1_11target_archE906ELNS1_3gpuE6ELNS1_3repE0EEENS1_47radix_sort_onesweep_sort_config_static_selectorELNS0_4arch9wavefront6targetE1EEEvSI_.num_vgpr, 0
	.set _ZN7rocprim17ROCPRIM_400000_NS6detail17trampoline_kernelINS0_14default_configENS1_35radix_sort_onesweep_config_selectorIiiEEZZNS1_29radix_sort_onesweep_iterationIS3_Lb0EN6thrust23THRUST_200600_302600_NS6detail15normal_iteratorINS8_10device_ptrIiEEEESD_SD_SD_jNS0_19identity_decomposerENS1_16block_id_wrapperIjLb0EEEEE10hipError_tT1_PNSt15iterator_traitsISI_E10value_typeET2_T3_PNSJ_ISO_E10value_typeET4_T5_PST_SU_PNS1_23onesweep_lookback_stateEbbT6_jjT7_P12ihipStream_tbENKUlT_T0_SI_SN_E_clISD_SD_SD_SD_EEDaS11_S12_SI_SN_EUlS11_E_NS1_11comp_targetILNS1_3genE2ELNS1_11target_archE906ELNS1_3gpuE6ELNS1_3repE0EEENS1_47radix_sort_onesweep_sort_config_static_selectorELNS0_4arch9wavefront6targetE1EEEvSI_.num_agpr, 0
	.set _ZN7rocprim17ROCPRIM_400000_NS6detail17trampoline_kernelINS0_14default_configENS1_35radix_sort_onesweep_config_selectorIiiEEZZNS1_29radix_sort_onesweep_iterationIS3_Lb0EN6thrust23THRUST_200600_302600_NS6detail15normal_iteratorINS8_10device_ptrIiEEEESD_SD_SD_jNS0_19identity_decomposerENS1_16block_id_wrapperIjLb0EEEEE10hipError_tT1_PNSt15iterator_traitsISI_E10value_typeET2_T3_PNSJ_ISO_E10value_typeET4_T5_PST_SU_PNS1_23onesweep_lookback_stateEbbT6_jjT7_P12ihipStream_tbENKUlT_T0_SI_SN_E_clISD_SD_SD_SD_EEDaS11_S12_SI_SN_EUlS11_E_NS1_11comp_targetILNS1_3genE2ELNS1_11target_archE906ELNS1_3gpuE6ELNS1_3repE0EEENS1_47radix_sort_onesweep_sort_config_static_selectorELNS0_4arch9wavefront6targetE1EEEvSI_.numbered_sgpr, 0
	.set _ZN7rocprim17ROCPRIM_400000_NS6detail17trampoline_kernelINS0_14default_configENS1_35radix_sort_onesweep_config_selectorIiiEEZZNS1_29radix_sort_onesweep_iterationIS3_Lb0EN6thrust23THRUST_200600_302600_NS6detail15normal_iteratorINS8_10device_ptrIiEEEESD_SD_SD_jNS0_19identity_decomposerENS1_16block_id_wrapperIjLb0EEEEE10hipError_tT1_PNSt15iterator_traitsISI_E10value_typeET2_T3_PNSJ_ISO_E10value_typeET4_T5_PST_SU_PNS1_23onesweep_lookback_stateEbbT6_jjT7_P12ihipStream_tbENKUlT_T0_SI_SN_E_clISD_SD_SD_SD_EEDaS11_S12_SI_SN_EUlS11_E_NS1_11comp_targetILNS1_3genE2ELNS1_11target_archE906ELNS1_3gpuE6ELNS1_3repE0EEENS1_47radix_sort_onesweep_sort_config_static_selectorELNS0_4arch9wavefront6targetE1EEEvSI_.num_named_barrier, 0
	.set _ZN7rocprim17ROCPRIM_400000_NS6detail17trampoline_kernelINS0_14default_configENS1_35radix_sort_onesweep_config_selectorIiiEEZZNS1_29radix_sort_onesweep_iterationIS3_Lb0EN6thrust23THRUST_200600_302600_NS6detail15normal_iteratorINS8_10device_ptrIiEEEESD_SD_SD_jNS0_19identity_decomposerENS1_16block_id_wrapperIjLb0EEEEE10hipError_tT1_PNSt15iterator_traitsISI_E10value_typeET2_T3_PNSJ_ISO_E10value_typeET4_T5_PST_SU_PNS1_23onesweep_lookback_stateEbbT6_jjT7_P12ihipStream_tbENKUlT_T0_SI_SN_E_clISD_SD_SD_SD_EEDaS11_S12_SI_SN_EUlS11_E_NS1_11comp_targetILNS1_3genE2ELNS1_11target_archE906ELNS1_3gpuE6ELNS1_3repE0EEENS1_47radix_sort_onesweep_sort_config_static_selectorELNS0_4arch9wavefront6targetE1EEEvSI_.private_seg_size, 0
	.set _ZN7rocprim17ROCPRIM_400000_NS6detail17trampoline_kernelINS0_14default_configENS1_35radix_sort_onesweep_config_selectorIiiEEZZNS1_29radix_sort_onesweep_iterationIS3_Lb0EN6thrust23THRUST_200600_302600_NS6detail15normal_iteratorINS8_10device_ptrIiEEEESD_SD_SD_jNS0_19identity_decomposerENS1_16block_id_wrapperIjLb0EEEEE10hipError_tT1_PNSt15iterator_traitsISI_E10value_typeET2_T3_PNSJ_ISO_E10value_typeET4_T5_PST_SU_PNS1_23onesweep_lookback_stateEbbT6_jjT7_P12ihipStream_tbENKUlT_T0_SI_SN_E_clISD_SD_SD_SD_EEDaS11_S12_SI_SN_EUlS11_E_NS1_11comp_targetILNS1_3genE2ELNS1_11target_archE906ELNS1_3gpuE6ELNS1_3repE0EEENS1_47radix_sort_onesweep_sort_config_static_selectorELNS0_4arch9wavefront6targetE1EEEvSI_.uses_vcc, 0
	.set _ZN7rocprim17ROCPRIM_400000_NS6detail17trampoline_kernelINS0_14default_configENS1_35radix_sort_onesweep_config_selectorIiiEEZZNS1_29radix_sort_onesweep_iterationIS3_Lb0EN6thrust23THRUST_200600_302600_NS6detail15normal_iteratorINS8_10device_ptrIiEEEESD_SD_SD_jNS0_19identity_decomposerENS1_16block_id_wrapperIjLb0EEEEE10hipError_tT1_PNSt15iterator_traitsISI_E10value_typeET2_T3_PNSJ_ISO_E10value_typeET4_T5_PST_SU_PNS1_23onesweep_lookback_stateEbbT6_jjT7_P12ihipStream_tbENKUlT_T0_SI_SN_E_clISD_SD_SD_SD_EEDaS11_S12_SI_SN_EUlS11_E_NS1_11comp_targetILNS1_3genE2ELNS1_11target_archE906ELNS1_3gpuE6ELNS1_3repE0EEENS1_47radix_sort_onesweep_sort_config_static_selectorELNS0_4arch9wavefront6targetE1EEEvSI_.uses_flat_scratch, 0
	.set _ZN7rocprim17ROCPRIM_400000_NS6detail17trampoline_kernelINS0_14default_configENS1_35radix_sort_onesweep_config_selectorIiiEEZZNS1_29radix_sort_onesweep_iterationIS3_Lb0EN6thrust23THRUST_200600_302600_NS6detail15normal_iteratorINS8_10device_ptrIiEEEESD_SD_SD_jNS0_19identity_decomposerENS1_16block_id_wrapperIjLb0EEEEE10hipError_tT1_PNSt15iterator_traitsISI_E10value_typeET2_T3_PNSJ_ISO_E10value_typeET4_T5_PST_SU_PNS1_23onesweep_lookback_stateEbbT6_jjT7_P12ihipStream_tbENKUlT_T0_SI_SN_E_clISD_SD_SD_SD_EEDaS11_S12_SI_SN_EUlS11_E_NS1_11comp_targetILNS1_3genE2ELNS1_11target_archE906ELNS1_3gpuE6ELNS1_3repE0EEENS1_47radix_sort_onesweep_sort_config_static_selectorELNS0_4arch9wavefront6targetE1EEEvSI_.has_dyn_sized_stack, 0
	.set _ZN7rocprim17ROCPRIM_400000_NS6detail17trampoline_kernelINS0_14default_configENS1_35radix_sort_onesweep_config_selectorIiiEEZZNS1_29radix_sort_onesweep_iterationIS3_Lb0EN6thrust23THRUST_200600_302600_NS6detail15normal_iteratorINS8_10device_ptrIiEEEESD_SD_SD_jNS0_19identity_decomposerENS1_16block_id_wrapperIjLb0EEEEE10hipError_tT1_PNSt15iterator_traitsISI_E10value_typeET2_T3_PNSJ_ISO_E10value_typeET4_T5_PST_SU_PNS1_23onesweep_lookback_stateEbbT6_jjT7_P12ihipStream_tbENKUlT_T0_SI_SN_E_clISD_SD_SD_SD_EEDaS11_S12_SI_SN_EUlS11_E_NS1_11comp_targetILNS1_3genE2ELNS1_11target_archE906ELNS1_3gpuE6ELNS1_3repE0EEENS1_47radix_sort_onesweep_sort_config_static_selectorELNS0_4arch9wavefront6targetE1EEEvSI_.has_recursion, 0
	.set _ZN7rocprim17ROCPRIM_400000_NS6detail17trampoline_kernelINS0_14default_configENS1_35radix_sort_onesweep_config_selectorIiiEEZZNS1_29radix_sort_onesweep_iterationIS3_Lb0EN6thrust23THRUST_200600_302600_NS6detail15normal_iteratorINS8_10device_ptrIiEEEESD_SD_SD_jNS0_19identity_decomposerENS1_16block_id_wrapperIjLb0EEEEE10hipError_tT1_PNSt15iterator_traitsISI_E10value_typeET2_T3_PNSJ_ISO_E10value_typeET4_T5_PST_SU_PNS1_23onesweep_lookback_stateEbbT6_jjT7_P12ihipStream_tbENKUlT_T0_SI_SN_E_clISD_SD_SD_SD_EEDaS11_S12_SI_SN_EUlS11_E_NS1_11comp_targetILNS1_3genE2ELNS1_11target_archE906ELNS1_3gpuE6ELNS1_3repE0EEENS1_47radix_sort_onesweep_sort_config_static_selectorELNS0_4arch9wavefront6targetE1EEEvSI_.has_indirect_call, 0
	.section	.AMDGPU.csdata,"",@progbits
; Kernel info:
; codeLenInByte = 0
; TotalNumSgprs: 6
; NumVgprs: 0
; NumAgprs: 0
; TotalNumVgprs: 0
; ScratchSize: 0
; MemoryBound: 0
; FloatMode: 240
; IeeeMode: 1
; LDSByteSize: 0 bytes/workgroup (compile time only)
; SGPRBlocks: 0
; VGPRBlocks: 0
; NumSGPRsForWavesPerEU: 6
; NumVGPRsForWavesPerEU: 1
; AccumOffset: 4
; Occupancy: 8
; WaveLimiterHint : 0
; COMPUTE_PGM_RSRC2:SCRATCH_EN: 0
; COMPUTE_PGM_RSRC2:USER_SGPR: 2
; COMPUTE_PGM_RSRC2:TRAP_HANDLER: 0
; COMPUTE_PGM_RSRC2:TGID_X_EN: 1
; COMPUTE_PGM_RSRC2:TGID_Y_EN: 0
; COMPUTE_PGM_RSRC2:TGID_Z_EN: 0
; COMPUTE_PGM_RSRC2:TIDIG_COMP_CNT: 0
; COMPUTE_PGM_RSRC3_GFX90A:ACCUM_OFFSET: 0
; COMPUTE_PGM_RSRC3_GFX90A:TG_SPLIT: 0
	.section	.text._ZN7rocprim17ROCPRIM_400000_NS6detail17trampoline_kernelINS0_14default_configENS1_35radix_sort_onesweep_config_selectorIiiEEZZNS1_29radix_sort_onesweep_iterationIS3_Lb0EN6thrust23THRUST_200600_302600_NS6detail15normal_iteratorINS8_10device_ptrIiEEEESD_SD_SD_jNS0_19identity_decomposerENS1_16block_id_wrapperIjLb0EEEEE10hipError_tT1_PNSt15iterator_traitsISI_E10value_typeET2_T3_PNSJ_ISO_E10value_typeET4_T5_PST_SU_PNS1_23onesweep_lookback_stateEbbT6_jjT7_P12ihipStream_tbENKUlT_T0_SI_SN_E_clISD_SD_SD_SD_EEDaS11_S12_SI_SN_EUlS11_E_NS1_11comp_targetILNS1_3genE4ELNS1_11target_archE910ELNS1_3gpuE8ELNS1_3repE0EEENS1_47radix_sort_onesweep_sort_config_static_selectorELNS0_4arch9wavefront6targetE1EEEvSI_,"axG",@progbits,_ZN7rocprim17ROCPRIM_400000_NS6detail17trampoline_kernelINS0_14default_configENS1_35radix_sort_onesweep_config_selectorIiiEEZZNS1_29radix_sort_onesweep_iterationIS3_Lb0EN6thrust23THRUST_200600_302600_NS6detail15normal_iteratorINS8_10device_ptrIiEEEESD_SD_SD_jNS0_19identity_decomposerENS1_16block_id_wrapperIjLb0EEEEE10hipError_tT1_PNSt15iterator_traitsISI_E10value_typeET2_T3_PNSJ_ISO_E10value_typeET4_T5_PST_SU_PNS1_23onesweep_lookback_stateEbbT6_jjT7_P12ihipStream_tbENKUlT_T0_SI_SN_E_clISD_SD_SD_SD_EEDaS11_S12_SI_SN_EUlS11_E_NS1_11comp_targetILNS1_3genE4ELNS1_11target_archE910ELNS1_3gpuE8ELNS1_3repE0EEENS1_47radix_sort_onesweep_sort_config_static_selectorELNS0_4arch9wavefront6targetE1EEEvSI_,comdat
	.protected	_ZN7rocprim17ROCPRIM_400000_NS6detail17trampoline_kernelINS0_14default_configENS1_35radix_sort_onesweep_config_selectorIiiEEZZNS1_29radix_sort_onesweep_iterationIS3_Lb0EN6thrust23THRUST_200600_302600_NS6detail15normal_iteratorINS8_10device_ptrIiEEEESD_SD_SD_jNS0_19identity_decomposerENS1_16block_id_wrapperIjLb0EEEEE10hipError_tT1_PNSt15iterator_traitsISI_E10value_typeET2_T3_PNSJ_ISO_E10value_typeET4_T5_PST_SU_PNS1_23onesweep_lookback_stateEbbT6_jjT7_P12ihipStream_tbENKUlT_T0_SI_SN_E_clISD_SD_SD_SD_EEDaS11_S12_SI_SN_EUlS11_E_NS1_11comp_targetILNS1_3genE4ELNS1_11target_archE910ELNS1_3gpuE8ELNS1_3repE0EEENS1_47radix_sort_onesweep_sort_config_static_selectorELNS0_4arch9wavefront6targetE1EEEvSI_ ; -- Begin function _ZN7rocprim17ROCPRIM_400000_NS6detail17trampoline_kernelINS0_14default_configENS1_35radix_sort_onesweep_config_selectorIiiEEZZNS1_29radix_sort_onesweep_iterationIS3_Lb0EN6thrust23THRUST_200600_302600_NS6detail15normal_iteratorINS8_10device_ptrIiEEEESD_SD_SD_jNS0_19identity_decomposerENS1_16block_id_wrapperIjLb0EEEEE10hipError_tT1_PNSt15iterator_traitsISI_E10value_typeET2_T3_PNSJ_ISO_E10value_typeET4_T5_PST_SU_PNS1_23onesweep_lookback_stateEbbT6_jjT7_P12ihipStream_tbENKUlT_T0_SI_SN_E_clISD_SD_SD_SD_EEDaS11_S12_SI_SN_EUlS11_E_NS1_11comp_targetILNS1_3genE4ELNS1_11target_archE910ELNS1_3gpuE8ELNS1_3repE0EEENS1_47radix_sort_onesweep_sort_config_static_selectorELNS0_4arch9wavefront6targetE1EEEvSI_
	.globl	_ZN7rocprim17ROCPRIM_400000_NS6detail17trampoline_kernelINS0_14default_configENS1_35radix_sort_onesweep_config_selectorIiiEEZZNS1_29radix_sort_onesweep_iterationIS3_Lb0EN6thrust23THRUST_200600_302600_NS6detail15normal_iteratorINS8_10device_ptrIiEEEESD_SD_SD_jNS0_19identity_decomposerENS1_16block_id_wrapperIjLb0EEEEE10hipError_tT1_PNSt15iterator_traitsISI_E10value_typeET2_T3_PNSJ_ISO_E10value_typeET4_T5_PST_SU_PNS1_23onesweep_lookback_stateEbbT6_jjT7_P12ihipStream_tbENKUlT_T0_SI_SN_E_clISD_SD_SD_SD_EEDaS11_S12_SI_SN_EUlS11_E_NS1_11comp_targetILNS1_3genE4ELNS1_11target_archE910ELNS1_3gpuE8ELNS1_3repE0EEENS1_47radix_sort_onesweep_sort_config_static_selectorELNS0_4arch9wavefront6targetE1EEEvSI_
	.p2align	8
	.type	_ZN7rocprim17ROCPRIM_400000_NS6detail17trampoline_kernelINS0_14default_configENS1_35radix_sort_onesweep_config_selectorIiiEEZZNS1_29radix_sort_onesweep_iterationIS3_Lb0EN6thrust23THRUST_200600_302600_NS6detail15normal_iteratorINS8_10device_ptrIiEEEESD_SD_SD_jNS0_19identity_decomposerENS1_16block_id_wrapperIjLb0EEEEE10hipError_tT1_PNSt15iterator_traitsISI_E10value_typeET2_T3_PNSJ_ISO_E10value_typeET4_T5_PST_SU_PNS1_23onesweep_lookback_stateEbbT6_jjT7_P12ihipStream_tbENKUlT_T0_SI_SN_E_clISD_SD_SD_SD_EEDaS11_S12_SI_SN_EUlS11_E_NS1_11comp_targetILNS1_3genE4ELNS1_11target_archE910ELNS1_3gpuE8ELNS1_3repE0EEENS1_47radix_sort_onesweep_sort_config_static_selectorELNS0_4arch9wavefront6targetE1EEEvSI_,@function
_ZN7rocprim17ROCPRIM_400000_NS6detail17trampoline_kernelINS0_14default_configENS1_35radix_sort_onesweep_config_selectorIiiEEZZNS1_29radix_sort_onesweep_iterationIS3_Lb0EN6thrust23THRUST_200600_302600_NS6detail15normal_iteratorINS8_10device_ptrIiEEEESD_SD_SD_jNS0_19identity_decomposerENS1_16block_id_wrapperIjLb0EEEEE10hipError_tT1_PNSt15iterator_traitsISI_E10value_typeET2_T3_PNSJ_ISO_E10value_typeET4_T5_PST_SU_PNS1_23onesweep_lookback_stateEbbT6_jjT7_P12ihipStream_tbENKUlT_T0_SI_SN_E_clISD_SD_SD_SD_EEDaS11_S12_SI_SN_EUlS11_E_NS1_11comp_targetILNS1_3genE4ELNS1_11target_archE910ELNS1_3gpuE8ELNS1_3repE0EEENS1_47radix_sort_onesweep_sort_config_static_selectorELNS0_4arch9wavefront6targetE1EEEvSI_: ; @_ZN7rocprim17ROCPRIM_400000_NS6detail17trampoline_kernelINS0_14default_configENS1_35radix_sort_onesweep_config_selectorIiiEEZZNS1_29radix_sort_onesweep_iterationIS3_Lb0EN6thrust23THRUST_200600_302600_NS6detail15normal_iteratorINS8_10device_ptrIiEEEESD_SD_SD_jNS0_19identity_decomposerENS1_16block_id_wrapperIjLb0EEEEE10hipError_tT1_PNSt15iterator_traitsISI_E10value_typeET2_T3_PNSJ_ISO_E10value_typeET4_T5_PST_SU_PNS1_23onesweep_lookback_stateEbbT6_jjT7_P12ihipStream_tbENKUlT_T0_SI_SN_E_clISD_SD_SD_SD_EEDaS11_S12_SI_SN_EUlS11_E_NS1_11comp_targetILNS1_3genE4ELNS1_11target_archE910ELNS1_3gpuE8ELNS1_3repE0EEENS1_47radix_sort_onesweep_sort_config_static_selectorELNS0_4arch9wavefront6targetE1EEEvSI_
; %bb.0:
	.section	.rodata,"a",@progbits
	.p2align	6, 0x0
	.amdhsa_kernel _ZN7rocprim17ROCPRIM_400000_NS6detail17trampoline_kernelINS0_14default_configENS1_35radix_sort_onesweep_config_selectorIiiEEZZNS1_29radix_sort_onesweep_iterationIS3_Lb0EN6thrust23THRUST_200600_302600_NS6detail15normal_iteratorINS8_10device_ptrIiEEEESD_SD_SD_jNS0_19identity_decomposerENS1_16block_id_wrapperIjLb0EEEEE10hipError_tT1_PNSt15iterator_traitsISI_E10value_typeET2_T3_PNSJ_ISO_E10value_typeET4_T5_PST_SU_PNS1_23onesweep_lookback_stateEbbT6_jjT7_P12ihipStream_tbENKUlT_T0_SI_SN_E_clISD_SD_SD_SD_EEDaS11_S12_SI_SN_EUlS11_E_NS1_11comp_targetILNS1_3genE4ELNS1_11target_archE910ELNS1_3gpuE8ELNS1_3repE0EEENS1_47radix_sort_onesweep_sort_config_static_selectorELNS0_4arch9wavefront6targetE1EEEvSI_
		.amdhsa_group_segment_fixed_size 0
		.amdhsa_private_segment_fixed_size 0
		.amdhsa_kernarg_size 88
		.amdhsa_user_sgpr_count 2
		.amdhsa_user_sgpr_dispatch_ptr 0
		.amdhsa_user_sgpr_queue_ptr 0
		.amdhsa_user_sgpr_kernarg_segment_ptr 1
		.amdhsa_user_sgpr_dispatch_id 0
		.amdhsa_user_sgpr_kernarg_preload_length 0
		.amdhsa_user_sgpr_kernarg_preload_offset 0
		.amdhsa_user_sgpr_private_segment_size 0
		.amdhsa_uses_dynamic_stack 0
		.amdhsa_enable_private_segment 0
		.amdhsa_system_sgpr_workgroup_id_x 1
		.amdhsa_system_sgpr_workgroup_id_y 0
		.amdhsa_system_sgpr_workgroup_id_z 0
		.amdhsa_system_sgpr_workgroup_info 0
		.amdhsa_system_vgpr_workitem_id 0
		.amdhsa_next_free_vgpr 1
		.amdhsa_next_free_sgpr 0
		.amdhsa_accum_offset 4
		.amdhsa_reserve_vcc 0
		.amdhsa_float_round_mode_32 0
		.amdhsa_float_round_mode_16_64 0
		.amdhsa_float_denorm_mode_32 3
		.amdhsa_float_denorm_mode_16_64 3
		.amdhsa_dx10_clamp 1
		.amdhsa_ieee_mode 1
		.amdhsa_fp16_overflow 0
		.amdhsa_tg_split 0
		.amdhsa_exception_fp_ieee_invalid_op 0
		.amdhsa_exception_fp_denorm_src 0
		.amdhsa_exception_fp_ieee_div_zero 0
		.amdhsa_exception_fp_ieee_overflow 0
		.amdhsa_exception_fp_ieee_underflow 0
		.amdhsa_exception_fp_ieee_inexact 0
		.amdhsa_exception_int_div_zero 0
	.end_amdhsa_kernel
	.section	.text._ZN7rocprim17ROCPRIM_400000_NS6detail17trampoline_kernelINS0_14default_configENS1_35radix_sort_onesweep_config_selectorIiiEEZZNS1_29radix_sort_onesweep_iterationIS3_Lb0EN6thrust23THRUST_200600_302600_NS6detail15normal_iteratorINS8_10device_ptrIiEEEESD_SD_SD_jNS0_19identity_decomposerENS1_16block_id_wrapperIjLb0EEEEE10hipError_tT1_PNSt15iterator_traitsISI_E10value_typeET2_T3_PNSJ_ISO_E10value_typeET4_T5_PST_SU_PNS1_23onesweep_lookback_stateEbbT6_jjT7_P12ihipStream_tbENKUlT_T0_SI_SN_E_clISD_SD_SD_SD_EEDaS11_S12_SI_SN_EUlS11_E_NS1_11comp_targetILNS1_3genE4ELNS1_11target_archE910ELNS1_3gpuE8ELNS1_3repE0EEENS1_47radix_sort_onesweep_sort_config_static_selectorELNS0_4arch9wavefront6targetE1EEEvSI_,"axG",@progbits,_ZN7rocprim17ROCPRIM_400000_NS6detail17trampoline_kernelINS0_14default_configENS1_35radix_sort_onesweep_config_selectorIiiEEZZNS1_29radix_sort_onesweep_iterationIS3_Lb0EN6thrust23THRUST_200600_302600_NS6detail15normal_iteratorINS8_10device_ptrIiEEEESD_SD_SD_jNS0_19identity_decomposerENS1_16block_id_wrapperIjLb0EEEEE10hipError_tT1_PNSt15iterator_traitsISI_E10value_typeET2_T3_PNSJ_ISO_E10value_typeET4_T5_PST_SU_PNS1_23onesweep_lookback_stateEbbT6_jjT7_P12ihipStream_tbENKUlT_T0_SI_SN_E_clISD_SD_SD_SD_EEDaS11_S12_SI_SN_EUlS11_E_NS1_11comp_targetILNS1_3genE4ELNS1_11target_archE910ELNS1_3gpuE8ELNS1_3repE0EEENS1_47radix_sort_onesweep_sort_config_static_selectorELNS0_4arch9wavefront6targetE1EEEvSI_,comdat
.Lfunc_end1450:
	.size	_ZN7rocprim17ROCPRIM_400000_NS6detail17trampoline_kernelINS0_14default_configENS1_35radix_sort_onesweep_config_selectorIiiEEZZNS1_29radix_sort_onesweep_iterationIS3_Lb0EN6thrust23THRUST_200600_302600_NS6detail15normal_iteratorINS8_10device_ptrIiEEEESD_SD_SD_jNS0_19identity_decomposerENS1_16block_id_wrapperIjLb0EEEEE10hipError_tT1_PNSt15iterator_traitsISI_E10value_typeET2_T3_PNSJ_ISO_E10value_typeET4_T5_PST_SU_PNS1_23onesweep_lookback_stateEbbT6_jjT7_P12ihipStream_tbENKUlT_T0_SI_SN_E_clISD_SD_SD_SD_EEDaS11_S12_SI_SN_EUlS11_E_NS1_11comp_targetILNS1_3genE4ELNS1_11target_archE910ELNS1_3gpuE8ELNS1_3repE0EEENS1_47radix_sort_onesweep_sort_config_static_selectorELNS0_4arch9wavefront6targetE1EEEvSI_, .Lfunc_end1450-_ZN7rocprim17ROCPRIM_400000_NS6detail17trampoline_kernelINS0_14default_configENS1_35radix_sort_onesweep_config_selectorIiiEEZZNS1_29radix_sort_onesweep_iterationIS3_Lb0EN6thrust23THRUST_200600_302600_NS6detail15normal_iteratorINS8_10device_ptrIiEEEESD_SD_SD_jNS0_19identity_decomposerENS1_16block_id_wrapperIjLb0EEEEE10hipError_tT1_PNSt15iterator_traitsISI_E10value_typeET2_T3_PNSJ_ISO_E10value_typeET4_T5_PST_SU_PNS1_23onesweep_lookback_stateEbbT6_jjT7_P12ihipStream_tbENKUlT_T0_SI_SN_E_clISD_SD_SD_SD_EEDaS11_S12_SI_SN_EUlS11_E_NS1_11comp_targetILNS1_3genE4ELNS1_11target_archE910ELNS1_3gpuE8ELNS1_3repE0EEENS1_47radix_sort_onesweep_sort_config_static_selectorELNS0_4arch9wavefront6targetE1EEEvSI_
                                        ; -- End function
	.set _ZN7rocprim17ROCPRIM_400000_NS6detail17trampoline_kernelINS0_14default_configENS1_35radix_sort_onesweep_config_selectorIiiEEZZNS1_29radix_sort_onesweep_iterationIS3_Lb0EN6thrust23THRUST_200600_302600_NS6detail15normal_iteratorINS8_10device_ptrIiEEEESD_SD_SD_jNS0_19identity_decomposerENS1_16block_id_wrapperIjLb0EEEEE10hipError_tT1_PNSt15iterator_traitsISI_E10value_typeET2_T3_PNSJ_ISO_E10value_typeET4_T5_PST_SU_PNS1_23onesweep_lookback_stateEbbT6_jjT7_P12ihipStream_tbENKUlT_T0_SI_SN_E_clISD_SD_SD_SD_EEDaS11_S12_SI_SN_EUlS11_E_NS1_11comp_targetILNS1_3genE4ELNS1_11target_archE910ELNS1_3gpuE8ELNS1_3repE0EEENS1_47radix_sort_onesweep_sort_config_static_selectorELNS0_4arch9wavefront6targetE1EEEvSI_.num_vgpr, 0
	.set _ZN7rocprim17ROCPRIM_400000_NS6detail17trampoline_kernelINS0_14default_configENS1_35radix_sort_onesweep_config_selectorIiiEEZZNS1_29radix_sort_onesweep_iterationIS3_Lb0EN6thrust23THRUST_200600_302600_NS6detail15normal_iteratorINS8_10device_ptrIiEEEESD_SD_SD_jNS0_19identity_decomposerENS1_16block_id_wrapperIjLb0EEEEE10hipError_tT1_PNSt15iterator_traitsISI_E10value_typeET2_T3_PNSJ_ISO_E10value_typeET4_T5_PST_SU_PNS1_23onesweep_lookback_stateEbbT6_jjT7_P12ihipStream_tbENKUlT_T0_SI_SN_E_clISD_SD_SD_SD_EEDaS11_S12_SI_SN_EUlS11_E_NS1_11comp_targetILNS1_3genE4ELNS1_11target_archE910ELNS1_3gpuE8ELNS1_3repE0EEENS1_47radix_sort_onesweep_sort_config_static_selectorELNS0_4arch9wavefront6targetE1EEEvSI_.num_agpr, 0
	.set _ZN7rocprim17ROCPRIM_400000_NS6detail17trampoline_kernelINS0_14default_configENS1_35radix_sort_onesweep_config_selectorIiiEEZZNS1_29radix_sort_onesweep_iterationIS3_Lb0EN6thrust23THRUST_200600_302600_NS6detail15normal_iteratorINS8_10device_ptrIiEEEESD_SD_SD_jNS0_19identity_decomposerENS1_16block_id_wrapperIjLb0EEEEE10hipError_tT1_PNSt15iterator_traitsISI_E10value_typeET2_T3_PNSJ_ISO_E10value_typeET4_T5_PST_SU_PNS1_23onesweep_lookback_stateEbbT6_jjT7_P12ihipStream_tbENKUlT_T0_SI_SN_E_clISD_SD_SD_SD_EEDaS11_S12_SI_SN_EUlS11_E_NS1_11comp_targetILNS1_3genE4ELNS1_11target_archE910ELNS1_3gpuE8ELNS1_3repE0EEENS1_47radix_sort_onesweep_sort_config_static_selectorELNS0_4arch9wavefront6targetE1EEEvSI_.numbered_sgpr, 0
	.set _ZN7rocprim17ROCPRIM_400000_NS6detail17trampoline_kernelINS0_14default_configENS1_35radix_sort_onesweep_config_selectorIiiEEZZNS1_29radix_sort_onesweep_iterationIS3_Lb0EN6thrust23THRUST_200600_302600_NS6detail15normal_iteratorINS8_10device_ptrIiEEEESD_SD_SD_jNS0_19identity_decomposerENS1_16block_id_wrapperIjLb0EEEEE10hipError_tT1_PNSt15iterator_traitsISI_E10value_typeET2_T3_PNSJ_ISO_E10value_typeET4_T5_PST_SU_PNS1_23onesweep_lookback_stateEbbT6_jjT7_P12ihipStream_tbENKUlT_T0_SI_SN_E_clISD_SD_SD_SD_EEDaS11_S12_SI_SN_EUlS11_E_NS1_11comp_targetILNS1_3genE4ELNS1_11target_archE910ELNS1_3gpuE8ELNS1_3repE0EEENS1_47radix_sort_onesweep_sort_config_static_selectorELNS0_4arch9wavefront6targetE1EEEvSI_.num_named_barrier, 0
	.set _ZN7rocprim17ROCPRIM_400000_NS6detail17trampoline_kernelINS0_14default_configENS1_35radix_sort_onesweep_config_selectorIiiEEZZNS1_29radix_sort_onesweep_iterationIS3_Lb0EN6thrust23THRUST_200600_302600_NS6detail15normal_iteratorINS8_10device_ptrIiEEEESD_SD_SD_jNS0_19identity_decomposerENS1_16block_id_wrapperIjLb0EEEEE10hipError_tT1_PNSt15iterator_traitsISI_E10value_typeET2_T3_PNSJ_ISO_E10value_typeET4_T5_PST_SU_PNS1_23onesweep_lookback_stateEbbT6_jjT7_P12ihipStream_tbENKUlT_T0_SI_SN_E_clISD_SD_SD_SD_EEDaS11_S12_SI_SN_EUlS11_E_NS1_11comp_targetILNS1_3genE4ELNS1_11target_archE910ELNS1_3gpuE8ELNS1_3repE0EEENS1_47radix_sort_onesweep_sort_config_static_selectorELNS0_4arch9wavefront6targetE1EEEvSI_.private_seg_size, 0
	.set _ZN7rocprim17ROCPRIM_400000_NS6detail17trampoline_kernelINS0_14default_configENS1_35radix_sort_onesweep_config_selectorIiiEEZZNS1_29radix_sort_onesweep_iterationIS3_Lb0EN6thrust23THRUST_200600_302600_NS6detail15normal_iteratorINS8_10device_ptrIiEEEESD_SD_SD_jNS0_19identity_decomposerENS1_16block_id_wrapperIjLb0EEEEE10hipError_tT1_PNSt15iterator_traitsISI_E10value_typeET2_T3_PNSJ_ISO_E10value_typeET4_T5_PST_SU_PNS1_23onesweep_lookback_stateEbbT6_jjT7_P12ihipStream_tbENKUlT_T0_SI_SN_E_clISD_SD_SD_SD_EEDaS11_S12_SI_SN_EUlS11_E_NS1_11comp_targetILNS1_3genE4ELNS1_11target_archE910ELNS1_3gpuE8ELNS1_3repE0EEENS1_47radix_sort_onesweep_sort_config_static_selectorELNS0_4arch9wavefront6targetE1EEEvSI_.uses_vcc, 0
	.set _ZN7rocprim17ROCPRIM_400000_NS6detail17trampoline_kernelINS0_14default_configENS1_35radix_sort_onesweep_config_selectorIiiEEZZNS1_29radix_sort_onesweep_iterationIS3_Lb0EN6thrust23THRUST_200600_302600_NS6detail15normal_iteratorINS8_10device_ptrIiEEEESD_SD_SD_jNS0_19identity_decomposerENS1_16block_id_wrapperIjLb0EEEEE10hipError_tT1_PNSt15iterator_traitsISI_E10value_typeET2_T3_PNSJ_ISO_E10value_typeET4_T5_PST_SU_PNS1_23onesweep_lookback_stateEbbT6_jjT7_P12ihipStream_tbENKUlT_T0_SI_SN_E_clISD_SD_SD_SD_EEDaS11_S12_SI_SN_EUlS11_E_NS1_11comp_targetILNS1_3genE4ELNS1_11target_archE910ELNS1_3gpuE8ELNS1_3repE0EEENS1_47radix_sort_onesweep_sort_config_static_selectorELNS0_4arch9wavefront6targetE1EEEvSI_.uses_flat_scratch, 0
	.set _ZN7rocprim17ROCPRIM_400000_NS6detail17trampoline_kernelINS0_14default_configENS1_35radix_sort_onesweep_config_selectorIiiEEZZNS1_29radix_sort_onesweep_iterationIS3_Lb0EN6thrust23THRUST_200600_302600_NS6detail15normal_iteratorINS8_10device_ptrIiEEEESD_SD_SD_jNS0_19identity_decomposerENS1_16block_id_wrapperIjLb0EEEEE10hipError_tT1_PNSt15iterator_traitsISI_E10value_typeET2_T3_PNSJ_ISO_E10value_typeET4_T5_PST_SU_PNS1_23onesweep_lookback_stateEbbT6_jjT7_P12ihipStream_tbENKUlT_T0_SI_SN_E_clISD_SD_SD_SD_EEDaS11_S12_SI_SN_EUlS11_E_NS1_11comp_targetILNS1_3genE4ELNS1_11target_archE910ELNS1_3gpuE8ELNS1_3repE0EEENS1_47radix_sort_onesweep_sort_config_static_selectorELNS0_4arch9wavefront6targetE1EEEvSI_.has_dyn_sized_stack, 0
	.set _ZN7rocprim17ROCPRIM_400000_NS6detail17trampoline_kernelINS0_14default_configENS1_35radix_sort_onesweep_config_selectorIiiEEZZNS1_29radix_sort_onesweep_iterationIS3_Lb0EN6thrust23THRUST_200600_302600_NS6detail15normal_iteratorINS8_10device_ptrIiEEEESD_SD_SD_jNS0_19identity_decomposerENS1_16block_id_wrapperIjLb0EEEEE10hipError_tT1_PNSt15iterator_traitsISI_E10value_typeET2_T3_PNSJ_ISO_E10value_typeET4_T5_PST_SU_PNS1_23onesweep_lookback_stateEbbT6_jjT7_P12ihipStream_tbENKUlT_T0_SI_SN_E_clISD_SD_SD_SD_EEDaS11_S12_SI_SN_EUlS11_E_NS1_11comp_targetILNS1_3genE4ELNS1_11target_archE910ELNS1_3gpuE8ELNS1_3repE0EEENS1_47radix_sort_onesweep_sort_config_static_selectorELNS0_4arch9wavefront6targetE1EEEvSI_.has_recursion, 0
	.set _ZN7rocprim17ROCPRIM_400000_NS6detail17trampoline_kernelINS0_14default_configENS1_35radix_sort_onesweep_config_selectorIiiEEZZNS1_29radix_sort_onesweep_iterationIS3_Lb0EN6thrust23THRUST_200600_302600_NS6detail15normal_iteratorINS8_10device_ptrIiEEEESD_SD_SD_jNS0_19identity_decomposerENS1_16block_id_wrapperIjLb0EEEEE10hipError_tT1_PNSt15iterator_traitsISI_E10value_typeET2_T3_PNSJ_ISO_E10value_typeET4_T5_PST_SU_PNS1_23onesweep_lookback_stateEbbT6_jjT7_P12ihipStream_tbENKUlT_T0_SI_SN_E_clISD_SD_SD_SD_EEDaS11_S12_SI_SN_EUlS11_E_NS1_11comp_targetILNS1_3genE4ELNS1_11target_archE910ELNS1_3gpuE8ELNS1_3repE0EEENS1_47radix_sort_onesweep_sort_config_static_selectorELNS0_4arch9wavefront6targetE1EEEvSI_.has_indirect_call, 0
	.section	.AMDGPU.csdata,"",@progbits
; Kernel info:
; codeLenInByte = 0
; TotalNumSgprs: 6
; NumVgprs: 0
; NumAgprs: 0
; TotalNumVgprs: 0
; ScratchSize: 0
; MemoryBound: 0
; FloatMode: 240
; IeeeMode: 1
; LDSByteSize: 0 bytes/workgroup (compile time only)
; SGPRBlocks: 0
; VGPRBlocks: 0
; NumSGPRsForWavesPerEU: 6
; NumVGPRsForWavesPerEU: 1
; AccumOffset: 4
; Occupancy: 8
; WaveLimiterHint : 0
; COMPUTE_PGM_RSRC2:SCRATCH_EN: 0
; COMPUTE_PGM_RSRC2:USER_SGPR: 2
; COMPUTE_PGM_RSRC2:TRAP_HANDLER: 0
; COMPUTE_PGM_RSRC2:TGID_X_EN: 1
; COMPUTE_PGM_RSRC2:TGID_Y_EN: 0
; COMPUTE_PGM_RSRC2:TGID_Z_EN: 0
; COMPUTE_PGM_RSRC2:TIDIG_COMP_CNT: 0
; COMPUTE_PGM_RSRC3_GFX90A:ACCUM_OFFSET: 0
; COMPUTE_PGM_RSRC3_GFX90A:TG_SPLIT: 0
	.section	.text._ZN7rocprim17ROCPRIM_400000_NS6detail17trampoline_kernelINS0_14default_configENS1_35radix_sort_onesweep_config_selectorIiiEEZZNS1_29radix_sort_onesweep_iterationIS3_Lb0EN6thrust23THRUST_200600_302600_NS6detail15normal_iteratorINS8_10device_ptrIiEEEESD_SD_SD_jNS0_19identity_decomposerENS1_16block_id_wrapperIjLb0EEEEE10hipError_tT1_PNSt15iterator_traitsISI_E10value_typeET2_T3_PNSJ_ISO_E10value_typeET4_T5_PST_SU_PNS1_23onesweep_lookback_stateEbbT6_jjT7_P12ihipStream_tbENKUlT_T0_SI_SN_E_clISD_SD_SD_SD_EEDaS11_S12_SI_SN_EUlS11_E_NS1_11comp_targetILNS1_3genE3ELNS1_11target_archE908ELNS1_3gpuE7ELNS1_3repE0EEENS1_47radix_sort_onesweep_sort_config_static_selectorELNS0_4arch9wavefront6targetE1EEEvSI_,"axG",@progbits,_ZN7rocprim17ROCPRIM_400000_NS6detail17trampoline_kernelINS0_14default_configENS1_35radix_sort_onesweep_config_selectorIiiEEZZNS1_29radix_sort_onesweep_iterationIS3_Lb0EN6thrust23THRUST_200600_302600_NS6detail15normal_iteratorINS8_10device_ptrIiEEEESD_SD_SD_jNS0_19identity_decomposerENS1_16block_id_wrapperIjLb0EEEEE10hipError_tT1_PNSt15iterator_traitsISI_E10value_typeET2_T3_PNSJ_ISO_E10value_typeET4_T5_PST_SU_PNS1_23onesweep_lookback_stateEbbT6_jjT7_P12ihipStream_tbENKUlT_T0_SI_SN_E_clISD_SD_SD_SD_EEDaS11_S12_SI_SN_EUlS11_E_NS1_11comp_targetILNS1_3genE3ELNS1_11target_archE908ELNS1_3gpuE7ELNS1_3repE0EEENS1_47radix_sort_onesweep_sort_config_static_selectorELNS0_4arch9wavefront6targetE1EEEvSI_,comdat
	.protected	_ZN7rocprim17ROCPRIM_400000_NS6detail17trampoline_kernelINS0_14default_configENS1_35radix_sort_onesweep_config_selectorIiiEEZZNS1_29radix_sort_onesweep_iterationIS3_Lb0EN6thrust23THRUST_200600_302600_NS6detail15normal_iteratorINS8_10device_ptrIiEEEESD_SD_SD_jNS0_19identity_decomposerENS1_16block_id_wrapperIjLb0EEEEE10hipError_tT1_PNSt15iterator_traitsISI_E10value_typeET2_T3_PNSJ_ISO_E10value_typeET4_T5_PST_SU_PNS1_23onesweep_lookback_stateEbbT6_jjT7_P12ihipStream_tbENKUlT_T0_SI_SN_E_clISD_SD_SD_SD_EEDaS11_S12_SI_SN_EUlS11_E_NS1_11comp_targetILNS1_3genE3ELNS1_11target_archE908ELNS1_3gpuE7ELNS1_3repE0EEENS1_47radix_sort_onesweep_sort_config_static_selectorELNS0_4arch9wavefront6targetE1EEEvSI_ ; -- Begin function _ZN7rocprim17ROCPRIM_400000_NS6detail17trampoline_kernelINS0_14default_configENS1_35radix_sort_onesweep_config_selectorIiiEEZZNS1_29radix_sort_onesweep_iterationIS3_Lb0EN6thrust23THRUST_200600_302600_NS6detail15normal_iteratorINS8_10device_ptrIiEEEESD_SD_SD_jNS0_19identity_decomposerENS1_16block_id_wrapperIjLb0EEEEE10hipError_tT1_PNSt15iterator_traitsISI_E10value_typeET2_T3_PNSJ_ISO_E10value_typeET4_T5_PST_SU_PNS1_23onesweep_lookback_stateEbbT6_jjT7_P12ihipStream_tbENKUlT_T0_SI_SN_E_clISD_SD_SD_SD_EEDaS11_S12_SI_SN_EUlS11_E_NS1_11comp_targetILNS1_3genE3ELNS1_11target_archE908ELNS1_3gpuE7ELNS1_3repE0EEENS1_47radix_sort_onesweep_sort_config_static_selectorELNS0_4arch9wavefront6targetE1EEEvSI_
	.globl	_ZN7rocprim17ROCPRIM_400000_NS6detail17trampoline_kernelINS0_14default_configENS1_35radix_sort_onesweep_config_selectorIiiEEZZNS1_29radix_sort_onesweep_iterationIS3_Lb0EN6thrust23THRUST_200600_302600_NS6detail15normal_iteratorINS8_10device_ptrIiEEEESD_SD_SD_jNS0_19identity_decomposerENS1_16block_id_wrapperIjLb0EEEEE10hipError_tT1_PNSt15iterator_traitsISI_E10value_typeET2_T3_PNSJ_ISO_E10value_typeET4_T5_PST_SU_PNS1_23onesweep_lookback_stateEbbT6_jjT7_P12ihipStream_tbENKUlT_T0_SI_SN_E_clISD_SD_SD_SD_EEDaS11_S12_SI_SN_EUlS11_E_NS1_11comp_targetILNS1_3genE3ELNS1_11target_archE908ELNS1_3gpuE7ELNS1_3repE0EEENS1_47radix_sort_onesweep_sort_config_static_selectorELNS0_4arch9wavefront6targetE1EEEvSI_
	.p2align	8
	.type	_ZN7rocprim17ROCPRIM_400000_NS6detail17trampoline_kernelINS0_14default_configENS1_35radix_sort_onesweep_config_selectorIiiEEZZNS1_29radix_sort_onesweep_iterationIS3_Lb0EN6thrust23THRUST_200600_302600_NS6detail15normal_iteratorINS8_10device_ptrIiEEEESD_SD_SD_jNS0_19identity_decomposerENS1_16block_id_wrapperIjLb0EEEEE10hipError_tT1_PNSt15iterator_traitsISI_E10value_typeET2_T3_PNSJ_ISO_E10value_typeET4_T5_PST_SU_PNS1_23onesweep_lookback_stateEbbT6_jjT7_P12ihipStream_tbENKUlT_T0_SI_SN_E_clISD_SD_SD_SD_EEDaS11_S12_SI_SN_EUlS11_E_NS1_11comp_targetILNS1_3genE3ELNS1_11target_archE908ELNS1_3gpuE7ELNS1_3repE0EEENS1_47radix_sort_onesweep_sort_config_static_selectorELNS0_4arch9wavefront6targetE1EEEvSI_,@function
_ZN7rocprim17ROCPRIM_400000_NS6detail17trampoline_kernelINS0_14default_configENS1_35radix_sort_onesweep_config_selectorIiiEEZZNS1_29radix_sort_onesweep_iterationIS3_Lb0EN6thrust23THRUST_200600_302600_NS6detail15normal_iteratorINS8_10device_ptrIiEEEESD_SD_SD_jNS0_19identity_decomposerENS1_16block_id_wrapperIjLb0EEEEE10hipError_tT1_PNSt15iterator_traitsISI_E10value_typeET2_T3_PNSJ_ISO_E10value_typeET4_T5_PST_SU_PNS1_23onesweep_lookback_stateEbbT6_jjT7_P12ihipStream_tbENKUlT_T0_SI_SN_E_clISD_SD_SD_SD_EEDaS11_S12_SI_SN_EUlS11_E_NS1_11comp_targetILNS1_3genE3ELNS1_11target_archE908ELNS1_3gpuE7ELNS1_3repE0EEENS1_47radix_sort_onesweep_sort_config_static_selectorELNS0_4arch9wavefront6targetE1EEEvSI_: ; @_ZN7rocprim17ROCPRIM_400000_NS6detail17trampoline_kernelINS0_14default_configENS1_35radix_sort_onesweep_config_selectorIiiEEZZNS1_29radix_sort_onesweep_iterationIS3_Lb0EN6thrust23THRUST_200600_302600_NS6detail15normal_iteratorINS8_10device_ptrIiEEEESD_SD_SD_jNS0_19identity_decomposerENS1_16block_id_wrapperIjLb0EEEEE10hipError_tT1_PNSt15iterator_traitsISI_E10value_typeET2_T3_PNSJ_ISO_E10value_typeET4_T5_PST_SU_PNS1_23onesweep_lookback_stateEbbT6_jjT7_P12ihipStream_tbENKUlT_T0_SI_SN_E_clISD_SD_SD_SD_EEDaS11_S12_SI_SN_EUlS11_E_NS1_11comp_targetILNS1_3genE3ELNS1_11target_archE908ELNS1_3gpuE7ELNS1_3repE0EEENS1_47radix_sort_onesweep_sort_config_static_selectorELNS0_4arch9wavefront6targetE1EEEvSI_
; %bb.0:
	.section	.rodata,"a",@progbits
	.p2align	6, 0x0
	.amdhsa_kernel _ZN7rocprim17ROCPRIM_400000_NS6detail17trampoline_kernelINS0_14default_configENS1_35radix_sort_onesweep_config_selectorIiiEEZZNS1_29radix_sort_onesweep_iterationIS3_Lb0EN6thrust23THRUST_200600_302600_NS6detail15normal_iteratorINS8_10device_ptrIiEEEESD_SD_SD_jNS0_19identity_decomposerENS1_16block_id_wrapperIjLb0EEEEE10hipError_tT1_PNSt15iterator_traitsISI_E10value_typeET2_T3_PNSJ_ISO_E10value_typeET4_T5_PST_SU_PNS1_23onesweep_lookback_stateEbbT6_jjT7_P12ihipStream_tbENKUlT_T0_SI_SN_E_clISD_SD_SD_SD_EEDaS11_S12_SI_SN_EUlS11_E_NS1_11comp_targetILNS1_3genE3ELNS1_11target_archE908ELNS1_3gpuE7ELNS1_3repE0EEENS1_47radix_sort_onesweep_sort_config_static_selectorELNS0_4arch9wavefront6targetE1EEEvSI_
		.amdhsa_group_segment_fixed_size 0
		.amdhsa_private_segment_fixed_size 0
		.amdhsa_kernarg_size 88
		.amdhsa_user_sgpr_count 2
		.amdhsa_user_sgpr_dispatch_ptr 0
		.amdhsa_user_sgpr_queue_ptr 0
		.amdhsa_user_sgpr_kernarg_segment_ptr 1
		.amdhsa_user_sgpr_dispatch_id 0
		.amdhsa_user_sgpr_kernarg_preload_length 0
		.amdhsa_user_sgpr_kernarg_preload_offset 0
		.amdhsa_user_sgpr_private_segment_size 0
		.amdhsa_uses_dynamic_stack 0
		.amdhsa_enable_private_segment 0
		.amdhsa_system_sgpr_workgroup_id_x 1
		.amdhsa_system_sgpr_workgroup_id_y 0
		.amdhsa_system_sgpr_workgroup_id_z 0
		.amdhsa_system_sgpr_workgroup_info 0
		.amdhsa_system_vgpr_workitem_id 0
		.amdhsa_next_free_vgpr 1
		.amdhsa_next_free_sgpr 0
		.amdhsa_accum_offset 4
		.amdhsa_reserve_vcc 0
		.amdhsa_float_round_mode_32 0
		.amdhsa_float_round_mode_16_64 0
		.amdhsa_float_denorm_mode_32 3
		.amdhsa_float_denorm_mode_16_64 3
		.amdhsa_dx10_clamp 1
		.amdhsa_ieee_mode 1
		.amdhsa_fp16_overflow 0
		.amdhsa_tg_split 0
		.amdhsa_exception_fp_ieee_invalid_op 0
		.amdhsa_exception_fp_denorm_src 0
		.amdhsa_exception_fp_ieee_div_zero 0
		.amdhsa_exception_fp_ieee_overflow 0
		.amdhsa_exception_fp_ieee_underflow 0
		.amdhsa_exception_fp_ieee_inexact 0
		.amdhsa_exception_int_div_zero 0
	.end_amdhsa_kernel
	.section	.text._ZN7rocprim17ROCPRIM_400000_NS6detail17trampoline_kernelINS0_14default_configENS1_35radix_sort_onesweep_config_selectorIiiEEZZNS1_29radix_sort_onesweep_iterationIS3_Lb0EN6thrust23THRUST_200600_302600_NS6detail15normal_iteratorINS8_10device_ptrIiEEEESD_SD_SD_jNS0_19identity_decomposerENS1_16block_id_wrapperIjLb0EEEEE10hipError_tT1_PNSt15iterator_traitsISI_E10value_typeET2_T3_PNSJ_ISO_E10value_typeET4_T5_PST_SU_PNS1_23onesweep_lookback_stateEbbT6_jjT7_P12ihipStream_tbENKUlT_T0_SI_SN_E_clISD_SD_SD_SD_EEDaS11_S12_SI_SN_EUlS11_E_NS1_11comp_targetILNS1_3genE3ELNS1_11target_archE908ELNS1_3gpuE7ELNS1_3repE0EEENS1_47radix_sort_onesweep_sort_config_static_selectorELNS0_4arch9wavefront6targetE1EEEvSI_,"axG",@progbits,_ZN7rocprim17ROCPRIM_400000_NS6detail17trampoline_kernelINS0_14default_configENS1_35radix_sort_onesweep_config_selectorIiiEEZZNS1_29radix_sort_onesweep_iterationIS3_Lb0EN6thrust23THRUST_200600_302600_NS6detail15normal_iteratorINS8_10device_ptrIiEEEESD_SD_SD_jNS0_19identity_decomposerENS1_16block_id_wrapperIjLb0EEEEE10hipError_tT1_PNSt15iterator_traitsISI_E10value_typeET2_T3_PNSJ_ISO_E10value_typeET4_T5_PST_SU_PNS1_23onesweep_lookback_stateEbbT6_jjT7_P12ihipStream_tbENKUlT_T0_SI_SN_E_clISD_SD_SD_SD_EEDaS11_S12_SI_SN_EUlS11_E_NS1_11comp_targetILNS1_3genE3ELNS1_11target_archE908ELNS1_3gpuE7ELNS1_3repE0EEENS1_47radix_sort_onesweep_sort_config_static_selectorELNS0_4arch9wavefront6targetE1EEEvSI_,comdat
.Lfunc_end1451:
	.size	_ZN7rocprim17ROCPRIM_400000_NS6detail17trampoline_kernelINS0_14default_configENS1_35radix_sort_onesweep_config_selectorIiiEEZZNS1_29radix_sort_onesweep_iterationIS3_Lb0EN6thrust23THRUST_200600_302600_NS6detail15normal_iteratorINS8_10device_ptrIiEEEESD_SD_SD_jNS0_19identity_decomposerENS1_16block_id_wrapperIjLb0EEEEE10hipError_tT1_PNSt15iterator_traitsISI_E10value_typeET2_T3_PNSJ_ISO_E10value_typeET4_T5_PST_SU_PNS1_23onesweep_lookback_stateEbbT6_jjT7_P12ihipStream_tbENKUlT_T0_SI_SN_E_clISD_SD_SD_SD_EEDaS11_S12_SI_SN_EUlS11_E_NS1_11comp_targetILNS1_3genE3ELNS1_11target_archE908ELNS1_3gpuE7ELNS1_3repE0EEENS1_47radix_sort_onesweep_sort_config_static_selectorELNS0_4arch9wavefront6targetE1EEEvSI_, .Lfunc_end1451-_ZN7rocprim17ROCPRIM_400000_NS6detail17trampoline_kernelINS0_14default_configENS1_35radix_sort_onesweep_config_selectorIiiEEZZNS1_29radix_sort_onesweep_iterationIS3_Lb0EN6thrust23THRUST_200600_302600_NS6detail15normal_iteratorINS8_10device_ptrIiEEEESD_SD_SD_jNS0_19identity_decomposerENS1_16block_id_wrapperIjLb0EEEEE10hipError_tT1_PNSt15iterator_traitsISI_E10value_typeET2_T3_PNSJ_ISO_E10value_typeET4_T5_PST_SU_PNS1_23onesweep_lookback_stateEbbT6_jjT7_P12ihipStream_tbENKUlT_T0_SI_SN_E_clISD_SD_SD_SD_EEDaS11_S12_SI_SN_EUlS11_E_NS1_11comp_targetILNS1_3genE3ELNS1_11target_archE908ELNS1_3gpuE7ELNS1_3repE0EEENS1_47radix_sort_onesweep_sort_config_static_selectorELNS0_4arch9wavefront6targetE1EEEvSI_
                                        ; -- End function
	.set _ZN7rocprim17ROCPRIM_400000_NS6detail17trampoline_kernelINS0_14default_configENS1_35radix_sort_onesweep_config_selectorIiiEEZZNS1_29radix_sort_onesweep_iterationIS3_Lb0EN6thrust23THRUST_200600_302600_NS6detail15normal_iteratorINS8_10device_ptrIiEEEESD_SD_SD_jNS0_19identity_decomposerENS1_16block_id_wrapperIjLb0EEEEE10hipError_tT1_PNSt15iterator_traitsISI_E10value_typeET2_T3_PNSJ_ISO_E10value_typeET4_T5_PST_SU_PNS1_23onesweep_lookback_stateEbbT6_jjT7_P12ihipStream_tbENKUlT_T0_SI_SN_E_clISD_SD_SD_SD_EEDaS11_S12_SI_SN_EUlS11_E_NS1_11comp_targetILNS1_3genE3ELNS1_11target_archE908ELNS1_3gpuE7ELNS1_3repE0EEENS1_47radix_sort_onesweep_sort_config_static_selectorELNS0_4arch9wavefront6targetE1EEEvSI_.num_vgpr, 0
	.set _ZN7rocprim17ROCPRIM_400000_NS6detail17trampoline_kernelINS0_14default_configENS1_35radix_sort_onesweep_config_selectorIiiEEZZNS1_29radix_sort_onesweep_iterationIS3_Lb0EN6thrust23THRUST_200600_302600_NS6detail15normal_iteratorINS8_10device_ptrIiEEEESD_SD_SD_jNS0_19identity_decomposerENS1_16block_id_wrapperIjLb0EEEEE10hipError_tT1_PNSt15iterator_traitsISI_E10value_typeET2_T3_PNSJ_ISO_E10value_typeET4_T5_PST_SU_PNS1_23onesweep_lookback_stateEbbT6_jjT7_P12ihipStream_tbENKUlT_T0_SI_SN_E_clISD_SD_SD_SD_EEDaS11_S12_SI_SN_EUlS11_E_NS1_11comp_targetILNS1_3genE3ELNS1_11target_archE908ELNS1_3gpuE7ELNS1_3repE0EEENS1_47radix_sort_onesweep_sort_config_static_selectorELNS0_4arch9wavefront6targetE1EEEvSI_.num_agpr, 0
	.set _ZN7rocprim17ROCPRIM_400000_NS6detail17trampoline_kernelINS0_14default_configENS1_35radix_sort_onesweep_config_selectorIiiEEZZNS1_29radix_sort_onesweep_iterationIS3_Lb0EN6thrust23THRUST_200600_302600_NS6detail15normal_iteratorINS8_10device_ptrIiEEEESD_SD_SD_jNS0_19identity_decomposerENS1_16block_id_wrapperIjLb0EEEEE10hipError_tT1_PNSt15iterator_traitsISI_E10value_typeET2_T3_PNSJ_ISO_E10value_typeET4_T5_PST_SU_PNS1_23onesweep_lookback_stateEbbT6_jjT7_P12ihipStream_tbENKUlT_T0_SI_SN_E_clISD_SD_SD_SD_EEDaS11_S12_SI_SN_EUlS11_E_NS1_11comp_targetILNS1_3genE3ELNS1_11target_archE908ELNS1_3gpuE7ELNS1_3repE0EEENS1_47radix_sort_onesweep_sort_config_static_selectorELNS0_4arch9wavefront6targetE1EEEvSI_.numbered_sgpr, 0
	.set _ZN7rocprim17ROCPRIM_400000_NS6detail17trampoline_kernelINS0_14default_configENS1_35radix_sort_onesweep_config_selectorIiiEEZZNS1_29radix_sort_onesweep_iterationIS3_Lb0EN6thrust23THRUST_200600_302600_NS6detail15normal_iteratorINS8_10device_ptrIiEEEESD_SD_SD_jNS0_19identity_decomposerENS1_16block_id_wrapperIjLb0EEEEE10hipError_tT1_PNSt15iterator_traitsISI_E10value_typeET2_T3_PNSJ_ISO_E10value_typeET4_T5_PST_SU_PNS1_23onesweep_lookback_stateEbbT6_jjT7_P12ihipStream_tbENKUlT_T0_SI_SN_E_clISD_SD_SD_SD_EEDaS11_S12_SI_SN_EUlS11_E_NS1_11comp_targetILNS1_3genE3ELNS1_11target_archE908ELNS1_3gpuE7ELNS1_3repE0EEENS1_47radix_sort_onesweep_sort_config_static_selectorELNS0_4arch9wavefront6targetE1EEEvSI_.num_named_barrier, 0
	.set _ZN7rocprim17ROCPRIM_400000_NS6detail17trampoline_kernelINS0_14default_configENS1_35radix_sort_onesweep_config_selectorIiiEEZZNS1_29radix_sort_onesweep_iterationIS3_Lb0EN6thrust23THRUST_200600_302600_NS6detail15normal_iteratorINS8_10device_ptrIiEEEESD_SD_SD_jNS0_19identity_decomposerENS1_16block_id_wrapperIjLb0EEEEE10hipError_tT1_PNSt15iterator_traitsISI_E10value_typeET2_T3_PNSJ_ISO_E10value_typeET4_T5_PST_SU_PNS1_23onesweep_lookback_stateEbbT6_jjT7_P12ihipStream_tbENKUlT_T0_SI_SN_E_clISD_SD_SD_SD_EEDaS11_S12_SI_SN_EUlS11_E_NS1_11comp_targetILNS1_3genE3ELNS1_11target_archE908ELNS1_3gpuE7ELNS1_3repE0EEENS1_47radix_sort_onesweep_sort_config_static_selectorELNS0_4arch9wavefront6targetE1EEEvSI_.private_seg_size, 0
	.set _ZN7rocprim17ROCPRIM_400000_NS6detail17trampoline_kernelINS0_14default_configENS1_35radix_sort_onesweep_config_selectorIiiEEZZNS1_29radix_sort_onesweep_iterationIS3_Lb0EN6thrust23THRUST_200600_302600_NS6detail15normal_iteratorINS8_10device_ptrIiEEEESD_SD_SD_jNS0_19identity_decomposerENS1_16block_id_wrapperIjLb0EEEEE10hipError_tT1_PNSt15iterator_traitsISI_E10value_typeET2_T3_PNSJ_ISO_E10value_typeET4_T5_PST_SU_PNS1_23onesweep_lookback_stateEbbT6_jjT7_P12ihipStream_tbENKUlT_T0_SI_SN_E_clISD_SD_SD_SD_EEDaS11_S12_SI_SN_EUlS11_E_NS1_11comp_targetILNS1_3genE3ELNS1_11target_archE908ELNS1_3gpuE7ELNS1_3repE0EEENS1_47radix_sort_onesweep_sort_config_static_selectorELNS0_4arch9wavefront6targetE1EEEvSI_.uses_vcc, 0
	.set _ZN7rocprim17ROCPRIM_400000_NS6detail17trampoline_kernelINS0_14default_configENS1_35radix_sort_onesweep_config_selectorIiiEEZZNS1_29radix_sort_onesweep_iterationIS3_Lb0EN6thrust23THRUST_200600_302600_NS6detail15normal_iteratorINS8_10device_ptrIiEEEESD_SD_SD_jNS0_19identity_decomposerENS1_16block_id_wrapperIjLb0EEEEE10hipError_tT1_PNSt15iterator_traitsISI_E10value_typeET2_T3_PNSJ_ISO_E10value_typeET4_T5_PST_SU_PNS1_23onesweep_lookback_stateEbbT6_jjT7_P12ihipStream_tbENKUlT_T0_SI_SN_E_clISD_SD_SD_SD_EEDaS11_S12_SI_SN_EUlS11_E_NS1_11comp_targetILNS1_3genE3ELNS1_11target_archE908ELNS1_3gpuE7ELNS1_3repE0EEENS1_47radix_sort_onesweep_sort_config_static_selectorELNS0_4arch9wavefront6targetE1EEEvSI_.uses_flat_scratch, 0
	.set _ZN7rocprim17ROCPRIM_400000_NS6detail17trampoline_kernelINS0_14default_configENS1_35radix_sort_onesweep_config_selectorIiiEEZZNS1_29radix_sort_onesweep_iterationIS3_Lb0EN6thrust23THRUST_200600_302600_NS6detail15normal_iteratorINS8_10device_ptrIiEEEESD_SD_SD_jNS0_19identity_decomposerENS1_16block_id_wrapperIjLb0EEEEE10hipError_tT1_PNSt15iterator_traitsISI_E10value_typeET2_T3_PNSJ_ISO_E10value_typeET4_T5_PST_SU_PNS1_23onesweep_lookback_stateEbbT6_jjT7_P12ihipStream_tbENKUlT_T0_SI_SN_E_clISD_SD_SD_SD_EEDaS11_S12_SI_SN_EUlS11_E_NS1_11comp_targetILNS1_3genE3ELNS1_11target_archE908ELNS1_3gpuE7ELNS1_3repE0EEENS1_47radix_sort_onesweep_sort_config_static_selectorELNS0_4arch9wavefront6targetE1EEEvSI_.has_dyn_sized_stack, 0
	.set _ZN7rocprim17ROCPRIM_400000_NS6detail17trampoline_kernelINS0_14default_configENS1_35radix_sort_onesweep_config_selectorIiiEEZZNS1_29radix_sort_onesweep_iterationIS3_Lb0EN6thrust23THRUST_200600_302600_NS6detail15normal_iteratorINS8_10device_ptrIiEEEESD_SD_SD_jNS0_19identity_decomposerENS1_16block_id_wrapperIjLb0EEEEE10hipError_tT1_PNSt15iterator_traitsISI_E10value_typeET2_T3_PNSJ_ISO_E10value_typeET4_T5_PST_SU_PNS1_23onesweep_lookback_stateEbbT6_jjT7_P12ihipStream_tbENKUlT_T0_SI_SN_E_clISD_SD_SD_SD_EEDaS11_S12_SI_SN_EUlS11_E_NS1_11comp_targetILNS1_3genE3ELNS1_11target_archE908ELNS1_3gpuE7ELNS1_3repE0EEENS1_47radix_sort_onesweep_sort_config_static_selectorELNS0_4arch9wavefront6targetE1EEEvSI_.has_recursion, 0
	.set _ZN7rocprim17ROCPRIM_400000_NS6detail17trampoline_kernelINS0_14default_configENS1_35radix_sort_onesweep_config_selectorIiiEEZZNS1_29radix_sort_onesweep_iterationIS3_Lb0EN6thrust23THRUST_200600_302600_NS6detail15normal_iteratorINS8_10device_ptrIiEEEESD_SD_SD_jNS0_19identity_decomposerENS1_16block_id_wrapperIjLb0EEEEE10hipError_tT1_PNSt15iterator_traitsISI_E10value_typeET2_T3_PNSJ_ISO_E10value_typeET4_T5_PST_SU_PNS1_23onesweep_lookback_stateEbbT6_jjT7_P12ihipStream_tbENKUlT_T0_SI_SN_E_clISD_SD_SD_SD_EEDaS11_S12_SI_SN_EUlS11_E_NS1_11comp_targetILNS1_3genE3ELNS1_11target_archE908ELNS1_3gpuE7ELNS1_3repE0EEENS1_47radix_sort_onesweep_sort_config_static_selectorELNS0_4arch9wavefront6targetE1EEEvSI_.has_indirect_call, 0
	.section	.AMDGPU.csdata,"",@progbits
; Kernel info:
; codeLenInByte = 0
; TotalNumSgprs: 6
; NumVgprs: 0
; NumAgprs: 0
; TotalNumVgprs: 0
; ScratchSize: 0
; MemoryBound: 0
; FloatMode: 240
; IeeeMode: 1
; LDSByteSize: 0 bytes/workgroup (compile time only)
; SGPRBlocks: 0
; VGPRBlocks: 0
; NumSGPRsForWavesPerEU: 6
; NumVGPRsForWavesPerEU: 1
; AccumOffset: 4
; Occupancy: 8
; WaveLimiterHint : 0
; COMPUTE_PGM_RSRC2:SCRATCH_EN: 0
; COMPUTE_PGM_RSRC2:USER_SGPR: 2
; COMPUTE_PGM_RSRC2:TRAP_HANDLER: 0
; COMPUTE_PGM_RSRC2:TGID_X_EN: 1
; COMPUTE_PGM_RSRC2:TGID_Y_EN: 0
; COMPUTE_PGM_RSRC2:TGID_Z_EN: 0
; COMPUTE_PGM_RSRC2:TIDIG_COMP_CNT: 0
; COMPUTE_PGM_RSRC3_GFX90A:ACCUM_OFFSET: 0
; COMPUTE_PGM_RSRC3_GFX90A:TG_SPLIT: 0
	.section	.text._ZN7rocprim17ROCPRIM_400000_NS6detail17trampoline_kernelINS0_14default_configENS1_35radix_sort_onesweep_config_selectorIiiEEZZNS1_29radix_sort_onesweep_iterationIS3_Lb0EN6thrust23THRUST_200600_302600_NS6detail15normal_iteratorINS8_10device_ptrIiEEEESD_SD_SD_jNS0_19identity_decomposerENS1_16block_id_wrapperIjLb0EEEEE10hipError_tT1_PNSt15iterator_traitsISI_E10value_typeET2_T3_PNSJ_ISO_E10value_typeET4_T5_PST_SU_PNS1_23onesweep_lookback_stateEbbT6_jjT7_P12ihipStream_tbENKUlT_T0_SI_SN_E_clISD_SD_SD_SD_EEDaS11_S12_SI_SN_EUlS11_E_NS1_11comp_targetILNS1_3genE10ELNS1_11target_archE1201ELNS1_3gpuE5ELNS1_3repE0EEENS1_47radix_sort_onesweep_sort_config_static_selectorELNS0_4arch9wavefront6targetE1EEEvSI_,"axG",@progbits,_ZN7rocprim17ROCPRIM_400000_NS6detail17trampoline_kernelINS0_14default_configENS1_35radix_sort_onesweep_config_selectorIiiEEZZNS1_29radix_sort_onesweep_iterationIS3_Lb0EN6thrust23THRUST_200600_302600_NS6detail15normal_iteratorINS8_10device_ptrIiEEEESD_SD_SD_jNS0_19identity_decomposerENS1_16block_id_wrapperIjLb0EEEEE10hipError_tT1_PNSt15iterator_traitsISI_E10value_typeET2_T3_PNSJ_ISO_E10value_typeET4_T5_PST_SU_PNS1_23onesweep_lookback_stateEbbT6_jjT7_P12ihipStream_tbENKUlT_T0_SI_SN_E_clISD_SD_SD_SD_EEDaS11_S12_SI_SN_EUlS11_E_NS1_11comp_targetILNS1_3genE10ELNS1_11target_archE1201ELNS1_3gpuE5ELNS1_3repE0EEENS1_47radix_sort_onesweep_sort_config_static_selectorELNS0_4arch9wavefront6targetE1EEEvSI_,comdat
	.protected	_ZN7rocprim17ROCPRIM_400000_NS6detail17trampoline_kernelINS0_14default_configENS1_35radix_sort_onesweep_config_selectorIiiEEZZNS1_29radix_sort_onesweep_iterationIS3_Lb0EN6thrust23THRUST_200600_302600_NS6detail15normal_iteratorINS8_10device_ptrIiEEEESD_SD_SD_jNS0_19identity_decomposerENS1_16block_id_wrapperIjLb0EEEEE10hipError_tT1_PNSt15iterator_traitsISI_E10value_typeET2_T3_PNSJ_ISO_E10value_typeET4_T5_PST_SU_PNS1_23onesweep_lookback_stateEbbT6_jjT7_P12ihipStream_tbENKUlT_T0_SI_SN_E_clISD_SD_SD_SD_EEDaS11_S12_SI_SN_EUlS11_E_NS1_11comp_targetILNS1_3genE10ELNS1_11target_archE1201ELNS1_3gpuE5ELNS1_3repE0EEENS1_47radix_sort_onesweep_sort_config_static_selectorELNS0_4arch9wavefront6targetE1EEEvSI_ ; -- Begin function _ZN7rocprim17ROCPRIM_400000_NS6detail17trampoline_kernelINS0_14default_configENS1_35radix_sort_onesweep_config_selectorIiiEEZZNS1_29radix_sort_onesweep_iterationIS3_Lb0EN6thrust23THRUST_200600_302600_NS6detail15normal_iteratorINS8_10device_ptrIiEEEESD_SD_SD_jNS0_19identity_decomposerENS1_16block_id_wrapperIjLb0EEEEE10hipError_tT1_PNSt15iterator_traitsISI_E10value_typeET2_T3_PNSJ_ISO_E10value_typeET4_T5_PST_SU_PNS1_23onesweep_lookback_stateEbbT6_jjT7_P12ihipStream_tbENKUlT_T0_SI_SN_E_clISD_SD_SD_SD_EEDaS11_S12_SI_SN_EUlS11_E_NS1_11comp_targetILNS1_3genE10ELNS1_11target_archE1201ELNS1_3gpuE5ELNS1_3repE0EEENS1_47radix_sort_onesweep_sort_config_static_selectorELNS0_4arch9wavefront6targetE1EEEvSI_
	.globl	_ZN7rocprim17ROCPRIM_400000_NS6detail17trampoline_kernelINS0_14default_configENS1_35radix_sort_onesweep_config_selectorIiiEEZZNS1_29radix_sort_onesweep_iterationIS3_Lb0EN6thrust23THRUST_200600_302600_NS6detail15normal_iteratorINS8_10device_ptrIiEEEESD_SD_SD_jNS0_19identity_decomposerENS1_16block_id_wrapperIjLb0EEEEE10hipError_tT1_PNSt15iterator_traitsISI_E10value_typeET2_T3_PNSJ_ISO_E10value_typeET4_T5_PST_SU_PNS1_23onesweep_lookback_stateEbbT6_jjT7_P12ihipStream_tbENKUlT_T0_SI_SN_E_clISD_SD_SD_SD_EEDaS11_S12_SI_SN_EUlS11_E_NS1_11comp_targetILNS1_3genE10ELNS1_11target_archE1201ELNS1_3gpuE5ELNS1_3repE0EEENS1_47radix_sort_onesweep_sort_config_static_selectorELNS0_4arch9wavefront6targetE1EEEvSI_
	.p2align	8
	.type	_ZN7rocprim17ROCPRIM_400000_NS6detail17trampoline_kernelINS0_14default_configENS1_35radix_sort_onesweep_config_selectorIiiEEZZNS1_29radix_sort_onesweep_iterationIS3_Lb0EN6thrust23THRUST_200600_302600_NS6detail15normal_iteratorINS8_10device_ptrIiEEEESD_SD_SD_jNS0_19identity_decomposerENS1_16block_id_wrapperIjLb0EEEEE10hipError_tT1_PNSt15iterator_traitsISI_E10value_typeET2_T3_PNSJ_ISO_E10value_typeET4_T5_PST_SU_PNS1_23onesweep_lookback_stateEbbT6_jjT7_P12ihipStream_tbENKUlT_T0_SI_SN_E_clISD_SD_SD_SD_EEDaS11_S12_SI_SN_EUlS11_E_NS1_11comp_targetILNS1_3genE10ELNS1_11target_archE1201ELNS1_3gpuE5ELNS1_3repE0EEENS1_47radix_sort_onesweep_sort_config_static_selectorELNS0_4arch9wavefront6targetE1EEEvSI_,@function
_ZN7rocprim17ROCPRIM_400000_NS6detail17trampoline_kernelINS0_14default_configENS1_35radix_sort_onesweep_config_selectorIiiEEZZNS1_29radix_sort_onesweep_iterationIS3_Lb0EN6thrust23THRUST_200600_302600_NS6detail15normal_iteratorINS8_10device_ptrIiEEEESD_SD_SD_jNS0_19identity_decomposerENS1_16block_id_wrapperIjLb0EEEEE10hipError_tT1_PNSt15iterator_traitsISI_E10value_typeET2_T3_PNSJ_ISO_E10value_typeET4_T5_PST_SU_PNS1_23onesweep_lookback_stateEbbT6_jjT7_P12ihipStream_tbENKUlT_T0_SI_SN_E_clISD_SD_SD_SD_EEDaS11_S12_SI_SN_EUlS11_E_NS1_11comp_targetILNS1_3genE10ELNS1_11target_archE1201ELNS1_3gpuE5ELNS1_3repE0EEENS1_47radix_sort_onesweep_sort_config_static_selectorELNS0_4arch9wavefront6targetE1EEEvSI_: ; @_ZN7rocprim17ROCPRIM_400000_NS6detail17trampoline_kernelINS0_14default_configENS1_35radix_sort_onesweep_config_selectorIiiEEZZNS1_29radix_sort_onesweep_iterationIS3_Lb0EN6thrust23THRUST_200600_302600_NS6detail15normal_iteratorINS8_10device_ptrIiEEEESD_SD_SD_jNS0_19identity_decomposerENS1_16block_id_wrapperIjLb0EEEEE10hipError_tT1_PNSt15iterator_traitsISI_E10value_typeET2_T3_PNSJ_ISO_E10value_typeET4_T5_PST_SU_PNS1_23onesweep_lookback_stateEbbT6_jjT7_P12ihipStream_tbENKUlT_T0_SI_SN_E_clISD_SD_SD_SD_EEDaS11_S12_SI_SN_EUlS11_E_NS1_11comp_targetILNS1_3genE10ELNS1_11target_archE1201ELNS1_3gpuE5ELNS1_3repE0EEENS1_47radix_sort_onesweep_sort_config_static_selectorELNS0_4arch9wavefront6targetE1EEEvSI_
; %bb.0:
	.section	.rodata,"a",@progbits
	.p2align	6, 0x0
	.amdhsa_kernel _ZN7rocprim17ROCPRIM_400000_NS6detail17trampoline_kernelINS0_14default_configENS1_35radix_sort_onesweep_config_selectorIiiEEZZNS1_29radix_sort_onesweep_iterationIS3_Lb0EN6thrust23THRUST_200600_302600_NS6detail15normal_iteratorINS8_10device_ptrIiEEEESD_SD_SD_jNS0_19identity_decomposerENS1_16block_id_wrapperIjLb0EEEEE10hipError_tT1_PNSt15iterator_traitsISI_E10value_typeET2_T3_PNSJ_ISO_E10value_typeET4_T5_PST_SU_PNS1_23onesweep_lookback_stateEbbT6_jjT7_P12ihipStream_tbENKUlT_T0_SI_SN_E_clISD_SD_SD_SD_EEDaS11_S12_SI_SN_EUlS11_E_NS1_11comp_targetILNS1_3genE10ELNS1_11target_archE1201ELNS1_3gpuE5ELNS1_3repE0EEENS1_47radix_sort_onesweep_sort_config_static_selectorELNS0_4arch9wavefront6targetE1EEEvSI_
		.amdhsa_group_segment_fixed_size 0
		.amdhsa_private_segment_fixed_size 0
		.amdhsa_kernarg_size 88
		.amdhsa_user_sgpr_count 2
		.amdhsa_user_sgpr_dispatch_ptr 0
		.amdhsa_user_sgpr_queue_ptr 0
		.amdhsa_user_sgpr_kernarg_segment_ptr 1
		.amdhsa_user_sgpr_dispatch_id 0
		.amdhsa_user_sgpr_kernarg_preload_length 0
		.amdhsa_user_sgpr_kernarg_preload_offset 0
		.amdhsa_user_sgpr_private_segment_size 0
		.amdhsa_uses_dynamic_stack 0
		.amdhsa_enable_private_segment 0
		.amdhsa_system_sgpr_workgroup_id_x 1
		.amdhsa_system_sgpr_workgroup_id_y 0
		.amdhsa_system_sgpr_workgroup_id_z 0
		.amdhsa_system_sgpr_workgroup_info 0
		.amdhsa_system_vgpr_workitem_id 0
		.amdhsa_next_free_vgpr 1
		.amdhsa_next_free_sgpr 0
		.amdhsa_accum_offset 4
		.amdhsa_reserve_vcc 0
		.amdhsa_float_round_mode_32 0
		.amdhsa_float_round_mode_16_64 0
		.amdhsa_float_denorm_mode_32 3
		.amdhsa_float_denorm_mode_16_64 3
		.amdhsa_dx10_clamp 1
		.amdhsa_ieee_mode 1
		.amdhsa_fp16_overflow 0
		.amdhsa_tg_split 0
		.amdhsa_exception_fp_ieee_invalid_op 0
		.amdhsa_exception_fp_denorm_src 0
		.amdhsa_exception_fp_ieee_div_zero 0
		.amdhsa_exception_fp_ieee_overflow 0
		.amdhsa_exception_fp_ieee_underflow 0
		.amdhsa_exception_fp_ieee_inexact 0
		.amdhsa_exception_int_div_zero 0
	.end_amdhsa_kernel
	.section	.text._ZN7rocprim17ROCPRIM_400000_NS6detail17trampoline_kernelINS0_14default_configENS1_35radix_sort_onesweep_config_selectorIiiEEZZNS1_29radix_sort_onesweep_iterationIS3_Lb0EN6thrust23THRUST_200600_302600_NS6detail15normal_iteratorINS8_10device_ptrIiEEEESD_SD_SD_jNS0_19identity_decomposerENS1_16block_id_wrapperIjLb0EEEEE10hipError_tT1_PNSt15iterator_traitsISI_E10value_typeET2_T3_PNSJ_ISO_E10value_typeET4_T5_PST_SU_PNS1_23onesweep_lookback_stateEbbT6_jjT7_P12ihipStream_tbENKUlT_T0_SI_SN_E_clISD_SD_SD_SD_EEDaS11_S12_SI_SN_EUlS11_E_NS1_11comp_targetILNS1_3genE10ELNS1_11target_archE1201ELNS1_3gpuE5ELNS1_3repE0EEENS1_47radix_sort_onesweep_sort_config_static_selectorELNS0_4arch9wavefront6targetE1EEEvSI_,"axG",@progbits,_ZN7rocprim17ROCPRIM_400000_NS6detail17trampoline_kernelINS0_14default_configENS1_35radix_sort_onesweep_config_selectorIiiEEZZNS1_29radix_sort_onesweep_iterationIS3_Lb0EN6thrust23THRUST_200600_302600_NS6detail15normal_iteratorINS8_10device_ptrIiEEEESD_SD_SD_jNS0_19identity_decomposerENS1_16block_id_wrapperIjLb0EEEEE10hipError_tT1_PNSt15iterator_traitsISI_E10value_typeET2_T3_PNSJ_ISO_E10value_typeET4_T5_PST_SU_PNS1_23onesweep_lookback_stateEbbT6_jjT7_P12ihipStream_tbENKUlT_T0_SI_SN_E_clISD_SD_SD_SD_EEDaS11_S12_SI_SN_EUlS11_E_NS1_11comp_targetILNS1_3genE10ELNS1_11target_archE1201ELNS1_3gpuE5ELNS1_3repE0EEENS1_47radix_sort_onesweep_sort_config_static_selectorELNS0_4arch9wavefront6targetE1EEEvSI_,comdat
.Lfunc_end1452:
	.size	_ZN7rocprim17ROCPRIM_400000_NS6detail17trampoline_kernelINS0_14default_configENS1_35radix_sort_onesweep_config_selectorIiiEEZZNS1_29radix_sort_onesweep_iterationIS3_Lb0EN6thrust23THRUST_200600_302600_NS6detail15normal_iteratorINS8_10device_ptrIiEEEESD_SD_SD_jNS0_19identity_decomposerENS1_16block_id_wrapperIjLb0EEEEE10hipError_tT1_PNSt15iterator_traitsISI_E10value_typeET2_T3_PNSJ_ISO_E10value_typeET4_T5_PST_SU_PNS1_23onesweep_lookback_stateEbbT6_jjT7_P12ihipStream_tbENKUlT_T0_SI_SN_E_clISD_SD_SD_SD_EEDaS11_S12_SI_SN_EUlS11_E_NS1_11comp_targetILNS1_3genE10ELNS1_11target_archE1201ELNS1_3gpuE5ELNS1_3repE0EEENS1_47radix_sort_onesweep_sort_config_static_selectorELNS0_4arch9wavefront6targetE1EEEvSI_, .Lfunc_end1452-_ZN7rocprim17ROCPRIM_400000_NS6detail17trampoline_kernelINS0_14default_configENS1_35radix_sort_onesweep_config_selectorIiiEEZZNS1_29radix_sort_onesweep_iterationIS3_Lb0EN6thrust23THRUST_200600_302600_NS6detail15normal_iteratorINS8_10device_ptrIiEEEESD_SD_SD_jNS0_19identity_decomposerENS1_16block_id_wrapperIjLb0EEEEE10hipError_tT1_PNSt15iterator_traitsISI_E10value_typeET2_T3_PNSJ_ISO_E10value_typeET4_T5_PST_SU_PNS1_23onesweep_lookback_stateEbbT6_jjT7_P12ihipStream_tbENKUlT_T0_SI_SN_E_clISD_SD_SD_SD_EEDaS11_S12_SI_SN_EUlS11_E_NS1_11comp_targetILNS1_3genE10ELNS1_11target_archE1201ELNS1_3gpuE5ELNS1_3repE0EEENS1_47radix_sort_onesweep_sort_config_static_selectorELNS0_4arch9wavefront6targetE1EEEvSI_
                                        ; -- End function
	.set _ZN7rocprim17ROCPRIM_400000_NS6detail17trampoline_kernelINS0_14default_configENS1_35radix_sort_onesweep_config_selectorIiiEEZZNS1_29radix_sort_onesweep_iterationIS3_Lb0EN6thrust23THRUST_200600_302600_NS6detail15normal_iteratorINS8_10device_ptrIiEEEESD_SD_SD_jNS0_19identity_decomposerENS1_16block_id_wrapperIjLb0EEEEE10hipError_tT1_PNSt15iterator_traitsISI_E10value_typeET2_T3_PNSJ_ISO_E10value_typeET4_T5_PST_SU_PNS1_23onesweep_lookback_stateEbbT6_jjT7_P12ihipStream_tbENKUlT_T0_SI_SN_E_clISD_SD_SD_SD_EEDaS11_S12_SI_SN_EUlS11_E_NS1_11comp_targetILNS1_3genE10ELNS1_11target_archE1201ELNS1_3gpuE5ELNS1_3repE0EEENS1_47radix_sort_onesweep_sort_config_static_selectorELNS0_4arch9wavefront6targetE1EEEvSI_.num_vgpr, 0
	.set _ZN7rocprim17ROCPRIM_400000_NS6detail17trampoline_kernelINS0_14default_configENS1_35radix_sort_onesweep_config_selectorIiiEEZZNS1_29radix_sort_onesweep_iterationIS3_Lb0EN6thrust23THRUST_200600_302600_NS6detail15normal_iteratorINS8_10device_ptrIiEEEESD_SD_SD_jNS0_19identity_decomposerENS1_16block_id_wrapperIjLb0EEEEE10hipError_tT1_PNSt15iterator_traitsISI_E10value_typeET2_T3_PNSJ_ISO_E10value_typeET4_T5_PST_SU_PNS1_23onesweep_lookback_stateEbbT6_jjT7_P12ihipStream_tbENKUlT_T0_SI_SN_E_clISD_SD_SD_SD_EEDaS11_S12_SI_SN_EUlS11_E_NS1_11comp_targetILNS1_3genE10ELNS1_11target_archE1201ELNS1_3gpuE5ELNS1_3repE0EEENS1_47radix_sort_onesweep_sort_config_static_selectorELNS0_4arch9wavefront6targetE1EEEvSI_.num_agpr, 0
	.set _ZN7rocprim17ROCPRIM_400000_NS6detail17trampoline_kernelINS0_14default_configENS1_35radix_sort_onesweep_config_selectorIiiEEZZNS1_29radix_sort_onesweep_iterationIS3_Lb0EN6thrust23THRUST_200600_302600_NS6detail15normal_iteratorINS8_10device_ptrIiEEEESD_SD_SD_jNS0_19identity_decomposerENS1_16block_id_wrapperIjLb0EEEEE10hipError_tT1_PNSt15iterator_traitsISI_E10value_typeET2_T3_PNSJ_ISO_E10value_typeET4_T5_PST_SU_PNS1_23onesweep_lookback_stateEbbT6_jjT7_P12ihipStream_tbENKUlT_T0_SI_SN_E_clISD_SD_SD_SD_EEDaS11_S12_SI_SN_EUlS11_E_NS1_11comp_targetILNS1_3genE10ELNS1_11target_archE1201ELNS1_3gpuE5ELNS1_3repE0EEENS1_47radix_sort_onesweep_sort_config_static_selectorELNS0_4arch9wavefront6targetE1EEEvSI_.numbered_sgpr, 0
	.set _ZN7rocprim17ROCPRIM_400000_NS6detail17trampoline_kernelINS0_14default_configENS1_35radix_sort_onesweep_config_selectorIiiEEZZNS1_29radix_sort_onesweep_iterationIS3_Lb0EN6thrust23THRUST_200600_302600_NS6detail15normal_iteratorINS8_10device_ptrIiEEEESD_SD_SD_jNS0_19identity_decomposerENS1_16block_id_wrapperIjLb0EEEEE10hipError_tT1_PNSt15iterator_traitsISI_E10value_typeET2_T3_PNSJ_ISO_E10value_typeET4_T5_PST_SU_PNS1_23onesweep_lookback_stateEbbT6_jjT7_P12ihipStream_tbENKUlT_T0_SI_SN_E_clISD_SD_SD_SD_EEDaS11_S12_SI_SN_EUlS11_E_NS1_11comp_targetILNS1_3genE10ELNS1_11target_archE1201ELNS1_3gpuE5ELNS1_3repE0EEENS1_47radix_sort_onesweep_sort_config_static_selectorELNS0_4arch9wavefront6targetE1EEEvSI_.num_named_barrier, 0
	.set _ZN7rocprim17ROCPRIM_400000_NS6detail17trampoline_kernelINS0_14default_configENS1_35radix_sort_onesweep_config_selectorIiiEEZZNS1_29radix_sort_onesweep_iterationIS3_Lb0EN6thrust23THRUST_200600_302600_NS6detail15normal_iteratorINS8_10device_ptrIiEEEESD_SD_SD_jNS0_19identity_decomposerENS1_16block_id_wrapperIjLb0EEEEE10hipError_tT1_PNSt15iterator_traitsISI_E10value_typeET2_T3_PNSJ_ISO_E10value_typeET4_T5_PST_SU_PNS1_23onesweep_lookback_stateEbbT6_jjT7_P12ihipStream_tbENKUlT_T0_SI_SN_E_clISD_SD_SD_SD_EEDaS11_S12_SI_SN_EUlS11_E_NS1_11comp_targetILNS1_3genE10ELNS1_11target_archE1201ELNS1_3gpuE5ELNS1_3repE0EEENS1_47radix_sort_onesweep_sort_config_static_selectorELNS0_4arch9wavefront6targetE1EEEvSI_.private_seg_size, 0
	.set _ZN7rocprim17ROCPRIM_400000_NS6detail17trampoline_kernelINS0_14default_configENS1_35radix_sort_onesweep_config_selectorIiiEEZZNS1_29radix_sort_onesweep_iterationIS3_Lb0EN6thrust23THRUST_200600_302600_NS6detail15normal_iteratorINS8_10device_ptrIiEEEESD_SD_SD_jNS0_19identity_decomposerENS1_16block_id_wrapperIjLb0EEEEE10hipError_tT1_PNSt15iterator_traitsISI_E10value_typeET2_T3_PNSJ_ISO_E10value_typeET4_T5_PST_SU_PNS1_23onesweep_lookback_stateEbbT6_jjT7_P12ihipStream_tbENKUlT_T0_SI_SN_E_clISD_SD_SD_SD_EEDaS11_S12_SI_SN_EUlS11_E_NS1_11comp_targetILNS1_3genE10ELNS1_11target_archE1201ELNS1_3gpuE5ELNS1_3repE0EEENS1_47radix_sort_onesweep_sort_config_static_selectorELNS0_4arch9wavefront6targetE1EEEvSI_.uses_vcc, 0
	.set _ZN7rocprim17ROCPRIM_400000_NS6detail17trampoline_kernelINS0_14default_configENS1_35radix_sort_onesweep_config_selectorIiiEEZZNS1_29radix_sort_onesweep_iterationIS3_Lb0EN6thrust23THRUST_200600_302600_NS6detail15normal_iteratorINS8_10device_ptrIiEEEESD_SD_SD_jNS0_19identity_decomposerENS1_16block_id_wrapperIjLb0EEEEE10hipError_tT1_PNSt15iterator_traitsISI_E10value_typeET2_T3_PNSJ_ISO_E10value_typeET4_T5_PST_SU_PNS1_23onesweep_lookback_stateEbbT6_jjT7_P12ihipStream_tbENKUlT_T0_SI_SN_E_clISD_SD_SD_SD_EEDaS11_S12_SI_SN_EUlS11_E_NS1_11comp_targetILNS1_3genE10ELNS1_11target_archE1201ELNS1_3gpuE5ELNS1_3repE0EEENS1_47radix_sort_onesweep_sort_config_static_selectorELNS0_4arch9wavefront6targetE1EEEvSI_.uses_flat_scratch, 0
	.set _ZN7rocprim17ROCPRIM_400000_NS6detail17trampoline_kernelINS0_14default_configENS1_35radix_sort_onesweep_config_selectorIiiEEZZNS1_29radix_sort_onesweep_iterationIS3_Lb0EN6thrust23THRUST_200600_302600_NS6detail15normal_iteratorINS8_10device_ptrIiEEEESD_SD_SD_jNS0_19identity_decomposerENS1_16block_id_wrapperIjLb0EEEEE10hipError_tT1_PNSt15iterator_traitsISI_E10value_typeET2_T3_PNSJ_ISO_E10value_typeET4_T5_PST_SU_PNS1_23onesweep_lookback_stateEbbT6_jjT7_P12ihipStream_tbENKUlT_T0_SI_SN_E_clISD_SD_SD_SD_EEDaS11_S12_SI_SN_EUlS11_E_NS1_11comp_targetILNS1_3genE10ELNS1_11target_archE1201ELNS1_3gpuE5ELNS1_3repE0EEENS1_47radix_sort_onesweep_sort_config_static_selectorELNS0_4arch9wavefront6targetE1EEEvSI_.has_dyn_sized_stack, 0
	.set _ZN7rocprim17ROCPRIM_400000_NS6detail17trampoline_kernelINS0_14default_configENS1_35radix_sort_onesweep_config_selectorIiiEEZZNS1_29radix_sort_onesweep_iterationIS3_Lb0EN6thrust23THRUST_200600_302600_NS6detail15normal_iteratorINS8_10device_ptrIiEEEESD_SD_SD_jNS0_19identity_decomposerENS1_16block_id_wrapperIjLb0EEEEE10hipError_tT1_PNSt15iterator_traitsISI_E10value_typeET2_T3_PNSJ_ISO_E10value_typeET4_T5_PST_SU_PNS1_23onesweep_lookback_stateEbbT6_jjT7_P12ihipStream_tbENKUlT_T0_SI_SN_E_clISD_SD_SD_SD_EEDaS11_S12_SI_SN_EUlS11_E_NS1_11comp_targetILNS1_3genE10ELNS1_11target_archE1201ELNS1_3gpuE5ELNS1_3repE0EEENS1_47radix_sort_onesweep_sort_config_static_selectorELNS0_4arch9wavefront6targetE1EEEvSI_.has_recursion, 0
	.set _ZN7rocprim17ROCPRIM_400000_NS6detail17trampoline_kernelINS0_14default_configENS1_35radix_sort_onesweep_config_selectorIiiEEZZNS1_29radix_sort_onesweep_iterationIS3_Lb0EN6thrust23THRUST_200600_302600_NS6detail15normal_iteratorINS8_10device_ptrIiEEEESD_SD_SD_jNS0_19identity_decomposerENS1_16block_id_wrapperIjLb0EEEEE10hipError_tT1_PNSt15iterator_traitsISI_E10value_typeET2_T3_PNSJ_ISO_E10value_typeET4_T5_PST_SU_PNS1_23onesweep_lookback_stateEbbT6_jjT7_P12ihipStream_tbENKUlT_T0_SI_SN_E_clISD_SD_SD_SD_EEDaS11_S12_SI_SN_EUlS11_E_NS1_11comp_targetILNS1_3genE10ELNS1_11target_archE1201ELNS1_3gpuE5ELNS1_3repE0EEENS1_47radix_sort_onesweep_sort_config_static_selectorELNS0_4arch9wavefront6targetE1EEEvSI_.has_indirect_call, 0
	.section	.AMDGPU.csdata,"",@progbits
; Kernel info:
; codeLenInByte = 0
; TotalNumSgprs: 6
; NumVgprs: 0
; NumAgprs: 0
; TotalNumVgprs: 0
; ScratchSize: 0
; MemoryBound: 0
; FloatMode: 240
; IeeeMode: 1
; LDSByteSize: 0 bytes/workgroup (compile time only)
; SGPRBlocks: 0
; VGPRBlocks: 0
; NumSGPRsForWavesPerEU: 6
; NumVGPRsForWavesPerEU: 1
; AccumOffset: 4
; Occupancy: 8
; WaveLimiterHint : 0
; COMPUTE_PGM_RSRC2:SCRATCH_EN: 0
; COMPUTE_PGM_RSRC2:USER_SGPR: 2
; COMPUTE_PGM_RSRC2:TRAP_HANDLER: 0
; COMPUTE_PGM_RSRC2:TGID_X_EN: 1
; COMPUTE_PGM_RSRC2:TGID_Y_EN: 0
; COMPUTE_PGM_RSRC2:TGID_Z_EN: 0
; COMPUTE_PGM_RSRC2:TIDIG_COMP_CNT: 0
; COMPUTE_PGM_RSRC3_GFX90A:ACCUM_OFFSET: 0
; COMPUTE_PGM_RSRC3_GFX90A:TG_SPLIT: 0
	.section	.text._ZN7rocprim17ROCPRIM_400000_NS6detail17trampoline_kernelINS0_14default_configENS1_35radix_sort_onesweep_config_selectorIiiEEZZNS1_29radix_sort_onesweep_iterationIS3_Lb0EN6thrust23THRUST_200600_302600_NS6detail15normal_iteratorINS8_10device_ptrIiEEEESD_SD_SD_jNS0_19identity_decomposerENS1_16block_id_wrapperIjLb0EEEEE10hipError_tT1_PNSt15iterator_traitsISI_E10value_typeET2_T3_PNSJ_ISO_E10value_typeET4_T5_PST_SU_PNS1_23onesweep_lookback_stateEbbT6_jjT7_P12ihipStream_tbENKUlT_T0_SI_SN_E_clISD_SD_SD_SD_EEDaS11_S12_SI_SN_EUlS11_E_NS1_11comp_targetILNS1_3genE9ELNS1_11target_archE1100ELNS1_3gpuE3ELNS1_3repE0EEENS1_47radix_sort_onesweep_sort_config_static_selectorELNS0_4arch9wavefront6targetE1EEEvSI_,"axG",@progbits,_ZN7rocprim17ROCPRIM_400000_NS6detail17trampoline_kernelINS0_14default_configENS1_35radix_sort_onesweep_config_selectorIiiEEZZNS1_29radix_sort_onesweep_iterationIS3_Lb0EN6thrust23THRUST_200600_302600_NS6detail15normal_iteratorINS8_10device_ptrIiEEEESD_SD_SD_jNS0_19identity_decomposerENS1_16block_id_wrapperIjLb0EEEEE10hipError_tT1_PNSt15iterator_traitsISI_E10value_typeET2_T3_PNSJ_ISO_E10value_typeET4_T5_PST_SU_PNS1_23onesweep_lookback_stateEbbT6_jjT7_P12ihipStream_tbENKUlT_T0_SI_SN_E_clISD_SD_SD_SD_EEDaS11_S12_SI_SN_EUlS11_E_NS1_11comp_targetILNS1_3genE9ELNS1_11target_archE1100ELNS1_3gpuE3ELNS1_3repE0EEENS1_47radix_sort_onesweep_sort_config_static_selectorELNS0_4arch9wavefront6targetE1EEEvSI_,comdat
	.protected	_ZN7rocprim17ROCPRIM_400000_NS6detail17trampoline_kernelINS0_14default_configENS1_35radix_sort_onesweep_config_selectorIiiEEZZNS1_29radix_sort_onesweep_iterationIS3_Lb0EN6thrust23THRUST_200600_302600_NS6detail15normal_iteratorINS8_10device_ptrIiEEEESD_SD_SD_jNS0_19identity_decomposerENS1_16block_id_wrapperIjLb0EEEEE10hipError_tT1_PNSt15iterator_traitsISI_E10value_typeET2_T3_PNSJ_ISO_E10value_typeET4_T5_PST_SU_PNS1_23onesweep_lookback_stateEbbT6_jjT7_P12ihipStream_tbENKUlT_T0_SI_SN_E_clISD_SD_SD_SD_EEDaS11_S12_SI_SN_EUlS11_E_NS1_11comp_targetILNS1_3genE9ELNS1_11target_archE1100ELNS1_3gpuE3ELNS1_3repE0EEENS1_47radix_sort_onesweep_sort_config_static_selectorELNS0_4arch9wavefront6targetE1EEEvSI_ ; -- Begin function _ZN7rocprim17ROCPRIM_400000_NS6detail17trampoline_kernelINS0_14default_configENS1_35radix_sort_onesweep_config_selectorIiiEEZZNS1_29radix_sort_onesweep_iterationIS3_Lb0EN6thrust23THRUST_200600_302600_NS6detail15normal_iteratorINS8_10device_ptrIiEEEESD_SD_SD_jNS0_19identity_decomposerENS1_16block_id_wrapperIjLb0EEEEE10hipError_tT1_PNSt15iterator_traitsISI_E10value_typeET2_T3_PNSJ_ISO_E10value_typeET4_T5_PST_SU_PNS1_23onesweep_lookback_stateEbbT6_jjT7_P12ihipStream_tbENKUlT_T0_SI_SN_E_clISD_SD_SD_SD_EEDaS11_S12_SI_SN_EUlS11_E_NS1_11comp_targetILNS1_3genE9ELNS1_11target_archE1100ELNS1_3gpuE3ELNS1_3repE0EEENS1_47radix_sort_onesweep_sort_config_static_selectorELNS0_4arch9wavefront6targetE1EEEvSI_
	.globl	_ZN7rocprim17ROCPRIM_400000_NS6detail17trampoline_kernelINS0_14default_configENS1_35radix_sort_onesweep_config_selectorIiiEEZZNS1_29radix_sort_onesweep_iterationIS3_Lb0EN6thrust23THRUST_200600_302600_NS6detail15normal_iteratorINS8_10device_ptrIiEEEESD_SD_SD_jNS0_19identity_decomposerENS1_16block_id_wrapperIjLb0EEEEE10hipError_tT1_PNSt15iterator_traitsISI_E10value_typeET2_T3_PNSJ_ISO_E10value_typeET4_T5_PST_SU_PNS1_23onesweep_lookback_stateEbbT6_jjT7_P12ihipStream_tbENKUlT_T0_SI_SN_E_clISD_SD_SD_SD_EEDaS11_S12_SI_SN_EUlS11_E_NS1_11comp_targetILNS1_3genE9ELNS1_11target_archE1100ELNS1_3gpuE3ELNS1_3repE0EEENS1_47radix_sort_onesweep_sort_config_static_selectorELNS0_4arch9wavefront6targetE1EEEvSI_
	.p2align	8
	.type	_ZN7rocprim17ROCPRIM_400000_NS6detail17trampoline_kernelINS0_14default_configENS1_35radix_sort_onesweep_config_selectorIiiEEZZNS1_29radix_sort_onesweep_iterationIS3_Lb0EN6thrust23THRUST_200600_302600_NS6detail15normal_iteratorINS8_10device_ptrIiEEEESD_SD_SD_jNS0_19identity_decomposerENS1_16block_id_wrapperIjLb0EEEEE10hipError_tT1_PNSt15iterator_traitsISI_E10value_typeET2_T3_PNSJ_ISO_E10value_typeET4_T5_PST_SU_PNS1_23onesweep_lookback_stateEbbT6_jjT7_P12ihipStream_tbENKUlT_T0_SI_SN_E_clISD_SD_SD_SD_EEDaS11_S12_SI_SN_EUlS11_E_NS1_11comp_targetILNS1_3genE9ELNS1_11target_archE1100ELNS1_3gpuE3ELNS1_3repE0EEENS1_47radix_sort_onesweep_sort_config_static_selectorELNS0_4arch9wavefront6targetE1EEEvSI_,@function
_ZN7rocprim17ROCPRIM_400000_NS6detail17trampoline_kernelINS0_14default_configENS1_35radix_sort_onesweep_config_selectorIiiEEZZNS1_29radix_sort_onesweep_iterationIS3_Lb0EN6thrust23THRUST_200600_302600_NS6detail15normal_iteratorINS8_10device_ptrIiEEEESD_SD_SD_jNS0_19identity_decomposerENS1_16block_id_wrapperIjLb0EEEEE10hipError_tT1_PNSt15iterator_traitsISI_E10value_typeET2_T3_PNSJ_ISO_E10value_typeET4_T5_PST_SU_PNS1_23onesweep_lookback_stateEbbT6_jjT7_P12ihipStream_tbENKUlT_T0_SI_SN_E_clISD_SD_SD_SD_EEDaS11_S12_SI_SN_EUlS11_E_NS1_11comp_targetILNS1_3genE9ELNS1_11target_archE1100ELNS1_3gpuE3ELNS1_3repE0EEENS1_47radix_sort_onesweep_sort_config_static_selectorELNS0_4arch9wavefront6targetE1EEEvSI_: ; @_ZN7rocprim17ROCPRIM_400000_NS6detail17trampoline_kernelINS0_14default_configENS1_35radix_sort_onesweep_config_selectorIiiEEZZNS1_29radix_sort_onesweep_iterationIS3_Lb0EN6thrust23THRUST_200600_302600_NS6detail15normal_iteratorINS8_10device_ptrIiEEEESD_SD_SD_jNS0_19identity_decomposerENS1_16block_id_wrapperIjLb0EEEEE10hipError_tT1_PNSt15iterator_traitsISI_E10value_typeET2_T3_PNSJ_ISO_E10value_typeET4_T5_PST_SU_PNS1_23onesweep_lookback_stateEbbT6_jjT7_P12ihipStream_tbENKUlT_T0_SI_SN_E_clISD_SD_SD_SD_EEDaS11_S12_SI_SN_EUlS11_E_NS1_11comp_targetILNS1_3genE9ELNS1_11target_archE1100ELNS1_3gpuE3ELNS1_3repE0EEENS1_47radix_sort_onesweep_sort_config_static_selectorELNS0_4arch9wavefront6targetE1EEEvSI_
; %bb.0:
	.section	.rodata,"a",@progbits
	.p2align	6, 0x0
	.amdhsa_kernel _ZN7rocprim17ROCPRIM_400000_NS6detail17trampoline_kernelINS0_14default_configENS1_35radix_sort_onesweep_config_selectorIiiEEZZNS1_29radix_sort_onesweep_iterationIS3_Lb0EN6thrust23THRUST_200600_302600_NS6detail15normal_iteratorINS8_10device_ptrIiEEEESD_SD_SD_jNS0_19identity_decomposerENS1_16block_id_wrapperIjLb0EEEEE10hipError_tT1_PNSt15iterator_traitsISI_E10value_typeET2_T3_PNSJ_ISO_E10value_typeET4_T5_PST_SU_PNS1_23onesweep_lookback_stateEbbT6_jjT7_P12ihipStream_tbENKUlT_T0_SI_SN_E_clISD_SD_SD_SD_EEDaS11_S12_SI_SN_EUlS11_E_NS1_11comp_targetILNS1_3genE9ELNS1_11target_archE1100ELNS1_3gpuE3ELNS1_3repE0EEENS1_47radix_sort_onesweep_sort_config_static_selectorELNS0_4arch9wavefront6targetE1EEEvSI_
		.amdhsa_group_segment_fixed_size 0
		.amdhsa_private_segment_fixed_size 0
		.amdhsa_kernarg_size 88
		.amdhsa_user_sgpr_count 2
		.amdhsa_user_sgpr_dispatch_ptr 0
		.amdhsa_user_sgpr_queue_ptr 0
		.amdhsa_user_sgpr_kernarg_segment_ptr 1
		.amdhsa_user_sgpr_dispatch_id 0
		.amdhsa_user_sgpr_kernarg_preload_length 0
		.amdhsa_user_sgpr_kernarg_preload_offset 0
		.amdhsa_user_sgpr_private_segment_size 0
		.amdhsa_uses_dynamic_stack 0
		.amdhsa_enable_private_segment 0
		.amdhsa_system_sgpr_workgroup_id_x 1
		.amdhsa_system_sgpr_workgroup_id_y 0
		.amdhsa_system_sgpr_workgroup_id_z 0
		.amdhsa_system_sgpr_workgroup_info 0
		.amdhsa_system_vgpr_workitem_id 0
		.amdhsa_next_free_vgpr 1
		.amdhsa_next_free_sgpr 0
		.amdhsa_accum_offset 4
		.amdhsa_reserve_vcc 0
		.amdhsa_float_round_mode_32 0
		.amdhsa_float_round_mode_16_64 0
		.amdhsa_float_denorm_mode_32 3
		.amdhsa_float_denorm_mode_16_64 3
		.amdhsa_dx10_clamp 1
		.amdhsa_ieee_mode 1
		.amdhsa_fp16_overflow 0
		.amdhsa_tg_split 0
		.amdhsa_exception_fp_ieee_invalid_op 0
		.amdhsa_exception_fp_denorm_src 0
		.amdhsa_exception_fp_ieee_div_zero 0
		.amdhsa_exception_fp_ieee_overflow 0
		.amdhsa_exception_fp_ieee_underflow 0
		.amdhsa_exception_fp_ieee_inexact 0
		.amdhsa_exception_int_div_zero 0
	.end_amdhsa_kernel
	.section	.text._ZN7rocprim17ROCPRIM_400000_NS6detail17trampoline_kernelINS0_14default_configENS1_35radix_sort_onesweep_config_selectorIiiEEZZNS1_29radix_sort_onesweep_iterationIS3_Lb0EN6thrust23THRUST_200600_302600_NS6detail15normal_iteratorINS8_10device_ptrIiEEEESD_SD_SD_jNS0_19identity_decomposerENS1_16block_id_wrapperIjLb0EEEEE10hipError_tT1_PNSt15iterator_traitsISI_E10value_typeET2_T3_PNSJ_ISO_E10value_typeET4_T5_PST_SU_PNS1_23onesweep_lookback_stateEbbT6_jjT7_P12ihipStream_tbENKUlT_T0_SI_SN_E_clISD_SD_SD_SD_EEDaS11_S12_SI_SN_EUlS11_E_NS1_11comp_targetILNS1_3genE9ELNS1_11target_archE1100ELNS1_3gpuE3ELNS1_3repE0EEENS1_47radix_sort_onesweep_sort_config_static_selectorELNS0_4arch9wavefront6targetE1EEEvSI_,"axG",@progbits,_ZN7rocprim17ROCPRIM_400000_NS6detail17trampoline_kernelINS0_14default_configENS1_35radix_sort_onesweep_config_selectorIiiEEZZNS1_29radix_sort_onesweep_iterationIS3_Lb0EN6thrust23THRUST_200600_302600_NS6detail15normal_iteratorINS8_10device_ptrIiEEEESD_SD_SD_jNS0_19identity_decomposerENS1_16block_id_wrapperIjLb0EEEEE10hipError_tT1_PNSt15iterator_traitsISI_E10value_typeET2_T3_PNSJ_ISO_E10value_typeET4_T5_PST_SU_PNS1_23onesweep_lookback_stateEbbT6_jjT7_P12ihipStream_tbENKUlT_T0_SI_SN_E_clISD_SD_SD_SD_EEDaS11_S12_SI_SN_EUlS11_E_NS1_11comp_targetILNS1_3genE9ELNS1_11target_archE1100ELNS1_3gpuE3ELNS1_3repE0EEENS1_47radix_sort_onesweep_sort_config_static_selectorELNS0_4arch9wavefront6targetE1EEEvSI_,comdat
.Lfunc_end1453:
	.size	_ZN7rocprim17ROCPRIM_400000_NS6detail17trampoline_kernelINS0_14default_configENS1_35radix_sort_onesweep_config_selectorIiiEEZZNS1_29radix_sort_onesweep_iterationIS3_Lb0EN6thrust23THRUST_200600_302600_NS6detail15normal_iteratorINS8_10device_ptrIiEEEESD_SD_SD_jNS0_19identity_decomposerENS1_16block_id_wrapperIjLb0EEEEE10hipError_tT1_PNSt15iterator_traitsISI_E10value_typeET2_T3_PNSJ_ISO_E10value_typeET4_T5_PST_SU_PNS1_23onesweep_lookback_stateEbbT6_jjT7_P12ihipStream_tbENKUlT_T0_SI_SN_E_clISD_SD_SD_SD_EEDaS11_S12_SI_SN_EUlS11_E_NS1_11comp_targetILNS1_3genE9ELNS1_11target_archE1100ELNS1_3gpuE3ELNS1_3repE0EEENS1_47radix_sort_onesweep_sort_config_static_selectorELNS0_4arch9wavefront6targetE1EEEvSI_, .Lfunc_end1453-_ZN7rocprim17ROCPRIM_400000_NS6detail17trampoline_kernelINS0_14default_configENS1_35radix_sort_onesweep_config_selectorIiiEEZZNS1_29radix_sort_onesweep_iterationIS3_Lb0EN6thrust23THRUST_200600_302600_NS6detail15normal_iteratorINS8_10device_ptrIiEEEESD_SD_SD_jNS0_19identity_decomposerENS1_16block_id_wrapperIjLb0EEEEE10hipError_tT1_PNSt15iterator_traitsISI_E10value_typeET2_T3_PNSJ_ISO_E10value_typeET4_T5_PST_SU_PNS1_23onesweep_lookback_stateEbbT6_jjT7_P12ihipStream_tbENKUlT_T0_SI_SN_E_clISD_SD_SD_SD_EEDaS11_S12_SI_SN_EUlS11_E_NS1_11comp_targetILNS1_3genE9ELNS1_11target_archE1100ELNS1_3gpuE3ELNS1_3repE0EEENS1_47radix_sort_onesweep_sort_config_static_selectorELNS0_4arch9wavefront6targetE1EEEvSI_
                                        ; -- End function
	.set _ZN7rocprim17ROCPRIM_400000_NS6detail17trampoline_kernelINS0_14default_configENS1_35radix_sort_onesweep_config_selectorIiiEEZZNS1_29radix_sort_onesweep_iterationIS3_Lb0EN6thrust23THRUST_200600_302600_NS6detail15normal_iteratorINS8_10device_ptrIiEEEESD_SD_SD_jNS0_19identity_decomposerENS1_16block_id_wrapperIjLb0EEEEE10hipError_tT1_PNSt15iterator_traitsISI_E10value_typeET2_T3_PNSJ_ISO_E10value_typeET4_T5_PST_SU_PNS1_23onesweep_lookback_stateEbbT6_jjT7_P12ihipStream_tbENKUlT_T0_SI_SN_E_clISD_SD_SD_SD_EEDaS11_S12_SI_SN_EUlS11_E_NS1_11comp_targetILNS1_3genE9ELNS1_11target_archE1100ELNS1_3gpuE3ELNS1_3repE0EEENS1_47radix_sort_onesweep_sort_config_static_selectorELNS0_4arch9wavefront6targetE1EEEvSI_.num_vgpr, 0
	.set _ZN7rocprim17ROCPRIM_400000_NS6detail17trampoline_kernelINS0_14default_configENS1_35radix_sort_onesweep_config_selectorIiiEEZZNS1_29radix_sort_onesweep_iterationIS3_Lb0EN6thrust23THRUST_200600_302600_NS6detail15normal_iteratorINS8_10device_ptrIiEEEESD_SD_SD_jNS0_19identity_decomposerENS1_16block_id_wrapperIjLb0EEEEE10hipError_tT1_PNSt15iterator_traitsISI_E10value_typeET2_T3_PNSJ_ISO_E10value_typeET4_T5_PST_SU_PNS1_23onesweep_lookback_stateEbbT6_jjT7_P12ihipStream_tbENKUlT_T0_SI_SN_E_clISD_SD_SD_SD_EEDaS11_S12_SI_SN_EUlS11_E_NS1_11comp_targetILNS1_3genE9ELNS1_11target_archE1100ELNS1_3gpuE3ELNS1_3repE0EEENS1_47radix_sort_onesweep_sort_config_static_selectorELNS0_4arch9wavefront6targetE1EEEvSI_.num_agpr, 0
	.set _ZN7rocprim17ROCPRIM_400000_NS6detail17trampoline_kernelINS0_14default_configENS1_35radix_sort_onesweep_config_selectorIiiEEZZNS1_29radix_sort_onesweep_iterationIS3_Lb0EN6thrust23THRUST_200600_302600_NS6detail15normal_iteratorINS8_10device_ptrIiEEEESD_SD_SD_jNS0_19identity_decomposerENS1_16block_id_wrapperIjLb0EEEEE10hipError_tT1_PNSt15iterator_traitsISI_E10value_typeET2_T3_PNSJ_ISO_E10value_typeET4_T5_PST_SU_PNS1_23onesweep_lookback_stateEbbT6_jjT7_P12ihipStream_tbENKUlT_T0_SI_SN_E_clISD_SD_SD_SD_EEDaS11_S12_SI_SN_EUlS11_E_NS1_11comp_targetILNS1_3genE9ELNS1_11target_archE1100ELNS1_3gpuE3ELNS1_3repE0EEENS1_47radix_sort_onesweep_sort_config_static_selectorELNS0_4arch9wavefront6targetE1EEEvSI_.numbered_sgpr, 0
	.set _ZN7rocprim17ROCPRIM_400000_NS6detail17trampoline_kernelINS0_14default_configENS1_35radix_sort_onesweep_config_selectorIiiEEZZNS1_29radix_sort_onesweep_iterationIS3_Lb0EN6thrust23THRUST_200600_302600_NS6detail15normal_iteratorINS8_10device_ptrIiEEEESD_SD_SD_jNS0_19identity_decomposerENS1_16block_id_wrapperIjLb0EEEEE10hipError_tT1_PNSt15iterator_traitsISI_E10value_typeET2_T3_PNSJ_ISO_E10value_typeET4_T5_PST_SU_PNS1_23onesweep_lookback_stateEbbT6_jjT7_P12ihipStream_tbENKUlT_T0_SI_SN_E_clISD_SD_SD_SD_EEDaS11_S12_SI_SN_EUlS11_E_NS1_11comp_targetILNS1_3genE9ELNS1_11target_archE1100ELNS1_3gpuE3ELNS1_3repE0EEENS1_47radix_sort_onesweep_sort_config_static_selectorELNS0_4arch9wavefront6targetE1EEEvSI_.num_named_barrier, 0
	.set _ZN7rocprim17ROCPRIM_400000_NS6detail17trampoline_kernelINS0_14default_configENS1_35radix_sort_onesweep_config_selectorIiiEEZZNS1_29radix_sort_onesweep_iterationIS3_Lb0EN6thrust23THRUST_200600_302600_NS6detail15normal_iteratorINS8_10device_ptrIiEEEESD_SD_SD_jNS0_19identity_decomposerENS1_16block_id_wrapperIjLb0EEEEE10hipError_tT1_PNSt15iterator_traitsISI_E10value_typeET2_T3_PNSJ_ISO_E10value_typeET4_T5_PST_SU_PNS1_23onesweep_lookback_stateEbbT6_jjT7_P12ihipStream_tbENKUlT_T0_SI_SN_E_clISD_SD_SD_SD_EEDaS11_S12_SI_SN_EUlS11_E_NS1_11comp_targetILNS1_3genE9ELNS1_11target_archE1100ELNS1_3gpuE3ELNS1_3repE0EEENS1_47radix_sort_onesweep_sort_config_static_selectorELNS0_4arch9wavefront6targetE1EEEvSI_.private_seg_size, 0
	.set _ZN7rocprim17ROCPRIM_400000_NS6detail17trampoline_kernelINS0_14default_configENS1_35radix_sort_onesweep_config_selectorIiiEEZZNS1_29radix_sort_onesweep_iterationIS3_Lb0EN6thrust23THRUST_200600_302600_NS6detail15normal_iteratorINS8_10device_ptrIiEEEESD_SD_SD_jNS0_19identity_decomposerENS1_16block_id_wrapperIjLb0EEEEE10hipError_tT1_PNSt15iterator_traitsISI_E10value_typeET2_T3_PNSJ_ISO_E10value_typeET4_T5_PST_SU_PNS1_23onesweep_lookback_stateEbbT6_jjT7_P12ihipStream_tbENKUlT_T0_SI_SN_E_clISD_SD_SD_SD_EEDaS11_S12_SI_SN_EUlS11_E_NS1_11comp_targetILNS1_3genE9ELNS1_11target_archE1100ELNS1_3gpuE3ELNS1_3repE0EEENS1_47radix_sort_onesweep_sort_config_static_selectorELNS0_4arch9wavefront6targetE1EEEvSI_.uses_vcc, 0
	.set _ZN7rocprim17ROCPRIM_400000_NS6detail17trampoline_kernelINS0_14default_configENS1_35radix_sort_onesweep_config_selectorIiiEEZZNS1_29radix_sort_onesweep_iterationIS3_Lb0EN6thrust23THRUST_200600_302600_NS6detail15normal_iteratorINS8_10device_ptrIiEEEESD_SD_SD_jNS0_19identity_decomposerENS1_16block_id_wrapperIjLb0EEEEE10hipError_tT1_PNSt15iterator_traitsISI_E10value_typeET2_T3_PNSJ_ISO_E10value_typeET4_T5_PST_SU_PNS1_23onesweep_lookback_stateEbbT6_jjT7_P12ihipStream_tbENKUlT_T0_SI_SN_E_clISD_SD_SD_SD_EEDaS11_S12_SI_SN_EUlS11_E_NS1_11comp_targetILNS1_3genE9ELNS1_11target_archE1100ELNS1_3gpuE3ELNS1_3repE0EEENS1_47radix_sort_onesweep_sort_config_static_selectorELNS0_4arch9wavefront6targetE1EEEvSI_.uses_flat_scratch, 0
	.set _ZN7rocprim17ROCPRIM_400000_NS6detail17trampoline_kernelINS0_14default_configENS1_35radix_sort_onesweep_config_selectorIiiEEZZNS1_29radix_sort_onesweep_iterationIS3_Lb0EN6thrust23THRUST_200600_302600_NS6detail15normal_iteratorINS8_10device_ptrIiEEEESD_SD_SD_jNS0_19identity_decomposerENS1_16block_id_wrapperIjLb0EEEEE10hipError_tT1_PNSt15iterator_traitsISI_E10value_typeET2_T3_PNSJ_ISO_E10value_typeET4_T5_PST_SU_PNS1_23onesweep_lookback_stateEbbT6_jjT7_P12ihipStream_tbENKUlT_T0_SI_SN_E_clISD_SD_SD_SD_EEDaS11_S12_SI_SN_EUlS11_E_NS1_11comp_targetILNS1_3genE9ELNS1_11target_archE1100ELNS1_3gpuE3ELNS1_3repE0EEENS1_47radix_sort_onesweep_sort_config_static_selectorELNS0_4arch9wavefront6targetE1EEEvSI_.has_dyn_sized_stack, 0
	.set _ZN7rocprim17ROCPRIM_400000_NS6detail17trampoline_kernelINS0_14default_configENS1_35radix_sort_onesweep_config_selectorIiiEEZZNS1_29radix_sort_onesweep_iterationIS3_Lb0EN6thrust23THRUST_200600_302600_NS6detail15normal_iteratorINS8_10device_ptrIiEEEESD_SD_SD_jNS0_19identity_decomposerENS1_16block_id_wrapperIjLb0EEEEE10hipError_tT1_PNSt15iterator_traitsISI_E10value_typeET2_T3_PNSJ_ISO_E10value_typeET4_T5_PST_SU_PNS1_23onesweep_lookback_stateEbbT6_jjT7_P12ihipStream_tbENKUlT_T0_SI_SN_E_clISD_SD_SD_SD_EEDaS11_S12_SI_SN_EUlS11_E_NS1_11comp_targetILNS1_3genE9ELNS1_11target_archE1100ELNS1_3gpuE3ELNS1_3repE0EEENS1_47radix_sort_onesweep_sort_config_static_selectorELNS0_4arch9wavefront6targetE1EEEvSI_.has_recursion, 0
	.set _ZN7rocprim17ROCPRIM_400000_NS6detail17trampoline_kernelINS0_14default_configENS1_35radix_sort_onesweep_config_selectorIiiEEZZNS1_29radix_sort_onesweep_iterationIS3_Lb0EN6thrust23THRUST_200600_302600_NS6detail15normal_iteratorINS8_10device_ptrIiEEEESD_SD_SD_jNS0_19identity_decomposerENS1_16block_id_wrapperIjLb0EEEEE10hipError_tT1_PNSt15iterator_traitsISI_E10value_typeET2_T3_PNSJ_ISO_E10value_typeET4_T5_PST_SU_PNS1_23onesweep_lookback_stateEbbT6_jjT7_P12ihipStream_tbENKUlT_T0_SI_SN_E_clISD_SD_SD_SD_EEDaS11_S12_SI_SN_EUlS11_E_NS1_11comp_targetILNS1_3genE9ELNS1_11target_archE1100ELNS1_3gpuE3ELNS1_3repE0EEENS1_47radix_sort_onesweep_sort_config_static_selectorELNS0_4arch9wavefront6targetE1EEEvSI_.has_indirect_call, 0
	.section	.AMDGPU.csdata,"",@progbits
; Kernel info:
; codeLenInByte = 0
; TotalNumSgprs: 6
; NumVgprs: 0
; NumAgprs: 0
; TotalNumVgprs: 0
; ScratchSize: 0
; MemoryBound: 0
; FloatMode: 240
; IeeeMode: 1
; LDSByteSize: 0 bytes/workgroup (compile time only)
; SGPRBlocks: 0
; VGPRBlocks: 0
; NumSGPRsForWavesPerEU: 6
; NumVGPRsForWavesPerEU: 1
; AccumOffset: 4
; Occupancy: 8
; WaveLimiterHint : 0
; COMPUTE_PGM_RSRC2:SCRATCH_EN: 0
; COMPUTE_PGM_RSRC2:USER_SGPR: 2
; COMPUTE_PGM_RSRC2:TRAP_HANDLER: 0
; COMPUTE_PGM_RSRC2:TGID_X_EN: 1
; COMPUTE_PGM_RSRC2:TGID_Y_EN: 0
; COMPUTE_PGM_RSRC2:TGID_Z_EN: 0
; COMPUTE_PGM_RSRC2:TIDIG_COMP_CNT: 0
; COMPUTE_PGM_RSRC3_GFX90A:ACCUM_OFFSET: 0
; COMPUTE_PGM_RSRC3_GFX90A:TG_SPLIT: 0
	.section	.text._ZN7rocprim17ROCPRIM_400000_NS6detail17trampoline_kernelINS0_14default_configENS1_35radix_sort_onesweep_config_selectorIiiEEZZNS1_29radix_sort_onesweep_iterationIS3_Lb0EN6thrust23THRUST_200600_302600_NS6detail15normal_iteratorINS8_10device_ptrIiEEEESD_SD_SD_jNS0_19identity_decomposerENS1_16block_id_wrapperIjLb0EEEEE10hipError_tT1_PNSt15iterator_traitsISI_E10value_typeET2_T3_PNSJ_ISO_E10value_typeET4_T5_PST_SU_PNS1_23onesweep_lookback_stateEbbT6_jjT7_P12ihipStream_tbENKUlT_T0_SI_SN_E_clISD_SD_SD_SD_EEDaS11_S12_SI_SN_EUlS11_E_NS1_11comp_targetILNS1_3genE8ELNS1_11target_archE1030ELNS1_3gpuE2ELNS1_3repE0EEENS1_47radix_sort_onesweep_sort_config_static_selectorELNS0_4arch9wavefront6targetE1EEEvSI_,"axG",@progbits,_ZN7rocprim17ROCPRIM_400000_NS6detail17trampoline_kernelINS0_14default_configENS1_35radix_sort_onesweep_config_selectorIiiEEZZNS1_29radix_sort_onesweep_iterationIS3_Lb0EN6thrust23THRUST_200600_302600_NS6detail15normal_iteratorINS8_10device_ptrIiEEEESD_SD_SD_jNS0_19identity_decomposerENS1_16block_id_wrapperIjLb0EEEEE10hipError_tT1_PNSt15iterator_traitsISI_E10value_typeET2_T3_PNSJ_ISO_E10value_typeET4_T5_PST_SU_PNS1_23onesweep_lookback_stateEbbT6_jjT7_P12ihipStream_tbENKUlT_T0_SI_SN_E_clISD_SD_SD_SD_EEDaS11_S12_SI_SN_EUlS11_E_NS1_11comp_targetILNS1_3genE8ELNS1_11target_archE1030ELNS1_3gpuE2ELNS1_3repE0EEENS1_47radix_sort_onesweep_sort_config_static_selectorELNS0_4arch9wavefront6targetE1EEEvSI_,comdat
	.protected	_ZN7rocprim17ROCPRIM_400000_NS6detail17trampoline_kernelINS0_14default_configENS1_35radix_sort_onesweep_config_selectorIiiEEZZNS1_29radix_sort_onesweep_iterationIS3_Lb0EN6thrust23THRUST_200600_302600_NS6detail15normal_iteratorINS8_10device_ptrIiEEEESD_SD_SD_jNS0_19identity_decomposerENS1_16block_id_wrapperIjLb0EEEEE10hipError_tT1_PNSt15iterator_traitsISI_E10value_typeET2_T3_PNSJ_ISO_E10value_typeET4_T5_PST_SU_PNS1_23onesweep_lookback_stateEbbT6_jjT7_P12ihipStream_tbENKUlT_T0_SI_SN_E_clISD_SD_SD_SD_EEDaS11_S12_SI_SN_EUlS11_E_NS1_11comp_targetILNS1_3genE8ELNS1_11target_archE1030ELNS1_3gpuE2ELNS1_3repE0EEENS1_47radix_sort_onesweep_sort_config_static_selectorELNS0_4arch9wavefront6targetE1EEEvSI_ ; -- Begin function _ZN7rocprim17ROCPRIM_400000_NS6detail17trampoline_kernelINS0_14default_configENS1_35radix_sort_onesweep_config_selectorIiiEEZZNS1_29radix_sort_onesweep_iterationIS3_Lb0EN6thrust23THRUST_200600_302600_NS6detail15normal_iteratorINS8_10device_ptrIiEEEESD_SD_SD_jNS0_19identity_decomposerENS1_16block_id_wrapperIjLb0EEEEE10hipError_tT1_PNSt15iterator_traitsISI_E10value_typeET2_T3_PNSJ_ISO_E10value_typeET4_T5_PST_SU_PNS1_23onesweep_lookback_stateEbbT6_jjT7_P12ihipStream_tbENKUlT_T0_SI_SN_E_clISD_SD_SD_SD_EEDaS11_S12_SI_SN_EUlS11_E_NS1_11comp_targetILNS1_3genE8ELNS1_11target_archE1030ELNS1_3gpuE2ELNS1_3repE0EEENS1_47radix_sort_onesweep_sort_config_static_selectorELNS0_4arch9wavefront6targetE1EEEvSI_
	.globl	_ZN7rocprim17ROCPRIM_400000_NS6detail17trampoline_kernelINS0_14default_configENS1_35radix_sort_onesweep_config_selectorIiiEEZZNS1_29radix_sort_onesweep_iterationIS3_Lb0EN6thrust23THRUST_200600_302600_NS6detail15normal_iteratorINS8_10device_ptrIiEEEESD_SD_SD_jNS0_19identity_decomposerENS1_16block_id_wrapperIjLb0EEEEE10hipError_tT1_PNSt15iterator_traitsISI_E10value_typeET2_T3_PNSJ_ISO_E10value_typeET4_T5_PST_SU_PNS1_23onesweep_lookback_stateEbbT6_jjT7_P12ihipStream_tbENKUlT_T0_SI_SN_E_clISD_SD_SD_SD_EEDaS11_S12_SI_SN_EUlS11_E_NS1_11comp_targetILNS1_3genE8ELNS1_11target_archE1030ELNS1_3gpuE2ELNS1_3repE0EEENS1_47radix_sort_onesweep_sort_config_static_selectorELNS0_4arch9wavefront6targetE1EEEvSI_
	.p2align	8
	.type	_ZN7rocprim17ROCPRIM_400000_NS6detail17trampoline_kernelINS0_14default_configENS1_35radix_sort_onesweep_config_selectorIiiEEZZNS1_29radix_sort_onesweep_iterationIS3_Lb0EN6thrust23THRUST_200600_302600_NS6detail15normal_iteratorINS8_10device_ptrIiEEEESD_SD_SD_jNS0_19identity_decomposerENS1_16block_id_wrapperIjLb0EEEEE10hipError_tT1_PNSt15iterator_traitsISI_E10value_typeET2_T3_PNSJ_ISO_E10value_typeET4_T5_PST_SU_PNS1_23onesweep_lookback_stateEbbT6_jjT7_P12ihipStream_tbENKUlT_T0_SI_SN_E_clISD_SD_SD_SD_EEDaS11_S12_SI_SN_EUlS11_E_NS1_11comp_targetILNS1_3genE8ELNS1_11target_archE1030ELNS1_3gpuE2ELNS1_3repE0EEENS1_47radix_sort_onesweep_sort_config_static_selectorELNS0_4arch9wavefront6targetE1EEEvSI_,@function
_ZN7rocprim17ROCPRIM_400000_NS6detail17trampoline_kernelINS0_14default_configENS1_35radix_sort_onesweep_config_selectorIiiEEZZNS1_29radix_sort_onesweep_iterationIS3_Lb0EN6thrust23THRUST_200600_302600_NS6detail15normal_iteratorINS8_10device_ptrIiEEEESD_SD_SD_jNS0_19identity_decomposerENS1_16block_id_wrapperIjLb0EEEEE10hipError_tT1_PNSt15iterator_traitsISI_E10value_typeET2_T3_PNSJ_ISO_E10value_typeET4_T5_PST_SU_PNS1_23onesweep_lookback_stateEbbT6_jjT7_P12ihipStream_tbENKUlT_T0_SI_SN_E_clISD_SD_SD_SD_EEDaS11_S12_SI_SN_EUlS11_E_NS1_11comp_targetILNS1_3genE8ELNS1_11target_archE1030ELNS1_3gpuE2ELNS1_3repE0EEENS1_47radix_sort_onesweep_sort_config_static_selectorELNS0_4arch9wavefront6targetE1EEEvSI_: ; @_ZN7rocprim17ROCPRIM_400000_NS6detail17trampoline_kernelINS0_14default_configENS1_35radix_sort_onesweep_config_selectorIiiEEZZNS1_29radix_sort_onesweep_iterationIS3_Lb0EN6thrust23THRUST_200600_302600_NS6detail15normal_iteratorINS8_10device_ptrIiEEEESD_SD_SD_jNS0_19identity_decomposerENS1_16block_id_wrapperIjLb0EEEEE10hipError_tT1_PNSt15iterator_traitsISI_E10value_typeET2_T3_PNSJ_ISO_E10value_typeET4_T5_PST_SU_PNS1_23onesweep_lookback_stateEbbT6_jjT7_P12ihipStream_tbENKUlT_T0_SI_SN_E_clISD_SD_SD_SD_EEDaS11_S12_SI_SN_EUlS11_E_NS1_11comp_targetILNS1_3genE8ELNS1_11target_archE1030ELNS1_3gpuE2ELNS1_3repE0EEENS1_47radix_sort_onesweep_sort_config_static_selectorELNS0_4arch9wavefront6targetE1EEEvSI_
; %bb.0:
	.section	.rodata,"a",@progbits
	.p2align	6, 0x0
	.amdhsa_kernel _ZN7rocprim17ROCPRIM_400000_NS6detail17trampoline_kernelINS0_14default_configENS1_35radix_sort_onesweep_config_selectorIiiEEZZNS1_29radix_sort_onesweep_iterationIS3_Lb0EN6thrust23THRUST_200600_302600_NS6detail15normal_iteratorINS8_10device_ptrIiEEEESD_SD_SD_jNS0_19identity_decomposerENS1_16block_id_wrapperIjLb0EEEEE10hipError_tT1_PNSt15iterator_traitsISI_E10value_typeET2_T3_PNSJ_ISO_E10value_typeET4_T5_PST_SU_PNS1_23onesweep_lookback_stateEbbT6_jjT7_P12ihipStream_tbENKUlT_T0_SI_SN_E_clISD_SD_SD_SD_EEDaS11_S12_SI_SN_EUlS11_E_NS1_11comp_targetILNS1_3genE8ELNS1_11target_archE1030ELNS1_3gpuE2ELNS1_3repE0EEENS1_47radix_sort_onesweep_sort_config_static_selectorELNS0_4arch9wavefront6targetE1EEEvSI_
		.amdhsa_group_segment_fixed_size 0
		.amdhsa_private_segment_fixed_size 0
		.amdhsa_kernarg_size 88
		.amdhsa_user_sgpr_count 2
		.amdhsa_user_sgpr_dispatch_ptr 0
		.amdhsa_user_sgpr_queue_ptr 0
		.amdhsa_user_sgpr_kernarg_segment_ptr 1
		.amdhsa_user_sgpr_dispatch_id 0
		.amdhsa_user_sgpr_kernarg_preload_length 0
		.amdhsa_user_sgpr_kernarg_preload_offset 0
		.amdhsa_user_sgpr_private_segment_size 0
		.amdhsa_uses_dynamic_stack 0
		.amdhsa_enable_private_segment 0
		.amdhsa_system_sgpr_workgroup_id_x 1
		.amdhsa_system_sgpr_workgroup_id_y 0
		.amdhsa_system_sgpr_workgroup_id_z 0
		.amdhsa_system_sgpr_workgroup_info 0
		.amdhsa_system_vgpr_workitem_id 0
		.amdhsa_next_free_vgpr 1
		.amdhsa_next_free_sgpr 0
		.amdhsa_accum_offset 4
		.amdhsa_reserve_vcc 0
		.amdhsa_float_round_mode_32 0
		.amdhsa_float_round_mode_16_64 0
		.amdhsa_float_denorm_mode_32 3
		.amdhsa_float_denorm_mode_16_64 3
		.amdhsa_dx10_clamp 1
		.amdhsa_ieee_mode 1
		.amdhsa_fp16_overflow 0
		.amdhsa_tg_split 0
		.amdhsa_exception_fp_ieee_invalid_op 0
		.amdhsa_exception_fp_denorm_src 0
		.amdhsa_exception_fp_ieee_div_zero 0
		.amdhsa_exception_fp_ieee_overflow 0
		.amdhsa_exception_fp_ieee_underflow 0
		.amdhsa_exception_fp_ieee_inexact 0
		.amdhsa_exception_int_div_zero 0
	.end_amdhsa_kernel
	.section	.text._ZN7rocprim17ROCPRIM_400000_NS6detail17trampoline_kernelINS0_14default_configENS1_35radix_sort_onesweep_config_selectorIiiEEZZNS1_29radix_sort_onesweep_iterationIS3_Lb0EN6thrust23THRUST_200600_302600_NS6detail15normal_iteratorINS8_10device_ptrIiEEEESD_SD_SD_jNS0_19identity_decomposerENS1_16block_id_wrapperIjLb0EEEEE10hipError_tT1_PNSt15iterator_traitsISI_E10value_typeET2_T3_PNSJ_ISO_E10value_typeET4_T5_PST_SU_PNS1_23onesweep_lookback_stateEbbT6_jjT7_P12ihipStream_tbENKUlT_T0_SI_SN_E_clISD_SD_SD_SD_EEDaS11_S12_SI_SN_EUlS11_E_NS1_11comp_targetILNS1_3genE8ELNS1_11target_archE1030ELNS1_3gpuE2ELNS1_3repE0EEENS1_47radix_sort_onesweep_sort_config_static_selectorELNS0_4arch9wavefront6targetE1EEEvSI_,"axG",@progbits,_ZN7rocprim17ROCPRIM_400000_NS6detail17trampoline_kernelINS0_14default_configENS1_35radix_sort_onesweep_config_selectorIiiEEZZNS1_29radix_sort_onesweep_iterationIS3_Lb0EN6thrust23THRUST_200600_302600_NS6detail15normal_iteratorINS8_10device_ptrIiEEEESD_SD_SD_jNS0_19identity_decomposerENS1_16block_id_wrapperIjLb0EEEEE10hipError_tT1_PNSt15iterator_traitsISI_E10value_typeET2_T3_PNSJ_ISO_E10value_typeET4_T5_PST_SU_PNS1_23onesweep_lookback_stateEbbT6_jjT7_P12ihipStream_tbENKUlT_T0_SI_SN_E_clISD_SD_SD_SD_EEDaS11_S12_SI_SN_EUlS11_E_NS1_11comp_targetILNS1_3genE8ELNS1_11target_archE1030ELNS1_3gpuE2ELNS1_3repE0EEENS1_47radix_sort_onesweep_sort_config_static_selectorELNS0_4arch9wavefront6targetE1EEEvSI_,comdat
.Lfunc_end1454:
	.size	_ZN7rocprim17ROCPRIM_400000_NS6detail17trampoline_kernelINS0_14default_configENS1_35radix_sort_onesweep_config_selectorIiiEEZZNS1_29radix_sort_onesweep_iterationIS3_Lb0EN6thrust23THRUST_200600_302600_NS6detail15normal_iteratorINS8_10device_ptrIiEEEESD_SD_SD_jNS0_19identity_decomposerENS1_16block_id_wrapperIjLb0EEEEE10hipError_tT1_PNSt15iterator_traitsISI_E10value_typeET2_T3_PNSJ_ISO_E10value_typeET4_T5_PST_SU_PNS1_23onesweep_lookback_stateEbbT6_jjT7_P12ihipStream_tbENKUlT_T0_SI_SN_E_clISD_SD_SD_SD_EEDaS11_S12_SI_SN_EUlS11_E_NS1_11comp_targetILNS1_3genE8ELNS1_11target_archE1030ELNS1_3gpuE2ELNS1_3repE0EEENS1_47radix_sort_onesweep_sort_config_static_selectorELNS0_4arch9wavefront6targetE1EEEvSI_, .Lfunc_end1454-_ZN7rocprim17ROCPRIM_400000_NS6detail17trampoline_kernelINS0_14default_configENS1_35radix_sort_onesweep_config_selectorIiiEEZZNS1_29radix_sort_onesweep_iterationIS3_Lb0EN6thrust23THRUST_200600_302600_NS6detail15normal_iteratorINS8_10device_ptrIiEEEESD_SD_SD_jNS0_19identity_decomposerENS1_16block_id_wrapperIjLb0EEEEE10hipError_tT1_PNSt15iterator_traitsISI_E10value_typeET2_T3_PNSJ_ISO_E10value_typeET4_T5_PST_SU_PNS1_23onesweep_lookback_stateEbbT6_jjT7_P12ihipStream_tbENKUlT_T0_SI_SN_E_clISD_SD_SD_SD_EEDaS11_S12_SI_SN_EUlS11_E_NS1_11comp_targetILNS1_3genE8ELNS1_11target_archE1030ELNS1_3gpuE2ELNS1_3repE0EEENS1_47radix_sort_onesweep_sort_config_static_selectorELNS0_4arch9wavefront6targetE1EEEvSI_
                                        ; -- End function
	.set _ZN7rocprim17ROCPRIM_400000_NS6detail17trampoline_kernelINS0_14default_configENS1_35radix_sort_onesweep_config_selectorIiiEEZZNS1_29radix_sort_onesweep_iterationIS3_Lb0EN6thrust23THRUST_200600_302600_NS6detail15normal_iteratorINS8_10device_ptrIiEEEESD_SD_SD_jNS0_19identity_decomposerENS1_16block_id_wrapperIjLb0EEEEE10hipError_tT1_PNSt15iterator_traitsISI_E10value_typeET2_T3_PNSJ_ISO_E10value_typeET4_T5_PST_SU_PNS1_23onesweep_lookback_stateEbbT6_jjT7_P12ihipStream_tbENKUlT_T0_SI_SN_E_clISD_SD_SD_SD_EEDaS11_S12_SI_SN_EUlS11_E_NS1_11comp_targetILNS1_3genE8ELNS1_11target_archE1030ELNS1_3gpuE2ELNS1_3repE0EEENS1_47radix_sort_onesweep_sort_config_static_selectorELNS0_4arch9wavefront6targetE1EEEvSI_.num_vgpr, 0
	.set _ZN7rocprim17ROCPRIM_400000_NS6detail17trampoline_kernelINS0_14default_configENS1_35radix_sort_onesweep_config_selectorIiiEEZZNS1_29radix_sort_onesweep_iterationIS3_Lb0EN6thrust23THRUST_200600_302600_NS6detail15normal_iteratorINS8_10device_ptrIiEEEESD_SD_SD_jNS0_19identity_decomposerENS1_16block_id_wrapperIjLb0EEEEE10hipError_tT1_PNSt15iterator_traitsISI_E10value_typeET2_T3_PNSJ_ISO_E10value_typeET4_T5_PST_SU_PNS1_23onesweep_lookback_stateEbbT6_jjT7_P12ihipStream_tbENKUlT_T0_SI_SN_E_clISD_SD_SD_SD_EEDaS11_S12_SI_SN_EUlS11_E_NS1_11comp_targetILNS1_3genE8ELNS1_11target_archE1030ELNS1_3gpuE2ELNS1_3repE0EEENS1_47radix_sort_onesweep_sort_config_static_selectorELNS0_4arch9wavefront6targetE1EEEvSI_.num_agpr, 0
	.set _ZN7rocprim17ROCPRIM_400000_NS6detail17trampoline_kernelINS0_14default_configENS1_35radix_sort_onesweep_config_selectorIiiEEZZNS1_29radix_sort_onesweep_iterationIS3_Lb0EN6thrust23THRUST_200600_302600_NS6detail15normal_iteratorINS8_10device_ptrIiEEEESD_SD_SD_jNS0_19identity_decomposerENS1_16block_id_wrapperIjLb0EEEEE10hipError_tT1_PNSt15iterator_traitsISI_E10value_typeET2_T3_PNSJ_ISO_E10value_typeET4_T5_PST_SU_PNS1_23onesweep_lookback_stateEbbT6_jjT7_P12ihipStream_tbENKUlT_T0_SI_SN_E_clISD_SD_SD_SD_EEDaS11_S12_SI_SN_EUlS11_E_NS1_11comp_targetILNS1_3genE8ELNS1_11target_archE1030ELNS1_3gpuE2ELNS1_3repE0EEENS1_47radix_sort_onesweep_sort_config_static_selectorELNS0_4arch9wavefront6targetE1EEEvSI_.numbered_sgpr, 0
	.set _ZN7rocprim17ROCPRIM_400000_NS6detail17trampoline_kernelINS0_14default_configENS1_35radix_sort_onesweep_config_selectorIiiEEZZNS1_29radix_sort_onesweep_iterationIS3_Lb0EN6thrust23THRUST_200600_302600_NS6detail15normal_iteratorINS8_10device_ptrIiEEEESD_SD_SD_jNS0_19identity_decomposerENS1_16block_id_wrapperIjLb0EEEEE10hipError_tT1_PNSt15iterator_traitsISI_E10value_typeET2_T3_PNSJ_ISO_E10value_typeET4_T5_PST_SU_PNS1_23onesweep_lookback_stateEbbT6_jjT7_P12ihipStream_tbENKUlT_T0_SI_SN_E_clISD_SD_SD_SD_EEDaS11_S12_SI_SN_EUlS11_E_NS1_11comp_targetILNS1_3genE8ELNS1_11target_archE1030ELNS1_3gpuE2ELNS1_3repE0EEENS1_47radix_sort_onesweep_sort_config_static_selectorELNS0_4arch9wavefront6targetE1EEEvSI_.num_named_barrier, 0
	.set _ZN7rocprim17ROCPRIM_400000_NS6detail17trampoline_kernelINS0_14default_configENS1_35radix_sort_onesweep_config_selectorIiiEEZZNS1_29radix_sort_onesweep_iterationIS3_Lb0EN6thrust23THRUST_200600_302600_NS6detail15normal_iteratorINS8_10device_ptrIiEEEESD_SD_SD_jNS0_19identity_decomposerENS1_16block_id_wrapperIjLb0EEEEE10hipError_tT1_PNSt15iterator_traitsISI_E10value_typeET2_T3_PNSJ_ISO_E10value_typeET4_T5_PST_SU_PNS1_23onesweep_lookback_stateEbbT6_jjT7_P12ihipStream_tbENKUlT_T0_SI_SN_E_clISD_SD_SD_SD_EEDaS11_S12_SI_SN_EUlS11_E_NS1_11comp_targetILNS1_3genE8ELNS1_11target_archE1030ELNS1_3gpuE2ELNS1_3repE0EEENS1_47radix_sort_onesweep_sort_config_static_selectorELNS0_4arch9wavefront6targetE1EEEvSI_.private_seg_size, 0
	.set _ZN7rocprim17ROCPRIM_400000_NS6detail17trampoline_kernelINS0_14default_configENS1_35radix_sort_onesweep_config_selectorIiiEEZZNS1_29radix_sort_onesweep_iterationIS3_Lb0EN6thrust23THRUST_200600_302600_NS6detail15normal_iteratorINS8_10device_ptrIiEEEESD_SD_SD_jNS0_19identity_decomposerENS1_16block_id_wrapperIjLb0EEEEE10hipError_tT1_PNSt15iterator_traitsISI_E10value_typeET2_T3_PNSJ_ISO_E10value_typeET4_T5_PST_SU_PNS1_23onesweep_lookback_stateEbbT6_jjT7_P12ihipStream_tbENKUlT_T0_SI_SN_E_clISD_SD_SD_SD_EEDaS11_S12_SI_SN_EUlS11_E_NS1_11comp_targetILNS1_3genE8ELNS1_11target_archE1030ELNS1_3gpuE2ELNS1_3repE0EEENS1_47radix_sort_onesweep_sort_config_static_selectorELNS0_4arch9wavefront6targetE1EEEvSI_.uses_vcc, 0
	.set _ZN7rocprim17ROCPRIM_400000_NS6detail17trampoline_kernelINS0_14default_configENS1_35radix_sort_onesweep_config_selectorIiiEEZZNS1_29radix_sort_onesweep_iterationIS3_Lb0EN6thrust23THRUST_200600_302600_NS6detail15normal_iteratorINS8_10device_ptrIiEEEESD_SD_SD_jNS0_19identity_decomposerENS1_16block_id_wrapperIjLb0EEEEE10hipError_tT1_PNSt15iterator_traitsISI_E10value_typeET2_T3_PNSJ_ISO_E10value_typeET4_T5_PST_SU_PNS1_23onesweep_lookback_stateEbbT6_jjT7_P12ihipStream_tbENKUlT_T0_SI_SN_E_clISD_SD_SD_SD_EEDaS11_S12_SI_SN_EUlS11_E_NS1_11comp_targetILNS1_3genE8ELNS1_11target_archE1030ELNS1_3gpuE2ELNS1_3repE0EEENS1_47radix_sort_onesweep_sort_config_static_selectorELNS0_4arch9wavefront6targetE1EEEvSI_.uses_flat_scratch, 0
	.set _ZN7rocprim17ROCPRIM_400000_NS6detail17trampoline_kernelINS0_14default_configENS1_35radix_sort_onesweep_config_selectorIiiEEZZNS1_29radix_sort_onesweep_iterationIS3_Lb0EN6thrust23THRUST_200600_302600_NS6detail15normal_iteratorINS8_10device_ptrIiEEEESD_SD_SD_jNS0_19identity_decomposerENS1_16block_id_wrapperIjLb0EEEEE10hipError_tT1_PNSt15iterator_traitsISI_E10value_typeET2_T3_PNSJ_ISO_E10value_typeET4_T5_PST_SU_PNS1_23onesweep_lookback_stateEbbT6_jjT7_P12ihipStream_tbENKUlT_T0_SI_SN_E_clISD_SD_SD_SD_EEDaS11_S12_SI_SN_EUlS11_E_NS1_11comp_targetILNS1_3genE8ELNS1_11target_archE1030ELNS1_3gpuE2ELNS1_3repE0EEENS1_47radix_sort_onesweep_sort_config_static_selectorELNS0_4arch9wavefront6targetE1EEEvSI_.has_dyn_sized_stack, 0
	.set _ZN7rocprim17ROCPRIM_400000_NS6detail17trampoline_kernelINS0_14default_configENS1_35radix_sort_onesweep_config_selectorIiiEEZZNS1_29radix_sort_onesweep_iterationIS3_Lb0EN6thrust23THRUST_200600_302600_NS6detail15normal_iteratorINS8_10device_ptrIiEEEESD_SD_SD_jNS0_19identity_decomposerENS1_16block_id_wrapperIjLb0EEEEE10hipError_tT1_PNSt15iterator_traitsISI_E10value_typeET2_T3_PNSJ_ISO_E10value_typeET4_T5_PST_SU_PNS1_23onesweep_lookback_stateEbbT6_jjT7_P12ihipStream_tbENKUlT_T0_SI_SN_E_clISD_SD_SD_SD_EEDaS11_S12_SI_SN_EUlS11_E_NS1_11comp_targetILNS1_3genE8ELNS1_11target_archE1030ELNS1_3gpuE2ELNS1_3repE0EEENS1_47radix_sort_onesweep_sort_config_static_selectorELNS0_4arch9wavefront6targetE1EEEvSI_.has_recursion, 0
	.set _ZN7rocprim17ROCPRIM_400000_NS6detail17trampoline_kernelINS0_14default_configENS1_35radix_sort_onesweep_config_selectorIiiEEZZNS1_29radix_sort_onesweep_iterationIS3_Lb0EN6thrust23THRUST_200600_302600_NS6detail15normal_iteratorINS8_10device_ptrIiEEEESD_SD_SD_jNS0_19identity_decomposerENS1_16block_id_wrapperIjLb0EEEEE10hipError_tT1_PNSt15iterator_traitsISI_E10value_typeET2_T3_PNSJ_ISO_E10value_typeET4_T5_PST_SU_PNS1_23onesweep_lookback_stateEbbT6_jjT7_P12ihipStream_tbENKUlT_T0_SI_SN_E_clISD_SD_SD_SD_EEDaS11_S12_SI_SN_EUlS11_E_NS1_11comp_targetILNS1_3genE8ELNS1_11target_archE1030ELNS1_3gpuE2ELNS1_3repE0EEENS1_47radix_sort_onesweep_sort_config_static_selectorELNS0_4arch9wavefront6targetE1EEEvSI_.has_indirect_call, 0
	.section	.AMDGPU.csdata,"",@progbits
; Kernel info:
; codeLenInByte = 0
; TotalNumSgprs: 6
; NumVgprs: 0
; NumAgprs: 0
; TotalNumVgprs: 0
; ScratchSize: 0
; MemoryBound: 0
; FloatMode: 240
; IeeeMode: 1
; LDSByteSize: 0 bytes/workgroup (compile time only)
; SGPRBlocks: 0
; VGPRBlocks: 0
; NumSGPRsForWavesPerEU: 6
; NumVGPRsForWavesPerEU: 1
; AccumOffset: 4
; Occupancy: 8
; WaveLimiterHint : 0
; COMPUTE_PGM_RSRC2:SCRATCH_EN: 0
; COMPUTE_PGM_RSRC2:USER_SGPR: 2
; COMPUTE_PGM_RSRC2:TRAP_HANDLER: 0
; COMPUTE_PGM_RSRC2:TGID_X_EN: 1
; COMPUTE_PGM_RSRC2:TGID_Y_EN: 0
; COMPUTE_PGM_RSRC2:TGID_Z_EN: 0
; COMPUTE_PGM_RSRC2:TIDIG_COMP_CNT: 0
; COMPUTE_PGM_RSRC3_GFX90A:ACCUM_OFFSET: 0
; COMPUTE_PGM_RSRC3_GFX90A:TG_SPLIT: 0
	.section	.text._ZN7rocprim17ROCPRIM_400000_NS6detail17trampoline_kernelINS0_14default_configENS1_35radix_sort_onesweep_config_selectorIiiEEZZNS1_29radix_sort_onesweep_iterationIS3_Lb0EN6thrust23THRUST_200600_302600_NS6detail15normal_iteratorINS8_10device_ptrIiEEEESD_SD_SD_jNS0_19identity_decomposerENS1_16block_id_wrapperIjLb0EEEEE10hipError_tT1_PNSt15iterator_traitsISI_E10value_typeET2_T3_PNSJ_ISO_E10value_typeET4_T5_PST_SU_PNS1_23onesweep_lookback_stateEbbT6_jjT7_P12ihipStream_tbENKUlT_T0_SI_SN_E_clISD_PiSD_S15_EEDaS11_S12_SI_SN_EUlS11_E_NS1_11comp_targetILNS1_3genE0ELNS1_11target_archE4294967295ELNS1_3gpuE0ELNS1_3repE0EEENS1_47radix_sort_onesweep_sort_config_static_selectorELNS0_4arch9wavefront6targetE1EEEvSI_,"axG",@progbits,_ZN7rocprim17ROCPRIM_400000_NS6detail17trampoline_kernelINS0_14default_configENS1_35radix_sort_onesweep_config_selectorIiiEEZZNS1_29radix_sort_onesweep_iterationIS3_Lb0EN6thrust23THRUST_200600_302600_NS6detail15normal_iteratorINS8_10device_ptrIiEEEESD_SD_SD_jNS0_19identity_decomposerENS1_16block_id_wrapperIjLb0EEEEE10hipError_tT1_PNSt15iterator_traitsISI_E10value_typeET2_T3_PNSJ_ISO_E10value_typeET4_T5_PST_SU_PNS1_23onesweep_lookback_stateEbbT6_jjT7_P12ihipStream_tbENKUlT_T0_SI_SN_E_clISD_PiSD_S15_EEDaS11_S12_SI_SN_EUlS11_E_NS1_11comp_targetILNS1_3genE0ELNS1_11target_archE4294967295ELNS1_3gpuE0ELNS1_3repE0EEENS1_47radix_sort_onesweep_sort_config_static_selectorELNS0_4arch9wavefront6targetE1EEEvSI_,comdat
	.protected	_ZN7rocprim17ROCPRIM_400000_NS6detail17trampoline_kernelINS0_14default_configENS1_35radix_sort_onesweep_config_selectorIiiEEZZNS1_29radix_sort_onesweep_iterationIS3_Lb0EN6thrust23THRUST_200600_302600_NS6detail15normal_iteratorINS8_10device_ptrIiEEEESD_SD_SD_jNS0_19identity_decomposerENS1_16block_id_wrapperIjLb0EEEEE10hipError_tT1_PNSt15iterator_traitsISI_E10value_typeET2_T3_PNSJ_ISO_E10value_typeET4_T5_PST_SU_PNS1_23onesweep_lookback_stateEbbT6_jjT7_P12ihipStream_tbENKUlT_T0_SI_SN_E_clISD_PiSD_S15_EEDaS11_S12_SI_SN_EUlS11_E_NS1_11comp_targetILNS1_3genE0ELNS1_11target_archE4294967295ELNS1_3gpuE0ELNS1_3repE0EEENS1_47radix_sort_onesweep_sort_config_static_selectorELNS0_4arch9wavefront6targetE1EEEvSI_ ; -- Begin function _ZN7rocprim17ROCPRIM_400000_NS6detail17trampoline_kernelINS0_14default_configENS1_35radix_sort_onesweep_config_selectorIiiEEZZNS1_29radix_sort_onesweep_iterationIS3_Lb0EN6thrust23THRUST_200600_302600_NS6detail15normal_iteratorINS8_10device_ptrIiEEEESD_SD_SD_jNS0_19identity_decomposerENS1_16block_id_wrapperIjLb0EEEEE10hipError_tT1_PNSt15iterator_traitsISI_E10value_typeET2_T3_PNSJ_ISO_E10value_typeET4_T5_PST_SU_PNS1_23onesweep_lookback_stateEbbT6_jjT7_P12ihipStream_tbENKUlT_T0_SI_SN_E_clISD_PiSD_S15_EEDaS11_S12_SI_SN_EUlS11_E_NS1_11comp_targetILNS1_3genE0ELNS1_11target_archE4294967295ELNS1_3gpuE0ELNS1_3repE0EEENS1_47radix_sort_onesweep_sort_config_static_selectorELNS0_4arch9wavefront6targetE1EEEvSI_
	.globl	_ZN7rocprim17ROCPRIM_400000_NS6detail17trampoline_kernelINS0_14default_configENS1_35radix_sort_onesweep_config_selectorIiiEEZZNS1_29radix_sort_onesweep_iterationIS3_Lb0EN6thrust23THRUST_200600_302600_NS6detail15normal_iteratorINS8_10device_ptrIiEEEESD_SD_SD_jNS0_19identity_decomposerENS1_16block_id_wrapperIjLb0EEEEE10hipError_tT1_PNSt15iterator_traitsISI_E10value_typeET2_T3_PNSJ_ISO_E10value_typeET4_T5_PST_SU_PNS1_23onesweep_lookback_stateEbbT6_jjT7_P12ihipStream_tbENKUlT_T0_SI_SN_E_clISD_PiSD_S15_EEDaS11_S12_SI_SN_EUlS11_E_NS1_11comp_targetILNS1_3genE0ELNS1_11target_archE4294967295ELNS1_3gpuE0ELNS1_3repE0EEENS1_47radix_sort_onesweep_sort_config_static_selectorELNS0_4arch9wavefront6targetE1EEEvSI_
	.p2align	8
	.type	_ZN7rocprim17ROCPRIM_400000_NS6detail17trampoline_kernelINS0_14default_configENS1_35radix_sort_onesweep_config_selectorIiiEEZZNS1_29radix_sort_onesweep_iterationIS3_Lb0EN6thrust23THRUST_200600_302600_NS6detail15normal_iteratorINS8_10device_ptrIiEEEESD_SD_SD_jNS0_19identity_decomposerENS1_16block_id_wrapperIjLb0EEEEE10hipError_tT1_PNSt15iterator_traitsISI_E10value_typeET2_T3_PNSJ_ISO_E10value_typeET4_T5_PST_SU_PNS1_23onesweep_lookback_stateEbbT6_jjT7_P12ihipStream_tbENKUlT_T0_SI_SN_E_clISD_PiSD_S15_EEDaS11_S12_SI_SN_EUlS11_E_NS1_11comp_targetILNS1_3genE0ELNS1_11target_archE4294967295ELNS1_3gpuE0ELNS1_3repE0EEENS1_47radix_sort_onesweep_sort_config_static_selectorELNS0_4arch9wavefront6targetE1EEEvSI_,@function
_ZN7rocprim17ROCPRIM_400000_NS6detail17trampoline_kernelINS0_14default_configENS1_35radix_sort_onesweep_config_selectorIiiEEZZNS1_29radix_sort_onesweep_iterationIS3_Lb0EN6thrust23THRUST_200600_302600_NS6detail15normal_iteratorINS8_10device_ptrIiEEEESD_SD_SD_jNS0_19identity_decomposerENS1_16block_id_wrapperIjLb0EEEEE10hipError_tT1_PNSt15iterator_traitsISI_E10value_typeET2_T3_PNSJ_ISO_E10value_typeET4_T5_PST_SU_PNS1_23onesweep_lookback_stateEbbT6_jjT7_P12ihipStream_tbENKUlT_T0_SI_SN_E_clISD_PiSD_S15_EEDaS11_S12_SI_SN_EUlS11_E_NS1_11comp_targetILNS1_3genE0ELNS1_11target_archE4294967295ELNS1_3gpuE0ELNS1_3repE0EEENS1_47radix_sort_onesweep_sort_config_static_selectorELNS0_4arch9wavefront6targetE1EEEvSI_: ; @_ZN7rocprim17ROCPRIM_400000_NS6detail17trampoline_kernelINS0_14default_configENS1_35radix_sort_onesweep_config_selectorIiiEEZZNS1_29radix_sort_onesweep_iterationIS3_Lb0EN6thrust23THRUST_200600_302600_NS6detail15normal_iteratorINS8_10device_ptrIiEEEESD_SD_SD_jNS0_19identity_decomposerENS1_16block_id_wrapperIjLb0EEEEE10hipError_tT1_PNSt15iterator_traitsISI_E10value_typeET2_T3_PNSJ_ISO_E10value_typeET4_T5_PST_SU_PNS1_23onesweep_lookback_stateEbbT6_jjT7_P12ihipStream_tbENKUlT_T0_SI_SN_E_clISD_PiSD_S15_EEDaS11_S12_SI_SN_EUlS11_E_NS1_11comp_targetILNS1_3genE0ELNS1_11target_archE4294967295ELNS1_3gpuE0ELNS1_3repE0EEENS1_47radix_sort_onesweep_sort_config_static_selectorELNS0_4arch9wavefront6targetE1EEEvSI_
; %bb.0:
	.section	.rodata,"a",@progbits
	.p2align	6, 0x0
	.amdhsa_kernel _ZN7rocprim17ROCPRIM_400000_NS6detail17trampoline_kernelINS0_14default_configENS1_35radix_sort_onesweep_config_selectorIiiEEZZNS1_29radix_sort_onesweep_iterationIS3_Lb0EN6thrust23THRUST_200600_302600_NS6detail15normal_iteratorINS8_10device_ptrIiEEEESD_SD_SD_jNS0_19identity_decomposerENS1_16block_id_wrapperIjLb0EEEEE10hipError_tT1_PNSt15iterator_traitsISI_E10value_typeET2_T3_PNSJ_ISO_E10value_typeET4_T5_PST_SU_PNS1_23onesweep_lookback_stateEbbT6_jjT7_P12ihipStream_tbENKUlT_T0_SI_SN_E_clISD_PiSD_S15_EEDaS11_S12_SI_SN_EUlS11_E_NS1_11comp_targetILNS1_3genE0ELNS1_11target_archE4294967295ELNS1_3gpuE0ELNS1_3repE0EEENS1_47radix_sort_onesweep_sort_config_static_selectorELNS0_4arch9wavefront6targetE1EEEvSI_
		.amdhsa_group_segment_fixed_size 0
		.amdhsa_private_segment_fixed_size 0
		.amdhsa_kernarg_size 88
		.amdhsa_user_sgpr_count 2
		.amdhsa_user_sgpr_dispatch_ptr 0
		.amdhsa_user_sgpr_queue_ptr 0
		.amdhsa_user_sgpr_kernarg_segment_ptr 1
		.amdhsa_user_sgpr_dispatch_id 0
		.amdhsa_user_sgpr_kernarg_preload_length 0
		.amdhsa_user_sgpr_kernarg_preload_offset 0
		.amdhsa_user_sgpr_private_segment_size 0
		.amdhsa_uses_dynamic_stack 0
		.amdhsa_enable_private_segment 0
		.amdhsa_system_sgpr_workgroup_id_x 1
		.amdhsa_system_sgpr_workgroup_id_y 0
		.amdhsa_system_sgpr_workgroup_id_z 0
		.amdhsa_system_sgpr_workgroup_info 0
		.amdhsa_system_vgpr_workitem_id 0
		.amdhsa_next_free_vgpr 1
		.amdhsa_next_free_sgpr 0
		.amdhsa_accum_offset 4
		.amdhsa_reserve_vcc 0
		.amdhsa_float_round_mode_32 0
		.amdhsa_float_round_mode_16_64 0
		.amdhsa_float_denorm_mode_32 3
		.amdhsa_float_denorm_mode_16_64 3
		.amdhsa_dx10_clamp 1
		.amdhsa_ieee_mode 1
		.amdhsa_fp16_overflow 0
		.amdhsa_tg_split 0
		.amdhsa_exception_fp_ieee_invalid_op 0
		.amdhsa_exception_fp_denorm_src 0
		.amdhsa_exception_fp_ieee_div_zero 0
		.amdhsa_exception_fp_ieee_overflow 0
		.amdhsa_exception_fp_ieee_underflow 0
		.amdhsa_exception_fp_ieee_inexact 0
		.amdhsa_exception_int_div_zero 0
	.end_amdhsa_kernel
	.section	.text._ZN7rocprim17ROCPRIM_400000_NS6detail17trampoline_kernelINS0_14default_configENS1_35radix_sort_onesweep_config_selectorIiiEEZZNS1_29radix_sort_onesweep_iterationIS3_Lb0EN6thrust23THRUST_200600_302600_NS6detail15normal_iteratorINS8_10device_ptrIiEEEESD_SD_SD_jNS0_19identity_decomposerENS1_16block_id_wrapperIjLb0EEEEE10hipError_tT1_PNSt15iterator_traitsISI_E10value_typeET2_T3_PNSJ_ISO_E10value_typeET4_T5_PST_SU_PNS1_23onesweep_lookback_stateEbbT6_jjT7_P12ihipStream_tbENKUlT_T0_SI_SN_E_clISD_PiSD_S15_EEDaS11_S12_SI_SN_EUlS11_E_NS1_11comp_targetILNS1_3genE0ELNS1_11target_archE4294967295ELNS1_3gpuE0ELNS1_3repE0EEENS1_47radix_sort_onesweep_sort_config_static_selectorELNS0_4arch9wavefront6targetE1EEEvSI_,"axG",@progbits,_ZN7rocprim17ROCPRIM_400000_NS6detail17trampoline_kernelINS0_14default_configENS1_35radix_sort_onesweep_config_selectorIiiEEZZNS1_29radix_sort_onesweep_iterationIS3_Lb0EN6thrust23THRUST_200600_302600_NS6detail15normal_iteratorINS8_10device_ptrIiEEEESD_SD_SD_jNS0_19identity_decomposerENS1_16block_id_wrapperIjLb0EEEEE10hipError_tT1_PNSt15iterator_traitsISI_E10value_typeET2_T3_PNSJ_ISO_E10value_typeET4_T5_PST_SU_PNS1_23onesweep_lookback_stateEbbT6_jjT7_P12ihipStream_tbENKUlT_T0_SI_SN_E_clISD_PiSD_S15_EEDaS11_S12_SI_SN_EUlS11_E_NS1_11comp_targetILNS1_3genE0ELNS1_11target_archE4294967295ELNS1_3gpuE0ELNS1_3repE0EEENS1_47radix_sort_onesweep_sort_config_static_selectorELNS0_4arch9wavefront6targetE1EEEvSI_,comdat
.Lfunc_end1455:
	.size	_ZN7rocprim17ROCPRIM_400000_NS6detail17trampoline_kernelINS0_14default_configENS1_35radix_sort_onesweep_config_selectorIiiEEZZNS1_29radix_sort_onesweep_iterationIS3_Lb0EN6thrust23THRUST_200600_302600_NS6detail15normal_iteratorINS8_10device_ptrIiEEEESD_SD_SD_jNS0_19identity_decomposerENS1_16block_id_wrapperIjLb0EEEEE10hipError_tT1_PNSt15iterator_traitsISI_E10value_typeET2_T3_PNSJ_ISO_E10value_typeET4_T5_PST_SU_PNS1_23onesweep_lookback_stateEbbT6_jjT7_P12ihipStream_tbENKUlT_T0_SI_SN_E_clISD_PiSD_S15_EEDaS11_S12_SI_SN_EUlS11_E_NS1_11comp_targetILNS1_3genE0ELNS1_11target_archE4294967295ELNS1_3gpuE0ELNS1_3repE0EEENS1_47radix_sort_onesweep_sort_config_static_selectorELNS0_4arch9wavefront6targetE1EEEvSI_, .Lfunc_end1455-_ZN7rocprim17ROCPRIM_400000_NS6detail17trampoline_kernelINS0_14default_configENS1_35radix_sort_onesweep_config_selectorIiiEEZZNS1_29radix_sort_onesweep_iterationIS3_Lb0EN6thrust23THRUST_200600_302600_NS6detail15normal_iteratorINS8_10device_ptrIiEEEESD_SD_SD_jNS0_19identity_decomposerENS1_16block_id_wrapperIjLb0EEEEE10hipError_tT1_PNSt15iterator_traitsISI_E10value_typeET2_T3_PNSJ_ISO_E10value_typeET4_T5_PST_SU_PNS1_23onesweep_lookback_stateEbbT6_jjT7_P12ihipStream_tbENKUlT_T0_SI_SN_E_clISD_PiSD_S15_EEDaS11_S12_SI_SN_EUlS11_E_NS1_11comp_targetILNS1_3genE0ELNS1_11target_archE4294967295ELNS1_3gpuE0ELNS1_3repE0EEENS1_47radix_sort_onesweep_sort_config_static_selectorELNS0_4arch9wavefront6targetE1EEEvSI_
                                        ; -- End function
	.set _ZN7rocprim17ROCPRIM_400000_NS6detail17trampoline_kernelINS0_14default_configENS1_35radix_sort_onesweep_config_selectorIiiEEZZNS1_29radix_sort_onesweep_iterationIS3_Lb0EN6thrust23THRUST_200600_302600_NS6detail15normal_iteratorINS8_10device_ptrIiEEEESD_SD_SD_jNS0_19identity_decomposerENS1_16block_id_wrapperIjLb0EEEEE10hipError_tT1_PNSt15iterator_traitsISI_E10value_typeET2_T3_PNSJ_ISO_E10value_typeET4_T5_PST_SU_PNS1_23onesweep_lookback_stateEbbT6_jjT7_P12ihipStream_tbENKUlT_T0_SI_SN_E_clISD_PiSD_S15_EEDaS11_S12_SI_SN_EUlS11_E_NS1_11comp_targetILNS1_3genE0ELNS1_11target_archE4294967295ELNS1_3gpuE0ELNS1_3repE0EEENS1_47radix_sort_onesweep_sort_config_static_selectorELNS0_4arch9wavefront6targetE1EEEvSI_.num_vgpr, 0
	.set _ZN7rocprim17ROCPRIM_400000_NS6detail17trampoline_kernelINS0_14default_configENS1_35radix_sort_onesweep_config_selectorIiiEEZZNS1_29radix_sort_onesweep_iterationIS3_Lb0EN6thrust23THRUST_200600_302600_NS6detail15normal_iteratorINS8_10device_ptrIiEEEESD_SD_SD_jNS0_19identity_decomposerENS1_16block_id_wrapperIjLb0EEEEE10hipError_tT1_PNSt15iterator_traitsISI_E10value_typeET2_T3_PNSJ_ISO_E10value_typeET4_T5_PST_SU_PNS1_23onesweep_lookback_stateEbbT6_jjT7_P12ihipStream_tbENKUlT_T0_SI_SN_E_clISD_PiSD_S15_EEDaS11_S12_SI_SN_EUlS11_E_NS1_11comp_targetILNS1_3genE0ELNS1_11target_archE4294967295ELNS1_3gpuE0ELNS1_3repE0EEENS1_47radix_sort_onesweep_sort_config_static_selectorELNS0_4arch9wavefront6targetE1EEEvSI_.num_agpr, 0
	.set _ZN7rocprim17ROCPRIM_400000_NS6detail17trampoline_kernelINS0_14default_configENS1_35radix_sort_onesweep_config_selectorIiiEEZZNS1_29radix_sort_onesweep_iterationIS3_Lb0EN6thrust23THRUST_200600_302600_NS6detail15normal_iteratorINS8_10device_ptrIiEEEESD_SD_SD_jNS0_19identity_decomposerENS1_16block_id_wrapperIjLb0EEEEE10hipError_tT1_PNSt15iterator_traitsISI_E10value_typeET2_T3_PNSJ_ISO_E10value_typeET4_T5_PST_SU_PNS1_23onesweep_lookback_stateEbbT6_jjT7_P12ihipStream_tbENKUlT_T0_SI_SN_E_clISD_PiSD_S15_EEDaS11_S12_SI_SN_EUlS11_E_NS1_11comp_targetILNS1_3genE0ELNS1_11target_archE4294967295ELNS1_3gpuE0ELNS1_3repE0EEENS1_47radix_sort_onesweep_sort_config_static_selectorELNS0_4arch9wavefront6targetE1EEEvSI_.numbered_sgpr, 0
	.set _ZN7rocprim17ROCPRIM_400000_NS6detail17trampoline_kernelINS0_14default_configENS1_35radix_sort_onesweep_config_selectorIiiEEZZNS1_29radix_sort_onesweep_iterationIS3_Lb0EN6thrust23THRUST_200600_302600_NS6detail15normal_iteratorINS8_10device_ptrIiEEEESD_SD_SD_jNS0_19identity_decomposerENS1_16block_id_wrapperIjLb0EEEEE10hipError_tT1_PNSt15iterator_traitsISI_E10value_typeET2_T3_PNSJ_ISO_E10value_typeET4_T5_PST_SU_PNS1_23onesweep_lookback_stateEbbT6_jjT7_P12ihipStream_tbENKUlT_T0_SI_SN_E_clISD_PiSD_S15_EEDaS11_S12_SI_SN_EUlS11_E_NS1_11comp_targetILNS1_3genE0ELNS1_11target_archE4294967295ELNS1_3gpuE0ELNS1_3repE0EEENS1_47radix_sort_onesweep_sort_config_static_selectorELNS0_4arch9wavefront6targetE1EEEvSI_.num_named_barrier, 0
	.set _ZN7rocprim17ROCPRIM_400000_NS6detail17trampoline_kernelINS0_14default_configENS1_35radix_sort_onesweep_config_selectorIiiEEZZNS1_29radix_sort_onesweep_iterationIS3_Lb0EN6thrust23THRUST_200600_302600_NS6detail15normal_iteratorINS8_10device_ptrIiEEEESD_SD_SD_jNS0_19identity_decomposerENS1_16block_id_wrapperIjLb0EEEEE10hipError_tT1_PNSt15iterator_traitsISI_E10value_typeET2_T3_PNSJ_ISO_E10value_typeET4_T5_PST_SU_PNS1_23onesweep_lookback_stateEbbT6_jjT7_P12ihipStream_tbENKUlT_T0_SI_SN_E_clISD_PiSD_S15_EEDaS11_S12_SI_SN_EUlS11_E_NS1_11comp_targetILNS1_3genE0ELNS1_11target_archE4294967295ELNS1_3gpuE0ELNS1_3repE0EEENS1_47radix_sort_onesweep_sort_config_static_selectorELNS0_4arch9wavefront6targetE1EEEvSI_.private_seg_size, 0
	.set _ZN7rocprim17ROCPRIM_400000_NS6detail17trampoline_kernelINS0_14default_configENS1_35radix_sort_onesweep_config_selectorIiiEEZZNS1_29radix_sort_onesweep_iterationIS3_Lb0EN6thrust23THRUST_200600_302600_NS6detail15normal_iteratorINS8_10device_ptrIiEEEESD_SD_SD_jNS0_19identity_decomposerENS1_16block_id_wrapperIjLb0EEEEE10hipError_tT1_PNSt15iterator_traitsISI_E10value_typeET2_T3_PNSJ_ISO_E10value_typeET4_T5_PST_SU_PNS1_23onesweep_lookback_stateEbbT6_jjT7_P12ihipStream_tbENKUlT_T0_SI_SN_E_clISD_PiSD_S15_EEDaS11_S12_SI_SN_EUlS11_E_NS1_11comp_targetILNS1_3genE0ELNS1_11target_archE4294967295ELNS1_3gpuE0ELNS1_3repE0EEENS1_47radix_sort_onesweep_sort_config_static_selectorELNS0_4arch9wavefront6targetE1EEEvSI_.uses_vcc, 0
	.set _ZN7rocprim17ROCPRIM_400000_NS6detail17trampoline_kernelINS0_14default_configENS1_35radix_sort_onesweep_config_selectorIiiEEZZNS1_29radix_sort_onesweep_iterationIS3_Lb0EN6thrust23THRUST_200600_302600_NS6detail15normal_iteratorINS8_10device_ptrIiEEEESD_SD_SD_jNS0_19identity_decomposerENS1_16block_id_wrapperIjLb0EEEEE10hipError_tT1_PNSt15iterator_traitsISI_E10value_typeET2_T3_PNSJ_ISO_E10value_typeET4_T5_PST_SU_PNS1_23onesweep_lookback_stateEbbT6_jjT7_P12ihipStream_tbENKUlT_T0_SI_SN_E_clISD_PiSD_S15_EEDaS11_S12_SI_SN_EUlS11_E_NS1_11comp_targetILNS1_3genE0ELNS1_11target_archE4294967295ELNS1_3gpuE0ELNS1_3repE0EEENS1_47radix_sort_onesweep_sort_config_static_selectorELNS0_4arch9wavefront6targetE1EEEvSI_.uses_flat_scratch, 0
	.set _ZN7rocprim17ROCPRIM_400000_NS6detail17trampoline_kernelINS0_14default_configENS1_35radix_sort_onesweep_config_selectorIiiEEZZNS1_29radix_sort_onesweep_iterationIS3_Lb0EN6thrust23THRUST_200600_302600_NS6detail15normal_iteratorINS8_10device_ptrIiEEEESD_SD_SD_jNS0_19identity_decomposerENS1_16block_id_wrapperIjLb0EEEEE10hipError_tT1_PNSt15iterator_traitsISI_E10value_typeET2_T3_PNSJ_ISO_E10value_typeET4_T5_PST_SU_PNS1_23onesweep_lookback_stateEbbT6_jjT7_P12ihipStream_tbENKUlT_T0_SI_SN_E_clISD_PiSD_S15_EEDaS11_S12_SI_SN_EUlS11_E_NS1_11comp_targetILNS1_3genE0ELNS1_11target_archE4294967295ELNS1_3gpuE0ELNS1_3repE0EEENS1_47radix_sort_onesweep_sort_config_static_selectorELNS0_4arch9wavefront6targetE1EEEvSI_.has_dyn_sized_stack, 0
	.set _ZN7rocprim17ROCPRIM_400000_NS6detail17trampoline_kernelINS0_14default_configENS1_35radix_sort_onesweep_config_selectorIiiEEZZNS1_29radix_sort_onesweep_iterationIS3_Lb0EN6thrust23THRUST_200600_302600_NS6detail15normal_iteratorINS8_10device_ptrIiEEEESD_SD_SD_jNS0_19identity_decomposerENS1_16block_id_wrapperIjLb0EEEEE10hipError_tT1_PNSt15iterator_traitsISI_E10value_typeET2_T3_PNSJ_ISO_E10value_typeET4_T5_PST_SU_PNS1_23onesweep_lookback_stateEbbT6_jjT7_P12ihipStream_tbENKUlT_T0_SI_SN_E_clISD_PiSD_S15_EEDaS11_S12_SI_SN_EUlS11_E_NS1_11comp_targetILNS1_3genE0ELNS1_11target_archE4294967295ELNS1_3gpuE0ELNS1_3repE0EEENS1_47radix_sort_onesweep_sort_config_static_selectorELNS0_4arch9wavefront6targetE1EEEvSI_.has_recursion, 0
	.set _ZN7rocprim17ROCPRIM_400000_NS6detail17trampoline_kernelINS0_14default_configENS1_35radix_sort_onesweep_config_selectorIiiEEZZNS1_29radix_sort_onesweep_iterationIS3_Lb0EN6thrust23THRUST_200600_302600_NS6detail15normal_iteratorINS8_10device_ptrIiEEEESD_SD_SD_jNS0_19identity_decomposerENS1_16block_id_wrapperIjLb0EEEEE10hipError_tT1_PNSt15iterator_traitsISI_E10value_typeET2_T3_PNSJ_ISO_E10value_typeET4_T5_PST_SU_PNS1_23onesweep_lookback_stateEbbT6_jjT7_P12ihipStream_tbENKUlT_T0_SI_SN_E_clISD_PiSD_S15_EEDaS11_S12_SI_SN_EUlS11_E_NS1_11comp_targetILNS1_3genE0ELNS1_11target_archE4294967295ELNS1_3gpuE0ELNS1_3repE0EEENS1_47radix_sort_onesweep_sort_config_static_selectorELNS0_4arch9wavefront6targetE1EEEvSI_.has_indirect_call, 0
	.section	.AMDGPU.csdata,"",@progbits
; Kernel info:
; codeLenInByte = 0
; TotalNumSgprs: 6
; NumVgprs: 0
; NumAgprs: 0
; TotalNumVgprs: 0
; ScratchSize: 0
; MemoryBound: 0
; FloatMode: 240
; IeeeMode: 1
; LDSByteSize: 0 bytes/workgroup (compile time only)
; SGPRBlocks: 0
; VGPRBlocks: 0
; NumSGPRsForWavesPerEU: 6
; NumVGPRsForWavesPerEU: 1
; AccumOffset: 4
; Occupancy: 8
; WaveLimiterHint : 0
; COMPUTE_PGM_RSRC2:SCRATCH_EN: 0
; COMPUTE_PGM_RSRC2:USER_SGPR: 2
; COMPUTE_PGM_RSRC2:TRAP_HANDLER: 0
; COMPUTE_PGM_RSRC2:TGID_X_EN: 1
; COMPUTE_PGM_RSRC2:TGID_Y_EN: 0
; COMPUTE_PGM_RSRC2:TGID_Z_EN: 0
; COMPUTE_PGM_RSRC2:TIDIG_COMP_CNT: 0
; COMPUTE_PGM_RSRC3_GFX90A:ACCUM_OFFSET: 0
; COMPUTE_PGM_RSRC3_GFX90A:TG_SPLIT: 0
	.section	.text._ZN7rocprim17ROCPRIM_400000_NS6detail17trampoline_kernelINS0_14default_configENS1_35radix_sort_onesweep_config_selectorIiiEEZZNS1_29radix_sort_onesweep_iterationIS3_Lb0EN6thrust23THRUST_200600_302600_NS6detail15normal_iteratorINS8_10device_ptrIiEEEESD_SD_SD_jNS0_19identity_decomposerENS1_16block_id_wrapperIjLb0EEEEE10hipError_tT1_PNSt15iterator_traitsISI_E10value_typeET2_T3_PNSJ_ISO_E10value_typeET4_T5_PST_SU_PNS1_23onesweep_lookback_stateEbbT6_jjT7_P12ihipStream_tbENKUlT_T0_SI_SN_E_clISD_PiSD_S15_EEDaS11_S12_SI_SN_EUlS11_E_NS1_11comp_targetILNS1_3genE6ELNS1_11target_archE950ELNS1_3gpuE13ELNS1_3repE0EEENS1_47radix_sort_onesweep_sort_config_static_selectorELNS0_4arch9wavefront6targetE1EEEvSI_,"axG",@progbits,_ZN7rocprim17ROCPRIM_400000_NS6detail17trampoline_kernelINS0_14default_configENS1_35radix_sort_onesweep_config_selectorIiiEEZZNS1_29radix_sort_onesweep_iterationIS3_Lb0EN6thrust23THRUST_200600_302600_NS6detail15normal_iteratorINS8_10device_ptrIiEEEESD_SD_SD_jNS0_19identity_decomposerENS1_16block_id_wrapperIjLb0EEEEE10hipError_tT1_PNSt15iterator_traitsISI_E10value_typeET2_T3_PNSJ_ISO_E10value_typeET4_T5_PST_SU_PNS1_23onesweep_lookback_stateEbbT6_jjT7_P12ihipStream_tbENKUlT_T0_SI_SN_E_clISD_PiSD_S15_EEDaS11_S12_SI_SN_EUlS11_E_NS1_11comp_targetILNS1_3genE6ELNS1_11target_archE950ELNS1_3gpuE13ELNS1_3repE0EEENS1_47radix_sort_onesweep_sort_config_static_selectorELNS0_4arch9wavefront6targetE1EEEvSI_,comdat
	.protected	_ZN7rocprim17ROCPRIM_400000_NS6detail17trampoline_kernelINS0_14default_configENS1_35radix_sort_onesweep_config_selectorIiiEEZZNS1_29radix_sort_onesweep_iterationIS3_Lb0EN6thrust23THRUST_200600_302600_NS6detail15normal_iteratorINS8_10device_ptrIiEEEESD_SD_SD_jNS0_19identity_decomposerENS1_16block_id_wrapperIjLb0EEEEE10hipError_tT1_PNSt15iterator_traitsISI_E10value_typeET2_T3_PNSJ_ISO_E10value_typeET4_T5_PST_SU_PNS1_23onesweep_lookback_stateEbbT6_jjT7_P12ihipStream_tbENKUlT_T0_SI_SN_E_clISD_PiSD_S15_EEDaS11_S12_SI_SN_EUlS11_E_NS1_11comp_targetILNS1_3genE6ELNS1_11target_archE950ELNS1_3gpuE13ELNS1_3repE0EEENS1_47radix_sort_onesweep_sort_config_static_selectorELNS0_4arch9wavefront6targetE1EEEvSI_ ; -- Begin function _ZN7rocprim17ROCPRIM_400000_NS6detail17trampoline_kernelINS0_14default_configENS1_35radix_sort_onesweep_config_selectorIiiEEZZNS1_29radix_sort_onesweep_iterationIS3_Lb0EN6thrust23THRUST_200600_302600_NS6detail15normal_iteratorINS8_10device_ptrIiEEEESD_SD_SD_jNS0_19identity_decomposerENS1_16block_id_wrapperIjLb0EEEEE10hipError_tT1_PNSt15iterator_traitsISI_E10value_typeET2_T3_PNSJ_ISO_E10value_typeET4_T5_PST_SU_PNS1_23onesweep_lookback_stateEbbT6_jjT7_P12ihipStream_tbENKUlT_T0_SI_SN_E_clISD_PiSD_S15_EEDaS11_S12_SI_SN_EUlS11_E_NS1_11comp_targetILNS1_3genE6ELNS1_11target_archE950ELNS1_3gpuE13ELNS1_3repE0EEENS1_47radix_sort_onesweep_sort_config_static_selectorELNS0_4arch9wavefront6targetE1EEEvSI_
	.globl	_ZN7rocprim17ROCPRIM_400000_NS6detail17trampoline_kernelINS0_14default_configENS1_35radix_sort_onesweep_config_selectorIiiEEZZNS1_29radix_sort_onesweep_iterationIS3_Lb0EN6thrust23THRUST_200600_302600_NS6detail15normal_iteratorINS8_10device_ptrIiEEEESD_SD_SD_jNS0_19identity_decomposerENS1_16block_id_wrapperIjLb0EEEEE10hipError_tT1_PNSt15iterator_traitsISI_E10value_typeET2_T3_PNSJ_ISO_E10value_typeET4_T5_PST_SU_PNS1_23onesweep_lookback_stateEbbT6_jjT7_P12ihipStream_tbENKUlT_T0_SI_SN_E_clISD_PiSD_S15_EEDaS11_S12_SI_SN_EUlS11_E_NS1_11comp_targetILNS1_3genE6ELNS1_11target_archE950ELNS1_3gpuE13ELNS1_3repE0EEENS1_47radix_sort_onesweep_sort_config_static_selectorELNS0_4arch9wavefront6targetE1EEEvSI_
	.p2align	8
	.type	_ZN7rocprim17ROCPRIM_400000_NS6detail17trampoline_kernelINS0_14default_configENS1_35radix_sort_onesweep_config_selectorIiiEEZZNS1_29radix_sort_onesweep_iterationIS3_Lb0EN6thrust23THRUST_200600_302600_NS6detail15normal_iteratorINS8_10device_ptrIiEEEESD_SD_SD_jNS0_19identity_decomposerENS1_16block_id_wrapperIjLb0EEEEE10hipError_tT1_PNSt15iterator_traitsISI_E10value_typeET2_T3_PNSJ_ISO_E10value_typeET4_T5_PST_SU_PNS1_23onesweep_lookback_stateEbbT6_jjT7_P12ihipStream_tbENKUlT_T0_SI_SN_E_clISD_PiSD_S15_EEDaS11_S12_SI_SN_EUlS11_E_NS1_11comp_targetILNS1_3genE6ELNS1_11target_archE950ELNS1_3gpuE13ELNS1_3repE0EEENS1_47radix_sort_onesweep_sort_config_static_selectorELNS0_4arch9wavefront6targetE1EEEvSI_,@function
_ZN7rocprim17ROCPRIM_400000_NS6detail17trampoline_kernelINS0_14default_configENS1_35radix_sort_onesweep_config_selectorIiiEEZZNS1_29radix_sort_onesweep_iterationIS3_Lb0EN6thrust23THRUST_200600_302600_NS6detail15normal_iteratorINS8_10device_ptrIiEEEESD_SD_SD_jNS0_19identity_decomposerENS1_16block_id_wrapperIjLb0EEEEE10hipError_tT1_PNSt15iterator_traitsISI_E10value_typeET2_T3_PNSJ_ISO_E10value_typeET4_T5_PST_SU_PNS1_23onesweep_lookback_stateEbbT6_jjT7_P12ihipStream_tbENKUlT_T0_SI_SN_E_clISD_PiSD_S15_EEDaS11_S12_SI_SN_EUlS11_E_NS1_11comp_targetILNS1_3genE6ELNS1_11target_archE950ELNS1_3gpuE13ELNS1_3repE0EEENS1_47radix_sort_onesweep_sort_config_static_selectorELNS0_4arch9wavefront6targetE1EEEvSI_: ; @_ZN7rocprim17ROCPRIM_400000_NS6detail17trampoline_kernelINS0_14default_configENS1_35radix_sort_onesweep_config_selectorIiiEEZZNS1_29radix_sort_onesweep_iterationIS3_Lb0EN6thrust23THRUST_200600_302600_NS6detail15normal_iteratorINS8_10device_ptrIiEEEESD_SD_SD_jNS0_19identity_decomposerENS1_16block_id_wrapperIjLb0EEEEE10hipError_tT1_PNSt15iterator_traitsISI_E10value_typeET2_T3_PNSJ_ISO_E10value_typeET4_T5_PST_SU_PNS1_23onesweep_lookback_stateEbbT6_jjT7_P12ihipStream_tbENKUlT_T0_SI_SN_E_clISD_PiSD_S15_EEDaS11_S12_SI_SN_EUlS11_E_NS1_11comp_targetILNS1_3genE6ELNS1_11target_archE950ELNS1_3gpuE13ELNS1_3repE0EEENS1_47radix_sort_onesweep_sort_config_static_selectorELNS0_4arch9wavefront6targetE1EEEvSI_
; %bb.0:
	s_load_dwordx8 s[52:59], s[0:1], 0x0
	s_load_dwordx4 s[64:67], s[0:1], 0x44
	s_load_dwordx4 s[60:63], s[0:1], 0x28
	s_load_dwordx2 s[50:51], s[0:1], 0x38
	s_mov_b64 s[4:5], -1
	v_mbcnt_lo_u32_b32 v1, -1, 0
	s_waitcnt lgkmcnt(0)
	s_cmp_ge_u32 s2, s66
	s_cbranch_scc0 .LBB1456_204
; %bb.1:
	s_load_dword s3, s[0:1], 0x20
	s_lshl_b32 s6, s66, 14
	s_lshl_b32 s4, s2, 14
	s_mov_b32 s5, 0
	v_and_b32_e32 v2, 0x3ff, v0
	s_waitcnt lgkmcnt(0)
	s_sub_i32 s3, s3, s6
	s_lshl_b64 s[66:67], s[4:5], 2
	v_mbcnt_hi_u32_b32 v12, -1, v1
	s_add_u32 s4, s52, s66
	v_and_b32_e32 v10, 63, v12
	v_lshlrev_b32_e32 v4, 4, v2
	s_addc_u32 s5, s53, s67
	v_and_b32_e32 v11, 0x3c00, v4
	v_mov_b32_e32 v5, 0
	v_lshlrev_b32_e32 v4, 2, v10
	v_lshl_add_u64 v[8:9], s[4:5], 0, v[4:5]
	v_lshlrev_b32_e32 v6, 2, v11
	v_mov_b32_e32 v7, v5
	v_or_b32_e32 v10, v10, v11
	v_mov_b32_e32 v3, -1
	v_lshl_add_u64 v[8:9], v[8:9], 0, v[6:7]
	v_cmp_gt_u32_e32 vcc, s3, v10
	v_mov_b32_e32 v5, -1
	s_and_saveexec_b64 s[4:5], vcc
	s_cbranch_execz .LBB1456_3
; %bb.2:
	global_load_dword v5, v[8:9], off
	s_waitcnt vmcnt(0)
	v_xor_b32_e32 v5, 0x80000000, v5
.LBB1456_3:
	s_or_b64 exec, exec, s[4:5]
	v_or_b32_e32 v7, 64, v10
	v_cmp_gt_u32_e64 s[42:43], s3, v7
	s_and_saveexec_b64 s[4:5], s[42:43]
	s_cbranch_execz .LBB1456_5
; %bb.4:
	global_load_dword v3, v[8:9], off offset:256
	s_waitcnt vmcnt(0)
	v_xor_b32_e32 v3, 0x80000000, v3
.LBB1456_5:
	s_or_b64 exec, exec, s[4:5]
	v_or_b32_e32 v7, 0x80, v10
	v_cmp_gt_u32_e64 s[4:5], s3, v7
	v_mov_b32_e32 v7, -1
	v_mov_b32_e32 v14, -1
	s_and_saveexec_b64 s[6:7], s[4:5]
	s_cbranch_execz .LBB1456_7
; %bb.6:
	global_load_dword v11, v[8:9], off offset:512
	s_waitcnt vmcnt(0)
	v_xor_b32_e32 v14, 0x80000000, v11
.LBB1456_7:
	s_or_b64 exec, exec, s[6:7]
	v_or_b32_e32 v11, 0xc0, v10
	v_cmp_gt_u32_e64 s[6:7], s3, v11
	s_and_saveexec_b64 s[8:9], s[6:7]
	s_cbranch_execz .LBB1456_9
; %bb.8:
	global_load_dword v7, v[8:9], off offset:768
	s_waitcnt vmcnt(0)
	v_xor_b32_e32 v7, 0x80000000, v7
.LBB1456_9:
	s_or_b64 exec, exec, s[8:9]
	v_or_b32_e32 v11, 0x100, v10
	v_cmp_gt_u32_e64 s[8:9], s3, v11
	v_mov_b32_e32 v15, -1
	v_mov_b32_e32 v16, -1
	s_and_saveexec_b64 s[10:11], s[8:9]
	s_cbranch_execz .LBB1456_11
; %bb.10:
	global_load_dword v11, v[8:9], off offset:1024
	s_waitcnt vmcnt(0)
	v_xor_b32_e32 v16, 0x80000000, v11
.LBB1456_11:
	;; [unrolled: 22-line block ×7, first 2 shown]
	s_or_b64 exec, exec, s[30:31]
	v_or_b32_e32 v10, 0x3c0, v10
	v_cmp_gt_u32_e64 s[30:31], s3, v10
	s_and_saveexec_b64 s[34:35], s[30:31]
	s_cbranch_execz .LBB1456_33
; %bb.32:
	global_load_dword v8, v[8:9], off offset:3840
	s_waitcnt vmcnt(0)
	v_xor_b32_e32 v25, 0x80000000, v8
.LBB1456_33:
	s_or_b64 exec, exec, s[34:35]
	s_load_dword s34, s[0:1], 0x64
	s_load_dword s33, s[0:1], 0x58
	s_add_u32 s35, s0, 0x58
	s_addc_u32 s36, s1, 0
	v_mov_b32_e32 v9, 0
	s_waitcnt lgkmcnt(0)
	s_lshr_b32 s37, s34, 16
	s_cmp_lt_u32 s2, s33
	s_cselect_b32 s34, 12, 18
	s_add_u32 s34, s35, s34
	s_addc_u32 s35, s36, 0
	global_load_ushort v27, v9, s[34:35]
	v_lshrrev_b32_e32 v29, s64, v5
	s_lshl_b32 s34, -1, s65
	v_bfe_u32 v8, v0, 10, 10
	v_bfe_u32 v11, v0, 20, 10
	v_bitop3_b32 v38, v29, s34, v29 bitop3:0x30
	s_movk_i32 s69, 0x44
	v_mad_u32_u24 v40, v11, s37, v8
	v_and_b32_e32 v8, 1, v38
	v_lshlrev_b32_e32 v11, 30, v38
	v_mov_b32_e32 v10, v9
	v_mov_b32_e32 v30, v9
	s_not_b32 s68, s34
	v_mul_lo_u32 v42, v38, s69
	v_lshlrev_b32_e32 v29, 29, v38
	v_lshlrev_b32_e32 v31, 28, v38
	;; [unrolled: 1-line block ×6, first 2 shown]
	v_lshl_add_u64 v[38:39], v[8:9], 0, -1
	v_cmp_ne_u32_e64 s[34:35], 0, v8
	v_not_b32_e32 v8, v11
	v_mov_b32_e32 v28, v9
	v_mov_b32_e32 v32, v9
	v_cmp_gt_i64_e64 s[36:37], 0, v[10:11]
	v_not_b32_e32 v10, v29
	v_cmp_gt_i64_e64 s[40:41], 0, v[30:31]
	v_not_b32_e32 v11, v31
	v_xor_b32_e32 v31, s35, v39
	v_ashrrev_i32_e32 v8, 31, v8
	v_mov_b32_e32 v34, v9
	v_cmp_gt_i64_e64 s[38:39], 0, v[28:29]
	v_cmp_gt_i64_e64 s[44:45], 0, v[32:33]
	v_not_b32_e32 v28, v33
	v_xor_b32_e32 v32, s34, v38
	v_ashrrev_i32_e32 v10, 31, v10
	v_and_b32_e32 v31, exec_hi, v31
	v_xor_b32_e32 v33, s37, v8
	v_cmp_gt_i64_e64 s[46:47], 0, v[34:35]
	v_ashrrev_i32_e32 v11, 31, v11
	v_and_b32_e32 v32, exec_lo, v32
	v_xor_b32_e32 v8, s36, v8
	v_xor_b32_e32 v34, s39, v10
	v_and_b32_e32 v31, v31, v33
	v_mov_b32_e32 v36, v9
	v_not_b32_e32 v29, v35
	v_ashrrev_i32_e32 v28, 31, v28
	v_xor_b32_e32 v10, s38, v10
	v_xor_b32_e32 v35, s41, v11
	v_and_b32_e32 v8, v32, v8
	v_and_b32_e32 v31, v31, v34
	v_cmp_gt_i64_e64 s[48:49], 0, v[36:37]
	v_not_b32_e32 v30, v37
	v_ashrrev_i32_e32 v29, 31, v29
	v_xor_b32_e32 v36, s45, v28
	v_and_b32_e32 v8, v8, v10
	v_and_b32_e32 v10, v31, v35
	v_ashrrev_i32_e32 v30, 31, v30
	v_xor_b32_e32 v11, s40, v11
	v_xor_b32_e32 v37, s47, v29
	v_and_b32_e32 v10, v10, v36
	v_xor_b32_e32 v28, s44, v28
	v_xor_b32_e32 v38, s49, v30
	v_and_b32_e32 v8, v8, v11
	v_and_b32_e32 v10, v10, v37
	;; [unrolled: 1-line block ×4, first 2 shown]
	v_xor_b32_e32 v29, s46, v29
	v_xor_b32_e32 v30, s48, v30
	v_and_b32_e32 v8, v8, v29
	v_and_b32_e32 v8, v8, v30
	v_mul_u32_u24_e32 v13, 20, v2
	ds_write2_b32 v13, v9, v9 offset0:16 offset1:17
	ds_write2_b32 v13, v9, v9 offset0:18 offset1:19
	ds_write_b32 v13, v9 offset:80
	s_waitcnt lgkmcnt(0)
	s_barrier
	s_waitcnt vmcnt(0)
	; wave barrier
	v_mad_u64_u32 v[10:11], s[34:35], v40, v27, v[2:3]
	v_lshrrev_b32_e32 v38, 6, v10
	v_mov_b32_e32 v40, v9
	v_not_b32_e32 v10, v41
	v_cmp_gt_i64_e64 s[34:35], 0, v[40:41]
	v_ashrrev_i32_e32 v10, 31, v10
	v_lshl_add_u32 v31, v38, 2, v42
	v_xor_b32_e32 v11, s35, v10
	v_xor_b32_e32 v10, s34, v10
	v_and_b32_e32 v10, v8, v10
	v_and_b32_e32 v11, v28, v11
	v_mbcnt_lo_u32_b32 v8, v10, 0
	v_mbcnt_hi_u32_b32 v28, v11, v8
	v_cmp_eq_u32_e64 s[34:35], 0, v28
	v_cmp_ne_u64_e64 s[36:37], 0, v[10:11]
	s_and_b64 s[36:37], s[36:37], s[34:35]
	s_and_saveexec_b64 s[34:35], s[36:37]
; %bb.34:
	v_bcnt_u32_b32 v8, v10, 0
	v_bcnt_u32_b32 v8, v11, v8
	ds_write_b32 v31, v8 offset:64
; %bb.35:
	s_or_b64 exec, exec, s[34:35]
	v_lshrrev_b32_e32 v8, s64, v3
	v_and_b32_e32 v29, s68, v8
	v_mul_lo_u32 v8, v29, s69
	v_lshl_add_u32 v33, v38, 2, v8
	v_and_b32_e32 v8, 1, v29
	v_lshl_add_u64 v[10:11], v[8:9], 0, -1
	v_cmp_ne_u32_e64 s[34:35], 0, v8
	; wave barrier
	s_nop 1
	v_xor_b32_e32 v10, s34, v10
	v_xor_b32_e32 v8, s35, v11
	v_and_b32_e32 v30, exec_lo, v10
	v_lshlrev_b32_e32 v11, 30, v29
	v_mov_b32_e32 v10, v9
	v_cmp_gt_i64_e64 s[34:35], 0, v[10:11]
	v_not_b32_e32 v10, v11
	v_ashrrev_i32_e32 v10, 31, v10
	v_and_b32_e32 v8, exec_hi, v8
	v_xor_b32_e32 v11, s35, v10
	v_xor_b32_e32 v10, s34, v10
	v_and_b32_e32 v8, v8, v11
	v_and_b32_e32 v30, v30, v10
	v_lshlrev_b32_e32 v11, 29, v29
	v_mov_b32_e32 v10, v9
	v_cmp_gt_i64_e64 s[34:35], 0, v[10:11]
	v_not_b32_e32 v10, v11
	v_ashrrev_i32_e32 v10, 31, v10
	v_xor_b32_e32 v11, s35, v10
	v_xor_b32_e32 v10, s34, v10
	v_and_b32_e32 v8, v8, v11
	v_and_b32_e32 v30, v30, v10
	v_lshlrev_b32_e32 v11, 28, v29
	v_mov_b32_e32 v10, v9
	v_cmp_gt_i64_e64 s[34:35], 0, v[10:11]
	v_not_b32_e32 v10, v11
	v_ashrrev_i32_e32 v10, 31, v10
	;; [unrolled: 9-line block ×5, first 2 shown]
	v_xor_b32_e32 v11, s35, v10
	v_xor_b32_e32 v10, s34, v10
	v_and_b32_e32 v8, v8, v11
	v_lshlrev_b32_e32 v11, 24, v29
	v_and_b32_e32 v30, v30, v10
	v_mov_b32_e32 v10, v9
	v_not_b32_e32 v9, v11
	v_cmp_gt_i64_e64 s[34:35], 0, v[10:11]
	v_ashrrev_i32_e32 v9, 31, v9
	ds_read_b32 v27, v33 offset:64
	v_xor_b32_e32 v10, s35, v9
	v_xor_b32_e32 v11, s34, v9
	v_and_b32_e32 v9, v8, v10
	v_and_b32_e32 v8, v30, v11
	v_mbcnt_lo_u32_b32 v10, v8, 0
	v_mbcnt_hi_u32_b32 v29, v9, v10
	v_cmp_eq_u32_e64 s[34:35], 0, v29
	v_cmp_ne_u64_e64 s[36:37], 0, v[8:9]
	s_and_b64 s[36:37], s[36:37], s[34:35]
	; wave barrier
	s_and_saveexec_b64 s[34:35], s[36:37]
	s_cbranch_execz .LBB1456_37
; %bb.36:
	v_bcnt_u32_b32 v8, v8, 0
	v_bcnt_u32_b32 v8, v9, v8
	s_waitcnt lgkmcnt(0)
	v_add_u32_e32 v8, v27, v8
	ds_write_b32 v33, v8 offset:64
.LBB1456_37:
	s_or_b64 exec, exec, s[34:35]
	v_lshrrev_b32_e32 v8, s64, v14
	v_and_b32_e32 v32, s68, v8
	s_movk_i32 s38, 0x44
	v_mul_lo_u32 v8, v32, s38
	v_lshl_add_u32 v36, v38, 2, v8
	v_and_b32_e32 v8, 1, v32
	v_mov_b32_e32 v9, 0
	v_lshl_add_u64 v[10:11], v[8:9], 0, -1
	v_cmp_ne_u32_e64 s[34:35], 0, v8
	; wave barrier
	s_nop 1
	v_xor_b32_e32 v10, s34, v10
	v_xor_b32_e32 v8, s35, v11
	v_and_b32_e32 v34, exec_lo, v10
	v_lshlrev_b32_e32 v11, 30, v32
	v_mov_b32_e32 v10, v9
	v_cmp_gt_i64_e64 s[34:35], 0, v[10:11]
	v_not_b32_e32 v10, v11
	v_ashrrev_i32_e32 v10, 31, v10
	v_and_b32_e32 v8, exec_hi, v8
	v_xor_b32_e32 v11, s35, v10
	v_xor_b32_e32 v10, s34, v10
	v_and_b32_e32 v8, v8, v11
	v_and_b32_e32 v34, v34, v10
	v_lshlrev_b32_e32 v11, 29, v32
	v_mov_b32_e32 v10, v9
	v_cmp_gt_i64_e64 s[34:35], 0, v[10:11]
	v_not_b32_e32 v10, v11
	v_ashrrev_i32_e32 v10, 31, v10
	v_xor_b32_e32 v11, s35, v10
	v_xor_b32_e32 v10, s34, v10
	v_and_b32_e32 v8, v8, v11
	v_and_b32_e32 v34, v34, v10
	v_lshlrev_b32_e32 v11, 28, v32
	v_mov_b32_e32 v10, v9
	v_cmp_gt_i64_e64 s[34:35], 0, v[10:11]
	v_not_b32_e32 v10, v11
	v_ashrrev_i32_e32 v10, 31, v10
	;; [unrolled: 9-line block ×6, first 2 shown]
	v_xor_b32_e32 v11, s35, v10
	v_xor_b32_e32 v10, s34, v10
	ds_read_b32 v30, v36 offset:64
	v_and_b32_e32 v10, v34, v10
	v_and_b32_e32 v11, v8, v11
	v_mbcnt_lo_u32_b32 v8, v10, 0
	v_mbcnt_hi_u32_b32 v32, v11, v8
	v_cmp_eq_u32_e64 s[34:35], 0, v32
	v_cmp_ne_u64_e64 s[36:37], 0, v[10:11]
	s_and_b64 s[36:37], s[36:37], s[34:35]
	; wave barrier
	s_and_saveexec_b64 s[34:35], s[36:37]
	s_cbranch_execz .LBB1456_39
; %bb.38:
	v_bcnt_u32_b32 v8, v10, 0
	v_bcnt_u32_b32 v8, v11, v8
	s_waitcnt lgkmcnt(0)
	v_add_u32_e32 v8, v30, v8
	ds_write_b32 v36, v8 offset:64
.LBB1456_39:
	s_or_b64 exec, exec, s[34:35]
	v_lshrrev_b32_e32 v8, s64, v7
	v_and_b32_e32 v35, s68, v8
	v_mul_lo_u32 v8, v35, s38
	v_lshl_add_u32 v40, v38, 2, v8
	v_and_b32_e32 v8, 1, v35
	v_lshl_add_u64 v[10:11], v[8:9], 0, -1
	v_cmp_ne_u32_e64 s[34:35], 0, v8
	; wave barrier
	s_nop 1
	v_xor_b32_e32 v10, s34, v10
	v_xor_b32_e32 v8, s35, v11
	v_and_b32_e32 v37, exec_lo, v10
	v_lshlrev_b32_e32 v11, 30, v35
	v_mov_b32_e32 v10, v9
	v_cmp_gt_i64_e64 s[34:35], 0, v[10:11]
	v_not_b32_e32 v10, v11
	v_ashrrev_i32_e32 v10, 31, v10
	v_and_b32_e32 v8, exec_hi, v8
	v_xor_b32_e32 v11, s35, v10
	v_xor_b32_e32 v10, s34, v10
	v_and_b32_e32 v8, v8, v11
	v_and_b32_e32 v37, v37, v10
	v_lshlrev_b32_e32 v11, 29, v35
	v_mov_b32_e32 v10, v9
	v_cmp_gt_i64_e64 s[34:35], 0, v[10:11]
	v_not_b32_e32 v10, v11
	v_ashrrev_i32_e32 v10, 31, v10
	v_xor_b32_e32 v11, s35, v10
	v_xor_b32_e32 v10, s34, v10
	v_and_b32_e32 v8, v8, v11
	v_and_b32_e32 v37, v37, v10
	v_lshlrev_b32_e32 v11, 28, v35
	v_mov_b32_e32 v10, v9
	v_cmp_gt_i64_e64 s[34:35], 0, v[10:11]
	v_not_b32_e32 v10, v11
	v_ashrrev_i32_e32 v10, 31, v10
	;; [unrolled: 9-line block ×5, first 2 shown]
	v_xor_b32_e32 v11, s35, v10
	v_xor_b32_e32 v10, s34, v10
	v_and_b32_e32 v8, v8, v11
	v_lshlrev_b32_e32 v11, 24, v35
	v_and_b32_e32 v37, v37, v10
	v_mov_b32_e32 v10, v9
	v_not_b32_e32 v9, v11
	v_cmp_gt_i64_e64 s[34:35], 0, v[10:11]
	v_ashrrev_i32_e32 v9, 31, v9
	ds_read_b32 v34, v40 offset:64
	v_xor_b32_e32 v10, s35, v9
	v_xor_b32_e32 v11, s34, v9
	v_and_b32_e32 v9, v8, v10
	v_and_b32_e32 v8, v37, v11
	v_mbcnt_lo_u32_b32 v10, v8, 0
	v_mbcnt_hi_u32_b32 v35, v9, v10
	v_cmp_eq_u32_e64 s[34:35], 0, v35
	v_cmp_ne_u64_e64 s[36:37], 0, v[8:9]
	s_and_b64 s[36:37], s[36:37], s[34:35]
	; wave barrier
	s_and_saveexec_b64 s[34:35], s[36:37]
	s_cbranch_execz .LBB1456_41
; %bb.40:
	v_bcnt_u32_b32 v8, v8, 0
	v_bcnt_u32_b32 v8, v9, v8
	s_waitcnt lgkmcnt(0)
	v_add_u32_e32 v8, v34, v8
	ds_write_b32 v40, v8 offset:64
.LBB1456_41:
	s_or_b64 exec, exec, s[34:35]
	v_lshrrev_b32_e32 v8, s64, v16
	v_and_b32_e32 v39, s68, v8
	v_mul_lo_u32 v8, v39, s38
	v_lshl_add_u32 v43, v38, 2, v8
	v_and_b32_e32 v8, 1, v39
	v_mov_b32_e32 v9, 0
	v_lshl_add_u64 v[10:11], v[8:9], 0, -1
	v_cmp_ne_u32_e64 s[34:35], 0, v8
	; wave barrier
	s_nop 1
	v_xor_b32_e32 v10, s34, v10
	v_xor_b32_e32 v8, s35, v11
	v_and_b32_e32 v41, exec_lo, v10
	v_lshlrev_b32_e32 v11, 30, v39
	v_mov_b32_e32 v10, v9
	v_cmp_gt_i64_e64 s[34:35], 0, v[10:11]
	v_not_b32_e32 v10, v11
	v_ashrrev_i32_e32 v10, 31, v10
	v_and_b32_e32 v8, exec_hi, v8
	v_xor_b32_e32 v11, s35, v10
	v_xor_b32_e32 v10, s34, v10
	v_and_b32_e32 v8, v8, v11
	v_and_b32_e32 v41, v41, v10
	v_lshlrev_b32_e32 v11, 29, v39
	v_mov_b32_e32 v10, v9
	v_cmp_gt_i64_e64 s[34:35], 0, v[10:11]
	v_not_b32_e32 v10, v11
	v_ashrrev_i32_e32 v10, 31, v10
	v_xor_b32_e32 v11, s35, v10
	v_xor_b32_e32 v10, s34, v10
	v_and_b32_e32 v8, v8, v11
	v_and_b32_e32 v41, v41, v10
	v_lshlrev_b32_e32 v11, 28, v39
	v_mov_b32_e32 v10, v9
	v_cmp_gt_i64_e64 s[34:35], 0, v[10:11]
	v_not_b32_e32 v10, v11
	v_ashrrev_i32_e32 v10, 31, v10
	;; [unrolled: 9-line block ×6, first 2 shown]
	v_xor_b32_e32 v11, s35, v10
	v_xor_b32_e32 v10, s34, v10
	ds_read_b32 v37, v43 offset:64
	v_and_b32_e32 v10, v41, v10
	v_and_b32_e32 v11, v8, v11
	v_mbcnt_lo_u32_b32 v8, v10, 0
	v_mbcnt_hi_u32_b32 v39, v11, v8
	v_cmp_eq_u32_e64 s[34:35], 0, v39
	v_cmp_ne_u64_e64 s[36:37], 0, v[10:11]
	s_and_b64 s[36:37], s[36:37], s[34:35]
	; wave barrier
	s_and_saveexec_b64 s[34:35], s[36:37]
	s_cbranch_execz .LBB1456_43
; %bb.42:
	v_bcnt_u32_b32 v8, v10, 0
	v_bcnt_u32_b32 v8, v11, v8
	s_waitcnt lgkmcnt(0)
	v_add_u32_e32 v8, v37, v8
	ds_write_b32 v43, v8 offset:64
.LBB1456_43:
	s_or_b64 exec, exec, s[34:35]
	v_lshrrev_b32_e32 v8, s64, v15
	v_and_b32_e32 v42, s68, v8
	v_mul_lo_u32 v8, v42, s38
	v_lshl_add_u32 v45, v38, 2, v8
	v_and_b32_e32 v8, 1, v42
	v_lshl_add_u64 v[10:11], v[8:9], 0, -1
	v_cmp_ne_u32_e64 s[34:35], 0, v8
	; wave barrier
	s_nop 1
	v_xor_b32_e32 v10, s34, v10
	v_xor_b32_e32 v8, s35, v11
	v_and_b32_e32 v44, exec_lo, v10
	v_lshlrev_b32_e32 v11, 30, v42
	v_mov_b32_e32 v10, v9
	v_cmp_gt_i64_e64 s[34:35], 0, v[10:11]
	v_not_b32_e32 v10, v11
	v_ashrrev_i32_e32 v10, 31, v10
	v_and_b32_e32 v8, exec_hi, v8
	v_xor_b32_e32 v11, s35, v10
	v_xor_b32_e32 v10, s34, v10
	v_and_b32_e32 v8, v8, v11
	v_and_b32_e32 v44, v44, v10
	v_lshlrev_b32_e32 v11, 29, v42
	v_mov_b32_e32 v10, v9
	v_cmp_gt_i64_e64 s[34:35], 0, v[10:11]
	v_not_b32_e32 v10, v11
	v_ashrrev_i32_e32 v10, 31, v10
	v_xor_b32_e32 v11, s35, v10
	v_xor_b32_e32 v10, s34, v10
	v_and_b32_e32 v8, v8, v11
	v_and_b32_e32 v44, v44, v10
	v_lshlrev_b32_e32 v11, 28, v42
	v_mov_b32_e32 v10, v9
	v_cmp_gt_i64_e64 s[34:35], 0, v[10:11]
	v_not_b32_e32 v10, v11
	v_ashrrev_i32_e32 v10, 31, v10
	;; [unrolled: 9-line block ×5, first 2 shown]
	v_xor_b32_e32 v11, s35, v10
	v_xor_b32_e32 v10, s34, v10
	v_and_b32_e32 v8, v8, v11
	v_lshlrev_b32_e32 v11, 24, v42
	v_and_b32_e32 v44, v44, v10
	v_mov_b32_e32 v10, v9
	v_not_b32_e32 v9, v11
	v_cmp_gt_i64_e64 s[34:35], 0, v[10:11]
	v_ashrrev_i32_e32 v9, 31, v9
	ds_read_b32 v41, v45 offset:64
	v_xor_b32_e32 v10, s35, v9
	v_xor_b32_e32 v11, s34, v9
	v_and_b32_e32 v9, v8, v10
	v_and_b32_e32 v8, v44, v11
	v_mbcnt_lo_u32_b32 v10, v8, 0
	v_mbcnt_hi_u32_b32 v42, v9, v10
	v_cmp_eq_u32_e64 s[34:35], 0, v42
	v_cmp_ne_u64_e64 s[36:37], 0, v[8:9]
	s_and_b64 s[36:37], s[36:37], s[34:35]
	; wave barrier
	s_and_saveexec_b64 s[34:35], s[36:37]
	s_cbranch_execz .LBB1456_45
; %bb.44:
	v_bcnt_u32_b32 v8, v8, 0
	v_bcnt_u32_b32 v8, v9, v8
	s_waitcnt lgkmcnt(0)
	v_add_u32_e32 v8, v41, v8
	ds_write_b32 v45, v8 offset:64
.LBB1456_45:
	s_or_b64 exec, exec, s[34:35]
	v_lshrrev_b32_e32 v8, s64, v18
	v_and_b32_e32 v46, s68, v8
	v_mul_lo_u32 v8, v46, s38
	v_lshl_add_u32 v48, v38, 2, v8
	v_and_b32_e32 v8, 1, v46
	v_mov_b32_e32 v9, 0
	v_lshl_add_u64 v[10:11], v[8:9], 0, -1
	v_cmp_ne_u32_e64 s[34:35], 0, v8
	; wave barrier
	s_nop 1
	v_xor_b32_e32 v10, s34, v10
	v_xor_b32_e32 v8, s35, v11
	v_and_b32_e32 v47, exec_lo, v10
	v_lshlrev_b32_e32 v11, 30, v46
	v_mov_b32_e32 v10, v9
	v_cmp_gt_i64_e64 s[34:35], 0, v[10:11]
	v_not_b32_e32 v10, v11
	v_ashrrev_i32_e32 v10, 31, v10
	v_and_b32_e32 v8, exec_hi, v8
	v_xor_b32_e32 v11, s35, v10
	v_xor_b32_e32 v10, s34, v10
	v_and_b32_e32 v8, v8, v11
	v_and_b32_e32 v47, v47, v10
	v_lshlrev_b32_e32 v11, 29, v46
	v_mov_b32_e32 v10, v9
	v_cmp_gt_i64_e64 s[34:35], 0, v[10:11]
	v_not_b32_e32 v10, v11
	v_ashrrev_i32_e32 v10, 31, v10
	v_xor_b32_e32 v11, s35, v10
	v_xor_b32_e32 v10, s34, v10
	v_and_b32_e32 v8, v8, v11
	v_and_b32_e32 v47, v47, v10
	v_lshlrev_b32_e32 v11, 28, v46
	v_mov_b32_e32 v10, v9
	v_cmp_gt_i64_e64 s[34:35], 0, v[10:11]
	v_not_b32_e32 v10, v11
	v_ashrrev_i32_e32 v10, 31, v10
	;; [unrolled: 9-line block ×6, first 2 shown]
	v_xor_b32_e32 v11, s35, v10
	v_xor_b32_e32 v10, s34, v10
	ds_read_b32 v44, v48 offset:64
	v_and_b32_e32 v10, v47, v10
	v_and_b32_e32 v11, v8, v11
	v_mbcnt_lo_u32_b32 v8, v10, 0
	v_mbcnt_hi_u32_b32 v46, v11, v8
	v_cmp_eq_u32_e64 s[34:35], 0, v46
	v_cmp_ne_u64_e64 s[36:37], 0, v[10:11]
	s_and_b64 s[36:37], s[36:37], s[34:35]
	; wave barrier
	s_and_saveexec_b64 s[34:35], s[36:37]
	s_cbranch_execz .LBB1456_47
; %bb.46:
	v_bcnt_u32_b32 v8, v10, 0
	v_bcnt_u32_b32 v8, v11, v8
	s_waitcnt lgkmcnt(0)
	v_add_u32_e32 v8, v44, v8
	ds_write_b32 v48, v8 offset:64
.LBB1456_47:
	s_or_b64 exec, exec, s[34:35]
	v_lshrrev_b32_e32 v8, s64, v17
	v_and_b32_e32 v49, s68, v8
	v_mul_lo_u32 v8, v49, s38
	v_lshl_add_u32 v51, v38, 2, v8
	v_and_b32_e32 v8, 1, v49
	v_lshl_add_u64 v[10:11], v[8:9], 0, -1
	v_cmp_ne_u32_e64 s[34:35], 0, v8
	; wave barrier
	s_nop 1
	v_xor_b32_e32 v10, s34, v10
	v_xor_b32_e32 v8, s35, v11
	v_and_b32_e32 v50, exec_lo, v10
	v_lshlrev_b32_e32 v11, 30, v49
	v_mov_b32_e32 v10, v9
	v_cmp_gt_i64_e64 s[34:35], 0, v[10:11]
	v_not_b32_e32 v10, v11
	v_ashrrev_i32_e32 v10, 31, v10
	v_and_b32_e32 v8, exec_hi, v8
	v_xor_b32_e32 v11, s35, v10
	v_xor_b32_e32 v10, s34, v10
	v_and_b32_e32 v8, v8, v11
	v_and_b32_e32 v50, v50, v10
	v_lshlrev_b32_e32 v11, 29, v49
	v_mov_b32_e32 v10, v9
	v_cmp_gt_i64_e64 s[34:35], 0, v[10:11]
	v_not_b32_e32 v10, v11
	v_ashrrev_i32_e32 v10, 31, v10
	v_xor_b32_e32 v11, s35, v10
	v_xor_b32_e32 v10, s34, v10
	v_and_b32_e32 v8, v8, v11
	v_and_b32_e32 v50, v50, v10
	v_lshlrev_b32_e32 v11, 28, v49
	v_mov_b32_e32 v10, v9
	v_cmp_gt_i64_e64 s[34:35], 0, v[10:11]
	v_not_b32_e32 v10, v11
	v_ashrrev_i32_e32 v10, 31, v10
	;; [unrolled: 9-line block ×5, first 2 shown]
	v_xor_b32_e32 v11, s35, v10
	v_xor_b32_e32 v10, s34, v10
	v_and_b32_e32 v8, v8, v11
	v_lshlrev_b32_e32 v11, 24, v49
	v_and_b32_e32 v50, v50, v10
	v_mov_b32_e32 v10, v9
	v_not_b32_e32 v9, v11
	v_cmp_gt_i64_e64 s[34:35], 0, v[10:11]
	v_ashrrev_i32_e32 v9, 31, v9
	ds_read_b32 v47, v51 offset:64
	v_xor_b32_e32 v10, s35, v9
	v_xor_b32_e32 v11, s34, v9
	v_and_b32_e32 v9, v8, v10
	v_and_b32_e32 v8, v50, v11
	v_mbcnt_lo_u32_b32 v10, v8, 0
	v_mbcnt_hi_u32_b32 v49, v9, v10
	v_cmp_eq_u32_e64 s[34:35], 0, v49
	v_cmp_ne_u64_e64 s[36:37], 0, v[8:9]
	s_and_b64 s[36:37], s[36:37], s[34:35]
	; wave barrier
	s_and_saveexec_b64 s[34:35], s[36:37]
	s_cbranch_execz .LBB1456_49
; %bb.48:
	v_bcnt_u32_b32 v8, v8, 0
	v_bcnt_u32_b32 v8, v9, v8
	s_waitcnt lgkmcnt(0)
	v_add_u32_e32 v8, v47, v8
	ds_write_b32 v51, v8 offset:64
.LBB1456_49:
	s_or_b64 exec, exec, s[34:35]
	v_lshrrev_b32_e32 v8, s64, v20
	v_and_b32_e32 v52, s68, v8
	v_mul_lo_u32 v8, v52, s38
	v_lshl_add_u32 v54, v38, 2, v8
	v_and_b32_e32 v8, 1, v52
	v_mov_b32_e32 v9, 0
	v_lshl_add_u64 v[10:11], v[8:9], 0, -1
	v_cmp_ne_u32_e64 s[34:35], 0, v8
	; wave barrier
	s_nop 1
	v_xor_b32_e32 v10, s34, v10
	v_xor_b32_e32 v8, s35, v11
	v_and_b32_e32 v53, exec_lo, v10
	v_lshlrev_b32_e32 v11, 30, v52
	v_mov_b32_e32 v10, v9
	v_cmp_gt_i64_e64 s[34:35], 0, v[10:11]
	v_not_b32_e32 v10, v11
	v_ashrrev_i32_e32 v10, 31, v10
	v_and_b32_e32 v8, exec_hi, v8
	v_xor_b32_e32 v11, s35, v10
	v_xor_b32_e32 v10, s34, v10
	v_and_b32_e32 v8, v8, v11
	v_and_b32_e32 v53, v53, v10
	v_lshlrev_b32_e32 v11, 29, v52
	v_mov_b32_e32 v10, v9
	v_cmp_gt_i64_e64 s[34:35], 0, v[10:11]
	v_not_b32_e32 v10, v11
	v_ashrrev_i32_e32 v10, 31, v10
	v_xor_b32_e32 v11, s35, v10
	v_xor_b32_e32 v10, s34, v10
	v_and_b32_e32 v8, v8, v11
	v_and_b32_e32 v53, v53, v10
	v_lshlrev_b32_e32 v11, 28, v52
	v_mov_b32_e32 v10, v9
	v_cmp_gt_i64_e64 s[34:35], 0, v[10:11]
	v_not_b32_e32 v10, v11
	v_ashrrev_i32_e32 v10, 31, v10
	;; [unrolled: 9-line block ×6, first 2 shown]
	v_xor_b32_e32 v11, s35, v10
	v_xor_b32_e32 v10, s34, v10
	ds_read_b32 v50, v54 offset:64
	v_and_b32_e32 v10, v53, v10
	v_and_b32_e32 v11, v8, v11
	v_mbcnt_lo_u32_b32 v8, v10, 0
	v_mbcnt_hi_u32_b32 v52, v11, v8
	v_cmp_eq_u32_e64 s[34:35], 0, v52
	v_cmp_ne_u64_e64 s[36:37], 0, v[10:11]
	s_and_b64 s[36:37], s[36:37], s[34:35]
	; wave barrier
	s_and_saveexec_b64 s[34:35], s[36:37]
	s_cbranch_execz .LBB1456_51
; %bb.50:
	v_bcnt_u32_b32 v8, v10, 0
	v_bcnt_u32_b32 v8, v11, v8
	s_waitcnt lgkmcnt(0)
	v_add_u32_e32 v8, v50, v8
	ds_write_b32 v54, v8 offset:64
.LBB1456_51:
	s_or_b64 exec, exec, s[34:35]
	v_lshrrev_b32_e32 v8, s64, v19
	v_and_b32_e32 v55, s68, v8
	v_mul_lo_u32 v8, v55, s38
	v_lshl_add_u32 v57, v38, 2, v8
	v_and_b32_e32 v8, 1, v55
	v_lshl_add_u64 v[10:11], v[8:9], 0, -1
	v_cmp_ne_u32_e64 s[34:35], 0, v8
	; wave barrier
	s_nop 1
	v_xor_b32_e32 v10, s34, v10
	v_xor_b32_e32 v8, s35, v11
	v_and_b32_e32 v56, exec_lo, v10
	v_lshlrev_b32_e32 v11, 30, v55
	v_mov_b32_e32 v10, v9
	v_cmp_gt_i64_e64 s[34:35], 0, v[10:11]
	v_not_b32_e32 v10, v11
	v_ashrrev_i32_e32 v10, 31, v10
	v_and_b32_e32 v8, exec_hi, v8
	v_xor_b32_e32 v11, s35, v10
	v_xor_b32_e32 v10, s34, v10
	v_and_b32_e32 v8, v8, v11
	v_and_b32_e32 v56, v56, v10
	v_lshlrev_b32_e32 v11, 29, v55
	v_mov_b32_e32 v10, v9
	v_cmp_gt_i64_e64 s[34:35], 0, v[10:11]
	v_not_b32_e32 v10, v11
	v_ashrrev_i32_e32 v10, 31, v10
	v_xor_b32_e32 v11, s35, v10
	v_xor_b32_e32 v10, s34, v10
	v_and_b32_e32 v8, v8, v11
	v_and_b32_e32 v56, v56, v10
	v_lshlrev_b32_e32 v11, 28, v55
	v_mov_b32_e32 v10, v9
	v_cmp_gt_i64_e64 s[34:35], 0, v[10:11]
	v_not_b32_e32 v10, v11
	v_ashrrev_i32_e32 v10, 31, v10
	v_xor_b32_e32 v11, s35, v10
	v_xor_b32_e32 v10, s34, v10
	v_and_b32_e32 v8, v8, v11
	v_and_b32_e32 v56, v56, v10
	v_lshlrev_b32_e32 v11, 27, v55
	v_mov_b32_e32 v10, v9
	v_cmp_gt_i64_e64 s[34:35], 0, v[10:11]
	v_not_b32_e32 v10, v11
	v_ashrrev_i32_e32 v10, 31, v10
	v_xor_b32_e32 v11, s35, v10
	v_xor_b32_e32 v10, s34, v10
	v_and_b32_e32 v8, v8, v11
	v_and_b32_e32 v56, v56, v10
	v_lshlrev_b32_e32 v11, 26, v55
	v_mov_b32_e32 v10, v9
	v_cmp_gt_i64_e64 s[34:35], 0, v[10:11]
	v_not_b32_e32 v10, v11
	v_ashrrev_i32_e32 v10, 31, v10
	v_xor_b32_e32 v11, s35, v10
	v_xor_b32_e32 v10, s34, v10
	v_and_b32_e32 v8, v8, v11
	v_and_b32_e32 v56, v56, v10
	v_lshlrev_b32_e32 v11, 25, v55
	v_mov_b32_e32 v10, v9
	v_cmp_gt_i64_e64 s[34:35], 0, v[10:11]
	v_not_b32_e32 v10, v11
	v_ashrrev_i32_e32 v10, 31, v10
	v_xor_b32_e32 v11, s35, v10
	v_xor_b32_e32 v10, s34, v10
	v_and_b32_e32 v8, v8, v11
	v_lshlrev_b32_e32 v11, 24, v55
	v_and_b32_e32 v56, v56, v10
	v_mov_b32_e32 v10, v9
	v_not_b32_e32 v9, v11
	v_cmp_gt_i64_e64 s[34:35], 0, v[10:11]
	v_ashrrev_i32_e32 v9, 31, v9
	ds_read_b32 v53, v57 offset:64
	v_xor_b32_e32 v10, s35, v9
	v_xor_b32_e32 v11, s34, v9
	v_and_b32_e32 v9, v8, v10
	v_and_b32_e32 v8, v56, v11
	v_mbcnt_lo_u32_b32 v10, v8, 0
	v_mbcnt_hi_u32_b32 v55, v9, v10
	v_cmp_eq_u32_e64 s[34:35], 0, v55
	v_cmp_ne_u64_e64 s[36:37], 0, v[8:9]
	s_and_b64 s[36:37], s[36:37], s[34:35]
	; wave barrier
	s_and_saveexec_b64 s[34:35], s[36:37]
	s_cbranch_execz .LBB1456_53
; %bb.52:
	v_bcnt_u32_b32 v8, v8, 0
	v_bcnt_u32_b32 v8, v9, v8
	s_waitcnt lgkmcnt(0)
	v_add_u32_e32 v8, v53, v8
	ds_write_b32 v57, v8 offset:64
.LBB1456_53:
	s_or_b64 exec, exec, s[34:35]
	v_lshrrev_b32_e32 v8, s64, v22
	v_and_b32_e32 v58, s68, v8
	v_mul_lo_u32 v8, v58, s38
	v_lshl_add_u32 v60, v38, 2, v8
	v_and_b32_e32 v8, 1, v58
	v_mov_b32_e32 v9, 0
	v_lshl_add_u64 v[10:11], v[8:9], 0, -1
	v_cmp_ne_u32_e64 s[34:35], 0, v8
	; wave barrier
	s_nop 1
	v_xor_b32_e32 v10, s34, v10
	v_xor_b32_e32 v8, s35, v11
	v_and_b32_e32 v59, exec_lo, v10
	v_lshlrev_b32_e32 v11, 30, v58
	v_mov_b32_e32 v10, v9
	v_cmp_gt_i64_e64 s[34:35], 0, v[10:11]
	v_not_b32_e32 v10, v11
	v_ashrrev_i32_e32 v10, 31, v10
	v_and_b32_e32 v8, exec_hi, v8
	v_xor_b32_e32 v11, s35, v10
	v_xor_b32_e32 v10, s34, v10
	v_and_b32_e32 v8, v8, v11
	v_and_b32_e32 v59, v59, v10
	v_lshlrev_b32_e32 v11, 29, v58
	v_mov_b32_e32 v10, v9
	v_cmp_gt_i64_e64 s[34:35], 0, v[10:11]
	v_not_b32_e32 v10, v11
	v_ashrrev_i32_e32 v10, 31, v10
	v_xor_b32_e32 v11, s35, v10
	v_xor_b32_e32 v10, s34, v10
	v_and_b32_e32 v8, v8, v11
	v_and_b32_e32 v59, v59, v10
	v_lshlrev_b32_e32 v11, 28, v58
	v_mov_b32_e32 v10, v9
	v_cmp_gt_i64_e64 s[34:35], 0, v[10:11]
	v_not_b32_e32 v10, v11
	v_ashrrev_i32_e32 v10, 31, v10
	;; [unrolled: 9-line block ×6, first 2 shown]
	v_xor_b32_e32 v11, s35, v10
	v_xor_b32_e32 v10, s34, v10
	ds_read_b32 v56, v60 offset:64
	v_and_b32_e32 v10, v59, v10
	v_and_b32_e32 v11, v8, v11
	v_mbcnt_lo_u32_b32 v8, v10, 0
	v_mbcnt_hi_u32_b32 v58, v11, v8
	v_cmp_eq_u32_e64 s[34:35], 0, v58
	v_cmp_ne_u64_e64 s[36:37], 0, v[10:11]
	s_and_b64 s[36:37], s[36:37], s[34:35]
	; wave barrier
	s_and_saveexec_b64 s[34:35], s[36:37]
	s_cbranch_execz .LBB1456_55
; %bb.54:
	v_bcnt_u32_b32 v8, v10, 0
	v_bcnt_u32_b32 v8, v11, v8
	s_waitcnt lgkmcnt(0)
	v_add_u32_e32 v8, v56, v8
	ds_write_b32 v60, v8 offset:64
.LBB1456_55:
	s_or_b64 exec, exec, s[34:35]
	v_lshrrev_b32_e32 v8, s64, v21
	v_and_b32_e32 v61, s68, v8
	v_mul_lo_u32 v8, v61, s38
	v_lshl_add_u32 v63, v38, 2, v8
	v_and_b32_e32 v8, 1, v61
	v_lshl_add_u64 v[10:11], v[8:9], 0, -1
	v_cmp_ne_u32_e64 s[34:35], 0, v8
	; wave barrier
	s_nop 1
	v_xor_b32_e32 v10, s34, v10
	v_xor_b32_e32 v8, s35, v11
	v_and_b32_e32 v62, exec_lo, v10
	v_lshlrev_b32_e32 v11, 30, v61
	v_mov_b32_e32 v10, v9
	v_cmp_gt_i64_e64 s[34:35], 0, v[10:11]
	v_not_b32_e32 v10, v11
	v_ashrrev_i32_e32 v10, 31, v10
	v_and_b32_e32 v8, exec_hi, v8
	v_xor_b32_e32 v11, s35, v10
	v_xor_b32_e32 v10, s34, v10
	v_and_b32_e32 v8, v8, v11
	v_and_b32_e32 v62, v62, v10
	v_lshlrev_b32_e32 v11, 29, v61
	v_mov_b32_e32 v10, v9
	v_cmp_gt_i64_e64 s[34:35], 0, v[10:11]
	v_not_b32_e32 v10, v11
	v_ashrrev_i32_e32 v10, 31, v10
	v_xor_b32_e32 v11, s35, v10
	v_xor_b32_e32 v10, s34, v10
	v_and_b32_e32 v8, v8, v11
	v_and_b32_e32 v62, v62, v10
	v_lshlrev_b32_e32 v11, 28, v61
	v_mov_b32_e32 v10, v9
	v_cmp_gt_i64_e64 s[34:35], 0, v[10:11]
	v_not_b32_e32 v10, v11
	v_ashrrev_i32_e32 v10, 31, v10
	;; [unrolled: 9-line block ×5, first 2 shown]
	v_xor_b32_e32 v11, s35, v10
	v_xor_b32_e32 v10, s34, v10
	v_and_b32_e32 v8, v8, v11
	v_lshlrev_b32_e32 v11, 24, v61
	v_and_b32_e32 v62, v62, v10
	v_mov_b32_e32 v10, v9
	v_not_b32_e32 v9, v11
	v_cmp_gt_i64_e64 s[34:35], 0, v[10:11]
	v_ashrrev_i32_e32 v9, 31, v9
	ds_read_b32 v59, v63 offset:64
	v_xor_b32_e32 v10, s35, v9
	v_xor_b32_e32 v11, s34, v9
	v_and_b32_e32 v9, v8, v10
	v_and_b32_e32 v8, v62, v11
	v_mbcnt_lo_u32_b32 v10, v8, 0
	v_mbcnt_hi_u32_b32 v61, v9, v10
	v_cmp_eq_u32_e64 s[34:35], 0, v61
	v_cmp_ne_u64_e64 s[36:37], 0, v[8:9]
	s_and_b64 s[36:37], s[36:37], s[34:35]
	; wave barrier
	s_and_saveexec_b64 s[34:35], s[36:37]
	s_cbranch_execz .LBB1456_57
; %bb.56:
	v_bcnt_u32_b32 v8, v8, 0
	v_bcnt_u32_b32 v8, v9, v8
	s_waitcnt lgkmcnt(0)
	v_add_u32_e32 v8, v59, v8
	ds_write_b32 v63, v8 offset:64
.LBB1456_57:
	s_or_b64 exec, exec, s[34:35]
	v_lshrrev_b32_e32 v8, s64, v24
	v_and_b32_e32 v64, s68, v8
	v_mul_lo_u32 v8, v64, s38
	v_lshl_add_u32 v66, v38, 2, v8
	v_and_b32_e32 v8, 1, v64
	v_mov_b32_e32 v9, 0
	v_lshl_add_u64 v[10:11], v[8:9], 0, -1
	v_cmp_ne_u32_e64 s[34:35], 0, v8
	; wave barrier
	s_nop 1
	v_xor_b32_e32 v10, s34, v10
	v_xor_b32_e32 v8, s35, v11
	v_and_b32_e32 v65, exec_lo, v10
	v_lshlrev_b32_e32 v11, 30, v64
	v_mov_b32_e32 v10, v9
	v_cmp_gt_i64_e64 s[34:35], 0, v[10:11]
	v_not_b32_e32 v10, v11
	v_ashrrev_i32_e32 v10, 31, v10
	v_and_b32_e32 v8, exec_hi, v8
	v_xor_b32_e32 v11, s35, v10
	v_xor_b32_e32 v10, s34, v10
	v_and_b32_e32 v8, v8, v11
	v_and_b32_e32 v65, v65, v10
	v_lshlrev_b32_e32 v11, 29, v64
	v_mov_b32_e32 v10, v9
	v_cmp_gt_i64_e64 s[34:35], 0, v[10:11]
	v_not_b32_e32 v10, v11
	v_ashrrev_i32_e32 v10, 31, v10
	v_xor_b32_e32 v11, s35, v10
	v_xor_b32_e32 v10, s34, v10
	v_and_b32_e32 v8, v8, v11
	v_and_b32_e32 v65, v65, v10
	v_lshlrev_b32_e32 v11, 28, v64
	v_mov_b32_e32 v10, v9
	v_cmp_gt_i64_e64 s[34:35], 0, v[10:11]
	v_not_b32_e32 v10, v11
	v_ashrrev_i32_e32 v10, 31, v10
	v_xor_b32_e32 v11, s35, v10
	v_xor_b32_e32 v10, s34, v10
	v_and_b32_e32 v8, v8, v11
	v_and_b32_e32 v65, v65, v10
	v_lshlrev_b32_e32 v11, 27, v64
	v_mov_b32_e32 v10, v9
	v_cmp_gt_i64_e64 s[34:35], 0, v[10:11]
	v_not_b32_e32 v10, v11
	v_ashrrev_i32_e32 v10, 31, v10
	v_xor_b32_e32 v11, s35, v10
	v_xor_b32_e32 v10, s34, v10
	v_and_b32_e32 v8, v8, v11
	v_and_b32_e32 v65, v65, v10
	v_lshlrev_b32_e32 v11, 26, v64
	v_mov_b32_e32 v10, v9
	v_cmp_gt_i64_e64 s[34:35], 0, v[10:11]
	v_not_b32_e32 v10, v11
	v_ashrrev_i32_e32 v10, 31, v10
	v_xor_b32_e32 v11, s35, v10
	v_xor_b32_e32 v10, s34, v10
	v_and_b32_e32 v8, v8, v11
	v_and_b32_e32 v65, v65, v10
	v_lshlrev_b32_e32 v11, 25, v64
	v_mov_b32_e32 v10, v9
	v_cmp_gt_i64_e64 s[34:35], 0, v[10:11]
	v_not_b32_e32 v10, v11
	v_ashrrev_i32_e32 v10, 31, v10
	v_xor_b32_e32 v11, s35, v10
	v_xor_b32_e32 v10, s34, v10
	v_and_b32_e32 v8, v8, v11
	v_and_b32_e32 v65, v65, v10
	v_lshlrev_b32_e32 v11, 24, v64
	v_mov_b32_e32 v10, v9
	v_cmp_gt_i64_e64 s[34:35], 0, v[10:11]
	v_not_b32_e32 v10, v11
	v_ashrrev_i32_e32 v10, 31, v10
	v_xor_b32_e32 v11, s35, v10
	v_xor_b32_e32 v10, s34, v10
	ds_read_b32 v62, v66 offset:64
	v_and_b32_e32 v10, v65, v10
	v_and_b32_e32 v11, v8, v11
	v_mbcnt_lo_u32_b32 v8, v10, 0
	v_mbcnt_hi_u32_b32 v64, v11, v8
	v_cmp_eq_u32_e64 s[34:35], 0, v64
	v_cmp_ne_u64_e64 s[36:37], 0, v[10:11]
	s_and_b64 s[36:37], s[36:37], s[34:35]
	; wave barrier
	s_and_saveexec_b64 s[34:35], s[36:37]
	s_cbranch_execz .LBB1456_59
; %bb.58:
	v_bcnt_u32_b32 v8, v10, 0
	v_bcnt_u32_b32 v8, v11, v8
	s_waitcnt lgkmcnt(0)
	v_add_u32_e32 v8, v62, v8
	ds_write_b32 v66, v8 offset:64
.LBB1456_59:
	s_or_b64 exec, exec, s[34:35]
	v_lshrrev_b32_e32 v8, s64, v23
	v_and_b32_e32 v67, s68, v8
	v_mul_lo_u32 v8, v67, s38
	v_lshl_add_u32 v69, v38, 2, v8
	v_and_b32_e32 v8, 1, v67
	v_lshl_add_u64 v[10:11], v[8:9], 0, -1
	v_cmp_ne_u32_e64 s[34:35], 0, v8
	; wave barrier
	s_nop 1
	v_xor_b32_e32 v10, s34, v10
	v_xor_b32_e32 v8, s35, v11
	v_and_b32_e32 v68, exec_lo, v10
	v_lshlrev_b32_e32 v11, 30, v67
	v_mov_b32_e32 v10, v9
	v_cmp_gt_i64_e64 s[34:35], 0, v[10:11]
	v_not_b32_e32 v10, v11
	v_ashrrev_i32_e32 v10, 31, v10
	v_and_b32_e32 v8, exec_hi, v8
	v_xor_b32_e32 v11, s35, v10
	v_xor_b32_e32 v10, s34, v10
	v_and_b32_e32 v8, v8, v11
	v_and_b32_e32 v68, v68, v10
	v_lshlrev_b32_e32 v11, 29, v67
	v_mov_b32_e32 v10, v9
	v_cmp_gt_i64_e64 s[34:35], 0, v[10:11]
	v_not_b32_e32 v10, v11
	v_ashrrev_i32_e32 v10, 31, v10
	v_xor_b32_e32 v11, s35, v10
	v_xor_b32_e32 v10, s34, v10
	v_and_b32_e32 v8, v8, v11
	v_and_b32_e32 v68, v68, v10
	v_lshlrev_b32_e32 v11, 28, v67
	v_mov_b32_e32 v10, v9
	v_cmp_gt_i64_e64 s[34:35], 0, v[10:11]
	v_not_b32_e32 v10, v11
	v_ashrrev_i32_e32 v10, 31, v10
	;; [unrolled: 9-line block ×5, first 2 shown]
	v_xor_b32_e32 v11, s35, v10
	v_xor_b32_e32 v10, s34, v10
	v_and_b32_e32 v8, v8, v11
	v_lshlrev_b32_e32 v11, 24, v67
	v_and_b32_e32 v68, v68, v10
	v_mov_b32_e32 v10, v9
	v_not_b32_e32 v9, v11
	v_cmp_gt_i64_e64 s[34:35], 0, v[10:11]
	v_ashrrev_i32_e32 v9, 31, v9
	ds_read_b32 v65, v69 offset:64
	v_xor_b32_e32 v10, s35, v9
	v_xor_b32_e32 v11, s34, v9
	v_and_b32_e32 v9, v8, v10
	v_and_b32_e32 v8, v68, v11
	v_mbcnt_lo_u32_b32 v10, v8, 0
	v_mbcnt_hi_u32_b32 v67, v9, v10
	v_cmp_eq_u32_e64 s[34:35], 0, v67
	v_cmp_ne_u64_e64 s[36:37], 0, v[8:9]
	s_and_b64 s[36:37], s[36:37], s[34:35]
	; wave barrier
	s_and_saveexec_b64 s[34:35], s[36:37]
	s_cbranch_execz .LBB1456_61
; %bb.60:
	v_bcnt_u32_b32 v8, v8, 0
	v_bcnt_u32_b32 v8, v9, v8
	s_waitcnt lgkmcnt(0)
	v_add_u32_e32 v8, v65, v8
	ds_write_b32 v69, v8 offset:64
.LBB1456_61:
	s_or_b64 exec, exec, s[34:35]
	v_lshrrev_b32_e32 v8, s64, v26
	v_and_b32_e32 v70, s68, v8
	v_mul_lo_u32 v8, v70, s38
	v_lshl_add_u32 v72, v38, 2, v8
	v_and_b32_e32 v8, 1, v70
	v_mov_b32_e32 v9, 0
	v_lshl_add_u64 v[10:11], v[8:9], 0, -1
	v_cmp_ne_u32_e64 s[34:35], 0, v8
	; wave barrier
	s_nop 1
	v_xor_b32_e32 v10, s34, v10
	v_xor_b32_e32 v8, s35, v11
	v_and_b32_e32 v71, exec_lo, v10
	v_lshlrev_b32_e32 v11, 30, v70
	v_mov_b32_e32 v10, v9
	v_cmp_gt_i64_e64 s[34:35], 0, v[10:11]
	v_not_b32_e32 v10, v11
	v_ashrrev_i32_e32 v10, 31, v10
	v_and_b32_e32 v8, exec_hi, v8
	v_xor_b32_e32 v11, s35, v10
	v_xor_b32_e32 v10, s34, v10
	v_and_b32_e32 v8, v8, v11
	v_and_b32_e32 v71, v71, v10
	v_lshlrev_b32_e32 v11, 29, v70
	v_mov_b32_e32 v10, v9
	v_cmp_gt_i64_e64 s[34:35], 0, v[10:11]
	v_not_b32_e32 v10, v11
	v_ashrrev_i32_e32 v10, 31, v10
	v_xor_b32_e32 v11, s35, v10
	v_xor_b32_e32 v10, s34, v10
	v_and_b32_e32 v8, v8, v11
	v_and_b32_e32 v71, v71, v10
	v_lshlrev_b32_e32 v11, 28, v70
	v_mov_b32_e32 v10, v9
	v_cmp_gt_i64_e64 s[34:35], 0, v[10:11]
	v_not_b32_e32 v10, v11
	v_ashrrev_i32_e32 v10, 31, v10
	;; [unrolled: 9-line block ×6, first 2 shown]
	v_xor_b32_e32 v11, s35, v10
	v_xor_b32_e32 v10, s34, v10
	ds_read_b32 v68, v72 offset:64
	v_and_b32_e32 v10, v71, v10
	v_and_b32_e32 v11, v8, v11
	v_mbcnt_lo_u32_b32 v8, v10, 0
	v_mbcnt_hi_u32_b32 v70, v11, v8
	v_cmp_eq_u32_e64 s[34:35], 0, v70
	v_cmp_ne_u64_e64 s[36:37], 0, v[10:11]
	s_and_b64 s[36:37], s[36:37], s[34:35]
	; wave barrier
	s_and_saveexec_b64 s[34:35], s[36:37]
	s_cbranch_execz .LBB1456_63
; %bb.62:
	v_bcnt_u32_b32 v8, v10, 0
	v_bcnt_u32_b32 v8, v11, v8
	s_waitcnt lgkmcnt(0)
	v_add_u32_e32 v8, v68, v8
	ds_write_b32 v72, v8 offset:64
.LBB1456_63:
	s_or_b64 exec, exec, s[34:35]
	v_lshrrev_b32_e32 v8, s64, v25
	v_and_b32_e32 v73, s68, v8
	v_mul_lo_u32 v8, v73, s38
	v_lshl_add_u32 v74, v38, 2, v8
	v_and_b32_e32 v8, 1, v73
	v_lshl_add_u64 v[10:11], v[8:9], 0, -1
	v_cmp_ne_u32_e64 s[34:35], 0, v8
	; wave barrier
	s_nop 1
	v_xor_b32_e32 v10, s34, v10
	v_xor_b32_e32 v8, s35, v11
	v_and_b32_e32 v38, exec_lo, v10
	v_lshlrev_b32_e32 v11, 30, v73
	v_mov_b32_e32 v10, v9
	v_cmp_gt_i64_e64 s[34:35], 0, v[10:11]
	v_not_b32_e32 v10, v11
	v_ashrrev_i32_e32 v10, 31, v10
	v_and_b32_e32 v8, exec_hi, v8
	v_xor_b32_e32 v11, s35, v10
	v_xor_b32_e32 v10, s34, v10
	v_and_b32_e32 v8, v8, v11
	v_and_b32_e32 v38, v38, v10
	v_lshlrev_b32_e32 v11, 29, v73
	v_mov_b32_e32 v10, v9
	v_cmp_gt_i64_e64 s[34:35], 0, v[10:11]
	v_not_b32_e32 v10, v11
	v_ashrrev_i32_e32 v10, 31, v10
	v_xor_b32_e32 v11, s35, v10
	v_xor_b32_e32 v10, s34, v10
	v_and_b32_e32 v8, v8, v11
	v_and_b32_e32 v38, v38, v10
	v_lshlrev_b32_e32 v11, 28, v73
	v_mov_b32_e32 v10, v9
	v_cmp_gt_i64_e64 s[34:35], 0, v[10:11]
	v_not_b32_e32 v10, v11
	v_ashrrev_i32_e32 v10, 31, v10
	;; [unrolled: 9-line block ×5, first 2 shown]
	v_xor_b32_e32 v11, s35, v10
	v_xor_b32_e32 v10, s34, v10
	v_and_b32_e32 v8, v8, v11
	v_lshlrev_b32_e32 v11, 24, v73
	v_and_b32_e32 v38, v38, v10
	v_mov_b32_e32 v10, v9
	v_not_b32_e32 v9, v11
	v_cmp_gt_i64_e64 s[34:35], 0, v[10:11]
	v_ashrrev_i32_e32 v9, 31, v9
	ds_read_b32 v71, v74 offset:64
	v_xor_b32_e32 v10, s35, v9
	v_xor_b32_e32 v11, s34, v9
	v_and_b32_e32 v9, v8, v10
	v_and_b32_e32 v8, v38, v11
	v_mbcnt_lo_u32_b32 v10, v8, 0
	v_mbcnt_hi_u32_b32 v73, v9, v10
	v_cmp_eq_u32_e64 s[34:35], 0, v73
	v_cmp_ne_u64_e64 s[36:37], 0, v[8:9]
	s_and_b64 s[36:37], s[36:37], s[34:35]
	; wave barrier
	s_and_saveexec_b64 s[34:35], s[36:37]
	s_cbranch_execz .LBB1456_65
; %bb.64:
	v_bcnt_u32_b32 v8, v8, 0
	v_bcnt_u32_b32 v8, v9, v8
	s_waitcnt lgkmcnt(0)
	v_add_u32_e32 v8, v71, v8
	ds_write_b32 v74, v8 offset:64
.LBB1456_65:
	s_or_b64 exec, exec, s[34:35]
	; wave barrier
	s_waitcnt lgkmcnt(0)
	s_barrier
	ds_read2_b32 v[10:11], v13 offset0:16 offset1:17
	ds_read2_b32 v[8:9], v13 offset0:18 offset1:19
	ds_read_b32 v38, v13 offset:80
	v_cmp_lt_u32_e64 s[44:45], 31, v12
	s_waitcnt lgkmcnt(1)
	v_add3_u32 v75, v11, v10, v8
	s_waitcnt lgkmcnt(0)
	v_add3_u32 v38, v75, v9, v38
	v_and_b32_e32 v75, 15, v12
	v_cmp_eq_u32_e64 s[34:35], 0, v75
	v_mov_b32_dpp v76, v38 row_shr:1 row_mask:0xf bank_mask:0xf
	v_cmp_lt_u32_e64 s[36:37], 1, v75
	v_cndmask_b32_e64 v76, v76, 0, s[34:35]
	v_add_u32_e32 v38, v76, v38
	v_cmp_lt_u32_e64 s[38:39], 3, v75
	v_cmp_lt_u32_e64 s[40:41], 7, v75
	v_mov_b32_dpp v76, v38 row_shr:2 row_mask:0xf bank_mask:0xf
	v_cndmask_b32_e64 v76, 0, v76, s[36:37]
	v_add_u32_e32 v38, v38, v76
	s_nop 1
	v_mov_b32_dpp v76, v38 row_shr:4 row_mask:0xf bank_mask:0xf
	v_cndmask_b32_e64 v76, 0, v76, s[38:39]
	v_add_u32_e32 v38, v38, v76
	s_nop 1
	v_mov_b32_dpp v76, v38 row_shr:8 row_mask:0xf bank_mask:0xf
	v_cndmask_b32_e64 v75, 0, v76, s[40:41]
	v_add_u32_e32 v38, v38, v75
	v_bfe_i32 v76, v12, 4, 1
	s_nop 0
	v_mov_b32_dpp v75, v38 row_bcast:15 row_mask:0xf bank_mask:0xf
	v_and_b32_e32 v75, v76, v75
	v_add_u32_e32 v38, v38, v75
	v_lshrrev_b32_e32 v76, 6, v2
	s_nop 0
	v_mov_b32_dpp v75, v38 row_bcast:31 row_mask:0xf bank_mask:0xf
	v_cndmask_b32_e64 v75, 0, v75, s[44:45]
	v_add_u32_e32 v75, v38, v75
	v_and_b32_e32 v38, 63, v2
	v_cmp_eq_u32_e64 s[44:45], 63, v38
	s_and_saveexec_b64 s[46:47], s[44:45]
; %bb.66:
	v_lshlrev_b32_e32 v38, 2, v76
	ds_write_b32 v38, v75
; %bb.67:
	s_or_b64 exec, exec, s[46:47]
	v_cmp_gt_u32_e64 s[44:45], 16, v2
	v_lshlrev_b32_e32 v38, 2, v2
	s_waitcnt lgkmcnt(0)
	s_barrier
	s_and_saveexec_b64 s[46:47], s[44:45]
	s_cbranch_execz .LBB1456_69
; %bb.68:
	ds_read_b32 v77, v38
	s_waitcnt lgkmcnt(0)
	s_nop 0
	v_mov_b32_dpp v78, v77 row_shr:1 row_mask:0xf bank_mask:0xf
	v_cndmask_b32_e64 v78, v78, 0, s[34:35]
	v_add_u32_e32 v77, v78, v77
	s_nop 1
	v_mov_b32_dpp v78, v77 row_shr:2 row_mask:0xf bank_mask:0xf
	v_cndmask_b32_e64 v78, 0, v78, s[36:37]
	v_add_u32_e32 v77, v77, v78
	;; [unrolled: 4-line block ×4, first 2 shown]
	ds_write_b32 v38, v77
.LBB1456_69:
	s_or_b64 exec, exec, s[46:47]
	v_cmp_lt_u32_e64 s[34:35], 63, v2
	v_mov_b32_e32 v77, 0
	s_waitcnt lgkmcnt(0)
	s_barrier
	s_and_saveexec_b64 s[36:37], s[34:35]
; %bb.70:
	v_lshl_add_u32 v76, v76, 2, -4
	ds_read_b32 v77, v76
; %bb.71:
	s_or_b64 exec, exec, s[36:37]
	v_subrev_co_u32_e64 v76, s[34:35], 1, v12
	v_and_b32_e32 v78, 64, v12
	v_cmp_lt_i32_e64 s[36:37], v76, v78
	s_waitcnt lgkmcnt(0)
	v_add_u32_e32 v75, v77, v75
	s_movk_i32 s38, 0x100
	v_cndmask_b32_e64 v12, v76, v12, s[36:37]
	v_lshlrev_b32_e32 v12, 2, v12
	ds_bpermute_b32 v12, v12, v75
	v_cmp_gt_u32_e64 s[36:37], s38, v2
	s_waitcnt lgkmcnt(0)
	v_cndmask_b32_e64 v12, v12, v77, s[34:35]
	v_cmp_ne_u32_e64 s[34:35], 0, v2
	s_nop 1
	v_cndmask_b32_e64 v12, 0, v12, s[34:35]
	v_add_u32_e32 v10, v12, v10
	v_add_u32_e32 v11, v10, v11
	v_add_u32_e32 v8, v11, v8
	v_add_u32_e32 v9, v8, v9
	ds_write2_b32 v13, v12, v10 offset0:16 offset1:17
	ds_write2_b32 v13, v11, v8 offset0:18 offset1:19
	ds_write_b32 v13, v9 offset:80
	s_waitcnt lgkmcnt(0)
	s_barrier
	ds_read_b32 v84, v31 offset:64
	ds_read_b32 v75, v33 offset:64
	;; [unrolled: 1-line block ×16, first 2 shown]
	s_movk_i32 s34, 0xff
	v_cmp_lt_u32_e64 s[34:35], s34, v2
                                        ; implicit-def: $vgpr31
                                        ; implicit-def: $vgpr33
	s_and_saveexec_b64 s[40:41], s[36:37]
	s_cbranch_execz .LBB1456_75
; %bb.72:
	v_mul_u32_u24_e32 v8, 0x44, v2
	ds_read_b32 v31, v8 offset:64
	v_add_u32_e32 v9, 1, v2
	v_cmp_ne_u32_e64 s[38:39], s38, v9
	v_mov_b32_e32 v8, 0x4000
	s_and_saveexec_b64 s[44:45], s[38:39]
; %bb.73:
	v_mul_u32_u24_e32 v8, 0x44, v9
	ds_read_b32 v8, v8 offset:64
; %bb.74:
	s_or_b64 exec, exec, s[44:45]
	s_waitcnt lgkmcnt(0)
	v_sub_u32_e32 v33, v8, v31
.LBB1456_75:
	s_or_b64 exec, exec, s[40:41]
	v_mov_b32_e32 v9, 0
	s_waitcnt lgkmcnt(0)
	s_barrier
	s_and_saveexec_b64 s[38:39], s[36:37]
	s_cbranch_execz .LBB1456_85
; %bb.76:
	v_lshl_add_u32 v8, s2, 8, v2
	v_lshl_add_u64 v[10:11], v[8:9], 2, s[50:51]
	v_or_b32_e32 v8, 2.0, v33
	s_mov_b64 s[40:41], 0
	s_brev_b32 s48, -4
	s_mov_b32 s49, s2
	v_mov_b32_e32 v48, 0
	global_store_dword v[10:11], v8, off sc1
                                        ; implicit-def: $sgpr36_sgpr37
	s_branch .LBB1456_79
.LBB1456_77:                            ;   in Loop: Header=BB1456_79 Depth=1
	s_or_b64 exec, exec, s[46:47]
.LBB1456_78:                            ;   in Loop: Header=BB1456_79 Depth=1
	s_or_b64 exec, exec, s[44:45]
	v_and_b32_e32 v12, 0x3fffffff, v8
	v_add_u32_e32 v48, v12, v48
	v_cmp_gt_i32_e64 s[36:37], -2.0, v8
	s_and_b64 s[44:45], exec, s[36:37]
	s_or_b64 s[40:41], s[44:45], s[40:41]
	s_andn2_b64 exec, exec, s[40:41]
	s_cbranch_execz .LBB1456_84
.LBB1456_79:                            ; =>This Loop Header: Depth=1
                                        ;     Child Loop BB1456_82 Depth 2
	s_or_b64 s[36:37], s[36:37], exec
	s_cmp_eq_u32 s49, 0
	s_cbranch_scc1 .LBB1456_83
; %bb.80:                               ;   in Loop: Header=BB1456_79 Depth=1
	s_add_i32 s49, s49, -1
	v_lshl_or_b32 v8, s49, 8, v2
	v_lshl_add_u64 v[12:13], v[8:9], 2, s[50:51]
	global_load_dword v8, v[12:13], off sc1
	s_waitcnt vmcnt(0)
	v_cmp_gt_u32_e64 s[36:37], 2.0, v8
	s_and_saveexec_b64 s[44:45], s[36:37]
	s_cbranch_execz .LBB1456_78
; %bb.81:                               ;   in Loop: Header=BB1456_79 Depth=1
	s_mov_b64 s[46:47], 0
.LBB1456_82:                            ;   Parent Loop BB1456_79 Depth=1
                                        ; =>  This Inner Loop Header: Depth=2
	global_load_dword v8, v[12:13], off sc1
	s_waitcnt vmcnt(0)
	v_cmp_lt_u32_e64 s[36:37], s48, v8
	s_or_b64 s[46:47], s[36:37], s[46:47]
	s_andn2_b64 exec, exec, s[46:47]
	s_cbranch_execnz .LBB1456_82
	s_branch .LBB1456_77
.LBB1456_83:                            ;   in Loop: Header=BB1456_79 Depth=1
                                        ; implicit-def: $sgpr49
	s_and_b64 s[44:45], exec, s[36:37]
	s_or_b64 s[40:41], s[44:45], s[40:41]
	s_andn2_b64 exec, exec, s[40:41]
	s_cbranch_execnz .LBB1456_79
.LBB1456_84:
	s_or_b64 exec, exec, s[40:41]
	v_add_u32_e32 v8, v48, v33
	v_or_b32_e32 v8, 0x80000000, v8
	global_store_dword v[10:11], v8, off sc1
	global_load_dword v8, v38, s[60:61]
	v_sub_u32_e32 v9, v48, v31
	s_waitcnt vmcnt(0)
	v_add_u32_e32 v8, v9, v8
	ds_write_b32 v38, v8
.LBB1456_85:
	s_or_b64 exec, exec, s[38:39]
	v_add_u32_e32 v10, v84, v28
	v_add3_u32 v8, v29, v27, v75
	v_add3_u32 v9, v32, v30, v76
	v_add3_u32 v60, v35, v34, v77
	v_add3_u32 v63, v39, v37, v78
	v_add3_u32 v66, v42, v41, v79
	v_add3_u32 v69, v46, v44, v80
	v_add3_u32 v72, v49, v47, v81
	v_add3_u32 v74, v52, v50, v82
	v_add3_u32 v84, v55, v53, v83
	v_add3_u32 v54, v58, v56, v57
	v_add3_u32 v48, v61, v59, v51
	v_add3_u32 v85, v64, v62, v45
	v_add3_u32 v86, v67, v65, v40
	v_add3_u32 v13, v70, v68, v36
	v_add3_u32 v11, v73, v71, v43
	v_mov_b32_e32 v87, 0x400
	s_movk_i32 s40, 0x400
	v_lshl_add_u32 v11, v11, 2, v87
	v_add3_u32 v12, v73, v43, v71
	v_lshl_add_u32 v13, v13, 2, v87
	v_add3_u32 v28, v70, v36, v68
	;; [unrolled: 2-line block ×15, first 2 shown]
	v_lshl_add_u32 v29, v10, 2, v87
	s_mov_b32 s41, 0
	s_mov_b32 s44, 0
	s_movk_i32 s45, 0x1000
	v_mov_b32_e32 v9, 0
	s_movk_i32 s46, 0x800
	s_movk_i32 s47, 0xc00
	v_mov_b32_e32 v58, v2
	s_mov_b32 s48, 0
	s_branch .LBB1456_87
.LBB1456_86:                            ;   in Loop: Header=BB1456_87 Depth=1
	s_or_b64 exec, exec, s[38:39]
	s_addk_i32 s48, 0xc000
	s_add_i32 s41, s41, 16
	s_addk_i32 s44, 0xf000
	s_cmp_eq_u32 s48, 0xffff0000
	v_add_u32_e32 v58, 0x1000, v58
	s_barrier
	s_cbranch_scc1 .LBB1456_127
.LBB1456_87:                            ; =>This Inner Loop Header: Depth=1
	v_add_u32_e32 v8, s44, v10
	v_cmp_gt_u32_e64 s[36:37], s45, v8
	s_and_saveexec_b64 s[38:39], s[36:37]
; %bb.88:                               ;   in Loop: Header=BB1456_87 Depth=1
	v_add_u32_e32 v8, s48, v29
	ds_write_b32 v8, v5
; %bb.89:                               ;   in Loop: Header=BB1456_87 Depth=1
	s_or_b64 exec, exec, s[38:39]
	v_add_u32_e32 v8, s44, v27
	v_cmp_gt_u32_e64 s[36:37], s45, v8
	s_and_saveexec_b64 s[38:39], s[36:37]
; %bb.90:                               ;   in Loop: Header=BB1456_87 Depth=1
	v_add_u32_e32 v8, s48, v32
	ds_write_b32 v8, v3
; %bb.91:                               ;   in Loop: Header=BB1456_87 Depth=1
	s_or_b64 exec, exec, s[38:39]
	;; [unrolled: 8-line block ×6, first 2 shown]
	v_add_u32_e32 v8, s44, v44
	v_cmp_gt_u32_e64 s[36:37], s45, v8
	s_and_saveexec_b64 s[38:39], s[36:37]
; %bb.100:                              ;   in Loop: Header=BB1456_87 Depth=1
	v_add_u32_e32 v8, s48, v49
	ds_write_b32 v8, v18
; %bb.101:                              ;   in Loop: Header=BB1456_87 Depth=1
	s_or_b64 exec, exec, s[38:39]
	v_add_u32_e32 v8, s44, v47
	v_cmp_gt_u32_e64 s[36:37], s45, v8
	s_and_saveexec_b64 s[38:39], s[36:37]
; %bb.102:                              ;   in Loop: Header=BB1456_87 Depth=1
	v_add_u32_e32 v8, s48, v52
	ds_write_b32 v8, v17
; %bb.103:                              ;   in Loop: Header=BB1456_87 Depth=1
	s_or_b64 exec, exec, s[38:39]
	v_add_u32_e32 v8, s44, v50
	v_cmp_gt_u32_e64 s[36:37], s45, v8
	s_and_saveexec_b64 s[38:39], s[36:37]
; %bb.104:                              ;   in Loop: Header=BB1456_87 Depth=1
	v_add_u32_e32 v8, s48, v55
	ds_write_b32 v8, v20
; %bb.105:                              ;   in Loop: Header=BB1456_87 Depth=1
	s_or_b64 exec, exec, s[38:39]
	v_add_u32_e32 v8, s44, v53
	v_cmp_gt_u32_e64 s[36:37], s45, v8
	s_and_saveexec_b64 s[38:39], s[36:37]
; %bb.106:                              ;   in Loop: Header=BB1456_87 Depth=1
	v_add_u32_e32 v8, s48, v57
	ds_write_b32 v8, v19
; %bb.107:                              ;   in Loop: Header=BB1456_87 Depth=1
	s_or_b64 exec, exec, s[38:39]
	v_add_u32_e32 v8, s44, v56
	v_cmp_gt_u32_e64 s[36:37], s45, v8
	s_and_saveexec_b64 s[38:39], s[36:37]
; %bb.108:                              ;   in Loop: Header=BB1456_87 Depth=1
	v_add_u32_e32 v8, s48, v54
	ds_write_b32 v8, v22
; %bb.109:                              ;   in Loop: Header=BB1456_87 Depth=1
	s_or_b64 exec, exec, s[38:39]
	v_add_u32_e32 v8, s44, v51
	v_cmp_gt_u32_e64 s[36:37], s45, v8
	s_and_saveexec_b64 s[38:39], s[36:37]
; %bb.110:                              ;   in Loop: Header=BB1456_87 Depth=1
	v_add_u32_e32 v8, s48, v48
	ds_write_b32 v8, v21
; %bb.111:                              ;   in Loop: Header=BB1456_87 Depth=1
	s_or_b64 exec, exec, s[38:39]
	v_add_u32_e32 v8, s44, v45
	v_cmp_gt_u32_e64 s[36:37], s45, v8
	s_and_saveexec_b64 s[38:39], s[36:37]
; %bb.112:                              ;   in Loop: Header=BB1456_87 Depth=1
	v_add_u32_e32 v8, s48, v43
	ds_write_b32 v8, v24
; %bb.113:                              ;   in Loop: Header=BB1456_87 Depth=1
	s_or_b64 exec, exec, s[38:39]
	v_add_u32_e32 v8, s44, v40
	v_cmp_gt_u32_e64 s[36:37], s45, v8
	s_and_saveexec_b64 s[38:39], s[36:37]
; %bb.114:                              ;   in Loop: Header=BB1456_87 Depth=1
	v_add_u32_e32 v8, s48, v36
	ds_write_b32 v8, v23
; %bb.115:                              ;   in Loop: Header=BB1456_87 Depth=1
	s_or_b64 exec, exec, s[38:39]
	v_add_u32_e32 v8, s44, v28
	v_cmp_gt_u32_e64 s[36:37], s45, v8
	s_and_saveexec_b64 s[38:39], s[36:37]
; %bb.116:                              ;   in Loop: Header=BB1456_87 Depth=1
	v_add_u32_e32 v8, s48, v13
	ds_write_b32 v8, v26
; %bb.117:                              ;   in Loop: Header=BB1456_87 Depth=1
	s_or_b64 exec, exec, s[38:39]
	v_add_u32_e32 v8, s44, v12
	v_cmp_gt_u32_e64 s[36:37], s45, v8
	s_and_saveexec_b64 s[38:39], s[36:37]
; %bb.118:                              ;   in Loop: Header=BB1456_87 Depth=1
	v_add_u32_e32 v8, s48, v11
	ds_write_b32 v8, v25
; %bb.119:                              ;   in Loop: Header=BB1456_87 Depth=1
	s_or_b64 exec, exec, s[38:39]
	v_cmp_gt_u32_e64 s[36:37], s3, v58
	s_waitcnt lgkmcnt(0)
	s_barrier
	s_and_saveexec_b64 s[38:39], s[36:37]
	s_cbranch_execz .LBB1456_121
; %bb.120:                              ;   in Loop: Header=BB1456_87 Depth=1
	ds_read_b32 v8, v38 offset:1024
	s_waitcnt lgkmcnt(0)
	v_lshrrev_b32_e32 v59, s64, v8
	v_and_b32_e32 v59, s68, v59
	v_lshlrev_b32_e32 v60, 2, v59
	ds_read_b32 v60, v60
	v_xor_b32_e32 v62, 0x80000000, v8
	s_waitcnt lgkmcnt(0)
	v_add_u32_e32 v8, v58, v60
	v_lshl_add_u64 v[60:61], v[8:9], 2, s[54:55]
	global_store_dword v[60:61], v62, off
	scratch_store_dword off, v59, s41
.LBB1456_121:                           ;   in Loop: Header=BB1456_87 Depth=1
	s_or_b64 exec, exec, s[38:39]
	v_add_u32_e32 v8, 0x400, v58
	v_cmp_gt_u32_e64 s[36:37], s3, v8
	s_and_saveexec_b64 s[38:39], s[36:37]
	s_cbranch_execz .LBB1456_123
; %bb.122:                              ;   in Loop: Header=BB1456_87 Depth=1
	ds_read_b32 v8, v38 offset:5120
	s_add_i32 s36, s41, 4
	s_waitcnt lgkmcnt(0)
	v_lshrrev_b32_e32 v59, s64, v8
	v_and_b32_e32 v59, s68, v59
	v_lshlrev_b32_e32 v60, 2, v59
	ds_read_b32 v60, v60
	v_xor_b32_e32 v62, 0x80000000, v8
	s_waitcnt lgkmcnt(0)
	v_add3_u32 v8, v58, v60, s40
	v_lshl_add_u64 v[60:61], v[8:9], 2, s[54:55]
	global_store_dword v[60:61], v62, off
	scratch_store_dword off, v59, s36
.LBB1456_123:                           ;   in Loop: Header=BB1456_87 Depth=1
	s_or_b64 exec, exec, s[38:39]
	v_add_u32_e32 v8, 0x800, v58
	v_cmp_gt_u32_e64 s[36:37], s3, v8
	s_and_saveexec_b64 s[38:39], s[36:37]
	s_cbranch_execz .LBB1456_125
; %bb.124:                              ;   in Loop: Header=BB1456_87 Depth=1
	ds_read_b32 v8, v38 offset:9216
	s_add_i32 s36, s41, 8
	s_waitcnt lgkmcnt(0)
	v_lshrrev_b32_e32 v59, s64, v8
	v_and_b32_e32 v59, s68, v59
	v_lshlrev_b32_e32 v60, 2, v59
	ds_read_b32 v60, v60
	v_xor_b32_e32 v62, 0x80000000, v8
	s_waitcnt lgkmcnt(0)
	v_add3_u32 v8, v58, v60, s46
	v_lshl_add_u64 v[60:61], v[8:9], 2, s[54:55]
	global_store_dword v[60:61], v62, off
	scratch_store_dword off, v59, s36
.LBB1456_125:                           ;   in Loop: Header=BB1456_87 Depth=1
	s_or_b64 exec, exec, s[38:39]
	v_add_u32_e32 v8, 0xc00, v58
	v_cmp_gt_u32_e64 s[36:37], s3, v8
	s_and_saveexec_b64 s[38:39], s[36:37]
	s_cbranch_execz .LBB1456_86
; %bb.126:                              ;   in Loop: Header=BB1456_87 Depth=1
	ds_read_b32 v8, v38 offset:13312
	s_add_i32 s36, s41, 12
	s_waitcnt lgkmcnt(0)
	v_lshrrev_b32_e32 v59, s64, v8
	v_and_b32_e32 v59, s68, v59
	v_lshlrev_b32_e32 v60, 2, v59
	ds_read_b32 v60, v60
	v_xor_b32_e32 v62, 0x80000000, v8
	s_waitcnt lgkmcnt(0)
	v_add3_u32 v8, v58, v60, s47
	v_lshl_add_u64 v[60:61], v[8:9], 2, s[54:55]
	global_store_dword v[60:61], v62, off
	scratch_store_dword off, v59, s36
	s_branch .LBB1456_86
.LBB1456_127:
	s_add_u32 s36, s56, s66
	s_addc_u32 s37, s57, s67
	v_mov_b32_e32 v5, 0
	v_lshl_add_u64 v[8:9], s[36:37], 0, v[4:5]
	v_mov_b32_e32 v7, v5
	v_lshl_add_u64 v[4:5], v[8:9], 0, v[6:7]
                                        ; implicit-def: $vgpr3
	s_and_saveexec_b64 s[36:37], vcc
	s_cbranch_execz .LBB1456_143
; %bb.128:
	global_load_dword v3, v[4:5], off
	s_or_b64 exec, exec, s[36:37]
                                        ; implicit-def: $vgpr6
	s_and_saveexec_b64 s[36:37], s[42:43]
	s_cbranch_execnz .LBB1456_144
.LBB1456_129:
	s_or_b64 exec, exec, s[36:37]
                                        ; implicit-def: $vgpr7
	s_and_saveexec_b64 s[36:37], s[4:5]
	s_cbranch_execz .LBB1456_145
.LBB1456_130:
	global_load_dword v7, v[4:5], off offset:512
	s_or_b64 exec, exec, s[36:37]
                                        ; implicit-def: $vgpr8
	s_and_saveexec_b64 s[4:5], s[6:7]
	s_cbranch_execnz .LBB1456_146
.LBB1456_131:
	s_or_b64 exec, exec, s[4:5]
                                        ; implicit-def: $vgpr9
	s_and_saveexec_b64 s[4:5], s[8:9]
	s_cbranch_execz .LBB1456_147
.LBB1456_132:
	global_load_dword v9, v[4:5], off offset:1024
	s_or_b64 exec, exec, s[4:5]
                                        ; implicit-def: $vgpr14
	s_and_saveexec_b64 s[4:5], s[10:11]
	s_cbranch_execnz .LBB1456_148
.LBB1456_133:
	s_or_b64 exec, exec, s[4:5]
                                        ; implicit-def: $vgpr15
	s_and_saveexec_b64 s[4:5], s[12:13]
	s_cbranch_execz .LBB1456_149
.LBB1456_134:
	global_load_dword v15, v[4:5], off offset:1536
	s_or_b64 exec, exec, s[4:5]
                                        ; implicit-def: $vgpr16
	s_and_saveexec_b64 s[4:5], s[14:15]
	s_cbranch_execnz .LBB1456_150
.LBB1456_135:
	s_or_b64 exec, exec, s[4:5]
                                        ; implicit-def: $vgpr17
	s_and_saveexec_b64 s[4:5], s[16:17]
	s_cbranch_execz .LBB1456_151
.LBB1456_136:
	global_load_dword v17, v[4:5], off offset:2048
	s_or_b64 exec, exec, s[4:5]
                                        ; implicit-def: $vgpr18
	s_and_saveexec_b64 s[4:5], s[18:19]
	s_cbranch_execnz .LBB1456_152
.LBB1456_137:
	s_or_b64 exec, exec, s[4:5]
                                        ; implicit-def: $vgpr19
	s_and_saveexec_b64 s[4:5], s[20:21]
	s_cbranch_execz .LBB1456_153
.LBB1456_138:
	global_load_dword v19, v[4:5], off offset:2560
	s_or_b64 exec, exec, s[4:5]
                                        ; implicit-def: $vgpr20
	s_and_saveexec_b64 s[4:5], s[22:23]
	s_cbranch_execnz .LBB1456_154
.LBB1456_139:
	s_or_b64 exec, exec, s[4:5]
                                        ; implicit-def: $vgpr21
	s_and_saveexec_b64 s[4:5], s[24:25]
	s_cbranch_execz .LBB1456_155
.LBB1456_140:
	global_load_dword v21, v[4:5], off offset:3072
	s_or_b64 exec, exec, s[4:5]
                                        ; implicit-def: $vgpr22
	s_and_saveexec_b64 s[4:5], s[26:27]
	s_cbranch_execnz .LBB1456_156
.LBB1456_141:
	s_or_b64 exec, exec, s[4:5]
                                        ; implicit-def: $vgpr23
	s_and_saveexec_b64 s[4:5], s[28:29]
	s_cbranch_execz .LBB1456_157
.LBB1456_142:
	global_load_dword v23, v[4:5], off offset:3584
	s_or_b64 exec, exec, s[4:5]
                                        ; implicit-def: $vgpr24
	s_and_saveexec_b64 s[4:5], s[30:31]
	s_cbranch_execnz .LBB1456_158
	s_branch .LBB1456_159
.LBB1456_143:
	s_or_b64 exec, exec, s[36:37]
                                        ; implicit-def: $vgpr6
	s_and_saveexec_b64 s[36:37], s[42:43]
	s_cbranch_execz .LBB1456_129
.LBB1456_144:
	global_load_dword v6, v[4:5], off offset:256
	s_or_b64 exec, exec, s[36:37]
                                        ; implicit-def: $vgpr7
	s_and_saveexec_b64 s[36:37], s[4:5]
	s_cbranch_execnz .LBB1456_130
.LBB1456_145:
	s_or_b64 exec, exec, s[36:37]
                                        ; implicit-def: $vgpr8
	s_and_saveexec_b64 s[4:5], s[6:7]
	s_cbranch_execz .LBB1456_131
.LBB1456_146:
	global_load_dword v8, v[4:5], off offset:768
	s_or_b64 exec, exec, s[4:5]
                                        ; implicit-def: $vgpr9
	s_and_saveexec_b64 s[4:5], s[8:9]
	s_cbranch_execnz .LBB1456_132
.LBB1456_147:
	s_or_b64 exec, exec, s[4:5]
                                        ; implicit-def: $vgpr14
	s_and_saveexec_b64 s[4:5], s[10:11]
	s_cbranch_execz .LBB1456_133
.LBB1456_148:
	global_load_dword v14, v[4:5], off offset:1280
	s_or_b64 exec, exec, s[4:5]
                                        ; implicit-def: $vgpr15
	s_and_saveexec_b64 s[4:5], s[12:13]
	s_cbranch_execnz .LBB1456_134
.LBB1456_149:
	s_or_b64 exec, exec, s[4:5]
                                        ; implicit-def: $vgpr16
	s_and_saveexec_b64 s[4:5], s[14:15]
	s_cbranch_execz .LBB1456_135
.LBB1456_150:
	global_load_dword v16, v[4:5], off offset:1792
	s_or_b64 exec, exec, s[4:5]
                                        ; implicit-def: $vgpr17
	s_and_saveexec_b64 s[4:5], s[16:17]
	s_cbranch_execnz .LBB1456_136
.LBB1456_151:
	s_or_b64 exec, exec, s[4:5]
                                        ; implicit-def: $vgpr18
	s_and_saveexec_b64 s[4:5], s[18:19]
	s_cbranch_execz .LBB1456_137
.LBB1456_152:
	global_load_dword v18, v[4:5], off offset:2304
	s_or_b64 exec, exec, s[4:5]
                                        ; implicit-def: $vgpr19
	s_and_saveexec_b64 s[4:5], s[20:21]
	s_cbranch_execnz .LBB1456_138
.LBB1456_153:
	s_or_b64 exec, exec, s[4:5]
                                        ; implicit-def: $vgpr20
	s_and_saveexec_b64 s[4:5], s[22:23]
	s_cbranch_execz .LBB1456_139
.LBB1456_154:
	global_load_dword v20, v[4:5], off offset:2816
	s_or_b64 exec, exec, s[4:5]
                                        ; implicit-def: $vgpr21
	s_and_saveexec_b64 s[4:5], s[24:25]
	s_cbranch_execnz .LBB1456_140
.LBB1456_155:
	s_or_b64 exec, exec, s[4:5]
                                        ; implicit-def: $vgpr22
	s_and_saveexec_b64 s[4:5], s[26:27]
	s_cbranch_execz .LBB1456_141
.LBB1456_156:
	global_load_dword v22, v[4:5], off offset:3328
	s_or_b64 exec, exec, s[4:5]
                                        ; implicit-def: $vgpr23
	s_and_saveexec_b64 s[4:5], s[28:29]
	s_cbranch_execnz .LBB1456_142
.LBB1456_157:
	s_or_b64 exec, exec, s[4:5]
                                        ; implicit-def: $vgpr24
	s_and_saveexec_b64 s[4:5], s[30:31]
	s_cbranch_execz .LBB1456_159
.LBB1456_158:
	global_load_dword v24, v[4:5], off offset:3840
.LBB1456_159:
	s_or_b64 exec, exec, s[4:5]
	s_mov_b32 s6, 0
	s_mov_b32 s7, 0
	s_movk_i32 s8, 0x1000
	v_mov_b32_e32 v5, 0
	s_movk_i32 s9, 0x400
	s_movk_i32 s10, 0x800
	;; [unrolled: 1-line block ×3, first 2 shown]
	s_mov_b32 s12, 0
	s_branch .LBB1456_161
.LBB1456_160:                           ;   in Loop: Header=BB1456_161 Depth=1
	s_or_b64 exec, exec, s[4:5]
	s_addk_i32 s12, 0xc000
	s_addk_i32 s7, 0xf000
	s_add_i32 s6, s6, 16
	s_cmp_eq_u32 s12, 0xffff0000
	v_add_u32_e32 v2, 0x1000, v2
	s_barrier
	s_cbranch_scc1 .LBB1456_201
.LBB1456_161:                           ; =>This Inner Loop Header: Depth=1
	v_add_u32_e32 v4, s7, v10
	v_cmp_gt_u32_e32 vcc, s8, v4
	s_and_saveexec_b64 s[4:5], vcc
	s_cbranch_execz .LBB1456_163
; %bb.162:                              ;   in Loop: Header=BB1456_161 Depth=1
	v_add_u32_e32 v4, s12, v29
	s_waitcnt vmcnt(0)
	ds_write_b32 v4, v3
.LBB1456_163:                           ;   in Loop: Header=BB1456_161 Depth=1
	s_or_b64 exec, exec, s[4:5]
	v_add_u32_e32 v4, s7, v27
	v_cmp_gt_u32_e32 vcc, s8, v4
	s_and_saveexec_b64 s[4:5], vcc
	s_cbranch_execz .LBB1456_165
; %bb.164:                              ;   in Loop: Header=BB1456_161 Depth=1
	v_add_u32_e32 v4, s12, v32
	s_waitcnt vmcnt(0)
	ds_write_b32 v4, v6
.LBB1456_165:                           ;   in Loop: Header=BB1456_161 Depth=1
	s_or_b64 exec, exec, s[4:5]
	;; [unrolled: 10-line block ×16, first 2 shown]
	v_cmp_gt_u32_e32 vcc, s3, v2
	s_waitcnt lgkmcnt(0)
	s_barrier
	s_and_saveexec_b64 s[4:5], vcc
	s_cbranch_execz .LBB1456_195
; %bb.194:                              ;   in Loop: Header=BB1456_161 Depth=1
	scratch_load_dword v4, off, s6
	s_waitcnt vmcnt(0)
	v_lshlrev_b32_e32 v4, 2, v4
	ds_read_b32 v4, v4
	ds_read_b32 v25, v38 offset:1024
	s_waitcnt lgkmcnt(1)
	v_add_u32_e32 v4, v2, v4
	v_lshl_add_u64 v[58:59], v[4:5], 2, s[58:59]
	s_waitcnt lgkmcnt(0)
	global_store_dword v[58:59], v25, off
.LBB1456_195:                           ;   in Loop: Header=BB1456_161 Depth=1
	s_or_b64 exec, exec, s[4:5]
	v_add_u32_e32 v4, 0x400, v2
	v_cmp_gt_u32_e32 vcc, s3, v4
	s_and_saveexec_b64 s[4:5], vcc
	s_cbranch_execz .LBB1456_197
; %bb.196:                              ;   in Loop: Header=BB1456_161 Depth=1
	s_add_i32 s13, s6, 4
	scratch_load_dword v4, off, s13
	s_waitcnt vmcnt(0)
	v_lshlrev_b32_e32 v4, 2, v4
	ds_read_b32 v4, v4
	ds_read_b32 v25, v38 offset:5120
	s_waitcnt lgkmcnt(1)
	v_add3_u32 v4, v2, v4, s9
	v_lshl_add_u64 v[58:59], v[4:5], 2, s[58:59]
	s_waitcnt lgkmcnt(0)
	global_store_dword v[58:59], v25, off
.LBB1456_197:                           ;   in Loop: Header=BB1456_161 Depth=1
	s_or_b64 exec, exec, s[4:5]
	v_add_u32_e32 v4, 0x800, v2
	v_cmp_gt_u32_e32 vcc, s3, v4
	s_and_saveexec_b64 s[4:5], vcc
	s_cbranch_execz .LBB1456_199
; %bb.198:                              ;   in Loop: Header=BB1456_161 Depth=1
	s_add_i32 s13, s6, 8
	scratch_load_dword v4, off, s13
	s_waitcnt vmcnt(0)
	v_lshlrev_b32_e32 v4, 2, v4
	ds_read_b32 v4, v4
	ds_read_b32 v25, v38 offset:9216
	s_waitcnt lgkmcnt(1)
	v_add3_u32 v4, v2, v4, s10
	v_lshl_add_u64 v[58:59], v[4:5], 2, s[58:59]
	s_waitcnt lgkmcnt(0)
	global_store_dword v[58:59], v25, off
.LBB1456_199:                           ;   in Loop: Header=BB1456_161 Depth=1
	s_or_b64 exec, exec, s[4:5]
	v_add_u32_e32 v4, 0xc00, v2
	v_cmp_gt_u32_e32 vcc, s3, v4
	s_and_saveexec_b64 s[4:5], vcc
	s_cbranch_execz .LBB1456_160
; %bb.200:                              ;   in Loop: Header=BB1456_161 Depth=1
	s_add_i32 s13, s6, 12
	scratch_load_dword v4, off, s13
	s_waitcnt vmcnt(0)
	v_lshlrev_b32_e32 v4, 2, v4
	ds_read_b32 v4, v4
	ds_read_b32 v25, v38 offset:13312
	s_waitcnt lgkmcnt(1)
	v_add3_u32 v4, v2, v4, s11
	v_lshl_add_u64 v[58:59], v[4:5], 2, s[58:59]
	s_waitcnt lgkmcnt(0)
	global_store_dword v[58:59], v25, off
	s_branch .LBB1456_160
.LBB1456_201:
	s_add_i32 s33, s33, -1
	s_cmp_eq_u32 s2, s33
	s_cselect_b64 s[4:5], -1, 0
	s_xor_b64 s[6:7], s[34:35], -1
	s_and_b64 s[6:7], s[6:7], s[4:5]
	s_and_saveexec_b64 s[4:5], s[6:7]
	s_cbranch_execz .LBB1456_203
; %bb.202:
	ds_read_b32 v2, v38
	s_waitcnt lgkmcnt(0)
	v_add3_u32 v2, v31, v33, v2
	global_store_dword v38, v2, s[62:63]
.LBB1456_203:
	s_or_b64 exec, exec, s[4:5]
	s_mov_b64 s[4:5], 0
.LBB1456_204:
	s_and_b64 vcc, exec, s[4:5]
	s_cbranch_vccz .LBB1456_327
; %bb.205:
	v_and_b32_e32 v2, 0x3ff, v0
	s_lshl_b32 s4, s2, 14
	s_mov_b32 s5, 0
	s_lshl_b64 s[10:11], s[4:5], 2
	v_mbcnt_hi_u32_b32 v10, -1, v1
	v_lshlrev_b32_e32 v1, 4, v2
	s_add_u32 s4, s52, s10
	s_waitcnt vmcnt(0)
	v_and_b32_e32 v3, 63, v10
	v_and_b32_e32 v6, 0x3c00, v1
	v_mov_b32_e32 v1, 0
	s_addc_u32 s5, s53, s11
	v_lshlrev_b32_e32 v4, 2, v3
	v_mov_b32_e32 v5, v1
	v_lshl_add_u64 v[8:9], s[4:5], 0, v[4:5]
	s_load_dword s3, s[0:1], 0x58
	s_load_dword s4, s[0:1], 0x64
	v_lshlrev_b32_e32 v6, 2, v6
	v_mov_b32_e32 v7, v1
	s_add_u32 s0, s0, 0x58
	v_lshl_add_u64 v[8:9], v[8:9], 0, v[6:7]
	s_addc_u32 s1, s1, 0
	s_waitcnt lgkmcnt(0)
	s_lshr_b32 s4, s4, 16
	global_load_dword v3, v[8:9], off
	s_cmp_lt_u32 s2, s3
	s_cselect_b32 s5, 12, 18
	s_add_u32 s0, s0, s5
	s_addc_u32 s1, s1, 0
	global_load_ushort v13, v1, s[0:1]
	v_mul_u32_u24_e32 v11, 20, v2
	ds_write2_b32 v11, v1, v1 offset0:16 offset1:17
	ds_write2_b32 v11, v1, v1 offset0:18 offset1:19
	ds_write_b32 v11, v1 offset:80
	global_load_dword v5, v[8:9], off offset:256
	global_load_dword v7, v[8:9], off offset:512
	;; [unrolled: 1-line block ×15, first 2 shown]
	v_bfe_u32 v14, v0, 10, 10
	v_bfe_u32 v0, v0, 20, 10
	v_mad_u32_u24 v8, v0, s4, v14
	s_lshl_b32 s0, -1, s65
	v_mov_b32_e32 v16, v1
	s_not_b32 s14, s0
	v_mov_b32_e32 v20, v1
	v_mov_b32_e32 v26, v1
	s_movk_i32 s8, 0x44
	s_waitcnt lgkmcnt(0)
	s_barrier
	s_waitcnt vmcnt(16)
	; wave barrier
	v_xor_b32_e32 v3, 0x80000000, v3
	v_lshrrev_b32_e32 v0, s64, v3
	v_bitop3_b32 v14, v0, s0, v0 bitop3:0x30
	v_and_b32_e32 v0, 1, v14
	v_lshlrev_b32_e32 v17, 30, v14
	v_lshlrev_b32_e32 v21, 29, v14
	s_waitcnt vmcnt(15)
	v_mad_u64_u32 v[8:9], s[0:1], v8, v13, v[2:3]
	v_lshl_add_u64 v[32:33], v[0:1], 0, -1
	v_cmp_ne_u32_e32 vcc, 0, v0
	v_not_b32_e32 v0, v17
	v_lshlrev_b32_e32 v27, 28, v14
	v_cmp_gt_i64_e64 s[0:1], 0, v[16:17]
	v_not_b32_e32 v9, v21
	v_lshrrev_b32_e32 v28, 6, v8
	v_xor_b32_e32 v8, vcc_hi, v33
	v_xor_b32_e32 v16, vcc_lo, v32
	v_ashrrev_i32_e32 v0, 31, v0
	v_cmp_gt_i64_e64 s[4:5], 0, v[20:21]
	v_not_b32_e32 v13, v27
	v_ashrrev_i32_e32 v9, 31, v9
	v_and_b32_e32 v8, exec_hi, v8
	v_and_b32_e32 v16, exec_lo, v16
	v_xor_b32_e32 v17, s1, v0
	v_xor_b32_e32 v0, s0, v0
	v_cmp_gt_i64_e64 s[6:7], 0, v[26:27]
	v_ashrrev_i32_e32 v13, 31, v13
	v_xor_b32_e32 v20, s5, v9
	v_xor_b32_e32 v9, s4, v9
	v_and_b32_e32 v8, v8, v17
	v_and_b32_e32 v0, v16, v0
	v_xor_b32_e32 v21, s7, v13
	v_and_b32_e32 v8, v8, v20
	v_and_b32_e32 v0, v0, v9
	;; [unrolled: 3-line block ×3, first 2 shown]
	v_lshlrev_b32_e32 v9, 27, v14
	v_mov_b32_e32 v8, v1
	v_cmp_gt_i64_e32 vcc, 0, v[8:9]
	v_not_b32_e32 v8, v9
	v_ashrrev_i32_e32 v8, 31, v8
	v_xor_b32_e32 v9, vcc_hi, v8
	v_xor_b32_e32 v8, vcc_lo, v8
	v_and_b32_e32 v13, v13, v9
	v_and_b32_e32 v0, v0, v8
	v_lshlrev_b32_e32 v9, 26, v14
	v_mov_b32_e32 v8, v1
	v_cmp_gt_i64_e32 vcc, 0, v[8:9]
	v_not_b32_e32 v8, v9
	v_ashrrev_i32_e32 v8, 31, v8
	v_xor_b32_e32 v9, vcc_hi, v8
	v_xor_b32_e32 v8, vcc_lo, v8
	v_and_b32_e32 v13, v13, v9
	v_and_b32_e32 v0, v0, v8
	;; [unrolled: 9-line block ×4, first 2 shown]
	v_mbcnt_lo_u32_b32 v0, v8, 0
	v_mul_lo_u32 v18, v14, s8
	v_mbcnt_hi_u32_b32 v14, v9, v0
	v_cmp_eq_u32_e32 vcc, 0, v14
	v_cmp_ne_u64_e64 s[0:1], 0, v[8:9]
	v_lshl_add_u32 v18, v28, 2, v18
	s_and_b64 s[4:5], s[0:1], vcc
	s_and_saveexec_b64 s[0:1], s[4:5]
; %bb.206:
	v_bcnt_u32_b32 v0, v8, 0
	v_bcnt_u32_b32 v0, v9, v0
	ds_write_b32 v18, v0 offset:64
; %bb.207:
	s_or_b64 exec, exec, s[0:1]
	s_waitcnt vmcnt(14)
	v_xor_b32_e32 v5, 0x80000000, v5
	v_lshrrev_b32_e32 v0, s64, v5
	v_and_b32_e32 v16, s14, v0
	v_mul_lo_u32 v0, v16, s8
	v_lshl_add_u32 v21, v28, 2, v0
	v_and_b32_e32 v0, 1, v16
	v_lshl_add_u64 v[8:9], v[0:1], 0, -1
	v_cmp_ne_u32_e32 vcc, 0, v0
	; wave barrier
	s_nop 1
	v_xor_b32_e32 v8, vcc_lo, v8
	v_xor_b32_e32 v0, vcc_hi, v9
	v_and_b32_e32 v17, exec_lo, v8
	v_lshlrev_b32_e32 v9, 30, v16
	v_mov_b32_e32 v8, v1
	v_cmp_gt_i64_e32 vcc, 0, v[8:9]
	v_not_b32_e32 v8, v9
	v_ashrrev_i32_e32 v8, 31, v8
	v_and_b32_e32 v0, exec_hi, v0
	v_xor_b32_e32 v9, vcc_hi, v8
	v_xor_b32_e32 v8, vcc_lo, v8
	v_and_b32_e32 v0, v0, v9
	v_and_b32_e32 v17, v17, v8
	v_lshlrev_b32_e32 v9, 29, v16
	v_mov_b32_e32 v8, v1
	v_cmp_gt_i64_e32 vcc, 0, v[8:9]
	v_not_b32_e32 v8, v9
	v_ashrrev_i32_e32 v8, 31, v8
	v_xor_b32_e32 v9, vcc_hi, v8
	v_xor_b32_e32 v8, vcc_lo, v8
	v_and_b32_e32 v0, v0, v9
	v_and_b32_e32 v17, v17, v8
	v_lshlrev_b32_e32 v9, 28, v16
	v_mov_b32_e32 v8, v1
	v_cmp_gt_i64_e32 vcc, 0, v[8:9]
	v_not_b32_e32 v8, v9
	v_ashrrev_i32_e32 v8, 31, v8
	;; [unrolled: 9-line block ×5, first 2 shown]
	v_xor_b32_e32 v9, vcc_hi, v8
	v_xor_b32_e32 v8, vcc_lo, v8
	v_and_b32_e32 v0, v0, v9
	v_lshlrev_b32_e32 v9, 24, v16
	v_and_b32_e32 v17, v17, v8
	v_mov_b32_e32 v8, v1
	v_not_b32_e32 v1, v9
	v_cmp_gt_i64_e32 vcc, 0, v[8:9]
	v_ashrrev_i32_e32 v1, 31, v1
	ds_read_b32 v13, v21 offset:64
	v_xor_b32_e32 v8, vcc_hi, v1
	v_xor_b32_e32 v9, vcc_lo, v1
	v_and_b32_e32 v1, v0, v8
	v_and_b32_e32 v0, v17, v9
	v_mbcnt_lo_u32_b32 v8, v0, 0
	v_mbcnt_hi_u32_b32 v16, v1, v8
	v_cmp_eq_u32_e32 vcc, 0, v16
	v_cmp_ne_u64_e64 s[0:1], 0, v[0:1]
	s_and_b64 s[4:5], s[0:1], vcc
	; wave barrier
	s_and_saveexec_b64 s[0:1], s[4:5]
	s_cbranch_execz .LBB1456_209
; %bb.208:
	v_bcnt_u32_b32 v0, v0, 0
	v_bcnt_u32_b32 v0, v1, v0
	s_waitcnt lgkmcnt(0)
	v_add_u32_e32 v0, v13, v0
	ds_write_b32 v21, v0 offset:64
.LBB1456_209:
	s_or_b64 exec, exec, s[0:1]
	s_waitcnt vmcnt(13)
	v_xor_b32_e32 v7, 0x80000000, v7
	v_lshrrev_b32_e32 v0, s64, v7
	v_and_b32_e32 v20, s14, v0
	s_movk_i32 s4, 0x44
	v_mul_lo_u32 v0, v20, s4
	v_lshl_add_u32 v26, v28, 2, v0
	v_and_b32_e32 v0, 1, v20
	v_mov_b32_e32 v1, 0
	v_lshl_add_u64 v[8:9], v[0:1], 0, -1
	v_cmp_ne_u32_e32 vcc, 0, v0
	; wave barrier
	s_nop 1
	v_xor_b32_e32 v8, vcc_lo, v8
	v_xor_b32_e32 v0, vcc_hi, v9
	v_and_b32_e32 v22, exec_lo, v8
	v_lshlrev_b32_e32 v9, 30, v20
	v_mov_b32_e32 v8, v1
	v_cmp_gt_i64_e32 vcc, 0, v[8:9]
	v_not_b32_e32 v8, v9
	v_ashrrev_i32_e32 v8, 31, v8
	v_and_b32_e32 v0, exec_hi, v0
	v_xor_b32_e32 v9, vcc_hi, v8
	v_xor_b32_e32 v8, vcc_lo, v8
	v_and_b32_e32 v0, v0, v9
	v_and_b32_e32 v22, v22, v8
	v_lshlrev_b32_e32 v9, 29, v20
	v_mov_b32_e32 v8, v1
	v_cmp_gt_i64_e32 vcc, 0, v[8:9]
	v_not_b32_e32 v8, v9
	v_ashrrev_i32_e32 v8, 31, v8
	v_xor_b32_e32 v9, vcc_hi, v8
	v_xor_b32_e32 v8, vcc_lo, v8
	v_and_b32_e32 v0, v0, v9
	v_and_b32_e32 v22, v22, v8
	v_lshlrev_b32_e32 v9, 28, v20
	v_mov_b32_e32 v8, v1
	v_cmp_gt_i64_e32 vcc, 0, v[8:9]
	v_not_b32_e32 v8, v9
	v_ashrrev_i32_e32 v8, 31, v8
	v_xor_b32_e32 v9, vcc_hi, v8
	v_xor_b32_e32 v8, vcc_lo, v8
	v_and_b32_e32 v0, v0, v9
	v_and_b32_e32 v22, v22, v8
	v_lshlrev_b32_e32 v9, 27, v20
	v_mov_b32_e32 v8, v1
	v_cmp_gt_i64_e32 vcc, 0, v[8:9]
	v_not_b32_e32 v8, v9
	v_ashrrev_i32_e32 v8, 31, v8
	v_xor_b32_e32 v9, vcc_hi, v8
	v_xor_b32_e32 v8, vcc_lo, v8
	v_and_b32_e32 v0, v0, v9
	v_and_b32_e32 v22, v22, v8
	v_lshlrev_b32_e32 v9, 26, v20
	v_mov_b32_e32 v8, v1
	v_cmp_gt_i64_e32 vcc, 0, v[8:9]
	v_not_b32_e32 v8, v9
	v_ashrrev_i32_e32 v8, 31, v8
	v_xor_b32_e32 v9, vcc_hi, v8
	v_xor_b32_e32 v8, vcc_lo, v8
	v_and_b32_e32 v0, v0, v9
	v_and_b32_e32 v22, v22, v8
	v_lshlrev_b32_e32 v9, 25, v20
	v_mov_b32_e32 v8, v1
	v_cmp_gt_i64_e32 vcc, 0, v[8:9]
	v_not_b32_e32 v8, v9
	v_ashrrev_i32_e32 v8, 31, v8
	v_xor_b32_e32 v9, vcc_hi, v8
	v_xor_b32_e32 v8, vcc_lo, v8
	v_and_b32_e32 v0, v0, v9
	v_and_b32_e32 v22, v22, v8
	v_lshlrev_b32_e32 v9, 24, v20
	v_mov_b32_e32 v8, v1
	v_cmp_gt_i64_e32 vcc, 0, v[8:9]
	v_not_b32_e32 v8, v9
	v_ashrrev_i32_e32 v8, 31, v8
	v_xor_b32_e32 v9, vcc_hi, v8
	v_xor_b32_e32 v8, vcc_lo, v8
	ds_read_b32 v17, v26 offset:64
	v_and_b32_e32 v8, v22, v8
	v_and_b32_e32 v9, v0, v9
	v_mbcnt_lo_u32_b32 v0, v8, 0
	v_mbcnt_hi_u32_b32 v20, v9, v0
	v_cmp_eq_u32_e32 vcc, 0, v20
	v_cmp_ne_u64_e64 s[0:1], 0, v[8:9]
	s_and_b64 s[6:7], s[0:1], vcc
	; wave barrier
	s_and_saveexec_b64 s[0:1], s[6:7]
	s_cbranch_execz .LBB1456_211
; %bb.210:
	v_bcnt_u32_b32 v0, v8, 0
	v_bcnt_u32_b32 v0, v9, v0
	s_waitcnt lgkmcnt(0)
	v_add_u32_e32 v0, v17, v0
	ds_write_b32 v26, v0 offset:64
.LBB1456_211:
	s_or_b64 exec, exec, s[0:1]
	s_waitcnt vmcnt(12)
	v_xor_b32_e32 v12, 0x80000000, v12
	v_lshrrev_b32_e32 v0, s64, v12
	v_and_b32_e32 v24, s14, v0
	v_mul_lo_u32 v0, v24, s4
	v_lshl_add_u32 v32, v28, 2, v0
	v_and_b32_e32 v0, 1, v24
	v_lshl_add_u64 v[8:9], v[0:1], 0, -1
	v_cmp_ne_u32_e32 vcc, 0, v0
	; wave barrier
	s_nop 1
	v_xor_b32_e32 v8, vcc_lo, v8
	v_xor_b32_e32 v0, vcc_hi, v9
	v_and_b32_e32 v27, exec_lo, v8
	v_lshlrev_b32_e32 v9, 30, v24
	v_mov_b32_e32 v8, v1
	v_cmp_gt_i64_e32 vcc, 0, v[8:9]
	v_not_b32_e32 v8, v9
	v_ashrrev_i32_e32 v8, 31, v8
	v_and_b32_e32 v0, exec_hi, v0
	v_xor_b32_e32 v9, vcc_hi, v8
	v_xor_b32_e32 v8, vcc_lo, v8
	v_and_b32_e32 v0, v0, v9
	v_and_b32_e32 v27, v27, v8
	v_lshlrev_b32_e32 v9, 29, v24
	v_mov_b32_e32 v8, v1
	v_cmp_gt_i64_e32 vcc, 0, v[8:9]
	v_not_b32_e32 v8, v9
	v_ashrrev_i32_e32 v8, 31, v8
	v_xor_b32_e32 v9, vcc_hi, v8
	v_xor_b32_e32 v8, vcc_lo, v8
	v_and_b32_e32 v0, v0, v9
	v_and_b32_e32 v27, v27, v8
	v_lshlrev_b32_e32 v9, 28, v24
	v_mov_b32_e32 v8, v1
	v_cmp_gt_i64_e32 vcc, 0, v[8:9]
	v_not_b32_e32 v8, v9
	v_ashrrev_i32_e32 v8, 31, v8
	;; [unrolled: 9-line block ×5, first 2 shown]
	v_xor_b32_e32 v9, vcc_hi, v8
	v_xor_b32_e32 v8, vcc_lo, v8
	v_and_b32_e32 v0, v0, v9
	v_lshlrev_b32_e32 v9, 24, v24
	v_and_b32_e32 v27, v27, v8
	v_mov_b32_e32 v8, v1
	v_not_b32_e32 v1, v9
	v_cmp_gt_i64_e32 vcc, 0, v[8:9]
	v_ashrrev_i32_e32 v1, 31, v1
	ds_read_b32 v22, v32 offset:64
	v_xor_b32_e32 v8, vcc_hi, v1
	v_xor_b32_e32 v9, vcc_lo, v1
	v_and_b32_e32 v1, v0, v8
	v_and_b32_e32 v0, v27, v9
	v_mbcnt_lo_u32_b32 v8, v0, 0
	v_mbcnt_hi_u32_b32 v24, v1, v8
	v_cmp_eq_u32_e32 vcc, 0, v24
	v_cmp_ne_u64_e64 s[0:1], 0, v[0:1]
	s_and_b64 s[4:5], s[0:1], vcc
	; wave barrier
	s_and_saveexec_b64 s[0:1], s[4:5]
	s_cbranch_execz .LBB1456_213
; %bb.212:
	v_bcnt_u32_b32 v0, v0, 0
	v_bcnt_u32_b32 v0, v1, v0
	s_waitcnt lgkmcnt(0)
	v_add_u32_e32 v0, v22, v0
	ds_write_b32 v32, v0 offset:64
.LBB1456_213:
	s_or_b64 exec, exec, s[0:1]
	s_waitcnt vmcnt(11)
	v_xor_b32_e32 v15, 0x80000000, v15
	v_lshrrev_b32_e32 v0, s64, v15
	v_and_b32_e32 v30, s14, v0
	s_movk_i32 s4, 0x44
	v_mul_lo_u32 v0, v30, s4
	v_lshl_add_u32 v37, v28, 2, v0
	v_and_b32_e32 v0, 1, v30
	v_mov_b32_e32 v1, 0
	v_lshl_add_u64 v[8:9], v[0:1], 0, -1
	v_cmp_ne_u32_e32 vcc, 0, v0
	; wave barrier
	s_nop 1
	v_xor_b32_e32 v8, vcc_lo, v8
	v_xor_b32_e32 v0, vcc_hi, v9
	v_and_b32_e32 v33, exec_lo, v8
	v_lshlrev_b32_e32 v9, 30, v30
	v_mov_b32_e32 v8, v1
	v_cmp_gt_i64_e32 vcc, 0, v[8:9]
	v_not_b32_e32 v8, v9
	v_ashrrev_i32_e32 v8, 31, v8
	v_and_b32_e32 v0, exec_hi, v0
	v_xor_b32_e32 v9, vcc_hi, v8
	v_xor_b32_e32 v8, vcc_lo, v8
	v_and_b32_e32 v0, v0, v9
	v_and_b32_e32 v33, v33, v8
	v_lshlrev_b32_e32 v9, 29, v30
	v_mov_b32_e32 v8, v1
	v_cmp_gt_i64_e32 vcc, 0, v[8:9]
	v_not_b32_e32 v8, v9
	v_ashrrev_i32_e32 v8, 31, v8
	v_xor_b32_e32 v9, vcc_hi, v8
	v_xor_b32_e32 v8, vcc_lo, v8
	v_and_b32_e32 v0, v0, v9
	v_and_b32_e32 v33, v33, v8
	v_lshlrev_b32_e32 v9, 28, v30
	v_mov_b32_e32 v8, v1
	v_cmp_gt_i64_e32 vcc, 0, v[8:9]
	v_not_b32_e32 v8, v9
	v_ashrrev_i32_e32 v8, 31, v8
	;; [unrolled: 9-line block ×6, first 2 shown]
	v_xor_b32_e32 v9, vcc_hi, v8
	v_xor_b32_e32 v8, vcc_lo, v8
	ds_read_b32 v27, v37 offset:64
	v_and_b32_e32 v8, v33, v8
	v_and_b32_e32 v9, v0, v9
	v_mbcnt_lo_u32_b32 v0, v8, 0
	v_mbcnt_hi_u32_b32 v30, v9, v0
	v_cmp_eq_u32_e32 vcc, 0, v30
	v_cmp_ne_u64_e64 s[0:1], 0, v[8:9]
	s_and_b64 s[6:7], s[0:1], vcc
	; wave barrier
	s_and_saveexec_b64 s[0:1], s[6:7]
	s_cbranch_execz .LBB1456_215
; %bb.214:
	v_bcnt_u32_b32 v0, v8, 0
	v_bcnt_u32_b32 v0, v9, v0
	s_waitcnt lgkmcnt(0)
	v_add_u32_e32 v0, v27, v0
	ds_write_b32 v37, v0 offset:64
.LBB1456_215:
	s_or_b64 exec, exec, s[0:1]
	s_waitcnt vmcnt(10)
	v_xor_b32_e32 v19, 0x80000000, v19
	v_lshrrev_b32_e32 v0, s64, v19
	v_and_b32_e32 v35, s14, v0
	v_mul_lo_u32 v0, v35, s4
	v_lshl_add_u32 v41, v28, 2, v0
	v_and_b32_e32 v0, 1, v35
	v_lshl_add_u64 v[8:9], v[0:1], 0, -1
	v_cmp_ne_u32_e32 vcc, 0, v0
	; wave barrier
	s_nop 1
	v_xor_b32_e32 v8, vcc_lo, v8
	v_xor_b32_e32 v0, vcc_hi, v9
	v_and_b32_e32 v38, exec_lo, v8
	v_lshlrev_b32_e32 v9, 30, v35
	v_mov_b32_e32 v8, v1
	v_cmp_gt_i64_e32 vcc, 0, v[8:9]
	v_not_b32_e32 v8, v9
	v_ashrrev_i32_e32 v8, 31, v8
	v_and_b32_e32 v0, exec_hi, v0
	v_xor_b32_e32 v9, vcc_hi, v8
	v_xor_b32_e32 v8, vcc_lo, v8
	v_and_b32_e32 v0, v0, v9
	v_and_b32_e32 v38, v38, v8
	v_lshlrev_b32_e32 v9, 29, v35
	v_mov_b32_e32 v8, v1
	v_cmp_gt_i64_e32 vcc, 0, v[8:9]
	v_not_b32_e32 v8, v9
	v_ashrrev_i32_e32 v8, 31, v8
	v_xor_b32_e32 v9, vcc_hi, v8
	v_xor_b32_e32 v8, vcc_lo, v8
	v_and_b32_e32 v0, v0, v9
	v_and_b32_e32 v38, v38, v8
	v_lshlrev_b32_e32 v9, 28, v35
	v_mov_b32_e32 v8, v1
	v_cmp_gt_i64_e32 vcc, 0, v[8:9]
	v_not_b32_e32 v8, v9
	v_ashrrev_i32_e32 v8, 31, v8
	;; [unrolled: 9-line block ×5, first 2 shown]
	v_xor_b32_e32 v9, vcc_hi, v8
	v_xor_b32_e32 v8, vcc_lo, v8
	v_and_b32_e32 v0, v0, v9
	v_lshlrev_b32_e32 v9, 24, v35
	v_and_b32_e32 v38, v38, v8
	v_mov_b32_e32 v8, v1
	v_not_b32_e32 v1, v9
	v_cmp_gt_i64_e32 vcc, 0, v[8:9]
	v_ashrrev_i32_e32 v1, 31, v1
	ds_read_b32 v33, v41 offset:64
	v_xor_b32_e32 v8, vcc_hi, v1
	v_xor_b32_e32 v9, vcc_lo, v1
	v_and_b32_e32 v1, v0, v8
	v_and_b32_e32 v0, v38, v9
	v_mbcnt_lo_u32_b32 v8, v0, 0
	v_mbcnt_hi_u32_b32 v35, v1, v8
	v_cmp_eq_u32_e32 vcc, 0, v35
	v_cmp_ne_u64_e64 s[0:1], 0, v[0:1]
	s_and_b64 s[4:5], s[0:1], vcc
	; wave barrier
	s_and_saveexec_b64 s[0:1], s[4:5]
	s_cbranch_execz .LBB1456_217
; %bb.216:
	v_bcnt_u32_b32 v0, v0, 0
	v_bcnt_u32_b32 v0, v1, v0
	s_waitcnt lgkmcnt(0)
	v_add_u32_e32 v0, v33, v0
	ds_write_b32 v41, v0 offset:64
.LBB1456_217:
	s_or_b64 exec, exec, s[0:1]
	s_waitcnt vmcnt(9)
	v_xor_b32_e32 v23, 0x80000000, v23
	v_lshrrev_b32_e32 v0, s64, v23
	v_and_b32_e32 v42, s14, v0
	s_movk_i32 s4, 0x44
	v_mul_lo_u32 v0, v42, s4
	v_lshl_add_u32 v46, v28, 2, v0
	v_and_b32_e32 v0, 1, v42
	v_mov_b32_e32 v1, 0
	v_lshl_add_u64 v[8:9], v[0:1], 0, -1
	v_cmp_ne_u32_e32 vcc, 0, v0
	; wave barrier
	s_nop 1
	v_xor_b32_e32 v8, vcc_lo, v8
	v_xor_b32_e32 v0, vcc_hi, v9
	v_and_b32_e32 v43, exec_lo, v8
	v_lshlrev_b32_e32 v9, 30, v42
	v_mov_b32_e32 v8, v1
	v_cmp_gt_i64_e32 vcc, 0, v[8:9]
	v_not_b32_e32 v8, v9
	v_ashrrev_i32_e32 v8, 31, v8
	v_and_b32_e32 v0, exec_hi, v0
	v_xor_b32_e32 v9, vcc_hi, v8
	v_xor_b32_e32 v8, vcc_lo, v8
	v_and_b32_e32 v0, v0, v9
	v_and_b32_e32 v43, v43, v8
	v_lshlrev_b32_e32 v9, 29, v42
	v_mov_b32_e32 v8, v1
	v_cmp_gt_i64_e32 vcc, 0, v[8:9]
	v_not_b32_e32 v8, v9
	v_ashrrev_i32_e32 v8, 31, v8
	v_xor_b32_e32 v9, vcc_hi, v8
	v_xor_b32_e32 v8, vcc_lo, v8
	v_and_b32_e32 v0, v0, v9
	v_and_b32_e32 v43, v43, v8
	v_lshlrev_b32_e32 v9, 28, v42
	v_mov_b32_e32 v8, v1
	v_cmp_gt_i64_e32 vcc, 0, v[8:9]
	v_not_b32_e32 v8, v9
	v_ashrrev_i32_e32 v8, 31, v8
	;; [unrolled: 9-line block ×6, first 2 shown]
	v_xor_b32_e32 v9, vcc_hi, v8
	v_xor_b32_e32 v8, vcc_lo, v8
	ds_read_b32 v38, v46 offset:64
	v_and_b32_e32 v8, v43, v8
	v_and_b32_e32 v9, v0, v9
	v_mbcnt_lo_u32_b32 v0, v8, 0
	v_mbcnt_hi_u32_b32 v42, v9, v0
	v_cmp_eq_u32_e32 vcc, 0, v42
	v_cmp_ne_u64_e64 s[0:1], 0, v[8:9]
	s_and_b64 s[6:7], s[0:1], vcc
	; wave barrier
	s_and_saveexec_b64 s[0:1], s[6:7]
	s_cbranch_execz .LBB1456_219
; %bb.218:
	v_bcnt_u32_b32 v0, v8, 0
	v_bcnt_u32_b32 v0, v9, v0
	s_waitcnt lgkmcnt(0)
	v_add_u32_e32 v0, v38, v0
	ds_write_b32 v46, v0 offset:64
.LBB1456_219:
	s_or_b64 exec, exec, s[0:1]
	s_waitcnt vmcnt(8)
	v_xor_b32_e32 v29, 0x80000000, v29
	v_lshrrev_b32_e32 v0, s64, v29
	v_and_b32_e32 v47, s14, v0
	v_mul_lo_u32 v0, v47, s4
	v_lshl_add_u32 v49, v28, 2, v0
	v_and_b32_e32 v0, 1, v47
	v_lshl_add_u64 v[8:9], v[0:1], 0, -1
	v_cmp_ne_u32_e32 vcc, 0, v0
	; wave barrier
	s_nop 1
	v_xor_b32_e32 v8, vcc_lo, v8
	v_xor_b32_e32 v0, vcc_hi, v9
	v_and_b32_e32 v48, exec_lo, v8
	v_lshlrev_b32_e32 v9, 30, v47
	v_mov_b32_e32 v8, v1
	v_cmp_gt_i64_e32 vcc, 0, v[8:9]
	v_not_b32_e32 v8, v9
	v_ashrrev_i32_e32 v8, 31, v8
	v_and_b32_e32 v0, exec_hi, v0
	v_xor_b32_e32 v9, vcc_hi, v8
	v_xor_b32_e32 v8, vcc_lo, v8
	v_and_b32_e32 v0, v0, v9
	v_and_b32_e32 v48, v48, v8
	v_lshlrev_b32_e32 v9, 29, v47
	v_mov_b32_e32 v8, v1
	v_cmp_gt_i64_e32 vcc, 0, v[8:9]
	v_not_b32_e32 v8, v9
	v_ashrrev_i32_e32 v8, 31, v8
	v_xor_b32_e32 v9, vcc_hi, v8
	v_xor_b32_e32 v8, vcc_lo, v8
	v_and_b32_e32 v0, v0, v9
	v_and_b32_e32 v48, v48, v8
	v_lshlrev_b32_e32 v9, 28, v47
	v_mov_b32_e32 v8, v1
	v_cmp_gt_i64_e32 vcc, 0, v[8:9]
	v_not_b32_e32 v8, v9
	v_ashrrev_i32_e32 v8, 31, v8
	;; [unrolled: 9-line block ×5, first 2 shown]
	v_xor_b32_e32 v9, vcc_hi, v8
	v_xor_b32_e32 v8, vcc_lo, v8
	v_and_b32_e32 v0, v0, v9
	v_lshlrev_b32_e32 v9, 24, v47
	v_and_b32_e32 v48, v48, v8
	v_mov_b32_e32 v8, v1
	v_not_b32_e32 v1, v9
	v_cmp_gt_i64_e32 vcc, 0, v[8:9]
	v_ashrrev_i32_e32 v1, 31, v1
	ds_read_b32 v43, v49 offset:64
	v_xor_b32_e32 v8, vcc_hi, v1
	v_xor_b32_e32 v9, vcc_lo, v1
	v_and_b32_e32 v1, v0, v8
	v_and_b32_e32 v0, v48, v9
	v_mbcnt_lo_u32_b32 v8, v0, 0
	v_mbcnt_hi_u32_b32 v47, v1, v8
	v_cmp_eq_u32_e32 vcc, 0, v47
	v_cmp_ne_u64_e64 s[0:1], 0, v[0:1]
	s_and_b64 s[4:5], s[0:1], vcc
	; wave barrier
	s_and_saveexec_b64 s[0:1], s[4:5]
	s_cbranch_execz .LBB1456_221
; %bb.220:
	v_bcnt_u32_b32 v0, v0, 0
	v_bcnt_u32_b32 v0, v1, v0
	s_waitcnt lgkmcnt(0)
	v_add_u32_e32 v0, v43, v0
	ds_write_b32 v49, v0 offset:64
.LBB1456_221:
	s_or_b64 exec, exec, s[0:1]
	s_waitcnt vmcnt(7)
	v_xor_b32_e32 v34, 0x80000000, v34
	v_lshrrev_b32_e32 v0, s64, v34
	v_and_b32_e32 v50, s14, v0
	s_movk_i32 s4, 0x44
	v_mul_lo_u32 v0, v50, s4
	v_lshl_add_u32 v52, v28, 2, v0
	v_and_b32_e32 v0, 1, v50
	v_mov_b32_e32 v1, 0
	v_lshl_add_u64 v[8:9], v[0:1], 0, -1
	v_cmp_ne_u32_e32 vcc, 0, v0
	; wave barrier
	s_nop 1
	v_xor_b32_e32 v8, vcc_lo, v8
	v_xor_b32_e32 v0, vcc_hi, v9
	v_and_b32_e32 v51, exec_lo, v8
	v_lshlrev_b32_e32 v9, 30, v50
	v_mov_b32_e32 v8, v1
	v_cmp_gt_i64_e32 vcc, 0, v[8:9]
	v_not_b32_e32 v8, v9
	v_ashrrev_i32_e32 v8, 31, v8
	v_and_b32_e32 v0, exec_hi, v0
	v_xor_b32_e32 v9, vcc_hi, v8
	v_xor_b32_e32 v8, vcc_lo, v8
	v_and_b32_e32 v0, v0, v9
	v_and_b32_e32 v51, v51, v8
	v_lshlrev_b32_e32 v9, 29, v50
	v_mov_b32_e32 v8, v1
	v_cmp_gt_i64_e32 vcc, 0, v[8:9]
	v_not_b32_e32 v8, v9
	v_ashrrev_i32_e32 v8, 31, v8
	v_xor_b32_e32 v9, vcc_hi, v8
	v_xor_b32_e32 v8, vcc_lo, v8
	v_and_b32_e32 v0, v0, v9
	v_and_b32_e32 v51, v51, v8
	v_lshlrev_b32_e32 v9, 28, v50
	v_mov_b32_e32 v8, v1
	v_cmp_gt_i64_e32 vcc, 0, v[8:9]
	v_not_b32_e32 v8, v9
	v_ashrrev_i32_e32 v8, 31, v8
	;; [unrolled: 9-line block ×6, first 2 shown]
	v_xor_b32_e32 v9, vcc_hi, v8
	v_xor_b32_e32 v8, vcc_lo, v8
	ds_read_b32 v48, v52 offset:64
	v_and_b32_e32 v8, v51, v8
	v_and_b32_e32 v9, v0, v9
	v_mbcnt_lo_u32_b32 v0, v8, 0
	v_mbcnt_hi_u32_b32 v50, v9, v0
	v_cmp_eq_u32_e32 vcc, 0, v50
	v_cmp_ne_u64_e64 s[0:1], 0, v[8:9]
	s_and_b64 s[6:7], s[0:1], vcc
	; wave barrier
	s_and_saveexec_b64 s[0:1], s[6:7]
	s_cbranch_execz .LBB1456_223
; %bb.222:
	v_bcnt_u32_b32 v0, v8, 0
	v_bcnt_u32_b32 v0, v9, v0
	s_waitcnt lgkmcnt(0)
	v_add_u32_e32 v0, v48, v0
	ds_write_b32 v52, v0 offset:64
.LBB1456_223:
	s_or_b64 exec, exec, s[0:1]
	s_waitcnt vmcnt(6)
	v_xor_b32_e32 v39, 0x80000000, v39
	v_lshrrev_b32_e32 v0, s64, v39
	v_and_b32_e32 v53, s14, v0
	v_mul_lo_u32 v0, v53, s4
	v_lshl_add_u32 v55, v28, 2, v0
	v_and_b32_e32 v0, 1, v53
	v_lshl_add_u64 v[8:9], v[0:1], 0, -1
	v_cmp_ne_u32_e32 vcc, 0, v0
	; wave barrier
	s_nop 1
	v_xor_b32_e32 v8, vcc_lo, v8
	v_xor_b32_e32 v0, vcc_hi, v9
	v_and_b32_e32 v54, exec_lo, v8
	v_lshlrev_b32_e32 v9, 30, v53
	v_mov_b32_e32 v8, v1
	v_cmp_gt_i64_e32 vcc, 0, v[8:9]
	v_not_b32_e32 v8, v9
	v_ashrrev_i32_e32 v8, 31, v8
	v_and_b32_e32 v0, exec_hi, v0
	v_xor_b32_e32 v9, vcc_hi, v8
	v_xor_b32_e32 v8, vcc_lo, v8
	v_and_b32_e32 v0, v0, v9
	v_and_b32_e32 v54, v54, v8
	v_lshlrev_b32_e32 v9, 29, v53
	v_mov_b32_e32 v8, v1
	v_cmp_gt_i64_e32 vcc, 0, v[8:9]
	v_not_b32_e32 v8, v9
	v_ashrrev_i32_e32 v8, 31, v8
	v_xor_b32_e32 v9, vcc_hi, v8
	v_xor_b32_e32 v8, vcc_lo, v8
	v_and_b32_e32 v0, v0, v9
	v_and_b32_e32 v54, v54, v8
	v_lshlrev_b32_e32 v9, 28, v53
	v_mov_b32_e32 v8, v1
	v_cmp_gt_i64_e32 vcc, 0, v[8:9]
	v_not_b32_e32 v8, v9
	v_ashrrev_i32_e32 v8, 31, v8
	;; [unrolled: 9-line block ×5, first 2 shown]
	v_xor_b32_e32 v9, vcc_hi, v8
	v_xor_b32_e32 v8, vcc_lo, v8
	v_and_b32_e32 v0, v0, v9
	v_lshlrev_b32_e32 v9, 24, v53
	v_and_b32_e32 v54, v54, v8
	v_mov_b32_e32 v8, v1
	v_not_b32_e32 v1, v9
	v_cmp_gt_i64_e32 vcc, 0, v[8:9]
	v_ashrrev_i32_e32 v1, 31, v1
	ds_read_b32 v51, v55 offset:64
	v_xor_b32_e32 v8, vcc_hi, v1
	v_xor_b32_e32 v9, vcc_lo, v1
	v_and_b32_e32 v1, v0, v8
	v_and_b32_e32 v0, v54, v9
	v_mbcnt_lo_u32_b32 v8, v0, 0
	v_mbcnt_hi_u32_b32 v53, v1, v8
	v_cmp_eq_u32_e32 vcc, 0, v53
	v_cmp_ne_u64_e64 s[0:1], 0, v[0:1]
	s_and_b64 s[4:5], s[0:1], vcc
	; wave barrier
	s_and_saveexec_b64 s[0:1], s[4:5]
	s_cbranch_execz .LBB1456_225
; %bb.224:
	v_bcnt_u32_b32 v0, v0, 0
	v_bcnt_u32_b32 v0, v1, v0
	s_waitcnt lgkmcnt(0)
	v_add_u32_e32 v0, v51, v0
	ds_write_b32 v55, v0 offset:64
.LBB1456_225:
	s_or_b64 exec, exec, s[0:1]
	s_waitcnt vmcnt(5)
	v_xor_b32_e32 v44, 0x80000000, v44
	v_lshrrev_b32_e32 v0, s64, v44
	v_and_b32_e32 v56, s14, v0
	s_movk_i32 s4, 0x44
	v_mul_lo_u32 v0, v56, s4
	v_lshl_add_u32 v58, v28, 2, v0
	v_and_b32_e32 v0, 1, v56
	v_mov_b32_e32 v1, 0
	v_lshl_add_u64 v[8:9], v[0:1], 0, -1
	v_cmp_ne_u32_e32 vcc, 0, v0
	; wave barrier
	s_nop 1
	v_xor_b32_e32 v8, vcc_lo, v8
	v_xor_b32_e32 v0, vcc_hi, v9
	v_and_b32_e32 v57, exec_lo, v8
	v_lshlrev_b32_e32 v9, 30, v56
	v_mov_b32_e32 v8, v1
	v_cmp_gt_i64_e32 vcc, 0, v[8:9]
	v_not_b32_e32 v8, v9
	v_ashrrev_i32_e32 v8, 31, v8
	v_and_b32_e32 v0, exec_hi, v0
	v_xor_b32_e32 v9, vcc_hi, v8
	v_xor_b32_e32 v8, vcc_lo, v8
	v_and_b32_e32 v0, v0, v9
	v_and_b32_e32 v57, v57, v8
	v_lshlrev_b32_e32 v9, 29, v56
	v_mov_b32_e32 v8, v1
	v_cmp_gt_i64_e32 vcc, 0, v[8:9]
	v_not_b32_e32 v8, v9
	v_ashrrev_i32_e32 v8, 31, v8
	v_xor_b32_e32 v9, vcc_hi, v8
	v_xor_b32_e32 v8, vcc_lo, v8
	v_and_b32_e32 v0, v0, v9
	v_and_b32_e32 v57, v57, v8
	v_lshlrev_b32_e32 v9, 28, v56
	v_mov_b32_e32 v8, v1
	v_cmp_gt_i64_e32 vcc, 0, v[8:9]
	v_not_b32_e32 v8, v9
	v_ashrrev_i32_e32 v8, 31, v8
	;; [unrolled: 9-line block ×6, first 2 shown]
	v_xor_b32_e32 v9, vcc_hi, v8
	v_xor_b32_e32 v8, vcc_lo, v8
	ds_read_b32 v54, v58 offset:64
	v_and_b32_e32 v8, v57, v8
	v_and_b32_e32 v9, v0, v9
	v_mbcnt_lo_u32_b32 v0, v8, 0
	v_mbcnt_hi_u32_b32 v56, v9, v0
	v_cmp_eq_u32_e32 vcc, 0, v56
	v_cmp_ne_u64_e64 s[0:1], 0, v[8:9]
	s_and_b64 s[6:7], s[0:1], vcc
	; wave barrier
	s_and_saveexec_b64 s[0:1], s[6:7]
	s_cbranch_execz .LBB1456_227
; %bb.226:
	v_bcnt_u32_b32 v0, v8, 0
	v_bcnt_u32_b32 v0, v9, v0
	s_waitcnt lgkmcnt(0)
	v_add_u32_e32 v0, v54, v0
	ds_write_b32 v58, v0 offset:64
.LBB1456_227:
	s_or_b64 exec, exec, s[0:1]
	s_waitcnt vmcnt(4)
	v_xor_b32_e32 v45, 0x80000000, v45
	v_lshrrev_b32_e32 v0, s64, v45
	v_and_b32_e32 v59, s14, v0
	v_mul_lo_u32 v0, v59, s4
	v_lshl_add_u32 v62, v28, 2, v0
	v_and_b32_e32 v0, 1, v59
	v_lshl_add_u64 v[8:9], v[0:1], 0, -1
	v_cmp_ne_u32_e32 vcc, 0, v0
	; wave barrier
	s_nop 1
	v_xor_b32_e32 v8, vcc_lo, v8
	v_xor_b32_e32 v0, vcc_hi, v9
	v_and_b32_e32 v60, exec_lo, v8
	v_lshlrev_b32_e32 v9, 30, v59
	v_mov_b32_e32 v8, v1
	v_cmp_gt_i64_e32 vcc, 0, v[8:9]
	v_not_b32_e32 v8, v9
	v_ashrrev_i32_e32 v8, 31, v8
	v_and_b32_e32 v0, exec_hi, v0
	v_xor_b32_e32 v9, vcc_hi, v8
	v_xor_b32_e32 v8, vcc_lo, v8
	v_and_b32_e32 v0, v0, v9
	v_and_b32_e32 v60, v60, v8
	v_lshlrev_b32_e32 v9, 29, v59
	v_mov_b32_e32 v8, v1
	v_cmp_gt_i64_e32 vcc, 0, v[8:9]
	v_not_b32_e32 v8, v9
	v_ashrrev_i32_e32 v8, 31, v8
	v_xor_b32_e32 v9, vcc_hi, v8
	v_xor_b32_e32 v8, vcc_lo, v8
	v_and_b32_e32 v0, v0, v9
	v_and_b32_e32 v60, v60, v8
	v_lshlrev_b32_e32 v9, 28, v59
	v_mov_b32_e32 v8, v1
	v_cmp_gt_i64_e32 vcc, 0, v[8:9]
	v_not_b32_e32 v8, v9
	v_ashrrev_i32_e32 v8, 31, v8
	;; [unrolled: 9-line block ×5, first 2 shown]
	v_xor_b32_e32 v9, vcc_hi, v8
	v_xor_b32_e32 v8, vcc_lo, v8
	v_and_b32_e32 v0, v0, v9
	v_lshlrev_b32_e32 v9, 24, v59
	v_and_b32_e32 v60, v60, v8
	v_mov_b32_e32 v8, v1
	v_not_b32_e32 v1, v9
	v_cmp_gt_i64_e32 vcc, 0, v[8:9]
	v_ashrrev_i32_e32 v1, 31, v1
	ds_read_b32 v57, v62 offset:64
	v_xor_b32_e32 v8, vcc_hi, v1
	v_xor_b32_e32 v9, vcc_lo, v1
	v_and_b32_e32 v1, v0, v8
	v_and_b32_e32 v0, v60, v9
	v_mbcnt_lo_u32_b32 v8, v0, 0
	v_mbcnt_hi_u32_b32 v59, v1, v8
	v_cmp_eq_u32_e32 vcc, 0, v59
	v_cmp_ne_u64_e64 s[0:1], 0, v[0:1]
	s_and_b64 s[4:5], s[0:1], vcc
	; wave barrier
	s_and_saveexec_b64 s[0:1], s[4:5]
	s_cbranch_execz .LBB1456_229
; %bb.228:
	v_bcnt_u32_b32 v0, v0, 0
	v_bcnt_u32_b32 v0, v1, v0
	s_waitcnt lgkmcnt(0)
	v_add_u32_e32 v0, v57, v0
	ds_write_b32 v62, v0 offset:64
.LBB1456_229:
	s_or_b64 exec, exec, s[0:1]
	s_waitcnt vmcnt(3)
	v_xor_b32_e32 v40, 0x80000000, v40
	v_lshrrev_b32_e32 v0, s64, v40
	v_and_b32_e32 v61, s14, v0
	s_movk_i32 s4, 0x44
	v_mul_lo_u32 v0, v61, s4
	v_lshl_add_u32 v65, v28, 2, v0
	v_and_b32_e32 v0, 1, v61
	v_mov_b32_e32 v1, 0
	v_lshl_add_u64 v[8:9], v[0:1], 0, -1
	v_cmp_ne_u32_e32 vcc, 0, v0
	; wave barrier
	s_nop 1
	v_xor_b32_e32 v8, vcc_lo, v8
	v_xor_b32_e32 v0, vcc_hi, v9
	v_and_b32_e32 v63, exec_lo, v8
	v_lshlrev_b32_e32 v9, 30, v61
	v_mov_b32_e32 v8, v1
	v_cmp_gt_i64_e32 vcc, 0, v[8:9]
	v_not_b32_e32 v8, v9
	v_ashrrev_i32_e32 v8, 31, v8
	v_and_b32_e32 v0, exec_hi, v0
	v_xor_b32_e32 v9, vcc_hi, v8
	v_xor_b32_e32 v8, vcc_lo, v8
	v_and_b32_e32 v0, v0, v9
	v_and_b32_e32 v63, v63, v8
	v_lshlrev_b32_e32 v9, 29, v61
	v_mov_b32_e32 v8, v1
	v_cmp_gt_i64_e32 vcc, 0, v[8:9]
	v_not_b32_e32 v8, v9
	v_ashrrev_i32_e32 v8, 31, v8
	v_xor_b32_e32 v9, vcc_hi, v8
	v_xor_b32_e32 v8, vcc_lo, v8
	v_and_b32_e32 v0, v0, v9
	v_and_b32_e32 v63, v63, v8
	v_lshlrev_b32_e32 v9, 28, v61
	v_mov_b32_e32 v8, v1
	v_cmp_gt_i64_e32 vcc, 0, v[8:9]
	v_not_b32_e32 v8, v9
	v_ashrrev_i32_e32 v8, 31, v8
	;; [unrolled: 9-line block ×6, first 2 shown]
	v_xor_b32_e32 v9, vcc_hi, v8
	v_xor_b32_e32 v8, vcc_lo, v8
	ds_read_b32 v60, v65 offset:64
	v_and_b32_e32 v8, v63, v8
	v_and_b32_e32 v9, v0, v9
	v_mbcnt_lo_u32_b32 v0, v8, 0
	v_mbcnt_hi_u32_b32 v63, v9, v0
	v_cmp_eq_u32_e32 vcc, 0, v63
	v_cmp_ne_u64_e64 s[0:1], 0, v[8:9]
	s_and_b64 s[6:7], s[0:1], vcc
	; wave barrier
	s_and_saveexec_b64 s[0:1], s[6:7]
	s_cbranch_execz .LBB1456_231
; %bb.230:
	v_bcnt_u32_b32 v0, v8, 0
	v_bcnt_u32_b32 v0, v9, v0
	s_waitcnt lgkmcnt(0)
	v_add_u32_e32 v0, v60, v0
	ds_write_b32 v65, v0 offset:64
.LBB1456_231:
	s_or_b64 exec, exec, s[0:1]
	s_waitcnt vmcnt(2)
	v_xor_b32_e32 v36, 0x80000000, v36
	v_lshrrev_b32_e32 v0, s64, v36
	v_and_b32_e32 v61, s14, v0
	v_mul_lo_u32 v0, v61, s4
	v_lshl_add_u32 v68, v28, 2, v0
	v_and_b32_e32 v0, 1, v61
	v_lshl_add_u64 v[8:9], v[0:1], 0, -1
	v_cmp_ne_u32_e32 vcc, 0, v0
	; wave barrier
	s_nop 1
	v_xor_b32_e32 v8, vcc_lo, v8
	v_xor_b32_e32 v0, vcc_hi, v9
	v_and_b32_e32 v66, exec_lo, v8
	v_lshlrev_b32_e32 v9, 30, v61
	v_mov_b32_e32 v8, v1
	v_cmp_gt_i64_e32 vcc, 0, v[8:9]
	v_not_b32_e32 v8, v9
	v_ashrrev_i32_e32 v8, 31, v8
	v_and_b32_e32 v0, exec_hi, v0
	v_xor_b32_e32 v9, vcc_hi, v8
	v_xor_b32_e32 v8, vcc_lo, v8
	v_and_b32_e32 v0, v0, v9
	v_and_b32_e32 v66, v66, v8
	v_lshlrev_b32_e32 v9, 29, v61
	v_mov_b32_e32 v8, v1
	v_cmp_gt_i64_e32 vcc, 0, v[8:9]
	v_not_b32_e32 v8, v9
	v_ashrrev_i32_e32 v8, 31, v8
	v_xor_b32_e32 v9, vcc_hi, v8
	v_xor_b32_e32 v8, vcc_lo, v8
	v_and_b32_e32 v0, v0, v9
	v_and_b32_e32 v66, v66, v8
	v_lshlrev_b32_e32 v9, 28, v61
	v_mov_b32_e32 v8, v1
	v_cmp_gt_i64_e32 vcc, 0, v[8:9]
	v_not_b32_e32 v8, v9
	v_ashrrev_i32_e32 v8, 31, v8
	;; [unrolled: 9-line block ×5, first 2 shown]
	v_xor_b32_e32 v9, vcc_hi, v8
	v_xor_b32_e32 v8, vcc_lo, v8
	v_and_b32_e32 v0, v0, v9
	v_lshlrev_b32_e32 v9, 24, v61
	v_and_b32_e32 v66, v66, v8
	v_mov_b32_e32 v8, v1
	v_not_b32_e32 v1, v9
	v_cmp_gt_i64_e32 vcc, 0, v[8:9]
	v_ashrrev_i32_e32 v1, 31, v1
	ds_read_b32 v64, v68 offset:64
	v_xor_b32_e32 v8, vcc_hi, v1
	v_xor_b32_e32 v9, vcc_lo, v1
	v_and_b32_e32 v1, v0, v8
	v_and_b32_e32 v0, v66, v9
	v_mbcnt_lo_u32_b32 v8, v0, 0
	v_mbcnt_hi_u32_b32 v66, v1, v8
	v_cmp_eq_u32_e32 vcc, 0, v66
	v_cmp_ne_u64_e64 s[0:1], 0, v[0:1]
	s_and_b64 s[4:5], s[0:1], vcc
	; wave barrier
	s_and_saveexec_b64 s[0:1], s[4:5]
	s_cbranch_execz .LBB1456_233
; %bb.232:
	v_bcnt_u32_b32 v0, v0, 0
	v_bcnt_u32_b32 v0, v1, v0
	s_waitcnt lgkmcnt(0)
	v_add_u32_e32 v0, v64, v0
	ds_write_b32 v68, v0 offset:64
.LBB1456_233:
	s_or_b64 exec, exec, s[0:1]
	s_waitcnt vmcnt(1)
	v_xor_b32_e32 v31, 0x80000000, v31
	v_lshrrev_b32_e32 v0, s64, v31
	v_and_b32_e32 v61, s14, v0
	s_movk_i32 s4, 0x44
	v_mul_lo_u32 v0, v61, s4
	v_lshl_add_u32 v70, v28, 2, v0
	v_and_b32_e32 v0, 1, v61
	v_mov_b32_e32 v1, 0
	v_lshl_add_u64 v[8:9], v[0:1], 0, -1
	v_cmp_ne_u32_e32 vcc, 0, v0
	; wave barrier
	s_nop 1
	v_xor_b32_e32 v8, vcc_lo, v8
	v_xor_b32_e32 v0, vcc_hi, v9
	v_and_b32_e32 v69, exec_lo, v8
	v_lshlrev_b32_e32 v9, 30, v61
	v_mov_b32_e32 v8, v1
	v_cmp_gt_i64_e32 vcc, 0, v[8:9]
	v_not_b32_e32 v8, v9
	v_ashrrev_i32_e32 v8, 31, v8
	v_and_b32_e32 v0, exec_hi, v0
	v_xor_b32_e32 v9, vcc_hi, v8
	v_xor_b32_e32 v8, vcc_lo, v8
	v_and_b32_e32 v0, v0, v9
	v_and_b32_e32 v69, v69, v8
	v_lshlrev_b32_e32 v9, 29, v61
	v_mov_b32_e32 v8, v1
	v_cmp_gt_i64_e32 vcc, 0, v[8:9]
	v_not_b32_e32 v8, v9
	v_ashrrev_i32_e32 v8, 31, v8
	v_xor_b32_e32 v9, vcc_hi, v8
	v_xor_b32_e32 v8, vcc_lo, v8
	v_and_b32_e32 v0, v0, v9
	v_and_b32_e32 v69, v69, v8
	v_lshlrev_b32_e32 v9, 28, v61
	v_mov_b32_e32 v8, v1
	v_cmp_gt_i64_e32 vcc, 0, v[8:9]
	v_not_b32_e32 v8, v9
	v_ashrrev_i32_e32 v8, 31, v8
	;; [unrolled: 9-line block ×6, first 2 shown]
	v_xor_b32_e32 v9, vcc_hi, v8
	v_xor_b32_e32 v8, vcc_lo, v8
	ds_read_b32 v67, v70 offset:64
	v_and_b32_e32 v8, v69, v8
	v_and_b32_e32 v9, v0, v9
	v_mbcnt_lo_u32_b32 v0, v8, 0
	v_mbcnt_hi_u32_b32 v69, v9, v0
	v_cmp_eq_u32_e32 vcc, 0, v69
	v_cmp_ne_u64_e64 s[0:1], 0, v[8:9]
	s_and_b64 s[6:7], s[0:1], vcc
	; wave barrier
	s_and_saveexec_b64 s[0:1], s[6:7]
	s_cbranch_execz .LBB1456_235
; %bb.234:
	v_bcnt_u32_b32 v0, v8, 0
	v_bcnt_u32_b32 v0, v9, v0
	s_waitcnt lgkmcnt(0)
	v_add_u32_e32 v0, v67, v0
	ds_write_b32 v70, v0 offset:64
.LBB1456_235:
	s_or_b64 exec, exec, s[0:1]
	s_waitcnt vmcnt(0)
	v_xor_b32_e32 v61, 0x80000000, v25
	v_lshrrev_b32_e32 v0, s64, v61
	v_and_b32_e32 v25, s14, v0
	v_mul_lo_u32 v0, v25, s4
	v_lshl_add_u32 v72, v28, 2, v0
	v_and_b32_e32 v0, 1, v25
	v_lshl_add_u64 v[8:9], v[0:1], 0, -1
	v_cmp_ne_u32_e32 vcc, 0, v0
	; wave barrier
	s_nop 1
	v_xor_b32_e32 v8, vcc_lo, v8
	v_xor_b32_e32 v0, vcc_hi, v9
	v_and_b32_e32 v71, exec_lo, v8
	v_lshlrev_b32_e32 v9, 30, v25
	v_mov_b32_e32 v8, v1
	v_cmp_gt_i64_e32 vcc, 0, v[8:9]
	v_not_b32_e32 v8, v9
	v_ashrrev_i32_e32 v8, 31, v8
	v_and_b32_e32 v0, exec_hi, v0
	v_xor_b32_e32 v9, vcc_hi, v8
	v_xor_b32_e32 v8, vcc_lo, v8
	v_and_b32_e32 v0, v0, v9
	v_and_b32_e32 v71, v71, v8
	v_lshlrev_b32_e32 v9, 29, v25
	v_mov_b32_e32 v8, v1
	v_cmp_gt_i64_e32 vcc, 0, v[8:9]
	v_not_b32_e32 v8, v9
	v_ashrrev_i32_e32 v8, 31, v8
	v_xor_b32_e32 v9, vcc_hi, v8
	v_xor_b32_e32 v8, vcc_lo, v8
	v_and_b32_e32 v0, v0, v9
	v_and_b32_e32 v71, v71, v8
	v_lshlrev_b32_e32 v9, 28, v25
	v_mov_b32_e32 v8, v1
	v_cmp_gt_i64_e32 vcc, 0, v[8:9]
	v_not_b32_e32 v8, v9
	v_ashrrev_i32_e32 v8, 31, v8
	;; [unrolled: 9-line block ×5, first 2 shown]
	v_xor_b32_e32 v9, vcc_hi, v8
	v_xor_b32_e32 v8, vcc_lo, v8
	v_and_b32_e32 v0, v0, v9
	v_lshlrev_b32_e32 v9, 24, v25
	v_and_b32_e32 v71, v71, v8
	v_mov_b32_e32 v8, v1
	v_not_b32_e32 v1, v9
	v_cmp_gt_i64_e32 vcc, 0, v[8:9]
	v_ashrrev_i32_e32 v1, 31, v1
	ds_read_b32 v28, v72 offset:64
	v_xor_b32_e32 v8, vcc_hi, v1
	v_xor_b32_e32 v9, vcc_lo, v1
	v_and_b32_e32 v1, v0, v8
	v_and_b32_e32 v0, v71, v9
	v_mbcnt_lo_u32_b32 v8, v0, 0
	v_mbcnt_hi_u32_b32 v71, v1, v8
	v_cmp_eq_u32_e32 vcc, 0, v71
	v_cmp_ne_u64_e64 s[0:1], 0, v[0:1]
	s_and_b64 s[4:5], s[0:1], vcc
	; wave barrier
	s_and_saveexec_b64 s[0:1], s[4:5]
	s_cbranch_execz .LBB1456_237
; %bb.236:
	v_bcnt_u32_b32 v0, v0, 0
	v_bcnt_u32_b32 v0, v1, v0
	s_waitcnt lgkmcnt(0)
	v_add_u32_e32 v0, v28, v0
	ds_write_b32 v72, v0 offset:64
.LBB1456_237:
	s_or_b64 exec, exec, s[0:1]
	; wave barrier
	s_waitcnt lgkmcnt(0)
	s_barrier
	ds_read2_b32 v[8:9], v11 offset0:16 offset1:17
	ds_read2_b32 v[0:1], v11 offset0:18 offset1:19
	ds_read_b32 v25, v11 offset:80
	v_cmp_lt_u32_e64 s[8:9], 31, v10
	s_waitcnt lgkmcnt(1)
	v_add3_u32 v73, v9, v8, v0
	s_waitcnt lgkmcnt(0)
	v_add3_u32 v25, v73, v1, v25
	v_and_b32_e32 v73, 15, v10
	v_cmp_eq_u32_e32 vcc, 0, v73
	v_mov_b32_dpp v74, v25 row_shr:1 row_mask:0xf bank_mask:0xf
	v_cmp_lt_u32_e64 s[0:1], 1, v73
	v_cndmask_b32_e64 v74, v74, 0, vcc
	v_add_u32_e32 v25, v74, v25
	v_cmp_lt_u32_e64 s[6:7], 3, v73
	v_cmp_lt_u32_e64 s[4:5], 7, v73
	v_mov_b32_dpp v74, v25 row_shr:2 row_mask:0xf bank_mask:0xf
	v_cndmask_b32_e64 v74, 0, v74, s[0:1]
	v_add_u32_e32 v25, v25, v74
	s_nop 1
	v_mov_b32_dpp v74, v25 row_shr:4 row_mask:0xf bank_mask:0xf
	v_cndmask_b32_e64 v74, 0, v74, s[6:7]
	v_add_u32_e32 v25, v25, v74
	s_nop 1
	v_mov_b32_dpp v74, v25 row_shr:8 row_mask:0xf bank_mask:0xf
	v_cndmask_b32_e64 v73, 0, v74, s[4:5]
	v_add_u32_e32 v25, v25, v73
	v_bfe_i32 v74, v10, 4, 1
	s_nop 0
	v_mov_b32_dpp v73, v25 row_bcast:15 row_mask:0xf bank_mask:0xf
	v_and_b32_e32 v73, v74, v73
	v_add_u32_e32 v25, v25, v73
	v_lshrrev_b32_e32 v74, 6, v2
	s_nop 0
	v_mov_b32_dpp v73, v25 row_bcast:31 row_mask:0xf bank_mask:0xf
	v_cndmask_b32_e64 v73, 0, v73, s[8:9]
	v_add_u32_e32 v73, v25, v73
	v_and_b32_e32 v25, 63, v2
	v_cmp_eq_u32_e64 s[8:9], 63, v25
	s_and_saveexec_b64 s[12:13], s[8:9]
; %bb.238:
	v_lshlrev_b32_e32 v25, 2, v74
	ds_write_b32 v25, v73
; %bb.239:
	s_or_b64 exec, exec, s[12:13]
	v_cmp_gt_u32_e64 s[8:9], 16, v2
	v_lshlrev_b32_e32 v25, 2, v2
	s_waitcnt lgkmcnt(0)
	s_barrier
	s_and_saveexec_b64 s[12:13], s[8:9]
	s_cbranch_execz .LBB1456_241
; %bb.240:
	ds_read_b32 v75, v25
	s_waitcnt lgkmcnt(0)
	s_nop 0
	v_mov_b32_dpp v76, v75 row_shr:1 row_mask:0xf bank_mask:0xf
	v_cndmask_b32_e64 v76, v76, 0, vcc
	v_add_u32_e32 v75, v76, v75
	s_nop 1
	v_mov_b32_dpp v76, v75 row_shr:2 row_mask:0xf bank_mask:0xf
	v_cndmask_b32_e64 v76, 0, v76, s[0:1]
	v_add_u32_e32 v75, v75, v76
	s_nop 1
	v_mov_b32_dpp v76, v75 row_shr:4 row_mask:0xf bank_mask:0xf
	v_cndmask_b32_e64 v76, 0, v76, s[6:7]
	;; [unrolled: 4-line block ×3, first 2 shown]
	v_add_u32_e32 v75, v75, v76
	ds_write_b32 v25, v75
.LBB1456_241:
	s_or_b64 exec, exec, s[12:13]
	v_cmp_lt_u32_e32 vcc, 63, v2
	v_mov_b32_e32 v75, 0
	s_waitcnt lgkmcnt(0)
	s_barrier
	s_and_saveexec_b64 s[0:1], vcc
; %bb.242:
	v_lshl_add_u32 v74, v74, 2, -4
	ds_read_b32 v75, v74
; %bb.243:
	s_or_b64 exec, exec, s[0:1]
	v_subrev_co_u32_e32 v74, vcc, 1, v10
	v_and_b32_e32 v76, 64, v10
	v_cmp_lt_i32_e64 s[0:1], v74, v76
	s_waitcnt lgkmcnt(0)
	v_add_u32_e32 v73, v75, v73
	s_movk_i32 s4, 0x100
	v_cndmask_b32_e64 v10, v74, v10, s[0:1]
	v_lshlrev_b32_e32 v10, 2, v10
	ds_bpermute_b32 v10, v10, v73
	s_movk_i32 s0, 0xff
	s_waitcnt lgkmcnt(0)
	v_cndmask_b32_e32 v10, v10, v75, vcc
	v_cmp_ne_u32_e32 vcc, 0, v2
	s_nop 1
	v_cndmask_b32_e32 v10, 0, v10, vcc
	v_add_u32_e32 v8, v10, v8
	v_add_u32_e32 v9, v8, v9
	;; [unrolled: 1-line block ×4, first 2 shown]
	ds_write2_b32 v11, v10, v8 offset0:16 offset1:17
	ds_write2_b32 v11, v9, v0 offset0:18 offset1:19
	ds_write_b32 v11, v1 offset:80
	s_waitcnt lgkmcnt(0)
	s_barrier
	ds_read_b32 v81, v18 offset:64
	ds_read_b32 v73, v21 offset:64
	;; [unrolled: 1-line block ×16, first 2 shown]
	v_cmp_lt_u32_e32 vcc, s0, v2
	v_cmp_gt_u32_e64 s[0:1], s4, v2
                                        ; implicit-def: $vgpr18
                                        ; implicit-def: $vgpr21
	s_and_saveexec_b64 s[6:7], s[0:1]
	s_cbranch_execz .LBB1456_247
; %bb.244:
	v_mul_u32_u24_e32 v0, 0x44, v2
	ds_read_b32 v18, v0 offset:64
	v_add_u32_e32 v1, 1, v2
	v_cmp_ne_u32_e64 s[4:5], s4, v1
	v_mov_b32_e32 v0, 0x4000
	s_and_saveexec_b64 s[8:9], s[4:5]
; %bb.245:
	v_mul_u32_u24_e32 v0, 0x44, v1
	ds_read_b32 v0, v0 offset:64
; %bb.246:
	s_or_b64 exec, exec, s[8:9]
	s_waitcnt lgkmcnt(0)
	v_sub_u32_e32 v21, v0, v18
.LBB1456_247:
	s_or_b64 exec, exec, s[6:7]
	v_mov_b32_e32 v1, 0
	s_waitcnt lgkmcnt(0)
	s_barrier
	s_and_saveexec_b64 s[4:5], s[0:1]
	s_cbranch_execz .LBB1456_257
; %bb.248:
	v_lshl_add_u32 v0, s2, 8, v2
	v_lshl_add_u64 v[8:9], v[0:1], 2, s[50:51]
	v_or_b32_e32 v0, 2.0, v21
	s_mov_b64 s[6:7], 0
	s_brev_b32 s15, -4
	s_mov_b32 s16, s2
	v_mov_b32_e32 v49, 0
	global_store_dword v[8:9], v0, off sc1
                                        ; implicit-def: $sgpr0_sgpr1
	s_branch .LBB1456_251
.LBB1456_249:                           ;   in Loop: Header=BB1456_251 Depth=1
	s_or_b64 exec, exec, s[12:13]
.LBB1456_250:                           ;   in Loop: Header=BB1456_251 Depth=1
	s_or_b64 exec, exec, s[8:9]
	v_and_b32_e32 v10, 0x3fffffff, v0
	v_add_u32_e32 v49, v10, v49
	v_cmp_gt_i32_e64 s[0:1], -2.0, v0
	s_and_b64 s[8:9], exec, s[0:1]
	s_or_b64 s[6:7], s[8:9], s[6:7]
	s_andn2_b64 exec, exec, s[6:7]
	s_cbranch_execz .LBB1456_256
.LBB1456_251:                           ; =>This Loop Header: Depth=1
                                        ;     Child Loop BB1456_254 Depth 2
	s_or_b64 s[0:1], s[0:1], exec
	s_cmp_eq_u32 s16, 0
	s_cbranch_scc1 .LBB1456_255
; %bb.252:                              ;   in Loop: Header=BB1456_251 Depth=1
	s_add_i32 s16, s16, -1
	v_lshl_or_b32 v0, s16, 8, v2
	v_lshl_add_u64 v[10:11], v[0:1], 2, s[50:51]
	global_load_dword v0, v[10:11], off sc1
	s_waitcnt vmcnt(0)
	v_cmp_gt_u32_e64 s[0:1], 2.0, v0
	s_and_saveexec_b64 s[8:9], s[0:1]
	s_cbranch_execz .LBB1456_250
; %bb.253:                              ;   in Loop: Header=BB1456_251 Depth=1
	s_mov_b64 s[12:13], 0
.LBB1456_254:                           ;   Parent Loop BB1456_251 Depth=1
                                        ; =>  This Inner Loop Header: Depth=2
	global_load_dword v0, v[10:11], off sc1
	s_waitcnt vmcnt(0)
	v_cmp_lt_u32_e64 s[0:1], s15, v0
	s_or_b64 s[12:13], s[0:1], s[12:13]
	s_andn2_b64 exec, exec, s[12:13]
	s_cbranch_execnz .LBB1456_254
	s_branch .LBB1456_249
.LBB1456_255:                           ;   in Loop: Header=BB1456_251 Depth=1
                                        ; implicit-def: $sgpr16
	s_and_b64 s[8:9], exec, s[0:1]
	s_or_b64 s[6:7], s[8:9], s[6:7]
	s_andn2_b64 exec, exec, s[6:7]
	s_cbranch_execnz .LBB1456_251
.LBB1456_256:
	s_or_b64 exec, exec, s[6:7]
	v_add_u32_e32 v0, v49, v21
	v_or_b32_e32 v0, 0x80000000, v0
	global_store_dword v[8:9], v0, off sc1
	global_load_dword v0, v25, s[60:61]
	v_sub_u32_e32 v1, v49, v18
	s_waitcnt vmcnt(0)
	v_add_u32_e32 v0, v1, v0
	ds_write_b32 v25, v0
.LBB1456_257:
	s_or_b64 exec, exec, s[4:5]
	v_add_u32_e32 v8, v81, v14
	v_add3_u32 v0, v16, v13, v73
	v_add3_u32 v1, v20, v17, v74
	;; [unrolled: 1-line block ×15, first 2 shown]
	v_mov_b32_e32 v85, 0x400
	s_mov_b32 s6, s64
	s_mov_b32 s7, s14
	s_movk_i32 s8, 0x400
	v_lshl_add_u32 v9, v9, 2, v85
	v_add3_u32 v10, v71, v41, v28
	v_lshl_add_u32 v11, v11, 2, v85
	v_add3_u32 v14, v69, v26, v67
	v_lshl_add_u32 v26, v84, 2, v85
	v_add3_u32 v28, v66, v32, v64
	v_lshl_add_u32 v32, v83, 2, v85
	v_add3_u32 v37, v63, v37, v60
	v_lshl_add_u32 v41, v82, 2, v85
	v_add3_u32 v46, v59, v46, v57
	v_lshl_add_u32 v49, v49, 2, v85
	v_add3_u32 v52, v56, v52, v54
	v_lshl_add_u32 v54, v81, 2, v85
	v_add3_u32 v51, v53, v55, v51
	v_lshl_add_u32 v53, v72, 2, v85
	v_add3_u32 v48, v50, v80, v48
	v_lshl_add_u32 v50, v70, 2, v85
	v_add3_u32 v43, v47, v79, v43
	v_lshl_add_u32 v47, v68, 2, v85
	v_add3_u32 v38, v42, v78, v38
	v_lshl_add_u32 v42, v65, 2, v85
	v_add3_u32 v33, v35, v77, v33
	v_lshl_add_u32 v35, v62, 2, v85
	v_add3_u32 v27, v30, v76, v27
	v_lshl_add_u32 v30, v58, 2, v85
	v_add3_u32 v22, v24, v75, v22
	v_lshl_add_u32 v24, v1, 2, v85
	v_add3_u32 v17, v20, v74, v17
	v_lshl_add_u32 v20, v0, 2, v85
	v_add3_u32 v13, v16, v73, v13
	v_lshl_add_u32 v16, v8, 2, v85
	s_mov_b32 s9, 0
	s_mov_b32 s12, 0
	s_movk_i32 s13, 0x1000
	v_mov_b32_e32 v1, 0
	s_movk_i32 s15, 0x800
	s_movk_i32 s16, 0xc00
	v_mov_b32_e32 v55, v2
	s_mov_b32 s17, 0
	s_branch .LBB1456_259
.LBB1456_258:                           ;   in Loop: Header=BB1456_259 Depth=1
	s_or_b64 exec, exec, s[4:5]
	s_waitcnt lgkmcnt(0)
	s_barrier
	ds_read2st64_b32 v[56:57], v25 offset0:4 offset1:20
	ds_read2st64_b32 v[62:63], v25 offset0:36 offset1:52
	s_addk_i32 s17, 0xc000
	s_addk_i32 s12, 0xf000
	s_waitcnt lgkmcnt(1)
	v_xor_b32_e32 v60, 0x80000000, v56
	v_lshrrev_b32_e32 v56, s64, v56
	v_lshrrev_b32_e32 v0, s6, v57
	v_and_b32_e32 v56, s14, v56
	v_xor_b32_e32 v66, 0x80000000, v57
	v_and_b32_e32 v57, s7, v0
	v_lshlrev_b32_e32 v0, 2, v56
	ds_read_b32 v0, v0
	s_waitcnt lgkmcnt(1)
	v_lshrrev_b32_e32 v58, s6, v63
	v_lshrrev_b32_e32 v65, s64, v62
	v_and_b32_e32 v59, s7, v58
	v_lshlrev_b32_e32 v64, 2, v57
	v_and_b32_e32 v58, s14, v65
	v_lshlrev_b32_e32 v67, 2, v59
	v_lshlrev_b32_e32 v65, 2, v58
	ds_read_b32 v68, v64
	ds_read_b32 v69, v65
	;; [unrolled: 1-line block ×3, first 2 shown]
	s_waitcnt lgkmcnt(3)
	v_add_u32_e32 v0, v55, v0
	v_lshl_add_u64 v[64:65], v[0:1], 2, s[54:55]
	s_waitcnt lgkmcnt(2)
	v_add3_u32 v0, v55, v68, s8
	global_store_dword v[64:65], v60, off
	v_lshl_add_u64 v[64:65], v[0:1], 2, s[54:55]
	s_waitcnt lgkmcnt(1)
	v_add3_u32 v0, v55, v69, s15
	global_store_dword v[64:65], v66, off
	v_xor_b32_e32 v60, 0x80000000, v62
	v_xor_b32_e32 v64, 0x80000000, v63
	v_lshl_add_u64 v[62:63], v[0:1], 2, s[54:55]
	s_waitcnt lgkmcnt(0)
	v_add3_u32 v0, v55, v67, s16
	global_store_dword v[62:63], v60, off
	v_lshl_add_u64 v[62:63], v[0:1], 2, s[54:55]
	global_store_dword v[62:63], v64, off
	scratch_store_dwordx4 off, v[56:59], s9
	s_add_i32 s9, s9, 16
	s_cmp_eq_u32 s17, 0xffff0000
	v_add_u32_e32 v55, 0x1000, v55
	s_barrier
	s_cbranch_scc1 .LBB1456_291
.LBB1456_259:                           ; =>This Inner Loop Header: Depth=1
	v_add_u32_e32 v0, s12, v8
	v_cmp_gt_u32_e64 s[0:1], s13, v0
	s_and_saveexec_b64 s[4:5], s[0:1]
; %bb.260:                              ;   in Loop: Header=BB1456_259 Depth=1
	v_add_u32_e32 v0, s17, v16
	ds_write_b32 v0, v3
; %bb.261:                              ;   in Loop: Header=BB1456_259 Depth=1
	s_or_b64 exec, exec, s[4:5]
	v_add_u32_e32 v0, s12, v13
	v_cmp_gt_u32_e64 s[0:1], s13, v0
	s_and_saveexec_b64 s[4:5], s[0:1]
; %bb.262:                              ;   in Loop: Header=BB1456_259 Depth=1
	v_add_u32_e32 v0, s17, v20
	ds_write_b32 v0, v5
; %bb.263:                              ;   in Loop: Header=BB1456_259 Depth=1
	s_or_b64 exec, exec, s[4:5]
	;; [unrolled: 8-line block ×15, first 2 shown]
	v_add_u32_e32 v0, s12, v10
	v_cmp_gt_u32_e64 s[0:1], s13, v0
	s_and_saveexec_b64 s[4:5], s[0:1]
	s_cbranch_execz .LBB1456_258
; %bb.290:                              ;   in Loop: Header=BB1456_259 Depth=1
	v_add_u32_e32 v0, s17, v9
	ds_write_b32 v0, v61
	s_branch .LBB1456_258
.LBB1456_291:
	s_add_u32 s0, s56, s10
	s_addc_u32 s1, s57, s11
	v_mov_b32_e32 v5, 0
	v_lshl_add_u64 v[0:1], s[0:1], 0, v[4:5]
	v_mov_b32_e32 v7, v5
	v_lshl_add_u64 v[44:45], v[0:1], 0, v[6:7]
	global_load_dword v0, v[44:45], off
	global_load_dword v1, v[44:45], off offset:256
	global_load_dword v3, v[44:45], off offset:512
	global_load_dword v6, v[44:45], off offset:768
	global_load_dword v7, v[44:45], off offset:1024
	global_load_dword v12, v[44:45], off offset:1280
	global_load_dword v15, v[44:45], off offset:1536
	global_load_dword v19, v[44:45], off offset:1792
	global_load_dword v23, v[44:45], off offset:2048
	global_load_dword v29, v[44:45], off offset:2304
	global_load_dword v31, v[44:45], off offset:2560
	global_load_dword v34, v[44:45], off offset:2816
	global_load_dword v36, v[44:45], off offset:3072
	global_load_dword v39, v[44:45], off offset:3328
	global_load_dword v40, v[44:45], off offset:3584
	s_nop 0
	global_load_dword v44, v[44:45], off offset:3840
	s_mov_b32 s6, 0
	s_mov_b32 s7, 0
	s_movk_i32 s8, 0x1000
	s_movk_i32 s9, 0x400
	;; [unrolled: 1-line block ×4, first 2 shown]
	s_mov_b32 s12, 0
	s_branch .LBB1456_293
.LBB1456_292:                           ;   in Loop: Header=BB1456_293 Depth=1
	s_or_b64 exec, exec, s[4:5]
	s_waitcnt lgkmcnt(0)
	s_barrier
	scratch_load_dwordx4 v[56:59], off, s6
	ds_read2st64_b32 v[60:61], v25 offset0:4 offset1:20
	ds_read2st64_b32 v[62:63], v25 offset0:36 offset1:52
	s_addk_i32 s12, 0xc000
	s_addk_i32 s7, 0xf000
	s_add_i32 s6, s6, 16
	s_cmp_eq_u32 s12, 0xffff0000
	s_waitcnt vmcnt(0)
	v_lshlrev_b32_e32 v4, 2, v56
	ds_read_b32 v4, v4
	v_lshlrev_b32_e32 v45, 2, v57
	v_lshlrev_b32_e32 v55, 2, v58
	;; [unrolled: 1-line block ×3, first 2 shown]
	ds_read_b32 v45, v45
	ds_read_b32 v55, v55
	;; [unrolled: 1-line block ×3, first 2 shown]
	s_waitcnt lgkmcnt(3)
	v_add_u32_e32 v4, v2, v4
	v_lshl_add_u64 v[56:57], v[4:5], 2, s[58:59]
	s_waitcnt lgkmcnt(2)
	v_add3_u32 v4, v2, v45, s9
	global_store_dword v[56:57], v60, off
	v_lshl_add_u64 v[56:57], v[4:5], 2, s[58:59]
	s_waitcnt lgkmcnt(1)
	v_add3_u32 v4, v2, v55, s10
	global_store_dword v[56:57], v61, off
	;; [unrolled: 4-line block ×3, first 2 shown]
	v_lshl_add_u64 v[56:57], v[4:5], 2, s[58:59]
	v_add_u32_e32 v2, 0x1000, v2
	global_store_dword v[56:57], v63, off
	s_barrier
	s_cbranch_scc1 .LBB1456_325
.LBB1456_293:                           ; =>This Inner Loop Header: Depth=1
	v_add_u32_e32 v4, s7, v8
	v_cmp_gt_u32_e64 s[0:1], s8, v4
	s_and_saveexec_b64 s[4:5], s[0:1]
	s_cbranch_execz .LBB1456_295
; %bb.294:                              ;   in Loop: Header=BB1456_293 Depth=1
	v_add_u32_e32 v4, s12, v16
	s_waitcnt vmcnt(15)
	ds_write_b32 v4, v0
.LBB1456_295:                           ;   in Loop: Header=BB1456_293 Depth=1
	s_or_b64 exec, exec, s[4:5]
	v_add_u32_e32 v4, s7, v13
	v_cmp_gt_u32_e64 s[0:1], s8, v4
	s_and_saveexec_b64 s[4:5], s[0:1]
	s_cbranch_execz .LBB1456_297
; %bb.296:                              ;   in Loop: Header=BB1456_293 Depth=1
	v_add_u32_e32 v4, s12, v20
	s_waitcnt vmcnt(14)
	ds_write_b32 v4, v1
.LBB1456_297:                           ;   in Loop: Header=BB1456_293 Depth=1
	s_or_b64 exec, exec, s[4:5]
	;; [unrolled: 10-line block ×15, first 2 shown]
	v_add_u32_e32 v4, s7, v10
	v_cmp_gt_u32_e64 s[0:1], s8, v4
	s_and_saveexec_b64 s[4:5], s[0:1]
	s_cbranch_execz .LBB1456_292
; %bb.324:                              ;   in Loop: Header=BB1456_293 Depth=1
	v_add_u32_e32 v4, s12, v9
	s_waitcnt vmcnt(0)
	ds_write_b32 v4, v44
	s_branch .LBB1456_292
.LBB1456_325:
	s_add_i32 s3, s3, -1
	s_cmp_eq_u32 s2, s3
	s_cselect_b64 s[0:1], -1, 0
	s_xor_b64 s[2:3], vcc, -1
	s_and_b64 s[0:1], s[2:3], s[0:1]
	s_and_saveexec_b64 s[2:3], s[0:1]
	s_cbranch_execz .LBB1456_327
; %bb.326:
	ds_read_b32 v0, v25
	s_waitcnt lgkmcnt(0)
	v_add3_u32 v0, v18, v21, v0
	global_store_dword v25, v0, s[62:63]
.LBB1456_327:
	s_endpgm
	.section	.rodata,"a",@progbits
	.p2align	6, 0x0
	.amdhsa_kernel _ZN7rocprim17ROCPRIM_400000_NS6detail17trampoline_kernelINS0_14default_configENS1_35radix_sort_onesweep_config_selectorIiiEEZZNS1_29radix_sort_onesweep_iterationIS3_Lb0EN6thrust23THRUST_200600_302600_NS6detail15normal_iteratorINS8_10device_ptrIiEEEESD_SD_SD_jNS0_19identity_decomposerENS1_16block_id_wrapperIjLb0EEEEE10hipError_tT1_PNSt15iterator_traitsISI_E10value_typeET2_T3_PNSJ_ISO_E10value_typeET4_T5_PST_SU_PNS1_23onesweep_lookback_stateEbbT6_jjT7_P12ihipStream_tbENKUlT_T0_SI_SN_E_clISD_PiSD_S15_EEDaS11_S12_SI_SN_EUlS11_E_NS1_11comp_targetILNS1_3genE6ELNS1_11target_archE950ELNS1_3gpuE13ELNS1_3repE0EEENS1_47radix_sort_onesweep_sort_config_static_selectorELNS0_4arch9wavefront6targetE1EEEvSI_
		.amdhsa_group_segment_fixed_size 20552
		.amdhsa_private_segment_fixed_size 80
		.amdhsa_kernarg_size 344
		.amdhsa_user_sgpr_count 2
		.amdhsa_user_sgpr_dispatch_ptr 0
		.amdhsa_user_sgpr_queue_ptr 0
		.amdhsa_user_sgpr_kernarg_segment_ptr 1
		.amdhsa_user_sgpr_dispatch_id 0
		.amdhsa_user_sgpr_kernarg_preload_length 0
		.amdhsa_user_sgpr_kernarg_preload_offset 0
		.amdhsa_user_sgpr_private_segment_size 0
		.amdhsa_uses_dynamic_stack 0
		.amdhsa_enable_private_segment 1
		.amdhsa_system_sgpr_workgroup_id_x 1
		.amdhsa_system_sgpr_workgroup_id_y 0
		.amdhsa_system_sgpr_workgroup_id_z 0
		.amdhsa_system_sgpr_workgroup_info 0
		.amdhsa_system_vgpr_workitem_id 2
		.amdhsa_next_free_vgpr 88
		.amdhsa_next_free_sgpr 70
		.amdhsa_accum_offset 88
		.amdhsa_reserve_vcc 1
		.amdhsa_float_round_mode_32 0
		.amdhsa_float_round_mode_16_64 0
		.amdhsa_float_denorm_mode_32 3
		.amdhsa_float_denorm_mode_16_64 3
		.amdhsa_dx10_clamp 1
		.amdhsa_ieee_mode 1
		.amdhsa_fp16_overflow 0
		.amdhsa_tg_split 0
		.amdhsa_exception_fp_ieee_invalid_op 0
		.amdhsa_exception_fp_denorm_src 0
		.amdhsa_exception_fp_ieee_div_zero 0
		.amdhsa_exception_fp_ieee_overflow 0
		.amdhsa_exception_fp_ieee_underflow 0
		.amdhsa_exception_fp_ieee_inexact 0
		.amdhsa_exception_int_div_zero 0
	.end_amdhsa_kernel
	.section	.text._ZN7rocprim17ROCPRIM_400000_NS6detail17trampoline_kernelINS0_14default_configENS1_35radix_sort_onesweep_config_selectorIiiEEZZNS1_29radix_sort_onesweep_iterationIS3_Lb0EN6thrust23THRUST_200600_302600_NS6detail15normal_iteratorINS8_10device_ptrIiEEEESD_SD_SD_jNS0_19identity_decomposerENS1_16block_id_wrapperIjLb0EEEEE10hipError_tT1_PNSt15iterator_traitsISI_E10value_typeET2_T3_PNSJ_ISO_E10value_typeET4_T5_PST_SU_PNS1_23onesweep_lookback_stateEbbT6_jjT7_P12ihipStream_tbENKUlT_T0_SI_SN_E_clISD_PiSD_S15_EEDaS11_S12_SI_SN_EUlS11_E_NS1_11comp_targetILNS1_3genE6ELNS1_11target_archE950ELNS1_3gpuE13ELNS1_3repE0EEENS1_47radix_sort_onesweep_sort_config_static_selectorELNS0_4arch9wavefront6targetE1EEEvSI_,"axG",@progbits,_ZN7rocprim17ROCPRIM_400000_NS6detail17trampoline_kernelINS0_14default_configENS1_35radix_sort_onesweep_config_selectorIiiEEZZNS1_29radix_sort_onesweep_iterationIS3_Lb0EN6thrust23THRUST_200600_302600_NS6detail15normal_iteratorINS8_10device_ptrIiEEEESD_SD_SD_jNS0_19identity_decomposerENS1_16block_id_wrapperIjLb0EEEEE10hipError_tT1_PNSt15iterator_traitsISI_E10value_typeET2_T3_PNSJ_ISO_E10value_typeET4_T5_PST_SU_PNS1_23onesweep_lookback_stateEbbT6_jjT7_P12ihipStream_tbENKUlT_T0_SI_SN_E_clISD_PiSD_S15_EEDaS11_S12_SI_SN_EUlS11_E_NS1_11comp_targetILNS1_3genE6ELNS1_11target_archE950ELNS1_3gpuE13ELNS1_3repE0EEENS1_47radix_sort_onesweep_sort_config_static_selectorELNS0_4arch9wavefront6targetE1EEEvSI_,comdat
.Lfunc_end1456:
	.size	_ZN7rocprim17ROCPRIM_400000_NS6detail17trampoline_kernelINS0_14default_configENS1_35radix_sort_onesweep_config_selectorIiiEEZZNS1_29radix_sort_onesweep_iterationIS3_Lb0EN6thrust23THRUST_200600_302600_NS6detail15normal_iteratorINS8_10device_ptrIiEEEESD_SD_SD_jNS0_19identity_decomposerENS1_16block_id_wrapperIjLb0EEEEE10hipError_tT1_PNSt15iterator_traitsISI_E10value_typeET2_T3_PNSJ_ISO_E10value_typeET4_T5_PST_SU_PNS1_23onesweep_lookback_stateEbbT6_jjT7_P12ihipStream_tbENKUlT_T0_SI_SN_E_clISD_PiSD_S15_EEDaS11_S12_SI_SN_EUlS11_E_NS1_11comp_targetILNS1_3genE6ELNS1_11target_archE950ELNS1_3gpuE13ELNS1_3repE0EEENS1_47radix_sort_onesweep_sort_config_static_selectorELNS0_4arch9wavefront6targetE1EEEvSI_, .Lfunc_end1456-_ZN7rocprim17ROCPRIM_400000_NS6detail17trampoline_kernelINS0_14default_configENS1_35radix_sort_onesweep_config_selectorIiiEEZZNS1_29radix_sort_onesweep_iterationIS3_Lb0EN6thrust23THRUST_200600_302600_NS6detail15normal_iteratorINS8_10device_ptrIiEEEESD_SD_SD_jNS0_19identity_decomposerENS1_16block_id_wrapperIjLb0EEEEE10hipError_tT1_PNSt15iterator_traitsISI_E10value_typeET2_T3_PNSJ_ISO_E10value_typeET4_T5_PST_SU_PNS1_23onesweep_lookback_stateEbbT6_jjT7_P12ihipStream_tbENKUlT_T0_SI_SN_E_clISD_PiSD_S15_EEDaS11_S12_SI_SN_EUlS11_E_NS1_11comp_targetILNS1_3genE6ELNS1_11target_archE950ELNS1_3gpuE13ELNS1_3repE0EEENS1_47radix_sort_onesweep_sort_config_static_selectorELNS0_4arch9wavefront6targetE1EEEvSI_
                                        ; -- End function
	.set _ZN7rocprim17ROCPRIM_400000_NS6detail17trampoline_kernelINS0_14default_configENS1_35radix_sort_onesweep_config_selectorIiiEEZZNS1_29radix_sort_onesweep_iterationIS3_Lb0EN6thrust23THRUST_200600_302600_NS6detail15normal_iteratorINS8_10device_ptrIiEEEESD_SD_SD_jNS0_19identity_decomposerENS1_16block_id_wrapperIjLb0EEEEE10hipError_tT1_PNSt15iterator_traitsISI_E10value_typeET2_T3_PNSJ_ISO_E10value_typeET4_T5_PST_SU_PNS1_23onesweep_lookback_stateEbbT6_jjT7_P12ihipStream_tbENKUlT_T0_SI_SN_E_clISD_PiSD_S15_EEDaS11_S12_SI_SN_EUlS11_E_NS1_11comp_targetILNS1_3genE6ELNS1_11target_archE950ELNS1_3gpuE13ELNS1_3repE0EEENS1_47radix_sort_onesweep_sort_config_static_selectorELNS0_4arch9wavefront6targetE1EEEvSI_.num_vgpr, 88
	.set _ZN7rocprim17ROCPRIM_400000_NS6detail17trampoline_kernelINS0_14default_configENS1_35radix_sort_onesweep_config_selectorIiiEEZZNS1_29radix_sort_onesweep_iterationIS3_Lb0EN6thrust23THRUST_200600_302600_NS6detail15normal_iteratorINS8_10device_ptrIiEEEESD_SD_SD_jNS0_19identity_decomposerENS1_16block_id_wrapperIjLb0EEEEE10hipError_tT1_PNSt15iterator_traitsISI_E10value_typeET2_T3_PNSJ_ISO_E10value_typeET4_T5_PST_SU_PNS1_23onesweep_lookback_stateEbbT6_jjT7_P12ihipStream_tbENKUlT_T0_SI_SN_E_clISD_PiSD_S15_EEDaS11_S12_SI_SN_EUlS11_E_NS1_11comp_targetILNS1_3genE6ELNS1_11target_archE950ELNS1_3gpuE13ELNS1_3repE0EEENS1_47radix_sort_onesweep_sort_config_static_selectorELNS0_4arch9wavefront6targetE1EEEvSI_.num_agpr, 0
	.set _ZN7rocprim17ROCPRIM_400000_NS6detail17trampoline_kernelINS0_14default_configENS1_35radix_sort_onesweep_config_selectorIiiEEZZNS1_29radix_sort_onesweep_iterationIS3_Lb0EN6thrust23THRUST_200600_302600_NS6detail15normal_iteratorINS8_10device_ptrIiEEEESD_SD_SD_jNS0_19identity_decomposerENS1_16block_id_wrapperIjLb0EEEEE10hipError_tT1_PNSt15iterator_traitsISI_E10value_typeET2_T3_PNSJ_ISO_E10value_typeET4_T5_PST_SU_PNS1_23onesweep_lookback_stateEbbT6_jjT7_P12ihipStream_tbENKUlT_T0_SI_SN_E_clISD_PiSD_S15_EEDaS11_S12_SI_SN_EUlS11_E_NS1_11comp_targetILNS1_3genE6ELNS1_11target_archE950ELNS1_3gpuE13ELNS1_3repE0EEENS1_47radix_sort_onesweep_sort_config_static_selectorELNS0_4arch9wavefront6targetE1EEEvSI_.numbered_sgpr, 70
	.set _ZN7rocprim17ROCPRIM_400000_NS6detail17trampoline_kernelINS0_14default_configENS1_35radix_sort_onesweep_config_selectorIiiEEZZNS1_29radix_sort_onesweep_iterationIS3_Lb0EN6thrust23THRUST_200600_302600_NS6detail15normal_iteratorINS8_10device_ptrIiEEEESD_SD_SD_jNS0_19identity_decomposerENS1_16block_id_wrapperIjLb0EEEEE10hipError_tT1_PNSt15iterator_traitsISI_E10value_typeET2_T3_PNSJ_ISO_E10value_typeET4_T5_PST_SU_PNS1_23onesweep_lookback_stateEbbT6_jjT7_P12ihipStream_tbENKUlT_T0_SI_SN_E_clISD_PiSD_S15_EEDaS11_S12_SI_SN_EUlS11_E_NS1_11comp_targetILNS1_3genE6ELNS1_11target_archE950ELNS1_3gpuE13ELNS1_3repE0EEENS1_47radix_sort_onesweep_sort_config_static_selectorELNS0_4arch9wavefront6targetE1EEEvSI_.num_named_barrier, 0
	.set _ZN7rocprim17ROCPRIM_400000_NS6detail17trampoline_kernelINS0_14default_configENS1_35radix_sort_onesweep_config_selectorIiiEEZZNS1_29radix_sort_onesweep_iterationIS3_Lb0EN6thrust23THRUST_200600_302600_NS6detail15normal_iteratorINS8_10device_ptrIiEEEESD_SD_SD_jNS0_19identity_decomposerENS1_16block_id_wrapperIjLb0EEEEE10hipError_tT1_PNSt15iterator_traitsISI_E10value_typeET2_T3_PNSJ_ISO_E10value_typeET4_T5_PST_SU_PNS1_23onesweep_lookback_stateEbbT6_jjT7_P12ihipStream_tbENKUlT_T0_SI_SN_E_clISD_PiSD_S15_EEDaS11_S12_SI_SN_EUlS11_E_NS1_11comp_targetILNS1_3genE6ELNS1_11target_archE950ELNS1_3gpuE13ELNS1_3repE0EEENS1_47radix_sort_onesweep_sort_config_static_selectorELNS0_4arch9wavefront6targetE1EEEvSI_.private_seg_size, 80
	.set _ZN7rocprim17ROCPRIM_400000_NS6detail17trampoline_kernelINS0_14default_configENS1_35radix_sort_onesweep_config_selectorIiiEEZZNS1_29radix_sort_onesweep_iterationIS3_Lb0EN6thrust23THRUST_200600_302600_NS6detail15normal_iteratorINS8_10device_ptrIiEEEESD_SD_SD_jNS0_19identity_decomposerENS1_16block_id_wrapperIjLb0EEEEE10hipError_tT1_PNSt15iterator_traitsISI_E10value_typeET2_T3_PNSJ_ISO_E10value_typeET4_T5_PST_SU_PNS1_23onesweep_lookback_stateEbbT6_jjT7_P12ihipStream_tbENKUlT_T0_SI_SN_E_clISD_PiSD_S15_EEDaS11_S12_SI_SN_EUlS11_E_NS1_11comp_targetILNS1_3genE6ELNS1_11target_archE950ELNS1_3gpuE13ELNS1_3repE0EEENS1_47radix_sort_onesweep_sort_config_static_selectorELNS0_4arch9wavefront6targetE1EEEvSI_.uses_vcc, 1
	.set _ZN7rocprim17ROCPRIM_400000_NS6detail17trampoline_kernelINS0_14default_configENS1_35radix_sort_onesweep_config_selectorIiiEEZZNS1_29radix_sort_onesweep_iterationIS3_Lb0EN6thrust23THRUST_200600_302600_NS6detail15normal_iteratorINS8_10device_ptrIiEEEESD_SD_SD_jNS0_19identity_decomposerENS1_16block_id_wrapperIjLb0EEEEE10hipError_tT1_PNSt15iterator_traitsISI_E10value_typeET2_T3_PNSJ_ISO_E10value_typeET4_T5_PST_SU_PNS1_23onesweep_lookback_stateEbbT6_jjT7_P12ihipStream_tbENKUlT_T0_SI_SN_E_clISD_PiSD_S15_EEDaS11_S12_SI_SN_EUlS11_E_NS1_11comp_targetILNS1_3genE6ELNS1_11target_archE950ELNS1_3gpuE13ELNS1_3repE0EEENS1_47radix_sort_onesweep_sort_config_static_selectorELNS0_4arch9wavefront6targetE1EEEvSI_.uses_flat_scratch, 0
	.set _ZN7rocprim17ROCPRIM_400000_NS6detail17trampoline_kernelINS0_14default_configENS1_35radix_sort_onesweep_config_selectorIiiEEZZNS1_29radix_sort_onesweep_iterationIS3_Lb0EN6thrust23THRUST_200600_302600_NS6detail15normal_iteratorINS8_10device_ptrIiEEEESD_SD_SD_jNS0_19identity_decomposerENS1_16block_id_wrapperIjLb0EEEEE10hipError_tT1_PNSt15iterator_traitsISI_E10value_typeET2_T3_PNSJ_ISO_E10value_typeET4_T5_PST_SU_PNS1_23onesweep_lookback_stateEbbT6_jjT7_P12ihipStream_tbENKUlT_T0_SI_SN_E_clISD_PiSD_S15_EEDaS11_S12_SI_SN_EUlS11_E_NS1_11comp_targetILNS1_3genE6ELNS1_11target_archE950ELNS1_3gpuE13ELNS1_3repE0EEENS1_47radix_sort_onesweep_sort_config_static_selectorELNS0_4arch9wavefront6targetE1EEEvSI_.has_dyn_sized_stack, 0
	.set _ZN7rocprim17ROCPRIM_400000_NS6detail17trampoline_kernelINS0_14default_configENS1_35radix_sort_onesweep_config_selectorIiiEEZZNS1_29radix_sort_onesweep_iterationIS3_Lb0EN6thrust23THRUST_200600_302600_NS6detail15normal_iteratorINS8_10device_ptrIiEEEESD_SD_SD_jNS0_19identity_decomposerENS1_16block_id_wrapperIjLb0EEEEE10hipError_tT1_PNSt15iterator_traitsISI_E10value_typeET2_T3_PNSJ_ISO_E10value_typeET4_T5_PST_SU_PNS1_23onesweep_lookback_stateEbbT6_jjT7_P12ihipStream_tbENKUlT_T0_SI_SN_E_clISD_PiSD_S15_EEDaS11_S12_SI_SN_EUlS11_E_NS1_11comp_targetILNS1_3genE6ELNS1_11target_archE950ELNS1_3gpuE13ELNS1_3repE0EEENS1_47radix_sort_onesweep_sort_config_static_selectorELNS0_4arch9wavefront6targetE1EEEvSI_.has_recursion, 0
	.set _ZN7rocprim17ROCPRIM_400000_NS6detail17trampoline_kernelINS0_14default_configENS1_35radix_sort_onesweep_config_selectorIiiEEZZNS1_29radix_sort_onesweep_iterationIS3_Lb0EN6thrust23THRUST_200600_302600_NS6detail15normal_iteratorINS8_10device_ptrIiEEEESD_SD_SD_jNS0_19identity_decomposerENS1_16block_id_wrapperIjLb0EEEEE10hipError_tT1_PNSt15iterator_traitsISI_E10value_typeET2_T3_PNSJ_ISO_E10value_typeET4_T5_PST_SU_PNS1_23onesweep_lookback_stateEbbT6_jjT7_P12ihipStream_tbENKUlT_T0_SI_SN_E_clISD_PiSD_S15_EEDaS11_S12_SI_SN_EUlS11_E_NS1_11comp_targetILNS1_3genE6ELNS1_11target_archE950ELNS1_3gpuE13ELNS1_3repE0EEENS1_47radix_sort_onesweep_sort_config_static_selectorELNS0_4arch9wavefront6targetE1EEEvSI_.has_indirect_call, 0
	.section	.AMDGPU.csdata,"",@progbits
; Kernel info:
; codeLenInByte = 22584
; TotalNumSgprs: 76
; NumVgprs: 88
; NumAgprs: 0
; TotalNumVgprs: 88
; ScratchSize: 80
; MemoryBound: 0
; FloatMode: 240
; IeeeMode: 1
; LDSByteSize: 20552 bytes/workgroup (compile time only)
; SGPRBlocks: 9
; VGPRBlocks: 10
; NumSGPRsForWavesPerEU: 76
; NumVGPRsForWavesPerEU: 88
; AccumOffset: 88
; Occupancy: 5
; WaveLimiterHint : 1
; COMPUTE_PGM_RSRC2:SCRATCH_EN: 1
; COMPUTE_PGM_RSRC2:USER_SGPR: 2
; COMPUTE_PGM_RSRC2:TRAP_HANDLER: 0
; COMPUTE_PGM_RSRC2:TGID_X_EN: 1
; COMPUTE_PGM_RSRC2:TGID_Y_EN: 0
; COMPUTE_PGM_RSRC2:TGID_Z_EN: 0
; COMPUTE_PGM_RSRC2:TIDIG_COMP_CNT: 2
; COMPUTE_PGM_RSRC3_GFX90A:ACCUM_OFFSET: 21
; COMPUTE_PGM_RSRC3_GFX90A:TG_SPLIT: 0
	.section	.text._ZN7rocprim17ROCPRIM_400000_NS6detail17trampoline_kernelINS0_14default_configENS1_35radix_sort_onesweep_config_selectorIiiEEZZNS1_29radix_sort_onesweep_iterationIS3_Lb0EN6thrust23THRUST_200600_302600_NS6detail15normal_iteratorINS8_10device_ptrIiEEEESD_SD_SD_jNS0_19identity_decomposerENS1_16block_id_wrapperIjLb0EEEEE10hipError_tT1_PNSt15iterator_traitsISI_E10value_typeET2_T3_PNSJ_ISO_E10value_typeET4_T5_PST_SU_PNS1_23onesweep_lookback_stateEbbT6_jjT7_P12ihipStream_tbENKUlT_T0_SI_SN_E_clISD_PiSD_S15_EEDaS11_S12_SI_SN_EUlS11_E_NS1_11comp_targetILNS1_3genE5ELNS1_11target_archE942ELNS1_3gpuE9ELNS1_3repE0EEENS1_47radix_sort_onesweep_sort_config_static_selectorELNS0_4arch9wavefront6targetE1EEEvSI_,"axG",@progbits,_ZN7rocprim17ROCPRIM_400000_NS6detail17trampoline_kernelINS0_14default_configENS1_35radix_sort_onesweep_config_selectorIiiEEZZNS1_29radix_sort_onesweep_iterationIS3_Lb0EN6thrust23THRUST_200600_302600_NS6detail15normal_iteratorINS8_10device_ptrIiEEEESD_SD_SD_jNS0_19identity_decomposerENS1_16block_id_wrapperIjLb0EEEEE10hipError_tT1_PNSt15iterator_traitsISI_E10value_typeET2_T3_PNSJ_ISO_E10value_typeET4_T5_PST_SU_PNS1_23onesweep_lookback_stateEbbT6_jjT7_P12ihipStream_tbENKUlT_T0_SI_SN_E_clISD_PiSD_S15_EEDaS11_S12_SI_SN_EUlS11_E_NS1_11comp_targetILNS1_3genE5ELNS1_11target_archE942ELNS1_3gpuE9ELNS1_3repE0EEENS1_47radix_sort_onesweep_sort_config_static_selectorELNS0_4arch9wavefront6targetE1EEEvSI_,comdat
	.protected	_ZN7rocprim17ROCPRIM_400000_NS6detail17trampoline_kernelINS0_14default_configENS1_35radix_sort_onesweep_config_selectorIiiEEZZNS1_29radix_sort_onesweep_iterationIS3_Lb0EN6thrust23THRUST_200600_302600_NS6detail15normal_iteratorINS8_10device_ptrIiEEEESD_SD_SD_jNS0_19identity_decomposerENS1_16block_id_wrapperIjLb0EEEEE10hipError_tT1_PNSt15iterator_traitsISI_E10value_typeET2_T3_PNSJ_ISO_E10value_typeET4_T5_PST_SU_PNS1_23onesweep_lookback_stateEbbT6_jjT7_P12ihipStream_tbENKUlT_T0_SI_SN_E_clISD_PiSD_S15_EEDaS11_S12_SI_SN_EUlS11_E_NS1_11comp_targetILNS1_3genE5ELNS1_11target_archE942ELNS1_3gpuE9ELNS1_3repE0EEENS1_47radix_sort_onesweep_sort_config_static_selectorELNS0_4arch9wavefront6targetE1EEEvSI_ ; -- Begin function _ZN7rocprim17ROCPRIM_400000_NS6detail17trampoline_kernelINS0_14default_configENS1_35radix_sort_onesweep_config_selectorIiiEEZZNS1_29radix_sort_onesweep_iterationIS3_Lb0EN6thrust23THRUST_200600_302600_NS6detail15normal_iteratorINS8_10device_ptrIiEEEESD_SD_SD_jNS0_19identity_decomposerENS1_16block_id_wrapperIjLb0EEEEE10hipError_tT1_PNSt15iterator_traitsISI_E10value_typeET2_T3_PNSJ_ISO_E10value_typeET4_T5_PST_SU_PNS1_23onesweep_lookback_stateEbbT6_jjT7_P12ihipStream_tbENKUlT_T0_SI_SN_E_clISD_PiSD_S15_EEDaS11_S12_SI_SN_EUlS11_E_NS1_11comp_targetILNS1_3genE5ELNS1_11target_archE942ELNS1_3gpuE9ELNS1_3repE0EEENS1_47radix_sort_onesweep_sort_config_static_selectorELNS0_4arch9wavefront6targetE1EEEvSI_
	.globl	_ZN7rocprim17ROCPRIM_400000_NS6detail17trampoline_kernelINS0_14default_configENS1_35radix_sort_onesweep_config_selectorIiiEEZZNS1_29radix_sort_onesweep_iterationIS3_Lb0EN6thrust23THRUST_200600_302600_NS6detail15normal_iteratorINS8_10device_ptrIiEEEESD_SD_SD_jNS0_19identity_decomposerENS1_16block_id_wrapperIjLb0EEEEE10hipError_tT1_PNSt15iterator_traitsISI_E10value_typeET2_T3_PNSJ_ISO_E10value_typeET4_T5_PST_SU_PNS1_23onesweep_lookback_stateEbbT6_jjT7_P12ihipStream_tbENKUlT_T0_SI_SN_E_clISD_PiSD_S15_EEDaS11_S12_SI_SN_EUlS11_E_NS1_11comp_targetILNS1_3genE5ELNS1_11target_archE942ELNS1_3gpuE9ELNS1_3repE0EEENS1_47radix_sort_onesweep_sort_config_static_selectorELNS0_4arch9wavefront6targetE1EEEvSI_
	.p2align	8
	.type	_ZN7rocprim17ROCPRIM_400000_NS6detail17trampoline_kernelINS0_14default_configENS1_35radix_sort_onesweep_config_selectorIiiEEZZNS1_29radix_sort_onesweep_iterationIS3_Lb0EN6thrust23THRUST_200600_302600_NS6detail15normal_iteratorINS8_10device_ptrIiEEEESD_SD_SD_jNS0_19identity_decomposerENS1_16block_id_wrapperIjLb0EEEEE10hipError_tT1_PNSt15iterator_traitsISI_E10value_typeET2_T3_PNSJ_ISO_E10value_typeET4_T5_PST_SU_PNS1_23onesweep_lookback_stateEbbT6_jjT7_P12ihipStream_tbENKUlT_T0_SI_SN_E_clISD_PiSD_S15_EEDaS11_S12_SI_SN_EUlS11_E_NS1_11comp_targetILNS1_3genE5ELNS1_11target_archE942ELNS1_3gpuE9ELNS1_3repE0EEENS1_47radix_sort_onesweep_sort_config_static_selectorELNS0_4arch9wavefront6targetE1EEEvSI_,@function
_ZN7rocprim17ROCPRIM_400000_NS6detail17trampoline_kernelINS0_14default_configENS1_35radix_sort_onesweep_config_selectorIiiEEZZNS1_29radix_sort_onesweep_iterationIS3_Lb0EN6thrust23THRUST_200600_302600_NS6detail15normal_iteratorINS8_10device_ptrIiEEEESD_SD_SD_jNS0_19identity_decomposerENS1_16block_id_wrapperIjLb0EEEEE10hipError_tT1_PNSt15iterator_traitsISI_E10value_typeET2_T3_PNSJ_ISO_E10value_typeET4_T5_PST_SU_PNS1_23onesweep_lookback_stateEbbT6_jjT7_P12ihipStream_tbENKUlT_T0_SI_SN_E_clISD_PiSD_S15_EEDaS11_S12_SI_SN_EUlS11_E_NS1_11comp_targetILNS1_3genE5ELNS1_11target_archE942ELNS1_3gpuE9ELNS1_3repE0EEENS1_47radix_sort_onesweep_sort_config_static_selectorELNS0_4arch9wavefront6targetE1EEEvSI_: ; @_ZN7rocprim17ROCPRIM_400000_NS6detail17trampoline_kernelINS0_14default_configENS1_35radix_sort_onesweep_config_selectorIiiEEZZNS1_29radix_sort_onesweep_iterationIS3_Lb0EN6thrust23THRUST_200600_302600_NS6detail15normal_iteratorINS8_10device_ptrIiEEEESD_SD_SD_jNS0_19identity_decomposerENS1_16block_id_wrapperIjLb0EEEEE10hipError_tT1_PNSt15iterator_traitsISI_E10value_typeET2_T3_PNSJ_ISO_E10value_typeET4_T5_PST_SU_PNS1_23onesweep_lookback_stateEbbT6_jjT7_P12ihipStream_tbENKUlT_T0_SI_SN_E_clISD_PiSD_S15_EEDaS11_S12_SI_SN_EUlS11_E_NS1_11comp_targetILNS1_3genE5ELNS1_11target_archE942ELNS1_3gpuE9ELNS1_3repE0EEENS1_47radix_sort_onesweep_sort_config_static_selectorELNS0_4arch9wavefront6targetE1EEEvSI_
; %bb.0:
	.section	.rodata,"a",@progbits
	.p2align	6, 0x0
	.amdhsa_kernel _ZN7rocprim17ROCPRIM_400000_NS6detail17trampoline_kernelINS0_14default_configENS1_35radix_sort_onesweep_config_selectorIiiEEZZNS1_29radix_sort_onesweep_iterationIS3_Lb0EN6thrust23THRUST_200600_302600_NS6detail15normal_iteratorINS8_10device_ptrIiEEEESD_SD_SD_jNS0_19identity_decomposerENS1_16block_id_wrapperIjLb0EEEEE10hipError_tT1_PNSt15iterator_traitsISI_E10value_typeET2_T3_PNSJ_ISO_E10value_typeET4_T5_PST_SU_PNS1_23onesweep_lookback_stateEbbT6_jjT7_P12ihipStream_tbENKUlT_T0_SI_SN_E_clISD_PiSD_S15_EEDaS11_S12_SI_SN_EUlS11_E_NS1_11comp_targetILNS1_3genE5ELNS1_11target_archE942ELNS1_3gpuE9ELNS1_3repE0EEENS1_47radix_sort_onesweep_sort_config_static_selectorELNS0_4arch9wavefront6targetE1EEEvSI_
		.amdhsa_group_segment_fixed_size 0
		.amdhsa_private_segment_fixed_size 0
		.amdhsa_kernarg_size 88
		.amdhsa_user_sgpr_count 2
		.amdhsa_user_sgpr_dispatch_ptr 0
		.amdhsa_user_sgpr_queue_ptr 0
		.amdhsa_user_sgpr_kernarg_segment_ptr 1
		.amdhsa_user_sgpr_dispatch_id 0
		.amdhsa_user_sgpr_kernarg_preload_length 0
		.amdhsa_user_sgpr_kernarg_preload_offset 0
		.amdhsa_user_sgpr_private_segment_size 0
		.amdhsa_uses_dynamic_stack 0
		.amdhsa_enable_private_segment 0
		.amdhsa_system_sgpr_workgroup_id_x 1
		.amdhsa_system_sgpr_workgroup_id_y 0
		.amdhsa_system_sgpr_workgroup_id_z 0
		.amdhsa_system_sgpr_workgroup_info 0
		.amdhsa_system_vgpr_workitem_id 0
		.amdhsa_next_free_vgpr 1
		.amdhsa_next_free_sgpr 0
		.amdhsa_accum_offset 4
		.amdhsa_reserve_vcc 0
		.amdhsa_float_round_mode_32 0
		.amdhsa_float_round_mode_16_64 0
		.amdhsa_float_denorm_mode_32 3
		.amdhsa_float_denorm_mode_16_64 3
		.amdhsa_dx10_clamp 1
		.amdhsa_ieee_mode 1
		.amdhsa_fp16_overflow 0
		.amdhsa_tg_split 0
		.amdhsa_exception_fp_ieee_invalid_op 0
		.amdhsa_exception_fp_denorm_src 0
		.amdhsa_exception_fp_ieee_div_zero 0
		.amdhsa_exception_fp_ieee_overflow 0
		.amdhsa_exception_fp_ieee_underflow 0
		.amdhsa_exception_fp_ieee_inexact 0
		.amdhsa_exception_int_div_zero 0
	.end_amdhsa_kernel
	.section	.text._ZN7rocprim17ROCPRIM_400000_NS6detail17trampoline_kernelINS0_14default_configENS1_35radix_sort_onesweep_config_selectorIiiEEZZNS1_29radix_sort_onesweep_iterationIS3_Lb0EN6thrust23THRUST_200600_302600_NS6detail15normal_iteratorINS8_10device_ptrIiEEEESD_SD_SD_jNS0_19identity_decomposerENS1_16block_id_wrapperIjLb0EEEEE10hipError_tT1_PNSt15iterator_traitsISI_E10value_typeET2_T3_PNSJ_ISO_E10value_typeET4_T5_PST_SU_PNS1_23onesweep_lookback_stateEbbT6_jjT7_P12ihipStream_tbENKUlT_T0_SI_SN_E_clISD_PiSD_S15_EEDaS11_S12_SI_SN_EUlS11_E_NS1_11comp_targetILNS1_3genE5ELNS1_11target_archE942ELNS1_3gpuE9ELNS1_3repE0EEENS1_47radix_sort_onesweep_sort_config_static_selectorELNS0_4arch9wavefront6targetE1EEEvSI_,"axG",@progbits,_ZN7rocprim17ROCPRIM_400000_NS6detail17trampoline_kernelINS0_14default_configENS1_35radix_sort_onesweep_config_selectorIiiEEZZNS1_29radix_sort_onesweep_iterationIS3_Lb0EN6thrust23THRUST_200600_302600_NS6detail15normal_iteratorINS8_10device_ptrIiEEEESD_SD_SD_jNS0_19identity_decomposerENS1_16block_id_wrapperIjLb0EEEEE10hipError_tT1_PNSt15iterator_traitsISI_E10value_typeET2_T3_PNSJ_ISO_E10value_typeET4_T5_PST_SU_PNS1_23onesweep_lookback_stateEbbT6_jjT7_P12ihipStream_tbENKUlT_T0_SI_SN_E_clISD_PiSD_S15_EEDaS11_S12_SI_SN_EUlS11_E_NS1_11comp_targetILNS1_3genE5ELNS1_11target_archE942ELNS1_3gpuE9ELNS1_3repE0EEENS1_47radix_sort_onesweep_sort_config_static_selectorELNS0_4arch9wavefront6targetE1EEEvSI_,comdat
.Lfunc_end1457:
	.size	_ZN7rocprim17ROCPRIM_400000_NS6detail17trampoline_kernelINS0_14default_configENS1_35radix_sort_onesweep_config_selectorIiiEEZZNS1_29radix_sort_onesweep_iterationIS3_Lb0EN6thrust23THRUST_200600_302600_NS6detail15normal_iteratorINS8_10device_ptrIiEEEESD_SD_SD_jNS0_19identity_decomposerENS1_16block_id_wrapperIjLb0EEEEE10hipError_tT1_PNSt15iterator_traitsISI_E10value_typeET2_T3_PNSJ_ISO_E10value_typeET4_T5_PST_SU_PNS1_23onesweep_lookback_stateEbbT6_jjT7_P12ihipStream_tbENKUlT_T0_SI_SN_E_clISD_PiSD_S15_EEDaS11_S12_SI_SN_EUlS11_E_NS1_11comp_targetILNS1_3genE5ELNS1_11target_archE942ELNS1_3gpuE9ELNS1_3repE0EEENS1_47radix_sort_onesweep_sort_config_static_selectorELNS0_4arch9wavefront6targetE1EEEvSI_, .Lfunc_end1457-_ZN7rocprim17ROCPRIM_400000_NS6detail17trampoline_kernelINS0_14default_configENS1_35radix_sort_onesweep_config_selectorIiiEEZZNS1_29radix_sort_onesweep_iterationIS3_Lb0EN6thrust23THRUST_200600_302600_NS6detail15normal_iteratorINS8_10device_ptrIiEEEESD_SD_SD_jNS0_19identity_decomposerENS1_16block_id_wrapperIjLb0EEEEE10hipError_tT1_PNSt15iterator_traitsISI_E10value_typeET2_T3_PNSJ_ISO_E10value_typeET4_T5_PST_SU_PNS1_23onesweep_lookback_stateEbbT6_jjT7_P12ihipStream_tbENKUlT_T0_SI_SN_E_clISD_PiSD_S15_EEDaS11_S12_SI_SN_EUlS11_E_NS1_11comp_targetILNS1_3genE5ELNS1_11target_archE942ELNS1_3gpuE9ELNS1_3repE0EEENS1_47radix_sort_onesweep_sort_config_static_selectorELNS0_4arch9wavefront6targetE1EEEvSI_
                                        ; -- End function
	.set _ZN7rocprim17ROCPRIM_400000_NS6detail17trampoline_kernelINS0_14default_configENS1_35radix_sort_onesweep_config_selectorIiiEEZZNS1_29radix_sort_onesweep_iterationIS3_Lb0EN6thrust23THRUST_200600_302600_NS6detail15normal_iteratorINS8_10device_ptrIiEEEESD_SD_SD_jNS0_19identity_decomposerENS1_16block_id_wrapperIjLb0EEEEE10hipError_tT1_PNSt15iterator_traitsISI_E10value_typeET2_T3_PNSJ_ISO_E10value_typeET4_T5_PST_SU_PNS1_23onesweep_lookback_stateEbbT6_jjT7_P12ihipStream_tbENKUlT_T0_SI_SN_E_clISD_PiSD_S15_EEDaS11_S12_SI_SN_EUlS11_E_NS1_11comp_targetILNS1_3genE5ELNS1_11target_archE942ELNS1_3gpuE9ELNS1_3repE0EEENS1_47radix_sort_onesweep_sort_config_static_selectorELNS0_4arch9wavefront6targetE1EEEvSI_.num_vgpr, 0
	.set _ZN7rocprim17ROCPRIM_400000_NS6detail17trampoline_kernelINS0_14default_configENS1_35radix_sort_onesweep_config_selectorIiiEEZZNS1_29radix_sort_onesweep_iterationIS3_Lb0EN6thrust23THRUST_200600_302600_NS6detail15normal_iteratorINS8_10device_ptrIiEEEESD_SD_SD_jNS0_19identity_decomposerENS1_16block_id_wrapperIjLb0EEEEE10hipError_tT1_PNSt15iterator_traitsISI_E10value_typeET2_T3_PNSJ_ISO_E10value_typeET4_T5_PST_SU_PNS1_23onesweep_lookback_stateEbbT6_jjT7_P12ihipStream_tbENKUlT_T0_SI_SN_E_clISD_PiSD_S15_EEDaS11_S12_SI_SN_EUlS11_E_NS1_11comp_targetILNS1_3genE5ELNS1_11target_archE942ELNS1_3gpuE9ELNS1_3repE0EEENS1_47radix_sort_onesweep_sort_config_static_selectorELNS0_4arch9wavefront6targetE1EEEvSI_.num_agpr, 0
	.set _ZN7rocprim17ROCPRIM_400000_NS6detail17trampoline_kernelINS0_14default_configENS1_35radix_sort_onesweep_config_selectorIiiEEZZNS1_29radix_sort_onesweep_iterationIS3_Lb0EN6thrust23THRUST_200600_302600_NS6detail15normal_iteratorINS8_10device_ptrIiEEEESD_SD_SD_jNS0_19identity_decomposerENS1_16block_id_wrapperIjLb0EEEEE10hipError_tT1_PNSt15iterator_traitsISI_E10value_typeET2_T3_PNSJ_ISO_E10value_typeET4_T5_PST_SU_PNS1_23onesweep_lookback_stateEbbT6_jjT7_P12ihipStream_tbENKUlT_T0_SI_SN_E_clISD_PiSD_S15_EEDaS11_S12_SI_SN_EUlS11_E_NS1_11comp_targetILNS1_3genE5ELNS1_11target_archE942ELNS1_3gpuE9ELNS1_3repE0EEENS1_47radix_sort_onesweep_sort_config_static_selectorELNS0_4arch9wavefront6targetE1EEEvSI_.numbered_sgpr, 0
	.set _ZN7rocprim17ROCPRIM_400000_NS6detail17trampoline_kernelINS0_14default_configENS1_35radix_sort_onesweep_config_selectorIiiEEZZNS1_29radix_sort_onesweep_iterationIS3_Lb0EN6thrust23THRUST_200600_302600_NS6detail15normal_iteratorINS8_10device_ptrIiEEEESD_SD_SD_jNS0_19identity_decomposerENS1_16block_id_wrapperIjLb0EEEEE10hipError_tT1_PNSt15iterator_traitsISI_E10value_typeET2_T3_PNSJ_ISO_E10value_typeET4_T5_PST_SU_PNS1_23onesweep_lookback_stateEbbT6_jjT7_P12ihipStream_tbENKUlT_T0_SI_SN_E_clISD_PiSD_S15_EEDaS11_S12_SI_SN_EUlS11_E_NS1_11comp_targetILNS1_3genE5ELNS1_11target_archE942ELNS1_3gpuE9ELNS1_3repE0EEENS1_47radix_sort_onesweep_sort_config_static_selectorELNS0_4arch9wavefront6targetE1EEEvSI_.num_named_barrier, 0
	.set _ZN7rocprim17ROCPRIM_400000_NS6detail17trampoline_kernelINS0_14default_configENS1_35radix_sort_onesweep_config_selectorIiiEEZZNS1_29radix_sort_onesweep_iterationIS3_Lb0EN6thrust23THRUST_200600_302600_NS6detail15normal_iteratorINS8_10device_ptrIiEEEESD_SD_SD_jNS0_19identity_decomposerENS1_16block_id_wrapperIjLb0EEEEE10hipError_tT1_PNSt15iterator_traitsISI_E10value_typeET2_T3_PNSJ_ISO_E10value_typeET4_T5_PST_SU_PNS1_23onesweep_lookback_stateEbbT6_jjT7_P12ihipStream_tbENKUlT_T0_SI_SN_E_clISD_PiSD_S15_EEDaS11_S12_SI_SN_EUlS11_E_NS1_11comp_targetILNS1_3genE5ELNS1_11target_archE942ELNS1_3gpuE9ELNS1_3repE0EEENS1_47radix_sort_onesweep_sort_config_static_selectorELNS0_4arch9wavefront6targetE1EEEvSI_.private_seg_size, 0
	.set _ZN7rocprim17ROCPRIM_400000_NS6detail17trampoline_kernelINS0_14default_configENS1_35radix_sort_onesweep_config_selectorIiiEEZZNS1_29radix_sort_onesweep_iterationIS3_Lb0EN6thrust23THRUST_200600_302600_NS6detail15normal_iteratorINS8_10device_ptrIiEEEESD_SD_SD_jNS0_19identity_decomposerENS1_16block_id_wrapperIjLb0EEEEE10hipError_tT1_PNSt15iterator_traitsISI_E10value_typeET2_T3_PNSJ_ISO_E10value_typeET4_T5_PST_SU_PNS1_23onesweep_lookback_stateEbbT6_jjT7_P12ihipStream_tbENKUlT_T0_SI_SN_E_clISD_PiSD_S15_EEDaS11_S12_SI_SN_EUlS11_E_NS1_11comp_targetILNS1_3genE5ELNS1_11target_archE942ELNS1_3gpuE9ELNS1_3repE0EEENS1_47radix_sort_onesweep_sort_config_static_selectorELNS0_4arch9wavefront6targetE1EEEvSI_.uses_vcc, 0
	.set _ZN7rocprim17ROCPRIM_400000_NS6detail17trampoline_kernelINS0_14default_configENS1_35radix_sort_onesweep_config_selectorIiiEEZZNS1_29radix_sort_onesweep_iterationIS3_Lb0EN6thrust23THRUST_200600_302600_NS6detail15normal_iteratorINS8_10device_ptrIiEEEESD_SD_SD_jNS0_19identity_decomposerENS1_16block_id_wrapperIjLb0EEEEE10hipError_tT1_PNSt15iterator_traitsISI_E10value_typeET2_T3_PNSJ_ISO_E10value_typeET4_T5_PST_SU_PNS1_23onesweep_lookback_stateEbbT6_jjT7_P12ihipStream_tbENKUlT_T0_SI_SN_E_clISD_PiSD_S15_EEDaS11_S12_SI_SN_EUlS11_E_NS1_11comp_targetILNS1_3genE5ELNS1_11target_archE942ELNS1_3gpuE9ELNS1_3repE0EEENS1_47radix_sort_onesweep_sort_config_static_selectorELNS0_4arch9wavefront6targetE1EEEvSI_.uses_flat_scratch, 0
	.set _ZN7rocprim17ROCPRIM_400000_NS6detail17trampoline_kernelINS0_14default_configENS1_35radix_sort_onesweep_config_selectorIiiEEZZNS1_29radix_sort_onesweep_iterationIS3_Lb0EN6thrust23THRUST_200600_302600_NS6detail15normal_iteratorINS8_10device_ptrIiEEEESD_SD_SD_jNS0_19identity_decomposerENS1_16block_id_wrapperIjLb0EEEEE10hipError_tT1_PNSt15iterator_traitsISI_E10value_typeET2_T3_PNSJ_ISO_E10value_typeET4_T5_PST_SU_PNS1_23onesweep_lookback_stateEbbT6_jjT7_P12ihipStream_tbENKUlT_T0_SI_SN_E_clISD_PiSD_S15_EEDaS11_S12_SI_SN_EUlS11_E_NS1_11comp_targetILNS1_3genE5ELNS1_11target_archE942ELNS1_3gpuE9ELNS1_3repE0EEENS1_47radix_sort_onesweep_sort_config_static_selectorELNS0_4arch9wavefront6targetE1EEEvSI_.has_dyn_sized_stack, 0
	.set _ZN7rocprim17ROCPRIM_400000_NS6detail17trampoline_kernelINS0_14default_configENS1_35radix_sort_onesweep_config_selectorIiiEEZZNS1_29radix_sort_onesweep_iterationIS3_Lb0EN6thrust23THRUST_200600_302600_NS6detail15normal_iteratorINS8_10device_ptrIiEEEESD_SD_SD_jNS0_19identity_decomposerENS1_16block_id_wrapperIjLb0EEEEE10hipError_tT1_PNSt15iterator_traitsISI_E10value_typeET2_T3_PNSJ_ISO_E10value_typeET4_T5_PST_SU_PNS1_23onesweep_lookback_stateEbbT6_jjT7_P12ihipStream_tbENKUlT_T0_SI_SN_E_clISD_PiSD_S15_EEDaS11_S12_SI_SN_EUlS11_E_NS1_11comp_targetILNS1_3genE5ELNS1_11target_archE942ELNS1_3gpuE9ELNS1_3repE0EEENS1_47radix_sort_onesweep_sort_config_static_selectorELNS0_4arch9wavefront6targetE1EEEvSI_.has_recursion, 0
	.set _ZN7rocprim17ROCPRIM_400000_NS6detail17trampoline_kernelINS0_14default_configENS1_35radix_sort_onesweep_config_selectorIiiEEZZNS1_29radix_sort_onesweep_iterationIS3_Lb0EN6thrust23THRUST_200600_302600_NS6detail15normal_iteratorINS8_10device_ptrIiEEEESD_SD_SD_jNS0_19identity_decomposerENS1_16block_id_wrapperIjLb0EEEEE10hipError_tT1_PNSt15iterator_traitsISI_E10value_typeET2_T3_PNSJ_ISO_E10value_typeET4_T5_PST_SU_PNS1_23onesweep_lookback_stateEbbT6_jjT7_P12ihipStream_tbENKUlT_T0_SI_SN_E_clISD_PiSD_S15_EEDaS11_S12_SI_SN_EUlS11_E_NS1_11comp_targetILNS1_3genE5ELNS1_11target_archE942ELNS1_3gpuE9ELNS1_3repE0EEENS1_47radix_sort_onesweep_sort_config_static_selectorELNS0_4arch9wavefront6targetE1EEEvSI_.has_indirect_call, 0
	.section	.AMDGPU.csdata,"",@progbits
; Kernel info:
; codeLenInByte = 0
; TotalNumSgprs: 6
; NumVgprs: 0
; NumAgprs: 0
; TotalNumVgprs: 0
; ScratchSize: 0
; MemoryBound: 0
; FloatMode: 240
; IeeeMode: 1
; LDSByteSize: 0 bytes/workgroup (compile time only)
; SGPRBlocks: 0
; VGPRBlocks: 0
; NumSGPRsForWavesPerEU: 6
; NumVGPRsForWavesPerEU: 1
; AccumOffset: 4
; Occupancy: 8
; WaveLimiterHint : 0
; COMPUTE_PGM_RSRC2:SCRATCH_EN: 0
; COMPUTE_PGM_RSRC2:USER_SGPR: 2
; COMPUTE_PGM_RSRC2:TRAP_HANDLER: 0
; COMPUTE_PGM_RSRC2:TGID_X_EN: 1
; COMPUTE_PGM_RSRC2:TGID_Y_EN: 0
; COMPUTE_PGM_RSRC2:TGID_Z_EN: 0
; COMPUTE_PGM_RSRC2:TIDIG_COMP_CNT: 0
; COMPUTE_PGM_RSRC3_GFX90A:ACCUM_OFFSET: 0
; COMPUTE_PGM_RSRC3_GFX90A:TG_SPLIT: 0
	.section	.text._ZN7rocprim17ROCPRIM_400000_NS6detail17trampoline_kernelINS0_14default_configENS1_35radix_sort_onesweep_config_selectorIiiEEZZNS1_29radix_sort_onesweep_iterationIS3_Lb0EN6thrust23THRUST_200600_302600_NS6detail15normal_iteratorINS8_10device_ptrIiEEEESD_SD_SD_jNS0_19identity_decomposerENS1_16block_id_wrapperIjLb0EEEEE10hipError_tT1_PNSt15iterator_traitsISI_E10value_typeET2_T3_PNSJ_ISO_E10value_typeET4_T5_PST_SU_PNS1_23onesweep_lookback_stateEbbT6_jjT7_P12ihipStream_tbENKUlT_T0_SI_SN_E_clISD_PiSD_S15_EEDaS11_S12_SI_SN_EUlS11_E_NS1_11comp_targetILNS1_3genE2ELNS1_11target_archE906ELNS1_3gpuE6ELNS1_3repE0EEENS1_47radix_sort_onesweep_sort_config_static_selectorELNS0_4arch9wavefront6targetE1EEEvSI_,"axG",@progbits,_ZN7rocprim17ROCPRIM_400000_NS6detail17trampoline_kernelINS0_14default_configENS1_35radix_sort_onesweep_config_selectorIiiEEZZNS1_29radix_sort_onesweep_iterationIS3_Lb0EN6thrust23THRUST_200600_302600_NS6detail15normal_iteratorINS8_10device_ptrIiEEEESD_SD_SD_jNS0_19identity_decomposerENS1_16block_id_wrapperIjLb0EEEEE10hipError_tT1_PNSt15iterator_traitsISI_E10value_typeET2_T3_PNSJ_ISO_E10value_typeET4_T5_PST_SU_PNS1_23onesweep_lookback_stateEbbT6_jjT7_P12ihipStream_tbENKUlT_T0_SI_SN_E_clISD_PiSD_S15_EEDaS11_S12_SI_SN_EUlS11_E_NS1_11comp_targetILNS1_3genE2ELNS1_11target_archE906ELNS1_3gpuE6ELNS1_3repE0EEENS1_47radix_sort_onesweep_sort_config_static_selectorELNS0_4arch9wavefront6targetE1EEEvSI_,comdat
	.protected	_ZN7rocprim17ROCPRIM_400000_NS6detail17trampoline_kernelINS0_14default_configENS1_35radix_sort_onesweep_config_selectorIiiEEZZNS1_29radix_sort_onesweep_iterationIS3_Lb0EN6thrust23THRUST_200600_302600_NS6detail15normal_iteratorINS8_10device_ptrIiEEEESD_SD_SD_jNS0_19identity_decomposerENS1_16block_id_wrapperIjLb0EEEEE10hipError_tT1_PNSt15iterator_traitsISI_E10value_typeET2_T3_PNSJ_ISO_E10value_typeET4_T5_PST_SU_PNS1_23onesweep_lookback_stateEbbT6_jjT7_P12ihipStream_tbENKUlT_T0_SI_SN_E_clISD_PiSD_S15_EEDaS11_S12_SI_SN_EUlS11_E_NS1_11comp_targetILNS1_3genE2ELNS1_11target_archE906ELNS1_3gpuE6ELNS1_3repE0EEENS1_47radix_sort_onesweep_sort_config_static_selectorELNS0_4arch9wavefront6targetE1EEEvSI_ ; -- Begin function _ZN7rocprim17ROCPRIM_400000_NS6detail17trampoline_kernelINS0_14default_configENS1_35radix_sort_onesweep_config_selectorIiiEEZZNS1_29radix_sort_onesweep_iterationIS3_Lb0EN6thrust23THRUST_200600_302600_NS6detail15normal_iteratorINS8_10device_ptrIiEEEESD_SD_SD_jNS0_19identity_decomposerENS1_16block_id_wrapperIjLb0EEEEE10hipError_tT1_PNSt15iterator_traitsISI_E10value_typeET2_T3_PNSJ_ISO_E10value_typeET4_T5_PST_SU_PNS1_23onesweep_lookback_stateEbbT6_jjT7_P12ihipStream_tbENKUlT_T0_SI_SN_E_clISD_PiSD_S15_EEDaS11_S12_SI_SN_EUlS11_E_NS1_11comp_targetILNS1_3genE2ELNS1_11target_archE906ELNS1_3gpuE6ELNS1_3repE0EEENS1_47radix_sort_onesweep_sort_config_static_selectorELNS0_4arch9wavefront6targetE1EEEvSI_
	.globl	_ZN7rocprim17ROCPRIM_400000_NS6detail17trampoline_kernelINS0_14default_configENS1_35radix_sort_onesweep_config_selectorIiiEEZZNS1_29radix_sort_onesweep_iterationIS3_Lb0EN6thrust23THRUST_200600_302600_NS6detail15normal_iteratorINS8_10device_ptrIiEEEESD_SD_SD_jNS0_19identity_decomposerENS1_16block_id_wrapperIjLb0EEEEE10hipError_tT1_PNSt15iterator_traitsISI_E10value_typeET2_T3_PNSJ_ISO_E10value_typeET4_T5_PST_SU_PNS1_23onesweep_lookback_stateEbbT6_jjT7_P12ihipStream_tbENKUlT_T0_SI_SN_E_clISD_PiSD_S15_EEDaS11_S12_SI_SN_EUlS11_E_NS1_11comp_targetILNS1_3genE2ELNS1_11target_archE906ELNS1_3gpuE6ELNS1_3repE0EEENS1_47radix_sort_onesweep_sort_config_static_selectorELNS0_4arch9wavefront6targetE1EEEvSI_
	.p2align	8
	.type	_ZN7rocprim17ROCPRIM_400000_NS6detail17trampoline_kernelINS0_14default_configENS1_35radix_sort_onesweep_config_selectorIiiEEZZNS1_29radix_sort_onesweep_iterationIS3_Lb0EN6thrust23THRUST_200600_302600_NS6detail15normal_iteratorINS8_10device_ptrIiEEEESD_SD_SD_jNS0_19identity_decomposerENS1_16block_id_wrapperIjLb0EEEEE10hipError_tT1_PNSt15iterator_traitsISI_E10value_typeET2_T3_PNSJ_ISO_E10value_typeET4_T5_PST_SU_PNS1_23onesweep_lookback_stateEbbT6_jjT7_P12ihipStream_tbENKUlT_T0_SI_SN_E_clISD_PiSD_S15_EEDaS11_S12_SI_SN_EUlS11_E_NS1_11comp_targetILNS1_3genE2ELNS1_11target_archE906ELNS1_3gpuE6ELNS1_3repE0EEENS1_47radix_sort_onesweep_sort_config_static_selectorELNS0_4arch9wavefront6targetE1EEEvSI_,@function
_ZN7rocprim17ROCPRIM_400000_NS6detail17trampoline_kernelINS0_14default_configENS1_35radix_sort_onesweep_config_selectorIiiEEZZNS1_29radix_sort_onesweep_iterationIS3_Lb0EN6thrust23THRUST_200600_302600_NS6detail15normal_iteratorINS8_10device_ptrIiEEEESD_SD_SD_jNS0_19identity_decomposerENS1_16block_id_wrapperIjLb0EEEEE10hipError_tT1_PNSt15iterator_traitsISI_E10value_typeET2_T3_PNSJ_ISO_E10value_typeET4_T5_PST_SU_PNS1_23onesweep_lookback_stateEbbT6_jjT7_P12ihipStream_tbENKUlT_T0_SI_SN_E_clISD_PiSD_S15_EEDaS11_S12_SI_SN_EUlS11_E_NS1_11comp_targetILNS1_3genE2ELNS1_11target_archE906ELNS1_3gpuE6ELNS1_3repE0EEENS1_47radix_sort_onesweep_sort_config_static_selectorELNS0_4arch9wavefront6targetE1EEEvSI_: ; @_ZN7rocprim17ROCPRIM_400000_NS6detail17trampoline_kernelINS0_14default_configENS1_35radix_sort_onesweep_config_selectorIiiEEZZNS1_29radix_sort_onesweep_iterationIS3_Lb0EN6thrust23THRUST_200600_302600_NS6detail15normal_iteratorINS8_10device_ptrIiEEEESD_SD_SD_jNS0_19identity_decomposerENS1_16block_id_wrapperIjLb0EEEEE10hipError_tT1_PNSt15iterator_traitsISI_E10value_typeET2_T3_PNSJ_ISO_E10value_typeET4_T5_PST_SU_PNS1_23onesweep_lookback_stateEbbT6_jjT7_P12ihipStream_tbENKUlT_T0_SI_SN_E_clISD_PiSD_S15_EEDaS11_S12_SI_SN_EUlS11_E_NS1_11comp_targetILNS1_3genE2ELNS1_11target_archE906ELNS1_3gpuE6ELNS1_3repE0EEENS1_47radix_sort_onesweep_sort_config_static_selectorELNS0_4arch9wavefront6targetE1EEEvSI_
; %bb.0:
	.section	.rodata,"a",@progbits
	.p2align	6, 0x0
	.amdhsa_kernel _ZN7rocprim17ROCPRIM_400000_NS6detail17trampoline_kernelINS0_14default_configENS1_35radix_sort_onesweep_config_selectorIiiEEZZNS1_29radix_sort_onesweep_iterationIS3_Lb0EN6thrust23THRUST_200600_302600_NS6detail15normal_iteratorINS8_10device_ptrIiEEEESD_SD_SD_jNS0_19identity_decomposerENS1_16block_id_wrapperIjLb0EEEEE10hipError_tT1_PNSt15iterator_traitsISI_E10value_typeET2_T3_PNSJ_ISO_E10value_typeET4_T5_PST_SU_PNS1_23onesweep_lookback_stateEbbT6_jjT7_P12ihipStream_tbENKUlT_T0_SI_SN_E_clISD_PiSD_S15_EEDaS11_S12_SI_SN_EUlS11_E_NS1_11comp_targetILNS1_3genE2ELNS1_11target_archE906ELNS1_3gpuE6ELNS1_3repE0EEENS1_47radix_sort_onesweep_sort_config_static_selectorELNS0_4arch9wavefront6targetE1EEEvSI_
		.amdhsa_group_segment_fixed_size 0
		.amdhsa_private_segment_fixed_size 0
		.amdhsa_kernarg_size 88
		.amdhsa_user_sgpr_count 2
		.amdhsa_user_sgpr_dispatch_ptr 0
		.amdhsa_user_sgpr_queue_ptr 0
		.amdhsa_user_sgpr_kernarg_segment_ptr 1
		.amdhsa_user_sgpr_dispatch_id 0
		.amdhsa_user_sgpr_kernarg_preload_length 0
		.amdhsa_user_sgpr_kernarg_preload_offset 0
		.amdhsa_user_sgpr_private_segment_size 0
		.amdhsa_uses_dynamic_stack 0
		.amdhsa_enable_private_segment 0
		.amdhsa_system_sgpr_workgroup_id_x 1
		.amdhsa_system_sgpr_workgroup_id_y 0
		.amdhsa_system_sgpr_workgroup_id_z 0
		.amdhsa_system_sgpr_workgroup_info 0
		.amdhsa_system_vgpr_workitem_id 0
		.amdhsa_next_free_vgpr 1
		.amdhsa_next_free_sgpr 0
		.amdhsa_accum_offset 4
		.amdhsa_reserve_vcc 0
		.amdhsa_float_round_mode_32 0
		.amdhsa_float_round_mode_16_64 0
		.amdhsa_float_denorm_mode_32 3
		.amdhsa_float_denorm_mode_16_64 3
		.amdhsa_dx10_clamp 1
		.amdhsa_ieee_mode 1
		.amdhsa_fp16_overflow 0
		.amdhsa_tg_split 0
		.amdhsa_exception_fp_ieee_invalid_op 0
		.amdhsa_exception_fp_denorm_src 0
		.amdhsa_exception_fp_ieee_div_zero 0
		.amdhsa_exception_fp_ieee_overflow 0
		.amdhsa_exception_fp_ieee_underflow 0
		.amdhsa_exception_fp_ieee_inexact 0
		.amdhsa_exception_int_div_zero 0
	.end_amdhsa_kernel
	.section	.text._ZN7rocprim17ROCPRIM_400000_NS6detail17trampoline_kernelINS0_14default_configENS1_35radix_sort_onesweep_config_selectorIiiEEZZNS1_29radix_sort_onesweep_iterationIS3_Lb0EN6thrust23THRUST_200600_302600_NS6detail15normal_iteratorINS8_10device_ptrIiEEEESD_SD_SD_jNS0_19identity_decomposerENS1_16block_id_wrapperIjLb0EEEEE10hipError_tT1_PNSt15iterator_traitsISI_E10value_typeET2_T3_PNSJ_ISO_E10value_typeET4_T5_PST_SU_PNS1_23onesweep_lookback_stateEbbT6_jjT7_P12ihipStream_tbENKUlT_T0_SI_SN_E_clISD_PiSD_S15_EEDaS11_S12_SI_SN_EUlS11_E_NS1_11comp_targetILNS1_3genE2ELNS1_11target_archE906ELNS1_3gpuE6ELNS1_3repE0EEENS1_47radix_sort_onesweep_sort_config_static_selectorELNS0_4arch9wavefront6targetE1EEEvSI_,"axG",@progbits,_ZN7rocprim17ROCPRIM_400000_NS6detail17trampoline_kernelINS0_14default_configENS1_35radix_sort_onesweep_config_selectorIiiEEZZNS1_29radix_sort_onesweep_iterationIS3_Lb0EN6thrust23THRUST_200600_302600_NS6detail15normal_iteratorINS8_10device_ptrIiEEEESD_SD_SD_jNS0_19identity_decomposerENS1_16block_id_wrapperIjLb0EEEEE10hipError_tT1_PNSt15iterator_traitsISI_E10value_typeET2_T3_PNSJ_ISO_E10value_typeET4_T5_PST_SU_PNS1_23onesweep_lookback_stateEbbT6_jjT7_P12ihipStream_tbENKUlT_T0_SI_SN_E_clISD_PiSD_S15_EEDaS11_S12_SI_SN_EUlS11_E_NS1_11comp_targetILNS1_3genE2ELNS1_11target_archE906ELNS1_3gpuE6ELNS1_3repE0EEENS1_47radix_sort_onesweep_sort_config_static_selectorELNS0_4arch9wavefront6targetE1EEEvSI_,comdat
.Lfunc_end1458:
	.size	_ZN7rocprim17ROCPRIM_400000_NS6detail17trampoline_kernelINS0_14default_configENS1_35radix_sort_onesweep_config_selectorIiiEEZZNS1_29radix_sort_onesweep_iterationIS3_Lb0EN6thrust23THRUST_200600_302600_NS6detail15normal_iteratorINS8_10device_ptrIiEEEESD_SD_SD_jNS0_19identity_decomposerENS1_16block_id_wrapperIjLb0EEEEE10hipError_tT1_PNSt15iterator_traitsISI_E10value_typeET2_T3_PNSJ_ISO_E10value_typeET4_T5_PST_SU_PNS1_23onesweep_lookback_stateEbbT6_jjT7_P12ihipStream_tbENKUlT_T0_SI_SN_E_clISD_PiSD_S15_EEDaS11_S12_SI_SN_EUlS11_E_NS1_11comp_targetILNS1_3genE2ELNS1_11target_archE906ELNS1_3gpuE6ELNS1_3repE0EEENS1_47radix_sort_onesweep_sort_config_static_selectorELNS0_4arch9wavefront6targetE1EEEvSI_, .Lfunc_end1458-_ZN7rocprim17ROCPRIM_400000_NS6detail17trampoline_kernelINS0_14default_configENS1_35radix_sort_onesweep_config_selectorIiiEEZZNS1_29radix_sort_onesweep_iterationIS3_Lb0EN6thrust23THRUST_200600_302600_NS6detail15normal_iteratorINS8_10device_ptrIiEEEESD_SD_SD_jNS0_19identity_decomposerENS1_16block_id_wrapperIjLb0EEEEE10hipError_tT1_PNSt15iterator_traitsISI_E10value_typeET2_T3_PNSJ_ISO_E10value_typeET4_T5_PST_SU_PNS1_23onesweep_lookback_stateEbbT6_jjT7_P12ihipStream_tbENKUlT_T0_SI_SN_E_clISD_PiSD_S15_EEDaS11_S12_SI_SN_EUlS11_E_NS1_11comp_targetILNS1_3genE2ELNS1_11target_archE906ELNS1_3gpuE6ELNS1_3repE0EEENS1_47radix_sort_onesweep_sort_config_static_selectorELNS0_4arch9wavefront6targetE1EEEvSI_
                                        ; -- End function
	.set _ZN7rocprim17ROCPRIM_400000_NS6detail17trampoline_kernelINS0_14default_configENS1_35radix_sort_onesweep_config_selectorIiiEEZZNS1_29radix_sort_onesweep_iterationIS3_Lb0EN6thrust23THRUST_200600_302600_NS6detail15normal_iteratorINS8_10device_ptrIiEEEESD_SD_SD_jNS0_19identity_decomposerENS1_16block_id_wrapperIjLb0EEEEE10hipError_tT1_PNSt15iterator_traitsISI_E10value_typeET2_T3_PNSJ_ISO_E10value_typeET4_T5_PST_SU_PNS1_23onesweep_lookback_stateEbbT6_jjT7_P12ihipStream_tbENKUlT_T0_SI_SN_E_clISD_PiSD_S15_EEDaS11_S12_SI_SN_EUlS11_E_NS1_11comp_targetILNS1_3genE2ELNS1_11target_archE906ELNS1_3gpuE6ELNS1_3repE0EEENS1_47radix_sort_onesweep_sort_config_static_selectorELNS0_4arch9wavefront6targetE1EEEvSI_.num_vgpr, 0
	.set _ZN7rocprim17ROCPRIM_400000_NS6detail17trampoline_kernelINS0_14default_configENS1_35radix_sort_onesweep_config_selectorIiiEEZZNS1_29radix_sort_onesweep_iterationIS3_Lb0EN6thrust23THRUST_200600_302600_NS6detail15normal_iteratorINS8_10device_ptrIiEEEESD_SD_SD_jNS0_19identity_decomposerENS1_16block_id_wrapperIjLb0EEEEE10hipError_tT1_PNSt15iterator_traitsISI_E10value_typeET2_T3_PNSJ_ISO_E10value_typeET4_T5_PST_SU_PNS1_23onesweep_lookback_stateEbbT6_jjT7_P12ihipStream_tbENKUlT_T0_SI_SN_E_clISD_PiSD_S15_EEDaS11_S12_SI_SN_EUlS11_E_NS1_11comp_targetILNS1_3genE2ELNS1_11target_archE906ELNS1_3gpuE6ELNS1_3repE0EEENS1_47radix_sort_onesweep_sort_config_static_selectorELNS0_4arch9wavefront6targetE1EEEvSI_.num_agpr, 0
	.set _ZN7rocprim17ROCPRIM_400000_NS6detail17trampoline_kernelINS0_14default_configENS1_35radix_sort_onesweep_config_selectorIiiEEZZNS1_29radix_sort_onesweep_iterationIS3_Lb0EN6thrust23THRUST_200600_302600_NS6detail15normal_iteratorINS8_10device_ptrIiEEEESD_SD_SD_jNS0_19identity_decomposerENS1_16block_id_wrapperIjLb0EEEEE10hipError_tT1_PNSt15iterator_traitsISI_E10value_typeET2_T3_PNSJ_ISO_E10value_typeET4_T5_PST_SU_PNS1_23onesweep_lookback_stateEbbT6_jjT7_P12ihipStream_tbENKUlT_T0_SI_SN_E_clISD_PiSD_S15_EEDaS11_S12_SI_SN_EUlS11_E_NS1_11comp_targetILNS1_3genE2ELNS1_11target_archE906ELNS1_3gpuE6ELNS1_3repE0EEENS1_47radix_sort_onesweep_sort_config_static_selectorELNS0_4arch9wavefront6targetE1EEEvSI_.numbered_sgpr, 0
	.set _ZN7rocprim17ROCPRIM_400000_NS6detail17trampoline_kernelINS0_14default_configENS1_35radix_sort_onesweep_config_selectorIiiEEZZNS1_29radix_sort_onesweep_iterationIS3_Lb0EN6thrust23THRUST_200600_302600_NS6detail15normal_iteratorINS8_10device_ptrIiEEEESD_SD_SD_jNS0_19identity_decomposerENS1_16block_id_wrapperIjLb0EEEEE10hipError_tT1_PNSt15iterator_traitsISI_E10value_typeET2_T3_PNSJ_ISO_E10value_typeET4_T5_PST_SU_PNS1_23onesweep_lookback_stateEbbT6_jjT7_P12ihipStream_tbENKUlT_T0_SI_SN_E_clISD_PiSD_S15_EEDaS11_S12_SI_SN_EUlS11_E_NS1_11comp_targetILNS1_3genE2ELNS1_11target_archE906ELNS1_3gpuE6ELNS1_3repE0EEENS1_47radix_sort_onesweep_sort_config_static_selectorELNS0_4arch9wavefront6targetE1EEEvSI_.num_named_barrier, 0
	.set _ZN7rocprim17ROCPRIM_400000_NS6detail17trampoline_kernelINS0_14default_configENS1_35radix_sort_onesweep_config_selectorIiiEEZZNS1_29radix_sort_onesweep_iterationIS3_Lb0EN6thrust23THRUST_200600_302600_NS6detail15normal_iteratorINS8_10device_ptrIiEEEESD_SD_SD_jNS0_19identity_decomposerENS1_16block_id_wrapperIjLb0EEEEE10hipError_tT1_PNSt15iterator_traitsISI_E10value_typeET2_T3_PNSJ_ISO_E10value_typeET4_T5_PST_SU_PNS1_23onesweep_lookback_stateEbbT6_jjT7_P12ihipStream_tbENKUlT_T0_SI_SN_E_clISD_PiSD_S15_EEDaS11_S12_SI_SN_EUlS11_E_NS1_11comp_targetILNS1_3genE2ELNS1_11target_archE906ELNS1_3gpuE6ELNS1_3repE0EEENS1_47radix_sort_onesweep_sort_config_static_selectorELNS0_4arch9wavefront6targetE1EEEvSI_.private_seg_size, 0
	.set _ZN7rocprim17ROCPRIM_400000_NS6detail17trampoline_kernelINS0_14default_configENS1_35radix_sort_onesweep_config_selectorIiiEEZZNS1_29radix_sort_onesweep_iterationIS3_Lb0EN6thrust23THRUST_200600_302600_NS6detail15normal_iteratorINS8_10device_ptrIiEEEESD_SD_SD_jNS0_19identity_decomposerENS1_16block_id_wrapperIjLb0EEEEE10hipError_tT1_PNSt15iterator_traitsISI_E10value_typeET2_T3_PNSJ_ISO_E10value_typeET4_T5_PST_SU_PNS1_23onesweep_lookback_stateEbbT6_jjT7_P12ihipStream_tbENKUlT_T0_SI_SN_E_clISD_PiSD_S15_EEDaS11_S12_SI_SN_EUlS11_E_NS1_11comp_targetILNS1_3genE2ELNS1_11target_archE906ELNS1_3gpuE6ELNS1_3repE0EEENS1_47radix_sort_onesweep_sort_config_static_selectorELNS0_4arch9wavefront6targetE1EEEvSI_.uses_vcc, 0
	.set _ZN7rocprim17ROCPRIM_400000_NS6detail17trampoline_kernelINS0_14default_configENS1_35radix_sort_onesweep_config_selectorIiiEEZZNS1_29radix_sort_onesweep_iterationIS3_Lb0EN6thrust23THRUST_200600_302600_NS6detail15normal_iteratorINS8_10device_ptrIiEEEESD_SD_SD_jNS0_19identity_decomposerENS1_16block_id_wrapperIjLb0EEEEE10hipError_tT1_PNSt15iterator_traitsISI_E10value_typeET2_T3_PNSJ_ISO_E10value_typeET4_T5_PST_SU_PNS1_23onesweep_lookback_stateEbbT6_jjT7_P12ihipStream_tbENKUlT_T0_SI_SN_E_clISD_PiSD_S15_EEDaS11_S12_SI_SN_EUlS11_E_NS1_11comp_targetILNS1_3genE2ELNS1_11target_archE906ELNS1_3gpuE6ELNS1_3repE0EEENS1_47radix_sort_onesweep_sort_config_static_selectorELNS0_4arch9wavefront6targetE1EEEvSI_.uses_flat_scratch, 0
	.set _ZN7rocprim17ROCPRIM_400000_NS6detail17trampoline_kernelINS0_14default_configENS1_35radix_sort_onesweep_config_selectorIiiEEZZNS1_29radix_sort_onesweep_iterationIS3_Lb0EN6thrust23THRUST_200600_302600_NS6detail15normal_iteratorINS8_10device_ptrIiEEEESD_SD_SD_jNS0_19identity_decomposerENS1_16block_id_wrapperIjLb0EEEEE10hipError_tT1_PNSt15iterator_traitsISI_E10value_typeET2_T3_PNSJ_ISO_E10value_typeET4_T5_PST_SU_PNS1_23onesweep_lookback_stateEbbT6_jjT7_P12ihipStream_tbENKUlT_T0_SI_SN_E_clISD_PiSD_S15_EEDaS11_S12_SI_SN_EUlS11_E_NS1_11comp_targetILNS1_3genE2ELNS1_11target_archE906ELNS1_3gpuE6ELNS1_3repE0EEENS1_47radix_sort_onesweep_sort_config_static_selectorELNS0_4arch9wavefront6targetE1EEEvSI_.has_dyn_sized_stack, 0
	.set _ZN7rocprim17ROCPRIM_400000_NS6detail17trampoline_kernelINS0_14default_configENS1_35radix_sort_onesweep_config_selectorIiiEEZZNS1_29radix_sort_onesweep_iterationIS3_Lb0EN6thrust23THRUST_200600_302600_NS6detail15normal_iteratorINS8_10device_ptrIiEEEESD_SD_SD_jNS0_19identity_decomposerENS1_16block_id_wrapperIjLb0EEEEE10hipError_tT1_PNSt15iterator_traitsISI_E10value_typeET2_T3_PNSJ_ISO_E10value_typeET4_T5_PST_SU_PNS1_23onesweep_lookback_stateEbbT6_jjT7_P12ihipStream_tbENKUlT_T0_SI_SN_E_clISD_PiSD_S15_EEDaS11_S12_SI_SN_EUlS11_E_NS1_11comp_targetILNS1_3genE2ELNS1_11target_archE906ELNS1_3gpuE6ELNS1_3repE0EEENS1_47radix_sort_onesweep_sort_config_static_selectorELNS0_4arch9wavefront6targetE1EEEvSI_.has_recursion, 0
	.set _ZN7rocprim17ROCPRIM_400000_NS6detail17trampoline_kernelINS0_14default_configENS1_35radix_sort_onesweep_config_selectorIiiEEZZNS1_29radix_sort_onesweep_iterationIS3_Lb0EN6thrust23THRUST_200600_302600_NS6detail15normal_iteratorINS8_10device_ptrIiEEEESD_SD_SD_jNS0_19identity_decomposerENS1_16block_id_wrapperIjLb0EEEEE10hipError_tT1_PNSt15iterator_traitsISI_E10value_typeET2_T3_PNSJ_ISO_E10value_typeET4_T5_PST_SU_PNS1_23onesweep_lookback_stateEbbT6_jjT7_P12ihipStream_tbENKUlT_T0_SI_SN_E_clISD_PiSD_S15_EEDaS11_S12_SI_SN_EUlS11_E_NS1_11comp_targetILNS1_3genE2ELNS1_11target_archE906ELNS1_3gpuE6ELNS1_3repE0EEENS1_47radix_sort_onesweep_sort_config_static_selectorELNS0_4arch9wavefront6targetE1EEEvSI_.has_indirect_call, 0
	.section	.AMDGPU.csdata,"",@progbits
; Kernel info:
; codeLenInByte = 0
; TotalNumSgprs: 6
; NumVgprs: 0
; NumAgprs: 0
; TotalNumVgprs: 0
; ScratchSize: 0
; MemoryBound: 0
; FloatMode: 240
; IeeeMode: 1
; LDSByteSize: 0 bytes/workgroup (compile time only)
; SGPRBlocks: 0
; VGPRBlocks: 0
; NumSGPRsForWavesPerEU: 6
; NumVGPRsForWavesPerEU: 1
; AccumOffset: 4
; Occupancy: 8
; WaveLimiterHint : 0
; COMPUTE_PGM_RSRC2:SCRATCH_EN: 0
; COMPUTE_PGM_RSRC2:USER_SGPR: 2
; COMPUTE_PGM_RSRC2:TRAP_HANDLER: 0
; COMPUTE_PGM_RSRC2:TGID_X_EN: 1
; COMPUTE_PGM_RSRC2:TGID_Y_EN: 0
; COMPUTE_PGM_RSRC2:TGID_Z_EN: 0
; COMPUTE_PGM_RSRC2:TIDIG_COMP_CNT: 0
; COMPUTE_PGM_RSRC3_GFX90A:ACCUM_OFFSET: 0
; COMPUTE_PGM_RSRC3_GFX90A:TG_SPLIT: 0
	.section	.text._ZN7rocprim17ROCPRIM_400000_NS6detail17trampoline_kernelINS0_14default_configENS1_35radix_sort_onesweep_config_selectorIiiEEZZNS1_29radix_sort_onesweep_iterationIS3_Lb0EN6thrust23THRUST_200600_302600_NS6detail15normal_iteratorINS8_10device_ptrIiEEEESD_SD_SD_jNS0_19identity_decomposerENS1_16block_id_wrapperIjLb0EEEEE10hipError_tT1_PNSt15iterator_traitsISI_E10value_typeET2_T3_PNSJ_ISO_E10value_typeET4_T5_PST_SU_PNS1_23onesweep_lookback_stateEbbT6_jjT7_P12ihipStream_tbENKUlT_T0_SI_SN_E_clISD_PiSD_S15_EEDaS11_S12_SI_SN_EUlS11_E_NS1_11comp_targetILNS1_3genE4ELNS1_11target_archE910ELNS1_3gpuE8ELNS1_3repE0EEENS1_47radix_sort_onesweep_sort_config_static_selectorELNS0_4arch9wavefront6targetE1EEEvSI_,"axG",@progbits,_ZN7rocprim17ROCPRIM_400000_NS6detail17trampoline_kernelINS0_14default_configENS1_35radix_sort_onesweep_config_selectorIiiEEZZNS1_29radix_sort_onesweep_iterationIS3_Lb0EN6thrust23THRUST_200600_302600_NS6detail15normal_iteratorINS8_10device_ptrIiEEEESD_SD_SD_jNS0_19identity_decomposerENS1_16block_id_wrapperIjLb0EEEEE10hipError_tT1_PNSt15iterator_traitsISI_E10value_typeET2_T3_PNSJ_ISO_E10value_typeET4_T5_PST_SU_PNS1_23onesweep_lookback_stateEbbT6_jjT7_P12ihipStream_tbENKUlT_T0_SI_SN_E_clISD_PiSD_S15_EEDaS11_S12_SI_SN_EUlS11_E_NS1_11comp_targetILNS1_3genE4ELNS1_11target_archE910ELNS1_3gpuE8ELNS1_3repE0EEENS1_47radix_sort_onesweep_sort_config_static_selectorELNS0_4arch9wavefront6targetE1EEEvSI_,comdat
	.protected	_ZN7rocprim17ROCPRIM_400000_NS6detail17trampoline_kernelINS0_14default_configENS1_35radix_sort_onesweep_config_selectorIiiEEZZNS1_29radix_sort_onesweep_iterationIS3_Lb0EN6thrust23THRUST_200600_302600_NS6detail15normal_iteratorINS8_10device_ptrIiEEEESD_SD_SD_jNS0_19identity_decomposerENS1_16block_id_wrapperIjLb0EEEEE10hipError_tT1_PNSt15iterator_traitsISI_E10value_typeET2_T3_PNSJ_ISO_E10value_typeET4_T5_PST_SU_PNS1_23onesweep_lookback_stateEbbT6_jjT7_P12ihipStream_tbENKUlT_T0_SI_SN_E_clISD_PiSD_S15_EEDaS11_S12_SI_SN_EUlS11_E_NS1_11comp_targetILNS1_3genE4ELNS1_11target_archE910ELNS1_3gpuE8ELNS1_3repE0EEENS1_47radix_sort_onesweep_sort_config_static_selectorELNS0_4arch9wavefront6targetE1EEEvSI_ ; -- Begin function _ZN7rocprim17ROCPRIM_400000_NS6detail17trampoline_kernelINS0_14default_configENS1_35radix_sort_onesweep_config_selectorIiiEEZZNS1_29radix_sort_onesweep_iterationIS3_Lb0EN6thrust23THRUST_200600_302600_NS6detail15normal_iteratorINS8_10device_ptrIiEEEESD_SD_SD_jNS0_19identity_decomposerENS1_16block_id_wrapperIjLb0EEEEE10hipError_tT1_PNSt15iterator_traitsISI_E10value_typeET2_T3_PNSJ_ISO_E10value_typeET4_T5_PST_SU_PNS1_23onesweep_lookback_stateEbbT6_jjT7_P12ihipStream_tbENKUlT_T0_SI_SN_E_clISD_PiSD_S15_EEDaS11_S12_SI_SN_EUlS11_E_NS1_11comp_targetILNS1_3genE4ELNS1_11target_archE910ELNS1_3gpuE8ELNS1_3repE0EEENS1_47radix_sort_onesweep_sort_config_static_selectorELNS0_4arch9wavefront6targetE1EEEvSI_
	.globl	_ZN7rocprim17ROCPRIM_400000_NS6detail17trampoline_kernelINS0_14default_configENS1_35radix_sort_onesweep_config_selectorIiiEEZZNS1_29radix_sort_onesweep_iterationIS3_Lb0EN6thrust23THRUST_200600_302600_NS6detail15normal_iteratorINS8_10device_ptrIiEEEESD_SD_SD_jNS0_19identity_decomposerENS1_16block_id_wrapperIjLb0EEEEE10hipError_tT1_PNSt15iterator_traitsISI_E10value_typeET2_T3_PNSJ_ISO_E10value_typeET4_T5_PST_SU_PNS1_23onesweep_lookback_stateEbbT6_jjT7_P12ihipStream_tbENKUlT_T0_SI_SN_E_clISD_PiSD_S15_EEDaS11_S12_SI_SN_EUlS11_E_NS1_11comp_targetILNS1_3genE4ELNS1_11target_archE910ELNS1_3gpuE8ELNS1_3repE0EEENS1_47radix_sort_onesweep_sort_config_static_selectorELNS0_4arch9wavefront6targetE1EEEvSI_
	.p2align	8
	.type	_ZN7rocprim17ROCPRIM_400000_NS6detail17trampoline_kernelINS0_14default_configENS1_35radix_sort_onesweep_config_selectorIiiEEZZNS1_29radix_sort_onesweep_iterationIS3_Lb0EN6thrust23THRUST_200600_302600_NS6detail15normal_iteratorINS8_10device_ptrIiEEEESD_SD_SD_jNS0_19identity_decomposerENS1_16block_id_wrapperIjLb0EEEEE10hipError_tT1_PNSt15iterator_traitsISI_E10value_typeET2_T3_PNSJ_ISO_E10value_typeET4_T5_PST_SU_PNS1_23onesweep_lookback_stateEbbT6_jjT7_P12ihipStream_tbENKUlT_T0_SI_SN_E_clISD_PiSD_S15_EEDaS11_S12_SI_SN_EUlS11_E_NS1_11comp_targetILNS1_3genE4ELNS1_11target_archE910ELNS1_3gpuE8ELNS1_3repE0EEENS1_47radix_sort_onesweep_sort_config_static_selectorELNS0_4arch9wavefront6targetE1EEEvSI_,@function
_ZN7rocprim17ROCPRIM_400000_NS6detail17trampoline_kernelINS0_14default_configENS1_35radix_sort_onesweep_config_selectorIiiEEZZNS1_29radix_sort_onesweep_iterationIS3_Lb0EN6thrust23THRUST_200600_302600_NS6detail15normal_iteratorINS8_10device_ptrIiEEEESD_SD_SD_jNS0_19identity_decomposerENS1_16block_id_wrapperIjLb0EEEEE10hipError_tT1_PNSt15iterator_traitsISI_E10value_typeET2_T3_PNSJ_ISO_E10value_typeET4_T5_PST_SU_PNS1_23onesweep_lookback_stateEbbT6_jjT7_P12ihipStream_tbENKUlT_T0_SI_SN_E_clISD_PiSD_S15_EEDaS11_S12_SI_SN_EUlS11_E_NS1_11comp_targetILNS1_3genE4ELNS1_11target_archE910ELNS1_3gpuE8ELNS1_3repE0EEENS1_47radix_sort_onesweep_sort_config_static_selectorELNS0_4arch9wavefront6targetE1EEEvSI_: ; @_ZN7rocprim17ROCPRIM_400000_NS6detail17trampoline_kernelINS0_14default_configENS1_35radix_sort_onesweep_config_selectorIiiEEZZNS1_29radix_sort_onesweep_iterationIS3_Lb0EN6thrust23THRUST_200600_302600_NS6detail15normal_iteratorINS8_10device_ptrIiEEEESD_SD_SD_jNS0_19identity_decomposerENS1_16block_id_wrapperIjLb0EEEEE10hipError_tT1_PNSt15iterator_traitsISI_E10value_typeET2_T3_PNSJ_ISO_E10value_typeET4_T5_PST_SU_PNS1_23onesweep_lookback_stateEbbT6_jjT7_P12ihipStream_tbENKUlT_T0_SI_SN_E_clISD_PiSD_S15_EEDaS11_S12_SI_SN_EUlS11_E_NS1_11comp_targetILNS1_3genE4ELNS1_11target_archE910ELNS1_3gpuE8ELNS1_3repE0EEENS1_47radix_sort_onesweep_sort_config_static_selectorELNS0_4arch9wavefront6targetE1EEEvSI_
; %bb.0:
	.section	.rodata,"a",@progbits
	.p2align	6, 0x0
	.amdhsa_kernel _ZN7rocprim17ROCPRIM_400000_NS6detail17trampoline_kernelINS0_14default_configENS1_35radix_sort_onesweep_config_selectorIiiEEZZNS1_29radix_sort_onesweep_iterationIS3_Lb0EN6thrust23THRUST_200600_302600_NS6detail15normal_iteratorINS8_10device_ptrIiEEEESD_SD_SD_jNS0_19identity_decomposerENS1_16block_id_wrapperIjLb0EEEEE10hipError_tT1_PNSt15iterator_traitsISI_E10value_typeET2_T3_PNSJ_ISO_E10value_typeET4_T5_PST_SU_PNS1_23onesweep_lookback_stateEbbT6_jjT7_P12ihipStream_tbENKUlT_T0_SI_SN_E_clISD_PiSD_S15_EEDaS11_S12_SI_SN_EUlS11_E_NS1_11comp_targetILNS1_3genE4ELNS1_11target_archE910ELNS1_3gpuE8ELNS1_3repE0EEENS1_47radix_sort_onesweep_sort_config_static_selectorELNS0_4arch9wavefront6targetE1EEEvSI_
		.amdhsa_group_segment_fixed_size 0
		.amdhsa_private_segment_fixed_size 0
		.amdhsa_kernarg_size 88
		.amdhsa_user_sgpr_count 2
		.amdhsa_user_sgpr_dispatch_ptr 0
		.amdhsa_user_sgpr_queue_ptr 0
		.amdhsa_user_sgpr_kernarg_segment_ptr 1
		.amdhsa_user_sgpr_dispatch_id 0
		.amdhsa_user_sgpr_kernarg_preload_length 0
		.amdhsa_user_sgpr_kernarg_preload_offset 0
		.amdhsa_user_sgpr_private_segment_size 0
		.amdhsa_uses_dynamic_stack 0
		.amdhsa_enable_private_segment 0
		.amdhsa_system_sgpr_workgroup_id_x 1
		.amdhsa_system_sgpr_workgroup_id_y 0
		.amdhsa_system_sgpr_workgroup_id_z 0
		.amdhsa_system_sgpr_workgroup_info 0
		.amdhsa_system_vgpr_workitem_id 0
		.amdhsa_next_free_vgpr 1
		.amdhsa_next_free_sgpr 0
		.amdhsa_accum_offset 4
		.amdhsa_reserve_vcc 0
		.amdhsa_float_round_mode_32 0
		.amdhsa_float_round_mode_16_64 0
		.amdhsa_float_denorm_mode_32 3
		.amdhsa_float_denorm_mode_16_64 3
		.amdhsa_dx10_clamp 1
		.amdhsa_ieee_mode 1
		.amdhsa_fp16_overflow 0
		.amdhsa_tg_split 0
		.amdhsa_exception_fp_ieee_invalid_op 0
		.amdhsa_exception_fp_denorm_src 0
		.amdhsa_exception_fp_ieee_div_zero 0
		.amdhsa_exception_fp_ieee_overflow 0
		.amdhsa_exception_fp_ieee_underflow 0
		.amdhsa_exception_fp_ieee_inexact 0
		.amdhsa_exception_int_div_zero 0
	.end_amdhsa_kernel
	.section	.text._ZN7rocprim17ROCPRIM_400000_NS6detail17trampoline_kernelINS0_14default_configENS1_35radix_sort_onesweep_config_selectorIiiEEZZNS1_29radix_sort_onesweep_iterationIS3_Lb0EN6thrust23THRUST_200600_302600_NS6detail15normal_iteratorINS8_10device_ptrIiEEEESD_SD_SD_jNS0_19identity_decomposerENS1_16block_id_wrapperIjLb0EEEEE10hipError_tT1_PNSt15iterator_traitsISI_E10value_typeET2_T3_PNSJ_ISO_E10value_typeET4_T5_PST_SU_PNS1_23onesweep_lookback_stateEbbT6_jjT7_P12ihipStream_tbENKUlT_T0_SI_SN_E_clISD_PiSD_S15_EEDaS11_S12_SI_SN_EUlS11_E_NS1_11comp_targetILNS1_3genE4ELNS1_11target_archE910ELNS1_3gpuE8ELNS1_3repE0EEENS1_47radix_sort_onesweep_sort_config_static_selectorELNS0_4arch9wavefront6targetE1EEEvSI_,"axG",@progbits,_ZN7rocprim17ROCPRIM_400000_NS6detail17trampoline_kernelINS0_14default_configENS1_35radix_sort_onesweep_config_selectorIiiEEZZNS1_29radix_sort_onesweep_iterationIS3_Lb0EN6thrust23THRUST_200600_302600_NS6detail15normal_iteratorINS8_10device_ptrIiEEEESD_SD_SD_jNS0_19identity_decomposerENS1_16block_id_wrapperIjLb0EEEEE10hipError_tT1_PNSt15iterator_traitsISI_E10value_typeET2_T3_PNSJ_ISO_E10value_typeET4_T5_PST_SU_PNS1_23onesweep_lookback_stateEbbT6_jjT7_P12ihipStream_tbENKUlT_T0_SI_SN_E_clISD_PiSD_S15_EEDaS11_S12_SI_SN_EUlS11_E_NS1_11comp_targetILNS1_3genE4ELNS1_11target_archE910ELNS1_3gpuE8ELNS1_3repE0EEENS1_47radix_sort_onesweep_sort_config_static_selectorELNS0_4arch9wavefront6targetE1EEEvSI_,comdat
.Lfunc_end1459:
	.size	_ZN7rocprim17ROCPRIM_400000_NS6detail17trampoline_kernelINS0_14default_configENS1_35radix_sort_onesweep_config_selectorIiiEEZZNS1_29radix_sort_onesweep_iterationIS3_Lb0EN6thrust23THRUST_200600_302600_NS6detail15normal_iteratorINS8_10device_ptrIiEEEESD_SD_SD_jNS0_19identity_decomposerENS1_16block_id_wrapperIjLb0EEEEE10hipError_tT1_PNSt15iterator_traitsISI_E10value_typeET2_T3_PNSJ_ISO_E10value_typeET4_T5_PST_SU_PNS1_23onesweep_lookback_stateEbbT6_jjT7_P12ihipStream_tbENKUlT_T0_SI_SN_E_clISD_PiSD_S15_EEDaS11_S12_SI_SN_EUlS11_E_NS1_11comp_targetILNS1_3genE4ELNS1_11target_archE910ELNS1_3gpuE8ELNS1_3repE0EEENS1_47radix_sort_onesweep_sort_config_static_selectorELNS0_4arch9wavefront6targetE1EEEvSI_, .Lfunc_end1459-_ZN7rocprim17ROCPRIM_400000_NS6detail17trampoline_kernelINS0_14default_configENS1_35radix_sort_onesweep_config_selectorIiiEEZZNS1_29radix_sort_onesweep_iterationIS3_Lb0EN6thrust23THRUST_200600_302600_NS6detail15normal_iteratorINS8_10device_ptrIiEEEESD_SD_SD_jNS0_19identity_decomposerENS1_16block_id_wrapperIjLb0EEEEE10hipError_tT1_PNSt15iterator_traitsISI_E10value_typeET2_T3_PNSJ_ISO_E10value_typeET4_T5_PST_SU_PNS1_23onesweep_lookback_stateEbbT6_jjT7_P12ihipStream_tbENKUlT_T0_SI_SN_E_clISD_PiSD_S15_EEDaS11_S12_SI_SN_EUlS11_E_NS1_11comp_targetILNS1_3genE4ELNS1_11target_archE910ELNS1_3gpuE8ELNS1_3repE0EEENS1_47radix_sort_onesweep_sort_config_static_selectorELNS0_4arch9wavefront6targetE1EEEvSI_
                                        ; -- End function
	.set _ZN7rocprim17ROCPRIM_400000_NS6detail17trampoline_kernelINS0_14default_configENS1_35radix_sort_onesweep_config_selectorIiiEEZZNS1_29radix_sort_onesweep_iterationIS3_Lb0EN6thrust23THRUST_200600_302600_NS6detail15normal_iteratorINS8_10device_ptrIiEEEESD_SD_SD_jNS0_19identity_decomposerENS1_16block_id_wrapperIjLb0EEEEE10hipError_tT1_PNSt15iterator_traitsISI_E10value_typeET2_T3_PNSJ_ISO_E10value_typeET4_T5_PST_SU_PNS1_23onesweep_lookback_stateEbbT6_jjT7_P12ihipStream_tbENKUlT_T0_SI_SN_E_clISD_PiSD_S15_EEDaS11_S12_SI_SN_EUlS11_E_NS1_11comp_targetILNS1_3genE4ELNS1_11target_archE910ELNS1_3gpuE8ELNS1_3repE0EEENS1_47radix_sort_onesweep_sort_config_static_selectorELNS0_4arch9wavefront6targetE1EEEvSI_.num_vgpr, 0
	.set _ZN7rocprim17ROCPRIM_400000_NS6detail17trampoline_kernelINS0_14default_configENS1_35radix_sort_onesweep_config_selectorIiiEEZZNS1_29radix_sort_onesweep_iterationIS3_Lb0EN6thrust23THRUST_200600_302600_NS6detail15normal_iteratorINS8_10device_ptrIiEEEESD_SD_SD_jNS0_19identity_decomposerENS1_16block_id_wrapperIjLb0EEEEE10hipError_tT1_PNSt15iterator_traitsISI_E10value_typeET2_T3_PNSJ_ISO_E10value_typeET4_T5_PST_SU_PNS1_23onesweep_lookback_stateEbbT6_jjT7_P12ihipStream_tbENKUlT_T0_SI_SN_E_clISD_PiSD_S15_EEDaS11_S12_SI_SN_EUlS11_E_NS1_11comp_targetILNS1_3genE4ELNS1_11target_archE910ELNS1_3gpuE8ELNS1_3repE0EEENS1_47radix_sort_onesweep_sort_config_static_selectorELNS0_4arch9wavefront6targetE1EEEvSI_.num_agpr, 0
	.set _ZN7rocprim17ROCPRIM_400000_NS6detail17trampoline_kernelINS0_14default_configENS1_35radix_sort_onesweep_config_selectorIiiEEZZNS1_29radix_sort_onesweep_iterationIS3_Lb0EN6thrust23THRUST_200600_302600_NS6detail15normal_iteratorINS8_10device_ptrIiEEEESD_SD_SD_jNS0_19identity_decomposerENS1_16block_id_wrapperIjLb0EEEEE10hipError_tT1_PNSt15iterator_traitsISI_E10value_typeET2_T3_PNSJ_ISO_E10value_typeET4_T5_PST_SU_PNS1_23onesweep_lookback_stateEbbT6_jjT7_P12ihipStream_tbENKUlT_T0_SI_SN_E_clISD_PiSD_S15_EEDaS11_S12_SI_SN_EUlS11_E_NS1_11comp_targetILNS1_3genE4ELNS1_11target_archE910ELNS1_3gpuE8ELNS1_3repE0EEENS1_47radix_sort_onesweep_sort_config_static_selectorELNS0_4arch9wavefront6targetE1EEEvSI_.numbered_sgpr, 0
	.set _ZN7rocprim17ROCPRIM_400000_NS6detail17trampoline_kernelINS0_14default_configENS1_35radix_sort_onesweep_config_selectorIiiEEZZNS1_29radix_sort_onesweep_iterationIS3_Lb0EN6thrust23THRUST_200600_302600_NS6detail15normal_iteratorINS8_10device_ptrIiEEEESD_SD_SD_jNS0_19identity_decomposerENS1_16block_id_wrapperIjLb0EEEEE10hipError_tT1_PNSt15iterator_traitsISI_E10value_typeET2_T3_PNSJ_ISO_E10value_typeET4_T5_PST_SU_PNS1_23onesweep_lookback_stateEbbT6_jjT7_P12ihipStream_tbENKUlT_T0_SI_SN_E_clISD_PiSD_S15_EEDaS11_S12_SI_SN_EUlS11_E_NS1_11comp_targetILNS1_3genE4ELNS1_11target_archE910ELNS1_3gpuE8ELNS1_3repE0EEENS1_47radix_sort_onesweep_sort_config_static_selectorELNS0_4arch9wavefront6targetE1EEEvSI_.num_named_barrier, 0
	.set _ZN7rocprim17ROCPRIM_400000_NS6detail17trampoline_kernelINS0_14default_configENS1_35radix_sort_onesweep_config_selectorIiiEEZZNS1_29radix_sort_onesweep_iterationIS3_Lb0EN6thrust23THRUST_200600_302600_NS6detail15normal_iteratorINS8_10device_ptrIiEEEESD_SD_SD_jNS0_19identity_decomposerENS1_16block_id_wrapperIjLb0EEEEE10hipError_tT1_PNSt15iterator_traitsISI_E10value_typeET2_T3_PNSJ_ISO_E10value_typeET4_T5_PST_SU_PNS1_23onesweep_lookback_stateEbbT6_jjT7_P12ihipStream_tbENKUlT_T0_SI_SN_E_clISD_PiSD_S15_EEDaS11_S12_SI_SN_EUlS11_E_NS1_11comp_targetILNS1_3genE4ELNS1_11target_archE910ELNS1_3gpuE8ELNS1_3repE0EEENS1_47radix_sort_onesweep_sort_config_static_selectorELNS0_4arch9wavefront6targetE1EEEvSI_.private_seg_size, 0
	.set _ZN7rocprim17ROCPRIM_400000_NS6detail17trampoline_kernelINS0_14default_configENS1_35radix_sort_onesweep_config_selectorIiiEEZZNS1_29radix_sort_onesweep_iterationIS3_Lb0EN6thrust23THRUST_200600_302600_NS6detail15normal_iteratorINS8_10device_ptrIiEEEESD_SD_SD_jNS0_19identity_decomposerENS1_16block_id_wrapperIjLb0EEEEE10hipError_tT1_PNSt15iterator_traitsISI_E10value_typeET2_T3_PNSJ_ISO_E10value_typeET4_T5_PST_SU_PNS1_23onesweep_lookback_stateEbbT6_jjT7_P12ihipStream_tbENKUlT_T0_SI_SN_E_clISD_PiSD_S15_EEDaS11_S12_SI_SN_EUlS11_E_NS1_11comp_targetILNS1_3genE4ELNS1_11target_archE910ELNS1_3gpuE8ELNS1_3repE0EEENS1_47radix_sort_onesweep_sort_config_static_selectorELNS0_4arch9wavefront6targetE1EEEvSI_.uses_vcc, 0
	.set _ZN7rocprim17ROCPRIM_400000_NS6detail17trampoline_kernelINS0_14default_configENS1_35radix_sort_onesweep_config_selectorIiiEEZZNS1_29radix_sort_onesweep_iterationIS3_Lb0EN6thrust23THRUST_200600_302600_NS6detail15normal_iteratorINS8_10device_ptrIiEEEESD_SD_SD_jNS0_19identity_decomposerENS1_16block_id_wrapperIjLb0EEEEE10hipError_tT1_PNSt15iterator_traitsISI_E10value_typeET2_T3_PNSJ_ISO_E10value_typeET4_T5_PST_SU_PNS1_23onesweep_lookback_stateEbbT6_jjT7_P12ihipStream_tbENKUlT_T0_SI_SN_E_clISD_PiSD_S15_EEDaS11_S12_SI_SN_EUlS11_E_NS1_11comp_targetILNS1_3genE4ELNS1_11target_archE910ELNS1_3gpuE8ELNS1_3repE0EEENS1_47radix_sort_onesweep_sort_config_static_selectorELNS0_4arch9wavefront6targetE1EEEvSI_.uses_flat_scratch, 0
	.set _ZN7rocprim17ROCPRIM_400000_NS6detail17trampoline_kernelINS0_14default_configENS1_35radix_sort_onesweep_config_selectorIiiEEZZNS1_29radix_sort_onesweep_iterationIS3_Lb0EN6thrust23THRUST_200600_302600_NS6detail15normal_iteratorINS8_10device_ptrIiEEEESD_SD_SD_jNS0_19identity_decomposerENS1_16block_id_wrapperIjLb0EEEEE10hipError_tT1_PNSt15iterator_traitsISI_E10value_typeET2_T3_PNSJ_ISO_E10value_typeET4_T5_PST_SU_PNS1_23onesweep_lookback_stateEbbT6_jjT7_P12ihipStream_tbENKUlT_T0_SI_SN_E_clISD_PiSD_S15_EEDaS11_S12_SI_SN_EUlS11_E_NS1_11comp_targetILNS1_3genE4ELNS1_11target_archE910ELNS1_3gpuE8ELNS1_3repE0EEENS1_47radix_sort_onesweep_sort_config_static_selectorELNS0_4arch9wavefront6targetE1EEEvSI_.has_dyn_sized_stack, 0
	.set _ZN7rocprim17ROCPRIM_400000_NS6detail17trampoline_kernelINS0_14default_configENS1_35radix_sort_onesweep_config_selectorIiiEEZZNS1_29radix_sort_onesweep_iterationIS3_Lb0EN6thrust23THRUST_200600_302600_NS6detail15normal_iteratorINS8_10device_ptrIiEEEESD_SD_SD_jNS0_19identity_decomposerENS1_16block_id_wrapperIjLb0EEEEE10hipError_tT1_PNSt15iterator_traitsISI_E10value_typeET2_T3_PNSJ_ISO_E10value_typeET4_T5_PST_SU_PNS1_23onesweep_lookback_stateEbbT6_jjT7_P12ihipStream_tbENKUlT_T0_SI_SN_E_clISD_PiSD_S15_EEDaS11_S12_SI_SN_EUlS11_E_NS1_11comp_targetILNS1_3genE4ELNS1_11target_archE910ELNS1_3gpuE8ELNS1_3repE0EEENS1_47radix_sort_onesweep_sort_config_static_selectorELNS0_4arch9wavefront6targetE1EEEvSI_.has_recursion, 0
	.set _ZN7rocprim17ROCPRIM_400000_NS6detail17trampoline_kernelINS0_14default_configENS1_35radix_sort_onesweep_config_selectorIiiEEZZNS1_29radix_sort_onesweep_iterationIS3_Lb0EN6thrust23THRUST_200600_302600_NS6detail15normal_iteratorINS8_10device_ptrIiEEEESD_SD_SD_jNS0_19identity_decomposerENS1_16block_id_wrapperIjLb0EEEEE10hipError_tT1_PNSt15iterator_traitsISI_E10value_typeET2_T3_PNSJ_ISO_E10value_typeET4_T5_PST_SU_PNS1_23onesweep_lookback_stateEbbT6_jjT7_P12ihipStream_tbENKUlT_T0_SI_SN_E_clISD_PiSD_S15_EEDaS11_S12_SI_SN_EUlS11_E_NS1_11comp_targetILNS1_3genE4ELNS1_11target_archE910ELNS1_3gpuE8ELNS1_3repE0EEENS1_47radix_sort_onesweep_sort_config_static_selectorELNS0_4arch9wavefront6targetE1EEEvSI_.has_indirect_call, 0
	.section	.AMDGPU.csdata,"",@progbits
; Kernel info:
; codeLenInByte = 0
; TotalNumSgprs: 6
; NumVgprs: 0
; NumAgprs: 0
; TotalNumVgprs: 0
; ScratchSize: 0
; MemoryBound: 0
; FloatMode: 240
; IeeeMode: 1
; LDSByteSize: 0 bytes/workgroup (compile time only)
; SGPRBlocks: 0
; VGPRBlocks: 0
; NumSGPRsForWavesPerEU: 6
; NumVGPRsForWavesPerEU: 1
; AccumOffset: 4
; Occupancy: 8
; WaveLimiterHint : 0
; COMPUTE_PGM_RSRC2:SCRATCH_EN: 0
; COMPUTE_PGM_RSRC2:USER_SGPR: 2
; COMPUTE_PGM_RSRC2:TRAP_HANDLER: 0
; COMPUTE_PGM_RSRC2:TGID_X_EN: 1
; COMPUTE_PGM_RSRC2:TGID_Y_EN: 0
; COMPUTE_PGM_RSRC2:TGID_Z_EN: 0
; COMPUTE_PGM_RSRC2:TIDIG_COMP_CNT: 0
; COMPUTE_PGM_RSRC3_GFX90A:ACCUM_OFFSET: 0
; COMPUTE_PGM_RSRC3_GFX90A:TG_SPLIT: 0
	.section	.text._ZN7rocprim17ROCPRIM_400000_NS6detail17trampoline_kernelINS0_14default_configENS1_35radix_sort_onesweep_config_selectorIiiEEZZNS1_29radix_sort_onesweep_iterationIS3_Lb0EN6thrust23THRUST_200600_302600_NS6detail15normal_iteratorINS8_10device_ptrIiEEEESD_SD_SD_jNS0_19identity_decomposerENS1_16block_id_wrapperIjLb0EEEEE10hipError_tT1_PNSt15iterator_traitsISI_E10value_typeET2_T3_PNSJ_ISO_E10value_typeET4_T5_PST_SU_PNS1_23onesweep_lookback_stateEbbT6_jjT7_P12ihipStream_tbENKUlT_T0_SI_SN_E_clISD_PiSD_S15_EEDaS11_S12_SI_SN_EUlS11_E_NS1_11comp_targetILNS1_3genE3ELNS1_11target_archE908ELNS1_3gpuE7ELNS1_3repE0EEENS1_47radix_sort_onesweep_sort_config_static_selectorELNS0_4arch9wavefront6targetE1EEEvSI_,"axG",@progbits,_ZN7rocprim17ROCPRIM_400000_NS6detail17trampoline_kernelINS0_14default_configENS1_35radix_sort_onesweep_config_selectorIiiEEZZNS1_29radix_sort_onesweep_iterationIS3_Lb0EN6thrust23THRUST_200600_302600_NS6detail15normal_iteratorINS8_10device_ptrIiEEEESD_SD_SD_jNS0_19identity_decomposerENS1_16block_id_wrapperIjLb0EEEEE10hipError_tT1_PNSt15iterator_traitsISI_E10value_typeET2_T3_PNSJ_ISO_E10value_typeET4_T5_PST_SU_PNS1_23onesweep_lookback_stateEbbT6_jjT7_P12ihipStream_tbENKUlT_T0_SI_SN_E_clISD_PiSD_S15_EEDaS11_S12_SI_SN_EUlS11_E_NS1_11comp_targetILNS1_3genE3ELNS1_11target_archE908ELNS1_3gpuE7ELNS1_3repE0EEENS1_47radix_sort_onesweep_sort_config_static_selectorELNS0_4arch9wavefront6targetE1EEEvSI_,comdat
	.protected	_ZN7rocprim17ROCPRIM_400000_NS6detail17trampoline_kernelINS0_14default_configENS1_35radix_sort_onesweep_config_selectorIiiEEZZNS1_29radix_sort_onesweep_iterationIS3_Lb0EN6thrust23THRUST_200600_302600_NS6detail15normal_iteratorINS8_10device_ptrIiEEEESD_SD_SD_jNS0_19identity_decomposerENS1_16block_id_wrapperIjLb0EEEEE10hipError_tT1_PNSt15iterator_traitsISI_E10value_typeET2_T3_PNSJ_ISO_E10value_typeET4_T5_PST_SU_PNS1_23onesweep_lookback_stateEbbT6_jjT7_P12ihipStream_tbENKUlT_T0_SI_SN_E_clISD_PiSD_S15_EEDaS11_S12_SI_SN_EUlS11_E_NS1_11comp_targetILNS1_3genE3ELNS1_11target_archE908ELNS1_3gpuE7ELNS1_3repE0EEENS1_47radix_sort_onesweep_sort_config_static_selectorELNS0_4arch9wavefront6targetE1EEEvSI_ ; -- Begin function _ZN7rocprim17ROCPRIM_400000_NS6detail17trampoline_kernelINS0_14default_configENS1_35radix_sort_onesweep_config_selectorIiiEEZZNS1_29radix_sort_onesweep_iterationIS3_Lb0EN6thrust23THRUST_200600_302600_NS6detail15normal_iteratorINS8_10device_ptrIiEEEESD_SD_SD_jNS0_19identity_decomposerENS1_16block_id_wrapperIjLb0EEEEE10hipError_tT1_PNSt15iterator_traitsISI_E10value_typeET2_T3_PNSJ_ISO_E10value_typeET4_T5_PST_SU_PNS1_23onesweep_lookback_stateEbbT6_jjT7_P12ihipStream_tbENKUlT_T0_SI_SN_E_clISD_PiSD_S15_EEDaS11_S12_SI_SN_EUlS11_E_NS1_11comp_targetILNS1_3genE3ELNS1_11target_archE908ELNS1_3gpuE7ELNS1_3repE0EEENS1_47radix_sort_onesweep_sort_config_static_selectorELNS0_4arch9wavefront6targetE1EEEvSI_
	.globl	_ZN7rocprim17ROCPRIM_400000_NS6detail17trampoline_kernelINS0_14default_configENS1_35radix_sort_onesweep_config_selectorIiiEEZZNS1_29radix_sort_onesweep_iterationIS3_Lb0EN6thrust23THRUST_200600_302600_NS6detail15normal_iteratorINS8_10device_ptrIiEEEESD_SD_SD_jNS0_19identity_decomposerENS1_16block_id_wrapperIjLb0EEEEE10hipError_tT1_PNSt15iterator_traitsISI_E10value_typeET2_T3_PNSJ_ISO_E10value_typeET4_T5_PST_SU_PNS1_23onesweep_lookback_stateEbbT6_jjT7_P12ihipStream_tbENKUlT_T0_SI_SN_E_clISD_PiSD_S15_EEDaS11_S12_SI_SN_EUlS11_E_NS1_11comp_targetILNS1_3genE3ELNS1_11target_archE908ELNS1_3gpuE7ELNS1_3repE0EEENS1_47radix_sort_onesweep_sort_config_static_selectorELNS0_4arch9wavefront6targetE1EEEvSI_
	.p2align	8
	.type	_ZN7rocprim17ROCPRIM_400000_NS6detail17trampoline_kernelINS0_14default_configENS1_35radix_sort_onesweep_config_selectorIiiEEZZNS1_29radix_sort_onesweep_iterationIS3_Lb0EN6thrust23THRUST_200600_302600_NS6detail15normal_iteratorINS8_10device_ptrIiEEEESD_SD_SD_jNS0_19identity_decomposerENS1_16block_id_wrapperIjLb0EEEEE10hipError_tT1_PNSt15iterator_traitsISI_E10value_typeET2_T3_PNSJ_ISO_E10value_typeET4_T5_PST_SU_PNS1_23onesweep_lookback_stateEbbT6_jjT7_P12ihipStream_tbENKUlT_T0_SI_SN_E_clISD_PiSD_S15_EEDaS11_S12_SI_SN_EUlS11_E_NS1_11comp_targetILNS1_3genE3ELNS1_11target_archE908ELNS1_3gpuE7ELNS1_3repE0EEENS1_47radix_sort_onesweep_sort_config_static_selectorELNS0_4arch9wavefront6targetE1EEEvSI_,@function
_ZN7rocprim17ROCPRIM_400000_NS6detail17trampoline_kernelINS0_14default_configENS1_35radix_sort_onesweep_config_selectorIiiEEZZNS1_29radix_sort_onesweep_iterationIS3_Lb0EN6thrust23THRUST_200600_302600_NS6detail15normal_iteratorINS8_10device_ptrIiEEEESD_SD_SD_jNS0_19identity_decomposerENS1_16block_id_wrapperIjLb0EEEEE10hipError_tT1_PNSt15iterator_traitsISI_E10value_typeET2_T3_PNSJ_ISO_E10value_typeET4_T5_PST_SU_PNS1_23onesweep_lookback_stateEbbT6_jjT7_P12ihipStream_tbENKUlT_T0_SI_SN_E_clISD_PiSD_S15_EEDaS11_S12_SI_SN_EUlS11_E_NS1_11comp_targetILNS1_3genE3ELNS1_11target_archE908ELNS1_3gpuE7ELNS1_3repE0EEENS1_47radix_sort_onesweep_sort_config_static_selectorELNS0_4arch9wavefront6targetE1EEEvSI_: ; @_ZN7rocprim17ROCPRIM_400000_NS6detail17trampoline_kernelINS0_14default_configENS1_35radix_sort_onesweep_config_selectorIiiEEZZNS1_29radix_sort_onesweep_iterationIS3_Lb0EN6thrust23THRUST_200600_302600_NS6detail15normal_iteratorINS8_10device_ptrIiEEEESD_SD_SD_jNS0_19identity_decomposerENS1_16block_id_wrapperIjLb0EEEEE10hipError_tT1_PNSt15iterator_traitsISI_E10value_typeET2_T3_PNSJ_ISO_E10value_typeET4_T5_PST_SU_PNS1_23onesweep_lookback_stateEbbT6_jjT7_P12ihipStream_tbENKUlT_T0_SI_SN_E_clISD_PiSD_S15_EEDaS11_S12_SI_SN_EUlS11_E_NS1_11comp_targetILNS1_3genE3ELNS1_11target_archE908ELNS1_3gpuE7ELNS1_3repE0EEENS1_47radix_sort_onesweep_sort_config_static_selectorELNS0_4arch9wavefront6targetE1EEEvSI_
; %bb.0:
	.section	.rodata,"a",@progbits
	.p2align	6, 0x0
	.amdhsa_kernel _ZN7rocprim17ROCPRIM_400000_NS6detail17trampoline_kernelINS0_14default_configENS1_35radix_sort_onesweep_config_selectorIiiEEZZNS1_29radix_sort_onesweep_iterationIS3_Lb0EN6thrust23THRUST_200600_302600_NS6detail15normal_iteratorINS8_10device_ptrIiEEEESD_SD_SD_jNS0_19identity_decomposerENS1_16block_id_wrapperIjLb0EEEEE10hipError_tT1_PNSt15iterator_traitsISI_E10value_typeET2_T3_PNSJ_ISO_E10value_typeET4_T5_PST_SU_PNS1_23onesweep_lookback_stateEbbT6_jjT7_P12ihipStream_tbENKUlT_T0_SI_SN_E_clISD_PiSD_S15_EEDaS11_S12_SI_SN_EUlS11_E_NS1_11comp_targetILNS1_3genE3ELNS1_11target_archE908ELNS1_3gpuE7ELNS1_3repE0EEENS1_47radix_sort_onesweep_sort_config_static_selectorELNS0_4arch9wavefront6targetE1EEEvSI_
		.amdhsa_group_segment_fixed_size 0
		.amdhsa_private_segment_fixed_size 0
		.amdhsa_kernarg_size 88
		.amdhsa_user_sgpr_count 2
		.amdhsa_user_sgpr_dispatch_ptr 0
		.amdhsa_user_sgpr_queue_ptr 0
		.amdhsa_user_sgpr_kernarg_segment_ptr 1
		.amdhsa_user_sgpr_dispatch_id 0
		.amdhsa_user_sgpr_kernarg_preload_length 0
		.amdhsa_user_sgpr_kernarg_preload_offset 0
		.amdhsa_user_sgpr_private_segment_size 0
		.amdhsa_uses_dynamic_stack 0
		.amdhsa_enable_private_segment 0
		.amdhsa_system_sgpr_workgroup_id_x 1
		.amdhsa_system_sgpr_workgroup_id_y 0
		.amdhsa_system_sgpr_workgroup_id_z 0
		.amdhsa_system_sgpr_workgroup_info 0
		.amdhsa_system_vgpr_workitem_id 0
		.amdhsa_next_free_vgpr 1
		.amdhsa_next_free_sgpr 0
		.amdhsa_accum_offset 4
		.amdhsa_reserve_vcc 0
		.amdhsa_float_round_mode_32 0
		.amdhsa_float_round_mode_16_64 0
		.amdhsa_float_denorm_mode_32 3
		.amdhsa_float_denorm_mode_16_64 3
		.amdhsa_dx10_clamp 1
		.amdhsa_ieee_mode 1
		.amdhsa_fp16_overflow 0
		.amdhsa_tg_split 0
		.amdhsa_exception_fp_ieee_invalid_op 0
		.amdhsa_exception_fp_denorm_src 0
		.amdhsa_exception_fp_ieee_div_zero 0
		.amdhsa_exception_fp_ieee_overflow 0
		.amdhsa_exception_fp_ieee_underflow 0
		.amdhsa_exception_fp_ieee_inexact 0
		.amdhsa_exception_int_div_zero 0
	.end_amdhsa_kernel
	.section	.text._ZN7rocprim17ROCPRIM_400000_NS6detail17trampoline_kernelINS0_14default_configENS1_35radix_sort_onesweep_config_selectorIiiEEZZNS1_29radix_sort_onesweep_iterationIS3_Lb0EN6thrust23THRUST_200600_302600_NS6detail15normal_iteratorINS8_10device_ptrIiEEEESD_SD_SD_jNS0_19identity_decomposerENS1_16block_id_wrapperIjLb0EEEEE10hipError_tT1_PNSt15iterator_traitsISI_E10value_typeET2_T3_PNSJ_ISO_E10value_typeET4_T5_PST_SU_PNS1_23onesweep_lookback_stateEbbT6_jjT7_P12ihipStream_tbENKUlT_T0_SI_SN_E_clISD_PiSD_S15_EEDaS11_S12_SI_SN_EUlS11_E_NS1_11comp_targetILNS1_3genE3ELNS1_11target_archE908ELNS1_3gpuE7ELNS1_3repE0EEENS1_47radix_sort_onesweep_sort_config_static_selectorELNS0_4arch9wavefront6targetE1EEEvSI_,"axG",@progbits,_ZN7rocprim17ROCPRIM_400000_NS6detail17trampoline_kernelINS0_14default_configENS1_35radix_sort_onesweep_config_selectorIiiEEZZNS1_29radix_sort_onesweep_iterationIS3_Lb0EN6thrust23THRUST_200600_302600_NS6detail15normal_iteratorINS8_10device_ptrIiEEEESD_SD_SD_jNS0_19identity_decomposerENS1_16block_id_wrapperIjLb0EEEEE10hipError_tT1_PNSt15iterator_traitsISI_E10value_typeET2_T3_PNSJ_ISO_E10value_typeET4_T5_PST_SU_PNS1_23onesweep_lookback_stateEbbT6_jjT7_P12ihipStream_tbENKUlT_T0_SI_SN_E_clISD_PiSD_S15_EEDaS11_S12_SI_SN_EUlS11_E_NS1_11comp_targetILNS1_3genE3ELNS1_11target_archE908ELNS1_3gpuE7ELNS1_3repE0EEENS1_47radix_sort_onesweep_sort_config_static_selectorELNS0_4arch9wavefront6targetE1EEEvSI_,comdat
.Lfunc_end1460:
	.size	_ZN7rocprim17ROCPRIM_400000_NS6detail17trampoline_kernelINS0_14default_configENS1_35radix_sort_onesweep_config_selectorIiiEEZZNS1_29radix_sort_onesweep_iterationIS3_Lb0EN6thrust23THRUST_200600_302600_NS6detail15normal_iteratorINS8_10device_ptrIiEEEESD_SD_SD_jNS0_19identity_decomposerENS1_16block_id_wrapperIjLb0EEEEE10hipError_tT1_PNSt15iterator_traitsISI_E10value_typeET2_T3_PNSJ_ISO_E10value_typeET4_T5_PST_SU_PNS1_23onesweep_lookback_stateEbbT6_jjT7_P12ihipStream_tbENKUlT_T0_SI_SN_E_clISD_PiSD_S15_EEDaS11_S12_SI_SN_EUlS11_E_NS1_11comp_targetILNS1_3genE3ELNS1_11target_archE908ELNS1_3gpuE7ELNS1_3repE0EEENS1_47radix_sort_onesweep_sort_config_static_selectorELNS0_4arch9wavefront6targetE1EEEvSI_, .Lfunc_end1460-_ZN7rocprim17ROCPRIM_400000_NS6detail17trampoline_kernelINS0_14default_configENS1_35radix_sort_onesweep_config_selectorIiiEEZZNS1_29radix_sort_onesweep_iterationIS3_Lb0EN6thrust23THRUST_200600_302600_NS6detail15normal_iteratorINS8_10device_ptrIiEEEESD_SD_SD_jNS0_19identity_decomposerENS1_16block_id_wrapperIjLb0EEEEE10hipError_tT1_PNSt15iterator_traitsISI_E10value_typeET2_T3_PNSJ_ISO_E10value_typeET4_T5_PST_SU_PNS1_23onesweep_lookback_stateEbbT6_jjT7_P12ihipStream_tbENKUlT_T0_SI_SN_E_clISD_PiSD_S15_EEDaS11_S12_SI_SN_EUlS11_E_NS1_11comp_targetILNS1_3genE3ELNS1_11target_archE908ELNS1_3gpuE7ELNS1_3repE0EEENS1_47radix_sort_onesweep_sort_config_static_selectorELNS0_4arch9wavefront6targetE1EEEvSI_
                                        ; -- End function
	.set _ZN7rocprim17ROCPRIM_400000_NS6detail17trampoline_kernelINS0_14default_configENS1_35radix_sort_onesweep_config_selectorIiiEEZZNS1_29radix_sort_onesweep_iterationIS3_Lb0EN6thrust23THRUST_200600_302600_NS6detail15normal_iteratorINS8_10device_ptrIiEEEESD_SD_SD_jNS0_19identity_decomposerENS1_16block_id_wrapperIjLb0EEEEE10hipError_tT1_PNSt15iterator_traitsISI_E10value_typeET2_T3_PNSJ_ISO_E10value_typeET4_T5_PST_SU_PNS1_23onesweep_lookback_stateEbbT6_jjT7_P12ihipStream_tbENKUlT_T0_SI_SN_E_clISD_PiSD_S15_EEDaS11_S12_SI_SN_EUlS11_E_NS1_11comp_targetILNS1_3genE3ELNS1_11target_archE908ELNS1_3gpuE7ELNS1_3repE0EEENS1_47radix_sort_onesweep_sort_config_static_selectorELNS0_4arch9wavefront6targetE1EEEvSI_.num_vgpr, 0
	.set _ZN7rocprim17ROCPRIM_400000_NS6detail17trampoline_kernelINS0_14default_configENS1_35radix_sort_onesweep_config_selectorIiiEEZZNS1_29radix_sort_onesweep_iterationIS3_Lb0EN6thrust23THRUST_200600_302600_NS6detail15normal_iteratorINS8_10device_ptrIiEEEESD_SD_SD_jNS0_19identity_decomposerENS1_16block_id_wrapperIjLb0EEEEE10hipError_tT1_PNSt15iterator_traitsISI_E10value_typeET2_T3_PNSJ_ISO_E10value_typeET4_T5_PST_SU_PNS1_23onesweep_lookback_stateEbbT6_jjT7_P12ihipStream_tbENKUlT_T0_SI_SN_E_clISD_PiSD_S15_EEDaS11_S12_SI_SN_EUlS11_E_NS1_11comp_targetILNS1_3genE3ELNS1_11target_archE908ELNS1_3gpuE7ELNS1_3repE0EEENS1_47radix_sort_onesweep_sort_config_static_selectorELNS0_4arch9wavefront6targetE1EEEvSI_.num_agpr, 0
	.set _ZN7rocprim17ROCPRIM_400000_NS6detail17trampoline_kernelINS0_14default_configENS1_35radix_sort_onesweep_config_selectorIiiEEZZNS1_29radix_sort_onesweep_iterationIS3_Lb0EN6thrust23THRUST_200600_302600_NS6detail15normal_iteratorINS8_10device_ptrIiEEEESD_SD_SD_jNS0_19identity_decomposerENS1_16block_id_wrapperIjLb0EEEEE10hipError_tT1_PNSt15iterator_traitsISI_E10value_typeET2_T3_PNSJ_ISO_E10value_typeET4_T5_PST_SU_PNS1_23onesweep_lookback_stateEbbT6_jjT7_P12ihipStream_tbENKUlT_T0_SI_SN_E_clISD_PiSD_S15_EEDaS11_S12_SI_SN_EUlS11_E_NS1_11comp_targetILNS1_3genE3ELNS1_11target_archE908ELNS1_3gpuE7ELNS1_3repE0EEENS1_47radix_sort_onesweep_sort_config_static_selectorELNS0_4arch9wavefront6targetE1EEEvSI_.numbered_sgpr, 0
	.set _ZN7rocprim17ROCPRIM_400000_NS6detail17trampoline_kernelINS0_14default_configENS1_35radix_sort_onesweep_config_selectorIiiEEZZNS1_29radix_sort_onesweep_iterationIS3_Lb0EN6thrust23THRUST_200600_302600_NS6detail15normal_iteratorINS8_10device_ptrIiEEEESD_SD_SD_jNS0_19identity_decomposerENS1_16block_id_wrapperIjLb0EEEEE10hipError_tT1_PNSt15iterator_traitsISI_E10value_typeET2_T3_PNSJ_ISO_E10value_typeET4_T5_PST_SU_PNS1_23onesweep_lookback_stateEbbT6_jjT7_P12ihipStream_tbENKUlT_T0_SI_SN_E_clISD_PiSD_S15_EEDaS11_S12_SI_SN_EUlS11_E_NS1_11comp_targetILNS1_3genE3ELNS1_11target_archE908ELNS1_3gpuE7ELNS1_3repE0EEENS1_47radix_sort_onesweep_sort_config_static_selectorELNS0_4arch9wavefront6targetE1EEEvSI_.num_named_barrier, 0
	.set _ZN7rocprim17ROCPRIM_400000_NS6detail17trampoline_kernelINS0_14default_configENS1_35radix_sort_onesweep_config_selectorIiiEEZZNS1_29radix_sort_onesweep_iterationIS3_Lb0EN6thrust23THRUST_200600_302600_NS6detail15normal_iteratorINS8_10device_ptrIiEEEESD_SD_SD_jNS0_19identity_decomposerENS1_16block_id_wrapperIjLb0EEEEE10hipError_tT1_PNSt15iterator_traitsISI_E10value_typeET2_T3_PNSJ_ISO_E10value_typeET4_T5_PST_SU_PNS1_23onesweep_lookback_stateEbbT6_jjT7_P12ihipStream_tbENKUlT_T0_SI_SN_E_clISD_PiSD_S15_EEDaS11_S12_SI_SN_EUlS11_E_NS1_11comp_targetILNS1_3genE3ELNS1_11target_archE908ELNS1_3gpuE7ELNS1_3repE0EEENS1_47radix_sort_onesweep_sort_config_static_selectorELNS0_4arch9wavefront6targetE1EEEvSI_.private_seg_size, 0
	.set _ZN7rocprim17ROCPRIM_400000_NS6detail17trampoline_kernelINS0_14default_configENS1_35radix_sort_onesweep_config_selectorIiiEEZZNS1_29radix_sort_onesweep_iterationIS3_Lb0EN6thrust23THRUST_200600_302600_NS6detail15normal_iteratorINS8_10device_ptrIiEEEESD_SD_SD_jNS0_19identity_decomposerENS1_16block_id_wrapperIjLb0EEEEE10hipError_tT1_PNSt15iterator_traitsISI_E10value_typeET2_T3_PNSJ_ISO_E10value_typeET4_T5_PST_SU_PNS1_23onesweep_lookback_stateEbbT6_jjT7_P12ihipStream_tbENKUlT_T0_SI_SN_E_clISD_PiSD_S15_EEDaS11_S12_SI_SN_EUlS11_E_NS1_11comp_targetILNS1_3genE3ELNS1_11target_archE908ELNS1_3gpuE7ELNS1_3repE0EEENS1_47radix_sort_onesweep_sort_config_static_selectorELNS0_4arch9wavefront6targetE1EEEvSI_.uses_vcc, 0
	.set _ZN7rocprim17ROCPRIM_400000_NS6detail17trampoline_kernelINS0_14default_configENS1_35radix_sort_onesweep_config_selectorIiiEEZZNS1_29radix_sort_onesweep_iterationIS3_Lb0EN6thrust23THRUST_200600_302600_NS6detail15normal_iteratorINS8_10device_ptrIiEEEESD_SD_SD_jNS0_19identity_decomposerENS1_16block_id_wrapperIjLb0EEEEE10hipError_tT1_PNSt15iterator_traitsISI_E10value_typeET2_T3_PNSJ_ISO_E10value_typeET4_T5_PST_SU_PNS1_23onesweep_lookback_stateEbbT6_jjT7_P12ihipStream_tbENKUlT_T0_SI_SN_E_clISD_PiSD_S15_EEDaS11_S12_SI_SN_EUlS11_E_NS1_11comp_targetILNS1_3genE3ELNS1_11target_archE908ELNS1_3gpuE7ELNS1_3repE0EEENS1_47radix_sort_onesweep_sort_config_static_selectorELNS0_4arch9wavefront6targetE1EEEvSI_.uses_flat_scratch, 0
	.set _ZN7rocprim17ROCPRIM_400000_NS6detail17trampoline_kernelINS0_14default_configENS1_35radix_sort_onesweep_config_selectorIiiEEZZNS1_29radix_sort_onesweep_iterationIS3_Lb0EN6thrust23THRUST_200600_302600_NS6detail15normal_iteratorINS8_10device_ptrIiEEEESD_SD_SD_jNS0_19identity_decomposerENS1_16block_id_wrapperIjLb0EEEEE10hipError_tT1_PNSt15iterator_traitsISI_E10value_typeET2_T3_PNSJ_ISO_E10value_typeET4_T5_PST_SU_PNS1_23onesweep_lookback_stateEbbT6_jjT7_P12ihipStream_tbENKUlT_T0_SI_SN_E_clISD_PiSD_S15_EEDaS11_S12_SI_SN_EUlS11_E_NS1_11comp_targetILNS1_3genE3ELNS1_11target_archE908ELNS1_3gpuE7ELNS1_3repE0EEENS1_47radix_sort_onesweep_sort_config_static_selectorELNS0_4arch9wavefront6targetE1EEEvSI_.has_dyn_sized_stack, 0
	.set _ZN7rocprim17ROCPRIM_400000_NS6detail17trampoline_kernelINS0_14default_configENS1_35radix_sort_onesweep_config_selectorIiiEEZZNS1_29radix_sort_onesweep_iterationIS3_Lb0EN6thrust23THRUST_200600_302600_NS6detail15normal_iteratorINS8_10device_ptrIiEEEESD_SD_SD_jNS0_19identity_decomposerENS1_16block_id_wrapperIjLb0EEEEE10hipError_tT1_PNSt15iterator_traitsISI_E10value_typeET2_T3_PNSJ_ISO_E10value_typeET4_T5_PST_SU_PNS1_23onesweep_lookback_stateEbbT6_jjT7_P12ihipStream_tbENKUlT_T0_SI_SN_E_clISD_PiSD_S15_EEDaS11_S12_SI_SN_EUlS11_E_NS1_11comp_targetILNS1_3genE3ELNS1_11target_archE908ELNS1_3gpuE7ELNS1_3repE0EEENS1_47radix_sort_onesweep_sort_config_static_selectorELNS0_4arch9wavefront6targetE1EEEvSI_.has_recursion, 0
	.set _ZN7rocprim17ROCPRIM_400000_NS6detail17trampoline_kernelINS0_14default_configENS1_35radix_sort_onesweep_config_selectorIiiEEZZNS1_29radix_sort_onesweep_iterationIS3_Lb0EN6thrust23THRUST_200600_302600_NS6detail15normal_iteratorINS8_10device_ptrIiEEEESD_SD_SD_jNS0_19identity_decomposerENS1_16block_id_wrapperIjLb0EEEEE10hipError_tT1_PNSt15iterator_traitsISI_E10value_typeET2_T3_PNSJ_ISO_E10value_typeET4_T5_PST_SU_PNS1_23onesweep_lookback_stateEbbT6_jjT7_P12ihipStream_tbENKUlT_T0_SI_SN_E_clISD_PiSD_S15_EEDaS11_S12_SI_SN_EUlS11_E_NS1_11comp_targetILNS1_3genE3ELNS1_11target_archE908ELNS1_3gpuE7ELNS1_3repE0EEENS1_47radix_sort_onesweep_sort_config_static_selectorELNS0_4arch9wavefront6targetE1EEEvSI_.has_indirect_call, 0
	.section	.AMDGPU.csdata,"",@progbits
; Kernel info:
; codeLenInByte = 0
; TotalNumSgprs: 6
; NumVgprs: 0
; NumAgprs: 0
; TotalNumVgprs: 0
; ScratchSize: 0
; MemoryBound: 0
; FloatMode: 240
; IeeeMode: 1
; LDSByteSize: 0 bytes/workgroup (compile time only)
; SGPRBlocks: 0
; VGPRBlocks: 0
; NumSGPRsForWavesPerEU: 6
; NumVGPRsForWavesPerEU: 1
; AccumOffset: 4
; Occupancy: 8
; WaveLimiterHint : 0
; COMPUTE_PGM_RSRC2:SCRATCH_EN: 0
; COMPUTE_PGM_RSRC2:USER_SGPR: 2
; COMPUTE_PGM_RSRC2:TRAP_HANDLER: 0
; COMPUTE_PGM_RSRC2:TGID_X_EN: 1
; COMPUTE_PGM_RSRC2:TGID_Y_EN: 0
; COMPUTE_PGM_RSRC2:TGID_Z_EN: 0
; COMPUTE_PGM_RSRC2:TIDIG_COMP_CNT: 0
; COMPUTE_PGM_RSRC3_GFX90A:ACCUM_OFFSET: 0
; COMPUTE_PGM_RSRC3_GFX90A:TG_SPLIT: 0
	.section	.text._ZN7rocprim17ROCPRIM_400000_NS6detail17trampoline_kernelINS0_14default_configENS1_35radix_sort_onesweep_config_selectorIiiEEZZNS1_29radix_sort_onesweep_iterationIS3_Lb0EN6thrust23THRUST_200600_302600_NS6detail15normal_iteratorINS8_10device_ptrIiEEEESD_SD_SD_jNS0_19identity_decomposerENS1_16block_id_wrapperIjLb0EEEEE10hipError_tT1_PNSt15iterator_traitsISI_E10value_typeET2_T3_PNSJ_ISO_E10value_typeET4_T5_PST_SU_PNS1_23onesweep_lookback_stateEbbT6_jjT7_P12ihipStream_tbENKUlT_T0_SI_SN_E_clISD_PiSD_S15_EEDaS11_S12_SI_SN_EUlS11_E_NS1_11comp_targetILNS1_3genE10ELNS1_11target_archE1201ELNS1_3gpuE5ELNS1_3repE0EEENS1_47radix_sort_onesweep_sort_config_static_selectorELNS0_4arch9wavefront6targetE1EEEvSI_,"axG",@progbits,_ZN7rocprim17ROCPRIM_400000_NS6detail17trampoline_kernelINS0_14default_configENS1_35radix_sort_onesweep_config_selectorIiiEEZZNS1_29radix_sort_onesweep_iterationIS3_Lb0EN6thrust23THRUST_200600_302600_NS6detail15normal_iteratorINS8_10device_ptrIiEEEESD_SD_SD_jNS0_19identity_decomposerENS1_16block_id_wrapperIjLb0EEEEE10hipError_tT1_PNSt15iterator_traitsISI_E10value_typeET2_T3_PNSJ_ISO_E10value_typeET4_T5_PST_SU_PNS1_23onesweep_lookback_stateEbbT6_jjT7_P12ihipStream_tbENKUlT_T0_SI_SN_E_clISD_PiSD_S15_EEDaS11_S12_SI_SN_EUlS11_E_NS1_11comp_targetILNS1_3genE10ELNS1_11target_archE1201ELNS1_3gpuE5ELNS1_3repE0EEENS1_47radix_sort_onesweep_sort_config_static_selectorELNS0_4arch9wavefront6targetE1EEEvSI_,comdat
	.protected	_ZN7rocprim17ROCPRIM_400000_NS6detail17trampoline_kernelINS0_14default_configENS1_35radix_sort_onesweep_config_selectorIiiEEZZNS1_29radix_sort_onesweep_iterationIS3_Lb0EN6thrust23THRUST_200600_302600_NS6detail15normal_iteratorINS8_10device_ptrIiEEEESD_SD_SD_jNS0_19identity_decomposerENS1_16block_id_wrapperIjLb0EEEEE10hipError_tT1_PNSt15iterator_traitsISI_E10value_typeET2_T3_PNSJ_ISO_E10value_typeET4_T5_PST_SU_PNS1_23onesweep_lookback_stateEbbT6_jjT7_P12ihipStream_tbENKUlT_T0_SI_SN_E_clISD_PiSD_S15_EEDaS11_S12_SI_SN_EUlS11_E_NS1_11comp_targetILNS1_3genE10ELNS1_11target_archE1201ELNS1_3gpuE5ELNS1_3repE0EEENS1_47radix_sort_onesweep_sort_config_static_selectorELNS0_4arch9wavefront6targetE1EEEvSI_ ; -- Begin function _ZN7rocprim17ROCPRIM_400000_NS6detail17trampoline_kernelINS0_14default_configENS1_35radix_sort_onesweep_config_selectorIiiEEZZNS1_29radix_sort_onesweep_iterationIS3_Lb0EN6thrust23THRUST_200600_302600_NS6detail15normal_iteratorINS8_10device_ptrIiEEEESD_SD_SD_jNS0_19identity_decomposerENS1_16block_id_wrapperIjLb0EEEEE10hipError_tT1_PNSt15iterator_traitsISI_E10value_typeET2_T3_PNSJ_ISO_E10value_typeET4_T5_PST_SU_PNS1_23onesweep_lookback_stateEbbT6_jjT7_P12ihipStream_tbENKUlT_T0_SI_SN_E_clISD_PiSD_S15_EEDaS11_S12_SI_SN_EUlS11_E_NS1_11comp_targetILNS1_3genE10ELNS1_11target_archE1201ELNS1_3gpuE5ELNS1_3repE0EEENS1_47radix_sort_onesweep_sort_config_static_selectorELNS0_4arch9wavefront6targetE1EEEvSI_
	.globl	_ZN7rocprim17ROCPRIM_400000_NS6detail17trampoline_kernelINS0_14default_configENS1_35radix_sort_onesweep_config_selectorIiiEEZZNS1_29radix_sort_onesweep_iterationIS3_Lb0EN6thrust23THRUST_200600_302600_NS6detail15normal_iteratorINS8_10device_ptrIiEEEESD_SD_SD_jNS0_19identity_decomposerENS1_16block_id_wrapperIjLb0EEEEE10hipError_tT1_PNSt15iterator_traitsISI_E10value_typeET2_T3_PNSJ_ISO_E10value_typeET4_T5_PST_SU_PNS1_23onesweep_lookback_stateEbbT6_jjT7_P12ihipStream_tbENKUlT_T0_SI_SN_E_clISD_PiSD_S15_EEDaS11_S12_SI_SN_EUlS11_E_NS1_11comp_targetILNS1_3genE10ELNS1_11target_archE1201ELNS1_3gpuE5ELNS1_3repE0EEENS1_47radix_sort_onesweep_sort_config_static_selectorELNS0_4arch9wavefront6targetE1EEEvSI_
	.p2align	8
	.type	_ZN7rocprim17ROCPRIM_400000_NS6detail17trampoline_kernelINS0_14default_configENS1_35radix_sort_onesweep_config_selectorIiiEEZZNS1_29radix_sort_onesweep_iterationIS3_Lb0EN6thrust23THRUST_200600_302600_NS6detail15normal_iteratorINS8_10device_ptrIiEEEESD_SD_SD_jNS0_19identity_decomposerENS1_16block_id_wrapperIjLb0EEEEE10hipError_tT1_PNSt15iterator_traitsISI_E10value_typeET2_T3_PNSJ_ISO_E10value_typeET4_T5_PST_SU_PNS1_23onesweep_lookback_stateEbbT6_jjT7_P12ihipStream_tbENKUlT_T0_SI_SN_E_clISD_PiSD_S15_EEDaS11_S12_SI_SN_EUlS11_E_NS1_11comp_targetILNS1_3genE10ELNS1_11target_archE1201ELNS1_3gpuE5ELNS1_3repE0EEENS1_47radix_sort_onesweep_sort_config_static_selectorELNS0_4arch9wavefront6targetE1EEEvSI_,@function
_ZN7rocprim17ROCPRIM_400000_NS6detail17trampoline_kernelINS0_14default_configENS1_35radix_sort_onesweep_config_selectorIiiEEZZNS1_29radix_sort_onesweep_iterationIS3_Lb0EN6thrust23THRUST_200600_302600_NS6detail15normal_iteratorINS8_10device_ptrIiEEEESD_SD_SD_jNS0_19identity_decomposerENS1_16block_id_wrapperIjLb0EEEEE10hipError_tT1_PNSt15iterator_traitsISI_E10value_typeET2_T3_PNSJ_ISO_E10value_typeET4_T5_PST_SU_PNS1_23onesweep_lookback_stateEbbT6_jjT7_P12ihipStream_tbENKUlT_T0_SI_SN_E_clISD_PiSD_S15_EEDaS11_S12_SI_SN_EUlS11_E_NS1_11comp_targetILNS1_3genE10ELNS1_11target_archE1201ELNS1_3gpuE5ELNS1_3repE0EEENS1_47radix_sort_onesweep_sort_config_static_selectorELNS0_4arch9wavefront6targetE1EEEvSI_: ; @_ZN7rocprim17ROCPRIM_400000_NS6detail17trampoline_kernelINS0_14default_configENS1_35radix_sort_onesweep_config_selectorIiiEEZZNS1_29radix_sort_onesweep_iterationIS3_Lb0EN6thrust23THRUST_200600_302600_NS6detail15normal_iteratorINS8_10device_ptrIiEEEESD_SD_SD_jNS0_19identity_decomposerENS1_16block_id_wrapperIjLb0EEEEE10hipError_tT1_PNSt15iterator_traitsISI_E10value_typeET2_T3_PNSJ_ISO_E10value_typeET4_T5_PST_SU_PNS1_23onesweep_lookback_stateEbbT6_jjT7_P12ihipStream_tbENKUlT_T0_SI_SN_E_clISD_PiSD_S15_EEDaS11_S12_SI_SN_EUlS11_E_NS1_11comp_targetILNS1_3genE10ELNS1_11target_archE1201ELNS1_3gpuE5ELNS1_3repE0EEENS1_47radix_sort_onesweep_sort_config_static_selectorELNS0_4arch9wavefront6targetE1EEEvSI_
; %bb.0:
	.section	.rodata,"a",@progbits
	.p2align	6, 0x0
	.amdhsa_kernel _ZN7rocprim17ROCPRIM_400000_NS6detail17trampoline_kernelINS0_14default_configENS1_35radix_sort_onesweep_config_selectorIiiEEZZNS1_29radix_sort_onesweep_iterationIS3_Lb0EN6thrust23THRUST_200600_302600_NS6detail15normal_iteratorINS8_10device_ptrIiEEEESD_SD_SD_jNS0_19identity_decomposerENS1_16block_id_wrapperIjLb0EEEEE10hipError_tT1_PNSt15iterator_traitsISI_E10value_typeET2_T3_PNSJ_ISO_E10value_typeET4_T5_PST_SU_PNS1_23onesweep_lookback_stateEbbT6_jjT7_P12ihipStream_tbENKUlT_T0_SI_SN_E_clISD_PiSD_S15_EEDaS11_S12_SI_SN_EUlS11_E_NS1_11comp_targetILNS1_3genE10ELNS1_11target_archE1201ELNS1_3gpuE5ELNS1_3repE0EEENS1_47radix_sort_onesweep_sort_config_static_selectorELNS0_4arch9wavefront6targetE1EEEvSI_
		.amdhsa_group_segment_fixed_size 0
		.amdhsa_private_segment_fixed_size 0
		.amdhsa_kernarg_size 88
		.amdhsa_user_sgpr_count 2
		.amdhsa_user_sgpr_dispatch_ptr 0
		.amdhsa_user_sgpr_queue_ptr 0
		.amdhsa_user_sgpr_kernarg_segment_ptr 1
		.amdhsa_user_sgpr_dispatch_id 0
		.amdhsa_user_sgpr_kernarg_preload_length 0
		.amdhsa_user_sgpr_kernarg_preload_offset 0
		.amdhsa_user_sgpr_private_segment_size 0
		.amdhsa_uses_dynamic_stack 0
		.amdhsa_enable_private_segment 0
		.amdhsa_system_sgpr_workgroup_id_x 1
		.amdhsa_system_sgpr_workgroup_id_y 0
		.amdhsa_system_sgpr_workgroup_id_z 0
		.amdhsa_system_sgpr_workgroup_info 0
		.amdhsa_system_vgpr_workitem_id 0
		.amdhsa_next_free_vgpr 1
		.amdhsa_next_free_sgpr 0
		.amdhsa_accum_offset 4
		.amdhsa_reserve_vcc 0
		.amdhsa_float_round_mode_32 0
		.amdhsa_float_round_mode_16_64 0
		.amdhsa_float_denorm_mode_32 3
		.amdhsa_float_denorm_mode_16_64 3
		.amdhsa_dx10_clamp 1
		.amdhsa_ieee_mode 1
		.amdhsa_fp16_overflow 0
		.amdhsa_tg_split 0
		.amdhsa_exception_fp_ieee_invalid_op 0
		.amdhsa_exception_fp_denorm_src 0
		.amdhsa_exception_fp_ieee_div_zero 0
		.amdhsa_exception_fp_ieee_overflow 0
		.amdhsa_exception_fp_ieee_underflow 0
		.amdhsa_exception_fp_ieee_inexact 0
		.amdhsa_exception_int_div_zero 0
	.end_amdhsa_kernel
	.section	.text._ZN7rocprim17ROCPRIM_400000_NS6detail17trampoline_kernelINS0_14default_configENS1_35radix_sort_onesweep_config_selectorIiiEEZZNS1_29radix_sort_onesweep_iterationIS3_Lb0EN6thrust23THRUST_200600_302600_NS6detail15normal_iteratorINS8_10device_ptrIiEEEESD_SD_SD_jNS0_19identity_decomposerENS1_16block_id_wrapperIjLb0EEEEE10hipError_tT1_PNSt15iterator_traitsISI_E10value_typeET2_T3_PNSJ_ISO_E10value_typeET4_T5_PST_SU_PNS1_23onesweep_lookback_stateEbbT6_jjT7_P12ihipStream_tbENKUlT_T0_SI_SN_E_clISD_PiSD_S15_EEDaS11_S12_SI_SN_EUlS11_E_NS1_11comp_targetILNS1_3genE10ELNS1_11target_archE1201ELNS1_3gpuE5ELNS1_3repE0EEENS1_47radix_sort_onesweep_sort_config_static_selectorELNS0_4arch9wavefront6targetE1EEEvSI_,"axG",@progbits,_ZN7rocprim17ROCPRIM_400000_NS6detail17trampoline_kernelINS0_14default_configENS1_35radix_sort_onesweep_config_selectorIiiEEZZNS1_29radix_sort_onesweep_iterationIS3_Lb0EN6thrust23THRUST_200600_302600_NS6detail15normal_iteratorINS8_10device_ptrIiEEEESD_SD_SD_jNS0_19identity_decomposerENS1_16block_id_wrapperIjLb0EEEEE10hipError_tT1_PNSt15iterator_traitsISI_E10value_typeET2_T3_PNSJ_ISO_E10value_typeET4_T5_PST_SU_PNS1_23onesweep_lookback_stateEbbT6_jjT7_P12ihipStream_tbENKUlT_T0_SI_SN_E_clISD_PiSD_S15_EEDaS11_S12_SI_SN_EUlS11_E_NS1_11comp_targetILNS1_3genE10ELNS1_11target_archE1201ELNS1_3gpuE5ELNS1_3repE0EEENS1_47radix_sort_onesweep_sort_config_static_selectorELNS0_4arch9wavefront6targetE1EEEvSI_,comdat
.Lfunc_end1461:
	.size	_ZN7rocprim17ROCPRIM_400000_NS6detail17trampoline_kernelINS0_14default_configENS1_35radix_sort_onesweep_config_selectorIiiEEZZNS1_29radix_sort_onesweep_iterationIS3_Lb0EN6thrust23THRUST_200600_302600_NS6detail15normal_iteratorINS8_10device_ptrIiEEEESD_SD_SD_jNS0_19identity_decomposerENS1_16block_id_wrapperIjLb0EEEEE10hipError_tT1_PNSt15iterator_traitsISI_E10value_typeET2_T3_PNSJ_ISO_E10value_typeET4_T5_PST_SU_PNS1_23onesweep_lookback_stateEbbT6_jjT7_P12ihipStream_tbENKUlT_T0_SI_SN_E_clISD_PiSD_S15_EEDaS11_S12_SI_SN_EUlS11_E_NS1_11comp_targetILNS1_3genE10ELNS1_11target_archE1201ELNS1_3gpuE5ELNS1_3repE0EEENS1_47radix_sort_onesweep_sort_config_static_selectorELNS0_4arch9wavefront6targetE1EEEvSI_, .Lfunc_end1461-_ZN7rocprim17ROCPRIM_400000_NS6detail17trampoline_kernelINS0_14default_configENS1_35radix_sort_onesweep_config_selectorIiiEEZZNS1_29radix_sort_onesweep_iterationIS3_Lb0EN6thrust23THRUST_200600_302600_NS6detail15normal_iteratorINS8_10device_ptrIiEEEESD_SD_SD_jNS0_19identity_decomposerENS1_16block_id_wrapperIjLb0EEEEE10hipError_tT1_PNSt15iterator_traitsISI_E10value_typeET2_T3_PNSJ_ISO_E10value_typeET4_T5_PST_SU_PNS1_23onesweep_lookback_stateEbbT6_jjT7_P12ihipStream_tbENKUlT_T0_SI_SN_E_clISD_PiSD_S15_EEDaS11_S12_SI_SN_EUlS11_E_NS1_11comp_targetILNS1_3genE10ELNS1_11target_archE1201ELNS1_3gpuE5ELNS1_3repE0EEENS1_47radix_sort_onesweep_sort_config_static_selectorELNS0_4arch9wavefront6targetE1EEEvSI_
                                        ; -- End function
	.set _ZN7rocprim17ROCPRIM_400000_NS6detail17trampoline_kernelINS0_14default_configENS1_35radix_sort_onesweep_config_selectorIiiEEZZNS1_29radix_sort_onesweep_iterationIS3_Lb0EN6thrust23THRUST_200600_302600_NS6detail15normal_iteratorINS8_10device_ptrIiEEEESD_SD_SD_jNS0_19identity_decomposerENS1_16block_id_wrapperIjLb0EEEEE10hipError_tT1_PNSt15iterator_traitsISI_E10value_typeET2_T3_PNSJ_ISO_E10value_typeET4_T5_PST_SU_PNS1_23onesweep_lookback_stateEbbT6_jjT7_P12ihipStream_tbENKUlT_T0_SI_SN_E_clISD_PiSD_S15_EEDaS11_S12_SI_SN_EUlS11_E_NS1_11comp_targetILNS1_3genE10ELNS1_11target_archE1201ELNS1_3gpuE5ELNS1_3repE0EEENS1_47radix_sort_onesweep_sort_config_static_selectorELNS0_4arch9wavefront6targetE1EEEvSI_.num_vgpr, 0
	.set _ZN7rocprim17ROCPRIM_400000_NS6detail17trampoline_kernelINS0_14default_configENS1_35radix_sort_onesweep_config_selectorIiiEEZZNS1_29radix_sort_onesweep_iterationIS3_Lb0EN6thrust23THRUST_200600_302600_NS6detail15normal_iteratorINS8_10device_ptrIiEEEESD_SD_SD_jNS0_19identity_decomposerENS1_16block_id_wrapperIjLb0EEEEE10hipError_tT1_PNSt15iterator_traitsISI_E10value_typeET2_T3_PNSJ_ISO_E10value_typeET4_T5_PST_SU_PNS1_23onesweep_lookback_stateEbbT6_jjT7_P12ihipStream_tbENKUlT_T0_SI_SN_E_clISD_PiSD_S15_EEDaS11_S12_SI_SN_EUlS11_E_NS1_11comp_targetILNS1_3genE10ELNS1_11target_archE1201ELNS1_3gpuE5ELNS1_3repE0EEENS1_47radix_sort_onesweep_sort_config_static_selectorELNS0_4arch9wavefront6targetE1EEEvSI_.num_agpr, 0
	.set _ZN7rocprim17ROCPRIM_400000_NS6detail17trampoline_kernelINS0_14default_configENS1_35radix_sort_onesweep_config_selectorIiiEEZZNS1_29radix_sort_onesweep_iterationIS3_Lb0EN6thrust23THRUST_200600_302600_NS6detail15normal_iteratorINS8_10device_ptrIiEEEESD_SD_SD_jNS0_19identity_decomposerENS1_16block_id_wrapperIjLb0EEEEE10hipError_tT1_PNSt15iterator_traitsISI_E10value_typeET2_T3_PNSJ_ISO_E10value_typeET4_T5_PST_SU_PNS1_23onesweep_lookback_stateEbbT6_jjT7_P12ihipStream_tbENKUlT_T0_SI_SN_E_clISD_PiSD_S15_EEDaS11_S12_SI_SN_EUlS11_E_NS1_11comp_targetILNS1_3genE10ELNS1_11target_archE1201ELNS1_3gpuE5ELNS1_3repE0EEENS1_47radix_sort_onesweep_sort_config_static_selectorELNS0_4arch9wavefront6targetE1EEEvSI_.numbered_sgpr, 0
	.set _ZN7rocprim17ROCPRIM_400000_NS6detail17trampoline_kernelINS0_14default_configENS1_35radix_sort_onesweep_config_selectorIiiEEZZNS1_29radix_sort_onesweep_iterationIS3_Lb0EN6thrust23THRUST_200600_302600_NS6detail15normal_iteratorINS8_10device_ptrIiEEEESD_SD_SD_jNS0_19identity_decomposerENS1_16block_id_wrapperIjLb0EEEEE10hipError_tT1_PNSt15iterator_traitsISI_E10value_typeET2_T3_PNSJ_ISO_E10value_typeET4_T5_PST_SU_PNS1_23onesweep_lookback_stateEbbT6_jjT7_P12ihipStream_tbENKUlT_T0_SI_SN_E_clISD_PiSD_S15_EEDaS11_S12_SI_SN_EUlS11_E_NS1_11comp_targetILNS1_3genE10ELNS1_11target_archE1201ELNS1_3gpuE5ELNS1_3repE0EEENS1_47radix_sort_onesweep_sort_config_static_selectorELNS0_4arch9wavefront6targetE1EEEvSI_.num_named_barrier, 0
	.set _ZN7rocprim17ROCPRIM_400000_NS6detail17trampoline_kernelINS0_14default_configENS1_35radix_sort_onesweep_config_selectorIiiEEZZNS1_29radix_sort_onesweep_iterationIS3_Lb0EN6thrust23THRUST_200600_302600_NS6detail15normal_iteratorINS8_10device_ptrIiEEEESD_SD_SD_jNS0_19identity_decomposerENS1_16block_id_wrapperIjLb0EEEEE10hipError_tT1_PNSt15iterator_traitsISI_E10value_typeET2_T3_PNSJ_ISO_E10value_typeET4_T5_PST_SU_PNS1_23onesweep_lookback_stateEbbT6_jjT7_P12ihipStream_tbENKUlT_T0_SI_SN_E_clISD_PiSD_S15_EEDaS11_S12_SI_SN_EUlS11_E_NS1_11comp_targetILNS1_3genE10ELNS1_11target_archE1201ELNS1_3gpuE5ELNS1_3repE0EEENS1_47radix_sort_onesweep_sort_config_static_selectorELNS0_4arch9wavefront6targetE1EEEvSI_.private_seg_size, 0
	.set _ZN7rocprim17ROCPRIM_400000_NS6detail17trampoline_kernelINS0_14default_configENS1_35radix_sort_onesweep_config_selectorIiiEEZZNS1_29radix_sort_onesweep_iterationIS3_Lb0EN6thrust23THRUST_200600_302600_NS6detail15normal_iteratorINS8_10device_ptrIiEEEESD_SD_SD_jNS0_19identity_decomposerENS1_16block_id_wrapperIjLb0EEEEE10hipError_tT1_PNSt15iterator_traitsISI_E10value_typeET2_T3_PNSJ_ISO_E10value_typeET4_T5_PST_SU_PNS1_23onesweep_lookback_stateEbbT6_jjT7_P12ihipStream_tbENKUlT_T0_SI_SN_E_clISD_PiSD_S15_EEDaS11_S12_SI_SN_EUlS11_E_NS1_11comp_targetILNS1_3genE10ELNS1_11target_archE1201ELNS1_3gpuE5ELNS1_3repE0EEENS1_47radix_sort_onesweep_sort_config_static_selectorELNS0_4arch9wavefront6targetE1EEEvSI_.uses_vcc, 0
	.set _ZN7rocprim17ROCPRIM_400000_NS6detail17trampoline_kernelINS0_14default_configENS1_35radix_sort_onesweep_config_selectorIiiEEZZNS1_29radix_sort_onesweep_iterationIS3_Lb0EN6thrust23THRUST_200600_302600_NS6detail15normal_iteratorINS8_10device_ptrIiEEEESD_SD_SD_jNS0_19identity_decomposerENS1_16block_id_wrapperIjLb0EEEEE10hipError_tT1_PNSt15iterator_traitsISI_E10value_typeET2_T3_PNSJ_ISO_E10value_typeET4_T5_PST_SU_PNS1_23onesweep_lookback_stateEbbT6_jjT7_P12ihipStream_tbENKUlT_T0_SI_SN_E_clISD_PiSD_S15_EEDaS11_S12_SI_SN_EUlS11_E_NS1_11comp_targetILNS1_3genE10ELNS1_11target_archE1201ELNS1_3gpuE5ELNS1_3repE0EEENS1_47radix_sort_onesweep_sort_config_static_selectorELNS0_4arch9wavefront6targetE1EEEvSI_.uses_flat_scratch, 0
	.set _ZN7rocprim17ROCPRIM_400000_NS6detail17trampoline_kernelINS0_14default_configENS1_35radix_sort_onesweep_config_selectorIiiEEZZNS1_29radix_sort_onesweep_iterationIS3_Lb0EN6thrust23THRUST_200600_302600_NS6detail15normal_iteratorINS8_10device_ptrIiEEEESD_SD_SD_jNS0_19identity_decomposerENS1_16block_id_wrapperIjLb0EEEEE10hipError_tT1_PNSt15iterator_traitsISI_E10value_typeET2_T3_PNSJ_ISO_E10value_typeET4_T5_PST_SU_PNS1_23onesweep_lookback_stateEbbT6_jjT7_P12ihipStream_tbENKUlT_T0_SI_SN_E_clISD_PiSD_S15_EEDaS11_S12_SI_SN_EUlS11_E_NS1_11comp_targetILNS1_3genE10ELNS1_11target_archE1201ELNS1_3gpuE5ELNS1_3repE0EEENS1_47radix_sort_onesweep_sort_config_static_selectorELNS0_4arch9wavefront6targetE1EEEvSI_.has_dyn_sized_stack, 0
	.set _ZN7rocprim17ROCPRIM_400000_NS6detail17trampoline_kernelINS0_14default_configENS1_35radix_sort_onesweep_config_selectorIiiEEZZNS1_29radix_sort_onesweep_iterationIS3_Lb0EN6thrust23THRUST_200600_302600_NS6detail15normal_iteratorINS8_10device_ptrIiEEEESD_SD_SD_jNS0_19identity_decomposerENS1_16block_id_wrapperIjLb0EEEEE10hipError_tT1_PNSt15iterator_traitsISI_E10value_typeET2_T3_PNSJ_ISO_E10value_typeET4_T5_PST_SU_PNS1_23onesweep_lookback_stateEbbT6_jjT7_P12ihipStream_tbENKUlT_T0_SI_SN_E_clISD_PiSD_S15_EEDaS11_S12_SI_SN_EUlS11_E_NS1_11comp_targetILNS1_3genE10ELNS1_11target_archE1201ELNS1_3gpuE5ELNS1_3repE0EEENS1_47radix_sort_onesweep_sort_config_static_selectorELNS0_4arch9wavefront6targetE1EEEvSI_.has_recursion, 0
	.set _ZN7rocprim17ROCPRIM_400000_NS6detail17trampoline_kernelINS0_14default_configENS1_35radix_sort_onesweep_config_selectorIiiEEZZNS1_29radix_sort_onesweep_iterationIS3_Lb0EN6thrust23THRUST_200600_302600_NS6detail15normal_iteratorINS8_10device_ptrIiEEEESD_SD_SD_jNS0_19identity_decomposerENS1_16block_id_wrapperIjLb0EEEEE10hipError_tT1_PNSt15iterator_traitsISI_E10value_typeET2_T3_PNSJ_ISO_E10value_typeET4_T5_PST_SU_PNS1_23onesweep_lookback_stateEbbT6_jjT7_P12ihipStream_tbENKUlT_T0_SI_SN_E_clISD_PiSD_S15_EEDaS11_S12_SI_SN_EUlS11_E_NS1_11comp_targetILNS1_3genE10ELNS1_11target_archE1201ELNS1_3gpuE5ELNS1_3repE0EEENS1_47radix_sort_onesweep_sort_config_static_selectorELNS0_4arch9wavefront6targetE1EEEvSI_.has_indirect_call, 0
	.section	.AMDGPU.csdata,"",@progbits
; Kernel info:
; codeLenInByte = 0
; TotalNumSgprs: 6
; NumVgprs: 0
; NumAgprs: 0
; TotalNumVgprs: 0
; ScratchSize: 0
; MemoryBound: 0
; FloatMode: 240
; IeeeMode: 1
; LDSByteSize: 0 bytes/workgroup (compile time only)
; SGPRBlocks: 0
; VGPRBlocks: 0
; NumSGPRsForWavesPerEU: 6
; NumVGPRsForWavesPerEU: 1
; AccumOffset: 4
; Occupancy: 8
; WaveLimiterHint : 0
; COMPUTE_PGM_RSRC2:SCRATCH_EN: 0
; COMPUTE_PGM_RSRC2:USER_SGPR: 2
; COMPUTE_PGM_RSRC2:TRAP_HANDLER: 0
; COMPUTE_PGM_RSRC2:TGID_X_EN: 1
; COMPUTE_PGM_RSRC2:TGID_Y_EN: 0
; COMPUTE_PGM_RSRC2:TGID_Z_EN: 0
; COMPUTE_PGM_RSRC2:TIDIG_COMP_CNT: 0
; COMPUTE_PGM_RSRC3_GFX90A:ACCUM_OFFSET: 0
; COMPUTE_PGM_RSRC3_GFX90A:TG_SPLIT: 0
	.section	.text._ZN7rocprim17ROCPRIM_400000_NS6detail17trampoline_kernelINS0_14default_configENS1_35radix_sort_onesweep_config_selectorIiiEEZZNS1_29radix_sort_onesweep_iterationIS3_Lb0EN6thrust23THRUST_200600_302600_NS6detail15normal_iteratorINS8_10device_ptrIiEEEESD_SD_SD_jNS0_19identity_decomposerENS1_16block_id_wrapperIjLb0EEEEE10hipError_tT1_PNSt15iterator_traitsISI_E10value_typeET2_T3_PNSJ_ISO_E10value_typeET4_T5_PST_SU_PNS1_23onesweep_lookback_stateEbbT6_jjT7_P12ihipStream_tbENKUlT_T0_SI_SN_E_clISD_PiSD_S15_EEDaS11_S12_SI_SN_EUlS11_E_NS1_11comp_targetILNS1_3genE9ELNS1_11target_archE1100ELNS1_3gpuE3ELNS1_3repE0EEENS1_47radix_sort_onesweep_sort_config_static_selectorELNS0_4arch9wavefront6targetE1EEEvSI_,"axG",@progbits,_ZN7rocprim17ROCPRIM_400000_NS6detail17trampoline_kernelINS0_14default_configENS1_35radix_sort_onesweep_config_selectorIiiEEZZNS1_29radix_sort_onesweep_iterationIS3_Lb0EN6thrust23THRUST_200600_302600_NS6detail15normal_iteratorINS8_10device_ptrIiEEEESD_SD_SD_jNS0_19identity_decomposerENS1_16block_id_wrapperIjLb0EEEEE10hipError_tT1_PNSt15iterator_traitsISI_E10value_typeET2_T3_PNSJ_ISO_E10value_typeET4_T5_PST_SU_PNS1_23onesweep_lookback_stateEbbT6_jjT7_P12ihipStream_tbENKUlT_T0_SI_SN_E_clISD_PiSD_S15_EEDaS11_S12_SI_SN_EUlS11_E_NS1_11comp_targetILNS1_3genE9ELNS1_11target_archE1100ELNS1_3gpuE3ELNS1_3repE0EEENS1_47radix_sort_onesweep_sort_config_static_selectorELNS0_4arch9wavefront6targetE1EEEvSI_,comdat
	.protected	_ZN7rocprim17ROCPRIM_400000_NS6detail17trampoline_kernelINS0_14default_configENS1_35radix_sort_onesweep_config_selectorIiiEEZZNS1_29radix_sort_onesweep_iterationIS3_Lb0EN6thrust23THRUST_200600_302600_NS6detail15normal_iteratorINS8_10device_ptrIiEEEESD_SD_SD_jNS0_19identity_decomposerENS1_16block_id_wrapperIjLb0EEEEE10hipError_tT1_PNSt15iterator_traitsISI_E10value_typeET2_T3_PNSJ_ISO_E10value_typeET4_T5_PST_SU_PNS1_23onesweep_lookback_stateEbbT6_jjT7_P12ihipStream_tbENKUlT_T0_SI_SN_E_clISD_PiSD_S15_EEDaS11_S12_SI_SN_EUlS11_E_NS1_11comp_targetILNS1_3genE9ELNS1_11target_archE1100ELNS1_3gpuE3ELNS1_3repE0EEENS1_47radix_sort_onesweep_sort_config_static_selectorELNS0_4arch9wavefront6targetE1EEEvSI_ ; -- Begin function _ZN7rocprim17ROCPRIM_400000_NS6detail17trampoline_kernelINS0_14default_configENS1_35radix_sort_onesweep_config_selectorIiiEEZZNS1_29radix_sort_onesweep_iterationIS3_Lb0EN6thrust23THRUST_200600_302600_NS6detail15normal_iteratorINS8_10device_ptrIiEEEESD_SD_SD_jNS0_19identity_decomposerENS1_16block_id_wrapperIjLb0EEEEE10hipError_tT1_PNSt15iterator_traitsISI_E10value_typeET2_T3_PNSJ_ISO_E10value_typeET4_T5_PST_SU_PNS1_23onesweep_lookback_stateEbbT6_jjT7_P12ihipStream_tbENKUlT_T0_SI_SN_E_clISD_PiSD_S15_EEDaS11_S12_SI_SN_EUlS11_E_NS1_11comp_targetILNS1_3genE9ELNS1_11target_archE1100ELNS1_3gpuE3ELNS1_3repE0EEENS1_47radix_sort_onesweep_sort_config_static_selectorELNS0_4arch9wavefront6targetE1EEEvSI_
	.globl	_ZN7rocprim17ROCPRIM_400000_NS6detail17trampoline_kernelINS0_14default_configENS1_35radix_sort_onesweep_config_selectorIiiEEZZNS1_29radix_sort_onesweep_iterationIS3_Lb0EN6thrust23THRUST_200600_302600_NS6detail15normal_iteratorINS8_10device_ptrIiEEEESD_SD_SD_jNS0_19identity_decomposerENS1_16block_id_wrapperIjLb0EEEEE10hipError_tT1_PNSt15iterator_traitsISI_E10value_typeET2_T3_PNSJ_ISO_E10value_typeET4_T5_PST_SU_PNS1_23onesweep_lookback_stateEbbT6_jjT7_P12ihipStream_tbENKUlT_T0_SI_SN_E_clISD_PiSD_S15_EEDaS11_S12_SI_SN_EUlS11_E_NS1_11comp_targetILNS1_3genE9ELNS1_11target_archE1100ELNS1_3gpuE3ELNS1_3repE0EEENS1_47radix_sort_onesweep_sort_config_static_selectorELNS0_4arch9wavefront6targetE1EEEvSI_
	.p2align	8
	.type	_ZN7rocprim17ROCPRIM_400000_NS6detail17trampoline_kernelINS0_14default_configENS1_35radix_sort_onesweep_config_selectorIiiEEZZNS1_29radix_sort_onesweep_iterationIS3_Lb0EN6thrust23THRUST_200600_302600_NS6detail15normal_iteratorINS8_10device_ptrIiEEEESD_SD_SD_jNS0_19identity_decomposerENS1_16block_id_wrapperIjLb0EEEEE10hipError_tT1_PNSt15iterator_traitsISI_E10value_typeET2_T3_PNSJ_ISO_E10value_typeET4_T5_PST_SU_PNS1_23onesweep_lookback_stateEbbT6_jjT7_P12ihipStream_tbENKUlT_T0_SI_SN_E_clISD_PiSD_S15_EEDaS11_S12_SI_SN_EUlS11_E_NS1_11comp_targetILNS1_3genE9ELNS1_11target_archE1100ELNS1_3gpuE3ELNS1_3repE0EEENS1_47radix_sort_onesweep_sort_config_static_selectorELNS0_4arch9wavefront6targetE1EEEvSI_,@function
_ZN7rocprim17ROCPRIM_400000_NS6detail17trampoline_kernelINS0_14default_configENS1_35radix_sort_onesweep_config_selectorIiiEEZZNS1_29radix_sort_onesweep_iterationIS3_Lb0EN6thrust23THRUST_200600_302600_NS6detail15normal_iteratorINS8_10device_ptrIiEEEESD_SD_SD_jNS0_19identity_decomposerENS1_16block_id_wrapperIjLb0EEEEE10hipError_tT1_PNSt15iterator_traitsISI_E10value_typeET2_T3_PNSJ_ISO_E10value_typeET4_T5_PST_SU_PNS1_23onesweep_lookback_stateEbbT6_jjT7_P12ihipStream_tbENKUlT_T0_SI_SN_E_clISD_PiSD_S15_EEDaS11_S12_SI_SN_EUlS11_E_NS1_11comp_targetILNS1_3genE9ELNS1_11target_archE1100ELNS1_3gpuE3ELNS1_3repE0EEENS1_47radix_sort_onesweep_sort_config_static_selectorELNS0_4arch9wavefront6targetE1EEEvSI_: ; @_ZN7rocprim17ROCPRIM_400000_NS6detail17trampoline_kernelINS0_14default_configENS1_35radix_sort_onesweep_config_selectorIiiEEZZNS1_29radix_sort_onesweep_iterationIS3_Lb0EN6thrust23THRUST_200600_302600_NS6detail15normal_iteratorINS8_10device_ptrIiEEEESD_SD_SD_jNS0_19identity_decomposerENS1_16block_id_wrapperIjLb0EEEEE10hipError_tT1_PNSt15iterator_traitsISI_E10value_typeET2_T3_PNSJ_ISO_E10value_typeET4_T5_PST_SU_PNS1_23onesweep_lookback_stateEbbT6_jjT7_P12ihipStream_tbENKUlT_T0_SI_SN_E_clISD_PiSD_S15_EEDaS11_S12_SI_SN_EUlS11_E_NS1_11comp_targetILNS1_3genE9ELNS1_11target_archE1100ELNS1_3gpuE3ELNS1_3repE0EEENS1_47radix_sort_onesweep_sort_config_static_selectorELNS0_4arch9wavefront6targetE1EEEvSI_
; %bb.0:
	.section	.rodata,"a",@progbits
	.p2align	6, 0x0
	.amdhsa_kernel _ZN7rocprim17ROCPRIM_400000_NS6detail17trampoline_kernelINS0_14default_configENS1_35radix_sort_onesweep_config_selectorIiiEEZZNS1_29radix_sort_onesweep_iterationIS3_Lb0EN6thrust23THRUST_200600_302600_NS6detail15normal_iteratorINS8_10device_ptrIiEEEESD_SD_SD_jNS0_19identity_decomposerENS1_16block_id_wrapperIjLb0EEEEE10hipError_tT1_PNSt15iterator_traitsISI_E10value_typeET2_T3_PNSJ_ISO_E10value_typeET4_T5_PST_SU_PNS1_23onesweep_lookback_stateEbbT6_jjT7_P12ihipStream_tbENKUlT_T0_SI_SN_E_clISD_PiSD_S15_EEDaS11_S12_SI_SN_EUlS11_E_NS1_11comp_targetILNS1_3genE9ELNS1_11target_archE1100ELNS1_3gpuE3ELNS1_3repE0EEENS1_47radix_sort_onesweep_sort_config_static_selectorELNS0_4arch9wavefront6targetE1EEEvSI_
		.amdhsa_group_segment_fixed_size 0
		.amdhsa_private_segment_fixed_size 0
		.amdhsa_kernarg_size 88
		.amdhsa_user_sgpr_count 2
		.amdhsa_user_sgpr_dispatch_ptr 0
		.amdhsa_user_sgpr_queue_ptr 0
		.amdhsa_user_sgpr_kernarg_segment_ptr 1
		.amdhsa_user_sgpr_dispatch_id 0
		.amdhsa_user_sgpr_kernarg_preload_length 0
		.amdhsa_user_sgpr_kernarg_preload_offset 0
		.amdhsa_user_sgpr_private_segment_size 0
		.amdhsa_uses_dynamic_stack 0
		.amdhsa_enable_private_segment 0
		.amdhsa_system_sgpr_workgroup_id_x 1
		.amdhsa_system_sgpr_workgroup_id_y 0
		.amdhsa_system_sgpr_workgroup_id_z 0
		.amdhsa_system_sgpr_workgroup_info 0
		.amdhsa_system_vgpr_workitem_id 0
		.amdhsa_next_free_vgpr 1
		.amdhsa_next_free_sgpr 0
		.amdhsa_accum_offset 4
		.amdhsa_reserve_vcc 0
		.amdhsa_float_round_mode_32 0
		.amdhsa_float_round_mode_16_64 0
		.amdhsa_float_denorm_mode_32 3
		.amdhsa_float_denorm_mode_16_64 3
		.amdhsa_dx10_clamp 1
		.amdhsa_ieee_mode 1
		.amdhsa_fp16_overflow 0
		.amdhsa_tg_split 0
		.amdhsa_exception_fp_ieee_invalid_op 0
		.amdhsa_exception_fp_denorm_src 0
		.amdhsa_exception_fp_ieee_div_zero 0
		.amdhsa_exception_fp_ieee_overflow 0
		.amdhsa_exception_fp_ieee_underflow 0
		.amdhsa_exception_fp_ieee_inexact 0
		.amdhsa_exception_int_div_zero 0
	.end_amdhsa_kernel
	.section	.text._ZN7rocprim17ROCPRIM_400000_NS6detail17trampoline_kernelINS0_14default_configENS1_35radix_sort_onesweep_config_selectorIiiEEZZNS1_29radix_sort_onesweep_iterationIS3_Lb0EN6thrust23THRUST_200600_302600_NS6detail15normal_iteratorINS8_10device_ptrIiEEEESD_SD_SD_jNS0_19identity_decomposerENS1_16block_id_wrapperIjLb0EEEEE10hipError_tT1_PNSt15iterator_traitsISI_E10value_typeET2_T3_PNSJ_ISO_E10value_typeET4_T5_PST_SU_PNS1_23onesweep_lookback_stateEbbT6_jjT7_P12ihipStream_tbENKUlT_T0_SI_SN_E_clISD_PiSD_S15_EEDaS11_S12_SI_SN_EUlS11_E_NS1_11comp_targetILNS1_3genE9ELNS1_11target_archE1100ELNS1_3gpuE3ELNS1_3repE0EEENS1_47radix_sort_onesweep_sort_config_static_selectorELNS0_4arch9wavefront6targetE1EEEvSI_,"axG",@progbits,_ZN7rocprim17ROCPRIM_400000_NS6detail17trampoline_kernelINS0_14default_configENS1_35radix_sort_onesweep_config_selectorIiiEEZZNS1_29radix_sort_onesweep_iterationIS3_Lb0EN6thrust23THRUST_200600_302600_NS6detail15normal_iteratorINS8_10device_ptrIiEEEESD_SD_SD_jNS0_19identity_decomposerENS1_16block_id_wrapperIjLb0EEEEE10hipError_tT1_PNSt15iterator_traitsISI_E10value_typeET2_T3_PNSJ_ISO_E10value_typeET4_T5_PST_SU_PNS1_23onesweep_lookback_stateEbbT6_jjT7_P12ihipStream_tbENKUlT_T0_SI_SN_E_clISD_PiSD_S15_EEDaS11_S12_SI_SN_EUlS11_E_NS1_11comp_targetILNS1_3genE9ELNS1_11target_archE1100ELNS1_3gpuE3ELNS1_3repE0EEENS1_47radix_sort_onesweep_sort_config_static_selectorELNS0_4arch9wavefront6targetE1EEEvSI_,comdat
.Lfunc_end1462:
	.size	_ZN7rocprim17ROCPRIM_400000_NS6detail17trampoline_kernelINS0_14default_configENS1_35radix_sort_onesweep_config_selectorIiiEEZZNS1_29radix_sort_onesweep_iterationIS3_Lb0EN6thrust23THRUST_200600_302600_NS6detail15normal_iteratorINS8_10device_ptrIiEEEESD_SD_SD_jNS0_19identity_decomposerENS1_16block_id_wrapperIjLb0EEEEE10hipError_tT1_PNSt15iterator_traitsISI_E10value_typeET2_T3_PNSJ_ISO_E10value_typeET4_T5_PST_SU_PNS1_23onesweep_lookback_stateEbbT6_jjT7_P12ihipStream_tbENKUlT_T0_SI_SN_E_clISD_PiSD_S15_EEDaS11_S12_SI_SN_EUlS11_E_NS1_11comp_targetILNS1_3genE9ELNS1_11target_archE1100ELNS1_3gpuE3ELNS1_3repE0EEENS1_47radix_sort_onesweep_sort_config_static_selectorELNS0_4arch9wavefront6targetE1EEEvSI_, .Lfunc_end1462-_ZN7rocprim17ROCPRIM_400000_NS6detail17trampoline_kernelINS0_14default_configENS1_35radix_sort_onesweep_config_selectorIiiEEZZNS1_29radix_sort_onesweep_iterationIS3_Lb0EN6thrust23THRUST_200600_302600_NS6detail15normal_iteratorINS8_10device_ptrIiEEEESD_SD_SD_jNS0_19identity_decomposerENS1_16block_id_wrapperIjLb0EEEEE10hipError_tT1_PNSt15iterator_traitsISI_E10value_typeET2_T3_PNSJ_ISO_E10value_typeET4_T5_PST_SU_PNS1_23onesweep_lookback_stateEbbT6_jjT7_P12ihipStream_tbENKUlT_T0_SI_SN_E_clISD_PiSD_S15_EEDaS11_S12_SI_SN_EUlS11_E_NS1_11comp_targetILNS1_3genE9ELNS1_11target_archE1100ELNS1_3gpuE3ELNS1_3repE0EEENS1_47radix_sort_onesweep_sort_config_static_selectorELNS0_4arch9wavefront6targetE1EEEvSI_
                                        ; -- End function
	.set _ZN7rocprim17ROCPRIM_400000_NS6detail17trampoline_kernelINS0_14default_configENS1_35radix_sort_onesweep_config_selectorIiiEEZZNS1_29radix_sort_onesweep_iterationIS3_Lb0EN6thrust23THRUST_200600_302600_NS6detail15normal_iteratorINS8_10device_ptrIiEEEESD_SD_SD_jNS0_19identity_decomposerENS1_16block_id_wrapperIjLb0EEEEE10hipError_tT1_PNSt15iterator_traitsISI_E10value_typeET2_T3_PNSJ_ISO_E10value_typeET4_T5_PST_SU_PNS1_23onesweep_lookback_stateEbbT6_jjT7_P12ihipStream_tbENKUlT_T0_SI_SN_E_clISD_PiSD_S15_EEDaS11_S12_SI_SN_EUlS11_E_NS1_11comp_targetILNS1_3genE9ELNS1_11target_archE1100ELNS1_3gpuE3ELNS1_3repE0EEENS1_47radix_sort_onesweep_sort_config_static_selectorELNS0_4arch9wavefront6targetE1EEEvSI_.num_vgpr, 0
	.set _ZN7rocprim17ROCPRIM_400000_NS6detail17trampoline_kernelINS0_14default_configENS1_35radix_sort_onesweep_config_selectorIiiEEZZNS1_29radix_sort_onesweep_iterationIS3_Lb0EN6thrust23THRUST_200600_302600_NS6detail15normal_iteratorINS8_10device_ptrIiEEEESD_SD_SD_jNS0_19identity_decomposerENS1_16block_id_wrapperIjLb0EEEEE10hipError_tT1_PNSt15iterator_traitsISI_E10value_typeET2_T3_PNSJ_ISO_E10value_typeET4_T5_PST_SU_PNS1_23onesweep_lookback_stateEbbT6_jjT7_P12ihipStream_tbENKUlT_T0_SI_SN_E_clISD_PiSD_S15_EEDaS11_S12_SI_SN_EUlS11_E_NS1_11comp_targetILNS1_3genE9ELNS1_11target_archE1100ELNS1_3gpuE3ELNS1_3repE0EEENS1_47radix_sort_onesweep_sort_config_static_selectorELNS0_4arch9wavefront6targetE1EEEvSI_.num_agpr, 0
	.set _ZN7rocprim17ROCPRIM_400000_NS6detail17trampoline_kernelINS0_14default_configENS1_35radix_sort_onesweep_config_selectorIiiEEZZNS1_29radix_sort_onesweep_iterationIS3_Lb0EN6thrust23THRUST_200600_302600_NS6detail15normal_iteratorINS8_10device_ptrIiEEEESD_SD_SD_jNS0_19identity_decomposerENS1_16block_id_wrapperIjLb0EEEEE10hipError_tT1_PNSt15iterator_traitsISI_E10value_typeET2_T3_PNSJ_ISO_E10value_typeET4_T5_PST_SU_PNS1_23onesweep_lookback_stateEbbT6_jjT7_P12ihipStream_tbENKUlT_T0_SI_SN_E_clISD_PiSD_S15_EEDaS11_S12_SI_SN_EUlS11_E_NS1_11comp_targetILNS1_3genE9ELNS1_11target_archE1100ELNS1_3gpuE3ELNS1_3repE0EEENS1_47radix_sort_onesweep_sort_config_static_selectorELNS0_4arch9wavefront6targetE1EEEvSI_.numbered_sgpr, 0
	.set _ZN7rocprim17ROCPRIM_400000_NS6detail17trampoline_kernelINS0_14default_configENS1_35radix_sort_onesweep_config_selectorIiiEEZZNS1_29radix_sort_onesweep_iterationIS3_Lb0EN6thrust23THRUST_200600_302600_NS6detail15normal_iteratorINS8_10device_ptrIiEEEESD_SD_SD_jNS0_19identity_decomposerENS1_16block_id_wrapperIjLb0EEEEE10hipError_tT1_PNSt15iterator_traitsISI_E10value_typeET2_T3_PNSJ_ISO_E10value_typeET4_T5_PST_SU_PNS1_23onesweep_lookback_stateEbbT6_jjT7_P12ihipStream_tbENKUlT_T0_SI_SN_E_clISD_PiSD_S15_EEDaS11_S12_SI_SN_EUlS11_E_NS1_11comp_targetILNS1_3genE9ELNS1_11target_archE1100ELNS1_3gpuE3ELNS1_3repE0EEENS1_47radix_sort_onesweep_sort_config_static_selectorELNS0_4arch9wavefront6targetE1EEEvSI_.num_named_barrier, 0
	.set _ZN7rocprim17ROCPRIM_400000_NS6detail17trampoline_kernelINS0_14default_configENS1_35radix_sort_onesweep_config_selectorIiiEEZZNS1_29radix_sort_onesweep_iterationIS3_Lb0EN6thrust23THRUST_200600_302600_NS6detail15normal_iteratorINS8_10device_ptrIiEEEESD_SD_SD_jNS0_19identity_decomposerENS1_16block_id_wrapperIjLb0EEEEE10hipError_tT1_PNSt15iterator_traitsISI_E10value_typeET2_T3_PNSJ_ISO_E10value_typeET4_T5_PST_SU_PNS1_23onesweep_lookback_stateEbbT6_jjT7_P12ihipStream_tbENKUlT_T0_SI_SN_E_clISD_PiSD_S15_EEDaS11_S12_SI_SN_EUlS11_E_NS1_11comp_targetILNS1_3genE9ELNS1_11target_archE1100ELNS1_3gpuE3ELNS1_3repE0EEENS1_47radix_sort_onesweep_sort_config_static_selectorELNS0_4arch9wavefront6targetE1EEEvSI_.private_seg_size, 0
	.set _ZN7rocprim17ROCPRIM_400000_NS6detail17trampoline_kernelINS0_14default_configENS1_35radix_sort_onesweep_config_selectorIiiEEZZNS1_29radix_sort_onesweep_iterationIS3_Lb0EN6thrust23THRUST_200600_302600_NS6detail15normal_iteratorINS8_10device_ptrIiEEEESD_SD_SD_jNS0_19identity_decomposerENS1_16block_id_wrapperIjLb0EEEEE10hipError_tT1_PNSt15iterator_traitsISI_E10value_typeET2_T3_PNSJ_ISO_E10value_typeET4_T5_PST_SU_PNS1_23onesweep_lookback_stateEbbT6_jjT7_P12ihipStream_tbENKUlT_T0_SI_SN_E_clISD_PiSD_S15_EEDaS11_S12_SI_SN_EUlS11_E_NS1_11comp_targetILNS1_3genE9ELNS1_11target_archE1100ELNS1_3gpuE3ELNS1_3repE0EEENS1_47radix_sort_onesweep_sort_config_static_selectorELNS0_4arch9wavefront6targetE1EEEvSI_.uses_vcc, 0
	.set _ZN7rocprim17ROCPRIM_400000_NS6detail17trampoline_kernelINS0_14default_configENS1_35radix_sort_onesweep_config_selectorIiiEEZZNS1_29radix_sort_onesweep_iterationIS3_Lb0EN6thrust23THRUST_200600_302600_NS6detail15normal_iteratorINS8_10device_ptrIiEEEESD_SD_SD_jNS0_19identity_decomposerENS1_16block_id_wrapperIjLb0EEEEE10hipError_tT1_PNSt15iterator_traitsISI_E10value_typeET2_T3_PNSJ_ISO_E10value_typeET4_T5_PST_SU_PNS1_23onesweep_lookback_stateEbbT6_jjT7_P12ihipStream_tbENKUlT_T0_SI_SN_E_clISD_PiSD_S15_EEDaS11_S12_SI_SN_EUlS11_E_NS1_11comp_targetILNS1_3genE9ELNS1_11target_archE1100ELNS1_3gpuE3ELNS1_3repE0EEENS1_47radix_sort_onesweep_sort_config_static_selectorELNS0_4arch9wavefront6targetE1EEEvSI_.uses_flat_scratch, 0
	.set _ZN7rocprim17ROCPRIM_400000_NS6detail17trampoline_kernelINS0_14default_configENS1_35radix_sort_onesweep_config_selectorIiiEEZZNS1_29radix_sort_onesweep_iterationIS3_Lb0EN6thrust23THRUST_200600_302600_NS6detail15normal_iteratorINS8_10device_ptrIiEEEESD_SD_SD_jNS0_19identity_decomposerENS1_16block_id_wrapperIjLb0EEEEE10hipError_tT1_PNSt15iterator_traitsISI_E10value_typeET2_T3_PNSJ_ISO_E10value_typeET4_T5_PST_SU_PNS1_23onesweep_lookback_stateEbbT6_jjT7_P12ihipStream_tbENKUlT_T0_SI_SN_E_clISD_PiSD_S15_EEDaS11_S12_SI_SN_EUlS11_E_NS1_11comp_targetILNS1_3genE9ELNS1_11target_archE1100ELNS1_3gpuE3ELNS1_3repE0EEENS1_47radix_sort_onesweep_sort_config_static_selectorELNS0_4arch9wavefront6targetE1EEEvSI_.has_dyn_sized_stack, 0
	.set _ZN7rocprim17ROCPRIM_400000_NS6detail17trampoline_kernelINS0_14default_configENS1_35radix_sort_onesweep_config_selectorIiiEEZZNS1_29radix_sort_onesweep_iterationIS3_Lb0EN6thrust23THRUST_200600_302600_NS6detail15normal_iteratorINS8_10device_ptrIiEEEESD_SD_SD_jNS0_19identity_decomposerENS1_16block_id_wrapperIjLb0EEEEE10hipError_tT1_PNSt15iterator_traitsISI_E10value_typeET2_T3_PNSJ_ISO_E10value_typeET4_T5_PST_SU_PNS1_23onesweep_lookback_stateEbbT6_jjT7_P12ihipStream_tbENKUlT_T0_SI_SN_E_clISD_PiSD_S15_EEDaS11_S12_SI_SN_EUlS11_E_NS1_11comp_targetILNS1_3genE9ELNS1_11target_archE1100ELNS1_3gpuE3ELNS1_3repE0EEENS1_47radix_sort_onesweep_sort_config_static_selectorELNS0_4arch9wavefront6targetE1EEEvSI_.has_recursion, 0
	.set _ZN7rocprim17ROCPRIM_400000_NS6detail17trampoline_kernelINS0_14default_configENS1_35radix_sort_onesweep_config_selectorIiiEEZZNS1_29radix_sort_onesweep_iterationIS3_Lb0EN6thrust23THRUST_200600_302600_NS6detail15normal_iteratorINS8_10device_ptrIiEEEESD_SD_SD_jNS0_19identity_decomposerENS1_16block_id_wrapperIjLb0EEEEE10hipError_tT1_PNSt15iterator_traitsISI_E10value_typeET2_T3_PNSJ_ISO_E10value_typeET4_T5_PST_SU_PNS1_23onesweep_lookback_stateEbbT6_jjT7_P12ihipStream_tbENKUlT_T0_SI_SN_E_clISD_PiSD_S15_EEDaS11_S12_SI_SN_EUlS11_E_NS1_11comp_targetILNS1_3genE9ELNS1_11target_archE1100ELNS1_3gpuE3ELNS1_3repE0EEENS1_47radix_sort_onesweep_sort_config_static_selectorELNS0_4arch9wavefront6targetE1EEEvSI_.has_indirect_call, 0
	.section	.AMDGPU.csdata,"",@progbits
; Kernel info:
; codeLenInByte = 0
; TotalNumSgprs: 6
; NumVgprs: 0
; NumAgprs: 0
; TotalNumVgprs: 0
; ScratchSize: 0
; MemoryBound: 0
; FloatMode: 240
; IeeeMode: 1
; LDSByteSize: 0 bytes/workgroup (compile time only)
; SGPRBlocks: 0
; VGPRBlocks: 0
; NumSGPRsForWavesPerEU: 6
; NumVGPRsForWavesPerEU: 1
; AccumOffset: 4
; Occupancy: 8
; WaveLimiterHint : 0
; COMPUTE_PGM_RSRC2:SCRATCH_EN: 0
; COMPUTE_PGM_RSRC2:USER_SGPR: 2
; COMPUTE_PGM_RSRC2:TRAP_HANDLER: 0
; COMPUTE_PGM_RSRC2:TGID_X_EN: 1
; COMPUTE_PGM_RSRC2:TGID_Y_EN: 0
; COMPUTE_PGM_RSRC2:TGID_Z_EN: 0
; COMPUTE_PGM_RSRC2:TIDIG_COMP_CNT: 0
; COMPUTE_PGM_RSRC3_GFX90A:ACCUM_OFFSET: 0
; COMPUTE_PGM_RSRC3_GFX90A:TG_SPLIT: 0
	.section	.text._ZN7rocprim17ROCPRIM_400000_NS6detail17trampoline_kernelINS0_14default_configENS1_35radix_sort_onesweep_config_selectorIiiEEZZNS1_29radix_sort_onesweep_iterationIS3_Lb0EN6thrust23THRUST_200600_302600_NS6detail15normal_iteratorINS8_10device_ptrIiEEEESD_SD_SD_jNS0_19identity_decomposerENS1_16block_id_wrapperIjLb0EEEEE10hipError_tT1_PNSt15iterator_traitsISI_E10value_typeET2_T3_PNSJ_ISO_E10value_typeET4_T5_PST_SU_PNS1_23onesweep_lookback_stateEbbT6_jjT7_P12ihipStream_tbENKUlT_T0_SI_SN_E_clISD_PiSD_S15_EEDaS11_S12_SI_SN_EUlS11_E_NS1_11comp_targetILNS1_3genE8ELNS1_11target_archE1030ELNS1_3gpuE2ELNS1_3repE0EEENS1_47radix_sort_onesweep_sort_config_static_selectorELNS0_4arch9wavefront6targetE1EEEvSI_,"axG",@progbits,_ZN7rocprim17ROCPRIM_400000_NS6detail17trampoline_kernelINS0_14default_configENS1_35radix_sort_onesweep_config_selectorIiiEEZZNS1_29radix_sort_onesweep_iterationIS3_Lb0EN6thrust23THRUST_200600_302600_NS6detail15normal_iteratorINS8_10device_ptrIiEEEESD_SD_SD_jNS0_19identity_decomposerENS1_16block_id_wrapperIjLb0EEEEE10hipError_tT1_PNSt15iterator_traitsISI_E10value_typeET2_T3_PNSJ_ISO_E10value_typeET4_T5_PST_SU_PNS1_23onesweep_lookback_stateEbbT6_jjT7_P12ihipStream_tbENKUlT_T0_SI_SN_E_clISD_PiSD_S15_EEDaS11_S12_SI_SN_EUlS11_E_NS1_11comp_targetILNS1_3genE8ELNS1_11target_archE1030ELNS1_3gpuE2ELNS1_3repE0EEENS1_47radix_sort_onesweep_sort_config_static_selectorELNS0_4arch9wavefront6targetE1EEEvSI_,comdat
	.protected	_ZN7rocprim17ROCPRIM_400000_NS6detail17trampoline_kernelINS0_14default_configENS1_35radix_sort_onesweep_config_selectorIiiEEZZNS1_29radix_sort_onesweep_iterationIS3_Lb0EN6thrust23THRUST_200600_302600_NS6detail15normal_iteratorINS8_10device_ptrIiEEEESD_SD_SD_jNS0_19identity_decomposerENS1_16block_id_wrapperIjLb0EEEEE10hipError_tT1_PNSt15iterator_traitsISI_E10value_typeET2_T3_PNSJ_ISO_E10value_typeET4_T5_PST_SU_PNS1_23onesweep_lookback_stateEbbT6_jjT7_P12ihipStream_tbENKUlT_T0_SI_SN_E_clISD_PiSD_S15_EEDaS11_S12_SI_SN_EUlS11_E_NS1_11comp_targetILNS1_3genE8ELNS1_11target_archE1030ELNS1_3gpuE2ELNS1_3repE0EEENS1_47radix_sort_onesweep_sort_config_static_selectorELNS0_4arch9wavefront6targetE1EEEvSI_ ; -- Begin function _ZN7rocprim17ROCPRIM_400000_NS6detail17trampoline_kernelINS0_14default_configENS1_35radix_sort_onesweep_config_selectorIiiEEZZNS1_29radix_sort_onesweep_iterationIS3_Lb0EN6thrust23THRUST_200600_302600_NS6detail15normal_iteratorINS8_10device_ptrIiEEEESD_SD_SD_jNS0_19identity_decomposerENS1_16block_id_wrapperIjLb0EEEEE10hipError_tT1_PNSt15iterator_traitsISI_E10value_typeET2_T3_PNSJ_ISO_E10value_typeET4_T5_PST_SU_PNS1_23onesweep_lookback_stateEbbT6_jjT7_P12ihipStream_tbENKUlT_T0_SI_SN_E_clISD_PiSD_S15_EEDaS11_S12_SI_SN_EUlS11_E_NS1_11comp_targetILNS1_3genE8ELNS1_11target_archE1030ELNS1_3gpuE2ELNS1_3repE0EEENS1_47radix_sort_onesweep_sort_config_static_selectorELNS0_4arch9wavefront6targetE1EEEvSI_
	.globl	_ZN7rocprim17ROCPRIM_400000_NS6detail17trampoline_kernelINS0_14default_configENS1_35radix_sort_onesweep_config_selectorIiiEEZZNS1_29radix_sort_onesweep_iterationIS3_Lb0EN6thrust23THRUST_200600_302600_NS6detail15normal_iteratorINS8_10device_ptrIiEEEESD_SD_SD_jNS0_19identity_decomposerENS1_16block_id_wrapperIjLb0EEEEE10hipError_tT1_PNSt15iterator_traitsISI_E10value_typeET2_T3_PNSJ_ISO_E10value_typeET4_T5_PST_SU_PNS1_23onesweep_lookback_stateEbbT6_jjT7_P12ihipStream_tbENKUlT_T0_SI_SN_E_clISD_PiSD_S15_EEDaS11_S12_SI_SN_EUlS11_E_NS1_11comp_targetILNS1_3genE8ELNS1_11target_archE1030ELNS1_3gpuE2ELNS1_3repE0EEENS1_47radix_sort_onesweep_sort_config_static_selectorELNS0_4arch9wavefront6targetE1EEEvSI_
	.p2align	8
	.type	_ZN7rocprim17ROCPRIM_400000_NS6detail17trampoline_kernelINS0_14default_configENS1_35radix_sort_onesweep_config_selectorIiiEEZZNS1_29radix_sort_onesweep_iterationIS3_Lb0EN6thrust23THRUST_200600_302600_NS6detail15normal_iteratorINS8_10device_ptrIiEEEESD_SD_SD_jNS0_19identity_decomposerENS1_16block_id_wrapperIjLb0EEEEE10hipError_tT1_PNSt15iterator_traitsISI_E10value_typeET2_T3_PNSJ_ISO_E10value_typeET4_T5_PST_SU_PNS1_23onesweep_lookback_stateEbbT6_jjT7_P12ihipStream_tbENKUlT_T0_SI_SN_E_clISD_PiSD_S15_EEDaS11_S12_SI_SN_EUlS11_E_NS1_11comp_targetILNS1_3genE8ELNS1_11target_archE1030ELNS1_3gpuE2ELNS1_3repE0EEENS1_47radix_sort_onesweep_sort_config_static_selectorELNS0_4arch9wavefront6targetE1EEEvSI_,@function
_ZN7rocprim17ROCPRIM_400000_NS6detail17trampoline_kernelINS0_14default_configENS1_35radix_sort_onesweep_config_selectorIiiEEZZNS1_29radix_sort_onesweep_iterationIS3_Lb0EN6thrust23THRUST_200600_302600_NS6detail15normal_iteratorINS8_10device_ptrIiEEEESD_SD_SD_jNS0_19identity_decomposerENS1_16block_id_wrapperIjLb0EEEEE10hipError_tT1_PNSt15iterator_traitsISI_E10value_typeET2_T3_PNSJ_ISO_E10value_typeET4_T5_PST_SU_PNS1_23onesweep_lookback_stateEbbT6_jjT7_P12ihipStream_tbENKUlT_T0_SI_SN_E_clISD_PiSD_S15_EEDaS11_S12_SI_SN_EUlS11_E_NS1_11comp_targetILNS1_3genE8ELNS1_11target_archE1030ELNS1_3gpuE2ELNS1_3repE0EEENS1_47radix_sort_onesweep_sort_config_static_selectorELNS0_4arch9wavefront6targetE1EEEvSI_: ; @_ZN7rocprim17ROCPRIM_400000_NS6detail17trampoline_kernelINS0_14default_configENS1_35radix_sort_onesweep_config_selectorIiiEEZZNS1_29radix_sort_onesweep_iterationIS3_Lb0EN6thrust23THRUST_200600_302600_NS6detail15normal_iteratorINS8_10device_ptrIiEEEESD_SD_SD_jNS0_19identity_decomposerENS1_16block_id_wrapperIjLb0EEEEE10hipError_tT1_PNSt15iterator_traitsISI_E10value_typeET2_T3_PNSJ_ISO_E10value_typeET4_T5_PST_SU_PNS1_23onesweep_lookback_stateEbbT6_jjT7_P12ihipStream_tbENKUlT_T0_SI_SN_E_clISD_PiSD_S15_EEDaS11_S12_SI_SN_EUlS11_E_NS1_11comp_targetILNS1_3genE8ELNS1_11target_archE1030ELNS1_3gpuE2ELNS1_3repE0EEENS1_47radix_sort_onesweep_sort_config_static_selectorELNS0_4arch9wavefront6targetE1EEEvSI_
; %bb.0:
	.section	.rodata,"a",@progbits
	.p2align	6, 0x0
	.amdhsa_kernel _ZN7rocprim17ROCPRIM_400000_NS6detail17trampoline_kernelINS0_14default_configENS1_35radix_sort_onesweep_config_selectorIiiEEZZNS1_29radix_sort_onesweep_iterationIS3_Lb0EN6thrust23THRUST_200600_302600_NS6detail15normal_iteratorINS8_10device_ptrIiEEEESD_SD_SD_jNS0_19identity_decomposerENS1_16block_id_wrapperIjLb0EEEEE10hipError_tT1_PNSt15iterator_traitsISI_E10value_typeET2_T3_PNSJ_ISO_E10value_typeET4_T5_PST_SU_PNS1_23onesweep_lookback_stateEbbT6_jjT7_P12ihipStream_tbENKUlT_T0_SI_SN_E_clISD_PiSD_S15_EEDaS11_S12_SI_SN_EUlS11_E_NS1_11comp_targetILNS1_3genE8ELNS1_11target_archE1030ELNS1_3gpuE2ELNS1_3repE0EEENS1_47radix_sort_onesweep_sort_config_static_selectorELNS0_4arch9wavefront6targetE1EEEvSI_
		.amdhsa_group_segment_fixed_size 0
		.amdhsa_private_segment_fixed_size 0
		.amdhsa_kernarg_size 88
		.amdhsa_user_sgpr_count 2
		.amdhsa_user_sgpr_dispatch_ptr 0
		.amdhsa_user_sgpr_queue_ptr 0
		.amdhsa_user_sgpr_kernarg_segment_ptr 1
		.amdhsa_user_sgpr_dispatch_id 0
		.amdhsa_user_sgpr_kernarg_preload_length 0
		.amdhsa_user_sgpr_kernarg_preload_offset 0
		.amdhsa_user_sgpr_private_segment_size 0
		.amdhsa_uses_dynamic_stack 0
		.amdhsa_enable_private_segment 0
		.amdhsa_system_sgpr_workgroup_id_x 1
		.amdhsa_system_sgpr_workgroup_id_y 0
		.amdhsa_system_sgpr_workgroup_id_z 0
		.amdhsa_system_sgpr_workgroup_info 0
		.amdhsa_system_vgpr_workitem_id 0
		.amdhsa_next_free_vgpr 1
		.amdhsa_next_free_sgpr 0
		.amdhsa_accum_offset 4
		.amdhsa_reserve_vcc 0
		.amdhsa_float_round_mode_32 0
		.amdhsa_float_round_mode_16_64 0
		.amdhsa_float_denorm_mode_32 3
		.amdhsa_float_denorm_mode_16_64 3
		.amdhsa_dx10_clamp 1
		.amdhsa_ieee_mode 1
		.amdhsa_fp16_overflow 0
		.amdhsa_tg_split 0
		.amdhsa_exception_fp_ieee_invalid_op 0
		.amdhsa_exception_fp_denorm_src 0
		.amdhsa_exception_fp_ieee_div_zero 0
		.amdhsa_exception_fp_ieee_overflow 0
		.amdhsa_exception_fp_ieee_underflow 0
		.amdhsa_exception_fp_ieee_inexact 0
		.amdhsa_exception_int_div_zero 0
	.end_amdhsa_kernel
	.section	.text._ZN7rocprim17ROCPRIM_400000_NS6detail17trampoline_kernelINS0_14default_configENS1_35radix_sort_onesweep_config_selectorIiiEEZZNS1_29radix_sort_onesweep_iterationIS3_Lb0EN6thrust23THRUST_200600_302600_NS6detail15normal_iteratorINS8_10device_ptrIiEEEESD_SD_SD_jNS0_19identity_decomposerENS1_16block_id_wrapperIjLb0EEEEE10hipError_tT1_PNSt15iterator_traitsISI_E10value_typeET2_T3_PNSJ_ISO_E10value_typeET4_T5_PST_SU_PNS1_23onesweep_lookback_stateEbbT6_jjT7_P12ihipStream_tbENKUlT_T0_SI_SN_E_clISD_PiSD_S15_EEDaS11_S12_SI_SN_EUlS11_E_NS1_11comp_targetILNS1_3genE8ELNS1_11target_archE1030ELNS1_3gpuE2ELNS1_3repE0EEENS1_47radix_sort_onesweep_sort_config_static_selectorELNS0_4arch9wavefront6targetE1EEEvSI_,"axG",@progbits,_ZN7rocprim17ROCPRIM_400000_NS6detail17trampoline_kernelINS0_14default_configENS1_35radix_sort_onesweep_config_selectorIiiEEZZNS1_29radix_sort_onesweep_iterationIS3_Lb0EN6thrust23THRUST_200600_302600_NS6detail15normal_iteratorINS8_10device_ptrIiEEEESD_SD_SD_jNS0_19identity_decomposerENS1_16block_id_wrapperIjLb0EEEEE10hipError_tT1_PNSt15iterator_traitsISI_E10value_typeET2_T3_PNSJ_ISO_E10value_typeET4_T5_PST_SU_PNS1_23onesweep_lookback_stateEbbT6_jjT7_P12ihipStream_tbENKUlT_T0_SI_SN_E_clISD_PiSD_S15_EEDaS11_S12_SI_SN_EUlS11_E_NS1_11comp_targetILNS1_3genE8ELNS1_11target_archE1030ELNS1_3gpuE2ELNS1_3repE0EEENS1_47radix_sort_onesweep_sort_config_static_selectorELNS0_4arch9wavefront6targetE1EEEvSI_,comdat
.Lfunc_end1463:
	.size	_ZN7rocprim17ROCPRIM_400000_NS6detail17trampoline_kernelINS0_14default_configENS1_35radix_sort_onesweep_config_selectorIiiEEZZNS1_29radix_sort_onesweep_iterationIS3_Lb0EN6thrust23THRUST_200600_302600_NS6detail15normal_iteratorINS8_10device_ptrIiEEEESD_SD_SD_jNS0_19identity_decomposerENS1_16block_id_wrapperIjLb0EEEEE10hipError_tT1_PNSt15iterator_traitsISI_E10value_typeET2_T3_PNSJ_ISO_E10value_typeET4_T5_PST_SU_PNS1_23onesweep_lookback_stateEbbT6_jjT7_P12ihipStream_tbENKUlT_T0_SI_SN_E_clISD_PiSD_S15_EEDaS11_S12_SI_SN_EUlS11_E_NS1_11comp_targetILNS1_3genE8ELNS1_11target_archE1030ELNS1_3gpuE2ELNS1_3repE0EEENS1_47radix_sort_onesweep_sort_config_static_selectorELNS0_4arch9wavefront6targetE1EEEvSI_, .Lfunc_end1463-_ZN7rocprim17ROCPRIM_400000_NS6detail17trampoline_kernelINS0_14default_configENS1_35radix_sort_onesweep_config_selectorIiiEEZZNS1_29radix_sort_onesweep_iterationIS3_Lb0EN6thrust23THRUST_200600_302600_NS6detail15normal_iteratorINS8_10device_ptrIiEEEESD_SD_SD_jNS0_19identity_decomposerENS1_16block_id_wrapperIjLb0EEEEE10hipError_tT1_PNSt15iterator_traitsISI_E10value_typeET2_T3_PNSJ_ISO_E10value_typeET4_T5_PST_SU_PNS1_23onesweep_lookback_stateEbbT6_jjT7_P12ihipStream_tbENKUlT_T0_SI_SN_E_clISD_PiSD_S15_EEDaS11_S12_SI_SN_EUlS11_E_NS1_11comp_targetILNS1_3genE8ELNS1_11target_archE1030ELNS1_3gpuE2ELNS1_3repE0EEENS1_47radix_sort_onesweep_sort_config_static_selectorELNS0_4arch9wavefront6targetE1EEEvSI_
                                        ; -- End function
	.set _ZN7rocprim17ROCPRIM_400000_NS6detail17trampoline_kernelINS0_14default_configENS1_35radix_sort_onesweep_config_selectorIiiEEZZNS1_29radix_sort_onesweep_iterationIS3_Lb0EN6thrust23THRUST_200600_302600_NS6detail15normal_iteratorINS8_10device_ptrIiEEEESD_SD_SD_jNS0_19identity_decomposerENS1_16block_id_wrapperIjLb0EEEEE10hipError_tT1_PNSt15iterator_traitsISI_E10value_typeET2_T3_PNSJ_ISO_E10value_typeET4_T5_PST_SU_PNS1_23onesweep_lookback_stateEbbT6_jjT7_P12ihipStream_tbENKUlT_T0_SI_SN_E_clISD_PiSD_S15_EEDaS11_S12_SI_SN_EUlS11_E_NS1_11comp_targetILNS1_3genE8ELNS1_11target_archE1030ELNS1_3gpuE2ELNS1_3repE0EEENS1_47radix_sort_onesweep_sort_config_static_selectorELNS0_4arch9wavefront6targetE1EEEvSI_.num_vgpr, 0
	.set _ZN7rocprim17ROCPRIM_400000_NS6detail17trampoline_kernelINS0_14default_configENS1_35radix_sort_onesweep_config_selectorIiiEEZZNS1_29radix_sort_onesweep_iterationIS3_Lb0EN6thrust23THRUST_200600_302600_NS6detail15normal_iteratorINS8_10device_ptrIiEEEESD_SD_SD_jNS0_19identity_decomposerENS1_16block_id_wrapperIjLb0EEEEE10hipError_tT1_PNSt15iterator_traitsISI_E10value_typeET2_T3_PNSJ_ISO_E10value_typeET4_T5_PST_SU_PNS1_23onesweep_lookback_stateEbbT6_jjT7_P12ihipStream_tbENKUlT_T0_SI_SN_E_clISD_PiSD_S15_EEDaS11_S12_SI_SN_EUlS11_E_NS1_11comp_targetILNS1_3genE8ELNS1_11target_archE1030ELNS1_3gpuE2ELNS1_3repE0EEENS1_47radix_sort_onesweep_sort_config_static_selectorELNS0_4arch9wavefront6targetE1EEEvSI_.num_agpr, 0
	.set _ZN7rocprim17ROCPRIM_400000_NS6detail17trampoline_kernelINS0_14default_configENS1_35radix_sort_onesweep_config_selectorIiiEEZZNS1_29radix_sort_onesweep_iterationIS3_Lb0EN6thrust23THRUST_200600_302600_NS6detail15normal_iteratorINS8_10device_ptrIiEEEESD_SD_SD_jNS0_19identity_decomposerENS1_16block_id_wrapperIjLb0EEEEE10hipError_tT1_PNSt15iterator_traitsISI_E10value_typeET2_T3_PNSJ_ISO_E10value_typeET4_T5_PST_SU_PNS1_23onesweep_lookback_stateEbbT6_jjT7_P12ihipStream_tbENKUlT_T0_SI_SN_E_clISD_PiSD_S15_EEDaS11_S12_SI_SN_EUlS11_E_NS1_11comp_targetILNS1_3genE8ELNS1_11target_archE1030ELNS1_3gpuE2ELNS1_3repE0EEENS1_47radix_sort_onesweep_sort_config_static_selectorELNS0_4arch9wavefront6targetE1EEEvSI_.numbered_sgpr, 0
	.set _ZN7rocprim17ROCPRIM_400000_NS6detail17trampoline_kernelINS0_14default_configENS1_35radix_sort_onesweep_config_selectorIiiEEZZNS1_29radix_sort_onesweep_iterationIS3_Lb0EN6thrust23THRUST_200600_302600_NS6detail15normal_iteratorINS8_10device_ptrIiEEEESD_SD_SD_jNS0_19identity_decomposerENS1_16block_id_wrapperIjLb0EEEEE10hipError_tT1_PNSt15iterator_traitsISI_E10value_typeET2_T3_PNSJ_ISO_E10value_typeET4_T5_PST_SU_PNS1_23onesweep_lookback_stateEbbT6_jjT7_P12ihipStream_tbENKUlT_T0_SI_SN_E_clISD_PiSD_S15_EEDaS11_S12_SI_SN_EUlS11_E_NS1_11comp_targetILNS1_3genE8ELNS1_11target_archE1030ELNS1_3gpuE2ELNS1_3repE0EEENS1_47radix_sort_onesweep_sort_config_static_selectorELNS0_4arch9wavefront6targetE1EEEvSI_.num_named_barrier, 0
	.set _ZN7rocprim17ROCPRIM_400000_NS6detail17trampoline_kernelINS0_14default_configENS1_35radix_sort_onesweep_config_selectorIiiEEZZNS1_29radix_sort_onesweep_iterationIS3_Lb0EN6thrust23THRUST_200600_302600_NS6detail15normal_iteratorINS8_10device_ptrIiEEEESD_SD_SD_jNS0_19identity_decomposerENS1_16block_id_wrapperIjLb0EEEEE10hipError_tT1_PNSt15iterator_traitsISI_E10value_typeET2_T3_PNSJ_ISO_E10value_typeET4_T5_PST_SU_PNS1_23onesweep_lookback_stateEbbT6_jjT7_P12ihipStream_tbENKUlT_T0_SI_SN_E_clISD_PiSD_S15_EEDaS11_S12_SI_SN_EUlS11_E_NS1_11comp_targetILNS1_3genE8ELNS1_11target_archE1030ELNS1_3gpuE2ELNS1_3repE0EEENS1_47radix_sort_onesweep_sort_config_static_selectorELNS0_4arch9wavefront6targetE1EEEvSI_.private_seg_size, 0
	.set _ZN7rocprim17ROCPRIM_400000_NS6detail17trampoline_kernelINS0_14default_configENS1_35radix_sort_onesweep_config_selectorIiiEEZZNS1_29radix_sort_onesweep_iterationIS3_Lb0EN6thrust23THRUST_200600_302600_NS6detail15normal_iteratorINS8_10device_ptrIiEEEESD_SD_SD_jNS0_19identity_decomposerENS1_16block_id_wrapperIjLb0EEEEE10hipError_tT1_PNSt15iterator_traitsISI_E10value_typeET2_T3_PNSJ_ISO_E10value_typeET4_T5_PST_SU_PNS1_23onesweep_lookback_stateEbbT6_jjT7_P12ihipStream_tbENKUlT_T0_SI_SN_E_clISD_PiSD_S15_EEDaS11_S12_SI_SN_EUlS11_E_NS1_11comp_targetILNS1_3genE8ELNS1_11target_archE1030ELNS1_3gpuE2ELNS1_3repE0EEENS1_47radix_sort_onesweep_sort_config_static_selectorELNS0_4arch9wavefront6targetE1EEEvSI_.uses_vcc, 0
	.set _ZN7rocprim17ROCPRIM_400000_NS6detail17trampoline_kernelINS0_14default_configENS1_35radix_sort_onesweep_config_selectorIiiEEZZNS1_29radix_sort_onesweep_iterationIS3_Lb0EN6thrust23THRUST_200600_302600_NS6detail15normal_iteratorINS8_10device_ptrIiEEEESD_SD_SD_jNS0_19identity_decomposerENS1_16block_id_wrapperIjLb0EEEEE10hipError_tT1_PNSt15iterator_traitsISI_E10value_typeET2_T3_PNSJ_ISO_E10value_typeET4_T5_PST_SU_PNS1_23onesweep_lookback_stateEbbT6_jjT7_P12ihipStream_tbENKUlT_T0_SI_SN_E_clISD_PiSD_S15_EEDaS11_S12_SI_SN_EUlS11_E_NS1_11comp_targetILNS1_3genE8ELNS1_11target_archE1030ELNS1_3gpuE2ELNS1_3repE0EEENS1_47radix_sort_onesweep_sort_config_static_selectorELNS0_4arch9wavefront6targetE1EEEvSI_.uses_flat_scratch, 0
	.set _ZN7rocprim17ROCPRIM_400000_NS6detail17trampoline_kernelINS0_14default_configENS1_35radix_sort_onesweep_config_selectorIiiEEZZNS1_29radix_sort_onesweep_iterationIS3_Lb0EN6thrust23THRUST_200600_302600_NS6detail15normal_iteratorINS8_10device_ptrIiEEEESD_SD_SD_jNS0_19identity_decomposerENS1_16block_id_wrapperIjLb0EEEEE10hipError_tT1_PNSt15iterator_traitsISI_E10value_typeET2_T3_PNSJ_ISO_E10value_typeET4_T5_PST_SU_PNS1_23onesweep_lookback_stateEbbT6_jjT7_P12ihipStream_tbENKUlT_T0_SI_SN_E_clISD_PiSD_S15_EEDaS11_S12_SI_SN_EUlS11_E_NS1_11comp_targetILNS1_3genE8ELNS1_11target_archE1030ELNS1_3gpuE2ELNS1_3repE0EEENS1_47radix_sort_onesweep_sort_config_static_selectorELNS0_4arch9wavefront6targetE1EEEvSI_.has_dyn_sized_stack, 0
	.set _ZN7rocprim17ROCPRIM_400000_NS6detail17trampoline_kernelINS0_14default_configENS1_35radix_sort_onesweep_config_selectorIiiEEZZNS1_29radix_sort_onesweep_iterationIS3_Lb0EN6thrust23THRUST_200600_302600_NS6detail15normal_iteratorINS8_10device_ptrIiEEEESD_SD_SD_jNS0_19identity_decomposerENS1_16block_id_wrapperIjLb0EEEEE10hipError_tT1_PNSt15iterator_traitsISI_E10value_typeET2_T3_PNSJ_ISO_E10value_typeET4_T5_PST_SU_PNS1_23onesweep_lookback_stateEbbT6_jjT7_P12ihipStream_tbENKUlT_T0_SI_SN_E_clISD_PiSD_S15_EEDaS11_S12_SI_SN_EUlS11_E_NS1_11comp_targetILNS1_3genE8ELNS1_11target_archE1030ELNS1_3gpuE2ELNS1_3repE0EEENS1_47radix_sort_onesweep_sort_config_static_selectorELNS0_4arch9wavefront6targetE1EEEvSI_.has_recursion, 0
	.set _ZN7rocprim17ROCPRIM_400000_NS6detail17trampoline_kernelINS0_14default_configENS1_35radix_sort_onesweep_config_selectorIiiEEZZNS1_29radix_sort_onesweep_iterationIS3_Lb0EN6thrust23THRUST_200600_302600_NS6detail15normal_iteratorINS8_10device_ptrIiEEEESD_SD_SD_jNS0_19identity_decomposerENS1_16block_id_wrapperIjLb0EEEEE10hipError_tT1_PNSt15iterator_traitsISI_E10value_typeET2_T3_PNSJ_ISO_E10value_typeET4_T5_PST_SU_PNS1_23onesweep_lookback_stateEbbT6_jjT7_P12ihipStream_tbENKUlT_T0_SI_SN_E_clISD_PiSD_S15_EEDaS11_S12_SI_SN_EUlS11_E_NS1_11comp_targetILNS1_3genE8ELNS1_11target_archE1030ELNS1_3gpuE2ELNS1_3repE0EEENS1_47radix_sort_onesweep_sort_config_static_selectorELNS0_4arch9wavefront6targetE1EEEvSI_.has_indirect_call, 0
	.section	.AMDGPU.csdata,"",@progbits
; Kernel info:
; codeLenInByte = 0
; TotalNumSgprs: 6
; NumVgprs: 0
; NumAgprs: 0
; TotalNumVgprs: 0
; ScratchSize: 0
; MemoryBound: 0
; FloatMode: 240
; IeeeMode: 1
; LDSByteSize: 0 bytes/workgroup (compile time only)
; SGPRBlocks: 0
; VGPRBlocks: 0
; NumSGPRsForWavesPerEU: 6
; NumVGPRsForWavesPerEU: 1
; AccumOffset: 4
; Occupancy: 8
; WaveLimiterHint : 0
; COMPUTE_PGM_RSRC2:SCRATCH_EN: 0
; COMPUTE_PGM_RSRC2:USER_SGPR: 2
; COMPUTE_PGM_RSRC2:TRAP_HANDLER: 0
; COMPUTE_PGM_RSRC2:TGID_X_EN: 1
; COMPUTE_PGM_RSRC2:TGID_Y_EN: 0
; COMPUTE_PGM_RSRC2:TGID_Z_EN: 0
; COMPUTE_PGM_RSRC2:TIDIG_COMP_CNT: 0
; COMPUTE_PGM_RSRC3_GFX90A:ACCUM_OFFSET: 0
; COMPUTE_PGM_RSRC3_GFX90A:TG_SPLIT: 0
	.section	.text._ZN7rocprim17ROCPRIM_400000_NS6detail17trampoline_kernelINS0_14default_configENS1_35radix_sort_onesweep_config_selectorIiiEEZZNS1_29radix_sort_onesweep_iterationIS3_Lb0EN6thrust23THRUST_200600_302600_NS6detail15normal_iteratorINS8_10device_ptrIiEEEESD_SD_SD_jNS0_19identity_decomposerENS1_16block_id_wrapperIjLb0EEEEE10hipError_tT1_PNSt15iterator_traitsISI_E10value_typeET2_T3_PNSJ_ISO_E10value_typeET4_T5_PST_SU_PNS1_23onesweep_lookback_stateEbbT6_jjT7_P12ihipStream_tbENKUlT_T0_SI_SN_E_clIPiSD_S15_SD_EEDaS11_S12_SI_SN_EUlS11_E_NS1_11comp_targetILNS1_3genE0ELNS1_11target_archE4294967295ELNS1_3gpuE0ELNS1_3repE0EEENS1_47radix_sort_onesweep_sort_config_static_selectorELNS0_4arch9wavefront6targetE1EEEvSI_,"axG",@progbits,_ZN7rocprim17ROCPRIM_400000_NS6detail17trampoline_kernelINS0_14default_configENS1_35radix_sort_onesweep_config_selectorIiiEEZZNS1_29radix_sort_onesweep_iterationIS3_Lb0EN6thrust23THRUST_200600_302600_NS6detail15normal_iteratorINS8_10device_ptrIiEEEESD_SD_SD_jNS0_19identity_decomposerENS1_16block_id_wrapperIjLb0EEEEE10hipError_tT1_PNSt15iterator_traitsISI_E10value_typeET2_T3_PNSJ_ISO_E10value_typeET4_T5_PST_SU_PNS1_23onesweep_lookback_stateEbbT6_jjT7_P12ihipStream_tbENKUlT_T0_SI_SN_E_clIPiSD_S15_SD_EEDaS11_S12_SI_SN_EUlS11_E_NS1_11comp_targetILNS1_3genE0ELNS1_11target_archE4294967295ELNS1_3gpuE0ELNS1_3repE0EEENS1_47radix_sort_onesweep_sort_config_static_selectorELNS0_4arch9wavefront6targetE1EEEvSI_,comdat
	.protected	_ZN7rocprim17ROCPRIM_400000_NS6detail17trampoline_kernelINS0_14default_configENS1_35radix_sort_onesweep_config_selectorIiiEEZZNS1_29radix_sort_onesweep_iterationIS3_Lb0EN6thrust23THRUST_200600_302600_NS6detail15normal_iteratorINS8_10device_ptrIiEEEESD_SD_SD_jNS0_19identity_decomposerENS1_16block_id_wrapperIjLb0EEEEE10hipError_tT1_PNSt15iterator_traitsISI_E10value_typeET2_T3_PNSJ_ISO_E10value_typeET4_T5_PST_SU_PNS1_23onesweep_lookback_stateEbbT6_jjT7_P12ihipStream_tbENKUlT_T0_SI_SN_E_clIPiSD_S15_SD_EEDaS11_S12_SI_SN_EUlS11_E_NS1_11comp_targetILNS1_3genE0ELNS1_11target_archE4294967295ELNS1_3gpuE0ELNS1_3repE0EEENS1_47radix_sort_onesweep_sort_config_static_selectorELNS0_4arch9wavefront6targetE1EEEvSI_ ; -- Begin function _ZN7rocprim17ROCPRIM_400000_NS6detail17trampoline_kernelINS0_14default_configENS1_35radix_sort_onesweep_config_selectorIiiEEZZNS1_29radix_sort_onesweep_iterationIS3_Lb0EN6thrust23THRUST_200600_302600_NS6detail15normal_iteratorINS8_10device_ptrIiEEEESD_SD_SD_jNS0_19identity_decomposerENS1_16block_id_wrapperIjLb0EEEEE10hipError_tT1_PNSt15iterator_traitsISI_E10value_typeET2_T3_PNSJ_ISO_E10value_typeET4_T5_PST_SU_PNS1_23onesweep_lookback_stateEbbT6_jjT7_P12ihipStream_tbENKUlT_T0_SI_SN_E_clIPiSD_S15_SD_EEDaS11_S12_SI_SN_EUlS11_E_NS1_11comp_targetILNS1_3genE0ELNS1_11target_archE4294967295ELNS1_3gpuE0ELNS1_3repE0EEENS1_47radix_sort_onesweep_sort_config_static_selectorELNS0_4arch9wavefront6targetE1EEEvSI_
	.globl	_ZN7rocprim17ROCPRIM_400000_NS6detail17trampoline_kernelINS0_14default_configENS1_35radix_sort_onesweep_config_selectorIiiEEZZNS1_29radix_sort_onesweep_iterationIS3_Lb0EN6thrust23THRUST_200600_302600_NS6detail15normal_iteratorINS8_10device_ptrIiEEEESD_SD_SD_jNS0_19identity_decomposerENS1_16block_id_wrapperIjLb0EEEEE10hipError_tT1_PNSt15iterator_traitsISI_E10value_typeET2_T3_PNSJ_ISO_E10value_typeET4_T5_PST_SU_PNS1_23onesweep_lookback_stateEbbT6_jjT7_P12ihipStream_tbENKUlT_T0_SI_SN_E_clIPiSD_S15_SD_EEDaS11_S12_SI_SN_EUlS11_E_NS1_11comp_targetILNS1_3genE0ELNS1_11target_archE4294967295ELNS1_3gpuE0ELNS1_3repE0EEENS1_47radix_sort_onesweep_sort_config_static_selectorELNS0_4arch9wavefront6targetE1EEEvSI_
	.p2align	8
	.type	_ZN7rocprim17ROCPRIM_400000_NS6detail17trampoline_kernelINS0_14default_configENS1_35radix_sort_onesweep_config_selectorIiiEEZZNS1_29radix_sort_onesweep_iterationIS3_Lb0EN6thrust23THRUST_200600_302600_NS6detail15normal_iteratorINS8_10device_ptrIiEEEESD_SD_SD_jNS0_19identity_decomposerENS1_16block_id_wrapperIjLb0EEEEE10hipError_tT1_PNSt15iterator_traitsISI_E10value_typeET2_T3_PNSJ_ISO_E10value_typeET4_T5_PST_SU_PNS1_23onesweep_lookback_stateEbbT6_jjT7_P12ihipStream_tbENKUlT_T0_SI_SN_E_clIPiSD_S15_SD_EEDaS11_S12_SI_SN_EUlS11_E_NS1_11comp_targetILNS1_3genE0ELNS1_11target_archE4294967295ELNS1_3gpuE0ELNS1_3repE0EEENS1_47radix_sort_onesweep_sort_config_static_selectorELNS0_4arch9wavefront6targetE1EEEvSI_,@function
_ZN7rocprim17ROCPRIM_400000_NS6detail17trampoline_kernelINS0_14default_configENS1_35radix_sort_onesweep_config_selectorIiiEEZZNS1_29radix_sort_onesweep_iterationIS3_Lb0EN6thrust23THRUST_200600_302600_NS6detail15normal_iteratorINS8_10device_ptrIiEEEESD_SD_SD_jNS0_19identity_decomposerENS1_16block_id_wrapperIjLb0EEEEE10hipError_tT1_PNSt15iterator_traitsISI_E10value_typeET2_T3_PNSJ_ISO_E10value_typeET4_T5_PST_SU_PNS1_23onesweep_lookback_stateEbbT6_jjT7_P12ihipStream_tbENKUlT_T0_SI_SN_E_clIPiSD_S15_SD_EEDaS11_S12_SI_SN_EUlS11_E_NS1_11comp_targetILNS1_3genE0ELNS1_11target_archE4294967295ELNS1_3gpuE0ELNS1_3repE0EEENS1_47radix_sort_onesweep_sort_config_static_selectorELNS0_4arch9wavefront6targetE1EEEvSI_: ; @_ZN7rocprim17ROCPRIM_400000_NS6detail17trampoline_kernelINS0_14default_configENS1_35radix_sort_onesweep_config_selectorIiiEEZZNS1_29radix_sort_onesweep_iterationIS3_Lb0EN6thrust23THRUST_200600_302600_NS6detail15normal_iteratorINS8_10device_ptrIiEEEESD_SD_SD_jNS0_19identity_decomposerENS1_16block_id_wrapperIjLb0EEEEE10hipError_tT1_PNSt15iterator_traitsISI_E10value_typeET2_T3_PNSJ_ISO_E10value_typeET4_T5_PST_SU_PNS1_23onesweep_lookback_stateEbbT6_jjT7_P12ihipStream_tbENKUlT_T0_SI_SN_E_clIPiSD_S15_SD_EEDaS11_S12_SI_SN_EUlS11_E_NS1_11comp_targetILNS1_3genE0ELNS1_11target_archE4294967295ELNS1_3gpuE0ELNS1_3repE0EEENS1_47radix_sort_onesweep_sort_config_static_selectorELNS0_4arch9wavefront6targetE1EEEvSI_
; %bb.0:
	.section	.rodata,"a",@progbits
	.p2align	6, 0x0
	.amdhsa_kernel _ZN7rocprim17ROCPRIM_400000_NS6detail17trampoline_kernelINS0_14default_configENS1_35radix_sort_onesweep_config_selectorIiiEEZZNS1_29radix_sort_onesweep_iterationIS3_Lb0EN6thrust23THRUST_200600_302600_NS6detail15normal_iteratorINS8_10device_ptrIiEEEESD_SD_SD_jNS0_19identity_decomposerENS1_16block_id_wrapperIjLb0EEEEE10hipError_tT1_PNSt15iterator_traitsISI_E10value_typeET2_T3_PNSJ_ISO_E10value_typeET4_T5_PST_SU_PNS1_23onesweep_lookback_stateEbbT6_jjT7_P12ihipStream_tbENKUlT_T0_SI_SN_E_clIPiSD_S15_SD_EEDaS11_S12_SI_SN_EUlS11_E_NS1_11comp_targetILNS1_3genE0ELNS1_11target_archE4294967295ELNS1_3gpuE0ELNS1_3repE0EEENS1_47radix_sort_onesweep_sort_config_static_selectorELNS0_4arch9wavefront6targetE1EEEvSI_
		.amdhsa_group_segment_fixed_size 0
		.amdhsa_private_segment_fixed_size 0
		.amdhsa_kernarg_size 88
		.amdhsa_user_sgpr_count 2
		.amdhsa_user_sgpr_dispatch_ptr 0
		.amdhsa_user_sgpr_queue_ptr 0
		.amdhsa_user_sgpr_kernarg_segment_ptr 1
		.amdhsa_user_sgpr_dispatch_id 0
		.amdhsa_user_sgpr_kernarg_preload_length 0
		.amdhsa_user_sgpr_kernarg_preload_offset 0
		.amdhsa_user_sgpr_private_segment_size 0
		.amdhsa_uses_dynamic_stack 0
		.amdhsa_enable_private_segment 0
		.amdhsa_system_sgpr_workgroup_id_x 1
		.amdhsa_system_sgpr_workgroup_id_y 0
		.amdhsa_system_sgpr_workgroup_id_z 0
		.amdhsa_system_sgpr_workgroup_info 0
		.amdhsa_system_vgpr_workitem_id 0
		.amdhsa_next_free_vgpr 1
		.amdhsa_next_free_sgpr 0
		.amdhsa_accum_offset 4
		.amdhsa_reserve_vcc 0
		.amdhsa_float_round_mode_32 0
		.amdhsa_float_round_mode_16_64 0
		.amdhsa_float_denorm_mode_32 3
		.amdhsa_float_denorm_mode_16_64 3
		.amdhsa_dx10_clamp 1
		.amdhsa_ieee_mode 1
		.amdhsa_fp16_overflow 0
		.amdhsa_tg_split 0
		.amdhsa_exception_fp_ieee_invalid_op 0
		.amdhsa_exception_fp_denorm_src 0
		.amdhsa_exception_fp_ieee_div_zero 0
		.amdhsa_exception_fp_ieee_overflow 0
		.amdhsa_exception_fp_ieee_underflow 0
		.amdhsa_exception_fp_ieee_inexact 0
		.amdhsa_exception_int_div_zero 0
	.end_amdhsa_kernel
	.section	.text._ZN7rocprim17ROCPRIM_400000_NS6detail17trampoline_kernelINS0_14default_configENS1_35radix_sort_onesweep_config_selectorIiiEEZZNS1_29radix_sort_onesweep_iterationIS3_Lb0EN6thrust23THRUST_200600_302600_NS6detail15normal_iteratorINS8_10device_ptrIiEEEESD_SD_SD_jNS0_19identity_decomposerENS1_16block_id_wrapperIjLb0EEEEE10hipError_tT1_PNSt15iterator_traitsISI_E10value_typeET2_T3_PNSJ_ISO_E10value_typeET4_T5_PST_SU_PNS1_23onesweep_lookback_stateEbbT6_jjT7_P12ihipStream_tbENKUlT_T0_SI_SN_E_clIPiSD_S15_SD_EEDaS11_S12_SI_SN_EUlS11_E_NS1_11comp_targetILNS1_3genE0ELNS1_11target_archE4294967295ELNS1_3gpuE0ELNS1_3repE0EEENS1_47radix_sort_onesweep_sort_config_static_selectorELNS0_4arch9wavefront6targetE1EEEvSI_,"axG",@progbits,_ZN7rocprim17ROCPRIM_400000_NS6detail17trampoline_kernelINS0_14default_configENS1_35radix_sort_onesweep_config_selectorIiiEEZZNS1_29radix_sort_onesweep_iterationIS3_Lb0EN6thrust23THRUST_200600_302600_NS6detail15normal_iteratorINS8_10device_ptrIiEEEESD_SD_SD_jNS0_19identity_decomposerENS1_16block_id_wrapperIjLb0EEEEE10hipError_tT1_PNSt15iterator_traitsISI_E10value_typeET2_T3_PNSJ_ISO_E10value_typeET4_T5_PST_SU_PNS1_23onesweep_lookback_stateEbbT6_jjT7_P12ihipStream_tbENKUlT_T0_SI_SN_E_clIPiSD_S15_SD_EEDaS11_S12_SI_SN_EUlS11_E_NS1_11comp_targetILNS1_3genE0ELNS1_11target_archE4294967295ELNS1_3gpuE0ELNS1_3repE0EEENS1_47radix_sort_onesweep_sort_config_static_selectorELNS0_4arch9wavefront6targetE1EEEvSI_,comdat
.Lfunc_end1464:
	.size	_ZN7rocprim17ROCPRIM_400000_NS6detail17trampoline_kernelINS0_14default_configENS1_35radix_sort_onesweep_config_selectorIiiEEZZNS1_29radix_sort_onesweep_iterationIS3_Lb0EN6thrust23THRUST_200600_302600_NS6detail15normal_iteratorINS8_10device_ptrIiEEEESD_SD_SD_jNS0_19identity_decomposerENS1_16block_id_wrapperIjLb0EEEEE10hipError_tT1_PNSt15iterator_traitsISI_E10value_typeET2_T3_PNSJ_ISO_E10value_typeET4_T5_PST_SU_PNS1_23onesweep_lookback_stateEbbT6_jjT7_P12ihipStream_tbENKUlT_T0_SI_SN_E_clIPiSD_S15_SD_EEDaS11_S12_SI_SN_EUlS11_E_NS1_11comp_targetILNS1_3genE0ELNS1_11target_archE4294967295ELNS1_3gpuE0ELNS1_3repE0EEENS1_47radix_sort_onesweep_sort_config_static_selectorELNS0_4arch9wavefront6targetE1EEEvSI_, .Lfunc_end1464-_ZN7rocprim17ROCPRIM_400000_NS6detail17trampoline_kernelINS0_14default_configENS1_35radix_sort_onesweep_config_selectorIiiEEZZNS1_29radix_sort_onesweep_iterationIS3_Lb0EN6thrust23THRUST_200600_302600_NS6detail15normal_iteratorINS8_10device_ptrIiEEEESD_SD_SD_jNS0_19identity_decomposerENS1_16block_id_wrapperIjLb0EEEEE10hipError_tT1_PNSt15iterator_traitsISI_E10value_typeET2_T3_PNSJ_ISO_E10value_typeET4_T5_PST_SU_PNS1_23onesweep_lookback_stateEbbT6_jjT7_P12ihipStream_tbENKUlT_T0_SI_SN_E_clIPiSD_S15_SD_EEDaS11_S12_SI_SN_EUlS11_E_NS1_11comp_targetILNS1_3genE0ELNS1_11target_archE4294967295ELNS1_3gpuE0ELNS1_3repE0EEENS1_47radix_sort_onesweep_sort_config_static_selectorELNS0_4arch9wavefront6targetE1EEEvSI_
                                        ; -- End function
	.set _ZN7rocprim17ROCPRIM_400000_NS6detail17trampoline_kernelINS0_14default_configENS1_35radix_sort_onesweep_config_selectorIiiEEZZNS1_29radix_sort_onesweep_iterationIS3_Lb0EN6thrust23THRUST_200600_302600_NS6detail15normal_iteratorINS8_10device_ptrIiEEEESD_SD_SD_jNS0_19identity_decomposerENS1_16block_id_wrapperIjLb0EEEEE10hipError_tT1_PNSt15iterator_traitsISI_E10value_typeET2_T3_PNSJ_ISO_E10value_typeET4_T5_PST_SU_PNS1_23onesweep_lookback_stateEbbT6_jjT7_P12ihipStream_tbENKUlT_T0_SI_SN_E_clIPiSD_S15_SD_EEDaS11_S12_SI_SN_EUlS11_E_NS1_11comp_targetILNS1_3genE0ELNS1_11target_archE4294967295ELNS1_3gpuE0ELNS1_3repE0EEENS1_47radix_sort_onesweep_sort_config_static_selectorELNS0_4arch9wavefront6targetE1EEEvSI_.num_vgpr, 0
	.set _ZN7rocprim17ROCPRIM_400000_NS6detail17trampoline_kernelINS0_14default_configENS1_35radix_sort_onesweep_config_selectorIiiEEZZNS1_29radix_sort_onesweep_iterationIS3_Lb0EN6thrust23THRUST_200600_302600_NS6detail15normal_iteratorINS8_10device_ptrIiEEEESD_SD_SD_jNS0_19identity_decomposerENS1_16block_id_wrapperIjLb0EEEEE10hipError_tT1_PNSt15iterator_traitsISI_E10value_typeET2_T3_PNSJ_ISO_E10value_typeET4_T5_PST_SU_PNS1_23onesweep_lookback_stateEbbT6_jjT7_P12ihipStream_tbENKUlT_T0_SI_SN_E_clIPiSD_S15_SD_EEDaS11_S12_SI_SN_EUlS11_E_NS1_11comp_targetILNS1_3genE0ELNS1_11target_archE4294967295ELNS1_3gpuE0ELNS1_3repE0EEENS1_47radix_sort_onesweep_sort_config_static_selectorELNS0_4arch9wavefront6targetE1EEEvSI_.num_agpr, 0
	.set _ZN7rocprim17ROCPRIM_400000_NS6detail17trampoline_kernelINS0_14default_configENS1_35radix_sort_onesweep_config_selectorIiiEEZZNS1_29radix_sort_onesweep_iterationIS3_Lb0EN6thrust23THRUST_200600_302600_NS6detail15normal_iteratorINS8_10device_ptrIiEEEESD_SD_SD_jNS0_19identity_decomposerENS1_16block_id_wrapperIjLb0EEEEE10hipError_tT1_PNSt15iterator_traitsISI_E10value_typeET2_T3_PNSJ_ISO_E10value_typeET4_T5_PST_SU_PNS1_23onesweep_lookback_stateEbbT6_jjT7_P12ihipStream_tbENKUlT_T0_SI_SN_E_clIPiSD_S15_SD_EEDaS11_S12_SI_SN_EUlS11_E_NS1_11comp_targetILNS1_3genE0ELNS1_11target_archE4294967295ELNS1_3gpuE0ELNS1_3repE0EEENS1_47radix_sort_onesweep_sort_config_static_selectorELNS0_4arch9wavefront6targetE1EEEvSI_.numbered_sgpr, 0
	.set _ZN7rocprim17ROCPRIM_400000_NS6detail17trampoline_kernelINS0_14default_configENS1_35radix_sort_onesweep_config_selectorIiiEEZZNS1_29radix_sort_onesweep_iterationIS3_Lb0EN6thrust23THRUST_200600_302600_NS6detail15normal_iteratorINS8_10device_ptrIiEEEESD_SD_SD_jNS0_19identity_decomposerENS1_16block_id_wrapperIjLb0EEEEE10hipError_tT1_PNSt15iterator_traitsISI_E10value_typeET2_T3_PNSJ_ISO_E10value_typeET4_T5_PST_SU_PNS1_23onesweep_lookback_stateEbbT6_jjT7_P12ihipStream_tbENKUlT_T0_SI_SN_E_clIPiSD_S15_SD_EEDaS11_S12_SI_SN_EUlS11_E_NS1_11comp_targetILNS1_3genE0ELNS1_11target_archE4294967295ELNS1_3gpuE0ELNS1_3repE0EEENS1_47radix_sort_onesweep_sort_config_static_selectorELNS0_4arch9wavefront6targetE1EEEvSI_.num_named_barrier, 0
	.set _ZN7rocprim17ROCPRIM_400000_NS6detail17trampoline_kernelINS0_14default_configENS1_35radix_sort_onesweep_config_selectorIiiEEZZNS1_29radix_sort_onesweep_iterationIS3_Lb0EN6thrust23THRUST_200600_302600_NS6detail15normal_iteratorINS8_10device_ptrIiEEEESD_SD_SD_jNS0_19identity_decomposerENS1_16block_id_wrapperIjLb0EEEEE10hipError_tT1_PNSt15iterator_traitsISI_E10value_typeET2_T3_PNSJ_ISO_E10value_typeET4_T5_PST_SU_PNS1_23onesweep_lookback_stateEbbT6_jjT7_P12ihipStream_tbENKUlT_T0_SI_SN_E_clIPiSD_S15_SD_EEDaS11_S12_SI_SN_EUlS11_E_NS1_11comp_targetILNS1_3genE0ELNS1_11target_archE4294967295ELNS1_3gpuE0ELNS1_3repE0EEENS1_47radix_sort_onesweep_sort_config_static_selectorELNS0_4arch9wavefront6targetE1EEEvSI_.private_seg_size, 0
	.set _ZN7rocprim17ROCPRIM_400000_NS6detail17trampoline_kernelINS0_14default_configENS1_35radix_sort_onesweep_config_selectorIiiEEZZNS1_29radix_sort_onesweep_iterationIS3_Lb0EN6thrust23THRUST_200600_302600_NS6detail15normal_iteratorINS8_10device_ptrIiEEEESD_SD_SD_jNS0_19identity_decomposerENS1_16block_id_wrapperIjLb0EEEEE10hipError_tT1_PNSt15iterator_traitsISI_E10value_typeET2_T3_PNSJ_ISO_E10value_typeET4_T5_PST_SU_PNS1_23onesweep_lookback_stateEbbT6_jjT7_P12ihipStream_tbENKUlT_T0_SI_SN_E_clIPiSD_S15_SD_EEDaS11_S12_SI_SN_EUlS11_E_NS1_11comp_targetILNS1_3genE0ELNS1_11target_archE4294967295ELNS1_3gpuE0ELNS1_3repE0EEENS1_47radix_sort_onesweep_sort_config_static_selectorELNS0_4arch9wavefront6targetE1EEEvSI_.uses_vcc, 0
	.set _ZN7rocprim17ROCPRIM_400000_NS6detail17trampoline_kernelINS0_14default_configENS1_35radix_sort_onesweep_config_selectorIiiEEZZNS1_29radix_sort_onesweep_iterationIS3_Lb0EN6thrust23THRUST_200600_302600_NS6detail15normal_iteratorINS8_10device_ptrIiEEEESD_SD_SD_jNS0_19identity_decomposerENS1_16block_id_wrapperIjLb0EEEEE10hipError_tT1_PNSt15iterator_traitsISI_E10value_typeET2_T3_PNSJ_ISO_E10value_typeET4_T5_PST_SU_PNS1_23onesweep_lookback_stateEbbT6_jjT7_P12ihipStream_tbENKUlT_T0_SI_SN_E_clIPiSD_S15_SD_EEDaS11_S12_SI_SN_EUlS11_E_NS1_11comp_targetILNS1_3genE0ELNS1_11target_archE4294967295ELNS1_3gpuE0ELNS1_3repE0EEENS1_47radix_sort_onesweep_sort_config_static_selectorELNS0_4arch9wavefront6targetE1EEEvSI_.uses_flat_scratch, 0
	.set _ZN7rocprim17ROCPRIM_400000_NS6detail17trampoline_kernelINS0_14default_configENS1_35radix_sort_onesweep_config_selectorIiiEEZZNS1_29radix_sort_onesweep_iterationIS3_Lb0EN6thrust23THRUST_200600_302600_NS6detail15normal_iteratorINS8_10device_ptrIiEEEESD_SD_SD_jNS0_19identity_decomposerENS1_16block_id_wrapperIjLb0EEEEE10hipError_tT1_PNSt15iterator_traitsISI_E10value_typeET2_T3_PNSJ_ISO_E10value_typeET4_T5_PST_SU_PNS1_23onesweep_lookback_stateEbbT6_jjT7_P12ihipStream_tbENKUlT_T0_SI_SN_E_clIPiSD_S15_SD_EEDaS11_S12_SI_SN_EUlS11_E_NS1_11comp_targetILNS1_3genE0ELNS1_11target_archE4294967295ELNS1_3gpuE0ELNS1_3repE0EEENS1_47radix_sort_onesweep_sort_config_static_selectorELNS0_4arch9wavefront6targetE1EEEvSI_.has_dyn_sized_stack, 0
	.set _ZN7rocprim17ROCPRIM_400000_NS6detail17trampoline_kernelINS0_14default_configENS1_35radix_sort_onesweep_config_selectorIiiEEZZNS1_29radix_sort_onesweep_iterationIS3_Lb0EN6thrust23THRUST_200600_302600_NS6detail15normal_iteratorINS8_10device_ptrIiEEEESD_SD_SD_jNS0_19identity_decomposerENS1_16block_id_wrapperIjLb0EEEEE10hipError_tT1_PNSt15iterator_traitsISI_E10value_typeET2_T3_PNSJ_ISO_E10value_typeET4_T5_PST_SU_PNS1_23onesweep_lookback_stateEbbT6_jjT7_P12ihipStream_tbENKUlT_T0_SI_SN_E_clIPiSD_S15_SD_EEDaS11_S12_SI_SN_EUlS11_E_NS1_11comp_targetILNS1_3genE0ELNS1_11target_archE4294967295ELNS1_3gpuE0ELNS1_3repE0EEENS1_47radix_sort_onesweep_sort_config_static_selectorELNS0_4arch9wavefront6targetE1EEEvSI_.has_recursion, 0
	.set _ZN7rocprim17ROCPRIM_400000_NS6detail17trampoline_kernelINS0_14default_configENS1_35radix_sort_onesweep_config_selectorIiiEEZZNS1_29radix_sort_onesweep_iterationIS3_Lb0EN6thrust23THRUST_200600_302600_NS6detail15normal_iteratorINS8_10device_ptrIiEEEESD_SD_SD_jNS0_19identity_decomposerENS1_16block_id_wrapperIjLb0EEEEE10hipError_tT1_PNSt15iterator_traitsISI_E10value_typeET2_T3_PNSJ_ISO_E10value_typeET4_T5_PST_SU_PNS1_23onesweep_lookback_stateEbbT6_jjT7_P12ihipStream_tbENKUlT_T0_SI_SN_E_clIPiSD_S15_SD_EEDaS11_S12_SI_SN_EUlS11_E_NS1_11comp_targetILNS1_3genE0ELNS1_11target_archE4294967295ELNS1_3gpuE0ELNS1_3repE0EEENS1_47radix_sort_onesweep_sort_config_static_selectorELNS0_4arch9wavefront6targetE1EEEvSI_.has_indirect_call, 0
	.section	.AMDGPU.csdata,"",@progbits
; Kernel info:
; codeLenInByte = 0
; TotalNumSgprs: 6
; NumVgprs: 0
; NumAgprs: 0
; TotalNumVgprs: 0
; ScratchSize: 0
; MemoryBound: 0
; FloatMode: 240
; IeeeMode: 1
; LDSByteSize: 0 bytes/workgroup (compile time only)
; SGPRBlocks: 0
; VGPRBlocks: 0
; NumSGPRsForWavesPerEU: 6
; NumVGPRsForWavesPerEU: 1
; AccumOffset: 4
; Occupancy: 8
; WaveLimiterHint : 0
; COMPUTE_PGM_RSRC2:SCRATCH_EN: 0
; COMPUTE_PGM_RSRC2:USER_SGPR: 2
; COMPUTE_PGM_RSRC2:TRAP_HANDLER: 0
; COMPUTE_PGM_RSRC2:TGID_X_EN: 1
; COMPUTE_PGM_RSRC2:TGID_Y_EN: 0
; COMPUTE_PGM_RSRC2:TGID_Z_EN: 0
; COMPUTE_PGM_RSRC2:TIDIG_COMP_CNT: 0
; COMPUTE_PGM_RSRC3_GFX90A:ACCUM_OFFSET: 0
; COMPUTE_PGM_RSRC3_GFX90A:TG_SPLIT: 0
	.section	.text._ZN7rocprim17ROCPRIM_400000_NS6detail17trampoline_kernelINS0_14default_configENS1_35radix_sort_onesweep_config_selectorIiiEEZZNS1_29radix_sort_onesweep_iterationIS3_Lb0EN6thrust23THRUST_200600_302600_NS6detail15normal_iteratorINS8_10device_ptrIiEEEESD_SD_SD_jNS0_19identity_decomposerENS1_16block_id_wrapperIjLb0EEEEE10hipError_tT1_PNSt15iterator_traitsISI_E10value_typeET2_T3_PNSJ_ISO_E10value_typeET4_T5_PST_SU_PNS1_23onesweep_lookback_stateEbbT6_jjT7_P12ihipStream_tbENKUlT_T0_SI_SN_E_clIPiSD_S15_SD_EEDaS11_S12_SI_SN_EUlS11_E_NS1_11comp_targetILNS1_3genE6ELNS1_11target_archE950ELNS1_3gpuE13ELNS1_3repE0EEENS1_47radix_sort_onesweep_sort_config_static_selectorELNS0_4arch9wavefront6targetE1EEEvSI_,"axG",@progbits,_ZN7rocprim17ROCPRIM_400000_NS6detail17trampoline_kernelINS0_14default_configENS1_35radix_sort_onesweep_config_selectorIiiEEZZNS1_29radix_sort_onesweep_iterationIS3_Lb0EN6thrust23THRUST_200600_302600_NS6detail15normal_iteratorINS8_10device_ptrIiEEEESD_SD_SD_jNS0_19identity_decomposerENS1_16block_id_wrapperIjLb0EEEEE10hipError_tT1_PNSt15iterator_traitsISI_E10value_typeET2_T3_PNSJ_ISO_E10value_typeET4_T5_PST_SU_PNS1_23onesweep_lookback_stateEbbT6_jjT7_P12ihipStream_tbENKUlT_T0_SI_SN_E_clIPiSD_S15_SD_EEDaS11_S12_SI_SN_EUlS11_E_NS1_11comp_targetILNS1_3genE6ELNS1_11target_archE950ELNS1_3gpuE13ELNS1_3repE0EEENS1_47radix_sort_onesweep_sort_config_static_selectorELNS0_4arch9wavefront6targetE1EEEvSI_,comdat
	.protected	_ZN7rocprim17ROCPRIM_400000_NS6detail17trampoline_kernelINS0_14default_configENS1_35radix_sort_onesweep_config_selectorIiiEEZZNS1_29radix_sort_onesweep_iterationIS3_Lb0EN6thrust23THRUST_200600_302600_NS6detail15normal_iteratorINS8_10device_ptrIiEEEESD_SD_SD_jNS0_19identity_decomposerENS1_16block_id_wrapperIjLb0EEEEE10hipError_tT1_PNSt15iterator_traitsISI_E10value_typeET2_T3_PNSJ_ISO_E10value_typeET4_T5_PST_SU_PNS1_23onesweep_lookback_stateEbbT6_jjT7_P12ihipStream_tbENKUlT_T0_SI_SN_E_clIPiSD_S15_SD_EEDaS11_S12_SI_SN_EUlS11_E_NS1_11comp_targetILNS1_3genE6ELNS1_11target_archE950ELNS1_3gpuE13ELNS1_3repE0EEENS1_47radix_sort_onesweep_sort_config_static_selectorELNS0_4arch9wavefront6targetE1EEEvSI_ ; -- Begin function _ZN7rocprim17ROCPRIM_400000_NS6detail17trampoline_kernelINS0_14default_configENS1_35radix_sort_onesweep_config_selectorIiiEEZZNS1_29radix_sort_onesweep_iterationIS3_Lb0EN6thrust23THRUST_200600_302600_NS6detail15normal_iteratorINS8_10device_ptrIiEEEESD_SD_SD_jNS0_19identity_decomposerENS1_16block_id_wrapperIjLb0EEEEE10hipError_tT1_PNSt15iterator_traitsISI_E10value_typeET2_T3_PNSJ_ISO_E10value_typeET4_T5_PST_SU_PNS1_23onesweep_lookback_stateEbbT6_jjT7_P12ihipStream_tbENKUlT_T0_SI_SN_E_clIPiSD_S15_SD_EEDaS11_S12_SI_SN_EUlS11_E_NS1_11comp_targetILNS1_3genE6ELNS1_11target_archE950ELNS1_3gpuE13ELNS1_3repE0EEENS1_47radix_sort_onesweep_sort_config_static_selectorELNS0_4arch9wavefront6targetE1EEEvSI_
	.globl	_ZN7rocprim17ROCPRIM_400000_NS6detail17trampoline_kernelINS0_14default_configENS1_35radix_sort_onesweep_config_selectorIiiEEZZNS1_29radix_sort_onesweep_iterationIS3_Lb0EN6thrust23THRUST_200600_302600_NS6detail15normal_iteratorINS8_10device_ptrIiEEEESD_SD_SD_jNS0_19identity_decomposerENS1_16block_id_wrapperIjLb0EEEEE10hipError_tT1_PNSt15iterator_traitsISI_E10value_typeET2_T3_PNSJ_ISO_E10value_typeET4_T5_PST_SU_PNS1_23onesweep_lookback_stateEbbT6_jjT7_P12ihipStream_tbENKUlT_T0_SI_SN_E_clIPiSD_S15_SD_EEDaS11_S12_SI_SN_EUlS11_E_NS1_11comp_targetILNS1_3genE6ELNS1_11target_archE950ELNS1_3gpuE13ELNS1_3repE0EEENS1_47radix_sort_onesweep_sort_config_static_selectorELNS0_4arch9wavefront6targetE1EEEvSI_
	.p2align	8
	.type	_ZN7rocprim17ROCPRIM_400000_NS6detail17trampoline_kernelINS0_14default_configENS1_35radix_sort_onesweep_config_selectorIiiEEZZNS1_29radix_sort_onesweep_iterationIS3_Lb0EN6thrust23THRUST_200600_302600_NS6detail15normal_iteratorINS8_10device_ptrIiEEEESD_SD_SD_jNS0_19identity_decomposerENS1_16block_id_wrapperIjLb0EEEEE10hipError_tT1_PNSt15iterator_traitsISI_E10value_typeET2_T3_PNSJ_ISO_E10value_typeET4_T5_PST_SU_PNS1_23onesweep_lookback_stateEbbT6_jjT7_P12ihipStream_tbENKUlT_T0_SI_SN_E_clIPiSD_S15_SD_EEDaS11_S12_SI_SN_EUlS11_E_NS1_11comp_targetILNS1_3genE6ELNS1_11target_archE950ELNS1_3gpuE13ELNS1_3repE0EEENS1_47radix_sort_onesweep_sort_config_static_selectorELNS0_4arch9wavefront6targetE1EEEvSI_,@function
_ZN7rocprim17ROCPRIM_400000_NS6detail17trampoline_kernelINS0_14default_configENS1_35radix_sort_onesweep_config_selectorIiiEEZZNS1_29radix_sort_onesweep_iterationIS3_Lb0EN6thrust23THRUST_200600_302600_NS6detail15normal_iteratorINS8_10device_ptrIiEEEESD_SD_SD_jNS0_19identity_decomposerENS1_16block_id_wrapperIjLb0EEEEE10hipError_tT1_PNSt15iterator_traitsISI_E10value_typeET2_T3_PNSJ_ISO_E10value_typeET4_T5_PST_SU_PNS1_23onesweep_lookback_stateEbbT6_jjT7_P12ihipStream_tbENKUlT_T0_SI_SN_E_clIPiSD_S15_SD_EEDaS11_S12_SI_SN_EUlS11_E_NS1_11comp_targetILNS1_3genE6ELNS1_11target_archE950ELNS1_3gpuE13ELNS1_3repE0EEENS1_47radix_sort_onesweep_sort_config_static_selectorELNS0_4arch9wavefront6targetE1EEEvSI_: ; @_ZN7rocprim17ROCPRIM_400000_NS6detail17trampoline_kernelINS0_14default_configENS1_35radix_sort_onesweep_config_selectorIiiEEZZNS1_29radix_sort_onesweep_iterationIS3_Lb0EN6thrust23THRUST_200600_302600_NS6detail15normal_iteratorINS8_10device_ptrIiEEEESD_SD_SD_jNS0_19identity_decomposerENS1_16block_id_wrapperIjLb0EEEEE10hipError_tT1_PNSt15iterator_traitsISI_E10value_typeET2_T3_PNSJ_ISO_E10value_typeET4_T5_PST_SU_PNS1_23onesweep_lookback_stateEbbT6_jjT7_P12ihipStream_tbENKUlT_T0_SI_SN_E_clIPiSD_S15_SD_EEDaS11_S12_SI_SN_EUlS11_E_NS1_11comp_targetILNS1_3genE6ELNS1_11target_archE950ELNS1_3gpuE13ELNS1_3repE0EEENS1_47radix_sort_onesweep_sort_config_static_selectorELNS0_4arch9wavefront6targetE1EEEvSI_
; %bb.0:
	s_load_dwordx8 s[52:59], s[0:1], 0x0
	s_load_dwordx4 s[64:67], s[0:1], 0x44
	s_load_dwordx4 s[60:63], s[0:1], 0x28
	s_load_dwordx2 s[50:51], s[0:1], 0x38
	s_mov_b64 s[4:5], -1
	v_mbcnt_lo_u32_b32 v1, -1, 0
	s_waitcnt lgkmcnt(0)
	s_cmp_ge_u32 s2, s66
	s_cbranch_scc0 .LBB1465_204
; %bb.1:
	s_load_dword s3, s[0:1], 0x20
	s_lshl_b32 s6, s66, 14
	s_lshl_b32 s4, s2, 14
	s_mov_b32 s5, 0
	v_and_b32_e32 v2, 0x3ff, v0
	s_waitcnt lgkmcnt(0)
	s_sub_i32 s3, s3, s6
	s_lshl_b64 s[66:67], s[4:5], 2
	v_mbcnt_hi_u32_b32 v12, -1, v1
	s_add_u32 s4, s52, s66
	v_and_b32_e32 v10, 63, v12
	v_lshlrev_b32_e32 v4, 4, v2
	s_addc_u32 s5, s53, s67
	v_and_b32_e32 v11, 0x3c00, v4
	v_mov_b32_e32 v5, 0
	v_lshlrev_b32_e32 v4, 2, v10
	v_lshl_add_u64 v[8:9], s[4:5], 0, v[4:5]
	v_lshlrev_b32_e32 v6, 2, v11
	v_mov_b32_e32 v7, v5
	v_or_b32_e32 v10, v10, v11
	v_mov_b32_e32 v3, -1
	v_lshl_add_u64 v[8:9], v[8:9], 0, v[6:7]
	v_cmp_gt_u32_e32 vcc, s3, v10
	v_mov_b32_e32 v5, -1
	s_and_saveexec_b64 s[4:5], vcc
	s_cbranch_execz .LBB1465_3
; %bb.2:
	global_load_dword v5, v[8:9], off
	s_waitcnt vmcnt(0)
	v_xor_b32_e32 v5, 0x80000000, v5
.LBB1465_3:
	s_or_b64 exec, exec, s[4:5]
	v_or_b32_e32 v7, 64, v10
	v_cmp_gt_u32_e64 s[42:43], s3, v7
	s_and_saveexec_b64 s[4:5], s[42:43]
	s_cbranch_execz .LBB1465_5
; %bb.4:
	global_load_dword v3, v[8:9], off offset:256
	s_waitcnt vmcnt(0)
	v_xor_b32_e32 v3, 0x80000000, v3
.LBB1465_5:
	s_or_b64 exec, exec, s[4:5]
	v_or_b32_e32 v7, 0x80, v10
	v_cmp_gt_u32_e64 s[4:5], s3, v7
	v_mov_b32_e32 v7, -1
	v_mov_b32_e32 v14, -1
	s_and_saveexec_b64 s[6:7], s[4:5]
	s_cbranch_execz .LBB1465_7
; %bb.6:
	global_load_dword v11, v[8:9], off offset:512
	s_waitcnt vmcnt(0)
	v_xor_b32_e32 v14, 0x80000000, v11
.LBB1465_7:
	s_or_b64 exec, exec, s[6:7]
	v_or_b32_e32 v11, 0xc0, v10
	v_cmp_gt_u32_e64 s[6:7], s3, v11
	s_and_saveexec_b64 s[8:9], s[6:7]
	s_cbranch_execz .LBB1465_9
; %bb.8:
	global_load_dword v7, v[8:9], off offset:768
	s_waitcnt vmcnt(0)
	v_xor_b32_e32 v7, 0x80000000, v7
.LBB1465_9:
	s_or_b64 exec, exec, s[8:9]
	v_or_b32_e32 v11, 0x100, v10
	v_cmp_gt_u32_e64 s[8:9], s3, v11
	v_mov_b32_e32 v15, -1
	v_mov_b32_e32 v16, -1
	s_and_saveexec_b64 s[10:11], s[8:9]
	s_cbranch_execz .LBB1465_11
; %bb.10:
	global_load_dword v11, v[8:9], off offset:1024
	s_waitcnt vmcnt(0)
	v_xor_b32_e32 v16, 0x80000000, v11
.LBB1465_11:
	;; [unrolled: 22-line block ×7, first 2 shown]
	s_or_b64 exec, exec, s[30:31]
	v_or_b32_e32 v10, 0x3c0, v10
	v_cmp_gt_u32_e64 s[30:31], s3, v10
	s_and_saveexec_b64 s[34:35], s[30:31]
	s_cbranch_execz .LBB1465_33
; %bb.32:
	global_load_dword v8, v[8:9], off offset:3840
	s_waitcnt vmcnt(0)
	v_xor_b32_e32 v25, 0x80000000, v8
.LBB1465_33:
	s_or_b64 exec, exec, s[34:35]
	s_load_dword s34, s[0:1], 0x64
	s_load_dword s33, s[0:1], 0x58
	s_add_u32 s35, s0, 0x58
	s_addc_u32 s36, s1, 0
	v_mov_b32_e32 v9, 0
	s_waitcnt lgkmcnt(0)
	s_lshr_b32 s37, s34, 16
	s_cmp_lt_u32 s2, s33
	s_cselect_b32 s34, 12, 18
	s_add_u32 s34, s35, s34
	s_addc_u32 s35, s36, 0
	global_load_ushort v27, v9, s[34:35]
	v_lshrrev_b32_e32 v29, s64, v5
	s_lshl_b32 s34, -1, s65
	v_bfe_u32 v8, v0, 10, 10
	v_bfe_u32 v11, v0, 20, 10
	v_bitop3_b32 v38, v29, s34, v29 bitop3:0x30
	s_movk_i32 s69, 0x44
	v_mad_u32_u24 v40, v11, s37, v8
	v_and_b32_e32 v8, 1, v38
	v_lshlrev_b32_e32 v11, 30, v38
	v_mov_b32_e32 v10, v9
	v_mov_b32_e32 v30, v9
	s_not_b32 s68, s34
	v_mul_lo_u32 v42, v38, s69
	v_lshlrev_b32_e32 v29, 29, v38
	v_lshlrev_b32_e32 v31, 28, v38
	;; [unrolled: 1-line block ×6, first 2 shown]
	v_lshl_add_u64 v[38:39], v[8:9], 0, -1
	v_cmp_ne_u32_e64 s[34:35], 0, v8
	v_not_b32_e32 v8, v11
	v_mov_b32_e32 v28, v9
	v_mov_b32_e32 v32, v9
	v_cmp_gt_i64_e64 s[36:37], 0, v[10:11]
	v_not_b32_e32 v10, v29
	v_cmp_gt_i64_e64 s[40:41], 0, v[30:31]
	v_not_b32_e32 v11, v31
	v_xor_b32_e32 v31, s35, v39
	v_ashrrev_i32_e32 v8, 31, v8
	v_mov_b32_e32 v34, v9
	v_cmp_gt_i64_e64 s[38:39], 0, v[28:29]
	v_cmp_gt_i64_e64 s[44:45], 0, v[32:33]
	v_not_b32_e32 v28, v33
	v_xor_b32_e32 v32, s34, v38
	v_ashrrev_i32_e32 v10, 31, v10
	v_and_b32_e32 v31, exec_hi, v31
	v_xor_b32_e32 v33, s37, v8
	v_cmp_gt_i64_e64 s[46:47], 0, v[34:35]
	v_ashrrev_i32_e32 v11, 31, v11
	v_and_b32_e32 v32, exec_lo, v32
	v_xor_b32_e32 v8, s36, v8
	v_xor_b32_e32 v34, s39, v10
	v_and_b32_e32 v31, v31, v33
	v_mov_b32_e32 v36, v9
	v_not_b32_e32 v29, v35
	v_ashrrev_i32_e32 v28, 31, v28
	v_xor_b32_e32 v10, s38, v10
	v_xor_b32_e32 v35, s41, v11
	v_and_b32_e32 v8, v32, v8
	v_and_b32_e32 v31, v31, v34
	v_cmp_gt_i64_e64 s[48:49], 0, v[36:37]
	v_not_b32_e32 v30, v37
	v_ashrrev_i32_e32 v29, 31, v29
	v_xor_b32_e32 v36, s45, v28
	v_and_b32_e32 v8, v8, v10
	v_and_b32_e32 v10, v31, v35
	v_ashrrev_i32_e32 v30, 31, v30
	v_xor_b32_e32 v11, s40, v11
	v_xor_b32_e32 v37, s47, v29
	v_and_b32_e32 v10, v10, v36
	v_xor_b32_e32 v28, s44, v28
	v_xor_b32_e32 v38, s49, v30
	v_and_b32_e32 v8, v8, v11
	v_and_b32_e32 v10, v10, v37
	;; [unrolled: 1-line block ×4, first 2 shown]
	v_xor_b32_e32 v29, s46, v29
	v_xor_b32_e32 v30, s48, v30
	v_and_b32_e32 v8, v8, v29
	v_and_b32_e32 v8, v8, v30
	v_mul_u32_u24_e32 v13, 20, v2
	ds_write2_b32 v13, v9, v9 offset0:16 offset1:17
	ds_write2_b32 v13, v9, v9 offset0:18 offset1:19
	ds_write_b32 v13, v9 offset:80
	s_waitcnt lgkmcnt(0)
	s_barrier
	s_waitcnt vmcnt(0)
	; wave barrier
	v_mad_u64_u32 v[10:11], s[34:35], v40, v27, v[2:3]
	v_lshrrev_b32_e32 v38, 6, v10
	v_mov_b32_e32 v40, v9
	v_not_b32_e32 v10, v41
	v_cmp_gt_i64_e64 s[34:35], 0, v[40:41]
	v_ashrrev_i32_e32 v10, 31, v10
	v_lshl_add_u32 v31, v38, 2, v42
	v_xor_b32_e32 v11, s35, v10
	v_xor_b32_e32 v10, s34, v10
	v_and_b32_e32 v10, v8, v10
	v_and_b32_e32 v11, v28, v11
	v_mbcnt_lo_u32_b32 v8, v10, 0
	v_mbcnt_hi_u32_b32 v28, v11, v8
	v_cmp_eq_u32_e64 s[34:35], 0, v28
	v_cmp_ne_u64_e64 s[36:37], 0, v[10:11]
	s_and_b64 s[36:37], s[36:37], s[34:35]
	s_and_saveexec_b64 s[34:35], s[36:37]
; %bb.34:
	v_bcnt_u32_b32 v8, v10, 0
	v_bcnt_u32_b32 v8, v11, v8
	ds_write_b32 v31, v8 offset:64
; %bb.35:
	s_or_b64 exec, exec, s[34:35]
	v_lshrrev_b32_e32 v8, s64, v3
	v_and_b32_e32 v29, s68, v8
	v_mul_lo_u32 v8, v29, s69
	v_lshl_add_u32 v33, v38, 2, v8
	v_and_b32_e32 v8, 1, v29
	v_lshl_add_u64 v[10:11], v[8:9], 0, -1
	v_cmp_ne_u32_e64 s[34:35], 0, v8
	; wave barrier
	s_nop 1
	v_xor_b32_e32 v10, s34, v10
	v_xor_b32_e32 v8, s35, v11
	v_and_b32_e32 v30, exec_lo, v10
	v_lshlrev_b32_e32 v11, 30, v29
	v_mov_b32_e32 v10, v9
	v_cmp_gt_i64_e64 s[34:35], 0, v[10:11]
	v_not_b32_e32 v10, v11
	v_ashrrev_i32_e32 v10, 31, v10
	v_and_b32_e32 v8, exec_hi, v8
	v_xor_b32_e32 v11, s35, v10
	v_xor_b32_e32 v10, s34, v10
	v_and_b32_e32 v8, v8, v11
	v_and_b32_e32 v30, v30, v10
	v_lshlrev_b32_e32 v11, 29, v29
	v_mov_b32_e32 v10, v9
	v_cmp_gt_i64_e64 s[34:35], 0, v[10:11]
	v_not_b32_e32 v10, v11
	v_ashrrev_i32_e32 v10, 31, v10
	v_xor_b32_e32 v11, s35, v10
	v_xor_b32_e32 v10, s34, v10
	v_and_b32_e32 v8, v8, v11
	v_and_b32_e32 v30, v30, v10
	v_lshlrev_b32_e32 v11, 28, v29
	v_mov_b32_e32 v10, v9
	v_cmp_gt_i64_e64 s[34:35], 0, v[10:11]
	v_not_b32_e32 v10, v11
	v_ashrrev_i32_e32 v10, 31, v10
	;; [unrolled: 9-line block ×5, first 2 shown]
	v_xor_b32_e32 v11, s35, v10
	v_xor_b32_e32 v10, s34, v10
	v_and_b32_e32 v8, v8, v11
	v_lshlrev_b32_e32 v11, 24, v29
	v_and_b32_e32 v30, v30, v10
	v_mov_b32_e32 v10, v9
	v_not_b32_e32 v9, v11
	v_cmp_gt_i64_e64 s[34:35], 0, v[10:11]
	v_ashrrev_i32_e32 v9, 31, v9
	ds_read_b32 v27, v33 offset:64
	v_xor_b32_e32 v10, s35, v9
	v_xor_b32_e32 v11, s34, v9
	v_and_b32_e32 v9, v8, v10
	v_and_b32_e32 v8, v30, v11
	v_mbcnt_lo_u32_b32 v10, v8, 0
	v_mbcnt_hi_u32_b32 v29, v9, v10
	v_cmp_eq_u32_e64 s[34:35], 0, v29
	v_cmp_ne_u64_e64 s[36:37], 0, v[8:9]
	s_and_b64 s[36:37], s[36:37], s[34:35]
	; wave barrier
	s_and_saveexec_b64 s[34:35], s[36:37]
	s_cbranch_execz .LBB1465_37
; %bb.36:
	v_bcnt_u32_b32 v8, v8, 0
	v_bcnt_u32_b32 v8, v9, v8
	s_waitcnt lgkmcnt(0)
	v_add_u32_e32 v8, v27, v8
	ds_write_b32 v33, v8 offset:64
.LBB1465_37:
	s_or_b64 exec, exec, s[34:35]
	v_lshrrev_b32_e32 v8, s64, v14
	v_and_b32_e32 v32, s68, v8
	s_movk_i32 s38, 0x44
	v_mul_lo_u32 v8, v32, s38
	v_lshl_add_u32 v36, v38, 2, v8
	v_and_b32_e32 v8, 1, v32
	v_mov_b32_e32 v9, 0
	v_lshl_add_u64 v[10:11], v[8:9], 0, -1
	v_cmp_ne_u32_e64 s[34:35], 0, v8
	; wave barrier
	s_nop 1
	v_xor_b32_e32 v10, s34, v10
	v_xor_b32_e32 v8, s35, v11
	v_and_b32_e32 v34, exec_lo, v10
	v_lshlrev_b32_e32 v11, 30, v32
	v_mov_b32_e32 v10, v9
	v_cmp_gt_i64_e64 s[34:35], 0, v[10:11]
	v_not_b32_e32 v10, v11
	v_ashrrev_i32_e32 v10, 31, v10
	v_and_b32_e32 v8, exec_hi, v8
	v_xor_b32_e32 v11, s35, v10
	v_xor_b32_e32 v10, s34, v10
	v_and_b32_e32 v8, v8, v11
	v_and_b32_e32 v34, v34, v10
	v_lshlrev_b32_e32 v11, 29, v32
	v_mov_b32_e32 v10, v9
	v_cmp_gt_i64_e64 s[34:35], 0, v[10:11]
	v_not_b32_e32 v10, v11
	v_ashrrev_i32_e32 v10, 31, v10
	v_xor_b32_e32 v11, s35, v10
	v_xor_b32_e32 v10, s34, v10
	v_and_b32_e32 v8, v8, v11
	v_and_b32_e32 v34, v34, v10
	v_lshlrev_b32_e32 v11, 28, v32
	v_mov_b32_e32 v10, v9
	v_cmp_gt_i64_e64 s[34:35], 0, v[10:11]
	v_not_b32_e32 v10, v11
	v_ashrrev_i32_e32 v10, 31, v10
	;; [unrolled: 9-line block ×6, first 2 shown]
	v_xor_b32_e32 v11, s35, v10
	v_xor_b32_e32 v10, s34, v10
	ds_read_b32 v30, v36 offset:64
	v_and_b32_e32 v10, v34, v10
	v_and_b32_e32 v11, v8, v11
	v_mbcnt_lo_u32_b32 v8, v10, 0
	v_mbcnt_hi_u32_b32 v32, v11, v8
	v_cmp_eq_u32_e64 s[34:35], 0, v32
	v_cmp_ne_u64_e64 s[36:37], 0, v[10:11]
	s_and_b64 s[36:37], s[36:37], s[34:35]
	; wave barrier
	s_and_saveexec_b64 s[34:35], s[36:37]
	s_cbranch_execz .LBB1465_39
; %bb.38:
	v_bcnt_u32_b32 v8, v10, 0
	v_bcnt_u32_b32 v8, v11, v8
	s_waitcnt lgkmcnt(0)
	v_add_u32_e32 v8, v30, v8
	ds_write_b32 v36, v8 offset:64
.LBB1465_39:
	s_or_b64 exec, exec, s[34:35]
	v_lshrrev_b32_e32 v8, s64, v7
	v_and_b32_e32 v35, s68, v8
	v_mul_lo_u32 v8, v35, s38
	v_lshl_add_u32 v40, v38, 2, v8
	v_and_b32_e32 v8, 1, v35
	v_lshl_add_u64 v[10:11], v[8:9], 0, -1
	v_cmp_ne_u32_e64 s[34:35], 0, v8
	; wave barrier
	s_nop 1
	v_xor_b32_e32 v10, s34, v10
	v_xor_b32_e32 v8, s35, v11
	v_and_b32_e32 v37, exec_lo, v10
	v_lshlrev_b32_e32 v11, 30, v35
	v_mov_b32_e32 v10, v9
	v_cmp_gt_i64_e64 s[34:35], 0, v[10:11]
	v_not_b32_e32 v10, v11
	v_ashrrev_i32_e32 v10, 31, v10
	v_and_b32_e32 v8, exec_hi, v8
	v_xor_b32_e32 v11, s35, v10
	v_xor_b32_e32 v10, s34, v10
	v_and_b32_e32 v8, v8, v11
	v_and_b32_e32 v37, v37, v10
	v_lshlrev_b32_e32 v11, 29, v35
	v_mov_b32_e32 v10, v9
	v_cmp_gt_i64_e64 s[34:35], 0, v[10:11]
	v_not_b32_e32 v10, v11
	v_ashrrev_i32_e32 v10, 31, v10
	v_xor_b32_e32 v11, s35, v10
	v_xor_b32_e32 v10, s34, v10
	v_and_b32_e32 v8, v8, v11
	v_and_b32_e32 v37, v37, v10
	v_lshlrev_b32_e32 v11, 28, v35
	v_mov_b32_e32 v10, v9
	v_cmp_gt_i64_e64 s[34:35], 0, v[10:11]
	v_not_b32_e32 v10, v11
	v_ashrrev_i32_e32 v10, 31, v10
	;; [unrolled: 9-line block ×5, first 2 shown]
	v_xor_b32_e32 v11, s35, v10
	v_xor_b32_e32 v10, s34, v10
	v_and_b32_e32 v8, v8, v11
	v_lshlrev_b32_e32 v11, 24, v35
	v_and_b32_e32 v37, v37, v10
	v_mov_b32_e32 v10, v9
	v_not_b32_e32 v9, v11
	v_cmp_gt_i64_e64 s[34:35], 0, v[10:11]
	v_ashrrev_i32_e32 v9, 31, v9
	ds_read_b32 v34, v40 offset:64
	v_xor_b32_e32 v10, s35, v9
	v_xor_b32_e32 v11, s34, v9
	v_and_b32_e32 v9, v8, v10
	v_and_b32_e32 v8, v37, v11
	v_mbcnt_lo_u32_b32 v10, v8, 0
	v_mbcnt_hi_u32_b32 v35, v9, v10
	v_cmp_eq_u32_e64 s[34:35], 0, v35
	v_cmp_ne_u64_e64 s[36:37], 0, v[8:9]
	s_and_b64 s[36:37], s[36:37], s[34:35]
	; wave barrier
	s_and_saveexec_b64 s[34:35], s[36:37]
	s_cbranch_execz .LBB1465_41
; %bb.40:
	v_bcnt_u32_b32 v8, v8, 0
	v_bcnt_u32_b32 v8, v9, v8
	s_waitcnt lgkmcnt(0)
	v_add_u32_e32 v8, v34, v8
	ds_write_b32 v40, v8 offset:64
.LBB1465_41:
	s_or_b64 exec, exec, s[34:35]
	v_lshrrev_b32_e32 v8, s64, v16
	v_and_b32_e32 v39, s68, v8
	v_mul_lo_u32 v8, v39, s38
	v_lshl_add_u32 v43, v38, 2, v8
	v_and_b32_e32 v8, 1, v39
	v_mov_b32_e32 v9, 0
	v_lshl_add_u64 v[10:11], v[8:9], 0, -1
	v_cmp_ne_u32_e64 s[34:35], 0, v8
	; wave barrier
	s_nop 1
	v_xor_b32_e32 v10, s34, v10
	v_xor_b32_e32 v8, s35, v11
	v_and_b32_e32 v41, exec_lo, v10
	v_lshlrev_b32_e32 v11, 30, v39
	v_mov_b32_e32 v10, v9
	v_cmp_gt_i64_e64 s[34:35], 0, v[10:11]
	v_not_b32_e32 v10, v11
	v_ashrrev_i32_e32 v10, 31, v10
	v_and_b32_e32 v8, exec_hi, v8
	v_xor_b32_e32 v11, s35, v10
	v_xor_b32_e32 v10, s34, v10
	v_and_b32_e32 v8, v8, v11
	v_and_b32_e32 v41, v41, v10
	v_lshlrev_b32_e32 v11, 29, v39
	v_mov_b32_e32 v10, v9
	v_cmp_gt_i64_e64 s[34:35], 0, v[10:11]
	v_not_b32_e32 v10, v11
	v_ashrrev_i32_e32 v10, 31, v10
	v_xor_b32_e32 v11, s35, v10
	v_xor_b32_e32 v10, s34, v10
	v_and_b32_e32 v8, v8, v11
	v_and_b32_e32 v41, v41, v10
	v_lshlrev_b32_e32 v11, 28, v39
	v_mov_b32_e32 v10, v9
	v_cmp_gt_i64_e64 s[34:35], 0, v[10:11]
	v_not_b32_e32 v10, v11
	v_ashrrev_i32_e32 v10, 31, v10
	;; [unrolled: 9-line block ×6, first 2 shown]
	v_xor_b32_e32 v11, s35, v10
	v_xor_b32_e32 v10, s34, v10
	ds_read_b32 v37, v43 offset:64
	v_and_b32_e32 v10, v41, v10
	v_and_b32_e32 v11, v8, v11
	v_mbcnt_lo_u32_b32 v8, v10, 0
	v_mbcnt_hi_u32_b32 v39, v11, v8
	v_cmp_eq_u32_e64 s[34:35], 0, v39
	v_cmp_ne_u64_e64 s[36:37], 0, v[10:11]
	s_and_b64 s[36:37], s[36:37], s[34:35]
	; wave barrier
	s_and_saveexec_b64 s[34:35], s[36:37]
	s_cbranch_execz .LBB1465_43
; %bb.42:
	v_bcnt_u32_b32 v8, v10, 0
	v_bcnt_u32_b32 v8, v11, v8
	s_waitcnt lgkmcnt(0)
	v_add_u32_e32 v8, v37, v8
	ds_write_b32 v43, v8 offset:64
.LBB1465_43:
	s_or_b64 exec, exec, s[34:35]
	v_lshrrev_b32_e32 v8, s64, v15
	v_and_b32_e32 v42, s68, v8
	v_mul_lo_u32 v8, v42, s38
	v_lshl_add_u32 v45, v38, 2, v8
	v_and_b32_e32 v8, 1, v42
	v_lshl_add_u64 v[10:11], v[8:9], 0, -1
	v_cmp_ne_u32_e64 s[34:35], 0, v8
	; wave barrier
	s_nop 1
	v_xor_b32_e32 v10, s34, v10
	v_xor_b32_e32 v8, s35, v11
	v_and_b32_e32 v44, exec_lo, v10
	v_lshlrev_b32_e32 v11, 30, v42
	v_mov_b32_e32 v10, v9
	v_cmp_gt_i64_e64 s[34:35], 0, v[10:11]
	v_not_b32_e32 v10, v11
	v_ashrrev_i32_e32 v10, 31, v10
	v_and_b32_e32 v8, exec_hi, v8
	v_xor_b32_e32 v11, s35, v10
	v_xor_b32_e32 v10, s34, v10
	v_and_b32_e32 v8, v8, v11
	v_and_b32_e32 v44, v44, v10
	v_lshlrev_b32_e32 v11, 29, v42
	v_mov_b32_e32 v10, v9
	v_cmp_gt_i64_e64 s[34:35], 0, v[10:11]
	v_not_b32_e32 v10, v11
	v_ashrrev_i32_e32 v10, 31, v10
	v_xor_b32_e32 v11, s35, v10
	v_xor_b32_e32 v10, s34, v10
	v_and_b32_e32 v8, v8, v11
	v_and_b32_e32 v44, v44, v10
	v_lshlrev_b32_e32 v11, 28, v42
	v_mov_b32_e32 v10, v9
	v_cmp_gt_i64_e64 s[34:35], 0, v[10:11]
	v_not_b32_e32 v10, v11
	v_ashrrev_i32_e32 v10, 31, v10
	;; [unrolled: 9-line block ×5, first 2 shown]
	v_xor_b32_e32 v11, s35, v10
	v_xor_b32_e32 v10, s34, v10
	v_and_b32_e32 v8, v8, v11
	v_lshlrev_b32_e32 v11, 24, v42
	v_and_b32_e32 v44, v44, v10
	v_mov_b32_e32 v10, v9
	v_not_b32_e32 v9, v11
	v_cmp_gt_i64_e64 s[34:35], 0, v[10:11]
	v_ashrrev_i32_e32 v9, 31, v9
	ds_read_b32 v41, v45 offset:64
	v_xor_b32_e32 v10, s35, v9
	v_xor_b32_e32 v11, s34, v9
	v_and_b32_e32 v9, v8, v10
	v_and_b32_e32 v8, v44, v11
	v_mbcnt_lo_u32_b32 v10, v8, 0
	v_mbcnt_hi_u32_b32 v42, v9, v10
	v_cmp_eq_u32_e64 s[34:35], 0, v42
	v_cmp_ne_u64_e64 s[36:37], 0, v[8:9]
	s_and_b64 s[36:37], s[36:37], s[34:35]
	; wave barrier
	s_and_saveexec_b64 s[34:35], s[36:37]
	s_cbranch_execz .LBB1465_45
; %bb.44:
	v_bcnt_u32_b32 v8, v8, 0
	v_bcnt_u32_b32 v8, v9, v8
	s_waitcnt lgkmcnt(0)
	v_add_u32_e32 v8, v41, v8
	ds_write_b32 v45, v8 offset:64
.LBB1465_45:
	s_or_b64 exec, exec, s[34:35]
	v_lshrrev_b32_e32 v8, s64, v18
	v_and_b32_e32 v46, s68, v8
	v_mul_lo_u32 v8, v46, s38
	v_lshl_add_u32 v48, v38, 2, v8
	v_and_b32_e32 v8, 1, v46
	v_mov_b32_e32 v9, 0
	v_lshl_add_u64 v[10:11], v[8:9], 0, -1
	v_cmp_ne_u32_e64 s[34:35], 0, v8
	; wave barrier
	s_nop 1
	v_xor_b32_e32 v10, s34, v10
	v_xor_b32_e32 v8, s35, v11
	v_and_b32_e32 v47, exec_lo, v10
	v_lshlrev_b32_e32 v11, 30, v46
	v_mov_b32_e32 v10, v9
	v_cmp_gt_i64_e64 s[34:35], 0, v[10:11]
	v_not_b32_e32 v10, v11
	v_ashrrev_i32_e32 v10, 31, v10
	v_and_b32_e32 v8, exec_hi, v8
	v_xor_b32_e32 v11, s35, v10
	v_xor_b32_e32 v10, s34, v10
	v_and_b32_e32 v8, v8, v11
	v_and_b32_e32 v47, v47, v10
	v_lshlrev_b32_e32 v11, 29, v46
	v_mov_b32_e32 v10, v9
	v_cmp_gt_i64_e64 s[34:35], 0, v[10:11]
	v_not_b32_e32 v10, v11
	v_ashrrev_i32_e32 v10, 31, v10
	v_xor_b32_e32 v11, s35, v10
	v_xor_b32_e32 v10, s34, v10
	v_and_b32_e32 v8, v8, v11
	v_and_b32_e32 v47, v47, v10
	v_lshlrev_b32_e32 v11, 28, v46
	v_mov_b32_e32 v10, v9
	v_cmp_gt_i64_e64 s[34:35], 0, v[10:11]
	v_not_b32_e32 v10, v11
	v_ashrrev_i32_e32 v10, 31, v10
	;; [unrolled: 9-line block ×6, first 2 shown]
	v_xor_b32_e32 v11, s35, v10
	v_xor_b32_e32 v10, s34, v10
	ds_read_b32 v44, v48 offset:64
	v_and_b32_e32 v10, v47, v10
	v_and_b32_e32 v11, v8, v11
	v_mbcnt_lo_u32_b32 v8, v10, 0
	v_mbcnt_hi_u32_b32 v46, v11, v8
	v_cmp_eq_u32_e64 s[34:35], 0, v46
	v_cmp_ne_u64_e64 s[36:37], 0, v[10:11]
	s_and_b64 s[36:37], s[36:37], s[34:35]
	; wave barrier
	s_and_saveexec_b64 s[34:35], s[36:37]
	s_cbranch_execz .LBB1465_47
; %bb.46:
	v_bcnt_u32_b32 v8, v10, 0
	v_bcnt_u32_b32 v8, v11, v8
	s_waitcnt lgkmcnt(0)
	v_add_u32_e32 v8, v44, v8
	ds_write_b32 v48, v8 offset:64
.LBB1465_47:
	s_or_b64 exec, exec, s[34:35]
	v_lshrrev_b32_e32 v8, s64, v17
	v_and_b32_e32 v49, s68, v8
	v_mul_lo_u32 v8, v49, s38
	v_lshl_add_u32 v51, v38, 2, v8
	v_and_b32_e32 v8, 1, v49
	v_lshl_add_u64 v[10:11], v[8:9], 0, -1
	v_cmp_ne_u32_e64 s[34:35], 0, v8
	; wave barrier
	s_nop 1
	v_xor_b32_e32 v10, s34, v10
	v_xor_b32_e32 v8, s35, v11
	v_and_b32_e32 v50, exec_lo, v10
	v_lshlrev_b32_e32 v11, 30, v49
	v_mov_b32_e32 v10, v9
	v_cmp_gt_i64_e64 s[34:35], 0, v[10:11]
	v_not_b32_e32 v10, v11
	v_ashrrev_i32_e32 v10, 31, v10
	v_and_b32_e32 v8, exec_hi, v8
	v_xor_b32_e32 v11, s35, v10
	v_xor_b32_e32 v10, s34, v10
	v_and_b32_e32 v8, v8, v11
	v_and_b32_e32 v50, v50, v10
	v_lshlrev_b32_e32 v11, 29, v49
	v_mov_b32_e32 v10, v9
	v_cmp_gt_i64_e64 s[34:35], 0, v[10:11]
	v_not_b32_e32 v10, v11
	v_ashrrev_i32_e32 v10, 31, v10
	v_xor_b32_e32 v11, s35, v10
	v_xor_b32_e32 v10, s34, v10
	v_and_b32_e32 v8, v8, v11
	v_and_b32_e32 v50, v50, v10
	v_lshlrev_b32_e32 v11, 28, v49
	v_mov_b32_e32 v10, v9
	v_cmp_gt_i64_e64 s[34:35], 0, v[10:11]
	v_not_b32_e32 v10, v11
	v_ashrrev_i32_e32 v10, 31, v10
	;; [unrolled: 9-line block ×5, first 2 shown]
	v_xor_b32_e32 v11, s35, v10
	v_xor_b32_e32 v10, s34, v10
	v_and_b32_e32 v8, v8, v11
	v_lshlrev_b32_e32 v11, 24, v49
	v_and_b32_e32 v50, v50, v10
	v_mov_b32_e32 v10, v9
	v_not_b32_e32 v9, v11
	v_cmp_gt_i64_e64 s[34:35], 0, v[10:11]
	v_ashrrev_i32_e32 v9, 31, v9
	ds_read_b32 v47, v51 offset:64
	v_xor_b32_e32 v10, s35, v9
	v_xor_b32_e32 v11, s34, v9
	v_and_b32_e32 v9, v8, v10
	v_and_b32_e32 v8, v50, v11
	v_mbcnt_lo_u32_b32 v10, v8, 0
	v_mbcnt_hi_u32_b32 v49, v9, v10
	v_cmp_eq_u32_e64 s[34:35], 0, v49
	v_cmp_ne_u64_e64 s[36:37], 0, v[8:9]
	s_and_b64 s[36:37], s[36:37], s[34:35]
	; wave barrier
	s_and_saveexec_b64 s[34:35], s[36:37]
	s_cbranch_execz .LBB1465_49
; %bb.48:
	v_bcnt_u32_b32 v8, v8, 0
	v_bcnt_u32_b32 v8, v9, v8
	s_waitcnt lgkmcnt(0)
	v_add_u32_e32 v8, v47, v8
	ds_write_b32 v51, v8 offset:64
.LBB1465_49:
	s_or_b64 exec, exec, s[34:35]
	v_lshrrev_b32_e32 v8, s64, v20
	v_and_b32_e32 v52, s68, v8
	v_mul_lo_u32 v8, v52, s38
	v_lshl_add_u32 v54, v38, 2, v8
	v_and_b32_e32 v8, 1, v52
	v_mov_b32_e32 v9, 0
	v_lshl_add_u64 v[10:11], v[8:9], 0, -1
	v_cmp_ne_u32_e64 s[34:35], 0, v8
	; wave barrier
	s_nop 1
	v_xor_b32_e32 v10, s34, v10
	v_xor_b32_e32 v8, s35, v11
	v_and_b32_e32 v53, exec_lo, v10
	v_lshlrev_b32_e32 v11, 30, v52
	v_mov_b32_e32 v10, v9
	v_cmp_gt_i64_e64 s[34:35], 0, v[10:11]
	v_not_b32_e32 v10, v11
	v_ashrrev_i32_e32 v10, 31, v10
	v_and_b32_e32 v8, exec_hi, v8
	v_xor_b32_e32 v11, s35, v10
	v_xor_b32_e32 v10, s34, v10
	v_and_b32_e32 v8, v8, v11
	v_and_b32_e32 v53, v53, v10
	v_lshlrev_b32_e32 v11, 29, v52
	v_mov_b32_e32 v10, v9
	v_cmp_gt_i64_e64 s[34:35], 0, v[10:11]
	v_not_b32_e32 v10, v11
	v_ashrrev_i32_e32 v10, 31, v10
	v_xor_b32_e32 v11, s35, v10
	v_xor_b32_e32 v10, s34, v10
	v_and_b32_e32 v8, v8, v11
	v_and_b32_e32 v53, v53, v10
	v_lshlrev_b32_e32 v11, 28, v52
	v_mov_b32_e32 v10, v9
	v_cmp_gt_i64_e64 s[34:35], 0, v[10:11]
	v_not_b32_e32 v10, v11
	v_ashrrev_i32_e32 v10, 31, v10
	;; [unrolled: 9-line block ×6, first 2 shown]
	v_xor_b32_e32 v11, s35, v10
	v_xor_b32_e32 v10, s34, v10
	ds_read_b32 v50, v54 offset:64
	v_and_b32_e32 v10, v53, v10
	v_and_b32_e32 v11, v8, v11
	v_mbcnt_lo_u32_b32 v8, v10, 0
	v_mbcnt_hi_u32_b32 v52, v11, v8
	v_cmp_eq_u32_e64 s[34:35], 0, v52
	v_cmp_ne_u64_e64 s[36:37], 0, v[10:11]
	s_and_b64 s[36:37], s[36:37], s[34:35]
	; wave barrier
	s_and_saveexec_b64 s[34:35], s[36:37]
	s_cbranch_execz .LBB1465_51
; %bb.50:
	v_bcnt_u32_b32 v8, v10, 0
	v_bcnt_u32_b32 v8, v11, v8
	s_waitcnt lgkmcnt(0)
	v_add_u32_e32 v8, v50, v8
	ds_write_b32 v54, v8 offset:64
.LBB1465_51:
	s_or_b64 exec, exec, s[34:35]
	v_lshrrev_b32_e32 v8, s64, v19
	v_and_b32_e32 v55, s68, v8
	v_mul_lo_u32 v8, v55, s38
	v_lshl_add_u32 v57, v38, 2, v8
	v_and_b32_e32 v8, 1, v55
	v_lshl_add_u64 v[10:11], v[8:9], 0, -1
	v_cmp_ne_u32_e64 s[34:35], 0, v8
	; wave barrier
	s_nop 1
	v_xor_b32_e32 v10, s34, v10
	v_xor_b32_e32 v8, s35, v11
	v_and_b32_e32 v56, exec_lo, v10
	v_lshlrev_b32_e32 v11, 30, v55
	v_mov_b32_e32 v10, v9
	v_cmp_gt_i64_e64 s[34:35], 0, v[10:11]
	v_not_b32_e32 v10, v11
	v_ashrrev_i32_e32 v10, 31, v10
	v_and_b32_e32 v8, exec_hi, v8
	v_xor_b32_e32 v11, s35, v10
	v_xor_b32_e32 v10, s34, v10
	v_and_b32_e32 v8, v8, v11
	v_and_b32_e32 v56, v56, v10
	v_lshlrev_b32_e32 v11, 29, v55
	v_mov_b32_e32 v10, v9
	v_cmp_gt_i64_e64 s[34:35], 0, v[10:11]
	v_not_b32_e32 v10, v11
	v_ashrrev_i32_e32 v10, 31, v10
	v_xor_b32_e32 v11, s35, v10
	v_xor_b32_e32 v10, s34, v10
	v_and_b32_e32 v8, v8, v11
	v_and_b32_e32 v56, v56, v10
	v_lshlrev_b32_e32 v11, 28, v55
	v_mov_b32_e32 v10, v9
	v_cmp_gt_i64_e64 s[34:35], 0, v[10:11]
	v_not_b32_e32 v10, v11
	v_ashrrev_i32_e32 v10, 31, v10
	;; [unrolled: 9-line block ×5, first 2 shown]
	v_xor_b32_e32 v11, s35, v10
	v_xor_b32_e32 v10, s34, v10
	v_and_b32_e32 v8, v8, v11
	v_lshlrev_b32_e32 v11, 24, v55
	v_and_b32_e32 v56, v56, v10
	v_mov_b32_e32 v10, v9
	v_not_b32_e32 v9, v11
	v_cmp_gt_i64_e64 s[34:35], 0, v[10:11]
	v_ashrrev_i32_e32 v9, 31, v9
	ds_read_b32 v53, v57 offset:64
	v_xor_b32_e32 v10, s35, v9
	v_xor_b32_e32 v11, s34, v9
	v_and_b32_e32 v9, v8, v10
	v_and_b32_e32 v8, v56, v11
	v_mbcnt_lo_u32_b32 v10, v8, 0
	v_mbcnt_hi_u32_b32 v55, v9, v10
	v_cmp_eq_u32_e64 s[34:35], 0, v55
	v_cmp_ne_u64_e64 s[36:37], 0, v[8:9]
	s_and_b64 s[36:37], s[36:37], s[34:35]
	; wave barrier
	s_and_saveexec_b64 s[34:35], s[36:37]
	s_cbranch_execz .LBB1465_53
; %bb.52:
	v_bcnt_u32_b32 v8, v8, 0
	v_bcnt_u32_b32 v8, v9, v8
	s_waitcnt lgkmcnt(0)
	v_add_u32_e32 v8, v53, v8
	ds_write_b32 v57, v8 offset:64
.LBB1465_53:
	s_or_b64 exec, exec, s[34:35]
	v_lshrrev_b32_e32 v8, s64, v22
	v_and_b32_e32 v58, s68, v8
	v_mul_lo_u32 v8, v58, s38
	v_lshl_add_u32 v60, v38, 2, v8
	v_and_b32_e32 v8, 1, v58
	v_mov_b32_e32 v9, 0
	v_lshl_add_u64 v[10:11], v[8:9], 0, -1
	v_cmp_ne_u32_e64 s[34:35], 0, v8
	; wave barrier
	s_nop 1
	v_xor_b32_e32 v10, s34, v10
	v_xor_b32_e32 v8, s35, v11
	v_and_b32_e32 v59, exec_lo, v10
	v_lshlrev_b32_e32 v11, 30, v58
	v_mov_b32_e32 v10, v9
	v_cmp_gt_i64_e64 s[34:35], 0, v[10:11]
	v_not_b32_e32 v10, v11
	v_ashrrev_i32_e32 v10, 31, v10
	v_and_b32_e32 v8, exec_hi, v8
	v_xor_b32_e32 v11, s35, v10
	v_xor_b32_e32 v10, s34, v10
	v_and_b32_e32 v8, v8, v11
	v_and_b32_e32 v59, v59, v10
	v_lshlrev_b32_e32 v11, 29, v58
	v_mov_b32_e32 v10, v9
	v_cmp_gt_i64_e64 s[34:35], 0, v[10:11]
	v_not_b32_e32 v10, v11
	v_ashrrev_i32_e32 v10, 31, v10
	v_xor_b32_e32 v11, s35, v10
	v_xor_b32_e32 v10, s34, v10
	v_and_b32_e32 v8, v8, v11
	v_and_b32_e32 v59, v59, v10
	v_lshlrev_b32_e32 v11, 28, v58
	v_mov_b32_e32 v10, v9
	v_cmp_gt_i64_e64 s[34:35], 0, v[10:11]
	v_not_b32_e32 v10, v11
	v_ashrrev_i32_e32 v10, 31, v10
	;; [unrolled: 9-line block ×6, first 2 shown]
	v_xor_b32_e32 v11, s35, v10
	v_xor_b32_e32 v10, s34, v10
	ds_read_b32 v56, v60 offset:64
	v_and_b32_e32 v10, v59, v10
	v_and_b32_e32 v11, v8, v11
	v_mbcnt_lo_u32_b32 v8, v10, 0
	v_mbcnt_hi_u32_b32 v58, v11, v8
	v_cmp_eq_u32_e64 s[34:35], 0, v58
	v_cmp_ne_u64_e64 s[36:37], 0, v[10:11]
	s_and_b64 s[36:37], s[36:37], s[34:35]
	; wave barrier
	s_and_saveexec_b64 s[34:35], s[36:37]
	s_cbranch_execz .LBB1465_55
; %bb.54:
	v_bcnt_u32_b32 v8, v10, 0
	v_bcnt_u32_b32 v8, v11, v8
	s_waitcnt lgkmcnt(0)
	v_add_u32_e32 v8, v56, v8
	ds_write_b32 v60, v8 offset:64
.LBB1465_55:
	s_or_b64 exec, exec, s[34:35]
	v_lshrrev_b32_e32 v8, s64, v21
	v_and_b32_e32 v61, s68, v8
	v_mul_lo_u32 v8, v61, s38
	v_lshl_add_u32 v63, v38, 2, v8
	v_and_b32_e32 v8, 1, v61
	v_lshl_add_u64 v[10:11], v[8:9], 0, -1
	v_cmp_ne_u32_e64 s[34:35], 0, v8
	; wave barrier
	s_nop 1
	v_xor_b32_e32 v10, s34, v10
	v_xor_b32_e32 v8, s35, v11
	v_and_b32_e32 v62, exec_lo, v10
	v_lshlrev_b32_e32 v11, 30, v61
	v_mov_b32_e32 v10, v9
	v_cmp_gt_i64_e64 s[34:35], 0, v[10:11]
	v_not_b32_e32 v10, v11
	v_ashrrev_i32_e32 v10, 31, v10
	v_and_b32_e32 v8, exec_hi, v8
	v_xor_b32_e32 v11, s35, v10
	v_xor_b32_e32 v10, s34, v10
	v_and_b32_e32 v8, v8, v11
	v_and_b32_e32 v62, v62, v10
	v_lshlrev_b32_e32 v11, 29, v61
	v_mov_b32_e32 v10, v9
	v_cmp_gt_i64_e64 s[34:35], 0, v[10:11]
	v_not_b32_e32 v10, v11
	v_ashrrev_i32_e32 v10, 31, v10
	v_xor_b32_e32 v11, s35, v10
	v_xor_b32_e32 v10, s34, v10
	v_and_b32_e32 v8, v8, v11
	v_and_b32_e32 v62, v62, v10
	v_lshlrev_b32_e32 v11, 28, v61
	v_mov_b32_e32 v10, v9
	v_cmp_gt_i64_e64 s[34:35], 0, v[10:11]
	v_not_b32_e32 v10, v11
	v_ashrrev_i32_e32 v10, 31, v10
	;; [unrolled: 9-line block ×5, first 2 shown]
	v_xor_b32_e32 v11, s35, v10
	v_xor_b32_e32 v10, s34, v10
	v_and_b32_e32 v8, v8, v11
	v_lshlrev_b32_e32 v11, 24, v61
	v_and_b32_e32 v62, v62, v10
	v_mov_b32_e32 v10, v9
	v_not_b32_e32 v9, v11
	v_cmp_gt_i64_e64 s[34:35], 0, v[10:11]
	v_ashrrev_i32_e32 v9, 31, v9
	ds_read_b32 v59, v63 offset:64
	v_xor_b32_e32 v10, s35, v9
	v_xor_b32_e32 v11, s34, v9
	v_and_b32_e32 v9, v8, v10
	v_and_b32_e32 v8, v62, v11
	v_mbcnt_lo_u32_b32 v10, v8, 0
	v_mbcnt_hi_u32_b32 v61, v9, v10
	v_cmp_eq_u32_e64 s[34:35], 0, v61
	v_cmp_ne_u64_e64 s[36:37], 0, v[8:9]
	s_and_b64 s[36:37], s[36:37], s[34:35]
	; wave barrier
	s_and_saveexec_b64 s[34:35], s[36:37]
	s_cbranch_execz .LBB1465_57
; %bb.56:
	v_bcnt_u32_b32 v8, v8, 0
	v_bcnt_u32_b32 v8, v9, v8
	s_waitcnt lgkmcnt(0)
	v_add_u32_e32 v8, v59, v8
	ds_write_b32 v63, v8 offset:64
.LBB1465_57:
	s_or_b64 exec, exec, s[34:35]
	v_lshrrev_b32_e32 v8, s64, v24
	v_and_b32_e32 v64, s68, v8
	v_mul_lo_u32 v8, v64, s38
	v_lshl_add_u32 v66, v38, 2, v8
	v_and_b32_e32 v8, 1, v64
	v_mov_b32_e32 v9, 0
	v_lshl_add_u64 v[10:11], v[8:9], 0, -1
	v_cmp_ne_u32_e64 s[34:35], 0, v8
	; wave barrier
	s_nop 1
	v_xor_b32_e32 v10, s34, v10
	v_xor_b32_e32 v8, s35, v11
	v_and_b32_e32 v65, exec_lo, v10
	v_lshlrev_b32_e32 v11, 30, v64
	v_mov_b32_e32 v10, v9
	v_cmp_gt_i64_e64 s[34:35], 0, v[10:11]
	v_not_b32_e32 v10, v11
	v_ashrrev_i32_e32 v10, 31, v10
	v_and_b32_e32 v8, exec_hi, v8
	v_xor_b32_e32 v11, s35, v10
	v_xor_b32_e32 v10, s34, v10
	v_and_b32_e32 v8, v8, v11
	v_and_b32_e32 v65, v65, v10
	v_lshlrev_b32_e32 v11, 29, v64
	v_mov_b32_e32 v10, v9
	v_cmp_gt_i64_e64 s[34:35], 0, v[10:11]
	v_not_b32_e32 v10, v11
	v_ashrrev_i32_e32 v10, 31, v10
	v_xor_b32_e32 v11, s35, v10
	v_xor_b32_e32 v10, s34, v10
	v_and_b32_e32 v8, v8, v11
	v_and_b32_e32 v65, v65, v10
	v_lshlrev_b32_e32 v11, 28, v64
	v_mov_b32_e32 v10, v9
	v_cmp_gt_i64_e64 s[34:35], 0, v[10:11]
	v_not_b32_e32 v10, v11
	v_ashrrev_i32_e32 v10, 31, v10
	;; [unrolled: 9-line block ×6, first 2 shown]
	v_xor_b32_e32 v11, s35, v10
	v_xor_b32_e32 v10, s34, v10
	ds_read_b32 v62, v66 offset:64
	v_and_b32_e32 v10, v65, v10
	v_and_b32_e32 v11, v8, v11
	v_mbcnt_lo_u32_b32 v8, v10, 0
	v_mbcnt_hi_u32_b32 v64, v11, v8
	v_cmp_eq_u32_e64 s[34:35], 0, v64
	v_cmp_ne_u64_e64 s[36:37], 0, v[10:11]
	s_and_b64 s[36:37], s[36:37], s[34:35]
	; wave barrier
	s_and_saveexec_b64 s[34:35], s[36:37]
	s_cbranch_execz .LBB1465_59
; %bb.58:
	v_bcnt_u32_b32 v8, v10, 0
	v_bcnt_u32_b32 v8, v11, v8
	s_waitcnt lgkmcnt(0)
	v_add_u32_e32 v8, v62, v8
	ds_write_b32 v66, v8 offset:64
.LBB1465_59:
	s_or_b64 exec, exec, s[34:35]
	v_lshrrev_b32_e32 v8, s64, v23
	v_and_b32_e32 v67, s68, v8
	v_mul_lo_u32 v8, v67, s38
	v_lshl_add_u32 v69, v38, 2, v8
	v_and_b32_e32 v8, 1, v67
	v_lshl_add_u64 v[10:11], v[8:9], 0, -1
	v_cmp_ne_u32_e64 s[34:35], 0, v8
	; wave barrier
	s_nop 1
	v_xor_b32_e32 v10, s34, v10
	v_xor_b32_e32 v8, s35, v11
	v_and_b32_e32 v68, exec_lo, v10
	v_lshlrev_b32_e32 v11, 30, v67
	v_mov_b32_e32 v10, v9
	v_cmp_gt_i64_e64 s[34:35], 0, v[10:11]
	v_not_b32_e32 v10, v11
	v_ashrrev_i32_e32 v10, 31, v10
	v_and_b32_e32 v8, exec_hi, v8
	v_xor_b32_e32 v11, s35, v10
	v_xor_b32_e32 v10, s34, v10
	v_and_b32_e32 v8, v8, v11
	v_and_b32_e32 v68, v68, v10
	v_lshlrev_b32_e32 v11, 29, v67
	v_mov_b32_e32 v10, v9
	v_cmp_gt_i64_e64 s[34:35], 0, v[10:11]
	v_not_b32_e32 v10, v11
	v_ashrrev_i32_e32 v10, 31, v10
	v_xor_b32_e32 v11, s35, v10
	v_xor_b32_e32 v10, s34, v10
	v_and_b32_e32 v8, v8, v11
	v_and_b32_e32 v68, v68, v10
	v_lshlrev_b32_e32 v11, 28, v67
	v_mov_b32_e32 v10, v9
	v_cmp_gt_i64_e64 s[34:35], 0, v[10:11]
	v_not_b32_e32 v10, v11
	v_ashrrev_i32_e32 v10, 31, v10
	;; [unrolled: 9-line block ×5, first 2 shown]
	v_xor_b32_e32 v11, s35, v10
	v_xor_b32_e32 v10, s34, v10
	v_and_b32_e32 v8, v8, v11
	v_lshlrev_b32_e32 v11, 24, v67
	v_and_b32_e32 v68, v68, v10
	v_mov_b32_e32 v10, v9
	v_not_b32_e32 v9, v11
	v_cmp_gt_i64_e64 s[34:35], 0, v[10:11]
	v_ashrrev_i32_e32 v9, 31, v9
	ds_read_b32 v65, v69 offset:64
	v_xor_b32_e32 v10, s35, v9
	v_xor_b32_e32 v11, s34, v9
	v_and_b32_e32 v9, v8, v10
	v_and_b32_e32 v8, v68, v11
	v_mbcnt_lo_u32_b32 v10, v8, 0
	v_mbcnt_hi_u32_b32 v67, v9, v10
	v_cmp_eq_u32_e64 s[34:35], 0, v67
	v_cmp_ne_u64_e64 s[36:37], 0, v[8:9]
	s_and_b64 s[36:37], s[36:37], s[34:35]
	; wave barrier
	s_and_saveexec_b64 s[34:35], s[36:37]
	s_cbranch_execz .LBB1465_61
; %bb.60:
	v_bcnt_u32_b32 v8, v8, 0
	v_bcnt_u32_b32 v8, v9, v8
	s_waitcnt lgkmcnt(0)
	v_add_u32_e32 v8, v65, v8
	ds_write_b32 v69, v8 offset:64
.LBB1465_61:
	s_or_b64 exec, exec, s[34:35]
	v_lshrrev_b32_e32 v8, s64, v26
	v_and_b32_e32 v70, s68, v8
	v_mul_lo_u32 v8, v70, s38
	v_lshl_add_u32 v72, v38, 2, v8
	v_and_b32_e32 v8, 1, v70
	v_mov_b32_e32 v9, 0
	v_lshl_add_u64 v[10:11], v[8:9], 0, -1
	v_cmp_ne_u32_e64 s[34:35], 0, v8
	; wave barrier
	s_nop 1
	v_xor_b32_e32 v10, s34, v10
	v_xor_b32_e32 v8, s35, v11
	v_and_b32_e32 v71, exec_lo, v10
	v_lshlrev_b32_e32 v11, 30, v70
	v_mov_b32_e32 v10, v9
	v_cmp_gt_i64_e64 s[34:35], 0, v[10:11]
	v_not_b32_e32 v10, v11
	v_ashrrev_i32_e32 v10, 31, v10
	v_and_b32_e32 v8, exec_hi, v8
	v_xor_b32_e32 v11, s35, v10
	v_xor_b32_e32 v10, s34, v10
	v_and_b32_e32 v8, v8, v11
	v_and_b32_e32 v71, v71, v10
	v_lshlrev_b32_e32 v11, 29, v70
	v_mov_b32_e32 v10, v9
	v_cmp_gt_i64_e64 s[34:35], 0, v[10:11]
	v_not_b32_e32 v10, v11
	v_ashrrev_i32_e32 v10, 31, v10
	v_xor_b32_e32 v11, s35, v10
	v_xor_b32_e32 v10, s34, v10
	v_and_b32_e32 v8, v8, v11
	v_and_b32_e32 v71, v71, v10
	v_lshlrev_b32_e32 v11, 28, v70
	v_mov_b32_e32 v10, v9
	v_cmp_gt_i64_e64 s[34:35], 0, v[10:11]
	v_not_b32_e32 v10, v11
	v_ashrrev_i32_e32 v10, 31, v10
	;; [unrolled: 9-line block ×6, first 2 shown]
	v_xor_b32_e32 v11, s35, v10
	v_xor_b32_e32 v10, s34, v10
	ds_read_b32 v68, v72 offset:64
	v_and_b32_e32 v10, v71, v10
	v_and_b32_e32 v11, v8, v11
	v_mbcnt_lo_u32_b32 v8, v10, 0
	v_mbcnt_hi_u32_b32 v70, v11, v8
	v_cmp_eq_u32_e64 s[34:35], 0, v70
	v_cmp_ne_u64_e64 s[36:37], 0, v[10:11]
	s_and_b64 s[36:37], s[36:37], s[34:35]
	; wave barrier
	s_and_saveexec_b64 s[34:35], s[36:37]
	s_cbranch_execz .LBB1465_63
; %bb.62:
	v_bcnt_u32_b32 v8, v10, 0
	v_bcnt_u32_b32 v8, v11, v8
	s_waitcnt lgkmcnt(0)
	v_add_u32_e32 v8, v68, v8
	ds_write_b32 v72, v8 offset:64
.LBB1465_63:
	s_or_b64 exec, exec, s[34:35]
	v_lshrrev_b32_e32 v8, s64, v25
	v_and_b32_e32 v73, s68, v8
	v_mul_lo_u32 v8, v73, s38
	v_lshl_add_u32 v74, v38, 2, v8
	v_and_b32_e32 v8, 1, v73
	v_lshl_add_u64 v[10:11], v[8:9], 0, -1
	v_cmp_ne_u32_e64 s[34:35], 0, v8
	; wave barrier
	s_nop 1
	v_xor_b32_e32 v10, s34, v10
	v_xor_b32_e32 v8, s35, v11
	v_and_b32_e32 v38, exec_lo, v10
	v_lshlrev_b32_e32 v11, 30, v73
	v_mov_b32_e32 v10, v9
	v_cmp_gt_i64_e64 s[34:35], 0, v[10:11]
	v_not_b32_e32 v10, v11
	v_ashrrev_i32_e32 v10, 31, v10
	v_and_b32_e32 v8, exec_hi, v8
	v_xor_b32_e32 v11, s35, v10
	v_xor_b32_e32 v10, s34, v10
	v_and_b32_e32 v8, v8, v11
	v_and_b32_e32 v38, v38, v10
	v_lshlrev_b32_e32 v11, 29, v73
	v_mov_b32_e32 v10, v9
	v_cmp_gt_i64_e64 s[34:35], 0, v[10:11]
	v_not_b32_e32 v10, v11
	v_ashrrev_i32_e32 v10, 31, v10
	v_xor_b32_e32 v11, s35, v10
	v_xor_b32_e32 v10, s34, v10
	v_and_b32_e32 v8, v8, v11
	v_and_b32_e32 v38, v38, v10
	v_lshlrev_b32_e32 v11, 28, v73
	v_mov_b32_e32 v10, v9
	v_cmp_gt_i64_e64 s[34:35], 0, v[10:11]
	v_not_b32_e32 v10, v11
	v_ashrrev_i32_e32 v10, 31, v10
	;; [unrolled: 9-line block ×5, first 2 shown]
	v_xor_b32_e32 v11, s35, v10
	v_xor_b32_e32 v10, s34, v10
	v_and_b32_e32 v8, v8, v11
	v_lshlrev_b32_e32 v11, 24, v73
	v_and_b32_e32 v38, v38, v10
	v_mov_b32_e32 v10, v9
	v_not_b32_e32 v9, v11
	v_cmp_gt_i64_e64 s[34:35], 0, v[10:11]
	v_ashrrev_i32_e32 v9, 31, v9
	ds_read_b32 v71, v74 offset:64
	v_xor_b32_e32 v10, s35, v9
	v_xor_b32_e32 v11, s34, v9
	v_and_b32_e32 v9, v8, v10
	v_and_b32_e32 v8, v38, v11
	v_mbcnt_lo_u32_b32 v10, v8, 0
	v_mbcnt_hi_u32_b32 v73, v9, v10
	v_cmp_eq_u32_e64 s[34:35], 0, v73
	v_cmp_ne_u64_e64 s[36:37], 0, v[8:9]
	s_and_b64 s[36:37], s[36:37], s[34:35]
	; wave barrier
	s_and_saveexec_b64 s[34:35], s[36:37]
	s_cbranch_execz .LBB1465_65
; %bb.64:
	v_bcnt_u32_b32 v8, v8, 0
	v_bcnt_u32_b32 v8, v9, v8
	s_waitcnt lgkmcnt(0)
	v_add_u32_e32 v8, v71, v8
	ds_write_b32 v74, v8 offset:64
.LBB1465_65:
	s_or_b64 exec, exec, s[34:35]
	; wave barrier
	s_waitcnt lgkmcnt(0)
	s_barrier
	ds_read2_b32 v[10:11], v13 offset0:16 offset1:17
	ds_read2_b32 v[8:9], v13 offset0:18 offset1:19
	ds_read_b32 v38, v13 offset:80
	v_cmp_lt_u32_e64 s[44:45], 31, v12
	s_waitcnt lgkmcnt(1)
	v_add3_u32 v75, v11, v10, v8
	s_waitcnt lgkmcnt(0)
	v_add3_u32 v38, v75, v9, v38
	v_and_b32_e32 v75, 15, v12
	v_cmp_eq_u32_e64 s[34:35], 0, v75
	v_mov_b32_dpp v76, v38 row_shr:1 row_mask:0xf bank_mask:0xf
	v_cmp_lt_u32_e64 s[36:37], 1, v75
	v_cndmask_b32_e64 v76, v76, 0, s[34:35]
	v_add_u32_e32 v38, v76, v38
	v_cmp_lt_u32_e64 s[38:39], 3, v75
	v_cmp_lt_u32_e64 s[40:41], 7, v75
	v_mov_b32_dpp v76, v38 row_shr:2 row_mask:0xf bank_mask:0xf
	v_cndmask_b32_e64 v76, 0, v76, s[36:37]
	v_add_u32_e32 v38, v38, v76
	s_nop 1
	v_mov_b32_dpp v76, v38 row_shr:4 row_mask:0xf bank_mask:0xf
	v_cndmask_b32_e64 v76, 0, v76, s[38:39]
	v_add_u32_e32 v38, v38, v76
	s_nop 1
	v_mov_b32_dpp v76, v38 row_shr:8 row_mask:0xf bank_mask:0xf
	v_cndmask_b32_e64 v75, 0, v76, s[40:41]
	v_add_u32_e32 v38, v38, v75
	v_bfe_i32 v76, v12, 4, 1
	s_nop 0
	v_mov_b32_dpp v75, v38 row_bcast:15 row_mask:0xf bank_mask:0xf
	v_and_b32_e32 v75, v76, v75
	v_add_u32_e32 v38, v38, v75
	v_lshrrev_b32_e32 v76, 6, v2
	s_nop 0
	v_mov_b32_dpp v75, v38 row_bcast:31 row_mask:0xf bank_mask:0xf
	v_cndmask_b32_e64 v75, 0, v75, s[44:45]
	v_add_u32_e32 v75, v38, v75
	v_and_b32_e32 v38, 63, v2
	v_cmp_eq_u32_e64 s[44:45], 63, v38
	s_and_saveexec_b64 s[46:47], s[44:45]
; %bb.66:
	v_lshlrev_b32_e32 v38, 2, v76
	ds_write_b32 v38, v75
; %bb.67:
	s_or_b64 exec, exec, s[46:47]
	v_cmp_gt_u32_e64 s[44:45], 16, v2
	v_lshlrev_b32_e32 v38, 2, v2
	s_waitcnt lgkmcnt(0)
	s_barrier
	s_and_saveexec_b64 s[46:47], s[44:45]
	s_cbranch_execz .LBB1465_69
; %bb.68:
	ds_read_b32 v77, v38
	s_waitcnt lgkmcnt(0)
	s_nop 0
	v_mov_b32_dpp v78, v77 row_shr:1 row_mask:0xf bank_mask:0xf
	v_cndmask_b32_e64 v78, v78, 0, s[34:35]
	v_add_u32_e32 v77, v78, v77
	s_nop 1
	v_mov_b32_dpp v78, v77 row_shr:2 row_mask:0xf bank_mask:0xf
	v_cndmask_b32_e64 v78, 0, v78, s[36:37]
	v_add_u32_e32 v77, v77, v78
	;; [unrolled: 4-line block ×4, first 2 shown]
	ds_write_b32 v38, v77
.LBB1465_69:
	s_or_b64 exec, exec, s[46:47]
	v_cmp_lt_u32_e64 s[34:35], 63, v2
	v_mov_b32_e32 v77, 0
	s_waitcnt lgkmcnt(0)
	s_barrier
	s_and_saveexec_b64 s[36:37], s[34:35]
; %bb.70:
	v_lshl_add_u32 v76, v76, 2, -4
	ds_read_b32 v77, v76
; %bb.71:
	s_or_b64 exec, exec, s[36:37]
	v_subrev_co_u32_e64 v76, s[34:35], 1, v12
	v_and_b32_e32 v78, 64, v12
	v_cmp_lt_i32_e64 s[36:37], v76, v78
	s_waitcnt lgkmcnt(0)
	v_add_u32_e32 v75, v77, v75
	s_movk_i32 s38, 0x100
	v_cndmask_b32_e64 v12, v76, v12, s[36:37]
	v_lshlrev_b32_e32 v12, 2, v12
	ds_bpermute_b32 v12, v12, v75
	v_cmp_gt_u32_e64 s[36:37], s38, v2
	s_waitcnt lgkmcnt(0)
	v_cndmask_b32_e64 v12, v12, v77, s[34:35]
	v_cmp_ne_u32_e64 s[34:35], 0, v2
	s_nop 1
	v_cndmask_b32_e64 v12, 0, v12, s[34:35]
	v_add_u32_e32 v10, v12, v10
	v_add_u32_e32 v11, v10, v11
	;; [unrolled: 1-line block ×4, first 2 shown]
	ds_write2_b32 v13, v12, v10 offset0:16 offset1:17
	ds_write2_b32 v13, v11, v8 offset0:18 offset1:19
	ds_write_b32 v13, v9 offset:80
	s_waitcnt lgkmcnt(0)
	s_barrier
	ds_read_b32 v84, v31 offset:64
	ds_read_b32 v75, v33 offset:64
	;; [unrolled: 1-line block ×16, first 2 shown]
	s_movk_i32 s34, 0xff
	v_cmp_lt_u32_e64 s[34:35], s34, v2
                                        ; implicit-def: $vgpr31
                                        ; implicit-def: $vgpr33
	s_and_saveexec_b64 s[40:41], s[36:37]
	s_cbranch_execz .LBB1465_75
; %bb.72:
	v_mul_u32_u24_e32 v8, 0x44, v2
	ds_read_b32 v31, v8 offset:64
	v_add_u32_e32 v9, 1, v2
	v_cmp_ne_u32_e64 s[38:39], s38, v9
	v_mov_b32_e32 v8, 0x4000
	s_and_saveexec_b64 s[44:45], s[38:39]
; %bb.73:
	v_mul_u32_u24_e32 v8, 0x44, v9
	ds_read_b32 v8, v8 offset:64
; %bb.74:
	s_or_b64 exec, exec, s[44:45]
	s_waitcnt lgkmcnt(0)
	v_sub_u32_e32 v33, v8, v31
.LBB1465_75:
	s_or_b64 exec, exec, s[40:41]
	v_mov_b32_e32 v9, 0
	s_waitcnt lgkmcnt(0)
	s_barrier
	s_and_saveexec_b64 s[38:39], s[36:37]
	s_cbranch_execz .LBB1465_85
; %bb.76:
	v_lshl_add_u32 v8, s2, 8, v2
	v_lshl_add_u64 v[10:11], v[8:9], 2, s[50:51]
	v_or_b32_e32 v8, 2.0, v33
	s_mov_b64 s[40:41], 0
	s_brev_b32 s48, -4
	s_mov_b32 s49, s2
	v_mov_b32_e32 v48, 0
	global_store_dword v[10:11], v8, off sc1
                                        ; implicit-def: $sgpr36_sgpr37
	s_branch .LBB1465_79
.LBB1465_77:                            ;   in Loop: Header=BB1465_79 Depth=1
	s_or_b64 exec, exec, s[46:47]
.LBB1465_78:                            ;   in Loop: Header=BB1465_79 Depth=1
	s_or_b64 exec, exec, s[44:45]
	v_and_b32_e32 v12, 0x3fffffff, v8
	v_add_u32_e32 v48, v12, v48
	v_cmp_gt_i32_e64 s[36:37], -2.0, v8
	s_and_b64 s[44:45], exec, s[36:37]
	s_or_b64 s[40:41], s[44:45], s[40:41]
	s_andn2_b64 exec, exec, s[40:41]
	s_cbranch_execz .LBB1465_84
.LBB1465_79:                            ; =>This Loop Header: Depth=1
                                        ;     Child Loop BB1465_82 Depth 2
	s_or_b64 s[36:37], s[36:37], exec
	s_cmp_eq_u32 s49, 0
	s_cbranch_scc1 .LBB1465_83
; %bb.80:                               ;   in Loop: Header=BB1465_79 Depth=1
	s_add_i32 s49, s49, -1
	v_lshl_or_b32 v8, s49, 8, v2
	v_lshl_add_u64 v[12:13], v[8:9], 2, s[50:51]
	global_load_dword v8, v[12:13], off sc1
	s_waitcnt vmcnt(0)
	v_cmp_gt_u32_e64 s[36:37], 2.0, v8
	s_and_saveexec_b64 s[44:45], s[36:37]
	s_cbranch_execz .LBB1465_78
; %bb.81:                               ;   in Loop: Header=BB1465_79 Depth=1
	s_mov_b64 s[46:47], 0
.LBB1465_82:                            ;   Parent Loop BB1465_79 Depth=1
                                        ; =>  This Inner Loop Header: Depth=2
	global_load_dword v8, v[12:13], off sc1
	s_waitcnt vmcnt(0)
	v_cmp_lt_u32_e64 s[36:37], s48, v8
	s_or_b64 s[46:47], s[36:37], s[46:47]
	s_andn2_b64 exec, exec, s[46:47]
	s_cbranch_execnz .LBB1465_82
	s_branch .LBB1465_77
.LBB1465_83:                            ;   in Loop: Header=BB1465_79 Depth=1
                                        ; implicit-def: $sgpr49
	s_and_b64 s[44:45], exec, s[36:37]
	s_or_b64 s[40:41], s[44:45], s[40:41]
	s_andn2_b64 exec, exec, s[40:41]
	s_cbranch_execnz .LBB1465_79
.LBB1465_84:
	s_or_b64 exec, exec, s[40:41]
	v_add_u32_e32 v8, v48, v33
	v_or_b32_e32 v8, 0x80000000, v8
	global_store_dword v[10:11], v8, off sc1
	global_load_dword v8, v38, s[60:61]
	v_sub_u32_e32 v9, v48, v31
	s_waitcnt vmcnt(0)
	v_add_u32_e32 v8, v9, v8
	ds_write_b32 v38, v8
.LBB1465_85:
	s_or_b64 exec, exec, s[38:39]
	v_add_u32_e32 v10, v84, v28
	v_add3_u32 v8, v29, v27, v75
	v_add3_u32 v9, v32, v30, v76
	;; [unrolled: 1-line block ×15, first 2 shown]
	v_mov_b32_e32 v87, 0x400
	s_movk_i32 s40, 0x400
	v_lshl_add_u32 v11, v11, 2, v87
	v_add3_u32 v12, v73, v43, v71
	v_lshl_add_u32 v13, v13, 2, v87
	v_add3_u32 v28, v70, v36, v68
	;; [unrolled: 2-line block ×15, first 2 shown]
	v_lshl_add_u32 v29, v10, 2, v87
	s_mov_b32 s41, 0
	s_mov_b32 s44, 0
	s_movk_i32 s45, 0x1000
	v_mov_b32_e32 v9, 0
	s_movk_i32 s46, 0x800
	s_movk_i32 s47, 0xc00
	v_mov_b32_e32 v58, v2
	s_mov_b32 s48, 0
	s_branch .LBB1465_87
.LBB1465_86:                            ;   in Loop: Header=BB1465_87 Depth=1
	s_or_b64 exec, exec, s[38:39]
	s_addk_i32 s48, 0xc000
	s_add_i32 s41, s41, 16
	s_addk_i32 s44, 0xf000
	s_cmp_eq_u32 s48, 0xffff0000
	v_add_u32_e32 v58, 0x1000, v58
	s_barrier
	s_cbranch_scc1 .LBB1465_127
.LBB1465_87:                            ; =>This Inner Loop Header: Depth=1
	v_add_u32_e32 v8, s44, v10
	v_cmp_gt_u32_e64 s[36:37], s45, v8
	s_and_saveexec_b64 s[38:39], s[36:37]
; %bb.88:                               ;   in Loop: Header=BB1465_87 Depth=1
	v_add_u32_e32 v8, s48, v29
	ds_write_b32 v8, v5
; %bb.89:                               ;   in Loop: Header=BB1465_87 Depth=1
	s_or_b64 exec, exec, s[38:39]
	v_add_u32_e32 v8, s44, v27
	v_cmp_gt_u32_e64 s[36:37], s45, v8
	s_and_saveexec_b64 s[38:39], s[36:37]
; %bb.90:                               ;   in Loop: Header=BB1465_87 Depth=1
	v_add_u32_e32 v8, s48, v32
	ds_write_b32 v8, v3
; %bb.91:                               ;   in Loop: Header=BB1465_87 Depth=1
	s_or_b64 exec, exec, s[38:39]
	;; [unrolled: 8-line block ×6, first 2 shown]
	v_add_u32_e32 v8, s44, v44
	v_cmp_gt_u32_e64 s[36:37], s45, v8
	s_and_saveexec_b64 s[38:39], s[36:37]
; %bb.100:                              ;   in Loop: Header=BB1465_87 Depth=1
	v_add_u32_e32 v8, s48, v49
	ds_write_b32 v8, v18
; %bb.101:                              ;   in Loop: Header=BB1465_87 Depth=1
	s_or_b64 exec, exec, s[38:39]
	v_add_u32_e32 v8, s44, v47
	v_cmp_gt_u32_e64 s[36:37], s45, v8
	s_and_saveexec_b64 s[38:39], s[36:37]
; %bb.102:                              ;   in Loop: Header=BB1465_87 Depth=1
	v_add_u32_e32 v8, s48, v52
	ds_write_b32 v8, v17
; %bb.103:                              ;   in Loop: Header=BB1465_87 Depth=1
	s_or_b64 exec, exec, s[38:39]
	;; [unrolled: 8-line block ×10, first 2 shown]
	v_cmp_gt_u32_e64 s[36:37], s3, v58
	s_waitcnt lgkmcnt(0)
	s_barrier
	s_and_saveexec_b64 s[38:39], s[36:37]
	s_cbranch_execz .LBB1465_121
; %bb.120:                              ;   in Loop: Header=BB1465_87 Depth=1
	ds_read_b32 v8, v38 offset:1024
	s_waitcnt lgkmcnt(0)
	v_lshrrev_b32_e32 v59, s64, v8
	v_and_b32_e32 v59, s68, v59
	v_lshlrev_b32_e32 v60, 2, v59
	ds_read_b32 v60, v60
	v_xor_b32_e32 v62, 0x80000000, v8
	s_waitcnt lgkmcnt(0)
	v_add_u32_e32 v8, v58, v60
	v_lshl_add_u64 v[60:61], v[8:9], 2, s[54:55]
	global_store_dword v[60:61], v62, off
	scratch_store_dword off, v59, s41
.LBB1465_121:                           ;   in Loop: Header=BB1465_87 Depth=1
	s_or_b64 exec, exec, s[38:39]
	v_add_u32_e32 v8, 0x400, v58
	v_cmp_gt_u32_e64 s[36:37], s3, v8
	s_and_saveexec_b64 s[38:39], s[36:37]
	s_cbranch_execz .LBB1465_123
; %bb.122:                              ;   in Loop: Header=BB1465_87 Depth=1
	ds_read_b32 v8, v38 offset:5120
	s_add_i32 s36, s41, 4
	s_waitcnt lgkmcnt(0)
	v_lshrrev_b32_e32 v59, s64, v8
	v_and_b32_e32 v59, s68, v59
	v_lshlrev_b32_e32 v60, 2, v59
	ds_read_b32 v60, v60
	v_xor_b32_e32 v62, 0x80000000, v8
	s_waitcnt lgkmcnt(0)
	v_add3_u32 v8, v58, v60, s40
	v_lshl_add_u64 v[60:61], v[8:9], 2, s[54:55]
	global_store_dword v[60:61], v62, off
	scratch_store_dword off, v59, s36
.LBB1465_123:                           ;   in Loop: Header=BB1465_87 Depth=1
	s_or_b64 exec, exec, s[38:39]
	v_add_u32_e32 v8, 0x800, v58
	v_cmp_gt_u32_e64 s[36:37], s3, v8
	s_and_saveexec_b64 s[38:39], s[36:37]
	s_cbranch_execz .LBB1465_125
; %bb.124:                              ;   in Loop: Header=BB1465_87 Depth=1
	ds_read_b32 v8, v38 offset:9216
	s_add_i32 s36, s41, 8
	s_waitcnt lgkmcnt(0)
	v_lshrrev_b32_e32 v59, s64, v8
	v_and_b32_e32 v59, s68, v59
	v_lshlrev_b32_e32 v60, 2, v59
	ds_read_b32 v60, v60
	v_xor_b32_e32 v62, 0x80000000, v8
	s_waitcnt lgkmcnt(0)
	v_add3_u32 v8, v58, v60, s46
	v_lshl_add_u64 v[60:61], v[8:9], 2, s[54:55]
	global_store_dword v[60:61], v62, off
	scratch_store_dword off, v59, s36
.LBB1465_125:                           ;   in Loop: Header=BB1465_87 Depth=1
	s_or_b64 exec, exec, s[38:39]
	v_add_u32_e32 v8, 0xc00, v58
	v_cmp_gt_u32_e64 s[36:37], s3, v8
	s_and_saveexec_b64 s[38:39], s[36:37]
	s_cbranch_execz .LBB1465_86
; %bb.126:                              ;   in Loop: Header=BB1465_87 Depth=1
	ds_read_b32 v8, v38 offset:13312
	s_add_i32 s36, s41, 12
	s_waitcnt lgkmcnt(0)
	v_lshrrev_b32_e32 v59, s64, v8
	v_and_b32_e32 v59, s68, v59
	v_lshlrev_b32_e32 v60, 2, v59
	ds_read_b32 v60, v60
	v_xor_b32_e32 v62, 0x80000000, v8
	s_waitcnt lgkmcnt(0)
	v_add3_u32 v8, v58, v60, s47
	v_lshl_add_u64 v[60:61], v[8:9], 2, s[54:55]
	global_store_dword v[60:61], v62, off
	scratch_store_dword off, v59, s36
	s_branch .LBB1465_86
.LBB1465_127:
	s_add_u32 s36, s56, s66
	s_addc_u32 s37, s57, s67
	v_mov_b32_e32 v5, 0
	v_lshl_add_u64 v[8:9], s[36:37], 0, v[4:5]
	v_mov_b32_e32 v7, v5
	v_lshl_add_u64 v[4:5], v[8:9], 0, v[6:7]
                                        ; implicit-def: $vgpr3
	s_and_saveexec_b64 s[36:37], vcc
	s_cbranch_execz .LBB1465_143
; %bb.128:
	global_load_dword v3, v[4:5], off
	s_or_b64 exec, exec, s[36:37]
                                        ; implicit-def: $vgpr6
	s_and_saveexec_b64 s[36:37], s[42:43]
	s_cbranch_execnz .LBB1465_144
.LBB1465_129:
	s_or_b64 exec, exec, s[36:37]
                                        ; implicit-def: $vgpr7
	s_and_saveexec_b64 s[36:37], s[4:5]
	s_cbranch_execz .LBB1465_145
.LBB1465_130:
	global_load_dword v7, v[4:5], off offset:512
	s_or_b64 exec, exec, s[36:37]
                                        ; implicit-def: $vgpr8
	s_and_saveexec_b64 s[4:5], s[6:7]
	s_cbranch_execnz .LBB1465_146
.LBB1465_131:
	s_or_b64 exec, exec, s[4:5]
                                        ; implicit-def: $vgpr9
	s_and_saveexec_b64 s[4:5], s[8:9]
	s_cbranch_execz .LBB1465_147
.LBB1465_132:
	global_load_dword v9, v[4:5], off offset:1024
	s_or_b64 exec, exec, s[4:5]
                                        ; implicit-def: $vgpr14
	s_and_saveexec_b64 s[4:5], s[10:11]
	s_cbranch_execnz .LBB1465_148
.LBB1465_133:
	s_or_b64 exec, exec, s[4:5]
                                        ; implicit-def: $vgpr15
	s_and_saveexec_b64 s[4:5], s[12:13]
	s_cbranch_execz .LBB1465_149
.LBB1465_134:
	global_load_dword v15, v[4:5], off offset:1536
	s_or_b64 exec, exec, s[4:5]
                                        ; implicit-def: $vgpr16
	s_and_saveexec_b64 s[4:5], s[14:15]
	s_cbranch_execnz .LBB1465_150
.LBB1465_135:
	s_or_b64 exec, exec, s[4:5]
                                        ; implicit-def: $vgpr17
	s_and_saveexec_b64 s[4:5], s[16:17]
	s_cbranch_execz .LBB1465_151
.LBB1465_136:
	global_load_dword v17, v[4:5], off offset:2048
	s_or_b64 exec, exec, s[4:5]
                                        ; implicit-def: $vgpr18
	s_and_saveexec_b64 s[4:5], s[18:19]
	s_cbranch_execnz .LBB1465_152
.LBB1465_137:
	s_or_b64 exec, exec, s[4:5]
                                        ; implicit-def: $vgpr19
	s_and_saveexec_b64 s[4:5], s[20:21]
	s_cbranch_execz .LBB1465_153
.LBB1465_138:
	global_load_dword v19, v[4:5], off offset:2560
	s_or_b64 exec, exec, s[4:5]
                                        ; implicit-def: $vgpr20
	s_and_saveexec_b64 s[4:5], s[22:23]
	s_cbranch_execnz .LBB1465_154
.LBB1465_139:
	s_or_b64 exec, exec, s[4:5]
                                        ; implicit-def: $vgpr21
	s_and_saveexec_b64 s[4:5], s[24:25]
	s_cbranch_execz .LBB1465_155
.LBB1465_140:
	global_load_dword v21, v[4:5], off offset:3072
	s_or_b64 exec, exec, s[4:5]
                                        ; implicit-def: $vgpr22
	s_and_saveexec_b64 s[4:5], s[26:27]
	s_cbranch_execnz .LBB1465_156
.LBB1465_141:
	s_or_b64 exec, exec, s[4:5]
                                        ; implicit-def: $vgpr23
	s_and_saveexec_b64 s[4:5], s[28:29]
	s_cbranch_execz .LBB1465_157
.LBB1465_142:
	global_load_dword v23, v[4:5], off offset:3584
	s_or_b64 exec, exec, s[4:5]
                                        ; implicit-def: $vgpr24
	s_and_saveexec_b64 s[4:5], s[30:31]
	s_cbranch_execnz .LBB1465_158
	s_branch .LBB1465_159
.LBB1465_143:
	s_or_b64 exec, exec, s[36:37]
                                        ; implicit-def: $vgpr6
	s_and_saveexec_b64 s[36:37], s[42:43]
	s_cbranch_execz .LBB1465_129
.LBB1465_144:
	global_load_dword v6, v[4:5], off offset:256
	s_or_b64 exec, exec, s[36:37]
                                        ; implicit-def: $vgpr7
	s_and_saveexec_b64 s[36:37], s[4:5]
	s_cbranch_execnz .LBB1465_130
.LBB1465_145:
	s_or_b64 exec, exec, s[36:37]
                                        ; implicit-def: $vgpr8
	s_and_saveexec_b64 s[4:5], s[6:7]
	s_cbranch_execz .LBB1465_131
.LBB1465_146:
	global_load_dword v8, v[4:5], off offset:768
	s_or_b64 exec, exec, s[4:5]
                                        ; implicit-def: $vgpr9
	s_and_saveexec_b64 s[4:5], s[8:9]
	s_cbranch_execnz .LBB1465_132
.LBB1465_147:
	s_or_b64 exec, exec, s[4:5]
                                        ; implicit-def: $vgpr14
	s_and_saveexec_b64 s[4:5], s[10:11]
	s_cbranch_execz .LBB1465_133
.LBB1465_148:
	global_load_dword v14, v[4:5], off offset:1280
	s_or_b64 exec, exec, s[4:5]
                                        ; implicit-def: $vgpr15
	s_and_saveexec_b64 s[4:5], s[12:13]
	s_cbranch_execnz .LBB1465_134
.LBB1465_149:
	s_or_b64 exec, exec, s[4:5]
                                        ; implicit-def: $vgpr16
	s_and_saveexec_b64 s[4:5], s[14:15]
	s_cbranch_execz .LBB1465_135
.LBB1465_150:
	global_load_dword v16, v[4:5], off offset:1792
	s_or_b64 exec, exec, s[4:5]
                                        ; implicit-def: $vgpr17
	s_and_saveexec_b64 s[4:5], s[16:17]
	s_cbranch_execnz .LBB1465_136
.LBB1465_151:
	s_or_b64 exec, exec, s[4:5]
                                        ; implicit-def: $vgpr18
	s_and_saveexec_b64 s[4:5], s[18:19]
	s_cbranch_execz .LBB1465_137
.LBB1465_152:
	global_load_dword v18, v[4:5], off offset:2304
	s_or_b64 exec, exec, s[4:5]
                                        ; implicit-def: $vgpr19
	s_and_saveexec_b64 s[4:5], s[20:21]
	s_cbranch_execnz .LBB1465_138
.LBB1465_153:
	s_or_b64 exec, exec, s[4:5]
                                        ; implicit-def: $vgpr20
	s_and_saveexec_b64 s[4:5], s[22:23]
	s_cbranch_execz .LBB1465_139
.LBB1465_154:
	global_load_dword v20, v[4:5], off offset:2816
	s_or_b64 exec, exec, s[4:5]
                                        ; implicit-def: $vgpr21
	s_and_saveexec_b64 s[4:5], s[24:25]
	s_cbranch_execnz .LBB1465_140
.LBB1465_155:
	s_or_b64 exec, exec, s[4:5]
                                        ; implicit-def: $vgpr22
	s_and_saveexec_b64 s[4:5], s[26:27]
	s_cbranch_execz .LBB1465_141
.LBB1465_156:
	global_load_dword v22, v[4:5], off offset:3328
	s_or_b64 exec, exec, s[4:5]
                                        ; implicit-def: $vgpr23
	s_and_saveexec_b64 s[4:5], s[28:29]
	s_cbranch_execnz .LBB1465_142
.LBB1465_157:
	s_or_b64 exec, exec, s[4:5]
                                        ; implicit-def: $vgpr24
	s_and_saveexec_b64 s[4:5], s[30:31]
	s_cbranch_execz .LBB1465_159
.LBB1465_158:
	global_load_dword v24, v[4:5], off offset:3840
.LBB1465_159:
	s_or_b64 exec, exec, s[4:5]
	s_mov_b32 s6, 0
	s_mov_b32 s7, 0
	s_movk_i32 s8, 0x1000
	v_mov_b32_e32 v5, 0
	s_movk_i32 s9, 0x400
	s_movk_i32 s10, 0x800
	;; [unrolled: 1-line block ×3, first 2 shown]
	s_mov_b32 s12, 0
	s_branch .LBB1465_161
.LBB1465_160:                           ;   in Loop: Header=BB1465_161 Depth=1
	s_or_b64 exec, exec, s[4:5]
	s_addk_i32 s12, 0xc000
	s_addk_i32 s7, 0xf000
	s_add_i32 s6, s6, 16
	s_cmp_eq_u32 s12, 0xffff0000
	v_add_u32_e32 v2, 0x1000, v2
	s_barrier
	s_cbranch_scc1 .LBB1465_201
.LBB1465_161:                           ; =>This Inner Loop Header: Depth=1
	v_add_u32_e32 v4, s7, v10
	v_cmp_gt_u32_e32 vcc, s8, v4
	s_and_saveexec_b64 s[4:5], vcc
	s_cbranch_execz .LBB1465_163
; %bb.162:                              ;   in Loop: Header=BB1465_161 Depth=1
	v_add_u32_e32 v4, s12, v29
	s_waitcnt vmcnt(0)
	ds_write_b32 v4, v3
.LBB1465_163:                           ;   in Loop: Header=BB1465_161 Depth=1
	s_or_b64 exec, exec, s[4:5]
	v_add_u32_e32 v4, s7, v27
	v_cmp_gt_u32_e32 vcc, s8, v4
	s_and_saveexec_b64 s[4:5], vcc
	s_cbranch_execz .LBB1465_165
; %bb.164:                              ;   in Loop: Header=BB1465_161 Depth=1
	v_add_u32_e32 v4, s12, v32
	s_waitcnt vmcnt(0)
	ds_write_b32 v4, v6
.LBB1465_165:                           ;   in Loop: Header=BB1465_161 Depth=1
	s_or_b64 exec, exec, s[4:5]
	v_add_u32_e32 v4, s7, v30
	v_cmp_gt_u32_e32 vcc, s8, v4
	s_and_saveexec_b64 s[4:5], vcc
	s_cbranch_execz .LBB1465_167
; %bb.166:                              ;   in Loop: Header=BB1465_161 Depth=1
	v_add_u32_e32 v4, s12, v35
	s_waitcnt vmcnt(0)
	ds_write_b32 v4, v7
.LBB1465_167:                           ;   in Loop: Header=BB1465_161 Depth=1
	s_or_b64 exec, exec, s[4:5]
	v_add_u32_e32 v4, s7, v34
	v_cmp_gt_u32_e32 vcc, s8, v4
	s_and_saveexec_b64 s[4:5], vcc
	s_cbranch_execz .LBB1465_169
; %bb.168:                              ;   in Loop: Header=BB1465_161 Depth=1
	v_add_u32_e32 v4, s12, v39
	s_waitcnt vmcnt(0)
	ds_write_b32 v4, v8
.LBB1465_169:                           ;   in Loop: Header=BB1465_161 Depth=1
	s_or_b64 exec, exec, s[4:5]
	v_add_u32_e32 v4, s7, v37
	v_cmp_gt_u32_e32 vcc, s8, v4
	s_and_saveexec_b64 s[4:5], vcc
	s_cbranch_execz .LBB1465_171
; %bb.170:                              ;   in Loop: Header=BB1465_161 Depth=1
	v_add_u32_e32 v4, s12, v42
	s_waitcnt vmcnt(0)
	ds_write_b32 v4, v9
.LBB1465_171:                           ;   in Loop: Header=BB1465_161 Depth=1
	s_or_b64 exec, exec, s[4:5]
	v_add_u32_e32 v4, s7, v41
	v_cmp_gt_u32_e32 vcc, s8, v4
	s_and_saveexec_b64 s[4:5], vcc
	s_cbranch_execz .LBB1465_173
; %bb.172:                              ;   in Loop: Header=BB1465_161 Depth=1
	v_add_u32_e32 v4, s12, v46
	s_waitcnt vmcnt(0)
	ds_write_b32 v4, v14
.LBB1465_173:                           ;   in Loop: Header=BB1465_161 Depth=1
	s_or_b64 exec, exec, s[4:5]
	v_add_u32_e32 v4, s7, v44
	v_cmp_gt_u32_e32 vcc, s8, v4
	s_and_saveexec_b64 s[4:5], vcc
	s_cbranch_execz .LBB1465_175
; %bb.174:                              ;   in Loop: Header=BB1465_161 Depth=1
	v_add_u32_e32 v4, s12, v49
	s_waitcnt vmcnt(0)
	ds_write_b32 v4, v15
.LBB1465_175:                           ;   in Loop: Header=BB1465_161 Depth=1
	s_or_b64 exec, exec, s[4:5]
	v_add_u32_e32 v4, s7, v47
	v_cmp_gt_u32_e32 vcc, s8, v4
	s_and_saveexec_b64 s[4:5], vcc
	s_cbranch_execz .LBB1465_177
; %bb.176:                              ;   in Loop: Header=BB1465_161 Depth=1
	v_add_u32_e32 v4, s12, v52
	s_waitcnt vmcnt(0)
	ds_write_b32 v4, v16
.LBB1465_177:                           ;   in Loop: Header=BB1465_161 Depth=1
	s_or_b64 exec, exec, s[4:5]
	v_add_u32_e32 v4, s7, v50
	v_cmp_gt_u32_e32 vcc, s8, v4
	s_and_saveexec_b64 s[4:5], vcc
	s_cbranch_execz .LBB1465_179
; %bb.178:                              ;   in Loop: Header=BB1465_161 Depth=1
	v_add_u32_e32 v4, s12, v55
	s_waitcnt vmcnt(0)
	ds_write_b32 v4, v17
.LBB1465_179:                           ;   in Loop: Header=BB1465_161 Depth=1
	s_or_b64 exec, exec, s[4:5]
	v_add_u32_e32 v4, s7, v53
	v_cmp_gt_u32_e32 vcc, s8, v4
	s_and_saveexec_b64 s[4:5], vcc
	s_cbranch_execz .LBB1465_181
; %bb.180:                              ;   in Loop: Header=BB1465_161 Depth=1
	v_add_u32_e32 v4, s12, v57
	s_waitcnt vmcnt(0)
	ds_write_b32 v4, v18
.LBB1465_181:                           ;   in Loop: Header=BB1465_161 Depth=1
	s_or_b64 exec, exec, s[4:5]
	v_add_u32_e32 v4, s7, v56
	v_cmp_gt_u32_e32 vcc, s8, v4
	s_and_saveexec_b64 s[4:5], vcc
	s_cbranch_execz .LBB1465_183
; %bb.182:                              ;   in Loop: Header=BB1465_161 Depth=1
	v_add_u32_e32 v4, s12, v54
	s_waitcnt vmcnt(0)
	ds_write_b32 v4, v19
.LBB1465_183:                           ;   in Loop: Header=BB1465_161 Depth=1
	s_or_b64 exec, exec, s[4:5]
	v_add_u32_e32 v4, s7, v51
	v_cmp_gt_u32_e32 vcc, s8, v4
	s_and_saveexec_b64 s[4:5], vcc
	s_cbranch_execz .LBB1465_185
; %bb.184:                              ;   in Loop: Header=BB1465_161 Depth=1
	v_add_u32_e32 v4, s12, v48
	s_waitcnt vmcnt(0)
	ds_write_b32 v4, v20
.LBB1465_185:                           ;   in Loop: Header=BB1465_161 Depth=1
	s_or_b64 exec, exec, s[4:5]
	v_add_u32_e32 v4, s7, v45
	v_cmp_gt_u32_e32 vcc, s8, v4
	s_and_saveexec_b64 s[4:5], vcc
	s_cbranch_execz .LBB1465_187
; %bb.186:                              ;   in Loop: Header=BB1465_161 Depth=1
	v_add_u32_e32 v4, s12, v43
	s_waitcnt vmcnt(0)
	ds_write_b32 v4, v21
.LBB1465_187:                           ;   in Loop: Header=BB1465_161 Depth=1
	s_or_b64 exec, exec, s[4:5]
	v_add_u32_e32 v4, s7, v40
	v_cmp_gt_u32_e32 vcc, s8, v4
	s_and_saveexec_b64 s[4:5], vcc
	s_cbranch_execz .LBB1465_189
; %bb.188:                              ;   in Loop: Header=BB1465_161 Depth=1
	v_add_u32_e32 v4, s12, v36
	s_waitcnt vmcnt(0)
	ds_write_b32 v4, v22
.LBB1465_189:                           ;   in Loop: Header=BB1465_161 Depth=1
	s_or_b64 exec, exec, s[4:5]
	v_add_u32_e32 v4, s7, v28
	v_cmp_gt_u32_e32 vcc, s8, v4
	s_and_saveexec_b64 s[4:5], vcc
	s_cbranch_execz .LBB1465_191
; %bb.190:                              ;   in Loop: Header=BB1465_161 Depth=1
	v_add_u32_e32 v4, s12, v13
	s_waitcnt vmcnt(0)
	ds_write_b32 v4, v23
.LBB1465_191:                           ;   in Loop: Header=BB1465_161 Depth=1
	s_or_b64 exec, exec, s[4:5]
	v_add_u32_e32 v4, s7, v12
	v_cmp_gt_u32_e32 vcc, s8, v4
	s_and_saveexec_b64 s[4:5], vcc
	s_cbranch_execz .LBB1465_193
; %bb.192:                              ;   in Loop: Header=BB1465_161 Depth=1
	v_add_u32_e32 v4, s12, v11
	s_waitcnt vmcnt(0)
	ds_write_b32 v4, v24
.LBB1465_193:                           ;   in Loop: Header=BB1465_161 Depth=1
	s_or_b64 exec, exec, s[4:5]
	v_cmp_gt_u32_e32 vcc, s3, v2
	s_waitcnt lgkmcnt(0)
	s_barrier
	s_and_saveexec_b64 s[4:5], vcc
	s_cbranch_execz .LBB1465_195
; %bb.194:                              ;   in Loop: Header=BB1465_161 Depth=1
	scratch_load_dword v4, off, s6
	s_waitcnt vmcnt(0)
	v_lshlrev_b32_e32 v4, 2, v4
	ds_read_b32 v4, v4
	ds_read_b32 v25, v38 offset:1024
	s_waitcnt lgkmcnt(1)
	v_add_u32_e32 v4, v2, v4
	v_lshl_add_u64 v[58:59], v[4:5], 2, s[58:59]
	s_waitcnt lgkmcnt(0)
	global_store_dword v[58:59], v25, off
.LBB1465_195:                           ;   in Loop: Header=BB1465_161 Depth=1
	s_or_b64 exec, exec, s[4:5]
	v_add_u32_e32 v4, 0x400, v2
	v_cmp_gt_u32_e32 vcc, s3, v4
	s_and_saveexec_b64 s[4:5], vcc
	s_cbranch_execz .LBB1465_197
; %bb.196:                              ;   in Loop: Header=BB1465_161 Depth=1
	s_add_i32 s13, s6, 4
	scratch_load_dword v4, off, s13
	s_waitcnt vmcnt(0)
	v_lshlrev_b32_e32 v4, 2, v4
	ds_read_b32 v4, v4
	ds_read_b32 v25, v38 offset:5120
	s_waitcnt lgkmcnt(1)
	v_add3_u32 v4, v2, v4, s9
	v_lshl_add_u64 v[58:59], v[4:5], 2, s[58:59]
	s_waitcnt lgkmcnt(0)
	global_store_dword v[58:59], v25, off
.LBB1465_197:                           ;   in Loop: Header=BB1465_161 Depth=1
	s_or_b64 exec, exec, s[4:5]
	v_add_u32_e32 v4, 0x800, v2
	v_cmp_gt_u32_e32 vcc, s3, v4
	s_and_saveexec_b64 s[4:5], vcc
	s_cbranch_execz .LBB1465_199
; %bb.198:                              ;   in Loop: Header=BB1465_161 Depth=1
	s_add_i32 s13, s6, 8
	scratch_load_dword v4, off, s13
	s_waitcnt vmcnt(0)
	v_lshlrev_b32_e32 v4, 2, v4
	ds_read_b32 v4, v4
	ds_read_b32 v25, v38 offset:9216
	s_waitcnt lgkmcnt(1)
	v_add3_u32 v4, v2, v4, s10
	v_lshl_add_u64 v[58:59], v[4:5], 2, s[58:59]
	s_waitcnt lgkmcnt(0)
	global_store_dword v[58:59], v25, off
.LBB1465_199:                           ;   in Loop: Header=BB1465_161 Depth=1
	s_or_b64 exec, exec, s[4:5]
	v_add_u32_e32 v4, 0xc00, v2
	v_cmp_gt_u32_e32 vcc, s3, v4
	s_and_saveexec_b64 s[4:5], vcc
	s_cbranch_execz .LBB1465_160
; %bb.200:                              ;   in Loop: Header=BB1465_161 Depth=1
	s_add_i32 s13, s6, 12
	scratch_load_dword v4, off, s13
	s_waitcnt vmcnt(0)
	v_lshlrev_b32_e32 v4, 2, v4
	ds_read_b32 v4, v4
	ds_read_b32 v25, v38 offset:13312
	s_waitcnt lgkmcnt(1)
	v_add3_u32 v4, v2, v4, s11
	v_lshl_add_u64 v[58:59], v[4:5], 2, s[58:59]
	s_waitcnt lgkmcnt(0)
	global_store_dword v[58:59], v25, off
	s_branch .LBB1465_160
.LBB1465_201:
	s_add_i32 s33, s33, -1
	s_cmp_eq_u32 s2, s33
	s_cselect_b64 s[4:5], -1, 0
	s_xor_b64 s[6:7], s[34:35], -1
	s_and_b64 s[6:7], s[6:7], s[4:5]
	s_and_saveexec_b64 s[4:5], s[6:7]
	s_cbranch_execz .LBB1465_203
; %bb.202:
	ds_read_b32 v2, v38
	s_waitcnt lgkmcnt(0)
	v_add3_u32 v2, v31, v33, v2
	global_store_dword v38, v2, s[62:63]
.LBB1465_203:
	s_or_b64 exec, exec, s[4:5]
	s_mov_b64 s[4:5], 0
.LBB1465_204:
	s_and_b64 vcc, exec, s[4:5]
	s_cbranch_vccz .LBB1465_327
; %bb.205:
	v_and_b32_e32 v2, 0x3ff, v0
	s_lshl_b32 s4, s2, 14
	s_mov_b32 s5, 0
	s_lshl_b64 s[10:11], s[4:5], 2
	v_mbcnt_hi_u32_b32 v10, -1, v1
	v_lshlrev_b32_e32 v1, 4, v2
	s_add_u32 s4, s52, s10
	s_waitcnt vmcnt(0)
	v_and_b32_e32 v3, 63, v10
	v_and_b32_e32 v6, 0x3c00, v1
	v_mov_b32_e32 v1, 0
	s_addc_u32 s5, s53, s11
	v_lshlrev_b32_e32 v4, 2, v3
	v_mov_b32_e32 v5, v1
	v_lshl_add_u64 v[8:9], s[4:5], 0, v[4:5]
	s_load_dword s3, s[0:1], 0x58
	s_load_dword s4, s[0:1], 0x64
	v_lshlrev_b32_e32 v6, 2, v6
	v_mov_b32_e32 v7, v1
	s_add_u32 s0, s0, 0x58
	v_lshl_add_u64 v[8:9], v[8:9], 0, v[6:7]
	s_addc_u32 s1, s1, 0
	s_waitcnt lgkmcnt(0)
	s_lshr_b32 s4, s4, 16
	global_load_dword v3, v[8:9], off
	s_cmp_lt_u32 s2, s3
	s_cselect_b32 s5, 12, 18
	s_add_u32 s0, s0, s5
	s_addc_u32 s1, s1, 0
	global_load_ushort v13, v1, s[0:1]
	v_mul_u32_u24_e32 v11, 20, v2
	ds_write2_b32 v11, v1, v1 offset0:16 offset1:17
	ds_write2_b32 v11, v1, v1 offset0:18 offset1:19
	ds_write_b32 v11, v1 offset:80
	global_load_dword v5, v[8:9], off offset:256
	global_load_dword v7, v[8:9], off offset:512
	global_load_dword v12, v[8:9], off offset:768
	global_load_dword v15, v[8:9], off offset:1024
	global_load_dword v19, v[8:9], off offset:1280
	global_load_dword v23, v[8:9], off offset:1536
	global_load_dword v29, v[8:9], off offset:1792
	global_load_dword v34, v[8:9], off offset:2048
	global_load_dword v39, v[8:9], off offset:2304
	global_load_dword v44, v[8:9], off offset:2560
	global_load_dword v45, v[8:9], off offset:2816
	global_load_dword v40, v[8:9], off offset:3072
	global_load_dword v36, v[8:9], off offset:3328
	global_load_dword v31, v[8:9], off offset:3584
	global_load_dword v25, v[8:9], off offset:3840
	v_bfe_u32 v14, v0, 10, 10
	v_bfe_u32 v0, v0, 20, 10
	v_mad_u32_u24 v8, v0, s4, v14
	s_lshl_b32 s0, -1, s65
	v_mov_b32_e32 v16, v1
	s_not_b32 s14, s0
	v_mov_b32_e32 v20, v1
	v_mov_b32_e32 v26, v1
	s_movk_i32 s8, 0x44
	s_waitcnt lgkmcnt(0)
	s_barrier
	s_waitcnt vmcnt(16)
	; wave barrier
	v_xor_b32_e32 v3, 0x80000000, v3
	v_lshrrev_b32_e32 v0, s64, v3
	v_bitop3_b32 v14, v0, s0, v0 bitop3:0x30
	v_and_b32_e32 v0, 1, v14
	v_lshlrev_b32_e32 v17, 30, v14
	v_lshlrev_b32_e32 v21, 29, v14
	s_waitcnt vmcnt(15)
	v_mad_u64_u32 v[8:9], s[0:1], v8, v13, v[2:3]
	v_lshl_add_u64 v[32:33], v[0:1], 0, -1
	v_cmp_ne_u32_e32 vcc, 0, v0
	v_not_b32_e32 v0, v17
	v_lshlrev_b32_e32 v27, 28, v14
	v_cmp_gt_i64_e64 s[0:1], 0, v[16:17]
	v_not_b32_e32 v9, v21
	v_lshrrev_b32_e32 v28, 6, v8
	v_xor_b32_e32 v8, vcc_hi, v33
	v_xor_b32_e32 v16, vcc_lo, v32
	v_ashrrev_i32_e32 v0, 31, v0
	v_cmp_gt_i64_e64 s[4:5], 0, v[20:21]
	v_not_b32_e32 v13, v27
	v_ashrrev_i32_e32 v9, 31, v9
	v_and_b32_e32 v8, exec_hi, v8
	v_and_b32_e32 v16, exec_lo, v16
	v_xor_b32_e32 v17, s1, v0
	v_xor_b32_e32 v0, s0, v0
	v_cmp_gt_i64_e64 s[6:7], 0, v[26:27]
	v_ashrrev_i32_e32 v13, 31, v13
	v_xor_b32_e32 v20, s5, v9
	v_xor_b32_e32 v9, s4, v9
	v_and_b32_e32 v8, v8, v17
	v_and_b32_e32 v0, v16, v0
	v_xor_b32_e32 v21, s7, v13
	v_and_b32_e32 v8, v8, v20
	v_and_b32_e32 v0, v0, v9
	;; [unrolled: 3-line block ×3, first 2 shown]
	v_lshlrev_b32_e32 v9, 27, v14
	v_mov_b32_e32 v8, v1
	v_cmp_gt_i64_e32 vcc, 0, v[8:9]
	v_not_b32_e32 v8, v9
	v_ashrrev_i32_e32 v8, 31, v8
	v_xor_b32_e32 v9, vcc_hi, v8
	v_xor_b32_e32 v8, vcc_lo, v8
	v_and_b32_e32 v13, v13, v9
	v_and_b32_e32 v0, v0, v8
	v_lshlrev_b32_e32 v9, 26, v14
	v_mov_b32_e32 v8, v1
	v_cmp_gt_i64_e32 vcc, 0, v[8:9]
	v_not_b32_e32 v8, v9
	v_ashrrev_i32_e32 v8, 31, v8
	v_xor_b32_e32 v9, vcc_hi, v8
	v_xor_b32_e32 v8, vcc_lo, v8
	v_and_b32_e32 v13, v13, v9
	v_and_b32_e32 v0, v0, v8
	;; [unrolled: 9-line block ×4, first 2 shown]
	v_mbcnt_lo_u32_b32 v0, v8, 0
	v_mul_lo_u32 v18, v14, s8
	v_mbcnt_hi_u32_b32 v14, v9, v0
	v_cmp_eq_u32_e32 vcc, 0, v14
	v_cmp_ne_u64_e64 s[0:1], 0, v[8:9]
	v_lshl_add_u32 v18, v28, 2, v18
	s_and_b64 s[4:5], s[0:1], vcc
	s_and_saveexec_b64 s[0:1], s[4:5]
; %bb.206:
	v_bcnt_u32_b32 v0, v8, 0
	v_bcnt_u32_b32 v0, v9, v0
	ds_write_b32 v18, v0 offset:64
; %bb.207:
	s_or_b64 exec, exec, s[0:1]
	s_waitcnt vmcnt(14)
	v_xor_b32_e32 v5, 0x80000000, v5
	v_lshrrev_b32_e32 v0, s64, v5
	v_and_b32_e32 v16, s14, v0
	v_mul_lo_u32 v0, v16, s8
	v_lshl_add_u32 v21, v28, 2, v0
	v_and_b32_e32 v0, 1, v16
	v_lshl_add_u64 v[8:9], v[0:1], 0, -1
	v_cmp_ne_u32_e32 vcc, 0, v0
	; wave barrier
	s_nop 1
	v_xor_b32_e32 v8, vcc_lo, v8
	v_xor_b32_e32 v0, vcc_hi, v9
	v_and_b32_e32 v17, exec_lo, v8
	v_lshlrev_b32_e32 v9, 30, v16
	v_mov_b32_e32 v8, v1
	v_cmp_gt_i64_e32 vcc, 0, v[8:9]
	v_not_b32_e32 v8, v9
	v_ashrrev_i32_e32 v8, 31, v8
	v_and_b32_e32 v0, exec_hi, v0
	v_xor_b32_e32 v9, vcc_hi, v8
	v_xor_b32_e32 v8, vcc_lo, v8
	v_and_b32_e32 v0, v0, v9
	v_and_b32_e32 v17, v17, v8
	v_lshlrev_b32_e32 v9, 29, v16
	v_mov_b32_e32 v8, v1
	v_cmp_gt_i64_e32 vcc, 0, v[8:9]
	v_not_b32_e32 v8, v9
	v_ashrrev_i32_e32 v8, 31, v8
	v_xor_b32_e32 v9, vcc_hi, v8
	v_xor_b32_e32 v8, vcc_lo, v8
	v_and_b32_e32 v0, v0, v9
	v_and_b32_e32 v17, v17, v8
	v_lshlrev_b32_e32 v9, 28, v16
	v_mov_b32_e32 v8, v1
	v_cmp_gt_i64_e32 vcc, 0, v[8:9]
	v_not_b32_e32 v8, v9
	v_ashrrev_i32_e32 v8, 31, v8
	v_xor_b32_e32 v9, vcc_hi, v8
	v_xor_b32_e32 v8, vcc_lo, v8
	v_and_b32_e32 v0, v0, v9
	v_and_b32_e32 v17, v17, v8
	v_lshlrev_b32_e32 v9, 27, v16
	v_mov_b32_e32 v8, v1
	v_cmp_gt_i64_e32 vcc, 0, v[8:9]
	v_not_b32_e32 v8, v9
	v_ashrrev_i32_e32 v8, 31, v8
	v_xor_b32_e32 v9, vcc_hi, v8
	v_xor_b32_e32 v8, vcc_lo, v8
	v_and_b32_e32 v0, v0, v9
	v_and_b32_e32 v17, v17, v8
	v_lshlrev_b32_e32 v9, 26, v16
	v_mov_b32_e32 v8, v1
	v_cmp_gt_i64_e32 vcc, 0, v[8:9]
	v_not_b32_e32 v8, v9
	v_ashrrev_i32_e32 v8, 31, v8
	v_xor_b32_e32 v9, vcc_hi, v8
	v_xor_b32_e32 v8, vcc_lo, v8
	v_and_b32_e32 v0, v0, v9
	v_and_b32_e32 v17, v17, v8
	v_lshlrev_b32_e32 v9, 25, v16
	v_mov_b32_e32 v8, v1
	v_cmp_gt_i64_e32 vcc, 0, v[8:9]
	v_not_b32_e32 v8, v9
	v_ashrrev_i32_e32 v8, 31, v8
	v_xor_b32_e32 v9, vcc_hi, v8
	v_xor_b32_e32 v8, vcc_lo, v8
	v_and_b32_e32 v0, v0, v9
	v_lshlrev_b32_e32 v9, 24, v16
	v_and_b32_e32 v17, v17, v8
	v_mov_b32_e32 v8, v1
	v_not_b32_e32 v1, v9
	v_cmp_gt_i64_e32 vcc, 0, v[8:9]
	v_ashrrev_i32_e32 v1, 31, v1
	ds_read_b32 v13, v21 offset:64
	v_xor_b32_e32 v8, vcc_hi, v1
	v_xor_b32_e32 v9, vcc_lo, v1
	v_and_b32_e32 v1, v0, v8
	v_and_b32_e32 v0, v17, v9
	v_mbcnt_lo_u32_b32 v8, v0, 0
	v_mbcnt_hi_u32_b32 v16, v1, v8
	v_cmp_eq_u32_e32 vcc, 0, v16
	v_cmp_ne_u64_e64 s[0:1], 0, v[0:1]
	s_and_b64 s[4:5], s[0:1], vcc
	; wave barrier
	s_and_saveexec_b64 s[0:1], s[4:5]
	s_cbranch_execz .LBB1465_209
; %bb.208:
	v_bcnt_u32_b32 v0, v0, 0
	v_bcnt_u32_b32 v0, v1, v0
	s_waitcnt lgkmcnt(0)
	v_add_u32_e32 v0, v13, v0
	ds_write_b32 v21, v0 offset:64
.LBB1465_209:
	s_or_b64 exec, exec, s[0:1]
	s_waitcnt vmcnt(13)
	v_xor_b32_e32 v7, 0x80000000, v7
	v_lshrrev_b32_e32 v0, s64, v7
	v_and_b32_e32 v20, s14, v0
	s_movk_i32 s4, 0x44
	v_mul_lo_u32 v0, v20, s4
	v_lshl_add_u32 v26, v28, 2, v0
	v_and_b32_e32 v0, 1, v20
	v_mov_b32_e32 v1, 0
	v_lshl_add_u64 v[8:9], v[0:1], 0, -1
	v_cmp_ne_u32_e32 vcc, 0, v0
	; wave barrier
	s_nop 1
	v_xor_b32_e32 v8, vcc_lo, v8
	v_xor_b32_e32 v0, vcc_hi, v9
	v_and_b32_e32 v22, exec_lo, v8
	v_lshlrev_b32_e32 v9, 30, v20
	v_mov_b32_e32 v8, v1
	v_cmp_gt_i64_e32 vcc, 0, v[8:9]
	v_not_b32_e32 v8, v9
	v_ashrrev_i32_e32 v8, 31, v8
	v_and_b32_e32 v0, exec_hi, v0
	v_xor_b32_e32 v9, vcc_hi, v8
	v_xor_b32_e32 v8, vcc_lo, v8
	v_and_b32_e32 v0, v0, v9
	v_and_b32_e32 v22, v22, v8
	v_lshlrev_b32_e32 v9, 29, v20
	v_mov_b32_e32 v8, v1
	v_cmp_gt_i64_e32 vcc, 0, v[8:9]
	v_not_b32_e32 v8, v9
	v_ashrrev_i32_e32 v8, 31, v8
	v_xor_b32_e32 v9, vcc_hi, v8
	v_xor_b32_e32 v8, vcc_lo, v8
	v_and_b32_e32 v0, v0, v9
	v_and_b32_e32 v22, v22, v8
	v_lshlrev_b32_e32 v9, 28, v20
	v_mov_b32_e32 v8, v1
	v_cmp_gt_i64_e32 vcc, 0, v[8:9]
	v_not_b32_e32 v8, v9
	v_ashrrev_i32_e32 v8, 31, v8
	;; [unrolled: 9-line block ×6, first 2 shown]
	v_xor_b32_e32 v9, vcc_hi, v8
	v_xor_b32_e32 v8, vcc_lo, v8
	ds_read_b32 v17, v26 offset:64
	v_and_b32_e32 v8, v22, v8
	v_and_b32_e32 v9, v0, v9
	v_mbcnt_lo_u32_b32 v0, v8, 0
	v_mbcnt_hi_u32_b32 v20, v9, v0
	v_cmp_eq_u32_e32 vcc, 0, v20
	v_cmp_ne_u64_e64 s[0:1], 0, v[8:9]
	s_and_b64 s[6:7], s[0:1], vcc
	; wave barrier
	s_and_saveexec_b64 s[0:1], s[6:7]
	s_cbranch_execz .LBB1465_211
; %bb.210:
	v_bcnt_u32_b32 v0, v8, 0
	v_bcnt_u32_b32 v0, v9, v0
	s_waitcnt lgkmcnt(0)
	v_add_u32_e32 v0, v17, v0
	ds_write_b32 v26, v0 offset:64
.LBB1465_211:
	s_or_b64 exec, exec, s[0:1]
	s_waitcnt vmcnt(12)
	v_xor_b32_e32 v12, 0x80000000, v12
	v_lshrrev_b32_e32 v0, s64, v12
	v_and_b32_e32 v24, s14, v0
	v_mul_lo_u32 v0, v24, s4
	v_lshl_add_u32 v32, v28, 2, v0
	v_and_b32_e32 v0, 1, v24
	v_lshl_add_u64 v[8:9], v[0:1], 0, -1
	v_cmp_ne_u32_e32 vcc, 0, v0
	; wave barrier
	s_nop 1
	v_xor_b32_e32 v8, vcc_lo, v8
	v_xor_b32_e32 v0, vcc_hi, v9
	v_and_b32_e32 v27, exec_lo, v8
	v_lshlrev_b32_e32 v9, 30, v24
	v_mov_b32_e32 v8, v1
	v_cmp_gt_i64_e32 vcc, 0, v[8:9]
	v_not_b32_e32 v8, v9
	v_ashrrev_i32_e32 v8, 31, v8
	v_and_b32_e32 v0, exec_hi, v0
	v_xor_b32_e32 v9, vcc_hi, v8
	v_xor_b32_e32 v8, vcc_lo, v8
	v_and_b32_e32 v0, v0, v9
	v_and_b32_e32 v27, v27, v8
	v_lshlrev_b32_e32 v9, 29, v24
	v_mov_b32_e32 v8, v1
	v_cmp_gt_i64_e32 vcc, 0, v[8:9]
	v_not_b32_e32 v8, v9
	v_ashrrev_i32_e32 v8, 31, v8
	v_xor_b32_e32 v9, vcc_hi, v8
	v_xor_b32_e32 v8, vcc_lo, v8
	v_and_b32_e32 v0, v0, v9
	v_and_b32_e32 v27, v27, v8
	v_lshlrev_b32_e32 v9, 28, v24
	v_mov_b32_e32 v8, v1
	v_cmp_gt_i64_e32 vcc, 0, v[8:9]
	v_not_b32_e32 v8, v9
	v_ashrrev_i32_e32 v8, 31, v8
	;; [unrolled: 9-line block ×5, first 2 shown]
	v_xor_b32_e32 v9, vcc_hi, v8
	v_xor_b32_e32 v8, vcc_lo, v8
	v_and_b32_e32 v0, v0, v9
	v_lshlrev_b32_e32 v9, 24, v24
	v_and_b32_e32 v27, v27, v8
	v_mov_b32_e32 v8, v1
	v_not_b32_e32 v1, v9
	v_cmp_gt_i64_e32 vcc, 0, v[8:9]
	v_ashrrev_i32_e32 v1, 31, v1
	ds_read_b32 v22, v32 offset:64
	v_xor_b32_e32 v8, vcc_hi, v1
	v_xor_b32_e32 v9, vcc_lo, v1
	v_and_b32_e32 v1, v0, v8
	v_and_b32_e32 v0, v27, v9
	v_mbcnt_lo_u32_b32 v8, v0, 0
	v_mbcnt_hi_u32_b32 v24, v1, v8
	v_cmp_eq_u32_e32 vcc, 0, v24
	v_cmp_ne_u64_e64 s[0:1], 0, v[0:1]
	s_and_b64 s[4:5], s[0:1], vcc
	; wave barrier
	s_and_saveexec_b64 s[0:1], s[4:5]
	s_cbranch_execz .LBB1465_213
; %bb.212:
	v_bcnt_u32_b32 v0, v0, 0
	v_bcnt_u32_b32 v0, v1, v0
	s_waitcnt lgkmcnt(0)
	v_add_u32_e32 v0, v22, v0
	ds_write_b32 v32, v0 offset:64
.LBB1465_213:
	s_or_b64 exec, exec, s[0:1]
	s_waitcnt vmcnt(11)
	v_xor_b32_e32 v15, 0x80000000, v15
	v_lshrrev_b32_e32 v0, s64, v15
	v_and_b32_e32 v30, s14, v0
	s_movk_i32 s4, 0x44
	v_mul_lo_u32 v0, v30, s4
	v_lshl_add_u32 v37, v28, 2, v0
	v_and_b32_e32 v0, 1, v30
	v_mov_b32_e32 v1, 0
	v_lshl_add_u64 v[8:9], v[0:1], 0, -1
	v_cmp_ne_u32_e32 vcc, 0, v0
	; wave barrier
	s_nop 1
	v_xor_b32_e32 v8, vcc_lo, v8
	v_xor_b32_e32 v0, vcc_hi, v9
	v_and_b32_e32 v33, exec_lo, v8
	v_lshlrev_b32_e32 v9, 30, v30
	v_mov_b32_e32 v8, v1
	v_cmp_gt_i64_e32 vcc, 0, v[8:9]
	v_not_b32_e32 v8, v9
	v_ashrrev_i32_e32 v8, 31, v8
	v_and_b32_e32 v0, exec_hi, v0
	v_xor_b32_e32 v9, vcc_hi, v8
	v_xor_b32_e32 v8, vcc_lo, v8
	v_and_b32_e32 v0, v0, v9
	v_and_b32_e32 v33, v33, v8
	v_lshlrev_b32_e32 v9, 29, v30
	v_mov_b32_e32 v8, v1
	v_cmp_gt_i64_e32 vcc, 0, v[8:9]
	v_not_b32_e32 v8, v9
	v_ashrrev_i32_e32 v8, 31, v8
	v_xor_b32_e32 v9, vcc_hi, v8
	v_xor_b32_e32 v8, vcc_lo, v8
	v_and_b32_e32 v0, v0, v9
	v_and_b32_e32 v33, v33, v8
	v_lshlrev_b32_e32 v9, 28, v30
	v_mov_b32_e32 v8, v1
	v_cmp_gt_i64_e32 vcc, 0, v[8:9]
	v_not_b32_e32 v8, v9
	v_ashrrev_i32_e32 v8, 31, v8
	;; [unrolled: 9-line block ×6, first 2 shown]
	v_xor_b32_e32 v9, vcc_hi, v8
	v_xor_b32_e32 v8, vcc_lo, v8
	ds_read_b32 v27, v37 offset:64
	v_and_b32_e32 v8, v33, v8
	v_and_b32_e32 v9, v0, v9
	v_mbcnt_lo_u32_b32 v0, v8, 0
	v_mbcnt_hi_u32_b32 v30, v9, v0
	v_cmp_eq_u32_e32 vcc, 0, v30
	v_cmp_ne_u64_e64 s[0:1], 0, v[8:9]
	s_and_b64 s[6:7], s[0:1], vcc
	; wave barrier
	s_and_saveexec_b64 s[0:1], s[6:7]
	s_cbranch_execz .LBB1465_215
; %bb.214:
	v_bcnt_u32_b32 v0, v8, 0
	v_bcnt_u32_b32 v0, v9, v0
	s_waitcnt lgkmcnt(0)
	v_add_u32_e32 v0, v27, v0
	ds_write_b32 v37, v0 offset:64
.LBB1465_215:
	s_or_b64 exec, exec, s[0:1]
	s_waitcnt vmcnt(10)
	v_xor_b32_e32 v19, 0x80000000, v19
	v_lshrrev_b32_e32 v0, s64, v19
	v_and_b32_e32 v35, s14, v0
	v_mul_lo_u32 v0, v35, s4
	v_lshl_add_u32 v41, v28, 2, v0
	v_and_b32_e32 v0, 1, v35
	v_lshl_add_u64 v[8:9], v[0:1], 0, -1
	v_cmp_ne_u32_e32 vcc, 0, v0
	; wave barrier
	s_nop 1
	v_xor_b32_e32 v8, vcc_lo, v8
	v_xor_b32_e32 v0, vcc_hi, v9
	v_and_b32_e32 v38, exec_lo, v8
	v_lshlrev_b32_e32 v9, 30, v35
	v_mov_b32_e32 v8, v1
	v_cmp_gt_i64_e32 vcc, 0, v[8:9]
	v_not_b32_e32 v8, v9
	v_ashrrev_i32_e32 v8, 31, v8
	v_and_b32_e32 v0, exec_hi, v0
	v_xor_b32_e32 v9, vcc_hi, v8
	v_xor_b32_e32 v8, vcc_lo, v8
	v_and_b32_e32 v0, v0, v9
	v_and_b32_e32 v38, v38, v8
	v_lshlrev_b32_e32 v9, 29, v35
	v_mov_b32_e32 v8, v1
	v_cmp_gt_i64_e32 vcc, 0, v[8:9]
	v_not_b32_e32 v8, v9
	v_ashrrev_i32_e32 v8, 31, v8
	v_xor_b32_e32 v9, vcc_hi, v8
	v_xor_b32_e32 v8, vcc_lo, v8
	v_and_b32_e32 v0, v0, v9
	v_and_b32_e32 v38, v38, v8
	v_lshlrev_b32_e32 v9, 28, v35
	v_mov_b32_e32 v8, v1
	v_cmp_gt_i64_e32 vcc, 0, v[8:9]
	v_not_b32_e32 v8, v9
	v_ashrrev_i32_e32 v8, 31, v8
	;; [unrolled: 9-line block ×5, first 2 shown]
	v_xor_b32_e32 v9, vcc_hi, v8
	v_xor_b32_e32 v8, vcc_lo, v8
	v_and_b32_e32 v0, v0, v9
	v_lshlrev_b32_e32 v9, 24, v35
	v_and_b32_e32 v38, v38, v8
	v_mov_b32_e32 v8, v1
	v_not_b32_e32 v1, v9
	v_cmp_gt_i64_e32 vcc, 0, v[8:9]
	v_ashrrev_i32_e32 v1, 31, v1
	ds_read_b32 v33, v41 offset:64
	v_xor_b32_e32 v8, vcc_hi, v1
	v_xor_b32_e32 v9, vcc_lo, v1
	v_and_b32_e32 v1, v0, v8
	v_and_b32_e32 v0, v38, v9
	v_mbcnt_lo_u32_b32 v8, v0, 0
	v_mbcnt_hi_u32_b32 v35, v1, v8
	v_cmp_eq_u32_e32 vcc, 0, v35
	v_cmp_ne_u64_e64 s[0:1], 0, v[0:1]
	s_and_b64 s[4:5], s[0:1], vcc
	; wave barrier
	s_and_saveexec_b64 s[0:1], s[4:5]
	s_cbranch_execz .LBB1465_217
; %bb.216:
	v_bcnt_u32_b32 v0, v0, 0
	v_bcnt_u32_b32 v0, v1, v0
	s_waitcnt lgkmcnt(0)
	v_add_u32_e32 v0, v33, v0
	ds_write_b32 v41, v0 offset:64
.LBB1465_217:
	s_or_b64 exec, exec, s[0:1]
	s_waitcnt vmcnt(9)
	v_xor_b32_e32 v23, 0x80000000, v23
	v_lshrrev_b32_e32 v0, s64, v23
	v_and_b32_e32 v42, s14, v0
	s_movk_i32 s4, 0x44
	v_mul_lo_u32 v0, v42, s4
	v_lshl_add_u32 v46, v28, 2, v0
	v_and_b32_e32 v0, 1, v42
	v_mov_b32_e32 v1, 0
	v_lshl_add_u64 v[8:9], v[0:1], 0, -1
	v_cmp_ne_u32_e32 vcc, 0, v0
	; wave barrier
	s_nop 1
	v_xor_b32_e32 v8, vcc_lo, v8
	v_xor_b32_e32 v0, vcc_hi, v9
	v_and_b32_e32 v43, exec_lo, v8
	v_lshlrev_b32_e32 v9, 30, v42
	v_mov_b32_e32 v8, v1
	v_cmp_gt_i64_e32 vcc, 0, v[8:9]
	v_not_b32_e32 v8, v9
	v_ashrrev_i32_e32 v8, 31, v8
	v_and_b32_e32 v0, exec_hi, v0
	v_xor_b32_e32 v9, vcc_hi, v8
	v_xor_b32_e32 v8, vcc_lo, v8
	v_and_b32_e32 v0, v0, v9
	v_and_b32_e32 v43, v43, v8
	v_lshlrev_b32_e32 v9, 29, v42
	v_mov_b32_e32 v8, v1
	v_cmp_gt_i64_e32 vcc, 0, v[8:9]
	v_not_b32_e32 v8, v9
	v_ashrrev_i32_e32 v8, 31, v8
	v_xor_b32_e32 v9, vcc_hi, v8
	v_xor_b32_e32 v8, vcc_lo, v8
	v_and_b32_e32 v0, v0, v9
	v_and_b32_e32 v43, v43, v8
	v_lshlrev_b32_e32 v9, 28, v42
	v_mov_b32_e32 v8, v1
	v_cmp_gt_i64_e32 vcc, 0, v[8:9]
	v_not_b32_e32 v8, v9
	v_ashrrev_i32_e32 v8, 31, v8
	;; [unrolled: 9-line block ×6, first 2 shown]
	v_xor_b32_e32 v9, vcc_hi, v8
	v_xor_b32_e32 v8, vcc_lo, v8
	ds_read_b32 v38, v46 offset:64
	v_and_b32_e32 v8, v43, v8
	v_and_b32_e32 v9, v0, v9
	v_mbcnt_lo_u32_b32 v0, v8, 0
	v_mbcnt_hi_u32_b32 v42, v9, v0
	v_cmp_eq_u32_e32 vcc, 0, v42
	v_cmp_ne_u64_e64 s[0:1], 0, v[8:9]
	s_and_b64 s[6:7], s[0:1], vcc
	; wave barrier
	s_and_saveexec_b64 s[0:1], s[6:7]
	s_cbranch_execz .LBB1465_219
; %bb.218:
	v_bcnt_u32_b32 v0, v8, 0
	v_bcnt_u32_b32 v0, v9, v0
	s_waitcnt lgkmcnt(0)
	v_add_u32_e32 v0, v38, v0
	ds_write_b32 v46, v0 offset:64
.LBB1465_219:
	s_or_b64 exec, exec, s[0:1]
	s_waitcnt vmcnt(8)
	v_xor_b32_e32 v29, 0x80000000, v29
	v_lshrrev_b32_e32 v0, s64, v29
	v_and_b32_e32 v47, s14, v0
	v_mul_lo_u32 v0, v47, s4
	v_lshl_add_u32 v49, v28, 2, v0
	v_and_b32_e32 v0, 1, v47
	v_lshl_add_u64 v[8:9], v[0:1], 0, -1
	v_cmp_ne_u32_e32 vcc, 0, v0
	; wave barrier
	s_nop 1
	v_xor_b32_e32 v8, vcc_lo, v8
	v_xor_b32_e32 v0, vcc_hi, v9
	v_and_b32_e32 v48, exec_lo, v8
	v_lshlrev_b32_e32 v9, 30, v47
	v_mov_b32_e32 v8, v1
	v_cmp_gt_i64_e32 vcc, 0, v[8:9]
	v_not_b32_e32 v8, v9
	v_ashrrev_i32_e32 v8, 31, v8
	v_and_b32_e32 v0, exec_hi, v0
	v_xor_b32_e32 v9, vcc_hi, v8
	v_xor_b32_e32 v8, vcc_lo, v8
	v_and_b32_e32 v0, v0, v9
	v_and_b32_e32 v48, v48, v8
	v_lshlrev_b32_e32 v9, 29, v47
	v_mov_b32_e32 v8, v1
	v_cmp_gt_i64_e32 vcc, 0, v[8:9]
	v_not_b32_e32 v8, v9
	v_ashrrev_i32_e32 v8, 31, v8
	v_xor_b32_e32 v9, vcc_hi, v8
	v_xor_b32_e32 v8, vcc_lo, v8
	v_and_b32_e32 v0, v0, v9
	v_and_b32_e32 v48, v48, v8
	v_lshlrev_b32_e32 v9, 28, v47
	v_mov_b32_e32 v8, v1
	v_cmp_gt_i64_e32 vcc, 0, v[8:9]
	v_not_b32_e32 v8, v9
	v_ashrrev_i32_e32 v8, 31, v8
	;; [unrolled: 9-line block ×5, first 2 shown]
	v_xor_b32_e32 v9, vcc_hi, v8
	v_xor_b32_e32 v8, vcc_lo, v8
	v_and_b32_e32 v0, v0, v9
	v_lshlrev_b32_e32 v9, 24, v47
	v_and_b32_e32 v48, v48, v8
	v_mov_b32_e32 v8, v1
	v_not_b32_e32 v1, v9
	v_cmp_gt_i64_e32 vcc, 0, v[8:9]
	v_ashrrev_i32_e32 v1, 31, v1
	ds_read_b32 v43, v49 offset:64
	v_xor_b32_e32 v8, vcc_hi, v1
	v_xor_b32_e32 v9, vcc_lo, v1
	v_and_b32_e32 v1, v0, v8
	v_and_b32_e32 v0, v48, v9
	v_mbcnt_lo_u32_b32 v8, v0, 0
	v_mbcnt_hi_u32_b32 v47, v1, v8
	v_cmp_eq_u32_e32 vcc, 0, v47
	v_cmp_ne_u64_e64 s[0:1], 0, v[0:1]
	s_and_b64 s[4:5], s[0:1], vcc
	; wave barrier
	s_and_saveexec_b64 s[0:1], s[4:5]
	s_cbranch_execz .LBB1465_221
; %bb.220:
	v_bcnt_u32_b32 v0, v0, 0
	v_bcnt_u32_b32 v0, v1, v0
	s_waitcnt lgkmcnt(0)
	v_add_u32_e32 v0, v43, v0
	ds_write_b32 v49, v0 offset:64
.LBB1465_221:
	s_or_b64 exec, exec, s[0:1]
	s_waitcnt vmcnt(7)
	v_xor_b32_e32 v34, 0x80000000, v34
	v_lshrrev_b32_e32 v0, s64, v34
	v_and_b32_e32 v50, s14, v0
	s_movk_i32 s4, 0x44
	v_mul_lo_u32 v0, v50, s4
	v_lshl_add_u32 v52, v28, 2, v0
	v_and_b32_e32 v0, 1, v50
	v_mov_b32_e32 v1, 0
	v_lshl_add_u64 v[8:9], v[0:1], 0, -1
	v_cmp_ne_u32_e32 vcc, 0, v0
	; wave barrier
	s_nop 1
	v_xor_b32_e32 v8, vcc_lo, v8
	v_xor_b32_e32 v0, vcc_hi, v9
	v_and_b32_e32 v51, exec_lo, v8
	v_lshlrev_b32_e32 v9, 30, v50
	v_mov_b32_e32 v8, v1
	v_cmp_gt_i64_e32 vcc, 0, v[8:9]
	v_not_b32_e32 v8, v9
	v_ashrrev_i32_e32 v8, 31, v8
	v_and_b32_e32 v0, exec_hi, v0
	v_xor_b32_e32 v9, vcc_hi, v8
	v_xor_b32_e32 v8, vcc_lo, v8
	v_and_b32_e32 v0, v0, v9
	v_and_b32_e32 v51, v51, v8
	v_lshlrev_b32_e32 v9, 29, v50
	v_mov_b32_e32 v8, v1
	v_cmp_gt_i64_e32 vcc, 0, v[8:9]
	v_not_b32_e32 v8, v9
	v_ashrrev_i32_e32 v8, 31, v8
	v_xor_b32_e32 v9, vcc_hi, v8
	v_xor_b32_e32 v8, vcc_lo, v8
	v_and_b32_e32 v0, v0, v9
	v_and_b32_e32 v51, v51, v8
	v_lshlrev_b32_e32 v9, 28, v50
	v_mov_b32_e32 v8, v1
	v_cmp_gt_i64_e32 vcc, 0, v[8:9]
	v_not_b32_e32 v8, v9
	v_ashrrev_i32_e32 v8, 31, v8
	;; [unrolled: 9-line block ×6, first 2 shown]
	v_xor_b32_e32 v9, vcc_hi, v8
	v_xor_b32_e32 v8, vcc_lo, v8
	ds_read_b32 v48, v52 offset:64
	v_and_b32_e32 v8, v51, v8
	v_and_b32_e32 v9, v0, v9
	v_mbcnt_lo_u32_b32 v0, v8, 0
	v_mbcnt_hi_u32_b32 v50, v9, v0
	v_cmp_eq_u32_e32 vcc, 0, v50
	v_cmp_ne_u64_e64 s[0:1], 0, v[8:9]
	s_and_b64 s[6:7], s[0:1], vcc
	; wave barrier
	s_and_saveexec_b64 s[0:1], s[6:7]
	s_cbranch_execz .LBB1465_223
; %bb.222:
	v_bcnt_u32_b32 v0, v8, 0
	v_bcnt_u32_b32 v0, v9, v0
	s_waitcnt lgkmcnt(0)
	v_add_u32_e32 v0, v48, v0
	ds_write_b32 v52, v0 offset:64
.LBB1465_223:
	s_or_b64 exec, exec, s[0:1]
	s_waitcnt vmcnt(6)
	v_xor_b32_e32 v39, 0x80000000, v39
	v_lshrrev_b32_e32 v0, s64, v39
	v_and_b32_e32 v53, s14, v0
	v_mul_lo_u32 v0, v53, s4
	v_lshl_add_u32 v55, v28, 2, v0
	v_and_b32_e32 v0, 1, v53
	v_lshl_add_u64 v[8:9], v[0:1], 0, -1
	v_cmp_ne_u32_e32 vcc, 0, v0
	; wave barrier
	s_nop 1
	v_xor_b32_e32 v8, vcc_lo, v8
	v_xor_b32_e32 v0, vcc_hi, v9
	v_and_b32_e32 v54, exec_lo, v8
	v_lshlrev_b32_e32 v9, 30, v53
	v_mov_b32_e32 v8, v1
	v_cmp_gt_i64_e32 vcc, 0, v[8:9]
	v_not_b32_e32 v8, v9
	v_ashrrev_i32_e32 v8, 31, v8
	v_and_b32_e32 v0, exec_hi, v0
	v_xor_b32_e32 v9, vcc_hi, v8
	v_xor_b32_e32 v8, vcc_lo, v8
	v_and_b32_e32 v0, v0, v9
	v_and_b32_e32 v54, v54, v8
	v_lshlrev_b32_e32 v9, 29, v53
	v_mov_b32_e32 v8, v1
	v_cmp_gt_i64_e32 vcc, 0, v[8:9]
	v_not_b32_e32 v8, v9
	v_ashrrev_i32_e32 v8, 31, v8
	v_xor_b32_e32 v9, vcc_hi, v8
	v_xor_b32_e32 v8, vcc_lo, v8
	v_and_b32_e32 v0, v0, v9
	v_and_b32_e32 v54, v54, v8
	v_lshlrev_b32_e32 v9, 28, v53
	v_mov_b32_e32 v8, v1
	v_cmp_gt_i64_e32 vcc, 0, v[8:9]
	v_not_b32_e32 v8, v9
	v_ashrrev_i32_e32 v8, 31, v8
	;; [unrolled: 9-line block ×5, first 2 shown]
	v_xor_b32_e32 v9, vcc_hi, v8
	v_xor_b32_e32 v8, vcc_lo, v8
	v_and_b32_e32 v0, v0, v9
	v_lshlrev_b32_e32 v9, 24, v53
	v_and_b32_e32 v54, v54, v8
	v_mov_b32_e32 v8, v1
	v_not_b32_e32 v1, v9
	v_cmp_gt_i64_e32 vcc, 0, v[8:9]
	v_ashrrev_i32_e32 v1, 31, v1
	ds_read_b32 v51, v55 offset:64
	v_xor_b32_e32 v8, vcc_hi, v1
	v_xor_b32_e32 v9, vcc_lo, v1
	v_and_b32_e32 v1, v0, v8
	v_and_b32_e32 v0, v54, v9
	v_mbcnt_lo_u32_b32 v8, v0, 0
	v_mbcnt_hi_u32_b32 v53, v1, v8
	v_cmp_eq_u32_e32 vcc, 0, v53
	v_cmp_ne_u64_e64 s[0:1], 0, v[0:1]
	s_and_b64 s[4:5], s[0:1], vcc
	; wave barrier
	s_and_saveexec_b64 s[0:1], s[4:5]
	s_cbranch_execz .LBB1465_225
; %bb.224:
	v_bcnt_u32_b32 v0, v0, 0
	v_bcnt_u32_b32 v0, v1, v0
	s_waitcnt lgkmcnt(0)
	v_add_u32_e32 v0, v51, v0
	ds_write_b32 v55, v0 offset:64
.LBB1465_225:
	s_or_b64 exec, exec, s[0:1]
	s_waitcnt vmcnt(5)
	v_xor_b32_e32 v44, 0x80000000, v44
	v_lshrrev_b32_e32 v0, s64, v44
	v_and_b32_e32 v56, s14, v0
	s_movk_i32 s4, 0x44
	v_mul_lo_u32 v0, v56, s4
	v_lshl_add_u32 v58, v28, 2, v0
	v_and_b32_e32 v0, 1, v56
	v_mov_b32_e32 v1, 0
	v_lshl_add_u64 v[8:9], v[0:1], 0, -1
	v_cmp_ne_u32_e32 vcc, 0, v0
	; wave barrier
	s_nop 1
	v_xor_b32_e32 v8, vcc_lo, v8
	v_xor_b32_e32 v0, vcc_hi, v9
	v_and_b32_e32 v57, exec_lo, v8
	v_lshlrev_b32_e32 v9, 30, v56
	v_mov_b32_e32 v8, v1
	v_cmp_gt_i64_e32 vcc, 0, v[8:9]
	v_not_b32_e32 v8, v9
	v_ashrrev_i32_e32 v8, 31, v8
	v_and_b32_e32 v0, exec_hi, v0
	v_xor_b32_e32 v9, vcc_hi, v8
	v_xor_b32_e32 v8, vcc_lo, v8
	v_and_b32_e32 v0, v0, v9
	v_and_b32_e32 v57, v57, v8
	v_lshlrev_b32_e32 v9, 29, v56
	v_mov_b32_e32 v8, v1
	v_cmp_gt_i64_e32 vcc, 0, v[8:9]
	v_not_b32_e32 v8, v9
	v_ashrrev_i32_e32 v8, 31, v8
	v_xor_b32_e32 v9, vcc_hi, v8
	v_xor_b32_e32 v8, vcc_lo, v8
	v_and_b32_e32 v0, v0, v9
	v_and_b32_e32 v57, v57, v8
	v_lshlrev_b32_e32 v9, 28, v56
	v_mov_b32_e32 v8, v1
	v_cmp_gt_i64_e32 vcc, 0, v[8:9]
	v_not_b32_e32 v8, v9
	v_ashrrev_i32_e32 v8, 31, v8
	;; [unrolled: 9-line block ×6, first 2 shown]
	v_xor_b32_e32 v9, vcc_hi, v8
	v_xor_b32_e32 v8, vcc_lo, v8
	ds_read_b32 v54, v58 offset:64
	v_and_b32_e32 v8, v57, v8
	v_and_b32_e32 v9, v0, v9
	v_mbcnt_lo_u32_b32 v0, v8, 0
	v_mbcnt_hi_u32_b32 v56, v9, v0
	v_cmp_eq_u32_e32 vcc, 0, v56
	v_cmp_ne_u64_e64 s[0:1], 0, v[8:9]
	s_and_b64 s[6:7], s[0:1], vcc
	; wave barrier
	s_and_saveexec_b64 s[0:1], s[6:7]
	s_cbranch_execz .LBB1465_227
; %bb.226:
	v_bcnt_u32_b32 v0, v8, 0
	v_bcnt_u32_b32 v0, v9, v0
	s_waitcnt lgkmcnt(0)
	v_add_u32_e32 v0, v54, v0
	ds_write_b32 v58, v0 offset:64
.LBB1465_227:
	s_or_b64 exec, exec, s[0:1]
	s_waitcnt vmcnt(4)
	v_xor_b32_e32 v45, 0x80000000, v45
	v_lshrrev_b32_e32 v0, s64, v45
	v_and_b32_e32 v59, s14, v0
	v_mul_lo_u32 v0, v59, s4
	v_lshl_add_u32 v62, v28, 2, v0
	v_and_b32_e32 v0, 1, v59
	v_lshl_add_u64 v[8:9], v[0:1], 0, -1
	v_cmp_ne_u32_e32 vcc, 0, v0
	; wave barrier
	s_nop 1
	v_xor_b32_e32 v8, vcc_lo, v8
	v_xor_b32_e32 v0, vcc_hi, v9
	v_and_b32_e32 v60, exec_lo, v8
	v_lshlrev_b32_e32 v9, 30, v59
	v_mov_b32_e32 v8, v1
	v_cmp_gt_i64_e32 vcc, 0, v[8:9]
	v_not_b32_e32 v8, v9
	v_ashrrev_i32_e32 v8, 31, v8
	v_and_b32_e32 v0, exec_hi, v0
	v_xor_b32_e32 v9, vcc_hi, v8
	v_xor_b32_e32 v8, vcc_lo, v8
	v_and_b32_e32 v0, v0, v9
	v_and_b32_e32 v60, v60, v8
	v_lshlrev_b32_e32 v9, 29, v59
	v_mov_b32_e32 v8, v1
	v_cmp_gt_i64_e32 vcc, 0, v[8:9]
	v_not_b32_e32 v8, v9
	v_ashrrev_i32_e32 v8, 31, v8
	v_xor_b32_e32 v9, vcc_hi, v8
	v_xor_b32_e32 v8, vcc_lo, v8
	v_and_b32_e32 v0, v0, v9
	v_and_b32_e32 v60, v60, v8
	v_lshlrev_b32_e32 v9, 28, v59
	v_mov_b32_e32 v8, v1
	v_cmp_gt_i64_e32 vcc, 0, v[8:9]
	v_not_b32_e32 v8, v9
	v_ashrrev_i32_e32 v8, 31, v8
	;; [unrolled: 9-line block ×5, first 2 shown]
	v_xor_b32_e32 v9, vcc_hi, v8
	v_xor_b32_e32 v8, vcc_lo, v8
	v_and_b32_e32 v0, v0, v9
	v_lshlrev_b32_e32 v9, 24, v59
	v_and_b32_e32 v60, v60, v8
	v_mov_b32_e32 v8, v1
	v_not_b32_e32 v1, v9
	v_cmp_gt_i64_e32 vcc, 0, v[8:9]
	v_ashrrev_i32_e32 v1, 31, v1
	ds_read_b32 v57, v62 offset:64
	v_xor_b32_e32 v8, vcc_hi, v1
	v_xor_b32_e32 v9, vcc_lo, v1
	v_and_b32_e32 v1, v0, v8
	v_and_b32_e32 v0, v60, v9
	v_mbcnt_lo_u32_b32 v8, v0, 0
	v_mbcnt_hi_u32_b32 v59, v1, v8
	v_cmp_eq_u32_e32 vcc, 0, v59
	v_cmp_ne_u64_e64 s[0:1], 0, v[0:1]
	s_and_b64 s[4:5], s[0:1], vcc
	; wave barrier
	s_and_saveexec_b64 s[0:1], s[4:5]
	s_cbranch_execz .LBB1465_229
; %bb.228:
	v_bcnt_u32_b32 v0, v0, 0
	v_bcnt_u32_b32 v0, v1, v0
	s_waitcnt lgkmcnt(0)
	v_add_u32_e32 v0, v57, v0
	ds_write_b32 v62, v0 offset:64
.LBB1465_229:
	s_or_b64 exec, exec, s[0:1]
	s_waitcnt vmcnt(3)
	v_xor_b32_e32 v40, 0x80000000, v40
	v_lshrrev_b32_e32 v0, s64, v40
	v_and_b32_e32 v61, s14, v0
	s_movk_i32 s4, 0x44
	v_mul_lo_u32 v0, v61, s4
	v_lshl_add_u32 v65, v28, 2, v0
	v_and_b32_e32 v0, 1, v61
	v_mov_b32_e32 v1, 0
	v_lshl_add_u64 v[8:9], v[0:1], 0, -1
	v_cmp_ne_u32_e32 vcc, 0, v0
	; wave barrier
	s_nop 1
	v_xor_b32_e32 v8, vcc_lo, v8
	v_xor_b32_e32 v0, vcc_hi, v9
	v_and_b32_e32 v63, exec_lo, v8
	v_lshlrev_b32_e32 v9, 30, v61
	v_mov_b32_e32 v8, v1
	v_cmp_gt_i64_e32 vcc, 0, v[8:9]
	v_not_b32_e32 v8, v9
	v_ashrrev_i32_e32 v8, 31, v8
	v_and_b32_e32 v0, exec_hi, v0
	v_xor_b32_e32 v9, vcc_hi, v8
	v_xor_b32_e32 v8, vcc_lo, v8
	v_and_b32_e32 v0, v0, v9
	v_and_b32_e32 v63, v63, v8
	v_lshlrev_b32_e32 v9, 29, v61
	v_mov_b32_e32 v8, v1
	v_cmp_gt_i64_e32 vcc, 0, v[8:9]
	v_not_b32_e32 v8, v9
	v_ashrrev_i32_e32 v8, 31, v8
	v_xor_b32_e32 v9, vcc_hi, v8
	v_xor_b32_e32 v8, vcc_lo, v8
	v_and_b32_e32 v0, v0, v9
	v_and_b32_e32 v63, v63, v8
	v_lshlrev_b32_e32 v9, 28, v61
	v_mov_b32_e32 v8, v1
	v_cmp_gt_i64_e32 vcc, 0, v[8:9]
	v_not_b32_e32 v8, v9
	v_ashrrev_i32_e32 v8, 31, v8
	;; [unrolled: 9-line block ×6, first 2 shown]
	v_xor_b32_e32 v9, vcc_hi, v8
	v_xor_b32_e32 v8, vcc_lo, v8
	ds_read_b32 v60, v65 offset:64
	v_and_b32_e32 v8, v63, v8
	v_and_b32_e32 v9, v0, v9
	v_mbcnt_lo_u32_b32 v0, v8, 0
	v_mbcnt_hi_u32_b32 v63, v9, v0
	v_cmp_eq_u32_e32 vcc, 0, v63
	v_cmp_ne_u64_e64 s[0:1], 0, v[8:9]
	s_and_b64 s[6:7], s[0:1], vcc
	; wave barrier
	s_and_saveexec_b64 s[0:1], s[6:7]
	s_cbranch_execz .LBB1465_231
; %bb.230:
	v_bcnt_u32_b32 v0, v8, 0
	v_bcnt_u32_b32 v0, v9, v0
	s_waitcnt lgkmcnt(0)
	v_add_u32_e32 v0, v60, v0
	ds_write_b32 v65, v0 offset:64
.LBB1465_231:
	s_or_b64 exec, exec, s[0:1]
	s_waitcnt vmcnt(2)
	v_xor_b32_e32 v36, 0x80000000, v36
	v_lshrrev_b32_e32 v0, s64, v36
	v_and_b32_e32 v61, s14, v0
	v_mul_lo_u32 v0, v61, s4
	v_lshl_add_u32 v68, v28, 2, v0
	v_and_b32_e32 v0, 1, v61
	v_lshl_add_u64 v[8:9], v[0:1], 0, -1
	v_cmp_ne_u32_e32 vcc, 0, v0
	; wave barrier
	s_nop 1
	v_xor_b32_e32 v8, vcc_lo, v8
	v_xor_b32_e32 v0, vcc_hi, v9
	v_and_b32_e32 v66, exec_lo, v8
	v_lshlrev_b32_e32 v9, 30, v61
	v_mov_b32_e32 v8, v1
	v_cmp_gt_i64_e32 vcc, 0, v[8:9]
	v_not_b32_e32 v8, v9
	v_ashrrev_i32_e32 v8, 31, v8
	v_and_b32_e32 v0, exec_hi, v0
	v_xor_b32_e32 v9, vcc_hi, v8
	v_xor_b32_e32 v8, vcc_lo, v8
	v_and_b32_e32 v0, v0, v9
	v_and_b32_e32 v66, v66, v8
	v_lshlrev_b32_e32 v9, 29, v61
	v_mov_b32_e32 v8, v1
	v_cmp_gt_i64_e32 vcc, 0, v[8:9]
	v_not_b32_e32 v8, v9
	v_ashrrev_i32_e32 v8, 31, v8
	v_xor_b32_e32 v9, vcc_hi, v8
	v_xor_b32_e32 v8, vcc_lo, v8
	v_and_b32_e32 v0, v0, v9
	v_and_b32_e32 v66, v66, v8
	v_lshlrev_b32_e32 v9, 28, v61
	v_mov_b32_e32 v8, v1
	v_cmp_gt_i64_e32 vcc, 0, v[8:9]
	v_not_b32_e32 v8, v9
	v_ashrrev_i32_e32 v8, 31, v8
	;; [unrolled: 9-line block ×5, first 2 shown]
	v_xor_b32_e32 v9, vcc_hi, v8
	v_xor_b32_e32 v8, vcc_lo, v8
	v_and_b32_e32 v0, v0, v9
	v_lshlrev_b32_e32 v9, 24, v61
	v_and_b32_e32 v66, v66, v8
	v_mov_b32_e32 v8, v1
	v_not_b32_e32 v1, v9
	v_cmp_gt_i64_e32 vcc, 0, v[8:9]
	v_ashrrev_i32_e32 v1, 31, v1
	ds_read_b32 v64, v68 offset:64
	v_xor_b32_e32 v8, vcc_hi, v1
	v_xor_b32_e32 v9, vcc_lo, v1
	v_and_b32_e32 v1, v0, v8
	v_and_b32_e32 v0, v66, v9
	v_mbcnt_lo_u32_b32 v8, v0, 0
	v_mbcnt_hi_u32_b32 v66, v1, v8
	v_cmp_eq_u32_e32 vcc, 0, v66
	v_cmp_ne_u64_e64 s[0:1], 0, v[0:1]
	s_and_b64 s[4:5], s[0:1], vcc
	; wave barrier
	s_and_saveexec_b64 s[0:1], s[4:5]
	s_cbranch_execz .LBB1465_233
; %bb.232:
	v_bcnt_u32_b32 v0, v0, 0
	v_bcnt_u32_b32 v0, v1, v0
	s_waitcnt lgkmcnt(0)
	v_add_u32_e32 v0, v64, v0
	ds_write_b32 v68, v0 offset:64
.LBB1465_233:
	s_or_b64 exec, exec, s[0:1]
	s_waitcnt vmcnt(1)
	v_xor_b32_e32 v31, 0x80000000, v31
	v_lshrrev_b32_e32 v0, s64, v31
	v_and_b32_e32 v61, s14, v0
	s_movk_i32 s4, 0x44
	v_mul_lo_u32 v0, v61, s4
	v_lshl_add_u32 v70, v28, 2, v0
	v_and_b32_e32 v0, 1, v61
	v_mov_b32_e32 v1, 0
	v_lshl_add_u64 v[8:9], v[0:1], 0, -1
	v_cmp_ne_u32_e32 vcc, 0, v0
	; wave barrier
	s_nop 1
	v_xor_b32_e32 v8, vcc_lo, v8
	v_xor_b32_e32 v0, vcc_hi, v9
	v_and_b32_e32 v69, exec_lo, v8
	v_lshlrev_b32_e32 v9, 30, v61
	v_mov_b32_e32 v8, v1
	v_cmp_gt_i64_e32 vcc, 0, v[8:9]
	v_not_b32_e32 v8, v9
	v_ashrrev_i32_e32 v8, 31, v8
	v_and_b32_e32 v0, exec_hi, v0
	v_xor_b32_e32 v9, vcc_hi, v8
	v_xor_b32_e32 v8, vcc_lo, v8
	v_and_b32_e32 v0, v0, v9
	v_and_b32_e32 v69, v69, v8
	v_lshlrev_b32_e32 v9, 29, v61
	v_mov_b32_e32 v8, v1
	v_cmp_gt_i64_e32 vcc, 0, v[8:9]
	v_not_b32_e32 v8, v9
	v_ashrrev_i32_e32 v8, 31, v8
	v_xor_b32_e32 v9, vcc_hi, v8
	v_xor_b32_e32 v8, vcc_lo, v8
	v_and_b32_e32 v0, v0, v9
	v_and_b32_e32 v69, v69, v8
	v_lshlrev_b32_e32 v9, 28, v61
	v_mov_b32_e32 v8, v1
	v_cmp_gt_i64_e32 vcc, 0, v[8:9]
	v_not_b32_e32 v8, v9
	v_ashrrev_i32_e32 v8, 31, v8
	;; [unrolled: 9-line block ×6, first 2 shown]
	v_xor_b32_e32 v9, vcc_hi, v8
	v_xor_b32_e32 v8, vcc_lo, v8
	ds_read_b32 v67, v70 offset:64
	v_and_b32_e32 v8, v69, v8
	v_and_b32_e32 v9, v0, v9
	v_mbcnt_lo_u32_b32 v0, v8, 0
	v_mbcnt_hi_u32_b32 v69, v9, v0
	v_cmp_eq_u32_e32 vcc, 0, v69
	v_cmp_ne_u64_e64 s[0:1], 0, v[8:9]
	s_and_b64 s[6:7], s[0:1], vcc
	; wave barrier
	s_and_saveexec_b64 s[0:1], s[6:7]
	s_cbranch_execz .LBB1465_235
; %bb.234:
	v_bcnt_u32_b32 v0, v8, 0
	v_bcnt_u32_b32 v0, v9, v0
	s_waitcnt lgkmcnt(0)
	v_add_u32_e32 v0, v67, v0
	ds_write_b32 v70, v0 offset:64
.LBB1465_235:
	s_or_b64 exec, exec, s[0:1]
	s_waitcnt vmcnt(0)
	v_xor_b32_e32 v61, 0x80000000, v25
	v_lshrrev_b32_e32 v0, s64, v61
	v_and_b32_e32 v25, s14, v0
	v_mul_lo_u32 v0, v25, s4
	v_lshl_add_u32 v72, v28, 2, v0
	v_and_b32_e32 v0, 1, v25
	v_lshl_add_u64 v[8:9], v[0:1], 0, -1
	v_cmp_ne_u32_e32 vcc, 0, v0
	; wave barrier
	s_nop 1
	v_xor_b32_e32 v8, vcc_lo, v8
	v_xor_b32_e32 v0, vcc_hi, v9
	v_and_b32_e32 v71, exec_lo, v8
	v_lshlrev_b32_e32 v9, 30, v25
	v_mov_b32_e32 v8, v1
	v_cmp_gt_i64_e32 vcc, 0, v[8:9]
	v_not_b32_e32 v8, v9
	v_ashrrev_i32_e32 v8, 31, v8
	v_and_b32_e32 v0, exec_hi, v0
	v_xor_b32_e32 v9, vcc_hi, v8
	v_xor_b32_e32 v8, vcc_lo, v8
	v_and_b32_e32 v0, v0, v9
	v_and_b32_e32 v71, v71, v8
	v_lshlrev_b32_e32 v9, 29, v25
	v_mov_b32_e32 v8, v1
	v_cmp_gt_i64_e32 vcc, 0, v[8:9]
	v_not_b32_e32 v8, v9
	v_ashrrev_i32_e32 v8, 31, v8
	v_xor_b32_e32 v9, vcc_hi, v8
	v_xor_b32_e32 v8, vcc_lo, v8
	v_and_b32_e32 v0, v0, v9
	v_and_b32_e32 v71, v71, v8
	v_lshlrev_b32_e32 v9, 28, v25
	v_mov_b32_e32 v8, v1
	v_cmp_gt_i64_e32 vcc, 0, v[8:9]
	v_not_b32_e32 v8, v9
	v_ashrrev_i32_e32 v8, 31, v8
	;; [unrolled: 9-line block ×5, first 2 shown]
	v_xor_b32_e32 v9, vcc_hi, v8
	v_xor_b32_e32 v8, vcc_lo, v8
	v_and_b32_e32 v0, v0, v9
	v_lshlrev_b32_e32 v9, 24, v25
	v_and_b32_e32 v71, v71, v8
	v_mov_b32_e32 v8, v1
	v_not_b32_e32 v1, v9
	v_cmp_gt_i64_e32 vcc, 0, v[8:9]
	v_ashrrev_i32_e32 v1, 31, v1
	ds_read_b32 v28, v72 offset:64
	v_xor_b32_e32 v8, vcc_hi, v1
	v_xor_b32_e32 v9, vcc_lo, v1
	v_and_b32_e32 v1, v0, v8
	v_and_b32_e32 v0, v71, v9
	v_mbcnt_lo_u32_b32 v8, v0, 0
	v_mbcnt_hi_u32_b32 v71, v1, v8
	v_cmp_eq_u32_e32 vcc, 0, v71
	v_cmp_ne_u64_e64 s[0:1], 0, v[0:1]
	s_and_b64 s[4:5], s[0:1], vcc
	; wave barrier
	s_and_saveexec_b64 s[0:1], s[4:5]
	s_cbranch_execz .LBB1465_237
; %bb.236:
	v_bcnt_u32_b32 v0, v0, 0
	v_bcnt_u32_b32 v0, v1, v0
	s_waitcnt lgkmcnt(0)
	v_add_u32_e32 v0, v28, v0
	ds_write_b32 v72, v0 offset:64
.LBB1465_237:
	s_or_b64 exec, exec, s[0:1]
	; wave barrier
	s_waitcnt lgkmcnt(0)
	s_barrier
	ds_read2_b32 v[8:9], v11 offset0:16 offset1:17
	ds_read2_b32 v[0:1], v11 offset0:18 offset1:19
	ds_read_b32 v25, v11 offset:80
	v_cmp_lt_u32_e64 s[8:9], 31, v10
	s_waitcnt lgkmcnt(1)
	v_add3_u32 v73, v9, v8, v0
	s_waitcnt lgkmcnt(0)
	v_add3_u32 v25, v73, v1, v25
	v_and_b32_e32 v73, 15, v10
	v_cmp_eq_u32_e32 vcc, 0, v73
	v_mov_b32_dpp v74, v25 row_shr:1 row_mask:0xf bank_mask:0xf
	v_cmp_lt_u32_e64 s[0:1], 1, v73
	v_cndmask_b32_e64 v74, v74, 0, vcc
	v_add_u32_e32 v25, v74, v25
	v_cmp_lt_u32_e64 s[6:7], 3, v73
	v_cmp_lt_u32_e64 s[4:5], 7, v73
	v_mov_b32_dpp v74, v25 row_shr:2 row_mask:0xf bank_mask:0xf
	v_cndmask_b32_e64 v74, 0, v74, s[0:1]
	v_add_u32_e32 v25, v25, v74
	s_nop 1
	v_mov_b32_dpp v74, v25 row_shr:4 row_mask:0xf bank_mask:0xf
	v_cndmask_b32_e64 v74, 0, v74, s[6:7]
	v_add_u32_e32 v25, v25, v74
	s_nop 1
	v_mov_b32_dpp v74, v25 row_shr:8 row_mask:0xf bank_mask:0xf
	v_cndmask_b32_e64 v73, 0, v74, s[4:5]
	v_add_u32_e32 v25, v25, v73
	v_bfe_i32 v74, v10, 4, 1
	s_nop 0
	v_mov_b32_dpp v73, v25 row_bcast:15 row_mask:0xf bank_mask:0xf
	v_and_b32_e32 v73, v74, v73
	v_add_u32_e32 v25, v25, v73
	v_lshrrev_b32_e32 v74, 6, v2
	s_nop 0
	v_mov_b32_dpp v73, v25 row_bcast:31 row_mask:0xf bank_mask:0xf
	v_cndmask_b32_e64 v73, 0, v73, s[8:9]
	v_add_u32_e32 v73, v25, v73
	v_and_b32_e32 v25, 63, v2
	v_cmp_eq_u32_e64 s[8:9], 63, v25
	s_and_saveexec_b64 s[12:13], s[8:9]
; %bb.238:
	v_lshlrev_b32_e32 v25, 2, v74
	ds_write_b32 v25, v73
; %bb.239:
	s_or_b64 exec, exec, s[12:13]
	v_cmp_gt_u32_e64 s[8:9], 16, v2
	v_lshlrev_b32_e32 v25, 2, v2
	s_waitcnt lgkmcnt(0)
	s_barrier
	s_and_saveexec_b64 s[12:13], s[8:9]
	s_cbranch_execz .LBB1465_241
; %bb.240:
	ds_read_b32 v75, v25
	s_waitcnt lgkmcnt(0)
	s_nop 0
	v_mov_b32_dpp v76, v75 row_shr:1 row_mask:0xf bank_mask:0xf
	v_cndmask_b32_e64 v76, v76, 0, vcc
	v_add_u32_e32 v75, v76, v75
	s_nop 1
	v_mov_b32_dpp v76, v75 row_shr:2 row_mask:0xf bank_mask:0xf
	v_cndmask_b32_e64 v76, 0, v76, s[0:1]
	v_add_u32_e32 v75, v75, v76
	s_nop 1
	v_mov_b32_dpp v76, v75 row_shr:4 row_mask:0xf bank_mask:0xf
	v_cndmask_b32_e64 v76, 0, v76, s[6:7]
	;; [unrolled: 4-line block ×3, first 2 shown]
	v_add_u32_e32 v75, v75, v76
	ds_write_b32 v25, v75
.LBB1465_241:
	s_or_b64 exec, exec, s[12:13]
	v_cmp_lt_u32_e32 vcc, 63, v2
	v_mov_b32_e32 v75, 0
	s_waitcnt lgkmcnt(0)
	s_barrier
	s_and_saveexec_b64 s[0:1], vcc
; %bb.242:
	v_lshl_add_u32 v74, v74, 2, -4
	ds_read_b32 v75, v74
; %bb.243:
	s_or_b64 exec, exec, s[0:1]
	v_subrev_co_u32_e32 v74, vcc, 1, v10
	v_and_b32_e32 v76, 64, v10
	v_cmp_lt_i32_e64 s[0:1], v74, v76
	s_waitcnt lgkmcnt(0)
	v_add_u32_e32 v73, v75, v73
	s_movk_i32 s4, 0x100
	v_cndmask_b32_e64 v10, v74, v10, s[0:1]
	v_lshlrev_b32_e32 v10, 2, v10
	ds_bpermute_b32 v10, v10, v73
	s_movk_i32 s0, 0xff
	s_waitcnt lgkmcnt(0)
	v_cndmask_b32_e32 v10, v10, v75, vcc
	v_cmp_ne_u32_e32 vcc, 0, v2
	s_nop 1
	v_cndmask_b32_e32 v10, 0, v10, vcc
	v_add_u32_e32 v8, v10, v8
	v_add_u32_e32 v9, v8, v9
	;; [unrolled: 1-line block ×4, first 2 shown]
	ds_write2_b32 v11, v10, v8 offset0:16 offset1:17
	ds_write2_b32 v11, v9, v0 offset0:18 offset1:19
	ds_write_b32 v11, v1 offset:80
	s_waitcnt lgkmcnt(0)
	s_barrier
	ds_read_b32 v81, v18 offset:64
	ds_read_b32 v73, v21 offset:64
	;; [unrolled: 1-line block ×16, first 2 shown]
	v_cmp_lt_u32_e32 vcc, s0, v2
	v_cmp_gt_u32_e64 s[0:1], s4, v2
                                        ; implicit-def: $vgpr18
                                        ; implicit-def: $vgpr21
	s_and_saveexec_b64 s[6:7], s[0:1]
	s_cbranch_execz .LBB1465_247
; %bb.244:
	v_mul_u32_u24_e32 v0, 0x44, v2
	ds_read_b32 v18, v0 offset:64
	v_add_u32_e32 v1, 1, v2
	v_cmp_ne_u32_e64 s[4:5], s4, v1
	v_mov_b32_e32 v0, 0x4000
	s_and_saveexec_b64 s[8:9], s[4:5]
; %bb.245:
	v_mul_u32_u24_e32 v0, 0x44, v1
	ds_read_b32 v0, v0 offset:64
; %bb.246:
	s_or_b64 exec, exec, s[8:9]
	s_waitcnt lgkmcnt(0)
	v_sub_u32_e32 v21, v0, v18
.LBB1465_247:
	s_or_b64 exec, exec, s[6:7]
	v_mov_b32_e32 v1, 0
	s_waitcnt lgkmcnt(0)
	s_barrier
	s_and_saveexec_b64 s[4:5], s[0:1]
	s_cbranch_execz .LBB1465_257
; %bb.248:
	v_lshl_add_u32 v0, s2, 8, v2
	v_lshl_add_u64 v[8:9], v[0:1], 2, s[50:51]
	v_or_b32_e32 v0, 2.0, v21
	s_mov_b64 s[6:7], 0
	s_brev_b32 s15, -4
	s_mov_b32 s16, s2
	v_mov_b32_e32 v49, 0
	global_store_dword v[8:9], v0, off sc1
                                        ; implicit-def: $sgpr0_sgpr1
	s_branch .LBB1465_251
.LBB1465_249:                           ;   in Loop: Header=BB1465_251 Depth=1
	s_or_b64 exec, exec, s[12:13]
.LBB1465_250:                           ;   in Loop: Header=BB1465_251 Depth=1
	s_or_b64 exec, exec, s[8:9]
	v_and_b32_e32 v10, 0x3fffffff, v0
	v_add_u32_e32 v49, v10, v49
	v_cmp_gt_i32_e64 s[0:1], -2.0, v0
	s_and_b64 s[8:9], exec, s[0:1]
	s_or_b64 s[6:7], s[8:9], s[6:7]
	s_andn2_b64 exec, exec, s[6:7]
	s_cbranch_execz .LBB1465_256
.LBB1465_251:                           ; =>This Loop Header: Depth=1
                                        ;     Child Loop BB1465_254 Depth 2
	s_or_b64 s[0:1], s[0:1], exec
	s_cmp_eq_u32 s16, 0
	s_cbranch_scc1 .LBB1465_255
; %bb.252:                              ;   in Loop: Header=BB1465_251 Depth=1
	s_add_i32 s16, s16, -1
	v_lshl_or_b32 v0, s16, 8, v2
	v_lshl_add_u64 v[10:11], v[0:1], 2, s[50:51]
	global_load_dword v0, v[10:11], off sc1
	s_waitcnt vmcnt(0)
	v_cmp_gt_u32_e64 s[0:1], 2.0, v0
	s_and_saveexec_b64 s[8:9], s[0:1]
	s_cbranch_execz .LBB1465_250
; %bb.253:                              ;   in Loop: Header=BB1465_251 Depth=1
	s_mov_b64 s[12:13], 0
.LBB1465_254:                           ;   Parent Loop BB1465_251 Depth=1
                                        ; =>  This Inner Loop Header: Depth=2
	global_load_dword v0, v[10:11], off sc1
	s_waitcnt vmcnt(0)
	v_cmp_lt_u32_e64 s[0:1], s15, v0
	s_or_b64 s[12:13], s[0:1], s[12:13]
	s_andn2_b64 exec, exec, s[12:13]
	s_cbranch_execnz .LBB1465_254
	s_branch .LBB1465_249
.LBB1465_255:                           ;   in Loop: Header=BB1465_251 Depth=1
                                        ; implicit-def: $sgpr16
	s_and_b64 s[8:9], exec, s[0:1]
	s_or_b64 s[6:7], s[8:9], s[6:7]
	s_andn2_b64 exec, exec, s[6:7]
	s_cbranch_execnz .LBB1465_251
.LBB1465_256:
	s_or_b64 exec, exec, s[6:7]
	v_add_u32_e32 v0, v49, v21
	v_or_b32_e32 v0, 0x80000000, v0
	global_store_dword v[8:9], v0, off sc1
	global_load_dword v0, v25, s[60:61]
	v_sub_u32_e32 v1, v49, v18
	s_waitcnt vmcnt(0)
	v_add_u32_e32 v0, v1, v0
	ds_write_b32 v25, v0
.LBB1465_257:
	s_or_b64 exec, exec, s[4:5]
	v_add_u32_e32 v8, v81, v14
	v_add3_u32 v0, v16, v13, v73
	v_add3_u32 v1, v20, v17, v74
	;; [unrolled: 1-line block ×15, first 2 shown]
	v_mov_b32_e32 v85, 0x400
	s_mov_b32 s6, s64
	s_mov_b32 s7, s14
	s_movk_i32 s8, 0x400
	v_lshl_add_u32 v9, v9, 2, v85
	v_add3_u32 v10, v71, v41, v28
	v_lshl_add_u32 v11, v11, 2, v85
	v_add3_u32 v14, v69, v26, v67
	;; [unrolled: 2-line block ×15, first 2 shown]
	v_lshl_add_u32 v16, v8, 2, v85
	s_mov_b32 s9, 0
	s_mov_b32 s12, 0
	s_movk_i32 s13, 0x1000
	v_mov_b32_e32 v1, 0
	s_movk_i32 s15, 0x800
	s_movk_i32 s16, 0xc00
	v_mov_b32_e32 v55, v2
	s_mov_b32 s17, 0
	s_branch .LBB1465_259
.LBB1465_258:                           ;   in Loop: Header=BB1465_259 Depth=1
	s_or_b64 exec, exec, s[4:5]
	s_waitcnt lgkmcnt(0)
	s_barrier
	ds_read2st64_b32 v[56:57], v25 offset0:4 offset1:20
	ds_read2st64_b32 v[62:63], v25 offset0:36 offset1:52
	s_addk_i32 s17, 0xc000
	s_addk_i32 s12, 0xf000
	s_waitcnt lgkmcnt(1)
	v_xor_b32_e32 v60, 0x80000000, v56
	v_lshrrev_b32_e32 v56, s64, v56
	v_lshrrev_b32_e32 v0, s6, v57
	v_and_b32_e32 v56, s14, v56
	v_xor_b32_e32 v66, 0x80000000, v57
	v_and_b32_e32 v57, s7, v0
	v_lshlrev_b32_e32 v0, 2, v56
	ds_read_b32 v0, v0
	s_waitcnt lgkmcnt(1)
	v_lshrrev_b32_e32 v58, s6, v63
	v_lshrrev_b32_e32 v65, s64, v62
	v_and_b32_e32 v59, s7, v58
	v_lshlrev_b32_e32 v64, 2, v57
	v_and_b32_e32 v58, s14, v65
	v_lshlrev_b32_e32 v67, 2, v59
	v_lshlrev_b32_e32 v65, 2, v58
	ds_read_b32 v68, v64
	ds_read_b32 v69, v65
	;; [unrolled: 1-line block ×3, first 2 shown]
	s_waitcnt lgkmcnt(3)
	v_add_u32_e32 v0, v55, v0
	v_lshl_add_u64 v[64:65], v[0:1], 2, s[54:55]
	s_waitcnt lgkmcnt(2)
	v_add3_u32 v0, v55, v68, s8
	global_store_dword v[64:65], v60, off
	v_lshl_add_u64 v[64:65], v[0:1], 2, s[54:55]
	s_waitcnt lgkmcnt(1)
	v_add3_u32 v0, v55, v69, s15
	global_store_dword v[64:65], v66, off
	v_xor_b32_e32 v60, 0x80000000, v62
	v_xor_b32_e32 v64, 0x80000000, v63
	v_lshl_add_u64 v[62:63], v[0:1], 2, s[54:55]
	s_waitcnt lgkmcnt(0)
	v_add3_u32 v0, v55, v67, s16
	global_store_dword v[62:63], v60, off
	v_lshl_add_u64 v[62:63], v[0:1], 2, s[54:55]
	global_store_dword v[62:63], v64, off
	scratch_store_dwordx4 off, v[56:59], s9
	s_add_i32 s9, s9, 16
	s_cmp_eq_u32 s17, 0xffff0000
	v_add_u32_e32 v55, 0x1000, v55
	s_barrier
	s_cbranch_scc1 .LBB1465_291
.LBB1465_259:                           ; =>This Inner Loop Header: Depth=1
	v_add_u32_e32 v0, s12, v8
	v_cmp_gt_u32_e64 s[0:1], s13, v0
	s_and_saveexec_b64 s[4:5], s[0:1]
; %bb.260:                              ;   in Loop: Header=BB1465_259 Depth=1
	v_add_u32_e32 v0, s17, v16
	ds_write_b32 v0, v3
; %bb.261:                              ;   in Loop: Header=BB1465_259 Depth=1
	s_or_b64 exec, exec, s[4:5]
	v_add_u32_e32 v0, s12, v13
	v_cmp_gt_u32_e64 s[0:1], s13, v0
	s_and_saveexec_b64 s[4:5], s[0:1]
; %bb.262:                              ;   in Loop: Header=BB1465_259 Depth=1
	v_add_u32_e32 v0, s17, v20
	ds_write_b32 v0, v5
; %bb.263:                              ;   in Loop: Header=BB1465_259 Depth=1
	s_or_b64 exec, exec, s[4:5]
	;; [unrolled: 8-line block ×15, first 2 shown]
	v_add_u32_e32 v0, s12, v10
	v_cmp_gt_u32_e64 s[0:1], s13, v0
	s_and_saveexec_b64 s[4:5], s[0:1]
	s_cbranch_execz .LBB1465_258
; %bb.290:                              ;   in Loop: Header=BB1465_259 Depth=1
	v_add_u32_e32 v0, s17, v9
	ds_write_b32 v0, v61
	s_branch .LBB1465_258
.LBB1465_291:
	s_add_u32 s0, s56, s10
	s_addc_u32 s1, s57, s11
	v_mov_b32_e32 v5, 0
	v_lshl_add_u64 v[0:1], s[0:1], 0, v[4:5]
	v_mov_b32_e32 v7, v5
	v_lshl_add_u64 v[44:45], v[0:1], 0, v[6:7]
	global_load_dword v0, v[44:45], off
	global_load_dword v1, v[44:45], off offset:256
	global_load_dword v3, v[44:45], off offset:512
	;; [unrolled: 1-line block ×14, first 2 shown]
	s_nop 0
	global_load_dword v44, v[44:45], off offset:3840
	s_mov_b32 s6, 0
	s_mov_b32 s7, 0
	s_movk_i32 s8, 0x1000
	s_movk_i32 s9, 0x400
	;; [unrolled: 1-line block ×4, first 2 shown]
	s_mov_b32 s12, 0
	s_branch .LBB1465_293
.LBB1465_292:                           ;   in Loop: Header=BB1465_293 Depth=1
	s_or_b64 exec, exec, s[4:5]
	s_waitcnt lgkmcnt(0)
	s_barrier
	scratch_load_dwordx4 v[56:59], off, s6
	ds_read2st64_b32 v[60:61], v25 offset0:4 offset1:20
	ds_read2st64_b32 v[62:63], v25 offset0:36 offset1:52
	s_addk_i32 s12, 0xc000
	s_addk_i32 s7, 0xf000
	s_add_i32 s6, s6, 16
	s_cmp_eq_u32 s12, 0xffff0000
	s_waitcnt vmcnt(0)
	v_lshlrev_b32_e32 v4, 2, v56
	ds_read_b32 v4, v4
	v_lshlrev_b32_e32 v45, 2, v57
	v_lshlrev_b32_e32 v55, 2, v58
	;; [unrolled: 1-line block ×3, first 2 shown]
	ds_read_b32 v45, v45
	ds_read_b32 v55, v55
	;; [unrolled: 1-line block ×3, first 2 shown]
	s_waitcnt lgkmcnt(3)
	v_add_u32_e32 v4, v2, v4
	v_lshl_add_u64 v[56:57], v[4:5], 2, s[58:59]
	s_waitcnt lgkmcnt(2)
	v_add3_u32 v4, v2, v45, s9
	global_store_dword v[56:57], v60, off
	v_lshl_add_u64 v[56:57], v[4:5], 2, s[58:59]
	s_waitcnt lgkmcnt(1)
	v_add3_u32 v4, v2, v55, s10
	global_store_dword v[56:57], v61, off
	;; [unrolled: 4-line block ×3, first 2 shown]
	v_lshl_add_u64 v[56:57], v[4:5], 2, s[58:59]
	v_add_u32_e32 v2, 0x1000, v2
	global_store_dword v[56:57], v63, off
	s_barrier
	s_cbranch_scc1 .LBB1465_325
.LBB1465_293:                           ; =>This Inner Loop Header: Depth=1
	v_add_u32_e32 v4, s7, v8
	v_cmp_gt_u32_e64 s[0:1], s8, v4
	s_and_saveexec_b64 s[4:5], s[0:1]
	s_cbranch_execz .LBB1465_295
; %bb.294:                              ;   in Loop: Header=BB1465_293 Depth=1
	v_add_u32_e32 v4, s12, v16
	s_waitcnt vmcnt(15)
	ds_write_b32 v4, v0
.LBB1465_295:                           ;   in Loop: Header=BB1465_293 Depth=1
	s_or_b64 exec, exec, s[4:5]
	v_add_u32_e32 v4, s7, v13
	v_cmp_gt_u32_e64 s[0:1], s8, v4
	s_and_saveexec_b64 s[4:5], s[0:1]
	s_cbranch_execz .LBB1465_297
; %bb.296:                              ;   in Loop: Header=BB1465_293 Depth=1
	v_add_u32_e32 v4, s12, v20
	s_waitcnt vmcnt(14)
	ds_write_b32 v4, v1
.LBB1465_297:                           ;   in Loop: Header=BB1465_293 Depth=1
	s_or_b64 exec, exec, s[4:5]
	;; [unrolled: 10-line block ×15, first 2 shown]
	v_add_u32_e32 v4, s7, v10
	v_cmp_gt_u32_e64 s[0:1], s8, v4
	s_and_saveexec_b64 s[4:5], s[0:1]
	s_cbranch_execz .LBB1465_292
; %bb.324:                              ;   in Loop: Header=BB1465_293 Depth=1
	v_add_u32_e32 v4, s12, v9
	s_waitcnt vmcnt(0)
	ds_write_b32 v4, v44
	s_branch .LBB1465_292
.LBB1465_325:
	s_add_i32 s3, s3, -1
	s_cmp_eq_u32 s2, s3
	s_cselect_b64 s[0:1], -1, 0
	s_xor_b64 s[2:3], vcc, -1
	s_and_b64 s[0:1], s[2:3], s[0:1]
	s_and_saveexec_b64 s[2:3], s[0:1]
	s_cbranch_execz .LBB1465_327
; %bb.326:
	ds_read_b32 v0, v25
	s_waitcnt lgkmcnt(0)
	v_add3_u32 v0, v18, v21, v0
	global_store_dword v25, v0, s[62:63]
.LBB1465_327:
	s_endpgm
	.section	.rodata,"a",@progbits
	.p2align	6, 0x0
	.amdhsa_kernel _ZN7rocprim17ROCPRIM_400000_NS6detail17trampoline_kernelINS0_14default_configENS1_35radix_sort_onesweep_config_selectorIiiEEZZNS1_29radix_sort_onesweep_iterationIS3_Lb0EN6thrust23THRUST_200600_302600_NS6detail15normal_iteratorINS8_10device_ptrIiEEEESD_SD_SD_jNS0_19identity_decomposerENS1_16block_id_wrapperIjLb0EEEEE10hipError_tT1_PNSt15iterator_traitsISI_E10value_typeET2_T3_PNSJ_ISO_E10value_typeET4_T5_PST_SU_PNS1_23onesweep_lookback_stateEbbT6_jjT7_P12ihipStream_tbENKUlT_T0_SI_SN_E_clIPiSD_S15_SD_EEDaS11_S12_SI_SN_EUlS11_E_NS1_11comp_targetILNS1_3genE6ELNS1_11target_archE950ELNS1_3gpuE13ELNS1_3repE0EEENS1_47radix_sort_onesweep_sort_config_static_selectorELNS0_4arch9wavefront6targetE1EEEvSI_
		.amdhsa_group_segment_fixed_size 20552
		.amdhsa_private_segment_fixed_size 80
		.amdhsa_kernarg_size 344
		.amdhsa_user_sgpr_count 2
		.amdhsa_user_sgpr_dispatch_ptr 0
		.amdhsa_user_sgpr_queue_ptr 0
		.amdhsa_user_sgpr_kernarg_segment_ptr 1
		.amdhsa_user_sgpr_dispatch_id 0
		.amdhsa_user_sgpr_kernarg_preload_length 0
		.amdhsa_user_sgpr_kernarg_preload_offset 0
		.amdhsa_user_sgpr_private_segment_size 0
		.amdhsa_uses_dynamic_stack 0
		.amdhsa_enable_private_segment 1
		.amdhsa_system_sgpr_workgroup_id_x 1
		.amdhsa_system_sgpr_workgroup_id_y 0
		.amdhsa_system_sgpr_workgroup_id_z 0
		.amdhsa_system_sgpr_workgroup_info 0
		.amdhsa_system_vgpr_workitem_id 2
		.amdhsa_next_free_vgpr 88
		.amdhsa_next_free_sgpr 70
		.amdhsa_accum_offset 88
		.amdhsa_reserve_vcc 1
		.amdhsa_float_round_mode_32 0
		.amdhsa_float_round_mode_16_64 0
		.amdhsa_float_denorm_mode_32 3
		.amdhsa_float_denorm_mode_16_64 3
		.amdhsa_dx10_clamp 1
		.amdhsa_ieee_mode 1
		.amdhsa_fp16_overflow 0
		.amdhsa_tg_split 0
		.amdhsa_exception_fp_ieee_invalid_op 0
		.amdhsa_exception_fp_denorm_src 0
		.amdhsa_exception_fp_ieee_div_zero 0
		.amdhsa_exception_fp_ieee_overflow 0
		.amdhsa_exception_fp_ieee_underflow 0
		.amdhsa_exception_fp_ieee_inexact 0
		.amdhsa_exception_int_div_zero 0
	.end_amdhsa_kernel
	.section	.text._ZN7rocprim17ROCPRIM_400000_NS6detail17trampoline_kernelINS0_14default_configENS1_35radix_sort_onesweep_config_selectorIiiEEZZNS1_29radix_sort_onesweep_iterationIS3_Lb0EN6thrust23THRUST_200600_302600_NS6detail15normal_iteratorINS8_10device_ptrIiEEEESD_SD_SD_jNS0_19identity_decomposerENS1_16block_id_wrapperIjLb0EEEEE10hipError_tT1_PNSt15iterator_traitsISI_E10value_typeET2_T3_PNSJ_ISO_E10value_typeET4_T5_PST_SU_PNS1_23onesweep_lookback_stateEbbT6_jjT7_P12ihipStream_tbENKUlT_T0_SI_SN_E_clIPiSD_S15_SD_EEDaS11_S12_SI_SN_EUlS11_E_NS1_11comp_targetILNS1_3genE6ELNS1_11target_archE950ELNS1_3gpuE13ELNS1_3repE0EEENS1_47radix_sort_onesweep_sort_config_static_selectorELNS0_4arch9wavefront6targetE1EEEvSI_,"axG",@progbits,_ZN7rocprim17ROCPRIM_400000_NS6detail17trampoline_kernelINS0_14default_configENS1_35radix_sort_onesweep_config_selectorIiiEEZZNS1_29radix_sort_onesweep_iterationIS3_Lb0EN6thrust23THRUST_200600_302600_NS6detail15normal_iteratorINS8_10device_ptrIiEEEESD_SD_SD_jNS0_19identity_decomposerENS1_16block_id_wrapperIjLb0EEEEE10hipError_tT1_PNSt15iterator_traitsISI_E10value_typeET2_T3_PNSJ_ISO_E10value_typeET4_T5_PST_SU_PNS1_23onesweep_lookback_stateEbbT6_jjT7_P12ihipStream_tbENKUlT_T0_SI_SN_E_clIPiSD_S15_SD_EEDaS11_S12_SI_SN_EUlS11_E_NS1_11comp_targetILNS1_3genE6ELNS1_11target_archE950ELNS1_3gpuE13ELNS1_3repE0EEENS1_47radix_sort_onesweep_sort_config_static_selectorELNS0_4arch9wavefront6targetE1EEEvSI_,comdat
.Lfunc_end1465:
	.size	_ZN7rocprim17ROCPRIM_400000_NS6detail17trampoline_kernelINS0_14default_configENS1_35radix_sort_onesweep_config_selectorIiiEEZZNS1_29radix_sort_onesweep_iterationIS3_Lb0EN6thrust23THRUST_200600_302600_NS6detail15normal_iteratorINS8_10device_ptrIiEEEESD_SD_SD_jNS0_19identity_decomposerENS1_16block_id_wrapperIjLb0EEEEE10hipError_tT1_PNSt15iterator_traitsISI_E10value_typeET2_T3_PNSJ_ISO_E10value_typeET4_T5_PST_SU_PNS1_23onesweep_lookback_stateEbbT6_jjT7_P12ihipStream_tbENKUlT_T0_SI_SN_E_clIPiSD_S15_SD_EEDaS11_S12_SI_SN_EUlS11_E_NS1_11comp_targetILNS1_3genE6ELNS1_11target_archE950ELNS1_3gpuE13ELNS1_3repE0EEENS1_47radix_sort_onesweep_sort_config_static_selectorELNS0_4arch9wavefront6targetE1EEEvSI_, .Lfunc_end1465-_ZN7rocprim17ROCPRIM_400000_NS6detail17trampoline_kernelINS0_14default_configENS1_35radix_sort_onesweep_config_selectorIiiEEZZNS1_29radix_sort_onesweep_iterationIS3_Lb0EN6thrust23THRUST_200600_302600_NS6detail15normal_iteratorINS8_10device_ptrIiEEEESD_SD_SD_jNS0_19identity_decomposerENS1_16block_id_wrapperIjLb0EEEEE10hipError_tT1_PNSt15iterator_traitsISI_E10value_typeET2_T3_PNSJ_ISO_E10value_typeET4_T5_PST_SU_PNS1_23onesweep_lookback_stateEbbT6_jjT7_P12ihipStream_tbENKUlT_T0_SI_SN_E_clIPiSD_S15_SD_EEDaS11_S12_SI_SN_EUlS11_E_NS1_11comp_targetILNS1_3genE6ELNS1_11target_archE950ELNS1_3gpuE13ELNS1_3repE0EEENS1_47radix_sort_onesweep_sort_config_static_selectorELNS0_4arch9wavefront6targetE1EEEvSI_
                                        ; -- End function
	.set _ZN7rocprim17ROCPRIM_400000_NS6detail17trampoline_kernelINS0_14default_configENS1_35radix_sort_onesweep_config_selectorIiiEEZZNS1_29radix_sort_onesweep_iterationIS3_Lb0EN6thrust23THRUST_200600_302600_NS6detail15normal_iteratorINS8_10device_ptrIiEEEESD_SD_SD_jNS0_19identity_decomposerENS1_16block_id_wrapperIjLb0EEEEE10hipError_tT1_PNSt15iterator_traitsISI_E10value_typeET2_T3_PNSJ_ISO_E10value_typeET4_T5_PST_SU_PNS1_23onesweep_lookback_stateEbbT6_jjT7_P12ihipStream_tbENKUlT_T0_SI_SN_E_clIPiSD_S15_SD_EEDaS11_S12_SI_SN_EUlS11_E_NS1_11comp_targetILNS1_3genE6ELNS1_11target_archE950ELNS1_3gpuE13ELNS1_3repE0EEENS1_47radix_sort_onesweep_sort_config_static_selectorELNS0_4arch9wavefront6targetE1EEEvSI_.num_vgpr, 88
	.set _ZN7rocprim17ROCPRIM_400000_NS6detail17trampoline_kernelINS0_14default_configENS1_35radix_sort_onesweep_config_selectorIiiEEZZNS1_29radix_sort_onesweep_iterationIS3_Lb0EN6thrust23THRUST_200600_302600_NS6detail15normal_iteratorINS8_10device_ptrIiEEEESD_SD_SD_jNS0_19identity_decomposerENS1_16block_id_wrapperIjLb0EEEEE10hipError_tT1_PNSt15iterator_traitsISI_E10value_typeET2_T3_PNSJ_ISO_E10value_typeET4_T5_PST_SU_PNS1_23onesweep_lookback_stateEbbT6_jjT7_P12ihipStream_tbENKUlT_T0_SI_SN_E_clIPiSD_S15_SD_EEDaS11_S12_SI_SN_EUlS11_E_NS1_11comp_targetILNS1_3genE6ELNS1_11target_archE950ELNS1_3gpuE13ELNS1_3repE0EEENS1_47radix_sort_onesweep_sort_config_static_selectorELNS0_4arch9wavefront6targetE1EEEvSI_.num_agpr, 0
	.set _ZN7rocprim17ROCPRIM_400000_NS6detail17trampoline_kernelINS0_14default_configENS1_35radix_sort_onesweep_config_selectorIiiEEZZNS1_29radix_sort_onesweep_iterationIS3_Lb0EN6thrust23THRUST_200600_302600_NS6detail15normal_iteratorINS8_10device_ptrIiEEEESD_SD_SD_jNS0_19identity_decomposerENS1_16block_id_wrapperIjLb0EEEEE10hipError_tT1_PNSt15iterator_traitsISI_E10value_typeET2_T3_PNSJ_ISO_E10value_typeET4_T5_PST_SU_PNS1_23onesweep_lookback_stateEbbT6_jjT7_P12ihipStream_tbENKUlT_T0_SI_SN_E_clIPiSD_S15_SD_EEDaS11_S12_SI_SN_EUlS11_E_NS1_11comp_targetILNS1_3genE6ELNS1_11target_archE950ELNS1_3gpuE13ELNS1_3repE0EEENS1_47radix_sort_onesweep_sort_config_static_selectorELNS0_4arch9wavefront6targetE1EEEvSI_.numbered_sgpr, 70
	.set _ZN7rocprim17ROCPRIM_400000_NS6detail17trampoline_kernelINS0_14default_configENS1_35radix_sort_onesweep_config_selectorIiiEEZZNS1_29radix_sort_onesweep_iterationIS3_Lb0EN6thrust23THRUST_200600_302600_NS6detail15normal_iteratorINS8_10device_ptrIiEEEESD_SD_SD_jNS0_19identity_decomposerENS1_16block_id_wrapperIjLb0EEEEE10hipError_tT1_PNSt15iterator_traitsISI_E10value_typeET2_T3_PNSJ_ISO_E10value_typeET4_T5_PST_SU_PNS1_23onesweep_lookback_stateEbbT6_jjT7_P12ihipStream_tbENKUlT_T0_SI_SN_E_clIPiSD_S15_SD_EEDaS11_S12_SI_SN_EUlS11_E_NS1_11comp_targetILNS1_3genE6ELNS1_11target_archE950ELNS1_3gpuE13ELNS1_3repE0EEENS1_47radix_sort_onesweep_sort_config_static_selectorELNS0_4arch9wavefront6targetE1EEEvSI_.num_named_barrier, 0
	.set _ZN7rocprim17ROCPRIM_400000_NS6detail17trampoline_kernelINS0_14default_configENS1_35radix_sort_onesweep_config_selectorIiiEEZZNS1_29radix_sort_onesweep_iterationIS3_Lb0EN6thrust23THRUST_200600_302600_NS6detail15normal_iteratorINS8_10device_ptrIiEEEESD_SD_SD_jNS0_19identity_decomposerENS1_16block_id_wrapperIjLb0EEEEE10hipError_tT1_PNSt15iterator_traitsISI_E10value_typeET2_T3_PNSJ_ISO_E10value_typeET4_T5_PST_SU_PNS1_23onesweep_lookback_stateEbbT6_jjT7_P12ihipStream_tbENKUlT_T0_SI_SN_E_clIPiSD_S15_SD_EEDaS11_S12_SI_SN_EUlS11_E_NS1_11comp_targetILNS1_3genE6ELNS1_11target_archE950ELNS1_3gpuE13ELNS1_3repE0EEENS1_47radix_sort_onesweep_sort_config_static_selectorELNS0_4arch9wavefront6targetE1EEEvSI_.private_seg_size, 80
	.set _ZN7rocprim17ROCPRIM_400000_NS6detail17trampoline_kernelINS0_14default_configENS1_35radix_sort_onesweep_config_selectorIiiEEZZNS1_29radix_sort_onesweep_iterationIS3_Lb0EN6thrust23THRUST_200600_302600_NS6detail15normal_iteratorINS8_10device_ptrIiEEEESD_SD_SD_jNS0_19identity_decomposerENS1_16block_id_wrapperIjLb0EEEEE10hipError_tT1_PNSt15iterator_traitsISI_E10value_typeET2_T3_PNSJ_ISO_E10value_typeET4_T5_PST_SU_PNS1_23onesweep_lookback_stateEbbT6_jjT7_P12ihipStream_tbENKUlT_T0_SI_SN_E_clIPiSD_S15_SD_EEDaS11_S12_SI_SN_EUlS11_E_NS1_11comp_targetILNS1_3genE6ELNS1_11target_archE950ELNS1_3gpuE13ELNS1_3repE0EEENS1_47radix_sort_onesweep_sort_config_static_selectorELNS0_4arch9wavefront6targetE1EEEvSI_.uses_vcc, 1
	.set _ZN7rocprim17ROCPRIM_400000_NS6detail17trampoline_kernelINS0_14default_configENS1_35radix_sort_onesweep_config_selectorIiiEEZZNS1_29radix_sort_onesweep_iterationIS3_Lb0EN6thrust23THRUST_200600_302600_NS6detail15normal_iteratorINS8_10device_ptrIiEEEESD_SD_SD_jNS0_19identity_decomposerENS1_16block_id_wrapperIjLb0EEEEE10hipError_tT1_PNSt15iterator_traitsISI_E10value_typeET2_T3_PNSJ_ISO_E10value_typeET4_T5_PST_SU_PNS1_23onesweep_lookback_stateEbbT6_jjT7_P12ihipStream_tbENKUlT_T0_SI_SN_E_clIPiSD_S15_SD_EEDaS11_S12_SI_SN_EUlS11_E_NS1_11comp_targetILNS1_3genE6ELNS1_11target_archE950ELNS1_3gpuE13ELNS1_3repE0EEENS1_47radix_sort_onesweep_sort_config_static_selectorELNS0_4arch9wavefront6targetE1EEEvSI_.uses_flat_scratch, 0
	.set _ZN7rocprim17ROCPRIM_400000_NS6detail17trampoline_kernelINS0_14default_configENS1_35radix_sort_onesweep_config_selectorIiiEEZZNS1_29radix_sort_onesweep_iterationIS3_Lb0EN6thrust23THRUST_200600_302600_NS6detail15normal_iteratorINS8_10device_ptrIiEEEESD_SD_SD_jNS0_19identity_decomposerENS1_16block_id_wrapperIjLb0EEEEE10hipError_tT1_PNSt15iterator_traitsISI_E10value_typeET2_T3_PNSJ_ISO_E10value_typeET4_T5_PST_SU_PNS1_23onesweep_lookback_stateEbbT6_jjT7_P12ihipStream_tbENKUlT_T0_SI_SN_E_clIPiSD_S15_SD_EEDaS11_S12_SI_SN_EUlS11_E_NS1_11comp_targetILNS1_3genE6ELNS1_11target_archE950ELNS1_3gpuE13ELNS1_3repE0EEENS1_47radix_sort_onesweep_sort_config_static_selectorELNS0_4arch9wavefront6targetE1EEEvSI_.has_dyn_sized_stack, 0
	.set _ZN7rocprim17ROCPRIM_400000_NS6detail17trampoline_kernelINS0_14default_configENS1_35radix_sort_onesweep_config_selectorIiiEEZZNS1_29radix_sort_onesweep_iterationIS3_Lb0EN6thrust23THRUST_200600_302600_NS6detail15normal_iteratorINS8_10device_ptrIiEEEESD_SD_SD_jNS0_19identity_decomposerENS1_16block_id_wrapperIjLb0EEEEE10hipError_tT1_PNSt15iterator_traitsISI_E10value_typeET2_T3_PNSJ_ISO_E10value_typeET4_T5_PST_SU_PNS1_23onesweep_lookback_stateEbbT6_jjT7_P12ihipStream_tbENKUlT_T0_SI_SN_E_clIPiSD_S15_SD_EEDaS11_S12_SI_SN_EUlS11_E_NS1_11comp_targetILNS1_3genE6ELNS1_11target_archE950ELNS1_3gpuE13ELNS1_3repE0EEENS1_47radix_sort_onesweep_sort_config_static_selectorELNS0_4arch9wavefront6targetE1EEEvSI_.has_recursion, 0
	.set _ZN7rocprim17ROCPRIM_400000_NS6detail17trampoline_kernelINS0_14default_configENS1_35radix_sort_onesweep_config_selectorIiiEEZZNS1_29radix_sort_onesweep_iterationIS3_Lb0EN6thrust23THRUST_200600_302600_NS6detail15normal_iteratorINS8_10device_ptrIiEEEESD_SD_SD_jNS0_19identity_decomposerENS1_16block_id_wrapperIjLb0EEEEE10hipError_tT1_PNSt15iterator_traitsISI_E10value_typeET2_T3_PNSJ_ISO_E10value_typeET4_T5_PST_SU_PNS1_23onesweep_lookback_stateEbbT6_jjT7_P12ihipStream_tbENKUlT_T0_SI_SN_E_clIPiSD_S15_SD_EEDaS11_S12_SI_SN_EUlS11_E_NS1_11comp_targetILNS1_3genE6ELNS1_11target_archE950ELNS1_3gpuE13ELNS1_3repE0EEENS1_47radix_sort_onesweep_sort_config_static_selectorELNS0_4arch9wavefront6targetE1EEEvSI_.has_indirect_call, 0
	.section	.AMDGPU.csdata,"",@progbits
; Kernel info:
; codeLenInByte = 22584
; TotalNumSgprs: 76
; NumVgprs: 88
; NumAgprs: 0
; TotalNumVgprs: 88
; ScratchSize: 80
; MemoryBound: 0
; FloatMode: 240
; IeeeMode: 1
; LDSByteSize: 20552 bytes/workgroup (compile time only)
; SGPRBlocks: 9
; VGPRBlocks: 10
; NumSGPRsForWavesPerEU: 76
; NumVGPRsForWavesPerEU: 88
; AccumOffset: 88
; Occupancy: 5
; WaveLimiterHint : 1
; COMPUTE_PGM_RSRC2:SCRATCH_EN: 1
; COMPUTE_PGM_RSRC2:USER_SGPR: 2
; COMPUTE_PGM_RSRC2:TRAP_HANDLER: 0
; COMPUTE_PGM_RSRC2:TGID_X_EN: 1
; COMPUTE_PGM_RSRC2:TGID_Y_EN: 0
; COMPUTE_PGM_RSRC2:TGID_Z_EN: 0
; COMPUTE_PGM_RSRC2:TIDIG_COMP_CNT: 2
; COMPUTE_PGM_RSRC3_GFX90A:ACCUM_OFFSET: 21
; COMPUTE_PGM_RSRC3_GFX90A:TG_SPLIT: 0
	.section	.text._ZN7rocprim17ROCPRIM_400000_NS6detail17trampoline_kernelINS0_14default_configENS1_35radix_sort_onesweep_config_selectorIiiEEZZNS1_29radix_sort_onesweep_iterationIS3_Lb0EN6thrust23THRUST_200600_302600_NS6detail15normal_iteratorINS8_10device_ptrIiEEEESD_SD_SD_jNS0_19identity_decomposerENS1_16block_id_wrapperIjLb0EEEEE10hipError_tT1_PNSt15iterator_traitsISI_E10value_typeET2_T3_PNSJ_ISO_E10value_typeET4_T5_PST_SU_PNS1_23onesweep_lookback_stateEbbT6_jjT7_P12ihipStream_tbENKUlT_T0_SI_SN_E_clIPiSD_S15_SD_EEDaS11_S12_SI_SN_EUlS11_E_NS1_11comp_targetILNS1_3genE5ELNS1_11target_archE942ELNS1_3gpuE9ELNS1_3repE0EEENS1_47radix_sort_onesweep_sort_config_static_selectorELNS0_4arch9wavefront6targetE1EEEvSI_,"axG",@progbits,_ZN7rocprim17ROCPRIM_400000_NS6detail17trampoline_kernelINS0_14default_configENS1_35radix_sort_onesweep_config_selectorIiiEEZZNS1_29radix_sort_onesweep_iterationIS3_Lb0EN6thrust23THRUST_200600_302600_NS6detail15normal_iteratorINS8_10device_ptrIiEEEESD_SD_SD_jNS0_19identity_decomposerENS1_16block_id_wrapperIjLb0EEEEE10hipError_tT1_PNSt15iterator_traitsISI_E10value_typeET2_T3_PNSJ_ISO_E10value_typeET4_T5_PST_SU_PNS1_23onesweep_lookback_stateEbbT6_jjT7_P12ihipStream_tbENKUlT_T0_SI_SN_E_clIPiSD_S15_SD_EEDaS11_S12_SI_SN_EUlS11_E_NS1_11comp_targetILNS1_3genE5ELNS1_11target_archE942ELNS1_3gpuE9ELNS1_3repE0EEENS1_47radix_sort_onesweep_sort_config_static_selectorELNS0_4arch9wavefront6targetE1EEEvSI_,comdat
	.protected	_ZN7rocprim17ROCPRIM_400000_NS6detail17trampoline_kernelINS0_14default_configENS1_35radix_sort_onesweep_config_selectorIiiEEZZNS1_29radix_sort_onesweep_iterationIS3_Lb0EN6thrust23THRUST_200600_302600_NS6detail15normal_iteratorINS8_10device_ptrIiEEEESD_SD_SD_jNS0_19identity_decomposerENS1_16block_id_wrapperIjLb0EEEEE10hipError_tT1_PNSt15iterator_traitsISI_E10value_typeET2_T3_PNSJ_ISO_E10value_typeET4_T5_PST_SU_PNS1_23onesweep_lookback_stateEbbT6_jjT7_P12ihipStream_tbENKUlT_T0_SI_SN_E_clIPiSD_S15_SD_EEDaS11_S12_SI_SN_EUlS11_E_NS1_11comp_targetILNS1_3genE5ELNS1_11target_archE942ELNS1_3gpuE9ELNS1_3repE0EEENS1_47radix_sort_onesweep_sort_config_static_selectorELNS0_4arch9wavefront6targetE1EEEvSI_ ; -- Begin function _ZN7rocprim17ROCPRIM_400000_NS6detail17trampoline_kernelINS0_14default_configENS1_35radix_sort_onesweep_config_selectorIiiEEZZNS1_29radix_sort_onesweep_iterationIS3_Lb0EN6thrust23THRUST_200600_302600_NS6detail15normal_iteratorINS8_10device_ptrIiEEEESD_SD_SD_jNS0_19identity_decomposerENS1_16block_id_wrapperIjLb0EEEEE10hipError_tT1_PNSt15iterator_traitsISI_E10value_typeET2_T3_PNSJ_ISO_E10value_typeET4_T5_PST_SU_PNS1_23onesweep_lookback_stateEbbT6_jjT7_P12ihipStream_tbENKUlT_T0_SI_SN_E_clIPiSD_S15_SD_EEDaS11_S12_SI_SN_EUlS11_E_NS1_11comp_targetILNS1_3genE5ELNS1_11target_archE942ELNS1_3gpuE9ELNS1_3repE0EEENS1_47radix_sort_onesweep_sort_config_static_selectorELNS0_4arch9wavefront6targetE1EEEvSI_
	.globl	_ZN7rocprim17ROCPRIM_400000_NS6detail17trampoline_kernelINS0_14default_configENS1_35radix_sort_onesweep_config_selectorIiiEEZZNS1_29radix_sort_onesweep_iterationIS3_Lb0EN6thrust23THRUST_200600_302600_NS6detail15normal_iteratorINS8_10device_ptrIiEEEESD_SD_SD_jNS0_19identity_decomposerENS1_16block_id_wrapperIjLb0EEEEE10hipError_tT1_PNSt15iterator_traitsISI_E10value_typeET2_T3_PNSJ_ISO_E10value_typeET4_T5_PST_SU_PNS1_23onesweep_lookback_stateEbbT6_jjT7_P12ihipStream_tbENKUlT_T0_SI_SN_E_clIPiSD_S15_SD_EEDaS11_S12_SI_SN_EUlS11_E_NS1_11comp_targetILNS1_3genE5ELNS1_11target_archE942ELNS1_3gpuE9ELNS1_3repE0EEENS1_47radix_sort_onesweep_sort_config_static_selectorELNS0_4arch9wavefront6targetE1EEEvSI_
	.p2align	8
	.type	_ZN7rocprim17ROCPRIM_400000_NS6detail17trampoline_kernelINS0_14default_configENS1_35radix_sort_onesweep_config_selectorIiiEEZZNS1_29radix_sort_onesweep_iterationIS3_Lb0EN6thrust23THRUST_200600_302600_NS6detail15normal_iteratorINS8_10device_ptrIiEEEESD_SD_SD_jNS0_19identity_decomposerENS1_16block_id_wrapperIjLb0EEEEE10hipError_tT1_PNSt15iterator_traitsISI_E10value_typeET2_T3_PNSJ_ISO_E10value_typeET4_T5_PST_SU_PNS1_23onesweep_lookback_stateEbbT6_jjT7_P12ihipStream_tbENKUlT_T0_SI_SN_E_clIPiSD_S15_SD_EEDaS11_S12_SI_SN_EUlS11_E_NS1_11comp_targetILNS1_3genE5ELNS1_11target_archE942ELNS1_3gpuE9ELNS1_3repE0EEENS1_47radix_sort_onesweep_sort_config_static_selectorELNS0_4arch9wavefront6targetE1EEEvSI_,@function
_ZN7rocprim17ROCPRIM_400000_NS6detail17trampoline_kernelINS0_14default_configENS1_35radix_sort_onesweep_config_selectorIiiEEZZNS1_29radix_sort_onesweep_iterationIS3_Lb0EN6thrust23THRUST_200600_302600_NS6detail15normal_iteratorINS8_10device_ptrIiEEEESD_SD_SD_jNS0_19identity_decomposerENS1_16block_id_wrapperIjLb0EEEEE10hipError_tT1_PNSt15iterator_traitsISI_E10value_typeET2_T3_PNSJ_ISO_E10value_typeET4_T5_PST_SU_PNS1_23onesweep_lookback_stateEbbT6_jjT7_P12ihipStream_tbENKUlT_T0_SI_SN_E_clIPiSD_S15_SD_EEDaS11_S12_SI_SN_EUlS11_E_NS1_11comp_targetILNS1_3genE5ELNS1_11target_archE942ELNS1_3gpuE9ELNS1_3repE0EEENS1_47radix_sort_onesweep_sort_config_static_selectorELNS0_4arch9wavefront6targetE1EEEvSI_: ; @_ZN7rocprim17ROCPRIM_400000_NS6detail17trampoline_kernelINS0_14default_configENS1_35radix_sort_onesweep_config_selectorIiiEEZZNS1_29radix_sort_onesweep_iterationIS3_Lb0EN6thrust23THRUST_200600_302600_NS6detail15normal_iteratorINS8_10device_ptrIiEEEESD_SD_SD_jNS0_19identity_decomposerENS1_16block_id_wrapperIjLb0EEEEE10hipError_tT1_PNSt15iterator_traitsISI_E10value_typeET2_T3_PNSJ_ISO_E10value_typeET4_T5_PST_SU_PNS1_23onesweep_lookback_stateEbbT6_jjT7_P12ihipStream_tbENKUlT_T0_SI_SN_E_clIPiSD_S15_SD_EEDaS11_S12_SI_SN_EUlS11_E_NS1_11comp_targetILNS1_3genE5ELNS1_11target_archE942ELNS1_3gpuE9ELNS1_3repE0EEENS1_47radix_sort_onesweep_sort_config_static_selectorELNS0_4arch9wavefront6targetE1EEEvSI_
; %bb.0:
	.section	.rodata,"a",@progbits
	.p2align	6, 0x0
	.amdhsa_kernel _ZN7rocprim17ROCPRIM_400000_NS6detail17trampoline_kernelINS0_14default_configENS1_35radix_sort_onesweep_config_selectorIiiEEZZNS1_29radix_sort_onesweep_iterationIS3_Lb0EN6thrust23THRUST_200600_302600_NS6detail15normal_iteratorINS8_10device_ptrIiEEEESD_SD_SD_jNS0_19identity_decomposerENS1_16block_id_wrapperIjLb0EEEEE10hipError_tT1_PNSt15iterator_traitsISI_E10value_typeET2_T3_PNSJ_ISO_E10value_typeET4_T5_PST_SU_PNS1_23onesweep_lookback_stateEbbT6_jjT7_P12ihipStream_tbENKUlT_T0_SI_SN_E_clIPiSD_S15_SD_EEDaS11_S12_SI_SN_EUlS11_E_NS1_11comp_targetILNS1_3genE5ELNS1_11target_archE942ELNS1_3gpuE9ELNS1_3repE0EEENS1_47radix_sort_onesweep_sort_config_static_selectorELNS0_4arch9wavefront6targetE1EEEvSI_
		.amdhsa_group_segment_fixed_size 0
		.amdhsa_private_segment_fixed_size 0
		.amdhsa_kernarg_size 88
		.amdhsa_user_sgpr_count 2
		.amdhsa_user_sgpr_dispatch_ptr 0
		.amdhsa_user_sgpr_queue_ptr 0
		.amdhsa_user_sgpr_kernarg_segment_ptr 1
		.amdhsa_user_sgpr_dispatch_id 0
		.amdhsa_user_sgpr_kernarg_preload_length 0
		.amdhsa_user_sgpr_kernarg_preload_offset 0
		.amdhsa_user_sgpr_private_segment_size 0
		.amdhsa_uses_dynamic_stack 0
		.amdhsa_enable_private_segment 0
		.amdhsa_system_sgpr_workgroup_id_x 1
		.amdhsa_system_sgpr_workgroup_id_y 0
		.amdhsa_system_sgpr_workgroup_id_z 0
		.amdhsa_system_sgpr_workgroup_info 0
		.amdhsa_system_vgpr_workitem_id 0
		.amdhsa_next_free_vgpr 1
		.amdhsa_next_free_sgpr 0
		.amdhsa_accum_offset 4
		.amdhsa_reserve_vcc 0
		.amdhsa_float_round_mode_32 0
		.amdhsa_float_round_mode_16_64 0
		.amdhsa_float_denorm_mode_32 3
		.amdhsa_float_denorm_mode_16_64 3
		.amdhsa_dx10_clamp 1
		.amdhsa_ieee_mode 1
		.amdhsa_fp16_overflow 0
		.amdhsa_tg_split 0
		.amdhsa_exception_fp_ieee_invalid_op 0
		.amdhsa_exception_fp_denorm_src 0
		.amdhsa_exception_fp_ieee_div_zero 0
		.amdhsa_exception_fp_ieee_overflow 0
		.amdhsa_exception_fp_ieee_underflow 0
		.amdhsa_exception_fp_ieee_inexact 0
		.amdhsa_exception_int_div_zero 0
	.end_amdhsa_kernel
	.section	.text._ZN7rocprim17ROCPRIM_400000_NS6detail17trampoline_kernelINS0_14default_configENS1_35radix_sort_onesweep_config_selectorIiiEEZZNS1_29radix_sort_onesweep_iterationIS3_Lb0EN6thrust23THRUST_200600_302600_NS6detail15normal_iteratorINS8_10device_ptrIiEEEESD_SD_SD_jNS0_19identity_decomposerENS1_16block_id_wrapperIjLb0EEEEE10hipError_tT1_PNSt15iterator_traitsISI_E10value_typeET2_T3_PNSJ_ISO_E10value_typeET4_T5_PST_SU_PNS1_23onesweep_lookback_stateEbbT6_jjT7_P12ihipStream_tbENKUlT_T0_SI_SN_E_clIPiSD_S15_SD_EEDaS11_S12_SI_SN_EUlS11_E_NS1_11comp_targetILNS1_3genE5ELNS1_11target_archE942ELNS1_3gpuE9ELNS1_3repE0EEENS1_47radix_sort_onesweep_sort_config_static_selectorELNS0_4arch9wavefront6targetE1EEEvSI_,"axG",@progbits,_ZN7rocprim17ROCPRIM_400000_NS6detail17trampoline_kernelINS0_14default_configENS1_35radix_sort_onesweep_config_selectorIiiEEZZNS1_29radix_sort_onesweep_iterationIS3_Lb0EN6thrust23THRUST_200600_302600_NS6detail15normal_iteratorINS8_10device_ptrIiEEEESD_SD_SD_jNS0_19identity_decomposerENS1_16block_id_wrapperIjLb0EEEEE10hipError_tT1_PNSt15iterator_traitsISI_E10value_typeET2_T3_PNSJ_ISO_E10value_typeET4_T5_PST_SU_PNS1_23onesweep_lookback_stateEbbT6_jjT7_P12ihipStream_tbENKUlT_T0_SI_SN_E_clIPiSD_S15_SD_EEDaS11_S12_SI_SN_EUlS11_E_NS1_11comp_targetILNS1_3genE5ELNS1_11target_archE942ELNS1_3gpuE9ELNS1_3repE0EEENS1_47radix_sort_onesweep_sort_config_static_selectorELNS0_4arch9wavefront6targetE1EEEvSI_,comdat
.Lfunc_end1466:
	.size	_ZN7rocprim17ROCPRIM_400000_NS6detail17trampoline_kernelINS0_14default_configENS1_35radix_sort_onesweep_config_selectorIiiEEZZNS1_29radix_sort_onesweep_iterationIS3_Lb0EN6thrust23THRUST_200600_302600_NS6detail15normal_iteratorINS8_10device_ptrIiEEEESD_SD_SD_jNS0_19identity_decomposerENS1_16block_id_wrapperIjLb0EEEEE10hipError_tT1_PNSt15iterator_traitsISI_E10value_typeET2_T3_PNSJ_ISO_E10value_typeET4_T5_PST_SU_PNS1_23onesweep_lookback_stateEbbT6_jjT7_P12ihipStream_tbENKUlT_T0_SI_SN_E_clIPiSD_S15_SD_EEDaS11_S12_SI_SN_EUlS11_E_NS1_11comp_targetILNS1_3genE5ELNS1_11target_archE942ELNS1_3gpuE9ELNS1_3repE0EEENS1_47radix_sort_onesweep_sort_config_static_selectorELNS0_4arch9wavefront6targetE1EEEvSI_, .Lfunc_end1466-_ZN7rocprim17ROCPRIM_400000_NS6detail17trampoline_kernelINS0_14default_configENS1_35radix_sort_onesweep_config_selectorIiiEEZZNS1_29radix_sort_onesweep_iterationIS3_Lb0EN6thrust23THRUST_200600_302600_NS6detail15normal_iteratorINS8_10device_ptrIiEEEESD_SD_SD_jNS0_19identity_decomposerENS1_16block_id_wrapperIjLb0EEEEE10hipError_tT1_PNSt15iterator_traitsISI_E10value_typeET2_T3_PNSJ_ISO_E10value_typeET4_T5_PST_SU_PNS1_23onesweep_lookback_stateEbbT6_jjT7_P12ihipStream_tbENKUlT_T0_SI_SN_E_clIPiSD_S15_SD_EEDaS11_S12_SI_SN_EUlS11_E_NS1_11comp_targetILNS1_3genE5ELNS1_11target_archE942ELNS1_3gpuE9ELNS1_3repE0EEENS1_47radix_sort_onesweep_sort_config_static_selectorELNS0_4arch9wavefront6targetE1EEEvSI_
                                        ; -- End function
	.set _ZN7rocprim17ROCPRIM_400000_NS6detail17trampoline_kernelINS0_14default_configENS1_35radix_sort_onesweep_config_selectorIiiEEZZNS1_29radix_sort_onesweep_iterationIS3_Lb0EN6thrust23THRUST_200600_302600_NS6detail15normal_iteratorINS8_10device_ptrIiEEEESD_SD_SD_jNS0_19identity_decomposerENS1_16block_id_wrapperIjLb0EEEEE10hipError_tT1_PNSt15iterator_traitsISI_E10value_typeET2_T3_PNSJ_ISO_E10value_typeET4_T5_PST_SU_PNS1_23onesweep_lookback_stateEbbT6_jjT7_P12ihipStream_tbENKUlT_T0_SI_SN_E_clIPiSD_S15_SD_EEDaS11_S12_SI_SN_EUlS11_E_NS1_11comp_targetILNS1_3genE5ELNS1_11target_archE942ELNS1_3gpuE9ELNS1_3repE0EEENS1_47radix_sort_onesweep_sort_config_static_selectorELNS0_4arch9wavefront6targetE1EEEvSI_.num_vgpr, 0
	.set _ZN7rocprim17ROCPRIM_400000_NS6detail17trampoline_kernelINS0_14default_configENS1_35radix_sort_onesweep_config_selectorIiiEEZZNS1_29radix_sort_onesweep_iterationIS3_Lb0EN6thrust23THRUST_200600_302600_NS6detail15normal_iteratorINS8_10device_ptrIiEEEESD_SD_SD_jNS0_19identity_decomposerENS1_16block_id_wrapperIjLb0EEEEE10hipError_tT1_PNSt15iterator_traitsISI_E10value_typeET2_T3_PNSJ_ISO_E10value_typeET4_T5_PST_SU_PNS1_23onesweep_lookback_stateEbbT6_jjT7_P12ihipStream_tbENKUlT_T0_SI_SN_E_clIPiSD_S15_SD_EEDaS11_S12_SI_SN_EUlS11_E_NS1_11comp_targetILNS1_3genE5ELNS1_11target_archE942ELNS1_3gpuE9ELNS1_3repE0EEENS1_47radix_sort_onesweep_sort_config_static_selectorELNS0_4arch9wavefront6targetE1EEEvSI_.num_agpr, 0
	.set _ZN7rocprim17ROCPRIM_400000_NS6detail17trampoline_kernelINS0_14default_configENS1_35radix_sort_onesweep_config_selectorIiiEEZZNS1_29radix_sort_onesweep_iterationIS3_Lb0EN6thrust23THRUST_200600_302600_NS6detail15normal_iteratorINS8_10device_ptrIiEEEESD_SD_SD_jNS0_19identity_decomposerENS1_16block_id_wrapperIjLb0EEEEE10hipError_tT1_PNSt15iterator_traitsISI_E10value_typeET2_T3_PNSJ_ISO_E10value_typeET4_T5_PST_SU_PNS1_23onesweep_lookback_stateEbbT6_jjT7_P12ihipStream_tbENKUlT_T0_SI_SN_E_clIPiSD_S15_SD_EEDaS11_S12_SI_SN_EUlS11_E_NS1_11comp_targetILNS1_3genE5ELNS1_11target_archE942ELNS1_3gpuE9ELNS1_3repE0EEENS1_47radix_sort_onesweep_sort_config_static_selectorELNS0_4arch9wavefront6targetE1EEEvSI_.numbered_sgpr, 0
	.set _ZN7rocprim17ROCPRIM_400000_NS6detail17trampoline_kernelINS0_14default_configENS1_35radix_sort_onesweep_config_selectorIiiEEZZNS1_29radix_sort_onesweep_iterationIS3_Lb0EN6thrust23THRUST_200600_302600_NS6detail15normal_iteratorINS8_10device_ptrIiEEEESD_SD_SD_jNS0_19identity_decomposerENS1_16block_id_wrapperIjLb0EEEEE10hipError_tT1_PNSt15iterator_traitsISI_E10value_typeET2_T3_PNSJ_ISO_E10value_typeET4_T5_PST_SU_PNS1_23onesweep_lookback_stateEbbT6_jjT7_P12ihipStream_tbENKUlT_T0_SI_SN_E_clIPiSD_S15_SD_EEDaS11_S12_SI_SN_EUlS11_E_NS1_11comp_targetILNS1_3genE5ELNS1_11target_archE942ELNS1_3gpuE9ELNS1_3repE0EEENS1_47radix_sort_onesweep_sort_config_static_selectorELNS0_4arch9wavefront6targetE1EEEvSI_.num_named_barrier, 0
	.set _ZN7rocprim17ROCPRIM_400000_NS6detail17trampoline_kernelINS0_14default_configENS1_35radix_sort_onesweep_config_selectorIiiEEZZNS1_29radix_sort_onesweep_iterationIS3_Lb0EN6thrust23THRUST_200600_302600_NS6detail15normal_iteratorINS8_10device_ptrIiEEEESD_SD_SD_jNS0_19identity_decomposerENS1_16block_id_wrapperIjLb0EEEEE10hipError_tT1_PNSt15iterator_traitsISI_E10value_typeET2_T3_PNSJ_ISO_E10value_typeET4_T5_PST_SU_PNS1_23onesweep_lookback_stateEbbT6_jjT7_P12ihipStream_tbENKUlT_T0_SI_SN_E_clIPiSD_S15_SD_EEDaS11_S12_SI_SN_EUlS11_E_NS1_11comp_targetILNS1_3genE5ELNS1_11target_archE942ELNS1_3gpuE9ELNS1_3repE0EEENS1_47radix_sort_onesweep_sort_config_static_selectorELNS0_4arch9wavefront6targetE1EEEvSI_.private_seg_size, 0
	.set _ZN7rocprim17ROCPRIM_400000_NS6detail17trampoline_kernelINS0_14default_configENS1_35radix_sort_onesweep_config_selectorIiiEEZZNS1_29radix_sort_onesweep_iterationIS3_Lb0EN6thrust23THRUST_200600_302600_NS6detail15normal_iteratorINS8_10device_ptrIiEEEESD_SD_SD_jNS0_19identity_decomposerENS1_16block_id_wrapperIjLb0EEEEE10hipError_tT1_PNSt15iterator_traitsISI_E10value_typeET2_T3_PNSJ_ISO_E10value_typeET4_T5_PST_SU_PNS1_23onesweep_lookback_stateEbbT6_jjT7_P12ihipStream_tbENKUlT_T0_SI_SN_E_clIPiSD_S15_SD_EEDaS11_S12_SI_SN_EUlS11_E_NS1_11comp_targetILNS1_3genE5ELNS1_11target_archE942ELNS1_3gpuE9ELNS1_3repE0EEENS1_47radix_sort_onesweep_sort_config_static_selectorELNS0_4arch9wavefront6targetE1EEEvSI_.uses_vcc, 0
	.set _ZN7rocprim17ROCPRIM_400000_NS6detail17trampoline_kernelINS0_14default_configENS1_35radix_sort_onesweep_config_selectorIiiEEZZNS1_29radix_sort_onesweep_iterationIS3_Lb0EN6thrust23THRUST_200600_302600_NS6detail15normal_iteratorINS8_10device_ptrIiEEEESD_SD_SD_jNS0_19identity_decomposerENS1_16block_id_wrapperIjLb0EEEEE10hipError_tT1_PNSt15iterator_traitsISI_E10value_typeET2_T3_PNSJ_ISO_E10value_typeET4_T5_PST_SU_PNS1_23onesweep_lookback_stateEbbT6_jjT7_P12ihipStream_tbENKUlT_T0_SI_SN_E_clIPiSD_S15_SD_EEDaS11_S12_SI_SN_EUlS11_E_NS1_11comp_targetILNS1_3genE5ELNS1_11target_archE942ELNS1_3gpuE9ELNS1_3repE0EEENS1_47radix_sort_onesweep_sort_config_static_selectorELNS0_4arch9wavefront6targetE1EEEvSI_.uses_flat_scratch, 0
	.set _ZN7rocprim17ROCPRIM_400000_NS6detail17trampoline_kernelINS0_14default_configENS1_35radix_sort_onesweep_config_selectorIiiEEZZNS1_29radix_sort_onesweep_iterationIS3_Lb0EN6thrust23THRUST_200600_302600_NS6detail15normal_iteratorINS8_10device_ptrIiEEEESD_SD_SD_jNS0_19identity_decomposerENS1_16block_id_wrapperIjLb0EEEEE10hipError_tT1_PNSt15iterator_traitsISI_E10value_typeET2_T3_PNSJ_ISO_E10value_typeET4_T5_PST_SU_PNS1_23onesweep_lookback_stateEbbT6_jjT7_P12ihipStream_tbENKUlT_T0_SI_SN_E_clIPiSD_S15_SD_EEDaS11_S12_SI_SN_EUlS11_E_NS1_11comp_targetILNS1_3genE5ELNS1_11target_archE942ELNS1_3gpuE9ELNS1_3repE0EEENS1_47radix_sort_onesweep_sort_config_static_selectorELNS0_4arch9wavefront6targetE1EEEvSI_.has_dyn_sized_stack, 0
	.set _ZN7rocprim17ROCPRIM_400000_NS6detail17trampoline_kernelINS0_14default_configENS1_35radix_sort_onesweep_config_selectorIiiEEZZNS1_29radix_sort_onesweep_iterationIS3_Lb0EN6thrust23THRUST_200600_302600_NS6detail15normal_iteratorINS8_10device_ptrIiEEEESD_SD_SD_jNS0_19identity_decomposerENS1_16block_id_wrapperIjLb0EEEEE10hipError_tT1_PNSt15iterator_traitsISI_E10value_typeET2_T3_PNSJ_ISO_E10value_typeET4_T5_PST_SU_PNS1_23onesweep_lookback_stateEbbT6_jjT7_P12ihipStream_tbENKUlT_T0_SI_SN_E_clIPiSD_S15_SD_EEDaS11_S12_SI_SN_EUlS11_E_NS1_11comp_targetILNS1_3genE5ELNS1_11target_archE942ELNS1_3gpuE9ELNS1_3repE0EEENS1_47radix_sort_onesweep_sort_config_static_selectorELNS0_4arch9wavefront6targetE1EEEvSI_.has_recursion, 0
	.set _ZN7rocprim17ROCPRIM_400000_NS6detail17trampoline_kernelINS0_14default_configENS1_35radix_sort_onesweep_config_selectorIiiEEZZNS1_29radix_sort_onesweep_iterationIS3_Lb0EN6thrust23THRUST_200600_302600_NS6detail15normal_iteratorINS8_10device_ptrIiEEEESD_SD_SD_jNS0_19identity_decomposerENS1_16block_id_wrapperIjLb0EEEEE10hipError_tT1_PNSt15iterator_traitsISI_E10value_typeET2_T3_PNSJ_ISO_E10value_typeET4_T5_PST_SU_PNS1_23onesweep_lookback_stateEbbT6_jjT7_P12ihipStream_tbENKUlT_T0_SI_SN_E_clIPiSD_S15_SD_EEDaS11_S12_SI_SN_EUlS11_E_NS1_11comp_targetILNS1_3genE5ELNS1_11target_archE942ELNS1_3gpuE9ELNS1_3repE0EEENS1_47radix_sort_onesweep_sort_config_static_selectorELNS0_4arch9wavefront6targetE1EEEvSI_.has_indirect_call, 0
	.section	.AMDGPU.csdata,"",@progbits
; Kernel info:
; codeLenInByte = 0
; TotalNumSgprs: 6
; NumVgprs: 0
; NumAgprs: 0
; TotalNumVgprs: 0
; ScratchSize: 0
; MemoryBound: 0
; FloatMode: 240
; IeeeMode: 1
; LDSByteSize: 0 bytes/workgroup (compile time only)
; SGPRBlocks: 0
; VGPRBlocks: 0
; NumSGPRsForWavesPerEU: 6
; NumVGPRsForWavesPerEU: 1
; AccumOffset: 4
; Occupancy: 8
; WaveLimiterHint : 0
; COMPUTE_PGM_RSRC2:SCRATCH_EN: 0
; COMPUTE_PGM_RSRC2:USER_SGPR: 2
; COMPUTE_PGM_RSRC2:TRAP_HANDLER: 0
; COMPUTE_PGM_RSRC2:TGID_X_EN: 1
; COMPUTE_PGM_RSRC2:TGID_Y_EN: 0
; COMPUTE_PGM_RSRC2:TGID_Z_EN: 0
; COMPUTE_PGM_RSRC2:TIDIG_COMP_CNT: 0
; COMPUTE_PGM_RSRC3_GFX90A:ACCUM_OFFSET: 0
; COMPUTE_PGM_RSRC3_GFX90A:TG_SPLIT: 0
	.section	.text._ZN7rocprim17ROCPRIM_400000_NS6detail17trampoline_kernelINS0_14default_configENS1_35radix_sort_onesweep_config_selectorIiiEEZZNS1_29radix_sort_onesweep_iterationIS3_Lb0EN6thrust23THRUST_200600_302600_NS6detail15normal_iteratorINS8_10device_ptrIiEEEESD_SD_SD_jNS0_19identity_decomposerENS1_16block_id_wrapperIjLb0EEEEE10hipError_tT1_PNSt15iterator_traitsISI_E10value_typeET2_T3_PNSJ_ISO_E10value_typeET4_T5_PST_SU_PNS1_23onesweep_lookback_stateEbbT6_jjT7_P12ihipStream_tbENKUlT_T0_SI_SN_E_clIPiSD_S15_SD_EEDaS11_S12_SI_SN_EUlS11_E_NS1_11comp_targetILNS1_3genE2ELNS1_11target_archE906ELNS1_3gpuE6ELNS1_3repE0EEENS1_47radix_sort_onesweep_sort_config_static_selectorELNS0_4arch9wavefront6targetE1EEEvSI_,"axG",@progbits,_ZN7rocprim17ROCPRIM_400000_NS6detail17trampoline_kernelINS0_14default_configENS1_35radix_sort_onesweep_config_selectorIiiEEZZNS1_29radix_sort_onesweep_iterationIS3_Lb0EN6thrust23THRUST_200600_302600_NS6detail15normal_iteratorINS8_10device_ptrIiEEEESD_SD_SD_jNS0_19identity_decomposerENS1_16block_id_wrapperIjLb0EEEEE10hipError_tT1_PNSt15iterator_traitsISI_E10value_typeET2_T3_PNSJ_ISO_E10value_typeET4_T5_PST_SU_PNS1_23onesweep_lookback_stateEbbT6_jjT7_P12ihipStream_tbENKUlT_T0_SI_SN_E_clIPiSD_S15_SD_EEDaS11_S12_SI_SN_EUlS11_E_NS1_11comp_targetILNS1_3genE2ELNS1_11target_archE906ELNS1_3gpuE6ELNS1_3repE0EEENS1_47radix_sort_onesweep_sort_config_static_selectorELNS0_4arch9wavefront6targetE1EEEvSI_,comdat
	.protected	_ZN7rocprim17ROCPRIM_400000_NS6detail17trampoline_kernelINS0_14default_configENS1_35radix_sort_onesweep_config_selectorIiiEEZZNS1_29radix_sort_onesweep_iterationIS3_Lb0EN6thrust23THRUST_200600_302600_NS6detail15normal_iteratorINS8_10device_ptrIiEEEESD_SD_SD_jNS0_19identity_decomposerENS1_16block_id_wrapperIjLb0EEEEE10hipError_tT1_PNSt15iterator_traitsISI_E10value_typeET2_T3_PNSJ_ISO_E10value_typeET4_T5_PST_SU_PNS1_23onesweep_lookback_stateEbbT6_jjT7_P12ihipStream_tbENKUlT_T0_SI_SN_E_clIPiSD_S15_SD_EEDaS11_S12_SI_SN_EUlS11_E_NS1_11comp_targetILNS1_3genE2ELNS1_11target_archE906ELNS1_3gpuE6ELNS1_3repE0EEENS1_47radix_sort_onesweep_sort_config_static_selectorELNS0_4arch9wavefront6targetE1EEEvSI_ ; -- Begin function _ZN7rocprim17ROCPRIM_400000_NS6detail17trampoline_kernelINS0_14default_configENS1_35radix_sort_onesweep_config_selectorIiiEEZZNS1_29radix_sort_onesweep_iterationIS3_Lb0EN6thrust23THRUST_200600_302600_NS6detail15normal_iteratorINS8_10device_ptrIiEEEESD_SD_SD_jNS0_19identity_decomposerENS1_16block_id_wrapperIjLb0EEEEE10hipError_tT1_PNSt15iterator_traitsISI_E10value_typeET2_T3_PNSJ_ISO_E10value_typeET4_T5_PST_SU_PNS1_23onesweep_lookback_stateEbbT6_jjT7_P12ihipStream_tbENKUlT_T0_SI_SN_E_clIPiSD_S15_SD_EEDaS11_S12_SI_SN_EUlS11_E_NS1_11comp_targetILNS1_3genE2ELNS1_11target_archE906ELNS1_3gpuE6ELNS1_3repE0EEENS1_47radix_sort_onesweep_sort_config_static_selectorELNS0_4arch9wavefront6targetE1EEEvSI_
	.globl	_ZN7rocprim17ROCPRIM_400000_NS6detail17trampoline_kernelINS0_14default_configENS1_35radix_sort_onesweep_config_selectorIiiEEZZNS1_29radix_sort_onesweep_iterationIS3_Lb0EN6thrust23THRUST_200600_302600_NS6detail15normal_iteratorINS8_10device_ptrIiEEEESD_SD_SD_jNS0_19identity_decomposerENS1_16block_id_wrapperIjLb0EEEEE10hipError_tT1_PNSt15iterator_traitsISI_E10value_typeET2_T3_PNSJ_ISO_E10value_typeET4_T5_PST_SU_PNS1_23onesweep_lookback_stateEbbT6_jjT7_P12ihipStream_tbENKUlT_T0_SI_SN_E_clIPiSD_S15_SD_EEDaS11_S12_SI_SN_EUlS11_E_NS1_11comp_targetILNS1_3genE2ELNS1_11target_archE906ELNS1_3gpuE6ELNS1_3repE0EEENS1_47radix_sort_onesweep_sort_config_static_selectorELNS0_4arch9wavefront6targetE1EEEvSI_
	.p2align	8
	.type	_ZN7rocprim17ROCPRIM_400000_NS6detail17trampoline_kernelINS0_14default_configENS1_35radix_sort_onesweep_config_selectorIiiEEZZNS1_29radix_sort_onesweep_iterationIS3_Lb0EN6thrust23THRUST_200600_302600_NS6detail15normal_iteratorINS8_10device_ptrIiEEEESD_SD_SD_jNS0_19identity_decomposerENS1_16block_id_wrapperIjLb0EEEEE10hipError_tT1_PNSt15iterator_traitsISI_E10value_typeET2_T3_PNSJ_ISO_E10value_typeET4_T5_PST_SU_PNS1_23onesweep_lookback_stateEbbT6_jjT7_P12ihipStream_tbENKUlT_T0_SI_SN_E_clIPiSD_S15_SD_EEDaS11_S12_SI_SN_EUlS11_E_NS1_11comp_targetILNS1_3genE2ELNS1_11target_archE906ELNS1_3gpuE6ELNS1_3repE0EEENS1_47radix_sort_onesweep_sort_config_static_selectorELNS0_4arch9wavefront6targetE1EEEvSI_,@function
_ZN7rocprim17ROCPRIM_400000_NS6detail17trampoline_kernelINS0_14default_configENS1_35radix_sort_onesweep_config_selectorIiiEEZZNS1_29radix_sort_onesweep_iterationIS3_Lb0EN6thrust23THRUST_200600_302600_NS6detail15normal_iteratorINS8_10device_ptrIiEEEESD_SD_SD_jNS0_19identity_decomposerENS1_16block_id_wrapperIjLb0EEEEE10hipError_tT1_PNSt15iterator_traitsISI_E10value_typeET2_T3_PNSJ_ISO_E10value_typeET4_T5_PST_SU_PNS1_23onesweep_lookback_stateEbbT6_jjT7_P12ihipStream_tbENKUlT_T0_SI_SN_E_clIPiSD_S15_SD_EEDaS11_S12_SI_SN_EUlS11_E_NS1_11comp_targetILNS1_3genE2ELNS1_11target_archE906ELNS1_3gpuE6ELNS1_3repE0EEENS1_47radix_sort_onesweep_sort_config_static_selectorELNS0_4arch9wavefront6targetE1EEEvSI_: ; @_ZN7rocprim17ROCPRIM_400000_NS6detail17trampoline_kernelINS0_14default_configENS1_35radix_sort_onesweep_config_selectorIiiEEZZNS1_29radix_sort_onesweep_iterationIS3_Lb0EN6thrust23THRUST_200600_302600_NS6detail15normal_iteratorINS8_10device_ptrIiEEEESD_SD_SD_jNS0_19identity_decomposerENS1_16block_id_wrapperIjLb0EEEEE10hipError_tT1_PNSt15iterator_traitsISI_E10value_typeET2_T3_PNSJ_ISO_E10value_typeET4_T5_PST_SU_PNS1_23onesweep_lookback_stateEbbT6_jjT7_P12ihipStream_tbENKUlT_T0_SI_SN_E_clIPiSD_S15_SD_EEDaS11_S12_SI_SN_EUlS11_E_NS1_11comp_targetILNS1_3genE2ELNS1_11target_archE906ELNS1_3gpuE6ELNS1_3repE0EEENS1_47radix_sort_onesweep_sort_config_static_selectorELNS0_4arch9wavefront6targetE1EEEvSI_
; %bb.0:
	.section	.rodata,"a",@progbits
	.p2align	6, 0x0
	.amdhsa_kernel _ZN7rocprim17ROCPRIM_400000_NS6detail17trampoline_kernelINS0_14default_configENS1_35radix_sort_onesweep_config_selectorIiiEEZZNS1_29radix_sort_onesweep_iterationIS3_Lb0EN6thrust23THRUST_200600_302600_NS6detail15normal_iteratorINS8_10device_ptrIiEEEESD_SD_SD_jNS0_19identity_decomposerENS1_16block_id_wrapperIjLb0EEEEE10hipError_tT1_PNSt15iterator_traitsISI_E10value_typeET2_T3_PNSJ_ISO_E10value_typeET4_T5_PST_SU_PNS1_23onesweep_lookback_stateEbbT6_jjT7_P12ihipStream_tbENKUlT_T0_SI_SN_E_clIPiSD_S15_SD_EEDaS11_S12_SI_SN_EUlS11_E_NS1_11comp_targetILNS1_3genE2ELNS1_11target_archE906ELNS1_3gpuE6ELNS1_3repE0EEENS1_47radix_sort_onesweep_sort_config_static_selectorELNS0_4arch9wavefront6targetE1EEEvSI_
		.amdhsa_group_segment_fixed_size 0
		.amdhsa_private_segment_fixed_size 0
		.amdhsa_kernarg_size 88
		.amdhsa_user_sgpr_count 2
		.amdhsa_user_sgpr_dispatch_ptr 0
		.amdhsa_user_sgpr_queue_ptr 0
		.amdhsa_user_sgpr_kernarg_segment_ptr 1
		.amdhsa_user_sgpr_dispatch_id 0
		.amdhsa_user_sgpr_kernarg_preload_length 0
		.amdhsa_user_sgpr_kernarg_preload_offset 0
		.amdhsa_user_sgpr_private_segment_size 0
		.amdhsa_uses_dynamic_stack 0
		.amdhsa_enable_private_segment 0
		.amdhsa_system_sgpr_workgroup_id_x 1
		.amdhsa_system_sgpr_workgroup_id_y 0
		.amdhsa_system_sgpr_workgroup_id_z 0
		.amdhsa_system_sgpr_workgroup_info 0
		.amdhsa_system_vgpr_workitem_id 0
		.amdhsa_next_free_vgpr 1
		.amdhsa_next_free_sgpr 0
		.amdhsa_accum_offset 4
		.amdhsa_reserve_vcc 0
		.amdhsa_float_round_mode_32 0
		.amdhsa_float_round_mode_16_64 0
		.amdhsa_float_denorm_mode_32 3
		.amdhsa_float_denorm_mode_16_64 3
		.amdhsa_dx10_clamp 1
		.amdhsa_ieee_mode 1
		.amdhsa_fp16_overflow 0
		.amdhsa_tg_split 0
		.amdhsa_exception_fp_ieee_invalid_op 0
		.amdhsa_exception_fp_denorm_src 0
		.amdhsa_exception_fp_ieee_div_zero 0
		.amdhsa_exception_fp_ieee_overflow 0
		.amdhsa_exception_fp_ieee_underflow 0
		.amdhsa_exception_fp_ieee_inexact 0
		.amdhsa_exception_int_div_zero 0
	.end_amdhsa_kernel
	.section	.text._ZN7rocprim17ROCPRIM_400000_NS6detail17trampoline_kernelINS0_14default_configENS1_35radix_sort_onesweep_config_selectorIiiEEZZNS1_29radix_sort_onesweep_iterationIS3_Lb0EN6thrust23THRUST_200600_302600_NS6detail15normal_iteratorINS8_10device_ptrIiEEEESD_SD_SD_jNS0_19identity_decomposerENS1_16block_id_wrapperIjLb0EEEEE10hipError_tT1_PNSt15iterator_traitsISI_E10value_typeET2_T3_PNSJ_ISO_E10value_typeET4_T5_PST_SU_PNS1_23onesweep_lookback_stateEbbT6_jjT7_P12ihipStream_tbENKUlT_T0_SI_SN_E_clIPiSD_S15_SD_EEDaS11_S12_SI_SN_EUlS11_E_NS1_11comp_targetILNS1_3genE2ELNS1_11target_archE906ELNS1_3gpuE6ELNS1_3repE0EEENS1_47radix_sort_onesweep_sort_config_static_selectorELNS0_4arch9wavefront6targetE1EEEvSI_,"axG",@progbits,_ZN7rocprim17ROCPRIM_400000_NS6detail17trampoline_kernelINS0_14default_configENS1_35radix_sort_onesweep_config_selectorIiiEEZZNS1_29radix_sort_onesweep_iterationIS3_Lb0EN6thrust23THRUST_200600_302600_NS6detail15normal_iteratorINS8_10device_ptrIiEEEESD_SD_SD_jNS0_19identity_decomposerENS1_16block_id_wrapperIjLb0EEEEE10hipError_tT1_PNSt15iterator_traitsISI_E10value_typeET2_T3_PNSJ_ISO_E10value_typeET4_T5_PST_SU_PNS1_23onesweep_lookback_stateEbbT6_jjT7_P12ihipStream_tbENKUlT_T0_SI_SN_E_clIPiSD_S15_SD_EEDaS11_S12_SI_SN_EUlS11_E_NS1_11comp_targetILNS1_3genE2ELNS1_11target_archE906ELNS1_3gpuE6ELNS1_3repE0EEENS1_47radix_sort_onesweep_sort_config_static_selectorELNS0_4arch9wavefront6targetE1EEEvSI_,comdat
.Lfunc_end1467:
	.size	_ZN7rocprim17ROCPRIM_400000_NS6detail17trampoline_kernelINS0_14default_configENS1_35radix_sort_onesweep_config_selectorIiiEEZZNS1_29radix_sort_onesweep_iterationIS3_Lb0EN6thrust23THRUST_200600_302600_NS6detail15normal_iteratorINS8_10device_ptrIiEEEESD_SD_SD_jNS0_19identity_decomposerENS1_16block_id_wrapperIjLb0EEEEE10hipError_tT1_PNSt15iterator_traitsISI_E10value_typeET2_T3_PNSJ_ISO_E10value_typeET4_T5_PST_SU_PNS1_23onesweep_lookback_stateEbbT6_jjT7_P12ihipStream_tbENKUlT_T0_SI_SN_E_clIPiSD_S15_SD_EEDaS11_S12_SI_SN_EUlS11_E_NS1_11comp_targetILNS1_3genE2ELNS1_11target_archE906ELNS1_3gpuE6ELNS1_3repE0EEENS1_47radix_sort_onesweep_sort_config_static_selectorELNS0_4arch9wavefront6targetE1EEEvSI_, .Lfunc_end1467-_ZN7rocprim17ROCPRIM_400000_NS6detail17trampoline_kernelINS0_14default_configENS1_35radix_sort_onesweep_config_selectorIiiEEZZNS1_29radix_sort_onesweep_iterationIS3_Lb0EN6thrust23THRUST_200600_302600_NS6detail15normal_iteratorINS8_10device_ptrIiEEEESD_SD_SD_jNS0_19identity_decomposerENS1_16block_id_wrapperIjLb0EEEEE10hipError_tT1_PNSt15iterator_traitsISI_E10value_typeET2_T3_PNSJ_ISO_E10value_typeET4_T5_PST_SU_PNS1_23onesweep_lookback_stateEbbT6_jjT7_P12ihipStream_tbENKUlT_T0_SI_SN_E_clIPiSD_S15_SD_EEDaS11_S12_SI_SN_EUlS11_E_NS1_11comp_targetILNS1_3genE2ELNS1_11target_archE906ELNS1_3gpuE6ELNS1_3repE0EEENS1_47radix_sort_onesweep_sort_config_static_selectorELNS0_4arch9wavefront6targetE1EEEvSI_
                                        ; -- End function
	.set _ZN7rocprim17ROCPRIM_400000_NS6detail17trampoline_kernelINS0_14default_configENS1_35radix_sort_onesweep_config_selectorIiiEEZZNS1_29radix_sort_onesweep_iterationIS3_Lb0EN6thrust23THRUST_200600_302600_NS6detail15normal_iteratorINS8_10device_ptrIiEEEESD_SD_SD_jNS0_19identity_decomposerENS1_16block_id_wrapperIjLb0EEEEE10hipError_tT1_PNSt15iterator_traitsISI_E10value_typeET2_T3_PNSJ_ISO_E10value_typeET4_T5_PST_SU_PNS1_23onesweep_lookback_stateEbbT6_jjT7_P12ihipStream_tbENKUlT_T0_SI_SN_E_clIPiSD_S15_SD_EEDaS11_S12_SI_SN_EUlS11_E_NS1_11comp_targetILNS1_3genE2ELNS1_11target_archE906ELNS1_3gpuE6ELNS1_3repE0EEENS1_47radix_sort_onesweep_sort_config_static_selectorELNS0_4arch9wavefront6targetE1EEEvSI_.num_vgpr, 0
	.set _ZN7rocprim17ROCPRIM_400000_NS6detail17trampoline_kernelINS0_14default_configENS1_35radix_sort_onesweep_config_selectorIiiEEZZNS1_29radix_sort_onesweep_iterationIS3_Lb0EN6thrust23THRUST_200600_302600_NS6detail15normal_iteratorINS8_10device_ptrIiEEEESD_SD_SD_jNS0_19identity_decomposerENS1_16block_id_wrapperIjLb0EEEEE10hipError_tT1_PNSt15iterator_traitsISI_E10value_typeET2_T3_PNSJ_ISO_E10value_typeET4_T5_PST_SU_PNS1_23onesweep_lookback_stateEbbT6_jjT7_P12ihipStream_tbENKUlT_T0_SI_SN_E_clIPiSD_S15_SD_EEDaS11_S12_SI_SN_EUlS11_E_NS1_11comp_targetILNS1_3genE2ELNS1_11target_archE906ELNS1_3gpuE6ELNS1_3repE0EEENS1_47radix_sort_onesweep_sort_config_static_selectorELNS0_4arch9wavefront6targetE1EEEvSI_.num_agpr, 0
	.set _ZN7rocprim17ROCPRIM_400000_NS6detail17trampoline_kernelINS0_14default_configENS1_35radix_sort_onesweep_config_selectorIiiEEZZNS1_29radix_sort_onesweep_iterationIS3_Lb0EN6thrust23THRUST_200600_302600_NS6detail15normal_iteratorINS8_10device_ptrIiEEEESD_SD_SD_jNS0_19identity_decomposerENS1_16block_id_wrapperIjLb0EEEEE10hipError_tT1_PNSt15iterator_traitsISI_E10value_typeET2_T3_PNSJ_ISO_E10value_typeET4_T5_PST_SU_PNS1_23onesweep_lookback_stateEbbT6_jjT7_P12ihipStream_tbENKUlT_T0_SI_SN_E_clIPiSD_S15_SD_EEDaS11_S12_SI_SN_EUlS11_E_NS1_11comp_targetILNS1_3genE2ELNS1_11target_archE906ELNS1_3gpuE6ELNS1_3repE0EEENS1_47radix_sort_onesweep_sort_config_static_selectorELNS0_4arch9wavefront6targetE1EEEvSI_.numbered_sgpr, 0
	.set _ZN7rocprim17ROCPRIM_400000_NS6detail17trampoline_kernelINS0_14default_configENS1_35radix_sort_onesweep_config_selectorIiiEEZZNS1_29radix_sort_onesweep_iterationIS3_Lb0EN6thrust23THRUST_200600_302600_NS6detail15normal_iteratorINS8_10device_ptrIiEEEESD_SD_SD_jNS0_19identity_decomposerENS1_16block_id_wrapperIjLb0EEEEE10hipError_tT1_PNSt15iterator_traitsISI_E10value_typeET2_T3_PNSJ_ISO_E10value_typeET4_T5_PST_SU_PNS1_23onesweep_lookback_stateEbbT6_jjT7_P12ihipStream_tbENKUlT_T0_SI_SN_E_clIPiSD_S15_SD_EEDaS11_S12_SI_SN_EUlS11_E_NS1_11comp_targetILNS1_3genE2ELNS1_11target_archE906ELNS1_3gpuE6ELNS1_3repE0EEENS1_47radix_sort_onesweep_sort_config_static_selectorELNS0_4arch9wavefront6targetE1EEEvSI_.num_named_barrier, 0
	.set _ZN7rocprim17ROCPRIM_400000_NS6detail17trampoline_kernelINS0_14default_configENS1_35radix_sort_onesweep_config_selectorIiiEEZZNS1_29radix_sort_onesweep_iterationIS3_Lb0EN6thrust23THRUST_200600_302600_NS6detail15normal_iteratorINS8_10device_ptrIiEEEESD_SD_SD_jNS0_19identity_decomposerENS1_16block_id_wrapperIjLb0EEEEE10hipError_tT1_PNSt15iterator_traitsISI_E10value_typeET2_T3_PNSJ_ISO_E10value_typeET4_T5_PST_SU_PNS1_23onesweep_lookback_stateEbbT6_jjT7_P12ihipStream_tbENKUlT_T0_SI_SN_E_clIPiSD_S15_SD_EEDaS11_S12_SI_SN_EUlS11_E_NS1_11comp_targetILNS1_3genE2ELNS1_11target_archE906ELNS1_3gpuE6ELNS1_3repE0EEENS1_47radix_sort_onesweep_sort_config_static_selectorELNS0_4arch9wavefront6targetE1EEEvSI_.private_seg_size, 0
	.set _ZN7rocprim17ROCPRIM_400000_NS6detail17trampoline_kernelINS0_14default_configENS1_35radix_sort_onesweep_config_selectorIiiEEZZNS1_29radix_sort_onesweep_iterationIS3_Lb0EN6thrust23THRUST_200600_302600_NS6detail15normal_iteratorINS8_10device_ptrIiEEEESD_SD_SD_jNS0_19identity_decomposerENS1_16block_id_wrapperIjLb0EEEEE10hipError_tT1_PNSt15iterator_traitsISI_E10value_typeET2_T3_PNSJ_ISO_E10value_typeET4_T5_PST_SU_PNS1_23onesweep_lookback_stateEbbT6_jjT7_P12ihipStream_tbENKUlT_T0_SI_SN_E_clIPiSD_S15_SD_EEDaS11_S12_SI_SN_EUlS11_E_NS1_11comp_targetILNS1_3genE2ELNS1_11target_archE906ELNS1_3gpuE6ELNS1_3repE0EEENS1_47radix_sort_onesweep_sort_config_static_selectorELNS0_4arch9wavefront6targetE1EEEvSI_.uses_vcc, 0
	.set _ZN7rocprim17ROCPRIM_400000_NS6detail17trampoline_kernelINS0_14default_configENS1_35radix_sort_onesweep_config_selectorIiiEEZZNS1_29radix_sort_onesweep_iterationIS3_Lb0EN6thrust23THRUST_200600_302600_NS6detail15normal_iteratorINS8_10device_ptrIiEEEESD_SD_SD_jNS0_19identity_decomposerENS1_16block_id_wrapperIjLb0EEEEE10hipError_tT1_PNSt15iterator_traitsISI_E10value_typeET2_T3_PNSJ_ISO_E10value_typeET4_T5_PST_SU_PNS1_23onesweep_lookback_stateEbbT6_jjT7_P12ihipStream_tbENKUlT_T0_SI_SN_E_clIPiSD_S15_SD_EEDaS11_S12_SI_SN_EUlS11_E_NS1_11comp_targetILNS1_3genE2ELNS1_11target_archE906ELNS1_3gpuE6ELNS1_3repE0EEENS1_47radix_sort_onesweep_sort_config_static_selectorELNS0_4arch9wavefront6targetE1EEEvSI_.uses_flat_scratch, 0
	.set _ZN7rocprim17ROCPRIM_400000_NS6detail17trampoline_kernelINS0_14default_configENS1_35radix_sort_onesweep_config_selectorIiiEEZZNS1_29radix_sort_onesweep_iterationIS3_Lb0EN6thrust23THRUST_200600_302600_NS6detail15normal_iteratorINS8_10device_ptrIiEEEESD_SD_SD_jNS0_19identity_decomposerENS1_16block_id_wrapperIjLb0EEEEE10hipError_tT1_PNSt15iterator_traitsISI_E10value_typeET2_T3_PNSJ_ISO_E10value_typeET4_T5_PST_SU_PNS1_23onesweep_lookback_stateEbbT6_jjT7_P12ihipStream_tbENKUlT_T0_SI_SN_E_clIPiSD_S15_SD_EEDaS11_S12_SI_SN_EUlS11_E_NS1_11comp_targetILNS1_3genE2ELNS1_11target_archE906ELNS1_3gpuE6ELNS1_3repE0EEENS1_47radix_sort_onesweep_sort_config_static_selectorELNS0_4arch9wavefront6targetE1EEEvSI_.has_dyn_sized_stack, 0
	.set _ZN7rocprim17ROCPRIM_400000_NS6detail17trampoline_kernelINS0_14default_configENS1_35radix_sort_onesweep_config_selectorIiiEEZZNS1_29radix_sort_onesweep_iterationIS3_Lb0EN6thrust23THRUST_200600_302600_NS6detail15normal_iteratorINS8_10device_ptrIiEEEESD_SD_SD_jNS0_19identity_decomposerENS1_16block_id_wrapperIjLb0EEEEE10hipError_tT1_PNSt15iterator_traitsISI_E10value_typeET2_T3_PNSJ_ISO_E10value_typeET4_T5_PST_SU_PNS1_23onesweep_lookback_stateEbbT6_jjT7_P12ihipStream_tbENKUlT_T0_SI_SN_E_clIPiSD_S15_SD_EEDaS11_S12_SI_SN_EUlS11_E_NS1_11comp_targetILNS1_3genE2ELNS1_11target_archE906ELNS1_3gpuE6ELNS1_3repE0EEENS1_47radix_sort_onesweep_sort_config_static_selectorELNS0_4arch9wavefront6targetE1EEEvSI_.has_recursion, 0
	.set _ZN7rocprim17ROCPRIM_400000_NS6detail17trampoline_kernelINS0_14default_configENS1_35radix_sort_onesweep_config_selectorIiiEEZZNS1_29radix_sort_onesweep_iterationIS3_Lb0EN6thrust23THRUST_200600_302600_NS6detail15normal_iteratorINS8_10device_ptrIiEEEESD_SD_SD_jNS0_19identity_decomposerENS1_16block_id_wrapperIjLb0EEEEE10hipError_tT1_PNSt15iterator_traitsISI_E10value_typeET2_T3_PNSJ_ISO_E10value_typeET4_T5_PST_SU_PNS1_23onesweep_lookback_stateEbbT6_jjT7_P12ihipStream_tbENKUlT_T0_SI_SN_E_clIPiSD_S15_SD_EEDaS11_S12_SI_SN_EUlS11_E_NS1_11comp_targetILNS1_3genE2ELNS1_11target_archE906ELNS1_3gpuE6ELNS1_3repE0EEENS1_47radix_sort_onesweep_sort_config_static_selectorELNS0_4arch9wavefront6targetE1EEEvSI_.has_indirect_call, 0
	.section	.AMDGPU.csdata,"",@progbits
; Kernel info:
; codeLenInByte = 0
; TotalNumSgprs: 6
; NumVgprs: 0
; NumAgprs: 0
; TotalNumVgprs: 0
; ScratchSize: 0
; MemoryBound: 0
; FloatMode: 240
; IeeeMode: 1
; LDSByteSize: 0 bytes/workgroup (compile time only)
; SGPRBlocks: 0
; VGPRBlocks: 0
; NumSGPRsForWavesPerEU: 6
; NumVGPRsForWavesPerEU: 1
; AccumOffset: 4
; Occupancy: 8
; WaveLimiterHint : 0
; COMPUTE_PGM_RSRC2:SCRATCH_EN: 0
; COMPUTE_PGM_RSRC2:USER_SGPR: 2
; COMPUTE_PGM_RSRC2:TRAP_HANDLER: 0
; COMPUTE_PGM_RSRC2:TGID_X_EN: 1
; COMPUTE_PGM_RSRC2:TGID_Y_EN: 0
; COMPUTE_PGM_RSRC2:TGID_Z_EN: 0
; COMPUTE_PGM_RSRC2:TIDIG_COMP_CNT: 0
; COMPUTE_PGM_RSRC3_GFX90A:ACCUM_OFFSET: 0
; COMPUTE_PGM_RSRC3_GFX90A:TG_SPLIT: 0
	.section	.text._ZN7rocprim17ROCPRIM_400000_NS6detail17trampoline_kernelINS0_14default_configENS1_35radix_sort_onesweep_config_selectorIiiEEZZNS1_29radix_sort_onesweep_iterationIS3_Lb0EN6thrust23THRUST_200600_302600_NS6detail15normal_iteratorINS8_10device_ptrIiEEEESD_SD_SD_jNS0_19identity_decomposerENS1_16block_id_wrapperIjLb0EEEEE10hipError_tT1_PNSt15iterator_traitsISI_E10value_typeET2_T3_PNSJ_ISO_E10value_typeET4_T5_PST_SU_PNS1_23onesweep_lookback_stateEbbT6_jjT7_P12ihipStream_tbENKUlT_T0_SI_SN_E_clIPiSD_S15_SD_EEDaS11_S12_SI_SN_EUlS11_E_NS1_11comp_targetILNS1_3genE4ELNS1_11target_archE910ELNS1_3gpuE8ELNS1_3repE0EEENS1_47radix_sort_onesweep_sort_config_static_selectorELNS0_4arch9wavefront6targetE1EEEvSI_,"axG",@progbits,_ZN7rocprim17ROCPRIM_400000_NS6detail17trampoline_kernelINS0_14default_configENS1_35radix_sort_onesweep_config_selectorIiiEEZZNS1_29radix_sort_onesweep_iterationIS3_Lb0EN6thrust23THRUST_200600_302600_NS6detail15normal_iteratorINS8_10device_ptrIiEEEESD_SD_SD_jNS0_19identity_decomposerENS1_16block_id_wrapperIjLb0EEEEE10hipError_tT1_PNSt15iterator_traitsISI_E10value_typeET2_T3_PNSJ_ISO_E10value_typeET4_T5_PST_SU_PNS1_23onesweep_lookback_stateEbbT6_jjT7_P12ihipStream_tbENKUlT_T0_SI_SN_E_clIPiSD_S15_SD_EEDaS11_S12_SI_SN_EUlS11_E_NS1_11comp_targetILNS1_3genE4ELNS1_11target_archE910ELNS1_3gpuE8ELNS1_3repE0EEENS1_47radix_sort_onesweep_sort_config_static_selectorELNS0_4arch9wavefront6targetE1EEEvSI_,comdat
	.protected	_ZN7rocprim17ROCPRIM_400000_NS6detail17trampoline_kernelINS0_14default_configENS1_35radix_sort_onesweep_config_selectorIiiEEZZNS1_29radix_sort_onesweep_iterationIS3_Lb0EN6thrust23THRUST_200600_302600_NS6detail15normal_iteratorINS8_10device_ptrIiEEEESD_SD_SD_jNS0_19identity_decomposerENS1_16block_id_wrapperIjLb0EEEEE10hipError_tT1_PNSt15iterator_traitsISI_E10value_typeET2_T3_PNSJ_ISO_E10value_typeET4_T5_PST_SU_PNS1_23onesweep_lookback_stateEbbT6_jjT7_P12ihipStream_tbENKUlT_T0_SI_SN_E_clIPiSD_S15_SD_EEDaS11_S12_SI_SN_EUlS11_E_NS1_11comp_targetILNS1_3genE4ELNS1_11target_archE910ELNS1_3gpuE8ELNS1_3repE0EEENS1_47radix_sort_onesweep_sort_config_static_selectorELNS0_4arch9wavefront6targetE1EEEvSI_ ; -- Begin function _ZN7rocprim17ROCPRIM_400000_NS6detail17trampoline_kernelINS0_14default_configENS1_35radix_sort_onesweep_config_selectorIiiEEZZNS1_29radix_sort_onesweep_iterationIS3_Lb0EN6thrust23THRUST_200600_302600_NS6detail15normal_iteratorINS8_10device_ptrIiEEEESD_SD_SD_jNS0_19identity_decomposerENS1_16block_id_wrapperIjLb0EEEEE10hipError_tT1_PNSt15iterator_traitsISI_E10value_typeET2_T3_PNSJ_ISO_E10value_typeET4_T5_PST_SU_PNS1_23onesweep_lookback_stateEbbT6_jjT7_P12ihipStream_tbENKUlT_T0_SI_SN_E_clIPiSD_S15_SD_EEDaS11_S12_SI_SN_EUlS11_E_NS1_11comp_targetILNS1_3genE4ELNS1_11target_archE910ELNS1_3gpuE8ELNS1_3repE0EEENS1_47radix_sort_onesweep_sort_config_static_selectorELNS0_4arch9wavefront6targetE1EEEvSI_
	.globl	_ZN7rocprim17ROCPRIM_400000_NS6detail17trampoline_kernelINS0_14default_configENS1_35radix_sort_onesweep_config_selectorIiiEEZZNS1_29radix_sort_onesweep_iterationIS3_Lb0EN6thrust23THRUST_200600_302600_NS6detail15normal_iteratorINS8_10device_ptrIiEEEESD_SD_SD_jNS0_19identity_decomposerENS1_16block_id_wrapperIjLb0EEEEE10hipError_tT1_PNSt15iterator_traitsISI_E10value_typeET2_T3_PNSJ_ISO_E10value_typeET4_T5_PST_SU_PNS1_23onesweep_lookback_stateEbbT6_jjT7_P12ihipStream_tbENKUlT_T0_SI_SN_E_clIPiSD_S15_SD_EEDaS11_S12_SI_SN_EUlS11_E_NS1_11comp_targetILNS1_3genE4ELNS1_11target_archE910ELNS1_3gpuE8ELNS1_3repE0EEENS1_47radix_sort_onesweep_sort_config_static_selectorELNS0_4arch9wavefront6targetE1EEEvSI_
	.p2align	8
	.type	_ZN7rocprim17ROCPRIM_400000_NS6detail17trampoline_kernelINS0_14default_configENS1_35radix_sort_onesweep_config_selectorIiiEEZZNS1_29radix_sort_onesweep_iterationIS3_Lb0EN6thrust23THRUST_200600_302600_NS6detail15normal_iteratorINS8_10device_ptrIiEEEESD_SD_SD_jNS0_19identity_decomposerENS1_16block_id_wrapperIjLb0EEEEE10hipError_tT1_PNSt15iterator_traitsISI_E10value_typeET2_T3_PNSJ_ISO_E10value_typeET4_T5_PST_SU_PNS1_23onesweep_lookback_stateEbbT6_jjT7_P12ihipStream_tbENKUlT_T0_SI_SN_E_clIPiSD_S15_SD_EEDaS11_S12_SI_SN_EUlS11_E_NS1_11comp_targetILNS1_3genE4ELNS1_11target_archE910ELNS1_3gpuE8ELNS1_3repE0EEENS1_47radix_sort_onesweep_sort_config_static_selectorELNS0_4arch9wavefront6targetE1EEEvSI_,@function
_ZN7rocprim17ROCPRIM_400000_NS6detail17trampoline_kernelINS0_14default_configENS1_35radix_sort_onesweep_config_selectorIiiEEZZNS1_29radix_sort_onesweep_iterationIS3_Lb0EN6thrust23THRUST_200600_302600_NS6detail15normal_iteratorINS8_10device_ptrIiEEEESD_SD_SD_jNS0_19identity_decomposerENS1_16block_id_wrapperIjLb0EEEEE10hipError_tT1_PNSt15iterator_traitsISI_E10value_typeET2_T3_PNSJ_ISO_E10value_typeET4_T5_PST_SU_PNS1_23onesweep_lookback_stateEbbT6_jjT7_P12ihipStream_tbENKUlT_T0_SI_SN_E_clIPiSD_S15_SD_EEDaS11_S12_SI_SN_EUlS11_E_NS1_11comp_targetILNS1_3genE4ELNS1_11target_archE910ELNS1_3gpuE8ELNS1_3repE0EEENS1_47radix_sort_onesweep_sort_config_static_selectorELNS0_4arch9wavefront6targetE1EEEvSI_: ; @_ZN7rocprim17ROCPRIM_400000_NS6detail17trampoline_kernelINS0_14default_configENS1_35radix_sort_onesweep_config_selectorIiiEEZZNS1_29radix_sort_onesweep_iterationIS3_Lb0EN6thrust23THRUST_200600_302600_NS6detail15normal_iteratorINS8_10device_ptrIiEEEESD_SD_SD_jNS0_19identity_decomposerENS1_16block_id_wrapperIjLb0EEEEE10hipError_tT1_PNSt15iterator_traitsISI_E10value_typeET2_T3_PNSJ_ISO_E10value_typeET4_T5_PST_SU_PNS1_23onesweep_lookback_stateEbbT6_jjT7_P12ihipStream_tbENKUlT_T0_SI_SN_E_clIPiSD_S15_SD_EEDaS11_S12_SI_SN_EUlS11_E_NS1_11comp_targetILNS1_3genE4ELNS1_11target_archE910ELNS1_3gpuE8ELNS1_3repE0EEENS1_47radix_sort_onesweep_sort_config_static_selectorELNS0_4arch9wavefront6targetE1EEEvSI_
; %bb.0:
	.section	.rodata,"a",@progbits
	.p2align	6, 0x0
	.amdhsa_kernel _ZN7rocprim17ROCPRIM_400000_NS6detail17trampoline_kernelINS0_14default_configENS1_35radix_sort_onesweep_config_selectorIiiEEZZNS1_29radix_sort_onesweep_iterationIS3_Lb0EN6thrust23THRUST_200600_302600_NS6detail15normal_iteratorINS8_10device_ptrIiEEEESD_SD_SD_jNS0_19identity_decomposerENS1_16block_id_wrapperIjLb0EEEEE10hipError_tT1_PNSt15iterator_traitsISI_E10value_typeET2_T3_PNSJ_ISO_E10value_typeET4_T5_PST_SU_PNS1_23onesweep_lookback_stateEbbT6_jjT7_P12ihipStream_tbENKUlT_T0_SI_SN_E_clIPiSD_S15_SD_EEDaS11_S12_SI_SN_EUlS11_E_NS1_11comp_targetILNS1_3genE4ELNS1_11target_archE910ELNS1_3gpuE8ELNS1_3repE0EEENS1_47radix_sort_onesweep_sort_config_static_selectorELNS0_4arch9wavefront6targetE1EEEvSI_
		.amdhsa_group_segment_fixed_size 0
		.amdhsa_private_segment_fixed_size 0
		.amdhsa_kernarg_size 88
		.amdhsa_user_sgpr_count 2
		.amdhsa_user_sgpr_dispatch_ptr 0
		.amdhsa_user_sgpr_queue_ptr 0
		.amdhsa_user_sgpr_kernarg_segment_ptr 1
		.amdhsa_user_sgpr_dispatch_id 0
		.amdhsa_user_sgpr_kernarg_preload_length 0
		.amdhsa_user_sgpr_kernarg_preload_offset 0
		.amdhsa_user_sgpr_private_segment_size 0
		.amdhsa_uses_dynamic_stack 0
		.amdhsa_enable_private_segment 0
		.amdhsa_system_sgpr_workgroup_id_x 1
		.amdhsa_system_sgpr_workgroup_id_y 0
		.amdhsa_system_sgpr_workgroup_id_z 0
		.amdhsa_system_sgpr_workgroup_info 0
		.amdhsa_system_vgpr_workitem_id 0
		.amdhsa_next_free_vgpr 1
		.amdhsa_next_free_sgpr 0
		.amdhsa_accum_offset 4
		.amdhsa_reserve_vcc 0
		.amdhsa_float_round_mode_32 0
		.amdhsa_float_round_mode_16_64 0
		.amdhsa_float_denorm_mode_32 3
		.amdhsa_float_denorm_mode_16_64 3
		.amdhsa_dx10_clamp 1
		.amdhsa_ieee_mode 1
		.amdhsa_fp16_overflow 0
		.amdhsa_tg_split 0
		.amdhsa_exception_fp_ieee_invalid_op 0
		.amdhsa_exception_fp_denorm_src 0
		.amdhsa_exception_fp_ieee_div_zero 0
		.amdhsa_exception_fp_ieee_overflow 0
		.amdhsa_exception_fp_ieee_underflow 0
		.amdhsa_exception_fp_ieee_inexact 0
		.amdhsa_exception_int_div_zero 0
	.end_amdhsa_kernel
	.section	.text._ZN7rocprim17ROCPRIM_400000_NS6detail17trampoline_kernelINS0_14default_configENS1_35radix_sort_onesweep_config_selectorIiiEEZZNS1_29radix_sort_onesweep_iterationIS3_Lb0EN6thrust23THRUST_200600_302600_NS6detail15normal_iteratorINS8_10device_ptrIiEEEESD_SD_SD_jNS0_19identity_decomposerENS1_16block_id_wrapperIjLb0EEEEE10hipError_tT1_PNSt15iterator_traitsISI_E10value_typeET2_T3_PNSJ_ISO_E10value_typeET4_T5_PST_SU_PNS1_23onesweep_lookback_stateEbbT6_jjT7_P12ihipStream_tbENKUlT_T0_SI_SN_E_clIPiSD_S15_SD_EEDaS11_S12_SI_SN_EUlS11_E_NS1_11comp_targetILNS1_3genE4ELNS1_11target_archE910ELNS1_3gpuE8ELNS1_3repE0EEENS1_47radix_sort_onesweep_sort_config_static_selectorELNS0_4arch9wavefront6targetE1EEEvSI_,"axG",@progbits,_ZN7rocprim17ROCPRIM_400000_NS6detail17trampoline_kernelINS0_14default_configENS1_35radix_sort_onesweep_config_selectorIiiEEZZNS1_29radix_sort_onesweep_iterationIS3_Lb0EN6thrust23THRUST_200600_302600_NS6detail15normal_iteratorINS8_10device_ptrIiEEEESD_SD_SD_jNS0_19identity_decomposerENS1_16block_id_wrapperIjLb0EEEEE10hipError_tT1_PNSt15iterator_traitsISI_E10value_typeET2_T3_PNSJ_ISO_E10value_typeET4_T5_PST_SU_PNS1_23onesweep_lookback_stateEbbT6_jjT7_P12ihipStream_tbENKUlT_T0_SI_SN_E_clIPiSD_S15_SD_EEDaS11_S12_SI_SN_EUlS11_E_NS1_11comp_targetILNS1_3genE4ELNS1_11target_archE910ELNS1_3gpuE8ELNS1_3repE0EEENS1_47radix_sort_onesweep_sort_config_static_selectorELNS0_4arch9wavefront6targetE1EEEvSI_,comdat
.Lfunc_end1468:
	.size	_ZN7rocprim17ROCPRIM_400000_NS6detail17trampoline_kernelINS0_14default_configENS1_35radix_sort_onesweep_config_selectorIiiEEZZNS1_29radix_sort_onesweep_iterationIS3_Lb0EN6thrust23THRUST_200600_302600_NS6detail15normal_iteratorINS8_10device_ptrIiEEEESD_SD_SD_jNS0_19identity_decomposerENS1_16block_id_wrapperIjLb0EEEEE10hipError_tT1_PNSt15iterator_traitsISI_E10value_typeET2_T3_PNSJ_ISO_E10value_typeET4_T5_PST_SU_PNS1_23onesweep_lookback_stateEbbT6_jjT7_P12ihipStream_tbENKUlT_T0_SI_SN_E_clIPiSD_S15_SD_EEDaS11_S12_SI_SN_EUlS11_E_NS1_11comp_targetILNS1_3genE4ELNS1_11target_archE910ELNS1_3gpuE8ELNS1_3repE0EEENS1_47radix_sort_onesweep_sort_config_static_selectorELNS0_4arch9wavefront6targetE1EEEvSI_, .Lfunc_end1468-_ZN7rocprim17ROCPRIM_400000_NS6detail17trampoline_kernelINS0_14default_configENS1_35radix_sort_onesweep_config_selectorIiiEEZZNS1_29radix_sort_onesweep_iterationIS3_Lb0EN6thrust23THRUST_200600_302600_NS6detail15normal_iteratorINS8_10device_ptrIiEEEESD_SD_SD_jNS0_19identity_decomposerENS1_16block_id_wrapperIjLb0EEEEE10hipError_tT1_PNSt15iterator_traitsISI_E10value_typeET2_T3_PNSJ_ISO_E10value_typeET4_T5_PST_SU_PNS1_23onesweep_lookback_stateEbbT6_jjT7_P12ihipStream_tbENKUlT_T0_SI_SN_E_clIPiSD_S15_SD_EEDaS11_S12_SI_SN_EUlS11_E_NS1_11comp_targetILNS1_3genE4ELNS1_11target_archE910ELNS1_3gpuE8ELNS1_3repE0EEENS1_47radix_sort_onesweep_sort_config_static_selectorELNS0_4arch9wavefront6targetE1EEEvSI_
                                        ; -- End function
	.set _ZN7rocprim17ROCPRIM_400000_NS6detail17trampoline_kernelINS0_14default_configENS1_35radix_sort_onesweep_config_selectorIiiEEZZNS1_29radix_sort_onesweep_iterationIS3_Lb0EN6thrust23THRUST_200600_302600_NS6detail15normal_iteratorINS8_10device_ptrIiEEEESD_SD_SD_jNS0_19identity_decomposerENS1_16block_id_wrapperIjLb0EEEEE10hipError_tT1_PNSt15iterator_traitsISI_E10value_typeET2_T3_PNSJ_ISO_E10value_typeET4_T5_PST_SU_PNS1_23onesweep_lookback_stateEbbT6_jjT7_P12ihipStream_tbENKUlT_T0_SI_SN_E_clIPiSD_S15_SD_EEDaS11_S12_SI_SN_EUlS11_E_NS1_11comp_targetILNS1_3genE4ELNS1_11target_archE910ELNS1_3gpuE8ELNS1_3repE0EEENS1_47radix_sort_onesweep_sort_config_static_selectorELNS0_4arch9wavefront6targetE1EEEvSI_.num_vgpr, 0
	.set _ZN7rocprim17ROCPRIM_400000_NS6detail17trampoline_kernelINS0_14default_configENS1_35radix_sort_onesweep_config_selectorIiiEEZZNS1_29radix_sort_onesweep_iterationIS3_Lb0EN6thrust23THRUST_200600_302600_NS6detail15normal_iteratorINS8_10device_ptrIiEEEESD_SD_SD_jNS0_19identity_decomposerENS1_16block_id_wrapperIjLb0EEEEE10hipError_tT1_PNSt15iterator_traitsISI_E10value_typeET2_T3_PNSJ_ISO_E10value_typeET4_T5_PST_SU_PNS1_23onesweep_lookback_stateEbbT6_jjT7_P12ihipStream_tbENKUlT_T0_SI_SN_E_clIPiSD_S15_SD_EEDaS11_S12_SI_SN_EUlS11_E_NS1_11comp_targetILNS1_3genE4ELNS1_11target_archE910ELNS1_3gpuE8ELNS1_3repE0EEENS1_47radix_sort_onesweep_sort_config_static_selectorELNS0_4arch9wavefront6targetE1EEEvSI_.num_agpr, 0
	.set _ZN7rocprim17ROCPRIM_400000_NS6detail17trampoline_kernelINS0_14default_configENS1_35radix_sort_onesweep_config_selectorIiiEEZZNS1_29radix_sort_onesweep_iterationIS3_Lb0EN6thrust23THRUST_200600_302600_NS6detail15normal_iteratorINS8_10device_ptrIiEEEESD_SD_SD_jNS0_19identity_decomposerENS1_16block_id_wrapperIjLb0EEEEE10hipError_tT1_PNSt15iterator_traitsISI_E10value_typeET2_T3_PNSJ_ISO_E10value_typeET4_T5_PST_SU_PNS1_23onesweep_lookback_stateEbbT6_jjT7_P12ihipStream_tbENKUlT_T0_SI_SN_E_clIPiSD_S15_SD_EEDaS11_S12_SI_SN_EUlS11_E_NS1_11comp_targetILNS1_3genE4ELNS1_11target_archE910ELNS1_3gpuE8ELNS1_3repE0EEENS1_47radix_sort_onesweep_sort_config_static_selectorELNS0_4arch9wavefront6targetE1EEEvSI_.numbered_sgpr, 0
	.set _ZN7rocprim17ROCPRIM_400000_NS6detail17trampoline_kernelINS0_14default_configENS1_35radix_sort_onesweep_config_selectorIiiEEZZNS1_29radix_sort_onesweep_iterationIS3_Lb0EN6thrust23THRUST_200600_302600_NS6detail15normal_iteratorINS8_10device_ptrIiEEEESD_SD_SD_jNS0_19identity_decomposerENS1_16block_id_wrapperIjLb0EEEEE10hipError_tT1_PNSt15iterator_traitsISI_E10value_typeET2_T3_PNSJ_ISO_E10value_typeET4_T5_PST_SU_PNS1_23onesweep_lookback_stateEbbT6_jjT7_P12ihipStream_tbENKUlT_T0_SI_SN_E_clIPiSD_S15_SD_EEDaS11_S12_SI_SN_EUlS11_E_NS1_11comp_targetILNS1_3genE4ELNS1_11target_archE910ELNS1_3gpuE8ELNS1_3repE0EEENS1_47radix_sort_onesweep_sort_config_static_selectorELNS0_4arch9wavefront6targetE1EEEvSI_.num_named_barrier, 0
	.set _ZN7rocprim17ROCPRIM_400000_NS6detail17trampoline_kernelINS0_14default_configENS1_35radix_sort_onesweep_config_selectorIiiEEZZNS1_29radix_sort_onesweep_iterationIS3_Lb0EN6thrust23THRUST_200600_302600_NS6detail15normal_iteratorINS8_10device_ptrIiEEEESD_SD_SD_jNS0_19identity_decomposerENS1_16block_id_wrapperIjLb0EEEEE10hipError_tT1_PNSt15iterator_traitsISI_E10value_typeET2_T3_PNSJ_ISO_E10value_typeET4_T5_PST_SU_PNS1_23onesweep_lookback_stateEbbT6_jjT7_P12ihipStream_tbENKUlT_T0_SI_SN_E_clIPiSD_S15_SD_EEDaS11_S12_SI_SN_EUlS11_E_NS1_11comp_targetILNS1_3genE4ELNS1_11target_archE910ELNS1_3gpuE8ELNS1_3repE0EEENS1_47radix_sort_onesweep_sort_config_static_selectorELNS0_4arch9wavefront6targetE1EEEvSI_.private_seg_size, 0
	.set _ZN7rocprim17ROCPRIM_400000_NS6detail17trampoline_kernelINS0_14default_configENS1_35radix_sort_onesweep_config_selectorIiiEEZZNS1_29radix_sort_onesweep_iterationIS3_Lb0EN6thrust23THRUST_200600_302600_NS6detail15normal_iteratorINS8_10device_ptrIiEEEESD_SD_SD_jNS0_19identity_decomposerENS1_16block_id_wrapperIjLb0EEEEE10hipError_tT1_PNSt15iterator_traitsISI_E10value_typeET2_T3_PNSJ_ISO_E10value_typeET4_T5_PST_SU_PNS1_23onesweep_lookback_stateEbbT6_jjT7_P12ihipStream_tbENKUlT_T0_SI_SN_E_clIPiSD_S15_SD_EEDaS11_S12_SI_SN_EUlS11_E_NS1_11comp_targetILNS1_3genE4ELNS1_11target_archE910ELNS1_3gpuE8ELNS1_3repE0EEENS1_47radix_sort_onesweep_sort_config_static_selectorELNS0_4arch9wavefront6targetE1EEEvSI_.uses_vcc, 0
	.set _ZN7rocprim17ROCPRIM_400000_NS6detail17trampoline_kernelINS0_14default_configENS1_35radix_sort_onesweep_config_selectorIiiEEZZNS1_29radix_sort_onesweep_iterationIS3_Lb0EN6thrust23THRUST_200600_302600_NS6detail15normal_iteratorINS8_10device_ptrIiEEEESD_SD_SD_jNS0_19identity_decomposerENS1_16block_id_wrapperIjLb0EEEEE10hipError_tT1_PNSt15iterator_traitsISI_E10value_typeET2_T3_PNSJ_ISO_E10value_typeET4_T5_PST_SU_PNS1_23onesweep_lookback_stateEbbT6_jjT7_P12ihipStream_tbENKUlT_T0_SI_SN_E_clIPiSD_S15_SD_EEDaS11_S12_SI_SN_EUlS11_E_NS1_11comp_targetILNS1_3genE4ELNS1_11target_archE910ELNS1_3gpuE8ELNS1_3repE0EEENS1_47radix_sort_onesweep_sort_config_static_selectorELNS0_4arch9wavefront6targetE1EEEvSI_.uses_flat_scratch, 0
	.set _ZN7rocprim17ROCPRIM_400000_NS6detail17trampoline_kernelINS0_14default_configENS1_35radix_sort_onesweep_config_selectorIiiEEZZNS1_29radix_sort_onesweep_iterationIS3_Lb0EN6thrust23THRUST_200600_302600_NS6detail15normal_iteratorINS8_10device_ptrIiEEEESD_SD_SD_jNS0_19identity_decomposerENS1_16block_id_wrapperIjLb0EEEEE10hipError_tT1_PNSt15iterator_traitsISI_E10value_typeET2_T3_PNSJ_ISO_E10value_typeET4_T5_PST_SU_PNS1_23onesweep_lookback_stateEbbT6_jjT7_P12ihipStream_tbENKUlT_T0_SI_SN_E_clIPiSD_S15_SD_EEDaS11_S12_SI_SN_EUlS11_E_NS1_11comp_targetILNS1_3genE4ELNS1_11target_archE910ELNS1_3gpuE8ELNS1_3repE0EEENS1_47radix_sort_onesweep_sort_config_static_selectorELNS0_4arch9wavefront6targetE1EEEvSI_.has_dyn_sized_stack, 0
	.set _ZN7rocprim17ROCPRIM_400000_NS6detail17trampoline_kernelINS0_14default_configENS1_35radix_sort_onesweep_config_selectorIiiEEZZNS1_29radix_sort_onesweep_iterationIS3_Lb0EN6thrust23THRUST_200600_302600_NS6detail15normal_iteratorINS8_10device_ptrIiEEEESD_SD_SD_jNS0_19identity_decomposerENS1_16block_id_wrapperIjLb0EEEEE10hipError_tT1_PNSt15iterator_traitsISI_E10value_typeET2_T3_PNSJ_ISO_E10value_typeET4_T5_PST_SU_PNS1_23onesweep_lookback_stateEbbT6_jjT7_P12ihipStream_tbENKUlT_T0_SI_SN_E_clIPiSD_S15_SD_EEDaS11_S12_SI_SN_EUlS11_E_NS1_11comp_targetILNS1_3genE4ELNS1_11target_archE910ELNS1_3gpuE8ELNS1_3repE0EEENS1_47radix_sort_onesweep_sort_config_static_selectorELNS0_4arch9wavefront6targetE1EEEvSI_.has_recursion, 0
	.set _ZN7rocprim17ROCPRIM_400000_NS6detail17trampoline_kernelINS0_14default_configENS1_35radix_sort_onesweep_config_selectorIiiEEZZNS1_29radix_sort_onesweep_iterationIS3_Lb0EN6thrust23THRUST_200600_302600_NS6detail15normal_iteratorINS8_10device_ptrIiEEEESD_SD_SD_jNS0_19identity_decomposerENS1_16block_id_wrapperIjLb0EEEEE10hipError_tT1_PNSt15iterator_traitsISI_E10value_typeET2_T3_PNSJ_ISO_E10value_typeET4_T5_PST_SU_PNS1_23onesweep_lookback_stateEbbT6_jjT7_P12ihipStream_tbENKUlT_T0_SI_SN_E_clIPiSD_S15_SD_EEDaS11_S12_SI_SN_EUlS11_E_NS1_11comp_targetILNS1_3genE4ELNS1_11target_archE910ELNS1_3gpuE8ELNS1_3repE0EEENS1_47radix_sort_onesweep_sort_config_static_selectorELNS0_4arch9wavefront6targetE1EEEvSI_.has_indirect_call, 0
	.section	.AMDGPU.csdata,"",@progbits
; Kernel info:
; codeLenInByte = 0
; TotalNumSgprs: 6
; NumVgprs: 0
; NumAgprs: 0
; TotalNumVgprs: 0
; ScratchSize: 0
; MemoryBound: 0
; FloatMode: 240
; IeeeMode: 1
; LDSByteSize: 0 bytes/workgroup (compile time only)
; SGPRBlocks: 0
; VGPRBlocks: 0
; NumSGPRsForWavesPerEU: 6
; NumVGPRsForWavesPerEU: 1
; AccumOffset: 4
; Occupancy: 8
; WaveLimiterHint : 0
; COMPUTE_PGM_RSRC2:SCRATCH_EN: 0
; COMPUTE_PGM_RSRC2:USER_SGPR: 2
; COMPUTE_PGM_RSRC2:TRAP_HANDLER: 0
; COMPUTE_PGM_RSRC2:TGID_X_EN: 1
; COMPUTE_PGM_RSRC2:TGID_Y_EN: 0
; COMPUTE_PGM_RSRC2:TGID_Z_EN: 0
; COMPUTE_PGM_RSRC2:TIDIG_COMP_CNT: 0
; COMPUTE_PGM_RSRC3_GFX90A:ACCUM_OFFSET: 0
; COMPUTE_PGM_RSRC3_GFX90A:TG_SPLIT: 0
	.section	.text._ZN7rocprim17ROCPRIM_400000_NS6detail17trampoline_kernelINS0_14default_configENS1_35radix_sort_onesweep_config_selectorIiiEEZZNS1_29radix_sort_onesweep_iterationIS3_Lb0EN6thrust23THRUST_200600_302600_NS6detail15normal_iteratorINS8_10device_ptrIiEEEESD_SD_SD_jNS0_19identity_decomposerENS1_16block_id_wrapperIjLb0EEEEE10hipError_tT1_PNSt15iterator_traitsISI_E10value_typeET2_T3_PNSJ_ISO_E10value_typeET4_T5_PST_SU_PNS1_23onesweep_lookback_stateEbbT6_jjT7_P12ihipStream_tbENKUlT_T0_SI_SN_E_clIPiSD_S15_SD_EEDaS11_S12_SI_SN_EUlS11_E_NS1_11comp_targetILNS1_3genE3ELNS1_11target_archE908ELNS1_3gpuE7ELNS1_3repE0EEENS1_47radix_sort_onesweep_sort_config_static_selectorELNS0_4arch9wavefront6targetE1EEEvSI_,"axG",@progbits,_ZN7rocprim17ROCPRIM_400000_NS6detail17trampoline_kernelINS0_14default_configENS1_35radix_sort_onesweep_config_selectorIiiEEZZNS1_29radix_sort_onesweep_iterationIS3_Lb0EN6thrust23THRUST_200600_302600_NS6detail15normal_iteratorINS8_10device_ptrIiEEEESD_SD_SD_jNS0_19identity_decomposerENS1_16block_id_wrapperIjLb0EEEEE10hipError_tT1_PNSt15iterator_traitsISI_E10value_typeET2_T3_PNSJ_ISO_E10value_typeET4_T5_PST_SU_PNS1_23onesweep_lookback_stateEbbT6_jjT7_P12ihipStream_tbENKUlT_T0_SI_SN_E_clIPiSD_S15_SD_EEDaS11_S12_SI_SN_EUlS11_E_NS1_11comp_targetILNS1_3genE3ELNS1_11target_archE908ELNS1_3gpuE7ELNS1_3repE0EEENS1_47radix_sort_onesweep_sort_config_static_selectorELNS0_4arch9wavefront6targetE1EEEvSI_,comdat
	.protected	_ZN7rocprim17ROCPRIM_400000_NS6detail17trampoline_kernelINS0_14default_configENS1_35radix_sort_onesweep_config_selectorIiiEEZZNS1_29radix_sort_onesweep_iterationIS3_Lb0EN6thrust23THRUST_200600_302600_NS6detail15normal_iteratorINS8_10device_ptrIiEEEESD_SD_SD_jNS0_19identity_decomposerENS1_16block_id_wrapperIjLb0EEEEE10hipError_tT1_PNSt15iterator_traitsISI_E10value_typeET2_T3_PNSJ_ISO_E10value_typeET4_T5_PST_SU_PNS1_23onesweep_lookback_stateEbbT6_jjT7_P12ihipStream_tbENKUlT_T0_SI_SN_E_clIPiSD_S15_SD_EEDaS11_S12_SI_SN_EUlS11_E_NS1_11comp_targetILNS1_3genE3ELNS1_11target_archE908ELNS1_3gpuE7ELNS1_3repE0EEENS1_47radix_sort_onesweep_sort_config_static_selectorELNS0_4arch9wavefront6targetE1EEEvSI_ ; -- Begin function _ZN7rocprim17ROCPRIM_400000_NS6detail17trampoline_kernelINS0_14default_configENS1_35radix_sort_onesweep_config_selectorIiiEEZZNS1_29radix_sort_onesweep_iterationIS3_Lb0EN6thrust23THRUST_200600_302600_NS6detail15normal_iteratorINS8_10device_ptrIiEEEESD_SD_SD_jNS0_19identity_decomposerENS1_16block_id_wrapperIjLb0EEEEE10hipError_tT1_PNSt15iterator_traitsISI_E10value_typeET2_T3_PNSJ_ISO_E10value_typeET4_T5_PST_SU_PNS1_23onesweep_lookback_stateEbbT6_jjT7_P12ihipStream_tbENKUlT_T0_SI_SN_E_clIPiSD_S15_SD_EEDaS11_S12_SI_SN_EUlS11_E_NS1_11comp_targetILNS1_3genE3ELNS1_11target_archE908ELNS1_3gpuE7ELNS1_3repE0EEENS1_47radix_sort_onesweep_sort_config_static_selectorELNS0_4arch9wavefront6targetE1EEEvSI_
	.globl	_ZN7rocprim17ROCPRIM_400000_NS6detail17trampoline_kernelINS0_14default_configENS1_35radix_sort_onesweep_config_selectorIiiEEZZNS1_29radix_sort_onesweep_iterationIS3_Lb0EN6thrust23THRUST_200600_302600_NS6detail15normal_iteratorINS8_10device_ptrIiEEEESD_SD_SD_jNS0_19identity_decomposerENS1_16block_id_wrapperIjLb0EEEEE10hipError_tT1_PNSt15iterator_traitsISI_E10value_typeET2_T3_PNSJ_ISO_E10value_typeET4_T5_PST_SU_PNS1_23onesweep_lookback_stateEbbT6_jjT7_P12ihipStream_tbENKUlT_T0_SI_SN_E_clIPiSD_S15_SD_EEDaS11_S12_SI_SN_EUlS11_E_NS1_11comp_targetILNS1_3genE3ELNS1_11target_archE908ELNS1_3gpuE7ELNS1_3repE0EEENS1_47radix_sort_onesweep_sort_config_static_selectorELNS0_4arch9wavefront6targetE1EEEvSI_
	.p2align	8
	.type	_ZN7rocprim17ROCPRIM_400000_NS6detail17trampoline_kernelINS0_14default_configENS1_35radix_sort_onesweep_config_selectorIiiEEZZNS1_29radix_sort_onesweep_iterationIS3_Lb0EN6thrust23THRUST_200600_302600_NS6detail15normal_iteratorINS8_10device_ptrIiEEEESD_SD_SD_jNS0_19identity_decomposerENS1_16block_id_wrapperIjLb0EEEEE10hipError_tT1_PNSt15iterator_traitsISI_E10value_typeET2_T3_PNSJ_ISO_E10value_typeET4_T5_PST_SU_PNS1_23onesweep_lookback_stateEbbT6_jjT7_P12ihipStream_tbENKUlT_T0_SI_SN_E_clIPiSD_S15_SD_EEDaS11_S12_SI_SN_EUlS11_E_NS1_11comp_targetILNS1_3genE3ELNS1_11target_archE908ELNS1_3gpuE7ELNS1_3repE0EEENS1_47radix_sort_onesweep_sort_config_static_selectorELNS0_4arch9wavefront6targetE1EEEvSI_,@function
_ZN7rocprim17ROCPRIM_400000_NS6detail17trampoline_kernelINS0_14default_configENS1_35radix_sort_onesweep_config_selectorIiiEEZZNS1_29radix_sort_onesweep_iterationIS3_Lb0EN6thrust23THRUST_200600_302600_NS6detail15normal_iteratorINS8_10device_ptrIiEEEESD_SD_SD_jNS0_19identity_decomposerENS1_16block_id_wrapperIjLb0EEEEE10hipError_tT1_PNSt15iterator_traitsISI_E10value_typeET2_T3_PNSJ_ISO_E10value_typeET4_T5_PST_SU_PNS1_23onesweep_lookback_stateEbbT6_jjT7_P12ihipStream_tbENKUlT_T0_SI_SN_E_clIPiSD_S15_SD_EEDaS11_S12_SI_SN_EUlS11_E_NS1_11comp_targetILNS1_3genE3ELNS1_11target_archE908ELNS1_3gpuE7ELNS1_3repE0EEENS1_47radix_sort_onesweep_sort_config_static_selectorELNS0_4arch9wavefront6targetE1EEEvSI_: ; @_ZN7rocprim17ROCPRIM_400000_NS6detail17trampoline_kernelINS0_14default_configENS1_35radix_sort_onesweep_config_selectorIiiEEZZNS1_29radix_sort_onesweep_iterationIS3_Lb0EN6thrust23THRUST_200600_302600_NS6detail15normal_iteratorINS8_10device_ptrIiEEEESD_SD_SD_jNS0_19identity_decomposerENS1_16block_id_wrapperIjLb0EEEEE10hipError_tT1_PNSt15iterator_traitsISI_E10value_typeET2_T3_PNSJ_ISO_E10value_typeET4_T5_PST_SU_PNS1_23onesweep_lookback_stateEbbT6_jjT7_P12ihipStream_tbENKUlT_T0_SI_SN_E_clIPiSD_S15_SD_EEDaS11_S12_SI_SN_EUlS11_E_NS1_11comp_targetILNS1_3genE3ELNS1_11target_archE908ELNS1_3gpuE7ELNS1_3repE0EEENS1_47radix_sort_onesweep_sort_config_static_selectorELNS0_4arch9wavefront6targetE1EEEvSI_
; %bb.0:
	.section	.rodata,"a",@progbits
	.p2align	6, 0x0
	.amdhsa_kernel _ZN7rocprim17ROCPRIM_400000_NS6detail17trampoline_kernelINS0_14default_configENS1_35radix_sort_onesweep_config_selectorIiiEEZZNS1_29radix_sort_onesweep_iterationIS3_Lb0EN6thrust23THRUST_200600_302600_NS6detail15normal_iteratorINS8_10device_ptrIiEEEESD_SD_SD_jNS0_19identity_decomposerENS1_16block_id_wrapperIjLb0EEEEE10hipError_tT1_PNSt15iterator_traitsISI_E10value_typeET2_T3_PNSJ_ISO_E10value_typeET4_T5_PST_SU_PNS1_23onesweep_lookback_stateEbbT6_jjT7_P12ihipStream_tbENKUlT_T0_SI_SN_E_clIPiSD_S15_SD_EEDaS11_S12_SI_SN_EUlS11_E_NS1_11comp_targetILNS1_3genE3ELNS1_11target_archE908ELNS1_3gpuE7ELNS1_3repE0EEENS1_47radix_sort_onesweep_sort_config_static_selectorELNS0_4arch9wavefront6targetE1EEEvSI_
		.amdhsa_group_segment_fixed_size 0
		.amdhsa_private_segment_fixed_size 0
		.amdhsa_kernarg_size 88
		.amdhsa_user_sgpr_count 2
		.amdhsa_user_sgpr_dispatch_ptr 0
		.amdhsa_user_sgpr_queue_ptr 0
		.amdhsa_user_sgpr_kernarg_segment_ptr 1
		.amdhsa_user_sgpr_dispatch_id 0
		.amdhsa_user_sgpr_kernarg_preload_length 0
		.amdhsa_user_sgpr_kernarg_preload_offset 0
		.amdhsa_user_sgpr_private_segment_size 0
		.amdhsa_uses_dynamic_stack 0
		.amdhsa_enable_private_segment 0
		.amdhsa_system_sgpr_workgroup_id_x 1
		.amdhsa_system_sgpr_workgroup_id_y 0
		.amdhsa_system_sgpr_workgroup_id_z 0
		.amdhsa_system_sgpr_workgroup_info 0
		.amdhsa_system_vgpr_workitem_id 0
		.amdhsa_next_free_vgpr 1
		.amdhsa_next_free_sgpr 0
		.amdhsa_accum_offset 4
		.amdhsa_reserve_vcc 0
		.amdhsa_float_round_mode_32 0
		.amdhsa_float_round_mode_16_64 0
		.amdhsa_float_denorm_mode_32 3
		.amdhsa_float_denorm_mode_16_64 3
		.amdhsa_dx10_clamp 1
		.amdhsa_ieee_mode 1
		.amdhsa_fp16_overflow 0
		.amdhsa_tg_split 0
		.amdhsa_exception_fp_ieee_invalid_op 0
		.amdhsa_exception_fp_denorm_src 0
		.amdhsa_exception_fp_ieee_div_zero 0
		.amdhsa_exception_fp_ieee_overflow 0
		.amdhsa_exception_fp_ieee_underflow 0
		.amdhsa_exception_fp_ieee_inexact 0
		.amdhsa_exception_int_div_zero 0
	.end_amdhsa_kernel
	.section	.text._ZN7rocprim17ROCPRIM_400000_NS6detail17trampoline_kernelINS0_14default_configENS1_35radix_sort_onesweep_config_selectorIiiEEZZNS1_29radix_sort_onesweep_iterationIS3_Lb0EN6thrust23THRUST_200600_302600_NS6detail15normal_iteratorINS8_10device_ptrIiEEEESD_SD_SD_jNS0_19identity_decomposerENS1_16block_id_wrapperIjLb0EEEEE10hipError_tT1_PNSt15iterator_traitsISI_E10value_typeET2_T3_PNSJ_ISO_E10value_typeET4_T5_PST_SU_PNS1_23onesweep_lookback_stateEbbT6_jjT7_P12ihipStream_tbENKUlT_T0_SI_SN_E_clIPiSD_S15_SD_EEDaS11_S12_SI_SN_EUlS11_E_NS1_11comp_targetILNS1_3genE3ELNS1_11target_archE908ELNS1_3gpuE7ELNS1_3repE0EEENS1_47radix_sort_onesweep_sort_config_static_selectorELNS0_4arch9wavefront6targetE1EEEvSI_,"axG",@progbits,_ZN7rocprim17ROCPRIM_400000_NS6detail17trampoline_kernelINS0_14default_configENS1_35radix_sort_onesweep_config_selectorIiiEEZZNS1_29radix_sort_onesweep_iterationIS3_Lb0EN6thrust23THRUST_200600_302600_NS6detail15normal_iteratorINS8_10device_ptrIiEEEESD_SD_SD_jNS0_19identity_decomposerENS1_16block_id_wrapperIjLb0EEEEE10hipError_tT1_PNSt15iterator_traitsISI_E10value_typeET2_T3_PNSJ_ISO_E10value_typeET4_T5_PST_SU_PNS1_23onesweep_lookback_stateEbbT6_jjT7_P12ihipStream_tbENKUlT_T0_SI_SN_E_clIPiSD_S15_SD_EEDaS11_S12_SI_SN_EUlS11_E_NS1_11comp_targetILNS1_3genE3ELNS1_11target_archE908ELNS1_3gpuE7ELNS1_3repE0EEENS1_47radix_sort_onesweep_sort_config_static_selectorELNS0_4arch9wavefront6targetE1EEEvSI_,comdat
.Lfunc_end1469:
	.size	_ZN7rocprim17ROCPRIM_400000_NS6detail17trampoline_kernelINS0_14default_configENS1_35radix_sort_onesweep_config_selectorIiiEEZZNS1_29radix_sort_onesweep_iterationIS3_Lb0EN6thrust23THRUST_200600_302600_NS6detail15normal_iteratorINS8_10device_ptrIiEEEESD_SD_SD_jNS0_19identity_decomposerENS1_16block_id_wrapperIjLb0EEEEE10hipError_tT1_PNSt15iterator_traitsISI_E10value_typeET2_T3_PNSJ_ISO_E10value_typeET4_T5_PST_SU_PNS1_23onesweep_lookback_stateEbbT6_jjT7_P12ihipStream_tbENKUlT_T0_SI_SN_E_clIPiSD_S15_SD_EEDaS11_S12_SI_SN_EUlS11_E_NS1_11comp_targetILNS1_3genE3ELNS1_11target_archE908ELNS1_3gpuE7ELNS1_3repE0EEENS1_47radix_sort_onesweep_sort_config_static_selectorELNS0_4arch9wavefront6targetE1EEEvSI_, .Lfunc_end1469-_ZN7rocprim17ROCPRIM_400000_NS6detail17trampoline_kernelINS0_14default_configENS1_35radix_sort_onesweep_config_selectorIiiEEZZNS1_29radix_sort_onesweep_iterationIS3_Lb0EN6thrust23THRUST_200600_302600_NS6detail15normal_iteratorINS8_10device_ptrIiEEEESD_SD_SD_jNS0_19identity_decomposerENS1_16block_id_wrapperIjLb0EEEEE10hipError_tT1_PNSt15iterator_traitsISI_E10value_typeET2_T3_PNSJ_ISO_E10value_typeET4_T5_PST_SU_PNS1_23onesweep_lookback_stateEbbT6_jjT7_P12ihipStream_tbENKUlT_T0_SI_SN_E_clIPiSD_S15_SD_EEDaS11_S12_SI_SN_EUlS11_E_NS1_11comp_targetILNS1_3genE3ELNS1_11target_archE908ELNS1_3gpuE7ELNS1_3repE0EEENS1_47radix_sort_onesweep_sort_config_static_selectorELNS0_4arch9wavefront6targetE1EEEvSI_
                                        ; -- End function
	.set _ZN7rocprim17ROCPRIM_400000_NS6detail17trampoline_kernelINS0_14default_configENS1_35radix_sort_onesweep_config_selectorIiiEEZZNS1_29radix_sort_onesweep_iterationIS3_Lb0EN6thrust23THRUST_200600_302600_NS6detail15normal_iteratorINS8_10device_ptrIiEEEESD_SD_SD_jNS0_19identity_decomposerENS1_16block_id_wrapperIjLb0EEEEE10hipError_tT1_PNSt15iterator_traitsISI_E10value_typeET2_T3_PNSJ_ISO_E10value_typeET4_T5_PST_SU_PNS1_23onesweep_lookback_stateEbbT6_jjT7_P12ihipStream_tbENKUlT_T0_SI_SN_E_clIPiSD_S15_SD_EEDaS11_S12_SI_SN_EUlS11_E_NS1_11comp_targetILNS1_3genE3ELNS1_11target_archE908ELNS1_3gpuE7ELNS1_3repE0EEENS1_47radix_sort_onesweep_sort_config_static_selectorELNS0_4arch9wavefront6targetE1EEEvSI_.num_vgpr, 0
	.set _ZN7rocprim17ROCPRIM_400000_NS6detail17trampoline_kernelINS0_14default_configENS1_35radix_sort_onesweep_config_selectorIiiEEZZNS1_29radix_sort_onesweep_iterationIS3_Lb0EN6thrust23THRUST_200600_302600_NS6detail15normal_iteratorINS8_10device_ptrIiEEEESD_SD_SD_jNS0_19identity_decomposerENS1_16block_id_wrapperIjLb0EEEEE10hipError_tT1_PNSt15iterator_traitsISI_E10value_typeET2_T3_PNSJ_ISO_E10value_typeET4_T5_PST_SU_PNS1_23onesweep_lookback_stateEbbT6_jjT7_P12ihipStream_tbENKUlT_T0_SI_SN_E_clIPiSD_S15_SD_EEDaS11_S12_SI_SN_EUlS11_E_NS1_11comp_targetILNS1_3genE3ELNS1_11target_archE908ELNS1_3gpuE7ELNS1_3repE0EEENS1_47radix_sort_onesweep_sort_config_static_selectorELNS0_4arch9wavefront6targetE1EEEvSI_.num_agpr, 0
	.set _ZN7rocprim17ROCPRIM_400000_NS6detail17trampoline_kernelINS0_14default_configENS1_35radix_sort_onesweep_config_selectorIiiEEZZNS1_29radix_sort_onesweep_iterationIS3_Lb0EN6thrust23THRUST_200600_302600_NS6detail15normal_iteratorINS8_10device_ptrIiEEEESD_SD_SD_jNS0_19identity_decomposerENS1_16block_id_wrapperIjLb0EEEEE10hipError_tT1_PNSt15iterator_traitsISI_E10value_typeET2_T3_PNSJ_ISO_E10value_typeET4_T5_PST_SU_PNS1_23onesweep_lookback_stateEbbT6_jjT7_P12ihipStream_tbENKUlT_T0_SI_SN_E_clIPiSD_S15_SD_EEDaS11_S12_SI_SN_EUlS11_E_NS1_11comp_targetILNS1_3genE3ELNS1_11target_archE908ELNS1_3gpuE7ELNS1_3repE0EEENS1_47radix_sort_onesweep_sort_config_static_selectorELNS0_4arch9wavefront6targetE1EEEvSI_.numbered_sgpr, 0
	.set _ZN7rocprim17ROCPRIM_400000_NS6detail17trampoline_kernelINS0_14default_configENS1_35radix_sort_onesweep_config_selectorIiiEEZZNS1_29radix_sort_onesweep_iterationIS3_Lb0EN6thrust23THRUST_200600_302600_NS6detail15normal_iteratorINS8_10device_ptrIiEEEESD_SD_SD_jNS0_19identity_decomposerENS1_16block_id_wrapperIjLb0EEEEE10hipError_tT1_PNSt15iterator_traitsISI_E10value_typeET2_T3_PNSJ_ISO_E10value_typeET4_T5_PST_SU_PNS1_23onesweep_lookback_stateEbbT6_jjT7_P12ihipStream_tbENKUlT_T0_SI_SN_E_clIPiSD_S15_SD_EEDaS11_S12_SI_SN_EUlS11_E_NS1_11comp_targetILNS1_3genE3ELNS1_11target_archE908ELNS1_3gpuE7ELNS1_3repE0EEENS1_47radix_sort_onesweep_sort_config_static_selectorELNS0_4arch9wavefront6targetE1EEEvSI_.num_named_barrier, 0
	.set _ZN7rocprim17ROCPRIM_400000_NS6detail17trampoline_kernelINS0_14default_configENS1_35radix_sort_onesweep_config_selectorIiiEEZZNS1_29radix_sort_onesweep_iterationIS3_Lb0EN6thrust23THRUST_200600_302600_NS6detail15normal_iteratorINS8_10device_ptrIiEEEESD_SD_SD_jNS0_19identity_decomposerENS1_16block_id_wrapperIjLb0EEEEE10hipError_tT1_PNSt15iterator_traitsISI_E10value_typeET2_T3_PNSJ_ISO_E10value_typeET4_T5_PST_SU_PNS1_23onesweep_lookback_stateEbbT6_jjT7_P12ihipStream_tbENKUlT_T0_SI_SN_E_clIPiSD_S15_SD_EEDaS11_S12_SI_SN_EUlS11_E_NS1_11comp_targetILNS1_3genE3ELNS1_11target_archE908ELNS1_3gpuE7ELNS1_3repE0EEENS1_47radix_sort_onesweep_sort_config_static_selectorELNS0_4arch9wavefront6targetE1EEEvSI_.private_seg_size, 0
	.set _ZN7rocprim17ROCPRIM_400000_NS6detail17trampoline_kernelINS0_14default_configENS1_35radix_sort_onesweep_config_selectorIiiEEZZNS1_29radix_sort_onesweep_iterationIS3_Lb0EN6thrust23THRUST_200600_302600_NS6detail15normal_iteratorINS8_10device_ptrIiEEEESD_SD_SD_jNS0_19identity_decomposerENS1_16block_id_wrapperIjLb0EEEEE10hipError_tT1_PNSt15iterator_traitsISI_E10value_typeET2_T3_PNSJ_ISO_E10value_typeET4_T5_PST_SU_PNS1_23onesweep_lookback_stateEbbT6_jjT7_P12ihipStream_tbENKUlT_T0_SI_SN_E_clIPiSD_S15_SD_EEDaS11_S12_SI_SN_EUlS11_E_NS1_11comp_targetILNS1_3genE3ELNS1_11target_archE908ELNS1_3gpuE7ELNS1_3repE0EEENS1_47radix_sort_onesweep_sort_config_static_selectorELNS0_4arch9wavefront6targetE1EEEvSI_.uses_vcc, 0
	.set _ZN7rocprim17ROCPRIM_400000_NS6detail17trampoline_kernelINS0_14default_configENS1_35radix_sort_onesweep_config_selectorIiiEEZZNS1_29radix_sort_onesweep_iterationIS3_Lb0EN6thrust23THRUST_200600_302600_NS6detail15normal_iteratorINS8_10device_ptrIiEEEESD_SD_SD_jNS0_19identity_decomposerENS1_16block_id_wrapperIjLb0EEEEE10hipError_tT1_PNSt15iterator_traitsISI_E10value_typeET2_T3_PNSJ_ISO_E10value_typeET4_T5_PST_SU_PNS1_23onesweep_lookback_stateEbbT6_jjT7_P12ihipStream_tbENKUlT_T0_SI_SN_E_clIPiSD_S15_SD_EEDaS11_S12_SI_SN_EUlS11_E_NS1_11comp_targetILNS1_3genE3ELNS1_11target_archE908ELNS1_3gpuE7ELNS1_3repE0EEENS1_47radix_sort_onesweep_sort_config_static_selectorELNS0_4arch9wavefront6targetE1EEEvSI_.uses_flat_scratch, 0
	.set _ZN7rocprim17ROCPRIM_400000_NS6detail17trampoline_kernelINS0_14default_configENS1_35radix_sort_onesweep_config_selectorIiiEEZZNS1_29radix_sort_onesweep_iterationIS3_Lb0EN6thrust23THRUST_200600_302600_NS6detail15normal_iteratorINS8_10device_ptrIiEEEESD_SD_SD_jNS0_19identity_decomposerENS1_16block_id_wrapperIjLb0EEEEE10hipError_tT1_PNSt15iterator_traitsISI_E10value_typeET2_T3_PNSJ_ISO_E10value_typeET4_T5_PST_SU_PNS1_23onesweep_lookback_stateEbbT6_jjT7_P12ihipStream_tbENKUlT_T0_SI_SN_E_clIPiSD_S15_SD_EEDaS11_S12_SI_SN_EUlS11_E_NS1_11comp_targetILNS1_3genE3ELNS1_11target_archE908ELNS1_3gpuE7ELNS1_3repE0EEENS1_47radix_sort_onesweep_sort_config_static_selectorELNS0_4arch9wavefront6targetE1EEEvSI_.has_dyn_sized_stack, 0
	.set _ZN7rocprim17ROCPRIM_400000_NS6detail17trampoline_kernelINS0_14default_configENS1_35radix_sort_onesweep_config_selectorIiiEEZZNS1_29radix_sort_onesweep_iterationIS3_Lb0EN6thrust23THRUST_200600_302600_NS6detail15normal_iteratorINS8_10device_ptrIiEEEESD_SD_SD_jNS0_19identity_decomposerENS1_16block_id_wrapperIjLb0EEEEE10hipError_tT1_PNSt15iterator_traitsISI_E10value_typeET2_T3_PNSJ_ISO_E10value_typeET4_T5_PST_SU_PNS1_23onesweep_lookback_stateEbbT6_jjT7_P12ihipStream_tbENKUlT_T0_SI_SN_E_clIPiSD_S15_SD_EEDaS11_S12_SI_SN_EUlS11_E_NS1_11comp_targetILNS1_3genE3ELNS1_11target_archE908ELNS1_3gpuE7ELNS1_3repE0EEENS1_47radix_sort_onesweep_sort_config_static_selectorELNS0_4arch9wavefront6targetE1EEEvSI_.has_recursion, 0
	.set _ZN7rocprim17ROCPRIM_400000_NS6detail17trampoline_kernelINS0_14default_configENS1_35radix_sort_onesweep_config_selectorIiiEEZZNS1_29radix_sort_onesweep_iterationIS3_Lb0EN6thrust23THRUST_200600_302600_NS6detail15normal_iteratorINS8_10device_ptrIiEEEESD_SD_SD_jNS0_19identity_decomposerENS1_16block_id_wrapperIjLb0EEEEE10hipError_tT1_PNSt15iterator_traitsISI_E10value_typeET2_T3_PNSJ_ISO_E10value_typeET4_T5_PST_SU_PNS1_23onesweep_lookback_stateEbbT6_jjT7_P12ihipStream_tbENKUlT_T0_SI_SN_E_clIPiSD_S15_SD_EEDaS11_S12_SI_SN_EUlS11_E_NS1_11comp_targetILNS1_3genE3ELNS1_11target_archE908ELNS1_3gpuE7ELNS1_3repE0EEENS1_47radix_sort_onesweep_sort_config_static_selectorELNS0_4arch9wavefront6targetE1EEEvSI_.has_indirect_call, 0
	.section	.AMDGPU.csdata,"",@progbits
; Kernel info:
; codeLenInByte = 0
; TotalNumSgprs: 6
; NumVgprs: 0
; NumAgprs: 0
; TotalNumVgprs: 0
; ScratchSize: 0
; MemoryBound: 0
; FloatMode: 240
; IeeeMode: 1
; LDSByteSize: 0 bytes/workgroup (compile time only)
; SGPRBlocks: 0
; VGPRBlocks: 0
; NumSGPRsForWavesPerEU: 6
; NumVGPRsForWavesPerEU: 1
; AccumOffset: 4
; Occupancy: 8
; WaveLimiterHint : 0
; COMPUTE_PGM_RSRC2:SCRATCH_EN: 0
; COMPUTE_PGM_RSRC2:USER_SGPR: 2
; COMPUTE_PGM_RSRC2:TRAP_HANDLER: 0
; COMPUTE_PGM_RSRC2:TGID_X_EN: 1
; COMPUTE_PGM_RSRC2:TGID_Y_EN: 0
; COMPUTE_PGM_RSRC2:TGID_Z_EN: 0
; COMPUTE_PGM_RSRC2:TIDIG_COMP_CNT: 0
; COMPUTE_PGM_RSRC3_GFX90A:ACCUM_OFFSET: 0
; COMPUTE_PGM_RSRC3_GFX90A:TG_SPLIT: 0
	.section	.text._ZN7rocprim17ROCPRIM_400000_NS6detail17trampoline_kernelINS0_14default_configENS1_35radix_sort_onesweep_config_selectorIiiEEZZNS1_29radix_sort_onesweep_iterationIS3_Lb0EN6thrust23THRUST_200600_302600_NS6detail15normal_iteratorINS8_10device_ptrIiEEEESD_SD_SD_jNS0_19identity_decomposerENS1_16block_id_wrapperIjLb0EEEEE10hipError_tT1_PNSt15iterator_traitsISI_E10value_typeET2_T3_PNSJ_ISO_E10value_typeET4_T5_PST_SU_PNS1_23onesweep_lookback_stateEbbT6_jjT7_P12ihipStream_tbENKUlT_T0_SI_SN_E_clIPiSD_S15_SD_EEDaS11_S12_SI_SN_EUlS11_E_NS1_11comp_targetILNS1_3genE10ELNS1_11target_archE1201ELNS1_3gpuE5ELNS1_3repE0EEENS1_47radix_sort_onesweep_sort_config_static_selectorELNS0_4arch9wavefront6targetE1EEEvSI_,"axG",@progbits,_ZN7rocprim17ROCPRIM_400000_NS6detail17trampoline_kernelINS0_14default_configENS1_35radix_sort_onesweep_config_selectorIiiEEZZNS1_29radix_sort_onesweep_iterationIS3_Lb0EN6thrust23THRUST_200600_302600_NS6detail15normal_iteratorINS8_10device_ptrIiEEEESD_SD_SD_jNS0_19identity_decomposerENS1_16block_id_wrapperIjLb0EEEEE10hipError_tT1_PNSt15iterator_traitsISI_E10value_typeET2_T3_PNSJ_ISO_E10value_typeET4_T5_PST_SU_PNS1_23onesweep_lookback_stateEbbT6_jjT7_P12ihipStream_tbENKUlT_T0_SI_SN_E_clIPiSD_S15_SD_EEDaS11_S12_SI_SN_EUlS11_E_NS1_11comp_targetILNS1_3genE10ELNS1_11target_archE1201ELNS1_3gpuE5ELNS1_3repE0EEENS1_47radix_sort_onesweep_sort_config_static_selectorELNS0_4arch9wavefront6targetE1EEEvSI_,comdat
	.protected	_ZN7rocprim17ROCPRIM_400000_NS6detail17trampoline_kernelINS0_14default_configENS1_35radix_sort_onesweep_config_selectorIiiEEZZNS1_29radix_sort_onesweep_iterationIS3_Lb0EN6thrust23THRUST_200600_302600_NS6detail15normal_iteratorINS8_10device_ptrIiEEEESD_SD_SD_jNS0_19identity_decomposerENS1_16block_id_wrapperIjLb0EEEEE10hipError_tT1_PNSt15iterator_traitsISI_E10value_typeET2_T3_PNSJ_ISO_E10value_typeET4_T5_PST_SU_PNS1_23onesweep_lookback_stateEbbT6_jjT7_P12ihipStream_tbENKUlT_T0_SI_SN_E_clIPiSD_S15_SD_EEDaS11_S12_SI_SN_EUlS11_E_NS1_11comp_targetILNS1_3genE10ELNS1_11target_archE1201ELNS1_3gpuE5ELNS1_3repE0EEENS1_47radix_sort_onesweep_sort_config_static_selectorELNS0_4arch9wavefront6targetE1EEEvSI_ ; -- Begin function _ZN7rocprim17ROCPRIM_400000_NS6detail17trampoline_kernelINS0_14default_configENS1_35radix_sort_onesweep_config_selectorIiiEEZZNS1_29radix_sort_onesweep_iterationIS3_Lb0EN6thrust23THRUST_200600_302600_NS6detail15normal_iteratorINS8_10device_ptrIiEEEESD_SD_SD_jNS0_19identity_decomposerENS1_16block_id_wrapperIjLb0EEEEE10hipError_tT1_PNSt15iterator_traitsISI_E10value_typeET2_T3_PNSJ_ISO_E10value_typeET4_T5_PST_SU_PNS1_23onesweep_lookback_stateEbbT6_jjT7_P12ihipStream_tbENKUlT_T0_SI_SN_E_clIPiSD_S15_SD_EEDaS11_S12_SI_SN_EUlS11_E_NS1_11comp_targetILNS1_3genE10ELNS1_11target_archE1201ELNS1_3gpuE5ELNS1_3repE0EEENS1_47radix_sort_onesweep_sort_config_static_selectorELNS0_4arch9wavefront6targetE1EEEvSI_
	.globl	_ZN7rocprim17ROCPRIM_400000_NS6detail17trampoline_kernelINS0_14default_configENS1_35radix_sort_onesweep_config_selectorIiiEEZZNS1_29radix_sort_onesweep_iterationIS3_Lb0EN6thrust23THRUST_200600_302600_NS6detail15normal_iteratorINS8_10device_ptrIiEEEESD_SD_SD_jNS0_19identity_decomposerENS1_16block_id_wrapperIjLb0EEEEE10hipError_tT1_PNSt15iterator_traitsISI_E10value_typeET2_T3_PNSJ_ISO_E10value_typeET4_T5_PST_SU_PNS1_23onesweep_lookback_stateEbbT6_jjT7_P12ihipStream_tbENKUlT_T0_SI_SN_E_clIPiSD_S15_SD_EEDaS11_S12_SI_SN_EUlS11_E_NS1_11comp_targetILNS1_3genE10ELNS1_11target_archE1201ELNS1_3gpuE5ELNS1_3repE0EEENS1_47radix_sort_onesweep_sort_config_static_selectorELNS0_4arch9wavefront6targetE1EEEvSI_
	.p2align	8
	.type	_ZN7rocprim17ROCPRIM_400000_NS6detail17trampoline_kernelINS0_14default_configENS1_35radix_sort_onesweep_config_selectorIiiEEZZNS1_29radix_sort_onesweep_iterationIS3_Lb0EN6thrust23THRUST_200600_302600_NS6detail15normal_iteratorINS8_10device_ptrIiEEEESD_SD_SD_jNS0_19identity_decomposerENS1_16block_id_wrapperIjLb0EEEEE10hipError_tT1_PNSt15iterator_traitsISI_E10value_typeET2_T3_PNSJ_ISO_E10value_typeET4_T5_PST_SU_PNS1_23onesweep_lookback_stateEbbT6_jjT7_P12ihipStream_tbENKUlT_T0_SI_SN_E_clIPiSD_S15_SD_EEDaS11_S12_SI_SN_EUlS11_E_NS1_11comp_targetILNS1_3genE10ELNS1_11target_archE1201ELNS1_3gpuE5ELNS1_3repE0EEENS1_47radix_sort_onesweep_sort_config_static_selectorELNS0_4arch9wavefront6targetE1EEEvSI_,@function
_ZN7rocprim17ROCPRIM_400000_NS6detail17trampoline_kernelINS0_14default_configENS1_35radix_sort_onesweep_config_selectorIiiEEZZNS1_29radix_sort_onesweep_iterationIS3_Lb0EN6thrust23THRUST_200600_302600_NS6detail15normal_iteratorINS8_10device_ptrIiEEEESD_SD_SD_jNS0_19identity_decomposerENS1_16block_id_wrapperIjLb0EEEEE10hipError_tT1_PNSt15iterator_traitsISI_E10value_typeET2_T3_PNSJ_ISO_E10value_typeET4_T5_PST_SU_PNS1_23onesweep_lookback_stateEbbT6_jjT7_P12ihipStream_tbENKUlT_T0_SI_SN_E_clIPiSD_S15_SD_EEDaS11_S12_SI_SN_EUlS11_E_NS1_11comp_targetILNS1_3genE10ELNS1_11target_archE1201ELNS1_3gpuE5ELNS1_3repE0EEENS1_47radix_sort_onesweep_sort_config_static_selectorELNS0_4arch9wavefront6targetE1EEEvSI_: ; @_ZN7rocprim17ROCPRIM_400000_NS6detail17trampoline_kernelINS0_14default_configENS1_35radix_sort_onesweep_config_selectorIiiEEZZNS1_29radix_sort_onesweep_iterationIS3_Lb0EN6thrust23THRUST_200600_302600_NS6detail15normal_iteratorINS8_10device_ptrIiEEEESD_SD_SD_jNS0_19identity_decomposerENS1_16block_id_wrapperIjLb0EEEEE10hipError_tT1_PNSt15iterator_traitsISI_E10value_typeET2_T3_PNSJ_ISO_E10value_typeET4_T5_PST_SU_PNS1_23onesweep_lookback_stateEbbT6_jjT7_P12ihipStream_tbENKUlT_T0_SI_SN_E_clIPiSD_S15_SD_EEDaS11_S12_SI_SN_EUlS11_E_NS1_11comp_targetILNS1_3genE10ELNS1_11target_archE1201ELNS1_3gpuE5ELNS1_3repE0EEENS1_47radix_sort_onesweep_sort_config_static_selectorELNS0_4arch9wavefront6targetE1EEEvSI_
; %bb.0:
	.section	.rodata,"a",@progbits
	.p2align	6, 0x0
	.amdhsa_kernel _ZN7rocprim17ROCPRIM_400000_NS6detail17trampoline_kernelINS0_14default_configENS1_35radix_sort_onesweep_config_selectorIiiEEZZNS1_29radix_sort_onesweep_iterationIS3_Lb0EN6thrust23THRUST_200600_302600_NS6detail15normal_iteratorINS8_10device_ptrIiEEEESD_SD_SD_jNS0_19identity_decomposerENS1_16block_id_wrapperIjLb0EEEEE10hipError_tT1_PNSt15iterator_traitsISI_E10value_typeET2_T3_PNSJ_ISO_E10value_typeET4_T5_PST_SU_PNS1_23onesweep_lookback_stateEbbT6_jjT7_P12ihipStream_tbENKUlT_T0_SI_SN_E_clIPiSD_S15_SD_EEDaS11_S12_SI_SN_EUlS11_E_NS1_11comp_targetILNS1_3genE10ELNS1_11target_archE1201ELNS1_3gpuE5ELNS1_3repE0EEENS1_47radix_sort_onesweep_sort_config_static_selectorELNS0_4arch9wavefront6targetE1EEEvSI_
		.amdhsa_group_segment_fixed_size 0
		.amdhsa_private_segment_fixed_size 0
		.amdhsa_kernarg_size 88
		.amdhsa_user_sgpr_count 2
		.amdhsa_user_sgpr_dispatch_ptr 0
		.amdhsa_user_sgpr_queue_ptr 0
		.amdhsa_user_sgpr_kernarg_segment_ptr 1
		.amdhsa_user_sgpr_dispatch_id 0
		.amdhsa_user_sgpr_kernarg_preload_length 0
		.amdhsa_user_sgpr_kernarg_preload_offset 0
		.amdhsa_user_sgpr_private_segment_size 0
		.amdhsa_uses_dynamic_stack 0
		.amdhsa_enable_private_segment 0
		.amdhsa_system_sgpr_workgroup_id_x 1
		.amdhsa_system_sgpr_workgroup_id_y 0
		.amdhsa_system_sgpr_workgroup_id_z 0
		.amdhsa_system_sgpr_workgroup_info 0
		.amdhsa_system_vgpr_workitem_id 0
		.amdhsa_next_free_vgpr 1
		.amdhsa_next_free_sgpr 0
		.amdhsa_accum_offset 4
		.amdhsa_reserve_vcc 0
		.amdhsa_float_round_mode_32 0
		.amdhsa_float_round_mode_16_64 0
		.amdhsa_float_denorm_mode_32 3
		.amdhsa_float_denorm_mode_16_64 3
		.amdhsa_dx10_clamp 1
		.amdhsa_ieee_mode 1
		.amdhsa_fp16_overflow 0
		.amdhsa_tg_split 0
		.amdhsa_exception_fp_ieee_invalid_op 0
		.amdhsa_exception_fp_denorm_src 0
		.amdhsa_exception_fp_ieee_div_zero 0
		.amdhsa_exception_fp_ieee_overflow 0
		.amdhsa_exception_fp_ieee_underflow 0
		.amdhsa_exception_fp_ieee_inexact 0
		.amdhsa_exception_int_div_zero 0
	.end_amdhsa_kernel
	.section	.text._ZN7rocprim17ROCPRIM_400000_NS6detail17trampoline_kernelINS0_14default_configENS1_35radix_sort_onesweep_config_selectorIiiEEZZNS1_29radix_sort_onesweep_iterationIS3_Lb0EN6thrust23THRUST_200600_302600_NS6detail15normal_iteratorINS8_10device_ptrIiEEEESD_SD_SD_jNS0_19identity_decomposerENS1_16block_id_wrapperIjLb0EEEEE10hipError_tT1_PNSt15iterator_traitsISI_E10value_typeET2_T3_PNSJ_ISO_E10value_typeET4_T5_PST_SU_PNS1_23onesweep_lookback_stateEbbT6_jjT7_P12ihipStream_tbENKUlT_T0_SI_SN_E_clIPiSD_S15_SD_EEDaS11_S12_SI_SN_EUlS11_E_NS1_11comp_targetILNS1_3genE10ELNS1_11target_archE1201ELNS1_3gpuE5ELNS1_3repE0EEENS1_47radix_sort_onesweep_sort_config_static_selectorELNS0_4arch9wavefront6targetE1EEEvSI_,"axG",@progbits,_ZN7rocprim17ROCPRIM_400000_NS6detail17trampoline_kernelINS0_14default_configENS1_35radix_sort_onesweep_config_selectorIiiEEZZNS1_29radix_sort_onesweep_iterationIS3_Lb0EN6thrust23THRUST_200600_302600_NS6detail15normal_iteratorINS8_10device_ptrIiEEEESD_SD_SD_jNS0_19identity_decomposerENS1_16block_id_wrapperIjLb0EEEEE10hipError_tT1_PNSt15iterator_traitsISI_E10value_typeET2_T3_PNSJ_ISO_E10value_typeET4_T5_PST_SU_PNS1_23onesweep_lookback_stateEbbT6_jjT7_P12ihipStream_tbENKUlT_T0_SI_SN_E_clIPiSD_S15_SD_EEDaS11_S12_SI_SN_EUlS11_E_NS1_11comp_targetILNS1_3genE10ELNS1_11target_archE1201ELNS1_3gpuE5ELNS1_3repE0EEENS1_47radix_sort_onesweep_sort_config_static_selectorELNS0_4arch9wavefront6targetE1EEEvSI_,comdat
.Lfunc_end1470:
	.size	_ZN7rocprim17ROCPRIM_400000_NS6detail17trampoline_kernelINS0_14default_configENS1_35radix_sort_onesweep_config_selectorIiiEEZZNS1_29radix_sort_onesweep_iterationIS3_Lb0EN6thrust23THRUST_200600_302600_NS6detail15normal_iteratorINS8_10device_ptrIiEEEESD_SD_SD_jNS0_19identity_decomposerENS1_16block_id_wrapperIjLb0EEEEE10hipError_tT1_PNSt15iterator_traitsISI_E10value_typeET2_T3_PNSJ_ISO_E10value_typeET4_T5_PST_SU_PNS1_23onesweep_lookback_stateEbbT6_jjT7_P12ihipStream_tbENKUlT_T0_SI_SN_E_clIPiSD_S15_SD_EEDaS11_S12_SI_SN_EUlS11_E_NS1_11comp_targetILNS1_3genE10ELNS1_11target_archE1201ELNS1_3gpuE5ELNS1_3repE0EEENS1_47radix_sort_onesweep_sort_config_static_selectorELNS0_4arch9wavefront6targetE1EEEvSI_, .Lfunc_end1470-_ZN7rocprim17ROCPRIM_400000_NS6detail17trampoline_kernelINS0_14default_configENS1_35radix_sort_onesweep_config_selectorIiiEEZZNS1_29radix_sort_onesweep_iterationIS3_Lb0EN6thrust23THRUST_200600_302600_NS6detail15normal_iteratorINS8_10device_ptrIiEEEESD_SD_SD_jNS0_19identity_decomposerENS1_16block_id_wrapperIjLb0EEEEE10hipError_tT1_PNSt15iterator_traitsISI_E10value_typeET2_T3_PNSJ_ISO_E10value_typeET4_T5_PST_SU_PNS1_23onesweep_lookback_stateEbbT6_jjT7_P12ihipStream_tbENKUlT_T0_SI_SN_E_clIPiSD_S15_SD_EEDaS11_S12_SI_SN_EUlS11_E_NS1_11comp_targetILNS1_3genE10ELNS1_11target_archE1201ELNS1_3gpuE5ELNS1_3repE0EEENS1_47radix_sort_onesweep_sort_config_static_selectorELNS0_4arch9wavefront6targetE1EEEvSI_
                                        ; -- End function
	.set _ZN7rocprim17ROCPRIM_400000_NS6detail17trampoline_kernelINS0_14default_configENS1_35radix_sort_onesweep_config_selectorIiiEEZZNS1_29radix_sort_onesweep_iterationIS3_Lb0EN6thrust23THRUST_200600_302600_NS6detail15normal_iteratorINS8_10device_ptrIiEEEESD_SD_SD_jNS0_19identity_decomposerENS1_16block_id_wrapperIjLb0EEEEE10hipError_tT1_PNSt15iterator_traitsISI_E10value_typeET2_T3_PNSJ_ISO_E10value_typeET4_T5_PST_SU_PNS1_23onesweep_lookback_stateEbbT6_jjT7_P12ihipStream_tbENKUlT_T0_SI_SN_E_clIPiSD_S15_SD_EEDaS11_S12_SI_SN_EUlS11_E_NS1_11comp_targetILNS1_3genE10ELNS1_11target_archE1201ELNS1_3gpuE5ELNS1_3repE0EEENS1_47radix_sort_onesweep_sort_config_static_selectorELNS0_4arch9wavefront6targetE1EEEvSI_.num_vgpr, 0
	.set _ZN7rocprim17ROCPRIM_400000_NS6detail17trampoline_kernelINS0_14default_configENS1_35radix_sort_onesweep_config_selectorIiiEEZZNS1_29radix_sort_onesweep_iterationIS3_Lb0EN6thrust23THRUST_200600_302600_NS6detail15normal_iteratorINS8_10device_ptrIiEEEESD_SD_SD_jNS0_19identity_decomposerENS1_16block_id_wrapperIjLb0EEEEE10hipError_tT1_PNSt15iterator_traitsISI_E10value_typeET2_T3_PNSJ_ISO_E10value_typeET4_T5_PST_SU_PNS1_23onesweep_lookback_stateEbbT6_jjT7_P12ihipStream_tbENKUlT_T0_SI_SN_E_clIPiSD_S15_SD_EEDaS11_S12_SI_SN_EUlS11_E_NS1_11comp_targetILNS1_3genE10ELNS1_11target_archE1201ELNS1_3gpuE5ELNS1_3repE0EEENS1_47radix_sort_onesweep_sort_config_static_selectorELNS0_4arch9wavefront6targetE1EEEvSI_.num_agpr, 0
	.set _ZN7rocprim17ROCPRIM_400000_NS6detail17trampoline_kernelINS0_14default_configENS1_35radix_sort_onesweep_config_selectorIiiEEZZNS1_29radix_sort_onesweep_iterationIS3_Lb0EN6thrust23THRUST_200600_302600_NS6detail15normal_iteratorINS8_10device_ptrIiEEEESD_SD_SD_jNS0_19identity_decomposerENS1_16block_id_wrapperIjLb0EEEEE10hipError_tT1_PNSt15iterator_traitsISI_E10value_typeET2_T3_PNSJ_ISO_E10value_typeET4_T5_PST_SU_PNS1_23onesweep_lookback_stateEbbT6_jjT7_P12ihipStream_tbENKUlT_T0_SI_SN_E_clIPiSD_S15_SD_EEDaS11_S12_SI_SN_EUlS11_E_NS1_11comp_targetILNS1_3genE10ELNS1_11target_archE1201ELNS1_3gpuE5ELNS1_3repE0EEENS1_47radix_sort_onesweep_sort_config_static_selectorELNS0_4arch9wavefront6targetE1EEEvSI_.numbered_sgpr, 0
	.set _ZN7rocprim17ROCPRIM_400000_NS6detail17trampoline_kernelINS0_14default_configENS1_35radix_sort_onesweep_config_selectorIiiEEZZNS1_29radix_sort_onesweep_iterationIS3_Lb0EN6thrust23THRUST_200600_302600_NS6detail15normal_iteratorINS8_10device_ptrIiEEEESD_SD_SD_jNS0_19identity_decomposerENS1_16block_id_wrapperIjLb0EEEEE10hipError_tT1_PNSt15iterator_traitsISI_E10value_typeET2_T3_PNSJ_ISO_E10value_typeET4_T5_PST_SU_PNS1_23onesweep_lookback_stateEbbT6_jjT7_P12ihipStream_tbENKUlT_T0_SI_SN_E_clIPiSD_S15_SD_EEDaS11_S12_SI_SN_EUlS11_E_NS1_11comp_targetILNS1_3genE10ELNS1_11target_archE1201ELNS1_3gpuE5ELNS1_3repE0EEENS1_47radix_sort_onesweep_sort_config_static_selectorELNS0_4arch9wavefront6targetE1EEEvSI_.num_named_barrier, 0
	.set _ZN7rocprim17ROCPRIM_400000_NS6detail17trampoline_kernelINS0_14default_configENS1_35radix_sort_onesweep_config_selectorIiiEEZZNS1_29radix_sort_onesweep_iterationIS3_Lb0EN6thrust23THRUST_200600_302600_NS6detail15normal_iteratorINS8_10device_ptrIiEEEESD_SD_SD_jNS0_19identity_decomposerENS1_16block_id_wrapperIjLb0EEEEE10hipError_tT1_PNSt15iterator_traitsISI_E10value_typeET2_T3_PNSJ_ISO_E10value_typeET4_T5_PST_SU_PNS1_23onesweep_lookback_stateEbbT6_jjT7_P12ihipStream_tbENKUlT_T0_SI_SN_E_clIPiSD_S15_SD_EEDaS11_S12_SI_SN_EUlS11_E_NS1_11comp_targetILNS1_3genE10ELNS1_11target_archE1201ELNS1_3gpuE5ELNS1_3repE0EEENS1_47radix_sort_onesweep_sort_config_static_selectorELNS0_4arch9wavefront6targetE1EEEvSI_.private_seg_size, 0
	.set _ZN7rocprim17ROCPRIM_400000_NS6detail17trampoline_kernelINS0_14default_configENS1_35radix_sort_onesweep_config_selectorIiiEEZZNS1_29radix_sort_onesweep_iterationIS3_Lb0EN6thrust23THRUST_200600_302600_NS6detail15normal_iteratorINS8_10device_ptrIiEEEESD_SD_SD_jNS0_19identity_decomposerENS1_16block_id_wrapperIjLb0EEEEE10hipError_tT1_PNSt15iterator_traitsISI_E10value_typeET2_T3_PNSJ_ISO_E10value_typeET4_T5_PST_SU_PNS1_23onesweep_lookback_stateEbbT6_jjT7_P12ihipStream_tbENKUlT_T0_SI_SN_E_clIPiSD_S15_SD_EEDaS11_S12_SI_SN_EUlS11_E_NS1_11comp_targetILNS1_3genE10ELNS1_11target_archE1201ELNS1_3gpuE5ELNS1_3repE0EEENS1_47radix_sort_onesweep_sort_config_static_selectorELNS0_4arch9wavefront6targetE1EEEvSI_.uses_vcc, 0
	.set _ZN7rocprim17ROCPRIM_400000_NS6detail17trampoline_kernelINS0_14default_configENS1_35radix_sort_onesweep_config_selectorIiiEEZZNS1_29radix_sort_onesweep_iterationIS3_Lb0EN6thrust23THRUST_200600_302600_NS6detail15normal_iteratorINS8_10device_ptrIiEEEESD_SD_SD_jNS0_19identity_decomposerENS1_16block_id_wrapperIjLb0EEEEE10hipError_tT1_PNSt15iterator_traitsISI_E10value_typeET2_T3_PNSJ_ISO_E10value_typeET4_T5_PST_SU_PNS1_23onesweep_lookback_stateEbbT6_jjT7_P12ihipStream_tbENKUlT_T0_SI_SN_E_clIPiSD_S15_SD_EEDaS11_S12_SI_SN_EUlS11_E_NS1_11comp_targetILNS1_3genE10ELNS1_11target_archE1201ELNS1_3gpuE5ELNS1_3repE0EEENS1_47radix_sort_onesweep_sort_config_static_selectorELNS0_4arch9wavefront6targetE1EEEvSI_.uses_flat_scratch, 0
	.set _ZN7rocprim17ROCPRIM_400000_NS6detail17trampoline_kernelINS0_14default_configENS1_35radix_sort_onesweep_config_selectorIiiEEZZNS1_29radix_sort_onesweep_iterationIS3_Lb0EN6thrust23THRUST_200600_302600_NS6detail15normal_iteratorINS8_10device_ptrIiEEEESD_SD_SD_jNS0_19identity_decomposerENS1_16block_id_wrapperIjLb0EEEEE10hipError_tT1_PNSt15iterator_traitsISI_E10value_typeET2_T3_PNSJ_ISO_E10value_typeET4_T5_PST_SU_PNS1_23onesweep_lookback_stateEbbT6_jjT7_P12ihipStream_tbENKUlT_T0_SI_SN_E_clIPiSD_S15_SD_EEDaS11_S12_SI_SN_EUlS11_E_NS1_11comp_targetILNS1_3genE10ELNS1_11target_archE1201ELNS1_3gpuE5ELNS1_3repE0EEENS1_47radix_sort_onesweep_sort_config_static_selectorELNS0_4arch9wavefront6targetE1EEEvSI_.has_dyn_sized_stack, 0
	.set _ZN7rocprim17ROCPRIM_400000_NS6detail17trampoline_kernelINS0_14default_configENS1_35radix_sort_onesweep_config_selectorIiiEEZZNS1_29radix_sort_onesweep_iterationIS3_Lb0EN6thrust23THRUST_200600_302600_NS6detail15normal_iteratorINS8_10device_ptrIiEEEESD_SD_SD_jNS0_19identity_decomposerENS1_16block_id_wrapperIjLb0EEEEE10hipError_tT1_PNSt15iterator_traitsISI_E10value_typeET2_T3_PNSJ_ISO_E10value_typeET4_T5_PST_SU_PNS1_23onesweep_lookback_stateEbbT6_jjT7_P12ihipStream_tbENKUlT_T0_SI_SN_E_clIPiSD_S15_SD_EEDaS11_S12_SI_SN_EUlS11_E_NS1_11comp_targetILNS1_3genE10ELNS1_11target_archE1201ELNS1_3gpuE5ELNS1_3repE0EEENS1_47radix_sort_onesweep_sort_config_static_selectorELNS0_4arch9wavefront6targetE1EEEvSI_.has_recursion, 0
	.set _ZN7rocprim17ROCPRIM_400000_NS6detail17trampoline_kernelINS0_14default_configENS1_35radix_sort_onesweep_config_selectorIiiEEZZNS1_29radix_sort_onesweep_iterationIS3_Lb0EN6thrust23THRUST_200600_302600_NS6detail15normal_iteratorINS8_10device_ptrIiEEEESD_SD_SD_jNS0_19identity_decomposerENS1_16block_id_wrapperIjLb0EEEEE10hipError_tT1_PNSt15iterator_traitsISI_E10value_typeET2_T3_PNSJ_ISO_E10value_typeET4_T5_PST_SU_PNS1_23onesweep_lookback_stateEbbT6_jjT7_P12ihipStream_tbENKUlT_T0_SI_SN_E_clIPiSD_S15_SD_EEDaS11_S12_SI_SN_EUlS11_E_NS1_11comp_targetILNS1_3genE10ELNS1_11target_archE1201ELNS1_3gpuE5ELNS1_3repE0EEENS1_47radix_sort_onesweep_sort_config_static_selectorELNS0_4arch9wavefront6targetE1EEEvSI_.has_indirect_call, 0
	.section	.AMDGPU.csdata,"",@progbits
; Kernel info:
; codeLenInByte = 0
; TotalNumSgprs: 6
; NumVgprs: 0
; NumAgprs: 0
; TotalNumVgprs: 0
; ScratchSize: 0
; MemoryBound: 0
; FloatMode: 240
; IeeeMode: 1
; LDSByteSize: 0 bytes/workgroup (compile time only)
; SGPRBlocks: 0
; VGPRBlocks: 0
; NumSGPRsForWavesPerEU: 6
; NumVGPRsForWavesPerEU: 1
; AccumOffset: 4
; Occupancy: 8
; WaveLimiterHint : 0
; COMPUTE_PGM_RSRC2:SCRATCH_EN: 0
; COMPUTE_PGM_RSRC2:USER_SGPR: 2
; COMPUTE_PGM_RSRC2:TRAP_HANDLER: 0
; COMPUTE_PGM_RSRC2:TGID_X_EN: 1
; COMPUTE_PGM_RSRC2:TGID_Y_EN: 0
; COMPUTE_PGM_RSRC2:TGID_Z_EN: 0
; COMPUTE_PGM_RSRC2:TIDIG_COMP_CNT: 0
; COMPUTE_PGM_RSRC3_GFX90A:ACCUM_OFFSET: 0
; COMPUTE_PGM_RSRC3_GFX90A:TG_SPLIT: 0
	.section	.text._ZN7rocprim17ROCPRIM_400000_NS6detail17trampoline_kernelINS0_14default_configENS1_35radix_sort_onesweep_config_selectorIiiEEZZNS1_29radix_sort_onesweep_iterationIS3_Lb0EN6thrust23THRUST_200600_302600_NS6detail15normal_iteratorINS8_10device_ptrIiEEEESD_SD_SD_jNS0_19identity_decomposerENS1_16block_id_wrapperIjLb0EEEEE10hipError_tT1_PNSt15iterator_traitsISI_E10value_typeET2_T3_PNSJ_ISO_E10value_typeET4_T5_PST_SU_PNS1_23onesweep_lookback_stateEbbT6_jjT7_P12ihipStream_tbENKUlT_T0_SI_SN_E_clIPiSD_S15_SD_EEDaS11_S12_SI_SN_EUlS11_E_NS1_11comp_targetILNS1_3genE9ELNS1_11target_archE1100ELNS1_3gpuE3ELNS1_3repE0EEENS1_47radix_sort_onesweep_sort_config_static_selectorELNS0_4arch9wavefront6targetE1EEEvSI_,"axG",@progbits,_ZN7rocprim17ROCPRIM_400000_NS6detail17trampoline_kernelINS0_14default_configENS1_35radix_sort_onesweep_config_selectorIiiEEZZNS1_29radix_sort_onesweep_iterationIS3_Lb0EN6thrust23THRUST_200600_302600_NS6detail15normal_iteratorINS8_10device_ptrIiEEEESD_SD_SD_jNS0_19identity_decomposerENS1_16block_id_wrapperIjLb0EEEEE10hipError_tT1_PNSt15iterator_traitsISI_E10value_typeET2_T3_PNSJ_ISO_E10value_typeET4_T5_PST_SU_PNS1_23onesweep_lookback_stateEbbT6_jjT7_P12ihipStream_tbENKUlT_T0_SI_SN_E_clIPiSD_S15_SD_EEDaS11_S12_SI_SN_EUlS11_E_NS1_11comp_targetILNS1_3genE9ELNS1_11target_archE1100ELNS1_3gpuE3ELNS1_3repE0EEENS1_47radix_sort_onesweep_sort_config_static_selectorELNS0_4arch9wavefront6targetE1EEEvSI_,comdat
	.protected	_ZN7rocprim17ROCPRIM_400000_NS6detail17trampoline_kernelINS0_14default_configENS1_35radix_sort_onesweep_config_selectorIiiEEZZNS1_29radix_sort_onesweep_iterationIS3_Lb0EN6thrust23THRUST_200600_302600_NS6detail15normal_iteratorINS8_10device_ptrIiEEEESD_SD_SD_jNS0_19identity_decomposerENS1_16block_id_wrapperIjLb0EEEEE10hipError_tT1_PNSt15iterator_traitsISI_E10value_typeET2_T3_PNSJ_ISO_E10value_typeET4_T5_PST_SU_PNS1_23onesweep_lookback_stateEbbT6_jjT7_P12ihipStream_tbENKUlT_T0_SI_SN_E_clIPiSD_S15_SD_EEDaS11_S12_SI_SN_EUlS11_E_NS1_11comp_targetILNS1_3genE9ELNS1_11target_archE1100ELNS1_3gpuE3ELNS1_3repE0EEENS1_47radix_sort_onesweep_sort_config_static_selectorELNS0_4arch9wavefront6targetE1EEEvSI_ ; -- Begin function _ZN7rocprim17ROCPRIM_400000_NS6detail17trampoline_kernelINS0_14default_configENS1_35radix_sort_onesweep_config_selectorIiiEEZZNS1_29radix_sort_onesweep_iterationIS3_Lb0EN6thrust23THRUST_200600_302600_NS6detail15normal_iteratorINS8_10device_ptrIiEEEESD_SD_SD_jNS0_19identity_decomposerENS1_16block_id_wrapperIjLb0EEEEE10hipError_tT1_PNSt15iterator_traitsISI_E10value_typeET2_T3_PNSJ_ISO_E10value_typeET4_T5_PST_SU_PNS1_23onesweep_lookback_stateEbbT6_jjT7_P12ihipStream_tbENKUlT_T0_SI_SN_E_clIPiSD_S15_SD_EEDaS11_S12_SI_SN_EUlS11_E_NS1_11comp_targetILNS1_3genE9ELNS1_11target_archE1100ELNS1_3gpuE3ELNS1_3repE0EEENS1_47radix_sort_onesweep_sort_config_static_selectorELNS0_4arch9wavefront6targetE1EEEvSI_
	.globl	_ZN7rocprim17ROCPRIM_400000_NS6detail17trampoline_kernelINS0_14default_configENS1_35radix_sort_onesweep_config_selectorIiiEEZZNS1_29radix_sort_onesweep_iterationIS3_Lb0EN6thrust23THRUST_200600_302600_NS6detail15normal_iteratorINS8_10device_ptrIiEEEESD_SD_SD_jNS0_19identity_decomposerENS1_16block_id_wrapperIjLb0EEEEE10hipError_tT1_PNSt15iterator_traitsISI_E10value_typeET2_T3_PNSJ_ISO_E10value_typeET4_T5_PST_SU_PNS1_23onesweep_lookback_stateEbbT6_jjT7_P12ihipStream_tbENKUlT_T0_SI_SN_E_clIPiSD_S15_SD_EEDaS11_S12_SI_SN_EUlS11_E_NS1_11comp_targetILNS1_3genE9ELNS1_11target_archE1100ELNS1_3gpuE3ELNS1_3repE0EEENS1_47radix_sort_onesweep_sort_config_static_selectorELNS0_4arch9wavefront6targetE1EEEvSI_
	.p2align	8
	.type	_ZN7rocprim17ROCPRIM_400000_NS6detail17trampoline_kernelINS0_14default_configENS1_35radix_sort_onesweep_config_selectorIiiEEZZNS1_29radix_sort_onesweep_iterationIS3_Lb0EN6thrust23THRUST_200600_302600_NS6detail15normal_iteratorINS8_10device_ptrIiEEEESD_SD_SD_jNS0_19identity_decomposerENS1_16block_id_wrapperIjLb0EEEEE10hipError_tT1_PNSt15iterator_traitsISI_E10value_typeET2_T3_PNSJ_ISO_E10value_typeET4_T5_PST_SU_PNS1_23onesweep_lookback_stateEbbT6_jjT7_P12ihipStream_tbENKUlT_T0_SI_SN_E_clIPiSD_S15_SD_EEDaS11_S12_SI_SN_EUlS11_E_NS1_11comp_targetILNS1_3genE9ELNS1_11target_archE1100ELNS1_3gpuE3ELNS1_3repE0EEENS1_47radix_sort_onesweep_sort_config_static_selectorELNS0_4arch9wavefront6targetE1EEEvSI_,@function
_ZN7rocprim17ROCPRIM_400000_NS6detail17trampoline_kernelINS0_14default_configENS1_35radix_sort_onesweep_config_selectorIiiEEZZNS1_29radix_sort_onesweep_iterationIS3_Lb0EN6thrust23THRUST_200600_302600_NS6detail15normal_iteratorINS8_10device_ptrIiEEEESD_SD_SD_jNS0_19identity_decomposerENS1_16block_id_wrapperIjLb0EEEEE10hipError_tT1_PNSt15iterator_traitsISI_E10value_typeET2_T3_PNSJ_ISO_E10value_typeET4_T5_PST_SU_PNS1_23onesweep_lookback_stateEbbT6_jjT7_P12ihipStream_tbENKUlT_T0_SI_SN_E_clIPiSD_S15_SD_EEDaS11_S12_SI_SN_EUlS11_E_NS1_11comp_targetILNS1_3genE9ELNS1_11target_archE1100ELNS1_3gpuE3ELNS1_3repE0EEENS1_47radix_sort_onesweep_sort_config_static_selectorELNS0_4arch9wavefront6targetE1EEEvSI_: ; @_ZN7rocprim17ROCPRIM_400000_NS6detail17trampoline_kernelINS0_14default_configENS1_35radix_sort_onesweep_config_selectorIiiEEZZNS1_29radix_sort_onesweep_iterationIS3_Lb0EN6thrust23THRUST_200600_302600_NS6detail15normal_iteratorINS8_10device_ptrIiEEEESD_SD_SD_jNS0_19identity_decomposerENS1_16block_id_wrapperIjLb0EEEEE10hipError_tT1_PNSt15iterator_traitsISI_E10value_typeET2_T3_PNSJ_ISO_E10value_typeET4_T5_PST_SU_PNS1_23onesweep_lookback_stateEbbT6_jjT7_P12ihipStream_tbENKUlT_T0_SI_SN_E_clIPiSD_S15_SD_EEDaS11_S12_SI_SN_EUlS11_E_NS1_11comp_targetILNS1_3genE9ELNS1_11target_archE1100ELNS1_3gpuE3ELNS1_3repE0EEENS1_47radix_sort_onesweep_sort_config_static_selectorELNS0_4arch9wavefront6targetE1EEEvSI_
; %bb.0:
	.section	.rodata,"a",@progbits
	.p2align	6, 0x0
	.amdhsa_kernel _ZN7rocprim17ROCPRIM_400000_NS6detail17trampoline_kernelINS0_14default_configENS1_35radix_sort_onesweep_config_selectorIiiEEZZNS1_29radix_sort_onesweep_iterationIS3_Lb0EN6thrust23THRUST_200600_302600_NS6detail15normal_iteratorINS8_10device_ptrIiEEEESD_SD_SD_jNS0_19identity_decomposerENS1_16block_id_wrapperIjLb0EEEEE10hipError_tT1_PNSt15iterator_traitsISI_E10value_typeET2_T3_PNSJ_ISO_E10value_typeET4_T5_PST_SU_PNS1_23onesweep_lookback_stateEbbT6_jjT7_P12ihipStream_tbENKUlT_T0_SI_SN_E_clIPiSD_S15_SD_EEDaS11_S12_SI_SN_EUlS11_E_NS1_11comp_targetILNS1_3genE9ELNS1_11target_archE1100ELNS1_3gpuE3ELNS1_3repE0EEENS1_47radix_sort_onesweep_sort_config_static_selectorELNS0_4arch9wavefront6targetE1EEEvSI_
		.amdhsa_group_segment_fixed_size 0
		.amdhsa_private_segment_fixed_size 0
		.amdhsa_kernarg_size 88
		.amdhsa_user_sgpr_count 2
		.amdhsa_user_sgpr_dispatch_ptr 0
		.amdhsa_user_sgpr_queue_ptr 0
		.amdhsa_user_sgpr_kernarg_segment_ptr 1
		.amdhsa_user_sgpr_dispatch_id 0
		.amdhsa_user_sgpr_kernarg_preload_length 0
		.amdhsa_user_sgpr_kernarg_preload_offset 0
		.amdhsa_user_sgpr_private_segment_size 0
		.amdhsa_uses_dynamic_stack 0
		.amdhsa_enable_private_segment 0
		.amdhsa_system_sgpr_workgroup_id_x 1
		.amdhsa_system_sgpr_workgroup_id_y 0
		.amdhsa_system_sgpr_workgroup_id_z 0
		.amdhsa_system_sgpr_workgroup_info 0
		.amdhsa_system_vgpr_workitem_id 0
		.amdhsa_next_free_vgpr 1
		.amdhsa_next_free_sgpr 0
		.amdhsa_accum_offset 4
		.amdhsa_reserve_vcc 0
		.amdhsa_float_round_mode_32 0
		.amdhsa_float_round_mode_16_64 0
		.amdhsa_float_denorm_mode_32 3
		.amdhsa_float_denorm_mode_16_64 3
		.amdhsa_dx10_clamp 1
		.amdhsa_ieee_mode 1
		.amdhsa_fp16_overflow 0
		.amdhsa_tg_split 0
		.amdhsa_exception_fp_ieee_invalid_op 0
		.amdhsa_exception_fp_denorm_src 0
		.amdhsa_exception_fp_ieee_div_zero 0
		.amdhsa_exception_fp_ieee_overflow 0
		.amdhsa_exception_fp_ieee_underflow 0
		.amdhsa_exception_fp_ieee_inexact 0
		.amdhsa_exception_int_div_zero 0
	.end_amdhsa_kernel
	.section	.text._ZN7rocprim17ROCPRIM_400000_NS6detail17trampoline_kernelINS0_14default_configENS1_35radix_sort_onesweep_config_selectorIiiEEZZNS1_29radix_sort_onesweep_iterationIS3_Lb0EN6thrust23THRUST_200600_302600_NS6detail15normal_iteratorINS8_10device_ptrIiEEEESD_SD_SD_jNS0_19identity_decomposerENS1_16block_id_wrapperIjLb0EEEEE10hipError_tT1_PNSt15iterator_traitsISI_E10value_typeET2_T3_PNSJ_ISO_E10value_typeET4_T5_PST_SU_PNS1_23onesweep_lookback_stateEbbT6_jjT7_P12ihipStream_tbENKUlT_T0_SI_SN_E_clIPiSD_S15_SD_EEDaS11_S12_SI_SN_EUlS11_E_NS1_11comp_targetILNS1_3genE9ELNS1_11target_archE1100ELNS1_3gpuE3ELNS1_3repE0EEENS1_47radix_sort_onesweep_sort_config_static_selectorELNS0_4arch9wavefront6targetE1EEEvSI_,"axG",@progbits,_ZN7rocprim17ROCPRIM_400000_NS6detail17trampoline_kernelINS0_14default_configENS1_35radix_sort_onesweep_config_selectorIiiEEZZNS1_29radix_sort_onesweep_iterationIS3_Lb0EN6thrust23THRUST_200600_302600_NS6detail15normal_iteratorINS8_10device_ptrIiEEEESD_SD_SD_jNS0_19identity_decomposerENS1_16block_id_wrapperIjLb0EEEEE10hipError_tT1_PNSt15iterator_traitsISI_E10value_typeET2_T3_PNSJ_ISO_E10value_typeET4_T5_PST_SU_PNS1_23onesweep_lookback_stateEbbT6_jjT7_P12ihipStream_tbENKUlT_T0_SI_SN_E_clIPiSD_S15_SD_EEDaS11_S12_SI_SN_EUlS11_E_NS1_11comp_targetILNS1_3genE9ELNS1_11target_archE1100ELNS1_3gpuE3ELNS1_3repE0EEENS1_47radix_sort_onesweep_sort_config_static_selectorELNS0_4arch9wavefront6targetE1EEEvSI_,comdat
.Lfunc_end1471:
	.size	_ZN7rocprim17ROCPRIM_400000_NS6detail17trampoline_kernelINS0_14default_configENS1_35radix_sort_onesweep_config_selectorIiiEEZZNS1_29radix_sort_onesweep_iterationIS3_Lb0EN6thrust23THRUST_200600_302600_NS6detail15normal_iteratorINS8_10device_ptrIiEEEESD_SD_SD_jNS0_19identity_decomposerENS1_16block_id_wrapperIjLb0EEEEE10hipError_tT1_PNSt15iterator_traitsISI_E10value_typeET2_T3_PNSJ_ISO_E10value_typeET4_T5_PST_SU_PNS1_23onesweep_lookback_stateEbbT6_jjT7_P12ihipStream_tbENKUlT_T0_SI_SN_E_clIPiSD_S15_SD_EEDaS11_S12_SI_SN_EUlS11_E_NS1_11comp_targetILNS1_3genE9ELNS1_11target_archE1100ELNS1_3gpuE3ELNS1_3repE0EEENS1_47radix_sort_onesweep_sort_config_static_selectorELNS0_4arch9wavefront6targetE1EEEvSI_, .Lfunc_end1471-_ZN7rocprim17ROCPRIM_400000_NS6detail17trampoline_kernelINS0_14default_configENS1_35radix_sort_onesweep_config_selectorIiiEEZZNS1_29radix_sort_onesweep_iterationIS3_Lb0EN6thrust23THRUST_200600_302600_NS6detail15normal_iteratorINS8_10device_ptrIiEEEESD_SD_SD_jNS0_19identity_decomposerENS1_16block_id_wrapperIjLb0EEEEE10hipError_tT1_PNSt15iterator_traitsISI_E10value_typeET2_T3_PNSJ_ISO_E10value_typeET4_T5_PST_SU_PNS1_23onesweep_lookback_stateEbbT6_jjT7_P12ihipStream_tbENKUlT_T0_SI_SN_E_clIPiSD_S15_SD_EEDaS11_S12_SI_SN_EUlS11_E_NS1_11comp_targetILNS1_3genE9ELNS1_11target_archE1100ELNS1_3gpuE3ELNS1_3repE0EEENS1_47radix_sort_onesweep_sort_config_static_selectorELNS0_4arch9wavefront6targetE1EEEvSI_
                                        ; -- End function
	.set _ZN7rocprim17ROCPRIM_400000_NS6detail17trampoline_kernelINS0_14default_configENS1_35radix_sort_onesweep_config_selectorIiiEEZZNS1_29radix_sort_onesweep_iterationIS3_Lb0EN6thrust23THRUST_200600_302600_NS6detail15normal_iteratorINS8_10device_ptrIiEEEESD_SD_SD_jNS0_19identity_decomposerENS1_16block_id_wrapperIjLb0EEEEE10hipError_tT1_PNSt15iterator_traitsISI_E10value_typeET2_T3_PNSJ_ISO_E10value_typeET4_T5_PST_SU_PNS1_23onesweep_lookback_stateEbbT6_jjT7_P12ihipStream_tbENKUlT_T0_SI_SN_E_clIPiSD_S15_SD_EEDaS11_S12_SI_SN_EUlS11_E_NS1_11comp_targetILNS1_3genE9ELNS1_11target_archE1100ELNS1_3gpuE3ELNS1_3repE0EEENS1_47radix_sort_onesweep_sort_config_static_selectorELNS0_4arch9wavefront6targetE1EEEvSI_.num_vgpr, 0
	.set _ZN7rocprim17ROCPRIM_400000_NS6detail17trampoline_kernelINS0_14default_configENS1_35radix_sort_onesweep_config_selectorIiiEEZZNS1_29radix_sort_onesweep_iterationIS3_Lb0EN6thrust23THRUST_200600_302600_NS6detail15normal_iteratorINS8_10device_ptrIiEEEESD_SD_SD_jNS0_19identity_decomposerENS1_16block_id_wrapperIjLb0EEEEE10hipError_tT1_PNSt15iterator_traitsISI_E10value_typeET2_T3_PNSJ_ISO_E10value_typeET4_T5_PST_SU_PNS1_23onesweep_lookback_stateEbbT6_jjT7_P12ihipStream_tbENKUlT_T0_SI_SN_E_clIPiSD_S15_SD_EEDaS11_S12_SI_SN_EUlS11_E_NS1_11comp_targetILNS1_3genE9ELNS1_11target_archE1100ELNS1_3gpuE3ELNS1_3repE0EEENS1_47radix_sort_onesweep_sort_config_static_selectorELNS0_4arch9wavefront6targetE1EEEvSI_.num_agpr, 0
	.set _ZN7rocprim17ROCPRIM_400000_NS6detail17trampoline_kernelINS0_14default_configENS1_35radix_sort_onesweep_config_selectorIiiEEZZNS1_29radix_sort_onesweep_iterationIS3_Lb0EN6thrust23THRUST_200600_302600_NS6detail15normal_iteratorINS8_10device_ptrIiEEEESD_SD_SD_jNS0_19identity_decomposerENS1_16block_id_wrapperIjLb0EEEEE10hipError_tT1_PNSt15iterator_traitsISI_E10value_typeET2_T3_PNSJ_ISO_E10value_typeET4_T5_PST_SU_PNS1_23onesweep_lookback_stateEbbT6_jjT7_P12ihipStream_tbENKUlT_T0_SI_SN_E_clIPiSD_S15_SD_EEDaS11_S12_SI_SN_EUlS11_E_NS1_11comp_targetILNS1_3genE9ELNS1_11target_archE1100ELNS1_3gpuE3ELNS1_3repE0EEENS1_47radix_sort_onesweep_sort_config_static_selectorELNS0_4arch9wavefront6targetE1EEEvSI_.numbered_sgpr, 0
	.set _ZN7rocprim17ROCPRIM_400000_NS6detail17trampoline_kernelINS0_14default_configENS1_35radix_sort_onesweep_config_selectorIiiEEZZNS1_29radix_sort_onesweep_iterationIS3_Lb0EN6thrust23THRUST_200600_302600_NS6detail15normal_iteratorINS8_10device_ptrIiEEEESD_SD_SD_jNS0_19identity_decomposerENS1_16block_id_wrapperIjLb0EEEEE10hipError_tT1_PNSt15iterator_traitsISI_E10value_typeET2_T3_PNSJ_ISO_E10value_typeET4_T5_PST_SU_PNS1_23onesweep_lookback_stateEbbT6_jjT7_P12ihipStream_tbENKUlT_T0_SI_SN_E_clIPiSD_S15_SD_EEDaS11_S12_SI_SN_EUlS11_E_NS1_11comp_targetILNS1_3genE9ELNS1_11target_archE1100ELNS1_3gpuE3ELNS1_3repE0EEENS1_47radix_sort_onesweep_sort_config_static_selectorELNS0_4arch9wavefront6targetE1EEEvSI_.num_named_barrier, 0
	.set _ZN7rocprim17ROCPRIM_400000_NS6detail17trampoline_kernelINS0_14default_configENS1_35radix_sort_onesweep_config_selectorIiiEEZZNS1_29radix_sort_onesweep_iterationIS3_Lb0EN6thrust23THRUST_200600_302600_NS6detail15normal_iteratorINS8_10device_ptrIiEEEESD_SD_SD_jNS0_19identity_decomposerENS1_16block_id_wrapperIjLb0EEEEE10hipError_tT1_PNSt15iterator_traitsISI_E10value_typeET2_T3_PNSJ_ISO_E10value_typeET4_T5_PST_SU_PNS1_23onesweep_lookback_stateEbbT6_jjT7_P12ihipStream_tbENKUlT_T0_SI_SN_E_clIPiSD_S15_SD_EEDaS11_S12_SI_SN_EUlS11_E_NS1_11comp_targetILNS1_3genE9ELNS1_11target_archE1100ELNS1_3gpuE3ELNS1_3repE0EEENS1_47radix_sort_onesweep_sort_config_static_selectorELNS0_4arch9wavefront6targetE1EEEvSI_.private_seg_size, 0
	.set _ZN7rocprim17ROCPRIM_400000_NS6detail17trampoline_kernelINS0_14default_configENS1_35radix_sort_onesweep_config_selectorIiiEEZZNS1_29radix_sort_onesweep_iterationIS3_Lb0EN6thrust23THRUST_200600_302600_NS6detail15normal_iteratorINS8_10device_ptrIiEEEESD_SD_SD_jNS0_19identity_decomposerENS1_16block_id_wrapperIjLb0EEEEE10hipError_tT1_PNSt15iterator_traitsISI_E10value_typeET2_T3_PNSJ_ISO_E10value_typeET4_T5_PST_SU_PNS1_23onesweep_lookback_stateEbbT6_jjT7_P12ihipStream_tbENKUlT_T0_SI_SN_E_clIPiSD_S15_SD_EEDaS11_S12_SI_SN_EUlS11_E_NS1_11comp_targetILNS1_3genE9ELNS1_11target_archE1100ELNS1_3gpuE3ELNS1_3repE0EEENS1_47radix_sort_onesweep_sort_config_static_selectorELNS0_4arch9wavefront6targetE1EEEvSI_.uses_vcc, 0
	.set _ZN7rocprim17ROCPRIM_400000_NS6detail17trampoline_kernelINS0_14default_configENS1_35radix_sort_onesweep_config_selectorIiiEEZZNS1_29radix_sort_onesweep_iterationIS3_Lb0EN6thrust23THRUST_200600_302600_NS6detail15normal_iteratorINS8_10device_ptrIiEEEESD_SD_SD_jNS0_19identity_decomposerENS1_16block_id_wrapperIjLb0EEEEE10hipError_tT1_PNSt15iterator_traitsISI_E10value_typeET2_T3_PNSJ_ISO_E10value_typeET4_T5_PST_SU_PNS1_23onesweep_lookback_stateEbbT6_jjT7_P12ihipStream_tbENKUlT_T0_SI_SN_E_clIPiSD_S15_SD_EEDaS11_S12_SI_SN_EUlS11_E_NS1_11comp_targetILNS1_3genE9ELNS1_11target_archE1100ELNS1_3gpuE3ELNS1_3repE0EEENS1_47radix_sort_onesweep_sort_config_static_selectorELNS0_4arch9wavefront6targetE1EEEvSI_.uses_flat_scratch, 0
	.set _ZN7rocprim17ROCPRIM_400000_NS6detail17trampoline_kernelINS0_14default_configENS1_35radix_sort_onesweep_config_selectorIiiEEZZNS1_29radix_sort_onesweep_iterationIS3_Lb0EN6thrust23THRUST_200600_302600_NS6detail15normal_iteratorINS8_10device_ptrIiEEEESD_SD_SD_jNS0_19identity_decomposerENS1_16block_id_wrapperIjLb0EEEEE10hipError_tT1_PNSt15iterator_traitsISI_E10value_typeET2_T3_PNSJ_ISO_E10value_typeET4_T5_PST_SU_PNS1_23onesweep_lookback_stateEbbT6_jjT7_P12ihipStream_tbENKUlT_T0_SI_SN_E_clIPiSD_S15_SD_EEDaS11_S12_SI_SN_EUlS11_E_NS1_11comp_targetILNS1_3genE9ELNS1_11target_archE1100ELNS1_3gpuE3ELNS1_3repE0EEENS1_47radix_sort_onesweep_sort_config_static_selectorELNS0_4arch9wavefront6targetE1EEEvSI_.has_dyn_sized_stack, 0
	.set _ZN7rocprim17ROCPRIM_400000_NS6detail17trampoline_kernelINS0_14default_configENS1_35radix_sort_onesweep_config_selectorIiiEEZZNS1_29radix_sort_onesweep_iterationIS3_Lb0EN6thrust23THRUST_200600_302600_NS6detail15normal_iteratorINS8_10device_ptrIiEEEESD_SD_SD_jNS0_19identity_decomposerENS1_16block_id_wrapperIjLb0EEEEE10hipError_tT1_PNSt15iterator_traitsISI_E10value_typeET2_T3_PNSJ_ISO_E10value_typeET4_T5_PST_SU_PNS1_23onesweep_lookback_stateEbbT6_jjT7_P12ihipStream_tbENKUlT_T0_SI_SN_E_clIPiSD_S15_SD_EEDaS11_S12_SI_SN_EUlS11_E_NS1_11comp_targetILNS1_3genE9ELNS1_11target_archE1100ELNS1_3gpuE3ELNS1_3repE0EEENS1_47radix_sort_onesweep_sort_config_static_selectorELNS0_4arch9wavefront6targetE1EEEvSI_.has_recursion, 0
	.set _ZN7rocprim17ROCPRIM_400000_NS6detail17trampoline_kernelINS0_14default_configENS1_35radix_sort_onesweep_config_selectorIiiEEZZNS1_29radix_sort_onesweep_iterationIS3_Lb0EN6thrust23THRUST_200600_302600_NS6detail15normal_iteratorINS8_10device_ptrIiEEEESD_SD_SD_jNS0_19identity_decomposerENS1_16block_id_wrapperIjLb0EEEEE10hipError_tT1_PNSt15iterator_traitsISI_E10value_typeET2_T3_PNSJ_ISO_E10value_typeET4_T5_PST_SU_PNS1_23onesweep_lookback_stateEbbT6_jjT7_P12ihipStream_tbENKUlT_T0_SI_SN_E_clIPiSD_S15_SD_EEDaS11_S12_SI_SN_EUlS11_E_NS1_11comp_targetILNS1_3genE9ELNS1_11target_archE1100ELNS1_3gpuE3ELNS1_3repE0EEENS1_47radix_sort_onesweep_sort_config_static_selectorELNS0_4arch9wavefront6targetE1EEEvSI_.has_indirect_call, 0
	.section	.AMDGPU.csdata,"",@progbits
; Kernel info:
; codeLenInByte = 0
; TotalNumSgprs: 6
; NumVgprs: 0
; NumAgprs: 0
; TotalNumVgprs: 0
; ScratchSize: 0
; MemoryBound: 0
; FloatMode: 240
; IeeeMode: 1
; LDSByteSize: 0 bytes/workgroup (compile time only)
; SGPRBlocks: 0
; VGPRBlocks: 0
; NumSGPRsForWavesPerEU: 6
; NumVGPRsForWavesPerEU: 1
; AccumOffset: 4
; Occupancy: 8
; WaveLimiterHint : 0
; COMPUTE_PGM_RSRC2:SCRATCH_EN: 0
; COMPUTE_PGM_RSRC2:USER_SGPR: 2
; COMPUTE_PGM_RSRC2:TRAP_HANDLER: 0
; COMPUTE_PGM_RSRC2:TGID_X_EN: 1
; COMPUTE_PGM_RSRC2:TGID_Y_EN: 0
; COMPUTE_PGM_RSRC2:TGID_Z_EN: 0
; COMPUTE_PGM_RSRC2:TIDIG_COMP_CNT: 0
; COMPUTE_PGM_RSRC3_GFX90A:ACCUM_OFFSET: 0
; COMPUTE_PGM_RSRC3_GFX90A:TG_SPLIT: 0
	.section	.text._ZN7rocprim17ROCPRIM_400000_NS6detail17trampoline_kernelINS0_14default_configENS1_35radix_sort_onesweep_config_selectorIiiEEZZNS1_29radix_sort_onesweep_iterationIS3_Lb0EN6thrust23THRUST_200600_302600_NS6detail15normal_iteratorINS8_10device_ptrIiEEEESD_SD_SD_jNS0_19identity_decomposerENS1_16block_id_wrapperIjLb0EEEEE10hipError_tT1_PNSt15iterator_traitsISI_E10value_typeET2_T3_PNSJ_ISO_E10value_typeET4_T5_PST_SU_PNS1_23onesweep_lookback_stateEbbT6_jjT7_P12ihipStream_tbENKUlT_T0_SI_SN_E_clIPiSD_S15_SD_EEDaS11_S12_SI_SN_EUlS11_E_NS1_11comp_targetILNS1_3genE8ELNS1_11target_archE1030ELNS1_3gpuE2ELNS1_3repE0EEENS1_47radix_sort_onesweep_sort_config_static_selectorELNS0_4arch9wavefront6targetE1EEEvSI_,"axG",@progbits,_ZN7rocprim17ROCPRIM_400000_NS6detail17trampoline_kernelINS0_14default_configENS1_35radix_sort_onesweep_config_selectorIiiEEZZNS1_29radix_sort_onesweep_iterationIS3_Lb0EN6thrust23THRUST_200600_302600_NS6detail15normal_iteratorINS8_10device_ptrIiEEEESD_SD_SD_jNS0_19identity_decomposerENS1_16block_id_wrapperIjLb0EEEEE10hipError_tT1_PNSt15iterator_traitsISI_E10value_typeET2_T3_PNSJ_ISO_E10value_typeET4_T5_PST_SU_PNS1_23onesweep_lookback_stateEbbT6_jjT7_P12ihipStream_tbENKUlT_T0_SI_SN_E_clIPiSD_S15_SD_EEDaS11_S12_SI_SN_EUlS11_E_NS1_11comp_targetILNS1_3genE8ELNS1_11target_archE1030ELNS1_3gpuE2ELNS1_3repE0EEENS1_47radix_sort_onesweep_sort_config_static_selectorELNS0_4arch9wavefront6targetE1EEEvSI_,comdat
	.protected	_ZN7rocprim17ROCPRIM_400000_NS6detail17trampoline_kernelINS0_14default_configENS1_35radix_sort_onesweep_config_selectorIiiEEZZNS1_29radix_sort_onesweep_iterationIS3_Lb0EN6thrust23THRUST_200600_302600_NS6detail15normal_iteratorINS8_10device_ptrIiEEEESD_SD_SD_jNS0_19identity_decomposerENS1_16block_id_wrapperIjLb0EEEEE10hipError_tT1_PNSt15iterator_traitsISI_E10value_typeET2_T3_PNSJ_ISO_E10value_typeET4_T5_PST_SU_PNS1_23onesweep_lookback_stateEbbT6_jjT7_P12ihipStream_tbENKUlT_T0_SI_SN_E_clIPiSD_S15_SD_EEDaS11_S12_SI_SN_EUlS11_E_NS1_11comp_targetILNS1_3genE8ELNS1_11target_archE1030ELNS1_3gpuE2ELNS1_3repE0EEENS1_47radix_sort_onesweep_sort_config_static_selectorELNS0_4arch9wavefront6targetE1EEEvSI_ ; -- Begin function _ZN7rocprim17ROCPRIM_400000_NS6detail17trampoline_kernelINS0_14default_configENS1_35radix_sort_onesweep_config_selectorIiiEEZZNS1_29radix_sort_onesweep_iterationIS3_Lb0EN6thrust23THRUST_200600_302600_NS6detail15normal_iteratorINS8_10device_ptrIiEEEESD_SD_SD_jNS0_19identity_decomposerENS1_16block_id_wrapperIjLb0EEEEE10hipError_tT1_PNSt15iterator_traitsISI_E10value_typeET2_T3_PNSJ_ISO_E10value_typeET4_T5_PST_SU_PNS1_23onesweep_lookback_stateEbbT6_jjT7_P12ihipStream_tbENKUlT_T0_SI_SN_E_clIPiSD_S15_SD_EEDaS11_S12_SI_SN_EUlS11_E_NS1_11comp_targetILNS1_3genE8ELNS1_11target_archE1030ELNS1_3gpuE2ELNS1_3repE0EEENS1_47radix_sort_onesweep_sort_config_static_selectorELNS0_4arch9wavefront6targetE1EEEvSI_
	.globl	_ZN7rocprim17ROCPRIM_400000_NS6detail17trampoline_kernelINS0_14default_configENS1_35radix_sort_onesweep_config_selectorIiiEEZZNS1_29radix_sort_onesweep_iterationIS3_Lb0EN6thrust23THRUST_200600_302600_NS6detail15normal_iteratorINS8_10device_ptrIiEEEESD_SD_SD_jNS0_19identity_decomposerENS1_16block_id_wrapperIjLb0EEEEE10hipError_tT1_PNSt15iterator_traitsISI_E10value_typeET2_T3_PNSJ_ISO_E10value_typeET4_T5_PST_SU_PNS1_23onesweep_lookback_stateEbbT6_jjT7_P12ihipStream_tbENKUlT_T0_SI_SN_E_clIPiSD_S15_SD_EEDaS11_S12_SI_SN_EUlS11_E_NS1_11comp_targetILNS1_3genE8ELNS1_11target_archE1030ELNS1_3gpuE2ELNS1_3repE0EEENS1_47radix_sort_onesweep_sort_config_static_selectorELNS0_4arch9wavefront6targetE1EEEvSI_
	.p2align	8
	.type	_ZN7rocprim17ROCPRIM_400000_NS6detail17trampoline_kernelINS0_14default_configENS1_35radix_sort_onesweep_config_selectorIiiEEZZNS1_29radix_sort_onesweep_iterationIS3_Lb0EN6thrust23THRUST_200600_302600_NS6detail15normal_iteratorINS8_10device_ptrIiEEEESD_SD_SD_jNS0_19identity_decomposerENS1_16block_id_wrapperIjLb0EEEEE10hipError_tT1_PNSt15iterator_traitsISI_E10value_typeET2_T3_PNSJ_ISO_E10value_typeET4_T5_PST_SU_PNS1_23onesweep_lookback_stateEbbT6_jjT7_P12ihipStream_tbENKUlT_T0_SI_SN_E_clIPiSD_S15_SD_EEDaS11_S12_SI_SN_EUlS11_E_NS1_11comp_targetILNS1_3genE8ELNS1_11target_archE1030ELNS1_3gpuE2ELNS1_3repE0EEENS1_47radix_sort_onesweep_sort_config_static_selectorELNS0_4arch9wavefront6targetE1EEEvSI_,@function
_ZN7rocprim17ROCPRIM_400000_NS6detail17trampoline_kernelINS0_14default_configENS1_35radix_sort_onesweep_config_selectorIiiEEZZNS1_29radix_sort_onesweep_iterationIS3_Lb0EN6thrust23THRUST_200600_302600_NS6detail15normal_iteratorINS8_10device_ptrIiEEEESD_SD_SD_jNS0_19identity_decomposerENS1_16block_id_wrapperIjLb0EEEEE10hipError_tT1_PNSt15iterator_traitsISI_E10value_typeET2_T3_PNSJ_ISO_E10value_typeET4_T5_PST_SU_PNS1_23onesweep_lookback_stateEbbT6_jjT7_P12ihipStream_tbENKUlT_T0_SI_SN_E_clIPiSD_S15_SD_EEDaS11_S12_SI_SN_EUlS11_E_NS1_11comp_targetILNS1_3genE8ELNS1_11target_archE1030ELNS1_3gpuE2ELNS1_3repE0EEENS1_47radix_sort_onesweep_sort_config_static_selectorELNS0_4arch9wavefront6targetE1EEEvSI_: ; @_ZN7rocprim17ROCPRIM_400000_NS6detail17trampoline_kernelINS0_14default_configENS1_35radix_sort_onesweep_config_selectorIiiEEZZNS1_29radix_sort_onesweep_iterationIS3_Lb0EN6thrust23THRUST_200600_302600_NS6detail15normal_iteratorINS8_10device_ptrIiEEEESD_SD_SD_jNS0_19identity_decomposerENS1_16block_id_wrapperIjLb0EEEEE10hipError_tT1_PNSt15iterator_traitsISI_E10value_typeET2_T3_PNSJ_ISO_E10value_typeET4_T5_PST_SU_PNS1_23onesweep_lookback_stateEbbT6_jjT7_P12ihipStream_tbENKUlT_T0_SI_SN_E_clIPiSD_S15_SD_EEDaS11_S12_SI_SN_EUlS11_E_NS1_11comp_targetILNS1_3genE8ELNS1_11target_archE1030ELNS1_3gpuE2ELNS1_3repE0EEENS1_47radix_sort_onesweep_sort_config_static_selectorELNS0_4arch9wavefront6targetE1EEEvSI_
; %bb.0:
	.section	.rodata,"a",@progbits
	.p2align	6, 0x0
	.amdhsa_kernel _ZN7rocprim17ROCPRIM_400000_NS6detail17trampoline_kernelINS0_14default_configENS1_35radix_sort_onesweep_config_selectorIiiEEZZNS1_29radix_sort_onesweep_iterationIS3_Lb0EN6thrust23THRUST_200600_302600_NS6detail15normal_iteratorINS8_10device_ptrIiEEEESD_SD_SD_jNS0_19identity_decomposerENS1_16block_id_wrapperIjLb0EEEEE10hipError_tT1_PNSt15iterator_traitsISI_E10value_typeET2_T3_PNSJ_ISO_E10value_typeET4_T5_PST_SU_PNS1_23onesweep_lookback_stateEbbT6_jjT7_P12ihipStream_tbENKUlT_T0_SI_SN_E_clIPiSD_S15_SD_EEDaS11_S12_SI_SN_EUlS11_E_NS1_11comp_targetILNS1_3genE8ELNS1_11target_archE1030ELNS1_3gpuE2ELNS1_3repE0EEENS1_47radix_sort_onesweep_sort_config_static_selectorELNS0_4arch9wavefront6targetE1EEEvSI_
		.amdhsa_group_segment_fixed_size 0
		.amdhsa_private_segment_fixed_size 0
		.amdhsa_kernarg_size 88
		.amdhsa_user_sgpr_count 2
		.amdhsa_user_sgpr_dispatch_ptr 0
		.amdhsa_user_sgpr_queue_ptr 0
		.amdhsa_user_sgpr_kernarg_segment_ptr 1
		.amdhsa_user_sgpr_dispatch_id 0
		.amdhsa_user_sgpr_kernarg_preload_length 0
		.amdhsa_user_sgpr_kernarg_preload_offset 0
		.amdhsa_user_sgpr_private_segment_size 0
		.amdhsa_uses_dynamic_stack 0
		.amdhsa_enable_private_segment 0
		.amdhsa_system_sgpr_workgroup_id_x 1
		.amdhsa_system_sgpr_workgroup_id_y 0
		.amdhsa_system_sgpr_workgroup_id_z 0
		.amdhsa_system_sgpr_workgroup_info 0
		.amdhsa_system_vgpr_workitem_id 0
		.amdhsa_next_free_vgpr 1
		.amdhsa_next_free_sgpr 0
		.amdhsa_accum_offset 4
		.amdhsa_reserve_vcc 0
		.amdhsa_float_round_mode_32 0
		.amdhsa_float_round_mode_16_64 0
		.amdhsa_float_denorm_mode_32 3
		.amdhsa_float_denorm_mode_16_64 3
		.amdhsa_dx10_clamp 1
		.amdhsa_ieee_mode 1
		.amdhsa_fp16_overflow 0
		.amdhsa_tg_split 0
		.amdhsa_exception_fp_ieee_invalid_op 0
		.amdhsa_exception_fp_denorm_src 0
		.amdhsa_exception_fp_ieee_div_zero 0
		.amdhsa_exception_fp_ieee_overflow 0
		.amdhsa_exception_fp_ieee_underflow 0
		.amdhsa_exception_fp_ieee_inexact 0
		.amdhsa_exception_int_div_zero 0
	.end_amdhsa_kernel
	.section	.text._ZN7rocprim17ROCPRIM_400000_NS6detail17trampoline_kernelINS0_14default_configENS1_35radix_sort_onesweep_config_selectorIiiEEZZNS1_29radix_sort_onesweep_iterationIS3_Lb0EN6thrust23THRUST_200600_302600_NS6detail15normal_iteratorINS8_10device_ptrIiEEEESD_SD_SD_jNS0_19identity_decomposerENS1_16block_id_wrapperIjLb0EEEEE10hipError_tT1_PNSt15iterator_traitsISI_E10value_typeET2_T3_PNSJ_ISO_E10value_typeET4_T5_PST_SU_PNS1_23onesweep_lookback_stateEbbT6_jjT7_P12ihipStream_tbENKUlT_T0_SI_SN_E_clIPiSD_S15_SD_EEDaS11_S12_SI_SN_EUlS11_E_NS1_11comp_targetILNS1_3genE8ELNS1_11target_archE1030ELNS1_3gpuE2ELNS1_3repE0EEENS1_47radix_sort_onesweep_sort_config_static_selectorELNS0_4arch9wavefront6targetE1EEEvSI_,"axG",@progbits,_ZN7rocprim17ROCPRIM_400000_NS6detail17trampoline_kernelINS0_14default_configENS1_35radix_sort_onesweep_config_selectorIiiEEZZNS1_29radix_sort_onesweep_iterationIS3_Lb0EN6thrust23THRUST_200600_302600_NS6detail15normal_iteratorINS8_10device_ptrIiEEEESD_SD_SD_jNS0_19identity_decomposerENS1_16block_id_wrapperIjLb0EEEEE10hipError_tT1_PNSt15iterator_traitsISI_E10value_typeET2_T3_PNSJ_ISO_E10value_typeET4_T5_PST_SU_PNS1_23onesweep_lookback_stateEbbT6_jjT7_P12ihipStream_tbENKUlT_T0_SI_SN_E_clIPiSD_S15_SD_EEDaS11_S12_SI_SN_EUlS11_E_NS1_11comp_targetILNS1_3genE8ELNS1_11target_archE1030ELNS1_3gpuE2ELNS1_3repE0EEENS1_47radix_sort_onesweep_sort_config_static_selectorELNS0_4arch9wavefront6targetE1EEEvSI_,comdat
.Lfunc_end1472:
	.size	_ZN7rocprim17ROCPRIM_400000_NS6detail17trampoline_kernelINS0_14default_configENS1_35radix_sort_onesweep_config_selectorIiiEEZZNS1_29radix_sort_onesweep_iterationIS3_Lb0EN6thrust23THRUST_200600_302600_NS6detail15normal_iteratorINS8_10device_ptrIiEEEESD_SD_SD_jNS0_19identity_decomposerENS1_16block_id_wrapperIjLb0EEEEE10hipError_tT1_PNSt15iterator_traitsISI_E10value_typeET2_T3_PNSJ_ISO_E10value_typeET4_T5_PST_SU_PNS1_23onesweep_lookback_stateEbbT6_jjT7_P12ihipStream_tbENKUlT_T0_SI_SN_E_clIPiSD_S15_SD_EEDaS11_S12_SI_SN_EUlS11_E_NS1_11comp_targetILNS1_3genE8ELNS1_11target_archE1030ELNS1_3gpuE2ELNS1_3repE0EEENS1_47radix_sort_onesweep_sort_config_static_selectorELNS0_4arch9wavefront6targetE1EEEvSI_, .Lfunc_end1472-_ZN7rocprim17ROCPRIM_400000_NS6detail17trampoline_kernelINS0_14default_configENS1_35radix_sort_onesweep_config_selectorIiiEEZZNS1_29radix_sort_onesweep_iterationIS3_Lb0EN6thrust23THRUST_200600_302600_NS6detail15normal_iteratorINS8_10device_ptrIiEEEESD_SD_SD_jNS0_19identity_decomposerENS1_16block_id_wrapperIjLb0EEEEE10hipError_tT1_PNSt15iterator_traitsISI_E10value_typeET2_T3_PNSJ_ISO_E10value_typeET4_T5_PST_SU_PNS1_23onesweep_lookback_stateEbbT6_jjT7_P12ihipStream_tbENKUlT_T0_SI_SN_E_clIPiSD_S15_SD_EEDaS11_S12_SI_SN_EUlS11_E_NS1_11comp_targetILNS1_3genE8ELNS1_11target_archE1030ELNS1_3gpuE2ELNS1_3repE0EEENS1_47radix_sort_onesweep_sort_config_static_selectorELNS0_4arch9wavefront6targetE1EEEvSI_
                                        ; -- End function
	.set _ZN7rocprim17ROCPRIM_400000_NS6detail17trampoline_kernelINS0_14default_configENS1_35radix_sort_onesweep_config_selectorIiiEEZZNS1_29radix_sort_onesweep_iterationIS3_Lb0EN6thrust23THRUST_200600_302600_NS6detail15normal_iteratorINS8_10device_ptrIiEEEESD_SD_SD_jNS0_19identity_decomposerENS1_16block_id_wrapperIjLb0EEEEE10hipError_tT1_PNSt15iterator_traitsISI_E10value_typeET2_T3_PNSJ_ISO_E10value_typeET4_T5_PST_SU_PNS1_23onesweep_lookback_stateEbbT6_jjT7_P12ihipStream_tbENKUlT_T0_SI_SN_E_clIPiSD_S15_SD_EEDaS11_S12_SI_SN_EUlS11_E_NS1_11comp_targetILNS1_3genE8ELNS1_11target_archE1030ELNS1_3gpuE2ELNS1_3repE0EEENS1_47radix_sort_onesweep_sort_config_static_selectorELNS0_4arch9wavefront6targetE1EEEvSI_.num_vgpr, 0
	.set _ZN7rocprim17ROCPRIM_400000_NS6detail17trampoline_kernelINS0_14default_configENS1_35radix_sort_onesweep_config_selectorIiiEEZZNS1_29radix_sort_onesweep_iterationIS3_Lb0EN6thrust23THRUST_200600_302600_NS6detail15normal_iteratorINS8_10device_ptrIiEEEESD_SD_SD_jNS0_19identity_decomposerENS1_16block_id_wrapperIjLb0EEEEE10hipError_tT1_PNSt15iterator_traitsISI_E10value_typeET2_T3_PNSJ_ISO_E10value_typeET4_T5_PST_SU_PNS1_23onesweep_lookback_stateEbbT6_jjT7_P12ihipStream_tbENKUlT_T0_SI_SN_E_clIPiSD_S15_SD_EEDaS11_S12_SI_SN_EUlS11_E_NS1_11comp_targetILNS1_3genE8ELNS1_11target_archE1030ELNS1_3gpuE2ELNS1_3repE0EEENS1_47radix_sort_onesweep_sort_config_static_selectorELNS0_4arch9wavefront6targetE1EEEvSI_.num_agpr, 0
	.set _ZN7rocprim17ROCPRIM_400000_NS6detail17trampoline_kernelINS0_14default_configENS1_35radix_sort_onesweep_config_selectorIiiEEZZNS1_29radix_sort_onesweep_iterationIS3_Lb0EN6thrust23THRUST_200600_302600_NS6detail15normal_iteratorINS8_10device_ptrIiEEEESD_SD_SD_jNS0_19identity_decomposerENS1_16block_id_wrapperIjLb0EEEEE10hipError_tT1_PNSt15iterator_traitsISI_E10value_typeET2_T3_PNSJ_ISO_E10value_typeET4_T5_PST_SU_PNS1_23onesweep_lookback_stateEbbT6_jjT7_P12ihipStream_tbENKUlT_T0_SI_SN_E_clIPiSD_S15_SD_EEDaS11_S12_SI_SN_EUlS11_E_NS1_11comp_targetILNS1_3genE8ELNS1_11target_archE1030ELNS1_3gpuE2ELNS1_3repE0EEENS1_47radix_sort_onesweep_sort_config_static_selectorELNS0_4arch9wavefront6targetE1EEEvSI_.numbered_sgpr, 0
	.set _ZN7rocprim17ROCPRIM_400000_NS6detail17trampoline_kernelINS0_14default_configENS1_35radix_sort_onesweep_config_selectorIiiEEZZNS1_29radix_sort_onesweep_iterationIS3_Lb0EN6thrust23THRUST_200600_302600_NS6detail15normal_iteratorINS8_10device_ptrIiEEEESD_SD_SD_jNS0_19identity_decomposerENS1_16block_id_wrapperIjLb0EEEEE10hipError_tT1_PNSt15iterator_traitsISI_E10value_typeET2_T3_PNSJ_ISO_E10value_typeET4_T5_PST_SU_PNS1_23onesweep_lookback_stateEbbT6_jjT7_P12ihipStream_tbENKUlT_T0_SI_SN_E_clIPiSD_S15_SD_EEDaS11_S12_SI_SN_EUlS11_E_NS1_11comp_targetILNS1_3genE8ELNS1_11target_archE1030ELNS1_3gpuE2ELNS1_3repE0EEENS1_47radix_sort_onesweep_sort_config_static_selectorELNS0_4arch9wavefront6targetE1EEEvSI_.num_named_barrier, 0
	.set _ZN7rocprim17ROCPRIM_400000_NS6detail17trampoline_kernelINS0_14default_configENS1_35radix_sort_onesweep_config_selectorIiiEEZZNS1_29radix_sort_onesweep_iterationIS3_Lb0EN6thrust23THRUST_200600_302600_NS6detail15normal_iteratorINS8_10device_ptrIiEEEESD_SD_SD_jNS0_19identity_decomposerENS1_16block_id_wrapperIjLb0EEEEE10hipError_tT1_PNSt15iterator_traitsISI_E10value_typeET2_T3_PNSJ_ISO_E10value_typeET4_T5_PST_SU_PNS1_23onesweep_lookback_stateEbbT6_jjT7_P12ihipStream_tbENKUlT_T0_SI_SN_E_clIPiSD_S15_SD_EEDaS11_S12_SI_SN_EUlS11_E_NS1_11comp_targetILNS1_3genE8ELNS1_11target_archE1030ELNS1_3gpuE2ELNS1_3repE0EEENS1_47radix_sort_onesweep_sort_config_static_selectorELNS0_4arch9wavefront6targetE1EEEvSI_.private_seg_size, 0
	.set _ZN7rocprim17ROCPRIM_400000_NS6detail17trampoline_kernelINS0_14default_configENS1_35radix_sort_onesweep_config_selectorIiiEEZZNS1_29radix_sort_onesweep_iterationIS3_Lb0EN6thrust23THRUST_200600_302600_NS6detail15normal_iteratorINS8_10device_ptrIiEEEESD_SD_SD_jNS0_19identity_decomposerENS1_16block_id_wrapperIjLb0EEEEE10hipError_tT1_PNSt15iterator_traitsISI_E10value_typeET2_T3_PNSJ_ISO_E10value_typeET4_T5_PST_SU_PNS1_23onesweep_lookback_stateEbbT6_jjT7_P12ihipStream_tbENKUlT_T0_SI_SN_E_clIPiSD_S15_SD_EEDaS11_S12_SI_SN_EUlS11_E_NS1_11comp_targetILNS1_3genE8ELNS1_11target_archE1030ELNS1_3gpuE2ELNS1_3repE0EEENS1_47radix_sort_onesweep_sort_config_static_selectorELNS0_4arch9wavefront6targetE1EEEvSI_.uses_vcc, 0
	.set _ZN7rocprim17ROCPRIM_400000_NS6detail17trampoline_kernelINS0_14default_configENS1_35radix_sort_onesweep_config_selectorIiiEEZZNS1_29radix_sort_onesweep_iterationIS3_Lb0EN6thrust23THRUST_200600_302600_NS6detail15normal_iteratorINS8_10device_ptrIiEEEESD_SD_SD_jNS0_19identity_decomposerENS1_16block_id_wrapperIjLb0EEEEE10hipError_tT1_PNSt15iterator_traitsISI_E10value_typeET2_T3_PNSJ_ISO_E10value_typeET4_T5_PST_SU_PNS1_23onesweep_lookback_stateEbbT6_jjT7_P12ihipStream_tbENKUlT_T0_SI_SN_E_clIPiSD_S15_SD_EEDaS11_S12_SI_SN_EUlS11_E_NS1_11comp_targetILNS1_3genE8ELNS1_11target_archE1030ELNS1_3gpuE2ELNS1_3repE0EEENS1_47radix_sort_onesweep_sort_config_static_selectorELNS0_4arch9wavefront6targetE1EEEvSI_.uses_flat_scratch, 0
	.set _ZN7rocprim17ROCPRIM_400000_NS6detail17trampoline_kernelINS0_14default_configENS1_35radix_sort_onesweep_config_selectorIiiEEZZNS1_29radix_sort_onesweep_iterationIS3_Lb0EN6thrust23THRUST_200600_302600_NS6detail15normal_iteratorINS8_10device_ptrIiEEEESD_SD_SD_jNS0_19identity_decomposerENS1_16block_id_wrapperIjLb0EEEEE10hipError_tT1_PNSt15iterator_traitsISI_E10value_typeET2_T3_PNSJ_ISO_E10value_typeET4_T5_PST_SU_PNS1_23onesweep_lookback_stateEbbT6_jjT7_P12ihipStream_tbENKUlT_T0_SI_SN_E_clIPiSD_S15_SD_EEDaS11_S12_SI_SN_EUlS11_E_NS1_11comp_targetILNS1_3genE8ELNS1_11target_archE1030ELNS1_3gpuE2ELNS1_3repE0EEENS1_47radix_sort_onesweep_sort_config_static_selectorELNS0_4arch9wavefront6targetE1EEEvSI_.has_dyn_sized_stack, 0
	.set _ZN7rocprim17ROCPRIM_400000_NS6detail17trampoline_kernelINS0_14default_configENS1_35radix_sort_onesweep_config_selectorIiiEEZZNS1_29radix_sort_onesweep_iterationIS3_Lb0EN6thrust23THRUST_200600_302600_NS6detail15normal_iteratorINS8_10device_ptrIiEEEESD_SD_SD_jNS0_19identity_decomposerENS1_16block_id_wrapperIjLb0EEEEE10hipError_tT1_PNSt15iterator_traitsISI_E10value_typeET2_T3_PNSJ_ISO_E10value_typeET4_T5_PST_SU_PNS1_23onesweep_lookback_stateEbbT6_jjT7_P12ihipStream_tbENKUlT_T0_SI_SN_E_clIPiSD_S15_SD_EEDaS11_S12_SI_SN_EUlS11_E_NS1_11comp_targetILNS1_3genE8ELNS1_11target_archE1030ELNS1_3gpuE2ELNS1_3repE0EEENS1_47radix_sort_onesweep_sort_config_static_selectorELNS0_4arch9wavefront6targetE1EEEvSI_.has_recursion, 0
	.set _ZN7rocprim17ROCPRIM_400000_NS6detail17trampoline_kernelINS0_14default_configENS1_35radix_sort_onesweep_config_selectorIiiEEZZNS1_29radix_sort_onesweep_iterationIS3_Lb0EN6thrust23THRUST_200600_302600_NS6detail15normal_iteratorINS8_10device_ptrIiEEEESD_SD_SD_jNS0_19identity_decomposerENS1_16block_id_wrapperIjLb0EEEEE10hipError_tT1_PNSt15iterator_traitsISI_E10value_typeET2_T3_PNSJ_ISO_E10value_typeET4_T5_PST_SU_PNS1_23onesweep_lookback_stateEbbT6_jjT7_P12ihipStream_tbENKUlT_T0_SI_SN_E_clIPiSD_S15_SD_EEDaS11_S12_SI_SN_EUlS11_E_NS1_11comp_targetILNS1_3genE8ELNS1_11target_archE1030ELNS1_3gpuE2ELNS1_3repE0EEENS1_47radix_sort_onesweep_sort_config_static_selectorELNS0_4arch9wavefront6targetE1EEEvSI_.has_indirect_call, 0
	.section	.AMDGPU.csdata,"",@progbits
; Kernel info:
; codeLenInByte = 0
; TotalNumSgprs: 6
; NumVgprs: 0
; NumAgprs: 0
; TotalNumVgprs: 0
; ScratchSize: 0
; MemoryBound: 0
; FloatMode: 240
; IeeeMode: 1
; LDSByteSize: 0 bytes/workgroup (compile time only)
; SGPRBlocks: 0
; VGPRBlocks: 0
; NumSGPRsForWavesPerEU: 6
; NumVGPRsForWavesPerEU: 1
; AccumOffset: 4
; Occupancy: 8
; WaveLimiterHint : 0
; COMPUTE_PGM_RSRC2:SCRATCH_EN: 0
; COMPUTE_PGM_RSRC2:USER_SGPR: 2
; COMPUTE_PGM_RSRC2:TRAP_HANDLER: 0
; COMPUTE_PGM_RSRC2:TGID_X_EN: 1
; COMPUTE_PGM_RSRC2:TGID_Y_EN: 0
; COMPUTE_PGM_RSRC2:TGID_Z_EN: 0
; COMPUTE_PGM_RSRC2:TIDIG_COMP_CNT: 0
; COMPUTE_PGM_RSRC3_GFX90A:ACCUM_OFFSET: 0
; COMPUTE_PGM_RSRC3_GFX90A:TG_SPLIT: 0
	.section	.text._ZN7rocprim17ROCPRIM_400000_NS6detail17trampoline_kernelINS0_14default_configENS1_22reduce_config_selectorIN6thrust23THRUST_200600_302600_NS5tupleIblNS6_9null_typeES8_S8_S8_S8_S8_S8_S8_EEEEZNS1_11reduce_implILb1ES3_NS6_12zip_iteratorINS7_INS6_11hip_rocprim26transform_input_iterator_tIbNSD_35transform_pair_of_input_iterators_tIbNS6_6detail15normal_iteratorINS6_10device_ptrIKiEEEESL_NS6_8equal_toIiEEEENSG_9not_fun_tINSD_8identityEEEEENSD_19counting_iterator_tIlEES8_S8_S8_S8_S8_S8_S8_S8_EEEEPS9_S9_NSD_9__find_if7functorIS9_EEEE10hipError_tPvRmT1_T2_T3_mT4_P12ihipStream_tbEUlT_E0_NS1_11comp_targetILNS1_3genE0ELNS1_11target_archE4294967295ELNS1_3gpuE0ELNS1_3repE0EEENS1_30default_config_static_selectorELNS0_4arch9wavefront6targetE1EEEvS14_,"axG",@progbits,_ZN7rocprim17ROCPRIM_400000_NS6detail17trampoline_kernelINS0_14default_configENS1_22reduce_config_selectorIN6thrust23THRUST_200600_302600_NS5tupleIblNS6_9null_typeES8_S8_S8_S8_S8_S8_S8_EEEEZNS1_11reduce_implILb1ES3_NS6_12zip_iteratorINS7_INS6_11hip_rocprim26transform_input_iterator_tIbNSD_35transform_pair_of_input_iterators_tIbNS6_6detail15normal_iteratorINS6_10device_ptrIKiEEEESL_NS6_8equal_toIiEEEENSG_9not_fun_tINSD_8identityEEEEENSD_19counting_iterator_tIlEES8_S8_S8_S8_S8_S8_S8_S8_EEEEPS9_S9_NSD_9__find_if7functorIS9_EEEE10hipError_tPvRmT1_T2_T3_mT4_P12ihipStream_tbEUlT_E0_NS1_11comp_targetILNS1_3genE0ELNS1_11target_archE4294967295ELNS1_3gpuE0ELNS1_3repE0EEENS1_30default_config_static_selectorELNS0_4arch9wavefront6targetE1EEEvS14_,comdat
	.protected	_ZN7rocprim17ROCPRIM_400000_NS6detail17trampoline_kernelINS0_14default_configENS1_22reduce_config_selectorIN6thrust23THRUST_200600_302600_NS5tupleIblNS6_9null_typeES8_S8_S8_S8_S8_S8_S8_EEEEZNS1_11reduce_implILb1ES3_NS6_12zip_iteratorINS7_INS6_11hip_rocprim26transform_input_iterator_tIbNSD_35transform_pair_of_input_iterators_tIbNS6_6detail15normal_iteratorINS6_10device_ptrIKiEEEESL_NS6_8equal_toIiEEEENSG_9not_fun_tINSD_8identityEEEEENSD_19counting_iterator_tIlEES8_S8_S8_S8_S8_S8_S8_S8_EEEEPS9_S9_NSD_9__find_if7functorIS9_EEEE10hipError_tPvRmT1_T2_T3_mT4_P12ihipStream_tbEUlT_E0_NS1_11comp_targetILNS1_3genE0ELNS1_11target_archE4294967295ELNS1_3gpuE0ELNS1_3repE0EEENS1_30default_config_static_selectorELNS0_4arch9wavefront6targetE1EEEvS14_ ; -- Begin function _ZN7rocprim17ROCPRIM_400000_NS6detail17trampoline_kernelINS0_14default_configENS1_22reduce_config_selectorIN6thrust23THRUST_200600_302600_NS5tupleIblNS6_9null_typeES8_S8_S8_S8_S8_S8_S8_EEEEZNS1_11reduce_implILb1ES3_NS6_12zip_iteratorINS7_INS6_11hip_rocprim26transform_input_iterator_tIbNSD_35transform_pair_of_input_iterators_tIbNS6_6detail15normal_iteratorINS6_10device_ptrIKiEEEESL_NS6_8equal_toIiEEEENSG_9not_fun_tINSD_8identityEEEEENSD_19counting_iterator_tIlEES8_S8_S8_S8_S8_S8_S8_S8_EEEEPS9_S9_NSD_9__find_if7functorIS9_EEEE10hipError_tPvRmT1_T2_T3_mT4_P12ihipStream_tbEUlT_E0_NS1_11comp_targetILNS1_3genE0ELNS1_11target_archE4294967295ELNS1_3gpuE0ELNS1_3repE0EEENS1_30default_config_static_selectorELNS0_4arch9wavefront6targetE1EEEvS14_
	.globl	_ZN7rocprim17ROCPRIM_400000_NS6detail17trampoline_kernelINS0_14default_configENS1_22reduce_config_selectorIN6thrust23THRUST_200600_302600_NS5tupleIblNS6_9null_typeES8_S8_S8_S8_S8_S8_S8_EEEEZNS1_11reduce_implILb1ES3_NS6_12zip_iteratorINS7_INS6_11hip_rocprim26transform_input_iterator_tIbNSD_35transform_pair_of_input_iterators_tIbNS6_6detail15normal_iteratorINS6_10device_ptrIKiEEEESL_NS6_8equal_toIiEEEENSG_9not_fun_tINSD_8identityEEEEENSD_19counting_iterator_tIlEES8_S8_S8_S8_S8_S8_S8_S8_EEEEPS9_S9_NSD_9__find_if7functorIS9_EEEE10hipError_tPvRmT1_T2_T3_mT4_P12ihipStream_tbEUlT_E0_NS1_11comp_targetILNS1_3genE0ELNS1_11target_archE4294967295ELNS1_3gpuE0ELNS1_3repE0EEENS1_30default_config_static_selectorELNS0_4arch9wavefront6targetE1EEEvS14_
	.p2align	8
	.type	_ZN7rocprim17ROCPRIM_400000_NS6detail17trampoline_kernelINS0_14default_configENS1_22reduce_config_selectorIN6thrust23THRUST_200600_302600_NS5tupleIblNS6_9null_typeES8_S8_S8_S8_S8_S8_S8_EEEEZNS1_11reduce_implILb1ES3_NS6_12zip_iteratorINS7_INS6_11hip_rocprim26transform_input_iterator_tIbNSD_35transform_pair_of_input_iterators_tIbNS6_6detail15normal_iteratorINS6_10device_ptrIKiEEEESL_NS6_8equal_toIiEEEENSG_9not_fun_tINSD_8identityEEEEENSD_19counting_iterator_tIlEES8_S8_S8_S8_S8_S8_S8_S8_EEEEPS9_S9_NSD_9__find_if7functorIS9_EEEE10hipError_tPvRmT1_T2_T3_mT4_P12ihipStream_tbEUlT_E0_NS1_11comp_targetILNS1_3genE0ELNS1_11target_archE4294967295ELNS1_3gpuE0ELNS1_3repE0EEENS1_30default_config_static_selectorELNS0_4arch9wavefront6targetE1EEEvS14_,@function
_ZN7rocprim17ROCPRIM_400000_NS6detail17trampoline_kernelINS0_14default_configENS1_22reduce_config_selectorIN6thrust23THRUST_200600_302600_NS5tupleIblNS6_9null_typeES8_S8_S8_S8_S8_S8_S8_EEEEZNS1_11reduce_implILb1ES3_NS6_12zip_iteratorINS7_INS6_11hip_rocprim26transform_input_iterator_tIbNSD_35transform_pair_of_input_iterators_tIbNS6_6detail15normal_iteratorINS6_10device_ptrIKiEEEESL_NS6_8equal_toIiEEEENSG_9not_fun_tINSD_8identityEEEEENSD_19counting_iterator_tIlEES8_S8_S8_S8_S8_S8_S8_S8_EEEEPS9_S9_NSD_9__find_if7functorIS9_EEEE10hipError_tPvRmT1_T2_T3_mT4_P12ihipStream_tbEUlT_E0_NS1_11comp_targetILNS1_3genE0ELNS1_11target_archE4294967295ELNS1_3gpuE0ELNS1_3repE0EEENS1_30default_config_static_selectorELNS0_4arch9wavefront6targetE1EEEvS14_: ; @_ZN7rocprim17ROCPRIM_400000_NS6detail17trampoline_kernelINS0_14default_configENS1_22reduce_config_selectorIN6thrust23THRUST_200600_302600_NS5tupleIblNS6_9null_typeES8_S8_S8_S8_S8_S8_S8_EEEEZNS1_11reduce_implILb1ES3_NS6_12zip_iteratorINS7_INS6_11hip_rocprim26transform_input_iterator_tIbNSD_35transform_pair_of_input_iterators_tIbNS6_6detail15normal_iteratorINS6_10device_ptrIKiEEEESL_NS6_8equal_toIiEEEENSG_9not_fun_tINSD_8identityEEEEENSD_19counting_iterator_tIlEES8_S8_S8_S8_S8_S8_S8_S8_EEEEPS9_S9_NSD_9__find_if7functorIS9_EEEE10hipError_tPvRmT1_T2_T3_mT4_P12ihipStream_tbEUlT_E0_NS1_11comp_targetILNS1_3genE0ELNS1_11target_archE4294967295ELNS1_3gpuE0ELNS1_3repE0EEENS1_30default_config_static_selectorELNS0_4arch9wavefront6targetE1EEEvS14_
; %bb.0:
	s_load_dwordx8 s[8:15], s[0:1], 0x20
	s_load_dwordx4 s[4:7], s[0:1], 0x0
	s_load_dwordx4 s[16:19], s[0:1], 0x40
	s_mov_b32 s27, 0
	s_mov_b32 s3, s27
	s_waitcnt lgkmcnt(0)
	s_lshl_b64 s[20:21], s[10:11], 2
	s_add_u32 s22, s4, s20
	s_addc_u32 s23, s5, s21
	s_add_u32 s24, s6, s20
	s_addc_u32 s25, s7, s21
	s_lshl_b32 s26, s2, 8
	s_lshr_b64 s[4:5], s[12:13], 8
	s_lshl_b64 s[6:7], s[26:27], 2
	s_add_u32 s20, s22, s6
	s_addc_u32 s21, s23, s7
	s_add_u32 s22, s24, s6
	s_addc_u32 s23, s25, s7
	;; [unrolled: 2-line block ×4, first 2 shown]
	s_cmp_lg_u64 s[4:5], s[2:3]
	v_lshlrev_b32_e32 v10, 2, v0
	v_mbcnt_lo_u32_b32 v9, -1, 0
	s_cbranch_scc0 .LBB1473_10
; %bb.1:
	global_load_dword v5, v10, s[22:23]
	global_load_dword v8, v10, s[22:23] offset:512
	global_load_dword v11, v10, s[20:21] offset:512
	global_load_dword v12, v10, s[20:21]
	v_mov_b32_e32 v1, 0
	s_mov_b64 s[4:5], 0x80
	v_lshl_add_u64 v[2:3], s[24:25], 0, v[0:1]
	v_lshl_add_u64 v[6:7], v[2:3], 0, s[4:5]
	v_mbcnt_hi_u32_b32 v4, -1, v9
	v_lshlrev_b32_e32 v1, 2, v4
	v_or_b32_e32 v13, 0xfc, v1
	s_waitcnt vmcnt(1)
	v_cmp_ne_u32_e32 vcc, v11, v8
	s_waitcnt vmcnt(0)
	v_cmp_ne_u32_e64 s[4:5], v12, v5
	s_nop 1
	v_cndmask_b32_e64 v3, v7, v3, s[4:5]
	v_cndmask_b32_e64 v2, v6, v2, s[4:5]
	s_or_b64 s[4:5], s[4:5], vcc
	v_cndmask_b32_e64 v5, 0, 1, s[4:5]
	v_mov_b32_dpp v7, v3 quad_perm:[1,0,3,2] row_mask:0xf bank_mask:0xf bound_ctrl:1
	v_mov_b32_dpp v6, v2 quad_perm:[1,0,3,2] row_mask:0xf bank_mask:0xf bound_ctrl:1
	;; [unrolled: 1-line block ×3, first 2 shown]
	v_cmp_lt_i64_e32 vcc, v[2:3], v[6:7]
	v_and_b32_e32 v8, 1, v8
	s_and_b64 vcc, s[4:5], vcc
	v_cndmask_b32_e32 v6, v6, v2, vcc
	v_cndmask_b32_e32 v7, v7, v3, vcc
	v_cmp_eq_u32_e32 vcc, 1, v8
	s_nop 1
	v_cndmask_b32_e64 v5, v5, 1, vcc
	v_cndmask_b32_e32 v3, v3, v7, vcc
	v_cndmask_b32_e32 v2, v2, v6, vcc
	v_mov_b32_dpp v8, v5 quad_perm:[2,3,0,1] row_mask:0xf bank_mask:0xf bound_ctrl:1
	v_and_b32_e32 v8, 1, v8
	v_mov_b32_dpp v6, v2 quad_perm:[2,3,0,1] row_mask:0xf bank_mask:0xf bound_ctrl:1
	v_mov_b32_dpp v7, v3 quad_perm:[2,3,0,1] row_mask:0xf bank_mask:0xf bound_ctrl:1
	v_and_b32_e32 v11, 1, v5
	v_cmp_eq_u32_e64 s[6:7], 1, v8
	v_cmp_eq_u32_e32 vcc, 1, v11
	v_cmp_lt_i64_e64 s[4:5], v[2:3], v[6:7]
	v_cndmask_b32_e64 v5, v5, 1, s[6:7]
	s_and_b64 vcc, vcc, s[4:5]
	v_cndmask_b32_e32 v6, v6, v2, vcc
	v_mov_b32_dpp v8, v5 row_ror:4 row_mask:0xf bank_mask:0xf bound_ctrl:1
	v_cndmask_b32_e32 v7, v7, v3, vcc
	v_and_b32_e32 v8, 1, v8
	v_cndmask_b32_e64 v2, v2, v6, s[6:7]
	v_cndmask_b32_e64 v3, v3, v7, s[6:7]
	v_cmp_eq_u32_e64 s[4:5], 1, v8
	v_and_b32_e32 v11, 1, v5
	v_mov_b32_dpp v6, v2 row_ror:4 row_mask:0xf bank_mask:0xf bound_ctrl:1
	v_mov_b32_dpp v7, v3 row_ror:4 row_mask:0xf bank_mask:0xf bound_ctrl:1
	v_cndmask_b32_e64 v5, v5, 1, s[4:5]
	v_cmp_eq_u32_e32 vcc, 1, v11
	v_cmp_lt_i64_e64 s[6:7], v[2:3], v[6:7]
	v_mov_b32_dpp v8, v5 row_ror:8 row_mask:0xf bank_mask:0xf bound_ctrl:1
	s_and_b64 vcc, vcc, s[6:7]
	v_and_b32_e32 v8, 1, v8
	v_cndmask_b32_e32 v6, v6, v2, vcc
	v_cndmask_b32_e32 v7, v7, v3, vcc
	v_cmp_eq_u32_e32 vcc, 1, v8
	v_and_b32_e32 v11, 1, v5
	v_cndmask_b32_e64 v2, v2, v6, s[4:5]
	v_cndmask_b32_e64 v5, v5, 1, vcc
	v_cndmask_b32_e64 v3, v3, v7, s[4:5]
	v_mov_b32_dpp v6, v2 row_ror:8 row_mask:0xf bank_mask:0xf bound_ctrl:1
	v_mov_b32_dpp v8, v5 row_bcast:15 row_mask:0xf bank_mask:0xf bound_ctrl:1
	v_mov_b32_dpp v7, v3 row_ror:8 row_mask:0xf bank_mask:0xf bound_ctrl:1
	v_cmp_eq_u32_e64 s[6:7], 1, v11
	v_and_b32_e32 v8, 1, v8
	v_cmp_lt_i64_e64 s[8:9], v[2:3], v[6:7]
	v_cmp_eq_u32_e64 s[10:11], 1, v8
	s_and_b64 s[6:7], s[6:7], s[8:9]
	v_and_b32_e32 v11, 1, v5
	v_cndmask_b32_e64 v5, v5, 1, s[10:11]
	v_cndmask_b32_e64 v6, v6, v2, s[6:7]
	;; [unrolled: 1-line block ×3, first 2 shown]
	v_mov_b32_dpp v8, v5 row_bcast:31 row_mask:0xf bank_mask:0xf bound_ctrl:1
	v_cndmask_b32_e32 v2, v2, v6, vcc
	v_cndmask_b32_e32 v3, v3, v7, vcc
	v_and_b32_e32 v8, 1, v8
	v_mov_b32_dpp v6, v2 row_bcast:15 row_mask:0xf bank_mask:0xf bound_ctrl:1
	v_mov_b32_dpp v7, v3 row_bcast:15 row_mask:0xf bank_mask:0xf bound_ctrl:1
	v_cmp_eq_u32_e64 s[4:5], 1, v11
	v_cmp_eq_u32_e32 vcc, 1, v8
	v_cmp_lt_i64_e64 s[8:9], v[2:3], v[6:7]
	v_and_b32_e32 v11, 1, v5
	v_cndmask_b32_e64 v5, v5, 1, vcc
	s_and_b64 s[4:5], s[4:5], s[8:9]
	ds_bpermute_b32 v8, v13, v5
	v_cndmask_b32_e64 v5, v6, v2, s[4:5]
	v_cndmask_b32_e64 v6, v7, v3, s[4:5]
	;; [unrolled: 1-line block ×4, first 2 shown]
	v_cmp_eq_u32_e64 s[6:7], 1, v11
	v_mov_b32_dpp v6, v2 row_bcast:31 row_mask:0xf bank_mask:0xf bound_ctrl:1
	v_mov_b32_dpp v7, v3 row_bcast:31 row_mask:0xf bank_mask:0xf bound_ctrl:1
	v_cmp_lt_i64_e64 s[4:5], v[2:3], v[6:7]
	s_and_b64 s[4:5], s[6:7], s[4:5]
	s_nop 0
	v_cndmask_b32_e64 v5, v6, v2, s[4:5]
	v_cndmask_b32_e64 v6, v7, v3, s[4:5]
	v_cndmask_b32_e32 v2, v2, v5, vcc
	v_cndmask_b32_e32 v3, v3, v6, vcc
	ds_bpermute_b32 v2, v13, v2
	ds_bpermute_b32 v3, v13, v3
	v_cmp_eq_u32_e32 vcc, 0, v4
	s_and_saveexec_b64 s[4:5], vcc
	s_cbranch_execz .LBB1473_3
; %bb.2:
	v_lshrrev_b32_e32 v5, 2, v0
	v_and_b32_e32 v5, 16, v5
	s_waitcnt lgkmcnt(2)
	ds_write_b8 v5, v8
	s_waitcnt lgkmcnt(1)
	ds_write_b64 v5, v[2:3] offset:8
.LBB1473_3:
	s_or_b64 exec, exec, s[4:5]
	v_cmp_gt_u32_e32 vcc, 64, v0
	s_waitcnt lgkmcnt(0)
	s_barrier
	s_and_saveexec_b64 s[4:5], vcc
	s_cbranch_execz .LBB1473_9
; %bb.4:
	v_and_b32_e32 v2, 1, v4
	v_lshlrev_b32_e32 v2, 4, v2
	ds_read_u8 v11, v2
	ds_read_b64 v[4:5], v2 offset:8
	v_or_b32_e32 v3, 4, v1
	s_waitcnt lgkmcnt(1)
	v_and_b32_e32 v2, 0xff, v11
	ds_bpermute_b32 v1, v3, v2
	s_waitcnt lgkmcnt(1)
	ds_bpermute_b32 v6, v3, v4
	ds_bpermute_b32 v7, v3, v5
	s_waitcnt lgkmcnt(2)
	v_and_b32_e32 v2, v11, v1
	v_and_b32_e32 v2, 1, v2
	v_cmp_eq_u32_e32 vcc, 1, v2
                                        ; implicit-def: $vgpr2_vgpr3
	s_and_saveexec_b64 s[6:7], vcc
	s_xor_b64 s[6:7], exec, s[6:7]
	s_cbranch_execz .LBB1473_6
; %bb.5:
	s_waitcnt lgkmcnt(0)
	v_cmp_lt_i64_e32 vcc, v[6:7], v[4:5]
                                        ; implicit-def: $vgpr11
                                        ; implicit-def: $vgpr1
	s_nop 1
	v_cndmask_b32_e32 v3, v5, v7, vcc
	v_cndmask_b32_e32 v2, v4, v6, vcc
                                        ; implicit-def: $vgpr6_vgpr7
                                        ; implicit-def: $vgpr4_vgpr5
.LBB1473_6:
	s_or_saveexec_b64 s[6:7], s[6:7]
	v_mov_b32_e32 v8, 1
	s_xor_b64 exec, exec, s[6:7]
	s_cbranch_execz .LBB1473_8
; %bb.7:
	v_and_b32_e32 v2, 1, v11
	v_cmp_eq_u32_e32 vcc, 1, v2
	s_waitcnt lgkmcnt(0)
	s_nop 0
	v_cndmask_b32_e32 v3, v7, v5, vcc
	v_cndmask_b32_e32 v2, v6, v4, vcc
	v_cndmask_b32_e64 v8, v1, 1, vcc
.LBB1473_8:
	s_or_b64 exec, exec, s[6:7]
.LBB1473_9:
	s_or_b64 exec, exec, s[4:5]
	s_load_dword s10, s[0:1], 0x50
	s_load_dwordx2 s[8:9], s[0:1], 0x58
	s_branch .LBB1473_62
.LBB1473_10:
                                        ; implicit-def: $vgpr2_vgpr3
                                        ; implicit-def: $vgpr8
	s_load_dword s10, s[0:1], 0x50
	s_load_dwordx2 s[8:9], s[0:1], 0x58
	s_cbranch_execz .LBB1473_62
; %bb.11:
	s_sub_i32 s11, s12, s26
	v_cmp_gt_u32_e32 vcc, s11, v0
	s_waitcnt lgkmcnt(0)
	v_mov_b32_e32 v7, 0
	v_mov_b64_e32 v[4:5], 0
	v_mov_b64_e32 v[2:3], 0
	v_mov_b32_e32 v1, 0
	s_and_saveexec_b64 s[0:1], vcc
	s_cbranch_execz .LBB1473_13
; %bb.12:
	global_load_dword v6, v10, s[20:21]
	global_load_dword v8, v10, s[22:23]
	v_mov_b32_e32 v1, 0
	v_lshl_add_u64 v[2:3], s[24:25], 0, v[0:1]
	s_waitcnt vmcnt(0)
	v_cmp_ne_u32_e32 vcc, v6, v8
	s_nop 1
	v_cndmask_b32_e64 v1, 0, 1, vcc
.LBB1473_13:
	s_or_b64 exec, exec, s[0:1]
	v_or_b32_e32 v6, 0x80, v0
	v_cmp_gt_u32_e32 vcc, s11, v6
	s_and_saveexec_b64 s[4:5], vcc
	s_cbranch_execz .LBB1473_15
; %bb.14:
	global_load_dword v8, v10, s[20:21] offset:512
	global_load_dword v11, v10, s[22:23] offset:512
	v_mov_b32_e32 v7, 0
	v_lshl_add_u64 v[4:5], s[24:25], 0, v[6:7]
	s_waitcnt vmcnt(0)
	v_cmp_ne_u32_e64 s[0:1], v8, v11
	s_nop 1
	v_cndmask_b32_e64 v7, 0, 1, s[0:1]
.LBB1473_15:
	s_or_b64 exec, exec, s[4:5]
	v_and_b32_e32 v8, 0xffff, v7
	v_and_b32_e32 v7, 1, v7
	;; [unrolled: 1-line block ×3, first 2 shown]
	v_cmp_eq_u32_e64 s[0:1], 1, v7
	v_and_b32_e32 v1, 1, v1
	v_cmp_lt_i64_e64 s[4:5], v[4:5], v[2:3]
	v_cmp_eq_u32_e64 s[6:7], 1, v1
	s_and_b64 s[0:1], s[0:1], s[4:5]
	v_cndmask_b32_e64 v7, v3, v5, s[0:1]
	v_cndmask_b32_e64 v1, v8, 1, s[6:7]
	;; [unrolled: 1-line block ×4, first 2 shown]
	v_cndmask_b32_e32 v8, v6, v1, vcc
	v_mbcnt_hi_u32_b32 v1, -1, v9
	v_cndmask_b32_e64 v5, v5, v7, s[6:7]
	v_and_b32_e32 v6, 63, v1
	v_cndmask_b32_e32 v3, v3, v5, vcc
	v_cndmask_b32_e32 v2, v2, v4, vcc
	v_cmp_ne_u32_e32 vcc, 63, v6
	s_min_u32 s6, s11, 0x80
	v_and_b32_e32 v7, 64, v0
	v_addc_co_u32_e32 v4, vcc, 0, v1, vcc
	v_lshlrev_b32_e32 v5, 2, v4
	ds_bpermute_b32 v9, v5, v8
	ds_bpermute_b32 v4, v5, v2
	ds_bpermute_b32 v5, v5, v3
	v_sub_u32_e64 v7, s6, v7 clamp
	v_add_u32_e32 v10, 1, v6
	v_cmp_lt_u32_e32 vcc, v10, v7
	s_and_saveexec_b64 s[0:1], vcc
	s_cbranch_execz .LBB1473_21
; %bb.16:
	s_waitcnt lgkmcnt(2)
	v_and_b32_e32 v10, v9, v8
	v_cmp_ne_u32_e32 vcc, 0, v10
	s_and_saveexec_b64 s[4:5], vcc
	s_xor_b64 s[4:5], exec, s[4:5]
	s_cbranch_execz .LBB1473_18
; %bb.17:
	s_waitcnt lgkmcnt(0)
	v_cmp_lt_i64_e32 vcc, v[4:5], v[2:3]
                                        ; implicit-def: $vgpr8
                                        ; implicit-def: $vgpr9
	s_nop 1
	v_cndmask_b32_e32 v3, v3, v5, vcc
	v_cndmask_b32_e32 v2, v2, v4, vcc
                                        ; implicit-def: $vgpr4_vgpr5
.LBB1473_18:
	s_or_saveexec_b64 s[4:5], s[4:5]
	v_mov_b32_e32 v10, 1
	s_xor_b64 exec, exec, s[4:5]
	s_cbranch_execz .LBB1473_20
; %bb.19:
	v_and_b32_e32 v8, 1, v8
	v_cmp_eq_u32_e32 vcc, 1, v8
	s_waitcnt lgkmcnt(1)
	s_nop 0
	v_cndmask_b32_e32 v2, v4, v2, vcc
	v_and_b32_e32 v4, 0xff, v9
	s_waitcnt lgkmcnt(0)
	v_cndmask_b32_e32 v3, v5, v3, vcc
	v_cndmask_b32_e64 v10, v4, 1, vcc
.LBB1473_20:
	s_or_b64 exec, exec, s[4:5]
	v_mov_b32_e32 v8, v10
.LBB1473_21:
	s_or_b64 exec, exec, s[0:1]
	v_cmp_gt_u32_e32 vcc, 62, v6
	v_add_u32_e32 v10, 2, v6
	s_waitcnt lgkmcnt(1)
	v_cndmask_b32_e64 v4, 0, 2, vcc
	s_waitcnt lgkmcnt(0)
	v_add_lshl_u32 v5, v4, v1, 2
	ds_bpermute_b32 v9, v5, v8
	ds_bpermute_b32 v4, v5, v2
	ds_bpermute_b32 v5, v5, v3
	v_cmp_lt_u32_e32 vcc, v10, v7
	s_and_saveexec_b64 s[0:1], vcc
	s_cbranch_execz .LBB1473_27
; %bb.22:
	s_waitcnt lgkmcnt(2)
	v_and_b32_e32 v10, v8, v9
	v_and_b32_e32 v10, 1, v10
	v_cmp_eq_u32_e32 vcc, 1, v10
	s_and_saveexec_b64 s[4:5], vcc
	s_xor_b64 s[4:5], exec, s[4:5]
	s_cbranch_execz .LBB1473_24
; %bb.23:
	s_waitcnt lgkmcnt(0)
	v_cmp_lt_i64_e32 vcc, v[4:5], v[2:3]
                                        ; implicit-def: $vgpr8
                                        ; implicit-def: $vgpr9
	s_nop 1
	v_cndmask_b32_e32 v3, v3, v5, vcc
	v_cndmask_b32_e32 v2, v2, v4, vcc
                                        ; implicit-def: $vgpr4_vgpr5
.LBB1473_24:
	s_or_saveexec_b64 s[4:5], s[4:5]
	v_mov_b32_e32 v10, 1
	s_xor_b64 exec, exec, s[4:5]
	s_cbranch_execz .LBB1473_26
; %bb.25:
	v_and_b32_e32 v8, 1, v8
	v_cmp_eq_u32_e32 vcc, 1, v8
	s_waitcnt lgkmcnt(1)
	s_nop 0
	v_cndmask_b32_e32 v2, v4, v2, vcc
	v_and_b32_e32 v4, 0xff, v9
	s_waitcnt lgkmcnt(0)
	v_cndmask_b32_e32 v3, v5, v3, vcc
	v_cndmask_b32_e64 v10, v4, 1, vcc
.LBB1473_26:
	s_or_b64 exec, exec, s[4:5]
	v_mov_b32_e32 v8, v10
.LBB1473_27:
	s_or_b64 exec, exec, s[0:1]
	v_cmp_gt_u32_e32 vcc, 60, v6
	v_add_u32_e32 v10, 4, v6
	s_waitcnt lgkmcnt(1)
	v_cndmask_b32_e64 v4, 0, 4, vcc
	s_waitcnt lgkmcnt(0)
	v_add_lshl_u32 v5, v4, v1, 2
	ds_bpermute_b32 v9, v5, v8
	ds_bpermute_b32 v4, v5, v2
	ds_bpermute_b32 v5, v5, v3
	v_cmp_lt_u32_e32 vcc, v10, v7
	s_and_saveexec_b64 s[0:1], vcc
	s_cbranch_execz .LBB1473_33
; %bb.28:
	s_waitcnt lgkmcnt(2)
	v_and_b32_e32 v10, v8, v9
	v_and_b32_e32 v10, 1, v10
	v_cmp_eq_u32_e32 vcc, 1, v10
	s_and_saveexec_b64 s[4:5], vcc
	s_xor_b64 s[4:5], exec, s[4:5]
	s_cbranch_execz .LBB1473_30
; %bb.29:
	s_waitcnt lgkmcnt(0)
	v_cmp_lt_i64_e32 vcc, v[4:5], v[2:3]
                                        ; implicit-def: $vgpr8
                                        ; implicit-def: $vgpr9
	s_nop 1
	v_cndmask_b32_e32 v3, v3, v5, vcc
	v_cndmask_b32_e32 v2, v2, v4, vcc
                                        ; implicit-def: $vgpr4_vgpr5
.LBB1473_30:
	s_or_saveexec_b64 s[4:5], s[4:5]
	v_mov_b32_e32 v10, 1
	s_xor_b64 exec, exec, s[4:5]
	s_cbranch_execz .LBB1473_32
; %bb.31:
	v_and_b32_e32 v8, 1, v8
	v_cmp_eq_u32_e32 vcc, 1, v8
	s_waitcnt lgkmcnt(1)
	s_nop 0
	v_cndmask_b32_e32 v2, v4, v2, vcc
	v_and_b32_e32 v4, 0xff, v9
	s_waitcnt lgkmcnt(0)
	v_cndmask_b32_e32 v3, v5, v3, vcc
	v_cndmask_b32_e64 v10, v4, 1, vcc
.LBB1473_32:
	s_or_b64 exec, exec, s[4:5]
	v_mov_b32_e32 v8, v10
.LBB1473_33:
	;; [unrolled: 49-line block ×4, first 2 shown]
	s_or_b64 exec, exec, s[0:1]
	s_waitcnt lgkmcnt(2)
	v_lshlrev_b32_e32 v9, 2, v1
	s_waitcnt lgkmcnt(0)
	v_or_b32_e32 v5, 0x80, v9
	ds_bpermute_b32 v10, v5, v8
	ds_bpermute_b32 v4, v5, v2
	ds_bpermute_b32 v5, v5, v3
	v_add_u32_e32 v6, 32, v6
	v_cmp_lt_u32_e32 vcc, v6, v7
	v_mov_b32_e32 v6, v8
	s_and_saveexec_b64 s[0:1], vcc
	s_cbranch_execz .LBB1473_51
; %bb.46:
	s_waitcnt lgkmcnt(2)
	v_and_b32_e32 v6, v8, v10
	v_and_b32_e32 v6, 1, v6
	v_cmp_eq_u32_e32 vcc, 1, v6
	s_and_saveexec_b64 s[4:5], vcc
	s_xor_b64 s[4:5], exec, s[4:5]
	s_cbranch_execz .LBB1473_48
; %bb.47:
	s_waitcnt lgkmcnt(0)
	v_cmp_lt_i64_e32 vcc, v[4:5], v[2:3]
                                        ; implicit-def: $vgpr8
                                        ; implicit-def: $vgpr10
	s_nop 1
	v_cndmask_b32_e32 v3, v3, v5, vcc
	v_cndmask_b32_e32 v2, v2, v4, vcc
                                        ; implicit-def: $vgpr4_vgpr5
.LBB1473_48:
	s_or_saveexec_b64 s[4:5], s[4:5]
	v_mov_b32_e32 v6, 1
	s_xor_b64 exec, exec, s[4:5]
	s_cbranch_execz .LBB1473_50
; %bb.49:
	v_and_b32_e32 v6, 1, v8
	v_cmp_eq_u32_e32 vcc, 1, v6
	s_nop 1
	v_cndmask_b32_e64 v6, v10, 1, vcc
	s_waitcnt lgkmcnt(0)
	v_cndmask_b32_e32 v3, v5, v3, vcc
	v_cndmask_b32_e32 v2, v4, v2, vcc
.LBB1473_50:
	s_or_b64 exec, exec, s[4:5]
	v_and_b32_e32 v8, 0xff, v6
.LBB1473_51:
	s_or_b64 exec, exec, s[0:1]
	v_cmp_eq_u32_e32 vcc, 0, v1
	s_and_saveexec_b64 s[0:1], vcc
	s_cbranch_execz .LBB1473_53
; %bb.52:
	s_waitcnt lgkmcnt(1)
	v_lshrrev_b32_e32 v4, 2, v0
	v_and_b32_e32 v4, 16, v4
	ds_write_b8 v4, v6 offset:32
	ds_write_b64 v4, v[2:3] offset:40
.LBB1473_53:
	s_or_b64 exec, exec, s[0:1]
	v_cmp_gt_u32_e32 vcc, 2, v0
	s_waitcnt lgkmcnt(0)
	s_barrier
	s_and_saveexec_b64 s[0:1], vcc
	s_cbranch_execz .LBB1473_61
; %bb.54:
	v_lshlrev_b32_e32 v2, 4, v1
	ds_read_u8 v6, v2 offset:32
	ds_read_b64 v[2:3], v2 offset:40
	v_or_b32_e32 v5, 4, v9
	s_add_i32 s6, s6, 63
	v_and_b32_e32 v1, 1, v1
	s_waitcnt lgkmcnt(1)
	v_and_b32_e32 v8, 0xff, v6
	s_waitcnt lgkmcnt(0)
	ds_bpermute_b32 v4, v5, v2
	ds_bpermute_b32 v7, v5, v8
	;; [unrolled: 1-line block ×3, first 2 shown]
	s_lshr_b32 s4, s6, 6
	v_add_u32_e32 v1, 1, v1
	v_cmp_gt_u32_e32 vcc, s4, v1
	s_and_saveexec_b64 s[4:5], vcc
	s_cbranch_execz .LBB1473_60
; %bb.55:
	s_waitcnt lgkmcnt(1)
	v_and_b32_e32 v1, v8, v7
	v_and_b32_e32 v1, 1, v1
	v_cmp_eq_u32_e32 vcc, 1, v1
	s_and_saveexec_b64 s[6:7], vcc
	s_xor_b64 s[6:7], exec, s[6:7]
	s_cbranch_execz .LBB1473_57
; %bb.56:
	s_waitcnt lgkmcnt(0)
	v_cmp_lt_i64_e32 vcc, v[4:5], v[2:3]
                                        ; implicit-def: $vgpr6
                                        ; implicit-def: $vgpr7
	s_nop 1
	v_cndmask_b32_e32 v3, v3, v5, vcc
	v_cndmask_b32_e32 v2, v2, v4, vcc
                                        ; implicit-def: $vgpr4_vgpr5
.LBB1473_57:
	s_or_saveexec_b64 s[6:7], s[6:7]
	v_mov_b32_e32 v8, 1
	s_xor_b64 exec, exec, s[6:7]
	s_cbranch_execz .LBB1473_59
; %bb.58:
	v_and_b32_e32 v1, 1, v6
	v_cmp_eq_u32_e32 vcc, 1, v1
	s_waitcnt lgkmcnt(0)
	s_nop 0
	v_cndmask_b32_e32 v3, v5, v3, vcc
	v_cndmask_b32_e32 v2, v4, v2, vcc
	v_cndmask_b32_e64 v8, v7, 1, vcc
.LBB1473_59:
	s_or_b64 exec, exec, s[6:7]
.LBB1473_60:
	s_or_b64 exec, exec, s[4:5]
.LBB1473_61:
	s_or_b64 exec, exec, s[0:1]
.LBB1473_62:
	v_cmp_eq_u32_e32 vcc, 0, v0
	s_and_saveexec_b64 s[0:1], vcc
	s_cbranch_execnz .LBB1473_64
; %bb.63:
	s_endpgm
.LBB1473_64:
	s_mul_i32 s0, s18, s17
	s_mul_hi_u32 s1, s18, s16
	s_add_i32 s0, s1, s0
	s_mul_i32 s1, s19, s16
	s_add_i32 s1, s0, s1
	s_mul_i32 s0, s18, s16
	s_lshl_b64 s[0:1], s[0:1], 4
	s_add_u32 s4, s14, s0
	s_addc_u32 s5, s15, s1
	s_cmp_eq_u64 s[12:13], 0
	s_waitcnt lgkmcnt(0)
	v_mov_b32_e32 v0, s9
	s_cselect_b64 vcc, -1, 0
	v_cndmask_b32_e32 v1, v3, v0, vcc
	v_mov_b32_e32 v0, s8
	s_lshl_b64 s[0:1], s[2:3], 4
	v_cndmask_b32_e32 v0, v2, v0, vcc
	v_mov_b32_e32 v2, s10
	s_add_u32 s0, s4, s0
	v_cndmask_b32_e32 v2, v8, v2, vcc
	s_addc_u32 s1, s5, s1
	v_mov_b32_e32 v3, 0
	global_store_byte v3, v2, s[0:1]
	global_store_dwordx2 v3, v[0:1], s[0:1] offset:8
	s_endpgm
	.section	.rodata,"a",@progbits
	.p2align	6, 0x0
	.amdhsa_kernel _ZN7rocprim17ROCPRIM_400000_NS6detail17trampoline_kernelINS0_14default_configENS1_22reduce_config_selectorIN6thrust23THRUST_200600_302600_NS5tupleIblNS6_9null_typeES8_S8_S8_S8_S8_S8_S8_EEEEZNS1_11reduce_implILb1ES3_NS6_12zip_iteratorINS7_INS6_11hip_rocprim26transform_input_iterator_tIbNSD_35transform_pair_of_input_iterators_tIbNS6_6detail15normal_iteratorINS6_10device_ptrIKiEEEESL_NS6_8equal_toIiEEEENSG_9not_fun_tINSD_8identityEEEEENSD_19counting_iterator_tIlEES8_S8_S8_S8_S8_S8_S8_S8_EEEEPS9_S9_NSD_9__find_if7functorIS9_EEEE10hipError_tPvRmT1_T2_T3_mT4_P12ihipStream_tbEUlT_E0_NS1_11comp_targetILNS1_3genE0ELNS1_11target_archE4294967295ELNS1_3gpuE0ELNS1_3repE0EEENS1_30default_config_static_selectorELNS0_4arch9wavefront6targetE1EEEvS14_
		.amdhsa_group_segment_fixed_size 64
		.amdhsa_private_segment_fixed_size 0
		.amdhsa_kernarg_size 104
		.amdhsa_user_sgpr_count 2
		.amdhsa_user_sgpr_dispatch_ptr 0
		.amdhsa_user_sgpr_queue_ptr 0
		.amdhsa_user_sgpr_kernarg_segment_ptr 1
		.amdhsa_user_sgpr_dispatch_id 0
		.amdhsa_user_sgpr_kernarg_preload_length 0
		.amdhsa_user_sgpr_kernarg_preload_offset 0
		.amdhsa_user_sgpr_private_segment_size 0
		.amdhsa_uses_dynamic_stack 0
		.amdhsa_enable_private_segment 0
		.amdhsa_system_sgpr_workgroup_id_x 1
		.amdhsa_system_sgpr_workgroup_id_y 0
		.amdhsa_system_sgpr_workgroup_id_z 0
		.amdhsa_system_sgpr_workgroup_info 0
		.amdhsa_system_vgpr_workitem_id 0
		.amdhsa_next_free_vgpr 14
		.amdhsa_next_free_sgpr 28
		.amdhsa_accum_offset 16
		.amdhsa_reserve_vcc 1
		.amdhsa_float_round_mode_32 0
		.amdhsa_float_round_mode_16_64 0
		.amdhsa_float_denorm_mode_32 3
		.amdhsa_float_denorm_mode_16_64 3
		.amdhsa_dx10_clamp 1
		.amdhsa_ieee_mode 1
		.amdhsa_fp16_overflow 0
		.amdhsa_tg_split 0
		.amdhsa_exception_fp_ieee_invalid_op 0
		.amdhsa_exception_fp_denorm_src 0
		.amdhsa_exception_fp_ieee_div_zero 0
		.amdhsa_exception_fp_ieee_overflow 0
		.amdhsa_exception_fp_ieee_underflow 0
		.amdhsa_exception_fp_ieee_inexact 0
		.amdhsa_exception_int_div_zero 0
	.end_amdhsa_kernel
	.section	.text._ZN7rocprim17ROCPRIM_400000_NS6detail17trampoline_kernelINS0_14default_configENS1_22reduce_config_selectorIN6thrust23THRUST_200600_302600_NS5tupleIblNS6_9null_typeES8_S8_S8_S8_S8_S8_S8_EEEEZNS1_11reduce_implILb1ES3_NS6_12zip_iteratorINS7_INS6_11hip_rocprim26transform_input_iterator_tIbNSD_35transform_pair_of_input_iterators_tIbNS6_6detail15normal_iteratorINS6_10device_ptrIKiEEEESL_NS6_8equal_toIiEEEENSG_9not_fun_tINSD_8identityEEEEENSD_19counting_iterator_tIlEES8_S8_S8_S8_S8_S8_S8_S8_EEEEPS9_S9_NSD_9__find_if7functorIS9_EEEE10hipError_tPvRmT1_T2_T3_mT4_P12ihipStream_tbEUlT_E0_NS1_11comp_targetILNS1_3genE0ELNS1_11target_archE4294967295ELNS1_3gpuE0ELNS1_3repE0EEENS1_30default_config_static_selectorELNS0_4arch9wavefront6targetE1EEEvS14_,"axG",@progbits,_ZN7rocprim17ROCPRIM_400000_NS6detail17trampoline_kernelINS0_14default_configENS1_22reduce_config_selectorIN6thrust23THRUST_200600_302600_NS5tupleIblNS6_9null_typeES8_S8_S8_S8_S8_S8_S8_EEEEZNS1_11reduce_implILb1ES3_NS6_12zip_iteratorINS7_INS6_11hip_rocprim26transform_input_iterator_tIbNSD_35transform_pair_of_input_iterators_tIbNS6_6detail15normal_iteratorINS6_10device_ptrIKiEEEESL_NS6_8equal_toIiEEEENSG_9not_fun_tINSD_8identityEEEEENSD_19counting_iterator_tIlEES8_S8_S8_S8_S8_S8_S8_S8_EEEEPS9_S9_NSD_9__find_if7functorIS9_EEEE10hipError_tPvRmT1_T2_T3_mT4_P12ihipStream_tbEUlT_E0_NS1_11comp_targetILNS1_3genE0ELNS1_11target_archE4294967295ELNS1_3gpuE0ELNS1_3repE0EEENS1_30default_config_static_selectorELNS0_4arch9wavefront6targetE1EEEvS14_,comdat
.Lfunc_end1473:
	.size	_ZN7rocprim17ROCPRIM_400000_NS6detail17trampoline_kernelINS0_14default_configENS1_22reduce_config_selectorIN6thrust23THRUST_200600_302600_NS5tupleIblNS6_9null_typeES8_S8_S8_S8_S8_S8_S8_EEEEZNS1_11reduce_implILb1ES3_NS6_12zip_iteratorINS7_INS6_11hip_rocprim26transform_input_iterator_tIbNSD_35transform_pair_of_input_iterators_tIbNS6_6detail15normal_iteratorINS6_10device_ptrIKiEEEESL_NS6_8equal_toIiEEEENSG_9not_fun_tINSD_8identityEEEEENSD_19counting_iterator_tIlEES8_S8_S8_S8_S8_S8_S8_S8_EEEEPS9_S9_NSD_9__find_if7functorIS9_EEEE10hipError_tPvRmT1_T2_T3_mT4_P12ihipStream_tbEUlT_E0_NS1_11comp_targetILNS1_3genE0ELNS1_11target_archE4294967295ELNS1_3gpuE0ELNS1_3repE0EEENS1_30default_config_static_selectorELNS0_4arch9wavefront6targetE1EEEvS14_, .Lfunc_end1473-_ZN7rocprim17ROCPRIM_400000_NS6detail17trampoline_kernelINS0_14default_configENS1_22reduce_config_selectorIN6thrust23THRUST_200600_302600_NS5tupleIblNS6_9null_typeES8_S8_S8_S8_S8_S8_S8_EEEEZNS1_11reduce_implILb1ES3_NS6_12zip_iteratorINS7_INS6_11hip_rocprim26transform_input_iterator_tIbNSD_35transform_pair_of_input_iterators_tIbNS6_6detail15normal_iteratorINS6_10device_ptrIKiEEEESL_NS6_8equal_toIiEEEENSG_9not_fun_tINSD_8identityEEEEENSD_19counting_iterator_tIlEES8_S8_S8_S8_S8_S8_S8_S8_EEEEPS9_S9_NSD_9__find_if7functorIS9_EEEE10hipError_tPvRmT1_T2_T3_mT4_P12ihipStream_tbEUlT_E0_NS1_11comp_targetILNS1_3genE0ELNS1_11target_archE4294967295ELNS1_3gpuE0ELNS1_3repE0EEENS1_30default_config_static_selectorELNS0_4arch9wavefront6targetE1EEEvS14_
                                        ; -- End function
	.set _ZN7rocprim17ROCPRIM_400000_NS6detail17trampoline_kernelINS0_14default_configENS1_22reduce_config_selectorIN6thrust23THRUST_200600_302600_NS5tupleIblNS6_9null_typeES8_S8_S8_S8_S8_S8_S8_EEEEZNS1_11reduce_implILb1ES3_NS6_12zip_iteratorINS7_INS6_11hip_rocprim26transform_input_iterator_tIbNSD_35transform_pair_of_input_iterators_tIbNS6_6detail15normal_iteratorINS6_10device_ptrIKiEEEESL_NS6_8equal_toIiEEEENSG_9not_fun_tINSD_8identityEEEEENSD_19counting_iterator_tIlEES8_S8_S8_S8_S8_S8_S8_S8_EEEEPS9_S9_NSD_9__find_if7functorIS9_EEEE10hipError_tPvRmT1_T2_T3_mT4_P12ihipStream_tbEUlT_E0_NS1_11comp_targetILNS1_3genE0ELNS1_11target_archE4294967295ELNS1_3gpuE0ELNS1_3repE0EEENS1_30default_config_static_selectorELNS0_4arch9wavefront6targetE1EEEvS14_.num_vgpr, 14
	.set _ZN7rocprim17ROCPRIM_400000_NS6detail17trampoline_kernelINS0_14default_configENS1_22reduce_config_selectorIN6thrust23THRUST_200600_302600_NS5tupleIblNS6_9null_typeES8_S8_S8_S8_S8_S8_S8_EEEEZNS1_11reduce_implILb1ES3_NS6_12zip_iteratorINS7_INS6_11hip_rocprim26transform_input_iterator_tIbNSD_35transform_pair_of_input_iterators_tIbNS6_6detail15normal_iteratorINS6_10device_ptrIKiEEEESL_NS6_8equal_toIiEEEENSG_9not_fun_tINSD_8identityEEEEENSD_19counting_iterator_tIlEES8_S8_S8_S8_S8_S8_S8_S8_EEEEPS9_S9_NSD_9__find_if7functorIS9_EEEE10hipError_tPvRmT1_T2_T3_mT4_P12ihipStream_tbEUlT_E0_NS1_11comp_targetILNS1_3genE0ELNS1_11target_archE4294967295ELNS1_3gpuE0ELNS1_3repE0EEENS1_30default_config_static_selectorELNS0_4arch9wavefront6targetE1EEEvS14_.num_agpr, 0
	.set _ZN7rocprim17ROCPRIM_400000_NS6detail17trampoline_kernelINS0_14default_configENS1_22reduce_config_selectorIN6thrust23THRUST_200600_302600_NS5tupleIblNS6_9null_typeES8_S8_S8_S8_S8_S8_S8_EEEEZNS1_11reduce_implILb1ES3_NS6_12zip_iteratorINS7_INS6_11hip_rocprim26transform_input_iterator_tIbNSD_35transform_pair_of_input_iterators_tIbNS6_6detail15normal_iteratorINS6_10device_ptrIKiEEEESL_NS6_8equal_toIiEEEENSG_9not_fun_tINSD_8identityEEEEENSD_19counting_iterator_tIlEES8_S8_S8_S8_S8_S8_S8_S8_EEEEPS9_S9_NSD_9__find_if7functorIS9_EEEE10hipError_tPvRmT1_T2_T3_mT4_P12ihipStream_tbEUlT_E0_NS1_11comp_targetILNS1_3genE0ELNS1_11target_archE4294967295ELNS1_3gpuE0ELNS1_3repE0EEENS1_30default_config_static_selectorELNS0_4arch9wavefront6targetE1EEEvS14_.numbered_sgpr, 28
	.set _ZN7rocprim17ROCPRIM_400000_NS6detail17trampoline_kernelINS0_14default_configENS1_22reduce_config_selectorIN6thrust23THRUST_200600_302600_NS5tupleIblNS6_9null_typeES8_S8_S8_S8_S8_S8_S8_EEEEZNS1_11reduce_implILb1ES3_NS6_12zip_iteratorINS7_INS6_11hip_rocprim26transform_input_iterator_tIbNSD_35transform_pair_of_input_iterators_tIbNS6_6detail15normal_iteratorINS6_10device_ptrIKiEEEESL_NS6_8equal_toIiEEEENSG_9not_fun_tINSD_8identityEEEEENSD_19counting_iterator_tIlEES8_S8_S8_S8_S8_S8_S8_S8_EEEEPS9_S9_NSD_9__find_if7functorIS9_EEEE10hipError_tPvRmT1_T2_T3_mT4_P12ihipStream_tbEUlT_E0_NS1_11comp_targetILNS1_3genE0ELNS1_11target_archE4294967295ELNS1_3gpuE0ELNS1_3repE0EEENS1_30default_config_static_selectorELNS0_4arch9wavefront6targetE1EEEvS14_.num_named_barrier, 0
	.set _ZN7rocprim17ROCPRIM_400000_NS6detail17trampoline_kernelINS0_14default_configENS1_22reduce_config_selectorIN6thrust23THRUST_200600_302600_NS5tupleIblNS6_9null_typeES8_S8_S8_S8_S8_S8_S8_EEEEZNS1_11reduce_implILb1ES3_NS6_12zip_iteratorINS7_INS6_11hip_rocprim26transform_input_iterator_tIbNSD_35transform_pair_of_input_iterators_tIbNS6_6detail15normal_iteratorINS6_10device_ptrIKiEEEESL_NS6_8equal_toIiEEEENSG_9not_fun_tINSD_8identityEEEEENSD_19counting_iterator_tIlEES8_S8_S8_S8_S8_S8_S8_S8_EEEEPS9_S9_NSD_9__find_if7functorIS9_EEEE10hipError_tPvRmT1_T2_T3_mT4_P12ihipStream_tbEUlT_E0_NS1_11comp_targetILNS1_3genE0ELNS1_11target_archE4294967295ELNS1_3gpuE0ELNS1_3repE0EEENS1_30default_config_static_selectorELNS0_4arch9wavefront6targetE1EEEvS14_.private_seg_size, 0
	.set _ZN7rocprim17ROCPRIM_400000_NS6detail17trampoline_kernelINS0_14default_configENS1_22reduce_config_selectorIN6thrust23THRUST_200600_302600_NS5tupleIblNS6_9null_typeES8_S8_S8_S8_S8_S8_S8_EEEEZNS1_11reduce_implILb1ES3_NS6_12zip_iteratorINS7_INS6_11hip_rocprim26transform_input_iterator_tIbNSD_35transform_pair_of_input_iterators_tIbNS6_6detail15normal_iteratorINS6_10device_ptrIKiEEEESL_NS6_8equal_toIiEEEENSG_9not_fun_tINSD_8identityEEEEENSD_19counting_iterator_tIlEES8_S8_S8_S8_S8_S8_S8_S8_EEEEPS9_S9_NSD_9__find_if7functorIS9_EEEE10hipError_tPvRmT1_T2_T3_mT4_P12ihipStream_tbEUlT_E0_NS1_11comp_targetILNS1_3genE0ELNS1_11target_archE4294967295ELNS1_3gpuE0ELNS1_3repE0EEENS1_30default_config_static_selectorELNS0_4arch9wavefront6targetE1EEEvS14_.uses_vcc, 1
	.set _ZN7rocprim17ROCPRIM_400000_NS6detail17trampoline_kernelINS0_14default_configENS1_22reduce_config_selectorIN6thrust23THRUST_200600_302600_NS5tupleIblNS6_9null_typeES8_S8_S8_S8_S8_S8_S8_EEEEZNS1_11reduce_implILb1ES3_NS6_12zip_iteratorINS7_INS6_11hip_rocprim26transform_input_iterator_tIbNSD_35transform_pair_of_input_iterators_tIbNS6_6detail15normal_iteratorINS6_10device_ptrIKiEEEESL_NS6_8equal_toIiEEEENSG_9not_fun_tINSD_8identityEEEEENSD_19counting_iterator_tIlEES8_S8_S8_S8_S8_S8_S8_S8_EEEEPS9_S9_NSD_9__find_if7functorIS9_EEEE10hipError_tPvRmT1_T2_T3_mT4_P12ihipStream_tbEUlT_E0_NS1_11comp_targetILNS1_3genE0ELNS1_11target_archE4294967295ELNS1_3gpuE0ELNS1_3repE0EEENS1_30default_config_static_selectorELNS0_4arch9wavefront6targetE1EEEvS14_.uses_flat_scratch, 0
	.set _ZN7rocprim17ROCPRIM_400000_NS6detail17trampoline_kernelINS0_14default_configENS1_22reduce_config_selectorIN6thrust23THRUST_200600_302600_NS5tupleIblNS6_9null_typeES8_S8_S8_S8_S8_S8_S8_EEEEZNS1_11reduce_implILb1ES3_NS6_12zip_iteratorINS7_INS6_11hip_rocprim26transform_input_iterator_tIbNSD_35transform_pair_of_input_iterators_tIbNS6_6detail15normal_iteratorINS6_10device_ptrIKiEEEESL_NS6_8equal_toIiEEEENSG_9not_fun_tINSD_8identityEEEEENSD_19counting_iterator_tIlEES8_S8_S8_S8_S8_S8_S8_S8_EEEEPS9_S9_NSD_9__find_if7functorIS9_EEEE10hipError_tPvRmT1_T2_T3_mT4_P12ihipStream_tbEUlT_E0_NS1_11comp_targetILNS1_3genE0ELNS1_11target_archE4294967295ELNS1_3gpuE0ELNS1_3repE0EEENS1_30default_config_static_selectorELNS0_4arch9wavefront6targetE1EEEvS14_.has_dyn_sized_stack, 0
	.set _ZN7rocprim17ROCPRIM_400000_NS6detail17trampoline_kernelINS0_14default_configENS1_22reduce_config_selectorIN6thrust23THRUST_200600_302600_NS5tupleIblNS6_9null_typeES8_S8_S8_S8_S8_S8_S8_EEEEZNS1_11reduce_implILb1ES3_NS6_12zip_iteratorINS7_INS6_11hip_rocprim26transform_input_iterator_tIbNSD_35transform_pair_of_input_iterators_tIbNS6_6detail15normal_iteratorINS6_10device_ptrIKiEEEESL_NS6_8equal_toIiEEEENSG_9not_fun_tINSD_8identityEEEEENSD_19counting_iterator_tIlEES8_S8_S8_S8_S8_S8_S8_S8_EEEEPS9_S9_NSD_9__find_if7functorIS9_EEEE10hipError_tPvRmT1_T2_T3_mT4_P12ihipStream_tbEUlT_E0_NS1_11comp_targetILNS1_3genE0ELNS1_11target_archE4294967295ELNS1_3gpuE0ELNS1_3repE0EEENS1_30default_config_static_selectorELNS0_4arch9wavefront6targetE1EEEvS14_.has_recursion, 0
	.set _ZN7rocprim17ROCPRIM_400000_NS6detail17trampoline_kernelINS0_14default_configENS1_22reduce_config_selectorIN6thrust23THRUST_200600_302600_NS5tupleIblNS6_9null_typeES8_S8_S8_S8_S8_S8_S8_EEEEZNS1_11reduce_implILb1ES3_NS6_12zip_iteratorINS7_INS6_11hip_rocprim26transform_input_iterator_tIbNSD_35transform_pair_of_input_iterators_tIbNS6_6detail15normal_iteratorINS6_10device_ptrIKiEEEESL_NS6_8equal_toIiEEEENSG_9not_fun_tINSD_8identityEEEEENSD_19counting_iterator_tIlEES8_S8_S8_S8_S8_S8_S8_S8_EEEEPS9_S9_NSD_9__find_if7functorIS9_EEEE10hipError_tPvRmT1_T2_T3_mT4_P12ihipStream_tbEUlT_E0_NS1_11comp_targetILNS1_3genE0ELNS1_11target_archE4294967295ELNS1_3gpuE0ELNS1_3repE0EEENS1_30default_config_static_selectorELNS0_4arch9wavefront6targetE1EEEvS14_.has_indirect_call, 0
	.section	.AMDGPU.csdata,"",@progbits
; Kernel info:
; codeLenInByte = 2864
; TotalNumSgprs: 34
; NumVgprs: 14
; NumAgprs: 0
; TotalNumVgprs: 14
; ScratchSize: 0
; MemoryBound: 0
; FloatMode: 240
; IeeeMode: 1
; LDSByteSize: 64 bytes/workgroup (compile time only)
; SGPRBlocks: 4
; VGPRBlocks: 1
; NumSGPRsForWavesPerEU: 34
; NumVGPRsForWavesPerEU: 14
; AccumOffset: 16
; Occupancy: 8
; WaveLimiterHint : 0
; COMPUTE_PGM_RSRC2:SCRATCH_EN: 0
; COMPUTE_PGM_RSRC2:USER_SGPR: 2
; COMPUTE_PGM_RSRC2:TRAP_HANDLER: 0
; COMPUTE_PGM_RSRC2:TGID_X_EN: 1
; COMPUTE_PGM_RSRC2:TGID_Y_EN: 0
; COMPUTE_PGM_RSRC2:TGID_Z_EN: 0
; COMPUTE_PGM_RSRC2:TIDIG_COMP_CNT: 0
; COMPUTE_PGM_RSRC3_GFX90A:ACCUM_OFFSET: 3
; COMPUTE_PGM_RSRC3_GFX90A:TG_SPLIT: 0
	.section	.text._ZN7rocprim17ROCPRIM_400000_NS6detail17trampoline_kernelINS0_14default_configENS1_22reduce_config_selectorIN6thrust23THRUST_200600_302600_NS5tupleIblNS6_9null_typeES8_S8_S8_S8_S8_S8_S8_EEEEZNS1_11reduce_implILb1ES3_NS6_12zip_iteratorINS7_INS6_11hip_rocprim26transform_input_iterator_tIbNSD_35transform_pair_of_input_iterators_tIbNS6_6detail15normal_iteratorINS6_10device_ptrIKiEEEESL_NS6_8equal_toIiEEEENSG_9not_fun_tINSD_8identityEEEEENSD_19counting_iterator_tIlEES8_S8_S8_S8_S8_S8_S8_S8_EEEEPS9_S9_NSD_9__find_if7functorIS9_EEEE10hipError_tPvRmT1_T2_T3_mT4_P12ihipStream_tbEUlT_E0_NS1_11comp_targetILNS1_3genE5ELNS1_11target_archE942ELNS1_3gpuE9ELNS1_3repE0EEENS1_30default_config_static_selectorELNS0_4arch9wavefront6targetE1EEEvS14_,"axG",@progbits,_ZN7rocprim17ROCPRIM_400000_NS6detail17trampoline_kernelINS0_14default_configENS1_22reduce_config_selectorIN6thrust23THRUST_200600_302600_NS5tupleIblNS6_9null_typeES8_S8_S8_S8_S8_S8_S8_EEEEZNS1_11reduce_implILb1ES3_NS6_12zip_iteratorINS7_INS6_11hip_rocprim26transform_input_iterator_tIbNSD_35transform_pair_of_input_iterators_tIbNS6_6detail15normal_iteratorINS6_10device_ptrIKiEEEESL_NS6_8equal_toIiEEEENSG_9not_fun_tINSD_8identityEEEEENSD_19counting_iterator_tIlEES8_S8_S8_S8_S8_S8_S8_S8_EEEEPS9_S9_NSD_9__find_if7functorIS9_EEEE10hipError_tPvRmT1_T2_T3_mT4_P12ihipStream_tbEUlT_E0_NS1_11comp_targetILNS1_3genE5ELNS1_11target_archE942ELNS1_3gpuE9ELNS1_3repE0EEENS1_30default_config_static_selectorELNS0_4arch9wavefront6targetE1EEEvS14_,comdat
	.protected	_ZN7rocprim17ROCPRIM_400000_NS6detail17trampoline_kernelINS0_14default_configENS1_22reduce_config_selectorIN6thrust23THRUST_200600_302600_NS5tupleIblNS6_9null_typeES8_S8_S8_S8_S8_S8_S8_EEEEZNS1_11reduce_implILb1ES3_NS6_12zip_iteratorINS7_INS6_11hip_rocprim26transform_input_iterator_tIbNSD_35transform_pair_of_input_iterators_tIbNS6_6detail15normal_iteratorINS6_10device_ptrIKiEEEESL_NS6_8equal_toIiEEEENSG_9not_fun_tINSD_8identityEEEEENSD_19counting_iterator_tIlEES8_S8_S8_S8_S8_S8_S8_S8_EEEEPS9_S9_NSD_9__find_if7functorIS9_EEEE10hipError_tPvRmT1_T2_T3_mT4_P12ihipStream_tbEUlT_E0_NS1_11comp_targetILNS1_3genE5ELNS1_11target_archE942ELNS1_3gpuE9ELNS1_3repE0EEENS1_30default_config_static_selectorELNS0_4arch9wavefront6targetE1EEEvS14_ ; -- Begin function _ZN7rocprim17ROCPRIM_400000_NS6detail17trampoline_kernelINS0_14default_configENS1_22reduce_config_selectorIN6thrust23THRUST_200600_302600_NS5tupleIblNS6_9null_typeES8_S8_S8_S8_S8_S8_S8_EEEEZNS1_11reduce_implILb1ES3_NS6_12zip_iteratorINS7_INS6_11hip_rocprim26transform_input_iterator_tIbNSD_35transform_pair_of_input_iterators_tIbNS6_6detail15normal_iteratorINS6_10device_ptrIKiEEEESL_NS6_8equal_toIiEEEENSG_9not_fun_tINSD_8identityEEEEENSD_19counting_iterator_tIlEES8_S8_S8_S8_S8_S8_S8_S8_EEEEPS9_S9_NSD_9__find_if7functorIS9_EEEE10hipError_tPvRmT1_T2_T3_mT4_P12ihipStream_tbEUlT_E0_NS1_11comp_targetILNS1_3genE5ELNS1_11target_archE942ELNS1_3gpuE9ELNS1_3repE0EEENS1_30default_config_static_selectorELNS0_4arch9wavefront6targetE1EEEvS14_
	.globl	_ZN7rocprim17ROCPRIM_400000_NS6detail17trampoline_kernelINS0_14default_configENS1_22reduce_config_selectorIN6thrust23THRUST_200600_302600_NS5tupleIblNS6_9null_typeES8_S8_S8_S8_S8_S8_S8_EEEEZNS1_11reduce_implILb1ES3_NS6_12zip_iteratorINS7_INS6_11hip_rocprim26transform_input_iterator_tIbNSD_35transform_pair_of_input_iterators_tIbNS6_6detail15normal_iteratorINS6_10device_ptrIKiEEEESL_NS6_8equal_toIiEEEENSG_9not_fun_tINSD_8identityEEEEENSD_19counting_iterator_tIlEES8_S8_S8_S8_S8_S8_S8_S8_EEEEPS9_S9_NSD_9__find_if7functorIS9_EEEE10hipError_tPvRmT1_T2_T3_mT4_P12ihipStream_tbEUlT_E0_NS1_11comp_targetILNS1_3genE5ELNS1_11target_archE942ELNS1_3gpuE9ELNS1_3repE0EEENS1_30default_config_static_selectorELNS0_4arch9wavefront6targetE1EEEvS14_
	.p2align	8
	.type	_ZN7rocprim17ROCPRIM_400000_NS6detail17trampoline_kernelINS0_14default_configENS1_22reduce_config_selectorIN6thrust23THRUST_200600_302600_NS5tupleIblNS6_9null_typeES8_S8_S8_S8_S8_S8_S8_EEEEZNS1_11reduce_implILb1ES3_NS6_12zip_iteratorINS7_INS6_11hip_rocprim26transform_input_iterator_tIbNSD_35transform_pair_of_input_iterators_tIbNS6_6detail15normal_iteratorINS6_10device_ptrIKiEEEESL_NS6_8equal_toIiEEEENSG_9not_fun_tINSD_8identityEEEEENSD_19counting_iterator_tIlEES8_S8_S8_S8_S8_S8_S8_S8_EEEEPS9_S9_NSD_9__find_if7functorIS9_EEEE10hipError_tPvRmT1_T2_T3_mT4_P12ihipStream_tbEUlT_E0_NS1_11comp_targetILNS1_3genE5ELNS1_11target_archE942ELNS1_3gpuE9ELNS1_3repE0EEENS1_30default_config_static_selectorELNS0_4arch9wavefront6targetE1EEEvS14_,@function
_ZN7rocprim17ROCPRIM_400000_NS6detail17trampoline_kernelINS0_14default_configENS1_22reduce_config_selectorIN6thrust23THRUST_200600_302600_NS5tupleIblNS6_9null_typeES8_S8_S8_S8_S8_S8_S8_EEEEZNS1_11reduce_implILb1ES3_NS6_12zip_iteratorINS7_INS6_11hip_rocprim26transform_input_iterator_tIbNSD_35transform_pair_of_input_iterators_tIbNS6_6detail15normal_iteratorINS6_10device_ptrIKiEEEESL_NS6_8equal_toIiEEEENSG_9not_fun_tINSD_8identityEEEEENSD_19counting_iterator_tIlEES8_S8_S8_S8_S8_S8_S8_S8_EEEEPS9_S9_NSD_9__find_if7functorIS9_EEEE10hipError_tPvRmT1_T2_T3_mT4_P12ihipStream_tbEUlT_E0_NS1_11comp_targetILNS1_3genE5ELNS1_11target_archE942ELNS1_3gpuE9ELNS1_3repE0EEENS1_30default_config_static_selectorELNS0_4arch9wavefront6targetE1EEEvS14_: ; @_ZN7rocprim17ROCPRIM_400000_NS6detail17trampoline_kernelINS0_14default_configENS1_22reduce_config_selectorIN6thrust23THRUST_200600_302600_NS5tupleIblNS6_9null_typeES8_S8_S8_S8_S8_S8_S8_EEEEZNS1_11reduce_implILb1ES3_NS6_12zip_iteratorINS7_INS6_11hip_rocprim26transform_input_iterator_tIbNSD_35transform_pair_of_input_iterators_tIbNS6_6detail15normal_iteratorINS6_10device_ptrIKiEEEESL_NS6_8equal_toIiEEEENSG_9not_fun_tINSD_8identityEEEEENSD_19counting_iterator_tIlEES8_S8_S8_S8_S8_S8_S8_S8_EEEEPS9_S9_NSD_9__find_if7functorIS9_EEEE10hipError_tPvRmT1_T2_T3_mT4_P12ihipStream_tbEUlT_E0_NS1_11comp_targetILNS1_3genE5ELNS1_11target_archE942ELNS1_3gpuE9ELNS1_3repE0EEENS1_30default_config_static_selectorELNS0_4arch9wavefront6targetE1EEEvS14_
; %bb.0:
	.section	.rodata,"a",@progbits
	.p2align	6, 0x0
	.amdhsa_kernel _ZN7rocprim17ROCPRIM_400000_NS6detail17trampoline_kernelINS0_14default_configENS1_22reduce_config_selectorIN6thrust23THRUST_200600_302600_NS5tupleIblNS6_9null_typeES8_S8_S8_S8_S8_S8_S8_EEEEZNS1_11reduce_implILb1ES3_NS6_12zip_iteratorINS7_INS6_11hip_rocprim26transform_input_iterator_tIbNSD_35transform_pair_of_input_iterators_tIbNS6_6detail15normal_iteratorINS6_10device_ptrIKiEEEESL_NS6_8equal_toIiEEEENSG_9not_fun_tINSD_8identityEEEEENSD_19counting_iterator_tIlEES8_S8_S8_S8_S8_S8_S8_S8_EEEEPS9_S9_NSD_9__find_if7functorIS9_EEEE10hipError_tPvRmT1_T2_T3_mT4_P12ihipStream_tbEUlT_E0_NS1_11comp_targetILNS1_3genE5ELNS1_11target_archE942ELNS1_3gpuE9ELNS1_3repE0EEENS1_30default_config_static_selectorELNS0_4arch9wavefront6targetE1EEEvS14_
		.amdhsa_group_segment_fixed_size 0
		.amdhsa_private_segment_fixed_size 0
		.amdhsa_kernarg_size 104
		.amdhsa_user_sgpr_count 2
		.amdhsa_user_sgpr_dispatch_ptr 0
		.amdhsa_user_sgpr_queue_ptr 0
		.amdhsa_user_sgpr_kernarg_segment_ptr 1
		.amdhsa_user_sgpr_dispatch_id 0
		.amdhsa_user_sgpr_kernarg_preload_length 0
		.amdhsa_user_sgpr_kernarg_preload_offset 0
		.amdhsa_user_sgpr_private_segment_size 0
		.amdhsa_uses_dynamic_stack 0
		.amdhsa_enable_private_segment 0
		.amdhsa_system_sgpr_workgroup_id_x 1
		.amdhsa_system_sgpr_workgroup_id_y 0
		.amdhsa_system_sgpr_workgroup_id_z 0
		.amdhsa_system_sgpr_workgroup_info 0
		.amdhsa_system_vgpr_workitem_id 0
		.amdhsa_next_free_vgpr 1
		.amdhsa_next_free_sgpr 0
		.amdhsa_accum_offset 4
		.amdhsa_reserve_vcc 0
		.amdhsa_float_round_mode_32 0
		.amdhsa_float_round_mode_16_64 0
		.amdhsa_float_denorm_mode_32 3
		.amdhsa_float_denorm_mode_16_64 3
		.amdhsa_dx10_clamp 1
		.amdhsa_ieee_mode 1
		.amdhsa_fp16_overflow 0
		.amdhsa_tg_split 0
		.amdhsa_exception_fp_ieee_invalid_op 0
		.amdhsa_exception_fp_denorm_src 0
		.amdhsa_exception_fp_ieee_div_zero 0
		.amdhsa_exception_fp_ieee_overflow 0
		.amdhsa_exception_fp_ieee_underflow 0
		.amdhsa_exception_fp_ieee_inexact 0
		.amdhsa_exception_int_div_zero 0
	.end_amdhsa_kernel
	.section	.text._ZN7rocprim17ROCPRIM_400000_NS6detail17trampoline_kernelINS0_14default_configENS1_22reduce_config_selectorIN6thrust23THRUST_200600_302600_NS5tupleIblNS6_9null_typeES8_S8_S8_S8_S8_S8_S8_EEEEZNS1_11reduce_implILb1ES3_NS6_12zip_iteratorINS7_INS6_11hip_rocprim26transform_input_iterator_tIbNSD_35transform_pair_of_input_iterators_tIbNS6_6detail15normal_iteratorINS6_10device_ptrIKiEEEESL_NS6_8equal_toIiEEEENSG_9not_fun_tINSD_8identityEEEEENSD_19counting_iterator_tIlEES8_S8_S8_S8_S8_S8_S8_S8_EEEEPS9_S9_NSD_9__find_if7functorIS9_EEEE10hipError_tPvRmT1_T2_T3_mT4_P12ihipStream_tbEUlT_E0_NS1_11comp_targetILNS1_3genE5ELNS1_11target_archE942ELNS1_3gpuE9ELNS1_3repE0EEENS1_30default_config_static_selectorELNS0_4arch9wavefront6targetE1EEEvS14_,"axG",@progbits,_ZN7rocprim17ROCPRIM_400000_NS6detail17trampoline_kernelINS0_14default_configENS1_22reduce_config_selectorIN6thrust23THRUST_200600_302600_NS5tupleIblNS6_9null_typeES8_S8_S8_S8_S8_S8_S8_EEEEZNS1_11reduce_implILb1ES3_NS6_12zip_iteratorINS7_INS6_11hip_rocprim26transform_input_iterator_tIbNSD_35transform_pair_of_input_iterators_tIbNS6_6detail15normal_iteratorINS6_10device_ptrIKiEEEESL_NS6_8equal_toIiEEEENSG_9not_fun_tINSD_8identityEEEEENSD_19counting_iterator_tIlEES8_S8_S8_S8_S8_S8_S8_S8_EEEEPS9_S9_NSD_9__find_if7functorIS9_EEEE10hipError_tPvRmT1_T2_T3_mT4_P12ihipStream_tbEUlT_E0_NS1_11comp_targetILNS1_3genE5ELNS1_11target_archE942ELNS1_3gpuE9ELNS1_3repE0EEENS1_30default_config_static_selectorELNS0_4arch9wavefront6targetE1EEEvS14_,comdat
.Lfunc_end1474:
	.size	_ZN7rocprim17ROCPRIM_400000_NS6detail17trampoline_kernelINS0_14default_configENS1_22reduce_config_selectorIN6thrust23THRUST_200600_302600_NS5tupleIblNS6_9null_typeES8_S8_S8_S8_S8_S8_S8_EEEEZNS1_11reduce_implILb1ES3_NS6_12zip_iteratorINS7_INS6_11hip_rocprim26transform_input_iterator_tIbNSD_35transform_pair_of_input_iterators_tIbNS6_6detail15normal_iteratorINS6_10device_ptrIKiEEEESL_NS6_8equal_toIiEEEENSG_9not_fun_tINSD_8identityEEEEENSD_19counting_iterator_tIlEES8_S8_S8_S8_S8_S8_S8_S8_EEEEPS9_S9_NSD_9__find_if7functorIS9_EEEE10hipError_tPvRmT1_T2_T3_mT4_P12ihipStream_tbEUlT_E0_NS1_11comp_targetILNS1_3genE5ELNS1_11target_archE942ELNS1_3gpuE9ELNS1_3repE0EEENS1_30default_config_static_selectorELNS0_4arch9wavefront6targetE1EEEvS14_, .Lfunc_end1474-_ZN7rocprim17ROCPRIM_400000_NS6detail17trampoline_kernelINS0_14default_configENS1_22reduce_config_selectorIN6thrust23THRUST_200600_302600_NS5tupleIblNS6_9null_typeES8_S8_S8_S8_S8_S8_S8_EEEEZNS1_11reduce_implILb1ES3_NS6_12zip_iteratorINS7_INS6_11hip_rocprim26transform_input_iterator_tIbNSD_35transform_pair_of_input_iterators_tIbNS6_6detail15normal_iteratorINS6_10device_ptrIKiEEEESL_NS6_8equal_toIiEEEENSG_9not_fun_tINSD_8identityEEEEENSD_19counting_iterator_tIlEES8_S8_S8_S8_S8_S8_S8_S8_EEEEPS9_S9_NSD_9__find_if7functorIS9_EEEE10hipError_tPvRmT1_T2_T3_mT4_P12ihipStream_tbEUlT_E0_NS1_11comp_targetILNS1_3genE5ELNS1_11target_archE942ELNS1_3gpuE9ELNS1_3repE0EEENS1_30default_config_static_selectorELNS0_4arch9wavefront6targetE1EEEvS14_
                                        ; -- End function
	.set _ZN7rocprim17ROCPRIM_400000_NS6detail17trampoline_kernelINS0_14default_configENS1_22reduce_config_selectorIN6thrust23THRUST_200600_302600_NS5tupleIblNS6_9null_typeES8_S8_S8_S8_S8_S8_S8_EEEEZNS1_11reduce_implILb1ES3_NS6_12zip_iteratorINS7_INS6_11hip_rocprim26transform_input_iterator_tIbNSD_35transform_pair_of_input_iterators_tIbNS6_6detail15normal_iteratorINS6_10device_ptrIKiEEEESL_NS6_8equal_toIiEEEENSG_9not_fun_tINSD_8identityEEEEENSD_19counting_iterator_tIlEES8_S8_S8_S8_S8_S8_S8_S8_EEEEPS9_S9_NSD_9__find_if7functorIS9_EEEE10hipError_tPvRmT1_T2_T3_mT4_P12ihipStream_tbEUlT_E0_NS1_11comp_targetILNS1_3genE5ELNS1_11target_archE942ELNS1_3gpuE9ELNS1_3repE0EEENS1_30default_config_static_selectorELNS0_4arch9wavefront6targetE1EEEvS14_.num_vgpr, 0
	.set _ZN7rocprim17ROCPRIM_400000_NS6detail17trampoline_kernelINS0_14default_configENS1_22reduce_config_selectorIN6thrust23THRUST_200600_302600_NS5tupleIblNS6_9null_typeES8_S8_S8_S8_S8_S8_S8_EEEEZNS1_11reduce_implILb1ES3_NS6_12zip_iteratorINS7_INS6_11hip_rocprim26transform_input_iterator_tIbNSD_35transform_pair_of_input_iterators_tIbNS6_6detail15normal_iteratorINS6_10device_ptrIKiEEEESL_NS6_8equal_toIiEEEENSG_9not_fun_tINSD_8identityEEEEENSD_19counting_iterator_tIlEES8_S8_S8_S8_S8_S8_S8_S8_EEEEPS9_S9_NSD_9__find_if7functorIS9_EEEE10hipError_tPvRmT1_T2_T3_mT4_P12ihipStream_tbEUlT_E0_NS1_11comp_targetILNS1_3genE5ELNS1_11target_archE942ELNS1_3gpuE9ELNS1_3repE0EEENS1_30default_config_static_selectorELNS0_4arch9wavefront6targetE1EEEvS14_.num_agpr, 0
	.set _ZN7rocprim17ROCPRIM_400000_NS6detail17trampoline_kernelINS0_14default_configENS1_22reduce_config_selectorIN6thrust23THRUST_200600_302600_NS5tupleIblNS6_9null_typeES8_S8_S8_S8_S8_S8_S8_EEEEZNS1_11reduce_implILb1ES3_NS6_12zip_iteratorINS7_INS6_11hip_rocprim26transform_input_iterator_tIbNSD_35transform_pair_of_input_iterators_tIbNS6_6detail15normal_iteratorINS6_10device_ptrIKiEEEESL_NS6_8equal_toIiEEEENSG_9not_fun_tINSD_8identityEEEEENSD_19counting_iterator_tIlEES8_S8_S8_S8_S8_S8_S8_S8_EEEEPS9_S9_NSD_9__find_if7functorIS9_EEEE10hipError_tPvRmT1_T2_T3_mT4_P12ihipStream_tbEUlT_E0_NS1_11comp_targetILNS1_3genE5ELNS1_11target_archE942ELNS1_3gpuE9ELNS1_3repE0EEENS1_30default_config_static_selectorELNS0_4arch9wavefront6targetE1EEEvS14_.numbered_sgpr, 0
	.set _ZN7rocprim17ROCPRIM_400000_NS6detail17trampoline_kernelINS0_14default_configENS1_22reduce_config_selectorIN6thrust23THRUST_200600_302600_NS5tupleIblNS6_9null_typeES8_S8_S8_S8_S8_S8_S8_EEEEZNS1_11reduce_implILb1ES3_NS6_12zip_iteratorINS7_INS6_11hip_rocprim26transform_input_iterator_tIbNSD_35transform_pair_of_input_iterators_tIbNS6_6detail15normal_iteratorINS6_10device_ptrIKiEEEESL_NS6_8equal_toIiEEEENSG_9not_fun_tINSD_8identityEEEEENSD_19counting_iterator_tIlEES8_S8_S8_S8_S8_S8_S8_S8_EEEEPS9_S9_NSD_9__find_if7functorIS9_EEEE10hipError_tPvRmT1_T2_T3_mT4_P12ihipStream_tbEUlT_E0_NS1_11comp_targetILNS1_3genE5ELNS1_11target_archE942ELNS1_3gpuE9ELNS1_3repE0EEENS1_30default_config_static_selectorELNS0_4arch9wavefront6targetE1EEEvS14_.num_named_barrier, 0
	.set _ZN7rocprim17ROCPRIM_400000_NS6detail17trampoline_kernelINS0_14default_configENS1_22reduce_config_selectorIN6thrust23THRUST_200600_302600_NS5tupleIblNS6_9null_typeES8_S8_S8_S8_S8_S8_S8_EEEEZNS1_11reduce_implILb1ES3_NS6_12zip_iteratorINS7_INS6_11hip_rocprim26transform_input_iterator_tIbNSD_35transform_pair_of_input_iterators_tIbNS6_6detail15normal_iteratorINS6_10device_ptrIKiEEEESL_NS6_8equal_toIiEEEENSG_9not_fun_tINSD_8identityEEEEENSD_19counting_iterator_tIlEES8_S8_S8_S8_S8_S8_S8_S8_EEEEPS9_S9_NSD_9__find_if7functorIS9_EEEE10hipError_tPvRmT1_T2_T3_mT4_P12ihipStream_tbEUlT_E0_NS1_11comp_targetILNS1_3genE5ELNS1_11target_archE942ELNS1_3gpuE9ELNS1_3repE0EEENS1_30default_config_static_selectorELNS0_4arch9wavefront6targetE1EEEvS14_.private_seg_size, 0
	.set _ZN7rocprim17ROCPRIM_400000_NS6detail17trampoline_kernelINS0_14default_configENS1_22reduce_config_selectorIN6thrust23THRUST_200600_302600_NS5tupleIblNS6_9null_typeES8_S8_S8_S8_S8_S8_S8_EEEEZNS1_11reduce_implILb1ES3_NS6_12zip_iteratorINS7_INS6_11hip_rocprim26transform_input_iterator_tIbNSD_35transform_pair_of_input_iterators_tIbNS6_6detail15normal_iteratorINS6_10device_ptrIKiEEEESL_NS6_8equal_toIiEEEENSG_9not_fun_tINSD_8identityEEEEENSD_19counting_iterator_tIlEES8_S8_S8_S8_S8_S8_S8_S8_EEEEPS9_S9_NSD_9__find_if7functorIS9_EEEE10hipError_tPvRmT1_T2_T3_mT4_P12ihipStream_tbEUlT_E0_NS1_11comp_targetILNS1_3genE5ELNS1_11target_archE942ELNS1_3gpuE9ELNS1_3repE0EEENS1_30default_config_static_selectorELNS0_4arch9wavefront6targetE1EEEvS14_.uses_vcc, 0
	.set _ZN7rocprim17ROCPRIM_400000_NS6detail17trampoline_kernelINS0_14default_configENS1_22reduce_config_selectorIN6thrust23THRUST_200600_302600_NS5tupleIblNS6_9null_typeES8_S8_S8_S8_S8_S8_S8_EEEEZNS1_11reduce_implILb1ES3_NS6_12zip_iteratorINS7_INS6_11hip_rocprim26transform_input_iterator_tIbNSD_35transform_pair_of_input_iterators_tIbNS6_6detail15normal_iteratorINS6_10device_ptrIKiEEEESL_NS6_8equal_toIiEEEENSG_9not_fun_tINSD_8identityEEEEENSD_19counting_iterator_tIlEES8_S8_S8_S8_S8_S8_S8_S8_EEEEPS9_S9_NSD_9__find_if7functorIS9_EEEE10hipError_tPvRmT1_T2_T3_mT4_P12ihipStream_tbEUlT_E0_NS1_11comp_targetILNS1_3genE5ELNS1_11target_archE942ELNS1_3gpuE9ELNS1_3repE0EEENS1_30default_config_static_selectorELNS0_4arch9wavefront6targetE1EEEvS14_.uses_flat_scratch, 0
	.set _ZN7rocprim17ROCPRIM_400000_NS6detail17trampoline_kernelINS0_14default_configENS1_22reduce_config_selectorIN6thrust23THRUST_200600_302600_NS5tupleIblNS6_9null_typeES8_S8_S8_S8_S8_S8_S8_EEEEZNS1_11reduce_implILb1ES3_NS6_12zip_iteratorINS7_INS6_11hip_rocprim26transform_input_iterator_tIbNSD_35transform_pair_of_input_iterators_tIbNS6_6detail15normal_iteratorINS6_10device_ptrIKiEEEESL_NS6_8equal_toIiEEEENSG_9not_fun_tINSD_8identityEEEEENSD_19counting_iterator_tIlEES8_S8_S8_S8_S8_S8_S8_S8_EEEEPS9_S9_NSD_9__find_if7functorIS9_EEEE10hipError_tPvRmT1_T2_T3_mT4_P12ihipStream_tbEUlT_E0_NS1_11comp_targetILNS1_3genE5ELNS1_11target_archE942ELNS1_3gpuE9ELNS1_3repE0EEENS1_30default_config_static_selectorELNS0_4arch9wavefront6targetE1EEEvS14_.has_dyn_sized_stack, 0
	.set _ZN7rocprim17ROCPRIM_400000_NS6detail17trampoline_kernelINS0_14default_configENS1_22reduce_config_selectorIN6thrust23THRUST_200600_302600_NS5tupleIblNS6_9null_typeES8_S8_S8_S8_S8_S8_S8_EEEEZNS1_11reduce_implILb1ES3_NS6_12zip_iteratorINS7_INS6_11hip_rocprim26transform_input_iterator_tIbNSD_35transform_pair_of_input_iterators_tIbNS6_6detail15normal_iteratorINS6_10device_ptrIKiEEEESL_NS6_8equal_toIiEEEENSG_9not_fun_tINSD_8identityEEEEENSD_19counting_iterator_tIlEES8_S8_S8_S8_S8_S8_S8_S8_EEEEPS9_S9_NSD_9__find_if7functorIS9_EEEE10hipError_tPvRmT1_T2_T3_mT4_P12ihipStream_tbEUlT_E0_NS1_11comp_targetILNS1_3genE5ELNS1_11target_archE942ELNS1_3gpuE9ELNS1_3repE0EEENS1_30default_config_static_selectorELNS0_4arch9wavefront6targetE1EEEvS14_.has_recursion, 0
	.set _ZN7rocprim17ROCPRIM_400000_NS6detail17trampoline_kernelINS0_14default_configENS1_22reduce_config_selectorIN6thrust23THRUST_200600_302600_NS5tupleIblNS6_9null_typeES8_S8_S8_S8_S8_S8_S8_EEEEZNS1_11reduce_implILb1ES3_NS6_12zip_iteratorINS7_INS6_11hip_rocprim26transform_input_iterator_tIbNSD_35transform_pair_of_input_iterators_tIbNS6_6detail15normal_iteratorINS6_10device_ptrIKiEEEESL_NS6_8equal_toIiEEEENSG_9not_fun_tINSD_8identityEEEEENSD_19counting_iterator_tIlEES8_S8_S8_S8_S8_S8_S8_S8_EEEEPS9_S9_NSD_9__find_if7functorIS9_EEEE10hipError_tPvRmT1_T2_T3_mT4_P12ihipStream_tbEUlT_E0_NS1_11comp_targetILNS1_3genE5ELNS1_11target_archE942ELNS1_3gpuE9ELNS1_3repE0EEENS1_30default_config_static_selectorELNS0_4arch9wavefront6targetE1EEEvS14_.has_indirect_call, 0
	.section	.AMDGPU.csdata,"",@progbits
; Kernel info:
; codeLenInByte = 0
; TotalNumSgprs: 6
; NumVgprs: 0
; NumAgprs: 0
; TotalNumVgprs: 0
; ScratchSize: 0
; MemoryBound: 0
; FloatMode: 240
; IeeeMode: 1
; LDSByteSize: 0 bytes/workgroup (compile time only)
; SGPRBlocks: 0
; VGPRBlocks: 0
; NumSGPRsForWavesPerEU: 6
; NumVGPRsForWavesPerEU: 1
; AccumOffset: 4
; Occupancy: 8
; WaveLimiterHint : 0
; COMPUTE_PGM_RSRC2:SCRATCH_EN: 0
; COMPUTE_PGM_RSRC2:USER_SGPR: 2
; COMPUTE_PGM_RSRC2:TRAP_HANDLER: 0
; COMPUTE_PGM_RSRC2:TGID_X_EN: 1
; COMPUTE_PGM_RSRC2:TGID_Y_EN: 0
; COMPUTE_PGM_RSRC2:TGID_Z_EN: 0
; COMPUTE_PGM_RSRC2:TIDIG_COMP_CNT: 0
; COMPUTE_PGM_RSRC3_GFX90A:ACCUM_OFFSET: 0
; COMPUTE_PGM_RSRC3_GFX90A:TG_SPLIT: 0
	.section	.text._ZN7rocprim17ROCPRIM_400000_NS6detail17trampoline_kernelINS0_14default_configENS1_22reduce_config_selectorIN6thrust23THRUST_200600_302600_NS5tupleIblNS6_9null_typeES8_S8_S8_S8_S8_S8_S8_EEEEZNS1_11reduce_implILb1ES3_NS6_12zip_iteratorINS7_INS6_11hip_rocprim26transform_input_iterator_tIbNSD_35transform_pair_of_input_iterators_tIbNS6_6detail15normal_iteratorINS6_10device_ptrIKiEEEESL_NS6_8equal_toIiEEEENSG_9not_fun_tINSD_8identityEEEEENSD_19counting_iterator_tIlEES8_S8_S8_S8_S8_S8_S8_S8_EEEEPS9_S9_NSD_9__find_if7functorIS9_EEEE10hipError_tPvRmT1_T2_T3_mT4_P12ihipStream_tbEUlT_E0_NS1_11comp_targetILNS1_3genE4ELNS1_11target_archE910ELNS1_3gpuE8ELNS1_3repE0EEENS1_30default_config_static_selectorELNS0_4arch9wavefront6targetE1EEEvS14_,"axG",@progbits,_ZN7rocprim17ROCPRIM_400000_NS6detail17trampoline_kernelINS0_14default_configENS1_22reduce_config_selectorIN6thrust23THRUST_200600_302600_NS5tupleIblNS6_9null_typeES8_S8_S8_S8_S8_S8_S8_EEEEZNS1_11reduce_implILb1ES3_NS6_12zip_iteratorINS7_INS6_11hip_rocprim26transform_input_iterator_tIbNSD_35transform_pair_of_input_iterators_tIbNS6_6detail15normal_iteratorINS6_10device_ptrIKiEEEESL_NS6_8equal_toIiEEEENSG_9not_fun_tINSD_8identityEEEEENSD_19counting_iterator_tIlEES8_S8_S8_S8_S8_S8_S8_S8_EEEEPS9_S9_NSD_9__find_if7functorIS9_EEEE10hipError_tPvRmT1_T2_T3_mT4_P12ihipStream_tbEUlT_E0_NS1_11comp_targetILNS1_3genE4ELNS1_11target_archE910ELNS1_3gpuE8ELNS1_3repE0EEENS1_30default_config_static_selectorELNS0_4arch9wavefront6targetE1EEEvS14_,comdat
	.protected	_ZN7rocprim17ROCPRIM_400000_NS6detail17trampoline_kernelINS0_14default_configENS1_22reduce_config_selectorIN6thrust23THRUST_200600_302600_NS5tupleIblNS6_9null_typeES8_S8_S8_S8_S8_S8_S8_EEEEZNS1_11reduce_implILb1ES3_NS6_12zip_iteratorINS7_INS6_11hip_rocprim26transform_input_iterator_tIbNSD_35transform_pair_of_input_iterators_tIbNS6_6detail15normal_iteratorINS6_10device_ptrIKiEEEESL_NS6_8equal_toIiEEEENSG_9not_fun_tINSD_8identityEEEEENSD_19counting_iterator_tIlEES8_S8_S8_S8_S8_S8_S8_S8_EEEEPS9_S9_NSD_9__find_if7functorIS9_EEEE10hipError_tPvRmT1_T2_T3_mT4_P12ihipStream_tbEUlT_E0_NS1_11comp_targetILNS1_3genE4ELNS1_11target_archE910ELNS1_3gpuE8ELNS1_3repE0EEENS1_30default_config_static_selectorELNS0_4arch9wavefront6targetE1EEEvS14_ ; -- Begin function _ZN7rocprim17ROCPRIM_400000_NS6detail17trampoline_kernelINS0_14default_configENS1_22reduce_config_selectorIN6thrust23THRUST_200600_302600_NS5tupleIblNS6_9null_typeES8_S8_S8_S8_S8_S8_S8_EEEEZNS1_11reduce_implILb1ES3_NS6_12zip_iteratorINS7_INS6_11hip_rocprim26transform_input_iterator_tIbNSD_35transform_pair_of_input_iterators_tIbNS6_6detail15normal_iteratorINS6_10device_ptrIKiEEEESL_NS6_8equal_toIiEEEENSG_9not_fun_tINSD_8identityEEEEENSD_19counting_iterator_tIlEES8_S8_S8_S8_S8_S8_S8_S8_EEEEPS9_S9_NSD_9__find_if7functorIS9_EEEE10hipError_tPvRmT1_T2_T3_mT4_P12ihipStream_tbEUlT_E0_NS1_11comp_targetILNS1_3genE4ELNS1_11target_archE910ELNS1_3gpuE8ELNS1_3repE0EEENS1_30default_config_static_selectorELNS0_4arch9wavefront6targetE1EEEvS14_
	.globl	_ZN7rocprim17ROCPRIM_400000_NS6detail17trampoline_kernelINS0_14default_configENS1_22reduce_config_selectorIN6thrust23THRUST_200600_302600_NS5tupleIblNS6_9null_typeES8_S8_S8_S8_S8_S8_S8_EEEEZNS1_11reduce_implILb1ES3_NS6_12zip_iteratorINS7_INS6_11hip_rocprim26transform_input_iterator_tIbNSD_35transform_pair_of_input_iterators_tIbNS6_6detail15normal_iteratorINS6_10device_ptrIKiEEEESL_NS6_8equal_toIiEEEENSG_9not_fun_tINSD_8identityEEEEENSD_19counting_iterator_tIlEES8_S8_S8_S8_S8_S8_S8_S8_EEEEPS9_S9_NSD_9__find_if7functorIS9_EEEE10hipError_tPvRmT1_T2_T3_mT4_P12ihipStream_tbEUlT_E0_NS1_11comp_targetILNS1_3genE4ELNS1_11target_archE910ELNS1_3gpuE8ELNS1_3repE0EEENS1_30default_config_static_selectorELNS0_4arch9wavefront6targetE1EEEvS14_
	.p2align	8
	.type	_ZN7rocprim17ROCPRIM_400000_NS6detail17trampoline_kernelINS0_14default_configENS1_22reduce_config_selectorIN6thrust23THRUST_200600_302600_NS5tupleIblNS6_9null_typeES8_S8_S8_S8_S8_S8_S8_EEEEZNS1_11reduce_implILb1ES3_NS6_12zip_iteratorINS7_INS6_11hip_rocprim26transform_input_iterator_tIbNSD_35transform_pair_of_input_iterators_tIbNS6_6detail15normal_iteratorINS6_10device_ptrIKiEEEESL_NS6_8equal_toIiEEEENSG_9not_fun_tINSD_8identityEEEEENSD_19counting_iterator_tIlEES8_S8_S8_S8_S8_S8_S8_S8_EEEEPS9_S9_NSD_9__find_if7functorIS9_EEEE10hipError_tPvRmT1_T2_T3_mT4_P12ihipStream_tbEUlT_E0_NS1_11comp_targetILNS1_3genE4ELNS1_11target_archE910ELNS1_3gpuE8ELNS1_3repE0EEENS1_30default_config_static_selectorELNS0_4arch9wavefront6targetE1EEEvS14_,@function
_ZN7rocprim17ROCPRIM_400000_NS6detail17trampoline_kernelINS0_14default_configENS1_22reduce_config_selectorIN6thrust23THRUST_200600_302600_NS5tupleIblNS6_9null_typeES8_S8_S8_S8_S8_S8_S8_EEEEZNS1_11reduce_implILb1ES3_NS6_12zip_iteratorINS7_INS6_11hip_rocprim26transform_input_iterator_tIbNSD_35transform_pair_of_input_iterators_tIbNS6_6detail15normal_iteratorINS6_10device_ptrIKiEEEESL_NS6_8equal_toIiEEEENSG_9not_fun_tINSD_8identityEEEEENSD_19counting_iterator_tIlEES8_S8_S8_S8_S8_S8_S8_S8_EEEEPS9_S9_NSD_9__find_if7functorIS9_EEEE10hipError_tPvRmT1_T2_T3_mT4_P12ihipStream_tbEUlT_E0_NS1_11comp_targetILNS1_3genE4ELNS1_11target_archE910ELNS1_3gpuE8ELNS1_3repE0EEENS1_30default_config_static_selectorELNS0_4arch9wavefront6targetE1EEEvS14_: ; @_ZN7rocprim17ROCPRIM_400000_NS6detail17trampoline_kernelINS0_14default_configENS1_22reduce_config_selectorIN6thrust23THRUST_200600_302600_NS5tupleIblNS6_9null_typeES8_S8_S8_S8_S8_S8_S8_EEEEZNS1_11reduce_implILb1ES3_NS6_12zip_iteratorINS7_INS6_11hip_rocprim26transform_input_iterator_tIbNSD_35transform_pair_of_input_iterators_tIbNS6_6detail15normal_iteratorINS6_10device_ptrIKiEEEESL_NS6_8equal_toIiEEEENSG_9not_fun_tINSD_8identityEEEEENSD_19counting_iterator_tIlEES8_S8_S8_S8_S8_S8_S8_S8_EEEEPS9_S9_NSD_9__find_if7functorIS9_EEEE10hipError_tPvRmT1_T2_T3_mT4_P12ihipStream_tbEUlT_E0_NS1_11comp_targetILNS1_3genE4ELNS1_11target_archE910ELNS1_3gpuE8ELNS1_3repE0EEENS1_30default_config_static_selectorELNS0_4arch9wavefront6targetE1EEEvS14_
; %bb.0:
	.section	.rodata,"a",@progbits
	.p2align	6, 0x0
	.amdhsa_kernel _ZN7rocprim17ROCPRIM_400000_NS6detail17trampoline_kernelINS0_14default_configENS1_22reduce_config_selectorIN6thrust23THRUST_200600_302600_NS5tupleIblNS6_9null_typeES8_S8_S8_S8_S8_S8_S8_EEEEZNS1_11reduce_implILb1ES3_NS6_12zip_iteratorINS7_INS6_11hip_rocprim26transform_input_iterator_tIbNSD_35transform_pair_of_input_iterators_tIbNS6_6detail15normal_iteratorINS6_10device_ptrIKiEEEESL_NS6_8equal_toIiEEEENSG_9not_fun_tINSD_8identityEEEEENSD_19counting_iterator_tIlEES8_S8_S8_S8_S8_S8_S8_S8_EEEEPS9_S9_NSD_9__find_if7functorIS9_EEEE10hipError_tPvRmT1_T2_T3_mT4_P12ihipStream_tbEUlT_E0_NS1_11comp_targetILNS1_3genE4ELNS1_11target_archE910ELNS1_3gpuE8ELNS1_3repE0EEENS1_30default_config_static_selectorELNS0_4arch9wavefront6targetE1EEEvS14_
		.amdhsa_group_segment_fixed_size 0
		.amdhsa_private_segment_fixed_size 0
		.amdhsa_kernarg_size 104
		.amdhsa_user_sgpr_count 2
		.amdhsa_user_sgpr_dispatch_ptr 0
		.amdhsa_user_sgpr_queue_ptr 0
		.amdhsa_user_sgpr_kernarg_segment_ptr 1
		.amdhsa_user_sgpr_dispatch_id 0
		.amdhsa_user_sgpr_kernarg_preload_length 0
		.amdhsa_user_sgpr_kernarg_preload_offset 0
		.amdhsa_user_sgpr_private_segment_size 0
		.amdhsa_uses_dynamic_stack 0
		.amdhsa_enable_private_segment 0
		.amdhsa_system_sgpr_workgroup_id_x 1
		.amdhsa_system_sgpr_workgroup_id_y 0
		.amdhsa_system_sgpr_workgroup_id_z 0
		.amdhsa_system_sgpr_workgroup_info 0
		.amdhsa_system_vgpr_workitem_id 0
		.amdhsa_next_free_vgpr 1
		.amdhsa_next_free_sgpr 0
		.amdhsa_accum_offset 4
		.amdhsa_reserve_vcc 0
		.amdhsa_float_round_mode_32 0
		.amdhsa_float_round_mode_16_64 0
		.amdhsa_float_denorm_mode_32 3
		.amdhsa_float_denorm_mode_16_64 3
		.amdhsa_dx10_clamp 1
		.amdhsa_ieee_mode 1
		.amdhsa_fp16_overflow 0
		.amdhsa_tg_split 0
		.amdhsa_exception_fp_ieee_invalid_op 0
		.amdhsa_exception_fp_denorm_src 0
		.amdhsa_exception_fp_ieee_div_zero 0
		.amdhsa_exception_fp_ieee_overflow 0
		.amdhsa_exception_fp_ieee_underflow 0
		.amdhsa_exception_fp_ieee_inexact 0
		.amdhsa_exception_int_div_zero 0
	.end_amdhsa_kernel
	.section	.text._ZN7rocprim17ROCPRIM_400000_NS6detail17trampoline_kernelINS0_14default_configENS1_22reduce_config_selectorIN6thrust23THRUST_200600_302600_NS5tupleIblNS6_9null_typeES8_S8_S8_S8_S8_S8_S8_EEEEZNS1_11reduce_implILb1ES3_NS6_12zip_iteratorINS7_INS6_11hip_rocprim26transform_input_iterator_tIbNSD_35transform_pair_of_input_iterators_tIbNS6_6detail15normal_iteratorINS6_10device_ptrIKiEEEESL_NS6_8equal_toIiEEEENSG_9not_fun_tINSD_8identityEEEEENSD_19counting_iterator_tIlEES8_S8_S8_S8_S8_S8_S8_S8_EEEEPS9_S9_NSD_9__find_if7functorIS9_EEEE10hipError_tPvRmT1_T2_T3_mT4_P12ihipStream_tbEUlT_E0_NS1_11comp_targetILNS1_3genE4ELNS1_11target_archE910ELNS1_3gpuE8ELNS1_3repE0EEENS1_30default_config_static_selectorELNS0_4arch9wavefront6targetE1EEEvS14_,"axG",@progbits,_ZN7rocprim17ROCPRIM_400000_NS6detail17trampoline_kernelINS0_14default_configENS1_22reduce_config_selectorIN6thrust23THRUST_200600_302600_NS5tupleIblNS6_9null_typeES8_S8_S8_S8_S8_S8_S8_EEEEZNS1_11reduce_implILb1ES3_NS6_12zip_iteratorINS7_INS6_11hip_rocprim26transform_input_iterator_tIbNSD_35transform_pair_of_input_iterators_tIbNS6_6detail15normal_iteratorINS6_10device_ptrIKiEEEESL_NS6_8equal_toIiEEEENSG_9not_fun_tINSD_8identityEEEEENSD_19counting_iterator_tIlEES8_S8_S8_S8_S8_S8_S8_S8_EEEEPS9_S9_NSD_9__find_if7functorIS9_EEEE10hipError_tPvRmT1_T2_T3_mT4_P12ihipStream_tbEUlT_E0_NS1_11comp_targetILNS1_3genE4ELNS1_11target_archE910ELNS1_3gpuE8ELNS1_3repE0EEENS1_30default_config_static_selectorELNS0_4arch9wavefront6targetE1EEEvS14_,comdat
.Lfunc_end1475:
	.size	_ZN7rocprim17ROCPRIM_400000_NS6detail17trampoline_kernelINS0_14default_configENS1_22reduce_config_selectorIN6thrust23THRUST_200600_302600_NS5tupleIblNS6_9null_typeES8_S8_S8_S8_S8_S8_S8_EEEEZNS1_11reduce_implILb1ES3_NS6_12zip_iteratorINS7_INS6_11hip_rocprim26transform_input_iterator_tIbNSD_35transform_pair_of_input_iterators_tIbNS6_6detail15normal_iteratorINS6_10device_ptrIKiEEEESL_NS6_8equal_toIiEEEENSG_9not_fun_tINSD_8identityEEEEENSD_19counting_iterator_tIlEES8_S8_S8_S8_S8_S8_S8_S8_EEEEPS9_S9_NSD_9__find_if7functorIS9_EEEE10hipError_tPvRmT1_T2_T3_mT4_P12ihipStream_tbEUlT_E0_NS1_11comp_targetILNS1_3genE4ELNS1_11target_archE910ELNS1_3gpuE8ELNS1_3repE0EEENS1_30default_config_static_selectorELNS0_4arch9wavefront6targetE1EEEvS14_, .Lfunc_end1475-_ZN7rocprim17ROCPRIM_400000_NS6detail17trampoline_kernelINS0_14default_configENS1_22reduce_config_selectorIN6thrust23THRUST_200600_302600_NS5tupleIblNS6_9null_typeES8_S8_S8_S8_S8_S8_S8_EEEEZNS1_11reduce_implILb1ES3_NS6_12zip_iteratorINS7_INS6_11hip_rocprim26transform_input_iterator_tIbNSD_35transform_pair_of_input_iterators_tIbNS6_6detail15normal_iteratorINS6_10device_ptrIKiEEEESL_NS6_8equal_toIiEEEENSG_9not_fun_tINSD_8identityEEEEENSD_19counting_iterator_tIlEES8_S8_S8_S8_S8_S8_S8_S8_EEEEPS9_S9_NSD_9__find_if7functorIS9_EEEE10hipError_tPvRmT1_T2_T3_mT4_P12ihipStream_tbEUlT_E0_NS1_11comp_targetILNS1_3genE4ELNS1_11target_archE910ELNS1_3gpuE8ELNS1_3repE0EEENS1_30default_config_static_selectorELNS0_4arch9wavefront6targetE1EEEvS14_
                                        ; -- End function
	.set _ZN7rocprim17ROCPRIM_400000_NS6detail17trampoline_kernelINS0_14default_configENS1_22reduce_config_selectorIN6thrust23THRUST_200600_302600_NS5tupleIblNS6_9null_typeES8_S8_S8_S8_S8_S8_S8_EEEEZNS1_11reduce_implILb1ES3_NS6_12zip_iteratorINS7_INS6_11hip_rocprim26transform_input_iterator_tIbNSD_35transform_pair_of_input_iterators_tIbNS6_6detail15normal_iteratorINS6_10device_ptrIKiEEEESL_NS6_8equal_toIiEEEENSG_9not_fun_tINSD_8identityEEEEENSD_19counting_iterator_tIlEES8_S8_S8_S8_S8_S8_S8_S8_EEEEPS9_S9_NSD_9__find_if7functorIS9_EEEE10hipError_tPvRmT1_T2_T3_mT4_P12ihipStream_tbEUlT_E0_NS1_11comp_targetILNS1_3genE4ELNS1_11target_archE910ELNS1_3gpuE8ELNS1_3repE0EEENS1_30default_config_static_selectorELNS0_4arch9wavefront6targetE1EEEvS14_.num_vgpr, 0
	.set _ZN7rocprim17ROCPRIM_400000_NS6detail17trampoline_kernelINS0_14default_configENS1_22reduce_config_selectorIN6thrust23THRUST_200600_302600_NS5tupleIblNS6_9null_typeES8_S8_S8_S8_S8_S8_S8_EEEEZNS1_11reduce_implILb1ES3_NS6_12zip_iteratorINS7_INS6_11hip_rocprim26transform_input_iterator_tIbNSD_35transform_pair_of_input_iterators_tIbNS6_6detail15normal_iteratorINS6_10device_ptrIKiEEEESL_NS6_8equal_toIiEEEENSG_9not_fun_tINSD_8identityEEEEENSD_19counting_iterator_tIlEES8_S8_S8_S8_S8_S8_S8_S8_EEEEPS9_S9_NSD_9__find_if7functorIS9_EEEE10hipError_tPvRmT1_T2_T3_mT4_P12ihipStream_tbEUlT_E0_NS1_11comp_targetILNS1_3genE4ELNS1_11target_archE910ELNS1_3gpuE8ELNS1_3repE0EEENS1_30default_config_static_selectorELNS0_4arch9wavefront6targetE1EEEvS14_.num_agpr, 0
	.set _ZN7rocprim17ROCPRIM_400000_NS6detail17trampoline_kernelINS0_14default_configENS1_22reduce_config_selectorIN6thrust23THRUST_200600_302600_NS5tupleIblNS6_9null_typeES8_S8_S8_S8_S8_S8_S8_EEEEZNS1_11reduce_implILb1ES3_NS6_12zip_iteratorINS7_INS6_11hip_rocprim26transform_input_iterator_tIbNSD_35transform_pair_of_input_iterators_tIbNS6_6detail15normal_iteratorINS6_10device_ptrIKiEEEESL_NS6_8equal_toIiEEEENSG_9not_fun_tINSD_8identityEEEEENSD_19counting_iterator_tIlEES8_S8_S8_S8_S8_S8_S8_S8_EEEEPS9_S9_NSD_9__find_if7functorIS9_EEEE10hipError_tPvRmT1_T2_T3_mT4_P12ihipStream_tbEUlT_E0_NS1_11comp_targetILNS1_3genE4ELNS1_11target_archE910ELNS1_3gpuE8ELNS1_3repE0EEENS1_30default_config_static_selectorELNS0_4arch9wavefront6targetE1EEEvS14_.numbered_sgpr, 0
	.set _ZN7rocprim17ROCPRIM_400000_NS6detail17trampoline_kernelINS0_14default_configENS1_22reduce_config_selectorIN6thrust23THRUST_200600_302600_NS5tupleIblNS6_9null_typeES8_S8_S8_S8_S8_S8_S8_EEEEZNS1_11reduce_implILb1ES3_NS6_12zip_iteratorINS7_INS6_11hip_rocprim26transform_input_iterator_tIbNSD_35transform_pair_of_input_iterators_tIbNS6_6detail15normal_iteratorINS6_10device_ptrIKiEEEESL_NS6_8equal_toIiEEEENSG_9not_fun_tINSD_8identityEEEEENSD_19counting_iterator_tIlEES8_S8_S8_S8_S8_S8_S8_S8_EEEEPS9_S9_NSD_9__find_if7functorIS9_EEEE10hipError_tPvRmT1_T2_T3_mT4_P12ihipStream_tbEUlT_E0_NS1_11comp_targetILNS1_3genE4ELNS1_11target_archE910ELNS1_3gpuE8ELNS1_3repE0EEENS1_30default_config_static_selectorELNS0_4arch9wavefront6targetE1EEEvS14_.num_named_barrier, 0
	.set _ZN7rocprim17ROCPRIM_400000_NS6detail17trampoline_kernelINS0_14default_configENS1_22reduce_config_selectorIN6thrust23THRUST_200600_302600_NS5tupleIblNS6_9null_typeES8_S8_S8_S8_S8_S8_S8_EEEEZNS1_11reduce_implILb1ES3_NS6_12zip_iteratorINS7_INS6_11hip_rocprim26transform_input_iterator_tIbNSD_35transform_pair_of_input_iterators_tIbNS6_6detail15normal_iteratorINS6_10device_ptrIKiEEEESL_NS6_8equal_toIiEEEENSG_9not_fun_tINSD_8identityEEEEENSD_19counting_iterator_tIlEES8_S8_S8_S8_S8_S8_S8_S8_EEEEPS9_S9_NSD_9__find_if7functorIS9_EEEE10hipError_tPvRmT1_T2_T3_mT4_P12ihipStream_tbEUlT_E0_NS1_11comp_targetILNS1_3genE4ELNS1_11target_archE910ELNS1_3gpuE8ELNS1_3repE0EEENS1_30default_config_static_selectorELNS0_4arch9wavefront6targetE1EEEvS14_.private_seg_size, 0
	.set _ZN7rocprim17ROCPRIM_400000_NS6detail17trampoline_kernelINS0_14default_configENS1_22reduce_config_selectorIN6thrust23THRUST_200600_302600_NS5tupleIblNS6_9null_typeES8_S8_S8_S8_S8_S8_S8_EEEEZNS1_11reduce_implILb1ES3_NS6_12zip_iteratorINS7_INS6_11hip_rocprim26transform_input_iterator_tIbNSD_35transform_pair_of_input_iterators_tIbNS6_6detail15normal_iteratorINS6_10device_ptrIKiEEEESL_NS6_8equal_toIiEEEENSG_9not_fun_tINSD_8identityEEEEENSD_19counting_iterator_tIlEES8_S8_S8_S8_S8_S8_S8_S8_EEEEPS9_S9_NSD_9__find_if7functorIS9_EEEE10hipError_tPvRmT1_T2_T3_mT4_P12ihipStream_tbEUlT_E0_NS1_11comp_targetILNS1_3genE4ELNS1_11target_archE910ELNS1_3gpuE8ELNS1_3repE0EEENS1_30default_config_static_selectorELNS0_4arch9wavefront6targetE1EEEvS14_.uses_vcc, 0
	.set _ZN7rocprim17ROCPRIM_400000_NS6detail17trampoline_kernelINS0_14default_configENS1_22reduce_config_selectorIN6thrust23THRUST_200600_302600_NS5tupleIblNS6_9null_typeES8_S8_S8_S8_S8_S8_S8_EEEEZNS1_11reduce_implILb1ES3_NS6_12zip_iteratorINS7_INS6_11hip_rocprim26transform_input_iterator_tIbNSD_35transform_pair_of_input_iterators_tIbNS6_6detail15normal_iteratorINS6_10device_ptrIKiEEEESL_NS6_8equal_toIiEEEENSG_9not_fun_tINSD_8identityEEEEENSD_19counting_iterator_tIlEES8_S8_S8_S8_S8_S8_S8_S8_EEEEPS9_S9_NSD_9__find_if7functorIS9_EEEE10hipError_tPvRmT1_T2_T3_mT4_P12ihipStream_tbEUlT_E0_NS1_11comp_targetILNS1_3genE4ELNS1_11target_archE910ELNS1_3gpuE8ELNS1_3repE0EEENS1_30default_config_static_selectorELNS0_4arch9wavefront6targetE1EEEvS14_.uses_flat_scratch, 0
	.set _ZN7rocprim17ROCPRIM_400000_NS6detail17trampoline_kernelINS0_14default_configENS1_22reduce_config_selectorIN6thrust23THRUST_200600_302600_NS5tupleIblNS6_9null_typeES8_S8_S8_S8_S8_S8_S8_EEEEZNS1_11reduce_implILb1ES3_NS6_12zip_iteratorINS7_INS6_11hip_rocprim26transform_input_iterator_tIbNSD_35transform_pair_of_input_iterators_tIbNS6_6detail15normal_iteratorINS6_10device_ptrIKiEEEESL_NS6_8equal_toIiEEEENSG_9not_fun_tINSD_8identityEEEEENSD_19counting_iterator_tIlEES8_S8_S8_S8_S8_S8_S8_S8_EEEEPS9_S9_NSD_9__find_if7functorIS9_EEEE10hipError_tPvRmT1_T2_T3_mT4_P12ihipStream_tbEUlT_E0_NS1_11comp_targetILNS1_3genE4ELNS1_11target_archE910ELNS1_3gpuE8ELNS1_3repE0EEENS1_30default_config_static_selectorELNS0_4arch9wavefront6targetE1EEEvS14_.has_dyn_sized_stack, 0
	.set _ZN7rocprim17ROCPRIM_400000_NS6detail17trampoline_kernelINS0_14default_configENS1_22reduce_config_selectorIN6thrust23THRUST_200600_302600_NS5tupleIblNS6_9null_typeES8_S8_S8_S8_S8_S8_S8_EEEEZNS1_11reduce_implILb1ES3_NS6_12zip_iteratorINS7_INS6_11hip_rocprim26transform_input_iterator_tIbNSD_35transform_pair_of_input_iterators_tIbNS6_6detail15normal_iteratorINS6_10device_ptrIKiEEEESL_NS6_8equal_toIiEEEENSG_9not_fun_tINSD_8identityEEEEENSD_19counting_iterator_tIlEES8_S8_S8_S8_S8_S8_S8_S8_EEEEPS9_S9_NSD_9__find_if7functorIS9_EEEE10hipError_tPvRmT1_T2_T3_mT4_P12ihipStream_tbEUlT_E0_NS1_11comp_targetILNS1_3genE4ELNS1_11target_archE910ELNS1_3gpuE8ELNS1_3repE0EEENS1_30default_config_static_selectorELNS0_4arch9wavefront6targetE1EEEvS14_.has_recursion, 0
	.set _ZN7rocprim17ROCPRIM_400000_NS6detail17trampoline_kernelINS0_14default_configENS1_22reduce_config_selectorIN6thrust23THRUST_200600_302600_NS5tupleIblNS6_9null_typeES8_S8_S8_S8_S8_S8_S8_EEEEZNS1_11reduce_implILb1ES3_NS6_12zip_iteratorINS7_INS6_11hip_rocprim26transform_input_iterator_tIbNSD_35transform_pair_of_input_iterators_tIbNS6_6detail15normal_iteratorINS6_10device_ptrIKiEEEESL_NS6_8equal_toIiEEEENSG_9not_fun_tINSD_8identityEEEEENSD_19counting_iterator_tIlEES8_S8_S8_S8_S8_S8_S8_S8_EEEEPS9_S9_NSD_9__find_if7functorIS9_EEEE10hipError_tPvRmT1_T2_T3_mT4_P12ihipStream_tbEUlT_E0_NS1_11comp_targetILNS1_3genE4ELNS1_11target_archE910ELNS1_3gpuE8ELNS1_3repE0EEENS1_30default_config_static_selectorELNS0_4arch9wavefront6targetE1EEEvS14_.has_indirect_call, 0
	.section	.AMDGPU.csdata,"",@progbits
; Kernel info:
; codeLenInByte = 0
; TotalNumSgprs: 6
; NumVgprs: 0
; NumAgprs: 0
; TotalNumVgprs: 0
; ScratchSize: 0
; MemoryBound: 0
; FloatMode: 240
; IeeeMode: 1
; LDSByteSize: 0 bytes/workgroup (compile time only)
; SGPRBlocks: 0
; VGPRBlocks: 0
; NumSGPRsForWavesPerEU: 6
; NumVGPRsForWavesPerEU: 1
; AccumOffset: 4
; Occupancy: 8
; WaveLimiterHint : 0
; COMPUTE_PGM_RSRC2:SCRATCH_EN: 0
; COMPUTE_PGM_RSRC2:USER_SGPR: 2
; COMPUTE_PGM_RSRC2:TRAP_HANDLER: 0
; COMPUTE_PGM_RSRC2:TGID_X_EN: 1
; COMPUTE_PGM_RSRC2:TGID_Y_EN: 0
; COMPUTE_PGM_RSRC2:TGID_Z_EN: 0
; COMPUTE_PGM_RSRC2:TIDIG_COMP_CNT: 0
; COMPUTE_PGM_RSRC3_GFX90A:ACCUM_OFFSET: 0
; COMPUTE_PGM_RSRC3_GFX90A:TG_SPLIT: 0
	.section	.text._ZN7rocprim17ROCPRIM_400000_NS6detail17trampoline_kernelINS0_14default_configENS1_22reduce_config_selectorIN6thrust23THRUST_200600_302600_NS5tupleIblNS6_9null_typeES8_S8_S8_S8_S8_S8_S8_EEEEZNS1_11reduce_implILb1ES3_NS6_12zip_iteratorINS7_INS6_11hip_rocprim26transform_input_iterator_tIbNSD_35transform_pair_of_input_iterators_tIbNS6_6detail15normal_iteratorINS6_10device_ptrIKiEEEESL_NS6_8equal_toIiEEEENSG_9not_fun_tINSD_8identityEEEEENSD_19counting_iterator_tIlEES8_S8_S8_S8_S8_S8_S8_S8_EEEEPS9_S9_NSD_9__find_if7functorIS9_EEEE10hipError_tPvRmT1_T2_T3_mT4_P12ihipStream_tbEUlT_E0_NS1_11comp_targetILNS1_3genE3ELNS1_11target_archE908ELNS1_3gpuE7ELNS1_3repE0EEENS1_30default_config_static_selectorELNS0_4arch9wavefront6targetE1EEEvS14_,"axG",@progbits,_ZN7rocprim17ROCPRIM_400000_NS6detail17trampoline_kernelINS0_14default_configENS1_22reduce_config_selectorIN6thrust23THRUST_200600_302600_NS5tupleIblNS6_9null_typeES8_S8_S8_S8_S8_S8_S8_EEEEZNS1_11reduce_implILb1ES3_NS6_12zip_iteratorINS7_INS6_11hip_rocprim26transform_input_iterator_tIbNSD_35transform_pair_of_input_iterators_tIbNS6_6detail15normal_iteratorINS6_10device_ptrIKiEEEESL_NS6_8equal_toIiEEEENSG_9not_fun_tINSD_8identityEEEEENSD_19counting_iterator_tIlEES8_S8_S8_S8_S8_S8_S8_S8_EEEEPS9_S9_NSD_9__find_if7functorIS9_EEEE10hipError_tPvRmT1_T2_T3_mT4_P12ihipStream_tbEUlT_E0_NS1_11comp_targetILNS1_3genE3ELNS1_11target_archE908ELNS1_3gpuE7ELNS1_3repE0EEENS1_30default_config_static_selectorELNS0_4arch9wavefront6targetE1EEEvS14_,comdat
	.protected	_ZN7rocprim17ROCPRIM_400000_NS6detail17trampoline_kernelINS0_14default_configENS1_22reduce_config_selectorIN6thrust23THRUST_200600_302600_NS5tupleIblNS6_9null_typeES8_S8_S8_S8_S8_S8_S8_EEEEZNS1_11reduce_implILb1ES3_NS6_12zip_iteratorINS7_INS6_11hip_rocprim26transform_input_iterator_tIbNSD_35transform_pair_of_input_iterators_tIbNS6_6detail15normal_iteratorINS6_10device_ptrIKiEEEESL_NS6_8equal_toIiEEEENSG_9not_fun_tINSD_8identityEEEEENSD_19counting_iterator_tIlEES8_S8_S8_S8_S8_S8_S8_S8_EEEEPS9_S9_NSD_9__find_if7functorIS9_EEEE10hipError_tPvRmT1_T2_T3_mT4_P12ihipStream_tbEUlT_E0_NS1_11comp_targetILNS1_3genE3ELNS1_11target_archE908ELNS1_3gpuE7ELNS1_3repE0EEENS1_30default_config_static_selectorELNS0_4arch9wavefront6targetE1EEEvS14_ ; -- Begin function _ZN7rocprim17ROCPRIM_400000_NS6detail17trampoline_kernelINS0_14default_configENS1_22reduce_config_selectorIN6thrust23THRUST_200600_302600_NS5tupleIblNS6_9null_typeES8_S8_S8_S8_S8_S8_S8_EEEEZNS1_11reduce_implILb1ES3_NS6_12zip_iteratorINS7_INS6_11hip_rocprim26transform_input_iterator_tIbNSD_35transform_pair_of_input_iterators_tIbNS6_6detail15normal_iteratorINS6_10device_ptrIKiEEEESL_NS6_8equal_toIiEEEENSG_9not_fun_tINSD_8identityEEEEENSD_19counting_iterator_tIlEES8_S8_S8_S8_S8_S8_S8_S8_EEEEPS9_S9_NSD_9__find_if7functorIS9_EEEE10hipError_tPvRmT1_T2_T3_mT4_P12ihipStream_tbEUlT_E0_NS1_11comp_targetILNS1_3genE3ELNS1_11target_archE908ELNS1_3gpuE7ELNS1_3repE0EEENS1_30default_config_static_selectorELNS0_4arch9wavefront6targetE1EEEvS14_
	.globl	_ZN7rocprim17ROCPRIM_400000_NS6detail17trampoline_kernelINS0_14default_configENS1_22reduce_config_selectorIN6thrust23THRUST_200600_302600_NS5tupleIblNS6_9null_typeES8_S8_S8_S8_S8_S8_S8_EEEEZNS1_11reduce_implILb1ES3_NS6_12zip_iteratorINS7_INS6_11hip_rocprim26transform_input_iterator_tIbNSD_35transform_pair_of_input_iterators_tIbNS6_6detail15normal_iteratorINS6_10device_ptrIKiEEEESL_NS6_8equal_toIiEEEENSG_9not_fun_tINSD_8identityEEEEENSD_19counting_iterator_tIlEES8_S8_S8_S8_S8_S8_S8_S8_EEEEPS9_S9_NSD_9__find_if7functorIS9_EEEE10hipError_tPvRmT1_T2_T3_mT4_P12ihipStream_tbEUlT_E0_NS1_11comp_targetILNS1_3genE3ELNS1_11target_archE908ELNS1_3gpuE7ELNS1_3repE0EEENS1_30default_config_static_selectorELNS0_4arch9wavefront6targetE1EEEvS14_
	.p2align	8
	.type	_ZN7rocprim17ROCPRIM_400000_NS6detail17trampoline_kernelINS0_14default_configENS1_22reduce_config_selectorIN6thrust23THRUST_200600_302600_NS5tupleIblNS6_9null_typeES8_S8_S8_S8_S8_S8_S8_EEEEZNS1_11reduce_implILb1ES3_NS6_12zip_iteratorINS7_INS6_11hip_rocprim26transform_input_iterator_tIbNSD_35transform_pair_of_input_iterators_tIbNS6_6detail15normal_iteratorINS6_10device_ptrIKiEEEESL_NS6_8equal_toIiEEEENSG_9not_fun_tINSD_8identityEEEEENSD_19counting_iterator_tIlEES8_S8_S8_S8_S8_S8_S8_S8_EEEEPS9_S9_NSD_9__find_if7functorIS9_EEEE10hipError_tPvRmT1_T2_T3_mT4_P12ihipStream_tbEUlT_E0_NS1_11comp_targetILNS1_3genE3ELNS1_11target_archE908ELNS1_3gpuE7ELNS1_3repE0EEENS1_30default_config_static_selectorELNS0_4arch9wavefront6targetE1EEEvS14_,@function
_ZN7rocprim17ROCPRIM_400000_NS6detail17trampoline_kernelINS0_14default_configENS1_22reduce_config_selectorIN6thrust23THRUST_200600_302600_NS5tupleIblNS6_9null_typeES8_S8_S8_S8_S8_S8_S8_EEEEZNS1_11reduce_implILb1ES3_NS6_12zip_iteratorINS7_INS6_11hip_rocprim26transform_input_iterator_tIbNSD_35transform_pair_of_input_iterators_tIbNS6_6detail15normal_iteratorINS6_10device_ptrIKiEEEESL_NS6_8equal_toIiEEEENSG_9not_fun_tINSD_8identityEEEEENSD_19counting_iterator_tIlEES8_S8_S8_S8_S8_S8_S8_S8_EEEEPS9_S9_NSD_9__find_if7functorIS9_EEEE10hipError_tPvRmT1_T2_T3_mT4_P12ihipStream_tbEUlT_E0_NS1_11comp_targetILNS1_3genE3ELNS1_11target_archE908ELNS1_3gpuE7ELNS1_3repE0EEENS1_30default_config_static_selectorELNS0_4arch9wavefront6targetE1EEEvS14_: ; @_ZN7rocprim17ROCPRIM_400000_NS6detail17trampoline_kernelINS0_14default_configENS1_22reduce_config_selectorIN6thrust23THRUST_200600_302600_NS5tupleIblNS6_9null_typeES8_S8_S8_S8_S8_S8_S8_EEEEZNS1_11reduce_implILb1ES3_NS6_12zip_iteratorINS7_INS6_11hip_rocprim26transform_input_iterator_tIbNSD_35transform_pair_of_input_iterators_tIbNS6_6detail15normal_iteratorINS6_10device_ptrIKiEEEESL_NS6_8equal_toIiEEEENSG_9not_fun_tINSD_8identityEEEEENSD_19counting_iterator_tIlEES8_S8_S8_S8_S8_S8_S8_S8_EEEEPS9_S9_NSD_9__find_if7functorIS9_EEEE10hipError_tPvRmT1_T2_T3_mT4_P12ihipStream_tbEUlT_E0_NS1_11comp_targetILNS1_3genE3ELNS1_11target_archE908ELNS1_3gpuE7ELNS1_3repE0EEENS1_30default_config_static_selectorELNS0_4arch9wavefront6targetE1EEEvS14_
; %bb.0:
	.section	.rodata,"a",@progbits
	.p2align	6, 0x0
	.amdhsa_kernel _ZN7rocprim17ROCPRIM_400000_NS6detail17trampoline_kernelINS0_14default_configENS1_22reduce_config_selectorIN6thrust23THRUST_200600_302600_NS5tupleIblNS6_9null_typeES8_S8_S8_S8_S8_S8_S8_EEEEZNS1_11reduce_implILb1ES3_NS6_12zip_iteratorINS7_INS6_11hip_rocprim26transform_input_iterator_tIbNSD_35transform_pair_of_input_iterators_tIbNS6_6detail15normal_iteratorINS6_10device_ptrIKiEEEESL_NS6_8equal_toIiEEEENSG_9not_fun_tINSD_8identityEEEEENSD_19counting_iterator_tIlEES8_S8_S8_S8_S8_S8_S8_S8_EEEEPS9_S9_NSD_9__find_if7functorIS9_EEEE10hipError_tPvRmT1_T2_T3_mT4_P12ihipStream_tbEUlT_E0_NS1_11comp_targetILNS1_3genE3ELNS1_11target_archE908ELNS1_3gpuE7ELNS1_3repE0EEENS1_30default_config_static_selectorELNS0_4arch9wavefront6targetE1EEEvS14_
		.amdhsa_group_segment_fixed_size 0
		.amdhsa_private_segment_fixed_size 0
		.amdhsa_kernarg_size 104
		.amdhsa_user_sgpr_count 2
		.amdhsa_user_sgpr_dispatch_ptr 0
		.amdhsa_user_sgpr_queue_ptr 0
		.amdhsa_user_sgpr_kernarg_segment_ptr 1
		.amdhsa_user_sgpr_dispatch_id 0
		.amdhsa_user_sgpr_kernarg_preload_length 0
		.amdhsa_user_sgpr_kernarg_preload_offset 0
		.amdhsa_user_sgpr_private_segment_size 0
		.amdhsa_uses_dynamic_stack 0
		.amdhsa_enable_private_segment 0
		.amdhsa_system_sgpr_workgroup_id_x 1
		.amdhsa_system_sgpr_workgroup_id_y 0
		.amdhsa_system_sgpr_workgroup_id_z 0
		.amdhsa_system_sgpr_workgroup_info 0
		.amdhsa_system_vgpr_workitem_id 0
		.amdhsa_next_free_vgpr 1
		.amdhsa_next_free_sgpr 0
		.amdhsa_accum_offset 4
		.amdhsa_reserve_vcc 0
		.amdhsa_float_round_mode_32 0
		.amdhsa_float_round_mode_16_64 0
		.amdhsa_float_denorm_mode_32 3
		.amdhsa_float_denorm_mode_16_64 3
		.amdhsa_dx10_clamp 1
		.amdhsa_ieee_mode 1
		.amdhsa_fp16_overflow 0
		.amdhsa_tg_split 0
		.amdhsa_exception_fp_ieee_invalid_op 0
		.amdhsa_exception_fp_denorm_src 0
		.amdhsa_exception_fp_ieee_div_zero 0
		.amdhsa_exception_fp_ieee_overflow 0
		.amdhsa_exception_fp_ieee_underflow 0
		.amdhsa_exception_fp_ieee_inexact 0
		.amdhsa_exception_int_div_zero 0
	.end_amdhsa_kernel
	.section	.text._ZN7rocprim17ROCPRIM_400000_NS6detail17trampoline_kernelINS0_14default_configENS1_22reduce_config_selectorIN6thrust23THRUST_200600_302600_NS5tupleIblNS6_9null_typeES8_S8_S8_S8_S8_S8_S8_EEEEZNS1_11reduce_implILb1ES3_NS6_12zip_iteratorINS7_INS6_11hip_rocprim26transform_input_iterator_tIbNSD_35transform_pair_of_input_iterators_tIbNS6_6detail15normal_iteratorINS6_10device_ptrIKiEEEESL_NS6_8equal_toIiEEEENSG_9not_fun_tINSD_8identityEEEEENSD_19counting_iterator_tIlEES8_S8_S8_S8_S8_S8_S8_S8_EEEEPS9_S9_NSD_9__find_if7functorIS9_EEEE10hipError_tPvRmT1_T2_T3_mT4_P12ihipStream_tbEUlT_E0_NS1_11comp_targetILNS1_3genE3ELNS1_11target_archE908ELNS1_3gpuE7ELNS1_3repE0EEENS1_30default_config_static_selectorELNS0_4arch9wavefront6targetE1EEEvS14_,"axG",@progbits,_ZN7rocprim17ROCPRIM_400000_NS6detail17trampoline_kernelINS0_14default_configENS1_22reduce_config_selectorIN6thrust23THRUST_200600_302600_NS5tupleIblNS6_9null_typeES8_S8_S8_S8_S8_S8_S8_EEEEZNS1_11reduce_implILb1ES3_NS6_12zip_iteratorINS7_INS6_11hip_rocprim26transform_input_iterator_tIbNSD_35transform_pair_of_input_iterators_tIbNS6_6detail15normal_iteratorINS6_10device_ptrIKiEEEESL_NS6_8equal_toIiEEEENSG_9not_fun_tINSD_8identityEEEEENSD_19counting_iterator_tIlEES8_S8_S8_S8_S8_S8_S8_S8_EEEEPS9_S9_NSD_9__find_if7functorIS9_EEEE10hipError_tPvRmT1_T2_T3_mT4_P12ihipStream_tbEUlT_E0_NS1_11comp_targetILNS1_3genE3ELNS1_11target_archE908ELNS1_3gpuE7ELNS1_3repE0EEENS1_30default_config_static_selectorELNS0_4arch9wavefront6targetE1EEEvS14_,comdat
.Lfunc_end1476:
	.size	_ZN7rocprim17ROCPRIM_400000_NS6detail17trampoline_kernelINS0_14default_configENS1_22reduce_config_selectorIN6thrust23THRUST_200600_302600_NS5tupleIblNS6_9null_typeES8_S8_S8_S8_S8_S8_S8_EEEEZNS1_11reduce_implILb1ES3_NS6_12zip_iteratorINS7_INS6_11hip_rocprim26transform_input_iterator_tIbNSD_35transform_pair_of_input_iterators_tIbNS6_6detail15normal_iteratorINS6_10device_ptrIKiEEEESL_NS6_8equal_toIiEEEENSG_9not_fun_tINSD_8identityEEEEENSD_19counting_iterator_tIlEES8_S8_S8_S8_S8_S8_S8_S8_EEEEPS9_S9_NSD_9__find_if7functorIS9_EEEE10hipError_tPvRmT1_T2_T3_mT4_P12ihipStream_tbEUlT_E0_NS1_11comp_targetILNS1_3genE3ELNS1_11target_archE908ELNS1_3gpuE7ELNS1_3repE0EEENS1_30default_config_static_selectorELNS0_4arch9wavefront6targetE1EEEvS14_, .Lfunc_end1476-_ZN7rocprim17ROCPRIM_400000_NS6detail17trampoline_kernelINS0_14default_configENS1_22reduce_config_selectorIN6thrust23THRUST_200600_302600_NS5tupleIblNS6_9null_typeES8_S8_S8_S8_S8_S8_S8_EEEEZNS1_11reduce_implILb1ES3_NS6_12zip_iteratorINS7_INS6_11hip_rocprim26transform_input_iterator_tIbNSD_35transform_pair_of_input_iterators_tIbNS6_6detail15normal_iteratorINS6_10device_ptrIKiEEEESL_NS6_8equal_toIiEEEENSG_9not_fun_tINSD_8identityEEEEENSD_19counting_iterator_tIlEES8_S8_S8_S8_S8_S8_S8_S8_EEEEPS9_S9_NSD_9__find_if7functorIS9_EEEE10hipError_tPvRmT1_T2_T3_mT4_P12ihipStream_tbEUlT_E0_NS1_11comp_targetILNS1_3genE3ELNS1_11target_archE908ELNS1_3gpuE7ELNS1_3repE0EEENS1_30default_config_static_selectorELNS0_4arch9wavefront6targetE1EEEvS14_
                                        ; -- End function
	.set _ZN7rocprim17ROCPRIM_400000_NS6detail17trampoline_kernelINS0_14default_configENS1_22reduce_config_selectorIN6thrust23THRUST_200600_302600_NS5tupleIblNS6_9null_typeES8_S8_S8_S8_S8_S8_S8_EEEEZNS1_11reduce_implILb1ES3_NS6_12zip_iteratorINS7_INS6_11hip_rocprim26transform_input_iterator_tIbNSD_35transform_pair_of_input_iterators_tIbNS6_6detail15normal_iteratorINS6_10device_ptrIKiEEEESL_NS6_8equal_toIiEEEENSG_9not_fun_tINSD_8identityEEEEENSD_19counting_iterator_tIlEES8_S8_S8_S8_S8_S8_S8_S8_EEEEPS9_S9_NSD_9__find_if7functorIS9_EEEE10hipError_tPvRmT1_T2_T3_mT4_P12ihipStream_tbEUlT_E0_NS1_11comp_targetILNS1_3genE3ELNS1_11target_archE908ELNS1_3gpuE7ELNS1_3repE0EEENS1_30default_config_static_selectorELNS0_4arch9wavefront6targetE1EEEvS14_.num_vgpr, 0
	.set _ZN7rocprim17ROCPRIM_400000_NS6detail17trampoline_kernelINS0_14default_configENS1_22reduce_config_selectorIN6thrust23THRUST_200600_302600_NS5tupleIblNS6_9null_typeES8_S8_S8_S8_S8_S8_S8_EEEEZNS1_11reduce_implILb1ES3_NS6_12zip_iteratorINS7_INS6_11hip_rocprim26transform_input_iterator_tIbNSD_35transform_pair_of_input_iterators_tIbNS6_6detail15normal_iteratorINS6_10device_ptrIKiEEEESL_NS6_8equal_toIiEEEENSG_9not_fun_tINSD_8identityEEEEENSD_19counting_iterator_tIlEES8_S8_S8_S8_S8_S8_S8_S8_EEEEPS9_S9_NSD_9__find_if7functorIS9_EEEE10hipError_tPvRmT1_T2_T3_mT4_P12ihipStream_tbEUlT_E0_NS1_11comp_targetILNS1_3genE3ELNS1_11target_archE908ELNS1_3gpuE7ELNS1_3repE0EEENS1_30default_config_static_selectorELNS0_4arch9wavefront6targetE1EEEvS14_.num_agpr, 0
	.set _ZN7rocprim17ROCPRIM_400000_NS6detail17trampoline_kernelINS0_14default_configENS1_22reduce_config_selectorIN6thrust23THRUST_200600_302600_NS5tupleIblNS6_9null_typeES8_S8_S8_S8_S8_S8_S8_EEEEZNS1_11reduce_implILb1ES3_NS6_12zip_iteratorINS7_INS6_11hip_rocprim26transform_input_iterator_tIbNSD_35transform_pair_of_input_iterators_tIbNS6_6detail15normal_iteratorINS6_10device_ptrIKiEEEESL_NS6_8equal_toIiEEEENSG_9not_fun_tINSD_8identityEEEEENSD_19counting_iterator_tIlEES8_S8_S8_S8_S8_S8_S8_S8_EEEEPS9_S9_NSD_9__find_if7functorIS9_EEEE10hipError_tPvRmT1_T2_T3_mT4_P12ihipStream_tbEUlT_E0_NS1_11comp_targetILNS1_3genE3ELNS1_11target_archE908ELNS1_3gpuE7ELNS1_3repE0EEENS1_30default_config_static_selectorELNS0_4arch9wavefront6targetE1EEEvS14_.numbered_sgpr, 0
	.set _ZN7rocprim17ROCPRIM_400000_NS6detail17trampoline_kernelINS0_14default_configENS1_22reduce_config_selectorIN6thrust23THRUST_200600_302600_NS5tupleIblNS6_9null_typeES8_S8_S8_S8_S8_S8_S8_EEEEZNS1_11reduce_implILb1ES3_NS6_12zip_iteratorINS7_INS6_11hip_rocprim26transform_input_iterator_tIbNSD_35transform_pair_of_input_iterators_tIbNS6_6detail15normal_iteratorINS6_10device_ptrIKiEEEESL_NS6_8equal_toIiEEEENSG_9not_fun_tINSD_8identityEEEEENSD_19counting_iterator_tIlEES8_S8_S8_S8_S8_S8_S8_S8_EEEEPS9_S9_NSD_9__find_if7functorIS9_EEEE10hipError_tPvRmT1_T2_T3_mT4_P12ihipStream_tbEUlT_E0_NS1_11comp_targetILNS1_3genE3ELNS1_11target_archE908ELNS1_3gpuE7ELNS1_3repE0EEENS1_30default_config_static_selectorELNS0_4arch9wavefront6targetE1EEEvS14_.num_named_barrier, 0
	.set _ZN7rocprim17ROCPRIM_400000_NS6detail17trampoline_kernelINS0_14default_configENS1_22reduce_config_selectorIN6thrust23THRUST_200600_302600_NS5tupleIblNS6_9null_typeES8_S8_S8_S8_S8_S8_S8_EEEEZNS1_11reduce_implILb1ES3_NS6_12zip_iteratorINS7_INS6_11hip_rocprim26transform_input_iterator_tIbNSD_35transform_pair_of_input_iterators_tIbNS6_6detail15normal_iteratorINS6_10device_ptrIKiEEEESL_NS6_8equal_toIiEEEENSG_9not_fun_tINSD_8identityEEEEENSD_19counting_iterator_tIlEES8_S8_S8_S8_S8_S8_S8_S8_EEEEPS9_S9_NSD_9__find_if7functorIS9_EEEE10hipError_tPvRmT1_T2_T3_mT4_P12ihipStream_tbEUlT_E0_NS1_11comp_targetILNS1_3genE3ELNS1_11target_archE908ELNS1_3gpuE7ELNS1_3repE0EEENS1_30default_config_static_selectorELNS0_4arch9wavefront6targetE1EEEvS14_.private_seg_size, 0
	.set _ZN7rocprim17ROCPRIM_400000_NS6detail17trampoline_kernelINS0_14default_configENS1_22reduce_config_selectorIN6thrust23THRUST_200600_302600_NS5tupleIblNS6_9null_typeES8_S8_S8_S8_S8_S8_S8_EEEEZNS1_11reduce_implILb1ES3_NS6_12zip_iteratorINS7_INS6_11hip_rocprim26transform_input_iterator_tIbNSD_35transform_pair_of_input_iterators_tIbNS6_6detail15normal_iteratorINS6_10device_ptrIKiEEEESL_NS6_8equal_toIiEEEENSG_9not_fun_tINSD_8identityEEEEENSD_19counting_iterator_tIlEES8_S8_S8_S8_S8_S8_S8_S8_EEEEPS9_S9_NSD_9__find_if7functorIS9_EEEE10hipError_tPvRmT1_T2_T3_mT4_P12ihipStream_tbEUlT_E0_NS1_11comp_targetILNS1_3genE3ELNS1_11target_archE908ELNS1_3gpuE7ELNS1_3repE0EEENS1_30default_config_static_selectorELNS0_4arch9wavefront6targetE1EEEvS14_.uses_vcc, 0
	.set _ZN7rocprim17ROCPRIM_400000_NS6detail17trampoline_kernelINS0_14default_configENS1_22reduce_config_selectorIN6thrust23THRUST_200600_302600_NS5tupleIblNS6_9null_typeES8_S8_S8_S8_S8_S8_S8_EEEEZNS1_11reduce_implILb1ES3_NS6_12zip_iteratorINS7_INS6_11hip_rocprim26transform_input_iterator_tIbNSD_35transform_pair_of_input_iterators_tIbNS6_6detail15normal_iteratorINS6_10device_ptrIKiEEEESL_NS6_8equal_toIiEEEENSG_9not_fun_tINSD_8identityEEEEENSD_19counting_iterator_tIlEES8_S8_S8_S8_S8_S8_S8_S8_EEEEPS9_S9_NSD_9__find_if7functorIS9_EEEE10hipError_tPvRmT1_T2_T3_mT4_P12ihipStream_tbEUlT_E0_NS1_11comp_targetILNS1_3genE3ELNS1_11target_archE908ELNS1_3gpuE7ELNS1_3repE0EEENS1_30default_config_static_selectorELNS0_4arch9wavefront6targetE1EEEvS14_.uses_flat_scratch, 0
	.set _ZN7rocprim17ROCPRIM_400000_NS6detail17trampoline_kernelINS0_14default_configENS1_22reduce_config_selectorIN6thrust23THRUST_200600_302600_NS5tupleIblNS6_9null_typeES8_S8_S8_S8_S8_S8_S8_EEEEZNS1_11reduce_implILb1ES3_NS6_12zip_iteratorINS7_INS6_11hip_rocprim26transform_input_iterator_tIbNSD_35transform_pair_of_input_iterators_tIbNS6_6detail15normal_iteratorINS6_10device_ptrIKiEEEESL_NS6_8equal_toIiEEEENSG_9not_fun_tINSD_8identityEEEEENSD_19counting_iterator_tIlEES8_S8_S8_S8_S8_S8_S8_S8_EEEEPS9_S9_NSD_9__find_if7functorIS9_EEEE10hipError_tPvRmT1_T2_T3_mT4_P12ihipStream_tbEUlT_E0_NS1_11comp_targetILNS1_3genE3ELNS1_11target_archE908ELNS1_3gpuE7ELNS1_3repE0EEENS1_30default_config_static_selectorELNS0_4arch9wavefront6targetE1EEEvS14_.has_dyn_sized_stack, 0
	.set _ZN7rocprim17ROCPRIM_400000_NS6detail17trampoline_kernelINS0_14default_configENS1_22reduce_config_selectorIN6thrust23THRUST_200600_302600_NS5tupleIblNS6_9null_typeES8_S8_S8_S8_S8_S8_S8_EEEEZNS1_11reduce_implILb1ES3_NS6_12zip_iteratorINS7_INS6_11hip_rocprim26transform_input_iterator_tIbNSD_35transform_pair_of_input_iterators_tIbNS6_6detail15normal_iteratorINS6_10device_ptrIKiEEEESL_NS6_8equal_toIiEEEENSG_9not_fun_tINSD_8identityEEEEENSD_19counting_iterator_tIlEES8_S8_S8_S8_S8_S8_S8_S8_EEEEPS9_S9_NSD_9__find_if7functorIS9_EEEE10hipError_tPvRmT1_T2_T3_mT4_P12ihipStream_tbEUlT_E0_NS1_11comp_targetILNS1_3genE3ELNS1_11target_archE908ELNS1_3gpuE7ELNS1_3repE0EEENS1_30default_config_static_selectorELNS0_4arch9wavefront6targetE1EEEvS14_.has_recursion, 0
	.set _ZN7rocprim17ROCPRIM_400000_NS6detail17trampoline_kernelINS0_14default_configENS1_22reduce_config_selectorIN6thrust23THRUST_200600_302600_NS5tupleIblNS6_9null_typeES8_S8_S8_S8_S8_S8_S8_EEEEZNS1_11reduce_implILb1ES3_NS6_12zip_iteratorINS7_INS6_11hip_rocprim26transform_input_iterator_tIbNSD_35transform_pair_of_input_iterators_tIbNS6_6detail15normal_iteratorINS6_10device_ptrIKiEEEESL_NS6_8equal_toIiEEEENSG_9not_fun_tINSD_8identityEEEEENSD_19counting_iterator_tIlEES8_S8_S8_S8_S8_S8_S8_S8_EEEEPS9_S9_NSD_9__find_if7functorIS9_EEEE10hipError_tPvRmT1_T2_T3_mT4_P12ihipStream_tbEUlT_E0_NS1_11comp_targetILNS1_3genE3ELNS1_11target_archE908ELNS1_3gpuE7ELNS1_3repE0EEENS1_30default_config_static_selectorELNS0_4arch9wavefront6targetE1EEEvS14_.has_indirect_call, 0
	.section	.AMDGPU.csdata,"",@progbits
; Kernel info:
; codeLenInByte = 0
; TotalNumSgprs: 6
; NumVgprs: 0
; NumAgprs: 0
; TotalNumVgprs: 0
; ScratchSize: 0
; MemoryBound: 0
; FloatMode: 240
; IeeeMode: 1
; LDSByteSize: 0 bytes/workgroup (compile time only)
; SGPRBlocks: 0
; VGPRBlocks: 0
; NumSGPRsForWavesPerEU: 6
; NumVGPRsForWavesPerEU: 1
; AccumOffset: 4
; Occupancy: 8
; WaveLimiterHint : 0
; COMPUTE_PGM_RSRC2:SCRATCH_EN: 0
; COMPUTE_PGM_RSRC2:USER_SGPR: 2
; COMPUTE_PGM_RSRC2:TRAP_HANDLER: 0
; COMPUTE_PGM_RSRC2:TGID_X_EN: 1
; COMPUTE_PGM_RSRC2:TGID_Y_EN: 0
; COMPUTE_PGM_RSRC2:TGID_Z_EN: 0
; COMPUTE_PGM_RSRC2:TIDIG_COMP_CNT: 0
; COMPUTE_PGM_RSRC3_GFX90A:ACCUM_OFFSET: 0
; COMPUTE_PGM_RSRC3_GFX90A:TG_SPLIT: 0
	.section	.text._ZN7rocprim17ROCPRIM_400000_NS6detail17trampoline_kernelINS0_14default_configENS1_22reduce_config_selectorIN6thrust23THRUST_200600_302600_NS5tupleIblNS6_9null_typeES8_S8_S8_S8_S8_S8_S8_EEEEZNS1_11reduce_implILb1ES3_NS6_12zip_iteratorINS7_INS6_11hip_rocprim26transform_input_iterator_tIbNSD_35transform_pair_of_input_iterators_tIbNS6_6detail15normal_iteratorINS6_10device_ptrIKiEEEESL_NS6_8equal_toIiEEEENSG_9not_fun_tINSD_8identityEEEEENSD_19counting_iterator_tIlEES8_S8_S8_S8_S8_S8_S8_S8_EEEEPS9_S9_NSD_9__find_if7functorIS9_EEEE10hipError_tPvRmT1_T2_T3_mT4_P12ihipStream_tbEUlT_E0_NS1_11comp_targetILNS1_3genE2ELNS1_11target_archE906ELNS1_3gpuE6ELNS1_3repE0EEENS1_30default_config_static_selectorELNS0_4arch9wavefront6targetE1EEEvS14_,"axG",@progbits,_ZN7rocprim17ROCPRIM_400000_NS6detail17trampoline_kernelINS0_14default_configENS1_22reduce_config_selectorIN6thrust23THRUST_200600_302600_NS5tupleIblNS6_9null_typeES8_S8_S8_S8_S8_S8_S8_EEEEZNS1_11reduce_implILb1ES3_NS6_12zip_iteratorINS7_INS6_11hip_rocprim26transform_input_iterator_tIbNSD_35transform_pair_of_input_iterators_tIbNS6_6detail15normal_iteratorINS6_10device_ptrIKiEEEESL_NS6_8equal_toIiEEEENSG_9not_fun_tINSD_8identityEEEEENSD_19counting_iterator_tIlEES8_S8_S8_S8_S8_S8_S8_S8_EEEEPS9_S9_NSD_9__find_if7functorIS9_EEEE10hipError_tPvRmT1_T2_T3_mT4_P12ihipStream_tbEUlT_E0_NS1_11comp_targetILNS1_3genE2ELNS1_11target_archE906ELNS1_3gpuE6ELNS1_3repE0EEENS1_30default_config_static_selectorELNS0_4arch9wavefront6targetE1EEEvS14_,comdat
	.protected	_ZN7rocprim17ROCPRIM_400000_NS6detail17trampoline_kernelINS0_14default_configENS1_22reduce_config_selectorIN6thrust23THRUST_200600_302600_NS5tupleIblNS6_9null_typeES8_S8_S8_S8_S8_S8_S8_EEEEZNS1_11reduce_implILb1ES3_NS6_12zip_iteratorINS7_INS6_11hip_rocprim26transform_input_iterator_tIbNSD_35transform_pair_of_input_iterators_tIbNS6_6detail15normal_iteratorINS6_10device_ptrIKiEEEESL_NS6_8equal_toIiEEEENSG_9not_fun_tINSD_8identityEEEEENSD_19counting_iterator_tIlEES8_S8_S8_S8_S8_S8_S8_S8_EEEEPS9_S9_NSD_9__find_if7functorIS9_EEEE10hipError_tPvRmT1_T2_T3_mT4_P12ihipStream_tbEUlT_E0_NS1_11comp_targetILNS1_3genE2ELNS1_11target_archE906ELNS1_3gpuE6ELNS1_3repE0EEENS1_30default_config_static_selectorELNS0_4arch9wavefront6targetE1EEEvS14_ ; -- Begin function _ZN7rocprim17ROCPRIM_400000_NS6detail17trampoline_kernelINS0_14default_configENS1_22reduce_config_selectorIN6thrust23THRUST_200600_302600_NS5tupleIblNS6_9null_typeES8_S8_S8_S8_S8_S8_S8_EEEEZNS1_11reduce_implILb1ES3_NS6_12zip_iteratorINS7_INS6_11hip_rocprim26transform_input_iterator_tIbNSD_35transform_pair_of_input_iterators_tIbNS6_6detail15normal_iteratorINS6_10device_ptrIKiEEEESL_NS6_8equal_toIiEEEENSG_9not_fun_tINSD_8identityEEEEENSD_19counting_iterator_tIlEES8_S8_S8_S8_S8_S8_S8_S8_EEEEPS9_S9_NSD_9__find_if7functorIS9_EEEE10hipError_tPvRmT1_T2_T3_mT4_P12ihipStream_tbEUlT_E0_NS1_11comp_targetILNS1_3genE2ELNS1_11target_archE906ELNS1_3gpuE6ELNS1_3repE0EEENS1_30default_config_static_selectorELNS0_4arch9wavefront6targetE1EEEvS14_
	.globl	_ZN7rocprim17ROCPRIM_400000_NS6detail17trampoline_kernelINS0_14default_configENS1_22reduce_config_selectorIN6thrust23THRUST_200600_302600_NS5tupleIblNS6_9null_typeES8_S8_S8_S8_S8_S8_S8_EEEEZNS1_11reduce_implILb1ES3_NS6_12zip_iteratorINS7_INS6_11hip_rocprim26transform_input_iterator_tIbNSD_35transform_pair_of_input_iterators_tIbNS6_6detail15normal_iteratorINS6_10device_ptrIKiEEEESL_NS6_8equal_toIiEEEENSG_9not_fun_tINSD_8identityEEEEENSD_19counting_iterator_tIlEES8_S8_S8_S8_S8_S8_S8_S8_EEEEPS9_S9_NSD_9__find_if7functorIS9_EEEE10hipError_tPvRmT1_T2_T3_mT4_P12ihipStream_tbEUlT_E0_NS1_11comp_targetILNS1_3genE2ELNS1_11target_archE906ELNS1_3gpuE6ELNS1_3repE0EEENS1_30default_config_static_selectorELNS0_4arch9wavefront6targetE1EEEvS14_
	.p2align	8
	.type	_ZN7rocprim17ROCPRIM_400000_NS6detail17trampoline_kernelINS0_14default_configENS1_22reduce_config_selectorIN6thrust23THRUST_200600_302600_NS5tupleIblNS6_9null_typeES8_S8_S8_S8_S8_S8_S8_EEEEZNS1_11reduce_implILb1ES3_NS6_12zip_iteratorINS7_INS6_11hip_rocprim26transform_input_iterator_tIbNSD_35transform_pair_of_input_iterators_tIbNS6_6detail15normal_iteratorINS6_10device_ptrIKiEEEESL_NS6_8equal_toIiEEEENSG_9not_fun_tINSD_8identityEEEEENSD_19counting_iterator_tIlEES8_S8_S8_S8_S8_S8_S8_S8_EEEEPS9_S9_NSD_9__find_if7functorIS9_EEEE10hipError_tPvRmT1_T2_T3_mT4_P12ihipStream_tbEUlT_E0_NS1_11comp_targetILNS1_3genE2ELNS1_11target_archE906ELNS1_3gpuE6ELNS1_3repE0EEENS1_30default_config_static_selectorELNS0_4arch9wavefront6targetE1EEEvS14_,@function
_ZN7rocprim17ROCPRIM_400000_NS6detail17trampoline_kernelINS0_14default_configENS1_22reduce_config_selectorIN6thrust23THRUST_200600_302600_NS5tupleIblNS6_9null_typeES8_S8_S8_S8_S8_S8_S8_EEEEZNS1_11reduce_implILb1ES3_NS6_12zip_iteratorINS7_INS6_11hip_rocprim26transform_input_iterator_tIbNSD_35transform_pair_of_input_iterators_tIbNS6_6detail15normal_iteratorINS6_10device_ptrIKiEEEESL_NS6_8equal_toIiEEEENSG_9not_fun_tINSD_8identityEEEEENSD_19counting_iterator_tIlEES8_S8_S8_S8_S8_S8_S8_S8_EEEEPS9_S9_NSD_9__find_if7functorIS9_EEEE10hipError_tPvRmT1_T2_T3_mT4_P12ihipStream_tbEUlT_E0_NS1_11comp_targetILNS1_3genE2ELNS1_11target_archE906ELNS1_3gpuE6ELNS1_3repE0EEENS1_30default_config_static_selectorELNS0_4arch9wavefront6targetE1EEEvS14_: ; @_ZN7rocprim17ROCPRIM_400000_NS6detail17trampoline_kernelINS0_14default_configENS1_22reduce_config_selectorIN6thrust23THRUST_200600_302600_NS5tupleIblNS6_9null_typeES8_S8_S8_S8_S8_S8_S8_EEEEZNS1_11reduce_implILb1ES3_NS6_12zip_iteratorINS7_INS6_11hip_rocprim26transform_input_iterator_tIbNSD_35transform_pair_of_input_iterators_tIbNS6_6detail15normal_iteratorINS6_10device_ptrIKiEEEESL_NS6_8equal_toIiEEEENSG_9not_fun_tINSD_8identityEEEEENSD_19counting_iterator_tIlEES8_S8_S8_S8_S8_S8_S8_S8_EEEEPS9_S9_NSD_9__find_if7functorIS9_EEEE10hipError_tPvRmT1_T2_T3_mT4_P12ihipStream_tbEUlT_E0_NS1_11comp_targetILNS1_3genE2ELNS1_11target_archE906ELNS1_3gpuE6ELNS1_3repE0EEENS1_30default_config_static_selectorELNS0_4arch9wavefront6targetE1EEEvS14_
; %bb.0:
	.section	.rodata,"a",@progbits
	.p2align	6, 0x0
	.amdhsa_kernel _ZN7rocprim17ROCPRIM_400000_NS6detail17trampoline_kernelINS0_14default_configENS1_22reduce_config_selectorIN6thrust23THRUST_200600_302600_NS5tupleIblNS6_9null_typeES8_S8_S8_S8_S8_S8_S8_EEEEZNS1_11reduce_implILb1ES3_NS6_12zip_iteratorINS7_INS6_11hip_rocprim26transform_input_iterator_tIbNSD_35transform_pair_of_input_iterators_tIbNS6_6detail15normal_iteratorINS6_10device_ptrIKiEEEESL_NS6_8equal_toIiEEEENSG_9not_fun_tINSD_8identityEEEEENSD_19counting_iterator_tIlEES8_S8_S8_S8_S8_S8_S8_S8_EEEEPS9_S9_NSD_9__find_if7functorIS9_EEEE10hipError_tPvRmT1_T2_T3_mT4_P12ihipStream_tbEUlT_E0_NS1_11comp_targetILNS1_3genE2ELNS1_11target_archE906ELNS1_3gpuE6ELNS1_3repE0EEENS1_30default_config_static_selectorELNS0_4arch9wavefront6targetE1EEEvS14_
		.amdhsa_group_segment_fixed_size 0
		.amdhsa_private_segment_fixed_size 0
		.amdhsa_kernarg_size 104
		.amdhsa_user_sgpr_count 2
		.amdhsa_user_sgpr_dispatch_ptr 0
		.amdhsa_user_sgpr_queue_ptr 0
		.amdhsa_user_sgpr_kernarg_segment_ptr 1
		.amdhsa_user_sgpr_dispatch_id 0
		.amdhsa_user_sgpr_kernarg_preload_length 0
		.amdhsa_user_sgpr_kernarg_preload_offset 0
		.amdhsa_user_sgpr_private_segment_size 0
		.amdhsa_uses_dynamic_stack 0
		.amdhsa_enable_private_segment 0
		.amdhsa_system_sgpr_workgroup_id_x 1
		.amdhsa_system_sgpr_workgroup_id_y 0
		.amdhsa_system_sgpr_workgroup_id_z 0
		.amdhsa_system_sgpr_workgroup_info 0
		.amdhsa_system_vgpr_workitem_id 0
		.amdhsa_next_free_vgpr 1
		.amdhsa_next_free_sgpr 0
		.amdhsa_accum_offset 4
		.amdhsa_reserve_vcc 0
		.amdhsa_float_round_mode_32 0
		.amdhsa_float_round_mode_16_64 0
		.amdhsa_float_denorm_mode_32 3
		.amdhsa_float_denorm_mode_16_64 3
		.amdhsa_dx10_clamp 1
		.amdhsa_ieee_mode 1
		.amdhsa_fp16_overflow 0
		.amdhsa_tg_split 0
		.amdhsa_exception_fp_ieee_invalid_op 0
		.amdhsa_exception_fp_denorm_src 0
		.amdhsa_exception_fp_ieee_div_zero 0
		.amdhsa_exception_fp_ieee_overflow 0
		.amdhsa_exception_fp_ieee_underflow 0
		.amdhsa_exception_fp_ieee_inexact 0
		.amdhsa_exception_int_div_zero 0
	.end_amdhsa_kernel
	.section	.text._ZN7rocprim17ROCPRIM_400000_NS6detail17trampoline_kernelINS0_14default_configENS1_22reduce_config_selectorIN6thrust23THRUST_200600_302600_NS5tupleIblNS6_9null_typeES8_S8_S8_S8_S8_S8_S8_EEEEZNS1_11reduce_implILb1ES3_NS6_12zip_iteratorINS7_INS6_11hip_rocprim26transform_input_iterator_tIbNSD_35transform_pair_of_input_iterators_tIbNS6_6detail15normal_iteratorINS6_10device_ptrIKiEEEESL_NS6_8equal_toIiEEEENSG_9not_fun_tINSD_8identityEEEEENSD_19counting_iterator_tIlEES8_S8_S8_S8_S8_S8_S8_S8_EEEEPS9_S9_NSD_9__find_if7functorIS9_EEEE10hipError_tPvRmT1_T2_T3_mT4_P12ihipStream_tbEUlT_E0_NS1_11comp_targetILNS1_3genE2ELNS1_11target_archE906ELNS1_3gpuE6ELNS1_3repE0EEENS1_30default_config_static_selectorELNS0_4arch9wavefront6targetE1EEEvS14_,"axG",@progbits,_ZN7rocprim17ROCPRIM_400000_NS6detail17trampoline_kernelINS0_14default_configENS1_22reduce_config_selectorIN6thrust23THRUST_200600_302600_NS5tupleIblNS6_9null_typeES8_S8_S8_S8_S8_S8_S8_EEEEZNS1_11reduce_implILb1ES3_NS6_12zip_iteratorINS7_INS6_11hip_rocprim26transform_input_iterator_tIbNSD_35transform_pair_of_input_iterators_tIbNS6_6detail15normal_iteratorINS6_10device_ptrIKiEEEESL_NS6_8equal_toIiEEEENSG_9not_fun_tINSD_8identityEEEEENSD_19counting_iterator_tIlEES8_S8_S8_S8_S8_S8_S8_S8_EEEEPS9_S9_NSD_9__find_if7functorIS9_EEEE10hipError_tPvRmT1_T2_T3_mT4_P12ihipStream_tbEUlT_E0_NS1_11comp_targetILNS1_3genE2ELNS1_11target_archE906ELNS1_3gpuE6ELNS1_3repE0EEENS1_30default_config_static_selectorELNS0_4arch9wavefront6targetE1EEEvS14_,comdat
.Lfunc_end1477:
	.size	_ZN7rocprim17ROCPRIM_400000_NS6detail17trampoline_kernelINS0_14default_configENS1_22reduce_config_selectorIN6thrust23THRUST_200600_302600_NS5tupleIblNS6_9null_typeES8_S8_S8_S8_S8_S8_S8_EEEEZNS1_11reduce_implILb1ES3_NS6_12zip_iteratorINS7_INS6_11hip_rocprim26transform_input_iterator_tIbNSD_35transform_pair_of_input_iterators_tIbNS6_6detail15normal_iteratorINS6_10device_ptrIKiEEEESL_NS6_8equal_toIiEEEENSG_9not_fun_tINSD_8identityEEEEENSD_19counting_iterator_tIlEES8_S8_S8_S8_S8_S8_S8_S8_EEEEPS9_S9_NSD_9__find_if7functorIS9_EEEE10hipError_tPvRmT1_T2_T3_mT4_P12ihipStream_tbEUlT_E0_NS1_11comp_targetILNS1_3genE2ELNS1_11target_archE906ELNS1_3gpuE6ELNS1_3repE0EEENS1_30default_config_static_selectorELNS0_4arch9wavefront6targetE1EEEvS14_, .Lfunc_end1477-_ZN7rocprim17ROCPRIM_400000_NS6detail17trampoline_kernelINS0_14default_configENS1_22reduce_config_selectorIN6thrust23THRUST_200600_302600_NS5tupleIblNS6_9null_typeES8_S8_S8_S8_S8_S8_S8_EEEEZNS1_11reduce_implILb1ES3_NS6_12zip_iteratorINS7_INS6_11hip_rocprim26transform_input_iterator_tIbNSD_35transform_pair_of_input_iterators_tIbNS6_6detail15normal_iteratorINS6_10device_ptrIKiEEEESL_NS6_8equal_toIiEEEENSG_9not_fun_tINSD_8identityEEEEENSD_19counting_iterator_tIlEES8_S8_S8_S8_S8_S8_S8_S8_EEEEPS9_S9_NSD_9__find_if7functorIS9_EEEE10hipError_tPvRmT1_T2_T3_mT4_P12ihipStream_tbEUlT_E0_NS1_11comp_targetILNS1_3genE2ELNS1_11target_archE906ELNS1_3gpuE6ELNS1_3repE0EEENS1_30default_config_static_selectorELNS0_4arch9wavefront6targetE1EEEvS14_
                                        ; -- End function
	.set _ZN7rocprim17ROCPRIM_400000_NS6detail17trampoline_kernelINS0_14default_configENS1_22reduce_config_selectorIN6thrust23THRUST_200600_302600_NS5tupleIblNS6_9null_typeES8_S8_S8_S8_S8_S8_S8_EEEEZNS1_11reduce_implILb1ES3_NS6_12zip_iteratorINS7_INS6_11hip_rocprim26transform_input_iterator_tIbNSD_35transform_pair_of_input_iterators_tIbNS6_6detail15normal_iteratorINS6_10device_ptrIKiEEEESL_NS6_8equal_toIiEEEENSG_9not_fun_tINSD_8identityEEEEENSD_19counting_iterator_tIlEES8_S8_S8_S8_S8_S8_S8_S8_EEEEPS9_S9_NSD_9__find_if7functorIS9_EEEE10hipError_tPvRmT1_T2_T3_mT4_P12ihipStream_tbEUlT_E0_NS1_11comp_targetILNS1_3genE2ELNS1_11target_archE906ELNS1_3gpuE6ELNS1_3repE0EEENS1_30default_config_static_selectorELNS0_4arch9wavefront6targetE1EEEvS14_.num_vgpr, 0
	.set _ZN7rocprim17ROCPRIM_400000_NS6detail17trampoline_kernelINS0_14default_configENS1_22reduce_config_selectorIN6thrust23THRUST_200600_302600_NS5tupleIblNS6_9null_typeES8_S8_S8_S8_S8_S8_S8_EEEEZNS1_11reduce_implILb1ES3_NS6_12zip_iteratorINS7_INS6_11hip_rocprim26transform_input_iterator_tIbNSD_35transform_pair_of_input_iterators_tIbNS6_6detail15normal_iteratorINS6_10device_ptrIKiEEEESL_NS6_8equal_toIiEEEENSG_9not_fun_tINSD_8identityEEEEENSD_19counting_iterator_tIlEES8_S8_S8_S8_S8_S8_S8_S8_EEEEPS9_S9_NSD_9__find_if7functorIS9_EEEE10hipError_tPvRmT1_T2_T3_mT4_P12ihipStream_tbEUlT_E0_NS1_11comp_targetILNS1_3genE2ELNS1_11target_archE906ELNS1_3gpuE6ELNS1_3repE0EEENS1_30default_config_static_selectorELNS0_4arch9wavefront6targetE1EEEvS14_.num_agpr, 0
	.set _ZN7rocprim17ROCPRIM_400000_NS6detail17trampoline_kernelINS0_14default_configENS1_22reduce_config_selectorIN6thrust23THRUST_200600_302600_NS5tupleIblNS6_9null_typeES8_S8_S8_S8_S8_S8_S8_EEEEZNS1_11reduce_implILb1ES3_NS6_12zip_iteratorINS7_INS6_11hip_rocprim26transform_input_iterator_tIbNSD_35transform_pair_of_input_iterators_tIbNS6_6detail15normal_iteratorINS6_10device_ptrIKiEEEESL_NS6_8equal_toIiEEEENSG_9not_fun_tINSD_8identityEEEEENSD_19counting_iterator_tIlEES8_S8_S8_S8_S8_S8_S8_S8_EEEEPS9_S9_NSD_9__find_if7functorIS9_EEEE10hipError_tPvRmT1_T2_T3_mT4_P12ihipStream_tbEUlT_E0_NS1_11comp_targetILNS1_3genE2ELNS1_11target_archE906ELNS1_3gpuE6ELNS1_3repE0EEENS1_30default_config_static_selectorELNS0_4arch9wavefront6targetE1EEEvS14_.numbered_sgpr, 0
	.set _ZN7rocprim17ROCPRIM_400000_NS6detail17trampoline_kernelINS0_14default_configENS1_22reduce_config_selectorIN6thrust23THRUST_200600_302600_NS5tupleIblNS6_9null_typeES8_S8_S8_S8_S8_S8_S8_EEEEZNS1_11reduce_implILb1ES3_NS6_12zip_iteratorINS7_INS6_11hip_rocprim26transform_input_iterator_tIbNSD_35transform_pair_of_input_iterators_tIbNS6_6detail15normal_iteratorINS6_10device_ptrIKiEEEESL_NS6_8equal_toIiEEEENSG_9not_fun_tINSD_8identityEEEEENSD_19counting_iterator_tIlEES8_S8_S8_S8_S8_S8_S8_S8_EEEEPS9_S9_NSD_9__find_if7functorIS9_EEEE10hipError_tPvRmT1_T2_T3_mT4_P12ihipStream_tbEUlT_E0_NS1_11comp_targetILNS1_3genE2ELNS1_11target_archE906ELNS1_3gpuE6ELNS1_3repE0EEENS1_30default_config_static_selectorELNS0_4arch9wavefront6targetE1EEEvS14_.num_named_barrier, 0
	.set _ZN7rocprim17ROCPRIM_400000_NS6detail17trampoline_kernelINS0_14default_configENS1_22reduce_config_selectorIN6thrust23THRUST_200600_302600_NS5tupleIblNS6_9null_typeES8_S8_S8_S8_S8_S8_S8_EEEEZNS1_11reduce_implILb1ES3_NS6_12zip_iteratorINS7_INS6_11hip_rocprim26transform_input_iterator_tIbNSD_35transform_pair_of_input_iterators_tIbNS6_6detail15normal_iteratorINS6_10device_ptrIKiEEEESL_NS6_8equal_toIiEEEENSG_9not_fun_tINSD_8identityEEEEENSD_19counting_iterator_tIlEES8_S8_S8_S8_S8_S8_S8_S8_EEEEPS9_S9_NSD_9__find_if7functorIS9_EEEE10hipError_tPvRmT1_T2_T3_mT4_P12ihipStream_tbEUlT_E0_NS1_11comp_targetILNS1_3genE2ELNS1_11target_archE906ELNS1_3gpuE6ELNS1_3repE0EEENS1_30default_config_static_selectorELNS0_4arch9wavefront6targetE1EEEvS14_.private_seg_size, 0
	.set _ZN7rocprim17ROCPRIM_400000_NS6detail17trampoline_kernelINS0_14default_configENS1_22reduce_config_selectorIN6thrust23THRUST_200600_302600_NS5tupleIblNS6_9null_typeES8_S8_S8_S8_S8_S8_S8_EEEEZNS1_11reduce_implILb1ES3_NS6_12zip_iteratorINS7_INS6_11hip_rocprim26transform_input_iterator_tIbNSD_35transform_pair_of_input_iterators_tIbNS6_6detail15normal_iteratorINS6_10device_ptrIKiEEEESL_NS6_8equal_toIiEEEENSG_9not_fun_tINSD_8identityEEEEENSD_19counting_iterator_tIlEES8_S8_S8_S8_S8_S8_S8_S8_EEEEPS9_S9_NSD_9__find_if7functorIS9_EEEE10hipError_tPvRmT1_T2_T3_mT4_P12ihipStream_tbEUlT_E0_NS1_11comp_targetILNS1_3genE2ELNS1_11target_archE906ELNS1_3gpuE6ELNS1_3repE0EEENS1_30default_config_static_selectorELNS0_4arch9wavefront6targetE1EEEvS14_.uses_vcc, 0
	.set _ZN7rocprim17ROCPRIM_400000_NS6detail17trampoline_kernelINS0_14default_configENS1_22reduce_config_selectorIN6thrust23THRUST_200600_302600_NS5tupleIblNS6_9null_typeES8_S8_S8_S8_S8_S8_S8_EEEEZNS1_11reduce_implILb1ES3_NS6_12zip_iteratorINS7_INS6_11hip_rocprim26transform_input_iterator_tIbNSD_35transform_pair_of_input_iterators_tIbNS6_6detail15normal_iteratorINS6_10device_ptrIKiEEEESL_NS6_8equal_toIiEEEENSG_9not_fun_tINSD_8identityEEEEENSD_19counting_iterator_tIlEES8_S8_S8_S8_S8_S8_S8_S8_EEEEPS9_S9_NSD_9__find_if7functorIS9_EEEE10hipError_tPvRmT1_T2_T3_mT4_P12ihipStream_tbEUlT_E0_NS1_11comp_targetILNS1_3genE2ELNS1_11target_archE906ELNS1_3gpuE6ELNS1_3repE0EEENS1_30default_config_static_selectorELNS0_4arch9wavefront6targetE1EEEvS14_.uses_flat_scratch, 0
	.set _ZN7rocprim17ROCPRIM_400000_NS6detail17trampoline_kernelINS0_14default_configENS1_22reduce_config_selectorIN6thrust23THRUST_200600_302600_NS5tupleIblNS6_9null_typeES8_S8_S8_S8_S8_S8_S8_EEEEZNS1_11reduce_implILb1ES3_NS6_12zip_iteratorINS7_INS6_11hip_rocprim26transform_input_iterator_tIbNSD_35transform_pair_of_input_iterators_tIbNS6_6detail15normal_iteratorINS6_10device_ptrIKiEEEESL_NS6_8equal_toIiEEEENSG_9not_fun_tINSD_8identityEEEEENSD_19counting_iterator_tIlEES8_S8_S8_S8_S8_S8_S8_S8_EEEEPS9_S9_NSD_9__find_if7functorIS9_EEEE10hipError_tPvRmT1_T2_T3_mT4_P12ihipStream_tbEUlT_E0_NS1_11comp_targetILNS1_3genE2ELNS1_11target_archE906ELNS1_3gpuE6ELNS1_3repE0EEENS1_30default_config_static_selectorELNS0_4arch9wavefront6targetE1EEEvS14_.has_dyn_sized_stack, 0
	.set _ZN7rocprim17ROCPRIM_400000_NS6detail17trampoline_kernelINS0_14default_configENS1_22reduce_config_selectorIN6thrust23THRUST_200600_302600_NS5tupleIblNS6_9null_typeES8_S8_S8_S8_S8_S8_S8_EEEEZNS1_11reduce_implILb1ES3_NS6_12zip_iteratorINS7_INS6_11hip_rocprim26transform_input_iterator_tIbNSD_35transform_pair_of_input_iterators_tIbNS6_6detail15normal_iteratorINS6_10device_ptrIKiEEEESL_NS6_8equal_toIiEEEENSG_9not_fun_tINSD_8identityEEEEENSD_19counting_iterator_tIlEES8_S8_S8_S8_S8_S8_S8_S8_EEEEPS9_S9_NSD_9__find_if7functorIS9_EEEE10hipError_tPvRmT1_T2_T3_mT4_P12ihipStream_tbEUlT_E0_NS1_11comp_targetILNS1_3genE2ELNS1_11target_archE906ELNS1_3gpuE6ELNS1_3repE0EEENS1_30default_config_static_selectorELNS0_4arch9wavefront6targetE1EEEvS14_.has_recursion, 0
	.set _ZN7rocprim17ROCPRIM_400000_NS6detail17trampoline_kernelINS0_14default_configENS1_22reduce_config_selectorIN6thrust23THRUST_200600_302600_NS5tupleIblNS6_9null_typeES8_S8_S8_S8_S8_S8_S8_EEEEZNS1_11reduce_implILb1ES3_NS6_12zip_iteratorINS7_INS6_11hip_rocprim26transform_input_iterator_tIbNSD_35transform_pair_of_input_iterators_tIbNS6_6detail15normal_iteratorINS6_10device_ptrIKiEEEESL_NS6_8equal_toIiEEEENSG_9not_fun_tINSD_8identityEEEEENSD_19counting_iterator_tIlEES8_S8_S8_S8_S8_S8_S8_S8_EEEEPS9_S9_NSD_9__find_if7functorIS9_EEEE10hipError_tPvRmT1_T2_T3_mT4_P12ihipStream_tbEUlT_E0_NS1_11comp_targetILNS1_3genE2ELNS1_11target_archE906ELNS1_3gpuE6ELNS1_3repE0EEENS1_30default_config_static_selectorELNS0_4arch9wavefront6targetE1EEEvS14_.has_indirect_call, 0
	.section	.AMDGPU.csdata,"",@progbits
; Kernel info:
; codeLenInByte = 0
; TotalNumSgprs: 6
; NumVgprs: 0
; NumAgprs: 0
; TotalNumVgprs: 0
; ScratchSize: 0
; MemoryBound: 0
; FloatMode: 240
; IeeeMode: 1
; LDSByteSize: 0 bytes/workgroup (compile time only)
; SGPRBlocks: 0
; VGPRBlocks: 0
; NumSGPRsForWavesPerEU: 6
; NumVGPRsForWavesPerEU: 1
; AccumOffset: 4
; Occupancy: 8
; WaveLimiterHint : 0
; COMPUTE_PGM_RSRC2:SCRATCH_EN: 0
; COMPUTE_PGM_RSRC2:USER_SGPR: 2
; COMPUTE_PGM_RSRC2:TRAP_HANDLER: 0
; COMPUTE_PGM_RSRC2:TGID_X_EN: 1
; COMPUTE_PGM_RSRC2:TGID_Y_EN: 0
; COMPUTE_PGM_RSRC2:TGID_Z_EN: 0
; COMPUTE_PGM_RSRC2:TIDIG_COMP_CNT: 0
; COMPUTE_PGM_RSRC3_GFX90A:ACCUM_OFFSET: 0
; COMPUTE_PGM_RSRC3_GFX90A:TG_SPLIT: 0
	.section	.text._ZN7rocprim17ROCPRIM_400000_NS6detail17trampoline_kernelINS0_14default_configENS1_22reduce_config_selectorIN6thrust23THRUST_200600_302600_NS5tupleIblNS6_9null_typeES8_S8_S8_S8_S8_S8_S8_EEEEZNS1_11reduce_implILb1ES3_NS6_12zip_iteratorINS7_INS6_11hip_rocprim26transform_input_iterator_tIbNSD_35transform_pair_of_input_iterators_tIbNS6_6detail15normal_iteratorINS6_10device_ptrIKiEEEESL_NS6_8equal_toIiEEEENSG_9not_fun_tINSD_8identityEEEEENSD_19counting_iterator_tIlEES8_S8_S8_S8_S8_S8_S8_S8_EEEEPS9_S9_NSD_9__find_if7functorIS9_EEEE10hipError_tPvRmT1_T2_T3_mT4_P12ihipStream_tbEUlT_E0_NS1_11comp_targetILNS1_3genE10ELNS1_11target_archE1201ELNS1_3gpuE5ELNS1_3repE0EEENS1_30default_config_static_selectorELNS0_4arch9wavefront6targetE1EEEvS14_,"axG",@progbits,_ZN7rocprim17ROCPRIM_400000_NS6detail17trampoline_kernelINS0_14default_configENS1_22reduce_config_selectorIN6thrust23THRUST_200600_302600_NS5tupleIblNS6_9null_typeES8_S8_S8_S8_S8_S8_S8_EEEEZNS1_11reduce_implILb1ES3_NS6_12zip_iteratorINS7_INS6_11hip_rocprim26transform_input_iterator_tIbNSD_35transform_pair_of_input_iterators_tIbNS6_6detail15normal_iteratorINS6_10device_ptrIKiEEEESL_NS6_8equal_toIiEEEENSG_9not_fun_tINSD_8identityEEEEENSD_19counting_iterator_tIlEES8_S8_S8_S8_S8_S8_S8_S8_EEEEPS9_S9_NSD_9__find_if7functorIS9_EEEE10hipError_tPvRmT1_T2_T3_mT4_P12ihipStream_tbEUlT_E0_NS1_11comp_targetILNS1_3genE10ELNS1_11target_archE1201ELNS1_3gpuE5ELNS1_3repE0EEENS1_30default_config_static_selectorELNS0_4arch9wavefront6targetE1EEEvS14_,comdat
	.protected	_ZN7rocprim17ROCPRIM_400000_NS6detail17trampoline_kernelINS0_14default_configENS1_22reduce_config_selectorIN6thrust23THRUST_200600_302600_NS5tupleIblNS6_9null_typeES8_S8_S8_S8_S8_S8_S8_EEEEZNS1_11reduce_implILb1ES3_NS6_12zip_iteratorINS7_INS6_11hip_rocprim26transform_input_iterator_tIbNSD_35transform_pair_of_input_iterators_tIbNS6_6detail15normal_iteratorINS6_10device_ptrIKiEEEESL_NS6_8equal_toIiEEEENSG_9not_fun_tINSD_8identityEEEEENSD_19counting_iterator_tIlEES8_S8_S8_S8_S8_S8_S8_S8_EEEEPS9_S9_NSD_9__find_if7functorIS9_EEEE10hipError_tPvRmT1_T2_T3_mT4_P12ihipStream_tbEUlT_E0_NS1_11comp_targetILNS1_3genE10ELNS1_11target_archE1201ELNS1_3gpuE5ELNS1_3repE0EEENS1_30default_config_static_selectorELNS0_4arch9wavefront6targetE1EEEvS14_ ; -- Begin function _ZN7rocprim17ROCPRIM_400000_NS6detail17trampoline_kernelINS0_14default_configENS1_22reduce_config_selectorIN6thrust23THRUST_200600_302600_NS5tupleIblNS6_9null_typeES8_S8_S8_S8_S8_S8_S8_EEEEZNS1_11reduce_implILb1ES3_NS6_12zip_iteratorINS7_INS6_11hip_rocprim26transform_input_iterator_tIbNSD_35transform_pair_of_input_iterators_tIbNS6_6detail15normal_iteratorINS6_10device_ptrIKiEEEESL_NS6_8equal_toIiEEEENSG_9not_fun_tINSD_8identityEEEEENSD_19counting_iterator_tIlEES8_S8_S8_S8_S8_S8_S8_S8_EEEEPS9_S9_NSD_9__find_if7functorIS9_EEEE10hipError_tPvRmT1_T2_T3_mT4_P12ihipStream_tbEUlT_E0_NS1_11comp_targetILNS1_3genE10ELNS1_11target_archE1201ELNS1_3gpuE5ELNS1_3repE0EEENS1_30default_config_static_selectorELNS0_4arch9wavefront6targetE1EEEvS14_
	.globl	_ZN7rocprim17ROCPRIM_400000_NS6detail17trampoline_kernelINS0_14default_configENS1_22reduce_config_selectorIN6thrust23THRUST_200600_302600_NS5tupleIblNS6_9null_typeES8_S8_S8_S8_S8_S8_S8_EEEEZNS1_11reduce_implILb1ES3_NS6_12zip_iteratorINS7_INS6_11hip_rocprim26transform_input_iterator_tIbNSD_35transform_pair_of_input_iterators_tIbNS6_6detail15normal_iteratorINS6_10device_ptrIKiEEEESL_NS6_8equal_toIiEEEENSG_9not_fun_tINSD_8identityEEEEENSD_19counting_iterator_tIlEES8_S8_S8_S8_S8_S8_S8_S8_EEEEPS9_S9_NSD_9__find_if7functorIS9_EEEE10hipError_tPvRmT1_T2_T3_mT4_P12ihipStream_tbEUlT_E0_NS1_11comp_targetILNS1_3genE10ELNS1_11target_archE1201ELNS1_3gpuE5ELNS1_3repE0EEENS1_30default_config_static_selectorELNS0_4arch9wavefront6targetE1EEEvS14_
	.p2align	8
	.type	_ZN7rocprim17ROCPRIM_400000_NS6detail17trampoline_kernelINS0_14default_configENS1_22reduce_config_selectorIN6thrust23THRUST_200600_302600_NS5tupleIblNS6_9null_typeES8_S8_S8_S8_S8_S8_S8_EEEEZNS1_11reduce_implILb1ES3_NS6_12zip_iteratorINS7_INS6_11hip_rocprim26transform_input_iterator_tIbNSD_35transform_pair_of_input_iterators_tIbNS6_6detail15normal_iteratorINS6_10device_ptrIKiEEEESL_NS6_8equal_toIiEEEENSG_9not_fun_tINSD_8identityEEEEENSD_19counting_iterator_tIlEES8_S8_S8_S8_S8_S8_S8_S8_EEEEPS9_S9_NSD_9__find_if7functorIS9_EEEE10hipError_tPvRmT1_T2_T3_mT4_P12ihipStream_tbEUlT_E0_NS1_11comp_targetILNS1_3genE10ELNS1_11target_archE1201ELNS1_3gpuE5ELNS1_3repE0EEENS1_30default_config_static_selectorELNS0_4arch9wavefront6targetE1EEEvS14_,@function
_ZN7rocprim17ROCPRIM_400000_NS6detail17trampoline_kernelINS0_14default_configENS1_22reduce_config_selectorIN6thrust23THRUST_200600_302600_NS5tupleIblNS6_9null_typeES8_S8_S8_S8_S8_S8_S8_EEEEZNS1_11reduce_implILb1ES3_NS6_12zip_iteratorINS7_INS6_11hip_rocprim26transform_input_iterator_tIbNSD_35transform_pair_of_input_iterators_tIbNS6_6detail15normal_iteratorINS6_10device_ptrIKiEEEESL_NS6_8equal_toIiEEEENSG_9not_fun_tINSD_8identityEEEEENSD_19counting_iterator_tIlEES8_S8_S8_S8_S8_S8_S8_S8_EEEEPS9_S9_NSD_9__find_if7functorIS9_EEEE10hipError_tPvRmT1_T2_T3_mT4_P12ihipStream_tbEUlT_E0_NS1_11comp_targetILNS1_3genE10ELNS1_11target_archE1201ELNS1_3gpuE5ELNS1_3repE0EEENS1_30default_config_static_selectorELNS0_4arch9wavefront6targetE1EEEvS14_: ; @_ZN7rocprim17ROCPRIM_400000_NS6detail17trampoline_kernelINS0_14default_configENS1_22reduce_config_selectorIN6thrust23THRUST_200600_302600_NS5tupleIblNS6_9null_typeES8_S8_S8_S8_S8_S8_S8_EEEEZNS1_11reduce_implILb1ES3_NS6_12zip_iteratorINS7_INS6_11hip_rocprim26transform_input_iterator_tIbNSD_35transform_pair_of_input_iterators_tIbNS6_6detail15normal_iteratorINS6_10device_ptrIKiEEEESL_NS6_8equal_toIiEEEENSG_9not_fun_tINSD_8identityEEEEENSD_19counting_iterator_tIlEES8_S8_S8_S8_S8_S8_S8_S8_EEEEPS9_S9_NSD_9__find_if7functorIS9_EEEE10hipError_tPvRmT1_T2_T3_mT4_P12ihipStream_tbEUlT_E0_NS1_11comp_targetILNS1_3genE10ELNS1_11target_archE1201ELNS1_3gpuE5ELNS1_3repE0EEENS1_30default_config_static_selectorELNS0_4arch9wavefront6targetE1EEEvS14_
; %bb.0:
	.section	.rodata,"a",@progbits
	.p2align	6, 0x0
	.amdhsa_kernel _ZN7rocprim17ROCPRIM_400000_NS6detail17trampoline_kernelINS0_14default_configENS1_22reduce_config_selectorIN6thrust23THRUST_200600_302600_NS5tupleIblNS6_9null_typeES8_S8_S8_S8_S8_S8_S8_EEEEZNS1_11reduce_implILb1ES3_NS6_12zip_iteratorINS7_INS6_11hip_rocprim26transform_input_iterator_tIbNSD_35transform_pair_of_input_iterators_tIbNS6_6detail15normal_iteratorINS6_10device_ptrIKiEEEESL_NS6_8equal_toIiEEEENSG_9not_fun_tINSD_8identityEEEEENSD_19counting_iterator_tIlEES8_S8_S8_S8_S8_S8_S8_S8_EEEEPS9_S9_NSD_9__find_if7functorIS9_EEEE10hipError_tPvRmT1_T2_T3_mT4_P12ihipStream_tbEUlT_E0_NS1_11comp_targetILNS1_3genE10ELNS1_11target_archE1201ELNS1_3gpuE5ELNS1_3repE0EEENS1_30default_config_static_selectorELNS0_4arch9wavefront6targetE1EEEvS14_
		.amdhsa_group_segment_fixed_size 0
		.amdhsa_private_segment_fixed_size 0
		.amdhsa_kernarg_size 104
		.amdhsa_user_sgpr_count 2
		.amdhsa_user_sgpr_dispatch_ptr 0
		.amdhsa_user_sgpr_queue_ptr 0
		.amdhsa_user_sgpr_kernarg_segment_ptr 1
		.amdhsa_user_sgpr_dispatch_id 0
		.amdhsa_user_sgpr_kernarg_preload_length 0
		.amdhsa_user_sgpr_kernarg_preload_offset 0
		.amdhsa_user_sgpr_private_segment_size 0
		.amdhsa_uses_dynamic_stack 0
		.amdhsa_enable_private_segment 0
		.amdhsa_system_sgpr_workgroup_id_x 1
		.amdhsa_system_sgpr_workgroup_id_y 0
		.amdhsa_system_sgpr_workgroup_id_z 0
		.amdhsa_system_sgpr_workgroup_info 0
		.amdhsa_system_vgpr_workitem_id 0
		.amdhsa_next_free_vgpr 1
		.amdhsa_next_free_sgpr 0
		.amdhsa_accum_offset 4
		.amdhsa_reserve_vcc 0
		.amdhsa_float_round_mode_32 0
		.amdhsa_float_round_mode_16_64 0
		.amdhsa_float_denorm_mode_32 3
		.amdhsa_float_denorm_mode_16_64 3
		.amdhsa_dx10_clamp 1
		.amdhsa_ieee_mode 1
		.amdhsa_fp16_overflow 0
		.amdhsa_tg_split 0
		.amdhsa_exception_fp_ieee_invalid_op 0
		.amdhsa_exception_fp_denorm_src 0
		.amdhsa_exception_fp_ieee_div_zero 0
		.amdhsa_exception_fp_ieee_overflow 0
		.amdhsa_exception_fp_ieee_underflow 0
		.amdhsa_exception_fp_ieee_inexact 0
		.amdhsa_exception_int_div_zero 0
	.end_amdhsa_kernel
	.section	.text._ZN7rocprim17ROCPRIM_400000_NS6detail17trampoline_kernelINS0_14default_configENS1_22reduce_config_selectorIN6thrust23THRUST_200600_302600_NS5tupleIblNS6_9null_typeES8_S8_S8_S8_S8_S8_S8_EEEEZNS1_11reduce_implILb1ES3_NS6_12zip_iteratorINS7_INS6_11hip_rocprim26transform_input_iterator_tIbNSD_35transform_pair_of_input_iterators_tIbNS6_6detail15normal_iteratorINS6_10device_ptrIKiEEEESL_NS6_8equal_toIiEEEENSG_9not_fun_tINSD_8identityEEEEENSD_19counting_iterator_tIlEES8_S8_S8_S8_S8_S8_S8_S8_EEEEPS9_S9_NSD_9__find_if7functorIS9_EEEE10hipError_tPvRmT1_T2_T3_mT4_P12ihipStream_tbEUlT_E0_NS1_11comp_targetILNS1_3genE10ELNS1_11target_archE1201ELNS1_3gpuE5ELNS1_3repE0EEENS1_30default_config_static_selectorELNS0_4arch9wavefront6targetE1EEEvS14_,"axG",@progbits,_ZN7rocprim17ROCPRIM_400000_NS6detail17trampoline_kernelINS0_14default_configENS1_22reduce_config_selectorIN6thrust23THRUST_200600_302600_NS5tupleIblNS6_9null_typeES8_S8_S8_S8_S8_S8_S8_EEEEZNS1_11reduce_implILb1ES3_NS6_12zip_iteratorINS7_INS6_11hip_rocprim26transform_input_iterator_tIbNSD_35transform_pair_of_input_iterators_tIbNS6_6detail15normal_iteratorINS6_10device_ptrIKiEEEESL_NS6_8equal_toIiEEEENSG_9not_fun_tINSD_8identityEEEEENSD_19counting_iterator_tIlEES8_S8_S8_S8_S8_S8_S8_S8_EEEEPS9_S9_NSD_9__find_if7functorIS9_EEEE10hipError_tPvRmT1_T2_T3_mT4_P12ihipStream_tbEUlT_E0_NS1_11comp_targetILNS1_3genE10ELNS1_11target_archE1201ELNS1_3gpuE5ELNS1_3repE0EEENS1_30default_config_static_selectorELNS0_4arch9wavefront6targetE1EEEvS14_,comdat
.Lfunc_end1478:
	.size	_ZN7rocprim17ROCPRIM_400000_NS6detail17trampoline_kernelINS0_14default_configENS1_22reduce_config_selectorIN6thrust23THRUST_200600_302600_NS5tupleIblNS6_9null_typeES8_S8_S8_S8_S8_S8_S8_EEEEZNS1_11reduce_implILb1ES3_NS6_12zip_iteratorINS7_INS6_11hip_rocprim26transform_input_iterator_tIbNSD_35transform_pair_of_input_iterators_tIbNS6_6detail15normal_iteratorINS6_10device_ptrIKiEEEESL_NS6_8equal_toIiEEEENSG_9not_fun_tINSD_8identityEEEEENSD_19counting_iterator_tIlEES8_S8_S8_S8_S8_S8_S8_S8_EEEEPS9_S9_NSD_9__find_if7functorIS9_EEEE10hipError_tPvRmT1_T2_T3_mT4_P12ihipStream_tbEUlT_E0_NS1_11comp_targetILNS1_3genE10ELNS1_11target_archE1201ELNS1_3gpuE5ELNS1_3repE0EEENS1_30default_config_static_selectorELNS0_4arch9wavefront6targetE1EEEvS14_, .Lfunc_end1478-_ZN7rocprim17ROCPRIM_400000_NS6detail17trampoline_kernelINS0_14default_configENS1_22reduce_config_selectorIN6thrust23THRUST_200600_302600_NS5tupleIblNS6_9null_typeES8_S8_S8_S8_S8_S8_S8_EEEEZNS1_11reduce_implILb1ES3_NS6_12zip_iteratorINS7_INS6_11hip_rocprim26transform_input_iterator_tIbNSD_35transform_pair_of_input_iterators_tIbNS6_6detail15normal_iteratorINS6_10device_ptrIKiEEEESL_NS6_8equal_toIiEEEENSG_9not_fun_tINSD_8identityEEEEENSD_19counting_iterator_tIlEES8_S8_S8_S8_S8_S8_S8_S8_EEEEPS9_S9_NSD_9__find_if7functorIS9_EEEE10hipError_tPvRmT1_T2_T3_mT4_P12ihipStream_tbEUlT_E0_NS1_11comp_targetILNS1_3genE10ELNS1_11target_archE1201ELNS1_3gpuE5ELNS1_3repE0EEENS1_30default_config_static_selectorELNS0_4arch9wavefront6targetE1EEEvS14_
                                        ; -- End function
	.set _ZN7rocprim17ROCPRIM_400000_NS6detail17trampoline_kernelINS0_14default_configENS1_22reduce_config_selectorIN6thrust23THRUST_200600_302600_NS5tupleIblNS6_9null_typeES8_S8_S8_S8_S8_S8_S8_EEEEZNS1_11reduce_implILb1ES3_NS6_12zip_iteratorINS7_INS6_11hip_rocprim26transform_input_iterator_tIbNSD_35transform_pair_of_input_iterators_tIbNS6_6detail15normal_iteratorINS6_10device_ptrIKiEEEESL_NS6_8equal_toIiEEEENSG_9not_fun_tINSD_8identityEEEEENSD_19counting_iterator_tIlEES8_S8_S8_S8_S8_S8_S8_S8_EEEEPS9_S9_NSD_9__find_if7functorIS9_EEEE10hipError_tPvRmT1_T2_T3_mT4_P12ihipStream_tbEUlT_E0_NS1_11comp_targetILNS1_3genE10ELNS1_11target_archE1201ELNS1_3gpuE5ELNS1_3repE0EEENS1_30default_config_static_selectorELNS0_4arch9wavefront6targetE1EEEvS14_.num_vgpr, 0
	.set _ZN7rocprim17ROCPRIM_400000_NS6detail17trampoline_kernelINS0_14default_configENS1_22reduce_config_selectorIN6thrust23THRUST_200600_302600_NS5tupleIblNS6_9null_typeES8_S8_S8_S8_S8_S8_S8_EEEEZNS1_11reduce_implILb1ES3_NS6_12zip_iteratorINS7_INS6_11hip_rocprim26transform_input_iterator_tIbNSD_35transform_pair_of_input_iterators_tIbNS6_6detail15normal_iteratorINS6_10device_ptrIKiEEEESL_NS6_8equal_toIiEEEENSG_9not_fun_tINSD_8identityEEEEENSD_19counting_iterator_tIlEES8_S8_S8_S8_S8_S8_S8_S8_EEEEPS9_S9_NSD_9__find_if7functorIS9_EEEE10hipError_tPvRmT1_T2_T3_mT4_P12ihipStream_tbEUlT_E0_NS1_11comp_targetILNS1_3genE10ELNS1_11target_archE1201ELNS1_3gpuE5ELNS1_3repE0EEENS1_30default_config_static_selectorELNS0_4arch9wavefront6targetE1EEEvS14_.num_agpr, 0
	.set _ZN7rocprim17ROCPRIM_400000_NS6detail17trampoline_kernelINS0_14default_configENS1_22reduce_config_selectorIN6thrust23THRUST_200600_302600_NS5tupleIblNS6_9null_typeES8_S8_S8_S8_S8_S8_S8_EEEEZNS1_11reduce_implILb1ES3_NS6_12zip_iteratorINS7_INS6_11hip_rocprim26transform_input_iterator_tIbNSD_35transform_pair_of_input_iterators_tIbNS6_6detail15normal_iteratorINS6_10device_ptrIKiEEEESL_NS6_8equal_toIiEEEENSG_9not_fun_tINSD_8identityEEEEENSD_19counting_iterator_tIlEES8_S8_S8_S8_S8_S8_S8_S8_EEEEPS9_S9_NSD_9__find_if7functorIS9_EEEE10hipError_tPvRmT1_T2_T3_mT4_P12ihipStream_tbEUlT_E0_NS1_11comp_targetILNS1_3genE10ELNS1_11target_archE1201ELNS1_3gpuE5ELNS1_3repE0EEENS1_30default_config_static_selectorELNS0_4arch9wavefront6targetE1EEEvS14_.numbered_sgpr, 0
	.set _ZN7rocprim17ROCPRIM_400000_NS6detail17trampoline_kernelINS0_14default_configENS1_22reduce_config_selectorIN6thrust23THRUST_200600_302600_NS5tupleIblNS6_9null_typeES8_S8_S8_S8_S8_S8_S8_EEEEZNS1_11reduce_implILb1ES3_NS6_12zip_iteratorINS7_INS6_11hip_rocprim26transform_input_iterator_tIbNSD_35transform_pair_of_input_iterators_tIbNS6_6detail15normal_iteratorINS6_10device_ptrIKiEEEESL_NS6_8equal_toIiEEEENSG_9not_fun_tINSD_8identityEEEEENSD_19counting_iterator_tIlEES8_S8_S8_S8_S8_S8_S8_S8_EEEEPS9_S9_NSD_9__find_if7functorIS9_EEEE10hipError_tPvRmT1_T2_T3_mT4_P12ihipStream_tbEUlT_E0_NS1_11comp_targetILNS1_3genE10ELNS1_11target_archE1201ELNS1_3gpuE5ELNS1_3repE0EEENS1_30default_config_static_selectorELNS0_4arch9wavefront6targetE1EEEvS14_.num_named_barrier, 0
	.set _ZN7rocprim17ROCPRIM_400000_NS6detail17trampoline_kernelINS0_14default_configENS1_22reduce_config_selectorIN6thrust23THRUST_200600_302600_NS5tupleIblNS6_9null_typeES8_S8_S8_S8_S8_S8_S8_EEEEZNS1_11reduce_implILb1ES3_NS6_12zip_iteratorINS7_INS6_11hip_rocprim26transform_input_iterator_tIbNSD_35transform_pair_of_input_iterators_tIbNS6_6detail15normal_iteratorINS6_10device_ptrIKiEEEESL_NS6_8equal_toIiEEEENSG_9not_fun_tINSD_8identityEEEEENSD_19counting_iterator_tIlEES8_S8_S8_S8_S8_S8_S8_S8_EEEEPS9_S9_NSD_9__find_if7functorIS9_EEEE10hipError_tPvRmT1_T2_T3_mT4_P12ihipStream_tbEUlT_E0_NS1_11comp_targetILNS1_3genE10ELNS1_11target_archE1201ELNS1_3gpuE5ELNS1_3repE0EEENS1_30default_config_static_selectorELNS0_4arch9wavefront6targetE1EEEvS14_.private_seg_size, 0
	.set _ZN7rocprim17ROCPRIM_400000_NS6detail17trampoline_kernelINS0_14default_configENS1_22reduce_config_selectorIN6thrust23THRUST_200600_302600_NS5tupleIblNS6_9null_typeES8_S8_S8_S8_S8_S8_S8_EEEEZNS1_11reduce_implILb1ES3_NS6_12zip_iteratorINS7_INS6_11hip_rocprim26transform_input_iterator_tIbNSD_35transform_pair_of_input_iterators_tIbNS6_6detail15normal_iteratorINS6_10device_ptrIKiEEEESL_NS6_8equal_toIiEEEENSG_9not_fun_tINSD_8identityEEEEENSD_19counting_iterator_tIlEES8_S8_S8_S8_S8_S8_S8_S8_EEEEPS9_S9_NSD_9__find_if7functorIS9_EEEE10hipError_tPvRmT1_T2_T3_mT4_P12ihipStream_tbEUlT_E0_NS1_11comp_targetILNS1_3genE10ELNS1_11target_archE1201ELNS1_3gpuE5ELNS1_3repE0EEENS1_30default_config_static_selectorELNS0_4arch9wavefront6targetE1EEEvS14_.uses_vcc, 0
	.set _ZN7rocprim17ROCPRIM_400000_NS6detail17trampoline_kernelINS0_14default_configENS1_22reduce_config_selectorIN6thrust23THRUST_200600_302600_NS5tupleIblNS6_9null_typeES8_S8_S8_S8_S8_S8_S8_EEEEZNS1_11reduce_implILb1ES3_NS6_12zip_iteratorINS7_INS6_11hip_rocprim26transform_input_iterator_tIbNSD_35transform_pair_of_input_iterators_tIbNS6_6detail15normal_iteratorINS6_10device_ptrIKiEEEESL_NS6_8equal_toIiEEEENSG_9not_fun_tINSD_8identityEEEEENSD_19counting_iterator_tIlEES8_S8_S8_S8_S8_S8_S8_S8_EEEEPS9_S9_NSD_9__find_if7functorIS9_EEEE10hipError_tPvRmT1_T2_T3_mT4_P12ihipStream_tbEUlT_E0_NS1_11comp_targetILNS1_3genE10ELNS1_11target_archE1201ELNS1_3gpuE5ELNS1_3repE0EEENS1_30default_config_static_selectorELNS0_4arch9wavefront6targetE1EEEvS14_.uses_flat_scratch, 0
	.set _ZN7rocprim17ROCPRIM_400000_NS6detail17trampoline_kernelINS0_14default_configENS1_22reduce_config_selectorIN6thrust23THRUST_200600_302600_NS5tupleIblNS6_9null_typeES8_S8_S8_S8_S8_S8_S8_EEEEZNS1_11reduce_implILb1ES3_NS6_12zip_iteratorINS7_INS6_11hip_rocprim26transform_input_iterator_tIbNSD_35transform_pair_of_input_iterators_tIbNS6_6detail15normal_iteratorINS6_10device_ptrIKiEEEESL_NS6_8equal_toIiEEEENSG_9not_fun_tINSD_8identityEEEEENSD_19counting_iterator_tIlEES8_S8_S8_S8_S8_S8_S8_S8_EEEEPS9_S9_NSD_9__find_if7functorIS9_EEEE10hipError_tPvRmT1_T2_T3_mT4_P12ihipStream_tbEUlT_E0_NS1_11comp_targetILNS1_3genE10ELNS1_11target_archE1201ELNS1_3gpuE5ELNS1_3repE0EEENS1_30default_config_static_selectorELNS0_4arch9wavefront6targetE1EEEvS14_.has_dyn_sized_stack, 0
	.set _ZN7rocprim17ROCPRIM_400000_NS6detail17trampoline_kernelINS0_14default_configENS1_22reduce_config_selectorIN6thrust23THRUST_200600_302600_NS5tupleIblNS6_9null_typeES8_S8_S8_S8_S8_S8_S8_EEEEZNS1_11reduce_implILb1ES3_NS6_12zip_iteratorINS7_INS6_11hip_rocprim26transform_input_iterator_tIbNSD_35transform_pair_of_input_iterators_tIbNS6_6detail15normal_iteratorINS6_10device_ptrIKiEEEESL_NS6_8equal_toIiEEEENSG_9not_fun_tINSD_8identityEEEEENSD_19counting_iterator_tIlEES8_S8_S8_S8_S8_S8_S8_S8_EEEEPS9_S9_NSD_9__find_if7functorIS9_EEEE10hipError_tPvRmT1_T2_T3_mT4_P12ihipStream_tbEUlT_E0_NS1_11comp_targetILNS1_3genE10ELNS1_11target_archE1201ELNS1_3gpuE5ELNS1_3repE0EEENS1_30default_config_static_selectorELNS0_4arch9wavefront6targetE1EEEvS14_.has_recursion, 0
	.set _ZN7rocprim17ROCPRIM_400000_NS6detail17trampoline_kernelINS0_14default_configENS1_22reduce_config_selectorIN6thrust23THRUST_200600_302600_NS5tupleIblNS6_9null_typeES8_S8_S8_S8_S8_S8_S8_EEEEZNS1_11reduce_implILb1ES3_NS6_12zip_iteratorINS7_INS6_11hip_rocprim26transform_input_iterator_tIbNSD_35transform_pair_of_input_iterators_tIbNS6_6detail15normal_iteratorINS6_10device_ptrIKiEEEESL_NS6_8equal_toIiEEEENSG_9not_fun_tINSD_8identityEEEEENSD_19counting_iterator_tIlEES8_S8_S8_S8_S8_S8_S8_S8_EEEEPS9_S9_NSD_9__find_if7functorIS9_EEEE10hipError_tPvRmT1_T2_T3_mT4_P12ihipStream_tbEUlT_E0_NS1_11comp_targetILNS1_3genE10ELNS1_11target_archE1201ELNS1_3gpuE5ELNS1_3repE0EEENS1_30default_config_static_selectorELNS0_4arch9wavefront6targetE1EEEvS14_.has_indirect_call, 0
	.section	.AMDGPU.csdata,"",@progbits
; Kernel info:
; codeLenInByte = 0
; TotalNumSgprs: 6
; NumVgprs: 0
; NumAgprs: 0
; TotalNumVgprs: 0
; ScratchSize: 0
; MemoryBound: 0
; FloatMode: 240
; IeeeMode: 1
; LDSByteSize: 0 bytes/workgroup (compile time only)
; SGPRBlocks: 0
; VGPRBlocks: 0
; NumSGPRsForWavesPerEU: 6
; NumVGPRsForWavesPerEU: 1
; AccumOffset: 4
; Occupancy: 8
; WaveLimiterHint : 0
; COMPUTE_PGM_RSRC2:SCRATCH_EN: 0
; COMPUTE_PGM_RSRC2:USER_SGPR: 2
; COMPUTE_PGM_RSRC2:TRAP_HANDLER: 0
; COMPUTE_PGM_RSRC2:TGID_X_EN: 1
; COMPUTE_PGM_RSRC2:TGID_Y_EN: 0
; COMPUTE_PGM_RSRC2:TGID_Z_EN: 0
; COMPUTE_PGM_RSRC2:TIDIG_COMP_CNT: 0
; COMPUTE_PGM_RSRC3_GFX90A:ACCUM_OFFSET: 0
; COMPUTE_PGM_RSRC3_GFX90A:TG_SPLIT: 0
	.section	.text._ZN7rocprim17ROCPRIM_400000_NS6detail17trampoline_kernelINS0_14default_configENS1_22reduce_config_selectorIN6thrust23THRUST_200600_302600_NS5tupleIblNS6_9null_typeES8_S8_S8_S8_S8_S8_S8_EEEEZNS1_11reduce_implILb1ES3_NS6_12zip_iteratorINS7_INS6_11hip_rocprim26transform_input_iterator_tIbNSD_35transform_pair_of_input_iterators_tIbNS6_6detail15normal_iteratorINS6_10device_ptrIKiEEEESL_NS6_8equal_toIiEEEENSG_9not_fun_tINSD_8identityEEEEENSD_19counting_iterator_tIlEES8_S8_S8_S8_S8_S8_S8_S8_EEEEPS9_S9_NSD_9__find_if7functorIS9_EEEE10hipError_tPvRmT1_T2_T3_mT4_P12ihipStream_tbEUlT_E0_NS1_11comp_targetILNS1_3genE10ELNS1_11target_archE1200ELNS1_3gpuE4ELNS1_3repE0EEENS1_30default_config_static_selectorELNS0_4arch9wavefront6targetE1EEEvS14_,"axG",@progbits,_ZN7rocprim17ROCPRIM_400000_NS6detail17trampoline_kernelINS0_14default_configENS1_22reduce_config_selectorIN6thrust23THRUST_200600_302600_NS5tupleIblNS6_9null_typeES8_S8_S8_S8_S8_S8_S8_EEEEZNS1_11reduce_implILb1ES3_NS6_12zip_iteratorINS7_INS6_11hip_rocprim26transform_input_iterator_tIbNSD_35transform_pair_of_input_iterators_tIbNS6_6detail15normal_iteratorINS6_10device_ptrIKiEEEESL_NS6_8equal_toIiEEEENSG_9not_fun_tINSD_8identityEEEEENSD_19counting_iterator_tIlEES8_S8_S8_S8_S8_S8_S8_S8_EEEEPS9_S9_NSD_9__find_if7functorIS9_EEEE10hipError_tPvRmT1_T2_T3_mT4_P12ihipStream_tbEUlT_E0_NS1_11comp_targetILNS1_3genE10ELNS1_11target_archE1200ELNS1_3gpuE4ELNS1_3repE0EEENS1_30default_config_static_selectorELNS0_4arch9wavefront6targetE1EEEvS14_,comdat
	.protected	_ZN7rocprim17ROCPRIM_400000_NS6detail17trampoline_kernelINS0_14default_configENS1_22reduce_config_selectorIN6thrust23THRUST_200600_302600_NS5tupleIblNS6_9null_typeES8_S8_S8_S8_S8_S8_S8_EEEEZNS1_11reduce_implILb1ES3_NS6_12zip_iteratorINS7_INS6_11hip_rocprim26transform_input_iterator_tIbNSD_35transform_pair_of_input_iterators_tIbNS6_6detail15normal_iteratorINS6_10device_ptrIKiEEEESL_NS6_8equal_toIiEEEENSG_9not_fun_tINSD_8identityEEEEENSD_19counting_iterator_tIlEES8_S8_S8_S8_S8_S8_S8_S8_EEEEPS9_S9_NSD_9__find_if7functorIS9_EEEE10hipError_tPvRmT1_T2_T3_mT4_P12ihipStream_tbEUlT_E0_NS1_11comp_targetILNS1_3genE10ELNS1_11target_archE1200ELNS1_3gpuE4ELNS1_3repE0EEENS1_30default_config_static_selectorELNS0_4arch9wavefront6targetE1EEEvS14_ ; -- Begin function _ZN7rocprim17ROCPRIM_400000_NS6detail17trampoline_kernelINS0_14default_configENS1_22reduce_config_selectorIN6thrust23THRUST_200600_302600_NS5tupleIblNS6_9null_typeES8_S8_S8_S8_S8_S8_S8_EEEEZNS1_11reduce_implILb1ES3_NS6_12zip_iteratorINS7_INS6_11hip_rocprim26transform_input_iterator_tIbNSD_35transform_pair_of_input_iterators_tIbNS6_6detail15normal_iteratorINS6_10device_ptrIKiEEEESL_NS6_8equal_toIiEEEENSG_9not_fun_tINSD_8identityEEEEENSD_19counting_iterator_tIlEES8_S8_S8_S8_S8_S8_S8_S8_EEEEPS9_S9_NSD_9__find_if7functorIS9_EEEE10hipError_tPvRmT1_T2_T3_mT4_P12ihipStream_tbEUlT_E0_NS1_11comp_targetILNS1_3genE10ELNS1_11target_archE1200ELNS1_3gpuE4ELNS1_3repE0EEENS1_30default_config_static_selectorELNS0_4arch9wavefront6targetE1EEEvS14_
	.globl	_ZN7rocprim17ROCPRIM_400000_NS6detail17trampoline_kernelINS0_14default_configENS1_22reduce_config_selectorIN6thrust23THRUST_200600_302600_NS5tupleIblNS6_9null_typeES8_S8_S8_S8_S8_S8_S8_EEEEZNS1_11reduce_implILb1ES3_NS6_12zip_iteratorINS7_INS6_11hip_rocprim26transform_input_iterator_tIbNSD_35transform_pair_of_input_iterators_tIbNS6_6detail15normal_iteratorINS6_10device_ptrIKiEEEESL_NS6_8equal_toIiEEEENSG_9not_fun_tINSD_8identityEEEEENSD_19counting_iterator_tIlEES8_S8_S8_S8_S8_S8_S8_S8_EEEEPS9_S9_NSD_9__find_if7functorIS9_EEEE10hipError_tPvRmT1_T2_T3_mT4_P12ihipStream_tbEUlT_E0_NS1_11comp_targetILNS1_3genE10ELNS1_11target_archE1200ELNS1_3gpuE4ELNS1_3repE0EEENS1_30default_config_static_selectorELNS0_4arch9wavefront6targetE1EEEvS14_
	.p2align	8
	.type	_ZN7rocprim17ROCPRIM_400000_NS6detail17trampoline_kernelINS0_14default_configENS1_22reduce_config_selectorIN6thrust23THRUST_200600_302600_NS5tupleIblNS6_9null_typeES8_S8_S8_S8_S8_S8_S8_EEEEZNS1_11reduce_implILb1ES3_NS6_12zip_iteratorINS7_INS6_11hip_rocprim26transform_input_iterator_tIbNSD_35transform_pair_of_input_iterators_tIbNS6_6detail15normal_iteratorINS6_10device_ptrIKiEEEESL_NS6_8equal_toIiEEEENSG_9not_fun_tINSD_8identityEEEEENSD_19counting_iterator_tIlEES8_S8_S8_S8_S8_S8_S8_S8_EEEEPS9_S9_NSD_9__find_if7functorIS9_EEEE10hipError_tPvRmT1_T2_T3_mT4_P12ihipStream_tbEUlT_E0_NS1_11comp_targetILNS1_3genE10ELNS1_11target_archE1200ELNS1_3gpuE4ELNS1_3repE0EEENS1_30default_config_static_selectorELNS0_4arch9wavefront6targetE1EEEvS14_,@function
_ZN7rocprim17ROCPRIM_400000_NS6detail17trampoline_kernelINS0_14default_configENS1_22reduce_config_selectorIN6thrust23THRUST_200600_302600_NS5tupleIblNS6_9null_typeES8_S8_S8_S8_S8_S8_S8_EEEEZNS1_11reduce_implILb1ES3_NS6_12zip_iteratorINS7_INS6_11hip_rocprim26transform_input_iterator_tIbNSD_35transform_pair_of_input_iterators_tIbNS6_6detail15normal_iteratorINS6_10device_ptrIKiEEEESL_NS6_8equal_toIiEEEENSG_9not_fun_tINSD_8identityEEEEENSD_19counting_iterator_tIlEES8_S8_S8_S8_S8_S8_S8_S8_EEEEPS9_S9_NSD_9__find_if7functorIS9_EEEE10hipError_tPvRmT1_T2_T3_mT4_P12ihipStream_tbEUlT_E0_NS1_11comp_targetILNS1_3genE10ELNS1_11target_archE1200ELNS1_3gpuE4ELNS1_3repE0EEENS1_30default_config_static_selectorELNS0_4arch9wavefront6targetE1EEEvS14_: ; @_ZN7rocprim17ROCPRIM_400000_NS6detail17trampoline_kernelINS0_14default_configENS1_22reduce_config_selectorIN6thrust23THRUST_200600_302600_NS5tupleIblNS6_9null_typeES8_S8_S8_S8_S8_S8_S8_EEEEZNS1_11reduce_implILb1ES3_NS6_12zip_iteratorINS7_INS6_11hip_rocprim26transform_input_iterator_tIbNSD_35transform_pair_of_input_iterators_tIbNS6_6detail15normal_iteratorINS6_10device_ptrIKiEEEESL_NS6_8equal_toIiEEEENSG_9not_fun_tINSD_8identityEEEEENSD_19counting_iterator_tIlEES8_S8_S8_S8_S8_S8_S8_S8_EEEEPS9_S9_NSD_9__find_if7functorIS9_EEEE10hipError_tPvRmT1_T2_T3_mT4_P12ihipStream_tbEUlT_E0_NS1_11comp_targetILNS1_3genE10ELNS1_11target_archE1200ELNS1_3gpuE4ELNS1_3repE0EEENS1_30default_config_static_selectorELNS0_4arch9wavefront6targetE1EEEvS14_
; %bb.0:
	.section	.rodata,"a",@progbits
	.p2align	6, 0x0
	.amdhsa_kernel _ZN7rocprim17ROCPRIM_400000_NS6detail17trampoline_kernelINS0_14default_configENS1_22reduce_config_selectorIN6thrust23THRUST_200600_302600_NS5tupleIblNS6_9null_typeES8_S8_S8_S8_S8_S8_S8_EEEEZNS1_11reduce_implILb1ES3_NS6_12zip_iteratorINS7_INS6_11hip_rocprim26transform_input_iterator_tIbNSD_35transform_pair_of_input_iterators_tIbNS6_6detail15normal_iteratorINS6_10device_ptrIKiEEEESL_NS6_8equal_toIiEEEENSG_9not_fun_tINSD_8identityEEEEENSD_19counting_iterator_tIlEES8_S8_S8_S8_S8_S8_S8_S8_EEEEPS9_S9_NSD_9__find_if7functorIS9_EEEE10hipError_tPvRmT1_T2_T3_mT4_P12ihipStream_tbEUlT_E0_NS1_11comp_targetILNS1_3genE10ELNS1_11target_archE1200ELNS1_3gpuE4ELNS1_3repE0EEENS1_30default_config_static_selectorELNS0_4arch9wavefront6targetE1EEEvS14_
		.amdhsa_group_segment_fixed_size 0
		.amdhsa_private_segment_fixed_size 0
		.amdhsa_kernarg_size 104
		.amdhsa_user_sgpr_count 2
		.amdhsa_user_sgpr_dispatch_ptr 0
		.amdhsa_user_sgpr_queue_ptr 0
		.amdhsa_user_sgpr_kernarg_segment_ptr 1
		.amdhsa_user_sgpr_dispatch_id 0
		.amdhsa_user_sgpr_kernarg_preload_length 0
		.amdhsa_user_sgpr_kernarg_preload_offset 0
		.amdhsa_user_sgpr_private_segment_size 0
		.amdhsa_uses_dynamic_stack 0
		.amdhsa_enable_private_segment 0
		.amdhsa_system_sgpr_workgroup_id_x 1
		.amdhsa_system_sgpr_workgroup_id_y 0
		.amdhsa_system_sgpr_workgroup_id_z 0
		.amdhsa_system_sgpr_workgroup_info 0
		.amdhsa_system_vgpr_workitem_id 0
		.amdhsa_next_free_vgpr 1
		.amdhsa_next_free_sgpr 0
		.amdhsa_accum_offset 4
		.amdhsa_reserve_vcc 0
		.amdhsa_float_round_mode_32 0
		.amdhsa_float_round_mode_16_64 0
		.amdhsa_float_denorm_mode_32 3
		.amdhsa_float_denorm_mode_16_64 3
		.amdhsa_dx10_clamp 1
		.amdhsa_ieee_mode 1
		.amdhsa_fp16_overflow 0
		.amdhsa_tg_split 0
		.amdhsa_exception_fp_ieee_invalid_op 0
		.amdhsa_exception_fp_denorm_src 0
		.amdhsa_exception_fp_ieee_div_zero 0
		.amdhsa_exception_fp_ieee_overflow 0
		.amdhsa_exception_fp_ieee_underflow 0
		.amdhsa_exception_fp_ieee_inexact 0
		.amdhsa_exception_int_div_zero 0
	.end_amdhsa_kernel
	.section	.text._ZN7rocprim17ROCPRIM_400000_NS6detail17trampoline_kernelINS0_14default_configENS1_22reduce_config_selectorIN6thrust23THRUST_200600_302600_NS5tupleIblNS6_9null_typeES8_S8_S8_S8_S8_S8_S8_EEEEZNS1_11reduce_implILb1ES3_NS6_12zip_iteratorINS7_INS6_11hip_rocprim26transform_input_iterator_tIbNSD_35transform_pair_of_input_iterators_tIbNS6_6detail15normal_iteratorINS6_10device_ptrIKiEEEESL_NS6_8equal_toIiEEEENSG_9not_fun_tINSD_8identityEEEEENSD_19counting_iterator_tIlEES8_S8_S8_S8_S8_S8_S8_S8_EEEEPS9_S9_NSD_9__find_if7functorIS9_EEEE10hipError_tPvRmT1_T2_T3_mT4_P12ihipStream_tbEUlT_E0_NS1_11comp_targetILNS1_3genE10ELNS1_11target_archE1200ELNS1_3gpuE4ELNS1_3repE0EEENS1_30default_config_static_selectorELNS0_4arch9wavefront6targetE1EEEvS14_,"axG",@progbits,_ZN7rocprim17ROCPRIM_400000_NS6detail17trampoline_kernelINS0_14default_configENS1_22reduce_config_selectorIN6thrust23THRUST_200600_302600_NS5tupleIblNS6_9null_typeES8_S8_S8_S8_S8_S8_S8_EEEEZNS1_11reduce_implILb1ES3_NS6_12zip_iteratorINS7_INS6_11hip_rocprim26transform_input_iterator_tIbNSD_35transform_pair_of_input_iterators_tIbNS6_6detail15normal_iteratorINS6_10device_ptrIKiEEEESL_NS6_8equal_toIiEEEENSG_9not_fun_tINSD_8identityEEEEENSD_19counting_iterator_tIlEES8_S8_S8_S8_S8_S8_S8_S8_EEEEPS9_S9_NSD_9__find_if7functorIS9_EEEE10hipError_tPvRmT1_T2_T3_mT4_P12ihipStream_tbEUlT_E0_NS1_11comp_targetILNS1_3genE10ELNS1_11target_archE1200ELNS1_3gpuE4ELNS1_3repE0EEENS1_30default_config_static_selectorELNS0_4arch9wavefront6targetE1EEEvS14_,comdat
.Lfunc_end1479:
	.size	_ZN7rocprim17ROCPRIM_400000_NS6detail17trampoline_kernelINS0_14default_configENS1_22reduce_config_selectorIN6thrust23THRUST_200600_302600_NS5tupleIblNS6_9null_typeES8_S8_S8_S8_S8_S8_S8_EEEEZNS1_11reduce_implILb1ES3_NS6_12zip_iteratorINS7_INS6_11hip_rocprim26transform_input_iterator_tIbNSD_35transform_pair_of_input_iterators_tIbNS6_6detail15normal_iteratorINS6_10device_ptrIKiEEEESL_NS6_8equal_toIiEEEENSG_9not_fun_tINSD_8identityEEEEENSD_19counting_iterator_tIlEES8_S8_S8_S8_S8_S8_S8_S8_EEEEPS9_S9_NSD_9__find_if7functorIS9_EEEE10hipError_tPvRmT1_T2_T3_mT4_P12ihipStream_tbEUlT_E0_NS1_11comp_targetILNS1_3genE10ELNS1_11target_archE1200ELNS1_3gpuE4ELNS1_3repE0EEENS1_30default_config_static_selectorELNS0_4arch9wavefront6targetE1EEEvS14_, .Lfunc_end1479-_ZN7rocprim17ROCPRIM_400000_NS6detail17trampoline_kernelINS0_14default_configENS1_22reduce_config_selectorIN6thrust23THRUST_200600_302600_NS5tupleIblNS6_9null_typeES8_S8_S8_S8_S8_S8_S8_EEEEZNS1_11reduce_implILb1ES3_NS6_12zip_iteratorINS7_INS6_11hip_rocprim26transform_input_iterator_tIbNSD_35transform_pair_of_input_iterators_tIbNS6_6detail15normal_iteratorINS6_10device_ptrIKiEEEESL_NS6_8equal_toIiEEEENSG_9not_fun_tINSD_8identityEEEEENSD_19counting_iterator_tIlEES8_S8_S8_S8_S8_S8_S8_S8_EEEEPS9_S9_NSD_9__find_if7functorIS9_EEEE10hipError_tPvRmT1_T2_T3_mT4_P12ihipStream_tbEUlT_E0_NS1_11comp_targetILNS1_3genE10ELNS1_11target_archE1200ELNS1_3gpuE4ELNS1_3repE0EEENS1_30default_config_static_selectorELNS0_4arch9wavefront6targetE1EEEvS14_
                                        ; -- End function
	.set _ZN7rocprim17ROCPRIM_400000_NS6detail17trampoline_kernelINS0_14default_configENS1_22reduce_config_selectorIN6thrust23THRUST_200600_302600_NS5tupleIblNS6_9null_typeES8_S8_S8_S8_S8_S8_S8_EEEEZNS1_11reduce_implILb1ES3_NS6_12zip_iteratorINS7_INS6_11hip_rocprim26transform_input_iterator_tIbNSD_35transform_pair_of_input_iterators_tIbNS6_6detail15normal_iteratorINS6_10device_ptrIKiEEEESL_NS6_8equal_toIiEEEENSG_9not_fun_tINSD_8identityEEEEENSD_19counting_iterator_tIlEES8_S8_S8_S8_S8_S8_S8_S8_EEEEPS9_S9_NSD_9__find_if7functorIS9_EEEE10hipError_tPvRmT1_T2_T3_mT4_P12ihipStream_tbEUlT_E0_NS1_11comp_targetILNS1_3genE10ELNS1_11target_archE1200ELNS1_3gpuE4ELNS1_3repE0EEENS1_30default_config_static_selectorELNS0_4arch9wavefront6targetE1EEEvS14_.num_vgpr, 0
	.set _ZN7rocprim17ROCPRIM_400000_NS6detail17trampoline_kernelINS0_14default_configENS1_22reduce_config_selectorIN6thrust23THRUST_200600_302600_NS5tupleIblNS6_9null_typeES8_S8_S8_S8_S8_S8_S8_EEEEZNS1_11reduce_implILb1ES3_NS6_12zip_iteratorINS7_INS6_11hip_rocprim26transform_input_iterator_tIbNSD_35transform_pair_of_input_iterators_tIbNS6_6detail15normal_iteratorINS6_10device_ptrIKiEEEESL_NS6_8equal_toIiEEEENSG_9not_fun_tINSD_8identityEEEEENSD_19counting_iterator_tIlEES8_S8_S8_S8_S8_S8_S8_S8_EEEEPS9_S9_NSD_9__find_if7functorIS9_EEEE10hipError_tPvRmT1_T2_T3_mT4_P12ihipStream_tbEUlT_E0_NS1_11comp_targetILNS1_3genE10ELNS1_11target_archE1200ELNS1_3gpuE4ELNS1_3repE0EEENS1_30default_config_static_selectorELNS0_4arch9wavefront6targetE1EEEvS14_.num_agpr, 0
	.set _ZN7rocprim17ROCPRIM_400000_NS6detail17trampoline_kernelINS0_14default_configENS1_22reduce_config_selectorIN6thrust23THRUST_200600_302600_NS5tupleIblNS6_9null_typeES8_S8_S8_S8_S8_S8_S8_EEEEZNS1_11reduce_implILb1ES3_NS6_12zip_iteratorINS7_INS6_11hip_rocprim26transform_input_iterator_tIbNSD_35transform_pair_of_input_iterators_tIbNS6_6detail15normal_iteratorINS6_10device_ptrIKiEEEESL_NS6_8equal_toIiEEEENSG_9not_fun_tINSD_8identityEEEEENSD_19counting_iterator_tIlEES8_S8_S8_S8_S8_S8_S8_S8_EEEEPS9_S9_NSD_9__find_if7functorIS9_EEEE10hipError_tPvRmT1_T2_T3_mT4_P12ihipStream_tbEUlT_E0_NS1_11comp_targetILNS1_3genE10ELNS1_11target_archE1200ELNS1_3gpuE4ELNS1_3repE0EEENS1_30default_config_static_selectorELNS0_4arch9wavefront6targetE1EEEvS14_.numbered_sgpr, 0
	.set _ZN7rocprim17ROCPRIM_400000_NS6detail17trampoline_kernelINS0_14default_configENS1_22reduce_config_selectorIN6thrust23THRUST_200600_302600_NS5tupleIblNS6_9null_typeES8_S8_S8_S8_S8_S8_S8_EEEEZNS1_11reduce_implILb1ES3_NS6_12zip_iteratorINS7_INS6_11hip_rocprim26transform_input_iterator_tIbNSD_35transform_pair_of_input_iterators_tIbNS6_6detail15normal_iteratorINS6_10device_ptrIKiEEEESL_NS6_8equal_toIiEEEENSG_9not_fun_tINSD_8identityEEEEENSD_19counting_iterator_tIlEES8_S8_S8_S8_S8_S8_S8_S8_EEEEPS9_S9_NSD_9__find_if7functorIS9_EEEE10hipError_tPvRmT1_T2_T3_mT4_P12ihipStream_tbEUlT_E0_NS1_11comp_targetILNS1_3genE10ELNS1_11target_archE1200ELNS1_3gpuE4ELNS1_3repE0EEENS1_30default_config_static_selectorELNS0_4arch9wavefront6targetE1EEEvS14_.num_named_barrier, 0
	.set _ZN7rocprim17ROCPRIM_400000_NS6detail17trampoline_kernelINS0_14default_configENS1_22reduce_config_selectorIN6thrust23THRUST_200600_302600_NS5tupleIblNS6_9null_typeES8_S8_S8_S8_S8_S8_S8_EEEEZNS1_11reduce_implILb1ES3_NS6_12zip_iteratorINS7_INS6_11hip_rocprim26transform_input_iterator_tIbNSD_35transform_pair_of_input_iterators_tIbNS6_6detail15normal_iteratorINS6_10device_ptrIKiEEEESL_NS6_8equal_toIiEEEENSG_9not_fun_tINSD_8identityEEEEENSD_19counting_iterator_tIlEES8_S8_S8_S8_S8_S8_S8_S8_EEEEPS9_S9_NSD_9__find_if7functorIS9_EEEE10hipError_tPvRmT1_T2_T3_mT4_P12ihipStream_tbEUlT_E0_NS1_11comp_targetILNS1_3genE10ELNS1_11target_archE1200ELNS1_3gpuE4ELNS1_3repE0EEENS1_30default_config_static_selectorELNS0_4arch9wavefront6targetE1EEEvS14_.private_seg_size, 0
	.set _ZN7rocprim17ROCPRIM_400000_NS6detail17trampoline_kernelINS0_14default_configENS1_22reduce_config_selectorIN6thrust23THRUST_200600_302600_NS5tupleIblNS6_9null_typeES8_S8_S8_S8_S8_S8_S8_EEEEZNS1_11reduce_implILb1ES3_NS6_12zip_iteratorINS7_INS6_11hip_rocprim26transform_input_iterator_tIbNSD_35transform_pair_of_input_iterators_tIbNS6_6detail15normal_iteratorINS6_10device_ptrIKiEEEESL_NS6_8equal_toIiEEEENSG_9not_fun_tINSD_8identityEEEEENSD_19counting_iterator_tIlEES8_S8_S8_S8_S8_S8_S8_S8_EEEEPS9_S9_NSD_9__find_if7functorIS9_EEEE10hipError_tPvRmT1_T2_T3_mT4_P12ihipStream_tbEUlT_E0_NS1_11comp_targetILNS1_3genE10ELNS1_11target_archE1200ELNS1_3gpuE4ELNS1_3repE0EEENS1_30default_config_static_selectorELNS0_4arch9wavefront6targetE1EEEvS14_.uses_vcc, 0
	.set _ZN7rocprim17ROCPRIM_400000_NS6detail17trampoline_kernelINS0_14default_configENS1_22reduce_config_selectorIN6thrust23THRUST_200600_302600_NS5tupleIblNS6_9null_typeES8_S8_S8_S8_S8_S8_S8_EEEEZNS1_11reduce_implILb1ES3_NS6_12zip_iteratorINS7_INS6_11hip_rocprim26transform_input_iterator_tIbNSD_35transform_pair_of_input_iterators_tIbNS6_6detail15normal_iteratorINS6_10device_ptrIKiEEEESL_NS6_8equal_toIiEEEENSG_9not_fun_tINSD_8identityEEEEENSD_19counting_iterator_tIlEES8_S8_S8_S8_S8_S8_S8_S8_EEEEPS9_S9_NSD_9__find_if7functorIS9_EEEE10hipError_tPvRmT1_T2_T3_mT4_P12ihipStream_tbEUlT_E0_NS1_11comp_targetILNS1_3genE10ELNS1_11target_archE1200ELNS1_3gpuE4ELNS1_3repE0EEENS1_30default_config_static_selectorELNS0_4arch9wavefront6targetE1EEEvS14_.uses_flat_scratch, 0
	.set _ZN7rocprim17ROCPRIM_400000_NS6detail17trampoline_kernelINS0_14default_configENS1_22reduce_config_selectorIN6thrust23THRUST_200600_302600_NS5tupleIblNS6_9null_typeES8_S8_S8_S8_S8_S8_S8_EEEEZNS1_11reduce_implILb1ES3_NS6_12zip_iteratorINS7_INS6_11hip_rocprim26transform_input_iterator_tIbNSD_35transform_pair_of_input_iterators_tIbNS6_6detail15normal_iteratorINS6_10device_ptrIKiEEEESL_NS6_8equal_toIiEEEENSG_9not_fun_tINSD_8identityEEEEENSD_19counting_iterator_tIlEES8_S8_S8_S8_S8_S8_S8_S8_EEEEPS9_S9_NSD_9__find_if7functorIS9_EEEE10hipError_tPvRmT1_T2_T3_mT4_P12ihipStream_tbEUlT_E0_NS1_11comp_targetILNS1_3genE10ELNS1_11target_archE1200ELNS1_3gpuE4ELNS1_3repE0EEENS1_30default_config_static_selectorELNS0_4arch9wavefront6targetE1EEEvS14_.has_dyn_sized_stack, 0
	.set _ZN7rocprim17ROCPRIM_400000_NS6detail17trampoline_kernelINS0_14default_configENS1_22reduce_config_selectorIN6thrust23THRUST_200600_302600_NS5tupleIblNS6_9null_typeES8_S8_S8_S8_S8_S8_S8_EEEEZNS1_11reduce_implILb1ES3_NS6_12zip_iteratorINS7_INS6_11hip_rocprim26transform_input_iterator_tIbNSD_35transform_pair_of_input_iterators_tIbNS6_6detail15normal_iteratorINS6_10device_ptrIKiEEEESL_NS6_8equal_toIiEEEENSG_9not_fun_tINSD_8identityEEEEENSD_19counting_iterator_tIlEES8_S8_S8_S8_S8_S8_S8_S8_EEEEPS9_S9_NSD_9__find_if7functorIS9_EEEE10hipError_tPvRmT1_T2_T3_mT4_P12ihipStream_tbEUlT_E0_NS1_11comp_targetILNS1_3genE10ELNS1_11target_archE1200ELNS1_3gpuE4ELNS1_3repE0EEENS1_30default_config_static_selectorELNS0_4arch9wavefront6targetE1EEEvS14_.has_recursion, 0
	.set _ZN7rocprim17ROCPRIM_400000_NS6detail17trampoline_kernelINS0_14default_configENS1_22reduce_config_selectorIN6thrust23THRUST_200600_302600_NS5tupleIblNS6_9null_typeES8_S8_S8_S8_S8_S8_S8_EEEEZNS1_11reduce_implILb1ES3_NS6_12zip_iteratorINS7_INS6_11hip_rocprim26transform_input_iterator_tIbNSD_35transform_pair_of_input_iterators_tIbNS6_6detail15normal_iteratorINS6_10device_ptrIKiEEEESL_NS6_8equal_toIiEEEENSG_9not_fun_tINSD_8identityEEEEENSD_19counting_iterator_tIlEES8_S8_S8_S8_S8_S8_S8_S8_EEEEPS9_S9_NSD_9__find_if7functorIS9_EEEE10hipError_tPvRmT1_T2_T3_mT4_P12ihipStream_tbEUlT_E0_NS1_11comp_targetILNS1_3genE10ELNS1_11target_archE1200ELNS1_3gpuE4ELNS1_3repE0EEENS1_30default_config_static_selectorELNS0_4arch9wavefront6targetE1EEEvS14_.has_indirect_call, 0
	.section	.AMDGPU.csdata,"",@progbits
; Kernel info:
; codeLenInByte = 0
; TotalNumSgprs: 6
; NumVgprs: 0
; NumAgprs: 0
; TotalNumVgprs: 0
; ScratchSize: 0
; MemoryBound: 0
; FloatMode: 240
; IeeeMode: 1
; LDSByteSize: 0 bytes/workgroup (compile time only)
; SGPRBlocks: 0
; VGPRBlocks: 0
; NumSGPRsForWavesPerEU: 6
; NumVGPRsForWavesPerEU: 1
; AccumOffset: 4
; Occupancy: 8
; WaveLimiterHint : 0
; COMPUTE_PGM_RSRC2:SCRATCH_EN: 0
; COMPUTE_PGM_RSRC2:USER_SGPR: 2
; COMPUTE_PGM_RSRC2:TRAP_HANDLER: 0
; COMPUTE_PGM_RSRC2:TGID_X_EN: 1
; COMPUTE_PGM_RSRC2:TGID_Y_EN: 0
; COMPUTE_PGM_RSRC2:TGID_Z_EN: 0
; COMPUTE_PGM_RSRC2:TIDIG_COMP_CNT: 0
; COMPUTE_PGM_RSRC3_GFX90A:ACCUM_OFFSET: 0
; COMPUTE_PGM_RSRC3_GFX90A:TG_SPLIT: 0
	.section	.text._ZN7rocprim17ROCPRIM_400000_NS6detail17trampoline_kernelINS0_14default_configENS1_22reduce_config_selectorIN6thrust23THRUST_200600_302600_NS5tupleIblNS6_9null_typeES8_S8_S8_S8_S8_S8_S8_EEEEZNS1_11reduce_implILb1ES3_NS6_12zip_iteratorINS7_INS6_11hip_rocprim26transform_input_iterator_tIbNSD_35transform_pair_of_input_iterators_tIbNS6_6detail15normal_iteratorINS6_10device_ptrIKiEEEESL_NS6_8equal_toIiEEEENSG_9not_fun_tINSD_8identityEEEEENSD_19counting_iterator_tIlEES8_S8_S8_S8_S8_S8_S8_S8_EEEEPS9_S9_NSD_9__find_if7functorIS9_EEEE10hipError_tPvRmT1_T2_T3_mT4_P12ihipStream_tbEUlT_E0_NS1_11comp_targetILNS1_3genE9ELNS1_11target_archE1100ELNS1_3gpuE3ELNS1_3repE0EEENS1_30default_config_static_selectorELNS0_4arch9wavefront6targetE1EEEvS14_,"axG",@progbits,_ZN7rocprim17ROCPRIM_400000_NS6detail17trampoline_kernelINS0_14default_configENS1_22reduce_config_selectorIN6thrust23THRUST_200600_302600_NS5tupleIblNS6_9null_typeES8_S8_S8_S8_S8_S8_S8_EEEEZNS1_11reduce_implILb1ES3_NS6_12zip_iteratorINS7_INS6_11hip_rocprim26transform_input_iterator_tIbNSD_35transform_pair_of_input_iterators_tIbNS6_6detail15normal_iteratorINS6_10device_ptrIKiEEEESL_NS6_8equal_toIiEEEENSG_9not_fun_tINSD_8identityEEEEENSD_19counting_iterator_tIlEES8_S8_S8_S8_S8_S8_S8_S8_EEEEPS9_S9_NSD_9__find_if7functorIS9_EEEE10hipError_tPvRmT1_T2_T3_mT4_P12ihipStream_tbEUlT_E0_NS1_11comp_targetILNS1_3genE9ELNS1_11target_archE1100ELNS1_3gpuE3ELNS1_3repE0EEENS1_30default_config_static_selectorELNS0_4arch9wavefront6targetE1EEEvS14_,comdat
	.protected	_ZN7rocprim17ROCPRIM_400000_NS6detail17trampoline_kernelINS0_14default_configENS1_22reduce_config_selectorIN6thrust23THRUST_200600_302600_NS5tupleIblNS6_9null_typeES8_S8_S8_S8_S8_S8_S8_EEEEZNS1_11reduce_implILb1ES3_NS6_12zip_iteratorINS7_INS6_11hip_rocprim26transform_input_iterator_tIbNSD_35transform_pair_of_input_iterators_tIbNS6_6detail15normal_iteratorINS6_10device_ptrIKiEEEESL_NS6_8equal_toIiEEEENSG_9not_fun_tINSD_8identityEEEEENSD_19counting_iterator_tIlEES8_S8_S8_S8_S8_S8_S8_S8_EEEEPS9_S9_NSD_9__find_if7functorIS9_EEEE10hipError_tPvRmT1_T2_T3_mT4_P12ihipStream_tbEUlT_E0_NS1_11comp_targetILNS1_3genE9ELNS1_11target_archE1100ELNS1_3gpuE3ELNS1_3repE0EEENS1_30default_config_static_selectorELNS0_4arch9wavefront6targetE1EEEvS14_ ; -- Begin function _ZN7rocprim17ROCPRIM_400000_NS6detail17trampoline_kernelINS0_14default_configENS1_22reduce_config_selectorIN6thrust23THRUST_200600_302600_NS5tupleIblNS6_9null_typeES8_S8_S8_S8_S8_S8_S8_EEEEZNS1_11reduce_implILb1ES3_NS6_12zip_iteratorINS7_INS6_11hip_rocprim26transform_input_iterator_tIbNSD_35transform_pair_of_input_iterators_tIbNS6_6detail15normal_iteratorINS6_10device_ptrIKiEEEESL_NS6_8equal_toIiEEEENSG_9not_fun_tINSD_8identityEEEEENSD_19counting_iterator_tIlEES8_S8_S8_S8_S8_S8_S8_S8_EEEEPS9_S9_NSD_9__find_if7functorIS9_EEEE10hipError_tPvRmT1_T2_T3_mT4_P12ihipStream_tbEUlT_E0_NS1_11comp_targetILNS1_3genE9ELNS1_11target_archE1100ELNS1_3gpuE3ELNS1_3repE0EEENS1_30default_config_static_selectorELNS0_4arch9wavefront6targetE1EEEvS14_
	.globl	_ZN7rocprim17ROCPRIM_400000_NS6detail17trampoline_kernelINS0_14default_configENS1_22reduce_config_selectorIN6thrust23THRUST_200600_302600_NS5tupleIblNS6_9null_typeES8_S8_S8_S8_S8_S8_S8_EEEEZNS1_11reduce_implILb1ES3_NS6_12zip_iteratorINS7_INS6_11hip_rocprim26transform_input_iterator_tIbNSD_35transform_pair_of_input_iterators_tIbNS6_6detail15normal_iteratorINS6_10device_ptrIKiEEEESL_NS6_8equal_toIiEEEENSG_9not_fun_tINSD_8identityEEEEENSD_19counting_iterator_tIlEES8_S8_S8_S8_S8_S8_S8_S8_EEEEPS9_S9_NSD_9__find_if7functorIS9_EEEE10hipError_tPvRmT1_T2_T3_mT4_P12ihipStream_tbEUlT_E0_NS1_11comp_targetILNS1_3genE9ELNS1_11target_archE1100ELNS1_3gpuE3ELNS1_3repE0EEENS1_30default_config_static_selectorELNS0_4arch9wavefront6targetE1EEEvS14_
	.p2align	8
	.type	_ZN7rocprim17ROCPRIM_400000_NS6detail17trampoline_kernelINS0_14default_configENS1_22reduce_config_selectorIN6thrust23THRUST_200600_302600_NS5tupleIblNS6_9null_typeES8_S8_S8_S8_S8_S8_S8_EEEEZNS1_11reduce_implILb1ES3_NS6_12zip_iteratorINS7_INS6_11hip_rocprim26transform_input_iterator_tIbNSD_35transform_pair_of_input_iterators_tIbNS6_6detail15normal_iteratorINS6_10device_ptrIKiEEEESL_NS6_8equal_toIiEEEENSG_9not_fun_tINSD_8identityEEEEENSD_19counting_iterator_tIlEES8_S8_S8_S8_S8_S8_S8_S8_EEEEPS9_S9_NSD_9__find_if7functorIS9_EEEE10hipError_tPvRmT1_T2_T3_mT4_P12ihipStream_tbEUlT_E0_NS1_11comp_targetILNS1_3genE9ELNS1_11target_archE1100ELNS1_3gpuE3ELNS1_3repE0EEENS1_30default_config_static_selectorELNS0_4arch9wavefront6targetE1EEEvS14_,@function
_ZN7rocprim17ROCPRIM_400000_NS6detail17trampoline_kernelINS0_14default_configENS1_22reduce_config_selectorIN6thrust23THRUST_200600_302600_NS5tupleIblNS6_9null_typeES8_S8_S8_S8_S8_S8_S8_EEEEZNS1_11reduce_implILb1ES3_NS6_12zip_iteratorINS7_INS6_11hip_rocprim26transform_input_iterator_tIbNSD_35transform_pair_of_input_iterators_tIbNS6_6detail15normal_iteratorINS6_10device_ptrIKiEEEESL_NS6_8equal_toIiEEEENSG_9not_fun_tINSD_8identityEEEEENSD_19counting_iterator_tIlEES8_S8_S8_S8_S8_S8_S8_S8_EEEEPS9_S9_NSD_9__find_if7functorIS9_EEEE10hipError_tPvRmT1_T2_T3_mT4_P12ihipStream_tbEUlT_E0_NS1_11comp_targetILNS1_3genE9ELNS1_11target_archE1100ELNS1_3gpuE3ELNS1_3repE0EEENS1_30default_config_static_selectorELNS0_4arch9wavefront6targetE1EEEvS14_: ; @_ZN7rocprim17ROCPRIM_400000_NS6detail17trampoline_kernelINS0_14default_configENS1_22reduce_config_selectorIN6thrust23THRUST_200600_302600_NS5tupleIblNS6_9null_typeES8_S8_S8_S8_S8_S8_S8_EEEEZNS1_11reduce_implILb1ES3_NS6_12zip_iteratorINS7_INS6_11hip_rocprim26transform_input_iterator_tIbNSD_35transform_pair_of_input_iterators_tIbNS6_6detail15normal_iteratorINS6_10device_ptrIKiEEEESL_NS6_8equal_toIiEEEENSG_9not_fun_tINSD_8identityEEEEENSD_19counting_iterator_tIlEES8_S8_S8_S8_S8_S8_S8_S8_EEEEPS9_S9_NSD_9__find_if7functorIS9_EEEE10hipError_tPvRmT1_T2_T3_mT4_P12ihipStream_tbEUlT_E0_NS1_11comp_targetILNS1_3genE9ELNS1_11target_archE1100ELNS1_3gpuE3ELNS1_3repE0EEENS1_30default_config_static_selectorELNS0_4arch9wavefront6targetE1EEEvS14_
; %bb.0:
	.section	.rodata,"a",@progbits
	.p2align	6, 0x0
	.amdhsa_kernel _ZN7rocprim17ROCPRIM_400000_NS6detail17trampoline_kernelINS0_14default_configENS1_22reduce_config_selectorIN6thrust23THRUST_200600_302600_NS5tupleIblNS6_9null_typeES8_S8_S8_S8_S8_S8_S8_EEEEZNS1_11reduce_implILb1ES3_NS6_12zip_iteratorINS7_INS6_11hip_rocprim26transform_input_iterator_tIbNSD_35transform_pair_of_input_iterators_tIbNS6_6detail15normal_iteratorINS6_10device_ptrIKiEEEESL_NS6_8equal_toIiEEEENSG_9not_fun_tINSD_8identityEEEEENSD_19counting_iterator_tIlEES8_S8_S8_S8_S8_S8_S8_S8_EEEEPS9_S9_NSD_9__find_if7functorIS9_EEEE10hipError_tPvRmT1_T2_T3_mT4_P12ihipStream_tbEUlT_E0_NS1_11comp_targetILNS1_3genE9ELNS1_11target_archE1100ELNS1_3gpuE3ELNS1_3repE0EEENS1_30default_config_static_selectorELNS0_4arch9wavefront6targetE1EEEvS14_
		.amdhsa_group_segment_fixed_size 0
		.amdhsa_private_segment_fixed_size 0
		.amdhsa_kernarg_size 104
		.amdhsa_user_sgpr_count 2
		.amdhsa_user_sgpr_dispatch_ptr 0
		.amdhsa_user_sgpr_queue_ptr 0
		.amdhsa_user_sgpr_kernarg_segment_ptr 1
		.amdhsa_user_sgpr_dispatch_id 0
		.amdhsa_user_sgpr_kernarg_preload_length 0
		.amdhsa_user_sgpr_kernarg_preload_offset 0
		.amdhsa_user_sgpr_private_segment_size 0
		.amdhsa_uses_dynamic_stack 0
		.amdhsa_enable_private_segment 0
		.amdhsa_system_sgpr_workgroup_id_x 1
		.amdhsa_system_sgpr_workgroup_id_y 0
		.amdhsa_system_sgpr_workgroup_id_z 0
		.amdhsa_system_sgpr_workgroup_info 0
		.amdhsa_system_vgpr_workitem_id 0
		.amdhsa_next_free_vgpr 1
		.amdhsa_next_free_sgpr 0
		.amdhsa_accum_offset 4
		.amdhsa_reserve_vcc 0
		.amdhsa_float_round_mode_32 0
		.amdhsa_float_round_mode_16_64 0
		.amdhsa_float_denorm_mode_32 3
		.amdhsa_float_denorm_mode_16_64 3
		.amdhsa_dx10_clamp 1
		.amdhsa_ieee_mode 1
		.amdhsa_fp16_overflow 0
		.amdhsa_tg_split 0
		.amdhsa_exception_fp_ieee_invalid_op 0
		.amdhsa_exception_fp_denorm_src 0
		.amdhsa_exception_fp_ieee_div_zero 0
		.amdhsa_exception_fp_ieee_overflow 0
		.amdhsa_exception_fp_ieee_underflow 0
		.amdhsa_exception_fp_ieee_inexact 0
		.amdhsa_exception_int_div_zero 0
	.end_amdhsa_kernel
	.section	.text._ZN7rocprim17ROCPRIM_400000_NS6detail17trampoline_kernelINS0_14default_configENS1_22reduce_config_selectorIN6thrust23THRUST_200600_302600_NS5tupleIblNS6_9null_typeES8_S8_S8_S8_S8_S8_S8_EEEEZNS1_11reduce_implILb1ES3_NS6_12zip_iteratorINS7_INS6_11hip_rocprim26transform_input_iterator_tIbNSD_35transform_pair_of_input_iterators_tIbNS6_6detail15normal_iteratorINS6_10device_ptrIKiEEEESL_NS6_8equal_toIiEEEENSG_9not_fun_tINSD_8identityEEEEENSD_19counting_iterator_tIlEES8_S8_S8_S8_S8_S8_S8_S8_EEEEPS9_S9_NSD_9__find_if7functorIS9_EEEE10hipError_tPvRmT1_T2_T3_mT4_P12ihipStream_tbEUlT_E0_NS1_11comp_targetILNS1_3genE9ELNS1_11target_archE1100ELNS1_3gpuE3ELNS1_3repE0EEENS1_30default_config_static_selectorELNS0_4arch9wavefront6targetE1EEEvS14_,"axG",@progbits,_ZN7rocprim17ROCPRIM_400000_NS6detail17trampoline_kernelINS0_14default_configENS1_22reduce_config_selectorIN6thrust23THRUST_200600_302600_NS5tupleIblNS6_9null_typeES8_S8_S8_S8_S8_S8_S8_EEEEZNS1_11reduce_implILb1ES3_NS6_12zip_iteratorINS7_INS6_11hip_rocprim26transform_input_iterator_tIbNSD_35transform_pair_of_input_iterators_tIbNS6_6detail15normal_iteratorINS6_10device_ptrIKiEEEESL_NS6_8equal_toIiEEEENSG_9not_fun_tINSD_8identityEEEEENSD_19counting_iterator_tIlEES8_S8_S8_S8_S8_S8_S8_S8_EEEEPS9_S9_NSD_9__find_if7functorIS9_EEEE10hipError_tPvRmT1_T2_T3_mT4_P12ihipStream_tbEUlT_E0_NS1_11comp_targetILNS1_3genE9ELNS1_11target_archE1100ELNS1_3gpuE3ELNS1_3repE0EEENS1_30default_config_static_selectorELNS0_4arch9wavefront6targetE1EEEvS14_,comdat
.Lfunc_end1480:
	.size	_ZN7rocprim17ROCPRIM_400000_NS6detail17trampoline_kernelINS0_14default_configENS1_22reduce_config_selectorIN6thrust23THRUST_200600_302600_NS5tupleIblNS6_9null_typeES8_S8_S8_S8_S8_S8_S8_EEEEZNS1_11reduce_implILb1ES3_NS6_12zip_iteratorINS7_INS6_11hip_rocprim26transform_input_iterator_tIbNSD_35transform_pair_of_input_iterators_tIbNS6_6detail15normal_iteratorINS6_10device_ptrIKiEEEESL_NS6_8equal_toIiEEEENSG_9not_fun_tINSD_8identityEEEEENSD_19counting_iterator_tIlEES8_S8_S8_S8_S8_S8_S8_S8_EEEEPS9_S9_NSD_9__find_if7functorIS9_EEEE10hipError_tPvRmT1_T2_T3_mT4_P12ihipStream_tbEUlT_E0_NS1_11comp_targetILNS1_3genE9ELNS1_11target_archE1100ELNS1_3gpuE3ELNS1_3repE0EEENS1_30default_config_static_selectorELNS0_4arch9wavefront6targetE1EEEvS14_, .Lfunc_end1480-_ZN7rocprim17ROCPRIM_400000_NS6detail17trampoline_kernelINS0_14default_configENS1_22reduce_config_selectorIN6thrust23THRUST_200600_302600_NS5tupleIblNS6_9null_typeES8_S8_S8_S8_S8_S8_S8_EEEEZNS1_11reduce_implILb1ES3_NS6_12zip_iteratorINS7_INS6_11hip_rocprim26transform_input_iterator_tIbNSD_35transform_pair_of_input_iterators_tIbNS6_6detail15normal_iteratorINS6_10device_ptrIKiEEEESL_NS6_8equal_toIiEEEENSG_9not_fun_tINSD_8identityEEEEENSD_19counting_iterator_tIlEES8_S8_S8_S8_S8_S8_S8_S8_EEEEPS9_S9_NSD_9__find_if7functorIS9_EEEE10hipError_tPvRmT1_T2_T3_mT4_P12ihipStream_tbEUlT_E0_NS1_11comp_targetILNS1_3genE9ELNS1_11target_archE1100ELNS1_3gpuE3ELNS1_3repE0EEENS1_30default_config_static_selectorELNS0_4arch9wavefront6targetE1EEEvS14_
                                        ; -- End function
	.set _ZN7rocprim17ROCPRIM_400000_NS6detail17trampoline_kernelINS0_14default_configENS1_22reduce_config_selectorIN6thrust23THRUST_200600_302600_NS5tupleIblNS6_9null_typeES8_S8_S8_S8_S8_S8_S8_EEEEZNS1_11reduce_implILb1ES3_NS6_12zip_iteratorINS7_INS6_11hip_rocprim26transform_input_iterator_tIbNSD_35transform_pair_of_input_iterators_tIbNS6_6detail15normal_iteratorINS6_10device_ptrIKiEEEESL_NS6_8equal_toIiEEEENSG_9not_fun_tINSD_8identityEEEEENSD_19counting_iterator_tIlEES8_S8_S8_S8_S8_S8_S8_S8_EEEEPS9_S9_NSD_9__find_if7functorIS9_EEEE10hipError_tPvRmT1_T2_T3_mT4_P12ihipStream_tbEUlT_E0_NS1_11comp_targetILNS1_3genE9ELNS1_11target_archE1100ELNS1_3gpuE3ELNS1_3repE0EEENS1_30default_config_static_selectorELNS0_4arch9wavefront6targetE1EEEvS14_.num_vgpr, 0
	.set _ZN7rocprim17ROCPRIM_400000_NS6detail17trampoline_kernelINS0_14default_configENS1_22reduce_config_selectorIN6thrust23THRUST_200600_302600_NS5tupleIblNS6_9null_typeES8_S8_S8_S8_S8_S8_S8_EEEEZNS1_11reduce_implILb1ES3_NS6_12zip_iteratorINS7_INS6_11hip_rocprim26transform_input_iterator_tIbNSD_35transform_pair_of_input_iterators_tIbNS6_6detail15normal_iteratorINS6_10device_ptrIKiEEEESL_NS6_8equal_toIiEEEENSG_9not_fun_tINSD_8identityEEEEENSD_19counting_iterator_tIlEES8_S8_S8_S8_S8_S8_S8_S8_EEEEPS9_S9_NSD_9__find_if7functorIS9_EEEE10hipError_tPvRmT1_T2_T3_mT4_P12ihipStream_tbEUlT_E0_NS1_11comp_targetILNS1_3genE9ELNS1_11target_archE1100ELNS1_3gpuE3ELNS1_3repE0EEENS1_30default_config_static_selectorELNS0_4arch9wavefront6targetE1EEEvS14_.num_agpr, 0
	.set _ZN7rocprim17ROCPRIM_400000_NS6detail17trampoline_kernelINS0_14default_configENS1_22reduce_config_selectorIN6thrust23THRUST_200600_302600_NS5tupleIblNS6_9null_typeES8_S8_S8_S8_S8_S8_S8_EEEEZNS1_11reduce_implILb1ES3_NS6_12zip_iteratorINS7_INS6_11hip_rocprim26transform_input_iterator_tIbNSD_35transform_pair_of_input_iterators_tIbNS6_6detail15normal_iteratorINS6_10device_ptrIKiEEEESL_NS6_8equal_toIiEEEENSG_9not_fun_tINSD_8identityEEEEENSD_19counting_iterator_tIlEES8_S8_S8_S8_S8_S8_S8_S8_EEEEPS9_S9_NSD_9__find_if7functorIS9_EEEE10hipError_tPvRmT1_T2_T3_mT4_P12ihipStream_tbEUlT_E0_NS1_11comp_targetILNS1_3genE9ELNS1_11target_archE1100ELNS1_3gpuE3ELNS1_3repE0EEENS1_30default_config_static_selectorELNS0_4arch9wavefront6targetE1EEEvS14_.numbered_sgpr, 0
	.set _ZN7rocprim17ROCPRIM_400000_NS6detail17trampoline_kernelINS0_14default_configENS1_22reduce_config_selectorIN6thrust23THRUST_200600_302600_NS5tupleIblNS6_9null_typeES8_S8_S8_S8_S8_S8_S8_EEEEZNS1_11reduce_implILb1ES3_NS6_12zip_iteratorINS7_INS6_11hip_rocprim26transform_input_iterator_tIbNSD_35transform_pair_of_input_iterators_tIbNS6_6detail15normal_iteratorINS6_10device_ptrIKiEEEESL_NS6_8equal_toIiEEEENSG_9not_fun_tINSD_8identityEEEEENSD_19counting_iterator_tIlEES8_S8_S8_S8_S8_S8_S8_S8_EEEEPS9_S9_NSD_9__find_if7functorIS9_EEEE10hipError_tPvRmT1_T2_T3_mT4_P12ihipStream_tbEUlT_E0_NS1_11comp_targetILNS1_3genE9ELNS1_11target_archE1100ELNS1_3gpuE3ELNS1_3repE0EEENS1_30default_config_static_selectorELNS0_4arch9wavefront6targetE1EEEvS14_.num_named_barrier, 0
	.set _ZN7rocprim17ROCPRIM_400000_NS6detail17trampoline_kernelINS0_14default_configENS1_22reduce_config_selectorIN6thrust23THRUST_200600_302600_NS5tupleIblNS6_9null_typeES8_S8_S8_S8_S8_S8_S8_EEEEZNS1_11reduce_implILb1ES3_NS6_12zip_iteratorINS7_INS6_11hip_rocprim26transform_input_iterator_tIbNSD_35transform_pair_of_input_iterators_tIbNS6_6detail15normal_iteratorINS6_10device_ptrIKiEEEESL_NS6_8equal_toIiEEEENSG_9not_fun_tINSD_8identityEEEEENSD_19counting_iterator_tIlEES8_S8_S8_S8_S8_S8_S8_S8_EEEEPS9_S9_NSD_9__find_if7functorIS9_EEEE10hipError_tPvRmT1_T2_T3_mT4_P12ihipStream_tbEUlT_E0_NS1_11comp_targetILNS1_3genE9ELNS1_11target_archE1100ELNS1_3gpuE3ELNS1_3repE0EEENS1_30default_config_static_selectorELNS0_4arch9wavefront6targetE1EEEvS14_.private_seg_size, 0
	.set _ZN7rocprim17ROCPRIM_400000_NS6detail17trampoline_kernelINS0_14default_configENS1_22reduce_config_selectorIN6thrust23THRUST_200600_302600_NS5tupleIblNS6_9null_typeES8_S8_S8_S8_S8_S8_S8_EEEEZNS1_11reduce_implILb1ES3_NS6_12zip_iteratorINS7_INS6_11hip_rocprim26transform_input_iterator_tIbNSD_35transform_pair_of_input_iterators_tIbNS6_6detail15normal_iteratorINS6_10device_ptrIKiEEEESL_NS6_8equal_toIiEEEENSG_9not_fun_tINSD_8identityEEEEENSD_19counting_iterator_tIlEES8_S8_S8_S8_S8_S8_S8_S8_EEEEPS9_S9_NSD_9__find_if7functorIS9_EEEE10hipError_tPvRmT1_T2_T3_mT4_P12ihipStream_tbEUlT_E0_NS1_11comp_targetILNS1_3genE9ELNS1_11target_archE1100ELNS1_3gpuE3ELNS1_3repE0EEENS1_30default_config_static_selectorELNS0_4arch9wavefront6targetE1EEEvS14_.uses_vcc, 0
	.set _ZN7rocprim17ROCPRIM_400000_NS6detail17trampoline_kernelINS0_14default_configENS1_22reduce_config_selectorIN6thrust23THRUST_200600_302600_NS5tupleIblNS6_9null_typeES8_S8_S8_S8_S8_S8_S8_EEEEZNS1_11reduce_implILb1ES3_NS6_12zip_iteratorINS7_INS6_11hip_rocprim26transform_input_iterator_tIbNSD_35transform_pair_of_input_iterators_tIbNS6_6detail15normal_iteratorINS6_10device_ptrIKiEEEESL_NS6_8equal_toIiEEEENSG_9not_fun_tINSD_8identityEEEEENSD_19counting_iterator_tIlEES8_S8_S8_S8_S8_S8_S8_S8_EEEEPS9_S9_NSD_9__find_if7functorIS9_EEEE10hipError_tPvRmT1_T2_T3_mT4_P12ihipStream_tbEUlT_E0_NS1_11comp_targetILNS1_3genE9ELNS1_11target_archE1100ELNS1_3gpuE3ELNS1_3repE0EEENS1_30default_config_static_selectorELNS0_4arch9wavefront6targetE1EEEvS14_.uses_flat_scratch, 0
	.set _ZN7rocprim17ROCPRIM_400000_NS6detail17trampoline_kernelINS0_14default_configENS1_22reduce_config_selectorIN6thrust23THRUST_200600_302600_NS5tupleIblNS6_9null_typeES8_S8_S8_S8_S8_S8_S8_EEEEZNS1_11reduce_implILb1ES3_NS6_12zip_iteratorINS7_INS6_11hip_rocprim26transform_input_iterator_tIbNSD_35transform_pair_of_input_iterators_tIbNS6_6detail15normal_iteratorINS6_10device_ptrIKiEEEESL_NS6_8equal_toIiEEEENSG_9not_fun_tINSD_8identityEEEEENSD_19counting_iterator_tIlEES8_S8_S8_S8_S8_S8_S8_S8_EEEEPS9_S9_NSD_9__find_if7functorIS9_EEEE10hipError_tPvRmT1_T2_T3_mT4_P12ihipStream_tbEUlT_E0_NS1_11comp_targetILNS1_3genE9ELNS1_11target_archE1100ELNS1_3gpuE3ELNS1_3repE0EEENS1_30default_config_static_selectorELNS0_4arch9wavefront6targetE1EEEvS14_.has_dyn_sized_stack, 0
	.set _ZN7rocprim17ROCPRIM_400000_NS6detail17trampoline_kernelINS0_14default_configENS1_22reduce_config_selectorIN6thrust23THRUST_200600_302600_NS5tupleIblNS6_9null_typeES8_S8_S8_S8_S8_S8_S8_EEEEZNS1_11reduce_implILb1ES3_NS6_12zip_iteratorINS7_INS6_11hip_rocprim26transform_input_iterator_tIbNSD_35transform_pair_of_input_iterators_tIbNS6_6detail15normal_iteratorINS6_10device_ptrIKiEEEESL_NS6_8equal_toIiEEEENSG_9not_fun_tINSD_8identityEEEEENSD_19counting_iterator_tIlEES8_S8_S8_S8_S8_S8_S8_S8_EEEEPS9_S9_NSD_9__find_if7functorIS9_EEEE10hipError_tPvRmT1_T2_T3_mT4_P12ihipStream_tbEUlT_E0_NS1_11comp_targetILNS1_3genE9ELNS1_11target_archE1100ELNS1_3gpuE3ELNS1_3repE0EEENS1_30default_config_static_selectorELNS0_4arch9wavefront6targetE1EEEvS14_.has_recursion, 0
	.set _ZN7rocprim17ROCPRIM_400000_NS6detail17trampoline_kernelINS0_14default_configENS1_22reduce_config_selectorIN6thrust23THRUST_200600_302600_NS5tupleIblNS6_9null_typeES8_S8_S8_S8_S8_S8_S8_EEEEZNS1_11reduce_implILb1ES3_NS6_12zip_iteratorINS7_INS6_11hip_rocprim26transform_input_iterator_tIbNSD_35transform_pair_of_input_iterators_tIbNS6_6detail15normal_iteratorINS6_10device_ptrIKiEEEESL_NS6_8equal_toIiEEEENSG_9not_fun_tINSD_8identityEEEEENSD_19counting_iterator_tIlEES8_S8_S8_S8_S8_S8_S8_S8_EEEEPS9_S9_NSD_9__find_if7functorIS9_EEEE10hipError_tPvRmT1_T2_T3_mT4_P12ihipStream_tbEUlT_E0_NS1_11comp_targetILNS1_3genE9ELNS1_11target_archE1100ELNS1_3gpuE3ELNS1_3repE0EEENS1_30default_config_static_selectorELNS0_4arch9wavefront6targetE1EEEvS14_.has_indirect_call, 0
	.section	.AMDGPU.csdata,"",@progbits
; Kernel info:
; codeLenInByte = 0
; TotalNumSgprs: 6
; NumVgprs: 0
; NumAgprs: 0
; TotalNumVgprs: 0
; ScratchSize: 0
; MemoryBound: 0
; FloatMode: 240
; IeeeMode: 1
; LDSByteSize: 0 bytes/workgroup (compile time only)
; SGPRBlocks: 0
; VGPRBlocks: 0
; NumSGPRsForWavesPerEU: 6
; NumVGPRsForWavesPerEU: 1
; AccumOffset: 4
; Occupancy: 8
; WaveLimiterHint : 0
; COMPUTE_PGM_RSRC2:SCRATCH_EN: 0
; COMPUTE_PGM_RSRC2:USER_SGPR: 2
; COMPUTE_PGM_RSRC2:TRAP_HANDLER: 0
; COMPUTE_PGM_RSRC2:TGID_X_EN: 1
; COMPUTE_PGM_RSRC2:TGID_Y_EN: 0
; COMPUTE_PGM_RSRC2:TGID_Z_EN: 0
; COMPUTE_PGM_RSRC2:TIDIG_COMP_CNT: 0
; COMPUTE_PGM_RSRC3_GFX90A:ACCUM_OFFSET: 0
; COMPUTE_PGM_RSRC3_GFX90A:TG_SPLIT: 0
	.section	.text._ZN7rocprim17ROCPRIM_400000_NS6detail17trampoline_kernelINS0_14default_configENS1_22reduce_config_selectorIN6thrust23THRUST_200600_302600_NS5tupleIblNS6_9null_typeES8_S8_S8_S8_S8_S8_S8_EEEEZNS1_11reduce_implILb1ES3_NS6_12zip_iteratorINS7_INS6_11hip_rocprim26transform_input_iterator_tIbNSD_35transform_pair_of_input_iterators_tIbNS6_6detail15normal_iteratorINS6_10device_ptrIKiEEEESL_NS6_8equal_toIiEEEENSG_9not_fun_tINSD_8identityEEEEENSD_19counting_iterator_tIlEES8_S8_S8_S8_S8_S8_S8_S8_EEEEPS9_S9_NSD_9__find_if7functorIS9_EEEE10hipError_tPvRmT1_T2_T3_mT4_P12ihipStream_tbEUlT_E0_NS1_11comp_targetILNS1_3genE8ELNS1_11target_archE1030ELNS1_3gpuE2ELNS1_3repE0EEENS1_30default_config_static_selectorELNS0_4arch9wavefront6targetE1EEEvS14_,"axG",@progbits,_ZN7rocprim17ROCPRIM_400000_NS6detail17trampoline_kernelINS0_14default_configENS1_22reduce_config_selectorIN6thrust23THRUST_200600_302600_NS5tupleIblNS6_9null_typeES8_S8_S8_S8_S8_S8_S8_EEEEZNS1_11reduce_implILb1ES3_NS6_12zip_iteratorINS7_INS6_11hip_rocprim26transform_input_iterator_tIbNSD_35transform_pair_of_input_iterators_tIbNS6_6detail15normal_iteratorINS6_10device_ptrIKiEEEESL_NS6_8equal_toIiEEEENSG_9not_fun_tINSD_8identityEEEEENSD_19counting_iterator_tIlEES8_S8_S8_S8_S8_S8_S8_S8_EEEEPS9_S9_NSD_9__find_if7functorIS9_EEEE10hipError_tPvRmT1_T2_T3_mT4_P12ihipStream_tbEUlT_E0_NS1_11comp_targetILNS1_3genE8ELNS1_11target_archE1030ELNS1_3gpuE2ELNS1_3repE0EEENS1_30default_config_static_selectorELNS0_4arch9wavefront6targetE1EEEvS14_,comdat
	.protected	_ZN7rocprim17ROCPRIM_400000_NS6detail17trampoline_kernelINS0_14default_configENS1_22reduce_config_selectorIN6thrust23THRUST_200600_302600_NS5tupleIblNS6_9null_typeES8_S8_S8_S8_S8_S8_S8_EEEEZNS1_11reduce_implILb1ES3_NS6_12zip_iteratorINS7_INS6_11hip_rocprim26transform_input_iterator_tIbNSD_35transform_pair_of_input_iterators_tIbNS6_6detail15normal_iteratorINS6_10device_ptrIKiEEEESL_NS6_8equal_toIiEEEENSG_9not_fun_tINSD_8identityEEEEENSD_19counting_iterator_tIlEES8_S8_S8_S8_S8_S8_S8_S8_EEEEPS9_S9_NSD_9__find_if7functorIS9_EEEE10hipError_tPvRmT1_T2_T3_mT4_P12ihipStream_tbEUlT_E0_NS1_11comp_targetILNS1_3genE8ELNS1_11target_archE1030ELNS1_3gpuE2ELNS1_3repE0EEENS1_30default_config_static_selectorELNS0_4arch9wavefront6targetE1EEEvS14_ ; -- Begin function _ZN7rocprim17ROCPRIM_400000_NS6detail17trampoline_kernelINS0_14default_configENS1_22reduce_config_selectorIN6thrust23THRUST_200600_302600_NS5tupleIblNS6_9null_typeES8_S8_S8_S8_S8_S8_S8_EEEEZNS1_11reduce_implILb1ES3_NS6_12zip_iteratorINS7_INS6_11hip_rocprim26transform_input_iterator_tIbNSD_35transform_pair_of_input_iterators_tIbNS6_6detail15normal_iteratorINS6_10device_ptrIKiEEEESL_NS6_8equal_toIiEEEENSG_9not_fun_tINSD_8identityEEEEENSD_19counting_iterator_tIlEES8_S8_S8_S8_S8_S8_S8_S8_EEEEPS9_S9_NSD_9__find_if7functorIS9_EEEE10hipError_tPvRmT1_T2_T3_mT4_P12ihipStream_tbEUlT_E0_NS1_11comp_targetILNS1_3genE8ELNS1_11target_archE1030ELNS1_3gpuE2ELNS1_3repE0EEENS1_30default_config_static_selectorELNS0_4arch9wavefront6targetE1EEEvS14_
	.globl	_ZN7rocprim17ROCPRIM_400000_NS6detail17trampoline_kernelINS0_14default_configENS1_22reduce_config_selectorIN6thrust23THRUST_200600_302600_NS5tupleIblNS6_9null_typeES8_S8_S8_S8_S8_S8_S8_EEEEZNS1_11reduce_implILb1ES3_NS6_12zip_iteratorINS7_INS6_11hip_rocprim26transform_input_iterator_tIbNSD_35transform_pair_of_input_iterators_tIbNS6_6detail15normal_iteratorINS6_10device_ptrIKiEEEESL_NS6_8equal_toIiEEEENSG_9not_fun_tINSD_8identityEEEEENSD_19counting_iterator_tIlEES8_S8_S8_S8_S8_S8_S8_S8_EEEEPS9_S9_NSD_9__find_if7functorIS9_EEEE10hipError_tPvRmT1_T2_T3_mT4_P12ihipStream_tbEUlT_E0_NS1_11comp_targetILNS1_3genE8ELNS1_11target_archE1030ELNS1_3gpuE2ELNS1_3repE0EEENS1_30default_config_static_selectorELNS0_4arch9wavefront6targetE1EEEvS14_
	.p2align	8
	.type	_ZN7rocprim17ROCPRIM_400000_NS6detail17trampoline_kernelINS0_14default_configENS1_22reduce_config_selectorIN6thrust23THRUST_200600_302600_NS5tupleIblNS6_9null_typeES8_S8_S8_S8_S8_S8_S8_EEEEZNS1_11reduce_implILb1ES3_NS6_12zip_iteratorINS7_INS6_11hip_rocprim26transform_input_iterator_tIbNSD_35transform_pair_of_input_iterators_tIbNS6_6detail15normal_iteratorINS6_10device_ptrIKiEEEESL_NS6_8equal_toIiEEEENSG_9not_fun_tINSD_8identityEEEEENSD_19counting_iterator_tIlEES8_S8_S8_S8_S8_S8_S8_S8_EEEEPS9_S9_NSD_9__find_if7functorIS9_EEEE10hipError_tPvRmT1_T2_T3_mT4_P12ihipStream_tbEUlT_E0_NS1_11comp_targetILNS1_3genE8ELNS1_11target_archE1030ELNS1_3gpuE2ELNS1_3repE0EEENS1_30default_config_static_selectorELNS0_4arch9wavefront6targetE1EEEvS14_,@function
_ZN7rocprim17ROCPRIM_400000_NS6detail17trampoline_kernelINS0_14default_configENS1_22reduce_config_selectorIN6thrust23THRUST_200600_302600_NS5tupleIblNS6_9null_typeES8_S8_S8_S8_S8_S8_S8_EEEEZNS1_11reduce_implILb1ES3_NS6_12zip_iteratorINS7_INS6_11hip_rocprim26transform_input_iterator_tIbNSD_35transform_pair_of_input_iterators_tIbNS6_6detail15normal_iteratorINS6_10device_ptrIKiEEEESL_NS6_8equal_toIiEEEENSG_9not_fun_tINSD_8identityEEEEENSD_19counting_iterator_tIlEES8_S8_S8_S8_S8_S8_S8_S8_EEEEPS9_S9_NSD_9__find_if7functorIS9_EEEE10hipError_tPvRmT1_T2_T3_mT4_P12ihipStream_tbEUlT_E0_NS1_11comp_targetILNS1_3genE8ELNS1_11target_archE1030ELNS1_3gpuE2ELNS1_3repE0EEENS1_30default_config_static_selectorELNS0_4arch9wavefront6targetE1EEEvS14_: ; @_ZN7rocprim17ROCPRIM_400000_NS6detail17trampoline_kernelINS0_14default_configENS1_22reduce_config_selectorIN6thrust23THRUST_200600_302600_NS5tupleIblNS6_9null_typeES8_S8_S8_S8_S8_S8_S8_EEEEZNS1_11reduce_implILb1ES3_NS6_12zip_iteratorINS7_INS6_11hip_rocprim26transform_input_iterator_tIbNSD_35transform_pair_of_input_iterators_tIbNS6_6detail15normal_iteratorINS6_10device_ptrIKiEEEESL_NS6_8equal_toIiEEEENSG_9not_fun_tINSD_8identityEEEEENSD_19counting_iterator_tIlEES8_S8_S8_S8_S8_S8_S8_S8_EEEEPS9_S9_NSD_9__find_if7functorIS9_EEEE10hipError_tPvRmT1_T2_T3_mT4_P12ihipStream_tbEUlT_E0_NS1_11comp_targetILNS1_3genE8ELNS1_11target_archE1030ELNS1_3gpuE2ELNS1_3repE0EEENS1_30default_config_static_selectorELNS0_4arch9wavefront6targetE1EEEvS14_
; %bb.0:
	.section	.rodata,"a",@progbits
	.p2align	6, 0x0
	.amdhsa_kernel _ZN7rocprim17ROCPRIM_400000_NS6detail17trampoline_kernelINS0_14default_configENS1_22reduce_config_selectorIN6thrust23THRUST_200600_302600_NS5tupleIblNS6_9null_typeES8_S8_S8_S8_S8_S8_S8_EEEEZNS1_11reduce_implILb1ES3_NS6_12zip_iteratorINS7_INS6_11hip_rocprim26transform_input_iterator_tIbNSD_35transform_pair_of_input_iterators_tIbNS6_6detail15normal_iteratorINS6_10device_ptrIKiEEEESL_NS6_8equal_toIiEEEENSG_9not_fun_tINSD_8identityEEEEENSD_19counting_iterator_tIlEES8_S8_S8_S8_S8_S8_S8_S8_EEEEPS9_S9_NSD_9__find_if7functorIS9_EEEE10hipError_tPvRmT1_T2_T3_mT4_P12ihipStream_tbEUlT_E0_NS1_11comp_targetILNS1_3genE8ELNS1_11target_archE1030ELNS1_3gpuE2ELNS1_3repE0EEENS1_30default_config_static_selectorELNS0_4arch9wavefront6targetE1EEEvS14_
		.amdhsa_group_segment_fixed_size 0
		.amdhsa_private_segment_fixed_size 0
		.amdhsa_kernarg_size 104
		.amdhsa_user_sgpr_count 2
		.amdhsa_user_sgpr_dispatch_ptr 0
		.amdhsa_user_sgpr_queue_ptr 0
		.amdhsa_user_sgpr_kernarg_segment_ptr 1
		.amdhsa_user_sgpr_dispatch_id 0
		.amdhsa_user_sgpr_kernarg_preload_length 0
		.amdhsa_user_sgpr_kernarg_preload_offset 0
		.amdhsa_user_sgpr_private_segment_size 0
		.amdhsa_uses_dynamic_stack 0
		.amdhsa_enable_private_segment 0
		.amdhsa_system_sgpr_workgroup_id_x 1
		.amdhsa_system_sgpr_workgroup_id_y 0
		.amdhsa_system_sgpr_workgroup_id_z 0
		.amdhsa_system_sgpr_workgroup_info 0
		.amdhsa_system_vgpr_workitem_id 0
		.amdhsa_next_free_vgpr 1
		.amdhsa_next_free_sgpr 0
		.amdhsa_accum_offset 4
		.amdhsa_reserve_vcc 0
		.amdhsa_float_round_mode_32 0
		.amdhsa_float_round_mode_16_64 0
		.amdhsa_float_denorm_mode_32 3
		.amdhsa_float_denorm_mode_16_64 3
		.amdhsa_dx10_clamp 1
		.amdhsa_ieee_mode 1
		.amdhsa_fp16_overflow 0
		.amdhsa_tg_split 0
		.amdhsa_exception_fp_ieee_invalid_op 0
		.amdhsa_exception_fp_denorm_src 0
		.amdhsa_exception_fp_ieee_div_zero 0
		.amdhsa_exception_fp_ieee_overflow 0
		.amdhsa_exception_fp_ieee_underflow 0
		.amdhsa_exception_fp_ieee_inexact 0
		.amdhsa_exception_int_div_zero 0
	.end_amdhsa_kernel
	.section	.text._ZN7rocprim17ROCPRIM_400000_NS6detail17trampoline_kernelINS0_14default_configENS1_22reduce_config_selectorIN6thrust23THRUST_200600_302600_NS5tupleIblNS6_9null_typeES8_S8_S8_S8_S8_S8_S8_EEEEZNS1_11reduce_implILb1ES3_NS6_12zip_iteratorINS7_INS6_11hip_rocprim26transform_input_iterator_tIbNSD_35transform_pair_of_input_iterators_tIbNS6_6detail15normal_iteratorINS6_10device_ptrIKiEEEESL_NS6_8equal_toIiEEEENSG_9not_fun_tINSD_8identityEEEEENSD_19counting_iterator_tIlEES8_S8_S8_S8_S8_S8_S8_S8_EEEEPS9_S9_NSD_9__find_if7functorIS9_EEEE10hipError_tPvRmT1_T2_T3_mT4_P12ihipStream_tbEUlT_E0_NS1_11comp_targetILNS1_3genE8ELNS1_11target_archE1030ELNS1_3gpuE2ELNS1_3repE0EEENS1_30default_config_static_selectorELNS0_4arch9wavefront6targetE1EEEvS14_,"axG",@progbits,_ZN7rocprim17ROCPRIM_400000_NS6detail17trampoline_kernelINS0_14default_configENS1_22reduce_config_selectorIN6thrust23THRUST_200600_302600_NS5tupleIblNS6_9null_typeES8_S8_S8_S8_S8_S8_S8_EEEEZNS1_11reduce_implILb1ES3_NS6_12zip_iteratorINS7_INS6_11hip_rocprim26transform_input_iterator_tIbNSD_35transform_pair_of_input_iterators_tIbNS6_6detail15normal_iteratorINS6_10device_ptrIKiEEEESL_NS6_8equal_toIiEEEENSG_9not_fun_tINSD_8identityEEEEENSD_19counting_iterator_tIlEES8_S8_S8_S8_S8_S8_S8_S8_EEEEPS9_S9_NSD_9__find_if7functorIS9_EEEE10hipError_tPvRmT1_T2_T3_mT4_P12ihipStream_tbEUlT_E0_NS1_11comp_targetILNS1_3genE8ELNS1_11target_archE1030ELNS1_3gpuE2ELNS1_3repE0EEENS1_30default_config_static_selectorELNS0_4arch9wavefront6targetE1EEEvS14_,comdat
.Lfunc_end1481:
	.size	_ZN7rocprim17ROCPRIM_400000_NS6detail17trampoline_kernelINS0_14default_configENS1_22reduce_config_selectorIN6thrust23THRUST_200600_302600_NS5tupleIblNS6_9null_typeES8_S8_S8_S8_S8_S8_S8_EEEEZNS1_11reduce_implILb1ES3_NS6_12zip_iteratorINS7_INS6_11hip_rocprim26transform_input_iterator_tIbNSD_35transform_pair_of_input_iterators_tIbNS6_6detail15normal_iteratorINS6_10device_ptrIKiEEEESL_NS6_8equal_toIiEEEENSG_9not_fun_tINSD_8identityEEEEENSD_19counting_iterator_tIlEES8_S8_S8_S8_S8_S8_S8_S8_EEEEPS9_S9_NSD_9__find_if7functorIS9_EEEE10hipError_tPvRmT1_T2_T3_mT4_P12ihipStream_tbEUlT_E0_NS1_11comp_targetILNS1_3genE8ELNS1_11target_archE1030ELNS1_3gpuE2ELNS1_3repE0EEENS1_30default_config_static_selectorELNS0_4arch9wavefront6targetE1EEEvS14_, .Lfunc_end1481-_ZN7rocprim17ROCPRIM_400000_NS6detail17trampoline_kernelINS0_14default_configENS1_22reduce_config_selectorIN6thrust23THRUST_200600_302600_NS5tupleIblNS6_9null_typeES8_S8_S8_S8_S8_S8_S8_EEEEZNS1_11reduce_implILb1ES3_NS6_12zip_iteratorINS7_INS6_11hip_rocprim26transform_input_iterator_tIbNSD_35transform_pair_of_input_iterators_tIbNS6_6detail15normal_iteratorINS6_10device_ptrIKiEEEESL_NS6_8equal_toIiEEEENSG_9not_fun_tINSD_8identityEEEEENSD_19counting_iterator_tIlEES8_S8_S8_S8_S8_S8_S8_S8_EEEEPS9_S9_NSD_9__find_if7functorIS9_EEEE10hipError_tPvRmT1_T2_T3_mT4_P12ihipStream_tbEUlT_E0_NS1_11comp_targetILNS1_3genE8ELNS1_11target_archE1030ELNS1_3gpuE2ELNS1_3repE0EEENS1_30default_config_static_selectorELNS0_4arch9wavefront6targetE1EEEvS14_
                                        ; -- End function
	.set _ZN7rocprim17ROCPRIM_400000_NS6detail17trampoline_kernelINS0_14default_configENS1_22reduce_config_selectorIN6thrust23THRUST_200600_302600_NS5tupleIblNS6_9null_typeES8_S8_S8_S8_S8_S8_S8_EEEEZNS1_11reduce_implILb1ES3_NS6_12zip_iteratorINS7_INS6_11hip_rocprim26transform_input_iterator_tIbNSD_35transform_pair_of_input_iterators_tIbNS6_6detail15normal_iteratorINS6_10device_ptrIKiEEEESL_NS6_8equal_toIiEEEENSG_9not_fun_tINSD_8identityEEEEENSD_19counting_iterator_tIlEES8_S8_S8_S8_S8_S8_S8_S8_EEEEPS9_S9_NSD_9__find_if7functorIS9_EEEE10hipError_tPvRmT1_T2_T3_mT4_P12ihipStream_tbEUlT_E0_NS1_11comp_targetILNS1_3genE8ELNS1_11target_archE1030ELNS1_3gpuE2ELNS1_3repE0EEENS1_30default_config_static_selectorELNS0_4arch9wavefront6targetE1EEEvS14_.num_vgpr, 0
	.set _ZN7rocprim17ROCPRIM_400000_NS6detail17trampoline_kernelINS0_14default_configENS1_22reduce_config_selectorIN6thrust23THRUST_200600_302600_NS5tupleIblNS6_9null_typeES8_S8_S8_S8_S8_S8_S8_EEEEZNS1_11reduce_implILb1ES3_NS6_12zip_iteratorINS7_INS6_11hip_rocprim26transform_input_iterator_tIbNSD_35transform_pair_of_input_iterators_tIbNS6_6detail15normal_iteratorINS6_10device_ptrIKiEEEESL_NS6_8equal_toIiEEEENSG_9not_fun_tINSD_8identityEEEEENSD_19counting_iterator_tIlEES8_S8_S8_S8_S8_S8_S8_S8_EEEEPS9_S9_NSD_9__find_if7functorIS9_EEEE10hipError_tPvRmT1_T2_T3_mT4_P12ihipStream_tbEUlT_E0_NS1_11comp_targetILNS1_3genE8ELNS1_11target_archE1030ELNS1_3gpuE2ELNS1_3repE0EEENS1_30default_config_static_selectorELNS0_4arch9wavefront6targetE1EEEvS14_.num_agpr, 0
	.set _ZN7rocprim17ROCPRIM_400000_NS6detail17trampoline_kernelINS0_14default_configENS1_22reduce_config_selectorIN6thrust23THRUST_200600_302600_NS5tupleIblNS6_9null_typeES8_S8_S8_S8_S8_S8_S8_EEEEZNS1_11reduce_implILb1ES3_NS6_12zip_iteratorINS7_INS6_11hip_rocprim26transform_input_iterator_tIbNSD_35transform_pair_of_input_iterators_tIbNS6_6detail15normal_iteratorINS6_10device_ptrIKiEEEESL_NS6_8equal_toIiEEEENSG_9not_fun_tINSD_8identityEEEEENSD_19counting_iterator_tIlEES8_S8_S8_S8_S8_S8_S8_S8_EEEEPS9_S9_NSD_9__find_if7functorIS9_EEEE10hipError_tPvRmT1_T2_T3_mT4_P12ihipStream_tbEUlT_E0_NS1_11comp_targetILNS1_3genE8ELNS1_11target_archE1030ELNS1_3gpuE2ELNS1_3repE0EEENS1_30default_config_static_selectorELNS0_4arch9wavefront6targetE1EEEvS14_.numbered_sgpr, 0
	.set _ZN7rocprim17ROCPRIM_400000_NS6detail17trampoline_kernelINS0_14default_configENS1_22reduce_config_selectorIN6thrust23THRUST_200600_302600_NS5tupleIblNS6_9null_typeES8_S8_S8_S8_S8_S8_S8_EEEEZNS1_11reduce_implILb1ES3_NS6_12zip_iteratorINS7_INS6_11hip_rocprim26transform_input_iterator_tIbNSD_35transform_pair_of_input_iterators_tIbNS6_6detail15normal_iteratorINS6_10device_ptrIKiEEEESL_NS6_8equal_toIiEEEENSG_9not_fun_tINSD_8identityEEEEENSD_19counting_iterator_tIlEES8_S8_S8_S8_S8_S8_S8_S8_EEEEPS9_S9_NSD_9__find_if7functorIS9_EEEE10hipError_tPvRmT1_T2_T3_mT4_P12ihipStream_tbEUlT_E0_NS1_11comp_targetILNS1_3genE8ELNS1_11target_archE1030ELNS1_3gpuE2ELNS1_3repE0EEENS1_30default_config_static_selectorELNS0_4arch9wavefront6targetE1EEEvS14_.num_named_barrier, 0
	.set _ZN7rocprim17ROCPRIM_400000_NS6detail17trampoline_kernelINS0_14default_configENS1_22reduce_config_selectorIN6thrust23THRUST_200600_302600_NS5tupleIblNS6_9null_typeES8_S8_S8_S8_S8_S8_S8_EEEEZNS1_11reduce_implILb1ES3_NS6_12zip_iteratorINS7_INS6_11hip_rocprim26transform_input_iterator_tIbNSD_35transform_pair_of_input_iterators_tIbNS6_6detail15normal_iteratorINS6_10device_ptrIKiEEEESL_NS6_8equal_toIiEEEENSG_9not_fun_tINSD_8identityEEEEENSD_19counting_iterator_tIlEES8_S8_S8_S8_S8_S8_S8_S8_EEEEPS9_S9_NSD_9__find_if7functorIS9_EEEE10hipError_tPvRmT1_T2_T3_mT4_P12ihipStream_tbEUlT_E0_NS1_11comp_targetILNS1_3genE8ELNS1_11target_archE1030ELNS1_3gpuE2ELNS1_3repE0EEENS1_30default_config_static_selectorELNS0_4arch9wavefront6targetE1EEEvS14_.private_seg_size, 0
	.set _ZN7rocprim17ROCPRIM_400000_NS6detail17trampoline_kernelINS0_14default_configENS1_22reduce_config_selectorIN6thrust23THRUST_200600_302600_NS5tupleIblNS6_9null_typeES8_S8_S8_S8_S8_S8_S8_EEEEZNS1_11reduce_implILb1ES3_NS6_12zip_iteratorINS7_INS6_11hip_rocprim26transform_input_iterator_tIbNSD_35transform_pair_of_input_iterators_tIbNS6_6detail15normal_iteratorINS6_10device_ptrIKiEEEESL_NS6_8equal_toIiEEEENSG_9not_fun_tINSD_8identityEEEEENSD_19counting_iterator_tIlEES8_S8_S8_S8_S8_S8_S8_S8_EEEEPS9_S9_NSD_9__find_if7functorIS9_EEEE10hipError_tPvRmT1_T2_T3_mT4_P12ihipStream_tbEUlT_E0_NS1_11comp_targetILNS1_3genE8ELNS1_11target_archE1030ELNS1_3gpuE2ELNS1_3repE0EEENS1_30default_config_static_selectorELNS0_4arch9wavefront6targetE1EEEvS14_.uses_vcc, 0
	.set _ZN7rocprim17ROCPRIM_400000_NS6detail17trampoline_kernelINS0_14default_configENS1_22reduce_config_selectorIN6thrust23THRUST_200600_302600_NS5tupleIblNS6_9null_typeES8_S8_S8_S8_S8_S8_S8_EEEEZNS1_11reduce_implILb1ES3_NS6_12zip_iteratorINS7_INS6_11hip_rocprim26transform_input_iterator_tIbNSD_35transform_pair_of_input_iterators_tIbNS6_6detail15normal_iteratorINS6_10device_ptrIKiEEEESL_NS6_8equal_toIiEEEENSG_9not_fun_tINSD_8identityEEEEENSD_19counting_iterator_tIlEES8_S8_S8_S8_S8_S8_S8_S8_EEEEPS9_S9_NSD_9__find_if7functorIS9_EEEE10hipError_tPvRmT1_T2_T3_mT4_P12ihipStream_tbEUlT_E0_NS1_11comp_targetILNS1_3genE8ELNS1_11target_archE1030ELNS1_3gpuE2ELNS1_3repE0EEENS1_30default_config_static_selectorELNS0_4arch9wavefront6targetE1EEEvS14_.uses_flat_scratch, 0
	.set _ZN7rocprim17ROCPRIM_400000_NS6detail17trampoline_kernelINS0_14default_configENS1_22reduce_config_selectorIN6thrust23THRUST_200600_302600_NS5tupleIblNS6_9null_typeES8_S8_S8_S8_S8_S8_S8_EEEEZNS1_11reduce_implILb1ES3_NS6_12zip_iteratorINS7_INS6_11hip_rocprim26transform_input_iterator_tIbNSD_35transform_pair_of_input_iterators_tIbNS6_6detail15normal_iteratorINS6_10device_ptrIKiEEEESL_NS6_8equal_toIiEEEENSG_9not_fun_tINSD_8identityEEEEENSD_19counting_iterator_tIlEES8_S8_S8_S8_S8_S8_S8_S8_EEEEPS9_S9_NSD_9__find_if7functorIS9_EEEE10hipError_tPvRmT1_T2_T3_mT4_P12ihipStream_tbEUlT_E0_NS1_11comp_targetILNS1_3genE8ELNS1_11target_archE1030ELNS1_3gpuE2ELNS1_3repE0EEENS1_30default_config_static_selectorELNS0_4arch9wavefront6targetE1EEEvS14_.has_dyn_sized_stack, 0
	.set _ZN7rocprim17ROCPRIM_400000_NS6detail17trampoline_kernelINS0_14default_configENS1_22reduce_config_selectorIN6thrust23THRUST_200600_302600_NS5tupleIblNS6_9null_typeES8_S8_S8_S8_S8_S8_S8_EEEEZNS1_11reduce_implILb1ES3_NS6_12zip_iteratorINS7_INS6_11hip_rocprim26transform_input_iterator_tIbNSD_35transform_pair_of_input_iterators_tIbNS6_6detail15normal_iteratorINS6_10device_ptrIKiEEEESL_NS6_8equal_toIiEEEENSG_9not_fun_tINSD_8identityEEEEENSD_19counting_iterator_tIlEES8_S8_S8_S8_S8_S8_S8_S8_EEEEPS9_S9_NSD_9__find_if7functorIS9_EEEE10hipError_tPvRmT1_T2_T3_mT4_P12ihipStream_tbEUlT_E0_NS1_11comp_targetILNS1_3genE8ELNS1_11target_archE1030ELNS1_3gpuE2ELNS1_3repE0EEENS1_30default_config_static_selectorELNS0_4arch9wavefront6targetE1EEEvS14_.has_recursion, 0
	.set _ZN7rocprim17ROCPRIM_400000_NS6detail17trampoline_kernelINS0_14default_configENS1_22reduce_config_selectorIN6thrust23THRUST_200600_302600_NS5tupleIblNS6_9null_typeES8_S8_S8_S8_S8_S8_S8_EEEEZNS1_11reduce_implILb1ES3_NS6_12zip_iteratorINS7_INS6_11hip_rocprim26transform_input_iterator_tIbNSD_35transform_pair_of_input_iterators_tIbNS6_6detail15normal_iteratorINS6_10device_ptrIKiEEEESL_NS6_8equal_toIiEEEENSG_9not_fun_tINSD_8identityEEEEENSD_19counting_iterator_tIlEES8_S8_S8_S8_S8_S8_S8_S8_EEEEPS9_S9_NSD_9__find_if7functorIS9_EEEE10hipError_tPvRmT1_T2_T3_mT4_P12ihipStream_tbEUlT_E0_NS1_11comp_targetILNS1_3genE8ELNS1_11target_archE1030ELNS1_3gpuE2ELNS1_3repE0EEENS1_30default_config_static_selectorELNS0_4arch9wavefront6targetE1EEEvS14_.has_indirect_call, 0
	.section	.AMDGPU.csdata,"",@progbits
; Kernel info:
; codeLenInByte = 0
; TotalNumSgprs: 6
; NumVgprs: 0
; NumAgprs: 0
; TotalNumVgprs: 0
; ScratchSize: 0
; MemoryBound: 0
; FloatMode: 240
; IeeeMode: 1
; LDSByteSize: 0 bytes/workgroup (compile time only)
; SGPRBlocks: 0
; VGPRBlocks: 0
; NumSGPRsForWavesPerEU: 6
; NumVGPRsForWavesPerEU: 1
; AccumOffset: 4
; Occupancy: 8
; WaveLimiterHint : 0
; COMPUTE_PGM_RSRC2:SCRATCH_EN: 0
; COMPUTE_PGM_RSRC2:USER_SGPR: 2
; COMPUTE_PGM_RSRC2:TRAP_HANDLER: 0
; COMPUTE_PGM_RSRC2:TGID_X_EN: 1
; COMPUTE_PGM_RSRC2:TGID_Y_EN: 0
; COMPUTE_PGM_RSRC2:TGID_Z_EN: 0
; COMPUTE_PGM_RSRC2:TIDIG_COMP_CNT: 0
; COMPUTE_PGM_RSRC3_GFX90A:ACCUM_OFFSET: 0
; COMPUTE_PGM_RSRC3_GFX90A:TG_SPLIT: 0
	.section	.text._ZN7rocprim17ROCPRIM_400000_NS6detail17trampoline_kernelINS0_14default_configENS1_22reduce_config_selectorIN6thrust23THRUST_200600_302600_NS5tupleIblNS6_9null_typeES8_S8_S8_S8_S8_S8_S8_EEEEZNS1_11reduce_implILb1ES3_NS6_12zip_iteratorINS7_INS6_11hip_rocprim26transform_input_iterator_tIbNSD_35transform_pair_of_input_iterators_tIbNS6_6detail15normal_iteratorINS6_10device_ptrIKiEEEESL_NS6_8equal_toIiEEEENSG_9not_fun_tINSD_8identityEEEEENSD_19counting_iterator_tIlEES8_S8_S8_S8_S8_S8_S8_S8_EEEEPS9_S9_NSD_9__find_if7functorIS9_EEEE10hipError_tPvRmT1_T2_T3_mT4_P12ihipStream_tbEUlT_E1_NS1_11comp_targetILNS1_3genE0ELNS1_11target_archE4294967295ELNS1_3gpuE0ELNS1_3repE0EEENS1_30default_config_static_selectorELNS0_4arch9wavefront6targetE1EEEvS14_,"axG",@progbits,_ZN7rocprim17ROCPRIM_400000_NS6detail17trampoline_kernelINS0_14default_configENS1_22reduce_config_selectorIN6thrust23THRUST_200600_302600_NS5tupleIblNS6_9null_typeES8_S8_S8_S8_S8_S8_S8_EEEEZNS1_11reduce_implILb1ES3_NS6_12zip_iteratorINS7_INS6_11hip_rocprim26transform_input_iterator_tIbNSD_35transform_pair_of_input_iterators_tIbNS6_6detail15normal_iteratorINS6_10device_ptrIKiEEEESL_NS6_8equal_toIiEEEENSG_9not_fun_tINSD_8identityEEEEENSD_19counting_iterator_tIlEES8_S8_S8_S8_S8_S8_S8_S8_EEEEPS9_S9_NSD_9__find_if7functorIS9_EEEE10hipError_tPvRmT1_T2_T3_mT4_P12ihipStream_tbEUlT_E1_NS1_11comp_targetILNS1_3genE0ELNS1_11target_archE4294967295ELNS1_3gpuE0ELNS1_3repE0EEENS1_30default_config_static_selectorELNS0_4arch9wavefront6targetE1EEEvS14_,comdat
	.protected	_ZN7rocprim17ROCPRIM_400000_NS6detail17trampoline_kernelINS0_14default_configENS1_22reduce_config_selectorIN6thrust23THRUST_200600_302600_NS5tupleIblNS6_9null_typeES8_S8_S8_S8_S8_S8_S8_EEEEZNS1_11reduce_implILb1ES3_NS6_12zip_iteratorINS7_INS6_11hip_rocprim26transform_input_iterator_tIbNSD_35transform_pair_of_input_iterators_tIbNS6_6detail15normal_iteratorINS6_10device_ptrIKiEEEESL_NS6_8equal_toIiEEEENSG_9not_fun_tINSD_8identityEEEEENSD_19counting_iterator_tIlEES8_S8_S8_S8_S8_S8_S8_S8_EEEEPS9_S9_NSD_9__find_if7functorIS9_EEEE10hipError_tPvRmT1_T2_T3_mT4_P12ihipStream_tbEUlT_E1_NS1_11comp_targetILNS1_3genE0ELNS1_11target_archE4294967295ELNS1_3gpuE0ELNS1_3repE0EEENS1_30default_config_static_selectorELNS0_4arch9wavefront6targetE1EEEvS14_ ; -- Begin function _ZN7rocprim17ROCPRIM_400000_NS6detail17trampoline_kernelINS0_14default_configENS1_22reduce_config_selectorIN6thrust23THRUST_200600_302600_NS5tupleIblNS6_9null_typeES8_S8_S8_S8_S8_S8_S8_EEEEZNS1_11reduce_implILb1ES3_NS6_12zip_iteratorINS7_INS6_11hip_rocprim26transform_input_iterator_tIbNSD_35transform_pair_of_input_iterators_tIbNS6_6detail15normal_iteratorINS6_10device_ptrIKiEEEESL_NS6_8equal_toIiEEEENSG_9not_fun_tINSD_8identityEEEEENSD_19counting_iterator_tIlEES8_S8_S8_S8_S8_S8_S8_S8_EEEEPS9_S9_NSD_9__find_if7functorIS9_EEEE10hipError_tPvRmT1_T2_T3_mT4_P12ihipStream_tbEUlT_E1_NS1_11comp_targetILNS1_3genE0ELNS1_11target_archE4294967295ELNS1_3gpuE0ELNS1_3repE0EEENS1_30default_config_static_selectorELNS0_4arch9wavefront6targetE1EEEvS14_
	.globl	_ZN7rocprim17ROCPRIM_400000_NS6detail17trampoline_kernelINS0_14default_configENS1_22reduce_config_selectorIN6thrust23THRUST_200600_302600_NS5tupleIblNS6_9null_typeES8_S8_S8_S8_S8_S8_S8_EEEEZNS1_11reduce_implILb1ES3_NS6_12zip_iteratorINS7_INS6_11hip_rocprim26transform_input_iterator_tIbNSD_35transform_pair_of_input_iterators_tIbNS6_6detail15normal_iteratorINS6_10device_ptrIKiEEEESL_NS6_8equal_toIiEEEENSG_9not_fun_tINSD_8identityEEEEENSD_19counting_iterator_tIlEES8_S8_S8_S8_S8_S8_S8_S8_EEEEPS9_S9_NSD_9__find_if7functorIS9_EEEE10hipError_tPvRmT1_T2_T3_mT4_P12ihipStream_tbEUlT_E1_NS1_11comp_targetILNS1_3genE0ELNS1_11target_archE4294967295ELNS1_3gpuE0ELNS1_3repE0EEENS1_30default_config_static_selectorELNS0_4arch9wavefront6targetE1EEEvS14_
	.p2align	8
	.type	_ZN7rocprim17ROCPRIM_400000_NS6detail17trampoline_kernelINS0_14default_configENS1_22reduce_config_selectorIN6thrust23THRUST_200600_302600_NS5tupleIblNS6_9null_typeES8_S8_S8_S8_S8_S8_S8_EEEEZNS1_11reduce_implILb1ES3_NS6_12zip_iteratorINS7_INS6_11hip_rocprim26transform_input_iterator_tIbNSD_35transform_pair_of_input_iterators_tIbNS6_6detail15normal_iteratorINS6_10device_ptrIKiEEEESL_NS6_8equal_toIiEEEENSG_9not_fun_tINSD_8identityEEEEENSD_19counting_iterator_tIlEES8_S8_S8_S8_S8_S8_S8_S8_EEEEPS9_S9_NSD_9__find_if7functorIS9_EEEE10hipError_tPvRmT1_T2_T3_mT4_P12ihipStream_tbEUlT_E1_NS1_11comp_targetILNS1_3genE0ELNS1_11target_archE4294967295ELNS1_3gpuE0ELNS1_3repE0EEENS1_30default_config_static_selectorELNS0_4arch9wavefront6targetE1EEEvS14_,@function
_ZN7rocprim17ROCPRIM_400000_NS6detail17trampoline_kernelINS0_14default_configENS1_22reduce_config_selectorIN6thrust23THRUST_200600_302600_NS5tupleIblNS6_9null_typeES8_S8_S8_S8_S8_S8_S8_EEEEZNS1_11reduce_implILb1ES3_NS6_12zip_iteratorINS7_INS6_11hip_rocprim26transform_input_iterator_tIbNSD_35transform_pair_of_input_iterators_tIbNS6_6detail15normal_iteratorINS6_10device_ptrIKiEEEESL_NS6_8equal_toIiEEEENSG_9not_fun_tINSD_8identityEEEEENSD_19counting_iterator_tIlEES8_S8_S8_S8_S8_S8_S8_S8_EEEEPS9_S9_NSD_9__find_if7functorIS9_EEEE10hipError_tPvRmT1_T2_T3_mT4_P12ihipStream_tbEUlT_E1_NS1_11comp_targetILNS1_3genE0ELNS1_11target_archE4294967295ELNS1_3gpuE0ELNS1_3repE0EEENS1_30default_config_static_selectorELNS0_4arch9wavefront6targetE1EEEvS14_: ; @_ZN7rocprim17ROCPRIM_400000_NS6detail17trampoline_kernelINS0_14default_configENS1_22reduce_config_selectorIN6thrust23THRUST_200600_302600_NS5tupleIblNS6_9null_typeES8_S8_S8_S8_S8_S8_S8_EEEEZNS1_11reduce_implILb1ES3_NS6_12zip_iteratorINS7_INS6_11hip_rocprim26transform_input_iterator_tIbNSD_35transform_pair_of_input_iterators_tIbNS6_6detail15normal_iteratorINS6_10device_ptrIKiEEEESL_NS6_8equal_toIiEEEENSG_9not_fun_tINSD_8identityEEEEENSD_19counting_iterator_tIlEES8_S8_S8_S8_S8_S8_S8_S8_EEEEPS9_S9_NSD_9__find_if7functorIS9_EEEE10hipError_tPvRmT1_T2_T3_mT4_P12ihipStream_tbEUlT_E1_NS1_11comp_targetILNS1_3genE0ELNS1_11target_archE4294967295ELNS1_3gpuE0ELNS1_3repE0EEENS1_30default_config_static_selectorELNS0_4arch9wavefront6targetE1EEEvS14_
; %bb.0:
	s_load_dword s40, s[0:1], 0x4
	s_load_dwordx4 s[24:27], s[0:1], 0x8
	s_load_dwordx4 s[20:23], s[0:1], 0x28
	s_load_dword s33, s[0:1], 0x40
	s_load_dwordx2 s[18:19], s[0:1], 0x48
	s_waitcnt lgkmcnt(0)
	s_cmp_lt_i32 s40, 4
	s_cbranch_scc1 .LBB1482_13
; %bb.1:
	s_cmp_gt_i32 s40, 7
	s_cbranch_scc0 .LBB1482_14
; %bb.2:
	s_cmp_eq_u32 s40, 8
	s_mov_b64 s[28:29], 0
	s_cbranch_scc0 .LBB1482_15
; %bb.3:
	s_mov_b32 s3, 0
	s_lshl_b32 s38, s2, 10
	s_mov_b32 s39, s3
	s_lshr_b64 s[4:5], s[22:23], 10
	s_lshl_b64 s[6:7], s[38:39], 2
	s_add_u32 s30, s24, s6
	s_addc_u32 s31, s25, s7
	s_add_u32 s34, s26, s6
	s_addc_u32 s35, s27, s7
	;; [unrolled: 2-line block ×3, first 2 shown]
	s_cmp_lg_u64 s[4:5], s[2:3]
	s_cbranch_scc0 .LBB1482_28
; %bb.4:
	v_lshlrev_b32_e32 v1, 2, v0
	global_load_dword v5, v1, s[34:35] offset:512
	global_load_dword v6, v1, s[34:35] offset:1024
	;; [unrolled: 1-line block ×14, first 2 shown]
	global_load_dword v20, v1, s[30:31]
	global_load_dword v21, v1, s[34:35]
	v_mov_b32_e32 v1, 0
	v_mov_b32_e32 v22, 0x100
	;; [unrolled: 1-line block ×3, first 2 shown]
	v_lshl_add_u64 v[2:3], s[36:37], 0, v[0:1]
	v_mov_b32_e32 v7, v1
	v_mov_b32_e32 v24, 0x200
	;; [unrolled: 1-line block ×6, first 2 shown]
	v_mbcnt_lo_u32_b32 v4, -1, 0
	v_mbcnt_hi_u32_b32 v4, -1, v4
	s_waitcnt vmcnt(10)
	v_cmp_ne_u32_e32 vcc, v11, v6
	s_waitcnt vmcnt(9)
	v_cmp_ne_u32_e64 s[4:5], v12, v8
	s_waitcnt vmcnt(8)
	v_cmp_ne_u32_e64 s[6:7], v13, v9
	;; [unrolled: 2-line block ×5, first 2 shown]
	v_cndmask_b32_e64 v1, v22, v23, s[10:11]
	s_nop 0
	v_cndmask_b32_e64 v5, v24, v25, s[12:13]
	s_waitcnt vmcnt(2)
	v_cmp_ne_u32_e64 s[14:15], v19, v18
	s_waitcnt vmcnt(0)
	v_cmp_ne_u32_e64 s[16:17], v20, v21
	s_or_b64 s[10:11], s[16:17], s[10:11]
	s_or_b64 vcc, s[10:11], vcc
	v_cndmask_b32_e64 v1, v1, 0, s[16:17]
	s_or_b64 s[10:11], vcc, s[12:13]
	v_cndmask_b32_e32 v1, v5, v1, vcc
	s_or_b64 vcc, s[10:11], s[4:5]
	v_cndmask_b32_e64 v6, v26, v27, s[14:15]
	s_or_b64 s[4:5], vcc, s[14:15]
	v_cndmask_b32_e32 v1, v6, v1, vcc
	s_or_b64 vcc, s[4:5], s[6:7]
	v_cndmask_b32_e32 v6, v28, v1, vcc
	v_lshl_add_u64 v[2:3], v[2:3], 0, v[6:7]
	s_or_b64 s[4:5], vcc, s[8:9]
	v_cndmask_b32_e64 v1, 0, 1, s[4:5]
	v_mov_b32_dpp v6, v2 quad_perm:[1,0,3,2] row_mask:0xf bank_mask:0xf bound_ctrl:1
	v_mov_b32_dpp v7, v3 quad_perm:[1,0,3,2] row_mask:0xf bank_mask:0xf bound_ctrl:1
	;; [unrolled: 1-line block ×3, first 2 shown]
	v_cmp_lt_i64_e32 vcc, v[2:3], v[6:7]
	v_and_b32_e32 v5, 1, v5
	s_and_b64 vcc, s[4:5], vcc
	v_cndmask_b32_e32 v6, v6, v2, vcc
	v_cndmask_b32_e32 v7, v7, v3, vcc
	v_cmp_eq_u32_e32 vcc, 1, v5
	s_nop 1
	v_cndmask_b32_e32 v3, v3, v7, vcc
	v_cndmask_b32_e32 v2, v2, v6, vcc
	v_cndmask_b32_e64 v1, v1, 1, vcc
	v_mov_b32_dpp v7, v3 quad_perm:[2,3,0,1] row_mask:0xf bank_mask:0xf bound_ctrl:1
	v_mov_b32_dpp v6, v2 quad_perm:[2,3,0,1] row_mask:0xf bank_mask:0xf bound_ctrl:1
	;; [unrolled: 1-line block ×3, first 2 shown]
	v_and_b32_e32 v8, 1, v1
	v_and_b32_e32 v5, 1, v5
	v_cmp_eq_u32_e32 vcc, 1, v8
	v_cmp_lt_i64_e64 s[4:5], v[2:3], v[6:7]
	v_cmp_eq_u32_e64 s[6:7], 1, v5
	s_and_b64 vcc, vcc, s[4:5]
	v_cndmask_b32_e32 v5, v6, v2, vcc
	v_cndmask_b32_e64 v1, v1, 1, s[6:7]
	v_cndmask_b32_e32 v6, v7, v3, vcc
	v_cndmask_b32_e64 v2, v2, v5, s[6:7]
	v_and_b32_e32 v7, 1, v1
	v_cndmask_b32_e64 v3, v3, v6, s[6:7]
	v_mov_b32_dpp v6, v2 row_ror:4 row_mask:0xf bank_mask:0xf bound_ctrl:1
	v_cmp_eq_u32_e32 vcc, 1, v7
	v_mov_b32_dpp v7, v3 row_ror:4 row_mask:0xf bank_mask:0xf bound_ctrl:1
	v_mov_b32_dpp v5, v1 row_ror:4 row_mask:0xf bank_mask:0xf bound_ctrl:1
	v_cmp_lt_i64_e64 s[6:7], v[2:3], v[6:7]
	v_and_b32_e32 v5, 1, v5
	s_and_b64 vcc, vcc, s[6:7]
	v_cmp_eq_u32_e64 s[4:5], 1, v5
	v_cndmask_b32_e32 v6, v6, v2, vcc
	v_cndmask_b32_e32 v7, v7, v3, vcc
	v_cndmask_b32_e64 v1, v1, 1, s[4:5]
	v_cndmask_b32_e64 v2, v2, v6, s[4:5]
	;; [unrolled: 1-line block ×3, first 2 shown]
	v_and_b32_e32 v8, 1, v1
	v_mov_b32_dpp v6, v2 row_ror:8 row_mask:0xf bank_mask:0xf bound_ctrl:1
	v_mov_b32_dpp v7, v3 row_ror:8 row_mask:0xf bank_mask:0xf bound_ctrl:1
	v_mov_b32_dpp v5, v1 row_ror:8 row_mask:0xf bank_mask:0xf bound_ctrl:1
	v_cmp_eq_u32_e64 s[6:7], 1, v8
	v_cmp_lt_i64_e64 s[4:5], v[2:3], v[6:7]
	v_and_b32_e32 v5, 1, v5
	s_and_b64 s[4:5], s[6:7], s[4:5]
	v_cmp_eq_u32_e32 vcc, 1, v5
	v_cndmask_b32_e64 v6, v6, v2, s[4:5]
	v_cndmask_b32_e64 v7, v7, v3, s[4:5]
	v_cndmask_b32_e64 v1, v1, 1, vcc
	v_cndmask_b32_e32 v2, v2, v6, vcc
	v_cndmask_b32_e32 v3, v3, v7, vcc
	v_and_b32_e32 v8, 1, v1
	v_mov_b32_dpp v6, v2 row_bcast:15 row_mask:0xf bank_mask:0xf bound_ctrl:1
	v_mov_b32_dpp v7, v3 row_bcast:15 row_mask:0xf bank_mask:0xf bound_ctrl:1
	;; [unrolled: 1-line block ×3, first 2 shown]
	v_cmp_eq_u32_e32 vcc, 1, v8
	v_cmp_lt_i64_e64 s[4:5], v[2:3], v[6:7]
	v_and_b32_e32 v5, 1, v5
	s_and_b64 vcc, vcc, s[4:5]
	v_cmp_eq_u32_e64 s[6:7], 1, v5
	v_cndmask_b32_e32 v5, v6, v2, vcc
	v_cndmask_b32_e32 v6, v7, v3, vcc
	v_cndmask_b32_e64 v1, v1, 1, s[6:7]
	v_cndmask_b32_e64 v3, v3, v6, s[6:7]
	;; [unrolled: 1-line block ×3, first 2 shown]
	v_and_b32_e32 v8, 1, v1
	v_mov_b32_dpp v7, v3 row_bcast:31 row_mask:0xf bank_mask:0xf bound_ctrl:1
	v_mov_b32_dpp v6, v2 row_bcast:31 row_mask:0xf bank_mask:0xf bound_ctrl:1
	;; [unrolled: 1-line block ×3, first 2 shown]
	v_cmp_eq_u32_e32 vcc, 1, v8
	v_cmp_lt_i64_e64 s[4:5], v[2:3], v[6:7]
	v_and_b32_e32 v5, 1, v5
	s_and_b64 vcc, vcc, s[4:5]
	v_cmp_eq_u32_e64 s[6:7], 1, v5
	v_cndmask_b32_e32 v5, v6, v2, vcc
	v_cndmask_b32_e32 v6, v7, v3, vcc
	v_cndmask_b32_e64 v3, v3, v6, s[6:7]
	v_lshlrev_b32_e32 v6, 2, v4
	v_cndmask_b32_e64 v1, v1, 1, s[6:7]
	v_cndmask_b32_e64 v2, v2, v5, s[6:7]
	v_or_b32_e32 v5, 0xfc, v6
	ds_bpermute_b32 v1, v5, v1
	ds_bpermute_b32 v2, v5, v2
	ds_bpermute_b32 v3, v5, v3
	v_cmp_eq_u32_e32 vcc, 0, v4
	s_and_saveexec_b64 s[4:5], vcc
	s_cbranch_execz .LBB1482_6
; %bb.5:
	v_lshrrev_b32_e32 v5, 2, v0
	v_and_b32_e32 v5, 16, v5
	s_waitcnt lgkmcnt(2)
	ds_write_b8 v5, v1 offset:96
	s_waitcnt lgkmcnt(1)
	ds_write_b64 v5, v[2:3] offset:104
.LBB1482_6:
	s_or_b64 exec, exec, s[4:5]
	v_cmp_gt_u32_e32 vcc, 64, v0
	s_waitcnt lgkmcnt(0)
	s_barrier
	s_and_saveexec_b64 s[4:5], vcc
	s_cbranch_execz .LBB1482_12
; %bb.7:
	v_and_b32_e32 v1, 1, v4
	v_lshlrev_b32_e32 v1, 4, v1
	ds_read_u8 v8, v1 offset:96
	ds_read_b64 v[4:5], v1 offset:104
	v_or_b32_e32 v2, 4, v6
	s_waitcnt lgkmcnt(1)
	v_and_b32_e32 v1, 0xff, v8
	ds_bpermute_b32 v9, v2, v1
	s_waitcnt lgkmcnt(1)
	ds_bpermute_b32 v6, v2, v4
	ds_bpermute_b32 v7, v2, v5
                                        ; implicit-def: $vgpr2_vgpr3
	s_waitcnt lgkmcnt(2)
	v_and_b32_e32 v1, v8, v9
	v_and_b32_e32 v1, 1, v1
	v_cmp_eq_u32_e32 vcc, 1, v1
	s_and_saveexec_b64 s[6:7], vcc
	s_xor_b64 s[6:7], exec, s[6:7]
	s_cbranch_execz .LBB1482_9
; %bb.8:
	s_waitcnt lgkmcnt(0)
	v_cmp_lt_i64_e32 vcc, v[6:7], v[4:5]
                                        ; implicit-def: $vgpr8
                                        ; implicit-def: $vgpr9
	s_nop 1
	v_cndmask_b32_e32 v3, v5, v7, vcc
	v_cndmask_b32_e32 v2, v4, v6, vcc
                                        ; implicit-def: $vgpr6_vgpr7
                                        ; implicit-def: $vgpr4_vgpr5
.LBB1482_9:
	s_or_saveexec_b64 s[6:7], s[6:7]
	v_mov_b32_e32 v1, 1
	s_xor_b64 exec, exec, s[6:7]
	s_cbranch_execz .LBB1482_11
; %bb.10:
	v_and_b32_e32 v1, 1, v8
	v_cmp_eq_u32_e32 vcc, 1, v1
	s_waitcnt lgkmcnt(0)
	s_nop 0
	v_cndmask_b32_e32 v3, v7, v5, vcc
	v_cndmask_b32_e32 v2, v6, v4, vcc
	v_cndmask_b32_e64 v1, v9, 1, vcc
.LBB1482_11:
	s_or_b64 exec, exec, s[6:7]
.LBB1482_12:
	s_or_b64 exec, exec, s[4:5]
	s_branch .LBB1482_145
.LBB1482_13:
	s_mov_b64 s[12:13], 0
                                        ; implicit-def: $vgpr4_vgpr5
                                        ; implicit-def: $vgpr6
                                        ; implicit-def: $vgpr2_vgpr3
	s_cbranch_execnz .LBB1482_219
	s_branch .LBB1482_306
.LBB1482_14:
	s_mov_b64 s[28:29], -1
.LBB1482_15:
	s_mov_b64 s[12:13], 0
                                        ; implicit-def: $vgpr4_vgpr5
                                        ; implicit-def: $vgpr6
                                        ; implicit-def: $vgpr2_vgpr3
	s_and_b64 vcc, exec, s[28:29]
	s_cbranch_vccz .LBB1482_150
.LBB1482_16:
	s_cmp_eq_u32 s40, 4
	s_cbranch_scc0 .LBB1482_27
; %bb.17:
	s_mov_b32 s3, 0
	s_lshl_b32 s30, s2, 9
	s_mov_b32 s31, s3
	s_lshr_b64 s[4:5], s[22:23], 9
	s_lshl_b64 s[6:7], s[30:31], 2
	s_add_u32 s14, s24, s6
	s_addc_u32 s15, s25, s7
	s_add_u32 s16, s26, s6
	s_addc_u32 s17, s27, s7
	s_add_u32 s28, s20, s30
	s_addc_u32 s29, s21, 0
	s_cmp_lg_u64 s[4:5], s[2:3]
	s_cbranch_scc0 .LBB1482_51
; %bb.18:
	v_lshlrev_b32_e32 v1, 2, v0
	s_waitcnt lgkmcnt(0)
	global_load_dword v5, v1, s[16:17] offset:512
	global_load_dword v7, v1, s[14:15] offset:1024
	;; [unrolled: 1-line block ×6, first 2 shown]
	global_load_dword v13, v1, s[16:17]
	global_load_dword v14, v1, s[14:15]
	v_mov_b32_e32 v1, 0
	v_mov_b32_e32 v15, 0x100
	;; [unrolled: 1-line block ×3, first 2 shown]
	v_lshl_add_u64 v[2:3], s[28:29], 0, v[0:1]
	v_mov_b32_e32 v9, v1
	v_mov_b32_e32 v17, 0x180
	v_mbcnt_lo_u32_b32 v4, -1, 0
	v_mbcnt_hi_u32_b32 v4, -1, v4
	v_lshlrev_b32_e32 v6, 2, v4
	v_or_b32_e32 v18, 0xfc, v6
	s_waitcnt vmcnt(5)
	v_cmp_ne_u32_e32 vcc, v7, v8
	s_waitcnt vmcnt(3)
	v_cmp_ne_u32_e64 s[4:5], v11, v10
	s_waitcnt vmcnt(2)
	v_cmp_ne_u32_e64 s[6:7], v12, v5
	;; [unrolled: 2-line block ×3, first 2 shown]
	v_cndmask_b32_e64 v1, v15, v16, s[6:7]
	s_or_b64 s[6:7], s[8:9], s[6:7]
	v_cndmask_b32_e64 v1, v1, 0, s[8:9]
	s_or_b64 vcc, s[6:7], vcc
	v_cndmask_b32_e32 v8, v17, v1, vcc
	v_lshl_add_u64 v[2:3], v[2:3], 0, v[8:9]
	s_or_b64 s[4:5], vcc, s[4:5]
	v_cndmask_b32_e64 v1, 0, 1, s[4:5]
	v_mov_b32_dpp v8, v2 quad_perm:[1,0,3,2] row_mask:0xf bank_mask:0xf bound_ctrl:1
	v_mov_b32_dpp v9, v3 quad_perm:[1,0,3,2] row_mask:0xf bank_mask:0xf bound_ctrl:1
	;; [unrolled: 1-line block ×3, first 2 shown]
	v_cmp_lt_i64_e32 vcc, v[2:3], v[8:9]
	v_and_b32_e32 v5, 1, v5
	s_and_b64 vcc, s[4:5], vcc
	v_cndmask_b32_e32 v7, v8, v2, vcc
	v_cndmask_b32_e32 v8, v9, v3, vcc
	v_cmp_eq_u32_e32 vcc, 1, v5
	s_nop 1
	v_cndmask_b32_e32 v3, v3, v8, vcc
	v_cndmask_b32_e32 v2, v2, v7, vcc
	v_cndmask_b32_e64 v1, v1, 1, vcc
	v_mov_b32_dpp v9, v3 quad_perm:[2,3,0,1] row_mask:0xf bank_mask:0xf bound_ctrl:1
	v_mov_b32_dpp v8, v2 quad_perm:[2,3,0,1] row_mask:0xf bank_mask:0xf bound_ctrl:1
	v_mov_b32_dpp v5, v1 quad_perm:[2,3,0,1] row_mask:0xf bank_mask:0xf bound_ctrl:1
	v_and_b32_e32 v7, 1, v1
	v_and_b32_e32 v5, 1, v5
	v_cmp_eq_u32_e32 vcc, 1, v7
	v_cmp_lt_i64_e64 s[4:5], v[2:3], v[8:9]
	v_cmp_eq_u32_e64 s[6:7], 1, v5
	s_and_b64 vcc, vcc, s[4:5]
	v_cndmask_b32_e32 v5, v8, v2, vcc
	v_cndmask_b32_e64 v1, v1, 1, s[6:7]
	v_cndmask_b32_e64 v2, v2, v5, s[6:7]
	v_cndmask_b32_e32 v7, v9, v3, vcc
	v_mov_b32_dpp v5, v1 row_ror:4 row_mask:0xf bank_mask:0xf bound_ctrl:1
	v_and_b32_e32 v5, 1, v5
	v_and_b32_e32 v9, 1, v1
	v_cndmask_b32_e64 v3, v3, v7, s[6:7]
	v_cmp_eq_u32_e64 s[4:5], 1, v5
	v_mov_b32_dpp v8, v2 row_ror:4 row_mask:0xf bank_mask:0xf bound_ctrl:1
	v_cmp_eq_u32_e32 vcc, 1, v9
	v_mov_b32_dpp v9, v3 row_ror:4 row_mask:0xf bank_mask:0xf bound_ctrl:1
	v_cndmask_b32_e64 v1, v1, 1, s[4:5]
	v_cmp_lt_i64_e64 s[6:7], v[2:3], v[8:9]
	v_and_b32_e32 v7, 1, v1
	v_mov_b32_dpp v5, v1 row_ror:8 row_mask:0xf bank_mask:0xf bound_ctrl:1
	s_and_b64 vcc, vcc, s[6:7]
	v_and_b32_e32 v5, 1, v5
	v_cndmask_b32_e32 v8, v8, v2, vcc
	v_cmp_eq_u32_e64 s[6:7], 1, v7
	v_cndmask_b32_e32 v7, v9, v3, vcc
	v_cmp_eq_u32_e32 vcc, 1, v5
	v_cndmask_b32_e64 v2, v2, v8, s[4:5]
	v_cndmask_b32_e64 v3, v3, v7, s[4:5]
	v_cndmask_b32_e64 v1, v1, 1, vcc
	v_mov_b32_dpp v8, v2 row_ror:8 row_mask:0xf bank_mask:0xf bound_ctrl:1
	v_mov_b32_dpp v9, v3 row_ror:8 row_mask:0xf bank_mask:0xf bound_ctrl:1
	v_mov_b32_dpp v5, v1 row_bcast:15 row_mask:0xf bank_mask:0xf bound_ctrl:1
	v_and_b32_e32 v5, 1, v5
	v_cmp_lt_i64_e64 s[8:9], v[2:3], v[8:9]
	v_cmp_eq_u32_e64 s[10:11], 1, v5
	s_and_b64 s[6:7], s[6:7], s[8:9]
	v_and_b32_e32 v7, 1, v1
	v_cndmask_b32_e64 v1, v1, 1, s[10:11]
	v_cndmask_b32_e64 v5, v8, v2, s[6:7]
	;; [unrolled: 1-line block ×3, first 2 shown]
	v_and_b32_e32 v8, 1, v1
	v_cndmask_b32_e32 v2, v2, v5, vcc
	v_cndmask_b32_e32 v3, v3, v9, vcc
	v_cmp_eq_u32_e64 s[6:7], 1, v8
	v_mov_b32_dpp v8, v2 row_bcast:15 row_mask:0xf bank_mask:0xf bound_ctrl:1
	v_mov_b32_dpp v9, v3 row_bcast:15 row_mask:0xf bank_mask:0xf bound_ctrl:1
	v_cmp_eq_u32_e64 s[4:5], 1, v7
	v_mov_b32_dpp v7, v1 row_bcast:31 row_mask:0xf bank_mask:0xf bound_ctrl:1
	v_cmp_lt_i64_e64 s[8:9], v[2:3], v[8:9]
	v_and_b32_e32 v5, 1, v7
	s_and_b64 s[4:5], s[4:5], s[8:9]
	v_cmp_eq_u32_e32 vcc, 1, v5
	v_cndmask_b32_e64 v5, v8, v2, s[4:5]
	v_cndmask_b32_e64 v7, v9, v3, s[4:5]
	;; [unrolled: 1-line block ×4, first 2 shown]
	v_cndmask_b32_e64 v1, v1, 1, vcc
	v_mov_b32_dpp v8, v2 row_bcast:31 row_mask:0xf bank_mask:0xf bound_ctrl:1
	v_mov_b32_dpp v9, v3 row_bcast:31 row_mask:0xf bank_mask:0xf bound_ctrl:1
	v_cmp_lt_i64_e64 s[4:5], v[2:3], v[8:9]
	s_and_b64 s[4:5], s[6:7], s[4:5]
	ds_bpermute_b32 v1, v18, v1
	v_cndmask_b32_e64 v5, v8, v2, s[4:5]
	v_cndmask_b32_e64 v7, v9, v3, s[4:5]
	v_cndmask_b32_e32 v2, v2, v5, vcc
	v_cndmask_b32_e32 v3, v3, v7, vcc
	ds_bpermute_b32 v2, v18, v2
	ds_bpermute_b32 v3, v18, v3
	v_cmp_eq_u32_e32 vcc, 0, v4
	s_and_saveexec_b64 s[4:5], vcc
	s_cbranch_execz .LBB1482_20
; %bb.19:
	v_lshrrev_b32_e32 v5, 2, v0
	v_and_b32_e32 v5, 16, v5
	s_waitcnt lgkmcnt(2)
	ds_write_b8 v5, v1 offset:64
	s_waitcnt lgkmcnt(1)
	ds_write_b64 v5, v[2:3] offset:72
.LBB1482_20:
	s_or_b64 exec, exec, s[4:5]
	v_cmp_gt_u32_e32 vcc, 64, v0
	s_waitcnt lgkmcnt(0)
	s_barrier
	s_and_saveexec_b64 s[4:5], vcc
	s_cbranch_execz .LBB1482_26
; %bb.21:
	v_and_b32_e32 v1, 1, v4
	v_lshlrev_b32_e32 v1, 4, v1
	ds_read_u8 v8, v1 offset:64
	ds_read_b64 v[4:5], v1 offset:72
	v_or_b32_e32 v2, 4, v6
	s_waitcnt lgkmcnt(1)
	v_and_b32_e32 v1, 0xff, v8
	ds_bpermute_b32 v9, v2, v1
	s_waitcnt lgkmcnt(1)
	ds_bpermute_b32 v6, v2, v4
	ds_bpermute_b32 v7, v2, v5
                                        ; implicit-def: $vgpr2_vgpr3
	s_waitcnt lgkmcnt(2)
	v_and_b32_e32 v1, v8, v9
	v_and_b32_e32 v1, 1, v1
	v_cmp_eq_u32_e32 vcc, 1, v1
	s_and_saveexec_b64 s[6:7], vcc
	s_xor_b64 s[6:7], exec, s[6:7]
	s_cbranch_execz .LBB1482_23
; %bb.22:
	s_waitcnt lgkmcnt(0)
	v_cmp_lt_i64_e32 vcc, v[6:7], v[4:5]
                                        ; implicit-def: $vgpr8
                                        ; implicit-def: $vgpr9
	s_nop 1
	v_cndmask_b32_e32 v3, v5, v7, vcc
	v_cndmask_b32_e32 v2, v4, v6, vcc
                                        ; implicit-def: $vgpr6_vgpr7
                                        ; implicit-def: $vgpr4_vgpr5
.LBB1482_23:
	s_or_saveexec_b64 s[6:7], s[6:7]
	v_mov_b32_e32 v1, 1
	s_xor_b64 exec, exec, s[6:7]
	s_cbranch_execz .LBB1482_25
; %bb.24:
	v_and_b32_e32 v1, 1, v8
	v_cmp_eq_u32_e32 vcc, 1, v1
	s_waitcnt lgkmcnt(0)
	s_nop 0
	v_cndmask_b32_e32 v3, v7, v5, vcc
	v_cndmask_b32_e32 v2, v6, v4, vcc
	v_cndmask_b32_e64 v1, v9, 1, vcc
.LBB1482_25:
	s_or_b64 exec, exec, s[6:7]
.LBB1482_26:
	s_or_b64 exec, exec, s[4:5]
	s_branch .LBB1482_214
.LBB1482_27:
                                        ; implicit-def: $vgpr4_vgpr5
                                        ; implicit-def: $vgpr6
                                        ; implicit-def: $vgpr2_vgpr3
	s_branch .LBB1482_306
.LBB1482_28:
                                        ; implicit-def: $vgpr2_vgpr3
                                        ; implicit-def: $vgpr1
	s_cbranch_execz .LBB1482_145
; %bb.29:
	s_sub_i32 s41, s22, s38
	v_cmp_gt_u32_e32 vcc, s41, v0
	v_mov_b32_e32 v26, 0
	v_mov_b64_e32 v[16:17], 0
	v_mov_b64_e32 v[2:3], 0
	v_mov_b32_e32 v1, 0
	s_and_saveexec_b64 s[4:5], vcc
	s_cbranch_execz .LBB1482_31
; %bb.30:
	v_lshlrev_b32_e32 v1, 2, v0
	global_load_dword v4, v1, s[30:31]
	global_load_dword v5, v1, s[34:35]
	v_mov_b32_e32 v1, 0
	v_lshl_add_u64 v[2:3], s[36:37], 0, v[0:1]
	s_waitcnt vmcnt(0)
	v_cmp_ne_u32_e32 vcc, v4, v5
	s_nop 1
	v_cndmask_b32_e64 v1, 0, 1, vcc
.LBB1482_31:
	s_or_b64 exec, exec, s[4:5]
	v_or_b32_e32 v4, 0x80, v0
	v_cmp_gt_u32_e64 s[14:15], s41, v4
	s_and_saveexec_b64 s[4:5], s[14:15]
	s_cbranch_execz .LBB1482_33
; %bb.32:
	v_lshlrev_b32_e32 v5, 2, v0
	s_waitcnt lgkmcnt(1)
	global_load_dword v6, v5, s[30:31] offset:512
	s_waitcnt lgkmcnt(0)
	global_load_dword v7, v5, s[34:35] offset:512
	v_mov_b32_e32 v5, 0
	v_lshl_add_u64 v[16:17], s[36:37], 0, v[4:5]
	s_waitcnt vmcnt(0)
	v_cmp_ne_u32_e32 vcc, v6, v7
	s_nop 1
	v_cndmask_b32_e64 v26, 0, 1, vcc
.LBB1482_33:
	s_or_b64 exec, exec, s[4:5]
	v_or_b32_e32 v4, 0x100, v0
	v_cmp_gt_u32_e64 s[12:13], s41, v4
	v_mov_b32_e32 v24, 0
	v_mov_b64_e32 v[12:13], 0
	v_mov_b64_e32 v[14:15], 0
	v_mov_b32_e32 v25, 0
	s_and_saveexec_b64 s[4:5], s[12:13]
	s_cbranch_execz .LBB1482_35
; %bb.34:
	v_lshlrev_b32_e32 v5, 2, v0
	s_waitcnt lgkmcnt(1)
	global_load_dword v6, v5, s[30:31] offset:1024
	s_waitcnt lgkmcnt(0)
	global_load_dword v7, v5, s[34:35] offset:1024
	v_mov_b32_e32 v5, 0
	v_lshl_add_u64 v[14:15], s[36:37], 0, v[4:5]
	s_waitcnt vmcnt(0)
	v_cmp_ne_u32_e32 vcc, v6, v7
	s_nop 1
	v_cndmask_b32_e64 v25, 0, 1, vcc
.LBB1482_35:
	s_or_b64 exec, exec, s[4:5]
	v_or_b32_e32 v4, 0x180, v0
	v_cmp_gt_u32_e64 s[10:11], s41, v4
	s_and_saveexec_b64 s[4:5], s[10:11]
	s_cbranch_execz .LBB1482_37
; %bb.36:
	v_lshlrev_b32_e32 v5, 2, v0
	s_waitcnt lgkmcnt(1)
	global_load_dword v6, v5, s[30:31] offset:1536
	s_waitcnt lgkmcnt(0)
	global_load_dword v7, v5, s[34:35] offset:1536
	v_mov_b32_e32 v5, 0
	v_lshl_add_u64 v[12:13], s[36:37], 0, v[4:5]
	s_waitcnt vmcnt(0)
	v_cmp_ne_u32_e32 vcc, v6, v7
	s_nop 1
	v_cndmask_b32_e64 v24, 0, 1, vcc
.LBB1482_37:
	s_or_b64 exec, exec, s[4:5]
	v_or_b32_e32 v4, 0x200, v0
	v_cmp_gt_u32_e64 s[8:9], s41, v4
	v_mov_b32_e32 v22, 0
	v_mov_b64_e32 v[8:9], 0
	v_mov_b64_e32 v[10:11], 0
	v_mov_b32_e32 v23, 0
	s_and_saveexec_b64 s[4:5], s[8:9]
	s_cbranch_execz .LBB1482_39
; %bb.38:
	v_lshlrev_b32_e32 v5, 2, v0
	s_waitcnt lgkmcnt(1)
	global_load_dword v6, v5, s[30:31] offset:2048
	s_waitcnt lgkmcnt(0)
	global_load_dword v7, v5, s[34:35] offset:2048
	v_mov_b32_e32 v5, 0
	v_lshl_add_u64 v[10:11], s[36:37], 0, v[4:5]
	s_waitcnt vmcnt(0)
	v_cmp_ne_u32_e32 vcc, v6, v7
	s_nop 1
	v_cndmask_b32_e64 v23, 0, 1, vcc
.LBB1482_39:
	s_or_b64 exec, exec, s[4:5]
	v_or_b32_e32 v4, 0x280, v0
	v_cmp_gt_u32_e64 s[6:7], s41, v4
	s_and_saveexec_b64 s[4:5], s[6:7]
	s_cbranch_execz .LBB1482_41
; %bb.40:
	v_lshlrev_b32_e32 v5, 2, v0
	s_waitcnt lgkmcnt(1)
	global_load_dword v6, v5, s[30:31] offset:2560
	s_waitcnt lgkmcnt(0)
	global_load_dword v7, v5, s[34:35] offset:2560
	v_mov_b32_e32 v5, 0
	v_lshl_add_u64 v[8:9], s[36:37], 0, v[4:5]
	s_waitcnt vmcnt(0)
	v_cmp_ne_u32_e32 vcc, v6, v7
	s_nop 1
	v_cndmask_b32_e64 v22, 0, 1, vcc
.LBB1482_41:
	s_or_b64 exec, exec, s[4:5]
	v_or_b32_e32 v18, 0x300, v0
	v_cmp_gt_u32_e64 s[4:5], s41, v18
	v_mov_b64_e32 v[4:5], 0
	v_mov_b32_e32 v20, 0
	v_mov_b32_e32 v21, 0
	s_waitcnt lgkmcnt(0)
	v_mov_b64_e32 v[6:7], 0
	s_and_saveexec_b64 s[16:17], s[4:5]
	s_cbranch_execz .LBB1482_43
; %bb.42:
	v_lshlrev_b32_e32 v6, 2, v0
	global_load_dword v21, v6, s[30:31] offset:3072
	global_load_dword v27, v6, s[34:35] offset:3072
	v_mov_b32_e32 v19, 0
	v_lshl_add_u64 v[6:7], s[36:37], 0, v[18:19]
	s_waitcnt vmcnt(0)
	v_cmp_ne_u32_e32 vcc, v21, v27
	s_nop 1
	v_cndmask_b32_e64 v21, 0, 1, vcc
.LBB1482_43:
	s_or_b64 exec, exec, s[16:17]
	v_or_b32_e32 v18, 0x380, v0
	v_cmp_gt_u32_e32 vcc, s41, v18
	s_and_saveexec_b64 s[38:39], vcc
	s_cbranch_execnz .LBB1482_62
; %bb.44:
	s_or_b64 exec, exec, s[38:39]
	s_and_saveexec_b64 s[30:31], s[14:15]
	s_cbranch_execnz .LBB1482_63
.LBB1482_45:
	s_or_b64 exec, exec, s[30:31]
	s_and_saveexec_b64 s[16:17], s[12:13]
	s_cbranch_execnz .LBB1482_68
.LBB1482_46:
	s_or_b64 exec, exec, s[16:17]
	s_and_saveexec_b64 s[14:15], s[10:11]
	s_cbranch_execnz .LBB1482_73
.LBB1482_47:
	s_or_b64 exec, exec, s[14:15]
	s_and_saveexec_b64 s[12:13], s[8:9]
	s_cbranch_execnz .LBB1482_78
.LBB1482_48:
	s_or_b64 exec, exec, s[12:13]
	s_and_saveexec_b64 s[10:11], s[6:7]
	s_cbranch_execnz .LBB1482_83
.LBB1482_49:
	s_or_b64 exec, exec, s[10:11]
	s_and_saveexec_b64 s[8:9], s[4:5]
	s_cbranch_execnz .LBB1482_88
.LBB1482_50:
	s_or_b64 exec, exec, s[8:9]
	s_and_saveexec_b64 s[6:7], vcc
	s_cbranch_execnz .LBB1482_93
	s_branch .LBB1482_98
.LBB1482_51:
                                        ; implicit-def: $vgpr2_vgpr3
                                        ; implicit-def: $vgpr1
	s_cbranch_execz .LBB1482_214
; %bb.52:
	s_sub_i32 s30, s22, s30
	v_cmp_gt_u32_e32 vcc, s30, v0
	v_mov_b32_e32 v14, 0
	s_waitcnt lgkmcnt(1)
	v_mov_b64_e32 v[8:9], 0
	v_mov_b64_e32 v[2:3], 0
	v_mov_b32_e32 v1, 0
	s_and_saveexec_b64 s[4:5], vcc
	s_cbranch_execz .LBB1482_54
; %bb.53:
	v_lshlrev_b32_e32 v1, 2, v0
	global_load_dword v4, v1, s[14:15]
	s_waitcnt lgkmcnt(0)
	global_load_dword v5, v1, s[16:17]
	v_mov_b32_e32 v1, 0
	v_lshl_add_u64 v[2:3], s[28:29], 0, v[0:1]
	s_waitcnt vmcnt(0)
	v_cmp_ne_u32_e32 vcc, v4, v5
	s_nop 1
	v_cndmask_b32_e64 v1, 0, 1, vcc
.LBB1482_54:
	s_or_b64 exec, exec, s[4:5]
	v_or_b32_e32 v4, 0x80, v0
	v_cmp_gt_u32_e64 s[6:7], s30, v4
	s_and_saveexec_b64 s[4:5], s[6:7]
	s_cbranch_execz .LBB1482_56
; %bb.55:
	s_waitcnt lgkmcnt(0)
	v_lshlrev_b32_e32 v5, 2, v0
	global_load_dword v6, v5, s[14:15] offset:512
	global_load_dword v7, v5, s[16:17] offset:512
	v_mov_b32_e32 v5, 0
	v_lshl_add_u64 v[8:9], s[28:29], 0, v[4:5]
	s_waitcnt vmcnt(0)
	v_cmp_ne_u32_e32 vcc, v6, v7
	s_nop 1
	v_cndmask_b32_e64 v14, 0, 1, vcc
.LBB1482_56:
	s_or_b64 exec, exec, s[4:5]
	v_or_b32_e32 v10, 0x100, v0
	v_cmp_gt_u32_e64 s[4:5], s30, v10
	v_mov_b32_e32 v12, 0
	s_waitcnt lgkmcnt(0)
	v_mov_b64_e32 v[4:5], 0
	v_mov_b64_e32 v[6:7], 0
	v_mov_b32_e32 v13, 0
	s_and_saveexec_b64 s[8:9], s[4:5]
	s_cbranch_execz .LBB1482_58
; %bb.57:
	v_lshlrev_b32_e32 v6, 2, v0
	global_load_dword v13, v6, s[14:15] offset:1024
	global_load_dword v15, v6, s[16:17] offset:1024
	v_mov_b32_e32 v11, 0
	v_lshl_add_u64 v[6:7], s[28:29], 0, v[10:11]
	s_waitcnt vmcnt(0)
	v_cmp_ne_u32_e32 vcc, v13, v15
	s_nop 1
	v_cndmask_b32_e64 v13, 0, 1, vcc
.LBB1482_58:
	s_or_b64 exec, exec, s[8:9]
	v_or_b32_e32 v10, 0x180, v0
	v_cmp_gt_u32_e32 vcc, s30, v10
	s_and_saveexec_b64 s[10:11], vcc
	s_cbranch_execnz .LBB1482_151
; %bb.59:
	s_or_b64 exec, exec, s[10:11]
	s_and_saveexec_b64 s[10:11], s[6:7]
	s_cbranch_execnz .LBB1482_152
.LBB1482_60:
	s_or_b64 exec, exec, s[10:11]
	s_and_saveexec_b64 s[8:9], s[4:5]
	s_cbranch_execnz .LBB1482_157
.LBB1482_61:
	s_or_b64 exec, exec, s[8:9]
	s_and_saveexec_b64 s[6:7], vcc
	s_cbranch_execnz .LBB1482_162
	s_branch .LBB1482_167
.LBB1482_62:
	v_lshlrev_b32_e32 v4, 2, v0
	global_load_dword v20, v4, s[30:31] offset:3584
	global_load_dword v27, v4, s[34:35] offset:3584
	v_mov_b32_e32 v19, 0
	v_lshl_add_u64 v[4:5], s[36:37], 0, v[18:19]
	s_waitcnt vmcnt(0)
	v_cmp_ne_u32_e64 s[16:17], v20, v27
	s_nop 1
	v_cndmask_b32_e64 v20, 0, 1, s[16:17]
	s_or_b64 exec, exec, s[38:39]
	s_and_saveexec_b64 s[30:31], s[14:15]
	s_cbranch_execz .LBB1482_45
.LBB1482_63:
	v_and_b32_e32 v1, 1, v1
	v_cmp_eq_u32_e64 s[14:15], 1, v1
	v_and_b32_e32 v1, 1, v26
	v_cmp_eq_u32_e64 s[16:17], 1, v1
	s_and_b64 s[16:17], s[14:15], s[16:17]
	s_xor_b64 s[16:17], s[16:17], -1
                                        ; implicit-def: $vgpr1
	s_and_saveexec_b64 s[34:35], s[16:17]
	s_xor_b64 s[16:17], exec, s[34:35]
; %bb.64:
	v_and_b32_e32 v1, 0xffff, v26
	v_cndmask_b32_e64 v1, v1, 1, s[14:15]
	v_cndmask_b32_e64 v3, v17, v3, s[14:15]
	;; [unrolled: 1-line block ×3, first 2 shown]
                                        ; implicit-def: $vgpr16_vgpr17
; %bb.65:
	s_andn2_saveexec_b64 s[16:17], s[16:17]
; %bb.66:
	v_cmp_lt_i64_e64 s[14:15], v[16:17], v[2:3]
	v_mov_b32_e32 v1, 1
	s_nop 0
	v_cndmask_b32_e64 v3, v3, v17, s[14:15]
	v_cndmask_b32_e64 v2, v2, v16, s[14:15]
; %bb.67:
	s_or_b64 exec, exec, s[16:17]
	s_or_b64 exec, exec, s[30:31]
	s_and_saveexec_b64 s[16:17], s[12:13]
	s_cbranch_execz .LBB1482_46
.LBB1482_68:
	v_and_b32_e32 v1, 1, v1
	v_cmp_eq_u32_e64 s[12:13], 1, v1
	v_and_b32_e32 v1, 1, v25
	v_cmp_eq_u32_e64 s[14:15], 1, v1
	s_and_b64 s[14:15], s[12:13], s[14:15]
	s_xor_b64 s[14:15], s[14:15], -1
                                        ; implicit-def: $vgpr1
	s_and_saveexec_b64 s[30:31], s[14:15]
	s_xor_b64 s[14:15], exec, s[30:31]
; %bb.69:
	v_and_b32_e32 v1, 0xffff, v25
	v_cndmask_b32_e64 v1, v1, 1, s[12:13]
	v_cndmask_b32_e64 v3, v15, v3, s[12:13]
	;; [unrolled: 1-line block ×3, first 2 shown]
                                        ; implicit-def: $vgpr14_vgpr15
; %bb.70:
	s_andn2_saveexec_b64 s[14:15], s[14:15]
; %bb.71:
	v_cmp_lt_i64_e64 s[12:13], v[14:15], v[2:3]
	v_mov_b32_e32 v1, 1
	s_nop 0
	v_cndmask_b32_e64 v3, v3, v15, s[12:13]
	v_cndmask_b32_e64 v2, v2, v14, s[12:13]
; %bb.72:
	s_or_b64 exec, exec, s[14:15]
	s_or_b64 exec, exec, s[16:17]
	s_and_saveexec_b64 s[14:15], s[10:11]
	s_cbranch_execz .LBB1482_47
.LBB1482_73:
	v_and_b32_e32 v1, 1, v1
	v_cmp_eq_u32_e64 s[10:11], 1, v1
	v_and_b32_e32 v1, 1, v24
	v_cmp_eq_u32_e64 s[12:13], 1, v1
	s_and_b64 s[12:13], s[10:11], s[12:13]
	s_xor_b64 s[12:13], s[12:13], -1
                                        ; implicit-def: $vgpr1
	s_and_saveexec_b64 s[16:17], s[12:13]
	s_xor_b64 s[12:13], exec, s[16:17]
; %bb.74:
	v_and_b32_e32 v1, 0xffff, v24
	v_cndmask_b32_e64 v1, v1, 1, s[10:11]
	v_cndmask_b32_e64 v3, v13, v3, s[10:11]
	;; [unrolled: 1-line block ×3, first 2 shown]
                                        ; implicit-def: $vgpr12_vgpr13
; %bb.75:
	s_andn2_saveexec_b64 s[12:13], s[12:13]
; %bb.76:
	v_cmp_lt_i64_e64 s[10:11], v[12:13], v[2:3]
	v_mov_b32_e32 v1, 1
	s_nop 0
	v_cndmask_b32_e64 v3, v3, v13, s[10:11]
	v_cndmask_b32_e64 v2, v2, v12, s[10:11]
; %bb.77:
	s_or_b64 exec, exec, s[12:13]
	s_or_b64 exec, exec, s[14:15]
	s_and_saveexec_b64 s[12:13], s[8:9]
	s_cbranch_execz .LBB1482_48
.LBB1482_78:
	v_and_b32_e32 v1, 1, v1
	v_cmp_eq_u32_e64 s[8:9], 1, v1
	v_and_b32_e32 v1, 1, v23
	v_cmp_eq_u32_e64 s[10:11], 1, v1
	s_and_b64 s[10:11], s[8:9], s[10:11]
	s_xor_b64 s[10:11], s[10:11], -1
                                        ; implicit-def: $vgpr1
	s_and_saveexec_b64 s[14:15], s[10:11]
	s_xor_b64 s[10:11], exec, s[14:15]
; %bb.79:
	v_and_b32_e32 v1, 0xffff, v23
	v_cndmask_b32_e64 v1, v1, 1, s[8:9]
	v_cndmask_b32_e64 v3, v11, v3, s[8:9]
	;; [unrolled: 1-line block ×3, first 2 shown]
                                        ; implicit-def: $vgpr10_vgpr11
; %bb.80:
	s_andn2_saveexec_b64 s[10:11], s[10:11]
; %bb.81:
	v_cmp_lt_i64_e64 s[8:9], v[10:11], v[2:3]
	v_mov_b32_e32 v1, 1
	s_nop 0
	v_cndmask_b32_e64 v3, v3, v11, s[8:9]
	v_cndmask_b32_e64 v2, v2, v10, s[8:9]
; %bb.82:
	s_or_b64 exec, exec, s[10:11]
	s_or_b64 exec, exec, s[12:13]
	s_and_saveexec_b64 s[10:11], s[6:7]
	s_cbranch_execz .LBB1482_49
.LBB1482_83:
	v_and_b32_e32 v1, 1, v1
	v_cmp_eq_u32_e64 s[6:7], 1, v1
	v_and_b32_e32 v1, 1, v22
	v_cmp_eq_u32_e64 s[8:9], 1, v1
	s_and_b64 s[8:9], s[6:7], s[8:9]
	s_xor_b64 s[8:9], s[8:9], -1
                                        ; implicit-def: $vgpr1
	s_and_saveexec_b64 s[12:13], s[8:9]
	s_xor_b64 s[8:9], exec, s[12:13]
; %bb.84:
	v_and_b32_e32 v1, 0xffff, v22
	v_cndmask_b32_e64 v1, v1, 1, s[6:7]
	v_cndmask_b32_e64 v3, v9, v3, s[6:7]
	;; [unrolled: 1-line block ×3, first 2 shown]
                                        ; implicit-def: $vgpr8_vgpr9
; %bb.85:
	s_andn2_saveexec_b64 s[8:9], s[8:9]
; %bb.86:
	v_cmp_lt_i64_e64 s[6:7], v[8:9], v[2:3]
	v_mov_b32_e32 v1, 1
	s_nop 0
	v_cndmask_b32_e64 v3, v3, v9, s[6:7]
	v_cndmask_b32_e64 v2, v2, v8, s[6:7]
; %bb.87:
	s_or_b64 exec, exec, s[8:9]
	s_or_b64 exec, exec, s[10:11]
	s_and_saveexec_b64 s[8:9], s[4:5]
	s_cbranch_execz .LBB1482_50
.LBB1482_88:
	v_and_b32_e32 v1, 1, v1
	v_cmp_eq_u32_e64 s[4:5], 1, v1
	v_and_b32_e32 v1, 1, v21
	v_cmp_eq_u32_e64 s[6:7], 1, v1
	s_and_b64 s[6:7], s[4:5], s[6:7]
	s_xor_b64 s[6:7], s[6:7], -1
                                        ; implicit-def: $vgpr1
	s_and_saveexec_b64 s[10:11], s[6:7]
	s_xor_b64 s[6:7], exec, s[10:11]
; %bb.89:
	v_and_b32_e32 v1, 0xffff, v21
	v_cndmask_b32_e64 v1, v1, 1, s[4:5]
	v_cndmask_b32_e64 v3, v7, v3, s[4:5]
	;; [unrolled: 1-line block ×3, first 2 shown]
                                        ; implicit-def: $vgpr6_vgpr7
; %bb.90:
	s_andn2_saveexec_b64 s[6:7], s[6:7]
; %bb.91:
	v_cmp_lt_i64_e64 s[4:5], v[6:7], v[2:3]
	v_mov_b32_e32 v1, 1
	s_nop 0
	v_cndmask_b32_e64 v3, v3, v7, s[4:5]
	v_cndmask_b32_e64 v2, v2, v6, s[4:5]
; %bb.92:
	s_or_b64 exec, exec, s[6:7]
	s_or_b64 exec, exec, s[8:9]
	s_and_saveexec_b64 s[6:7], vcc
	s_cbranch_execz .LBB1482_98
.LBB1482_93:
	v_and_b32_e32 v1, 1, v1
	v_cmp_eq_u32_e32 vcc, 1, v1
	v_and_b32_e32 v1, 1, v20
	v_cmp_eq_u32_e64 s[4:5], 1, v1
	s_and_b64 s[4:5], vcc, s[4:5]
	s_xor_b64 s[4:5], s[4:5], -1
                                        ; implicit-def: $vgpr1
	s_and_saveexec_b64 s[8:9], s[4:5]
	s_xor_b64 s[4:5], exec, s[8:9]
; %bb.94:
	v_and_b32_e32 v1, 0xffff, v20
	v_cndmask_b32_e64 v1, v1, 1, vcc
	v_cndmask_b32_e32 v3, v5, v3, vcc
	v_cndmask_b32_e32 v2, v4, v2, vcc
                                        ; implicit-def: $vgpr4_vgpr5
; %bb.95:
	s_andn2_saveexec_b64 s[4:5], s[4:5]
; %bb.96:
	v_cmp_lt_i64_e32 vcc, v[4:5], v[2:3]
	v_mov_b32_e32 v1, 1
	s_nop 0
	v_cndmask_b32_e32 v3, v3, v5, vcc
	v_cndmask_b32_e32 v2, v2, v4, vcc
; %bb.97:
	s_or_b64 exec, exec, s[4:5]
.LBB1482_98:
	s_or_b64 exec, exec, s[6:7]
	v_mbcnt_lo_u32_b32 v4, -1, 0
	v_mbcnt_hi_u32_b32 v6, -1, v4
	v_and_b32_e32 v7, 63, v6
	v_cmp_ne_u32_e32 vcc, 63, v7
	s_min_u32 s8, s41, 0x80
	v_and_b32_e32 v8, 64, v0
	v_addc_co_u32_e32 v4, vcc, 0, v6, vcc
	v_lshlrev_b32_e32 v5, 2, v4
	ds_bpermute_b32 v9, v5, v1
	ds_bpermute_b32 v4, v5, v2
	;; [unrolled: 1-line block ×3, first 2 shown]
	v_sub_u32_e64 v8, s8, v8 clamp
	v_add_u32_e32 v10, 1, v7
	v_cmp_lt_u32_e32 vcc, v10, v8
	s_and_saveexec_b64 s[4:5], vcc
	s_xor_b64 s[4:5], exec, s[4:5]
	s_cbranch_execz .LBB1482_104
; %bb.99:
	s_waitcnt lgkmcnt(2)
	v_and_b32_e32 v10, v9, v1
	v_cmp_ne_u32_e32 vcc, 0, v10
	s_and_saveexec_b64 s[6:7], vcc
	s_xor_b64 s[6:7], exec, s[6:7]
	s_cbranch_execz .LBB1482_101
; %bb.100:
	s_waitcnt lgkmcnt(0)
	v_cmp_lt_i64_e32 vcc, v[4:5], v[2:3]
                                        ; implicit-def: $vgpr1
                                        ; implicit-def: $vgpr9
	s_nop 1
	v_cndmask_b32_e32 v3, v3, v5, vcc
	v_cndmask_b32_e32 v2, v2, v4, vcc
                                        ; implicit-def: $vgpr4_vgpr5
.LBB1482_101:
	s_or_saveexec_b64 s[6:7], s[6:7]
	v_mov_b32_e32 v10, 1
	s_xor_b64 exec, exec, s[6:7]
	s_cbranch_execz .LBB1482_103
; %bb.102:
	v_and_b32_e32 v1, 1, v1
	v_cmp_eq_u32_e32 vcc, 1, v1
	v_and_b32_e32 v1, 0xff, v9
	s_waitcnt lgkmcnt(0)
	v_cndmask_b32_e32 v3, v5, v3, vcc
	v_cndmask_b32_e32 v2, v4, v2, vcc
	v_cndmask_b32_e64 v10, v1, 1, vcc
.LBB1482_103:
	s_or_b64 exec, exec, s[6:7]
	v_mov_b32_e32 v1, v10
.LBB1482_104:
	s_or_b64 exec, exec, s[4:5]
	v_cmp_gt_u32_e32 vcc, 62, v7
	v_add_u32_e32 v10, 2, v7
	s_waitcnt lgkmcnt(1)
	v_cndmask_b32_e64 v4, 0, 2, vcc
	s_waitcnt lgkmcnt(0)
	v_add_lshl_u32 v5, v4, v6, 2
	ds_bpermute_b32 v9, v5, v1
	ds_bpermute_b32 v4, v5, v2
	ds_bpermute_b32 v5, v5, v3
	v_cmp_lt_u32_e32 vcc, v10, v8
	s_and_saveexec_b64 s[4:5], vcc
	s_cbranch_execz .LBB1482_110
; %bb.105:
	s_waitcnt lgkmcnt(2)
	v_and_b32_e32 v10, v1, v9
	v_and_b32_e32 v10, 1, v10
	v_cmp_eq_u32_e32 vcc, 1, v10
	s_and_saveexec_b64 s[6:7], vcc
	s_xor_b64 s[6:7], exec, s[6:7]
	s_cbranch_execz .LBB1482_107
; %bb.106:
	s_waitcnt lgkmcnt(0)
	v_cmp_lt_i64_e32 vcc, v[4:5], v[2:3]
                                        ; implicit-def: $vgpr1
                                        ; implicit-def: $vgpr9
	s_nop 1
	v_cndmask_b32_e32 v3, v3, v5, vcc
	v_cndmask_b32_e32 v2, v2, v4, vcc
                                        ; implicit-def: $vgpr4_vgpr5
.LBB1482_107:
	s_or_saveexec_b64 s[6:7], s[6:7]
	v_mov_b32_e32 v10, 1
	s_xor_b64 exec, exec, s[6:7]
	s_cbranch_execz .LBB1482_109
; %bb.108:
	v_and_b32_e32 v1, 1, v1
	v_cmp_eq_u32_e32 vcc, 1, v1
	v_and_b32_e32 v1, 0xff, v9
	s_waitcnt lgkmcnt(0)
	v_cndmask_b32_e32 v3, v5, v3, vcc
	v_cndmask_b32_e32 v2, v4, v2, vcc
	v_cndmask_b32_e64 v10, v1, 1, vcc
.LBB1482_109:
	s_or_b64 exec, exec, s[6:7]
	v_mov_b32_e32 v1, v10
.LBB1482_110:
	s_or_b64 exec, exec, s[4:5]
	v_cmp_gt_u32_e32 vcc, 60, v7
	v_add_u32_e32 v10, 4, v7
	s_waitcnt lgkmcnt(1)
	v_cndmask_b32_e64 v4, 0, 4, vcc
	s_waitcnt lgkmcnt(0)
	v_add_lshl_u32 v5, v4, v6, 2
	ds_bpermute_b32 v9, v5, v1
	ds_bpermute_b32 v4, v5, v2
	ds_bpermute_b32 v5, v5, v3
	v_cmp_lt_u32_e32 vcc, v10, v8
	s_and_saveexec_b64 s[4:5], vcc
	s_cbranch_execz .LBB1482_116
; %bb.111:
	s_waitcnt lgkmcnt(2)
	v_and_b32_e32 v10, v1, v9
	v_and_b32_e32 v10, 1, v10
	v_cmp_eq_u32_e32 vcc, 1, v10
	s_and_saveexec_b64 s[6:7], vcc
	s_xor_b64 s[6:7], exec, s[6:7]
	s_cbranch_execz .LBB1482_113
; %bb.112:
	s_waitcnt lgkmcnt(0)
	v_cmp_lt_i64_e32 vcc, v[4:5], v[2:3]
                                        ; implicit-def: $vgpr1
                                        ; implicit-def: $vgpr9
	s_nop 1
	v_cndmask_b32_e32 v3, v3, v5, vcc
	v_cndmask_b32_e32 v2, v2, v4, vcc
                                        ; implicit-def: $vgpr4_vgpr5
.LBB1482_113:
	s_or_saveexec_b64 s[6:7], s[6:7]
	v_mov_b32_e32 v10, 1
	s_xor_b64 exec, exec, s[6:7]
	s_cbranch_execz .LBB1482_115
; %bb.114:
	v_and_b32_e32 v1, 1, v1
	v_cmp_eq_u32_e32 vcc, 1, v1
	v_and_b32_e32 v1, 0xff, v9
	s_waitcnt lgkmcnt(0)
	v_cndmask_b32_e32 v3, v5, v3, vcc
	v_cndmask_b32_e32 v2, v4, v2, vcc
	v_cndmask_b32_e64 v10, v1, 1, vcc
.LBB1482_115:
	s_or_b64 exec, exec, s[6:7]
	v_mov_b32_e32 v1, v10
.LBB1482_116:
	;; [unrolled: 47-line block ×4, first 2 shown]
	s_or_b64 exec, exec, s[4:5]
	s_waitcnt lgkmcnt(2)
	v_lshlrev_b32_e32 v9, 2, v6
	s_waitcnt lgkmcnt(0)
	v_or_b32_e32 v5, 0x80, v9
	ds_bpermute_b32 v10, v5, v1
	ds_bpermute_b32 v4, v5, v2
	;; [unrolled: 1-line block ×3, first 2 shown]
	v_add_u32_e32 v7, 32, v7
	v_cmp_lt_u32_e32 vcc, v7, v8
	v_mov_b32_e32 v7, v1
	s_and_saveexec_b64 s[4:5], vcc
	s_cbranch_execz .LBB1482_134
; %bb.129:
	s_waitcnt lgkmcnt(2)
	v_and_b32_e32 v7, v1, v10
	v_and_b32_e32 v7, 1, v7
	v_cmp_eq_u32_e32 vcc, 1, v7
	s_and_saveexec_b64 s[6:7], vcc
	s_xor_b64 s[6:7], exec, s[6:7]
	s_cbranch_execz .LBB1482_131
; %bb.130:
	s_waitcnt lgkmcnt(0)
	v_cmp_lt_i64_e32 vcc, v[4:5], v[2:3]
                                        ; implicit-def: $vgpr1
                                        ; implicit-def: $vgpr10
	s_nop 1
	v_cndmask_b32_e32 v3, v3, v5, vcc
	v_cndmask_b32_e32 v2, v2, v4, vcc
                                        ; implicit-def: $vgpr4_vgpr5
.LBB1482_131:
	s_or_saveexec_b64 s[6:7], s[6:7]
	v_mov_b32_e32 v7, 1
	s_xor_b64 exec, exec, s[6:7]
	s_cbranch_execz .LBB1482_133
; %bb.132:
	v_and_b32_e32 v1, 1, v1
	v_cmp_eq_u32_e32 vcc, 1, v1
	s_nop 1
	v_cndmask_b32_e64 v7, v10, 1, vcc
	s_waitcnt lgkmcnt(0)
	v_cndmask_b32_e32 v3, v5, v3, vcc
	v_cndmask_b32_e32 v2, v4, v2, vcc
.LBB1482_133:
	s_or_b64 exec, exec, s[6:7]
	v_and_b32_e32 v1, 0xff, v7
.LBB1482_134:
	s_or_b64 exec, exec, s[4:5]
	v_cmp_eq_u32_e32 vcc, 0, v6
	s_and_saveexec_b64 s[4:5], vcc
	s_cbranch_execz .LBB1482_136
; %bb.135:
	s_waitcnt lgkmcnt(1)
	v_lshrrev_b32_e32 v4, 2, v0
	v_and_b32_e32 v4, 16, v4
	ds_write_b8 v4, v7 offset:128
	ds_write_b64 v4, v[2:3] offset:136
.LBB1482_136:
	s_or_b64 exec, exec, s[4:5]
	v_cmp_gt_u32_e32 vcc, 2, v0
	s_waitcnt lgkmcnt(0)
	s_barrier
	s_and_saveexec_b64 s[4:5], vcc
	s_cbranch_execz .LBB1482_144
; %bb.137:
	v_lshlrev_b32_e32 v1, 4, v6
	ds_read_u8 v7, v1 offset:128
	ds_read_b64 v[2:3], v1 offset:136
	v_or_b32_e32 v5, 4, v9
	s_add_i32 s8, s8, 63
	v_and_b32_e32 v6, 1, v6
	s_waitcnt lgkmcnt(1)
	v_and_b32_e32 v1, 0xff, v7
	s_waitcnt lgkmcnt(0)
	ds_bpermute_b32 v4, v5, v2
	ds_bpermute_b32 v8, v5, v1
	;; [unrolled: 1-line block ×3, first 2 shown]
	s_lshr_b32 s6, s8, 6
	v_add_u32_e32 v6, 1, v6
	v_cmp_gt_u32_e32 vcc, s6, v6
	s_and_saveexec_b64 s[6:7], vcc
	s_cbranch_execz .LBB1482_143
; %bb.138:
	s_waitcnt lgkmcnt(1)
	v_and_b32_e32 v1, v1, v8
	v_and_b32_e32 v1, 1, v1
	v_cmp_eq_u32_e32 vcc, 1, v1
	s_and_saveexec_b64 s[8:9], vcc
	s_xor_b64 s[8:9], exec, s[8:9]
	s_cbranch_execz .LBB1482_140
; %bb.139:
	s_waitcnt lgkmcnt(0)
	v_cmp_lt_i64_e32 vcc, v[4:5], v[2:3]
                                        ; implicit-def: $vgpr7
                                        ; implicit-def: $vgpr8
	s_nop 1
	v_cndmask_b32_e32 v3, v3, v5, vcc
	v_cndmask_b32_e32 v2, v2, v4, vcc
                                        ; implicit-def: $vgpr4_vgpr5
.LBB1482_140:
	s_or_saveexec_b64 s[8:9], s[8:9]
	v_mov_b32_e32 v1, 1
	s_xor_b64 exec, exec, s[8:9]
	s_cbranch_execz .LBB1482_142
; %bb.141:
	v_and_b32_e32 v1, 1, v7
	v_cmp_eq_u32_e32 vcc, 1, v1
	s_waitcnt lgkmcnt(0)
	s_nop 0
	v_cndmask_b32_e32 v3, v5, v3, vcc
	v_cndmask_b32_e32 v2, v4, v2, vcc
	v_cndmask_b32_e64 v1, v8, 1, vcc
.LBB1482_142:
	s_or_b64 exec, exec, s[8:9]
.LBB1482_143:
	s_or_b64 exec, exec, s[6:7]
.LBB1482_144:
	s_or_b64 exec, exec, s[4:5]
.LBB1482_145:
	v_cmp_eq_u32_e32 vcc, 0, v0
	s_mov_b64 s[12:13], 0
                                        ; implicit-def: $vgpr4_vgpr5
                                        ; implicit-def: $vgpr6
	s_and_saveexec_b64 s[4:5], vcc
	s_xor_b64 s[8:9], exec, s[4:5]
	s_cbranch_execz .LBB1482_149
; %bb.146:
	s_cmp_eq_u64 s[22:23], 0
	s_waitcnt lgkmcnt(0)
	v_mov_b64_e32 v[4:5], s[18:19]
	v_mov_b32_e32 v6, s33
	s_cbranch_scc1 .LBB1482_148
; %bb.147:
	s_bitcmp1_b32 s33, 0
	v_and_b32_e32 v4, 1, v1
	v_cmp_eq_u32_e32 vcc, 1, v4
	v_cmp_gt_i64_e64 s[4:5], s[18:19], v[2:3]
	s_cselect_b64 s[6:7], -1, 0
	v_cndmask_b32_e64 v6, v1, 1, s[6:7]
	v_mov_b32_e32 v1, s18
	s_and_b64 vcc, vcc, s[4:5]
	v_mov_b32_e32 v4, s19
	v_cndmask_b32_e32 v1, v1, v2, vcc
	v_cndmask_b32_e32 v4, v4, v3, vcc
	v_cndmask_b32_e64 v5, v3, v4, s[6:7]
	v_cndmask_b32_e64 v4, v2, v1, s[6:7]
.LBB1482_148:
	s_mov_b64 s[12:13], exec
.LBB1482_149:
	s_or_b64 exec, exec, s[8:9]
	v_mov_b64_e32 v[2:3], s[2:3]
	s_and_b64 vcc, exec, s[28:29]
	s_cbranch_vccnz .LBB1482_16
.LBB1482_150:
	s_branch .LBB1482_306
.LBB1482_151:
	v_lshlrev_b32_e32 v4, 2, v0
	global_load_dword v12, v4, s[14:15] offset:1536
	global_load_dword v15, v4, s[16:17] offset:1536
	v_mov_b32_e32 v11, 0
	v_lshl_add_u64 v[4:5], s[28:29], 0, v[10:11]
	s_waitcnt vmcnt(0)
	v_cmp_ne_u32_e64 s[8:9], v12, v15
	s_nop 1
	v_cndmask_b32_e64 v12, 0, 1, s[8:9]
	s_or_b64 exec, exec, s[10:11]
	s_and_saveexec_b64 s[10:11], s[6:7]
	s_cbranch_execz .LBB1482_60
.LBB1482_152:
	v_and_b32_e32 v1, 1, v1
	v_cmp_eq_u32_e64 s[6:7], 1, v1
	v_and_b32_e32 v1, 1, v14
	v_cmp_eq_u32_e64 s[8:9], 1, v1
	s_and_b64 s[8:9], s[6:7], s[8:9]
	s_xor_b64 s[8:9], s[8:9], -1
                                        ; implicit-def: $vgpr1
	s_and_saveexec_b64 s[14:15], s[8:9]
	s_xor_b64 s[8:9], exec, s[14:15]
; %bb.153:
	v_and_b32_e32 v1, 0xffff, v14
	v_cndmask_b32_e64 v1, v1, 1, s[6:7]
	v_cndmask_b32_e64 v3, v9, v3, s[6:7]
	v_cndmask_b32_e64 v2, v8, v2, s[6:7]
                                        ; implicit-def: $vgpr8_vgpr9
; %bb.154:
	s_andn2_saveexec_b64 s[8:9], s[8:9]
; %bb.155:
	v_cmp_lt_i64_e64 s[6:7], v[8:9], v[2:3]
	v_mov_b32_e32 v1, 1
	s_nop 0
	v_cndmask_b32_e64 v3, v3, v9, s[6:7]
	v_cndmask_b32_e64 v2, v2, v8, s[6:7]
; %bb.156:
	s_or_b64 exec, exec, s[8:9]
	s_or_b64 exec, exec, s[10:11]
	s_and_saveexec_b64 s[8:9], s[4:5]
	s_cbranch_execz .LBB1482_61
.LBB1482_157:
	v_and_b32_e32 v1, 1, v1
	v_cmp_eq_u32_e64 s[4:5], 1, v1
	v_and_b32_e32 v1, 1, v13
	v_cmp_eq_u32_e64 s[6:7], 1, v1
	s_and_b64 s[6:7], s[4:5], s[6:7]
	s_xor_b64 s[6:7], s[6:7], -1
                                        ; implicit-def: $vgpr1
	s_and_saveexec_b64 s[10:11], s[6:7]
	s_xor_b64 s[6:7], exec, s[10:11]
; %bb.158:
	v_and_b32_e32 v1, 0xffff, v13
	v_cndmask_b32_e64 v1, v1, 1, s[4:5]
	v_cndmask_b32_e64 v3, v7, v3, s[4:5]
	;; [unrolled: 1-line block ×3, first 2 shown]
                                        ; implicit-def: $vgpr6_vgpr7
; %bb.159:
	s_andn2_saveexec_b64 s[6:7], s[6:7]
; %bb.160:
	v_cmp_lt_i64_e64 s[4:5], v[6:7], v[2:3]
	v_mov_b32_e32 v1, 1
	s_nop 0
	v_cndmask_b32_e64 v3, v3, v7, s[4:5]
	v_cndmask_b32_e64 v2, v2, v6, s[4:5]
; %bb.161:
	s_or_b64 exec, exec, s[6:7]
	s_or_b64 exec, exec, s[8:9]
	s_and_saveexec_b64 s[6:7], vcc
	s_cbranch_execz .LBB1482_167
.LBB1482_162:
	v_and_b32_e32 v1, 1, v1
	v_cmp_eq_u32_e32 vcc, 1, v1
	v_and_b32_e32 v1, 1, v12
	v_cmp_eq_u32_e64 s[4:5], 1, v1
	s_and_b64 s[4:5], vcc, s[4:5]
	s_xor_b64 s[4:5], s[4:5], -1
                                        ; implicit-def: $vgpr1
	s_and_saveexec_b64 s[8:9], s[4:5]
	s_xor_b64 s[4:5], exec, s[8:9]
; %bb.163:
	v_and_b32_e32 v1, 0xffff, v12
	v_cndmask_b32_e64 v1, v1, 1, vcc
	v_cndmask_b32_e32 v3, v5, v3, vcc
	v_cndmask_b32_e32 v2, v4, v2, vcc
                                        ; implicit-def: $vgpr4_vgpr5
; %bb.164:
	s_andn2_saveexec_b64 s[4:5], s[4:5]
; %bb.165:
	v_cmp_lt_i64_e32 vcc, v[4:5], v[2:3]
	v_mov_b32_e32 v1, 1
	s_nop 0
	v_cndmask_b32_e32 v3, v3, v5, vcc
	v_cndmask_b32_e32 v2, v2, v4, vcc
; %bb.166:
	s_or_b64 exec, exec, s[4:5]
.LBB1482_167:
	s_or_b64 exec, exec, s[6:7]
	v_mbcnt_lo_u32_b32 v4, -1, 0
	v_mbcnt_hi_u32_b32 v6, -1, v4
	v_and_b32_e32 v7, 63, v6
	v_cmp_ne_u32_e32 vcc, 63, v7
	s_min_u32 s8, s30, 0x80
	v_and_b32_e32 v8, 64, v0
	v_addc_co_u32_e32 v4, vcc, 0, v6, vcc
	v_lshlrev_b32_e32 v5, 2, v4
	ds_bpermute_b32 v9, v5, v1
	ds_bpermute_b32 v4, v5, v2
	;; [unrolled: 1-line block ×3, first 2 shown]
	v_sub_u32_e64 v8, s8, v8 clamp
	v_add_u32_e32 v10, 1, v7
	v_cmp_lt_u32_e32 vcc, v10, v8
	s_and_saveexec_b64 s[4:5], vcc
	s_xor_b64 s[4:5], exec, s[4:5]
	s_cbranch_execz .LBB1482_173
; %bb.168:
	s_waitcnt lgkmcnt(2)
	v_and_b32_e32 v10, v9, v1
	v_cmp_ne_u32_e32 vcc, 0, v10
	s_and_saveexec_b64 s[6:7], vcc
	s_xor_b64 s[6:7], exec, s[6:7]
	s_cbranch_execz .LBB1482_170
; %bb.169:
	s_waitcnt lgkmcnt(0)
	v_cmp_lt_i64_e32 vcc, v[4:5], v[2:3]
                                        ; implicit-def: $vgpr1
                                        ; implicit-def: $vgpr9
	s_nop 1
	v_cndmask_b32_e32 v3, v3, v5, vcc
	v_cndmask_b32_e32 v2, v2, v4, vcc
                                        ; implicit-def: $vgpr4_vgpr5
.LBB1482_170:
	s_or_saveexec_b64 s[6:7], s[6:7]
	v_mov_b32_e32 v10, 1
	s_xor_b64 exec, exec, s[6:7]
	s_cbranch_execz .LBB1482_172
; %bb.171:
	v_and_b32_e32 v1, 1, v1
	v_cmp_eq_u32_e32 vcc, 1, v1
	v_and_b32_e32 v1, 0xff, v9
	s_waitcnt lgkmcnt(0)
	v_cndmask_b32_e32 v3, v5, v3, vcc
	v_cndmask_b32_e32 v2, v4, v2, vcc
	v_cndmask_b32_e64 v10, v1, 1, vcc
.LBB1482_172:
	s_or_b64 exec, exec, s[6:7]
	v_mov_b32_e32 v1, v10
.LBB1482_173:
	s_or_b64 exec, exec, s[4:5]
	v_cmp_gt_u32_e32 vcc, 62, v7
	v_add_u32_e32 v10, 2, v7
	s_waitcnt lgkmcnt(1)
	v_cndmask_b32_e64 v4, 0, 2, vcc
	s_waitcnt lgkmcnt(0)
	v_add_lshl_u32 v5, v4, v6, 2
	ds_bpermute_b32 v9, v5, v1
	ds_bpermute_b32 v4, v5, v2
	ds_bpermute_b32 v5, v5, v3
	v_cmp_lt_u32_e32 vcc, v10, v8
	s_and_saveexec_b64 s[4:5], vcc
	s_cbranch_execz .LBB1482_179
; %bb.174:
	s_waitcnt lgkmcnt(2)
	v_and_b32_e32 v10, v1, v9
	v_and_b32_e32 v10, 1, v10
	v_cmp_eq_u32_e32 vcc, 1, v10
	s_and_saveexec_b64 s[6:7], vcc
	s_xor_b64 s[6:7], exec, s[6:7]
	s_cbranch_execz .LBB1482_176
; %bb.175:
	s_waitcnt lgkmcnt(0)
	v_cmp_lt_i64_e32 vcc, v[4:5], v[2:3]
                                        ; implicit-def: $vgpr1
                                        ; implicit-def: $vgpr9
	s_nop 1
	v_cndmask_b32_e32 v3, v3, v5, vcc
	v_cndmask_b32_e32 v2, v2, v4, vcc
                                        ; implicit-def: $vgpr4_vgpr5
.LBB1482_176:
	s_or_saveexec_b64 s[6:7], s[6:7]
	v_mov_b32_e32 v10, 1
	s_xor_b64 exec, exec, s[6:7]
	s_cbranch_execz .LBB1482_178
; %bb.177:
	v_and_b32_e32 v1, 1, v1
	v_cmp_eq_u32_e32 vcc, 1, v1
	v_and_b32_e32 v1, 0xff, v9
	s_waitcnt lgkmcnt(0)
	v_cndmask_b32_e32 v3, v5, v3, vcc
	v_cndmask_b32_e32 v2, v4, v2, vcc
	v_cndmask_b32_e64 v10, v1, 1, vcc
.LBB1482_178:
	s_or_b64 exec, exec, s[6:7]
	v_mov_b32_e32 v1, v10
.LBB1482_179:
	s_or_b64 exec, exec, s[4:5]
	v_cmp_gt_u32_e32 vcc, 60, v7
	v_add_u32_e32 v10, 4, v7
	s_waitcnt lgkmcnt(1)
	v_cndmask_b32_e64 v4, 0, 4, vcc
	s_waitcnt lgkmcnt(0)
	v_add_lshl_u32 v5, v4, v6, 2
	ds_bpermute_b32 v9, v5, v1
	ds_bpermute_b32 v4, v5, v2
	ds_bpermute_b32 v5, v5, v3
	v_cmp_lt_u32_e32 vcc, v10, v8
	s_and_saveexec_b64 s[4:5], vcc
	s_cbranch_execz .LBB1482_185
; %bb.180:
	s_waitcnt lgkmcnt(2)
	v_and_b32_e32 v10, v1, v9
	v_and_b32_e32 v10, 1, v10
	v_cmp_eq_u32_e32 vcc, 1, v10
	s_and_saveexec_b64 s[6:7], vcc
	s_xor_b64 s[6:7], exec, s[6:7]
	s_cbranch_execz .LBB1482_182
; %bb.181:
	s_waitcnt lgkmcnt(0)
	v_cmp_lt_i64_e32 vcc, v[4:5], v[2:3]
                                        ; implicit-def: $vgpr1
                                        ; implicit-def: $vgpr9
	s_nop 1
	v_cndmask_b32_e32 v3, v3, v5, vcc
	v_cndmask_b32_e32 v2, v2, v4, vcc
                                        ; implicit-def: $vgpr4_vgpr5
.LBB1482_182:
	s_or_saveexec_b64 s[6:7], s[6:7]
	v_mov_b32_e32 v10, 1
	s_xor_b64 exec, exec, s[6:7]
	s_cbranch_execz .LBB1482_184
; %bb.183:
	v_and_b32_e32 v1, 1, v1
	v_cmp_eq_u32_e32 vcc, 1, v1
	v_and_b32_e32 v1, 0xff, v9
	s_waitcnt lgkmcnt(0)
	v_cndmask_b32_e32 v3, v5, v3, vcc
	v_cndmask_b32_e32 v2, v4, v2, vcc
	v_cndmask_b32_e64 v10, v1, 1, vcc
.LBB1482_184:
	s_or_b64 exec, exec, s[6:7]
	v_mov_b32_e32 v1, v10
.LBB1482_185:
	;; [unrolled: 47-line block ×4, first 2 shown]
	s_or_b64 exec, exec, s[4:5]
	s_waitcnt lgkmcnt(2)
	v_lshlrev_b32_e32 v9, 2, v6
	s_waitcnt lgkmcnt(0)
	v_or_b32_e32 v5, 0x80, v9
	ds_bpermute_b32 v10, v5, v1
	ds_bpermute_b32 v4, v5, v2
	;; [unrolled: 1-line block ×3, first 2 shown]
	v_add_u32_e32 v7, 32, v7
	v_cmp_lt_u32_e32 vcc, v7, v8
	v_mov_b32_e32 v7, v1
	s_and_saveexec_b64 s[4:5], vcc
	s_cbranch_execz .LBB1482_203
; %bb.198:
	s_waitcnt lgkmcnt(2)
	v_and_b32_e32 v7, v1, v10
	v_and_b32_e32 v7, 1, v7
	v_cmp_eq_u32_e32 vcc, 1, v7
	s_and_saveexec_b64 s[6:7], vcc
	s_xor_b64 s[6:7], exec, s[6:7]
	s_cbranch_execz .LBB1482_200
; %bb.199:
	s_waitcnt lgkmcnt(0)
	v_cmp_lt_i64_e32 vcc, v[4:5], v[2:3]
                                        ; implicit-def: $vgpr1
                                        ; implicit-def: $vgpr10
	s_nop 1
	v_cndmask_b32_e32 v3, v3, v5, vcc
	v_cndmask_b32_e32 v2, v2, v4, vcc
                                        ; implicit-def: $vgpr4_vgpr5
.LBB1482_200:
	s_or_saveexec_b64 s[6:7], s[6:7]
	v_mov_b32_e32 v7, 1
	s_xor_b64 exec, exec, s[6:7]
	s_cbranch_execz .LBB1482_202
; %bb.201:
	v_and_b32_e32 v1, 1, v1
	v_cmp_eq_u32_e32 vcc, 1, v1
	s_nop 1
	v_cndmask_b32_e64 v7, v10, 1, vcc
	s_waitcnt lgkmcnt(0)
	v_cndmask_b32_e32 v3, v5, v3, vcc
	v_cndmask_b32_e32 v2, v4, v2, vcc
.LBB1482_202:
	s_or_b64 exec, exec, s[6:7]
	v_and_b32_e32 v1, 0xff, v7
.LBB1482_203:
	s_or_b64 exec, exec, s[4:5]
	v_cmp_eq_u32_e32 vcc, 0, v6
	s_and_saveexec_b64 s[4:5], vcc
	s_cbranch_execz .LBB1482_205
; %bb.204:
	s_waitcnt lgkmcnt(1)
	v_lshrrev_b32_e32 v4, 2, v0
	v_and_b32_e32 v4, 16, v4
	ds_write_b8 v4, v7 offset:128
	ds_write_b64 v4, v[2:3] offset:136
.LBB1482_205:
	s_or_b64 exec, exec, s[4:5]
	v_cmp_gt_u32_e32 vcc, 2, v0
	s_waitcnt lgkmcnt(0)
	s_barrier
	s_and_saveexec_b64 s[4:5], vcc
	s_cbranch_execz .LBB1482_213
; %bb.206:
	v_lshlrev_b32_e32 v1, 4, v6
	ds_read_u8 v7, v1 offset:128
	ds_read_b64 v[2:3], v1 offset:136
	v_or_b32_e32 v5, 4, v9
	s_add_i32 s8, s8, 63
	v_and_b32_e32 v6, 1, v6
	s_waitcnt lgkmcnt(1)
	v_and_b32_e32 v1, 0xff, v7
	s_waitcnt lgkmcnt(0)
	ds_bpermute_b32 v4, v5, v2
	ds_bpermute_b32 v8, v5, v1
	;; [unrolled: 1-line block ×3, first 2 shown]
	s_lshr_b32 s6, s8, 6
	v_add_u32_e32 v6, 1, v6
	v_cmp_gt_u32_e32 vcc, s6, v6
	s_and_saveexec_b64 s[6:7], vcc
	s_cbranch_execz .LBB1482_212
; %bb.207:
	s_waitcnt lgkmcnt(1)
	v_and_b32_e32 v1, v1, v8
	v_and_b32_e32 v1, 1, v1
	v_cmp_eq_u32_e32 vcc, 1, v1
	s_and_saveexec_b64 s[8:9], vcc
	s_xor_b64 s[8:9], exec, s[8:9]
	s_cbranch_execz .LBB1482_209
; %bb.208:
	s_waitcnt lgkmcnt(0)
	v_cmp_lt_i64_e32 vcc, v[4:5], v[2:3]
                                        ; implicit-def: $vgpr7
                                        ; implicit-def: $vgpr8
	s_nop 1
	v_cndmask_b32_e32 v3, v3, v5, vcc
	v_cndmask_b32_e32 v2, v2, v4, vcc
                                        ; implicit-def: $vgpr4_vgpr5
.LBB1482_209:
	s_or_saveexec_b64 s[8:9], s[8:9]
	v_mov_b32_e32 v1, 1
	s_xor_b64 exec, exec, s[8:9]
	s_cbranch_execz .LBB1482_211
; %bb.210:
	v_and_b32_e32 v1, 1, v7
	v_cmp_eq_u32_e32 vcc, 1, v1
	s_waitcnt lgkmcnt(0)
	s_nop 0
	v_cndmask_b32_e32 v3, v5, v3, vcc
	v_cndmask_b32_e32 v2, v4, v2, vcc
	v_cndmask_b32_e64 v1, v8, 1, vcc
.LBB1482_211:
	s_or_b64 exec, exec, s[8:9]
.LBB1482_212:
	s_or_b64 exec, exec, s[6:7]
.LBB1482_213:
	s_or_b64 exec, exec, s[4:5]
.LBB1482_214:
	v_cmp_eq_u32_e32 vcc, 0, v0
                                        ; implicit-def: $vgpr4_vgpr5
                                        ; implicit-def: $vgpr6
	s_and_saveexec_b64 s[4:5], vcc
	s_xor_b64 s[8:9], exec, s[4:5]
	s_cbranch_execz .LBB1482_218
; %bb.215:
	s_cmp_eq_u64 s[22:23], 0
	s_waitcnt lgkmcnt(0)
	v_mov_b64_e32 v[4:5], s[18:19]
	v_mov_b32_e32 v6, s33
	s_cbranch_scc1 .LBB1482_217
; %bb.216:
	s_bitcmp1_b32 s33, 0
	v_and_b32_e32 v4, 1, v1
	v_cmp_eq_u32_e32 vcc, 1, v4
	v_cmp_gt_i64_e64 s[4:5], s[18:19], v[2:3]
	s_cselect_b64 s[6:7], -1, 0
	v_cndmask_b32_e64 v6, v1, 1, s[6:7]
	v_mov_b32_e32 v1, s18
	s_and_b64 vcc, vcc, s[4:5]
	v_mov_b32_e32 v4, s19
	v_cndmask_b32_e32 v1, v1, v2, vcc
	v_cndmask_b32_e32 v4, v4, v3, vcc
	v_cndmask_b32_e64 v5, v3, v4, s[6:7]
	v_cndmask_b32_e64 v4, v2, v1, s[6:7]
.LBB1482_217:
	s_or_b64 s[12:13], s[12:13], exec
.LBB1482_218:
	s_or_b64 exec, exec, s[8:9]
	v_mov_b64_e32 v[2:3], s[2:3]
	s_branch .LBB1482_306
.LBB1482_219:
	s_cmp_gt_i32 s40, 1
	s_cbranch_scc0 .LBB1482_231
; %bb.220:
	s_cmp_eq_u32 s40, 2
	s_cbranch_scc0 .LBB1482_232
; %bb.221:
	s_mov_b32 s3, 0
	s_lshl_b32 s30, s2, 8
	s_mov_b32 s31, s3
	s_lshr_b64 s[4:5], s[22:23], 8
	s_lshl_b64 s[6:7], s[30:31], 2
	s_add_u32 s14, s24, s6
	s_addc_u32 s15, s25, s7
	s_add_u32 s16, s26, s6
	s_addc_u32 s17, s27, s7
	;; [unrolled: 2-line block ×3, first 2 shown]
	s_cmp_lg_u64 s[4:5], s[2:3]
	s_cbranch_scc0 .LBB1482_233
; %bb.222:
	v_lshlrev_b32_e32 v1, 2, v0
	s_waitcnt lgkmcnt(0)
	global_load_dword v7, v1, s[16:17]
	global_load_dword v8, v1, s[16:17] offset:512
	global_load_dword v9, v1, s[14:15] offset:512
	global_load_dword v10, v1, s[14:15]
	v_mov_b32_e32 v1, 0
	s_mov_b64 s[4:5], 0x80
	v_mbcnt_lo_u32_b32 v4, -1, 0
	v_lshl_add_u64 v[2:3], s[28:29], 0, v[0:1]
	v_mbcnt_hi_u32_b32 v1, -1, v4
	v_lshl_add_u64 v[4:5], v[2:3], 0, s[4:5]
	v_lshlrev_b32_e32 v6, 2, v1
	v_or_b32_e32 v11, 0xfc, v6
	s_waitcnt vmcnt(1)
	v_cmp_ne_u32_e32 vcc, v9, v8
	s_waitcnt vmcnt(0)
	v_cmp_ne_u32_e64 s[4:5], v10, v7
	s_nop 1
	v_cndmask_b32_e64 v3, v5, v3, s[4:5]
	v_cndmask_b32_e64 v2, v4, v2, s[4:5]
	s_or_b64 s[4:5], s[4:5], vcc
	v_cndmask_b32_e64 v7, 0, 1, s[4:5]
	v_mov_b32_dpp v5, v3 quad_perm:[1,0,3,2] row_mask:0xf bank_mask:0xf bound_ctrl:1
	v_mov_b32_dpp v4, v2 quad_perm:[1,0,3,2] row_mask:0xf bank_mask:0xf bound_ctrl:1
	;; [unrolled: 1-line block ×3, first 2 shown]
	v_cmp_lt_i64_e32 vcc, v[2:3], v[4:5]
	v_and_b32_e32 v8, 1, v8
	s_and_b64 vcc, s[4:5], vcc
	v_cndmask_b32_e32 v4, v4, v2, vcc
	v_cndmask_b32_e32 v5, v5, v3, vcc
	v_cmp_eq_u32_e32 vcc, 1, v8
	s_nop 1
	v_cndmask_b32_e32 v3, v3, v5, vcc
	v_cndmask_b32_e32 v2, v2, v4, vcc
	v_cndmask_b32_e64 v7, v7, 1, vcc
	v_mov_b32_dpp v5, v3 quad_perm:[2,3,0,1] row_mask:0xf bank_mask:0xf bound_ctrl:1
	v_mov_b32_dpp v4, v2 quad_perm:[2,3,0,1] row_mask:0xf bank_mask:0xf bound_ctrl:1
	v_and_b32_e32 v9, 1, v7
	v_mov_b32_dpp v8, v7 quad_perm:[2,3,0,1] row_mask:0xf bank_mask:0xf bound_ctrl:1
	v_cmp_eq_u32_e32 vcc, 1, v9
	v_cmp_lt_i64_e64 s[4:5], v[2:3], v[4:5]
	v_and_b32_e32 v8, 1, v8
	s_and_b64 vcc, vcc, s[4:5]
	v_cmp_eq_u32_e64 s[6:7], 1, v8
	v_cndmask_b32_e32 v4, v4, v2, vcc
	v_cndmask_b32_e32 v5, v5, v3, vcc
	v_cndmask_b32_e64 v7, v7, 1, s[6:7]
	v_cndmask_b32_e64 v2, v2, v4, s[6:7]
	;; [unrolled: 1-line block ×3, first 2 shown]
	v_and_b32_e32 v9, 1, v7
	v_mov_b32_dpp v4, v2 row_ror:4 row_mask:0xf bank_mask:0xf bound_ctrl:1
	v_mov_b32_dpp v5, v3 row_ror:4 row_mask:0xf bank_mask:0xf bound_ctrl:1
	;; [unrolled: 1-line block ×3, first 2 shown]
	v_cmp_eq_u32_e32 vcc, 1, v9
	v_cmp_lt_i64_e64 s[6:7], v[2:3], v[4:5]
	v_and_b32_e32 v8, 1, v8
	s_and_b64 vcc, vcc, s[6:7]
	v_cmp_eq_u32_e64 s[4:5], 1, v8
	v_cndmask_b32_e32 v4, v4, v2, vcc
	v_cndmask_b32_e32 v5, v5, v3, vcc
	v_cndmask_b32_e64 v7, v7, 1, s[4:5]
	v_cndmask_b32_e64 v2, v2, v4, s[4:5]
	;; [unrolled: 1-line block ×3, first 2 shown]
	v_and_b32_e32 v9, 1, v7
	v_mov_b32_dpp v4, v2 row_ror:8 row_mask:0xf bank_mask:0xf bound_ctrl:1
	v_mov_b32_dpp v5, v3 row_ror:8 row_mask:0xf bank_mask:0xf bound_ctrl:1
	;; [unrolled: 1-line block ×3, first 2 shown]
	v_cmp_eq_u32_e64 s[6:7], 1, v9
	v_cmp_lt_i64_e64 s[8:9], v[2:3], v[4:5]
	v_and_b32_e32 v8, 1, v8
	s_and_b64 s[6:7], s[6:7], s[8:9]
	v_cmp_eq_u32_e32 vcc, 1, v8
	v_cndmask_b32_e64 v4, v4, v2, s[6:7]
	v_cndmask_b32_e64 v5, v5, v3, s[6:7]
	v_cndmask_b32_e64 v7, v7, 1, vcc
	v_cndmask_b32_e32 v2, v2, v4, vcc
	v_cndmask_b32_e32 v3, v3, v5, vcc
	v_and_b32_e32 v9, 1, v7
	v_mov_b32_dpp v4, v2 row_bcast:15 row_mask:0xf bank_mask:0xf bound_ctrl:1
	v_mov_b32_dpp v5, v3 row_bcast:15 row_mask:0xf bank_mask:0xf bound_ctrl:1
	;; [unrolled: 1-line block ×3, first 2 shown]
	v_cmp_eq_u32_e64 s[4:5], 1, v9
	v_cmp_lt_i64_e64 s[8:9], v[2:3], v[4:5]
	v_and_b32_e32 v8, 1, v8
	s_and_b64 s[4:5], s[4:5], s[8:9]
	v_cmp_eq_u32_e64 s[10:11], 1, v8
	v_cndmask_b32_e64 v4, v4, v2, s[4:5]
	v_cndmask_b32_e64 v5, v5, v3, s[4:5]
	;; [unrolled: 1-line block ×5, first 2 shown]
	v_and_b32_e32 v9, 1, v7
	v_mov_b32_dpp v4, v2 row_bcast:31 row_mask:0xf bank_mask:0xf bound_ctrl:1
	v_mov_b32_dpp v5, v3 row_bcast:31 row_mask:0xf bank_mask:0xf bound_ctrl:1
	;; [unrolled: 1-line block ×3, first 2 shown]
	v_cmp_eq_u32_e64 s[6:7], 1, v9
	v_cmp_lt_i64_e64 s[4:5], v[2:3], v[4:5]
	v_and_b32_e32 v8, 1, v8
	s_and_b64 s[4:5], s[6:7], s[4:5]
	v_cmp_eq_u32_e32 vcc, 1, v8
	v_cndmask_b32_e64 v4, v4, v2, s[4:5]
	v_cndmask_b32_e64 v5, v5, v3, s[4:5]
	v_cndmask_b32_e64 v7, v7, 1, vcc
	v_cndmask_b32_e32 v2, v2, v4, vcc
	v_cndmask_b32_e32 v3, v3, v5, vcc
	ds_bpermute_b32 v8, v11, v7
	ds_bpermute_b32 v2, v11, v2
	;; [unrolled: 1-line block ×3, first 2 shown]
	v_cmp_eq_u32_e32 vcc, 0, v1
	s_and_saveexec_b64 s[4:5], vcc
	s_cbranch_execz .LBB1482_224
; %bb.223:
	v_lshrrev_b32_e32 v4, 2, v0
	v_and_b32_e32 v4, 16, v4
	s_waitcnt lgkmcnt(2)
	ds_write_b8 v4, v8 offset:32
	s_waitcnt lgkmcnt(1)
	ds_write_b64 v4, v[2:3] offset:40
.LBB1482_224:
	s_or_b64 exec, exec, s[4:5]
	v_cmp_gt_u32_e32 vcc, 64, v0
	s_waitcnt lgkmcnt(0)
	s_barrier
	s_and_saveexec_b64 s[4:5], vcc
	s_cbranch_execz .LBB1482_230
; %bb.225:
	v_and_b32_e32 v1, 1, v1
	v_lshlrev_b32_e32 v2, 4, v1
	ds_read_u8 v1, v2 offset:32
	ds_read_b64 v[4:5], v2 offset:40
	v_or_b32_e32 v3, 4, v6
	s_waitcnt lgkmcnt(1)
	v_and_b32_e32 v2, 0xff, v1
	ds_bpermute_b32 v9, v3, v2
	s_waitcnt lgkmcnt(1)
	ds_bpermute_b32 v6, v3, v4
	ds_bpermute_b32 v7, v3, v5
	s_waitcnt lgkmcnt(2)
	v_and_b32_e32 v2, v1, v9
	v_and_b32_e32 v2, 1, v2
	v_cmp_eq_u32_e32 vcc, 1, v2
                                        ; implicit-def: $vgpr2_vgpr3
	s_and_saveexec_b64 s[6:7], vcc
	s_xor_b64 s[6:7], exec, s[6:7]
	s_cbranch_execz .LBB1482_227
; %bb.226:
	s_waitcnt lgkmcnt(0)
	v_cmp_lt_i64_e32 vcc, v[6:7], v[4:5]
                                        ; implicit-def: $vgpr1
                                        ; implicit-def: $vgpr9
	s_nop 1
	v_cndmask_b32_e32 v3, v5, v7, vcc
	v_cndmask_b32_e32 v2, v4, v6, vcc
                                        ; implicit-def: $vgpr6_vgpr7
                                        ; implicit-def: $vgpr4_vgpr5
.LBB1482_227:
	s_or_saveexec_b64 s[6:7], s[6:7]
	v_mov_b32_e32 v8, 1
	s_xor_b64 exec, exec, s[6:7]
	s_cbranch_execz .LBB1482_229
; %bb.228:
	v_and_b32_e32 v1, 1, v1
	v_cmp_eq_u32_e32 vcc, 1, v1
	s_waitcnt lgkmcnt(0)
	s_nop 0
	v_cndmask_b32_e32 v3, v7, v5, vcc
	v_cndmask_b32_e32 v2, v6, v4, vcc
	v_cndmask_b32_e64 v8, v9, 1, vcc
.LBB1482_229:
	s_or_b64 exec, exec, s[6:7]
.LBB1482_230:
	s_or_b64 exec, exec, s[4:5]
	s_branch .LBB1482_285
.LBB1482_231:
                                        ; implicit-def: $vgpr4_vgpr5
                                        ; implicit-def: $vgpr6
                                        ; implicit-def: $vgpr2_vgpr3
	s_cbranch_execnz .LBB1482_290
	s_branch .LBB1482_306
.LBB1482_232:
                                        ; implicit-def: $vgpr4_vgpr5
                                        ; implicit-def: $vgpr6
                                        ; implicit-def: $vgpr2_vgpr3
	s_branch .LBB1482_306
.LBB1482_233:
                                        ; implicit-def: $vgpr2_vgpr3
                                        ; implicit-def: $vgpr8
	s_cbranch_execz .LBB1482_285
; %bb.234:
	s_sub_i32 s10, s22, s30
	v_cmp_gt_u32_e32 vcc, s10, v0
	s_waitcnt lgkmcnt(0)
	v_mov_b32_e32 v7, 0
	v_mov_b64_e32 v[4:5], 0
	v_mov_b64_e32 v[2:3], 0
	v_mov_b32_e32 v1, 0
	s_and_saveexec_b64 s[4:5], vcc
	s_cbranch_execz .LBB1482_236
; %bb.235:
	v_lshlrev_b32_e32 v1, 2, v0
	global_load_dword v6, v1, s[14:15]
	global_load_dword v8, v1, s[16:17]
	v_mov_b32_e32 v1, 0
	v_lshl_add_u64 v[2:3], s[28:29], 0, v[0:1]
	s_waitcnt vmcnt(0)
	v_cmp_ne_u32_e32 vcc, v6, v8
	s_nop 1
	v_cndmask_b32_e64 v1, 0, 1, vcc
.LBB1482_236:
	s_or_b64 exec, exec, s[4:5]
	v_or_b32_e32 v6, 0x80, v0
	v_cmp_gt_u32_e32 vcc, s10, v6
	s_and_saveexec_b64 s[6:7], vcc
	s_cbranch_execz .LBB1482_238
; %bb.237:
	v_lshlrev_b32_e32 v4, 2, v0
	global_load_dword v8, v4, s[14:15] offset:512
	global_load_dword v9, v4, s[16:17] offset:512
	v_mov_b32_e32 v7, 0
	v_lshl_add_u64 v[4:5], s[28:29], 0, v[6:7]
	s_waitcnt vmcnt(0)
	v_cmp_ne_u32_e64 s[4:5], v8, v9
	s_nop 1
	v_cndmask_b32_e64 v7, 0, 1, s[4:5]
.LBB1482_238:
	s_or_b64 exec, exec, s[6:7]
	v_and_b32_e32 v8, 0xffff, v7
	v_and_b32_e32 v7, 1, v7
	;; [unrolled: 1-line block ×3, first 2 shown]
	v_cmp_eq_u32_e64 s[4:5], 1, v7
	v_and_b32_e32 v1, 1, v1
	v_cmp_lt_i64_e64 s[6:7], v[4:5], v[2:3]
	v_cmp_eq_u32_e64 s[8:9], 1, v1
	s_and_b64 s[4:5], s[4:5], s[6:7]
	v_cndmask_b32_e64 v7, v3, v5, s[4:5]
	v_cndmask_b32_e64 v1, v8, 1, s[8:9]
	;; [unrolled: 1-line block ×4, first 2 shown]
	v_cndmask_b32_e32 v8, v6, v1, vcc
	v_mbcnt_lo_u32_b32 v1, -1, 0
	v_mbcnt_hi_u32_b32 v1, -1, v1
	v_cndmask_b32_e64 v5, v5, v7, s[8:9]
	v_and_b32_e32 v6, 63, v1
	v_cndmask_b32_e32 v3, v3, v5, vcc
	v_cndmask_b32_e32 v2, v2, v4, vcc
	v_cmp_ne_u32_e32 vcc, 63, v6
	s_min_u32 s8, s10, 0x80
	v_and_b32_e32 v7, 64, v0
	v_addc_co_u32_e32 v4, vcc, 0, v1, vcc
	v_lshlrev_b32_e32 v5, 2, v4
	ds_bpermute_b32 v9, v5, v8
	ds_bpermute_b32 v4, v5, v2
	;; [unrolled: 1-line block ×3, first 2 shown]
	v_sub_u32_e64 v7, s8, v7 clamp
	v_add_u32_e32 v10, 1, v6
	v_cmp_lt_u32_e32 vcc, v10, v7
	s_and_saveexec_b64 s[4:5], vcc
	s_cbranch_execz .LBB1482_244
; %bb.239:
	s_waitcnt lgkmcnt(2)
	v_and_b32_e32 v10, v9, v8
	v_cmp_ne_u32_e32 vcc, 0, v10
	s_and_saveexec_b64 s[6:7], vcc
	s_xor_b64 s[6:7], exec, s[6:7]
	s_cbranch_execz .LBB1482_241
; %bb.240:
	s_waitcnt lgkmcnt(0)
	v_cmp_lt_i64_e32 vcc, v[4:5], v[2:3]
                                        ; implicit-def: $vgpr8
                                        ; implicit-def: $vgpr9
	s_nop 1
	v_cndmask_b32_e32 v3, v3, v5, vcc
	v_cndmask_b32_e32 v2, v2, v4, vcc
                                        ; implicit-def: $vgpr4_vgpr5
.LBB1482_241:
	s_or_saveexec_b64 s[6:7], s[6:7]
	v_mov_b32_e32 v10, 1
	s_xor_b64 exec, exec, s[6:7]
	s_cbranch_execz .LBB1482_243
; %bb.242:
	v_and_b32_e32 v8, 1, v8
	v_cmp_eq_u32_e32 vcc, 1, v8
	s_waitcnt lgkmcnt(1)
	s_nop 0
	v_cndmask_b32_e32 v2, v4, v2, vcc
	v_and_b32_e32 v4, 0xff, v9
	s_waitcnt lgkmcnt(0)
	v_cndmask_b32_e32 v3, v5, v3, vcc
	v_cndmask_b32_e64 v10, v4, 1, vcc
.LBB1482_243:
	s_or_b64 exec, exec, s[6:7]
	v_mov_b32_e32 v8, v10
.LBB1482_244:
	s_or_b64 exec, exec, s[4:5]
	v_cmp_gt_u32_e32 vcc, 62, v6
	v_add_u32_e32 v10, 2, v6
	s_waitcnt lgkmcnt(1)
	v_cndmask_b32_e64 v4, 0, 2, vcc
	s_waitcnt lgkmcnt(0)
	v_add_lshl_u32 v5, v4, v1, 2
	ds_bpermute_b32 v9, v5, v8
	ds_bpermute_b32 v4, v5, v2
	ds_bpermute_b32 v5, v5, v3
	v_cmp_lt_u32_e32 vcc, v10, v7
	s_and_saveexec_b64 s[4:5], vcc
	s_cbranch_execz .LBB1482_250
; %bb.245:
	s_waitcnt lgkmcnt(2)
	v_and_b32_e32 v10, v8, v9
	v_and_b32_e32 v10, 1, v10
	v_cmp_eq_u32_e32 vcc, 1, v10
	s_and_saveexec_b64 s[6:7], vcc
	s_xor_b64 s[6:7], exec, s[6:7]
	s_cbranch_execz .LBB1482_247
; %bb.246:
	s_waitcnt lgkmcnt(0)
	v_cmp_lt_i64_e32 vcc, v[4:5], v[2:3]
                                        ; implicit-def: $vgpr8
                                        ; implicit-def: $vgpr9
	s_nop 1
	v_cndmask_b32_e32 v3, v3, v5, vcc
	v_cndmask_b32_e32 v2, v2, v4, vcc
                                        ; implicit-def: $vgpr4_vgpr5
.LBB1482_247:
	s_or_saveexec_b64 s[6:7], s[6:7]
	v_mov_b32_e32 v10, 1
	s_xor_b64 exec, exec, s[6:7]
	s_cbranch_execz .LBB1482_249
; %bb.248:
	v_and_b32_e32 v8, 1, v8
	v_cmp_eq_u32_e32 vcc, 1, v8
	s_waitcnt lgkmcnt(1)
	s_nop 0
	v_cndmask_b32_e32 v2, v4, v2, vcc
	v_and_b32_e32 v4, 0xff, v9
	s_waitcnt lgkmcnt(0)
	v_cndmask_b32_e32 v3, v5, v3, vcc
	v_cndmask_b32_e64 v10, v4, 1, vcc
.LBB1482_249:
	s_or_b64 exec, exec, s[6:7]
	v_mov_b32_e32 v8, v10
.LBB1482_250:
	s_or_b64 exec, exec, s[4:5]
	v_cmp_gt_u32_e32 vcc, 60, v6
	v_add_u32_e32 v10, 4, v6
	s_waitcnt lgkmcnt(1)
	v_cndmask_b32_e64 v4, 0, 4, vcc
	s_waitcnt lgkmcnt(0)
	v_add_lshl_u32 v5, v4, v1, 2
	ds_bpermute_b32 v9, v5, v8
	ds_bpermute_b32 v4, v5, v2
	ds_bpermute_b32 v5, v5, v3
	v_cmp_lt_u32_e32 vcc, v10, v7
	s_and_saveexec_b64 s[4:5], vcc
	s_cbranch_execz .LBB1482_256
; %bb.251:
	s_waitcnt lgkmcnt(2)
	v_and_b32_e32 v10, v8, v9
	v_and_b32_e32 v10, 1, v10
	v_cmp_eq_u32_e32 vcc, 1, v10
	s_and_saveexec_b64 s[6:7], vcc
	s_xor_b64 s[6:7], exec, s[6:7]
	s_cbranch_execz .LBB1482_253
; %bb.252:
	s_waitcnt lgkmcnt(0)
	v_cmp_lt_i64_e32 vcc, v[4:5], v[2:3]
                                        ; implicit-def: $vgpr8
                                        ; implicit-def: $vgpr9
	s_nop 1
	v_cndmask_b32_e32 v3, v3, v5, vcc
	v_cndmask_b32_e32 v2, v2, v4, vcc
                                        ; implicit-def: $vgpr4_vgpr5
.LBB1482_253:
	s_or_saveexec_b64 s[6:7], s[6:7]
	v_mov_b32_e32 v10, 1
	s_xor_b64 exec, exec, s[6:7]
	s_cbranch_execz .LBB1482_255
; %bb.254:
	v_and_b32_e32 v8, 1, v8
	v_cmp_eq_u32_e32 vcc, 1, v8
	s_waitcnt lgkmcnt(1)
	s_nop 0
	v_cndmask_b32_e32 v2, v4, v2, vcc
	v_and_b32_e32 v4, 0xff, v9
	s_waitcnt lgkmcnt(0)
	v_cndmask_b32_e32 v3, v5, v3, vcc
	v_cndmask_b32_e64 v10, v4, 1, vcc
.LBB1482_255:
	s_or_b64 exec, exec, s[6:7]
	v_mov_b32_e32 v8, v10
.LBB1482_256:
	;; [unrolled: 49-line block ×4, first 2 shown]
	s_or_b64 exec, exec, s[4:5]
	s_waitcnt lgkmcnt(2)
	v_lshlrev_b32_e32 v9, 2, v1
	s_waitcnt lgkmcnt(0)
	v_or_b32_e32 v5, 0x80, v9
	ds_bpermute_b32 v10, v5, v8
	ds_bpermute_b32 v4, v5, v2
	ds_bpermute_b32 v5, v5, v3
	v_add_u32_e32 v6, 32, v6
	v_cmp_lt_u32_e32 vcc, v6, v7
	v_mov_b32_e32 v6, v8
	s_and_saveexec_b64 s[4:5], vcc
	s_cbranch_execz .LBB1482_274
; %bb.269:
	s_waitcnt lgkmcnt(2)
	v_and_b32_e32 v6, v8, v10
	v_and_b32_e32 v6, 1, v6
	v_cmp_eq_u32_e32 vcc, 1, v6
	s_and_saveexec_b64 s[6:7], vcc
	s_xor_b64 s[6:7], exec, s[6:7]
	s_cbranch_execz .LBB1482_271
; %bb.270:
	s_waitcnt lgkmcnt(0)
	v_cmp_lt_i64_e32 vcc, v[4:5], v[2:3]
                                        ; implicit-def: $vgpr8
                                        ; implicit-def: $vgpr10
	s_nop 1
	v_cndmask_b32_e32 v3, v3, v5, vcc
	v_cndmask_b32_e32 v2, v2, v4, vcc
                                        ; implicit-def: $vgpr4_vgpr5
.LBB1482_271:
	s_or_saveexec_b64 s[6:7], s[6:7]
	v_mov_b32_e32 v6, 1
	s_xor_b64 exec, exec, s[6:7]
	s_cbranch_execz .LBB1482_273
; %bb.272:
	v_and_b32_e32 v6, 1, v8
	v_cmp_eq_u32_e32 vcc, 1, v6
	s_nop 1
	v_cndmask_b32_e64 v6, v10, 1, vcc
	s_waitcnt lgkmcnt(0)
	v_cndmask_b32_e32 v3, v5, v3, vcc
	v_cndmask_b32_e32 v2, v4, v2, vcc
.LBB1482_273:
	s_or_b64 exec, exec, s[6:7]
	v_and_b32_e32 v8, 0xff, v6
.LBB1482_274:
	s_or_b64 exec, exec, s[4:5]
	v_cmp_eq_u32_e32 vcc, 0, v1
	s_and_saveexec_b64 s[4:5], vcc
	s_cbranch_execz .LBB1482_276
; %bb.275:
	s_waitcnt lgkmcnt(1)
	v_lshrrev_b32_e32 v4, 2, v0
	v_and_b32_e32 v4, 16, v4
	ds_write_b8 v4, v6 offset:128
	ds_write_b64 v4, v[2:3] offset:136
.LBB1482_276:
	s_or_b64 exec, exec, s[4:5]
	v_cmp_gt_u32_e32 vcc, 2, v0
	s_waitcnt lgkmcnt(0)
	s_barrier
	s_and_saveexec_b64 s[4:5], vcc
	s_cbranch_execz .LBB1482_284
; %bb.277:
	v_lshlrev_b32_e32 v2, 4, v1
	ds_read_u8 v6, v2 offset:128
	ds_read_b64 v[2:3], v2 offset:136
	v_or_b32_e32 v5, 4, v9
	s_add_i32 s8, s8, 63
	v_and_b32_e32 v1, 1, v1
	s_waitcnt lgkmcnt(1)
	v_and_b32_e32 v8, 0xff, v6
	s_waitcnt lgkmcnt(0)
	ds_bpermute_b32 v4, v5, v2
	ds_bpermute_b32 v7, v5, v8
	;; [unrolled: 1-line block ×3, first 2 shown]
	s_lshr_b32 s6, s8, 6
	v_add_u32_e32 v1, 1, v1
	v_cmp_gt_u32_e32 vcc, s6, v1
	s_and_saveexec_b64 s[6:7], vcc
	s_cbranch_execz .LBB1482_283
; %bb.278:
	s_waitcnt lgkmcnt(1)
	v_and_b32_e32 v1, v8, v7
	v_and_b32_e32 v1, 1, v1
	v_cmp_eq_u32_e32 vcc, 1, v1
	s_and_saveexec_b64 s[8:9], vcc
	s_xor_b64 s[8:9], exec, s[8:9]
	s_cbranch_execz .LBB1482_280
; %bb.279:
	s_waitcnt lgkmcnt(0)
	v_cmp_lt_i64_e32 vcc, v[4:5], v[2:3]
                                        ; implicit-def: $vgpr6
                                        ; implicit-def: $vgpr7
	s_nop 1
	v_cndmask_b32_e32 v3, v3, v5, vcc
	v_cndmask_b32_e32 v2, v2, v4, vcc
                                        ; implicit-def: $vgpr4_vgpr5
.LBB1482_280:
	s_or_saveexec_b64 s[8:9], s[8:9]
	v_mov_b32_e32 v8, 1
	s_xor_b64 exec, exec, s[8:9]
	s_cbranch_execz .LBB1482_282
; %bb.281:
	v_and_b32_e32 v1, 1, v6
	v_cmp_eq_u32_e32 vcc, 1, v1
	s_waitcnt lgkmcnt(0)
	s_nop 0
	v_cndmask_b32_e32 v3, v5, v3, vcc
	v_cndmask_b32_e32 v2, v4, v2, vcc
	v_cndmask_b32_e64 v8, v7, 1, vcc
.LBB1482_282:
	s_or_b64 exec, exec, s[8:9]
.LBB1482_283:
	s_or_b64 exec, exec, s[6:7]
.LBB1482_284:
	s_or_b64 exec, exec, s[4:5]
.LBB1482_285:
	v_cmp_eq_u32_e32 vcc, 0, v0
                                        ; implicit-def: $vgpr4_vgpr5
                                        ; implicit-def: $vgpr6
	s_and_saveexec_b64 s[4:5], vcc
	s_xor_b64 s[8:9], exec, s[4:5]
	s_cbranch_execz .LBB1482_289
; %bb.286:
	s_cmp_eq_u64 s[22:23], 0
	s_waitcnt lgkmcnt(0)
	v_mov_b64_e32 v[4:5], s[18:19]
	v_mov_b32_e32 v6, s33
	s_cbranch_scc1 .LBB1482_288
; %bb.287:
	v_and_b32_e32 v1, 1, v8
	s_bitcmp1_b32 s33, 0
	v_cmp_eq_u32_e32 vcc, 1, v1
	v_cmp_gt_i64_e64 s[4:5], s[18:19], v[2:3]
	s_cselect_b64 s[6:7], -1, 0
	v_mov_b32_e32 v1, s18
	s_and_b64 vcc, vcc, s[4:5]
	v_mov_b32_e32 v4, s19
	v_cndmask_b32_e32 v1, v1, v2, vcc
	v_cndmask_b32_e32 v4, v4, v3, vcc
	v_cndmask_b32_e64 v6, v8, 1, s[6:7]
	v_cndmask_b32_e64 v5, v3, v4, s[6:7]
	;; [unrolled: 1-line block ×3, first 2 shown]
.LBB1482_288:
	s_or_b64 s[12:13], s[12:13], exec
.LBB1482_289:
	s_or_b64 exec, exec, s[8:9]
	v_mov_b64_e32 v[2:3], s[2:3]
	s_branch .LBB1482_306
.LBB1482_290:
	s_cmp_eq_u32 s40, 1
	s_cbranch_scc0 .LBB1482_305
; %bb.291:
	s_mov_b32 s9, 0
	s_lshl_b32 s8, s2, 7
	s_mov_b32 s3, s9
	s_lshr_b64 s[4:5], s[22:23], 7
	s_cmp_lg_u64 s[4:5], s[2:3]
	s_cbranch_scc0 .LBB1482_309
; %bb.292:
	s_lshl_b64 s[4:5], s[8:9], 2
	s_add_u32 s6, s24, s4
	s_addc_u32 s7, s25, s5
	s_add_u32 s4, s26, s4
	v_lshlrev_b32_e32 v1, 2, v0
	s_addc_u32 s5, s27, s5
	s_waitcnt lgkmcnt(1)
	global_load_dword v6, v1, s[6:7]
	s_waitcnt lgkmcnt(0)
	global_load_dword v7, v1, s[4:5]
	s_add_u32 s4, s20, s8
	v_mov_b32_e32 v1, 0
	s_addc_u32 s5, s21, 0
	v_lshl_add_u64 v[2:3], s[4:5], 0, v[0:1]
                                        ; implicit-def: $vgpr8
	s_waitcnt vmcnt(0)
	v_cmp_ne_u32_e64 s[4:5], v6, v7
	v_mov_b32_dpp v4, v2 quad_perm:[1,0,3,2] row_mask:0xf bank_mask:0xf bound_ctrl:1
	v_mov_b32_dpp v5, v3 quad_perm:[1,0,3,2] row_mask:0xf bank_mask:0xf bound_ctrl:1
	v_cndmask_b32_e64 v1, 0, 1, s[4:5]
	v_cmp_lt_i64_e32 vcc, v[2:3], v[4:5]
	s_and_b64 vcc, s[4:5], vcc
	v_mov_b32_dpp v1, v1 quad_perm:[1,0,3,2] row_mask:0xf bank_mask:0xf bound_ctrl:1
	v_and_b32_e32 v1, 1, v1
	v_cndmask_b32_e32 v4, v4, v2, vcc
	v_cndmask_b32_e32 v5, v5, v3, vcc
	v_cmp_eq_u32_e32 vcc, 1, v1
	s_or_b64 s[4:5], vcc, s[4:5]
	v_cndmask_b32_e64 v1, 0, 1, s[4:5]
	v_cndmask_b32_e32 v5, v3, v5, vcc
	v_cndmask_b32_e32 v4, v2, v4, vcc
	v_mov_b32_dpp v1, v1 quad_perm:[2,3,0,1] row_mask:0xf bank_mask:0xf bound_ctrl:1
	v_and_b32_e32 v1, 1, v1
	v_cmp_eq_u32_e32 vcc, 1, v1
	s_and_b64 s[6:7], vcc, s[4:5]
	v_mov_b32_dpp v6, v4 quad_perm:[2,3,0,1] row_mask:0xf bank_mask:0xf bound_ctrl:1
	v_mov_b32_dpp v7, v5 quad_perm:[2,3,0,1] row_mask:0xf bank_mask:0xf bound_ctrl:1
	s_xor_b64 s[6:7], s[6:7], -1
                                        ; implicit-def: $vgpr2_vgpr3
	s_and_saveexec_b64 s[10:11], s[6:7]
	s_xor_b64 s[6:7], exec, s[10:11]
; %bb.293:
	s_or_b64 s[4:5], vcc, s[4:5]
	v_cndmask_b32_e32 v3, v5, v7, vcc
	v_cndmask_b32_e32 v2, v4, v6, vcc
	v_cndmask_b32_e64 v8, 0, 1, s[4:5]
                                        ; implicit-def: $vgpr4_vgpr5
                                        ; implicit-def: $vgpr6_vgpr7
; %bb.294:
	s_andn2_saveexec_b64 s[4:5], s[6:7]
; %bb.295:
	v_cmp_lt_i64_e32 vcc, v[4:5], v[6:7]
	v_mov_b32_e32 v8, 1
	s_nop 0
	v_cndmask_b32_e32 v3, v7, v5, vcc
	v_cndmask_b32_e32 v2, v6, v4, vcc
; %bb.296:
	s_or_b64 exec, exec, s[4:5]
	s_nop 0
	v_mov_b32_dpp v4, v2 row_ror:4 row_mask:0xf bank_mask:0xf bound_ctrl:1
	v_mov_b32_dpp v5, v3 row_ror:4 row_mask:0xf bank_mask:0xf bound_ctrl:1
	v_and_b32_e32 v7, 1, v8
	v_mov_b32_dpp v6, v8 row_ror:4 row_mask:0xf bank_mask:0xf bound_ctrl:1
	v_cmp_eq_u32_e32 vcc, 1, v7
	v_cmp_lt_i64_e64 s[4:5], v[2:3], v[4:5]
	v_and_b32_e32 v6, 1, v6
	s_and_b64 vcc, vcc, s[4:5]
	v_cmp_eq_u32_e64 s[6:7], 1, v6
	v_cndmask_b32_e32 v4, v4, v2, vcc
	v_cndmask_b32_e32 v5, v5, v3, vcc
	v_cndmask_b32_e64 v6, v8, 1, s[6:7]
	v_cndmask_b32_e64 v3, v3, v5, s[6:7]
	;; [unrolled: 1-line block ×3, first 2 shown]
	v_and_b32_e32 v8, 1, v6
	v_mov_b32_dpp v5, v3 row_ror:8 row_mask:0xf bank_mask:0xf bound_ctrl:1
	v_mov_b32_dpp v4, v2 row_ror:8 row_mask:0xf bank_mask:0xf bound_ctrl:1
	;; [unrolled: 1-line block ×3, first 2 shown]
	v_cmp_eq_u32_e32 vcc, 1, v8
	v_cmp_lt_i64_e64 s[4:5], v[2:3], v[4:5]
	v_and_b32_e32 v7, 1, v7
	s_and_b64 vcc, vcc, s[4:5]
	v_cmp_eq_u32_e64 s[6:7], 1, v7
	v_cndmask_b32_e32 v4, v4, v2, vcc
	v_cndmask_b32_e32 v5, v5, v3, vcc
	v_cndmask_b32_e64 v6, v6, 1, s[6:7]
	v_cndmask_b32_e64 v3, v3, v5, s[6:7]
	;; [unrolled: 1-line block ×3, first 2 shown]
	v_and_b32_e32 v8, 1, v6
	v_mov_b32_dpp v5, v3 row_bcast:15 row_mask:0xf bank_mask:0xf bound_ctrl:1
	v_mov_b32_dpp v4, v2 row_bcast:15 row_mask:0xf bank_mask:0xf bound_ctrl:1
	;; [unrolled: 1-line block ×3, first 2 shown]
	v_cmp_eq_u32_e32 vcc, 1, v8
	v_cmp_lt_i64_e64 s[4:5], v[2:3], v[4:5]
	v_and_b32_e32 v7, 1, v7
	s_and_b64 vcc, vcc, s[4:5]
	v_cmp_eq_u32_e64 s[6:7], 1, v7
	v_cndmask_b32_e32 v4, v4, v2, vcc
	v_cndmask_b32_e32 v5, v5, v3, vcc
	v_cndmask_b32_e64 v6, v6, 1, s[6:7]
	v_cndmask_b32_e64 v3, v3, v5, s[6:7]
	;; [unrolled: 1-line block ×3, first 2 shown]
	v_mov_b32_dpp v7, v6 row_bcast:31 row_mask:0xf bank_mask:0xf bound_ctrl:1
	v_mov_b32_dpp v5, v3 row_bcast:31 row_mask:0xf bank_mask:0xf bound_ctrl:1
	;; [unrolled: 1-line block ×3, first 2 shown]
	v_and_b32_e32 v8, 1, v6
	v_mbcnt_lo_u32_b32 v1, -1, 0
	v_and_b32_e32 v7, 1, v7
	v_cmp_eq_u32_e32 vcc, 1, v8
	v_cmp_lt_i64_e64 s[4:5], v[2:3], v[4:5]
	v_mbcnt_hi_u32_b32 v1, -1, v1
	v_cmp_eq_u32_e64 s[6:7], 1, v7
	s_and_b64 vcc, vcc, s[4:5]
	v_cndmask_b32_e32 v4, v4, v2, vcc
	v_cndmask_b32_e64 v7, v6, 1, s[6:7]
	v_cndmask_b32_e32 v5, v5, v3, vcc
	v_lshlrev_b32_e32 v6, 2, v1
	v_cndmask_b32_e64 v3, v3, v5, s[6:7]
	v_cndmask_b32_e64 v2, v2, v4, s[6:7]
	v_or_b32_e32 v4, 0xfc, v6
	ds_bpermute_b32 v8, v4, v7
	ds_bpermute_b32 v2, v4, v2
	;; [unrolled: 1-line block ×3, first 2 shown]
	v_cmp_eq_u32_e32 vcc, 0, v1
	s_and_saveexec_b64 s[4:5], vcc
	s_cbranch_execz .LBB1482_298
; %bb.297:
	v_lshrrev_b32_e32 v4, 2, v0
	v_and_b32_e32 v4, 16, v4
	s_waitcnt lgkmcnt(2)
	ds_write_b8 v4, v8
	s_waitcnt lgkmcnt(1)
	ds_write_b64 v4, v[2:3] offset:8
.LBB1482_298:
	s_or_b64 exec, exec, s[4:5]
	v_cmp_gt_u32_e32 vcc, 64, v0
	s_waitcnt lgkmcnt(0)
	s_barrier
	s_and_saveexec_b64 s[4:5], vcc
	s_cbranch_execz .LBB1482_304
; %bb.299:
	v_and_b32_e32 v1, 1, v1
	v_lshlrev_b32_e32 v2, 4, v1
	ds_read_u8 v1, v2
	ds_read_b64 v[4:5], v2 offset:8
	v_or_b32_e32 v3, 4, v6
	s_waitcnt lgkmcnt(1)
	v_and_b32_e32 v2, 0xff, v1
	ds_bpermute_b32 v9, v3, v2
	s_waitcnt lgkmcnt(1)
	ds_bpermute_b32 v6, v3, v4
	ds_bpermute_b32 v7, v3, v5
	s_waitcnt lgkmcnt(2)
	v_and_b32_e32 v2, v1, v9
	v_and_b32_e32 v2, 1, v2
	v_cmp_eq_u32_e32 vcc, 1, v2
                                        ; implicit-def: $vgpr2_vgpr3
	s_and_saveexec_b64 s[6:7], vcc
	s_xor_b64 s[6:7], exec, s[6:7]
	s_cbranch_execz .LBB1482_301
; %bb.300:
	s_waitcnt lgkmcnt(0)
	v_cmp_lt_i64_e32 vcc, v[6:7], v[4:5]
                                        ; implicit-def: $vgpr1
                                        ; implicit-def: $vgpr9
	s_nop 1
	v_cndmask_b32_e32 v3, v5, v7, vcc
	v_cndmask_b32_e32 v2, v4, v6, vcc
                                        ; implicit-def: $vgpr6_vgpr7
                                        ; implicit-def: $vgpr4_vgpr5
.LBB1482_301:
	s_or_saveexec_b64 s[6:7], s[6:7]
	v_mov_b32_e32 v8, 1
	s_xor_b64 exec, exec, s[6:7]
	s_cbranch_execz .LBB1482_303
; %bb.302:
	v_and_b32_e32 v1, 1, v1
	v_cmp_eq_u32_e32 vcc, 1, v1
	s_waitcnt lgkmcnt(0)
	s_nop 0
	v_cndmask_b32_e32 v3, v7, v5, vcc
	v_cndmask_b32_e32 v2, v6, v4, vcc
	v_cndmask_b32_e64 v8, v9, 1, vcc
.LBB1482_303:
	s_or_b64 exec, exec, s[6:7]
.LBB1482_304:
	s_or_b64 exec, exec, s[4:5]
	s_branch .LBB1482_359
.LBB1482_305:
                                        ; implicit-def: $vgpr4_vgpr5
                                        ; implicit-def: $vgpr6
                                        ; implicit-def: $vgpr2_vgpr3
.LBB1482_306:
	s_and_saveexec_b64 s[2:3], s[12:13]
	s_cbranch_execz .LBB1482_308
.LBB1482_307:
	s_load_dwordx2 s[0:1], s[0:1], 0x38
	v_lshlrev_b64 v[0:1], 4, v[2:3]
	s_waitcnt lgkmcnt(0)
	v_lshl_add_u64 v[0:1], s[0:1], 0, v[0:1]
	global_store_byte v[0:1], v6, off
	global_store_dwordx2 v[0:1], v[4:5], off offset:8
.LBB1482_308:
	s_endpgm
.LBB1482_309:
                                        ; implicit-def: $vgpr2_vgpr3
                                        ; implicit-def: $vgpr8
	s_cbranch_execz .LBB1482_359
; %bb.310:
	s_sub_i32 s6, s22, s8
	v_cmp_gt_u32_e32 vcc, s6, v0
	v_mov_b32_e32 v9, 0
	v_mov_b64_e32 v[2:3], 0
	s_and_saveexec_b64 s[4:5], vcc
	s_cbranch_execz .LBB1482_312
; %bb.311:
	s_lshl_b64 s[10:11], s[8:9], 2
	s_add_u32 s14, s26, s10
	s_addc_u32 s15, s27, s11
	s_add_u32 s10, s24, s10
	s_addc_u32 s11, s25, s11
	v_lshlrev_b32_e32 v1, 2, v0
	s_waitcnt lgkmcnt(2)
	global_load_dword v4, v1, s[10:11]
	s_waitcnt lgkmcnt(0)
	global_load_dword v5, v1, s[14:15]
	s_add_u32 s8, s20, s8
	v_mov_b32_e32 v1, 0
	s_addc_u32 s9, s21, 0
	v_lshl_add_u64 v[2:3], s[8:9], 0, v[0:1]
	s_waitcnt vmcnt(0)
	v_cmp_ne_u32_e32 vcc, v4, v5
	s_nop 1
	v_cndmask_b32_e64 v9, 0, 1, vcc
.LBB1482_312:
	s_or_b64 exec, exec, s[4:5]
	v_mbcnt_lo_u32_b32 v1, -1, 0
	v_mbcnt_hi_u32_b32 v1, -1, v1
	s_waitcnt lgkmcnt(1)
	v_and_b32_e32 v6, 63, v1
	v_cmp_ne_u32_e32 vcc, 63, v6
	v_and_b32_e32 v8, 0xffff, v9
	s_min_u32 s8, s6, 0x80
	v_addc_co_u32_e32 v4, vcc, 0, v1, vcc
	s_waitcnt lgkmcnt(0)
	v_lshlrev_b32_e32 v5, 2, v4
	ds_bpermute_b32 v10, v5, v8
	ds_bpermute_b32 v4, v5, v2
	;; [unrolled: 1-line block ×3, first 2 shown]
	v_and_b32_e32 v7, 64, v0
	v_sub_u32_e64 v7, s8, v7 clamp
	v_add_u32_e32 v11, 1, v6
	v_cmp_lt_u32_e32 vcc, v11, v7
	s_and_saveexec_b64 s[4:5], vcc
	s_cbranch_execz .LBB1482_318
; %bb.313:
	s_waitcnt lgkmcnt(2)
	v_and_b32_e32 v8, v10, v8
	v_and_b32_e32 v8, 1, v8
	v_cmp_eq_u32_e32 vcc, 1, v8
	s_and_saveexec_b64 s[6:7], vcc
	s_xor_b64 s[6:7], exec, s[6:7]
	s_cbranch_execz .LBB1482_315
; %bb.314:
	s_waitcnt lgkmcnt(0)
	v_cmp_lt_i64_e32 vcc, v[4:5], v[2:3]
                                        ; implicit-def: $vgpr9
                                        ; implicit-def: $vgpr10
	s_nop 1
	v_cndmask_b32_e32 v3, v3, v5, vcc
	v_cndmask_b32_e32 v2, v2, v4, vcc
                                        ; implicit-def: $vgpr4_vgpr5
.LBB1482_315:
	s_or_saveexec_b64 s[6:7], s[6:7]
	v_mov_b32_e32 v8, 1
	s_xor_b64 exec, exec, s[6:7]
	s_cbranch_execz .LBB1482_317
; %bb.316:
	v_and_b32_e32 v8, 1, v9
	v_cmp_eq_u32_e32 vcc, 1, v8
	s_waitcnt lgkmcnt(1)
	s_nop 0
	v_cndmask_b32_e32 v2, v4, v2, vcc
	v_and_b32_e32 v4, 0xff, v10
	s_waitcnt lgkmcnt(0)
	v_cndmask_b32_e32 v3, v5, v3, vcc
	v_cndmask_b32_e64 v8, v4, 1, vcc
.LBB1482_317:
	s_or_b64 exec, exec, s[6:7]
.LBB1482_318:
	s_or_b64 exec, exec, s[4:5]
	v_cmp_gt_u32_e32 vcc, 62, v6
	s_waitcnt lgkmcnt(2)
	v_add_u32_e32 v10, 2, v6
	s_waitcnt lgkmcnt(1)
	v_cndmask_b32_e64 v4, 0, 2, vcc
	s_waitcnt lgkmcnt(0)
	v_add_lshl_u32 v5, v4, v1, 2
	ds_bpermute_b32 v9, v5, v8
	ds_bpermute_b32 v4, v5, v2
	ds_bpermute_b32 v5, v5, v3
	v_cmp_lt_u32_e32 vcc, v10, v7
	s_and_saveexec_b64 s[4:5], vcc
	s_cbranch_execz .LBB1482_324
; %bb.319:
	s_waitcnt lgkmcnt(2)
	v_and_b32_e32 v10, v8, v9
	v_and_b32_e32 v10, 1, v10
	v_cmp_eq_u32_e32 vcc, 1, v10
	s_and_saveexec_b64 s[6:7], vcc
	s_xor_b64 s[6:7], exec, s[6:7]
	s_cbranch_execz .LBB1482_321
; %bb.320:
	s_waitcnt lgkmcnt(0)
	v_cmp_lt_i64_e32 vcc, v[4:5], v[2:3]
                                        ; implicit-def: $vgpr8
                                        ; implicit-def: $vgpr9
	s_nop 1
	v_cndmask_b32_e32 v3, v3, v5, vcc
	v_cndmask_b32_e32 v2, v2, v4, vcc
                                        ; implicit-def: $vgpr4_vgpr5
.LBB1482_321:
	s_or_saveexec_b64 s[6:7], s[6:7]
	v_mov_b32_e32 v10, 1
	s_xor_b64 exec, exec, s[6:7]
	s_cbranch_execz .LBB1482_323
; %bb.322:
	v_and_b32_e32 v8, 1, v8
	v_cmp_eq_u32_e32 vcc, 1, v8
	s_waitcnt lgkmcnt(1)
	s_nop 0
	v_cndmask_b32_e32 v2, v4, v2, vcc
	v_and_b32_e32 v4, 0xff, v9
	s_waitcnt lgkmcnt(0)
	v_cndmask_b32_e32 v3, v5, v3, vcc
	v_cndmask_b32_e64 v10, v4, 1, vcc
.LBB1482_323:
	s_or_b64 exec, exec, s[6:7]
	v_mov_b32_e32 v8, v10
.LBB1482_324:
	s_or_b64 exec, exec, s[4:5]
	v_cmp_gt_u32_e32 vcc, 60, v6
	v_add_u32_e32 v10, 4, v6
	s_waitcnt lgkmcnt(1)
	v_cndmask_b32_e64 v4, 0, 4, vcc
	s_waitcnt lgkmcnt(0)
	v_add_lshl_u32 v5, v4, v1, 2
	ds_bpermute_b32 v9, v5, v8
	ds_bpermute_b32 v4, v5, v2
	ds_bpermute_b32 v5, v5, v3
	v_cmp_lt_u32_e32 vcc, v10, v7
	s_and_saveexec_b64 s[4:5], vcc
	s_cbranch_execz .LBB1482_330
; %bb.325:
	s_waitcnt lgkmcnt(2)
	v_and_b32_e32 v10, v8, v9
	v_and_b32_e32 v10, 1, v10
	v_cmp_eq_u32_e32 vcc, 1, v10
	s_and_saveexec_b64 s[6:7], vcc
	s_xor_b64 s[6:7], exec, s[6:7]
	s_cbranch_execz .LBB1482_327
; %bb.326:
	s_waitcnt lgkmcnt(0)
	v_cmp_lt_i64_e32 vcc, v[4:5], v[2:3]
                                        ; implicit-def: $vgpr8
                                        ; implicit-def: $vgpr9
	s_nop 1
	v_cndmask_b32_e32 v3, v3, v5, vcc
	v_cndmask_b32_e32 v2, v2, v4, vcc
                                        ; implicit-def: $vgpr4_vgpr5
.LBB1482_327:
	s_or_saveexec_b64 s[6:7], s[6:7]
	v_mov_b32_e32 v10, 1
	s_xor_b64 exec, exec, s[6:7]
	s_cbranch_execz .LBB1482_329
; %bb.328:
	v_and_b32_e32 v8, 1, v8
	v_cmp_eq_u32_e32 vcc, 1, v8
	s_waitcnt lgkmcnt(1)
	s_nop 0
	v_cndmask_b32_e32 v2, v4, v2, vcc
	v_and_b32_e32 v4, 0xff, v9
	s_waitcnt lgkmcnt(0)
	v_cndmask_b32_e32 v3, v5, v3, vcc
	v_cndmask_b32_e64 v10, v4, 1, vcc
.LBB1482_329:
	s_or_b64 exec, exec, s[6:7]
	v_mov_b32_e32 v8, v10
.LBB1482_330:
	s_or_b64 exec, exec, s[4:5]
	v_cmp_gt_u32_e32 vcc, 56, v6
	;; [unrolled: 49-line block ×3, first 2 shown]
	v_add_u32_e32 v10, 16, v6
	s_waitcnt lgkmcnt(1)
	v_cndmask_b32_e64 v4, 0, 16, vcc
	s_waitcnt lgkmcnt(0)
	v_add_lshl_u32 v5, v4, v1, 2
	ds_bpermute_b32 v9, v5, v8
	ds_bpermute_b32 v4, v5, v2
	;; [unrolled: 1-line block ×3, first 2 shown]
	v_cmp_lt_u32_e32 vcc, v10, v7
	s_and_saveexec_b64 s[4:5], vcc
	s_cbranch_execz .LBB1482_342
; %bb.337:
	s_waitcnt lgkmcnt(2)
	v_and_b32_e32 v10, v8, v9
	v_and_b32_e32 v10, 1, v10
	v_cmp_eq_u32_e32 vcc, 1, v10
	s_and_saveexec_b64 s[6:7], vcc
	s_xor_b64 s[6:7], exec, s[6:7]
	s_cbranch_execz .LBB1482_339
; %bb.338:
	s_waitcnt lgkmcnt(0)
	v_cmp_lt_i64_e32 vcc, v[4:5], v[2:3]
                                        ; implicit-def: $vgpr8
                                        ; implicit-def: $vgpr9
	s_nop 1
	v_cndmask_b32_e32 v3, v3, v5, vcc
	v_cndmask_b32_e32 v2, v2, v4, vcc
                                        ; implicit-def: $vgpr4_vgpr5
.LBB1482_339:
	s_or_saveexec_b64 s[6:7], s[6:7]
	v_mov_b32_e32 v10, 1
	s_xor_b64 exec, exec, s[6:7]
	s_cbranch_execz .LBB1482_341
; %bb.340:
	v_and_b32_e32 v8, 1, v8
	v_cmp_eq_u32_e32 vcc, 1, v8
	s_waitcnt lgkmcnt(1)
	s_nop 0
	v_cndmask_b32_e32 v2, v4, v2, vcc
	v_and_b32_e32 v4, 0xff, v9
	s_waitcnt lgkmcnt(0)
	v_cndmask_b32_e32 v3, v5, v3, vcc
	v_cndmask_b32_e64 v10, v4, 1, vcc
.LBB1482_341:
	s_or_b64 exec, exec, s[6:7]
	v_mov_b32_e32 v8, v10
.LBB1482_342:
	s_or_b64 exec, exec, s[4:5]
	s_waitcnt lgkmcnt(2)
	v_lshlrev_b32_e32 v9, 2, v1
	s_waitcnt lgkmcnt(0)
	v_or_b32_e32 v5, 0x80, v9
	ds_bpermute_b32 v10, v5, v8
	ds_bpermute_b32 v4, v5, v2
	;; [unrolled: 1-line block ×3, first 2 shown]
	v_add_u32_e32 v6, 32, v6
	v_cmp_lt_u32_e32 vcc, v6, v7
	v_mov_b32_e32 v6, v8
	s_and_saveexec_b64 s[4:5], vcc
	s_cbranch_execz .LBB1482_348
; %bb.343:
	s_waitcnt lgkmcnt(2)
	v_and_b32_e32 v6, v8, v10
	v_and_b32_e32 v6, 1, v6
	v_cmp_eq_u32_e32 vcc, 1, v6
	s_and_saveexec_b64 s[6:7], vcc
	s_xor_b64 s[6:7], exec, s[6:7]
	s_cbranch_execz .LBB1482_345
; %bb.344:
	s_waitcnt lgkmcnt(0)
	v_cmp_lt_i64_e32 vcc, v[4:5], v[2:3]
                                        ; implicit-def: $vgpr8
                                        ; implicit-def: $vgpr10
	s_nop 1
	v_cndmask_b32_e32 v3, v3, v5, vcc
	v_cndmask_b32_e32 v2, v2, v4, vcc
                                        ; implicit-def: $vgpr4_vgpr5
.LBB1482_345:
	s_or_saveexec_b64 s[6:7], s[6:7]
	v_mov_b32_e32 v6, 1
	s_xor_b64 exec, exec, s[6:7]
	s_cbranch_execz .LBB1482_347
; %bb.346:
	v_and_b32_e32 v6, 1, v8
	v_cmp_eq_u32_e32 vcc, 1, v6
	s_nop 1
	v_cndmask_b32_e64 v6, v10, 1, vcc
	s_waitcnt lgkmcnt(0)
	v_cndmask_b32_e32 v3, v5, v3, vcc
	v_cndmask_b32_e32 v2, v4, v2, vcc
.LBB1482_347:
	s_or_b64 exec, exec, s[6:7]
	v_and_b32_e32 v8, 0xff, v6
.LBB1482_348:
	s_or_b64 exec, exec, s[4:5]
	v_cmp_eq_u32_e32 vcc, 0, v1
	s_and_saveexec_b64 s[4:5], vcc
	s_cbranch_execz .LBB1482_350
; %bb.349:
	s_waitcnt lgkmcnt(1)
	v_lshrrev_b32_e32 v4, 2, v0
	v_and_b32_e32 v4, 16, v4
	ds_write_b8 v4, v6 offset:128
	ds_write_b64 v4, v[2:3] offset:136
.LBB1482_350:
	s_or_b64 exec, exec, s[4:5]
	v_cmp_gt_u32_e32 vcc, 2, v0
	s_waitcnt lgkmcnt(0)
	s_barrier
	s_and_saveexec_b64 s[4:5], vcc
	s_cbranch_execz .LBB1482_358
; %bb.351:
	v_lshlrev_b32_e32 v2, 4, v1
	ds_read_u8 v6, v2 offset:128
	ds_read_b64 v[2:3], v2 offset:136
	v_or_b32_e32 v5, 4, v9
	s_add_i32 s8, s8, 63
	v_and_b32_e32 v1, 1, v1
	s_waitcnt lgkmcnt(1)
	v_and_b32_e32 v8, 0xff, v6
	s_waitcnt lgkmcnt(0)
	ds_bpermute_b32 v4, v5, v2
	ds_bpermute_b32 v7, v5, v8
	;; [unrolled: 1-line block ×3, first 2 shown]
	s_lshr_b32 s6, s8, 6
	v_add_u32_e32 v1, 1, v1
	v_cmp_gt_u32_e32 vcc, s6, v1
	s_and_saveexec_b64 s[6:7], vcc
	s_cbranch_execz .LBB1482_357
; %bb.352:
	s_waitcnt lgkmcnt(1)
	v_and_b32_e32 v1, v8, v7
	v_and_b32_e32 v1, 1, v1
	v_cmp_eq_u32_e32 vcc, 1, v1
	s_and_saveexec_b64 s[8:9], vcc
	s_xor_b64 s[8:9], exec, s[8:9]
	s_cbranch_execz .LBB1482_354
; %bb.353:
	s_waitcnt lgkmcnt(0)
	v_cmp_lt_i64_e32 vcc, v[4:5], v[2:3]
                                        ; implicit-def: $vgpr6
                                        ; implicit-def: $vgpr7
	s_nop 1
	v_cndmask_b32_e32 v3, v3, v5, vcc
	v_cndmask_b32_e32 v2, v2, v4, vcc
                                        ; implicit-def: $vgpr4_vgpr5
.LBB1482_354:
	s_or_saveexec_b64 s[8:9], s[8:9]
	v_mov_b32_e32 v8, 1
	s_xor_b64 exec, exec, s[8:9]
	s_cbranch_execz .LBB1482_356
; %bb.355:
	v_and_b32_e32 v1, 1, v6
	v_cmp_eq_u32_e32 vcc, 1, v1
	s_waitcnt lgkmcnt(0)
	s_nop 0
	v_cndmask_b32_e32 v3, v5, v3, vcc
	v_cndmask_b32_e32 v2, v4, v2, vcc
	v_cndmask_b32_e64 v8, v7, 1, vcc
.LBB1482_356:
	s_or_b64 exec, exec, s[8:9]
.LBB1482_357:
	s_or_b64 exec, exec, s[6:7]
.LBB1482_358:
	s_or_b64 exec, exec, s[4:5]
.LBB1482_359:
	v_cmp_eq_u32_e32 vcc, 0, v0
                                        ; implicit-def: $vgpr4_vgpr5
                                        ; implicit-def: $vgpr6
	s_and_saveexec_b64 s[8:9], vcc
	s_cbranch_execz .LBB1482_363
; %bb.360:
	s_cmp_eq_u64 s[22:23], 0
	s_waitcnt lgkmcnt(0)
	v_mov_b64_e32 v[4:5], s[18:19]
	v_mov_b32_e32 v6, s33
	s_cbranch_scc1 .LBB1482_362
; %bb.361:
	v_and_b32_e32 v0, 1, v8
	s_bitcmp1_b32 s33, 0
	v_cmp_eq_u32_e32 vcc, 1, v0
	v_cmp_gt_i64_e64 s[4:5], s[18:19], v[2:3]
	s_cselect_b64 s[6:7], -1, 0
	v_mov_b32_e32 v0, s18
	s_and_b64 vcc, vcc, s[4:5]
	v_mov_b32_e32 v1, s19
	v_cndmask_b32_e32 v0, v0, v2, vcc
	v_cndmask_b32_e32 v1, v1, v3, vcc
	v_cndmask_b32_e64 v6, v8, 1, s[6:7]
	v_cndmask_b32_e64 v5, v3, v1, s[6:7]
	;; [unrolled: 1-line block ×3, first 2 shown]
.LBB1482_362:
	s_or_b64 s[12:13], s[12:13], exec
.LBB1482_363:
	s_or_b64 exec, exec, s[8:9]
	v_mov_b64_e32 v[2:3], s[2:3]
	s_and_saveexec_b64 s[2:3], s[12:13]
	s_cbranch_execnz .LBB1482_307
	s_branch .LBB1482_308
	.section	.rodata,"a",@progbits
	.p2align	6, 0x0
	.amdhsa_kernel _ZN7rocprim17ROCPRIM_400000_NS6detail17trampoline_kernelINS0_14default_configENS1_22reduce_config_selectorIN6thrust23THRUST_200600_302600_NS5tupleIblNS6_9null_typeES8_S8_S8_S8_S8_S8_S8_EEEEZNS1_11reduce_implILb1ES3_NS6_12zip_iteratorINS7_INS6_11hip_rocprim26transform_input_iterator_tIbNSD_35transform_pair_of_input_iterators_tIbNS6_6detail15normal_iteratorINS6_10device_ptrIKiEEEESL_NS6_8equal_toIiEEEENSG_9not_fun_tINSD_8identityEEEEENSD_19counting_iterator_tIlEES8_S8_S8_S8_S8_S8_S8_S8_EEEEPS9_S9_NSD_9__find_if7functorIS9_EEEE10hipError_tPvRmT1_T2_T3_mT4_P12ihipStream_tbEUlT_E1_NS1_11comp_targetILNS1_3genE0ELNS1_11target_archE4294967295ELNS1_3gpuE0ELNS1_3repE0EEENS1_30default_config_static_selectorELNS0_4arch9wavefront6targetE1EEEvS14_
		.amdhsa_group_segment_fixed_size 160
		.amdhsa_private_segment_fixed_size 0
		.amdhsa_kernarg_size 88
		.amdhsa_user_sgpr_count 2
		.amdhsa_user_sgpr_dispatch_ptr 0
		.amdhsa_user_sgpr_queue_ptr 0
		.amdhsa_user_sgpr_kernarg_segment_ptr 1
		.amdhsa_user_sgpr_dispatch_id 0
		.amdhsa_user_sgpr_kernarg_preload_length 0
		.amdhsa_user_sgpr_kernarg_preload_offset 0
		.amdhsa_user_sgpr_private_segment_size 0
		.amdhsa_uses_dynamic_stack 0
		.amdhsa_enable_private_segment 0
		.amdhsa_system_sgpr_workgroup_id_x 1
		.amdhsa_system_sgpr_workgroup_id_y 0
		.amdhsa_system_sgpr_workgroup_id_z 0
		.amdhsa_system_sgpr_workgroup_info 0
		.amdhsa_system_vgpr_workitem_id 0
		.amdhsa_next_free_vgpr 29
		.amdhsa_next_free_sgpr 42
		.amdhsa_accum_offset 32
		.amdhsa_reserve_vcc 1
		.amdhsa_float_round_mode_32 0
		.amdhsa_float_round_mode_16_64 0
		.amdhsa_float_denorm_mode_32 3
		.amdhsa_float_denorm_mode_16_64 3
		.amdhsa_dx10_clamp 1
		.amdhsa_ieee_mode 1
		.amdhsa_fp16_overflow 0
		.amdhsa_tg_split 0
		.amdhsa_exception_fp_ieee_invalid_op 0
		.amdhsa_exception_fp_denorm_src 0
		.amdhsa_exception_fp_ieee_div_zero 0
		.amdhsa_exception_fp_ieee_overflow 0
		.amdhsa_exception_fp_ieee_underflow 0
		.amdhsa_exception_fp_ieee_inexact 0
		.amdhsa_exception_int_div_zero 0
	.end_amdhsa_kernel
	.section	.text._ZN7rocprim17ROCPRIM_400000_NS6detail17trampoline_kernelINS0_14default_configENS1_22reduce_config_selectorIN6thrust23THRUST_200600_302600_NS5tupleIblNS6_9null_typeES8_S8_S8_S8_S8_S8_S8_EEEEZNS1_11reduce_implILb1ES3_NS6_12zip_iteratorINS7_INS6_11hip_rocprim26transform_input_iterator_tIbNSD_35transform_pair_of_input_iterators_tIbNS6_6detail15normal_iteratorINS6_10device_ptrIKiEEEESL_NS6_8equal_toIiEEEENSG_9not_fun_tINSD_8identityEEEEENSD_19counting_iterator_tIlEES8_S8_S8_S8_S8_S8_S8_S8_EEEEPS9_S9_NSD_9__find_if7functorIS9_EEEE10hipError_tPvRmT1_T2_T3_mT4_P12ihipStream_tbEUlT_E1_NS1_11comp_targetILNS1_3genE0ELNS1_11target_archE4294967295ELNS1_3gpuE0ELNS1_3repE0EEENS1_30default_config_static_selectorELNS0_4arch9wavefront6targetE1EEEvS14_,"axG",@progbits,_ZN7rocprim17ROCPRIM_400000_NS6detail17trampoline_kernelINS0_14default_configENS1_22reduce_config_selectorIN6thrust23THRUST_200600_302600_NS5tupleIblNS6_9null_typeES8_S8_S8_S8_S8_S8_S8_EEEEZNS1_11reduce_implILb1ES3_NS6_12zip_iteratorINS7_INS6_11hip_rocprim26transform_input_iterator_tIbNSD_35transform_pair_of_input_iterators_tIbNS6_6detail15normal_iteratorINS6_10device_ptrIKiEEEESL_NS6_8equal_toIiEEEENSG_9not_fun_tINSD_8identityEEEEENSD_19counting_iterator_tIlEES8_S8_S8_S8_S8_S8_S8_S8_EEEEPS9_S9_NSD_9__find_if7functorIS9_EEEE10hipError_tPvRmT1_T2_T3_mT4_P12ihipStream_tbEUlT_E1_NS1_11comp_targetILNS1_3genE0ELNS1_11target_archE4294967295ELNS1_3gpuE0ELNS1_3repE0EEENS1_30default_config_static_selectorELNS0_4arch9wavefront6targetE1EEEvS14_,comdat
.Lfunc_end1482:
	.size	_ZN7rocprim17ROCPRIM_400000_NS6detail17trampoline_kernelINS0_14default_configENS1_22reduce_config_selectorIN6thrust23THRUST_200600_302600_NS5tupleIblNS6_9null_typeES8_S8_S8_S8_S8_S8_S8_EEEEZNS1_11reduce_implILb1ES3_NS6_12zip_iteratorINS7_INS6_11hip_rocprim26transform_input_iterator_tIbNSD_35transform_pair_of_input_iterators_tIbNS6_6detail15normal_iteratorINS6_10device_ptrIKiEEEESL_NS6_8equal_toIiEEEENSG_9not_fun_tINSD_8identityEEEEENSD_19counting_iterator_tIlEES8_S8_S8_S8_S8_S8_S8_S8_EEEEPS9_S9_NSD_9__find_if7functorIS9_EEEE10hipError_tPvRmT1_T2_T3_mT4_P12ihipStream_tbEUlT_E1_NS1_11comp_targetILNS1_3genE0ELNS1_11target_archE4294967295ELNS1_3gpuE0ELNS1_3repE0EEENS1_30default_config_static_selectorELNS0_4arch9wavefront6targetE1EEEvS14_, .Lfunc_end1482-_ZN7rocprim17ROCPRIM_400000_NS6detail17trampoline_kernelINS0_14default_configENS1_22reduce_config_selectorIN6thrust23THRUST_200600_302600_NS5tupleIblNS6_9null_typeES8_S8_S8_S8_S8_S8_S8_EEEEZNS1_11reduce_implILb1ES3_NS6_12zip_iteratorINS7_INS6_11hip_rocprim26transform_input_iterator_tIbNSD_35transform_pair_of_input_iterators_tIbNS6_6detail15normal_iteratorINS6_10device_ptrIKiEEEESL_NS6_8equal_toIiEEEENSG_9not_fun_tINSD_8identityEEEEENSD_19counting_iterator_tIlEES8_S8_S8_S8_S8_S8_S8_S8_EEEEPS9_S9_NSD_9__find_if7functorIS9_EEEE10hipError_tPvRmT1_T2_T3_mT4_P12ihipStream_tbEUlT_E1_NS1_11comp_targetILNS1_3genE0ELNS1_11target_archE4294967295ELNS1_3gpuE0ELNS1_3repE0EEENS1_30default_config_static_selectorELNS0_4arch9wavefront6targetE1EEEvS14_
                                        ; -- End function
	.set _ZN7rocprim17ROCPRIM_400000_NS6detail17trampoline_kernelINS0_14default_configENS1_22reduce_config_selectorIN6thrust23THRUST_200600_302600_NS5tupleIblNS6_9null_typeES8_S8_S8_S8_S8_S8_S8_EEEEZNS1_11reduce_implILb1ES3_NS6_12zip_iteratorINS7_INS6_11hip_rocprim26transform_input_iterator_tIbNSD_35transform_pair_of_input_iterators_tIbNS6_6detail15normal_iteratorINS6_10device_ptrIKiEEEESL_NS6_8equal_toIiEEEENSG_9not_fun_tINSD_8identityEEEEENSD_19counting_iterator_tIlEES8_S8_S8_S8_S8_S8_S8_S8_EEEEPS9_S9_NSD_9__find_if7functorIS9_EEEE10hipError_tPvRmT1_T2_T3_mT4_P12ihipStream_tbEUlT_E1_NS1_11comp_targetILNS1_3genE0ELNS1_11target_archE4294967295ELNS1_3gpuE0ELNS1_3repE0EEENS1_30default_config_static_selectorELNS0_4arch9wavefront6targetE1EEEvS14_.num_vgpr, 29
	.set _ZN7rocprim17ROCPRIM_400000_NS6detail17trampoline_kernelINS0_14default_configENS1_22reduce_config_selectorIN6thrust23THRUST_200600_302600_NS5tupleIblNS6_9null_typeES8_S8_S8_S8_S8_S8_S8_EEEEZNS1_11reduce_implILb1ES3_NS6_12zip_iteratorINS7_INS6_11hip_rocprim26transform_input_iterator_tIbNSD_35transform_pair_of_input_iterators_tIbNS6_6detail15normal_iteratorINS6_10device_ptrIKiEEEESL_NS6_8equal_toIiEEEENSG_9not_fun_tINSD_8identityEEEEENSD_19counting_iterator_tIlEES8_S8_S8_S8_S8_S8_S8_S8_EEEEPS9_S9_NSD_9__find_if7functorIS9_EEEE10hipError_tPvRmT1_T2_T3_mT4_P12ihipStream_tbEUlT_E1_NS1_11comp_targetILNS1_3genE0ELNS1_11target_archE4294967295ELNS1_3gpuE0ELNS1_3repE0EEENS1_30default_config_static_selectorELNS0_4arch9wavefront6targetE1EEEvS14_.num_agpr, 0
	.set _ZN7rocprim17ROCPRIM_400000_NS6detail17trampoline_kernelINS0_14default_configENS1_22reduce_config_selectorIN6thrust23THRUST_200600_302600_NS5tupleIblNS6_9null_typeES8_S8_S8_S8_S8_S8_S8_EEEEZNS1_11reduce_implILb1ES3_NS6_12zip_iteratorINS7_INS6_11hip_rocprim26transform_input_iterator_tIbNSD_35transform_pair_of_input_iterators_tIbNS6_6detail15normal_iteratorINS6_10device_ptrIKiEEEESL_NS6_8equal_toIiEEEENSG_9not_fun_tINSD_8identityEEEEENSD_19counting_iterator_tIlEES8_S8_S8_S8_S8_S8_S8_S8_EEEEPS9_S9_NSD_9__find_if7functorIS9_EEEE10hipError_tPvRmT1_T2_T3_mT4_P12ihipStream_tbEUlT_E1_NS1_11comp_targetILNS1_3genE0ELNS1_11target_archE4294967295ELNS1_3gpuE0ELNS1_3repE0EEENS1_30default_config_static_selectorELNS0_4arch9wavefront6targetE1EEEvS14_.numbered_sgpr, 42
	.set _ZN7rocprim17ROCPRIM_400000_NS6detail17trampoline_kernelINS0_14default_configENS1_22reduce_config_selectorIN6thrust23THRUST_200600_302600_NS5tupleIblNS6_9null_typeES8_S8_S8_S8_S8_S8_S8_EEEEZNS1_11reduce_implILb1ES3_NS6_12zip_iteratorINS7_INS6_11hip_rocprim26transform_input_iterator_tIbNSD_35transform_pair_of_input_iterators_tIbNS6_6detail15normal_iteratorINS6_10device_ptrIKiEEEESL_NS6_8equal_toIiEEEENSG_9not_fun_tINSD_8identityEEEEENSD_19counting_iterator_tIlEES8_S8_S8_S8_S8_S8_S8_S8_EEEEPS9_S9_NSD_9__find_if7functorIS9_EEEE10hipError_tPvRmT1_T2_T3_mT4_P12ihipStream_tbEUlT_E1_NS1_11comp_targetILNS1_3genE0ELNS1_11target_archE4294967295ELNS1_3gpuE0ELNS1_3repE0EEENS1_30default_config_static_selectorELNS0_4arch9wavefront6targetE1EEEvS14_.num_named_barrier, 0
	.set _ZN7rocprim17ROCPRIM_400000_NS6detail17trampoline_kernelINS0_14default_configENS1_22reduce_config_selectorIN6thrust23THRUST_200600_302600_NS5tupleIblNS6_9null_typeES8_S8_S8_S8_S8_S8_S8_EEEEZNS1_11reduce_implILb1ES3_NS6_12zip_iteratorINS7_INS6_11hip_rocprim26transform_input_iterator_tIbNSD_35transform_pair_of_input_iterators_tIbNS6_6detail15normal_iteratorINS6_10device_ptrIKiEEEESL_NS6_8equal_toIiEEEENSG_9not_fun_tINSD_8identityEEEEENSD_19counting_iterator_tIlEES8_S8_S8_S8_S8_S8_S8_S8_EEEEPS9_S9_NSD_9__find_if7functorIS9_EEEE10hipError_tPvRmT1_T2_T3_mT4_P12ihipStream_tbEUlT_E1_NS1_11comp_targetILNS1_3genE0ELNS1_11target_archE4294967295ELNS1_3gpuE0ELNS1_3repE0EEENS1_30default_config_static_selectorELNS0_4arch9wavefront6targetE1EEEvS14_.private_seg_size, 0
	.set _ZN7rocprim17ROCPRIM_400000_NS6detail17trampoline_kernelINS0_14default_configENS1_22reduce_config_selectorIN6thrust23THRUST_200600_302600_NS5tupleIblNS6_9null_typeES8_S8_S8_S8_S8_S8_S8_EEEEZNS1_11reduce_implILb1ES3_NS6_12zip_iteratorINS7_INS6_11hip_rocprim26transform_input_iterator_tIbNSD_35transform_pair_of_input_iterators_tIbNS6_6detail15normal_iteratorINS6_10device_ptrIKiEEEESL_NS6_8equal_toIiEEEENSG_9not_fun_tINSD_8identityEEEEENSD_19counting_iterator_tIlEES8_S8_S8_S8_S8_S8_S8_S8_EEEEPS9_S9_NSD_9__find_if7functorIS9_EEEE10hipError_tPvRmT1_T2_T3_mT4_P12ihipStream_tbEUlT_E1_NS1_11comp_targetILNS1_3genE0ELNS1_11target_archE4294967295ELNS1_3gpuE0ELNS1_3repE0EEENS1_30default_config_static_selectorELNS0_4arch9wavefront6targetE1EEEvS14_.uses_vcc, 1
	.set _ZN7rocprim17ROCPRIM_400000_NS6detail17trampoline_kernelINS0_14default_configENS1_22reduce_config_selectorIN6thrust23THRUST_200600_302600_NS5tupleIblNS6_9null_typeES8_S8_S8_S8_S8_S8_S8_EEEEZNS1_11reduce_implILb1ES3_NS6_12zip_iteratorINS7_INS6_11hip_rocprim26transform_input_iterator_tIbNSD_35transform_pair_of_input_iterators_tIbNS6_6detail15normal_iteratorINS6_10device_ptrIKiEEEESL_NS6_8equal_toIiEEEENSG_9not_fun_tINSD_8identityEEEEENSD_19counting_iterator_tIlEES8_S8_S8_S8_S8_S8_S8_S8_EEEEPS9_S9_NSD_9__find_if7functorIS9_EEEE10hipError_tPvRmT1_T2_T3_mT4_P12ihipStream_tbEUlT_E1_NS1_11comp_targetILNS1_3genE0ELNS1_11target_archE4294967295ELNS1_3gpuE0ELNS1_3repE0EEENS1_30default_config_static_selectorELNS0_4arch9wavefront6targetE1EEEvS14_.uses_flat_scratch, 0
	.set _ZN7rocprim17ROCPRIM_400000_NS6detail17trampoline_kernelINS0_14default_configENS1_22reduce_config_selectorIN6thrust23THRUST_200600_302600_NS5tupleIblNS6_9null_typeES8_S8_S8_S8_S8_S8_S8_EEEEZNS1_11reduce_implILb1ES3_NS6_12zip_iteratorINS7_INS6_11hip_rocprim26transform_input_iterator_tIbNSD_35transform_pair_of_input_iterators_tIbNS6_6detail15normal_iteratorINS6_10device_ptrIKiEEEESL_NS6_8equal_toIiEEEENSG_9not_fun_tINSD_8identityEEEEENSD_19counting_iterator_tIlEES8_S8_S8_S8_S8_S8_S8_S8_EEEEPS9_S9_NSD_9__find_if7functorIS9_EEEE10hipError_tPvRmT1_T2_T3_mT4_P12ihipStream_tbEUlT_E1_NS1_11comp_targetILNS1_3genE0ELNS1_11target_archE4294967295ELNS1_3gpuE0ELNS1_3repE0EEENS1_30default_config_static_selectorELNS0_4arch9wavefront6targetE1EEEvS14_.has_dyn_sized_stack, 0
	.set _ZN7rocprim17ROCPRIM_400000_NS6detail17trampoline_kernelINS0_14default_configENS1_22reduce_config_selectorIN6thrust23THRUST_200600_302600_NS5tupleIblNS6_9null_typeES8_S8_S8_S8_S8_S8_S8_EEEEZNS1_11reduce_implILb1ES3_NS6_12zip_iteratorINS7_INS6_11hip_rocprim26transform_input_iterator_tIbNSD_35transform_pair_of_input_iterators_tIbNS6_6detail15normal_iteratorINS6_10device_ptrIKiEEEESL_NS6_8equal_toIiEEEENSG_9not_fun_tINSD_8identityEEEEENSD_19counting_iterator_tIlEES8_S8_S8_S8_S8_S8_S8_S8_EEEEPS9_S9_NSD_9__find_if7functorIS9_EEEE10hipError_tPvRmT1_T2_T3_mT4_P12ihipStream_tbEUlT_E1_NS1_11comp_targetILNS1_3genE0ELNS1_11target_archE4294967295ELNS1_3gpuE0ELNS1_3repE0EEENS1_30default_config_static_selectorELNS0_4arch9wavefront6targetE1EEEvS14_.has_recursion, 0
	.set _ZN7rocprim17ROCPRIM_400000_NS6detail17trampoline_kernelINS0_14default_configENS1_22reduce_config_selectorIN6thrust23THRUST_200600_302600_NS5tupleIblNS6_9null_typeES8_S8_S8_S8_S8_S8_S8_EEEEZNS1_11reduce_implILb1ES3_NS6_12zip_iteratorINS7_INS6_11hip_rocprim26transform_input_iterator_tIbNSD_35transform_pair_of_input_iterators_tIbNS6_6detail15normal_iteratorINS6_10device_ptrIKiEEEESL_NS6_8equal_toIiEEEENSG_9not_fun_tINSD_8identityEEEEENSD_19counting_iterator_tIlEES8_S8_S8_S8_S8_S8_S8_S8_EEEEPS9_S9_NSD_9__find_if7functorIS9_EEEE10hipError_tPvRmT1_T2_T3_mT4_P12ihipStream_tbEUlT_E1_NS1_11comp_targetILNS1_3genE0ELNS1_11target_archE4294967295ELNS1_3gpuE0ELNS1_3repE0EEENS1_30default_config_static_selectorELNS0_4arch9wavefront6targetE1EEEvS14_.has_indirect_call, 0
	.section	.AMDGPU.csdata,"",@progbits
; Kernel info:
; codeLenInByte = 13308
; TotalNumSgprs: 48
; NumVgprs: 29
; NumAgprs: 0
; TotalNumVgprs: 29
; ScratchSize: 0
; MemoryBound: 0
; FloatMode: 240
; IeeeMode: 1
; LDSByteSize: 160 bytes/workgroup (compile time only)
; SGPRBlocks: 5
; VGPRBlocks: 3
; NumSGPRsForWavesPerEU: 48
; NumVGPRsForWavesPerEU: 29
; AccumOffset: 32
; Occupancy: 8
; WaveLimiterHint : 0
; COMPUTE_PGM_RSRC2:SCRATCH_EN: 0
; COMPUTE_PGM_RSRC2:USER_SGPR: 2
; COMPUTE_PGM_RSRC2:TRAP_HANDLER: 0
; COMPUTE_PGM_RSRC2:TGID_X_EN: 1
; COMPUTE_PGM_RSRC2:TGID_Y_EN: 0
; COMPUTE_PGM_RSRC2:TGID_Z_EN: 0
; COMPUTE_PGM_RSRC2:TIDIG_COMP_CNT: 0
; COMPUTE_PGM_RSRC3_GFX90A:ACCUM_OFFSET: 7
; COMPUTE_PGM_RSRC3_GFX90A:TG_SPLIT: 0
	.section	.text._ZN7rocprim17ROCPRIM_400000_NS6detail17trampoline_kernelINS0_14default_configENS1_22reduce_config_selectorIN6thrust23THRUST_200600_302600_NS5tupleIblNS6_9null_typeES8_S8_S8_S8_S8_S8_S8_EEEEZNS1_11reduce_implILb1ES3_NS6_12zip_iteratorINS7_INS6_11hip_rocprim26transform_input_iterator_tIbNSD_35transform_pair_of_input_iterators_tIbNS6_6detail15normal_iteratorINS6_10device_ptrIKiEEEESL_NS6_8equal_toIiEEEENSG_9not_fun_tINSD_8identityEEEEENSD_19counting_iterator_tIlEES8_S8_S8_S8_S8_S8_S8_S8_EEEEPS9_S9_NSD_9__find_if7functorIS9_EEEE10hipError_tPvRmT1_T2_T3_mT4_P12ihipStream_tbEUlT_E1_NS1_11comp_targetILNS1_3genE5ELNS1_11target_archE942ELNS1_3gpuE9ELNS1_3repE0EEENS1_30default_config_static_selectorELNS0_4arch9wavefront6targetE1EEEvS14_,"axG",@progbits,_ZN7rocprim17ROCPRIM_400000_NS6detail17trampoline_kernelINS0_14default_configENS1_22reduce_config_selectorIN6thrust23THRUST_200600_302600_NS5tupleIblNS6_9null_typeES8_S8_S8_S8_S8_S8_S8_EEEEZNS1_11reduce_implILb1ES3_NS6_12zip_iteratorINS7_INS6_11hip_rocprim26transform_input_iterator_tIbNSD_35transform_pair_of_input_iterators_tIbNS6_6detail15normal_iteratorINS6_10device_ptrIKiEEEESL_NS6_8equal_toIiEEEENSG_9not_fun_tINSD_8identityEEEEENSD_19counting_iterator_tIlEES8_S8_S8_S8_S8_S8_S8_S8_EEEEPS9_S9_NSD_9__find_if7functorIS9_EEEE10hipError_tPvRmT1_T2_T3_mT4_P12ihipStream_tbEUlT_E1_NS1_11comp_targetILNS1_3genE5ELNS1_11target_archE942ELNS1_3gpuE9ELNS1_3repE0EEENS1_30default_config_static_selectorELNS0_4arch9wavefront6targetE1EEEvS14_,comdat
	.protected	_ZN7rocprim17ROCPRIM_400000_NS6detail17trampoline_kernelINS0_14default_configENS1_22reduce_config_selectorIN6thrust23THRUST_200600_302600_NS5tupleIblNS6_9null_typeES8_S8_S8_S8_S8_S8_S8_EEEEZNS1_11reduce_implILb1ES3_NS6_12zip_iteratorINS7_INS6_11hip_rocprim26transform_input_iterator_tIbNSD_35transform_pair_of_input_iterators_tIbNS6_6detail15normal_iteratorINS6_10device_ptrIKiEEEESL_NS6_8equal_toIiEEEENSG_9not_fun_tINSD_8identityEEEEENSD_19counting_iterator_tIlEES8_S8_S8_S8_S8_S8_S8_S8_EEEEPS9_S9_NSD_9__find_if7functorIS9_EEEE10hipError_tPvRmT1_T2_T3_mT4_P12ihipStream_tbEUlT_E1_NS1_11comp_targetILNS1_3genE5ELNS1_11target_archE942ELNS1_3gpuE9ELNS1_3repE0EEENS1_30default_config_static_selectorELNS0_4arch9wavefront6targetE1EEEvS14_ ; -- Begin function _ZN7rocprim17ROCPRIM_400000_NS6detail17trampoline_kernelINS0_14default_configENS1_22reduce_config_selectorIN6thrust23THRUST_200600_302600_NS5tupleIblNS6_9null_typeES8_S8_S8_S8_S8_S8_S8_EEEEZNS1_11reduce_implILb1ES3_NS6_12zip_iteratorINS7_INS6_11hip_rocprim26transform_input_iterator_tIbNSD_35transform_pair_of_input_iterators_tIbNS6_6detail15normal_iteratorINS6_10device_ptrIKiEEEESL_NS6_8equal_toIiEEEENSG_9not_fun_tINSD_8identityEEEEENSD_19counting_iterator_tIlEES8_S8_S8_S8_S8_S8_S8_S8_EEEEPS9_S9_NSD_9__find_if7functorIS9_EEEE10hipError_tPvRmT1_T2_T3_mT4_P12ihipStream_tbEUlT_E1_NS1_11comp_targetILNS1_3genE5ELNS1_11target_archE942ELNS1_3gpuE9ELNS1_3repE0EEENS1_30default_config_static_selectorELNS0_4arch9wavefront6targetE1EEEvS14_
	.globl	_ZN7rocprim17ROCPRIM_400000_NS6detail17trampoline_kernelINS0_14default_configENS1_22reduce_config_selectorIN6thrust23THRUST_200600_302600_NS5tupleIblNS6_9null_typeES8_S8_S8_S8_S8_S8_S8_EEEEZNS1_11reduce_implILb1ES3_NS6_12zip_iteratorINS7_INS6_11hip_rocprim26transform_input_iterator_tIbNSD_35transform_pair_of_input_iterators_tIbNS6_6detail15normal_iteratorINS6_10device_ptrIKiEEEESL_NS6_8equal_toIiEEEENSG_9not_fun_tINSD_8identityEEEEENSD_19counting_iterator_tIlEES8_S8_S8_S8_S8_S8_S8_S8_EEEEPS9_S9_NSD_9__find_if7functorIS9_EEEE10hipError_tPvRmT1_T2_T3_mT4_P12ihipStream_tbEUlT_E1_NS1_11comp_targetILNS1_3genE5ELNS1_11target_archE942ELNS1_3gpuE9ELNS1_3repE0EEENS1_30default_config_static_selectorELNS0_4arch9wavefront6targetE1EEEvS14_
	.p2align	8
	.type	_ZN7rocprim17ROCPRIM_400000_NS6detail17trampoline_kernelINS0_14default_configENS1_22reduce_config_selectorIN6thrust23THRUST_200600_302600_NS5tupleIblNS6_9null_typeES8_S8_S8_S8_S8_S8_S8_EEEEZNS1_11reduce_implILb1ES3_NS6_12zip_iteratorINS7_INS6_11hip_rocprim26transform_input_iterator_tIbNSD_35transform_pair_of_input_iterators_tIbNS6_6detail15normal_iteratorINS6_10device_ptrIKiEEEESL_NS6_8equal_toIiEEEENSG_9not_fun_tINSD_8identityEEEEENSD_19counting_iterator_tIlEES8_S8_S8_S8_S8_S8_S8_S8_EEEEPS9_S9_NSD_9__find_if7functorIS9_EEEE10hipError_tPvRmT1_T2_T3_mT4_P12ihipStream_tbEUlT_E1_NS1_11comp_targetILNS1_3genE5ELNS1_11target_archE942ELNS1_3gpuE9ELNS1_3repE0EEENS1_30default_config_static_selectorELNS0_4arch9wavefront6targetE1EEEvS14_,@function
_ZN7rocprim17ROCPRIM_400000_NS6detail17trampoline_kernelINS0_14default_configENS1_22reduce_config_selectorIN6thrust23THRUST_200600_302600_NS5tupleIblNS6_9null_typeES8_S8_S8_S8_S8_S8_S8_EEEEZNS1_11reduce_implILb1ES3_NS6_12zip_iteratorINS7_INS6_11hip_rocprim26transform_input_iterator_tIbNSD_35transform_pair_of_input_iterators_tIbNS6_6detail15normal_iteratorINS6_10device_ptrIKiEEEESL_NS6_8equal_toIiEEEENSG_9not_fun_tINSD_8identityEEEEENSD_19counting_iterator_tIlEES8_S8_S8_S8_S8_S8_S8_S8_EEEEPS9_S9_NSD_9__find_if7functorIS9_EEEE10hipError_tPvRmT1_T2_T3_mT4_P12ihipStream_tbEUlT_E1_NS1_11comp_targetILNS1_3genE5ELNS1_11target_archE942ELNS1_3gpuE9ELNS1_3repE0EEENS1_30default_config_static_selectorELNS0_4arch9wavefront6targetE1EEEvS14_: ; @_ZN7rocprim17ROCPRIM_400000_NS6detail17trampoline_kernelINS0_14default_configENS1_22reduce_config_selectorIN6thrust23THRUST_200600_302600_NS5tupleIblNS6_9null_typeES8_S8_S8_S8_S8_S8_S8_EEEEZNS1_11reduce_implILb1ES3_NS6_12zip_iteratorINS7_INS6_11hip_rocprim26transform_input_iterator_tIbNSD_35transform_pair_of_input_iterators_tIbNS6_6detail15normal_iteratorINS6_10device_ptrIKiEEEESL_NS6_8equal_toIiEEEENSG_9not_fun_tINSD_8identityEEEEENSD_19counting_iterator_tIlEES8_S8_S8_S8_S8_S8_S8_S8_EEEEPS9_S9_NSD_9__find_if7functorIS9_EEEE10hipError_tPvRmT1_T2_T3_mT4_P12ihipStream_tbEUlT_E1_NS1_11comp_targetILNS1_3genE5ELNS1_11target_archE942ELNS1_3gpuE9ELNS1_3repE0EEENS1_30default_config_static_selectorELNS0_4arch9wavefront6targetE1EEEvS14_
; %bb.0:
	.section	.rodata,"a",@progbits
	.p2align	6, 0x0
	.amdhsa_kernel _ZN7rocprim17ROCPRIM_400000_NS6detail17trampoline_kernelINS0_14default_configENS1_22reduce_config_selectorIN6thrust23THRUST_200600_302600_NS5tupleIblNS6_9null_typeES8_S8_S8_S8_S8_S8_S8_EEEEZNS1_11reduce_implILb1ES3_NS6_12zip_iteratorINS7_INS6_11hip_rocprim26transform_input_iterator_tIbNSD_35transform_pair_of_input_iterators_tIbNS6_6detail15normal_iteratorINS6_10device_ptrIKiEEEESL_NS6_8equal_toIiEEEENSG_9not_fun_tINSD_8identityEEEEENSD_19counting_iterator_tIlEES8_S8_S8_S8_S8_S8_S8_S8_EEEEPS9_S9_NSD_9__find_if7functorIS9_EEEE10hipError_tPvRmT1_T2_T3_mT4_P12ihipStream_tbEUlT_E1_NS1_11comp_targetILNS1_3genE5ELNS1_11target_archE942ELNS1_3gpuE9ELNS1_3repE0EEENS1_30default_config_static_selectorELNS0_4arch9wavefront6targetE1EEEvS14_
		.amdhsa_group_segment_fixed_size 0
		.amdhsa_private_segment_fixed_size 0
		.amdhsa_kernarg_size 88
		.amdhsa_user_sgpr_count 2
		.amdhsa_user_sgpr_dispatch_ptr 0
		.amdhsa_user_sgpr_queue_ptr 0
		.amdhsa_user_sgpr_kernarg_segment_ptr 1
		.amdhsa_user_sgpr_dispatch_id 0
		.amdhsa_user_sgpr_kernarg_preload_length 0
		.amdhsa_user_sgpr_kernarg_preload_offset 0
		.amdhsa_user_sgpr_private_segment_size 0
		.amdhsa_uses_dynamic_stack 0
		.amdhsa_enable_private_segment 0
		.amdhsa_system_sgpr_workgroup_id_x 1
		.amdhsa_system_sgpr_workgroup_id_y 0
		.amdhsa_system_sgpr_workgroup_id_z 0
		.amdhsa_system_sgpr_workgroup_info 0
		.amdhsa_system_vgpr_workitem_id 0
		.amdhsa_next_free_vgpr 1
		.amdhsa_next_free_sgpr 0
		.amdhsa_accum_offset 4
		.amdhsa_reserve_vcc 0
		.amdhsa_float_round_mode_32 0
		.amdhsa_float_round_mode_16_64 0
		.amdhsa_float_denorm_mode_32 3
		.amdhsa_float_denorm_mode_16_64 3
		.amdhsa_dx10_clamp 1
		.amdhsa_ieee_mode 1
		.amdhsa_fp16_overflow 0
		.amdhsa_tg_split 0
		.amdhsa_exception_fp_ieee_invalid_op 0
		.amdhsa_exception_fp_denorm_src 0
		.amdhsa_exception_fp_ieee_div_zero 0
		.amdhsa_exception_fp_ieee_overflow 0
		.amdhsa_exception_fp_ieee_underflow 0
		.amdhsa_exception_fp_ieee_inexact 0
		.amdhsa_exception_int_div_zero 0
	.end_amdhsa_kernel
	.section	.text._ZN7rocprim17ROCPRIM_400000_NS6detail17trampoline_kernelINS0_14default_configENS1_22reduce_config_selectorIN6thrust23THRUST_200600_302600_NS5tupleIblNS6_9null_typeES8_S8_S8_S8_S8_S8_S8_EEEEZNS1_11reduce_implILb1ES3_NS6_12zip_iteratorINS7_INS6_11hip_rocprim26transform_input_iterator_tIbNSD_35transform_pair_of_input_iterators_tIbNS6_6detail15normal_iteratorINS6_10device_ptrIKiEEEESL_NS6_8equal_toIiEEEENSG_9not_fun_tINSD_8identityEEEEENSD_19counting_iterator_tIlEES8_S8_S8_S8_S8_S8_S8_S8_EEEEPS9_S9_NSD_9__find_if7functorIS9_EEEE10hipError_tPvRmT1_T2_T3_mT4_P12ihipStream_tbEUlT_E1_NS1_11comp_targetILNS1_3genE5ELNS1_11target_archE942ELNS1_3gpuE9ELNS1_3repE0EEENS1_30default_config_static_selectorELNS0_4arch9wavefront6targetE1EEEvS14_,"axG",@progbits,_ZN7rocprim17ROCPRIM_400000_NS6detail17trampoline_kernelINS0_14default_configENS1_22reduce_config_selectorIN6thrust23THRUST_200600_302600_NS5tupleIblNS6_9null_typeES8_S8_S8_S8_S8_S8_S8_EEEEZNS1_11reduce_implILb1ES3_NS6_12zip_iteratorINS7_INS6_11hip_rocprim26transform_input_iterator_tIbNSD_35transform_pair_of_input_iterators_tIbNS6_6detail15normal_iteratorINS6_10device_ptrIKiEEEESL_NS6_8equal_toIiEEEENSG_9not_fun_tINSD_8identityEEEEENSD_19counting_iterator_tIlEES8_S8_S8_S8_S8_S8_S8_S8_EEEEPS9_S9_NSD_9__find_if7functorIS9_EEEE10hipError_tPvRmT1_T2_T3_mT4_P12ihipStream_tbEUlT_E1_NS1_11comp_targetILNS1_3genE5ELNS1_11target_archE942ELNS1_3gpuE9ELNS1_3repE0EEENS1_30default_config_static_selectorELNS0_4arch9wavefront6targetE1EEEvS14_,comdat
.Lfunc_end1483:
	.size	_ZN7rocprim17ROCPRIM_400000_NS6detail17trampoline_kernelINS0_14default_configENS1_22reduce_config_selectorIN6thrust23THRUST_200600_302600_NS5tupleIblNS6_9null_typeES8_S8_S8_S8_S8_S8_S8_EEEEZNS1_11reduce_implILb1ES3_NS6_12zip_iteratorINS7_INS6_11hip_rocprim26transform_input_iterator_tIbNSD_35transform_pair_of_input_iterators_tIbNS6_6detail15normal_iteratorINS6_10device_ptrIKiEEEESL_NS6_8equal_toIiEEEENSG_9not_fun_tINSD_8identityEEEEENSD_19counting_iterator_tIlEES8_S8_S8_S8_S8_S8_S8_S8_EEEEPS9_S9_NSD_9__find_if7functorIS9_EEEE10hipError_tPvRmT1_T2_T3_mT4_P12ihipStream_tbEUlT_E1_NS1_11comp_targetILNS1_3genE5ELNS1_11target_archE942ELNS1_3gpuE9ELNS1_3repE0EEENS1_30default_config_static_selectorELNS0_4arch9wavefront6targetE1EEEvS14_, .Lfunc_end1483-_ZN7rocprim17ROCPRIM_400000_NS6detail17trampoline_kernelINS0_14default_configENS1_22reduce_config_selectorIN6thrust23THRUST_200600_302600_NS5tupleIblNS6_9null_typeES8_S8_S8_S8_S8_S8_S8_EEEEZNS1_11reduce_implILb1ES3_NS6_12zip_iteratorINS7_INS6_11hip_rocprim26transform_input_iterator_tIbNSD_35transform_pair_of_input_iterators_tIbNS6_6detail15normal_iteratorINS6_10device_ptrIKiEEEESL_NS6_8equal_toIiEEEENSG_9not_fun_tINSD_8identityEEEEENSD_19counting_iterator_tIlEES8_S8_S8_S8_S8_S8_S8_S8_EEEEPS9_S9_NSD_9__find_if7functorIS9_EEEE10hipError_tPvRmT1_T2_T3_mT4_P12ihipStream_tbEUlT_E1_NS1_11comp_targetILNS1_3genE5ELNS1_11target_archE942ELNS1_3gpuE9ELNS1_3repE0EEENS1_30default_config_static_selectorELNS0_4arch9wavefront6targetE1EEEvS14_
                                        ; -- End function
	.set _ZN7rocprim17ROCPRIM_400000_NS6detail17trampoline_kernelINS0_14default_configENS1_22reduce_config_selectorIN6thrust23THRUST_200600_302600_NS5tupleIblNS6_9null_typeES8_S8_S8_S8_S8_S8_S8_EEEEZNS1_11reduce_implILb1ES3_NS6_12zip_iteratorINS7_INS6_11hip_rocprim26transform_input_iterator_tIbNSD_35transform_pair_of_input_iterators_tIbNS6_6detail15normal_iteratorINS6_10device_ptrIKiEEEESL_NS6_8equal_toIiEEEENSG_9not_fun_tINSD_8identityEEEEENSD_19counting_iterator_tIlEES8_S8_S8_S8_S8_S8_S8_S8_EEEEPS9_S9_NSD_9__find_if7functorIS9_EEEE10hipError_tPvRmT1_T2_T3_mT4_P12ihipStream_tbEUlT_E1_NS1_11comp_targetILNS1_3genE5ELNS1_11target_archE942ELNS1_3gpuE9ELNS1_3repE0EEENS1_30default_config_static_selectorELNS0_4arch9wavefront6targetE1EEEvS14_.num_vgpr, 0
	.set _ZN7rocprim17ROCPRIM_400000_NS6detail17trampoline_kernelINS0_14default_configENS1_22reduce_config_selectorIN6thrust23THRUST_200600_302600_NS5tupleIblNS6_9null_typeES8_S8_S8_S8_S8_S8_S8_EEEEZNS1_11reduce_implILb1ES3_NS6_12zip_iteratorINS7_INS6_11hip_rocprim26transform_input_iterator_tIbNSD_35transform_pair_of_input_iterators_tIbNS6_6detail15normal_iteratorINS6_10device_ptrIKiEEEESL_NS6_8equal_toIiEEEENSG_9not_fun_tINSD_8identityEEEEENSD_19counting_iterator_tIlEES8_S8_S8_S8_S8_S8_S8_S8_EEEEPS9_S9_NSD_9__find_if7functorIS9_EEEE10hipError_tPvRmT1_T2_T3_mT4_P12ihipStream_tbEUlT_E1_NS1_11comp_targetILNS1_3genE5ELNS1_11target_archE942ELNS1_3gpuE9ELNS1_3repE0EEENS1_30default_config_static_selectorELNS0_4arch9wavefront6targetE1EEEvS14_.num_agpr, 0
	.set _ZN7rocprim17ROCPRIM_400000_NS6detail17trampoline_kernelINS0_14default_configENS1_22reduce_config_selectorIN6thrust23THRUST_200600_302600_NS5tupleIblNS6_9null_typeES8_S8_S8_S8_S8_S8_S8_EEEEZNS1_11reduce_implILb1ES3_NS6_12zip_iteratorINS7_INS6_11hip_rocprim26transform_input_iterator_tIbNSD_35transform_pair_of_input_iterators_tIbNS6_6detail15normal_iteratorINS6_10device_ptrIKiEEEESL_NS6_8equal_toIiEEEENSG_9not_fun_tINSD_8identityEEEEENSD_19counting_iterator_tIlEES8_S8_S8_S8_S8_S8_S8_S8_EEEEPS9_S9_NSD_9__find_if7functorIS9_EEEE10hipError_tPvRmT1_T2_T3_mT4_P12ihipStream_tbEUlT_E1_NS1_11comp_targetILNS1_3genE5ELNS1_11target_archE942ELNS1_3gpuE9ELNS1_3repE0EEENS1_30default_config_static_selectorELNS0_4arch9wavefront6targetE1EEEvS14_.numbered_sgpr, 0
	.set _ZN7rocprim17ROCPRIM_400000_NS6detail17trampoline_kernelINS0_14default_configENS1_22reduce_config_selectorIN6thrust23THRUST_200600_302600_NS5tupleIblNS6_9null_typeES8_S8_S8_S8_S8_S8_S8_EEEEZNS1_11reduce_implILb1ES3_NS6_12zip_iteratorINS7_INS6_11hip_rocprim26transform_input_iterator_tIbNSD_35transform_pair_of_input_iterators_tIbNS6_6detail15normal_iteratorINS6_10device_ptrIKiEEEESL_NS6_8equal_toIiEEEENSG_9not_fun_tINSD_8identityEEEEENSD_19counting_iterator_tIlEES8_S8_S8_S8_S8_S8_S8_S8_EEEEPS9_S9_NSD_9__find_if7functorIS9_EEEE10hipError_tPvRmT1_T2_T3_mT4_P12ihipStream_tbEUlT_E1_NS1_11comp_targetILNS1_3genE5ELNS1_11target_archE942ELNS1_3gpuE9ELNS1_3repE0EEENS1_30default_config_static_selectorELNS0_4arch9wavefront6targetE1EEEvS14_.num_named_barrier, 0
	.set _ZN7rocprim17ROCPRIM_400000_NS6detail17trampoline_kernelINS0_14default_configENS1_22reduce_config_selectorIN6thrust23THRUST_200600_302600_NS5tupleIblNS6_9null_typeES8_S8_S8_S8_S8_S8_S8_EEEEZNS1_11reduce_implILb1ES3_NS6_12zip_iteratorINS7_INS6_11hip_rocprim26transform_input_iterator_tIbNSD_35transform_pair_of_input_iterators_tIbNS6_6detail15normal_iteratorINS6_10device_ptrIKiEEEESL_NS6_8equal_toIiEEEENSG_9not_fun_tINSD_8identityEEEEENSD_19counting_iterator_tIlEES8_S8_S8_S8_S8_S8_S8_S8_EEEEPS9_S9_NSD_9__find_if7functorIS9_EEEE10hipError_tPvRmT1_T2_T3_mT4_P12ihipStream_tbEUlT_E1_NS1_11comp_targetILNS1_3genE5ELNS1_11target_archE942ELNS1_3gpuE9ELNS1_3repE0EEENS1_30default_config_static_selectorELNS0_4arch9wavefront6targetE1EEEvS14_.private_seg_size, 0
	.set _ZN7rocprim17ROCPRIM_400000_NS6detail17trampoline_kernelINS0_14default_configENS1_22reduce_config_selectorIN6thrust23THRUST_200600_302600_NS5tupleIblNS6_9null_typeES8_S8_S8_S8_S8_S8_S8_EEEEZNS1_11reduce_implILb1ES3_NS6_12zip_iteratorINS7_INS6_11hip_rocprim26transform_input_iterator_tIbNSD_35transform_pair_of_input_iterators_tIbNS6_6detail15normal_iteratorINS6_10device_ptrIKiEEEESL_NS6_8equal_toIiEEEENSG_9not_fun_tINSD_8identityEEEEENSD_19counting_iterator_tIlEES8_S8_S8_S8_S8_S8_S8_S8_EEEEPS9_S9_NSD_9__find_if7functorIS9_EEEE10hipError_tPvRmT1_T2_T3_mT4_P12ihipStream_tbEUlT_E1_NS1_11comp_targetILNS1_3genE5ELNS1_11target_archE942ELNS1_3gpuE9ELNS1_3repE0EEENS1_30default_config_static_selectorELNS0_4arch9wavefront6targetE1EEEvS14_.uses_vcc, 0
	.set _ZN7rocprim17ROCPRIM_400000_NS6detail17trampoline_kernelINS0_14default_configENS1_22reduce_config_selectorIN6thrust23THRUST_200600_302600_NS5tupleIblNS6_9null_typeES8_S8_S8_S8_S8_S8_S8_EEEEZNS1_11reduce_implILb1ES3_NS6_12zip_iteratorINS7_INS6_11hip_rocprim26transform_input_iterator_tIbNSD_35transform_pair_of_input_iterators_tIbNS6_6detail15normal_iteratorINS6_10device_ptrIKiEEEESL_NS6_8equal_toIiEEEENSG_9not_fun_tINSD_8identityEEEEENSD_19counting_iterator_tIlEES8_S8_S8_S8_S8_S8_S8_S8_EEEEPS9_S9_NSD_9__find_if7functorIS9_EEEE10hipError_tPvRmT1_T2_T3_mT4_P12ihipStream_tbEUlT_E1_NS1_11comp_targetILNS1_3genE5ELNS1_11target_archE942ELNS1_3gpuE9ELNS1_3repE0EEENS1_30default_config_static_selectorELNS0_4arch9wavefront6targetE1EEEvS14_.uses_flat_scratch, 0
	.set _ZN7rocprim17ROCPRIM_400000_NS6detail17trampoline_kernelINS0_14default_configENS1_22reduce_config_selectorIN6thrust23THRUST_200600_302600_NS5tupleIblNS6_9null_typeES8_S8_S8_S8_S8_S8_S8_EEEEZNS1_11reduce_implILb1ES3_NS6_12zip_iteratorINS7_INS6_11hip_rocprim26transform_input_iterator_tIbNSD_35transform_pair_of_input_iterators_tIbNS6_6detail15normal_iteratorINS6_10device_ptrIKiEEEESL_NS6_8equal_toIiEEEENSG_9not_fun_tINSD_8identityEEEEENSD_19counting_iterator_tIlEES8_S8_S8_S8_S8_S8_S8_S8_EEEEPS9_S9_NSD_9__find_if7functorIS9_EEEE10hipError_tPvRmT1_T2_T3_mT4_P12ihipStream_tbEUlT_E1_NS1_11comp_targetILNS1_3genE5ELNS1_11target_archE942ELNS1_3gpuE9ELNS1_3repE0EEENS1_30default_config_static_selectorELNS0_4arch9wavefront6targetE1EEEvS14_.has_dyn_sized_stack, 0
	.set _ZN7rocprim17ROCPRIM_400000_NS6detail17trampoline_kernelINS0_14default_configENS1_22reduce_config_selectorIN6thrust23THRUST_200600_302600_NS5tupleIblNS6_9null_typeES8_S8_S8_S8_S8_S8_S8_EEEEZNS1_11reduce_implILb1ES3_NS6_12zip_iteratorINS7_INS6_11hip_rocprim26transform_input_iterator_tIbNSD_35transform_pair_of_input_iterators_tIbNS6_6detail15normal_iteratorINS6_10device_ptrIKiEEEESL_NS6_8equal_toIiEEEENSG_9not_fun_tINSD_8identityEEEEENSD_19counting_iterator_tIlEES8_S8_S8_S8_S8_S8_S8_S8_EEEEPS9_S9_NSD_9__find_if7functorIS9_EEEE10hipError_tPvRmT1_T2_T3_mT4_P12ihipStream_tbEUlT_E1_NS1_11comp_targetILNS1_3genE5ELNS1_11target_archE942ELNS1_3gpuE9ELNS1_3repE0EEENS1_30default_config_static_selectorELNS0_4arch9wavefront6targetE1EEEvS14_.has_recursion, 0
	.set _ZN7rocprim17ROCPRIM_400000_NS6detail17trampoline_kernelINS0_14default_configENS1_22reduce_config_selectorIN6thrust23THRUST_200600_302600_NS5tupleIblNS6_9null_typeES8_S8_S8_S8_S8_S8_S8_EEEEZNS1_11reduce_implILb1ES3_NS6_12zip_iteratorINS7_INS6_11hip_rocprim26transform_input_iterator_tIbNSD_35transform_pair_of_input_iterators_tIbNS6_6detail15normal_iteratorINS6_10device_ptrIKiEEEESL_NS6_8equal_toIiEEEENSG_9not_fun_tINSD_8identityEEEEENSD_19counting_iterator_tIlEES8_S8_S8_S8_S8_S8_S8_S8_EEEEPS9_S9_NSD_9__find_if7functorIS9_EEEE10hipError_tPvRmT1_T2_T3_mT4_P12ihipStream_tbEUlT_E1_NS1_11comp_targetILNS1_3genE5ELNS1_11target_archE942ELNS1_3gpuE9ELNS1_3repE0EEENS1_30default_config_static_selectorELNS0_4arch9wavefront6targetE1EEEvS14_.has_indirect_call, 0
	.section	.AMDGPU.csdata,"",@progbits
; Kernel info:
; codeLenInByte = 0
; TotalNumSgprs: 6
; NumVgprs: 0
; NumAgprs: 0
; TotalNumVgprs: 0
; ScratchSize: 0
; MemoryBound: 0
; FloatMode: 240
; IeeeMode: 1
; LDSByteSize: 0 bytes/workgroup (compile time only)
; SGPRBlocks: 0
; VGPRBlocks: 0
; NumSGPRsForWavesPerEU: 6
; NumVGPRsForWavesPerEU: 1
; AccumOffset: 4
; Occupancy: 8
; WaveLimiterHint : 0
; COMPUTE_PGM_RSRC2:SCRATCH_EN: 0
; COMPUTE_PGM_RSRC2:USER_SGPR: 2
; COMPUTE_PGM_RSRC2:TRAP_HANDLER: 0
; COMPUTE_PGM_RSRC2:TGID_X_EN: 1
; COMPUTE_PGM_RSRC2:TGID_Y_EN: 0
; COMPUTE_PGM_RSRC2:TGID_Z_EN: 0
; COMPUTE_PGM_RSRC2:TIDIG_COMP_CNT: 0
; COMPUTE_PGM_RSRC3_GFX90A:ACCUM_OFFSET: 0
; COMPUTE_PGM_RSRC3_GFX90A:TG_SPLIT: 0
	.section	.text._ZN7rocprim17ROCPRIM_400000_NS6detail17trampoline_kernelINS0_14default_configENS1_22reduce_config_selectorIN6thrust23THRUST_200600_302600_NS5tupleIblNS6_9null_typeES8_S8_S8_S8_S8_S8_S8_EEEEZNS1_11reduce_implILb1ES3_NS6_12zip_iteratorINS7_INS6_11hip_rocprim26transform_input_iterator_tIbNSD_35transform_pair_of_input_iterators_tIbNS6_6detail15normal_iteratorINS6_10device_ptrIKiEEEESL_NS6_8equal_toIiEEEENSG_9not_fun_tINSD_8identityEEEEENSD_19counting_iterator_tIlEES8_S8_S8_S8_S8_S8_S8_S8_EEEEPS9_S9_NSD_9__find_if7functorIS9_EEEE10hipError_tPvRmT1_T2_T3_mT4_P12ihipStream_tbEUlT_E1_NS1_11comp_targetILNS1_3genE4ELNS1_11target_archE910ELNS1_3gpuE8ELNS1_3repE0EEENS1_30default_config_static_selectorELNS0_4arch9wavefront6targetE1EEEvS14_,"axG",@progbits,_ZN7rocprim17ROCPRIM_400000_NS6detail17trampoline_kernelINS0_14default_configENS1_22reduce_config_selectorIN6thrust23THRUST_200600_302600_NS5tupleIblNS6_9null_typeES8_S8_S8_S8_S8_S8_S8_EEEEZNS1_11reduce_implILb1ES3_NS6_12zip_iteratorINS7_INS6_11hip_rocprim26transform_input_iterator_tIbNSD_35transform_pair_of_input_iterators_tIbNS6_6detail15normal_iteratorINS6_10device_ptrIKiEEEESL_NS6_8equal_toIiEEEENSG_9not_fun_tINSD_8identityEEEEENSD_19counting_iterator_tIlEES8_S8_S8_S8_S8_S8_S8_S8_EEEEPS9_S9_NSD_9__find_if7functorIS9_EEEE10hipError_tPvRmT1_T2_T3_mT4_P12ihipStream_tbEUlT_E1_NS1_11comp_targetILNS1_3genE4ELNS1_11target_archE910ELNS1_3gpuE8ELNS1_3repE0EEENS1_30default_config_static_selectorELNS0_4arch9wavefront6targetE1EEEvS14_,comdat
	.protected	_ZN7rocprim17ROCPRIM_400000_NS6detail17trampoline_kernelINS0_14default_configENS1_22reduce_config_selectorIN6thrust23THRUST_200600_302600_NS5tupleIblNS6_9null_typeES8_S8_S8_S8_S8_S8_S8_EEEEZNS1_11reduce_implILb1ES3_NS6_12zip_iteratorINS7_INS6_11hip_rocprim26transform_input_iterator_tIbNSD_35transform_pair_of_input_iterators_tIbNS6_6detail15normal_iteratorINS6_10device_ptrIKiEEEESL_NS6_8equal_toIiEEEENSG_9not_fun_tINSD_8identityEEEEENSD_19counting_iterator_tIlEES8_S8_S8_S8_S8_S8_S8_S8_EEEEPS9_S9_NSD_9__find_if7functorIS9_EEEE10hipError_tPvRmT1_T2_T3_mT4_P12ihipStream_tbEUlT_E1_NS1_11comp_targetILNS1_3genE4ELNS1_11target_archE910ELNS1_3gpuE8ELNS1_3repE0EEENS1_30default_config_static_selectorELNS0_4arch9wavefront6targetE1EEEvS14_ ; -- Begin function _ZN7rocprim17ROCPRIM_400000_NS6detail17trampoline_kernelINS0_14default_configENS1_22reduce_config_selectorIN6thrust23THRUST_200600_302600_NS5tupleIblNS6_9null_typeES8_S8_S8_S8_S8_S8_S8_EEEEZNS1_11reduce_implILb1ES3_NS6_12zip_iteratorINS7_INS6_11hip_rocprim26transform_input_iterator_tIbNSD_35transform_pair_of_input_iterators_tIbNS6_6detail15normal_iteratorINS6_10device_ptrIKiEEEESL_NS6_8equal_toIiEEEENSG_9not_fun_tINSD_8identityEEEEENSD_19counting_iterator_tIlEES8_S8_S8_S8_S8_S8_S8_S8_EEEEPS9_S9_NSD_9__find_if7functorIS9_EEEE10hipError_tPvRmT1_T2_T3_mT4_P12ihipStream_tbEUlT_E1_NS1_11comp_targetILNS1_3genE4ELNS1_11target_archE910ELNS1_3gpuE8ELNS1_3repE0EEENS1_30default_config_static_selectorELNS0_4arch9wavefront6targetE1EEEvS14_
	.globl	_ZN7rocprim17ROCPRIM_400000_NS6detail17trampoline_kernelINS0_14default_configENS1_22reduce_config_selectorIN6thrust23THRUST_200600_302600_NS5tupleIblNS6_9null_typeES8_S8_S8_S8_S8_S8_S8_EEEEZNS1_11reduce_implILb1ES3_NS6_12zip_iteratorINS7_INS6_11hip_rocprim26transform_input_iterator_tIbNSD_35transform_pair_of_input_iterators_tIbNS6_6detail15normal_iteratorINS6_10device_ptrIKiEEEESL_NS6_8equal_toIiEEEENSG_9not_fun_tINSD_8identityEEEEENSD_19counting_iterator_tIlEES8_S8_S8_S8_S8_S8_S8_S8_EEEEPS9_S9_NSD_9__find_if7functorIS9_EEEE10hipError_tPvRmT1_T2_T3_mT4_P12ihipStream_tbEUlT_E1_NS1_11comp_targetILNS1_3genE4ELNS1_11target_archE910ELNS1_3gpuE8ELNS1_3repE0EEENS1_30default_config_static_selectorELNS0_4arch9wavefront6targetE1EEEvS14_
	.p2align	8
	.type	_ZN7rocprim17ROCPRIM_400000_NS6detail17trampoline_kernelINS0_14default_configENS1_22reduce_config_selectorIN6thrust23THRUST_200600_302600_NS5tupleIblNS6_9null_typeES8_S8_S8_S8_S8_S8_S8_EEEEZNS1_11reduce_implILb1ES3_NS6_12zip_iteratorINS7_INS6_11hip_rocprim26transform_input_iterator_tIbNSD_35transform_pair_of_input_iterators_tIbNS6_6detail15normal_iteratorINS6_10device_ptrIKiEEEESL_NS6_8equal_toIiEEEENSG_9not_fun_tINSD_8identityEEEEENSD_19counting_iterator_tIlEES8_S8_S8_S8_S8_S8_S8_S8_EEEEPS9_S9_NSD_9__find_if7functorIS9_EEEE10hipError_tPvRmT1_T2_T3_mT4_P12ihipStream_tbEUlT_E1_NS1_11comp_targetILNS1_3genE4ELNS1_11target_archE910ELNS1_3gpuE8ELNS1_3repE0EEENS1_30default_config_static_selectorELNS0_4arch9wavefront6targetE1EEEvS14_,@function
_ZN7rocprim17ROCPRIM_400000_NS6detail17trampoline_kernelINS0_14default_configENS1_22reduce_config_selectorIN6thrust23THRUST_200600_302600_NS5tupleIblNS6_9null_typeES8_S8_S8_S8_S8_S8_S8_EEEEZNS1_11reduce_implILb1ES3_NS6_12zip_iteratorINS7_INS6_11hip_rocprim26transform_input_iterator_tIbNSD_35transform_pair_of_input_iterators_tIbNS6_6detail15normal_iteratorINS6_10device_ptrIKiEEEESL_NS6_8equal_toIiEEEENSG_9not_fun_tINSD_8identityEEEEENSD_19counting_iterator_tIlEES8_S8_S8_S8_S8_S8_S8_S8_EEEEPS9_S9_NSD_9__find_if7functorIS9_EEEE10hipError_tPvRmT1_T2_T3_mT4_P12ihipStream_tbEUlT_E1_NS1_11comp_targetILNS1_3genE4ELNS1_11target_archE910ELNS1_3gpuE8ELNS1_3repE0EEENS1_30default_config_static_selectorELNS0_4arch9wavefront6targetE1EEEvS14_: ; @_ZN7rocprim17ROCPRIM_400000_NS6detail17trampoline_kernelINS0_14default_configENS1_22reduce_config_selectorIN6thrust23THRUST_200600_302600_NS5tupleIblNS6_9null_typeES8_S8_S8_S8_S8_S8_S8_EEEEZNS1_11reduce_implILb1ES3_NS6_12zip_iteratorINS7_INS6_11hip_rocprim26transform_input_iterator_tIbNSD_35transform_pair_of_input_iterators_tIbNS6_6detail15normal_iteratorINS6_10device_ptrIKiEEEESL_NS6_8equal_toIiEEEENSG_9not_fun_tINSD_8identityEEEEENSD_19counting_iterator_tIlEES8_S8_S8_S8_S8_S8_S8_S8_EEEEPS9_S9_NSD_9__find_if7functorIS9_EEEE10hipError_tPvRmT1_T2_T3_mT4_P12ihipStream_tbEUlT_E1_NS1_11comp_targetILNS1_3genE4ELNS1_11target_archE910ELNS1_3gpuE8ELNS1_3repE0EEENS1_30default_config_static_selectorELNS0_4arch9wavefront6targetE1EEEvS14_
; %bb.0:
	.section	.rodata,"a",@progbits
	.p2align	6, 0x0
	.amdhsa_kernel _ZN7rocprim17ROCPRIM_400000_NS6detail17trampoline_kernelINS0_14default_configENS1_22reduce_config_selectorIN6thrust23THRUST_200600_302600_NS5tupleIblNS6_9null_typeES8_S8_S8_S8_S8_S8_S8_EEEEZNS1_11reduce_implILb1ES3_NS6_12zip_iteratorINS7_INS6_11hip_rocprim26transform_input_iterator_tIbNSD_35transform_pair_of_input_iterators_tIbNS6_6detail15normal_iteratorINS6_10device_ptrIKiEEEESL_NS6_8equal_toIiEEEENSG_9not_fun_tINSD_8identityEEEEENSD_19counting_iterator_tIlEES8_S8_S8_S8_S8_S8_S8_S8_EEEEPS9_S9_NSD_9__find_if7functorIS9_EEEE10hipError_tPvRmT1_T2_T3_mT4_P12ihipStream_tbEUlT_E1_NS1_11comp_targetILNS1_3genE4ELNS1_11target_archE910ELNS1_3gpuE8ELNS1_3repE0EEENS1_30default_config_static_selectorELNS0_4arch9wavefront6targetE1EEEvS14_
		.amdhsa_group_segment_fixed_size 0
		.amdhsa_private_segment_fixed_size 0
		.amdhsa_kernarg_size 88
		.amdhsa_user_sgpr_count 2
		.amdhsa_user_sgpr_dispatch_ptr 0
		.amdhsa_user_sgpr_queue_ptr 0
		.amdhsa_user_sgpr_kernarg_segment_ptr 1
		.amdhsa_user_sgpr_dispatch_id 0
		.amdhsa_user_sgpr_kernarg_preload_length 0
		.amdhsa_user_sgpr_kernarg_preload_offset 0
		.amdhsa_user_sgpr_private_segment_size 0
		.amdhsa_uses_dynamic_stack 0
		.amdhsa_enable_private_segment 0
		.amdhsa_system_sgpr_workgroup_id_x 1
		.amdhsa_system_sgpr_workgroup_id_y 0
		.amdhsa_system_sgpr_workgroup_id_z 0
		.amdhsa_system_sgpr_workgroup_info 0
		.amdhsa_system_vgpr_workitem_id 0
		.amdhsa_next_free_vgpr 1
		.amdhsa_next_free_sgpr 0
		.amdhsa_accum_offset 4
		.amdhsa_reserve_vcc 0
		.amdhsa_float_round_mode_32 0
		.amdhsa_float_round_mode_16_64 0
		.amdhsa_float_denorm_mode_32 3
		.amdhsa_float_denorm_mode_16_64 3
		.amdhsa_dx10_clamp 1
		.amdhsa_ieee_mode 1
		.amdhsa_fp16_overflow 0
		.amdhsa_tg_split 0
		.amdhsa_exception_fp_ieee_invalid_op 0
		.amdhsa_exception_fp_denorm_src 0
		.amdhsa_exception_fp_ieee_div_zero 0
		.amdhsa_exception_fp_ieee_overflow 0
		.amdhsa_exception_fp_ieee_underflow 0
		.amdhsa_exception_fp_ieee_inexact 0
		.amdhsa_exception_int_div_zero 0
	.end_amdhsa_kernel
	.section	.text._ZN7rocprim17ROCPRIM_400000_NS6detail17trampoline_kernelINS0_14default_configENS1_22reduce_config_selectorIN6thrust23THRUST_200600_302600_NS5tupleIblNS6_9null_typeES8_S8_S8_S8_S8_S8_S8_EEEEZNS1_11reduce_implILb1ES3_NS6_12zip_iteratorINS7_INS6_11hip_rocprim26transform_input_iterator_tIbNSD_35transform_pair_of_input_iterators_tIbNS6_6detail15normal_iteratorINS6_10device_ptrIKiEEEESL_NS6_8equal_toIiEEEENSG_9not_fun_tINSD_8identityEEEEENSD_19counting_iterator_tIlEES8_S8_S8_S8_S8_S8_S8_S8_EEEEPS9_S9_NSD_9__find_if7functorIS9_EEEE10hipError_tPvRmT1_T2_T3_mT4_P12ihipStream_tbEUlT_E1_NS1_11comp_targetILNS1_3genE4ELNS1_11target_archE910ELNS1_3gpuE8ELNS1_3repE0EEENS1_30default_config_static_selectorELNS0_4arch9wavefront6targetE1EEEvS14_,"axG",@progbits,_ZN7rocprim17ROCPRIM_400000_NS6detail17trampoline_kernelINS0_14default_configENS1_22reduce_config_selectorIN6thrust23THRUST_200600_302600_NS5tupleIblNS6_9null_typeES8_S8_S8_S8_S8_S8_S8_EEEEZNS1_11reduce_implILb1ES3_NS6_12zip_iteratorINS7_INS6_11hip_rocprim26transform_input_iterator_tIbNSD_35transform_pair_of_input_iterators_tIbNS6_6detail15normal_iteratorINS6_10device_ptrIKiEEEESL_NS6_8equal_toIiEEEENSG_9not_fun_tINSD_8identityEEEEENSD_19counting_iterator_tIlEES8_S8_S8_S8_S8_S8_S8_S8_EEEEPS9_S9_NSD_9__find_if7functorIS9_EEEE10hipError_tPvRmT1_T2_T3_mT4_P12ihipStream_tbEUlT_E1_NS1_11comp_targetILNS1_3genE4ELNS1_11target_archE910ELNS1_3gpuE8ELNS1_3repE0EEENS1_30default_config_static_selectorELNS0_4arch9wavefront6targetE1EEEvS14_,comdat
.Lfunc_end1484:
	.size	_ZN7rocprim17ROCPRIM_400000_NS6detail17trampoline_kernelINS0_14default_configENS1_22reduce_config_selectorIN6thrust23THRUST_200600_302600_NS5tupleIblNS6_9null_typeES8_S8_S8_S8_S8_S8_S8_EEEEZNS1_11reduce_implILb1ES3_NS6_12zip_iteratorINS7_INS6_11hip_rocprim26transform_input_iterator_tIbNSD_35transform_pair_of_input_iterators_tIbNS6_6detail15normal_iteratorINS6_10device_ptrIKiEEEESL_NS6_8equal_toIiEEEENSG_9not_fun_tINSD_8identityEEEEENSD_19counting_iterator_tIlEES8_S8_S8_S8_S8_S8_S8_S8_EEEEPS9_S9_NSD_9__find_if7functorIS9_EEEE10hipError_tPvRmT1_T2_T3_mT4_P12ihipStream_tbEUlT_E1_NS1_11comp_targetILNS1_3genE4ELNS1_11target_archE910ELNS1_3gpuE8ELNS1_3repE0EEENS1_30default_config_static_selectorELNS0_4arch9wavefront6targetE1EEEvS14_, .Lfunc_end1484-_ZN7rocprim17ROCPRIM_400000_NS6detail17trampoline_kernelINS0_14default_configENS1_22reduce_config_selectorIN6thrust23THRUST_200600_302600_NS5tupleIblNS6_9null_typeES8_S8_S8_S8_S8_S8_S8_EEEEZNS1_11reduce_implILb1ES3_NS6_12zip_iteratorINS7_INS6_11hip_rocprim26transform_input_iterator_tIbNSD_35transform_pair_of_input_iterators_tIbNS6_6detail15normal_iteratorINS6_10device_ptrIKiEEEESL_NS6_8equal_toIiEEEENSG_9not_fun_tINSD_8identityEEEEENSD_19counting_iterator_tIlEES8_S8_S8_S8_S8_S8_S8_S8_EEEEPS9_S9_NSD_9__find_if7functorIS9_EEEE10hipError_tPvRmT1_T2_T3_mT4_P12ihipStream_tbEUlT_E1_NS1_11comp_targetILNS1_3genE4ELNS1_11target_archE910ELNS1_3gpuE8ELNS1_3repE0EEENS1_30default_config_static_selectorELNS0_4arch9wavefront6targetE1EEEvS14_
                                        ; -- End function
	.set _ZN7rocprim17ROCPRIM_400000_NS6detail17trampoline_kernelINS0_14default_configENS1_22reduce_config_selectorIN6thrust23THRUST_200600_302600_NS5tupleIblNS6_9null_typeES8_S8_S8_S8_S8_S8_S8_EEEEZNS1_11reduce_implILb1ES3_NS6_12zip_iteratorINS7_INS6_11hip_rocprim26transform_input_iterator_tIbNSD_35transform_pair_of_input_iterators_tIbNS6_6detail15normal_iteratorINS6_10device_ptrIKiEEEESL_NS6_8equal_toIiEEEENSG_9not_fun_tINSD_8identityEEEEENSD_19counting_iterator_tIlEES8_S8_S8_S8_S8_S8_S8_S8_EEEEPS9_S9_NSD_9__find_if7functorIS9_EEEE10hipError_tPvRmT1_T2_T3_mT4_P12ihipStream_tbEUlT_E1_NS1_11comp_targetILNS1_3genE4ELNS1_11target_archE910ELNS1_3gpuE8ELNS1_3repE0EEENS1_30default_config_static_selectorELNS0_4arch9wavefront6targetE1EEEvS14_.num_vgpr, 0
	.set _ZN7rocprim17ROCPRIM_400000_NS6detail17trampoline_kernelINS0_14default_configENS1_22reduce_config_selectorIN6thrust23THRUST_200600_302600_NS5tupleIblNS6_9null_typeES8_S8_S8_S8_S8_S8_S8_EEEEZNS1_11reduce_implILb1ES3_NS6_12zip_iteratorINS7_INS6_11hip_rocprim26transform_input_iterator_tIbNSD_35transform_pair_of_input_iterators_tIbNS6_6detail15normal_iteratorINS6_10device_ptrIKiEEEESL_NS6_8equal_toIiEEEENSG_9not_fun_tINSD_8identityEEEEENSD_19counting_iterator_tIlEES8_S8_S8_S8_S8_S8_S8_S8_EEEEPS9_S9_NSD_9__find_if7functorIS9_EEEE10hipError_tPvRmT1_T2_T3_mT4_P12ihipStream_tbEUlT_E1_NS1_11comp_targetILNS1_3genE4ELNS1_11target_archE910ELNS1_3gpuE8ELNS1_3repE0EEENS1_30default_config_static_selectorELNS0_4arch9wavefront6targetE1EEEvS14_.num_agpr, 0
	.set _ZN7rocprim17ROCPRIM_400000_NS6detail17trampoline_kernelINS0_14default_configENS1_22reduce_config_selectorIN6thrust23THRUST_200600_302600_NS5tupleIblNS6_9null_typeES8_S8_S8_S8_S8_S8_S8_EEEEZNS1_11reduce_implILb1ES3_NS6_12zip_iteratorINS7_INS6_11hip_rocprim26transform_input_iterator_tIbNSD_35transform_pair_of_input_iterators_tIbNS6_6detail15normal_iteratorINS6_10device_ptrIKiEEEESL_NS6_8equal_toIiEEEENSG_9not_fun_tINSD_8identityEEEEENSD_19counting_iterator_tIlEES8_S8_S8_S8_S8_S8_S8_S8_EEEEPS9_S9_NSD_9__find_if7functorIS9_EEEE10hipError_tPvRmT1_T2_T3_mT4_P12ihipStream_tbEUlT_E1_NS1_11comp_targetILNS1_3genE4ELNS1_11target_archE910ELNS1_3gpuE8ELNS1_3repE0EEENS1_30default_config_static_selectorELNS0_4arch9wavefront6targetE1EEEvS14_.numbered_sgpr, 0
	.set _ZN7rocprim17ROCPRIM_400000_NS6detail17trampoline_kernelINS0_14default_configENS1_22reduce_config_selectorIN6thrust23THRUST_200600_302600_NS5tupleIblNS6_9null_typeES8_S8_S8_S8_S8_S8_S8_EEEEZNS1_11reduce_implILb1ES3_NS6_12zip_iteratorINS7_INS6_11hip_rocprim26transform_input_iterator_tIbNSD_35transform_pair_of_input_iterators_tIbNS6_6detail15normal_iteratorINS6_10device_ptrIKiEEEESL_NS6_8equal_toIiEEEENSG_9not_fun_tINSD_8identityEEEEENSD_19counting_iterator_tIlEES8_S8_S8_S8_S8_S8_S8_S8_EEEEPS9_S9_NSD_9__find_if7functorIS9_EEEE10hipError_tPvRmT1_T2_T3_mT4_P12ihipStream_tbEUlT_E1_NS1_11comp_targetILNS1_3genE4ELNS1_11target_archE910ELNS1_3gpuE8ELNS1_3repE0EEENS1_30default_config_static_selectorELNS0_4arch9wavefront6targetE1EEEvS14_.num_named_barrier, 0
	.set _ZN7rocprim17ROCPRIM_400000_NS6detail17trampoline_kernelINS0_14default_configENS1_22reduce_config_selectorIN6thrust23THRUST_200600_302600_NS5tupleIblNS6_9null_typeES8_S8_S8_S8_S8_S8_S8_EEEEZNS1_11reduce_implILb1ES3_NS6_12zip_iteratorINS7_INS6_11hip_rocprim26transform_input_iterator_tIbNSD_35transform_pair_of_input_iterators_tIbNS6_6detail15normal_iteratorINS6_10device_ptrIKiEEEESL_NS6_8equal_toIiEEEENSG_9not_fun_tINSD_8identityEEEEENSD_19counting_iterator_tIlEES8_S8_S8_S8_S8_S8_S8_S8_EEEEPS9_S9_NSD_9__find_if7functorIS9_EEEE10hipError_tPvRmT1_T2_T3_mT4_P12ihipStream_tbEUlT_E1_NS1_11comp_targetILNS1_3genE4ELNS1_11target_archE910ELNS1_3gpuE8ELNS1_3repE0EEENS1_30default_config_static_selectorELNS0_4arch9wavefront6targetE1EEEvS14_.private_seg_size, 0
	.set _ZN7rocprim17ROCPRIM_400000_NS6detail17trampoline_kernelINS0_14default_configENS1_22reduce_config_selectorIN6thrust23THRUST_200600_302600_NS5tupleIblNS6_9null_typeES8_S8_S8_S8_S8_S8_S8_EEEEZNS1_11reduce_implILb1ES3_NS6_12zip_iteratorINS7_INS6_11hip_rocprim26transform_input_iterator_tIbNSD_35transform_pair_of_input_iterators_tIbNS6_6detail15normal_iteratorINS6_10device_ptrIKiEEEESL_NS6_8equal_toIiEEEENSG_9not_fun_tINSD_8identityEEEEENSD_19counting_iterator_tIlEES8_S8_S8_S8_S8_S8_S8_S8_EEEEPS9_S9_NSD_9__find_if7functorIS9_EEEE10hipError_tPvRmT1_T2_T3_mT4_P12ihipStream_tbEUlT_E1_NS1_11comp_targetILNS1_3genE4ELNS1_11target_archE910ELNS1_3gpuE8ELNS1_3repE0EEENS1_30default_config_static_selectorELNS0_4arch9wavefront6targetE1EEEvS14_.uses_vcc, 0
	.set _ZN7rocprim17ROCPRIM_400000_NS6detail17trampoline_kernelINS0_14default_configENS1_22reduce_config_selectorIN6thrust23THRUST_200600_302600_NS5tupleIblNS6_9null_typeES8_S8_S8_S8_S8_S8_S8_EEEEZNS1_11reduce_implILb1ES3_NS6_12zip_iteratorINS7_INS6_11hip_rocprim26transform_input_iterator_tIbNSD_35transform_pair_of_input_iterators_tIbNS6_6detail15normal_iteratorINS6_10device_ptrIKiEEEESL_NS6_8equal_toIiEEEENSG_9not_fun_tINSD_8identityEEEEENSD_19counting_iterator_tIlEES8_S8_S8_S8_S8_S8_S8_S8_EEEEPS9_S9_NSD_9__find_if7functorIS9_EEEE10hipError_tPvRmT1_T2_T3_mT4_P12ihipStream_tbEUlT_E1_NS1_11comp_targetILNS1_3genE4ELNS1_11target_archE910ELNS1_3gpuE8ELNS1_3repE0EEENS1_30default_config_static_selectorELNS0_4arch9wavefront6targetE1EEEvS14_.uses_flat_scratch, 0
	.set _ZN7rocprim17ROCPRIM_400000_NS6detail17trampoline_kernelINS0_14default_configENS1_22reduce_config_selectorIN6thrust23THRUST_200600_302600_NS5tupleIblNS6_9null_typeES8_S8_S8_S8_S8_S8_S8_EEEEZNS1_11reduce_implILb1ES3_NS6_12zip_iteratorINS7_INS6_11hip_rocprim26transform_input_iterator_tIbNSD_35transform_pair_of_input_iterators_tIbNS6_6detail15normal_iteratorINS6_10device_ptrIKiEEEESL_NS6_8equal_toIiEEEENSG_9not_fun_tINSD_8identityEEEEENSD_19counting_iterator_tIlEES8_S8_S8_S8_S8_S8_S8_S8_EEEEPS9_S9_NSD_9__find_if7functorIS9_EEEE10hipError_tPvRmT1_T2_T3_mT4_P12ihipStream_tbEUlT_E1_NS1_11comp_targetILNS1_3genE4ELNS1_11target_archE910ELNS1_3gpuE8ELNS1_3repE0EEENS1_30default_config_static_selectorELNS0_4arch9wavefront6targetE1EEEvS14_.has_dyn_sized_stack, 0
	.set _ZN7rocprim17ROCPRIM_400000_NS6detail17trampoline_kernelINS0_14default_configENS1_22reduce_config_selectorIN6thrust23THRUST_200600_302600_NS5tupleIblNS6_9null_typeES8_S8_S8_S8_S8_S8_S8_EEEEZNS1_11reduce_implILb1ES3_NS6_12zip_iteratorINS7_INS6_11hip_rocprim26transform_input_iterator_tIbNSD_35transform_pair_of_input_iterators_tIbNS6_6detail15normal_iteratorINS6_10device_ptrIKiEEEESL_NS6_8equal_toIiEEEENSG_9not_fun_tINSD_8identityEEEEENSD_19counting_iterator_tIlEES8_S8_S8_S8_S8_S8_S8_S8_EEEEPS9_S9_NSD_9__find_if7functorIS9_EEEE10hipError_tPvRmT1_T2_T3_mT4_P12ihipStream_tbEUlT_E1_NS1_11comp_targetILNS1_3genE4ELNS1_11target_archE910ELNS1_3gpuE8ELNS1_3repE0EEENS1_30default_config_static_selectorELNS0_4arch9wavefront6targetE1EEEvS14_.has_recursion, 0
	.set _ZN7rocprim17ROCPRIM_400000_NS6detail17trampoline_kernelINS0_14default_configENS1_22reduce_config_selectorIN6thrust23THRUST_200600_302600_NS5tupleIblNS6_9null_typeES8_S8_S8_S8_S8_S8_S8_EEEEZNS1_11reduce_implILb1ES3_NS6_12zip_iteratorINS7_INS6_11hip_rocprim26transform_input_iterator_tIbNSD_35transform_pair_of_input_iterators_tIbNS6_6detail15normal_iteratorINS6_10device_ptrIKiEEEESL_NS6_8equal_toIiEEEENSG_9not_fun_tINSD_8identityEEEEENSD_19counting_iterator_tIlEES8_S8_S8_S8_S8_S8_S8_S8_EEEEPS9_S9_NSD_9__find_if7functorIS9_EEEE10hipError_tPvRmT1_T2_T3_mT4_P12ihipStream_tbEUlT_E1_NS1_11comp_targetILNS1_3genE4ELNS1_11target_archE910ELNS1_3gpuE8ELNS1_3repE0EEENS1_30default_config_static_selectorELNS0_4arch9wavefront6targetE1EEEvS14_.has_indirect_call, 0
	.section	.AMDGPU.csdata,"",@progbits
; Kernel info:
; codeLenInByte = 0
; TotalNumSgprs: 6
; NumVgprs: 0
; NumAgprs: 0
; TotalNumVgprs: 0
; ScratchSize: 0
; MemoryBound: 0
; FloatMode: 240
; IeeeMode: 1
; LDSByteSize: 0 bytes/workgroup (compile time only)
; SGPRBlocks: 0
; VGPRBlocks: 0
; NumSGPRsForWavesPerEU: 6
; NumVGPRsForWavesPerEU: 1
; AccumOffset: 4
; Occupancy: 8
; WaveLimiterHint : 0
; COMPUTE_PGM_RSRC2:SCRATCH_EN: 0
; COMPUTE_PGM_RSRC2:USER_SGPR: 2
; COMPUTE_PGM_RSRC2:TRAP_HANDLER: 0
; COMPUTE_PGM_RSRC2:TGID_X_EN: 1
; COMPUTE_PGM_RSRC2:TGID_Y_EN: 0
; COMPUTE_PGM_RSRC2:TGID_Z_EN: 0
; COMPUTE_PGM_RSRC2:TIDIG_COMP_CNT: 0
; COMPUTE_PGM_RSRC3_GFX90A:ACCUM_OFFSET: 0
; COMPUTE_PGM_RSRC3_GFX90A:TG_SPLIT: 0
	.section	.text._ZN7rocprim17ROCPRIM_400000_NS6detail17trampoline_kernelINS0_14default_configENS1_22reduce_config_selectorIN6thrust23THRUST_200600_302600_NS5tupleIblNS6_9null_typeES8_S8_S8_S8_S8_S8_S8_EEEEZNS1_11reduce_implILb1ES3_NS6_12zip_iteratorINS7_INS6_11hip_rocprim26transform_input_iterator_tIbNSD_35transform_pair_of_input_iterators_tIbNS6_6detail15normal_iteratorINS6_10device_ptrIKiEEEESL_NS6_8equal_toIiEEEENSG_9not_fun_tINSD_8identityEEEEENSD_19counting_iterator_tIlEES8_S8_S8_S8_S8_S8_S8_S8_EEEEPS9_S9_NSD_9__find_if7functorIS9_EEEE10hipError_tPvRmT1_T2_T3_mT4_P12ihipStream_tbEUlT_E1_NS1_11comp_targetILNS1_3genE3ELNS1_11target_archE908ELNS1_3gpuE7ELNS1_3repE0EEENS1_30default_config_static_selectorELNS0_4arch9wavefront6targetE1EEEvS14_,"axG",@progbits,_ZN7rocprim17ROCPRIM_400000_NS6detail17trampoline_kernelINS0_14default_configENS1_22reduce_config_selectorIN6thrust23THRUST_200600_302600_NS5tupleIblNS6_9null_typeES8_S8_S8_S8_S8_S8_S8_EEEEZNS1_11reduce_implILb1ES3_NS6_12zip_iteratorINS7_INS6_11hip_rocprim26transform_input_iterator_tIbNSD_35transform_pair_of_input_iterators_tIbNS6_6detail15normal_iteratorINS6_10device_ptrIKiEEEESL_NS6_8equal_toIiEEEENSG_9not_fun_tINSD_8identityEEEEENSD_19counting_iterator_tIlEES8_S8_S8_S8_S8_S8_S8_S8_EEEEPS9_S9_NSD_9__find_if7functorIS9_EEEE10hipError_tPvRmT1_T2_T3_mT4_P12ihipStream_tbEUlT_E1_NS1_11comp_targetILNS1_3genE3ELNS1_11target_archE908ELNS1_3gpuE7ELNS1_3repE0EEENS1_30default_config_static_selectorELNS0_4arch9wavefront6targetE1EEEvS14_,comdat
	.protected	_ZN7rocprim17ROCPRIM_400000_NS6detail17trampoline_kernelINS0_14default_configENS1_22reduce_config_selectorIN6thrust23THRUST_200600_302600_NS5tupleIblNS6_9null_typeES8_S8_S8_S8_S8_S8_S8_EEEEZNS1_11reduce_implILb1ES3_NS6_12zip_iteratorINS7_INS6_11hip_rocprim26transform_input_iterator_tIbNSD_35transform_pair_of_input_iterators_tIbNS6_6detail15normal_iteratorINS6_10device_ptrIKiEEEESL_NS6_8equal_toIiEEEENSG_9not_fun_tINSD_8identityEEEEENSD_19counting_iterator_tIlEES8_S8_S8_S8_S8_S8_S8_S8_EEEEPS9_S9_NSD_9__find_if7functorIS9_EEEE10hipError_tPvRmT1_T2_T3_mT4_P12ihipStream_tbEUlT_E1_NS1_11comp_targetILNS1_3genE3ELNS1_11target_archE908ELNS1_3gpuE7ELNS1_3repE0EEENS1_30default_config_static_selectorELNS0_4arch9wavefront6targetE1EEEvS14_ ; -- Begin function _ZN7rocprim17ROCPRIM_400000_NS6detail17trampoline_kernelINS0_14default_configENS1_22reduce_config_selectorIN6thrust23THRUST_200600_302600_NS5tupleIblNS6_9null_typeES8_S8_S8_S8_S8_S8_S8_EEEEZNS1_11reduce_implILb1ES3_NS6_12zip_iteratorINS7_INS6_11hip_rocprim26transform_input_iterator_tIbNSD_35transform_pair_of_input_iterators_tIbNS6_6detail15normal_iteratorINS6_10device_ptrIKiEEEESL_NS6_8equal_toIiEEEENSG_9not_fun_tINSD_8identityEEEEENSD_19counting_iterator_tIlEES8_S8_S8_S8_S8_S8_S8_S8_EEEEPS9_S9_NSD_9__find_if7functorIS9_EEEE10hipError_tPvRmT1_T2_T3_mT4_P12ihipStream_tbEUlT_E1_NS1_11comp_targetILNS1_3genE3ELNS1_11target_archE908ELNS1_3gpuE7ELNS1_3repE0EEENS1_30default_config_static_selectorELNS0_4arch9wavefront6targetE1EEEvS14_
	.globl	_ZN7rocprim17ROCPRIM_400000_NS6detail17trampoline_kernelINS0_14default_configENS1_22reduce_config_selectorIN6thrust23THRUST_200600_302600_NS5tupleIblNS6_9null_typeES8_S8_S8_S8_S8_S8_S8_EEEEZNS1_11reduce_implILb1ES3_NS6_12zip_iteratorINS7_INS6_11hip_rocprim26transform_input_iterator_tIbNSD_35transform_pair_of_input_iterators_tIbNS6_6detail15normal_iteratorINS6_10device_ptrIKiEEEESL_NS6_8equal_toIiEEEENSG_9not_fun_tINSD_8identityEEEEENSD_19counting_iterator_tIlEES8_S8_S8_S8_S8_S8_S8_S8_EEEEPS9_S9_NSD_9__find_if7functorIS9_EEEE10hipError_tPvRmT1_T2_T3_mT4_P12ihipStream_tbEUlT_E1_NS1_11comp_targetILNS1_3genE3ELNS1_11target_archE908ELNS1_3gpuE7ELNS1_3repE0EEENS1_30default_config_static_selectorELNS0_4arch9wavefront6targetE1EEEvS14_
	.p2align	8
	.type	_ZN7rocprim17ROCPRIM_400000_NS6detail17trampoline_kernelINS0_14default_configENS1_22reduce_config_selectorIN6thrust23THRUST_200600_302600_NS5tupleIblNS6_9null_typeES8_S8_S8_S8_S8_S8_S8_EEEEZNS1_11reduce_implILb1ES3_NS6_12zip_iteratorINS7_INS6_11hip_rocprim26transform_input_iterator_tIbNSD_35transform_pair_of_input_iterators_tIbNS6_6detail15normal_iteratorINS6_10device_ptrIKiEEEESL_NS6_8equal_toIiEEEENSG_9not_fun_tINSD_8identityEEEEENSD_19counting_iterator_tIlEES8_S8_S8_S8_S8_S8_S8_S8_EEEEPS9_S9_NSD_9__find_if7functorIS9_EEEE10hipError_tPvRmT1_T2_T3_mT4_P12ihipStream_tbEUlT_E1_NS1_11comp_targetILNS1_3genE3ELNS1_11target_archE908ELNS1_3gpuE7ELNS1_3repE0EEENS1_30default_config_static_selectorELNS0_4arch9wavefront6targetE1EEEvS14_,@function
_ZN7rocprim17ROCPRIM_400000_NS6detail17trampoline_kernelINS0_14default_configENS1_22reduce_config_selectorIN6thrust23THRUST_200600_302600_NS5tupleIblNS6_9null_typeES8_S8_S8_S8_S8_S8_S8_EEEEZNS1_11reduce_implILb1ES3_NS6_12zip_iteratorINS7_INS6_11hip_rocprim26transform_input_iterator_tIbNSD_35transform_pair_of_input_iterators_tIbNS6_6detail15normal_iteratorINS6_10device_ptrIKiEEEESL_NS6_8equal_toIiEEEENSG_9not_fun_tINSD_8identityEEEEENSD_19counting_iterator_tIlEES8_S8_S8_S8_S8_S8_S8_S8_EEEEPS9_S9_NSD_9__find_if7functorIS9_EEEE10hipError_tPvRmT1_T2_T3_mT4_P12ihipStream_tbEUlT_E1_NS1_11comp_targetILNS1_3genE3ELNS1_11target_archE908ELNS1_3gpuE7ELNS1_3repE0EEENS1_30default_config_static_selectorELNS0_4arch9wavefront6targetE1EEEvS14_: ; @_ZN7rocprim17ROCPRIM_400000_NS6detail17trampoline_kernelINS0_14default_configENS1_22reduce_config_selectorIN6thrust23THRUST_200600_302600_NS5tupleIblNS6_9null_typeES8_S8_S8_S8_S8_S8_S8_EEEEZNS1_11reduce_implILb1ES3_NS6_12zip_iteratorINS7_INS6_11hip_rocprim26transform_input_iterator_tIbNSD_35transform_pair_of_input_iterators_tIbNS6_6detail15normal_iteratorINS6_10device_ptrIKiEEEESL_NS6_8equal_toIiEEEENSG_9not_fun_tINSD_8identityEEEEENSD_19counting_iterator_tIlEES8_S8_S8_S8_S8_S8_S8_S8_EEEEPS9_S9_NSD_9__find_if7functorIS9_EEEE10hipError_tPvRmT1_T2_T3_mT4_P12ihipStream_tbEUlT_E1_NS1_11comp_targetILNS1_3genE3ELNS1_11target_archE908ELNS1_3gpuE7ELNS1_3repE0EEENS1_30default_config_static_selectorELNS0_4arch9wavefront6targetE1EEEvS14_
; %bb.0:
	.section	.rodata,"a",@progbits
	.p2align	6, 0x0
	.amdhsa_kernel _ZN7rocprim17ROCPRIM_400000_NS6detail17trampoline_kernelINS0_14default_configENS1_22reduce_config_selectorIN6thrust23THRUST_200600_302600_NS5tupleIblNS6_9null_typeES8_S8_S8_S8_S8_S8_S8_EEEEZNS1_11reduce_implILb1ES3_NS6_12zip_iteratorINS7_INS6_11hip_rocprim26transform_input_iterator_tIbNSD_35transform_pair_of_input_iterators_tIbNS6_6detail15normal_iteratorINS6_10device_ptrIKiEEEESL_NS6_8equal_toIiEEEENSG_9not_fun_tINSD_8identityEEEEENSD_19counting_iterator_tIlEES8_S8_S8_S8_S8_S8_S8_S8_EEEEPS9_S9_NSD_9__find_if7functorIS9_EEEE10hipError_tPvRmT1_T2_T3_mT4_P12ihipStream_tbEUlT_E1_NS1_11comp_targetILNS1_3genE3ELNS1_11target_archE908ELNS1_3gpuE7ELNS1_3repE0EEENS1_30default_config_static_selectorELNS0_4arch9wavefront6targetE1EEEvS14_
		.amdhsa_group_segment_fixed_size 0
		.amdhsa_private_segment_fixed_size 0
		.amdhsa_kernarg_size 88
		.amdhsa_user_sgpr_count 2
		.amdhsa_user_sgpr_dispatch_ptr 0
		.amdhsa_user_sgpr_queue_ptr 0
		.amdhsa_user_sgpr_kernarg_segment_ptr 1
		.amdhsa_user_sgpr_dispatch_id 0
		.amdhsa_user_sgpr_kernarg_preload_length 0
		.amdhsa_user_sgpr_kernarg_preload_offset 0
		.amdhsa_user_sgpr_private_segment_size 0
		.amdhsa_uses_dynamic_stack 0
		.amdhsa_enable_private_segment 0
		.amdhsa_system_sgpr_workgroup_id_x 1
		.amdhsa_system_sgpr_workgroup_id_y 0
		.amdhsa_system_sgpr_workgroup_id_z 0
		.amdhsa_system_sgpr_workgroup_info 0
		.amdhsa_system_vgpr_workitem_id 0
		.amdhsa_next_free_vgpr 1
		.amdhsa_next_free_sgpr 0
		.amdhsa_accum_offset 4
		.amdhsa_reserve_vcc 0
		.amdhsa_float_round_mode_32 0
		.amdhsa_float_round_mode_16_64 0
		.amdhsa_float_denorm_mode_32 3
		.amdhsa_float_denorm_mode_16_64 3
		.amdhsa_dx10_clamp 1
		.amdhsa_ieee_mode 1
		.amdhsa_fp16_overflow 0
		.amdhsa_tg_split 0
		.amdhsa_exception_fp_ieee_invalid_op 0
		.amdhsa_exception_fp_denorm_src 0
		.amdhsa_exception_fp_ieee_div_zero 0
		.amdhsa_exception_fp_ieee_overflow 0
		.amdhsa_exception_fp_ieee_underflow 0
		.amdhsa_exception_fp_ieee_inexact 0
		.amdhsa_exception_int_div_zero 0
	.end_amdhsa_kernel
	.section	.text._ZN7rocprim17ROCPRIM_400000_NS6detail17trampoline_kernelINS0_14default_configENS1_22reduce_config_selectorIN6thrust23THRUST_200600_302600_NS5tupleIblNS6_9null_typeES8_S8_S8_S8_S8_S8_S8_EEEEZNS1_11reduce_implILb1ES3_NS6_12zip_iteratorINS7_INS6_11hip_rocprim26transform_input_iterator_tIbNSD_35transform_pair_of_input_iterators_tIbNS6_6detail15normal_iteratorINS6_10device_ptrIKiEEEESL_NS6_8equal_toIiEEEENSG_9not_fun_tINSD_8identityEEEEENSD_19counting_iterator_tIlEES8_S8_S8_S8_S8_S8_S8_S8_EEEEPS9_S9_NSD_9__find_if7functorIS9_EEEE10hipError_tPvRmT1_T2_T3_mT4_P12ihipStream_tbEUlT_E1_NS1_11comp_targetILNS1_3genE3ELNS1_11target_archE908ELNS1_3gpuE7ELNS1_3repE0EEENS1_30default_config_static_selectorELNS0_4arch9wavefront6targetE1EEEvS14_,"axG",@progbits,_ZN7rocprim17ROCPRIM_400000_NS6detail17trampoline_kernelINS0_14default_configENS1_22reduce_config_selectorIN6thrust23THRUST_200600_302600_NS5tupleIblNS6_9null_typeES8_S8_S8_S8_S8_S8_S8_EEEEZNS1_11reduce_implILb1ES3_NS6_12zip_iteratorINS7_INS6_11hip_rocprim26transform_input_iterator_tIbNSD_35transform_pair_of_input_iterators_tIbNS6_6detail15normal_iteratorINS6_10device_ptrIKiEEEESL_NS6_8equal_toIiEEEENSG_9not_fun_tINSD_8identityEEEEENSD_19counting_iterator_tIlEES8_S8_S8_S8_S8_S8_S8_S8_EEEEPS9_S9_NSD_9__find_if7functorIS9_EEEE10hipError_tPvRmT1_T2_T3_mT4_P12ihipStream_tbEUlT_E1_NS1_11comp_targetILNS1_3genE3ELNS1_11target_archE908ELNS1_3gpuE7ELNS1_3repE0EEENS1_30default_config_static_selectorELNS0_4arch9wavefront6targetE1EEEvS14_,comdat
.Lfunc_end1485:
	.size	_ZN7rocprim17ROCPRIM_400000_NS6detail17trampoline_kernelINS0_14default_configENS1_22reduce_config_selectorIN6thrust23THRUST_200600_302600_NS5tupleIblNS6_9null_typeES8_S8_S8_S8_S8_S8_S8_EEEEZNS1_11reduce_implILb1ES3_NS6_12zip_iteratorINS7_INS6_11hip_rocprim26transform_input_iterator_tIbNSD_35transform_pair_of_input_iterators_tIbNS6_6detail15normal_iteratorINS6_10device_ptrIKiEEEESL_NS6_8equal_toIiEEEENSG_9not_fun_tINSD_8identityEEEEENSD_19counting_iterator_tIlEES8_S8_S8_S8_S8_S8_S8_S8_EEEEPS9_S9_NSD_9__find_if7functorIS9_EEEE10hipError_tPvRmT1_T2_T3_mT4_P12ihipStream_tbEUlT_E1_NS1_11comp_targetILNS1_3genE3ELNS1_11target_archE908ELNS1_3gpuE7ELNS1_3repE0EEENS1_30default_config_static_selectorELNS0_4arch9wavefront6targetE1EEEvS14_, .Lfunc_end1485-_ZN7rocprim17ROCPRIM_400000_NS6detail17trampoline_kernelINS0_14default_configENS1_22reduce_config_selectorIN6thrust23THRUST_200600_302600_NS5tupleIblNS6_9null_typeES8_S8_S8_S8_S8_S8_S8_EEEEZNS1_11reduce_implILb1ES3_NS6_12zip_iteratorINS7_INS6_11hip_rocprim26transform_input_iterator_tIbNSD_35transform_pair_of_input_iterators_tIbNS6_6detail15normal_iteratorINS6_10device_ptrIKiEEEESL_NS6_8equal_toIiEEEENSG_9not_fun_tINSD_8identityEEEEENSD_19counting_iterator_tIlEES8_S8_S8_S8_S8_S8_S8_S8_EEEEPS9_S9_NSD_9__find_if7functorIS9_EEEE10hipError_tPvRmT1_T2_T3_mT4_P12ihipStream_tbEUlT_E1_NS1_11comp_targetILNS1_3genE3ELNS1_11target_archE908ELNS1_3gpuE7ELNS1_3repE0EEENS1_30default_config_static_selectorELNS0_4arch9wavefront6targetE1EEEvS14_
                                        ; -- End function
	.set _ZN7rocprim17ROCPRIM_400000_NS6detail17trampoline_kernelINS0_14default_configENS1_22reduce_config_selectorIN6thrust23THRUST_200600_302600_NS5tupleIblNS6_9null_typeES8_S8_S8_S8_S8_S8_S8_EEEEZNS1_11reduce_implILb1ES3_NS6_12zip_iteratorINS7_INS6_11hip_rocprim26transform_input_iterator_tIbNSD_35transform_pair_of_input_iterators_tIbNS6_6detail15normal_iteratorINS6_10device_ptrIKiEEEESL_NS6_8equal_toIiEEEENSG_9not_fun_tINSD_8identityEEEEENSD_19counting_iterator_tIlEES8_S8_S8_S8_S8_S8_S8_S8_EEEEPS9_S9_NSD_9__find_if7functorIS9_EEEE10hipError_tPvRmT1_T2_T3_mT4_P12ihipStream_tbEUlT_E1_NS1_11comp_targetILNS1_3genE3ELNS1_11target_archE908ELNS1_3gpuE7ELNS1_3repE0EEENS1_30default_config_static_selectorELNS0_4arch9wavefront6targetE1EEEvS14_.num_vgpr, 0
	.set _ZN7rocprim17ROCPRIM_400000_NS6detail17trampoline_kernelINS0_14default_configENS1_22reduce_config_selectorIN6thrust23THRUST_200600_302600_NS5tupleIblNS6_9null_typeES8_S8_S8_S8_S8_S8_S8_EEEEZNS1_11reduce_implILb1ES3_NS6_12zip_iteratorINS7_INS6_11hip_rocprim26transform_input_iterator_tIbNSD_35transform_pair_of_input_iterators_tIbNS6_6detail15normal_iteratorINS6_10device_ptrIKiEEEESL_NS6_8equal_toIiEEEENSG_9not_fun_tINSD_8identityEEEEENSD_19counting_iterator_tIlEES8_S8_S8_S8_S8_S8_S8_S8_EEEEPS9_S9_NSD_9__find_if7functorIS9_EEEE10hipError_tPvRmT1_T2_T3_mT4_P12ihipStream_tbEUlT_E1_NS1_11comp_targetILNS1_3genE3ELNS1_11target_archE908ELNS1_3gpuE7ELNS1_3repE0EEENS1_30default_config_static_selectorELNS0_4arch9wavefront6targetE1EEEvS14_.num_agpr, 0
	.set _ZN7rocprim17ROCPRIM_400000_NS6detail17trampoline_kernelINS0_14default_configENS1_22reduce_config_selectorIN6thrust23THRUST_200600_302600_NS5tupleIblNS6_9null_typeES8_S8_S8_S8_S8_S8_S8_EEEEZNS1_11reduce_implILb1ES3_NS6_12zip_iteratorINS7_INS6_11hip_rocprim26transform_input_iterator_tIbNSD_35transform_pair_of_input_iterators_tIbNS6_6detail15normal_iteratorINS6_10device_ptrIKiEEEESL_NS6_8equal_toIiEEEENSG_9not_fun_tINSD_8identityEEEEENSD_19counting_iterator_tIlEES8_S8_S8_S8_S8_S8_S8_S8_EEEEPS9_S9_NSD_9__find_if7functorIS9_EEEE10hipError_tPvRmT1_T2_T3_mT4_P12ihipStream_tbEUlT_E1_NS1_11comp_targetILNS1_3genE3ELNS1_11target_archE908ELNS1_3gpuE7ELNS1_3repE0EEENS1_30default_config_static_selectorELNS0_4arch9wavefront6targetE1EEEvS14_.numbered_sgpr, 0
	.set _ZN7rocprim17ROCPRIM_400000_NS6detail17trampoline_kernelINS0_14default_configENS1_22reduce_config_selectorIN6thrust23THRUST_200600_302600_NS5tupleIblNS6_9null_typeES8_S8_S8_S8_S8_S8_S8_EEEEZNS1_11reduce_implILb1ES3_NS6_12zip_iteratorINS7_INS6_11hip_rocprim26transform_input_iterator_tIbNSD_35transform_pair_of_input_iterators_tIbNS6_6detail15normal_iteratorINS6_10device_ptrIKiEEEESL_NS6_8equal_toIiEEEENSG_9not_fun_tINSD_8identityEEEEENSD_19counting_iterator_tIlEES8_S8_S8_S8_S8_S8_S8_S8_EEEEPS9_S9_NSD_9__find_if7functorIS9_EEEE10hipError_tPvRmT1_T2_T3_mT4_P12ihipStream_tbEUlT_E1_NS1_11comp_targetILNS1_3genE3ELNS1_11target_archE908ELNS1_3gpuE7ELNS1_3repE0EEENS1_30default_config_static_selectorELNS0_4arch9wavefront6targetE1EEEvS14_.num_named_barrier, 0
	.set _ZN7rocprim17ROCPRIM_400000_NS6detail17trampoline_kernelINS0_14default_configENS1_22reduce_config_selectorIN6thrust23THRUST_200600_302600_NS5tupleIblNS6_9null_typeES8_S8_S8_S8_S8_S8_S8_EEEEZNS1_11reduce_implILb1ES3_NS6_12zip_iteratorINS7_INS6_11hip_rocprim26transform_input_iterator_tIbNSD_35transform_pair_of_input_iterators_tIbNS6_6detail15normal_iteratorINS6_10device_ptrIKiEEEESL_NS6_8equal_toIiEEEENSG_9not_fun_tINSD_8identityEEEEENSD_19counting_iterator_tIlEES8_S8_S8_S8_S8_S8_S8_S8_EEEEPS9_S9_NSD_9__find_if7functorIS9_EEEE10hipError_tPvRmT1_T2_T3_mT4_P12ihipStream_tbEUlT_E1_NS1_11comp_targetILNS1_3genE3ELNS1_11target_archE908ELNS1_3gpuE7ELNS1_3repE0EEENS1_30default_config_static_selectorELNS0_4arch9wavefront6targetE1EEEvS14_.private_seg_size, 0
	.set _ZN7rocprim17ROCPRIM_400000_NS6detail17trampoline_kernelINS0_14default_configENS1_22reduce_config_selectorIN6thrust23THRUST_200600_302600_NS5tupleIblNS6_9null_typeES8_S8_S8_S8_S8_S8_S8_EEEEZNS1_11reduce_implILb1ES3_NS6_12zip_iteratorINS7_INS6_11hip_rocprim26transform_input_iterator_tIbNSD_35transform_pair_of_input_iterators_tIbNS6_6detail15normal_iteratorINS6_10device_ptrIKiEEEESL_NS6_8equal_toIiEEEENSG_9not_fun_tINSD_8identityEEEEENSD_19counting_iterator_tIlEES8_S8_S8_S8_S8_S8_S8_S8_EEEEPS9_S9_NSD_9__find_if7functorIS9_EEEE10hipError_tPvRmT1_T2_T3_mT4_P12ihipStream_tbEUlT_E1_NS1_11comp_targetILNS1_3genE3ELNS1_11target_archE908ELNS1_3gpuE7ELNS1_3repE0EEENS1_30default_config_static_selectorELNS0_4arch9wavefront6targetE1EEEvS14_.uses_vcc, 0
	.set _ZN7rocprim17ROCPRIM_400000_NS6detail17trampoline_kernelINS0_14default_configENS1_22reduce_config_selectorIN6thrust23THRUST_200600_302600_NS5tupleIblNS6_9null_typeES8_S8_S8_S8_S8_S8_S8_EEEEZNS1_11reduce_implILb1ES3_NS6_12zip_iteratorINS7_INS6_11hip_rocprim26transform_input_iterator_tIbNSD_35transform_pair_of_input_iterators_tIbNS6_6detail15normal_iteratorINS6_10device_ptrIKiEEEESL_NS6_8equal_toIiEEEENSG_9not_fun_tINSD_8identityEEEEENSD_19counting_iterator_tIlEES8_S8_S8_S8_S8_S8_S8_S8_EEEEPS9_S9_NSD_9__find_if7functorIS9_EEEE10hipError_tPvRmT1_T2_T3_mT4_P12ihipStream_tbEUlT_E1_NS1_11comp_targetILNS1_3genE3ELNS1_11target_archE908ELNS1_3gpuE7ELNS1_3repE0EEENS1_30default_config_static_selectorELNS0_4arch9wavefront6targetE1EEEvS14_.uses_flat_scratch, 0
	.set _ZN7rocprim17ROCPRIM_400000_NS6detail17trampoline_kernelINS0_14default_configENS1_22reduce_config_selectorIN6thrust23THRUST_200600_302600_NS5tupleIblNS6_9null_typeES8_S8_S8_S8_S8_S8_S8_EEEEZNS1_11reduce_implILb1ES3_NS6_12zip_iteratorINS7_INS6_11hip_rocprim26transform_input_iterator_tIbNSD_35transform_pair_of_input_iterators_tIbNS6_6detail15normal_iteratorINS6_10device_ptrIKiEEEESL_NS6_8equal_toIiEEEENSG_9not_fun_tINSD_8identityEEEEENSD_19counting_iterator_tIlEES8_S8_S8_S8_S8_S8_S8_S8_EEEEPS9_S9_NSD_9__find_if7functorIS9_EEEE10hipError_tPvRmT1_T2_T3_mT4_P12ihipStream_tbEUlT_E1_NS1_11comp_targetILNS1_3genE3ELNS1_11target_archE908ELNS1_3gpuE7ELNS1_3repE0EEENS1_30default_config_static_selectorELNS0_4arch9wavefront6targetE1EEEvS14_.has_dyn_sized_stack, 0
	.set _ZN7rocprim17ROCPRIM_400000_NS6detail17trampoline_kernelINS0_14default_configENS1_22reduce_config_selectorIN6thrust23THRUST_200600_302600_NS5tupleIblNS6_9null_typeES8_S8_S8_S8_S8_S8_S8_EEEEZNS1_11reduce_implILb1ES3_NS6_12zip_iteratorINS7_INS6_11hip_rocprim26transform_input_iterator_tIbNSD_35transform_pair_of_input_iterators_tIbNS6_6detail15normal_iteratorINS6_10device_ptrIKiEEEESL_NS6_8equal_toIiEEEENSG_9not_fun_tINSD_8identityEEEEENSD_19counting_iterator_tIlEES8_S8_S8_S8_S8_S8_S8_S8_EEEEPS9_S9_NSD_9__find_if7functorIS9_EEEE10hipError_tPvRmT1_T2_T3_mT4_P12ihipStream_tbEUlT_E1_NS1_11comp_targetILNS1_3genE3ELNS1_11target_archE908ELNS1_3gpuE7ELNS1_3repE0EEENS1_30default_config_static_selectorELNS0_4arch9wavefront6targetE1EEEvS14_.has_recursion, 0
	.set _ZN7rocprim17ROCPRIM_400000_NS6detail17trampoline_kernelINS0_14default_configENS1_22reduce_config_selectorIN6thrust23THRUST_200600_302600_NS5tupleIblNS6_9null_typeES8_S8_S8_S8_S8_S8_S8_EEEEZNS1_11reduce_implILb1ES3_NS6_12zip_iteratorINS7_INS6_11hip_rocprim26transform_input_iterator_tIbNSD_35transform_pair_of_input_iterators_tIbNS6_6detail15normal_iteratorINS6_10device_ptrIKiEEEESL_NS6_8equal_toIiEEEENSG_9not_fun_tINSD_8identityEEEEENSD_19counting_iterator_tIlEES8_S8_S8_S8_S8_S8_S8_S8_EEEEPS9_S9_NSD_9__find_if7functorIS9_EEEE10hipError_tPvRmT1_T2_T3_mT4_P12ihipStream_tbEUlT_E1_NS1_11comp_targetILNS1_3genE3ELNS1_11target_archE908ELNS1_3gpuE7ELNS1_3repE0EEENS1_30default_config_static_selectorELNS0_4arch9wavefront6targetE1EEEvS14_.has_indirect_call, 0
	.section	.AMDGPU.csdata,"",@progbits
; Kernel info:
; codeLenInByte = 0
; TotalNumSgprs: 6
; NumVgprs: 0
; NumAgprs: 0
; TotalNumVgprs: 0
; ScratchSize: 0
; MemoryBound: 0
; FloatMode: 240
; IeeeMode: 1
; LDSByteSize: 0 bytes/workgroup (compile time only)
; SGPRBlocks: 0
; VGPRBlocks: 0
; NumSGPRsForWavesPerEU: 6
; NumVGPRsForWavesPerEU: 1
; AccumOffset: 4
; Occupancy: 8
; WaveLimiterHint : 0
; COMPUTE_PGM_RSRC2:SCRATCH_EN: 0
; COMPUTE_PGM_RSRC2:USER_SGPR: 2
; COMPUTE_PGM_RSRC2:TRAP_HANDLER: 0
; COMPUTE_PGM_RSRC2:TGID_X_EN: 1
; COMPUTE_PGM_RSRC2:TGID_Y_EN: 0
; COMPUTE_PGM_RSRC2:TGID_Z_EN: 0
; COMPUTE_PGM_RSRC2:TIDIG_COMP_CNT: 0
; COMPUTE_PGM_RSRC3_GFX90A:ACCUM_OFFSET: 0
; COMPUTE_PGM_RSRC3_GFX90A:TG_SPLIT: 0
	.section	.text._ZN7rocprim17ROCPRIM_400000_NS6detail17trampoline_kernelINS0_14default_configENS1_22reduce_config_selectorIN6thrust23THRUST_200600_302600_NS5tupleIblNS6_9null_typeES8_S8_S8_S8_S8_S8_S8_EEEEZNS1_11reduce_implILb1ES3_NS6_12zip_iteratorINS7_INS6_11hip_rocprim26transform_input_iterator_tIbNSD_35transform_pair_of_input_iterators_tIbNS6_6detail15normal_iteratorINS6_10device_ptrIKiEEEESL_NS6_8equal_toIiEEEENSG_9not_fun_tINSD_8identityEEEEENSD_19counting_iterator_tIlEES8_S8_S8_S8_S8_S8_S8_S8_EEEEPS9_S9_NSD_9__find_if7functorIS9_EEEE10hipError_tPvRmT1_T2_T3_mT4_P12ihipStream_tbEUlT_E1_NS1_11comp_targetILNS1_3genE2ELNS1_11target_archE906ELNS1_3gpuE6ELNS1_3repE0EEENS1_30default_config_static_selectorELNS0_4arch9wavefront6targetE1EEEvS14_,"axG",@progbits,_ZN7rocprim17ROCPRIM_400000_NS6detail17trampoline_kernelINS0_14default_configENS1_22reduce_config_selectorIN6thrust23THRUST_200600_302600_NS5tupleIblNS6_9null_typeES8_S8_S8_S8_S8_S8_S8_EEEEZNS1_11reduce_implILb1ES3_NS6_12zip_iteratorINS7_INS6_11hip_rocprim26transform_input_iterator_tIbNSD_35transform_pair_of_input_iterators_tIbNS6_6detail15normal_iteratorINS6_10device_ptrIKiEEEESL_NS6_8equal_toIiEEEENSG_9not_fun_tINSD_8identityEEEEENSD_19counting_iterator_tIlEES8_S8_S8_S8_S8_S8_S8_S8_EEEEPS9_S9_NSD_9__find_if7functorIS9_EEEE10hipError_tPvRmT1_T2_T3_mT4_P12ihipStream_tbEUlT_E1_NS1_11comp_targetILNS1_3genE2ELNS1_11target_archE906ELNS1_3gpuE6ELNS1_3repE0EEENS1_30default_config_static_selectorELNS0_4arch9wavefront6targetE1EEEvS14_,comdat
	.protected	_ZN7rocprim17ROCPRIM_400000_NS6detail17trampoline_kernelINS0_14default_configENS1_22reduce_config_selectorIN6thrust23THRUST_200600_302600_NS5tupleIblNS6_9null_typeES8_S8_S8_S8_S8_S8_S8_EEEEZNS1_11reduce_implILb1ES3_NS6_12zip_iteratorINS7_INS6_11hip_rocprim26transform_input_iterator_tIbNSD_35transform_pair_of_input_iterators_tIbNS6_6detail15normal_iteratorINS6_10device_ptrIKiEEEESL_NS6_8equal_toIiEEEENSG_9not_fun_tINSD_8identityEEEEENSD_19counting_iterator_tIlEES8_S8_S8_S8_S8_S8_S8_S8_EEEEPS9_S9_NSD_9__find_if7functorIS9_EEEE10hipError_tPvRmT1_T2_T3_mT4_P12ihipStream_tbEUlT_E1_NS1_11comp_targetILNS1_3genE2ELNS1_11target_archE906ELNS1_3gpuE6ELNS1_3repE0EEENS1_30default_config_static_selectorELNS0_4arch9wavefront6targetE1EEEvS14_ ; -- Begin function _ZN7rocprim17ROCPRIM_400000_NS6detail17trampoline_kernelINS0_14default_configENS1_22reduce_config_selectorIN6thrust23THRUST_200600_302600_NS5tupleIblNS6_9null_typeES8_S8_S8_S8_S8_S8_S8_EEEEZNS1_11reduce_implILb1ES3_NS6_12zip_iteratorINS7_INS6_11hip_rocprim26transform_input_iterator_tIbNSD_35transform_pair_of_input_iterators_tIbNS6_6detail15normal_iteratorINS6_10device_ptrIKiEEEESL_NS6_8equal_toIiEEEENSG_9not_fun_tINSD_8identityEEEEENSD_19counting_iterator_tIlEES8_S8_S8_S8_S8_S8_S8_S8_EEEEPS9_S9_NSD_9__find_if7functorIS9_EEEE10hipError_tPvRmT1_T2_T3_mT4_P12ihipStream_tbEUlT_E1_NS1_11comp_targetILNS1_3genE2ELNS1_11target_archE906ELNS1_3gpuE6ELNS1_3repE0EEENS1_30default_config_static_selectorELNS0_4arch9wavefront6targetE1EEEvS14_
	.globl	_ZN7rocprim17ROCPRIM_400000_NS6detail17trampoline_kernelINS0_14default_configENS1_22reduce_config_selectorIN6thrust23THRUST_200600_302600_NS5tupleIblNS6_9null_typeES8_S8_S8_S8_S8_S8_S8_EEEEZNS1_11reduce_implILb1ES3_NS6_12zip_iteratorINS7_INS6_11hip_rocprim26transform_input_iterator_tIbNSD_35transform_pair_of_input_iterators_tIbNS6_6detail15normal_iteratorINS6_10device_ptrIKiEEEESL_NS6_8equal_toIiEEEENSG_9not_fun_tINSD_8identityEEEEENSD_19counting_iterator_tIlEES8_S8_S8_S8_S8_S8_S8_S8_EEEEPS9_S9_NSD_9__find_if7functorIS9_EEEE10hipError_tPvRmT1_T2_T3_mT4_P12ihipStream_tbEUlT_E1_NS1_11comp_targetILNS1_3genE2ELNS1_11target_archE906ELNS1_3gpuE6ELNS1_3repE0EEENS1_30default_config_static_selectorELNS0_4arch9wavefront6targetE1EEEvS14_
	.p2align	8
	.type	_ZN7rocprim17ROCPRIM_400000_NS6detail17trampoline_kernelINS0_14default_configENS1_22reduce_config_selectorIN6thrust23THRUST_200600_302600_NS5tupleIblNS6_9null_typeES8_S8_S8_S8_S8_S8_S8_EEEEZNS1_11reduce_implILb1ES3_NS6_12zip_iteratorINS7_INS6_11hip_rocprim26transform_input_iterator_tIbNSD_35transform_pair_of_input_iterators_tIbNS6_6detail15normal_iteratorINS6_10device_ptrIKiEEEESL_NS6_8equal_toIiEEEENSG_9not_fun_tINSD_8identityEEEEENSD_19counting_iterator_tIlEES8_S8_S8_S8_S8_S8_S8_S8_EEEEPS9_S9_NSD_9__find_if7functorIS9_EEEE10hipError_tPvRmT1_T2_T3_mT4_P12ihipStream_tbEUlT_E1_NS1_11comp_targetILNS1_3genE2ELNS1_11target_archE906ELNS1_3gpuE6ELNS1_3repE0EEENS1_30default_config_static_selectorELNS0_4arch9wavefront6targetE1EEEvS14_,@function
_ZN7rocprim17ROCPRIM_400000_NS6detail17trampoline_kernelINS0_14default_configENS1_22reduce_config_selectorIN6thrust23THRUST_200600_302600_NS5tupleIblNS6_9null_typeES8_S8_S8_S8_S8_S8_S8_EEEEZNS1_11reduce_implILb1ES3_NS6_12zip_iteratorINS7_INS6_11hip_rocprim26transform_input_iterator_tIbNSD_35transform_pair_of_input_iterators_tIbNS6_6detail15normal_iteratorINS6_10device_ptrIKiEEEESL_NS6_8equal_toIiEEEENSG_9not_fun_tINSD_8identityEEEEENSD_19counting_iterator_tIlEES8_S8_S8_S8_S8_S8_S8_S8_EEEEPS9_S9_NSD_9__find_if7functorIS9_EEEE10hipError_tPvRmT1_T2_T3_mT4_P12ihipStream_tbEUlT_E1_NS1_11comp_targetILNS1_3genE2ELNS1_11target_archE906ELNS1_3gpuE6ELNS1_3repE0EEENS1_30default_config_static_selectorELNS0_4arch9wavefront6targetE1EEEvS14_: ; @_ZN7rocprim17ROCPRIM_400000_NS6detail17trampoline_kernelINS0_14default_configENS1_22reduce_config_selectorIN6thrust23THRUST_200600_302600_NS5tupleIblNS6_9null_typeES8_S8_S8_S8_S8_S8_S8_EEEEZNS1_11reduce_implILb1ES3_NS6_12zip_iteratorINS7_INS6_11hip_rocprim26transform_input_iterator_tIbNSD_35transform_pair_of_input_iterators_tIbNS6_6detail15normal_iteratorINS6_10device_ptrIKiEEEESL_NS6_8equal_toIiEEEENSG_9not_fun_tINSD_8identityEEEEENSD_19counting_iterator_tIlEES8_S8_S8_S8_S8_S8_S8_S8_EEEEPS9_S9_NSD_9__find_if7functorIS9_EEEE10hipError_tPvRmT1_T2_T3_mT4_P12ihipStream_tbEUlT_E1_NS1_11comp_targetILNS1_3genE2ELNS1_11target_archE906ELNS1_3gpuE6ELNS1_3repE0EEENS1_30default_config_static_selectorELNS0_4arch9wavefront6targetE1EEEvS14_
; %bb.0:
	.section	.rodata,"a",@progbits
	.p2align	6, 0x0
	.amdhsa_kernel _ZN7rocprim17ROCPRIM_400000_NS6detail17trampoline_kernelINS0_14default_configENS1_22reduce_config_selectorIN6thrust23THRUST_200600_302600_NS5tupleIblNS6_9null_typeES8_S8_S8_S8_S8_S8_S8_EEEEZNS1_11reduce_implILb1ES3_NS6_12zip_iteratorINS7_INS6_11hip_rocprim26transform_input_iterator_tIbNSD_35transform_pair_of_input_iterators_tIbNS6_6detail15normal_iteratorINS6_10device_ptrIKiEEEESL_NS6_8equal_toIiEEEENSG_9not_fun_tINSD_8identityEEEEENSD_19counting_iterator_tIlEES8_S8_S8_S8_S8_S8_S8_S8_EEEEPS9_S9_NSD_9__find_if7functorIS9_EEEE10hipError_tPvRmT1_T2_T3_mT4_P12ihipStream_tbEUlT_E1_NS1_11comp_targetILNS1_3genE2ELNS1_11target_archE906ELNS1_3gpuE6ELNS1_3repE0EEENS1_30default_config_static_selectorELNS0_4arch9wavefront6targetE1EEEvS14_
		.amdhsa_group_segment_fixed_size 0
		.amdhsa_private_segment_fixed_size 0
		.amdhsa_kernarg_size 88
		.amdhsa_user_sgpr_count 2
		.amdhsa_user_sgpr_dispatch_ptr 0
		.amdhsa_user_sgpr_queue_ptr 0
		.amdhsa_user_sgpr_kernarg_segment_ptr 1
		.amdhsa_user_sgpr_dispatch_id 0
		.amdhsa_user_sgpr_kernarg_preload_length 0
		.amdhsa_user_sgpr_kernarg_preload_offset 0
		.amdhsa_user_sgpr_private_segment_size 0
		.amdhsa_uses_dynamic_stack 0
		.amdhsa_enable_private_segment 0
		.amdhsa_system_sgpr_workgroup_id_x 1
		.amdhsa_system_sgpr_workgroup_id_y 0
		.amdhsa_system_sgpr_workgroup_id_z 0
		.amdhsa_system_sgpr_workgroup_info 0
		.amdhsa_system_vgpr_workitem_id 0
		.amdhsa_next_free_vgpr 1
		.amdhsa_next_free_sgpr 0
		.amdhsa_accum_offset 4
		.amdhsa_reserve_vcc 0
		.amdhsa_float_round_mode_32 0
		.amdhsa_float_round_mode_16_64 0
		.amdhsa_float_denorm_mode_32 3
		.amdhsa_float_denorm_mode_16_64 3
		.amdhsa_dx10_clamp 1
		.amdhsa_ieee_mode 1
		.amdhsa_fp16_overflow 0
		.amdhsa_tg_split 0
		.amdhsa_exception_fp_ieee_invalid_op 0
		.amdhsa_exception_fp_denorm_src 0
		.amdhsa_exception_fp_ieee_div_zero 0
		.amdhsa_exception_fp_ieee_overflow 0
		.amdhsa_exception_fp_ieee_underflow 0
		.amdhsa_exception_fp_ieee_inexact 0
		.amdhsa_exception_int_div_zero 0
	.end_amdhsa_kernel
	.section	.text._ZN7rocprim17ROCPRIM_400000_NS6detail17trampoline_kernelINS0_14default_configENS1_22reduce_config_selectorIN6thrust23THRUST_200600_302600_NS5tupleIblNS6_9null_typeES8_S8_S8_S8_S8_S8_S8_EEEEZNS1_11reduce_implILb1ES3_NS6_12zip_iteratorINS7_INS6_11hip_rocprim26transform_input_iterator_tIbNSD_35transform_pair_of_input_iterators_tIbNS6_6detail15normal_iteratorINS6_10device_ptrIKiEEEESL_NS6_8equal_toIiEEEENSG_9not_fun_tINSD_8identityEEEEENSD_19counting_iterator_tIlEES8_S8_S8_S8_S8_S8_S8_S8_EEEEPS9_S9_NSD_9__find_if7functorIS9_EEEE10hipError_tPvRmT1_T2_T3_mT4_P12ihipStream_tbEUlT_E1_NS1_11comp_targetILNS1_3genE2ELNS1_11target_archE906ELNS1_3gpuE6ELNS1_3repE0EEENS1_30default_config_static_selectorELNS0_4arch9wavefront6targetE1EEEvS14_,"axG",@progbits,_ZN7rocprim17ROCPRIM_400000_NS6detail17trampoline_kernelINS0_14default_configENS1_22reduce_config_selectorIN6thrust23THRUST_200600_302600_NS5tupleIblNS6_9null_typeES8_S8_S8_S8_S8_S8_S8_EEEEZNS1_11reduce_implILb1ES3_NS6_12zip_iteratorINS7_INS6_11hip_rocprim26transform_input_iterator_tIbNSD_35transform_pair_of_input_iterators_tIbNS6_6detail15normal_iteratorINS6_10device_ptrIKiEEEESL_NS6_8equal_toIiEEEENSG_9not_fun_tINSD_8identityEEEEENSD_19counting_iterator_tIlEES8_S8_S8_S8_S8_S8_S8_S8_EEEEPS9_S9_NSD_9__find_if7functorIS9_EEEE10hipError_tPvRmT1_T2_T3_mT4_P12ihipStream_tbEUlT_E1_NS1_11comp_targetILNS1_3genE2ELNS1_11target_archE906ELNS1_3gpuE6ELNS1_3repE0EEENS1_30default_config_static_selectorELNS0_4arch9wavefront6targetE1EEEvS14_,comdat
.Lfunc_end1486:
	.size	_ZN7rocprim17ROCPRIM_400000_NS6detail17trampoline_kernelINS0_14default_configENS1_22reduce_config_selectorIN6thrust23THRUST_200600_302600_NS5tupleIblNS6_9null_typeES8_S8_S8_S8_S8_S8_S8_EEEEZNS1_11reduce_implILb1ES3_NS6_12zip_iteratorINS7_INS6_11hip_rocprim26transform_input_iterator_tIbNSD_35transform_pair_of_input_iterators_tIbNS6_6detail15normal_iteratorINS6_10device_ptrIKiEEEESL_NS6_8equal_toIiEEEENSG_9not_fun_tINSD_8identityEEEEENSD_19counting_iterator_tIlEES8_S8_S8_S8_S8_S8_S8_S8_EEEEPS9_S9_NSD_9__find_if7functorIS9_EEEE10hipError_tPvRmT1_T2_T3_mT4_P12ihipStream_tbEUlT_E1_NS1_11comp_targetILNS1_3genE2ELNS1_11target_archE906ELNS1_3gpuE6ELNS1_3repE0EEENS1_30default_config_static_selectorELNS0_4arch9wavefront6targetE1EEEvS14_, .Lfunc_end1486-_ZN7rocprim17ROCPRIM_400000_NS6detail17trampoline_kernelINS0_14default_configENS1_22reduce_config_selectorIN6thrust23THRUST_200600_302600_NS5tupleIblNS6_9null_typeES8_S8_S8_S8_S8_S8_S8_EEEEZNS1_11reduce_implILb1ES3_NS6_12zip_iteratorINS7_INS6_11hip_rocprim26transform_input_iterator_tIbNSD_35transform_pair_of_input_iterators_tIbNS6_6detail15normal_iteratorINS6_10device_ptrIKiEEEESL_NS6_8equal_toIiEEEENSG_9not_fun_tINSD_8identityEEEEENSD_19counting_iterator_tIlEES8_S8_S8_S8_S8_S8_S8_S8_EEEEPS9_S9_NSD_9__find_if7functorIS9_EEEE10hipError_tPvRmT1_T2_T3_mT4_P12ihipStream_tbEUlT_E1_NS1_11comp_targetILNS1_3genE2ELNS1_11target_archE906ELNS1_3gpuE6ELNS1_3repE0EEENS1_30default_config_static_selectorELNS0_4arch9wavefront6targetE1EEEvS14_
                                        ; -- End function
	.set _ZN7rocprim17ROCPRIM_400000_NS6detail17trampoline_kernelINS0_14default_configENS1_22reduce_config_selectorIN6thrust23THRUST_200600_302600_NS5tupleIblNS6_9null_typeES8_S8_S8_S8_S8_S8_S8_EEEEZNS1_11reduce_implILb1ES3_NS6_12zip_iteratorINS7_INS6_11hip_rocprim26transform_input_iterator_tIbNSD_35transform_pair_of_input_iterators_tIbNS6_6detail15normal_iteratorINS6_10device_ptrIKiEEEESL_NS6_8equal_toIiEEEENSG_9not_fun_tINSD_8identityEEEEENSD_19counting_iterator_tIlEES8_S8_S8_S8_S8_S8_S8_S8_EEEEPS9_S9_NSD_9__find_if7functorIS9_EEEE10hipError_tPvRmT1_T2_T3_mT4_P12ihipStream_tbEUlT_E1_NS1_11comp_targetILNS1_3genE2ELNS1_11target_archE906ELNS1_3gpuE6ELNS1_3repE0EEENS1_30default_config_static_selectorELNS0_4arch9wavefront6targetE1EEEvS14_.num_vgpr, 0
	.set _ZN7rocprim17ROCPRIM_400000_NS6detail17trampoline_kernelINS0_14default_configENS1_22reduce_config_selectorIN6thrust23THRUST_200600_302600_NS5tupleIblNS6_9null_typeES8_S8_S8_S8_S8_S8_S8_EEEEZNS1_11reduce_implILb1ES3_NS6_12zip_iteratorINS7_INS6_11hip_rocprim26transform_input_iterator_tIbNSD_35transform_pair_of_input_iterators_tIbNS6_6detail15normal_iteratorINS6_10device_ptrIKiEEEESL_NS6_8equal_toIiEEEENSG_9not_fun_tINSD_8identityEEEEENSD_19counting_iterator_tIlEES8_S8_S8_S8_S8_S8_S8_S8_EEEEPS9_S9_NSD_9__find_if7functorIS9_EEEE10hipError_tPvRmT1_T2_T3_mT4_P12ihipStream_tbEUlT_E1_NS1_11comp_targetILNS1_3genE2ELNS1_11target_archE906ELNS1_3gpuE6ELNS1_3repE0EEENS1_30default_config_static_selectorELNS0_4arch9wavefront6targetE1EEEvS14_.num_agpr, 0
	.set _ZN7rocprim17ROCPRIM_400000_NS6detail17trampoline_kernelINS0_14default_configENS1_22reduce_config_selectorIN6thrust23THRUST_200600_302600_NS5tupleIblNS6_9null_typeES8_S8_S8_S8_S8_S8_S8_EEEEZNS1_11reduce_implILb1ES3_NS6_12zip_iteratorINS7_INS6_11hip_rocprim26transform_input_iterator_tIbNSD_35transform_pair_of_input_iterators_tIbNS6_6detail15normal_iteratorINS6_10device_ptrIKiEEEESL_NS6_8equal_toIiEEEENSG_9not_fun_tINSD_8identityEEEEENSD_19counting_iterator_tIlEES8_S8_S8_S8_S8_S8_S8_S8_EEEEPS9_S9_NSD_9__find_if7functorIS9_EEEE10hipError_tPvRmT1_T2_T3_mT4_P12ihipStream_tbEUlT_E1_NS1_11comp_targetILNS1_3genE2ELNS1_11target_archE906ELNS1_3gpuE6ELNS1_3repE0EEENS1_30default_config_static_selectorELNS0_4arch9wavefront6targetE1EEEvS14_.numbered_sgpr, 0
	.set _ZN7rocprim17ROCPRIM_400000_NS6detail17trampoline_kernelINS0_14default_configENS1_22reduce_config_selectorIN6thrust23THRUST_200600_302600_NS5tupleIblNS6_9null_typeES8_S8_S8_S8_S8_S8_S8_EEEEZNS1_11reduce_implILb1ES3_NS6_12zip_iteratorINS7_INS6_11hip_rocprim26transform_input_iterator_tIbNSD_35transform_pair_of_input_iterators_tIbNS6_6detail15normal_iteratorINS6_10device_ptrIKiEEEESL_NS6_8equal_toIiEEEENSG_9not_fun_tINSD_8identityEEEEENSD_19counting_iterator_tIlEES8_S8_S8_S8_S8_S8_S8_S8_EEEEPS9_S9_NSD_9__find_if7functorIS9_EEEE10hipError_tPvRmT1_T2_T3_mT4_P12ihipStream_tbEUlT_E1_NS1_11comp_targetILNS1_3genE2ELNS1_11target_archE906ELNS1_3gpuE6ELNS1_3repE0EEENS1_30default_config_static_selectorELNS0_4arch9wavefront6targetE1EEEvS14_.num_named_barrier, 0
	.set _ZN7rocprim17ROCPRIM_400000_NS6detail17trampoline_kernelINS0_14default_configENS1_22reduce_config_selectorIN6thrust23THRUST_200600_302600_NS5tupleIblNS6_9null_typeES8_S8_S8_S8_S8_S8_S8_EEEEZNS1_11reduce_implILb1ES3_NS6_12zip_iteratorINS7_INS6_11hip_rocprim26transform_input_iterator_tIbNSD_35transform_pair_of_input_iterators_tIbNS6_6detail15normal_iteratorINS6_10device_ptrIKiEEEESL_NS6_8equal_toIiEEEENSG_9not_fun_tINSD_8identityEEEEENSD_19counting_iterator_tIlEES8_S8_S8_S8_S8_S8_S8_S8_EEEEPS9_S9_NSD_9__find_if7functorIS9_EEEE10hipError_tPvRmT1_T2_T3_mT4_P12ihipStream_tbEUlT_E1_NS1_11comp_targetILNS1_3genE2ELNS1_11target_archE906ELNS1_3gpuE6ELNS1_3repE0EEENS1_30default_config_static_selectorELNS0_4arch9wavefront6targetE1EEEvS14_.private_seg_size, 0
	.set _ZN7rocprim17ROCPRIM_400000_NS6detail17trampoline_kernelINS0_14default_configENS1_22reduce_config_selectorIN6thrust23THRUST_200600_302600_NS5tupleIblNS6_9null_typeES8_S8_S8_S8_S8_S8_S8_EEEEZNS1_11reduce_implILb1ES3_NS6_12zip_iteratorINS7_INS6_11hip_rocprim26transform_input_iterator_tIbNSD_35transform_pair_of_input_iterators_tIbNS6_6detail15normal_iteratorINS6_10device_ptrIKiEEEESL_NS6_8equal_toIiEEEENSG_9not_fun_tINSD_8identityEEEEENSD_19counting_iterator_tIlEES8_S8_S8_S8_S8_S8_S8_S8_EEEEPS9_S9_NSD_9__find_if7functorIS9_EEEE10hipError_tPvRmT1_T2_T3_mT4_P12ihipStream_tbEUlT_E1_NS1_11comp_targetILNS1_3genE2ELNS1_11target_archE906ELNS1_3gpuE6ELNS1_3repE0EEENS1_30default_config_static_selectorELNS0_4arch9wavefront6targetE1EEEvS14_.uses_vcc, 0
	.set _ZN7rocprim17ROCPRIM_400000_NS6detail17trampoline_kernelINS0_14default_configENS1_22reduce_config_selectorIN6thrust23THRUST_200600_302600_NS5tupleIblNS6_9null_typeES8_S8_S8_S8_S8_S8_S8_EEEEZNS1_11reduce_implILb1ES3_NS6_12zip_iteratorINS7_INS6_11hip_rocprim26transform_input_iterator_tIbNSD_35transform_pair_of_input_iterators_tIbNS6_6detail15normal_iteratorINS6_10device_ptrIKiEEEESL_NS6_8equal_toIiEEEENSG_9not_fun_tINSD_8identityEEEEENSD_19counting_iterator_tIlEES8_S8_S8_S8_S8_S8_S8_S8_EEEEPS9_S9_NSD_9__find_if7functorIS9_EEEE10hipError_tPvRmT1_T2_T3_mT4_P12ihipStream_tbEUlT_E1_NS1_11comp_targetILNS1_3genE2ELNS1_11target_archE906ELNS1_3gpuE6ELNS1_3repE0EEENS1_30default_config_static_selectorELNS0_4arch9wavefront6targetE1EEEvS14_.uses_flat_scratch, 0
	.set _ZN7rocprim17ROCPRIM_400000_NS6detail17trampoline_kernelINS0_14default_configENS1_22reduce_config_selectorIN6thrust23THRUST_200600_302600_NS5tupleIblNS6_9null_typeES8_S8_S8_S8_S8_S8_S8_EEEEZNS1_11reduce_implILb1ES3_NS6_12zip_iteratorINS7_INS6_11hip_rocprim26transform_input_iterator_tIbNSD_35transform_pair_of_input_iterators_tIbNS6_6detail15normal_iteratorINS6_10device_ptrIKiEEEESL_NS6_8equal_toIiEEEENSG_9not_fun_tINSD_8identityEEEEENSD_19counting_iterator_tIlEES8_S8_S8_S8_S8_S8_S8_S8_EEEEPS9_S9_NSD_9__find_if7functorIS9_EEEE10hipError_tPvRmT1_T2_T3_mT4_P12ihipStream_tbEUlT_E1_NS1_11comp_targetILNS1_3genE2ELNS1_11target_archE906ELNS1_3gpuE6ELNS1_3repE0EEENS1_30default_config_static_selectorELNS0_4arch9wavefront6targetE1EEEvS14_.has_dyn_sized_stack, 0
	.set _ZN7rocprim17ROCPRIM_400000_NS6detail17trampoline_kernelINS0_14default_configENS1_22reduce_config_selectorIN6thrust23THRUST_200600_302600_NS5tupleIblNS6_9null_typeES8_S8_S8_S8_S8_S8_S8_EEEEZNS1_11reduce_implILb1ES3_NS6_12zip_iteratorINS7_INS6_11hip_rocprim26transform_input_iterator_tIbNSD_35transform_pair_of_input_iterators_tIbNS6_6detail15normal_iteratorINS6_10device_ptrIKiEEEESL_NS6_8equal_toIiEEEENSG_9not_fun_tINSD_8identityEEEEENSD_19counting_iterator_tIlEES8_S8_S8_S8_S8_S8_S8_S8_EEEEPS9_S9_NSD_9__find_if7functorIS9_EEEE10hipError_tPvRmT1_T2_T3_mT4_P12ihipStream_tbEUlT_E1_NS1_11comp_targetILNS1_3genE2ELNS1_11target_archE906ELNS1_3gpuE6ELNS1_3repE0EEENS1_30default_config_static_selectorELNS0_4arch9wavefront6targetE1EEEvS14_.has_recursion, 0
	.set _ZN7rocprim17ROCPRIM_400000_NS6detail17trampoline_kernelINS0_14default_configENS1_22reduce_config_selectorIN6thrust23THRUST_200600_302600_NS5tupleIblNS6_9null_typeES8_S8_S8_S8_S8_S8_S8_EEEEZNS1_11reduce_implILb1ES3_NS6_12zip_iteratorINS7_INS6_11hip_rocprim26transform_input_iterator_tIbNSD_35transform_pair_of_input_iterators_tIbNS6_6detail15normal_iteratorINS6_10device_ptrIKiEEEESL_NS6_8equal_toIiEEEENSG_9not_fun_tINSD_8identityEEEEENSD_19counting_iterator_tIlEES8_S8_S8_S8_S8_S8_S8_S8_EEEEPS9_S9_NSD_9__find_if7functorIS9_EEEE10hipError_tPvRmT1_T2_T3_mT4_P12ihipStream_tbEUlT_E1_NS1_11comp_targetILNS1_3genE2ELNS1_11target_archE906ELNS1_3gpuE6ELNS1_3repE0EEENS1_30default_config_static_selectorELNS0_4arch9wavefront6targetE1EEEvS14_.has_indirect_call, 0
	.section	.AMDGPU.csdata,"",@progbits
; Kernel info:
; codeLenInByte = 0
; TotalNumSgprs: 6
; NumVgprs: 0
; NumAgprs: 0
; TotalNumVgprs: 0
; ScratchSize: 0
; MemoryBound: 0
; FloatMode: 240
; IeeeMode: 1
; LDSByteSize: 0 bytes/workgroup (compile time only)
; SGPRBlocks: 0
; VGPRBlocks: 0
; NumSGPRsForWavesPerEU: 6
; NumVGPRsForWavesPerEU: 1
; AccumOffset: 4
; Occupancy: 8
; WaveLimiterHint : 0
; COMPUTE_PGM_RSRC2:SCRATCH_EN: 0
; COMPUTE_PGM_RSRC2:USER_SGPR: 2
; COMPUTE_PGM_RSRC2:TRAP_HANDLER: 0
; COMPUTE_PGM_RSRC2:TGID_X_EN: 1
; COMPUTE_PGM_RSRC2:TGID_Y_EN: 0
; COMPUTE_PGM_RSRC2:TGID_Z_EN: 0
; COMPUTE_PGM_RSRC2:TIDIG_COMP_CNT: 0
; COMPUTE_PGM_RSRC3_GFX90A:ACCUM_OFFSET: 0
; COMPUTE_PGM_RSRC3_GFX90A:TG_SPLIT: 0
	.section	.text._ZN7rocprim17ROCPRIM_400000_NS6detail17trampoline_kernelINS0_14default_configENS1_22reduce_config_selectorIN6thrust23THRUST_200600_302600_NS5tupleIblNS6_9null_typeES8_S8_S8_S8_S8_S8_S8_EEEEZNS1_11reduce_implILb1ES3_NS6_12zip_iteratorINS7_INS6_11hip_rocprim26transform_input_iterator_tIbNSD_35transform_pair_of_input_iterators_tIbNS6_6detail15normal_iteratorINS6_10device_ptrIKiEEEESL_NS6_8equal_toIiEEEENSG_9not_fun_tINSD_8identityEEEEENSD_19counting_iterator_tIlEES8_S8_S8_S8_S8_S8_S8_S8_EEEEPS9_S9_NSD_9__find_if7functorIS9_EEEE10hipError_tPvRmT1_T2_T3_mT4_P12ihipStream_tbEUlT_E1_NS1_11comp_targetILNS1_3genE10ELNS1_11target_archE1201ELNS1_3gpuE5ELNS1_3repE0EEENS1_30default_config_static_selectorELNS0_4arch9wavefront6targetE1EEEvS14_,"axG",@progbits,_ZN7rocprim17ROCPRIM_400000_NS6detail17trampoline_kernelINS0_14default_configENS1_22reduce_config_selectorIN6thrust23THRUST_200600_302600_NS5tupleIblNS6_9null_typeES8_S8_S8_S8_S8_S8_S8_EEEEZNS1_11reduce_implILb1ES3_NS6_12zip_iteratorINS7_INS6_11hip_rocprim26transform_input_iterator_tIbNSD_35transform_pair_of_input_iterators_tIbNS6_6detail15normal_iteratorINS6_10device_ptrIKiEEEESL_NS6_8equal_toIiEEEENSG_9not_fun_tINSD_8identityEEEEENSD_19counting_iterator_tIlEES8_S8_S8_S8_S8_S8_S8_S8_EEEEPS9_S9_NSD_9__find_if7functorIS9_EEEE10hipError_tPvRmT1_T2_T3_mT4_P12ihipStream_tbEUlT_E1_NS1_11comp_targetILNS1_3genE10ELNS1_11target_archE1201ELNS1_3gpuE5ELNS1_3repE0EEENS1_30default_config_static_selectorELNS0_4arch9wavefront6targetE1EEEvS14_,comdat
	.protected	_ZN7rocprim17ROCPRIM_400000_NS6detail17trampoline_kernelINS0_14default_configENS1_22reduce_config_selectorIN6thrust23THRUST_200600_302600_NS5tupleIblNS6_9null_typeES8_S8_S8_S8_S8_S8_S8_EEEEZNS1_11reduce_implILb1ES3_NS6_12zip_iteratorINS7_INS6_11hip_rocprim26transform_input_iterator_tIbNSD_35transform_pair_of_input_iterators_tIbNS6_6detail15normal_iteratorINS6_10device_ptrIKiEEEESL_NS6_8equal_toIiEEEENSG_9not_fun_tINSD_8identityEEEEENSD_19counting_iterator_tIlEES8_S8_S8_S8_S8_S8_S8_S8_EEEEPS9_S9_NSD_9__find_if7functorIS9_EEEE10hipError_tPvRmT1_T2_T3_mT4_P12ihipStream_tbEUlT_E1_NS1_11comp_targetILNS1_3genE10ELNS1_11target_archE1201ELNS1_3gpuE5ELNS1_3repE0EEENS1_30default_config_static_selectorELNS0_4arch9wavefront6targetE1EEEvS14_ ; -- Begin function _ZN7rocprim17ROCPRIM_400000_NS6detail17trampoline_kernelINS0_14default_configENS1_22reduce_config_selectorIN6thrust23THRUST_200600_302600_NS5tupleIblNS6_9null_typeES8_S8_S8_S8_S8_S8_S8_EEEEZNS1_11reduce_implILb1ES3_NS6_12zip_iteratorINS7_INS6_11hip_rocprim26transform_input_iterator_tIbNSD_35transform_pair_of_input_iterators_tIbNS6_6detail15normal_iteratorINS6_10device_ptrIKiEEEESL_NS6_8equal_toIiEEEENSG_9not_fun_tINSD_8identityEEEEENSD_19counting_iterator_tIlEES8_S8_S8_S8_S8_S8_S8_S8_EEEEPS9_S9_NSD_9__find_if7functorIS9_EEEE10hipError_tPvRmT1_T2_T3_mT4_P12ihipStream_tbEUlT_E1_NS1_11comp_targetILNS1_3genE10ELNS1_11target_archE1201ELNS1_3gpuE5ELNS1_3repE0EEENS1_30default_config_static_selectorELNS0_4arch9wavefront6targetE1EEEvS14_
	.globl	_ZN7rocprim17ROCPRIM_400000_NS6detail17trampoline_kernelINS0_14default_configENS1_22reduce_config_selectorIN6thrust23THRUST_200600_302600_NS5tupleIblNS6_9null_typeES8_S8_S8_S8_S8_S8_S8_EEEEZNS1_11reduce_implILb1ES3_NS6_12zip_iteratorINS7_INS6_11hip_rocprim26transform_input_iterator_tIbNSD_35transform_pair_of_input_iterators_tIbNS6_6detail15normal_iteratorINS6_10device_ptrIKiEEEESL_NS6_8equal_toIiEEEENSG_9not_fun_tINSD_8identityEEEEENSD_19counting_iterator_tIlEES8_S8_S8_S8_S8_S8_S8_S8_EEEEPS9_S9_NSD_9__find_if7functorIS9_EEEE10hipError_tPvRmT1_T2_T3_mT4_P12ihipStream_tbEUlT_E1_NS1_11comp_targetILNS1_3genE10ELNS1_11target_archE1201ELNS1_3gpuE5ELNS1_3repE0EEENS1_30default_config_static_selectorELNS0_4arch9wavefront6targetE1EEEvS14_
	.p2align	8
	.type	_ZN7rocprim17ROCPRIM_400000_NS6detail17trampoline_kernelINS0_14default_configENS1_22reduce_config_selectorIN6thrust23THRUST_200600_302600_NS5tupleIblNS6_9null_typeES8_S8_S8_S8_S8_S8_S8_EEEEZNS1_11reduce_implILb1ES3_NS6_12zip_iteratorINS7_INS6_11hip_rocprim26transform_input_iterator_tIbNSD_35transform_pair_of_input_iterators_tIbNS6_6detail15normal_iteratorINS6_10device_ptrIKiEEEESL_NS6_8equal_toIiEEEENSG_9not_fun_tINSD_8identityEEEEENSD_19counting_iterator_tIlEES8_S8_S8_S8_S8_S8_S8_S8_EEEEPS9_S9_NSD_9__find_if7functorIS9_EEEE10hipError_tPvRmT1_T2_T3_mT4_P12ihipStream_tbEUlT_E1_NS1_11comp_targetILNS1_3genE10ELNS1_11target_archE1201ELNS1_3gpuE5ELNS1_3repE0EEENS1_30default_config_static_selectorELNS0_4arch9wavefront6targetE1EEEvS14_,@function
_ZN7rocprim17ROCPRIM_400000_NS6detail17trampoline_kernelINS0_14default_configENS1_22reduce_config_selectorIN6thrust23THRUST_200600_302600_NS5tupleIblNS6_9null_typeES8_S8_S8_S8_S8_S8_S8_EEEEZNS1_11reduce_implILb1ES3_NS6_12zip_iteratorINS7_INS6_11hip_rocprim26transform_input_iterator_tIbNSD_35transform_pair_of_input_iterators_tIbNS6_6detail15normal_iteratorINS6_10device_ptrIKiEEEESL_NS6_8equal_toIiEEEENSG_9not_fun_tINSD_8identityEEEEENSD_19counting_iterator_tIlEES8_S8_S8_S8_S8_S8_S8_S8_EEEEPS9_S9_NSD_9__find_if7functorIS9_EEEE10hipError_tPvRmT1_T2_T3_mT4_P12ihipStream_tbEUlT_E1_NS1_11comp_targetILNS1_3genE10ELNS1_11target_archE1201ELNS1_3gpuE5ELNS1_3repE0EEENS1_30default_config_static_selectorELNS0_4arch9wavefront6targetE1EEEvS14_: ; @_ZN7rocprim17ROCPRIM_400000_NS6detail17trampoline_kernelINS0_14default_configENS1_22reduce_config_selectorIN6thrust23THRUST_200600_302600_NS5tupleIblNS6_9null_typeES8_S8_S8_S8_S8_S8_S8_EEEEZNS1_11reduce_implILb1ES3_NS6_12zip_iteratorINS7_INS6_11hip_rocprim26transform_input_iterator_tIbNSD_35transform_pair_of_input_iterators_tIbNS6_6detail15normal_iteratorINS6_10device_ptrIKiEEEESL_NS6_8equal_toIiEEEENSG_9not_fun_tINSD_8identityEEEEENSD_19counting_iterator_tIlEES8_S8_S8_S8_S8_S8_S8_S8_EEEEPS9_S9_NSD_9__find_if7functorIS9_EEEE10hipError_tPvRmT1_T2_T3_mT4_P12ihipStream_tbEUlT_E1_NS1_11comp_targetILNS1_3genE10ELNS1_11target_archE1201ELNS1_3gpuE5ELNS1_3repE0EEENS1_30default_config_static_selectorELNS0_4arch9wavefront6targetE1EEEvS14_
; %bb.0:
	.section	.rodata,"a",@progbits
	.p2align	6, 0x0
	.amdhsa_kernel _ZN7rocprim17ROCPRIM_400000_NS6detail17trampoline_kernelINS0_14default_configENS1_22reduce_config_selectorIN6thrust23THRUST_200600_302600_NS5tupleIblNS6_9null_typeES8_S8_S8_S8_S8_S8_S8_EEEEZNS1_11reduce_implILb1ES3_NS6_12zip_iteratorINS7_INS6_11hip_rocprim26transform_input_iterator_tIbNSD_35transform_pair_of_input_iterators_tIbNS6_6detail15normal_iteratorINS6_10device_ptrIKiEEEESL_NS6_8equal_toIiEEEENSG_9not_fun_tINSD_8identityEEEEENSD_19counting_iterator_tIlEES8_S8_S8_S8_S8_S8_S8_S8_EEEEPS9_S9_NSD_9__find_if7functorIS9_EEEE10hipError_tPvRmT1_T2_T3_mT4_P12ihipStream_tbEUlT_E1_NS1_11comp_targetILNS1_3genE10ELNS1_11target_archE1201ELNS1_3gpuE5ELNS1_3repE0EEENS1_30default_config_static_selectorELNS0_4arch9wavefront6targetE1EEEvS14_
		.amdhsa_group_segment_fixed_size 0
		.amdhsa_private_segment_fixed_size 0
		.amdhsa_kernarg_size 88
		.amdhsa_user_sgpr_count 2
		.amdhsa_user_sgpr_dispatch_ptr 0
		.amdhsa_user_sgpr_queue_ptr 0
		.amdhsa_user_sgpr_kernarg_segment_ptr 1
		.amdhsa_user_sgpr_dispatch_id 0
		.amdhsa_user_sgpr_kernarg_preload_length 0
		.amdhsa_user_sgpr_kernarg_preload_offset 0
		.amdhsa_user_sgpr_private_segment_size 0
		.amdhsa_uses_dynamic_stack 0
		.amdhsa_enable_private_segment 0
		.amdhsa_system_sgpr_workgroup_id_x 1
		.amdhsa_system_sgpr_workgroup_id_y 0
		.amdhsa_system_sgpr_workgroup_id_z 0
		.amdhsa_system_sgpr_workgroup_info 0
		.amdhsa_system_vgpr_workitem_id 0
		.amdhsa_next_free_vgpr 1
		.amdhsa_next_free_sgpr 0
		.amdhsa_accum_offset 4
		.amdhsa_reserve_vcc 0
		.amdhsa_float_round_mode_32 0
		.amdhsa_float_round_mode_16_64 0
		.amdhsa_float_denorm_mode_32 3
		.amdhsa_float_denorm_mode_16_64 3
		.amdhsa_dx10_clamp 1
		.amdhsa_ieee_mode 1
		.amdhsa_fp16_overflow 0
		.amdhsa_tg_split 0
		.amdhsa_exception_fp_ieee_invalid_op 0
		.amdhsa_exception_fp_denorm_src 0
		.amdhsa_exception_fp_ieee_div_zero 0
		.amdhsa_exception_fp_ieee_overflow 0
		.amdhsa_exception_fp_ieee_underflow 0
		.amdhsa_exception_fp_ieee_inexact 0
		.amdhsa_exception_int_div_zero 0
	.end_amdhsa_kernel
	.section	.text._ZN7rocprim17ROCPRIM_400000_NS6detail17trampoline_kernelINS0_14default_configENS1_22reduce_config_selectorIN6thrust23THRUST_200600_302600_NS5tupleIblNS6_9null_typeES8_S8_S8_S8_S8_S8_S8_EEEEZNS1_11reduce_implILb1ES3_NS6_12zip_iteratorINS7_INS6_11hip_rocprim26transform_input_iterator_tIbNSD_35transform_pair_of_input_iterators_tIbNS6_6detail15normal_iteratorINS6_10device_ptrIKiEEEESL_NS6_8equal_toIiEEEENSG_9not_fun_tINSD_8identityEEEEENSD_19counting_iterator_tIlEES8_S8_S8_S8_S8_S8_S8_S8_EEEEPS9_S9_NSD_9__find_if7functorIS9_EEEE10hipError_tPvRmT1_T2_T3_mT4_P12ihipStream_tbEUlT_E1_NS1_11comp_targetILNS1_3genE10ELNS1_11target_archE1201ELNS1_3gpuE5ELNS1_3repE0EEENS1_30default_config_static_selectorELNS0_4arch9wavefront6targetE1EEEvS14_,"axG",@progbits,_ZN7rocprim17ROCPRIM_400000_NS6detail17trampoline_kernelINS0_14default_configENS1_22reduce_config_selectorIN6thrust23THRUST_200600_302600_NS5tupleIblNS6_9null_typeES8_S8_S8_S8_S8_S8_S8_EEEEZNS1_11reduce_implILb1ES3_NS6_12zip_iteratorINS7_INS6_11hip_rocprim26transform_input_iterator_tIbNSD_35transform_pair_of_input_iterators_tIbNS6_6detail15normal_iteratorINS6_10device_ptrIKiEEEESL_NS6_8equal_toIiEEEENSG_9not_fun_tINSD_8identityEEEEENSD_19counting_iterator_tIlEES8_S8_S8_S8_S8_S8_S8_S8_EEEEPS9_S9_NSD_9__find_if7functorIS9_EEEE10hipError_tPvRmT1_T2_T3_mT4_P12ihipStream_tbEUlT_E1_NS1_11comp_targetILNS1_3genE10ELNS1_11target_archE1201ELNS1_3gpuE5ELNS1_3repE0EEENS1_30default_config_static_selectorELNS0_4arch9wavefront6targetE1EEEvS14_,comdat
.Lfunc_end1487:
	.size	_ZN7rocprim17ROCPRIM_400000_NS6detail17trampoline_kernelINS0_14default_configENS1_22reduce_config_selectorIN6thrust23THRUST_200600_302600_NS5tupleIblNS6_9null_typeES8_S8_S8_S8_S8_S8_S8_EEEEZNS1_11reduce_implILb1ES3_NS6_12zip_iteratorINS7_INS6_11hip_rocprim26transform_input_iterator_tIbNSD_35transform_pair_of_input_iterators_tIbNS6_6detail15normal_iteratorINS6_10device_ptrIKiEEEESL_NS6_8equal_toIiEEEENSG_9not_fun_tINSD_8identityEEEEENSD_19counting_iterator_tIlEES8_S8_S8_S8_S8_S8_S8_S8_EEEEPS9_S9_NSD_9__find_if7functorIS9_EEEE10hipError_tPvRmT1_T2_T3_mT4_P12ihipStream_tbEUlT_E1_NS1_11comp_targetILNS1_3genE10ELNS1_11target_archE1201ELNS1_3gpuE5ELNS1_3repE0EEENS1_30default_config_static_selectorELNS0_4arch9wavefront6targetE1EEEvS14_, .Lfunc_end1487-_ZN7rocprim17ROCPRIM_400000_NS6detail17trampoline_kernelINS0_14default_configENS1_22reduce_config_selectorIN6thrust23THRUST_200600_302600_NS5tupleIblNS6_9null_typeES8_S8_S8_S8_S8_S8_S8_EEEEZNS1_11reduce_implILb1ES3_NS6_12zip_iteratorINS7_INS6_11hip_rocprim26transform_input_iterator_tIbNSD_35transform_pair_of_input_iterators_tIbNS6_6detail15normal_iteratorINS6_10device_ptrIKiEEEESL_NS6_8equal_toIiEEEENSG_9not_fun_tINSD_8identityEEEEENSD_19counting_iterator_tIlEES8_S8_S8_S8_S8_S8_S8_S8_EEEEPS9_S9_NSD_9__find_if7functorIS9_EEEE10hipError_tPvRmT1_T2_T3_mT4_P12ihipStream_tbEUlT_E1_NS1_11comp_targetILNS1_3genE10ELNS1_11target_archE1201ELNS1_3gpuE5ELNS1_3repE0EEENS1_30default_config_static_selectorELNS0_4arch9wavefront6targetE1EEEvS14_
                                        ; -- End function
	.set _ZN7rocprim17ROCPRIM_400000_NS6detail17trampoline_kernelINS0_14default_configENS1_22reduce_config_selectorIN6thrust23THRUST_200600_302600_NS5tupleIblNS6_9null_typeES8_S8_S8_S8_S8_S8_S8_EEEEZNS1_11reduce_implILb1ES3_NS6_12zip_iteratorINS7_INS6_11hip_rocprim26transform_input_iterator_tIbNSD_35transform_pair_of_input_iterators_tIbNS6_6detail15normal_iteratorINS6_10device_ptrIKiEEEESL_NS6_8equal_toIiEEEENSG_9not_fun_tINSD_8identityEEEEENSD_19counting_iterator_tIlEES8_S8_S8_S8_S8_S8_S8_S8_EEEEPS9_S9_NSD_9__find_if7functorIS9_EEEE10hipError_tPvRmT1_T2_T3_mT4_P12ihipStream_tbEUlT_E1_NS1_11comp_targetILNS1_3genE10ELNS1_11target_archE1201ELNS1_3gpuE5ELNS1_3repE0EEENS1_30default_config_static_selectorELNS0_4arch9wavefront6targetE1EEEvS14_.num_vgpr, 0
	.set _ZN7rocprim17ROCPRIM_400000_NS6detail17trampoline_kernelINS0_14default_configENS1_22reduce_config_selectorIN6thrust23THRUST_200600_302600_NS5tupleIblNS6_9null_typeES8_S8_S8_S8_S8_S8_S8_EEEEZNS1_11reduce_implILb1ES3_NS6_12zip_iteratorINS7_INS6_11hip_rocprim26transform_input_iterator_tIbNSD_35transform_pair_of_input_iterators_tIbNS6_6detail15normal_iteratorINS6_10device_ptrIKiEEEESL_NS6_8equal_toIiEEEENSG_9not_fun_tINSD_8identityEEEEENSD_19counting_iterator_tIlEES8_S8_S8_S8_S8_S8_S8_S8_EEEEPS9_S9_NSD_9__find_if7functorIS9_EEEE10hipError_tPvRmT1_T2_T3_mT4_P12ihipStream_tbEUlT_E1_NS1_11comp_targetILNS1_3genE10ELNS1_11target_archE1201ELNS1_3gpuE5ELNS1_3repE0EEENS1_30default_config_static_selectorELNS0_4arch9wavefront6targetE1EEEvS14_.num_agpr, 0
	.set _ZN7rocprim17ROCPRIM_400000_NS6detail17trampoline_kernelINS0_14default_configENS1_22reduce_config_selectorIN6thrust23THRUST_200600_302600_NS5tupleIblNS6_9null_typeES8_S8_S8_S8_S8_S8_S8_EEEEZNS1_11reduce_implILb1ES3_NS6_12zip_iteratorINS7_INS6_11hip_rocprim26transform_input_iterator_tIbNSD_35transform_pair_of_input_iterators_tIbNS6_6detail15normal_iteratorINS6_10device_ptrIKiEEEESL_NS6_8equal_toIiEEEENSG_9not_fun_tINSD_8identityEEEEENSD_19counting_iterator_tIlEES8_S8_S8_S8_S8_S8_S8_S8_EEEEPS9_S9_NSD_9__find_if7functorIS9_EEEE10hipError_tPvRmT1_T2_T3_mT4_P12ihipStream_tbEUlT_E1_NS1_11comp_targetILNS1_3genE10ELNS1_11target_archE1201ELNS1_3gpuE5ELNS1_3repE0EEENS1_30default_config_static_selectorELNS0_4arch9wavefront6targetE1EEEvS14_.numbered_sgpr, 0
	.set _ZN7rocprim17ROCPRIM_400000_NS6detail17trampoline_kernelINS0_14default_configENS1_22reduce_config_selectorIN6thrust23THRUST_200600_302600_NS5tupleIblNS6_9null_typeES8_S8_S8_S8_S8_S8_S8_EEEEZNS1_11reduce_implILb1ES3_NS6_12zip_iteratorINS7_INS6_11hip_rocprim26transform_input_iterator_tIbNSD_35transform_pair_of_input_iterators_tIbNS6_6detail15normal_iteratorINS6_10device_ptrIKiEEEESL_NS6_8equal_toIiEEEENSG_9not_fun_tINSD_8identityEEEEENSD_19counting_iterator_tIlEES8_S8_S8_S8_S8_S8_S8_S8_EEEEPS9_S9_NSD_9__find_if7functorIS9_EEEE10hipError_tPvRmT1_T2_T3_mT4_P12ihipStream_tbEUlT_E1_NS1_11comp_targetILNS1_3genE10ELNS1_11target_archE1201ELNS1_3gpuE5ELNS1_3repE0EEENS1_30default_config_static_selectorELNS0_4arch9wavefront6targetE1EEEvS14_.num_named_barrier, 0
	.set _ZN7rocprim17ROCPRIM_400000_NS6detail17trampoline_kernelINS0_14default_configENS1_22reduce_config_selectorIN6thrust23THRUST_200600_302600_NS5tupleIblNS6_9null_typeES8_S8_S8_S8_S8_S8_S8_EEEEZNS1_11reduce_implILb1ES3_NS6_12zip_iteratorINS7_INS6_11hip_rocprim26transform_input_iterator_tIbNSD_35transform_pair_of_input_iterators_tIbNS6_6detail15normal_iteratorINS6_10device_ptrIKiEEEESL_NS6_8equal_toIiEEEENSG_9not_fun_tINSD_8identityEEEEENSD_19counting_iterator_tIlEES8_S8_S8_S8_S8_S8_S8_S8_EEEEPS9_S9_NSD_9__find_if7functorIS9_EEEE10hipError_tPvRmT1_T2_T3_mT4_P12ihipStream_tbEUlT_E1_NS1_11comp_targetILNS1_3genE10ELNS1_11target_archE1201ELNS1_3gpuE5ELNS1_3repE0EEENS1_30default_config_static_selectorELNS0_4arch9wavefront6targetE1EEEvS14_.private_seg_size, 0
	.set _ZN7rocprim17ROCPRIM_400000_NS6detail17trampoline_kernelINS0_14default_configENS1_22reduce_config_selectorIN6thrust23THRUST_200600_302600_NS5tupleIblNS6_9null_typeES8_S8_S8_S8_S8_S8_S8_EEEEZNS1_11reduce_implILb1ES3_NS6_12zip_iteratorINS7_INS6_11hip_rocprim26transform_input_iterator_tIbNSD_35transform_pair_of_input_iterators_tIbNS6_6detail15normal_iteratorINS6_10device_ptrIKiEEEESL_NS6_8equal_toIiEEEENSG_9not_fun_tINSD_8identityEEEEENSD_19counting_iterator_tIlEES8_S8_S8_S8_S8_S8_S8_S8_EEEEPS9_S9_NSD_9__find_if7functorIS9_EEEE10hipError_tPvRmT1_T2_T3_mT4_P12ihipStream_tbEUlT_E1_NS1_11comp_targetILNS1_3genE10ELNS1_11target_archE1201ELNS1_3gpuE5ELNS1_3repE0EEENS1_30default_config_static_selectorELNS0_4arch9wavefront6targetE1EEEvS14_.uses_vcc, 0
	.set _ZN7rocprim17ROCPRIM_400000_NS6detail17trampoline_kernelINS0_14default_configENS1_22reduce_config_selectorIN6thrust23THRUST_200600_302600_NS5tupleIblNS6_9null_typeES8_S8_S8_S8_S8_S8_S8_EEEEZNS1_11reduce_implILb1ES3_NS6_12zip_iteratorINS7_INS6_11hip_rocprim26transform_input_iterator_tIbNSD_35transform_pair_of_input_iterators_tIbNS6_6detail15normal_iteratorINS6_10device_ptrIKiEEEESL_NS6_8equal_toIiEEEENSG_9not_fun_tINSD_8identityEEEEENSD_19counting_iterator_tIlEES8_S8_S8_S8_S8_S8_S8_S8_EEEEPS9_S9_NSD_9__find_if7functorIS9_EEEE10hipError_tPvRmT1_T2_T3_mT4_P12ihipStream_tbEUlT_E1_NS1_11comp_targetILNS1_3genE10ELNS1_11target_archE1201ELNS1_3gpuE5ELNS1_3repE0EEENS1_30default_config_static_selectorELNS0_4arch9wavefront6targetE1EEEvS14_.uses_flat_scratch, 0
	.set _ZN7rocprim17ROCPRIM_400000_NS6detail17trampoline_kernelINS0_14default_configENS1_22reduce_config_selectorIN6thrust23THRUST_200600_302600_NS5tupleIblNS6_9null_typeES8_S8_S8_S8_S8_S8_S8_EEEEZNS1_11reduce_implILb1ES3_NS6_12zip_iteratorINS7_INS6_11hip_rocprim26transform_input_iterator_tIbNSD_35transform_pair_of_input_iterators_tIbNS6_6detail15normal_iteratorINS6_10device_ptrIKiEEEESL_NS6_8equal_toIiEEEENSG_9not_fun_tINSD_8identityEEEEENSD_19counting_iterator_tIlEES8_S8_S8_S8_S8_S8_S8_S8_EEEEPS9_S9_NSD_9__find_if7functorIS9_EEEE10hipError_tPvRmT1_T2_T3_mT4_P12ihipStream_tbEUlT_E1_NS1_11comp_targetILNS1_3genE10ELNS1_11target_archE1201ELNS1_3gpuE5ELNS1_3repE0EEENS1_30default_config_static_selectorELNS0_4arch9wavefront6targetE1EEEvS14_.has_dyn_sized_stack, 0
	.set _ZN7rocprim17ROCPRIM_400000_NS6detail17trampoline_kernelINS0_14default_configENS1_22reduce_config_selectorIN6thrust23THRUST_200600_302600_NS5tupleIblNS6_9null_typeES8_S8_S8_S8_S8_S8_S8_EEEEZNS1_11reduce_implILb1ES3_NS6_12zip_iteratorINS7_INS6_11hip_rocprim26transform_input_iterator_tIbNSD_35transform_pair_of_input_iterators_tIbNS6_6detail15normal_iteratorINS6_10device_ptrIKiEEEESL_NS6_8equal_toIiEEEENSG_9not_fun_tINSD_8identityEEEEENSD_19counting_iterator_tIlEES8_S8_S8_S8_S8_S8_S8_S8_EEEEPS9_S9_NSD_9__find_if7functorIS9_EEEE10hipError_tPvRmT1_T2_T3_mT4_P12ihipStream_tbEUlT_E1_NS1_11comp_targetILNS1_3genE10ELNS1_11target_archE1201ELNS1_3gpuE5ELNS1_3repE0EEENS1_30default_config_static_selectorELNS0_4arch9wavefront6targetE1EEEvS14_.has_recursion, 0
	.set _ZN7rocprim17ROCPRIM_400000_NS6detail17trampoline_kernelINS0_14default_configENS1_22reduce_config_selectorIN6thrust23THRUST_200600_302600_NS5tupleIblNS6_9null_typeES8_S8_S8_S8_S8_S8_S8_EEEEZNS1_11reduce_implILb1ES3_NS6_12zip_iteratorINS7_INS6_11hip_rocprim26transform_input_iterator_tIbNSD_35transform_pair_of_input_iterators_tIbNS6_6detail15normal_iteratorINS6_10device_ptrIKiEEEESL_NS6_8equal_toIiEEEENSG_9not_fun_tINSD_8identityEEEEENSD_19counting_iterator_tIlEES8_S8_S8_S8_S8_S8_S8_S8_EEEEPS9_S9_NSD_9__find_if7functorIS9_EEEE10hipError_tPvRmT1_T2_T3_mT4_P12ihipStream_tbEUlT_E1_NS1_11comp_targetILNS1_3genE10ELNS1_11target_archE1201ELNS1_3gpuE5ELNS1_3repE0EEENS1_30default_config_static_selectorELNS0_4arch9wavefront6targetE1EEEvS14_.has_indirect_call, 0
	.section	.AMDGPU.csdata,"",@progbits
; Kernel info:
; codeLenInByte = 0
; TotalNumSgprs: 6
; NumVgprs: 0
; NumAgprs: 0
; TotalNumVgprs: 0
; ScratchSize: 0
; MemoryBound: 0
; FloatMode: 240
; IeeeMode: 1
; LDSByteSize: 0 bytes/workgroup (compile time only)
; SGPRBlocks: 0
; VGPRBlocks: 0
; NumSGPRsForWavesPerEU: 6
; NumVGPRsForWavesPerEU: 1
; AccumOffset: 4
; Occupancy: 8
; WaveLimiterHint : 0
; COMPUTE_PGM_RSRC2:SCRATCH_EN: 0
; COMPUTE_PGM_RSRC2:USER_SGPR: 2
; COMPUTE_PGM_RSRC2:TRAP_HANDLER: 0
; COMPUTE_PGM_RSRC2:TGID_X_EN: 1
; COMPUTE_PGM_RSRC2:TGID_Y_EN: 0
; COMPUTE_PGM_RSRC2:TGID_Z_EN: 0
; COMPUTE_PGM_RSRC2:TIDIG_COMP_CNT: 0
; COMPUTE_PGM_RSRC3_GFX90A:ACCUM_OFFSET: 0
; COMPUTE_PGM_RSRC3_GFX90A:TG_SPLIT: 0
	.section	.text._ZN7rocprim17ROCPRIM_400000_NS6detail17trampoline_kernelINS0_14default_configENS1_22reduce_config_selectorIN6thrust23THRUST_200600_302600_NS5tupleIblNS6_9null_typeES8_S8_S8_S8_S8_S8_S8_EEEEZNS1_11reduce_implILb1ES3_NS6_12zip_iteratorINS7_INS6_11hip_rocprim26transform_input_iterator_tIbNSD_35transform_pair_of_input_iterators_tIbNS6_6detail15normal_iteratorINS6_10device_ptrIKiEEEESL_NS6_8equal_toIiEEEENSG_9not_fun_tINSD_8identityEEEEENSD_19counting_iterator_tIlEES8_S8_S8_S8_S8_S8_S8_S8_EEEEPS9_S9_NSD_9__find_if7functorIS9_EEEE10hipError_tPvRmT1_T2_T3_mT4_P12ihipStream_tbEUlT_E1_NS1_11comp_targetILNS1_3genE10ELNS1_11target_archE1200ELNS1_3gpuE4ELNS1_3repE0EEENS1_30default_config_static_selectorELNS0_4arch9wavefront6targetE1EEEvS14_,"axG",@progbits,_ZN7rocprim17ROCPRIM_400000_NS6detail17trampoline_kernelINS0_14default_configENS1_22reduce_config_selectorIN6thrust23THRUST_200600_302600_NS5tupleIblNS6_9null_typeES8_S8_S8_S8_S8_S8_S8_EEEEZNS1_11reduce_implILb1ES3_NS6_12zip_iteratorINS7_INS6_11hip_rocprim26transform_input_iterator_tIbNSD_35transform_pair_of_input_iterators_tIbNS6_6detail15normal_iteratorINS6_10device_ptrIKiEEEESL_NS6_8equal_toIiEEEENSG_9not_fun_tINSD_8identityEEEEENSD_19counting_iterator_tIlEES8_S8_S8_S8_S8_S8_S8_S8_EEEEPS9_S9_NSD_9__find_if7functorIS9_EEEE10hipError_tPvRmT1_T2_T3_mT4_P12ihipStream_tbEUlT_E1_NS1_11comp_targetILNS1_3genE10ELNS1_11target_archE1200ELNS1_3gpuE4ELNS1_3repE0EEENS1_30default_config_static_selectorELNS0_4arch9wavefront6targetE1EEEvS14_,comdat
	.protected	_ZN7rocprim17ROCPRIM_400000_NS6detail17trampoline_kernelINS0_14default_configENS1_22reduce_config_selectorIN6thrust23THRUST_200600_302600_NS5tupleIblNS6_9null_typeES8_S8_S8_S8_S8_S8_S8_EEEEZNS1_11reduce_implILb1ES3_NS6_12zip_iteratorINS7_INS6_11hip_rocprim26transform_input_iterator_tIbNSD_35transform_pair_of_input_iterators_tIbNS6_6detail15normal_iteratorINS6_10device_ptrIKiEEEESL_NS6_8equal_toIiEEEENSG_9not_fun_tINSD_8identityEEEEENSD_19counting_iterator_tIlEES8_S8_S8_S8_S8_S8_S8_S8_EEEEPS9_S9_NSD_9__find_if7functorIS9_EEEE10hipError_tPvRmT1_T2_T3_mT4_P12ihipStream_tbEUlT_E1_NS1_11comp_targetILNS1_3genE10ELNS1_11target_archE1200ELNS1_3gpuE4ELNS1_3repE0EEENS1_30default_config_static_selectorELNS0_4arch9wavefront6targetE1EEEvS14_ ; -- Begin function _ZN7rocprim17ROCPRIM_400000_NS6detail17trampoline_kernelINS0_14default_configENS1_22reduce_config_selectorIN6thrust23THRUST_200600_302600_NS5tupleIblNS6_9null_typeES8_S8_S8_S8_S8_S8_S8_EEEEZNS1_11reduce_implILb1ES3_NS6_12zip_iteratorINS7_INS6_11hip_rocprim26transform_input_iterator_tIbNSD_35transform_pair_of_input_iterators_tIbNS6_6detail15normal_iteratorINS6_10device_ptrIKiEEEESL_NS6_8equal_toIiEEEENSG_9not_fun_tINSD_8identityEEEEENSD_19counting_iterator_tIlEES8_S8_S8_S8_S8_S8_S8_S8_EEEEPS9_S9_NSD_9__find_if7functorIS9_EEEE10hipError_tPvRmT1_T2_T3_mT4_P12ihipStream_tbEUlT_E1_NS1_11comp_targetILNS1_3genE10ELNS1_11target_archE1200ELNS1_3gpuE4ELNS1_3repE0EEENS1_30default_config_static_selectorELNS0_4arch9wavefront6targetE1EEEvS14_
	.globl	_ZN7rocprim17ROCPRIM_400000_NS6detail17trampoline_kernelINS0_14default_configENS1_22reduce_config_selectorIN6thrust23THRUST_200600_302600_NS5tupleIblNS6_9null_typeES8_S8_S8_S8_S8_S8_S8_EEEEZNS1_11reduce_implILb1ES3_NS6_12zip_iteratorINS7_INS6_11hip_rocprim26transform_input_iterator_tIbNSD_35transform_pair_of_input_iterators_tIbNS6_6detail15normal_iteratorINS6_10device_ptrIKiEEEESL_NS6_8equal_toIiEEEENSG_9not_fun_tINSD_8identityEEEEENSD_19counting_iterator_tIlEES8_S8_S8_S8_S8_S8_S8_S8_EEEEPS9_S9_NSD_9__find_if7functorIS9_EEEE10hipError_tPvRmT1_T2_T3_mT4_P12ihipStream_tbEUlT_E1_NS1_11comp_targetILNS1_3genE10ELNS1_11target_archE1200ELNS1_3gpuE4ELNS1_3repE0EEENS1_30default_config_static_selectorELNS0_4arch9wavefront6targetE1EEEvS14_
	.p2align	8
	.type	_ZN7rocprim17ROCPRIM_400000_NS6detail17trampoline_kernelINS0_14default_configENS1_22reduce_config_selectorIN6thrust23THRUST_200600_302600_NS5tupleIblNS6_9null_typeES8_S8_S8_S8_S8_S8_S8_EEEEZNS1_11reduce_implILb1ES3_NS6_12zip_iteratorINS7_INS6_11hip_rocprim26transform_input_iterator_tIbNSD_35transform_pair_of_input_iterators_tIbNS6_6detail15normal_iteratorINS6_10device_ptrIKiEEEESL_NS6_8equal_toIiEEEENSG_9not_fun_tINSD_8identityEEEEENSD_19counting_iterator_tIlEES8_S8_S8_S8_S8_S8_S8_S8_EEEEPS9_S9_NSD_9__find_if7functorIS9_EEEE10hipError_tPvRmT1_T2_T3_mT4_P12ihipStream_tbEUlT_E1_NS1_11comp_targetILNS1_3genE10ELNS1_11target_archE1200ELNS1_3gpuE4ELNS1_3repE0EEENS1_30default_config_static_selectorELNS0_4arch9wavefront6targetE1EEEvS14_,@function
_ZN7rocprim17ROCPRIM_400000_NS6detail17trampoline_kernelINS0_14default_configENS1_22reduce_config_selectorIN6thrust23THRUST_200600_302600_NS5tupleIblNS6_9null_typeES8_S8_S8_S8_S8_S8_S8_EEEEZNS1_11reduce_implILb1ES3_NS6_12zip_iteratorINS7_INS6_11hip_rocprim26transform_input_iterator_tIbNSD_35transform_pair_of_input_iterators_tIbNS6_6detail15normal_iteratorINS6_10device_ptrIKiEEEESL_NS6_8equal_toIiEEEENSG_9not_fun_tINSD_8identityEEEEENSD_19counting_iterator_tIlEES8_S8_S8_S8_S8_S8_S8_S8_EEEEPS9_S9_NSD_9__find_if7functorIS9_EEEE10hipError_tPvRmT1_T2_T3_mT4_P12ihipStream_tbEUlT_E1_NS1_11comp_targetILNS1_3genE10ELNS1_11target_archE1200ELNS1_3gpuE4ELNS1_3repE0EEENS1_30default_config_static_selectorELNS0_4arch9wavefront6targetE1EEEvS14_: ; @_ZN7rocprim17ROCPRIM_400000_NS6detail17trampoline_kernelINS0_14default_configENS1_22reduce_config_selectorIN6thrust23THRUST_200600_302600_NS5tupleIblNS6_9null_typeES8_S8_S8_S8_S8_S8_S8_EEEEZNS1_11reduce_implILb1ES3_NS6_12zip_iteratorINS7_INS6_11hip_rocprim26transform_input_iterator_tIbNSD_35transform_pair_of_input_iterators_tIbNS6_6detail15normal_iteratorINS6_10device_ptrIKiEEEESL_NS6_8equal_toIiEEEENSG_9not_fun_tINSD_8identityEEEEENSD_19counting_iterator_tIlEES8_S8_S8_S8_S8_S8_S8_S8_EEEEPS9_S9_NSD_9__find_if7functorIS9_EEEE10hipError_tPvRmT1_T2_T3_mT4_P12ihipStream_tbEUlT_E1_NS1_11comp_targetILNS1_3genE10ELNS1_11target_archE1200ELNS1_3gpuE4ELNS1_3repE0EEENS1_30default_config_static_selectorELNS0_4arch9wavefront6targetE1EEEvS14_
; %bb.0:
	.section	.rodata,"a",@progbits
	.p2align	6, 0x0
	.amdhsa_kernel _ZN7rocprim17ROCPRIM_400000_NS6detail17trampoline_kernelINS0_14default_configENS1_22reduce_config_selectorIN6thrust23THRUST_200600_302600_NS5tupleIblNS6_9null_typeES8_S8_S8_S8_S8_S8_S8_EEEEZNS1_11reduce_implILb1ES3_NS6_12zip_iteratorINS7_INS6_11hip_rocprim26transform_input_iterator_tIbNSD_35transform_pair_of_input_iterators_tIbNS6_6detail15normal_iteratorINS6_10device_ptrIKiEEEESL_NS6_8equal_toIiEEEENSG_9not_fun_tINSD_8identityEEEEENSD_19counting_iterator_tIlEES8_S8_S8_S8_S8_S8_S8_S8_EEEEPS9_S9_NSD_9__find_if7functorIS9_EEEE10hipError_tPvRmT1_T2_T3_mT4_P12ihipStream_tbEUlT_E1_NS1_11comp_targetILNS1_3genE10ELNS1_11target_archE1200ELNS1_3gpuE4ELNS1_3repE0EEENS1_30default_config_static_selectorELNS0_4arch9wavefront6targetE1EEEvS14_
		.amdhsa_group_segment_fixed_size 0
		.amdhsa_private_segment_fixed_size 0
		.amdhsa_kernarg_size 88
		.amdhsa_user_sgpr_count 2
		.amdhsa_user_sgpr_dispatch_ptr 0
		.amdhsa_user_sgpr_queue_ptr 0
		.amdhsa_user_sgpr_kernarg_segment_ptr 1
		.amdhsa_user_sgpr_dispatch_id 0
		.amdhsa_user_sgpr_kernarg_preload_length 0
		.amdhsa_user_sgpr_kernarg_preload_offset 0
		.amdhsa_user_sgpr_private_segment_size 0
		.amdhsa_uses_dynamic_stack 0
		.amdhsa_enable_private_segment 0
		.amdhsa_system_sgpr_workgroup_id_x 1
		.amdhsa_system_sgpr_workgroup_id_y 0
		.amdhsa_system_sgpr_workgroup_id_z 0
		.amdhsa_system_sgpr_workgroup_info 0
		.amdhsa_system_vgpr_workitem_id 0
		.amdhsa_next_free_vgpr 1
		.amdhsa_next_free_sgpr 0
		.amdhsa_accum_offset 4
		.amdhsa_reserve_vcc 0
		.amdhsa_float_round_mode_32 0
		.amdhsa_float_round_mode_16_64 0
		.amdhsa_float_denorm_mode_32 3
		.amdhsa_float_denorm_mode_16_64 3
		.amdhsa_dx10_clamp 1
		.amdhsa_ieee_mode 1
		.amdhsa_fp16_overflow 0
		.amdhsa_tg_split 0
		.amdhsa_exception_fp_ieee_invalid_op 0
		.amdhsa_exception_fp_denorm_src 0
		.amdhsa_exception_fp_ieee_div_zero 0
		.amdhsa_exception_fp_ieee_overflow 0
		.amdhsa_exception_fp_ieee_underflow 0
		.amdhsa_exception_fp_ieee_inexact 0
		.amdhsa_exception_int_div_zero 0
	.end_amdhsa_kernel
	.section	.text._ZN7rocprim17ROCPRIM_400000_NS6detail17trampoline_kernelINS0_14default_configENS1_22reduce_config_selectorIN6thrust23THRUST_200600_302600_NS5tupleIblNS6_9null_typeES8_S8_S8_S8_S8_S8_S8_EEEEZNS1_11reduce_implILb1ES3_NS6_12zip_iteratorINS7_INS6_11hip_rocprim26transform_input_iterator_tIbNSD_35transform_pair_of_input_iterators_tIbNS6_6detail15normal_iteratorINS6_10device_ptrIKiEEEESL_NS6_8equal_toIiEEEENSG_9not_fun_tINSD_8identityEEEEENSD_19counting_iterator_tIlEES8_S8_S8_S8_S8_S8_S8_S8_EEEEPS9_S9_NSD_9__find_if7functorIS9_EEEE10hipError_tPvRmT1_T2_T3_mT4_P12ihipStream_tbEUlT_E1_NS1_11comp_targetILNS1_3genE10ELNS1_11target_archE1200ELNS1_3gpuE4ELNS1_3repE0EEENS1_30default_config_static_selectorELNS0_4arch9wavefront6targetE1EEEvS14_,"axG",@progbits,_ZN7rocprim17ROCPRIM_400000_NS6detail17trampoline_kernelINS0_14default_configENS1_22reduce_config_selectorIN6thrust23THRUST_200600_302600_NS5tupleIblNS6_9null_typeES8_S8_S8_S8_S8_S8_S8_EEEEZNS1_11reduce_implILb1ES3_NS6_12zip_iteratorINS7_INS6_11hip_rocprim26transform_input_iterator_tIbNSD_35transform_pair_of_input_iterators_tIbNS6_6detail15normal_iteratorINS6_10device_ptrIKiEEEESL_NS6_8equal_toIiEEEENSG_9not_fun_tINSD_8identityEEEEENSD_19counting_iterator_tIlEES8_S8_S8_S8_S8_S8_S8_S8_EEEEPS9_S9_NSD_9__find_if7functorIS9_EEEE10hipError_tPvRmT1_T2_T3_mT4_P12ihipStream_tbEUlT_E1_NS1_11comp_targetILNS1_3genE10ELNS1_11target_archE1200ELNS1_3gpuE4ELNS1_3repE0EEENS1_30default_config_static_selectorELNS0_4arch9wavefront6targetE1EEEvS14_,comdat
.Lfunc_end1488:
	.size	_ZN7rocprim17ROCPRIM_400000_NS6detail17trampoline_kernelINS0_14default_configENS1_22reduce_config_selectorIN6thrust23THRUST_200600_302600_NS5tupleIblNS6_9null_typeES8_S8_S8_S8_S8_S8_S8_EEEEZNS1_11reduce_implILb1ES3_NS6_12zip_iteratorINS7_INS6_11hip_rocprim26transform_input_iterator_tIbNSD_35transform_pair_of_input_iterators_tIbNS6_6detail15normal_iteratorINS6_10device_ptrIKiEEEESL_NS6_8equal_toIiEEEENSG_9not_fun_tINSD_8identityEEEEENSD_19counting_iterator_tIlEES8_S8_S8_S8_S8_S8_S8_S8_EEEEPS9_S9_NSD_9__find_if7functorIS9_EEEE10hipError_tPvRmT1_T2_T3_mT4_P12ihipStream_tbEUlT_E1_NS1_11comp_targetILNS1_3genE10ELNS1_11target_archE1200ELNS1_3gpuE4ELNS1_3repE0EEENS1_30default_config_static_selectorELNS0_4arch9wavefront6targetE1EEEvS14_, .Lfunc_end1488-_ZN7rocprim17ROCPRIM_400000_NS6detail17trampoline_kernelINS0_14default_configENS1_22reduce_config_selectorIN6thrust23THRUST_200600_302600_NS5tupleIblNS6_9null_typeES8_S8_S8_S8_S8_S8_S8_EEEEZNS1_11reduce_implILb1ES3_NS6_12zip_iteratorINS7_INS6_11hip_rocprim26transform_input_iterator_tIbNSD_35transform_pair_of_input_iterators_tIbNS6_6detail15normal_iteratorINS6_10device_ptrIKiEEEESL_NS6_8equal_toIiEEEENSG_9not_fun_tINSD_8identityEEEEENSD_19counting_iterator_tIlEES8_S8_S8_S8_S8_S8_S8_S8_EEEEPS9_S9_NSD_9__find_if7functorIS9_EEEE10hipError_tPvRmT1_T2_T3_mT4_P12ihipStream_tbEUlT_E1_NS1_11comp_targetILNS1_3genE10ELNS1_11target_archE1200ELNS1_3gpuE4ELNS1_3repE0EEENS1_30default_config_static_selectorELNS0_4arch9wavefront6targetE1EEEvS14_
                                        ; -- End function
	.set _ZN7rocprim17ROCPRIM_400000_NS6detail17trampoline_kernelINS0_14default_configENS1_22reduce_config_selectorIN6thrust23THRUST_200600_302600_NS5tupleIblNS6_9null_typeES8_S8_S8_S8_S8_S8_S8_EEEEZNS1_11reduce_implILb1ES3_NS6_12zip_iteratorINS7_INS6_11hip_rocprim26transform_input_iterator_tIbNSD_35transform_pair_of_input_iterators_tIbNS6_6detail15normal_iteratorINS6_10device_ptrIKiEEEESL_NS6_8equal_toIiEEEENSG_9not_fun_tINSD_8identityEEEEENSD_19counting_iterator_tIlEES8_S8_S8_S8_S8_S8_S8_S8_EEEEPS9_S9_NSD_9__find_if7functorIS9_EEEE10hipError_tPvRmT1_T2_T3_mT4_P12ihipStream_tbEUlT_E1_NS1_11comp_targetILNS1_3genE10ELNS1_11target_archE1200ELNS1_3gpuE4ELNS1_3repE0EEENS1_30default_config_static_selectorELNS0_4arch9wavefront6targetE1EEEvS14_.num_vgpr, 0
	.set _ZN7rocprim17ROCPRIM_400000_NS6detail17trampoline_kernelINS0_14default_configENS1_22reduce_config_selectorIN6thrust23THRUST_200600_302600_NS5tupleIblNS6_9null_typeES8_S8_S8_S8_S8_S8_S8_EEEEZNS1_11reduce_implILb1ES3_NS6_12zip_iteratorINS7_INS6_11hip_rocprim26transform_input_iterator_tIbNSD_35transform_pair_of_input_iterators_tIbNS6_6detail15normal_iteratorINS6_10device_ptrIKiEEEESL_NS6_8equal_toIiEEEENSG_9not_fun_tINSD_8identityEEEEENSD_19counting_iterator_tIlEES8_S8_S8_S8_S8_S8_S8_S8_EEEEPS9_S9_NSD_9__find_if7functorIS9_EEEE10hipError_tPvRmT1_T2_T3_mT4_P12ihipStream_tbEUlT_E1_NS1_11comp_targetILNS1_3genE10ELNS1_11target_archE1200ELNS1_3gpuE4ELNS1_3repE0EEENS1_30default_config_static_selectorELNS0_4arch9wavefront6targetE1EEEvS14_.num_agpr, 0
	.set _ZN7rocprim17ROCPRIM_400000_NS6detail17trampoline_kernelINS0_14default_configENS1_22reduce_config_selectorIN6thrust23THRUST_200600_302600_NS5tupleIblNS6_9null_typeES8_S8_S8_S8_S8_S8_S8_EEEEZNS1_11reduce_implILb1ES3_NS6_12zip_iteratorINS7_INS6_11hip_rocprim26transform_input_iterator_tIbNSD_35transform_pair_of_input_iterators_tIbNS6_6detail15normal_iteratorINS6_10device_ptrIKiEEEESL_NS6_8equal_toIiEEEENSG_9not_fun_tINSD_8identityEEEEENSD_19counting_iterator_tIlEES8_S8_S8_S8_S8_S8_S8_S8_EEEEPS9_S9_NSD_9__find_if7functorIS9_EEEE10hipError_tPvRmT1_T2_T3_mT4_P12ihipStream_tbEUlT_E1_NS1_11comp_targetILNS1_3genE10ELNS1_11target_archE1200ELNS1_3gpuE4ELNS1_3repE0EEENS1_30default_config_static_selectorELNS0_4arch9wavefront6targetE1EEEvS14_.numbered_sgpr, 0
	.set _ZN7rocprim17ROCPRIM_400000_NS6detail17trampoline_kernelINS0_14default_configENS1_22reduce_config_selectorIN6thrust23THRUST_200600_302600_NS5tupleIblNS6_9null_typeES8_S8_S8_S8_S8_S8_S8_EEEEZNS1_11reduce_implILb1ES3_NS6_12zip_iteratorINS7_INS6_11hip_rocprim26transform_input_iterator_tIbNSD_35transform_pair_of_input_iterators_tIbNS6_6detail15normal_iteratorINS6_10device_ptrIKiEEEESL_NS6_8equal_toIiEEEENSG_9not_fun_tINSD_8identityEEEEENSD_19counting_iterator_tIlEES8_S8_S8_S8_S8_S8_S8_S8_EEEEPS9_S9_NSD_9__find_if7functorIS9_EEEE10hipError_tPvRmT1_T2_T3_mT4_P12ihipStream_tbEUlT_E1_NS1_11comp_targetILNS1_3genE10ELNS1_11target_archE1200ELNS1_3gpuE4ELNS1_3repE0EEENS1_30default_config_static_selectorELNS0_4arch9wavefront6targetE1EEEvS14_.num_named_barrier, 0
	.set _ZN7rocprim17ROCPRIM_400000_NS6detail17trampoline_kernelINS0_14default_configENS1_22reduce_config_selectorIN6thrust23THRUST_200600_302600_NS5tupleIblNS6_9null_typeES8_S8_S8_S8_S8_S8_S8_EEEEZNS1_11reduce_implILb1ES3_NS6_12zip_iteratorINS7_INS6_11hip_rocprim26transform_input_iterator_tIbNSD_35transform_pair_of_input_iterators_tIbNS6_6detail15normal_iteratorINS6_10device_ptrIKiEEEESL_NS6_8equal_toIiEEEENSG_9not_fun_tINSD_8identityEEEEENSD_19counting_iterator_tIlEES8_S8_S8_S8_S8_S8_S8_S8_EEEEPS9_S9_NSD_9__find_if7functorIS9_EEEE10hipError_tPvRmT1_T2_T3_mT4_P12ihipStream_tbEUlT_E1_NS1_11comp_targetILNS1_3genE10ELNS1_11target_archE1200ELNS1_3gpuE4ELNS1_3repE0EEENS1_30default_config_static_selectorELNS0_4arch9wavefront6targetE1EEEvS14_.private_seg_size, 0
	.set _ZN7rocprim17ROCPRIM_400000_NS6detail17trampoline_kernelINS0_14default_configENS1_22reduce_config_selectorIN6thrust23THRUST_200600_302600_NS5tupleIblNS6_9null_typeES8_S8_S8_S8_S8_S8_S8_EEEEZNS1_11reduce_implILb1ES3_NS6_12zip_iteratorINS7_INS6_11hip_rocprim26transform_input_iterator_tIbNSD_35transform_pair_of_input_iterators_tIbNS6_6detail15normal_iteratorINS6_10device_ptrIKiEEEESL_NS6_8equal_toIiEEEENSG_9not_fun_tINSD_8identityEEEEENSD_19counting_iterator_tIlEES8_S8_S8_S8_S8_S8_S8_S8_EEEEPS9_S9_NSD_9__find_if7functorIS9_EEEE10hipError_tPvRmT1_T2_T3_mT4_P12ihipStream_tbEUlT_E1_NS1_11comp_targetILNS1_3genE10ELNS1_11target_archE1200ELNS1_3gpuE4ELNS1_3repE0EEENS1_30default_config_static_selectorELNS0_4arch9wavefront6targetE1EEEvS14_.uses_vcc, 0
	.set _ZN7rocprim17ROCPRIM_400000_NS6detail17trampoline_kernelINS0_14default_configENS1_22reduce_config_selectorIN6thrust23THRUST_200600_302600_NS5tupleIblNS6_9null_typeES8_S8_S8_S8_S8_S8_S8_EEEEZNS1_11reduce_implILb1ES3_NS6_12zip_iteratorINS7_INS6_11hip_rocprim26transform_input_iterator_tIbNSD_35transform_pair_of_input_iterators_tIbNS6_6detail15normal_iteratorINS6_10device_ptrIKiEEEESL_NS6_8equal_toIiEEEENSG_9not_fun_tINSD_8identityEEEEENSD_19counting_iterator_tIlEES8_S8_S8_S8_S8_S8_S8_S8_EEEEPS9_S9_NSD_9__find_if7functorIS9_EEEE10hipError_tPvRmT1_T2_T3_mT4_P12ihipStream_tbEUlT_E1_NS1_11comp_targetILNS1_3genE10ELNS1_11target_archE1200ELNS1_3gpuE4ELNS1_3repE0EEENS1_30default_config_static_selectorELNS0_4arch9wavefront6targetE1EEEvS14_.uses_flat_scratch, 0
	.set _ZN7rocprim17ROCPRIM_400000_NS6detail17trampoline_kernelINS0_14default_configENS1_22reduce_config_selectorIN6thrust23THRUST_200600_302600_NS5tupleIblNS6_9null_typeES8_S8_S8_S8_S8_S8_S8_EEEEZNS1_11reduce_implILb1ES3_NS6_12zip_iteratorINS7_INS6_11hip_rocprim26transform_input_iterator_tIbNSD_35transform_pair_of_input_iterators_tIbNS6_6detail15normal_iteratorINS6_10device_ptrIKiEEEESL_NS6_8equal_toIiEEEENSG_9not_fun_tINSD_8identityEEEEENSD_19counting_iterator_tIlEES8_S8_S8_S8_S8_S8_S8_S8_EEEEPS9_S9_NSD_9__find_if7functorIS9_EEEE10hipError_tPvRmT1_T2_T3_mT4_P12ihipStream_tbEUlT_E1_NS1_11comp_targetILNS1_3genE10ELNS1_11target_archE1200ELNS1_3gpuE4ELNS1_3repE0EEENS1_30default_config_static_selectorELNS0_4arch9wavefront6targetE1EEEvS14_.has_dyn_sized_stack, 0
	.set _ZN7rocprim17ROCPRIM_400000_NS6detail17trampoline_kernelINS0_14default_configENS1_22reduce_config_selectorIN6thrust23THRUST_200600_302600_NS5tupleIblNS6_9null_typeES8_S8_S8_S8_S8_S8_S8_EEEEZNS1_11reduce_implILb1ES3_NS6_12zip_iteratorINS7_INS6_11hip_rocprim26transform_input_iterator_tIbNSD_35transform_pair_of_input_iterators_tIbNS6_6detail15normal_iteratorINS6_10device_ptrIKiEEEESL_NS6_8equal_toIiEEEENSG_9not_fun_tINSD_8identityEEEEENSD_19counting_iterator_tIlEES8_S8_S8_S8_S8_S8_S8_S8_EEEEPS9_S9_NSD_9__find_if7functorIS9_EEEE10hipError_tPvRmT1_T2_T3_mT4_P12ihipStream_tbEUlT_E1_NS1_11comp_targetILNS1_3genE10ELNS1_11target_archE1200ELNS1_3gpuE4ELNS1_3repE0EEENS1_30default_config_static_selectorELNS0_4arch9wavefront6targetE1EEEvS14_.has_recursion, 0
	.set _ZN7rocprim17ROCPRIM_400000_NS6detail17trampoline_kernelINS0_14default_configENS1_22reduce_config_selectorIN6thrust23THRUST_200600_302600_NS5tupleIblNS6_9null_typeES8_S8_S8_S8_S8_S8_S8_EEEEZNS1_11reduce_implILb1ES3_NS6_12zip_iteratorINS7_INS6_11hip_rocprim26transform_input_iterator_tIbNSD_35transform_pair_of_input_iterators_tIbNS6_6detail15normal_iteratorINS6_10device_ptrIKiEEEESL_NS6_8equal_toIiEEEENSG_9not_fun_tINSD_8identityEEEEENSD_19counting_iterator_tIlEES8_S8_S8_S8_S8_S8_S8_S8_EEEEPS9_S9_NSD_9__find_if7functorIS9_EEEE10hipError_tPvRmT1_T2_T3_mT4_P12ihipStream_tbEUlT_E1_NS1_11comp_targetILNS1_3genE10ELNS1_11target_archE1200ELNS1_3gpuE4ELNS1_3repE0EEENS1_30default_config_static_selectorELNS0_4arch9wavefront6targetE1EEEvS14_.has_indirect_call, 0
	.section	.AMDGPU.csdata,"",@progbits
; Kernel info:
; codeLenInByte = 0
; TotalNumSgprs: 6
; NumVgprs: 0
; NumAgprs: 0
; TotalNumVgprs: 0
; ScratchSize: 0
; MemoryBound: 0
; FloatMode: 240
; IeeeMode: 1
; LDSByteSize: 0 bytes/workgroup (compile time only)
; SGPRBlocks: 0
; VGPRBlocks: 0
; NumSGPRsForWavesPerEU: 6
; NumVGPRsForWavesPerEU: 1
; AccumOffset: 4
; Occupancy: 8
; WaveLimiterHint : 0
; COMPUTE_PGM_RSRC2:SCRATCH_EN: 0
; COMPUTE_PGM_RSRC2:USER_SGPR: 2
; COMPUTE_PGM_RSRC2:TRAP_HANDLER: 0
; COMPUTE_PGM_RSRC2:TGID_X_EN: 1
; COMPUTE_PGM_RSRC2:TGID_Y_EN: 0
; COMPUTE_PGM_RSRC2:TGID_Z_EN: 0
; COMPUTE_PGM_RSRC2:TIDIG_COMP_CNT: 0
; COMPUTE_PGM_RSRC3_GFX90A:ACCUM_OFFSET: 0
; COMPUTE_PGM_RSRC3_GFX90A:TG_SPLIT: 0
	.section	.text._ZN7rocprim17ROCPRIM_400000_NS6detail17trampoline_kernelINS0_14default_configENS1_22reduce_config_selectorIN6thrust23THRUST_200600_302600_NS5tupleIblNS6_9null_typeES8_S8_S8_S8_S8_S8_S8_EEEEZNS1_11reduce_implILb1ES3_NS6_12zip_iteratorINS7_INS6_11hip_rocprim26transform_input_iterator_tIbNSD_35transform_pair_of_input_iterators_tIbNS6_6detail15normal_iteratorINS6_10device_ptrIKiEEEESL_NS6_8equal_toIiEEEENSG_9not_fun_tINSD_8identityEEEEENSD_19counting_iterator_tIlEES8_S8_S8_S8_S8_S8_S8_S8_EEEEPS9_S9_NSD_9__find_if7functorIS9_EEEE10hipError_tPvRmT1_T2_T3_mT4_P12ihipStream_tbEUlT_E1_NS1_11comp_targetILNS1_3genE9ELNS1_11target_archE1100ELNS1_3gpuE3ELNS1_3repE0EEENS1_30default_config_static_selectorELNS0_4arch9wavefront6targetE1EEEvS14_,"axG",@progbits,_ZN7rocprim17ROCPRIM_400000_NS6detail17trampoline_kernelINS0_14default_configENS1_22reduce_config_selectorIN6thrust23THRUST_200600_302600_NS5tupleIblNS6_9null_typeES8_S8_S8_S8_S8_S8_S8_EEEEZNS1_11reduce_implILb1ES3_NS6_12zip_iteratorINS7_INS6_11hip_rocprim26transform_input_iterator_tIbNSD_35transform_pair_of_input_iterators_tIbNS6_6detail15normal_iteratorINS6_10device_ptrIKiEEEESL_NS6_8equal_toIiEEEENSG_9not_fun_tINSD_8identityEEEEENSD_19counting_iterator_tIlEES8_S8_S8_S8_S8_S8_S8_S8_EEEEPS9_S9_NSD_9__find_if7functorIS9_EEEE10hipError_tPvRmT1_T2_T3_mT4_P12ihipStream_tbEUlT_E1_NS1_11comp_targetILNS1_3genE9ELNS1_11target_archE1100ELNS1_3gpuE3ELNS1_3repE0EEENS1_30default_config_static_selectorELNS0_4arch9wavefront6targetE1EEEvS14_,comdat
	.protected	_ZN7rocprim17ROCPRIM_400000_NS6detail17trampoline_kernelINS0_14default_configENS1_22reduce_config_selectorIN6thrust23THRUST_200600_302600_NS5tupleIblNS6_9null_typeES8_S8_S8_S8_S8_S8_S8_EEEEZNS1_11reduce_implILb1ES3_NS6_12zip_iteratorINS7_INS6_11hip_rocprim26transform_input_iterator_tIbNSD_35transform_pair_of_input_iterators_tIbNS6_6detail15normal_iteratorINS6_10device_ptrIKiEEEESL_NS6_8equal_toIiEEEENSG_9not_fun_tINSD_8identityEEEEENSD_19counting_iterator_tIlEES8_S8_S8_S8_S8_S8_S8_S8_EEEEPS9_S9_NSD_9__find_if7functorIS9_EEEE10hipError_tPvRmT1_T2_T3_mT4_P12ihipStream_tbEUlT_E1_NS1_11comp_targetILNS1_3genE9ELNS1_11target_archE1100ELNS1_3gpuE3ELNS1_3repE0EEENS1_30default_config_static_selectorELNS0_4arch9wavefront6targetE1EEEvS14_ ; -- Begin function _ZN7rocprim17ROCPRIM_400000_NS6detail17trampoline_kernelINS0_14default_configENS1_22reduce_config_selectorIN6thrust23THRUST_200600_302600_NS5tupleIblNS6_9null_typeES8_S8_S8_S8_S8_S8_S8_EEEEZNS1_11reduce_implILb1ES3_NS6_12zip_iteratorINS7_INS6_11hip_rocprim26transform_input_iterator_tIbNSD_35transform_pair_of_input_iterators_tIbNS6_6detail15normal_iteratorINS6_10device_ptrIKiEEEESL_NS6_8equal_toIiEEEENSG_9not_fun_tINSD_8identityEEEEENSD_19counting_iterator_tIlEES8_S8_S8_S8_S8_S8_S8_S8_EEEEPS9_S9_NSD_9__find_if7functorIS9_EEEE10hipError_tPvRmT1_T2_T3_mT4_P12ihipStream_tbEUlT_E1_NS1_11comp_targetILNS1_3genE9ELNS1_11target_archE1100ELNS1_3gpuE3ELNS1_3repE0EEENS1_30default_config_static_selectorELNS0_4arch9wavefront6targetE1EEEvS14_
	.globl	_ZN7rocprim17ROCPRIM_400000_NS6detail17trampoline_kernelINS0_14default_configENS1_22reduce_config_selectorIN6thrust23THRUST_200600_302600_NS5tupleIblNS6_9null_typeES8_S8_S8_S8_S8_S8_S8_EEEEZNS1_11reduce_implILb1ES3_NS6_12zip_iteratorINS7_INS6_11hip_rocprim26transform_input_iterator_tIbNSD_35transform_pair_of_input_iterators_tIbNS6_6detail15normal_iteratorINS6_10device_ptrIKiEEEESL_NS6_8equal_toIiEEEENSG_9not_fun_tINSD_8identityEEEEENSD_19counting_iterator_tIlEES8_S8_S8_S8_S8_S8_S8_S8_EEEEPS9_S9_NSD_9__find_if7functorIS9_EEEE10hipError_tPvRmT1_T2_T3_mT4_P12ihipStream_tbEUlT_E1_NS1_11comp_targetILNS1_3genE9ELNS1_11target_archE1100ELNS1_3gpuE3ELNS1_3repE0EEENS1_30default_config_static_selectorELNS0_4arch9wavefront6targetE1EEEvS14_
	.p2align	8
	.type	_ZN7rocprim17ROCPRIM_400000_NS6detail17trampoline_kernelINS0_14default_configENS1_22reduce_config_selectorIN6thrust23THRUST_200600_302600_NS5tupleIblNS6_9null_typeES8_S8_S8_S8_S8_S8_S8_EEEEZNS1_11reduce_implILb1ES3_NS6_12zip_iteratorINS7_INS6_11hip_rocprim26transform_input_iterator_tIbNSD_35transform_pair_of_input_iterators_tIbNS6_6detail15normal_iteratorINS6_10device_ptrIKiEEEESL_NS6_8equal_toIiEEEENSG_9not_fun_tINSD_8identityEEEEENSD_19counting_iterator_tIlEES8_S8_S8_S8_S8_S8_S8_S8_EEEEPS9_S9_NSD_9__find_if7functorIS9_EEEE10hipError_tPvRmT1_T2_T3_mT4_P12ihipStream_tbEUlT_E1_NS1_11comp_targetILNS1_3genE9ELNS1_11target_archE1100ELNS1_3gpuE3ELNS1_3repE0EEENS1_30default_config_static_selectorELNS0_4arch9wavefront6targetE1EEEvS14_,@function
_ZN7rocprim17ROCPRIM_400000_NS6detail17trampoline_kernelINS0_14default_configENS1_22reduce_config_selectorIN6thrust23THRUST_200600_302600_NS5tupleIblNS6_9null_typeES8_S8_S8_S8_S8_S8_S8_EEEEZNS1_11reduce_implILb1ES3_NS6_12zip_iteratorINS7_INS6_11hip_rocprim26transform_input_iterator_tIbNSD_35transform_pair_of_input_iterators_tIbNS6_6detail15normal_iteratorINS6_10device_ptrIKiEEEESL_NS6_8equal_toIiEEEENSG_9not_fun_tINSD_8identityEEEEENSD_19counting_iterator_tIlEES8_S8_S8_S8_S8_S8_S8_S8_EEEEPS9_S9_NSD_9__find_if7functorIS9_EEEE10hipError_tPvRmT1_T2_T3_mT4_P12ihipStream_tbEUlT_E1_NS1_11comp_targetILNS1_3genE9ELNS1_11target_archE1100ELNS1_3gpuE3ELNS1_3repE0EEENS1_30default_config_static_selectorELNS0_4arch9wavefront6targetE1EEEvS14_: ; @_ZN7rocprim17ROCPRIM_400000_NS6detail17trampoline_kernelINS0_14default_configENS1_22reduce_config_selectorIN6thrust23THRUST_200600_302600_NS5tupleIblNS6_9null_typeES8_S8_S8_S8_S8_S8_S8_EEEEZNS1_11reduce_implILb1ES3_NS6_12zip_iteratorINS7_INS6_11hip_rocprim26transform_input_iterator_tIbNSD_35transform_pair_of_input_iterators_tIbNS6_6detail15normal_iteratorINS6_10device_ptrIKiEEEESL_NS6_8equal_toIiEEEENSG_9not_fun_tINSD_8identityEEEEENSD_19counting_iterator_tIlEES8_S8_S8_S8_S8_S8_S8_S8_EEEEPS9_S9_NSD_9__find_if7functorIS9_EEEE10hipError_tPvRmT1_T2_T3_mT4_P12ihipStream_tbEUlT_E1_NS1_11comp_targetILNS1_3genE9ELNS1_11target_archE1100ELNS1_3gpuE3ELNS1_3repE0EEENS1_30default_config_static_selectorELNS0_4arch9wavefront6targetE1EEEvS14_
; %bb.0:
	.section	.rodata,"a",@progbits
	.p2align	6, 0x0
	.amdhsa_kernel _ZN7rocprim17ROCPRIM_400000_NS6detail17trampoline_kernelINS0_14default_configENS1_22reduce_config_selectorIN6thrust23THRUST_200600_302600_NS5tupleIblNS6_9null_typeES8_S8_S8_S8_S8_S8_S8_EEEEZNS1_11reduce_implILb1ES3_NS6_12zip_iteratorINS7_INS6_11hip_rocprim26transform_input_iterator_tIbNSD_35transform_pair_of_input_iterators_tIbNS6_6detail15normal_iteratorINS6_10device_ptrIKiEEEESL_NS6_8equal_toIiEEEENSG_9not_fun_tINSD_8identityEEEEENSD_19counting_iterator_tIlEES8_S8_S8_S8_S8_S8_S8_S8_EEEEPS9_S9_NSD_9__find_if7functorIS9_EEEE10hipError_tPvRmT1_T2_T3_mT4_P12ihipStream_tbEUlT_E1_NS1_11comp_targetILNS1_3genE9ELNS1_11target_archE1100ELNS1_3gpuE3ELNS1_3repE0EEENS1_30default_config_static_selectorELNS0_4arch9wavefront6targetE1EEEvS14_
		.amdhsa_group_segment_fixed_size 0
		.amdhsa_private_segment_fixed_size 0
		.amdhsa_kernarg_size 88
		.amdhsa_user_sgpr_count 2
		.amdhsa_user_sgpr_dispatch_ptr 0
		.amdhsa_user_sgpr_queue_ptr 0
		.amdhsa_user_sgpr_kernarg_segment_ptr 1
		.amdhsa_user_sgpr_dispatch_id 0
		.amdhsa_user_sgpr_kernarg_preload_length 0
		.amdhsa_user_sgpr_kernarg_preload_offset 0
		.amdhsa_user_sgpr_private_segment_size 0
		.amdhsa_uses_dynamic_stack 0
		.amdhsa_enable_private_segment 0
		.amdhsa_system_sgpr_workgroup_id_x 1
		.amdhsa_system_sgpr_workgroup_id_y 0
		.amdhsa_system_sgpr_workgroup_id_z 0
		.amdhsa_system_sgpr_workgroup_info 0
		.amdhsa_system_vgpr_workitem_id 0
		.amdhsa_next_free_vgpr 1
		.amdhsa_next_free_sgpr 0
		.amdhsa_accum_offset 4
		.amdhsa_reserve_vcc 0
		.amdhsa_float_round_mode_32 0
		.amdhsa_float_round_mode_16_64 0
		.amdhsa_float_denorm_mode_32 3
		.amdhsa_float_denorm_mode_16_64 3
		.amdhsa_dx10_clamp 1
		.amdhsa_ieee_mode 1
		.amdhsa_fp16_overflow 0
		.amdhsa_tg_split 0
		.amdhsa_exception_fp_ieee_invalid_op 0
		.amdhsa_exception_fp_denorm_src 0
		.amdhsa_exception_fp_ieee_div_zero 0
		.amdhsa_exception_fp_ieee_overflow 0
		.amdhsa_exception_fp_ieee_underflow 0
		.amdhsa_exception_fp_ieee_inexact 0
		.amdhsa_exception_int_div_zero 0
	.end_amdhsa_kernel
	.section	.text._ZN7rocprim17ROCPRIM_400000_NS6detail17trampoline_kernelINS0_14default_configENS1_22reduce_config_selectorIN6thrust23THRUST_200600_302600_NS5tupleIblNS6_9null_typeES8_S8_S8_S8_S8_S8_S8_EEEEZNS1_11reduce_implILb1ES3_NS6_12zip_iteratorINS7_INS6_11hip_rocprim26transform_input_iterator_tIbNSD_35transform_pair_of_input_iterators_tIbNS6_6detail15normal_iteratorINS6_10device_ptrIKiEEEESL_NS6_8equal_toIiEEEENSG_9not_fun_tINSD_8identityEEEEENSD_19counting_iterator_tIlEES8_S8_S8_S8_S8_S8_S8_S8_EEEEPS9_S9_NSD_9__find_if7functorIS9_EEEE10hipError_tPvRmT1_T2_T3_mT4_P12ihipStream_tbEUlT_E1_NS1_11comp_targetILNS1_3genE9ELNS1_11target_archE1100ELNS1_3gpuE3ELNS1_3repE0EEENS1_30default_config_static_selectorELNS0_4arch9wavefront6targetE1EEEvS14_,"axG",@progbits,_ZN7rocprim17ROCPRIM_400000_NS6detail17trampoline_kernelINS0_14default_configENS1_22reduce_config_selectorIN6thrust23THRUST_200600_302600_NS5tupleIblNS6_9null_typeES8_S8_S8_S8_S8_S8_S8_EEEEZNS1_11reduce_implILb1ES3_NS6_12zip_iteratorINS7_INS6_11hip_rocprim26transform_input_iterator_tIbNSD_35transform_pair_of_input_iterators_tIbNS6_6detail15normal_iteratorINS6_10device_ptrIKiEEEESL_NS6_8equal_toIiEEEENSG_9not_fun_tINSD_8identityEEEEENSD_19counting_iterator_tIlEES8_S8_S8_S8_S8_S8_S8_S8_EEEEPS9_S9_NSD_9__find_if7functorIS9_EEEE10hipError_tPvRmT1_T2_T3_mT4_P12ihipStream_tbEUlT_E1_NS1_11comp_targetILNS1_3genE9ELNS1_11target_archE1100ELNS1_3gpuE3ELNS1_3repE0EEENS1_30default_config_static_selectorELNS0_4arch9wavefront6targetE1EEEvS14_,comdat
.Lfunc_end1489:
	.size	_ZN7rocprim17ROCPRIM_400000_NS6detail17trampoline_kernelINS0_14default_configENS1_22reduce_config_selectorIN6thrust23THRUST_200600_302600_NS5tupleIblNS6_9null_typeES8_S8_S8_S8_S8_S8_S8_EEEEZNS1_11reduce_implILb1ES3_NS6_12zip_iteratorINS7_INS6_11hip_rocprim26transform_input_iterator_tIbNSD_35transform_pair_of_input_iterators_tIbNS6_6detail15normal_iteratorINS6_10device_ptrIKiEEEESL_NS6_8equal_toIiEEEENSG_9not_fun_tINSD_8identityEEEEENSD_19counting_iterator_tIlEES8_S8_S8_S8_S8_S8_S8_S8_EEEEPS9_S9_NSD_9__find_if7functorIS9_EEEE10hipError_tPvRmT1_T2_T3_mT4_P12ihipStream_tbEUlT_E1_NS1_11comp_targetILNS1_3genE9ELNS1_11target_archE1100ELNS1_3gpuE3ELNS1_3repE0EEENS1_30default_config_static_selectorELNS0_4arch9wavefront6targetE1EEEvS14_, .Lfunc_end1489-_ZN7rocprim17ROCPRIM_400000_NS6detail17trampoline_kernelINS0_14default_configENS1_22reduce_config_selectorIN6thrust23THRUST_200600_302600_NS5tupleIblNS6_9null_typeES8_S8_S8_S8_S8_S8_S8_EEEEZNS1_11reduce_implILb1ES3_NS6_12zip_iteratorINS7_INS6_11hip_rocprim26transform_input_iterator_tIbNSD_35transform_pair_of_input_iterators_tIbNS6_6detail15normal_iteratorINS6_10device_ptrIKiEEEESL_NS6_8equal_toIiEEEENSG_9not_fun_tINSD_8identityEEEEENSD_19counting_iterator_tIlEES8_S8_S8_S8_S8_S8_S8_S8_EEEEPS9_S9_NSD_9__find_if7functorIS9_EEEE10hipError_tPvRmT1_T2_T3_mT4_P12ihipStream_tbEUlT_E1_NS1_11comp_targetILNS1_3genE9ELNS1_11target_archE1100ELNS1_3gpuE3ELNS1_3repE0EEENS1_30default_config_static_selectorELNS0_4arch9wavefront6targetE1EEEvS14_
                                        ; -- End function
	.set _ZN7rocprim17ROCPRIM_400000_NS6detail17trampoline_kernelINS0_14default_configENS1_22reduce_config_selectorIN6thrust23THRUST_200600_302600_NS5tupleIblNS6_9null_typeES8_S8_S8_S8_S8_S8_S8_EEEEZNS1_11reduce_implILb1ES3_NS6_12zip_iteratorINS7_INS6_11hip_rocprim26transform_input_iterator_tIbNSD_35transform_pair_of_input_iterators_tIbNS6_6detail15normal_iteratorINS6_10device_ptrIKiEEEESL_NS6_8equal_toIiEEEENSG_9not_fun_tINSD_8identityEEEEENSD_19counting_iterator_tIlEES8_S8_S8_S8_S8_S8_S8_S8_EEEEPS9_S9_NSD_9__find_if7functorIS9_EEEE10hipError_tPvRmT1_T2_T3_mT4_P12ihipStream_tbEUlT_E1_NS1_11comp_targetILNS1_3genE9ELNS1_11target_archE1100ELNS1_3gpuE3ELNS1_3repE0EEENS1_30default_config_static_selectorELNS0_4arch9wavefront6targetE1EEEvS14_.num_vgpr, 0
	.set _ZN7rocprim17ROCPRIM_400000_NS6detail17trampoline_kernelINS0_14default_configENS1_22reduce_config_selectorIN6thrust23THRUST_200600_302600_NS5tupleIblNS6_9null_typeES8_S8_S8_S8_S8_S8_S8_EEEEZNS1_11reduce_implILb1ES3_NS6_12zip_iteratorINS7_INS6_11hip_rocprim26transform_input_iterator_tIbNSD_35transform_pair_of_input_iterators_tIbNS6_6detail15normal_iteratorINS6_10device_ptrIKiEEEESL_NS6_8equal_toIiEEEENSG_9not_fun_tINSD_8identityEEEEENSD_19counting_iterator_tIlEES8_S8_S8_S8_S8_S8_S8_S8_EEEEPS9_S9_NSD_9__find_if7functorIS9_EEEE10hipError_tPvRmT1_T2_T3_mT4_P12ihipStream_tbEUlT_E1_NS1_11comp_targetILNS1_3genE9ELNS1_11target_archE1100ELNS1_3gpuE3ELNS1_3repE0EEENS1_30default_config_static_selectorELNS0_4arch9wavefront6targetE1EEEvS14_.num_agpr, 0
	.set _ZN7rocprim17ROCPRIM_400000_NS6detail17trampoline_kernelINS0_14default_configENS1_22reduce_config_selectorIN6thrust23THRUST_200600_302600_NS5tupleIblNS6_9null_typeES8_S8_S8_S8_S8_S8_S8_EEEEZNS1_11reduce_implILb1ES3_NS6_12zip_iteratorINS7_INS6_11hip_rocprim26transform_input_iterator_tIbNSD_35transform_pair_of_input_iterators_tIbNS6_6detail15normal_iteratorINS6_10device_ptrIKiEEEESL_NS6_8equal_toIiEEEENSG_9not_fun_tINSD_8identityEEEEENSD_19counting_iterator_tIlEES8_S8_S8_S8_S8_S8_S8_S8_EEEEPS9_S9_NSD_9__find_if7functorIS9_EEEE10hipError_tPvRmT1_T2_T3_mT4_P12ihipStream_tbEUlT_E1_NS1_11comp_targetILNS1_3genE9ELNS1_11target_archE1100ELNS1_3gpuE3ELNS1_3repE0EEENS1_30default_config_static_selectorELNS0_4arch9wavefront6targetE1EEEvS14_.numbered_sgpr, 0
	.set _ZN7rocprim17ROCPRIM_400000_NS6detail17trampoline_kernelINS0_14default_configENS1_22reduce_config_selectorIN6thrust23THRUST_200600_302600_NS5tupleIblNS6_9null_typeES8_S8_S8_S8_S8_S8_S8_EEEEZNS1_11reduce_implILb1ES3_NS6_12zip_iteratorINS7_INS6_11hip_rocprim26transform_input_iterator_tIbNSD_35transform_pair_of_input_iterators_tIbNS6_6detail15normal_iteratorINS6_10device_ptrIKiEEEESL_NS6_8equal_toIiEEEENSG_9not_fun_tINSD_8identityEEEEENSD_19counting_iterator_tIlEES8_S8_S8_S8_S8_S8_S8_S8_EEEEPS9_S9_NSD_9__find_if7functorIS9_EEEE10hipError_tPvRmT1_T2_T3_mT4_P12ihipStream_tbEUlT_E1_NS1_11comp_targetILNS1_3genE9ELNS1_11target_archE1100ELNS1_3gpuE3ELNS1_3repE0EEENS1_30default_config_static_selectorELNS0_4arch9wavefront6targetE1EEEvS14_.num_named_barrier, 0
	.set _ZN7rocprim17ROCPRIM_400000_NS6detail17trampoline_kernelINS0_14default_configENS1_22reduce_config_selectorIN6thrust23THRUST_200600_302600_NS5tupleIblNS6_9null_typeES8_S8_S8_S8_S8_S8_S8_EEEEZNS1_11reduce_implILb1ES3_NS6_12zip_iteratorINS7_INS6_11hip_rocprim26transform_input_iterator_tIbNSD_35transform_pair_of_input_iterators_tIbNS6_6detail15normal_iteratorINS6_10device_ptrIKiEEEESL_NS6_8equal_toIiEEEENSG_9not_fun_tINSD_8identityEEEEENSD_19counting_iterator_tIlEES8_S8_S8_S8_S8_S8_S8_S8_EEEEPS9_S9_NSD_9__find_if7functorIS9_EEEE10hipError_tPvRmT1_T2_T3_mT4_P12ihipStream_tbEUlT_E1_NS1_11comp_targetILNS1_3genE9ELNS1_11target_archE1100ELNS1_3gpuE3ELNS1_3repE0EEENS1_30default_config_static_selectorELNS0_4arch9wavefront6targetE1EEEvS14_.private_seg_size, 0
	.set _ZN7rocprim17ROCPRIM_400000_NS6detail17trampoline_kernelINS0_14default_configENS1_22reduce_config_selectorIN6thrust23THRUST_200600_302600_NS5tupleIblNS6_9null_typeES8_S8_S8_S8_S8_S8_S8_EEEEZNS1_11reduce_implILb1ES3_NS6_12zip_iteratorINS7_INS6_11hip_rocprim26transform_input_iterator_tIbNSD_35transform_pair_of_input_iterators_tIbNS6_6detail15normal_iteratorINS6_10device_ptrIKiEEEESL_NS6_8equal_toIiEEEENSG_9not_fun_tINSD_8identityEEEEENSD_19counting_iterator_tIlEES8_S8_S8_S8_S8_S8_S8_S8_EEEEPS9_S9_NSD_9__find_if7functorIS9_EEEE10hipError_tPvRmT1_T2_T3_mT4_P12ihipStream_tbEUlT_E1_NS1_11comp_targetILNS1_3genE9ELNS1_11target_archE1100ELNS1_3gpuE3ELNS1_3repE0EEENS1_30default_config_static_selectorELNS0_4arch9wavefront6targetE1EEEvS14_.uses_vcc, 0
	.set _ZN7rocprim17ROCPRIM_400000_NS6detail17trampoline_kernelINS0_14default_configENS1_22reduce_config_selectorIN6thrust23THRUST_200600_302600_NS5tupleIblNS6_9null_typeES8_S8_S8_S8_S8_S8_S8_EEEEZNS1_11reduce_implILb1ES3_NS6_12zip_iteratorINS7_INS6_11hip_rocprim26transform_input_iterator_tIbNSD_35transform_pair_of_input_iterators_tIbNS6_6detail15normal_iteratorINS6_10device_ptrIKiEEEESL_NS6_8equal_toIiEEEENSG_9not_fun_tINSD_8identityEEEEENSD_19counting_iterator_tIlEES8_S8_S8_S8_S8_S8_S8_S8_EEEEPS9_S9_NSD_9__find_if7functorIS9_EEEE10hipError_tPvRmT1_T2_T3_mT4_P12ihipStream_tbEUlT_E1_NS1_11comp_targetILNS1_3genE9ELNS1_11target_archE1100ELNS1_3gpuE3ELNS1_3repE0EEENS1_30default_config_static_selectorELNS0_4arch9wavefront6targetE1EEEvS14_.uses_flat_scratch, 0
	.set _ZN7rocprim17ROCPRIM_400000_NS6detail17trampoline_kernelINS0_14default_configENS1_22reduce_config_selectorIN6thrust23THRUST_200600_302600_NS5tupleIblNS6_9null_typeES8_S8_S8_S8_S8_S8_S8_EEEEZNS1_11reduce_implILb1ES3_NS6_12zip_iteratorINS7_INS6_11hip_rocprim26transform_input_iterator_tIbNSD_35transform_pair_of_input_iterators_tIbNS6_6detail15normal_iteratorINS6_10device_ptrIKiEEEESL_NS6_8equal_toIiEEEENSG_9not_fun_tINSD_8identityEEEEENSD_19counting_iterator_tIlEES8_S8_S8_S8_S8_S8_S8_S8_EEEEPS9_S9_NSD_9__find_if7functorIS9_EEEE10hipError_tPvRmT1_T2_T3_mT4_P12ihipStream_tbEUlT_E1_NS1_11comp_targetILNS1_3genE9ELNS1_11target_archE1100ELNS1_3gpuE3ELNS1_3repE0EEENS1_30default_config_static_selectorELNS0_4arch9wavefront6targetE1EEEvS14_.has_dyn_sized_stack, 0
	.set _ZN7rocprim17ROCPRIM_400000_NS6detail17trampoline_kernelINS0_14default_configENS1_22reduce_config_selectorIN6thrust23THRUST_200600_302600_NS5tupleIblNS6_9null_typeES8_S8_S8_S8_S8_S8_S8_EEEEZNS1_11reduce_implILb1ES3_NS6_12zip_iteratorINS7_INS6_11hip_rocprim26transform_input_iterator_tIbNSD_35transform_pair_of_input_iterators_tIbNS6_6detail15normal_iteratorINS6_10device_ptrIKiEEEESL_NS6_8equal_toIiEEEENSG_9not_fun_tINSD_8identityEEEEENSD_19counting_iterator_tIlEES8_S8_S8_S8_S8_S8_S8_S8_EEEEPS9_S9_NSD_9__find_if7functorIS9_EEEE10hipError_tPvRmT1_T2_T3_mT4_P12ihipStream_tbEUlT_E1_NS1_11comp_targetILNS1_3genE9ELNS1_11target_archE1100ELNS1_3gpuE3ELNS1_3repE0EEENS1_30default_config_static_selectorELNS0_4arch9wavefront6targetE1EEEvS14_.has_recursion, 0
	.set _ZN7rocprim17ROCPRIM_400000_NS6detail17trampoline_kernelINS0_14default_configENS1_22reduce_config_selectorIN6thrust23THRUST_200600_302600_NS5tupleIblNS6_9null_typeES8_S8_S8_S8_S8_S8_S8_EEEEZNS1_11reduce_implILb1ES3_NS6_12zip_iteratorINS7_INS6_11hip_rocprim26transform_input_iterator_tIbNSD_35transform_pair_of_input_iterators_tIbNS6_6detail15normal_iteratorINS6_10device_ptrIKiEEEESL_NS6_8equal_toIiEEEENSG_9not_fun_tINSD_8identityEEEEENSD_19counting_iterator_tIlEES8_S8_S8_S8_S8_S8_S8_S8_EEEEPS9_S9_NSD_9__find_if7functorIS9_EEEE10hipError_tPvRmT1_T2_T3_mT4_P12ihipStream_tbEUlT_E1_NS1_11comp_targetILNS1_3genE9ELNS1_11target_archE1100ELNS1_3gpuE3ELNS1_3repE0EEENS1_30default_config_static_selectorELNS0_4arch9wavefront6targetE1EEEvS14_.has_indirect_call, 0
	.section	.AMDGPU.csdata,"",@progbits
; Kernel info:
; codeLenInByte = 0
; TotalNumSgprs: 6
; NumVgprs: 0
; NumAgprs: 0
; TotalNumVgprs: 0
; ScratchSize: 0
; MemoryBound: 0
; FloatMode: 240
; IeeeMode: 1
; LDSByteSize: 0 bytes/workgroup (compile time only)
; SGPRBlocks: 0
; VGPRBlocks: 0
; NumSGPRsForWavesPerEU: 6
; NumVGPRsForWavesPerEU: 1
; AccumOffset: 4
; Occupancy: 8
; WaveLimiterHint : 0
; COMPUTE_PGM_RSRC2:SCRATCH_EN: 0
; COMPUTE_PGM_RSRC2:USER_SGPR: 2
; COMPUTE_PGM_RSRC2:TRAP_HANDLER: 0
; COMPUTE_PGM_RSRC2:TGID_X_EN: 1
; COMPUTE_PGM_RSRC2:TGID_Y_EN: 0
; COMPUTE_PGM_RSRC2:TGID_Z_EN: 0
; COMPUTE_PGM_RSRC2:TIDIG_COMP_CNT: 0
; COMPUTE_PGM_RSRC3_GFX90A:ACCUM_OFFSET: 0
; COMPUTE_PGM_RSRC3_GFX90A:TG_SPLIT: 0
	.section	.text._ZN7rocprim17ROCPRIM_400000_NS6detail17trampoline_kernelINS0_14default_configENS1_22reduce_config_selectorIN6thrust23THRUST_200600_302600_NS5tupleIblNS6_9null_typeES8_S8_S8_S8_S8_S8_S8_EEEEZNS1_11reduce_implILb1ES3_NS6_12zip_iteratorINS7_INS6_11hip_rocprim26transform_input_iterator_tIbNSD_35transform_pair_of_input_iterators_tIbNS6_6detail15normal_iteratorINS6_10device_ptrIKiEEEESL_NS6_8equal_toIiEEEENSG_9not_fun_tINSD_8identityEEEEENSD_19counting_iterator_tIlEES8_S8_S8_S8_S8_S8_S8_S8_EEEEPS9_S9_NSD_9__find_if7functorIS9_EEEE10hipError_tPvRmT1_T2_T3_mT4_P12ihipStream_tbEUlT_E1_NS1_11comp_targetILNS1_3genE8ELNS1_11target_archE1030ELNS1_3gpuE2ELNS1_3repE0EEENS1_30default_config_static_selectorELNS0_4arch9wavefront6targetE1EEEvS14_,"axG",@progbits,_ZN7rocprim17ROCPRIM_400000_NS6detail17trampoline_kernelINS0_14default_configENS1_22reduce_config_selectorIN6thrust23THRUST_200600_302600_NS5tupleIblNS6_9null_typeES8_S8_S8_S8_S8_S8_S8_EEEEZNS1_11reduce_implILb1ES3_NS6_12zip_iteratorINS7_INS6_11hip_rocprim26transform_input_iterator_tIbNSD_35transform_pair_of_input_iterators_tIbNS6_6detail15normal_iteratorINS6_10device_ptrIKiEEEESL_NS6_8equal_toIiEEEENSG_9not_fun_tINSD_8identityEEEEENSD_19counting_iterator_tIlEES8_S8_S8_S8_S8_S8_S8_S8_EEEEPS9_S9_NSD_9__find_if7functorIS9_EEEE10hipError_tPvRmT1_T2_T3_mT4_P12ihipStream_tbEUlT_E1_NS1_11comp_targetILNS1_3genE8ELNS1_11target_archE1030ELNS1_3gpuE2ELNS1_3repE0EEENS1_30default_config_static_selectorELNS0_4arch9wavefront6targetE1EEEvS14_,comdat
	.protected	_ZN7rocprim17ROCPRIM_400000_NS6detail17trampoline_kernelINS0_14default_configENS1_22reduce_config_selectorIN6thrust23THRUST_200600_302600_NS5tupleIblNS6_9null_typeES8_S8_S8_S8_S8_S8_S8_EEEEZNS1_11reduce_implILb1ES3_NS6_12zip_iteratorINS7_INS6_11hip_rocprim26transform_input_iterator_tIbNSD_35transform_pair_of_input_iterators_tIbNS6_6detail15normal_iteratorINS6_10device_ptrIKiEEEESL_NS6_8equal_toIiEEEENSG_9not_fun_tINSD_8identityEEEEENSD_19counting_iterator_tIlEES8_S8_S8_S8_S8_S8_S8_S8_EEEEPS9_S9_NSD_9__find_if7functorIS9_EEEE10hipError_tPvRmT1_T2_T3_mT4_P12ihipStream_tbEUlT_E1_NS1_11comp_targetILNS1_3genE8ELNS1_11target_archE1030ELNS1_3gpuE2ELNS1_3repE0EEENS1_30default_config_static_selectorELNS0_4arch9wavefront6targetE1EEEvS14_ ; -- Begin function _ZN7rocprim17ROCPRIM_400000_NS6detail17trampoline_kernelINS0_14default_configENS1_22reduce_config_selectorIN6thrust23THRUST_200600_302600_NS5tupleIblNS6_9null_typeES8_S8_S8_S8_S8_S8_S8_EEEEZNS1_11reduce_implILb1ES3_NS6_12zip_iteratorINS7_INS6_11hip_rocprim26transform_input_iterator_tIbNSD_35transform_pair_of_input_iterators_tIbNS6_6detail15normal_iteratorINS6_10device_ptrIKiEEEESL_NS6_8equal_toIiEEEENSG_9not_fun_tINSD_8identityEEEEENSD_19counting_iterator_tIlEES8_S8_S8_S8_S8_S8_S8_S8_EEEEPS9_S9_NSD_9__find_if7functorIS9_EEEE10hipError_tPvRmT1_T2_T3_mT4_P12ihipStream_tbEUlT_E1_NS1_11comp_targetILNS1_3genE8ELNS1_11target_archE1030ELNS1_3gpuE2ELNS1_3repE0EEENS1_30default_config_static_selectorELNS0_4arch9wavefront6targetE1EEEvS14_
	.globl	_ZN7rocprim17ROCPRIM_400000_NS6detail17trampoline_kernelINS0_14default_configENS1_22reduce_config_selectorIN6thrust23THRUST_200600_302600_NS5tupleIblNS6_9null_typeES8_S8_S8_S8_S8_S8_S8_EEEEZNS1_11reduce_implILb1ES3_NS6_12zip_iteratorINS7_INS6_11hip_rocprim26transform_input_iterator_tIbNSD_35transform_pair_of_input_iterators_tIbNS6_6detail15normal_iteratorINS6_10device_ptrIKiEEEESL_NS6_8equal_toIiEEEENSG_9not_fun_tINSD_8identityEEEEENSD_19counting_iterator_tIlEES8_S8_S8_S8_S8_S8_S8_S8_EEEEPS9_S9_NSD_9__find_if7functorIS9_EEEE10hipError_tPvRmT1_T2_T3_mT4_P12ihipStream_tbEUlT_E1_NS1_11comp_targetILNS1_3genE8ELNS1_11target_archE1030ELNS1_3gpuE2ELNS1_3repE0EEENS1_30default_config_static_selectorELNS0_4arch9wavefront6targetE1EEEvS14_
	.p2align	8
	.type	_ZN7rocprim17ROCPRIM_400000_NS6detail17trampoline_kernelINS0_14default_configENS1_22reduce_config_selectorIN6thrust23THRUST_200600_302600_NS5tupleIblNS6_9null_typeES8_S8_S8_S8_S8_S8_S8_EEEEZNS1_11reduce_implILb1ES3_NS6_12zip_iteratorINS7_INS6_11hip_rocprim26transform_input_iterator_tIbNSD_35transform_pair_of_input_iterators_tIbNS6_6detail15normal_iteratorINS6_10device_ptrIKiEEEESL_NS6_8equal_toIiEEEENSG_9not_fun_tINSD_8identityEEEEENSD_19counting_iterator_tIlEES8_S8_S8_S8_S8_S8_S8_S8_EEEEPS9_S9_NSD_9__find_if7functorIS9_EEEE10hipError_tPvRmT1_T2_T3_mT4_P12ihipStream_tbEUlT_E1_NS1_11comp_targetILNS1_3genE8ELNS1_11target_archE1030ELNS1_3gpuE2ELNS1_3repE0EEENS1_30default_config_static_selectorELNS0_4arch9wavefront6targetE1EEEvS14_,@function
_ZN7rocprim17ROCPRIM_400000_NS6detail17trampoline_kernelINS0_14default_configENS1_22reduce_config_selectorIN6thrust23THRUST_200600_302600_NS5tupleIblNS6_9null_typeES8_S8_S8_S8_S8_S8_S8_EEEEZNS1_11reduce_implILb1ES3_NS6_12zip_iteratorINS7_INS6_11hip_rocprim26transform_input_iterator_tIbNSD_35transform_pair_of_input_iterators_tIbNS6_6detail15normal_iteratorINS6_10device_ptrIKiEEEESL_NS6_8equal_toIiEEEENSG_9not_fun_tINSD_8identityEEEEENSD_19counting_iterator_tIlEES8_S8_S8_S8_S8_S8_S8_S8_EEEEPS9_S9_NSD_9__find_if7functorIS9_EEEE10hipError_tPvRmT1_T2_T3_mT4_P12ihipStream_tbEUlT_E1_NS1_11comp_targetILNS1_3genE8ELNS1_11target_archE1030ELNS1_3gpuE2ELNS1_3repE0EEENS1_30default_config_static_selectorELNS0_4arch9wavefront6targetE1EEEvS14_: ; @_ZN7rocprim17ROCPRIM_400000_NS6detail17trampoline_kernelINS0_14default_configENS1_22reduce_config_selectorIN6thrust23THRUST_200600_302600_NS5tupleIblNS6_9null_typeES8_S8_S8_S8_S8_S8_S8_EEEEZNS1_11reduce_implILb1ES3_NS6_12zip_iteratorINS7_INS6_11hip_rocprim26transform_input_iterator_tIbNSD_35transform_pair_of_input_iterators_tIbNS6_6detail15normal_iteratorINS6_10device_ptrIKiEEEESL_NS6_8equal_toIiEEEENSG_9not_fun_tINSD_8identityEEEEENSD_19counting_iterator_tIlEES8_S8_S8_S8_S8_S8_S8_S8_EEEEPS9_S9_NSD_9__find_if7functorIS9_EEEE10hipError_tPvRmT1_T2_T3_mT4_P12ihipStream_tbEUlT_E1_NS1_11comp_targetILNS1_3genE8ELNS1_11target_archE1030ELNS1_3gpuE2ELNS1_3repE0EEENS1_30default_config_static_selectorELNS0_4arch9wavefront6targetE1EEEvS14_
; %bb.0:
	.section	.rodata,"a",@progbits
	.p2align	6, 0x0
	.amdhsa_kernel _ZN7rocprim17ROCPRIM_400000_NS6detail17trampoline_kernelINS0_14default_configENS1_22reduce_config_selectorIN6thrust23THRUST_200600_302600_NS5tupleIblNS6_9null_typeES8_S8_S8_S8_S8_S8_S8_EEEEZNS1_11reduce_implILb1ES3_NS6_12zip_iteratorINS7_INS6_11hip_rocprim26transform_input_iterator_tIbNSD_35transform_pair_of_input_iterators_tIbNS6_6detail15normal_iteratorINS6_10device_ptrIKiEEEESL_NS6_8equal_toIiEEEENSG_9not_fun_tINSD_8identityEEEEENSD_19counting_iterator_tIlEES8_S8_S8_S8_S8_S8_S8_S8_EEEEPS9_S9_NSD_9__find_if7functorIS9_EEEE10hipError_tPvRmT1_T2_T3_mT4_P12ihipStream_tbEUlT_E1_NS1_11comp_targetILNS1_3genE8ELNS1_11target_archE1030ELNS1_3gpuE2ELNS1_3repE0EEENS1_30default_config_static_selectorELNS0_4arch9wavefront6targetE1EEEvS14_
		.amdhsa_group_segment_fixed_size 0
		.amdhsa_private_segment_fixed_size 0
		.amdhsa_kernarg_size 88
		.amdhsa_user_sgpr_count 2
		.amdhsa_user_sgpr_dispatch_ptr 0
		.amdhsa_user_sgpr_queue_ptr 0
		.amdhsa_user_sgpr_kernarg_segment_ptr 1
		.amdhsa_user_sgpr_dispatch_id 0
		.amdhsa_user_sgpr_kernarg_preload_length 0
		.amdhsa_user_sgpr_kernarg_preload_offset 0
		.amdhsa_user_sgpr_private_segment_size 0
		.amdhsa_uses_dynamic_stack 0
		.amdhsa_enable_private_segment 0
		.amdhsa_system_sgpr_workgroup_id_x 1
		.amdhsa_system_sgpr_workgroup_id_y 0
		.amdhsa_system_sgpr_workgroup_id_z 0
		.amdhsa_system_sgpr_workgroup_info 0
		.amdhsa_system_vgpr_workitem_id 0
		.amdhsa_next_free_vgpr 1
		.amdhsa_next_free_sgpr 0
		.amdhsa_accum_offset 4
		.amdhsa_reserve_vcc 0
		.amdhsa_float_round_mode_32 0
		.amdhsa_float_round_mode_16_64 0
		.amdhsa_float_denorm_mode_32 3
		.amdhsa_float_denorm_mode_16_64 3
		.amdhsa_dx10_clamp 1
		.amdhsa_ieee_mode 1
		.amdhsa_fp16_overflow 0
		.amdhsa_tg_split 0
		.amdhsa_exception_fp_ieee_invalid_op 0
		.amdhsa_exception_fp_denorm_src 0
		.amdhsa_exception_fp_ieee_div_zero 0
		.amdhsa_exception_fp_ieee_overflow 0
		.amdhsa_exception_fp_ieee_underflow 0
		.amdhsa_exception_fp_ieee_inexact 0
		.amdhsa_exception_int_div_zero 0
	.end_amdhsa_kernel
	.section	.text._ZN7rocprim17ROCPRIM_400000_NS6detail17trampoline_kernelINS0_14default_configENS1_22reduce_config_selectorIN6thrust23THRUST_200600_302600_NS5tupleIblNS6_9null_typeES8_S8_S8_S8_S8_S8_S8_EEEEZNS1_11reduce_implILb1ES3_NS6_12zip_iteratorINS7_INS6_11hip_rocprim26transform_input_iterator_tIbNSD_35transform_pair_of_input_iterators_tIbNS6_6detail15normal_iteratorINS6_10device_ptrIKiEEEESL_NS6_8equal_toIiEEEENSG_9not_fun_tINSD_8identityEEEEENSD_19counting_iterator_tIlEES8_S8_S8_S8_S8_S8_S8_S8_EEEEPS9_S9_NSD_9__find_if7functorIS9_EEEE10hipError_tPvRmT1_T2_T3_mT4_P12ihipStream_tbEUlT_E1_NS1_11comp_targetILNS1_3genE8ELNS1_11target_archE1030ELNS1_3gpuE2ELNS1_3repE0EEENS1_30default_config_static_selectorELNS0_4arch9wavefront6targetE1EEEvS14_,"axG",@progbits,_ZN7rocprim17ROCPRIM_400000_NS6detail17trampoline_kernelINS0_14default_configENS1_22reduce_config_selectorIN6thrust23THRUST_200600_302600_NS5tupleIblNS6_9null_typeES8_S8_S8_S8_S8_S8_S8_EEEEZNS1_11reduce_implILb1ES3_NS6_12zip_iteratorINS7_INS6_11hip_rocprim26transform_input_iterator_tIbNSD_35transform_pair_of_input_iterators_tIbNS6_6detail15normal_iteratorINS6_10device_ptrIKiEEEESL_NS6_8equal_toIiEEEENSG_9not_fun_tINSD_8identityEEEEENSD_19counting_iterator_tIlEES8_S8_S8_S8_S8_S8_S8_S8_EEEEPS9_S9_NSD_9__find_if7functorIS9_EEEE10hipError_tPvRmT1_T2_T3_mT4_P12ihipStream_tbEUlT_E1_NS1_11comp_targetILNS1_3genE8ELNS1_11target_archE1030ELNS1_3gpuE2ELNS1_3repE0EEENS1_30default_config_static_selectorELNS0_4arch9wavefront6targetE1EEEvS14_,comdat
.Lfunc_end1490:
	.size	_ZN7rocprim17ROCPRIM_400000_NS6detail17trampoline_kernelINS0_14default_configENS1_22reduce_config_selectorIN6thrust23THRUST_200600_302600_NS5tupleIblNS6_9null_typeES8_S8_S8_S8_S8_S8_S8_EEEEZNS1_11reduce_implILb1ES3_NS6_12zip_iteratorINS7_INS6_11hip_rocprim26transform_input_iterator_tIbNSD_35transform_pair_of_input_iterators_tIbNS6_6detail15normal_iteratorINS6_10device_ptrIKiEEEESL_NS6_8equal_toIiEEEENSG_9not_fun_tINSD_8identityEEEEENSD_19counting_iterator_tIlEES8_S8_S8_S8_S8_S8_S8_S8_EEEEPS9_S9_NSD_9__find_if7functorIS9_EEEE10hipError_tPvRmT1_T2_T3_mT4_P12ihipStream_tbEUlT_E1_NS1_11comp_targetILNS1_3genE8ELNS1_11target_archE1030ELNS1_3gpuE2ELNS1_3repE0EEENS1_30default_config_static_selectorELNS0_4arch9wavefront6targetE1EEEvS14_, .Lfunc_end1490-_ZN7rocprim17ROCPRIM_400000_NS6detail17trampoline_kernelINS0_14default_configENS1_22reduce_config_selectorIN6thrust23THRUST_200600_302600_NS5tupleIblNS6_9null_typeES8_S8_S8_S8_S8_S8_S8_EEEEZNS1_11reduce_implILb1ES3_NS6_12zip_iteratorINS7_INS6_11hip_rocprim26transform_input_iterator_tIbNSD_35transform_pair_of_input_iterators_tIbNS6_6detail15normal_iteratorINS6_10device_ptrIKiEEEESL_NS6_8equal_toIiEEEENSG_9not_fun_tINSD_8identityEEEEENSD_19counting_iterator_tIlEES8_S8_S8_S8_S8_S8_S8_S8_EEEEPS9_S9_NSD_9__find_if7functorIS9_EEEE10hipError_tPvRmT1_T2_T3_mT4_P12ihipStream_tbEUlT_E1_NS1_11comp_targetILNS1_3genE8ELNS1_11target_archE1030ELNS1_3gpuE2ELNS1_3repE0EEENS1_30default_config_static_selectorELNS0_4arch9wavefront6targetE1EEEvS14_
                                        ; -- End function
	.set _ZN7rocprim17ROCPRIM_400000_NS6detail17trampoline_kernelINS0_14default_configENS1_22reduce_config_selectorIN6thrust23THRUST_200600_302600_NS5tupleIblNS6_9null_typeES8_S8_S8_S8_S8_S8_S8_EEEEZNS1_11reduce_implILb1ES3_NS6_12zip_iteratorINS7_INS6_11hip_rocprim26transform_input_iterator_tIbNSD_35transform_pair_of_input_iterators_tIbNS6_6detail15normal_iteratorINS6_10device_ptrIKiEEEESL_NS6_8equal_toIiEEEENSG_9not_fun_tINSD_8identityEEEEENSD_19counting_iterator_tIlEES8_S8_S8_S8_S8_S8_S8_S8_EEEEPS9_S9_NSD_9__find_if7functorIS9_EEEE10hipError_tPvRmT1_T2_T3_mT4_P12ihipStream_tbEUlT_E1_NS1_11comp_targetILNS1_3genE8ELNS1_11target_archE1030ELNS1_3gpuE2ELNS1_3repE0EEENS1_30default_config_static_selectorELNS0_4arch9wavefront6targetE1EEEvS14_.num_vgpr, 0
	.set _ZN7rocprim17ROCPRIM_400000_NS6detail17trampoline_kernelINS0_14default_configENS1_22reduce_config_selectorIN6thrust23THRUST_200600_302600_NS5tupleIblNS6_9null_typeES8_S8_S8_S8_S8_S8_S8_EEEEZNS1_11reduce_implILb1ES3_NS6_12zip_iteratorINS7_INS6_11hip_rocprim26transform_input_iterator_tIbNSD_35transform_pair_of_input_iterators_tIbNS6_6detail15normal_iteratorINS6_10device_ptrIKiEEEESL_NS6_8equal_toIiEEEENSG_9not_fun_tINSD_8identityEEEEENSD_19counting_iterator_tIlEES8_S8_S8_S8_S8_S8_S8_S8_EEEEPS9_S9_NSD_9__find_if7functorIS9_EEEE10hipError_tPvRmT1_T2_T3_mT4_P12ihipStream_tbEUlT_E1_NS1_11comp_targetILNS1_3genE8ELNS1_11target_archE1030ELNS1_3gpuE2ELNS1_3repE0EEENS1_30default_config_static_selectorELNS0_4arch9wavefront6targetE1EEEvS14_.num_agpr, 0
	.set _ZN7rocprim17ROCPRIM_400000_NS6detail17trampoline_kernelINS0_14default_configENS1_22reduce_config_selectorIN6thrust23THRUST_200600_302600_NS5tupleIblNS6_9null_typeES8_S8_S8_S8_S8_S8_S8_EEEEZNS1_11reduce_implILb1ES3_NS6_12zip_iteratorINS7_INS6_11hip_rocprim26transform_input_iterator_tIbNSD_35transform_pair_of_input_iterators_tIbNS6_6detail15normal_iteratorINS6_10device_ptrIKiEEEESL_NS6_8equal_toIiEEEENSG_9not_fun_tINSD_8identityEEEEENSD_19counting_iterator_tIlEES8_S8_S8_S8_S8_S8_S8_S8_EEEEPS9_S9_NSD_9__find_if7functorIS9_EEEE10hipError_tPvRmT1_T2_T3_mT4_P12ihipStream_tbEUlT_E1_NS1_11comp_targetILNS1_3genE8ELNS1_11target_archE1030ELNS1_3gpuE2ELNS1_3repE0EEENS1_30default_config_static_selectorELNS0_4arch9wavefront6targetE1EEEvS14_.numbered_sgpr, 0
	.set _ZN7rocprim17ROCPRIM_400000_NS6detail17trampoline_kernelINS0_14default_configENS1_22reduce_config_selectorIN6thrust23THRUST_200600_302600_NS5tupleIblNS6_9null_typeES8_S8_S8_S8_S8_S8_S8_EEEEZNS1_11reduce_implILb1ES3_NS6_12zip_iteratorINS7_INS6_11hip_rocprim26transform_input_iterator_tIbNSD_35transform_pair_of_input_iterators_tIbNS6_6detail15normal_iteratorINS6_10device_ptrIKiEEEESL_NS6_8equal_toIiEEEENSG_9not_fun_tINSD_8identityEEEEENSD_19counting_iterator_tIlEES8_S8_S8_S8_S8_S8_S8_S8_EEEEPS9_S9_NSD_9__find_if7functorIS9_EEEE10hipError_tPvRmT1_T2_T3_mT4_P12ihipStream_tbEUlT_E1_NS1_11comp_targetILNS1_3genE8ELNS1_11target_archE1030ELNS1_3gpuE2ELNS1_3repE0EEENS1_30default_config_static_selectorELNS0_4arch9wavefront6targetE1EEEvS14_.num_named_barrier, 0
	.set _ZN7rocprim17ROCPRIM_400000_NS6detail17trampoline_kernelINS0_14default_configENS1_22reduce_config_selectorIN6thrust23THRUST_200600_302600_NS5tupleIblNS6_9null_typeES8_S8_S8_S8_S8_S8_S8_EEEEZNS1_11reduce_implILb1ES3_NS6_12zip_iteratorINS7_INS6_11hip_rocprim26transform_input_iterator_tIbNSD_35transform_pair_of_input_iterators_tIbNS6_6detail15normal_iteratorINS6_10device_ptrIKiEEEESL_NS6_8equal_toIiEEEENSG_9not_fun_tINSD_8identityEEEEENSD_19counting_iterator_tIlEES8_S8_S8_S8_S8_S8_S8_S8_EEEEPS9_S9_NSD_9__find_if7functorIS9_EEEE10hipError_tPvRmT1_T2_T3_mT4_P12ihipStream_tbEUlT_E1_NS1_11comp_targetILNS1_3genE8ELNS1_11target_archE1030ELNS1_3gpuE2ELNS1_3repE0EEENS1_30default_config_static_selectorELNS0_4arch9wavefront6targetE1EEEvS14_.private_seg_size, 0
	.set _ZN7rocprim17ROCPRIM_400000_NS6detail17trampoline_kernelINS0_14default_configENS1_22reduce_config_selectorIN6thrust23THRUST_200600_302600_NS5tupleIblNS6_9null_typeES8_S8_S8_S8_S8_S8_S8_EEEEZNS1_11reduce_implILb1ES3_NS6_12zip_iteratorINS7_INS6_11hip_rocprim26transform_input_iterator_tIbNSD_35transform_pair_of_input_iterators_tIbNS6_6detail15normal_iteratorINS6_10device_ptrIKiEEEESL_NS6_8equal_toIiEEEENSG_9not_fun_tINSD_8identityEEEEENSD_19counting_iterator_tIlEES8_S8_S8_S8_S8_S8_S8_S8_EEEEPS9_S9_NSD_9__find_if7functorIS9_EEEE10hipError_tPvRmT1_T2_T3_mT4_P12ihipStream_tbEUlT_E1_NS1_11comp_targetILNS1_3genE8ELNS1_11target_archE1030ELNS1_3gpuE2ELNS1_3repE0EEENS1_30default_config_static_selectorELNS0_4arch9wavefront6targetE1EEEvS14_.uses_vcc, 0
	.set _ZN7rocprim17ROCPRIM_400000_NS6detail17trampoline_kernelINS0_14default_configENS1_22reduce_config_selectorIN6thrust23THRUST_200600_302600_NS5tupleIblNS6_9null_typeES8_S8_S8_S8_S8_S8_S8_EEEEZNS1_11reduce_implILb1ES3_NS6_12zip_iteratorINS7_INS6_11hip_rocprim26transform_input_iterator_tIbNSD_35transform_pair_of_input_iterators_tIbNS6_6detail15normal_iteratorINS6_10device_ptrIKiEEEESL_NS6_8equal_toIiEEEENSG_9not_fun_tINSD_8identityEEEEENSD_19counting_iterator_tIlEES8_S8_S8_S8_S8_S8_S8_S8_EEEEPS9_S9_NSD_9__find_if7functorIS9_EEEE10hipError_tPvRmT1_T2_T3_mT4_P12ihipStream_tbEUlT_E1_NS1_11comp_targetILNS1_3genE8ELNS1_11target_archE1030ELNS1_3gpuE2ELNS1_3repE0EEENS1_30default_config_static_selectorELNS0_4arch9wavefront6targetE1EEEvS14_.uses_flat_scratch, 0
	.set _ZN7rocprim17ROCPRIM_400000_NS6detail17trampoline_kernelINS0_14default_configENS1_22reduce_config_selectorIN6thrust23THRUST_200600_302600_NS5tupleIblNS6_9null_typeES8_S8_S8_S8_S8_S8_S8_EEEEZNS1_11reduce_implILb1ES3_NS6_12zip_iteratorINS7_INS6_11hip_rocprim26transform_input_iterator_tIbNSD_35transform_pair_of_input_iterators_tIbNS6_6detail15normal_iteratorINS6_10device_ptrIKiEEEESL_NS6_8equal_toIiEEEENSG_9not_fun_tINSD_8identityEEEEENSD_19counting_iterator_tIlEES8_S8_S8_S8_S8_S8_S8_S8_EEEEPS9_S9_NSD_9__find_if7functorIS9_EEEE10hipError_tPvRmT1_T2_T3_mT4_P12ihipStream_tbEUlT_E1_NS1_11comp_targetILNS1_3genE8ELNS1_11target_archE1030ELNS1_3gpuE2ELNS1_3repE0EEENS1_30default_config_static_selectorELNS0_4arch9wavefront6targetE1EEEvS14_.has_dyn_sized_stack, 0
	.set _ZN7rocprim17ROCPRIM_400000_NS6detail17trampoline_kernelINS0_14default_configENS1_22reduce_config_selectorIN6thrust23THRUST_200600_302600_NS5tupleIblNS6_9null_typeES8_S8_S8_S8_S8_S8_S8_EEEEZNS1_11reduce_implILb1ES3_NS6_12zip_iteratorINS7_INS6_11hip_rocprim26transform_input_iterator_tIbNSD_35transform_pair_of_input_iterators_tIbNS6_6detail15normal_iteratorINS6_10device_ptrIKiEEEESL_NS6_8equal_toIiEEEENSG_9not_fun_tINSD_8identityEEEEENSD_19counting_iterator_tIlEES8_S8_S8_S8_S8_S8_S8_S8_EEEEPS9_S9_NSD_9__find_if7functorIS9_EEEE10hipError_tPvRmT1_T2_T3_mT4_P12ihipStream_tbEUlT_E1_NS1_11comp_targetILNS1_3genE8ELNS1_11target_archE1030ELNS1_3gpuE2ELNS1_3repE0EEENS1_30default_config_static_selectorELNS0_4arch9wavefront6targetE1EEEvS14_.has_recursion, 0
	.set _ZN7rocprim17ROCPRIM_400000_NS6detail17trampoline_kernelINS0_14default_configENS1_22reduce_config_selectorIN6thrust23THRUST_200600_302600_NS5tupleIblNS6_9null_typeES8_S8_S8_S8_S8_S8_S8_EEEEZNS1_11reduce_implILb1ES3_NS6_12zip_iteratorINS7_INS6_11hip_rocprim26transform_input_iterator_tIbNSD_35transform_pair_of_input_iterators_tIbNS6_6detail15normal_iteratorINS6_10device_ptrIKiEEEESL_NS6_8equal_toIiEEEENSG_9not_fun_tINSD_8identityEEEEENSD_19counting_iterator_tIlEES8_S8_S8_S8_S8_S8_S8_S8_EEEEPS9_S9_NSD_9__find_if7functorIS9_EEEE10hipError_tPvRmT1_T2_T3_mT4_P12ihipStream_tbEUlT_E1_NS1_11comp_targetILNS1_3genE8ELNS1_11target_archE1030ELNS1_3gpuE2ELNS1_3repE0EEENS1_30default_config_static_selectorELNS0_4arch9wavefront6targetE1EEEvS14_.has_indirect_call, 0
	.section	.AMDGPU.csdata,"",@progbits
; Kernel info:
; codeLenInByte = 0
; TotalNumSgprs: 6
; NumVgprs: 0
; NumAgprs: 0
; TotalNumVgprs: 0
; ScratchSize: 0
; MemoryBound: 0
; FloatMode: 240
; IeeeMode: 1
; LDSByteSize: 0 bytes/workgroup (compile time only)
; SGPRBlocks: 0
; VGPRBlocks: 0
; NumSGPRsForWavesPerEU: 6
; NumVGPRsForWavesPerEU: 1
; AccumOffset: 4
; Occupancy: 8
; WaveLimiterHint : 0
; COMPUTE_PGM_RSRC2:SCRATCH_EN: 0
; COMPUTE_PGM_RSRC2:USER_SGPR: 2
; COMPUTE_PGM_RSRC2:TRAP_HANDLER: 0
; COMPUTE_PGM_RSRC2:TGID_X_EN: 1
; COMPUTE_PGM_RSRC2:TGID_Y_EN: 0
; COMPUTE_PGM_RSRC2:TGID_Z_EN: 0
; COMPUTE_PGM_RSRC2:TIDIG_COMP_CNT: 0
; COMPUTE_PGM_RSRC3_GFX90A:ACCUM_OFFSET: 0
; COMPUTE_PGM_RSRC3_GFX90A:TG_SPLIT: 0
	.section	.text._ZN6thrust23THRUST_200600_302600_NS11hip_rocprim14__parallel_for6kernelILj256ENS1_20__uninitialized_fill7functorINS0_10device_ptrIsEEsEEmLj1EEEvT0_T1_SA_,"axG",@progbits,_ZN6thrust23THRUST_200600_302600_NS11hip_rocprim14__parallel_for6kernelILj256ENS1_20__uninitialized_fill7functorINS0_10device_ptrIsEEsEEmLj1EEEvT0_T1_SA_,comdat
	.protected	_ZN6thrust23THRUST_200600_302600_NS11hip_rocprim14__parallel_for6kernelILj256ENS1_20__uninitialized_fill7functorINS0_10device_ptrIsEEsEEmLj1EEEvT0_T1_SA_ ; -- Begin function _ZN6thrust23THRUST_200600_302600_NS11hip_rocprim14__parallel_for6kernelILj256ENS1_20__uninitialized_fill7functorINS0_10device_ptrIsEEsEEmLj1EEEvT0_T1_SA_
	.globl	_ZN6thrust23THRUST_200600_302600_NS11hip_rocprim14__parallel_for6kernelILj256ENS1_20__uninitialized_fill7functorINS0_10device_ptrIsEEsEEmLj1EEEvT0_T1_SA_
	.p2align	8
	.type	_ZN6thrust23THRUST_200600_302600_NS11hip_rocprim14__parallel_for6kernelILj256ENS1_20__uninitialized_fill7functorINS0_10device_ptrIsEEsEEmLj1EEEvT0_T1_SA_,@function
_ZN6thrust23THRUST_200600_302600_NS11hip_rocprim14__parallel_for6kernelILj256ENS1_20__uninitialized_fill7functorINS0_10device_ptrIsEEsEEmLj1EEEvT0_T1_SA_: ; @_ZN6thrust23THRUST_200600_302600_NS11hip_rocprim14__parallel_for6kernelILj256ENS1_20__uninitialized_fill7functorINS0_10device_ptrIsEEsEEmLj1EEEvT0_T1_SA_
; %bb.0:
	s_load_dwordx4 s[12:15], s[0:1], 0x10
	s_load_dwordx2 s[4:5], s[0:1], 0x0
	s_load_dword s8, s[0:1], 0x8
	s_lshl_b32 s0, s2, 8
	v_mov_b64_e32 v[2:3], 0xff
	s_waitcnt lgkmcnt(0)
	s_add_u32 s0, s14, s0
	s_addc_u32 s1, s15, 0
	s_sub_u32 s2, s12, s0
	s_subb_u32 s3, s13, s1
	v_cmp_gt_u64_e32 vcc, s[2:3], v[2:3]
	s_mov_b64 s[6:7], -1
	s_cbranch_vccz .LBB1491_3
; %bb.1:
	s_andn2_b64 vcc, exec, s[6:7]
	s_cbranch_vccz .LBB1491_6
.LBB1491_2:
	s_endpgm
.LBB1491_3:
	v_cmp_gt_u32_e32 vcc, s2, v0
	s_and_saveexec_b64 s[2:3], vcc
	s_cbranch_execz .LBB1491_5
; %bb.4:
	s_lshl_b64 s[6:7], s[0:1], 1
	s_add_u32 s6, s4, s6
	s_addc_u32 s7, s5, s7
	v_lshlrev_b32_e32 v2, 1, v0
	v_mov_b32_e32 v3, 0
	v_lshl_add_u64 v[2:3], s[6:7], 0, v[2:3]
	v_mov_b32_e32 v1, s8
	flat_store_short v[2:3], v1
.LBB1491_5:
	s_or_b64 exec, exec, s[2:3]
	s_cbranch_execnz .LBB1491_2
.LBB1491_6:
	s_lshl_b64 s[0:1], s[0:1], 1
	s_add_u32 s0, s4, s0
	s_addc_u32 s1, s5, s1
	v_lshlrev_b32_e32 v0, 1, v0
	v_mov_b32_e32 v1, 0
	v_lshl_add_u64 v[0:1], s[0:1], 0, v[0:1]
	v_mov_b32_e32 v2, s8
	flat_store_short v[0:1], v2
	s_endpgm
	.section	.rodata,"a",@progbits
	.p2align	6, 0x0
	.amdhsa_kernel _ZN6thrust23THRUST_200600_302600_NS11hip_rocprim14__parallel_for6kernelILj256ENS1_20__uninitialized_fill7functorINS0_10device_ptrIsEEsEEmLj1EEEvT0_T1_SA_
		.amdhsa_group_segment_fixed_size 0
		.amdhsa_private_segment_fixed_size 0
		.amdhsa_kernarg_size 32
		.amdhsa_user_sgpr_count 2
		.amdhsa_user_sgpr_dispatch_ptr 0
		.amdhsa_user_sgpr_queue_ptr 0
		.amdhsa_user_sgpr_kernarg_segment_ptr 1
		.amdhsa_user_sgpr_dispatch_id 0
		.amdhsa_user_sgpr_kernarg_preload_length 0
		.amdhsa_user_sgpr_kernarg_preload_offset 0
		.amdhsa_user_sgpr_private_segment_size 0
		.amdhsa_uses_dynamic_stack 0
		.amdhsa_enable_private_segment 0
		.amdhsa_system_sgpr_workgroup_id_x 1
		.amdhsa_system_sgpr_workgroup_id_y 0
		.amdhsa_system_sgpr_workgroup_id_z 0
		.amdhsa_system_sgpr_workgroup_info 0
		.amdhsa_system_vgpr_workitem_id 0
		.amdhsa_next_free_vgpr 4
		.amdhsa_next_free_sgpr 16
		.amdhsa_accum_offset 4
		.amdhsa_reserve_vcc 1
		.amdhsa_float_round_mode_32 0
		.amdhsa_float_round_mode_16_64 0
		.amdhsa_float_denorm_mode_32 3
		.amdhsa_float_denorm_mode_16_64 3
		.amdhsa_dx10_clamp 1
		.amdhsa_ieee_mode 1
		.amdhsa_fp16_overflow 0
		.amdhsa_tg_split 0
		.amdhsa_exception_fp_ieee_invalid_op 0
		.amdhsa_exception_fp_denorm_src 0
		.amdhsa_exception_fp_ieee_div_zero 0
		.amdhsa_exception_fp_ieee_overflow 0
		.amdhsa_exception_fp_ieee_underflow 0
		.amdhsa_exception_fp_ieee_inexact 0
		.amdhsa_exception_int_div_zero 0
	.end_amdhsa_kernel
	.section	.text._ZN6thrust23THRUST_200600_302600_NS11hip_rocprim14__parallel_for6kernelILj256ENS1_20__uninitialized_fill7functorINS0_10device_ptrIsEEsEEmLj1EEEvT0_T1_SA_,"axG",@progbits,_ZN6thrust23THRUST_200600_302600_NS11hip_rocprim14__parallel_for6kernelILj256ENS1_20__uninitialized_fill7functorINS0_10device_ptrIsEEsEEmLj1EEEvT0_T1_SA_,comdat
.Lfunc_end1491:
	.size	_ZN6thrust23THRUST_200600_302600_NS11hip_rocprim14__parallel_for6kernelILj256ENS1_20__uninitialized_fill7functorINS0_10device_ptrIsEEsEEmLj1EEEvT0_T1_SA_, .Lfunc_end1491-_ZN6thrust23THRUST_200600_302600_NS11hip_rocprim14__parallel_for6kernelILj256ENS1_20__uninitialized_fill7functorINS0_10device_ptrIsEEsEEmLj1EEEvT0_T1_SA_
                                        ; -- End function
	.set _ZN6thrust23THRUST_200600_302600_NS11hip_rocprim14__parallel_for6kernelILj256ENS1_20__uninitialized_fill7functorINS0_10device_ptrIsEEsEEmLj1EEEvT0_T1_SA_.num_vgpr, 4
	.set _ZN6thrust23THRUST_200600_302600_NS11hip_rocprim14__parallel_for6kernelILj256ENS1_20__uninitialized_fill7functorINS0_10device_ptrIsEEsEEmLj1EEEvT0_T1_SA_.num_agpr, 0
	.set _ZN6thrust23THRUST_200600_302600_NS11hip_rocprim14__parallel_for6kernelILj256ENS1_20__uninitialized_fill7functorINS0_10device_ptrIsEEsEEmLj1EEEvT0_T1_SA_.numbered_sgpr, 16
	.set _ZN6thrust23THRUST_200600_302600_NS11hip_rocprim14__parallel_for6kernelILj256ENS1_20__uninitialized_fill7functorINS0_10device_ptrIsEEsEEmLj1EEEvT0_T1_SA_.num_named_barrier, 0
	.set _ZN6thrust23THRUST_200600_302600_NS11hip_rocprim14__parallel_for6kernelILj256ENS1_20__uninitialized_fill7functorINS0_10device_ptrIsEEsEEmLj1EEEvT0_T1_SA_.private_seg_size, 0
	.set _ZN6thrust23THRUST_200600_302600_NS11hip_rocprim14__parallel_for6kernelILj256ENS1_20__uninitialized_fill7functorINS0_10device_ptrIsEEsEEmLj1EEEvT0_T1_SA_.uses_vcc, 1
	.set _ZN6thrust23THRUST_200600_302600_NS11hip_rocprim14__parallel_for6kernelILj256ENS1_20__uninitialized_fill7functorINS0_10device_ptrIsEEsEEmLj1EEEvT0_T1_SA_.uses_flat_scratch, 0
	.set _ZN6thrust23THRUST_200600_302600_NS11hip_rocprim14__parallel_for6kernelILj256ENS1_20__uninitialized_fill7functorINS0_10device_ptrIsEEsEEmLj1EEEvT0_T1_SA_.has_dyn_sized_stack, 0
	.set _ZN6thrust23THRUST_200600_302600_NS11hip_rocprim14__parallel_for6kernelILj256ENS1_20__uninitialized_fill7functorINS0_10device_ptrIsEEsEEmLj1EEEvT0_T1_SA_.has_recursion, 0
	.set _ZN6thrust23THRUST_200600_302600_NS11hip_rocprim14__parallel_for6kernelILj256ENS1_20__uninitialized_fill7functorINS0_10device_ptrIsEEsEEmLj1EEEvT0_T1_SA_.has_indirect_call, 0
	.section	.AMDGPU.csdata,"",@progbits
; Kernel info:
; codeLenInByte = 184
; TotalNumSgprs: 22
; NumVgprs: 4
; NumAgprs: 0
; TotalNumVgprs: 4
; ScratchSize: 0
; MemoryBound: 0
; FloatMode: 240
; IeeeMode: 1
; LDSByteSize: 0 bytes/workgroup (compile time only)
; SGPRBlocks: 2
; VGPRBlocks: 0
; NumSGPRsForWavesPerEU: 22
; NumVGPRsForWavesPerEU: 4
; AccumOffset: 4
; Occupancy: 8
; WaveLimiterHint : 0
; COMPUTE_PGM_RSRC2:SCRATCH_EN: 0
; COMPUTE_PGM_RSRC2:USER_SGPR: 2
; COMPUTE_PGM_RSRC2:TRAP_HANDLER: 0
; COMPUTE_PGM_RSRC2:TGID_X_EN: 1
; COMPUTE_PGM_RSRC2:TGID_Y_EN: 0
; COMPUTE_PGM_RSRC2:TGID_Z_EN: 0
; COMPUTE_PGM_RSRC2:TIDIG_COMP_CNT: 0
; COMPUTE_PGM_RSRC3_GFX90A:ACCUM_OFFSET: 0
; COMPUTE_PGM_RSRC3_GFX90A:TG_SPLIT: 0
	.section	.text._ZN7rocprim17ROCPRIM_400000_NS6detail17trampoline_kernelINS0_13kernel_configILj256ELj4ELj4294967295EEENS1_37radix_sort_block_sort_config_selectorIssEEZNS1_21radix_sort_block_sortIS4_Lb0EN6thrust23THRUST_200600_302600_NS6detail15normal_iteratorINS9_10device_ptrIsEEEESE_SE_SE_NS0_19identity_decomposerEEE10hipError_tT1_T2_T3_T4_jRjT5_jjP12ihipStream_tbEUlT_E_NS1_11comp_targetILNS1_3genE0ELNS1_11target_archE4294967295ELNS1_3gpuE0ELNS1_3repE0EEENS1_44radix_sort_block_sort_config_static_selectorELNS0_4arch9wavefront6targetE1EEEvSH_,"axG",@progbits,_ZN7rocprim17ROCPRIM_400000_NS6detail17trampoline_kernelINS0_13kernel_configILj256ELj4ELj4294967295EEENS1_37radix_sort_block_sort_config_selectorIssEEZNS1_21radix_sort_block_sortIS4_Lb0EN6thrust23THRUST_200600_302600_NS6detail15normal_iteratorINS9_10device_ptrIsEEEESE_SE_SE_NS0_19identity_decomposerEEE10hipError_tT1_T2_T3_T4_jRjT5_jjP12ihipStream_tbEUlT_E_NS1_11comp_targetILNS1_3genE0ELNS1_11target_archE4294967295ELNS1_3gpuE0ELNS1_3repE0EEENS1_44radix_sort_block_sort_config_static_selectorELNS0_4arch9wavefront6targetE1EEEvSH_,comdat
	.protected	_ZN7rocprim17ROCPRIM_400000_NS6detail17trampoline_kernelINS0_13kernel_configILj256ELj4ELj4294967295EEENS1_37radix_sort_block_sort_config_selectorIssEEZNS1_21radix_sort_block_sortIS4_Lb0EN6thrust23THRUST_200600_302600_NS6detail15normal_iteratorINS9_10device_ptrIsEEEESE_SE_SE_NS0_19identity_decomposerEEE10hipError_tT1_T2_T3_T4_jRjT5_jjP12ihipStream_tbEUlT_E_NS1_11comp_targetILNS1_3genE0ELNS1_11target_archE4294967295ELNS1_3gpuE0ELNS1_3repE0EEENS1_44radix_sort_block_sort_config_static_selectorELNS0_4arch9wavefront6targetE1EEEvSH_ ; -- Begin function _ZN7rocprim17ROCPRIM_400000_NS6detail17trampoline_kernelINS0_13kernel_configILj256ELj4ELj4294967295EEENS1_37radix_sort_block_sort_config_selectorIssEEZNS1_21radix_sort_block_sortIS4_Lb0EN6thrust23THRUST_200600_302600_NS6detail15normal_iteratorINS9_10device_ptrIsEEEESE_SE_SE_NS0_19identity_decomposerEEE10hipError_tT1_T2_T3_T4_jRjT5_jjP12ihipStream_tbEUlT_E_NS1_11comp_targetILNS1_3genE0ELNS1_11target_archE4294967295ELNS1_3gpuE0ELNS1_3repE0EEENS1_44radix_sort_block_sort_config_static_selectorELNS0_4arch9wavefront6targetE1EEEvSH_
	.globl	_ZN7rocprim17ROCPRIM_400000_NS6detail17trampoline_kernelINS0_13kernel_configILj256ELj4ELj4294967295EEENS1_37radix_sort_block_sort_config_selectorIssEEZNS1_21radix_sort_block_sortIS4_Lb0EN6thrust23THRUST_200600_302600_NS6detail15normal_iteratorINS9_10device_ptrIsEEEESE_SE_SE_NS0_19identity_decomposerEEE10hipError_tT1_T2_T3_T4_jRjT5_jjP12ihipStream_tbEUlT_E_NS1_11comp_targetILNS1_3genE0ELNS1_11target_archE4294967295ELNS1_3gpuE0ELNS1_3repE0EEENS1_44radix_sort_block_sort_config_static_selectorELNS0_4arch9wavefront6targetE1EEEvSH_
	.p2align	8
	.type	_ZN7rocprim17ROCPRIM_400000_NS6detail17trampoline_kernelINS0_13kernel_configILj256ELj4ELj4294967295EEENS1_37radix_sort_block_sort_config_selectorIssEEZNS1_21radix_sort_block_sortIS4_Lb0EN6thrust23THRUST_200600_302600_NS6detail15normal_iteratorINS9_10device_ptrIsEEEESE_SE_SE_NS0_19identity_decomposerEEE10hipError_tT1_T2_T3_T4_jRjT5_jjP12ihipStream_tbEUlT_E_NS1_11comp_targetILNS1_3genE0ELNS1_11target_archE4294967295ELNS1_3gpuE0ELNS1_3repE0EEENS1_44radix_sort_block_sort_config_static_selectorELNS0_4arch9wavefront6targetE1EEEvSH_,@function
_ZN7rocprim17ROCPRIM_400000_NS6detail17trampoline_kernelINS0_13kernel_configILj256ELj4ELj4294967295EEENS1_37radix_sort_block_sort_config_selectorIssEEZNS1_21radix_sort_block_sortIS4_Lb0EN6thrust23THRUST_200600_302600_NS6detail15normal_iteratorINS9_10device_ptrIsEEEESE_SE_SE_NS0_19identity_decomposerEEE10hipError_tT1_T2_T3_T4_jRjT5_jjP12ihipStream_tbEUlT_E_NS1_11comp_targetILNS1_3genE0ELNS1_11target_archE4294967295ELNS1_3gpuE0ELNS1_3repE0EEENS1_44radix_sort_block_sort_config_static_selectorELNS0_4arch9wavefront6targetE1EEEvSH_: ; @_ZN7rocprim17ROCPRIM_400000_NS6detail17trampoline_kernelINS0_13kernel_configILj256ELj4ELj4294967295EEENS1_37radix_sort_block_sort_config_selectorIssEEZNS1_21radix_sort_block_sortIS4_Lb0EN6thrust23THRUST_200600_302600_NS6detail15normal_iteratorINS9_10device_ptrIsEEEESE_SE_SE_NS0_19identity_decomposerEEE10hipError_tT1_T2_T3_T4_jRjT5_jjP12ihipStream_tbEUlT_E_NS1_11comp_targetILNS1_3genE0ELNS1_11target_archE4294967295ELNS1_3gpuE0ELNS1_3repE0EEENS1_44radix_sort_block_sort_config_static_selectorELNS0_4arch9wavefront6targetE1EEEvSH_
; %bb.0:
	s_load_dword s8, s[0:1], 0x20
	s_load_dwordx8 s[36:43], s[0:1], 0x0
	s_lshl_b32 s4, s2, 10
	s_mov_b32 s5, 0
	v_mbcnt_lo_u32_b32 v1, -1, 0
	s_waitcnt lgkmcnt(0)
	s_lshr_b32 s3, s8, 10
	s_cmp_lg_u32 s2, s3
	v_and_b32_e32 v4, 0x3ff, v0
	s_cselect_b64 s[30:31], -1, 0
	s_lshl_b64 s[28:29], s[4:5], 1
	v_mbcnt_hi_u32_b32 v12, -1, v1
	s_add_u32 s6, s36, s28
	v_and_b32_e32 v5, 63, v12
	v_lshlrev_b32_e32 v1, 2, v4
	s_addc_u32 s7, s37, s29
	v_and_b32_e32 v1, 0x300, v1
	v_mov_b32_e32 v3, 0
	v_lshlrev_b32_e32 v2, 1, v5
	v_lshl_add_u64 v[8:9], s[6:7], 0, v[2:3]
	v_lshlrev_b32_e32 v6, 1, v1
	v_mov_b32_e32 v7, v3
	s_cmp_eq_u32 s2, s3
	v_lshl_add_u64 v[10:11], v[8:9], 0, v[6:7]
	s_cbranch_scc1 .LBB1492_2
; %bb.1:
	s_add_u32 s2, s40, s28
	s_addc_u32 s3, s41, s29
	v_lshl_add_u64 v[8:9], s[2:3], 0, v[2:3]
	global_load_ushort v13, v[10:11], off
	global_load_ushort v14, v[10:11], off offset:128
	global_load_ushort v16, v[10:11], off offset:256
	;; [unrolled: 1-line block ×3, first 2 shown]
	v_lshl_add_u64 v[8:9], v[8:9], 0, v[6:7]
	global_load_ushort v3, v[8:9], off
	global_load_ushort v7, v[8:9], off offset:128
	global_load_ushort v15, v[8:9], off offset:256
	s_mov_b32 s5, 0x5040100
	s_mov_b64 s[6:7], -1
	s_waitcnt vmcnt(5)
	v_perm_b32 v8, v14, v13, s5
	s_waitcnt vmcnt(3)
	v_perm_b32 v9, v17, v16, s5
	s_waitcnt vmcnt(1)
	v_perm_b32 v14, v7, v3, s5
	s_load_dwordx2 s[34:35], s[0:1], 0x28
	s_sub_i32 s33, s8, s4
	s_cbranch_execz .LBB1492_3
	s_branch .LBB1492_16
.LBB1492_2:
	s_mov_b64 s[6:7], 0
                                        ; implicit-def: $vgpr8_vgpr9
                                        ; implicit-def: $vgpr14_vgpr15
	s_load_dwordx2 s[34:35], s[0:1], 0x28
	s_sub_i32 s33, s8, s4
.LBB1492_3:
	v_or_b32_e32 v3, v5, v1
	v_mov_b32_e32 v8, 0x7fff7fff
	v_cmp_gt_u32_e32 vcc, s33, v3
	v_mov_b32_e32 v9, v8
	s_and_saveexec_b64 s[2:3], vcc
	s_cbranch_execz .LBB1492_5
; %bb.4:
	global_load_ushort v5, v[10:11], off
	s_movk_i32 s4, 0x7fff
	v_mov_b32_e32 v7, 0x5040100
	s_waitcnt vmcnt(1)
	v_mov_b32_e32 v15, v8
	s_waitcnt vmcnt(0)
	v_perm_b32 v14, s4, v5, v7
	v_mov_b64_e32 v[8:9], v[14:15]
.LBB1492_5:
	s_or_b64 exec, exec, s[2:3]
	v_or_b32_e32 v5, 64, v3
	v_cmp_gt_u32_e64 s[2:3], s33, v5
	s_and_saveexec_b64 s[4:5], s[2:3]
	s_cbranch_execz .LBB1492_7
; %bb.6:
	global_load_ushort v5, v[10:11], off offset:128
	s_mov_b32 s6, 0x5040100
	s_waitcnt vmcnt(0)
	v_perm_b32 v8, v5, v8, s6
.LBB1492_7:
	s_or_b64 exec, exec, s[4:5]
	v_or_b32_e32 v5, 0x80, v3
	v_cmp_gt_u32_e64 s[4:5], s33, v5
	s_and_saveexec_b64 s[6:7], s[4:5]
	s_cbranch_execz .LBB1492_9
; %bb.8:
	global_load_ushort v5, v[10:11], off offset:256
	s_mov_b32 s8, 0xffff
	s_waitcnt vmcnt(0)
	v_bfi_b32 v9, s8, v5, v9
.LBB1492_9:
	s_or_b64 exec, exec, s[6:7]
	v_or_b32_e32 v3, 0xc0, v3
	v_cmp_gt_u32_e64 s[6:7], s33, v3
	s_and_saveexec_b64 s[8:9], s[6:7]
	s_cbranch_execz .LBB1492_11
; %bb.10:
	global_load_ushort v3, v[10:11], off offset:384
	s_mov_b32 s10, 0x5040100
	s_waitcnt vmcnt(0)
	v_perm_b32 v9, v3, v9, s10
.LBB1492_11:
	s_or_b64 exec, exec, s[8:9]
	s_add_u32 s8, s40, s28
	s_addc_u32 s9, s41, s29
	v_mov_b32_e32 v3, 0
	v_lshl_add_u64 v[10:11], s[8:9], 0, v[2:3]
	v_mov_b32_e32 v7, v3
	v_lshl_add_u64 v[10:11], v[10:11], 0, v[6:7]
	v_mov_b32_e32 v14, v3
	s_waitcnt vmcnt(0)
	v_mov_b32_e32 v15, v3
	s_and_saveexec_b64 s[8:9], vcc
	s_cbranch_execnz .LBB1492_55
; %bb.12:
	s_or_b64 exec, exec, s[8:9]
	s_and_saveexec_b64 s[8:9], s[2:3]
	s_cbranch_execnz .LBB1492_56
.LBB1492_13:
	s_or_b64 exec, exec, s[8:9]
	s_and_saveexec_b64 s[2:3], s[4:5]
	s_cbranch_execz .LBB1492_15
.LBB1492_14:
	global_load_ushort v3, v[10:11], off offset:256
	s_mov_b32 s4, 0xffff
	s_waitcnt vmcnt(0)
	v_bfi_b32 v15, s4, v3, v15
.LBB1492_15:
	s_or_b64 exec, exec, s[2:3]
.LBB1492_16:
	s_and_saveexec_b64 s[2:3], s[6:7]
	s_cbranch_execz .LBB1492_18
; %bb.17:
	s_add_u32 s4, s40, s28
	s_addc_u32 s5, s41, s29
	v_mov_b32_e32 v3, 0
	v_lshl_add_u64 v[10:11], s[4:5], 0, v[2:3]
	v_mov_b32_e32 v7, v3
	v_lshl_add_u64 v[6:7], v[10:11], 0, v[6:7]
	global_load_ushort v3, v[6:7], off offset:384
	s_mov_b32 s4, 0x5040100
	s_waitcnt vmcnt(0)
	v_perm_b32 v15, v3, v15, s4
.LBB1492_18:
	s_or_b64 exec, exec, s[2:3]
	s_load_dword s3, s[0:1], 0x3c
	s_waitcnt lgkmcnt(0)
	s_add_i32 s36, s35, s34
	s_getpc_b64 s[0:1]
	s_add_u32 s0, s0, _ZN7rocprim17ROCPRIM_400000_NS16block_radix_sortIsLj256ELj4EsLj1ELj1ELj0ELNS0_26block_radix_rank_algorithmE1ELNS0_18block_padding_hintE2ELNS0_4arch9wavefront6targetE1EE19radix_bits_per_passE@rel32@lo+4
	s_addc_u32 s1, s1, _ZN7rocprim17ROCPRIM_400000_NS16block_radix_sortIsLj256ELj4EsLj1ELj1ELj0ELNS0_26block_radix_rank_algorithmE1ELNS0_18block_padding_hintE2ELNS0_4arch9wavefront6targetE1EE19radix_bits_per_passE@rel32@hi+12
	s_load_dword s37, s[0:1], 0x0
	v_bfe_u32 v5, v0, 10, 10
	s_lshr_b32 s0, s3, 16
	v_bfe_u32 v0, v0, 20, 10
	s_and_b32 s1, s3, 0xffff
	v_mad_u32_u24 v0, v0, s0, v5
	v_mad_u64_u32 v[6:7], s[0:1], v0, s1, v[4:5]
	v_lshrrev_b32_e32 v0, 4, v6
	s_movk_i32 s2, 0x8000
	v_and_b32_e32 v16, 0xffffffc, v0
	v_and_b32_e32 v0, 15, v12
	v_xor_b32_e32 v3, 0xffff8000, v9
	v_xor_b32_sdwa v9, v9, s2 dst_sel:DWORD dst_unused:UNUSED_PAD src0_sel:WORD_1 src1_sel:DWORD
	v_xor_b32_e32 v10, 0xffff8000, v8
	v_xor_b32_sdwa v8, v8, s2 dst_sel:DWORD dst_unused:UNUSED_PAD src0_sel:WORD_1 src1_sel:DWORD
	v_cmp_eq_u32_e64 s[0:1], 0, v0
	v_cmp_lt_u32_e64 s[2:3], 1, v0
	v_cmp_lt_u32_e64 s[4:5], 3, v0
	;; [unrolled: 1-line block ×3, first 2 shown]
	v_and_b32_e32 v0, 16, v12
	v_cmp_eq_u32_e64 s[8:9], 0, v0
	v_and_b32_e32 v0, 0x3c0, v4
	v_min_u32_e32 v0, 0xc0, v0
	v_or_b32_e32 v0, 63, v0
	v_cmp_eq_u32_e64 s[12:13], v4, v0
	v_subrev_co_u32_e64 v0, s[18:19], 1, v12
	v_and_b32_e32 v6, 64, v12
	v_cmp_lt_i32_e32 vcc, v0, v6
	s_mov_b32 s26, 0
	v_lshlrev_b32_e32 v5, 4, v4
	v_cndmask_b32_e32 v0, v0, v12, vcc
	v_lshlrev_b32_e32 v17, 2, v0
	v_lshrrev_b32_e32 v0, 4, v4
	v_and_b32_e32 v18, 60, v0
	v_mul_i32_i24_e32 v6, -12, v4
	v_and_b32_e32 v0, 3, v12
	s_mov_b32 s40, 0x5040100
	s_mov_b32 s27, s26
	;; [unrolled: 1-line block ×4, first 2 shown]
	v_cmp_lt_u32_e64 s[10:11], 31, v12
	v_cmp_gt_u32_e64 s[14:15], 4, v4
	v_cmp_lt_u32_e64 s[16:17], 63, v4
	v_cmp_eq_u32_e64 s[20:21], 0, v4
	v_cmp_eq_u32_e64 s[22:23], 0, v0
	v_cmp_lt_u32_e64 s[24:25], 1, v0
	v_add_u32_e32 v19, -4, v18
	v_lshl_add_u32 v20, v1, 1, v2
	v_perm_b32 v23, v8, v10, s40
	v_perm_b32 v0, v9, v3, s40
	v_mov_b64_e32 v[8:9], s[26:27]
	v_mov_b64_e32 v[10:11], s[44:45]
	v_mov_b32_e32 v13, 0
	v_add_u32_e32 v21, v5, v6
	s_branch .LBB1492_20
.LBB1492_19:                            ;   in Loop: Header=BB1492_20 Depth=1
	s_andn2_b64 vcc, exec, s[26:27]
	s_cbranch_vccz .LBB1492_36
.LBB1492_20:                            ; =>This Inner Loop Header: Depth=1
	s_waitcnt lgkmcnt(0)
	s_min_u32 s26, s37, s35
	v_mov_b32_e32 v22, v0
	s_lshl_b32 s41, -1, s26
	v_lshrrev_b32_sdwa v0, s34, v23 dst_sel:DWORD dst_unused:UNUSED_PAD src0_sel:DWORD src1_sel:WORD_0
	v_bitop3_b32 v2, v0, s41, v0 bitop3:0x30
	v_and_b32_e32 v12, 1, v2
	v_lshl_add_u64 v[0:1], v[12:13], 0, -1
	v_cmp_ne_u32_e32 vcc, 0, v12
	s_waitcnt vmcnt(0)
	v_mov_b64_e32 v[6:7], v[14:15]
	v_lshlrev_b32_e32 v3, 4, v2
	v_xor_b32_e32 v1, vcc_hi, v1
	v_xor_b32_e32 v0, vcc_lo, v0
	v_and_b32_e32 v12, exec_hi, v1
	v_and_b32_e32 v14, exec_lo, v0
	v_lshlrev_b32_e32 v1, 30, v2
	v_mov_b32_e32 v0, v13
	v_cmp_gt_i64_e32 vcc, 0, v[0:1]
	v_not_b32_e32 v0, v1
	v_ashrrev_i32_e32 v0, 31, v0
	v_xor_b32_e32 v1, vcc_hi, v0
	v_xor_b32_e32 v0, vcc_lo, v0
	v_and_b32_e32 v12, v12, v1
	v_and_b32_e32 v14, v14, v0
	v_lshlrev_b32_e32 v1, 29, v2
	v_mov_b32_e32 v0, v13
	v_cmp_gt_i64_e32 vcc, 0, v[0:1]
	v_not_b32_e32 v0, v1
	v_ashrrev_i32_e32 v0, 31, v0
	v_xor_b32_e32 v1, vcc_hi, v0
	v_xor_b32_e32 v0, vcc_lo, v0
	v_and_b32_e32 v12, v12, v1
	v_and_b32_e32 v14, v14, v0
	;; [unrolled: 9-line block ×7, first 2 shown]
	v_mbcnt_lo_u32_b32 v2, v0, 0
	v_mbcnt_hi_u32_b32 v14, v1, v2
	v_cmp_eq_u32_e32 vcc, 0, v14
	v_cmp_ne_u64_e64 s[26:27], 0, v[0:1]
	s_and_b64 s[44:45], s[26:27], vcc
	v_add_u32_e32 v15, v16, v3
	ds_write2_b64 v5, v[8:9], v[10:11] offset0:2 offset1:3
	s_waitcnt lgkmcnt(0)
	s_barrier
	; wave barrier
	s_and_saveexec_b64 s[26:27], s[44:45]
; %bb.21:                               ;   in Loop: Header=BB1492_20 Depth=1
	v_bcnt_u32_b32 v0, v0, 0
	v_bcnt_u32_b32 v0, v1, v0
	ds_write_b32 v15, v0 offset:16
; %bb.22:                               ;   in Loop: Header=BB1492_20 Depth=1
	s_or_b64 exec, exec, s[26:27]
	v_lshrrev_b32_e32 v24, 16, v23
	s_not_b32 s41, s41
	v_lshrrev_b32_e32 v0, s34, v24
	v_and_b32_e32 v2, s41, v0
	v_lshlrev_b32_e32 v0, 4, v2
	v_and_b32_e32 v12, 1, v2
	v_add_u32_e32 v26, v16, v0
	v_lshl_add_u64 v[0:1], v[12:13], 0, -1
	v_cmp_ne_u32_e32 vcc, 0, v12
	; wave barrier
	s_nop 1
	v_xor_b32_e32 v1, vcc_hi, v1
	v_xor_b32_e32 v0, vcc_lo, v0
	v_and_b32_e32 v3, exec_hi, v1
	v_and_b32_e32 v12, exec_lo, v0
	v_lshlrev_b32_e32 v1, 30, v2
	v_mov_b32_e32 v0, v13
	v_cmp_gt_i64_e32 vcc, 0, v[0:1]
	v_not_b32_e32 v0, v1
	v_ashrrev_i32_e32 v0, 31, v0
	v_xor_b32_e32 v1, vcc_hi, v0
	v_xor_b32_e32 v0, vcc_lo, v0
	v_and_b32_e32 v3, v3, v1
	v_and_b32_e32 v12, v12, v0
	v_lshlrev_b32_e32 v1, 29, v2
	v_mov_b32_e32 v0, v13
	v_cmp_gt_i64_e32 vcc, 0, v[0:1]
	v_not_b32_e32 v0, v1
	v_ashrrev_i32_e32 v0, 31, v0
	v_xor_b32_e32 v1, vcc_hi, v0
	v_xor_b32_e32 v0, vcc_lo, v0
	v_and_b32_e32 v3, v3, v1
	v_and_b32_e32 v12, v12, v0
	;; [unrolled: 9-line block ×6, first 2 shown]
	v_lshlrev_b32_e32 v1, 24, v2
	v_mov_b32_e32 v0, v13
	v_cmp_gt_i64_e32 vcc, 0, v[0:1]
	v_not_b32_e32 v0, v1
	v_ashrrev_i32_e32 v0, 31, v0
	v_xor_b32_e32 v1, vcc_hi, v0
	v_xor_b32_e32 v0, vcc_lo, v0
	ds_read_b32 v25, v26 offset:16
	v_and_b32_e32 v0, v12, v0
	v_and_b32_e32 v1, v3, v1
	v_mbcnt_lo_u32_b32 v2, v0, 0
	v_mbcnt_hi_u32_b32 v27, v1, v2
	v_cmp_eq_u32_e32 vcc, 0, v27
	v_cmp_ne_u64_e64 s[26:27], 0, v[0:1]
	s_and_b64 s[44:45], s[26:27], vcc
	; wave barrier
	s_and_saveexec_b64 s[26:27], s[44:45]
	s_cbranch_execz .LBB1492_24
; %bb.23:                               ;   in Loop: Header=BB1492_20 Depth=1
	v_bcnt_u32_b32 v0, v0, 0
	v_bcnt_u32_b32 v0, v1, v0
	s_waitcnt lgkmcnt(0)
	v_add_u32_e32 v0, v25, v0
	ds_write_b32 v26, v0 offset:16
.LBB1492_24:                            ;   in Loop: Header=BB1492_20 Depth=1
	s_or_b64 exec, exec, s[26:27]
	v_lshrrev_b32_sdwa v0, s34, v22 dst_sel:DWORD dst_unused:UNUSED_PAD src0_sel:DWORD src1_sel:WORD_0
	v_and_b32_e32 v2, s41, v0
	v_lshlrev_b32_e32 v0, 4, v2
	v_and_b32_e32 v12, 1, v2
	v_add_u32_e32 v29, v16, v0
	v_lshl_add_u64 v[0:1], v[12:13], 0, -1
	v_cmp_ne_u32_e32 vcc, 0, v12
	; wave barrier
	s_nop 1
	v_xor_b32_e32 v1, vcc_hi, v1
	v_xor_b32_e32 v0, vcc_lo, v0
	v_and_b32_e32 v3, exec_hi, v1
	v_and_b32_e32 v12, exec_lo, v0
	v_lshlrev_b32_e32 v1, 30, v2
	v_mov_b32_e32 v0, v13
	v_cmp_gt_i64_e32 vcc, 0, v[0:1]
	v_not_b32_e32 v0, v1
	v_ashrrev_i32_e32 v0, 31, v0
	v_xor_b32_e32 v1, vcc_hi, v0
	v_xor_b32_e32 v0, vcc_lo, v0
	v_and_b32_e32 v3, v3, v1
	v_and_b32_e32 v12, v12, v0
	v_lshlrev_b32_e32 v1, 29, v2
	v_mov_b32_e32 v0, v13
	v_cmp_gt_i64_e32 vcc, 0, v[0:1]
	v_not_b32_e32 v0, v1
	v_ashrrev_i32_e32 v0, 31, v0
	v_xor_b32_e32 v1, vcc_hi, v0
	v_xor_b32_e32 v0, vcc_lo, v0
	v_and_b32_e32 v3, v3, v1
	v_and_b32_e32 v12, v12, v0
	;; [unrolled: 9-line block ×6, first 2 shown]
	v_lshlrev_b32_e32 v1, 24, v2
	v_mov_b32_e32 v0, v13
	v_cmp_gt_i64_e32 vcc, 0, v[0:1]
	v_not_b32_e32 v0, v1
	v_ashrrev_i32_e32 v0, 31, v0
	v_xor_b32_e32 v1, vcc_hi, v0
	v_xor_b32_e32 v0, vcc_lo, v0
	ds_read_b32 v28, v29 offset:16
	v_and_b32_e32 v0, v12, v0
	v_and_b32_e32 v1, v3, v1
	v_mbcnt_lo_u32_b32 v2, v0, 0
	v_mbcnt_hi_u32_b32 v31, v1, v2
	v_cmp_eq_u32_e32 vcc, 0, v31
	v_cmp_ne_u64_e64 s[26:27], 0, v[0:1]
	s_and_b64 s[44:45], s[26:27], vcc
	; wave barrier
	s_and_saveexec_b64 s[26:27], s[44:45]
	s_cbranch_execz .LBB1492_26
; %bb.25:                               ;   in Loop: Header=BB1492_20 Depth=1
	v_bcnt_u32_b32 v0, v0, 0
	v_bcnt_u32_b32 v0, v1, v0
	s_waitcnt lgkmcnt(0)
	v_add_u32_e32 v0, v28, v0
	ds_write_b32 v29, v0 offset:16
.LBB1492_26:                            ;   in Loop: Header=BB1492_20 Depth=1
	s_or_b64 exec, exec, s[26:27]
	v_lshrrev_b32_e32 v30, 16, v22
	v_lshrrev_b32_e32 v0, s34, v30
	v_and_b32_e32 v2, s41, v0
	v_lshlrev_b32_e32 v0, 4, v2
	v_and_b32_e32 v12, 1, v2
	v_add_u32_e32 v33, v16, v0
	v_lshl_add_u64 v[0:1], v[12:13], 0, -1
	v_cmp_ne_u32_e32 vcc, 0, v12
	; wave barrier
	s_nop 1
	v_xor_b32_e32 v1, vcc_hi, v1
	v_xor_b32_e32 v0, vcc_lo, v0
	v_and_b32_e32 v3, exec_hi, v1
	v_and_b32_e32 v12, exec_lo, v0
	v_lshlrev_b32_e32 v1, 30, v2
	v_mov_b32_e32 v0, v13
	v_cmp_gt_i64_e32 vcc, 0, v[0:1]
	v_not_b32_e32 v0, v1
	v_ashrrev_i32_e32 v0, 31, v0
	v_xor_b32_e32 v1, vcc_hi, v0
	v_xor_b32_e32 v0, vcc_lo, v0
	v_and_b32_e32 v3, v3, v1
	v_and_b32_e32 v12, v12, v0
	v_lshlrev_b32_e32 v1, 29, v2
	v_mov_b32_e32 v0, v13
	v_cmp_gt_i64_e32 vcc, 0, v[0:1]
	v_not_b32_e32 v0, v1
	v_ashrrev_i32_e32 v0, 31, v0
	v_xor_b32_e32 v1, vcc_hi, v0
	v_xor_b32_e32 v0, vcc_lo, v0
	v_and_b32_e32 v3, v3, v1
	v_and_b32_e32 v12, v12, v0
	;; [unrolled: 9-line block ×6, first 2 shown]
	v_lshlrev_b32_e32 v1, 24, v2
	v_mov_b32_e32 v0, v13
	v_cmp_gt_i64_e32 vcc, 0, v[0:1]
	v_not_b32_e32 v0, v1
	v_ashrrev_i32_e32 v0, 31, v0
	v_xor_b32_e32 v1, vcc_hi, v0
	v_xor_b32_e32 v0, vcc_lo, v0
	ds_read_b32 v32, v33 offset:16
	v_and_b32_e32 v0, v12, v0
	v_and_b32_e32 v1, v3, v1
	v_mbcnt_lo_u32_b32 v2, v0, 0
	v_mbcnt_hi_u32_b32 v12, v1, v2
	v_cmp_eq_u32_e32 vcc, 0, v12
	v_cmp_ne_u64_e64 s[26:27], 0, v[0:1]
	s_and_b64 s[44:45], s[26:27], vcc
	; wave barrier
	s_and_saveexec_b64 s[26:27], s[44:45]
	s_cbranch_execz .LBB1492_28
; %bb.27:                               ;   in Loop: Header=BB1492_20 Depth=1
	v_bcnt_u32_b32 v0, v0, 0
	v_bcnt_u32_b32 v0, v1, v0
	s_waitcnt lgkmcnt(0)
	v_add_u32_e32 v0, v32, v0
	ds_write_b32 v33, v0 offset:16
.LBB1492_28:                            ;   in Loop: Header=BB1492_20 Depth=1
	s_or_b64 exec, exec, s[26:27]
	; wave barrier
	s_waitcnt lgkmcnt(0)
	s_barrier
	ds_read2_b64 v[0:3], v5 offset0:2 offset1:3
	s_waitcnt lgkmcnt(0)
	v_add_u32_e32 v34, v1, v0
	v_add3_u32 v3, v34, v2, v3
	s_nop 1
	v_mov_b32_dpp v34, v3 row_shr:1 row_mask:0xf bank_mask:0xf
	v_cndmask_b32_e64 v34, v34, 0, s[0:1]
	v_add_u32_e32 v3, v34, v3
	s_nop 1
	v_mov_b32_dpp v34, v3 row_shr:2 row_mask:0xf bank_mask:0xf
	v_cndmask_b32_e64 v34, 0, v34, s[2:3]
	v_add_u32_e32 v3, v3, v34
	;; [unrolled: 4-line block ×4, first 2 shown]
	s_nop 1
	v_mov_b32_dpp v34, v3 row_bcast:15 row_mask:0xf bank_mask:0xf
	v_cndmask_b32_e64 v34, v34, 0, s[8:9]
	v_add_u32_e32 v3, v3, v34
	s_nop 1
	v_mov_b32_dpp v34, v3 row_bcast:31 row_mask:0xf bank_mask:0xf
	v_cndmask_b32_e64 v34, 0, v34, s[10:11]
	v_add_u32_e32 v3, v3, v34
	s_and_saveexec_b64 s[26:27], s[12:13]
; %bb.29:                               ;   in Loop: Header=BB1492_20 Depth=1
	ds_write_b32 v18, v3
; %bb.30:                               ;   in Loop: Header=BB1492_20 Depth=1
	s_or_b64 exec, exec, s[26:27]
	s_waitcnt lgkmcnt(0)
	s_barrier
	s_and_saveexec_b64 s[26:27], s[14:15]
	s_cbranch_execz .LBB1492_32
; %bb.31:                               ;   in Loop: Header=BB1492_20 Depth=1
	ds_read_b32 v34, v21
	s_waitcnt lgkmcnt(0)
	s_nop 0
	v_mov_b32_dpp v35, v34 row_shr:1 row_mask:0xf bank_mask:0xf
	v_cndmask_b32_e64 v35, v35, 0, s[22:23]
	v_add_u32_e32 v34, v35, v34
	s_nop 1
	v_mov_b32_dpp v35, v34 row_shr:2 row_mask:0xf bank_mask:0xf
	v_cndmask_b32_e64 v35, 0, v35, s[24:25]
	v_add_u32_e32 v34, v34, v35
	ds_write_b32 v21, v34
.LBB1492_32:                            ;   in Loop: Header=BB1492_20 Depth=1
	s_or_b64 exec, exec, s[26:27]
	v_mov_b32_e32 v34, 0
	s_waitcnt lgkmcnt(0)
	s_barrier
	s_and_saveexec_b64 s[26:27], s[16:17]
; %bb.33:                               ;   in Loop: Header=BB1492_20 Depth=1
	ds_read_b32 v34, v19
; %bb.34:                               ;   in Loop: Header=BB1492_20 Depth=1
	s_or_b64 exec, exec, s[26:27]
	s_waitcnt lgkmcnt(0)
	v_add_u32_e32 v3, v34, v3
	ds_bpermute_b32 v35, v17, v3
	s_add_i32 s34, s34, 8
	v_mov_b32_e32 v3, v23
	s_cmp_ge_u32 s34, s36
	s_mov_b64 s[26:27], -1
	s_waitcnt lgkmcnt(0)
	v_cndmask_b32_e64 v34, v35, v34, s[18:19]
	v_cndmask_b32_e64 v34, v34, 0, s[20:21]
	v_add_u32_e32 v35, v34, v0
	v_add_u32_e32 v0, v35, v1
	;; [unrolled: 1-line block ×3, first 2 shown]
	ds_write2_b64 v5, v[34:35], v[0:1] offset0:2 offset1:3
	s_waitcnt lgkmcnt(0)
	s_barrier
	ds_read_b32 v0, v15 offset:16
	ds_read_b32 v2, v26 offset:16
	;; [unrolled: 1-line block ×4, first 2 shown]
	v_lshlrev_b32_e32 v1, 1, v14
	s_waitcnt lgkmcnt(3)
	v_lshl_add_u32 v1, v0, 1, v1
	v_lshlrev_b32_e32 v0, 1, v27
	v_lshlrev_b32_e32 v14, 1, v25
	s_waitcnt lgkmcnt(2)
	v_lshlrev_b32_e32 v2, 1, v2
	v_add3_u32 v2, v0, v14, v2
	v_lshlrev_b32_e32 v0, 1, v31
	v_lshlrev_b32_e32 v14, 1, v28
	s_waitcnt lgkmcnt(1)
	v_lshlrev_b32_e32 v15, 1, v15
	v_add3_u32 v25, v0, v14, v15
	;; [unrolled: 5-line block ×3, first 2 shown]
                                        ; implicit-def: $vgpr0
                                        ; implicit-def: $vgpr14_vgpr15
	s_cbranch_scc1 .LBB1492_19
; %bb.35:                               ;   in Loop: Header=BB1492_20 Depth=1
	s_barrier
	ds_write_b16 v1, v23
	ds_write_b16 v2, v24
	;; [unrolled: 1-line block ×4, first 2 shown]
	s_waitcnt lgkmcnt(0)
	s_barrier
	ds_read_u16 v0, v20
	ds_read_u16 v23, v20 offset:128
	ds_read_u16 v26, v20 offset:256
	ds_read_u16 v27, v20 offset:384
	s_waitcnt lgkmcnt(0)
	s_barrier
	ds_write_b16 v1, v6
	ds_write_b16_d16_hi v2, v6
	ds_write_b16 v25, v7
	ds_write_b16_d16_hi v12, v7
	s_waitcnt lgkmcnt(0)
	s_barrier
	ds_read_u16 v14, v20
	ds_read_u16 v15, v20 offset:256
	ds_read_u16 v28, v20 offset:384
	;; [unrolled: 1-line block ×3, first 2 shown]
	v_perm_b32 v23, v23, v0, s40
	v_perm_b32 v0, v27, v26, s40
	s_add_i32 s35, s35, -8
	s_waitcnt lgkmcnt(1)
	v_perm_b32 v15, v28, v15, s40
	s_waitcnt lgkmcnt(0)
	v_perm_b32 v14, v29, v14, s40
	s_mov_b64 s[26:27], 0
	s_barrier
	s_branch .LBB1492_19
.LBB1492_36:
	v_lshlrev_b32_e32 v0, 1, v4
	s_barrier
	ds_write_b16 v1, v3
	ds_write_b16 v2, v24
	;; [unrolled: 1-line block ×4, first 2 shown]
	s_waitcnt lgkmcnt(0)
	s_barrier
	ds_read_u16 v3, v0
	ds_read_u16 v9, v0 offset:512
	ds_read_u16 v10, v0 offset:1024
	;; [unrolled: 1-line block ×3, first 2 shown]
	s_waitcnt lgkmcnt(0)
	s_barrier
	ds_write_b16 v1, v6
	ds_write_b16_d16_hi v2, v6
	ds_write_b16 v25, v7
	ds_write_b16_d16_hi v12, v7
	s_waitcnt lgkmcnt(0)
	s_barrier
	ds_read_u16 v8, v0
	ds_read_u16 v7, v0 offset:512
	ds_read_u16 v6, v0 offset:1024
	;; [unrolled: 1-line block ×3, first 2 shown]
	s_add_u32 s0, s38, s28
	s_addc_u32 s1, s39, s29
	v_mov_b32_e32 v1, 0
	v_xor_b32_e32 v12, 0xffff8000, v3
	v_xor_b32_e32 v11, 0xffff8000, v9
	;; [unrolled: 1-line block ×4, first 2 shown]
	s_andn2_b64 vcc, exec, s[30:31]
	v_lshl_add_u64 v[2:3], s[0:1], 0, v[0:1]
	s_cbranch_vccnz .LBB1492_38
; %bb.37:
	s_add_u32 s0, s42, s28
	s_addc_u32 s1, s43, s29
	global_store_short v[2:3], v12, off
	global_store_short v[2:3], v11, off offset:512
	global_store_short v[2:3], v10, off offset:1024
	;; [unrolled: 1-line block ×3, first 2 shown]
	s_waitcnt lgkmcnt(3)
	global_store_short v0, v8, s[0:1]
	s_waitcnt lgkmcnt(2)
	global_store_short v0, v7, s[0:1] offset:512
	s_waitcnt lgkmcnt(1)
	global_store_short v0, v6, s[0:1] offset:1024
	s_mov_b64 s[4:5], -1
	s_cbranch_execz .LBB1492_39
	s_branch .LBB1492_52
.LBB1492_38:
	s_mov_b64 s[4:5], 0
.LBB1492_39:
	v_cmp_gt_u32_e32 vcc, s33, v4
	s_and_saveexec_b64 s[0:1], vcc
	s_cbranch_execz .LBB1492_41
; %bb.40:
	global_store_short v[2:3], v12, off
.LBB1492_41:
	s_or_b64 exec, exec, s[0:1]
	v_add_u32_e32 v1, 0x100, v4
	v_cmp_gt_u32_e64 s[0:1], s33, v1
	s_and_saveexec_b64 s[2:3], s[0:1]
	s_cbranch_execz .LBB1492_43
; %bb.42:
	global_store_short v[2:3], v11, off offset:512
.LBB1492_43:
	s_or_b64 exec, exec, s[2:3]
	v_add_u32_e32 v1, 0x200, v4
	v_cmp_gt_u32_e64 s[2:3], s33, v1
	s_and_saveexec_b64 s[4:5], s[2:3]
	s_cbranch_execz .LBB1492_45
; %bb.44:
	global_store_short v[2:3], v10, off offset:1024
.LBB1492_45:
	;; [unrolled: 8-line block ×3, first 2 shown]
	s_or_b64 exec, exec, s[6:7]
	s_add_u32 s6, s42, s28
	s_addc_u32 s7, s43, s29
	v_mov_b32_e32 v1, 0
	v_lshl_add_u64 v[2:3], s[6:7], 0, v[0:1]
	s_and_saveexec_b64 s[6:7], vcc
	s_cbranch_execnz .LBB1492_57
; %bb.48:
	s_or_b64 exec, exec, s[6:7]
	s_and_saveexec_b64 s[6:7], s[0:1]
	s_cbranch_execnz .LBB1492_58
.LBB1492_49:
	s_or_b64 exec, exec, s[6:7]
	s_and_saveexec_b64 s[0:1], s[2:3]
	s_cbranch_execz .LBB1492_51
.LBB1492_50:
	s_waitcnt lgkmcnt(1)
	global_store_short v[2:3], v6, off offset:1024
.LBB1492_51:
	s_or_b64 exec, exec, s[0:1]
.LBB1492_52:
	s_and_saveexec_b64 s[0:1], s[4:5]
	s_cbranch_execnz .LBB1492_54
; %bb.53:
	s_endpgm
.LBB1492_54:
	s_add_u32 s0, s42, s28
	s_addc_u32 s1, s43, s29
	s_waitcnt lgkmcnt(0)
	global_store_short v0, v5, s[0:1] offset:1536
	s_endpgm
.LBB1492_55:
	global_load_ushort v5, v[10:11], off
	v_mov_b32_e32 v15, v3
	s_waitcnt vmcnt(0)
	v_and_b32_e32 v14, 0xffff, v5
	s_or_b64 exec, exec, s[8:9]
	s_and_saveexec_b64 s[8:9], s[2:3]
	s_cbranch_execz .LBB1492_13
.LBB1492_56:
	global_load_ushort v3, v[10:11], off offset:128
	s_mov_b32 s2, 0x5040100
	s_waitcnt vmcnt(0)
	v_perm_b32 v14, v3, v14, s2
	s_or_b64 exec, exec, s[8:9]
	s_and_saveexec_b64 s[2:3], s[4:5]
	s_cbranch_execnz .LBB1492_14
	s_branch .LBB1492_15
.LBB1492_57:
	s_waitcnt lgkmcnt(3)
	global_store_short v[2:3], v8, off
	s_or_b64 exec, exec, s[6:7]
	s_and_saveexec_b64 s[6:7], s[0:1]
	s_cbranch_execz .LBB1492_49
.LBB1492_58:
	s_waitcnt lgkmcnt(2)
	global_store_short v[2:3], v7, off offset:512
	s_or_b64 exec, exec, s[6:7]
	s_and_saveexec_b64 s[0:1], s[2:3]
	s_cbranch_execnz .LBB1492_50
	s_branch .LBB1492_51
	.section	.rodata,"a",@progbits
	.p2align	6, 0x0
	.amdhsa_kernel _ZN7rocprim17ROCPRIM_400000_NS6detail17trampoline_kernelINS0_13kernel_configILj256ELj4ELj4294967295EEENS1_37radix_sort_block_sort_config_selectorIssEEZNS1_21radix_sort_block_sortIS4_Lb0EN6thrust23THRUST_200600_302600_NS6detail15normal_iteratorINS9_10device_ptrIsEEEESE_SE_SE_NS0_19identity_decomposerEEE10hipError_tT1_T2_T3_T4_jRjT5_jjP12ihipStream_tbEUlT_E_NS1_11comp_targetILNS1_3genE0ELNS1_11target_archE4294967295ELNS1_3gpuE0ELNS1_3repE0EEENS1_44radix_sort_block_sort_config_static_selectorELNS0_4arch9wavefront6targetE1EEEvSH_
		.amdhsa_group_segment_fixed_size 4112
		.amdhsa_private_segment_fixed_size 0
		.amdhsa_kernarg_size 304
		.amdhsa_user_sgpr_count 2
		.amdhsa_user_sgpr_dispatch_ptr 0
		.amdhsa_user_sgpr_queue_ptr 0
		.amdhsa_user_sgpr_kernarg_segment_ptr 1
		.amdhsa_user_sgpr_dispatch_id 0
		.amdhsa_user_sgpr_kernarg_preload_length 0
		.amdhsa_user_sgpr_kernarg_preload_offset 0
		.amdhsa_user_sgpr_private_segment_size 0
		.amdhsa_uses_dynamic_stack 0
		.amdhsa_enable_private_segment 0
		.amdhsa_system_sgpr_workgroup_id_x 1
		.amdhsa_system_sgpr_workgroup_id_y 0
		.amdhsa_system_sgpr_workgroup_id_z 0
		.amdhsa_system_sgpr_workgroup_info 0
		.amdhsa_system_vgpr_workitem_id 2
		.amdhsa_next_free_vgpr 36
		.amdhsa_next_free_sgpr 46
		.amdhsa_accum_offset 36
		.amdhsa_reserve_vcc 1
		.amdhsa_float_round_mode_32 0
		.amdhsa_float_round_mode_16_64 0
		.amdhsa_float_denorm_mode_32 3
		.amdhsa_float_denorm_mode_16_64 3
		.amdhsa_dx10_clamp 1
		.amdhsa_ieee_mode 1
		.amdhsa_fp16_overflow 0
		.amdhsa_tg_split 0
		.amdhsa_exception_fp_ieee_invalid_op 0
		.amdhsa_exception_fp_denorm_src 0
		.amdhsa_exception_fp_ieee_div_zero 0
		.amdhsa_exception_fp_ieee_overflow 0
		.amdhsa_exception_fp_ieee_underflow 0
		.amdhsa_exception_fp_ieee_inexact 0
		.amdhsa_exception_int_div_zero 0
	.end_amdhsa_kernel
	.section	.text._ZN7rocprim17ROCPRIM_400000_NS6detail17trampoline_kernelINS0_13kernel_configILj256ELj4ELj4294967295EEENS1_37radix_sort_block_sort_config_selectorIssEEZNS1_21radix_sort_block_sortIS4_Lb0EN6thrust23THRUST_200600_302600_NS6detail15normal_iteratorINS9_10device_ptrIsEEEESE_SE_SE_NS0_19identity_decomposerEEE10hipError_tT1_T2_T3_T4_jRjT5_jjP12ihipStream_tbEUlT_E_NS1_11comp_targetILNS1_3genE0ELNS1_11target_archE4294967295ELNS1_3gpuE0ELNS1_3repE0EEENS1_44radix_sort_block_sort_config_static_selectorELNS0_4arch9wavefront6targetE1EEEvSH_,"axG",@progbits,_ZN7rocprim17ROCPRIM_400000_NS6detail17trampoline_kernelINS0_13kernel_configILj256ELj4ELj4294967295EEENS1_37radix_sort_block_sort_config_selectorIssEEZNS1_21radix_sort_block_sortIS4_Lb0EN6thrust23THRUST_200600_302600_NS6detail15normal_iteratorINS9_10device_ptrIsEEEESE_SE_SE_NS0_19identity_decomposerEEE10hipError_tT1_T2_T3_T4_jRjT5_jjP12ihipStream_tbEUlT_E_NS1_11comp_targetILNS1_3genE0ELNS1_11target_archE4294967295ELNS1_3gpuE0ELNS1_3repE0EEENS1_44radix_sort_block_sort_config_static_selectorELNS0_4arch9wavefront6targetE1EEEvSH_,comdat
.Lfunc_end1492:
	.size	_ZN7rocprim17ROCPRIM_400000_NS6detail17trampoline_kernelINS0_13kernel_configILj256ELj4ELj4294967295EEENS1_37radix_sort_block_sort_config_selectorIssEEZNS1_21radix_sort_block_sortIS4_Lb0EN6thrust23THRUST_200600_302600_NS6detail15normal_iteratorINS9_10device_ptrIsEEEESE_SE_SE_NS0_19identity_decomposerEEE10hipError_tT1_T2_T3_T4_jRjT5_jjP12ihipStream_tbEUlT_E_NS1_11comp_targetILNS1_3genE0ELNS1_11target_archE4294967295ELNS1_3gpuE0ELNS1_3repE0EEENS1_44radix_sort_block_sort_config_static_selectorELNS0_4arch9wavefront6targetE1EEEvSH_, .Lfunc_end1492-_ZN7rocprim17ROCPRIM_400000_NS6detail17trampoline_kernelINS0_13kernel_configILj256ELj4ELj4294967295EEENS1_37radix_sort_block_sort_config_selectorIssEEZNS1_21radix_sort_block_sortIS4_Lb0EN6thrust23THRUST_200600_302600_NS6detail15normal_iteratorINS9_10device_ptrIsEEEESE_SE_SE_NS0_19identity_decomposerEEE10hipError_tT1_T2_T3_T4_jRjT5_jjP12ihipStream_tbEUlT_E_NS1_11comp_targetILNS1_3genE0ELNS1_11target_archE4294967295ELNS1_3gpuE0ELNS1_3repE0EEENS1_44radix_sort_block_sort_config_static_selectorELNS0_4arch9wavefront6targetE1EEEvSH_
                                        ; -- End function
	.set _ZN7rocprim17ROCPRIM_400000_NS6detail17trampoline_kernelINS0_13kernel_configILj256ELj4ELj4294967295EEENS1_37radix_sort_block_sort_config_selectorIssEEZNS1_21radix_sort_block_sortIS4_Lb0EN6thrust23THRUST_200600_302600_NS6detail15normal_iteratorINS9_10device_ptrIsEEEESE_SE_SE_NS0_19identity_decomposerEEE10hipError_tT1_T2_T3_T4_jRjT5_jjP12ihipStream_tbEUlT_E_NS1_11comp_targetILNS1_3genE0ELNS1_11target_archE4294967295ELNS1_3gpuE0ELNS1_3repE0EEENS1_44radix_sort_block_sort_config_static_selectorELNS0_4arch9wavefront6targetE1EEEvSH_.num_vgpr, 36
	.set _ZN7rocprim17ROCPRIM_400000_NS6detail17trampoline_kernelINS0_13kernel_configILj256ELj4ELj4294967295EEENS1_37radix_sort_block_sort_config_selectorIssEEZNS1_21radix_sort_block_sortIS4_Lb0EN6thrust23THRUST_200600_302600_NS6detail15normal_iteratorINS9_10device_ptrIsEEEESE_SE_SE_NS0_19identity_decomposerEEE10hipError_tT1_T2_T3_T4_jRjT5_jjP12ihipStream_tbEUlT_E_NS1_11comp_targetILNS1_3genE0ELNS1_11target_archE4294967295ELNS1_3gpuE0ELNS1_3repE0EEENS1_44radix_sort_block_sort_config_static_selectorELNS0_4arch9wavefront6targetE1EEEvSH_.num_agpr, 0
	.set _ZN7rocprim17ROCPRIM_400000_NS6detail17trampoline_kernelINS0_13kernel_configILj256ELj4ELj4294967295EEENS1_37radix_sort_block_sort_config_selectorIssEEZNS1_21radix_sort_block_sortIS4_Lb0EN6thrust23THRUST_200600_302600_NS6detail15normal_iteratorINS9_10device_ptrIsEEEESE_SE_SE_NS0_19identity_decomposerEEE10hipError_tT1_T2_T3_T4_jRjT5_jjP12ihipStream_tbEUlT_E_NS1_11comp_targetILNS1_3genE0ELNS1_11target_archE4294967295ELNS1_3gpuE0ELNS1_3repE0EEENS1_44radix_sort_block_sort_config_static_selectorELNS0_4arch9wavefront6targetE1EEEvSH_.numbered_sgpr, 46
	.set _ZN7rocprim17ROCPRIM_400000_NS6detail17trampoline_kernelINS0_13kernel_configILj256ELj4ELj4294967295EEENS1_37radix_sort_block_sort_config_selectorIssEEZNS1_21radix_sort_block_sortIS4_Lb0EN6thrust23THRUST_200600_302600_NS6detail15normal_iteratorINS9_10device_ptrIsEEEESE_SE_SE_NS0_19identity_decomposerEEE10hipError_tT1_T2_T3_T4_jRjT5_jjP12ihipStream_tbEUlT_E_NS1_11comp_targetILNS1_3genE0ELNS1_11target_archE4294967295ELNS1_3gpuE0ELNS1_3repE0EEENS1_44radix_sort_block_sort_config_static_selectorELNS0_4arch9wavefront6targetE1EEEvSH_.num_named_barrier, 0
	.set _ZN7rocprim17ROCPRIM_400000_NS6detail17trampoline_kernelINS0_13kernel_configILj256ELj4ELj4294967295EEENS1_37radix_sort_block_sort_config_selectorIssEEZNS1_21radix_sort_block_sortIS4_Lb0EN6thrust23THRUST_200600_302600_NS6detail15normal_iteratorINS9_10device_ptrIsEEEESE_SE_SE_NS0_19identity_decomposerEEE10hipError_tT1_T2_T3_T4_jRjT5_jjP12ihipStream_tbEUlT_E_NS1_11comp_targetILNS1_3genE0ELNS1_11target_archE4294967295ELNS1_3gpuE0ELNS1_3repE0EEENS1_44radix_sort_block_sort_config_static_selectorELNS0_4arch9wavefront6targetE1EEEvSH_.private_seg_size, 0
	.set _ZN7rocprim17ROCPRIM_400000_NS6detail17trampoline_kernelINS0_13kernel_configILj256ELj4ELj4294967295EEENS1_37radix_sort_block_sort_config_selectorIssEEZNS1_21radix_sort_block_sortIS4_Lb0EN6thrust23THRUST_200600_302600_NS6detail15normal_iteratorINS9_10device_ptrIsEEEESE_SE_SE_NS0_19identity_decomposerEEE10hipError_tT1_T2_T3_T4_jRjT5_jjP12ihipStream_tbEUlT_E_NS1_11comp_targetILNS1_3genE0ELNS1_11target_archE4294967295ELNS1_3gpuE0ELNS1_3repE0EEENS1_44radix_sort_block_sort_config_static_selectorELNS0_4arch9wavefront6targetE1EEEvSH_.uses_vcc, 1
	.set _ZN7rocprim17ROCPRIM_400000_NS6detail17trampoline_kernelINS0_13kernel_configILj256ELj4ELj4294967295EEENS1_37radix_sort_block_sort_config_selectorIssEEZNS1_21radix_sort_block_sortIS4_Lb0EN6thrust23THRUST_200600_302600_NS6detail15normal_iteratorINS9_10device_ptrIsEEEESE_SE_SE_NS0_19identity_decomposerEEE10hipError_tT1_T2_T3_T4_jRjT5_jjP12ihipStream_tbEUlT_E_NS1_11comp_targetILNS1_3genE0ELNS1_11target_archE4294967295ELNS1_3gpuE0ELNS1_3repE0EEENS1_44radix_sort_block_sort_config_static_selectorELNS0_4arch9wavefront6targetE1EEEvSH_.uses_flat_scratch, 0
	.set _ZN7rocprim17ROCPRIM_400000_NS6detail17trampoline_kernelINS0_13kernel_configILj256ELj4ELj4294967295EEENS1_37radix_sort_block_sort_config_selectorIssEEZNS1_21radix_sort_block_sortIS4_Lb0EN6thrust23THRUST_200600_302600_NS6detail15normal_iteratorINS9_10device_ptrIsEEEESE_SE_SE_NS0_19identity_decomposerEEE10hipError_tT1_T2_T3_T4_jRjT5_jjP12ihipStream_tbEUlT_E_NS1_11comp_targetILNS1_3genE0ELNS1_11target_archE4294967295ELNS1_3gpuE0ELNS1_3repE0EEENS1_44radix_sort_block_sort_config_static_selectorELNS0_4arch9wavefront6targetE1EEEvSH_.has_dyn_sized_stack, 0
	.set _ZN7rocprim17ROCPRIM_400000_NS6detail17trampoline_kernelINS0_13kernel_configILj256ELj4ELj4294967295EEENS1_37radix_sort_block_sort_config_selectorIssEEZNS1_21radix_sort_block_sortIS4_Lb0EN6thrust23THRUST_200600_302600_NS6detail15normal_iteratorINS9_10device_ptrIsEEEESE_SE_SE_NS0_19identity_decomposerEEE10hipError_tT1_T2_T3_T4_jRjT5_jjP12ihipStream_tbEUlT_E_NS1_11comp_targetILNS1_3genE0ELNS1_11target_archE4294967295ELNS1_3gpuE0ELNS1_3repE0EEENS1_44radix_sort_block_sort_config_static_selectorELNS0_4arch9wavefront6targetE1EEEvSH_.has_recursion, 0
	.set _ZN7rocprim17ROCPRIM_400000_NS6detail17trampoline_kernelINS0_13kernel_configILj256ELj4ELj4294967295EEENS1_37radix_sort_block_sort_config_selectorIssEEZNS1_21radix_sort_block_sortIS4_Lb0EN6thrust23THRUST_200600_302600_NS6detail15normal_iteratorINS9_10device_ptrIsEEEESE_SE_SE_NS0_19identity_decomposerEEE10hipError_tT1_T2_T3_T4_jRjT5_jjP12ihipStream_tbEUlT_E_NS1_11comp_targetILNS1_3genE0ELNS1_11target_archE4294967295ELNS1_3gpuE0ELNS1_3repE0EEENS1_44radix_sort_block_sort_config_static_selectorELNS0_4arch9wavefront6targetE1EEEvSH_.has_indirect_call, 0
	.section	.AMDGPU.csdata,"",@progbits
; Kernel info:
; codeLenInByte = 4096
; TotalNumSgprs: 52
; NumVgprs: 36
; NumAgprs: 0
; TotalNumVgprs: 36
; ScratchSize: 0
; MemoryBound: 0
; FloatMode: 240
; IeeeMode: 1
; LDSByteSize: 4112 bytes/workgroup (compile time only)
; SGPRBlocks: 6
; VGPRBlocks: 4
; NumSGPRsForWavesPerEU: 52
; NumVGPRsForWavesPerEU: 36
; AccumOffset: 36
; Occupancy: 8
; WaveLimiterHint : 1
; COMPUTE_PGM_RSRC2:SCRATCH_EN: 0
; COMPUTE_PGM_RSRC2:USER_SGPR: 2
; COMPUTE_PGM_RSRC2:TRAP_HANDLER: 0
; COMPUTE_PGM_RSRC2:TGID_X_EN: 1
; COMPUTE_PGM_RSRC2:TGID_Y_EN: 0
; COMPUTE_PGM_RSRC2:TGID_Z_EN: 0
; COMPUTE_PGM_RSRC2:TIDIG_COMP_CNT: 2
; COMPUTE_PGM_RSRC3_GFX90A:ACCUM_OFFSET: 8
; COMPUTE_PGM_RSRC3_GFX90A:TG_SPLIT: 0
	.section	.text._ZN7rocprim17ROCPRIM_400000_NS6detail17trampoline_kernelINS0_13kernel_configILj256ELj4ELj4294967295EEENS1_37radix_sort_block_sort_config_selectorIssEEZNS1_21radix_sort_block_sortIS4_Lb0EN6thrust23THRUST_200600_302600_NS6detail15normal_iteratorINS9_10device_ptrIsEEEESE_SE_SE_NS0_19identity_decomposerEEE10hipError_tT1_T2_T3_T4_jRjT5_jjP12ihipStream_tbEUlT_E_NS1_11comp_targetILNS1_3genE5ELNS1_11target_archE942ELNS1_3gpuE9ELNS1_3repE0EEENS1_44radix_sort_block_sort_config_static_selectorELNS0_4arch9wavefront6targetE1EEEvSH_,"axG",@progbits,_ZN7rocprim17ROCPRIM_400000_NS6detail17trampoline_kernelINS0_13kernel_configILj256ELj4ELj4294967295EEENS1_37radix_sort_block_sort_config_selectorIssEEZNS1_21radix_sort_block_sortIS4_Lb0EN6thrust23THRUST_200600_302600_NS6detail15normal_iteratorINS9_10device_ptrIsEEEESE_SE_SE_NS0_19identity_decomposerEEE10hipError_tT1_T2_T3_T4_jRjT5_jjP12ihipStream_tbEUlT_E_NS1_11comp_targetILNS1_3genE5ELNS1_11target_archE942ELNS1_3gpuE9ELNS1_3repE0EEENS1_44radix_sort_block_sort_config_static_selectorELNS0_4arch9wavefront6targetE1EEEvSH_,comdat
	.protected	_ZN7rocprim17ROCPRIM_400000_NS6detail17trampoline_kernelINS0_13kernel_configILj256ELj4ELj4294967295EEENS1_37radix_sort_block_sort_config_selectorIssEEZNS1_21radix_sort_block_sortIS4_Lb0EN6thrust23THRUST_200600_302600_NS6detail15normal_iteratorINS9_10device_ptrIsEEEESE_SE_SE_NS0_19identity_decomposerEEE10hipError_tT1_T2_T3_T4_jRjT5_jjP12ihipStream_tbEUlT_E_NS1_11comp_targetILNS1_3genE5ELNS1_11target_archE942ELNS1_3gpuE9ELNS1_3repE0EEENS1_44radix_sort_block_sort_config_static_selectorELNS0_4arch9wavefront6targetE1EEEvSH_ ; -- Begin function _ZN7rocprim17ROCPRIM_400000_NS6detail17trampoline_kernelINS0_13kernel_configILj256ELj4ELj4294967295EEENS1_37radix_sort_block_sort_config_selectorIssEEZNS1_21radix_sort_block_sortIS4_Lb0EN6thrust23THRUST_200600_302600_NS6detail15normal_iteratorINS9_10device_ptrIsEEEESE_SE_SE_NS0_19identity_decomposerEEE10hipError_tT1_T2_T3_T4_jRjT5_jjP12ihipStream_tbEUlT_E_NS1_11comp_targetILNS1_3genE5ELNS1_11target_archE942ELNS1_3gpuE9ELNS1_3repE0EEENS1_44radix_sort_block_sort_config_static_selectorELNS0_4arch9wavefront6targetE1EEEvSH_
	.globl	_ZN7rocprim17ROCPRIM_400000_NS6detail17trampoline_kernelINS0_13kernel_configILj256ELj4ELj4294967295EEENS1_37radix_sort_block_sort_config_selectorIssEEZNS1_21radix_sort_block_sortIS4_Lb0EN6thrust23THRUST_200600_302600_NS6detail15normal_iteratorINS9_10device_ptrIsEEEESE_SE_SE_NS0_19identity_decomposerEEE10hipError_tT1_T2_T3_T4_jRjT5_jjP12ihipStream_tbEUlT_E_NS1_11comp_targetILNS1_3genE5ELNS1_11target_archE942ELNS1_3gpuE9ELNS1_3repE0EEENS1_44radix_sort_block_sort_config_static_selectorELNS0_4arch9wavefront6targetE1EEEvSH_
	.p2align	8
	.type	_ZN7rocprim17ROCPRIM_400000_NS6detail17trampoline_kernelINS0_13kernel_configILj256ELj4ELj4294967295EEENS1_37radix_sort_block_sort_config_selectorIssEEZNS1_21radix_sort_block_sortIS4_Lb0EN6thrust23THRUST_200600_302600_NS6detail15normal_iteratorINS9_10device_ptrIsEEEESE_SE_SE_NS0_19identity_decomposerEEE10hipError_tT1_T2_T3_T4_jRjT5_jjP12ihipStream_tbEUlT_E_NS1_11comp_targetILNS1_3genE5ELNS1_11target_archE942ELNS1_3gpuE9ELNS1_3repE0EEENS1_44radix_sort_block_sort_config_static_selectorELNS0_4arch9wavefront6targetE1EEEvSH_,@function
_ZN7rocprim17ROCPRIM_400000_NS6detail17trampoline_kernelINS0_13kernel_configILj256ELj4ELj4294967295EEENS1_37radix_sort_block_sort_config_selectorIssEEZNS1_21radix_sort_block_sortIS4_Lb0EN6thrust23THRUST_200600_302600_NS6detail15normal_iteratorINS9_10device_ptrIsEEEESE_SE_SE_NS0_19identity_decomposerEEE10hipError_tT1_T2_T3_T4_jRjT5_jjP12ihipStream_tbEUlT_E_NS1_11comp_targetILNS1_3genE5ELNS1_11target_archE942ELNS1_3gpuE9ELNS1_3repE0EEENS1_44radix_sort_block_sort_config_static_selectorELNS0_4arch9wavefront6targetE1EEEvSH_: ; @_ZN7rocprim17ROCPRIM_400000_NS6detail17trampoline_kernelINS0_13kernel_configILj256ELj4ELj4294967295EEENS1_37radix_sort_block_sort_config_selectorIssEEZNS1_21radix_sort_block_sortIS4_Lb0EN6thrust23THRUST_200600_302600_NS6detail15normal_iteratorINS9_10device_ptrIsEEEESE_SE_SE_NS0_19identity_decomposerEEE10hipError_tT1_T2_T3_T4_jRjT5_jjP12ihipStream_tbEUlT_E_NS1_11comp_targetILNS1_3genE5ELNS1_11target_archE942ELNS1_3gpuE9ELNS1_3repE0EEENS1_44radix_sort_block_sort_config_static_selectorELNS0_4arch9wavefront6targetE1EEEvSH_
; %bb.0:
	.section	.rodata,"a",@progbits
	.p2align	6, 0x0
	.amdhsa_kernel _ZN7rocprim17ROCPRIM_400000_NS6detail17trampoline_kernelINS0_13kernel_configILj256ELj4ELj4294967295EEENS1_37radix_sort_block_sort_config_selectorIssEEZNS1_21radix_sort_block_sortIS4_Lb0EN6thrust23THRUST_200600_302600_NS6detail15normal_iteratorINS9_10device_ptrIsEEEESE_SE_SE_NS0_19identity_decomposerEEE10hipError_tT1_T2_T3_T4_jRjT5_jjP12ihipStream_tbEUlT_E_NS1_11comp_targetILNS1_3genE5ELNS1_11target_archE942ELNS1_3gpuE9ELNS1_3repE0EEENS1_44radix_sort_block_sort_config_static_selectorELNS0_4arch9wavefront6targetE1EEEvSH_
		.amdhsa_group_segment_fixed_size 0
		.amdhsa_private_segment_fixed_size 0
		.amdhsa_kernarg_size 48
		.amdhsa_user_sgpr_count 2
		.amdhsa_user_sgpr_dispatch_ptr 0
		.amdhsa_user_sgpr_queue_ptr 0
		.amdhsa_user_sgpr_kernarg_segment_ptr 1
		.amdhsa_user_sgpr_dispatch_id 0
		.amdhsa_user_sgpr_kernarg_preload_length 0
		.amdhsa_user_sgpr_kernarg_preload_offset 0
		.amdhsa_user_sgpr_private_segment_size 0
		.amdhsa_uses_dynamic_stack 0
		.amdhsa_enable_private_segment 0
		.amdhsa_system_sgpr_workgroup_id_x 1
		.amdhsa_system_sgpr_workgroup_id_y 0
		.amdhsa_system_sgpr_workgroup_id_z 0
		.amdhsa_system_sgpr_workgroup_info 0
		.amdhsa_system_vgpr_workitem_id 0
		.amdhsa_next_free_vgpr 1
		.amdhsa_next_free_sgpr 0
		.amdhsa_accum_offset 4
		.amdhsa_reserve_vcc 0
		.amdhsa_float_round_mode_32 0
		.amdhsa_float_round_mode_16_64 0
		.amdhsa_float_denorm_mode_32 3
		.amdhsa_float_denorm_mode_16_64 3
		.amdhsa_dx10_clamp 1
		.amdhsa_ieee_mode 1
		.amdhsa_fp16_overflow 0
		.amdhsa_tg_split 0
		.amdhsa_exception_fp_ieee_invalid_op 0
		.amdhsa_exception_fp_denorm_src 0
		.amdhsa_exception_fp_ieee_div_zero 0
		.amdhsa_exception_fp_ieee_overflow 0
		.amdhsa_exception_fp_ieee_underflow 0
		.amdhsa_exception_fp_ieee_inexact 0
		.amdhsa_exception_int_div_zero 0
	.end_amdhsa_kernel
	.section	.text._ZN7rocprim17ROCPRIM_400000_NS6detail17trampoline_kernelINS0_13kernel_configILj256ELj4ELj4294967295EEENS1_37radix_sort_block_sort_config_selectorIssEEZNS1_21radix_sort_block_sortIS4_Lb0EN6thrust23THRUST_200600_302600_NS6detail15normal_iteratorINS9_10device_ptrIsEEEESE_SE_SE_NS0_19identity_decomposerEEE10hipError_tT1_T2_T3_T4_jRjT5_jjP12ihipStream_tbEUlT_E_NS1_11comp_targetILNS1_3genE5ELNS1_11target_archE942ELNS1_3gpuE9ELNS1_3repE0EEENS1_44radix_sort_block_sort_config_static_selectorELNS0_4arch9wavefront6targetE1EEEvSH_,"axG",@progbits,_ZN7rocprim17ROCPRIM_400000_NS6detail17trampoline_kernelINS0_13kernel_configILj256ELj4ELj4294967295EEENS1_37radix_sort_block_sort_config_selectorIssEEZNS1_21radix_sort_block_sortIS4_Lb0EN6thrust23THRUST_200600_302600_NS6detail15normal_iteratorINS9_10device_ptrIsEEEESE_SE_SE_NS0_19identity_decomposerEEE10hipError_tT1_T2_T3_T4_jRjT5_jjP12ihipStream_tbEUlT_E_NS1_11comp_targetILNS1_3genE5ELNS1_11target_archE942ELNS1_3gpuE9ELNS1_3repE0EEENS1_44radix_sort_block_sort_config_static_selectorELNS0_4arch9wavefront6targetE1EEEvSH_,comdat
.Lfunc_end1493:
	.size	_ZN7rocprim17ROCPRIM_400000_NS6detail17trampoline_kernelINS0_13kernel_configILj256ELj4ELj4294967295EEENS1_37radix_sort_block_sort_config_selectorIssEEZNS1_21radix_sort_block_sortIS4_Lb0EN6thrust23THRUST_200600_302600_NS6detail15normal_iteratorINS9_10device_ptrIsEEEESE_SE_SE_NS0_19identity_decomposerEEE10hipError_tT1_T2_T3_T4_jRjT5_jjP12ihipStream_tbEUlT_E_NS1_11comp_targetILNS1_3genE5ELNS1_11target_archE942ELNS1_3gpuE9ELNS1_3repE0EEENS1_44radix_sort_block_sort_config_static_selectorELNS0_4arch9wavefront6targetE1EEEvSH_, .Lfunc_end1493-_ZN7rocprim17ROCPRIM_400000_NS6detail17trampoline_kernelINS0_13kernel_configILj256ELj4ELj4294967295EEENS1_37radix_sort_block_sort_config_selectorIssEEZNS1_21radix_sort_block_sortIS4_Lb0EN6thrust23THRUST_200600_302600_NS6detail15normal_iteratorINS9_10device_ptrIsEEEESE_SE_SE_NS0_19identity_decomposerEEE10hipError_tT1_T2_T3_T4_jRjT5_jjP12ihipStream_tbEUlT_E_NS1_11comp_targetILNS1_3genE5ELNS1_11target_archE942ELNS1_3gpuE9ELNS1_3repE0EEENS1_44radix_sort_block_sort_config_static_selectorELNS0_4arch9wavefront6targetE1EEEvSH_
                                        ; -- End function
	.set _ZN7rocprim17ROCPRIM_400000_NS6detail17trampoline_kernelINS0_13kernel_configILj256ELj4ELj4294967295EEENS1_37radix_sort_block_sort_config_selectorIssEEZNS1_21radix_sort_block_sortIS4_Lb0EN6thrust23THRUST_200600_302600_NS6detail15normal_iteratorINS9_10device_ptrIsEEEESE_SE_SE_NS0_19identity_decomposerEEE10hipError_tT1_T2_T3_T4_jRjT5_jjP12ihipStream_tbEUlT_E_NS1_11comp_targetILNS1_3genE5ELNS1_11target_archE942ELNS1_3gpuE9ELNS1_3repE0EEENS1_44radix_sort_block_sort_config_static_selectorELNS0_4arch9wavefront6targetE1EEEvSH_.num_vgpr, 0
	.set _ZN7rocprim17ROCPRIM_400000_NS6detail17trampoline_kernelINS0_13kernel_configILj256ELj4ELj4294967295EEENS1_37radix_sort_block_sort_config_selectorIssEEZNS1_21radix_sort_block_sortIS4_Lb0EN6thrust23THRUST_200600_302600_NS6detail15normal_iteratorINS9_10device_ptrIsEEEESE_SE_SE_NS0_19identity_decomposerEEE10hipError_tT1_T2_T3_T4_jRjT5_jjP12ihipStream_tbEUlT_E_NS1_11comp_targetILNS1_3genE5ELNS1_11target_archE942ELNS1_3gpuE9ELNS1_3repE0EEENS1_44radix_sort_block_sort_config_static_selectorELNS0_4arch9wavefront6targetE1EEEvSH_.num_agpr, 0
	.set _ZN7rocprim17ROCPRIM_400000_NS6detail17trampoline_kernelINS0_13kernel_configILj256ELj4ELj4294967295EEENS1_37radix_sort_block_sort_config_selectorIssEEZNS1_21radix_sort_block_sortIS4_Lb0EN6thrust23THRUST_200600_302600_NS6detail15normal_iteratorINS9_10device_ptrIsEEEESE_SE_SE_NS0_19identity_decomposerEEE10hipError_tT1_T2_T3_T4_jRjT5_jjP12ihipStream_tbEUlT_E_NS1_11comp_targetILNS1_3genE5ELNS1_11target_archE942ELNS1_3gpuE9ELNS1_3repE0EEENS1_44radix_sort_block_sort_config_static_selectorELNS0_4arch9wavefront6targetE1EEEvSH_.numbered_sgpr, 0
	.set _ZN7rocprim17ROCPRIM_400000_NS6detail17trampoline_kernelINS0_13kernel_configILj256ELj4ELj4294967295EEENS1_37radix_sort_block_sort_config_selectorIssEEZNS1_21radix_sort_block_sortIS4_Lb0EN6thrust23THRUST_200600_302600_NS6detail15normal_iteratorINS9_10device_ptrIsEEEESE_SE_SE_NS0_19identity_decomposerEEE10hipError_tT1_T2_T3_T4_jRjT5_jjP12ihipStream_tbEUlT_E_NS1_11comp_targetILNS1_3genE5ELNS1_11target_archE942ELNS1_3gpuE9ELNS1_3repE0EEENS1_44radix_sort_block_sort_config_static_selectorELNS0_4arch9wavefront6targetE1EEEvSH_.num_named_barrier, 0
	.set _ZN7rocprim17ROCPRIM_400000_NS6detail17trampoline_kernelINS0_13kernel_configILj256ELj4ELj4294967295EEENS1_37radix_sort_block_sort_config_selectorIssEEZNS1_21radix_sort_block_sortIS4_Lb0EN6thrust23THRUST_200600_302600_NS6detail15normal_iteratorINS9_10device_ptrIsEEEESE_SE_SE_NS0_19identity_decomposerEEE10hipError_tT1_T2_T3_T4_jRjT5_jjP12ihipStream_tbEUlT_E_NS1_11comp_targetILNS1_3genE5ELNS1_11target_archE942ELNS1_3gpuE9ELNS1_3repE0EEENS1_44radix_sort_block_sort_config_static_selectorELNS0_4arch9wavefront6targetE1EEEvSH_.private_seg_size, 0
	.set _ZN7rocprim17ROCPRIM_400000_NS6detail17trampoline_kernelINS0_13kernel_configILj256ELj4ELj4294967295EEENS1_37radix_sort_block_sort_config_selectorIssEEZNS1_21radix_sort_block_sortIS4_Lb0EN6thrust23THRUST_200600_302600_NS6detail15normal_iteratorINS9_10device_ptrIsEEEESE_SE_SE_NS0_19identity_decomposerEEE10hipError_tT1_T2_T3_T4_jRjT5_jjP12ihipStream_tbEUlT_E_NS1_11comp_targetILNS1_3genE5ELNS1_11target_archE942ELNS1_3gpuE9ELNS1_3repE0EEENS1_44radix_sort_block_sort_config_static_selectorELNS0_4arch9wavefront6targetE1EEEvSH_.uses_vcc, 0
	.set _ZN7rocprim17ROCPRIM_400000_NS6detail17trampoline_kernelINS0_13kernel_configILj256ELj4ELj4294967295EEENS1_37radix_sort_block_sort_config_selectorIssEEZNS1_21radix_sort_block_sortIS4_Lb0EN6thrust23THRUST_200600_302600_NS6detail15normal_iteratorINS9_10device_ptrIsEEEESE_SE_SE_NS0_19identity_decomposerEEE10hipError_tT1_T2_T3_T4_jRjT5_jjP12ihipStream_tbEUlT_E_NS1_11comp_targetILNS1_3genE5ELNS1_11target_archE942ELNS1_3gpuE9ELNS1_3repE0EEENS1_44radix_sort_block_sort_config_static_selectorELNS0_4arch9wavefront6targetE1EEEvSH_.uses_flat_scratch, 0
	.set _ZN7rocprim17ROCPRIM_400000_NS6detail17trampoline_kernelINS0_13kernel_configILj256ELj4ELj4294967295EEENS1_37radix_sort_block_sort_config_selectorIssEEZNS1_21radix_sort_block_sortIS4_Lb0EN6thrust23THRUST_200600_302600_NS6detail15normal_iteratorINS9_10device_ptrIsEEEESE_SE_SE_NS0_19identity_decomposerEEE10hipError_tT1_T2_T3_T4_jRjT5_jjP12ihipStream_tbEUlT_E_NS1_11comp_targetILNS1_3genE5ELNS1_11target_archE942ELNS1_3gpuE9ELNS1_3repE0EEENS1_44radix_sort_block_sort_config_static_selectorELNS0_4arch9wavefront6targetE1EEEvSH_.has_dyn_sized_stack, 0
	.set _ZN7rocprim17ROCPRIM_400000_NS6detail17trampoline_kernelINS0_13kernel_configILj256ELj4ELj4294967295EEENS1_37radix_sort_block_sort_config_selectorIssEEZNS1_21radix_sort_block_sortIS4_Lb0EN6thrust23THRUST_200600_302600_NS6detail15normal_iteratorINS9_10device_ptrIsEEEESE_SE_SE_NS0_19identity_decomposerEEE10hipError_tT1_T2_T3_T4_jRjT5_jjP12ihipStream_tbEUlT_E_NS1_11comp_targetILNS1_3genE5ELNS1_11target_archE942ELNS1_3gpuE9ELNS1_3repE0EEENS1_44radix_sort_block_sort_config_static_selectorELNS0_4arch9wavefront6targetE1EEEvSH_.has_recursion, 0
	.set _ZN7rocprim17ROCPRIM_400000_NS6detail17trampoline_kernelINS0_13kernel_configILj256ELj4ELj4294967295EEENS1_37radix_sort_block_sort_config_selectorIssEEZNS1_21radix_sort_block_sortIS4_Lb0EN6thrust23THRUST_200600_302600_NS6detail15normal_iteratorINS9_10device_ptrIsEEEESE_SE_SE_NS0_19identity_decomposerEEE10hipError_tT1_T2_T3_T4_jRjT5_jjP12ihipStream_tbEUlT_E_NS1_11comp_targetILNS1_3genE5ELNS1_11target_archE942ELNS1_3gpuE9ELNS1_3repE0EEENS1_44radix_sort_block_sort_config_static_selectorELNS0_4arch9wavefront6targetE1EEEvSH_.has_indirect_call, 0
	.section	.AMDGPU.csdata,"",@progbits
; Kernel info:
; codeLenInByte = 0
; TotalNumSgprs: 6
; NumVgprs: 0
; NumAgprs: 0
; TotalNumVgprs: 0
; ScratchSize: 0
; MemoryBound: 0
; FloatMode: 240
; IeeeMode: 1
; LDSByteSize: 0 bytes/workgroup (compile time only)
; SGPRBlocks: 0
; VGPRBlocks: 0
; NumSGPRsForWavesPerEU: 6
; NumVGPRsForWavesPerEU: 1
; AccumOffset: 4
; Occupancy: 8
; WaveLimiterHint : 0
; COMPUTE_PGM_RSRC2:SCRATCH_EN: 0
; COMPUTE_PGM_RSRC2:USER_SGPR: 2
; COMPUTE_PGM_RSRC2:TRAP_HANDLER: 0
; COMPUTE_PGM_RSRC2:TGID_X_EN: 1
; COMPUTE_PGM_RSRC2:TGID_Y_EN: 0
; COMPUTE_PGM_RSRC2:TGID_Z_EN: 0
; COMPUTE_PGM_RSRC2:TIDIG_COMP_CNT: 0
; COMPUTE_PGM_RSRC3_GFX90A:ACCUM_OFFSET: 0
; COMPUTE_PGM_RSRC3_GFX90A:TG_SPLIT: 0
	.section	.text._ZN7rocprim17ROCPRIM_400000_NS6detail17trampoline_kernelINS0_13kernel_configILj256ELj4ELj4294967295EEENS1_37radix_sort_block_sort_config_selectorIssEEZNS1_21radix_sort_block_sortIS4_Lb0EN6thrust23THRUST_200600_302600_NS6detail15normal_iteratorINS9_10device_ptrIsEEEESE_SE_SE_NS0_19identity_decomposerEEE10hipError_tT1_T2_T3_T4_jRjT5_jjP12ihipStream_tbEUlT_E_NS1_11comp_targetILNS1_3genE4ELNS1_11target_archE910ELNS1_3gpuE8ELNS1_3repE0EEENS1_44radix_sort_block_sort_config_static_selectorELNS0_4arch9wavefront6targetE1EEEvSH_,"axG",@progbits,_ZN7rocprim17ROCPRIM_400000_NS6detail17trampoline_kernelINS0_13kernel_configILj256ELj4ELj4294967295EEENS1_37radix_sort_block_sort_config_selectorIssEEZNS1_21radix_sort_block_sortIS4_Lb0EN6thrust23THRUST_200600_302600_NS6detail15normal_iteratorINS9_10device_ptrIsEEEESE_SE_SE_NS0_19identity_decomposerEEE10hipError_tT1_T2_T3_T4_jRjT5_jjP12ihipStream_tbEUlT_E_NS1_11comp_targetILNS1_3genE4ELNS1_11target_archE910ELNS1_3gpuE8ELNS1_3repE0EEENS1_44radix_sort_block_sort_config_static_selectorELNS0_4arch9wavefront6targetE1EEEvSH_,comdat
	.protected	_ZN7rocprim17ROCPRIM_400000_NS6detail17trampoline_kernelINS0_13kernel_configILj256ELj4ELj4294967295EEENS1_37radix_sort_block_sort_config_selectorIssEEZNS1_21radix_sort_block_sortIS4_Lb0EN6thrust23THRUST_200600_302600_NS6detail15normal_iteratorINS9_10device_ptrIsEEEESE_SE_SE_NS0_19identity_decomposerEEE10hipError_tT1_T2_T3_T4_jRjT5_jjP12ihipStream_tbEUlT_E_NS1_11comp_targetILNS1_3genE4ELNS1_11target_archE910ELNS1_3gpuE8ELNS1_3repE0EEENS1_44radix_sort_block_sort_config_static_selectorELNS0_4arch9wavefront6targetE1EEEvSH_ ; -- Begin function _ZN7rocprim17ROCPRIM_400000_NS6detail17trampoline_kernelINS0_13kernel_configILj256ELj4ELj4294967295EEENS1_37radix_sort_block_sort_config_selectorIssEEZNS1_21radix_sort_block_sortIS4_Lb0EN6thrust23THRUST_200600_302600_NS6detail15normal_iteratorINS9_10device_ptrIsEEEESE_SE_SE_NS0_19identity_decomposerEEE10hipError_tT1_T2_T3_T4_jRjT5_jjP12ihipStream_tbEUlT_E_NS1_11comp_targetILNS1_3genE4ELNS1_11target_archE910ELNS1_3gpuE8ELNS1_3repE0EEENS1_44radix_sort_block_sort_config_static_selectorELNS0_4arch9wavefront6targetE1EEEvSH_
	.globl	_ZN7rocprim17ROCPRIM_400000_NS6detail17trampoline_kernelINS0_13kernel_configILj256ELj4ELj4294967295EEENS1_37radix_sort_block_sort_config_selectorIssEEZNS1_21radix_sort_block_sortIS4_Lb0EN6thrust23THRUST_200600_302600_NS6detail15normal_iteratorINS9_10device_ptrIsEEEESE_SE_SE_NS0_19identity_decomposerEEE10hipError_tT1_T2_T3_T4_jRjT5_jjP12ihipStream_tbEUlT_E_NS1_11comp_targetILNS1_3genE4ELNS1_11target_archE910ELNS1_3gpuE8ELNS1_3repE0EEENS1_44radix_sort_block_sort_config_static_selectorELNS0_4arch9wavefront6targetE1EEEvSH_
	.p2align	8
	.type	_ZN7rocprim17ROCPRIM_400000_NS6detail17trampoline_kernelINS0_13kernel_configILj256ELj4ELj4294967295EEENS1_37radix_sort_block_sort_config_selectorIssEEZNS1_21radix_sort_block_sortIS4_Lb0EN6thrust23THRUST_200600_302600_NS6detail15normal_iteratorINS9_10device_ptrIsEEEESE_SE_SE_NS0_19identity_decomposerEEE10hipError_tT1_T2_T3_T4_jRjT5_jjP12ihipStream_tbEUlT_E_NS1_11comp_targetILNS1_3genE4ELNS1_11target_archE910ELNS1_3gpuE8ELNS1_3repE0EEENS1_44radix_sort_block_sort_config_static_selectorELNS0_4arch9wavefront6targetE1EEEvSH_,@function
_ZN7rocprim17ROCPRIM_400000_NS6detail17trampoline_kernelINS0_13kernel_configILj256ELj4ELj4294967295EEENS1_37radix_sort_block_sort_config_selectorIssEEZNS1_21radix_sort_block_sortIS4_Lb0EN6thrust23THRUST_200600_302600_NS6detail15normal_iteratorINS9_10device_ptrIsEEEESE_SE_SE_NS0_19identity_decomposerEEE10hipError_tT1_T2_T3_T4_jRjT5_jjP12ihipStream_tbEUlT_E_NS1_11comp_targetILNS1_3genE4ELNS1_11target_archE910ELNS1_3gpuE8ELNS1_3repE0EEENS1_44radix_sort_block_sort_config_static_selectorELNS0_4arch9wavefront6targetE1EEEvSH_: ; @_ZN7rocprim17ROCPRIM_400000_NS6detail17trampoline_kernelINS0_13kernel_configILj256ELj4ELj4294967295EEENS1_37radix_sort_block_sort_config_selectorIssEEZNS1_21radix_sort_block_sortIS4_Lb0EN6thrust23THRUST_200600_302600_NS6detail15normal_iteratorINS9_10device_ptrIsEEEESE_SE_SE_NS0_19identity_decomposerEEE10hipError_tT1_T2_T3_T4_jRjT5_jjP12ihipStream_tbEUlT_E_NS1_11comp_targetILNS1_3genE4ELNS1_11target_archE910ELNS1_3gpuE8ELNS1_3repE0EEENS1_44radix_sort_block_sort_config_static_selectorELNS0_4arch9wavefront6targetE1EEEvSH_
; %bb.0:
	.section	.rodata,"a",@progbits
	.p2align	6, 0x0
	.amdhsa_kernel _ZN7rocprim17ROCPRIM_400000_NS6detail17trampoline_kernelINS0_13kernel_configILj256ELj4ELj4294967295EEENS1_37radix_sort_block_sort_config_selectorIssEEZNS1_21radix_sort_block_sortIS4_Lb0EN6thrust23THRUST_200600_302600_NS6detail15normal_iteratorINS9_10device_ptrIsEEEESE_SE_SE_NS0_19identity_decomposerEEE10hipError_tT1_T2_T3_T4_jRjT5_jjP12ihipStream_tbEUlT_E_NS1_11comp_targetILNS1_3genE4ELNS1_11target_archE910ELNS1_3gpuE8ELNS1_3repE0EEENS1_44radix_sort_block_sort_config_static_selectorELNS0_4arch9wavefront6targetE1EEEvSH_
		.amdhsa_group_segment_fixed_size 0
		.amdhsa_private_segment_fixed_size 0
		.amdhsa_kernarg_size 48
		.amdhsa_user_sgpr_count 2
		.amdhsa_user_sgpr_dispatch_ptr 0
		.amdhsa_user_sgpr_queue_ptr 0
		.amdhsa_user_sgpr_kernarg_segment_ptr 1
		.amdhsa_user_sgpr_dispatch_id 0
		.amdhsa_user_sgpr_kernarg_preload_length 0
		.amdhsa_user_sgpr_kernarg_preload_offset 0
		.amdhsa_user_sgpr_private_segment_size 0
		.amdhsa_uses_dynamic_stack 0
		.amdhsa_enable_private_segment 0
		.amdhsa_system_sgpr_workgroup_id_x 1
		.amdhsa_system_sgpr_workgroup_id_y 0
		.amdhsa_system_sgpr_workgroup_id_z 0
		.amdhsa_system_sgpr_workgroup_info 0
		.amdhsa_system_vgpr_workitem_id 0
		.amdhsa_next_free_vgpr 1
		.amdhsa_next_free_sgpr 0
		.amdhsa_accum_offset 4
		.amdhsa_reserve_vcc 0
		.amdhsa_float_round_mode_32 0
		.amdhsa_float_round_mode_16_64 0
		.amdhsa_float_denorm_mode_32 3
		.amdhsa_float_denorm_mode_16_64 3
		.amdhsa_dx10_clamp 1
		.amdhsa_ieee_mode 1
		.amdhsa_fp16_overflow 0
		.amdhsa_tg_split 0
		.amdhsa_exception_fp_ieee_invalid_op 0
		.amdhsa_exception_fp_denorm_src 0
		.amdhsa_exception_fp_ieee_div_zero 0
		.amdhsa_exception_fp_ieee_overflow 0
		.amdhsa_exception_fp_ieee_underflow 0
		.amdhsa_exception_fp_ieee_inexact 0
		.amdhsa_exception_int_div_zero 0
	.end_amdhsa_kernel
	.section	.text._ZN7rocprim17ROCPRIM_400000_NS6detail17trampoline_kernelINS0_13kernel_configILj256ELj4ELj4294967295EEENS1_37radix_sort_block_sort_config_selectorIssEEZNS1_21radix_sort_block_sortIS4_Lb0EN6thrust23THRUST_200600_302600_NS6detail15normal_iteratorINS9_10device_ptrIsEEEESE_SE_SE_NS0_19identity_decomposerEEE10hipError_tT1_T2_T3_T4_jRjT5_jjP12ihipStream_tbEUlT_E_NS1_11comp_targetILNS1_3genE4ELNS1_11target_archE910ELNS1_3gpuE8ELNS1_3repE0EEENS1_44radix_sort_block_sort_config_static_selectorELNS0_4arch9wavefront6targetE1EEEvSH_,"axG",@progbits,_ZN7rocprim17ROCPRIM_400000_NS6detail17trampoline_kernelINS0_13kernel_configILj256ELj4ELj4294967295EEENS1_37radix_sort_block_sort_config_selectorIssEEZNS1_21radix_sort_block_sortIS4_Lb0EN6thrust23THRUST_200600_302600_NS6detail15normal_iteratorINS9_10device_ptrIsEEEESE_SE_SE_NS0_19identity_decomposerEEE10hipError_tT1_T2_T3_T4_jRjT5_jjP12ihipStream_tbEUlT_E_NS1_11comp_targetILNS1_3genE4ELNS1_11target_archE910ELNS1_3gpuE8ELNS1_3repE0EEENS1_44radix_sort_block_sort_config_static_selectorELNS0_4arch9wavefront6targetE1EEEvSH_,comdat
.Lfunc_end1494:
	.size	_ZN7rocprim17ROCPRIM_400000_NS6detail17trampoline_kernelINS0_13kernel_configILj256ELj4ELj4294967295EEENS1_37radix_sort_block_sort_config_selectorIssEEZNS1_21radix_sort_block_sortIS4_Lb0EN6thrust23THRUST_200600_302600_NS6detail15normal_iteratorINS9_10device_ptrIsEEEESE_SE_SE_NS0_19identity_decomposerEEE10hipError_tT1_T2_T3_T4_jRjT5_jjP12ihipStream_tbEUlT_E_NS1_11comp_targetILNS1_3genE4ELNS1_11target_archE910ELNS1_3gpuE8ELNS1_3repE0EEENS1_44radix_sort_block_sort_config_static_selectorELNS0_4arch9wavefront6targetE1EEEvSH_, .Lfunc_end1494-_ZN7rocprim17ROCPRIM_400000_NS6detail17trampoline_kernelINS0_13kernel_configILj256ELj4ELj4294967295EEENS1_37radix_sort_block_sort_config_selectorIssEEZNS1_21radix_sort_block_sortIS4_Lb0EN6thrust23THRUST_200600_302600_NS6detail15normal_iteratorINS9_10device_ptrIsEEEESE_SE_SE_NS0_19identity_decomposerEEE10hipError_tT1_T2_T3_T4_jRjT5_jjP12ihipStream_tbEUlT_E_NS1_11comp_targetILNS1_3genE4ELNS1_11target_archE910ELNS1_3gpuE8ELNS1_3repE0EEENS1_44radix_sort_block_sort_config_static_selectorELNS0_4arch9wavefront6targetE1EEEvSH_
                                        ; -- End function
	.set _ZN7rocprim17ROCPRIM_400000_NS6detail17trampoline_kernelINS0_13kernel_configILj256ELj4ELj4294967295EEENS1_37radix_sort_block_sort_config_selectorIssEEZNS1_21radix_sort_block_sortIS4_Lb0EN6thrust23THRUST_200600_302600_NS6detail15normal_iteratorINS9_10device_ptrIsEEEESE_SE_SE_NS0_19identity_decomposerEEE10hipError_tT1_T2_T3_T4_jRjT5_jjP12ihipStream_tbEUlT_E_NS1_11comp_targetILNS1_3genE4ELNS1_11target_archE910ELNS1_3gpuE8ELNS1_3repE0EEENS1_44radix_sort_block_sort_config_static_selectorELNS0_4arch9wavefront6targetE1EEEvSH_.num_vgpr, 0
	.set _ZN7rocprim17ROCPRIM_400000_NS6detail17trampoline_kernelINS0_13kernel_configILj256ELj4ELj4294967295EEENS1_37radix_sort_block_sort_config_selectorIssEEZNS1_21radix_sort_block_sortIS4_Lb0EN6thrust23THRUST_200600_302600_NS6detail15normal_iteratorINS9_10device_ptrIsEEEESE_SE_SE_NS0_19identity_decomposerEEE10hipError_tT1_T2_T3_T4_jRjT5_jjP12ihipStream_tbEUlT_E_NS1_11comp_targetILNS1_3genE4ELNS1_11target_archE910ELNS1_3gpuE8ELNS1_3repE0EEENS1_44radix_sort_block_sort_config_static_selectorELNS0_4arch9wavefront6targetE1EEEvSH_.num_agpr, 0
	.set _ZN7rocprim17ROCPRIM_400000_NS6detail17trampoline_kernelINS0_13kernel_configILj256ELj4ELj4294967295EEENS1_37radix_sort_block_sort_config_selectorIssEEZNS1_21radix_sort_block_sortIS4_Lb0EN6thrust23THRUST_200600_302600_NS6detail15normal_iteratorINS9_10device_ptrIsEEEESE_SE_SE_NS0_19identity_decomposerEEE10hipError_tT1_T2_T3_T4_jRjT5_jjP12ihipStream_tbEUlT_E_NS1_11comp_targetILNS1_3genE4ELNS1_11target_archE910ELNS1_3gpuE8ELNS1_3repE0EEENS1_44radix_sort_block_sort_config_static_selectorELNS0_4arch9wavefront6targetE1EEEvSH_.numbered_sgpr, 0
	.set _ZN7rocprim17ROCPRIM_400000_NS6detail17trampoline_kernelINS0_13kernel_configILj256ELj4ELj4294967295EEENS1_37radix_sort_block_sort_config_selectorIssEEZNS1_21radix_sort_block_sortIS4_Lb0EN6thrust23THRUST_200600_302600_NS6detail15normal_iteratorINS9_10device_ptrIsEEEESE_SE_SE_NS0_19identity_decomposerEEE10hipError_tT1_T2_T3_T4_jRjT5_jjP12ihipStream_tbEUlT_E_NS1_11comp_targetILNS1_3genE4ELNS1_11target_archE910ELNS1_3gpuE8ELNS1_3repE0EEENS1_44radix_sort_block_sort_config_static_selectorELNS0_4arch9wavefront6targetE1EEEvSH_.num_named_barrier, 0
	.set _ZN7rocprim17ROCPRIM_400000_NS6detail17trampoline_kernelINS0_13kernel_configILj256ELj4ELj4294967295EEENS1_37radix_sort_block_sort_config_selectorIssEEZNS1_21radix_sort_block_sortIS4_Lb0EN6thrust23THRUST_200600_302600_NS6detail15normal_iteratorINS9_10device_ptrIsEEEESE_SE_SE_NS0_19identity_decomposerEEE10hipError_tT1_T2_T3_T4_jRjT5_jjP12ihipStream_tbEUlT_E_NS1_11comp_targetILNS1_3genE4ELNS1_11target_archE910ELNS1_3gpuE8ELNS1_3repE0EEENS1_44radix_sort_block_sort_config_static_selectorELNS0_4arch9wavefront6targetE1EEEvSH_.private_seg_size, 0
	.set _ZN7rocprim17ROCPRIM_400000_NS6detail17trampoline_kernelINS0_13kernel_configILj256ELj4ELj4294967295EEENS1_37radix_sort_block_sort_config_selectorIssEEZNS1_21radix_sort_block_sortIS4_Lb0EN6thrust23THRUST_200600_302600_NS6detail15normal_iteratorINS9_10device_ptrIsEEEESE_SE_SE_NS0_19identity_decomposerEEE10hipError_tT1_T2_T3_T4_jRjT5_jjP12ihipStream_tbEUlT_E_NS1_11comp_targetILNS1_3genE4ELNS1_11target_archE910ELNS1_3gpuE8ELNS1_3repE0EEENS1_44radix_sort_block_sort_config_static_selectorELNS0_4arch9wavefront6targetE1EEEvSH_.uses_vcc, 0
	.set _ZN7rocprim17ROCPRIM_400000_NS6detail17trampoline_kernelINS0_13kernel_configILj256ELj4ELj4294967295EEENS1_37radix_sort_block_sort_config_selectorIssEEZNS1_21radix_sort_block_sortIS4_Lb0EN6thrust23THRUST_200600_302600_NS6detail15normal_iteratorINS9_10device_ptrIsEEEESE_SE_SE_NS0_19identity_decomposerEEE10hipError_tT1_T2_T3_T4_jRjT5_jjP12ihipStream_tbEUlT_E_NS1_11comp_targetILNS1_3genE4ELNS1_11target_archE910ELNS1_3gpuE8ELNS1_3repE0EEENS1_44radix_sort_block_sort_config_static_selectorELNS0_4arch9wavefront6targetE1EEEvSH_.uses_flat_scratch, 0
	.set _ZN7rocprim17ROCPRIM_400000_NS6detail17trampoline_kernelINS0_13kernel_configILj256ELj4ELj4294967295EEENS1_37radix_sort_block_sort_config_selectorIssEEZNS1_21radix_sort_block_sortIS4_Lb0EN6thrust23THRUST_200600_302600_NS6detail15normal_iteratorINS9_10device_ptrIsEEEESE_SE_SE_NS0_19identity_decomposerEEE10hipError_tT1_T2_T3_T4_jRjT5_jjP12ihipStream_tbEUlT_E_NS1_11comp_targetILNS1_3genE4ELNS1_11target_archE910ELNS1_3gpuE8ELNS1_3repE0EEENS1_44radix_sort_block_sort_config_static_selectorELNS0_4arch9wavefront6targetE1EEEvSH_.has_dyn_sized_stack, 0
	.set _ZN7rocprim17ROCPRIM_400000_NS6detail17trampoline_kernelINS0_13kernel_configILj256ELj4ELj4294967295EEENS1_37radix_sort_block_sort_config_selectorIssEEZNS1_21radix_sort_block_sortIS4_Lb0EN6thrust23THRUST_200600_302600_NS6detail15normal_iteratorINS9_10device_ptrIsEEEESE_SE_SE_NS0_19identity_decomposerEEE10hipError_tT1_T2_T3_T4_jRjT5_jjP12ihipStream_tbEUlT_E_NS1_11comp_targetILNS1_3genE4ELNS1_11target_archE910ELNS1_3gpuE8ELNS1_3repE0EEENS1_44radix_sort_block_sort_config_static_selectorELNS0_4arch9wavefront6targetE1EEEvSH_.has_recursion, 0
	.set _ZN7rocprim17ROCPRIM_400000_NS6detail17trampoline_kernelINS0_13kernel_configILj256ELj4ELj4294967295EEENS1_37radix_sort_block_sort_config_selectorIssEEZNS1_21radix_sort_block_sortIS4_Lb0EN6thrust23THRUST_200600_302600_NS6detail15normal_iteratorINS9_10device_ptrIsEEEESE_SE_SE_NS0_19identity_decomposerEEE10hipError_tT1_T2_T3_T4_jRjT5_jjP12ihipStream_tbEUlT_E_NS1_11comp_targetILNS1_3genE4ELNS1_11target_archE910ELNS1_3gpuE8ELNS1_3repE0EEENS1_44radix_sort_block_sort_config_static_selectorELNS0_4arch9wavefront6targetE1EEEvSH_.has_indirect_call, 0
	.section	.AMDGPU.csdata,"",@progbits
; Kernel info:
; codeLenInByte = 0
; TotalNumSgprs: 6
; NumVgprs: 0
; NumAgprs: 0
; TotalNumVgprs: 0
; ScratchSize: 0
; MemoryBound: 0
; FloatMode: 240
; IeeeMode: 1
; LDSByteSize: 0 bytes/workgroup (compile time only)
; SGPRBlocks: 0
; VGPRBlocks: 0
; NumSGPRsForWavesPerEU: 6
; NumVGPRsForWavesPerEU: 1
; AccumOffset: 4
; Occupancy: 8
; WaveLimiterHint : 0
; COMPUTE_PGM_RSRC2:SCRATCH_EN: 0
; COMPUTE_PGM_RSRC2:USER_SGPR: 2
; COMPUTE_PGM_RSRC2:TRAP_HANDLER: 0
; COMPUTE_PGM_RSRC2:TGID_X_EN: 1
; COMPUTE_PGM_RSRC2:TGID_Y_EN: 0
; COMPUTE_PGM_RSRC2:TGID_Z_EN: 0
; COMPUTE_PGM_RSRC2:TIDIG_COMP_CNT: 0
; COMPUTE_PGM_RSRC3_GFX90A:ACCUM_OFFSET: 0
; COMPUTE_PGM_RSRC3_GFX90A:TG_SPLIT: 0
	.section	.text._ZN7rocprim17ROCPRIM_400000_NS6detail17trampoline_kernelINS0_13kernel_configILj256ELj4ELj4294967295EEENS1_37radix_sort_block_sort_config_selectorIssEEZNS1_21radix_sort_block_sortIS4_Lb0EN6thrust23THRUST_200600_302600_NS6detail15normal_iteratorINS9_10device_ptrIsEEEESE_SE_SE_NS0_19identity_decomposerEEE10hipError_tT1_T2_T3_T4_jRjT5_jjP12ihipStream_tbEUlT_E_NS1_11comp_targetILNS1_3genE3ELNS1_11target_archE908ELNS1_3gpuE7ELNS1_3repE0EEENS1_44radix_sort_block_sort_config_static_selectorELNS0_4arch9wavefront6targetE1EEEvSH_,"axG",@progbits,_ZN7rocprim17ROCPRIM_400000_NS6detail17trampoline_kernelINS0_13kernel_configILj256ELj4ELj4294967295EEENS1_37radix_sort_block_sort_config_selectorIssEEZNS1_21radix_sort_block_sortIS4_Lb0EN6thrust23THRUST_200600_302600_NS6detail15normal_iteratorINS9_10device_ptrIsEEEESE_SE_SE_NS0_19identity_decomposerEEE10hipError_tT1_T2_T3_T4_jRjT5_jjP12ihipStream_tbEUlT_E_NS1_11comp_targetILNS1_3genE3ELNS1_11target_archE908ELNS1_3gpuE7ELNS1_3repE0EEENS1_44radix_sort_block_sort_config_static_selectorELNS0_4arch9wavefront6targetE1EEEvSH_,comdat
	.protected	_ZN7rocprim17ROCPRIM_400000_NS6detail17trampoline_kernelINS0_13kernel_configILj256ELj4ELj4294967295EEENS1_37radix_sort_block_sort_config_selectorIssEEZNS1_21radix_sort_block_sortIS4_Lb0EN6thrust23THRUST_200600_302600_NS6detail15normal_iteratorINS9_10device_ptrIsEEEESE_SE_SE_NS0_19identity_decomposerEEE10hipError_tT1_T2_T3_T4_jRjT5_jjP12ihipStream_tbEUlT_E_NS1_11comp_targetILNS1_3genE3ELNS1_11target_archE908ELNS1_3gpuE7ELNS1_3repE0EEENS1_44radix_sort_block_sort_config_static_selectorELNS0_4arch9wavefront6targetE1EEEvSH_ ; -- Begin function _ZN7rocprim17ROCPRIM_400000_NS6detail17trampoline_kernelINS0_13kernel_configILj256ELj4ELj4294967295EEENS1_37radix_sort_block_sort_config_selectorIssEEZNS1_21radix_sort_block_sortIS4_Lb0EN6thrust23THRUST_200600_302600_NS6detail15normal_iteratorINS9_10device_ptrIsEEEESE_SE_SE_NS0_19identity_decomposerEEE10hipError_tT1_T2_T3_T4_jRjT5_jjP12ihipStream_tbEUlT_E_NS1_11comp_targetILNS1_3genE3ELNS1_11target_archE908ELNS1_3gpuE7ELNS1_3repE0EEENS1_44radix_sort_block_sort_config_static_selectorELNS0_4arch9wavefront6targetE1EEEvSH_
	.globl	_ZN7rocprim17ROCPRIM_400000_NS6detail17trampoline_kernelINS0_13kernel_configILj256ELj4ELj4294967295EEENS1_37radix_sort_block_sort_config_selectorIssEEZNS1_21radix_sort_block_sortIS4_Lb0EN6thrust23THRUST_200600_302600_NS6detail15normal_iteratorINS9_10device_ptrIsEEEESE_SE_SE_NS0_19identity_decomposerEEE10hipError_tT1_T2_T3_T4_jRjT5_jjP12ihipStream_tbEUlT_E_NS1_11comp_targetILNS1_3genE3ELNS1_11target_archE908ELNS1_3gpuE7ELNS1_3repE0EEENS1_44radix_sort_block_sort_config_static_selectorELNS0_4arch9wavefront6targetE1EEEvSH_
	.p2align	8
	.type	_ZN7rocprim17ROCPRIM_400000_NS6detail17trampoline_kernelINS0_13kernel_configILj256ELj4ELj4294967295EEENS1_37radix_sort_block_sort_config_selectorIssEEZNS1_21radix_sort_block_sortIS4_Lb0EN6thrust23THRUST_200600_302600_NS6detail15normal_iteratorINS9_10device_ptrIsEEEESE_SE_SE_NS0_19identity_decomposerEEE10hipError_tT1_T2_T3_T4_jRjT5_jjP12ihipStream_tbEUlT_E_NS1_11comp_targetILNS1_3genE3ELNS1_11target_archE908ELNS1_3gpuE7ELNS1_3repE0EEENS1_44radix_sort_block_sort_config_static_selectorELNS0_4arch9wavefront6targetE1EEEvSH_,@function
_ZN7rocprim17ROCPRIM_400000_NS6detail17trampoline_kernelINS0_13kernel_configILj256ELj4ELj4294967295EEENS1_37radix_sort_block_sort_config_selectorIssEEZNS1_21radix_sort_block_sortIS4_Lb0EN6thrust23THRUST_200600_302600_NS6detail15normal_iteratorINS9_10device_ptrIsEEEESE_SE_SE_NS0_19identity_decomposerEEE10hipError_tT1_T2_T3_T4_jRjT5_jjP12ihipStream_tbEUlT_E_NS1_11comp_targetILNS1_3genE3ELNS1_11target_archE908ELNS1_3gpuE7ELNS1_3repE0EEENS1_44radix_sort_block_sort_config_static_selectorELNS0_4arch9wavefront6targetE1EEEvSH_: ; @_ZN7rocprim17ROCPRIM_400000_NS6detail17trampoline_kernelINS0_13kernel_configILj256ELj4ELj4294967295EEENS1_37radix_sort_block_sort_config_selectorIssEEZNS1_21radix_sort_block_sortIS4_Lb0EN6thrust23THRUST_200600_302600_NS6detail15normal_iteratorINS9_10device_ptrIsEEEESE_SE_SE_NS0_19identity_decomposerEEE10hipError_tT1_T2_T3_T4_jRjT5_jjP12ihipStream_tbEUlT_E_NS1_11comp_targetILNS1_3genE3ELNS1_11target_archE908ELNS1_3gpuE7ELNS1_3repE0EEENS1_44radix_sort_block_sort_config_static_selectorELNS0_4arch9wavefront6targetE1EEEvSH_
; %bb.0:
	.section	.rodata,"a",@progbits
	.p2align	6, 0x0
	.amdhsa_kernel _ZN7rocprim17ROCPRIM_400000_NS6detail17trampoline_kernelINS0_13kernel_configILj256ELj4ELj4294967295EEENS1_37radix_sort_block_sort_config_selectorIssEEZNS1_21radix_sort_block_sortIS4_Lb0EN6thrust23THRUST_200600_302600_NS6detail15normal_iteratorINS9_10device_ptrIsEEEESE_SE_SE_NS0_19identity_decomposerEEE10hipError_tT1_T2_T3_T4_jRjT5_jjP12ihipStream_tbEUlT_E_NS1_11comp_targetILNS1_3genE3ELNS1_11target_archE908ELNS1_3gpuE7ELNS1_3repE0EEENS1_44radix_sort_block_sort_config_static_selectorELNS0_4arch9wavefront6targetE1EEEvSH_
		.amdhsa_group_segment_fixed_size 0
		.amdhsa_private_segment_fixed_size 0
		.amdhsa_kernarg_size 48
		.amdhsa_user_sgpr_count 2
		.amdhsa_user_sgpr_dispatch_ptr 0
		.amdhsa_user_sgpr_queue_ptr 0
		.amdhsa_user_sgpr_kernarg_segment_ptr 1
		.amdhsa_user_sgpr_dispatch_id 0
		.amdhsa_user_sgpr_kernarg_preload_length 0
		.amdhsa_user_sgpr_kernarg_preload_offset 0
		.amdhsa_user_sgpr_private_segment_size 0
		.amdhsa_uses_dynamic_stack 0
		.amdhsa_enable_private_segment 0
		.amdhsa_system_sgpr_workgroup_id_x 1
		.amdhsa_system_sgpr_workgroup_id_y 0
		.amdhsa_system_sgpr_workgroup_id_z 0
		.amdhsa_system_sgpr_workgroup_info 0
		.amdhsa_system_vgpr_workitem_id 0
		.amdhsa_next_free_vgpr 1
		.amdhsa_next_free_sgpr 0
		.amdhsa_accum_offset 4
		.amdhsa_reserve_vcc 0
		.amdhsa_float_round_mode_32 0
		.amdhsa_float_round_mode_16_64 0
		.amdhsa_float_denorm_mode_32 3
		.amdhsa_float_denorm_mode_16_64 3
		.amdhsa_dx10_clamp 1
		.amdhsa_ieee_mode 1
		.amdhsa_fp16_overflow 0
		.amdhsa_tg_split 0
		.amdhsa_exception_fp_ieee_invalid_op 0
		.amdhsa_exception_fp_denorm_src 0
		.amdhsa_exception_fp_ieee_div_zero 0
		.amdhsa_exception_fp_ieee_overflow 0
		.amdhsa_exception_fp_ieee_underflow 0
		.amdhsa_exception_fp_ieee_inexact 0
		.amdhsa_exception_int_div_zero 0
	.end_amdhsa_kernel
	.section	.text._ZN7rocprim17ROCPRIM_400000_NS6detail17trampoline_kernelINS0_13kernel_configILj256ELj4ELj4294967295EEENS1_37radix_sort_block_sort_config_selectorIssEEZNS1_21radix_sort_block_sortIS4_Lb0EN6thrust23THRUST_200600_302600_NS6detail15normal_iteratorINS9_10device_ptrIsEEEESE_SE_SE_NS0_19identity_decomposerEEE10hipError_tT1_T2_T3_T4_jRjT5_jjP12ihipStream_tbEUlT_E_NS1_11comp_targetILNS1_3genE3ELNS1_11target_archE908ELNS1_3gpuE7ELNS1_3repE0EEENS1_44radix_sort_block_sort_config_static_selectorELNS0_4arch9wavefront6targetE1EEEvSH_,"axG",@progbits,_ZN7rocprim17ROCPRIM_400000_NS6detail17trampoline_kernelINS0_13kernel_configILj256ELj4ELj4294967295EEENS1_37radix_sort_block_sort_config_selectorIssEEZNS1_21radix_sort_block_sortIS4_Lb0EN6thrust23THRUST_200600_302600_NS6detail15normal_iteratorINS9_10device_ptrIsEEEESE_SE_SE_NS0_19identity_decomposerEEE10hipError_tT1_T2_T3_T4_jRjT5_jjP12ihipStream_tbEUlT_E_NS1_11comp_targetILNS1_3genE3ELNS1_11target_archE908ELNS1_3gpuE7ELNS1_3repE0EEENS1_44radix_sort_block_sort_config_static_selectorELNS0_4arch9wavefront6targetE1EEEvSH_,comdat
.Lfunc_end1495:
	.size	_ZN7rocprim17ROCPRIM_400000_NS6detail17trampoline_kernelINS0_13kernel_configILj256ELj4ELj4294967295EEENS1_37radix_sort_block_sort_config_selectorIssEEZNS1_21radix_sort_block_sortIS4_Lb0EN6thrust23THRUST_200600_302600_NS6detail15normal_iteratorINS9_10device_ptrIsEEEESE_SE_SE_NS0_19identity_decomposerEEE10hipError_tT1_T2_T3_T4_jRjT5_jjP12ihipStream_tbEUlT_E_NS1_11comp_targetILNS1_3genE3ELNS1_11target_archE908ELNS1_3gpuE7ELNS1_3repE0EEENS1_44radix_sort_block_sort_config_static_selectorELNS0_4arch9wavefront6targetE1EEEvSH_, .Lfunc_end1495-_ZN7rocprim17ROCPRIM_400000_NS6detail17trampoline_kernelINS0_13kernel_configILj256ELj4ELj4294967295EEENS1_37radix_sort_block_sort_config_selectorIssEEZNS1_21radix_sort_block_sortIS4_Lb0EN6thrust23THRUST_200600_302600_NS6detail15normal_iteratorINS9_10device_ptrIsEEEESE_SE_SE_NS0_19identity_decomposerEEE10hipError_tT1_T2_T3_T4_jRjT5_jjP12ihipStream_tbEUlT_E_NS1_11comp_targetILNS1_3genE3ELNS1_11target_archE908ELNS1_3gpuE7ELNS1_3repE0EEENS1_44radix_sort_block_sort_config_static_selectorELNS0_4arch9wavefront6targetE1EEEvSH_
                                        ; -- End function
	.set _ZN7rocprim17ROCPRIM_400000_NS6detail17trampoline_kernelINS0_13kernel_configILj256ELj4ELj4294967295EEENS1_37radix_sort_block_sort_config_selectorIssEEZNS1_21radix_sort_block_sortIS4_Lb0EN6thrust23THRUST_200600_302600_NS6detail15normal_iteratorINS9_10device_ptrIsEEEESE_SE_SE_NS0_19identity_decomposerEEE10hipError_tT1_T2_T3_T4_jRjT5_jjP12ihipStream_tbEUlT_E_NS1_11comp_targetILNS1_3genE3ELNS1_11target_archE908ELNS1_3gpuE7ELNS1_3repE0EEENS1_44radix_sort_block_sort_config_static_selectorELNS0_4arch9wavefront6targetE1EEEvSH_.num_vgpr, 0
	.set _ZN7rocprim17ROCPRIM_400000_NS6detail17trampoline_kernelINS0_13kernel_configILj256ELj4ELj4294967295EEENS1_37radix_sort_block_sort_config_selectorIssEEZNS1_21radix_sort_block_sortIS4_Lb0EN6thrust23THRUST_200600_302600_NS6detail15normal_iteratorINS9_10device_ptrIsEEEESE_SE_SE_NS0_19identity_decomposerEEE10hipError_tT1_T2_T3_T4_jRjT5_jjP12ihipStream_tbEUlT_E_NS1_11comp_targetILNS1_3genE3ELNS1_11target_archE908ELNS1_3gpuE7ELNS1_3repE0EEENS1_44radix_sort_block_sort_config_static_selectorELNS0_4arch9wavefront6targetE1EEEvSH_.num_agpr, 0
	.set _ZN7rocprim17ROCPRIM_400000_NS6detail17trampoline_kernelINS0_13kernel_configILj256ELj4ELj4294967295EEENS1_37radix_sort_block_sort_config_selectorIssEEZNS1_21radix_sort_block_sortIS4_Lb0EN6thrust23THRUST_200600_302600_NS6detail15normal_iteratorINS9_10device_ptrIsEEEESE_SE_SE_NS0_19identity_decomposerEEE10hipError_tT1_T2_T3_T4_jRjT5_jjP12ihipStream_tbEUlT_E_NS1_11comp_targetILNS1_3genE3ELNS1_11target_archE908ELNS1_3gpuE7ELNS1_3repE0EEENS1_44radix_sort_block_sort_config_static_selectorELNS0_4arch9wavefront6targetE1EEEvSH_.numbered_sgpr, 0
	.set _ZN7rocprim17ROCPRIM_400000_NS6detail17trampoline_kernelINS0_13kernel_configILj256ELj4ELj4294967295EEENS1_37radix_sort_block_sort_config_selectorIssEEZNS1_21radix_sort_block_sortIS4_Lb0EN6thrust23THRUST_200600_302600_NS6detail15normal_iteratorINS9_10device_ptrIsEEEESE_SE_SE_NS0_19identity_decomposerEEE10hipError_tT1_T2_T3_T4_jRjT5_jjP12ihipStream_tbEUlT_E_NS1_11comp_targetILNS1_3genE3ELNS1_11target_archE908ELNS1_3gpuE7ELNS1_3repE0EEENS1_44radix_sort_block_sort_config_static_selectorELNS0_4arch9wavefront6targetE1EEEvSH_.num_named_barrier, 0
	.set _ZN7rocprim17ROCPRIM_400000_NS6detail17trampoline_kernelINS0_13kernel_configILj256ELj4ELj4294967295EEENS1_37radix_sort_block_sort_config_selectorIssEEZNS1_21radix_sort_block_sortIS4_Lb0EN6thrust23THRUST_200600_302600_NS6detail15normal_iteratorINS9_10device_ptrIsEEEESE_SE_SE_NS0_19identity_decomposerEEE10hipError_tT1_T2_T3_T4_jRjT5_jjP12ihipStream_tbEUlT_E_NS1_11comp_targetILNS1_3genE3ELNS1_11target_archE908ELNS1_3gpuE7ELNS1_3repE0EEENS1_44radix_sort_block_sort_config_static_selectorELNS0_4arch9wavefront6targetE1EEEvSH_.private_seg_size, 0
	.set _ZN7rocprim17ROCPRIM_400000_NS6detail17trampoline_kernelINS0_13kernel_configILj256ELj4ELj4294967295EEENS1_37radix_sort_block_sort_config_selectorIssEEZNS1_21radix_sort_block_sortIS4_Lb0EN6thrust23THRUST_200600_302600_NS6detail15normal_iteratorINS9_10device_ptrIsEEEESE_SE_SE_NS0_19identity_decomposerEEE10hipError_tT1_T2_T3_T4_jRjT5_jjP12ihipStream_tbEUlT_E_NS1_11comp_targetILNS1_3genE3ELNS1_11target_archE908ELNS1_3gpuE7ELNS1_3repE0EEENS1_44radix_sort_block_sort_config_static_selectorELNS0_4arch9wavefront6targetE1EEEvSH_.uses_vcc, 0
	.set _ZN7rocprim17ROCPRIM_400000_NS6detail17trampoline_kernelINS0_13kernel_configILj256ELj4ELj4294967295EEENS1_37radix_sort_block_sort_config_selectorIssEEZNS1_21radix_sort_block_sortIS4_Lb0EN6thrust23THRUST_200600_302600_NS6detail15normal_iteratorINS9_10device_ptrIsEEEESE_SE_SE_NS0_19identity_decomposerEEE10hipError_tT1_T2_T3_T4_jRjT5_jjP12ihipStream_tbEUlT_E_NS1_11comp_targetILNS1_3genE3ELNS1_11target_archE908ELNS1_3gpuE7ELNS1_3repE0EEENS1_44radix_sort_block_sort_config_static_selectorELNS0_4arch9wavefront6targetE1EEEvSH_.uses_flat_scratch, 0
	.set _ZN7rocprim17ROCPRIM_400000_NS6detail17trampoline_kernelINS0_13kernel_configILj256ELj4ELj4294967295EEENS1_37radix_sort_block_sort_config_selectorIssEEZNS1_21radix_sort_block_sortIS4_Lb0EN6thrust23THRUST_200600_302600_NS6detail15normal_iteratorINS9_10device_ptrIsEEEESE_SE_SE_NS0_19identity_decomposerEEE10hipError_tT1_T2_T3_T4_jRjT5_jjP12ihipStream_tbEUlT_E_NS1_11comp_targetILNS1_3genE3ELNS1_11target_archE908ELNS1_3gpuE7ELNS1_3repE0EEENS1_44radix_sort_block_sort_config_static_selectorELNS0_4arch9wavefront6targetE1EEEvSH_.has_dyn_sized_stack, 0
	.set _ZN7rocprim17ROCPRIM_400000_NS6detail17trampoline_kernelINS0_13kernel_configILj256ELj4ELj4294967295EEENS1_37radix_sort_block_sort_config_selectorIssEEZNS1_21radix_sort_block_sortIS4_Lb0EN6thrust23THRUST_200600_302600_NS6detail15normal_iteratorINS9_10device_ptrIsEEEESE_SE_SE_NS0_19identity_decomposerEEE10hipError_tT1_T2_T3_T4_jRjT5_jjP12ihipStream_tbEUlT_E_NS1_11comp_targetILNS1_3genE3ELNS1_11target_archE908ELNS1_3gpuE7ELNS1_3repE0EEENS1_44radix_sort_block_sort_config_static_selectorELNS0_4arch9wavefront6targetE1EEEvSH_.has_recursion, 0
	.set _ZN7rocprim17ROCPRIM_400000_NS6detail17trampoline_kernelINS0_13kernel_configILj256ELj4ELj4294967295EEENS1_37radix_sort_block_sort_config_selectorIssEEZNS1_21radix_sort_block_sortIS4_Lb0EN6thrust23THRUST_200600_302600_NS6detail15normal_iteratorINS9_10device_ptrIsEEEESE_SE_SE_NS0_19identity_decomposerEEE10hipError_tT1_T2_T3_T4_jRjT5_jjP12ihipStream_tbEUlT_E_NS1_11comp_targetILNS1_3genE3ELNS1_11target_archE908ELNS1_3gpuE7ELNS1_3repE0EEENS1_44radix_sort_block_sort_config_static_selectorELNS0_4arch9wavefront6targetE1EEEvSH_.has_indirect_call, 0
	.section	.AMDGPU.csdata,"",@progbits
; Kernel info:
; codeLenInByte = 0
; TotalNumSgprs: 6
; NumVgprs: 0
; NumAgprs: 0
; TotalNumVgprs: 0
; ScratchSize: 0
; MemoryBound: 0
; FloatMode: 240
; IeeeMode: 1
; LDSByteSize: 0 bytes/workgroup (compile time only)
; SGPRBlocks: 0
; VGPRBlocks: 0
; NumSGPRsForWavesPerEU: 6
; NumVGPRsForWavesPerEU: 1
; AccumOffset: 4
; Occupancy: 8
; WaveLimiterHint : 0
; COMPUTE_PGM_RSRC2:SCRATCH_EN: 0
; COMPUTE_PGM_RSRC2:USER_SGPR: 2
; COMPUTE_PGM_RSRC2:TRAP_HANDLER: 0
; COMPUTE_PGM_RSRC2:TGID_X_EN: 1
; COMPUTE_PGM_RSRC2:TGID_Y_EN: 0
; COMPUTE_PGM_RSRC2:TGID_Z_EN: 0
; COMPUTE_PGM_RSRC2:TIDIG_COMP_CNT: 0
; COMPUTE_PGM_RSRC3_GFX90A:ACCUM_OFFSET: 0
; COMPUTE_PGM_RSRC3_GFX90A:TG_SPLIT: 0
	.section	.text._ZN7rocprim17ROCPRIM_400000_NS6detail17trampoline_kernelINS0_13kernel_configILj256ELj4ELj4294967295EEENS1_37radix_sort_block_sort_config_selectorIssEEZNS1_21radix_sort_block_sortIS4_Lb0EN6thrust23THRUST_200600_302600_NS6detail15normal_iteratorINS9_10device_ptrIsEEEESE_SE_SE_NS0_19identity_decomposerEEE10hipError_tT1_T2_T3_T4_jRjT5_jjP12ihipStream_tbEUlT_E_NS1_11comp_targetILNS1_3genE2ELNS1_11target_archE906ELNS1_3gpuE6ELNS1_3repE0EEENS1_44radix_sort_block_sort_config_static_selectorELNS0_4arch9wavefront6targetE1EEEvSH_,"axG",@progbits,_ZN7rocprim17ROCPRIM_400000_NS6detail17trampoline_kernelINS0_13kernel_configILj256ELj4ELj4294967295EEENS1_37radix_sort_block_sort_config_selectorIssEEZNS1_21radix_sort_block_sortIS4_Lb0EN6thrust23THRUST_200600_302600_NS6detail15normal_iteratorINS9_10device_ptrIsEEEESE_SE_SE_NS0_19identity_decomposerEEE10hipError_tT1_T2_T3_T4_jRjT5_jjP12ihipStream_tbEUlT_E_NS1_11comp_targetILNS1_3genE2ELNS1_11target_archE906ELNS1_3gpuE6ELNS1_3repE0EEENS1_44radix_sort_block_sort_config_static_selectorELNS0_4arch9wavefront6targetE1EEEvSH_,comdat
	.protected	_ZN7rocprim17ROCPRIM_400000_NS6detail17trampoline_kernelINS0_13kernel_configILj256ELj4ELj4294967295EEENS1_37radix_sort_block_sort_config_selectorIssEEZNS1_21radix_sort_block_sortIS4_Lb0EN6thrust23THRUST_200600_302600_NS6detail15normal_iteratorINS9_10device_ptrIsEEEESE_SE_SE_NS0_19identity_decomposerEEE10hipError_tT1_T2_T3_T4_jRjT5_jjP12ihipStream_tbEUlT_E_NS1_11comp_targetILNS1_3genE2ELNS1_11target_archE906ELNS1_3gpuE6ELNS1_3repE0EEENS1_44radix_sort_block_sort_config_static_selectorELNS0_4arch9wavefront6targetE1EEEvSH_ ; -- Begin function _ZN7rocprim17ROCPRIM_400000_NS6detail17trampoline_kernelINS0_13kernel_configILj256ELj4ELj4294967295EEENS1_37radix_sort_block_sort_config_selectorIssEEZNS1_21radix_sort_block_sortIS4_Lb0EN6thrust23THRUST_200600_302600_NS6detail15normal_iteratorINS9_10device_ptrIsEEEESE_SE_SE_NS0_19identity_decomposerEEE10hipError_tT1_T2_T3_T4_jRjT5_jjP12ihipStream_tbEUlT_E_NS1_11comp_targetILNS1_3genE2ELNS1_11target_archE906ELNS1_3gpuE6ELNS1_3repE0EEENS1_44radix_sort_block_sort_config_static_selectorELNS0_4arch9wavefront6targetE1EEEvSH_
	.globl	_ZN7rocprim17ROCPRIM_400000_NS6detail17trampoline_kernelINS0_13kernel_configILj256ELj4ELj4294967295EEENS1_37radix_sort_block_sort_config_selectorIssEEZNS1_21radix_sort_block_sortIS4_Lb0EN6thrust23THRUST_200600_302600_NS6detail15normal_iteratorINS9_10device_ptrIsEEEESE_SE_SE_NS0_19identity_decomposerEEE10hipError_tT1_T2_T3_T4_jRjT5_jjP12ihipStream_tbEUlT_E_NS1_11comp_targetILNS1_3genE2ELNS1_11target_archE906ELNS1_3gpuE6ELNS1_3repE0EEENS1_44radix_sort_block_sort_config_static_selectorELNS0_4arch9wavefront6targetE1EEEvSH_
	.p2align	8
	.type	_ZN7rocprim17ROCPRIM_400000_NS6detail17trampoline_kernelINS0_13kernel_configILj256ELj4ELj4294967295EEENS1_37radix_sort_block_sort_config_selectorIssEEZNS1_21radix_sort_block_sortIS4_Lb0EN6thrust23THRUST_200600_302600_NS6detail15normal_iteratorINS9_10device_ptrIsEEEESE_SE_SE_NS0_19identity_decomposerEEE10hipError_tT1_T2_T3_T4_jRjT5_jjP12ihipStream_tbEUlT_E_NS1_11comp_targetILNS1_3genE2ELNS1_11target_archE906ELNS1_3gpuE6ELNS1_3repE0EEENS1_44radix_sort_block_sort_config_static_selectorELNS0_4arch9wavefront6targetE1EEEvSH_,@function
_ZN7rocprim17ROCPRIM_400000_NS6detail17trampoline_kernelINS0_13kernel_configILj256ELj4ELj4294967295EEENS1_37radix_sort_block_sort_config_selectorIssEEZNS1_21radix_sort_block_sortIS4_Lb0EN6thrust23THRUST_200600_302600_NS6detail15normal_iteratorINS9_10device_ptrIsEEEESE_SE_SE_NS0_19identity_decomposerEEE10hipError_tT1_T2_T3_T4_jRjT5_jjP12ihipStream_tbEUlT_E_NS1_11comp_targetILNS1_3genE2ELNS1_11target_archE906ELNS1_3gpuE6ELNS1_3repE0EEENS1_44radix_sort_block_sort_config_static_selectorELNS0_4arch9wavefront6targetE1EEEvSH_: ; @_ZN7rocprim17ROCPRIM_400000_NS6detail17trampoline_kernelINS0_13kernel_configILj256ELj4ELj4294967295EEENS1_37radix_sort_block_sort_config_selectorIssEEZNS1_21radix_sort_block_sortIS4_Lb0EN6thrust23THRUST_200600_302600_NS6detail15normal_iteratorINS9_10device_ptrIsEEEESE_SE_SE_NS0_19identity_decomposerEEE10hipError_tT1_T2_T3_T4_jRjT5_jjP12ihipStream_tbEUlT_E_NS1_11comp_targetILNS1_3genE2ELNS1_11target_archE906ELNS1_3gpuE6ELNS1_3repE0EEENS1_44radix_sort_block_sort_config_static_selectorELNS0_4arch9wavefront6targetE1EEEvSH_
; %bb.0:
	.section	.rodata,"a",@progbits
	.p2align	6, 0x0
	.amdhsa_kernel _ZN7rocprim17ROCPRIM_400000_NS6detail17trampoline_kernelINS0_13kernel_configILj256ELj4ELj4294967295EEENS1_37radix_sort_block_sort_config_selectorIssEEZNS1_21radix_sort_block_sortIS4_Lb0EN6thrust23THRUST_200600_302600_NS6detail15normal_iteratorINS9_10device_ptrIsEEEESE_SE_SE_NS0_19identity_decomposerEEE10hipError_tT1_T2_T3_T4_jRjT5_jjP12ihipStream_tbEUlT_E_NS1_11comp_targetILNS1_3genE2ELNS1_11target_archE906ELNS1_3gpuE6ELNS1_3repE0EEENS1_44radix_sort_block_sort_config_static_selectorELNS0_4arch9wavefront6targetE1EEEvSH_
		.amdhsa_group_segment_fixed_size 0
		.amdhsa_private_segment_fixed_size 0
		.amdhsa_kernarg_size 48
		.amdhsa_user_sgpr_count 2
		.amdhsa_user_sgpr_dispatch_ptr 0
		.amdhsa_user_sgpr_queue_ptr 0
		.amdhsa_user_sgpr_kernarg_segment_ptr 1
		.amdhsa_user_sgpr_dispatch_id 0
		.amdhsa_user_sgpr_kernarg_preload_length 0
		.amdhsa_user_sgpr_kernarg_preload_offset 0
		.amdhsa_user_sgpr_private_segment_size 0
		.amdhsa_uses_dynamic_stack 0
		.amdhsa_enable_private_segment 0
		.amdhsa_system_sgpr_workgroup_id_x 1
		.amdhsa_system_sgpr_workgroup_id_y 0
		.amdhsa_system_sgpr_workgroup_id_z 0
		.amdhsa_system_sgpr_workgroup_info 0
		.amdhsa_system_vgpr_workitem_id 0
		.amdhsa_next_free_vgpr 1
		.amdhsa_next_free_sgpr 0
		.amdhsa_accum_offset 4
		.amdhsa_reserve_vcc 0
		.amdhsa_float_round_mode_32 0
		.amdhsa_float_round_mode_16_64 0
		.amdhsa_float_denorm_mode_32 3
		.amdhsa_float_denorm_mode_16_64 3
		.amdhsa_dx10_clamp 1
		.amdhsa_ieee_mode 1
		.amdhsa_fp16_overflow 0
		.amdhsa_tg_split 0
		.amdhsa_exception_fp_ieee_invalid_op 0
		.amdhsa_exception_fp_denorm_src 0
		.amdhsa_exception_fp_ieee_div_zero 0
		.amdhsa_exception_fp_ieee_overflow 0
		.amdhsa_exception_fp_ieee_underflow 0
		.amdhsa_exception_fp_ieee_inexact 0
		.amdhsa_exception_int_div_zero 0
	.end_amdhsa_kernel
	.section	.text._ZN7rocprim17ROCPRIM_400000_NS6detail17trampoline_kernelINS0_13kernel_configILj256ELj4ELj4294967295EEENS1_37radix_sort_block_sort_config_selectorIssEEZNS1_21radix_sort_block_sortIS4_Lb0EN6thrust23THRUST_200600_302600_NS6detail15normal_iteratorINS9_10device_ptrIsEEEESE_SE_SE_NS0_19identity_decomposerEEE10hipError_tT1_T2_T3_T4_jRjT5_jjP12ihipStream_tbEUlT_E_NS1_11comp_targetILNS1_3genE2ELNS1_11target_archE906ELNS1_3gpuE6ELNS1_3repE0EEENS1_44radix_sort_block_sort_config_static_selectorELNS0_4arch9wavefront6targetE1EEEvSH_,"axG",@progbits,_ZN7rocprim17ROCPRIM_400000_NS6detail17trampoline_kernelINS0_13kernel_configILj256ELj4ELj4294967295EEENS1_37radix_sort_block_sort_config_selectorIssEEZNS1_21radix_sort_block_sortIS4_Lb0EN6thrust23THRUST_200600_302600_NS6detail15normal_iteratorINS9_10device_ptrIsEEEESE_SE_SE_NS0_19identity_decomposerEEE10hipError_tT1_T2_T3_T4_jRjT5_jjP12ihipStream_tbEUlT_E_NS1_11comp_targetILNS1_3genE2ELNS1_11target_archE906ELNS1_3gpuE6ELNS1_3repE0EEENS1_44radix_sort_block_sort_config_static_selectorELNS0_4arch9wavefront6targetE1EEEvSH_,comdat
.Lfunc_end1496:
	.size	_ZN7rocprim17ROCPRIM_400000_NS6detail17trampoline_kernelINS0_13kernel_configILj256ELj4ELj4294967295EEENS1_37radix_sort_block_sort_config_selectorIssEEZNS1_21radix_sort_block_sortIS4_Lb0EN6thrust23THRUST_200600_302600_NS6detail15normal_iteratorINS9_10device_ptrIsEEEESE_SE_SE_NS0_19identity_decomposerEEE10hipError_tT1_T2_T3_T4_jRjT5_jjP12ihipStream_tbEUlT_E_NS1_11comp_targetILNS1_3genE2ELNS1_11target_archE906ELNS1_3gpuE6ELNS1_3repE0EEENS1_44radix_sort_block_sort_config_static_selectorELNS0_4arch9wavefront6targetE1EEEvSH_, .Lfunc_end1496-_ZN7rocprim17ROCPRIM_400000_NS6detail17trampoline_kernelINS0_13kernel_configILj256ELj4ELj4294967295EEENS1_37radix_sort_block_sort_config_selectorIssEEZNS1_21radix_sort_block_sortIS4_Lb0EN6thrust23THRUST_200600_302600_NS6detail15normal_iteratorINS9_10device_ptrIsEEEESE_SE_SE_NS0_19identity_decomposerEEE10hipError_tT1_T2_T3_T4_jRjT5_jjP12ihipStream_tbEUlT_E_NS1_11comp_targetILNS1_3genE2ELNS1_11target_archE906ELNS1_3gpuE6ELNS1_3repE0EEENS1_44radix_sort_block_sort_config_static_selectorELNS0_4arch9wavefront6targetE1EEEvSH_
                                        ; -- End function
	.set _ZN7rocprim17ROCPRIM_400000_NS6detail17trampoline_kernelINS0_13kernel_configILj256ELj4ELj4294967295EEENS1_37radix_sort_block_sort_config_selectorIssEEZNS1_21radix_sort_block_sortIS4_Lb0EN6thrust23THRUST_200600_302600_NS6detail15normal_iteratorINS9_10device_ptrIsEEEESE_SE_SE_NS0_19identity_decomposerEEE10hipError_tT1_T2_T3_T4_jRjT5_jjP12ihipStream_tbEUlT_E_NS1_11comp_targetILNS1_3genE2ELNS1_11target_archE906ELNS1_3gpuE6ELNS1_3repE0EEENS1_44radix_sort_block_sort_config_static_selectorELNS0_4arch9wavefront6targetE1EEEvSH_.num_vgpr, 0
	.set _ZN7rocprim17ROCPRIM_400000_NS6detail17trampoline_kernelINS0_13kernel_configILj256ELj4ELj4294967295EEENS1_37radix_sort_block_sort_config_selectorIssEEZNS1_21radix_sort_block_sortIS4_Lb0EN6thrust23THRUST_200600_302600_NS6detail15normal_iteratorINS9_10device_ptrIsEEEESE_SE_SE_NS0_19identity_decomposerEEE10hipError_tT1_T2_T3_T4_jRjT5_jjP12ihipStream_tbEUlT_E_NS1_11comp_targetILNS1_3genE2ELNS1_11target_archE906ELNS1_3gpuE6ELNS1_3repE0EEENS1_44radix_sort_block_sort_config_static_selectorELNS0_4arch9wavefront6targetE1EEEvSH_.num_agpr, 0
	.set _ZN7rocprim17ROCPRIM_400000_NS6detail17trampoline_kernelINS0_13kernel_configILj256ELj4ELj4294967295EEENS1_37radix_sort_block_sort_config_selectorIssEEZNS1_21radix_sort_block_sortIS4_Lb0EN6thrust23THRUST_200600_302600_NS6detail15normal_iteratorINS9_10device_ptrIsEEEESE_SE_SE_NS0_19identity_decomposerEEE10hipError_tT1_T2_T3_T4_jRjT5_jjP12ihipStream_tbEUlT_E_NS1_11comp_targetILNS1_3genE2ELNS1_11target_archE906ELNS1_3gpuE6ELNS1_3repE0EEENS1_44radix_sort_block_sort_config_static_selectorELNS0_4arch9wavefront6targetE1EEEvSH_.numbered_sgpr, 0
	.set _ZN7rocprim17ROCPRIM_400000_NS6detail17trampoline_kernelINS0_13kernel_configILj256ELj4ELj4294967295EEENS1_37radix_sort_block_sort_config_selectorIssEEZNS1_21radix_sort_block_sortIS4_Lb0EN6thrust23THRUST_200600_302600_NS6detail15normal_iteratorINS9_10device_ptrIsEEEESE_SE_SE_NS0_19identity_decomposerEEE10hipError_tT1_T2_T3_T4_jRjT5_jjP12ihipStream_tbEUlT_E_NS1_11comp_targetILNS1_3genE2ELNS1_11target_archE906ELNS1_3gpuE6ELNS1_3repE0EEENS1_44radix_sort_block_sort_config_static_selectorELNS0_4arch9wavefront6targetE1EEEvSH_.num_named_barrier, 0
	.set _ZN7rocprim17ROCPRIM_400000_NS6detail17trampoline_kernelINS0_13kernel_configILj256ELj4ELj4294967295EEENS1_37radix_sort_block_sort_config_selectorIssEEZNS1_21radix_sort_block_sortIS4_Lb0EN6thrust23THRUST_200600_302600_NS6detail15normal_iteratorINS9_10device_ptrIsEEEESE_SE_SE_NS0_19identity_decomposerEEE10hipError_tT1_T2_T3_T4_jRjT5_jjP12ihipStream_tbEUlT_E_NS1_11comp_targetILNS1_3genE2ELNS1_11target_archE906ELNS1_3gpuE6ELNS1_3repE0EEENS1_44radix_sort_block_sort_config_static_selectorELNS0_4arch9wavefront6targetE1EEEvSH_.private_seg_size, 0
	.set _ZN7rocprim17ROCPRIM_400000_NS6detail17trampoline_kernelINS0_13kernel_configILj256ELj4ELj4294967295EEENS1_37radix_sort_block_sort_config_selectorIssEEZNS1_21radix_sort_block_sortIS4_Lb0EN6thrust23THRUST_200600_302600_NS6detail15normal_iteratorINS9_10device_ptrIsEEEESE_SE_SE_NS0_19identity_decomposerEEE10hipError_tT1_T2_T3_T4_jRjT5_jjP12ihipStream_tbEUlT_E_NS1_11comp_targetILNS1_3genE2ELNS1_11target_archE906ELNS1_3gpuE6ELNS1_3repE0EEENS1_44radix_sort_block_sort_config_static_selectorELNS0_4arch9wavefront6targetE1EEEvSH_.uses_vcc, 0
	.set _ZN7rocprim17ROCPRIM_400000_NS6detail17trampoline_kernelINS0_13kernel_configILj256ELj4ELj4294967295EEENS1_37radix_sort_block_sort_config_selectorIssEEZNS1_21radix_sort_block_sortIS4_Lb0EN6thrust23THRUST_200600_302600_NS6detail15normal_iteratorINS9_10device_ptrIsEEEESE_SE_SE_NS0_19identity_decomposerEEE10hipError_tT1_T2_T3_T4_jRjT5_jjP12ihipStream_tbEUlT_E_NS1_11comp_targetILNS1_3genE2ELNS1_11target_archE906ELNS1_3gpuE6ELNS1_3repE0EEENS1_44radix_sort_block_sort_config_static_selectorELNS0_4arch9wavefront6targetE1EEEvSH_.uses_flat_scratch, 0
	.set _ZN7rocprim17ROCPRIM_400000_NS6detail17trampoline_kernelINS0_13kernel_configILj256ELj4ELj4294967295EEENS1_37radix_sort_block_sort_config_selectorIssEEZNS1_21radix_sort_block_sortIS4_Lb0EN6thrust23THRUST_200600_302600_NS6detail15normal_iteratorINS9_10device_ptrIsEEEESE_SE_SE_NS0_19identity_decomposerEEE10hipError_tT1_T2_T3_T4_jRjT5_jjP12ihipStream_tbEUlT_E_NS1_11comp_targetILNS1_3genE2ELNS1_11target_archE906ELNS1_3gpuE6ELNS1_3repE0EEENS1_44radix_sort_block_sort_config_static_selectorELNS0_4arch9wavefront6targetE1EEEvSH_.has_dyn_sized_stack, 0
	.set _ZN7rocprim17ROCPRIM_400000_NS6detail17trampoline_kernelINS0_13kernel_configILj256ELj4ELj4294967295EEENS1_37radix_sort_block_sort_config_selectorIssEEZNS1_21radix_sort_block_sortIS4_Lb0EN6thrust23THRUST_200600_302600_NS6detail15normal_iteratorINS9_10device_ptrIsEEEESE_SE_SE_NS0_19identity_decomposerEEE10hipError_tT1_T2_T3_T4_jRjT5_jjP12ihipStream_tbEUlT_E_NS1_11comp_targetILNS1_3genE2ELNS1_11target_archE906ELNS1_3gpuE6ELNS1_3repE0EEENS1_44radix_sort_block_sort_config_static_selectorELNS0_4arch9wavefront6targetE1EEEvSH_.has_recursion, 0
	.set _ZN7rocprim17ROCPRIM_400000_NS6detail17trampoline_kernelINS0_13kernel_configILj256ELj4ELj4294967295EEENS1_37radix_sort_block_sort_config_selectorIssEEZNS1_21radix_sort_block_sortIS4_Lb0EN6thrust23THRUST_200600_302600_NS6detail15normal_iteratorINS9_10device_ptrIsEEEESE_SE_SE_NS0_19identity_decomposerEEE10hipError_tT1_T2_T3_T4_jRjT5_jjP12ihipStream_tbEUlT_E_NS1_11comp_targetILNS1_3genE2ELNS1_11target_archE906ELNS1_3gpuE6ELNS1_3repE0EEENS1_44radix_sort_block_sort_config_static_selectorELNS0_4arch9wavefront6targetE1EEEvSH_.has_indirect_call, 0
	.section	.AMDGPU.csdata,"",@progbits
; Kernel info:
; codeLenInByte = 0
; TotalNumSgprs: 6
; NumVgprs: 0
; NumAgprs: 0
; TotalNumVgprs: 0
; ScratchSize: 0
; MemoryBound: 0
; FloatMode: 240
; IeeeMode: 1
; LDSByteSize: 0 bytes/workgroup (compile time only)
; SGPRBlocks: 0
; VGPRBlocks: 0
; NumSGPRsForWavesPerEU: 6
; NumVGPRsForWavesPerEU: 1
; AccumOffset: 4
; Occupancy: 8
; WaveLimiterHint : 0
; COMPUTE_PGM_RSRC2:SCRATCH_EN: 0
; COMPUTE_PGM_RSRC2:USER_SGPR: 2
; COMPUTE_PGM_RSRC2:TRAP_HANDLER: 0
; COMPUTE_PGM_RSRC2:TGID_X_EN: 1
; COMPUTE_PGM_RSRC2:TGID_Y_EN: 0
; COMPUTE_PGM_RSRC2:TGID_Z_EN: 0
; COMPUTE_PGM_RSRC2:TIDIG_COMP_CNT: 0
; COMPUTE_PGM_RSRC3_GFX90A:ACCUM_OFFSET: 0
; COMPUTE_PGM_RSRC3_GFX90A:TG_SPLIT: 0
	.section	.text._ZN7rocprim17ROCPRIM_400000_NS6detail17trampoline_kernelINS0_13kernel_configILj256ELj4ELj4294967295EEENS1_37radix_sort_block_sort_config_selectorIssEEZNS1_21radix_sort_block_sortIS4_Lb0EN6thrust23THRUST_200600_302600_NS6detail15normal_iteratorINS9_10device_ptrIsEEEESE_SE_SE_NS0_19identity_decomposerEEE10hipError_tT1_T2_T3_T4_jRjT5_jjP12ihipStream_tbEUlT_E_NS1_11comp_targetILNS1_3genE10ELNS1_11target_archE1201ELNS1_3gpuE5ELNS1_3repE0EEENS1_44radix_sort_block_sort_config_static_selectorELNS0_4arch9wavefront6targetE1EEEvSH_,"axG",@progbits,_ZN7rocprim17ROCPRIM_400000_NS6detail17trampoline_kernelINS0_13kernel_configILj256ELj4ELj4294967295EEENS1_37radix_sort_block_sort_config_selectorIssEEZNS1_21radix_sort_block_sortIS4_Lb0EN6thrust23THRUST_200600_302600_NS6detail15normal_iteratorINS9_10device_ptrIsEEEESE_SE_SE_NS0_19identity_decomposerEEE10hipError_tT1_T2_T3_T4_jRjT5_jjP12ihipStream_tbEUlT_E_NS1_11comp_targetILNS1_3genE10ELNS1_11target_archE1201ELNS1_3gpuE5ELNS1_3repE0EEENS1_44radix_sort_block_sort_config_static_selectorELNS0_4arch9wavefront6targetE1EEEvSH_,comdat
	.protected	_ZN7rocprim17ROCPRIM_400000_NS6detail17trampoline_kernelINS0_13kernel_configILj256ELj4ELj4294967295EEENS1_37radix_sort_block_sort_config_selectorIssEEZNS1_21radix_sort_block_sortIS4_Lb0EN6thrust23THRUST_200600_302600_NS6detail15normal_iteratorINS9_10device_ptrIsEEEESE_SE_SE_NS0_19identity_decomposerEEE10hipError_tT1_T2_T3_T4_jRjT5_jjP12ihipStream_tbEUlT_E_NS1_11comp_targetILNS1_3genE10ELNS1_11target_archE1201ELNS1_3gpuE5ELNS1_3repE0EEENS1_44radix_sort_block_sort_config_static_selectorELNS0_4arch9wavefront6targetE1EEEvSH_ ; -- Begin function _ZN7rocprim17ROCPRIM_400000_NS6detail17trampoline_kernelINS0_13kernel_configILj256ELj4ELj4294967295EEENS1_37radix_sort_block_sort_config_selectorIssEEZNS1_21radix_sort_block_sortIS4_Lb0EN6thrust23THRUST_200600_302600_NS6detail15normal_iteratorINS9_10device_ptrIsEEEESE_SE_SE_NS0_19identity_decomposerEEE10hipError_tT1_T2_T3_T4_jRjT5_jjP12ihipStream_tbEUlT_E_NS1_11comp_targetILNS1_3genE10ELNS1_11target_archE1201ELNS1_3gpuE5ELNS1_3repE0EEENS1_44radix_sort_block_sort_config_static_selectorELNS0_4arch9wavefront6targetE1EEEvSH_
	.globl	_ZN7rocprim17ROCPRIM_400000_NS6detail17trampoline_kernelINS0_13kernel_configILj256ELj4ELj4294967295EEENS1_37radix_sort_block_sort_config_selectorIssEEZNS1_21radix_sort_block_sortIS4_Lb0EN6thrust23THRUST_200600_302600_NS6detail15normal_iteratorINS9_10device_ptrIsEEEESE_SE_SE_NS0_19identity_decomposerEEE10hipError_tT1_T2_T3_T4_jRjT5_jjP12ihipStream_tbEUlT_E_NS1_11comp_targetILNS1_3genE10ELNS1_11target_archE1201ELNS1_3gpuE5ELNS1_3repE0EEENS1_44radix_sort_block_sort_config_static_selectorELNS0_4arch9wavefront6targetE1EEEvSH_
	.p2align	8
	.type	_ZN7rocprim17ROCPRIM_400000_NS6detail17trampoline_kernelINS0_13kernel_configILj256ELj4ELj4294967295EEENS1_37radix_sort_block_sort_config_selectorIssEEZNS1_21radix_sort_block_sortIS4_Lb0EN6thrust23THRUST_200600_302600_NS6detail15normal_iteratorINS9_10device_ptrIsEEEESE_SE_SE_NS0_19identity_decomposerEEE10hipError_tT1_T2_T3_T4_jRjT5_jjP12ihipStream_tbEUlT_E_NS1_11comp_targetILNS1_3genE10ELNS1_11target_archE1201ELNS1_3gpuE5ELNS1_3repE0EEENS1_44radix_sort_block_sort_config_static_selectorELNS0_4arch9wavefront6targetE1EEEvSH_,@function
_ZN7rocprim17ROCPRIM_400000_NS6detail17trampoline_kernelINS0_13kernel_configILj256ELj4ELj4294967295EEENS1_37radix_sort_block_sort_config_selectorIssEEZNS1_21radix_sort_block_sortIS4_Lb0EN6thrust23THRUST_200600_302600_NS6detail15normal_iteratorINS9_10device_ptrIsEEEESE_SE_SE_NS0_19identity_decomposerEEE10hipError_tT1_T2_T3_T4_jRjT5_jjP12ihipStream_tbEUlT_E_NS1_11comp_targetILNS1_3genE10ELNS1_11target_archE1201ELNS1_3gpuE5ELNS1_3repE0EEENS1_44radix_sort_block_sort_config_static_selectorELNS0_4arch9wavefront6targetE1EEEvSH_: ; @_ZN7rocprim17ROCPRIM_400000_NS6detail17trampoline_kernelINS0_13kernel_configILj256ELj4ELj4294967295EEENS1_37radix_sort_block_sort_config_selectorIssEEZNS1_21radix_sort_block_sortIS4_Lb0EN6thrust23THRUST_200600_302600_NS6detail15normal_iteratorINS9_10device_ptrIsEEEESE_SE_SE_NS0_19identity_decomposerEEE10hipError_tT1_T2_T3_T4_jRjT5_jjP12ihipStream_tbEUlT_E_NS1_11comp_targetILNS1_3genE10ELNS1_11target_archE1201ELNS1_3gpuE5ELNS1_3repE0EEENS1_44radix_sort_block_sort_config_static_selectorELNS0_4arch9wavefront6targetE1EEEvSH_
; %bb.0:
	.section	.rodata,"a",@progbits
	.p2align	6, 0x0
	.amdhsa_kernel _ZN7rocprim17ROCPRIM_400000_NS6detail17trampoline_kernelINS0_13kernel_configILj256ELj4ELj4294967295EEENS1_37radix_sort_block_sort_config_selectorIssEEZNS1_21radix_sort_block_sortIS4_Lb0EN6thrust23THRUST_200600_302600_NS6detail15normal_iteratorINS9_10device_ptrIsEEEESE_SE_SE_NS0_19identity_decomposerEEE10hipError_tT1_T2_T3_T4_jRjT5_jjP12ihipStream_tbEUlT_E_NS1_11comp_targetILNS1_3genE10ELNS1_11target_archE1201ELNS1_3gpuE5ELNS1_3repE0EEENS1_44radix_sort_block_sort_config_static_selectorELNS0_4arch9wavefront6targetE1EEEvSH_
		.amdhsa_group_segment_fixed_size 0
		.amdhsa_private_segment_fixed_size 0
		.amdhsa_kernarg_size 48
		.amdhsa_user_sgpr_count 2
		.amdhsa_user_sgpr_dispatch_ptr 0
		.amdhsa_user_sgpr_queue_ptr 0
		.amdhsa_user_sgpr_kernarg_segment_ptr 1
		.amdhsa_user_sgpr_dispatch_id 0
		.amdhsa_user_sgpr_kernarg_preload_length 0
		.amdhsa_user_sgpr_kernarg_preload_offset 0
		.amdhsa_user_sgpr_private_segment_size 0
		.amdhsa_uses_dynamic_stack 0
		.amdhsa_enable_private_segment 0
		.amdhsa_system_sgpr_workgroup_id_x 1
		.amdhsa_system_sgpr_workgroup_id_y 0
		.amdhsa_system_sgpr_workgroup_id_z 0
		.amdhsa_system_sgpr_workgroup_info 0
		.amdhsa_system_vgpr_workitem_id 0
		.amdhsa_next_free_vgpr 1
		.amdhsa_next_free_sgpr 0
		.amdhsa_accum_offset 4
		.amdhsa_reserve_vcc 0
		.amdhsa_float_round_mode_32 0
		.amdhsa_float_round_mode_16_64 0
		.amdhsa_float_denorm_mode_32 3
		.amdhsa_float_denorm_mode_16_64 3
		.amdhsa_dx10_clamp 1
		.amdhsa_ieee_mode 1
		.amdhsa_fp16_overflow 0
		.amdhsa_tg_split 0
		.amdhsa_exception_fp_ieee_invalid_op 0
		.amdhsa_exception_fp_denorm_src 0
		.amdhsa_exception_fp_ieee_div_zero 0
		.amdhsa_exception_fp_ieee_overflow 0
		.amdhsa_exception_fp_ieee_underflow 0
		.amdhsa_exception_fp_ieee_inexact 0
		.amdhsa_exception_int_div_zero 0
	.end_amdhsa_kernel
	.section	.text._ZN7rocprim17ROCPRIM_400000_NS6detail17trampoline_kernelINS0_13kernel_configILj256ELj4ELj4294967295EEENS1_37radix_sort_block_sort_config_selectorIssEEZNS1_21radix_sort_block_sortIS4_Lb0EN6thrust23THRUST_200600_302600_NS6detail15normal_iteratorINS9_10device_ptrIsEEEESE_SE_SE_NS0_19identity_decomposerEEE10hipError_tT1_T2_T3_T4_jRjT5_jjP12ihipStream_tbEUlT_E_NS1_11comp_targetILNS1_3genE10ELNS1_11target_archE1201ELNS1_3gpuE5ELNS1_3repE0EEENS1_44radix_sort_block_sort_config_static_selectorELNS0_4arch9wavefront6targetE1EEEvSH_,"axG",@progbits,_ZN7rocprim17ROCPRIM_400000_NS6detail17trampoline_kernelINS0_13kernel_configILj256ELj4ELj4294967295EEENS1_37radix_sort_block_sort_config_selectorIssEEZNS1_21radix_sort_block_sortIS4_Lb0EN6thrust23THRUST_200600_302600_NS6detail15normal_iteratorINS9_10device_ptrIsEEEESE_SE_SE_NS0_19identity_decomposerEEE10hipError_tT1_T2_T3_T4_jRjT5_jjP12ihipStream_tbEUlT_E_NS1_11comp_targetILNS1_3genE10ELNS1_11target_archE1201ELNS1_3gpuE5ELNS1_3repE0EEENS1_44radix_sort_block_sort_config_static_selectorELNS0_4arch9wavefront6targetE1EEEvSH_,comdat
.Lfunc_end1497:
	.size	_ZN7rocprim17ROCPRIM_400000_NS6detail17trampoline_kernelINS0_13kernel_configILj256ELj4ELj4294967295EEENS1_37radix_sort_block_sort_config_selectorIssEEZNS1_21radix_sort_block_sortIS4_Lb0EN6thrust23THRUST_200600_302600_NS6detail15normal_iteratorINS9_10device_ptrIsEEEESE_SE_SE_NS0_19identity_decomposerEEE10hipError_tT1_T2_T3_T4_jRjT5_jjP12ihipStream_tbEUlT_E_NS1_11comp_targetILNS1_3genE10ELNS1_11target_archE1201ELNS1_3gpuE5ELNS1_3repE0EEENS1_44radix_sort_block_sort_config_static_selectorELNS0_4arch9wavefront6targetE1EEEvSH_, .Lfunc_end1497-_ZN7rocprim17ROCPRIM_400000_NS6detail17trampoline_kernelINS0_13kernel_configILj256ELj4ELj4294967295EEENS1_37radix_sort_block_sort_config_selectorIssEEZNS1_21radix_sort_block_sortIS4_Lb0EN6thrust23THRUST_200600_302600_NS6detail15normal_iteratorINS9_10device_ptrIsEEEESE_SE_SE_NS0_19identity_decomposerEEE10hipError_tT1_T2_T3_T4_jRjT5_jjP12ihipStream_tbEUlT_E_NS1_11comp_targetILNS1_3genE10ELNS1_11target_archE1201ELNS1_3gpuE5ELNS1_3repE0EEENS1_44radix_sort_block_sort_config_static_selectorELNS0_4arch9wavefront6targetE1EEEvSH_
                                        ; -- End function
	.set _ZN7rocprim17ROCPRIM_400000_NS6detail17trampoline_kernelINS0_13kernel_configILj256ELj4ELj4294967295EEENS1_37radix_sort_block_sort_config_selectorIssEEZNS1_21radix_sort_block_sortIS4_Lb0EN6thrust23THRUST_200600_302600_NS6detail15normal_iteratorINS9_10device_ptrIsEEEESE_SE_SE_NS0_19identity_decomposerEEE10hipError_tT1_T2_T3_T4_jRjT5_jjP12ihipStream_tbEUlT_E_NS1_11comp_targetILNS1_3genE10ELNS1_11target_archE1201ELNS1_3gpuE5ELNS1_3repE0EEENS1_44radix_sort_block_sort_config_static_selectorELNS0_4arch9wavefront6targetE1EEEvSH_.num_vgpr, 0
	.set _ZN7rocprim17ROCPRIM_400000_NS6detail17trampoline_kernelINS0_13kernel_configILj256ELj4ELj4294967295EEENS1_37radix_sort_block_sort_config_selectorIssEEZNS1_21radix_sort_block_sortIS4_Lb0EN6thrust23THRUST_200600_302600_NS6detail15normal_iteratorINS9_10device_ptrIsEEEESE_SE_SE_NS0_19identity_decomposerEEE10hipError_tT1_T2_T3_T4_jRjT5_jjP12ihipStream_tbEUlT_E_NS1_11comp_targetILNS1_3genE10ELNS1_11target_archE1201ELNS1_3gpuE5ELNS1_3repE0EEENS1_44radix_sort_block_sort_config_static_selectorELNS0_4arch9wavefront6targetE1EEEvSH_.num_agpr, 0
	.set _ZN7rocprim17ROCPRIM_400000_NS6detail17trampoline_kernelINS0_13kernel_configILj256ELj4ELj4294967295EEENS1_37radix_sort_block_sort_config_selectorIssEEZNS1_21radix_sort_block_sortIS4_Lb0EN6thrust23THRUST_200600_302600_NS6detail15normal_iteratorINS9_10device_ptrIsEEEESE_SE_SE_NS0_19identity_decomposerEEE10hipError_tT1_T2_T3_T4_jRjT5_jjP12ihipStream_tbEUlT_E_NS1_11comp_targetILNS1_3genE10ELNS1_11target_archE1201ELNS1_3gpuE5ELNS1_3repE0EEENS1_44radix_sort_block_sort_config_static_selectorELNS0_4arch9wavefront6targetE1EEEvSH_.numbered_sgpr, 0
	.set _ZN7rocprim17ROCPRIM_400000_NS6detail17trampoline_kernelINS0_13kernel_configILj256ELj4ELj4294967295EEENS1_37radix_sort_block_sort_config_selectorIssEEZNS1_21radix_sort_block_sortIS4_Lb0EN6thrust23THRUST_200600_302600_NS6detail15normal_iteratorINS9_10device_ptrIsEEEESE_SE_SE_NS0_19identity_decomposerEEE10hipError_tT1_T2_T3_T4_jRjT5_jjP12ihipStream_tbEUlT_E_NS1_11comp_targetILNS1_3genE10ELNS1_11target_archE1201ELNS1_3gpuE5ELNS1_3repE0EEENS1_44radix_sort_block_sort_config_static_selectorELNS0_4arch9wavefront6targetE1EEEvSH_.num_named_barrier, 0
	.set _ZN7rocprim17ROCPRIM_400000_NS6detail17trampoline_kernelINS0_13kernel_configILj256ELj4ELj4294967295EEENS1_37radix_sort_block_sort_config_selectorIssEEZNS1_21radix_sort_block_sortIS4_Lb0EN6thrust23THRUST_200600_302600_NS6detail15normal_iteratorINS9_10device_ptrIsEEEESE_SE_SE_NS0_19identity_decomposerEEE10hipError_tT1_T2_T3_T4_jRjT5_jjP12ihipStream_tbEUlT_E_NS1_11comp_targetILNS1_3genE10ELNS1_11target_archE1201ELNS1_3gpuE5ELNS1_3repE0EEENS1_44radix_sort_block_sort_config_static_selectorELNS0_4arch9wavefront6targetE1EEEvSH_.private_seg_size, 0
	.set _ZN7rocprim17ROCPRIM_400000_NS6detail17trampoline_kernelINS0_13kernel_configILj256ELj4ELj4294967295EEENS1_37radix_sort_block_sort_config_selectorIssEEZNS1_21radix_sort_block_sortIS4_Lb0EN6thrust23THRUST_200600_302600_NS6detail15normal_iteratorINS9_10device_ptrIsEEEESE_SE_SE_NS0_19identity_decomposerEEE10hipError_tT1_T2_T3_T4_jRjT5_jjP12ihipStream_tbEUlT_E_NS1_11comp_targetILNS1_3genE10ELNS1_11target_archE1201ELNS1_3gpuE5ELNS1_3repE0EEENS1_44radix_sort_block_sort_config_static_selectorELNS0_4arch9wavefront6targetE1EEEvSH_.uses_vcc, 0
	.set _ZN7rocprim17ROCPRIM_400000_NS6detail17trampoline_kernelINS0_13kernel_configILj256ELj4ELj4294967295EEENS1_37radix_sort_block_sort_config_selectorIssEEZNS1_21radix_sort_block_sortIS4_Lb0EN6thrust23THRUST_200600_302600_NS6detail15normal_iteratorINS9_10device_ptrIsEEEESE_SE_SE_NS0_19identity_decomposerEEE10hipError_tT1_T2_T3_T4_jRjT5_jjP12ihipStream_tbEUlT_E_NS1_11comp_targetILNS1_3genE10ELNS1_11target_archE1201ELNS1_3gpuE5ELNS1_3repE0EEENS1_44radix_sort_block_sort_config_static_selectorELNS0_4arch9wavefront6targetE1EEEvSH_.uses_flat_scratch, 0
	.set _ZN7rocprim17ROCPRIM_400000_NS6detail17trampoline_kernelINS0_13kernel_configILj256ELj4ELj4294967295EEENS1_37radix_sort_block_sort_config_selectorIssEEZNS1_21radix_sort_block_sortIS4_Lb0EN6thrust23THRUST_200600_302600_NS6detail15normal_iteratorINS9_10device_ptrIsEEEESE_SE_SE_NS0_19identity_decomposerEEE10hipError_tT1_T2_T3_T4_jRjT5_jjP12ihipStream_tbEUlT_E_NS1_11comp_targetILNS1_3genE10ELNS1_11target_archE1201ELNS1_3gpuE5ELNS1_3repE0EEENS1_44radix_sort_block_sort_config_static_selectorELNS0_4arch9wavefront6targetE1EEEvSH_.has_dyn_sized_stack, 0
	.set _ZN7rocprim17ROCPRIM_400000_NS6detail17trampoline_kernelINS0_13kernel_configILj256ELj4ELj4294967295EEENS1_37radix_sort_block_sort_config_selectorIssEEZNS1_21radix_sort_block_sortIS4_Lb0EN6thrust23THRUST_200600_302600_NS6detail15normal_iteratorINS9_10device_ptrIsEEEESE_SE_SE_NS0_19identity_decomposerEEE10hipError_tT1_T2_T3_T4_jRjT5_jjP12ihipStream_tbEUlT_E_NS1_11comp_targetILNS1_3genE10ELNS1_11target_archE1201ELNS1_3gpuE5ELNS1_3repE0EEENS1_44radix_sort_block_sort_config_static_selectorELNS0_4arch9wavefront6targetE1EEEvSH_.has_recursion, 0
	.set _ZN7rocprim17ROCPRIM_400000_NS6detail17trampoline_kernelINS0_13kernel_configILj256ELj4ELj4294967295EEENS1_37radix_sort_block_sort_config_selectorIssEEZNS1_21radix_sort_block_sortIS4_Lb0EN6thrust23THRUST_200600_302600_NS6detail15normal_iteratorINS9_10device_ptrIsEEEESE_SE_SE_NS0_19identity_decomposerEEE10hipError_tT1_T2_T3_T4_jRjT5_jjP12ihipStream_tbEUlT_E_NS1_11comp_targetILNS1_3genE10ELNS1_11target_archE1201ELNS1_3gpuE5ELNS1_3repE0EEENS1_44radix_sort_block_sort_config_static_selectorELNS0_4arch9wavefront6targetE1EEEvSH_.has_indirect_call, 0
	.section	.AMDGPU.csdata,"",@progbits
; Kernel info:
; codeLenInByte = 0
; TotalNumSgprs: 6
; NumVgprs: 0
; NumAgprs: 0
; TotalNumVgprs: 0
; ScratchSize: 0
; MemoryBound: 0
; FloatMode: 240
; IeeeMode: 1
; LDSByteSize: 0 bytes/workgroup (compile time only)
; SGPRBlocks: 0
; VGPRBlocks: 0
; NumSGPRsForWavesPerEU: 6
; NumVGPRsForWavesPerEU: 1
; AccumOffset: 4
; Occupancy: 8
; WaveLimiterHint : 0
; COMPUTE_PGM_RSRC2:SCRATCH_EN: 0
; COMPUTE_PGM_RSRC2:USER_SGPR: 2
; COMPUTE_PGM_RSRC2:TRAP_HANDLER: 0
; COMPUTE_PGM_RSRC2:TGID_X_EN: 1
; COMPUTE_PGM_RSRC2:TGID_Y_EN: 0
; COMPUTE_PGM_RSRC2:TGID_Z_EN: 0
; COMPUTE_PGM_RSRC2:TIDIG_COMP_CNT: 0
; COMPUTE_PGM_RSRC3_GFX90A:ACCUM_OFFSET: 0
; COMPUTE_PGM_RSRC3_GFX90A:TG_SPLIT: 0
	.section	.text._ZN7rocprim17ROCPRIM_400000_NS6detail17trampoline_kernelINS0_13kernel_configILj256ELj4ELj4294967295EEENS1_37radix_sort_block_sort_config_selectorIssEEZNS1_21radix_sort_block_sortIS4_Lb0EN6thrust23THRUST_200600_302600_NS6detail15normal_iteratorINS9_10device_ptrIsEEEESE_SE_SE_NS0_19identity_decomposerEEE10hipError_tT1_T2_T3_T4_jRjT5_jjP12ihipStream_tbEUlT_E_NS1_11comp_targetILNS1_3genE10ELNS1_11target_archE1200ELNS1_3gpuE4ELNS1_3repE0EEENS1_44radix_sort_block_sort_config_static_selectorELNS0_4arch9wavefront6targetE1EEEvSH_,"axG",@progbits,_ZN7rocprim17ROCPRIM_400000_NS6detail17trampoline_kernelINS0_13kernel_configILj256ELj4ELj4294967295EEENS1_37radix_sort_block_sort_config_selectorIssEEZNS1_21radix_sort_block_sortIS4_Lb0EN6thrust23THRUST_200600_302600_NS6detail15normal_iteratorINS9_10device_ptrIsEEEESE_SE_SE_NS0_19identity_decomposerEEE10hipError_tT1_T2_T3_T4_jRjT5_jjP12ihipStream_tbEUlT_E_NS1_11comp_targetILNS1_3genE10ELNS1_11target_archE1200ELNS1_3gpuE4ELNS1_3repE0EEENS1_44radix_sort_block_sort_config_static_selectorELNS0_4arch9wavefront6targetE1EEEvSH_,comdat
	.protected	_ZN7rocprim17ROCPRIM_400000_NS6detail17trampoline_kernelINS0_13kernel_configILj256ELj4ELj4294967295EEENS1_37radix_sort_block_sort_config_selectorIssEEZNS1_21radix_sort_block_sortIS4_Lb0EN6thrust23THRUST_200600_302600_NS6detail15normal_iteratorINS9_10device_ptrIsEEEESE_SE_SE_NS0_19identity_decomposerEEE10hipError_tT1_T2_T3_T4_jRjT5_jjP12ihipStream_tbEUlT_E_NS1_11comp_targetILNS1_3genE10ELNS1_11target_archE1200ELNS1_3gpuE4ELNS1_3repE0EEENS1_44radix_sort_block_sort_config_static_selectorELNS0_4arch9wavefront6targetE1EEEvSH_ ; -- Begin function _ZN7rocprim17ROCPRIM_400000_NS6detail17trampoline_kernelINS0_13kernel_configILj256ELj4ELj4294967295EEENS1_37radix_sort_block_sort_config_selectorIssEEZNS1_21radix_sort_block_sortIS4_Lb0EN6thrust23THRUST_200600_302600_NS6detail15normal_iteratorINS9_10device_ptrIsEEEESE_SE_SE_NS0_19identity_decomposerEEE10hipError_tT1_T2_T3_T4_jRjT5_jjP12ihipStream_tbEUlT_E_NS1_11comp_targetILNS1_3genE10ELNS1_11target_archE1200ELNS1_3gpuE4ELNS1_3repE0EEENS1_44radix_sort_block_sort_config_static_selectorELNS0_4arch9wavefront6targetE1EEEvSH_
	.globl	_ZN7rocprim17ROCPRIM_400000_NS6detail17trampoline_kernelINS0_13kernel_configILj256ELj4ELj4294967295EEENS1_37radix_sort_block_sort_config_selectorIssEEZNS1_21radix_sort_block_sortIS4_Lb0EN6thrust23THRUST_200600_302600_NS6detail15normal_iteratorINS9_10device_ptrIsEEEESE_SE_SE_NS0_19identity_decomposerEEE10hipError_tT1_T2_T3_T4_jRjT5_jjP12ihipStream_tbEUlT_E_NS1_11comp_targetILNS1_3genE10ELNS1_11target_archE1200ELNS1_3gpuE4ELNS1_3repE0EEENS1_44radix_sort_block_sort_config_static_selectorELNS0_4arch9wavefront6targetE1EEEvSH_
	.p2align	8
	.type	_ZN7rocprim17ROCPRIM_400000_NS6detail17trampoline_kernelINS0_13kernel_configILj256ELj4ELj4294967295EEENS1_37radix_sort_block_sort_config_selectorIssEEZNS1_21radix_sort_block_sortIS4_Lb0EN6thrust23THRUST_200600_302600_NS6detail15normal_iteratorINS9_10device_ptrIsEEEESE_SE_SE_NS0_19identity_decomposerEEE10hipError_tT1_T2_T3_T4_jRjT5_jjP12ihipStream_tbEUlT_E_NS1_11comp_targetILNS1_3genE10ELNS1_11target_archE1200ELNS1_3gpuE4ELNS1_3repE0EEENS1_44radix_sort_block_sort_config_static_selectorELNS0_4arch9wavefront6targetE1EEEvSH_,@function
_ZN7rocprim17ROCPRIM_400000_NS6detail17trampoline_kernelINS0_13kernel_configILj256ELj4ELj4294967295EEENS1_37radix_sort_block_sort_config_selectorIssEEZNS1_21radix_sort_block_sortIS4_Lb0EN6thrust23THRUST_200600_302600_NS6detail15normal_iteratorINS9_10device_ptrIsEEEESE_SE_SE_NS0_19identity_decomposerEEE10hipError_tT1_T2_T3_T4_jRjT5_jjP12ihipStream_tbEUlT_E_NS1_11comp_targetILNS1_3genE10ELNS1_11target_archE1200ELNS1_3gpuE4ELNS1_3repE0EEENS1_44radix_sort_block_sort_config_static_selectorELNS0_4arch9wavefront6targetE1EEEvSH_: ; @_ZN7rocprim17ROCPRIM_400000_NS6detail17trampoline_kernelINS0_13kernel_configILj256ELj4ELj4294967295EEENS1_37radix_sort_block_sort_config_selectorIssEEZNS1_21radix_sort_block_sortIS4_Lb0EN6thrust23THRUST_200600_302600_NS6detail15normal_iteratorINS9_10device_ptrIsEEEESE_SE_SE_NS0_19identity_decomposerEEE10hipError_tT1_T2_T3_T4_jRjT5_jjP12ihipStream_tbEUlT_E_NS1_11comp_targetILNS1_3genE10ELNS1_11target_archE1200ELNS1_3gpuE4ELNS1_3repE0EEENS1_44radix_sort_block_sort_config_static_selectorELNS0_4arch9wavefront6targetE1EEEvSH_
; %bb.0:
	.section	.rodata,"a",@progbits
	.p2align	6, 0x0
	.amdhsa_kernel _ZN7rocprim17ROCPRIM_400000_NS6detail17trampoline_kernelINS0_13kernel_configILj256ELj4ELj4294967295EEENS1_37radix_sort_block_sort_config_selectorIssEEZNS1_21radix_sort_block_sortIS4_Lb0EN6thrust23THRUST_200600_302600_NS6detail15normal_iteratorINS9_10device_ptrIsEEEESE_SE_SE_NS0_19identity_decomposerEEE10hipError_tT1_T2_T3_T4_jRjT5_jjP12ihipStream_tbEUlT_E_NS1_11comp_targetILNS1_3genE10ELNS1_11target_archE1200ELNS1_3gpuE4ELNS1_3repE0EEENS1_44radix_sort_block_sort_config_static_selectorELNS0_4arch9wavefront6targetE1EEEvSH_
		.amdhsa_group_segment_fixed_size 0
		.amdhsa_private_segment_fixed_size 0
		.amdhsa_kernarg_size 48
		.amdhsa_user_sgpr_count 2
		.amdhsa_user_sgpr_dispatch_ptr 0
		.amdhsa_user_sgpr_queue_ptr 0
		.amdhsa_user_sgpr_kernarg_segment_ptr 1
		.amdhsa_user_sgpr_dispatch_id 0
		.amdhsa_user_sgpr_kernarg_preload_length 0
		.amdhsa_user_sgpr_kernarg_preload_offset 0
		.amdhsa_user_sgpr_private_segment_size 0
		.amdhsa_uses_dynamic_stack 0
		.amdhsa_enable_private_segment 0
		.amdhsa_system_sgpr_workgroup_id_x 1
		.amdhsa_system_sgpr_workgroup_id_y 0
		.amdhsa_system_sgpr_workgroup_id_z 0
		.amdhsa_system_sgpr_workgroup_info 0
		.amdhsa_system_vgpr_workitem_id 0
		.amdhsa_next_free_vgpr 1
		.amdhsa_next_free_sgpr 0
		.amdhsa_accum_offset 4
		.amdhsa_reserve_vcc 0
		.amdhsa_float_round_mode_32 0
		.amdhsa_float_round_mode_16_64 0
		.amdhsa_float_denorm_mode_32 3
		.amdhsa_float_denorm_mode_16_64 3
		.amdhsa_dx10_clamp 1
		.amdhsa_ieee_mode 1
		.amdhsa_fp16_overflow 0
		.amdhsa_tg_split 0
		.amdhsa_exception_fp_ieee_invalid_op 0
		.amdhsa_exception_fp_denorm_src 0
		.amdhsa_exception_fp_ieee_div_zero 0
		.amdhsa_exception_fp_ieee_overflow 0
		.amdhsa_exception_fp_ieee_underflow 0
		.amdhsa_exception_fp_ieee_inexact 0
		.amdhsa_exception_int_div_zero 0
	.end_amdhsa_kernel
	.section	.text._ZN7rocprim17ROCPRIM_400000_NS6detail17trampoline_kernelINS0_13kernel_configILj256ELj4ELj4294967295EEENS1_37radix_sort_block_sort_config_selectorIssEEZNS1_21radix_sort_block_sortIS4_Lb0EN6thrust23THRUST_200600_302600_NS6detail15normal_iteratorINS9_10device_ptrIsEEEESE_SE_SE_NS0_19identity_decomposerEEE10hipError_tT1_T2_T3_T4_jRjT5_jjP12ihipStream_tbEUlT_E_NS1_11comp_targetILNS1_3genE10ELNS1_11target_archE1200ELNS1_3gpuE4ELNS1_3repE0EEENS1_44radix_sort_block_sort_config_static_selectorELNS0_4arch9wavefront6targetE1EEEvSH_,"axG",@progbits,_ZN7rocprim17ROCPRIM_400000_NS6detail17trampoline_kernelINS0_13kernel_configILj256ELj4ELj4294967295EEENS1_37radix_sort_block_sort_config_selectorIssEEZNS1_21radix_sort_block_sortIS4_Lb0EN6thrust23THRUST_200600_302600_NS6detail15normal_iteratorINS9_10device_ptrIsEEEESE_SE_SE_NS0_19identity_decomposerEEE10hipError_tT1_T2_T3_T4_jRjT5_jjP12ihipStream_tbEUlT_E_NS1_11comp_targetILNS1_3genE10ELNS1_11target_archE1200ELNS1_3gpuE4ELNS1_3repE0EEENS1_44radix_sort_block_sort_config_static_selectorELNS0_4arch9wavefront6targetE1EEEvSH_,comdat
.Lfunc_end1498:
	.size	_ZN7rocprim17ROCPRIM_400000_NS6detail17trampoline_kernelINS0_13kernel_configILj256ELj4ELj4294967295EEENS1_37radix_sort_block_sort_config_selectorIssEEZNS1_21radix_sort_block_sortIS4_Lb0EN6thrust23THRUST_200600_302600_NS6detail15normal_iteratorINS9_10device_ptrIsEEEESE_SE_SE_NS0_19identity_decomposerEEE10hipError_tT1_T2_T3_T4_jRjT5_jjP12ihipStream_tbEUlT_E_NS1_11comp_targetILNS1_3genE10ELNS1_11target_archE1200ELNS1_3gpuE4ELNS1_3repE0EEENS1_44radix_sort_block_sort_config_static_selectorELNS0_4arch9wavefront6targetE1EEEvSH_, .Lfunc_end1498-_ZN7rocprim17ROCPRIM_400000_NS6detail17trampoline_kernelINS0_13kernel_configILj256ELj4ELj4294967295EEENS1_37radix_sort_block_sort_config_selectorIssEEZNS1_21radix_sort_block_sortIS4_Lb0EN6thrust23THRUST_200600_302600_NS6detail15normal_iteratorINS9_10device_ptrIsEEEESE_SE_SE_NS0_19identity_decomposerEEE10hipError_tT1_T2_T3_T4_jRjT5_jjP12ihipStream_tbEUlT_E_NS1_11comp_targetILNS1_3genE10ELNS1_11target_archE1200ELNS1_3gpuE4ELNS1_3repE0EEENS1_44radix_sort_block_sort_config_static_selectorELNS0_4arch9wavefront6targetE1EEEvSH_
                                        ; -- End function
	.set _ZN7rocprim17ROCPRIM_400000_NS6detail17trampoline_kernelINS0_13kernel_configILj256ELj4ELj4294967295EEENS1_37radix_sort_block_sort_config_selectorIssEEZNS1_21radix_sort_block_sortIS4_Lb0EN6thrust23THRUST_200600_302600_NS6detail15normal_iteratorINS9_10device_ptrIsEEEESE_SE_SE_NS0_19identity_decomposerEEE10hipError_tT1_T2_T3_T4_jRjT5_jjP12ihipStream_tbEUlT_E_NS1_11comp_targetILNS1_3genE10ELNS1_11target_archE1200ELNS1_3gpuE4ELNS1_3repE0EEENS1_44radix_sort_block_sort_config_static_selectorELNS0_4arch9wavefront6targetE1EEEvSH_.num_vgpr, 0
	.set _ZN7rocprim17ROCPRIM_400000_NS6detail17trampoline_kernelINS0_13kernel_configILj256ELj4ELj4294967295EEENS1_37radix_sort_block_sort_config_selectorIssEEZNS1_21radix_sort_block_sortIS4_Lb0EN6thrust23THRUST_200600_302600_NS6detail15normal_iteratorINS9_10device_ptrIsEEEESE_SE_SE_NS0_19identity_decomposerEEE10hipError_tT1_T2_T3_T4_jRjT5_jjP12ihipStream_tbEUlT_E_NS1_11comp_targetILNS1_3genE10ELNS1_11target_archE1200ELNS1_3gpuE4ELNS1_3repE0EEENS1_44radix_sort_block_sort_config_static_selectorELNS0_4arch9wavefront6targetE1EEEvSH_.num_agpr, 0
	.set _ZN7rocprim17ROCPRIM_400000_NS6detail17trampoline_kernelINS0_13kernel_configILj256ELj4ELj4294967295EEENS1_37radix_sort_block_sort_config_selectorIssEEZNS1_21radix_sort_block_sortIS4_Lb0EN6thrust23THRUST_200600_302600_NS6detail15normal_iteratorINS9_10device_ptrIsEEEESE_SE_SE_NS0_19identity_decomposerEEE10hipError_tT1_T2_T3_T4_jRjT5_jjP12ihipStream_tbEUlT_E_NS1_11comp_targetILNS1_3genE10ELNS1_11target_archE1200ELNS1_3gpuE4ELNS1_3repE0EEENS1_44radix_sort_block_sort_config_static_selectorELNS0_4arch9wavefront6targetE1EEEvSH_.numbered_sgpr, 0
	.set _ZN7rocprim17ROCPRIM_400000_NS6detail17trampoline_kernelINS0_13kernel_configILj256ELj4ELj4294967295EEENS1_37radix_sort_block_sort_config_selectorIssEEZNS1_21radix_sort_block_sortIS4_Lb0EN6thrust23THRUST_200600_302600_NS6detail15normal_iteratorINS9_10device_ptrIsEEEESE_SE_SE_NS0_19identity_decomposerEEE10hipError_tT1_T2_T3_T4_jRjT5_jjP12ihipStream_tbEUlT_E_NS1_11comp_targetILNS1_3genE10ELNS1_11target_archE1200ELNS1_3gpuE4ELNS1_3repE0EEENS1_44radix_sort_block_sort_config_static_selectorELNS0_4arch9wavefront6targetE1EEEvSH_.num_named_barrier, 0
	.set _ZN7rocprim17ROCPRIM_400000_NS6detail17trampoline_kernelINS0_13kernel_configILj256ELj4ELj4294967295EEENS1_37radix_sort_block_sort_config_selectorIssEEZNS1_21radix_sort_block_sortIS4_Lb0EN6thrust23THRUST_200600_302600_NS6detail15normal_iteratorINS9_10device_ptrIsEEEESE_SE_SE_NS0_19identity_decomposerEEE10hipError_tT1_T2_T3_T4_jRjT5_jjP12ihipStream_tbEUlT_E_NS1_11comp_targetILNS1_3genE10ELNS1_11target_archE1200ELNS1_3gpuE4ELNS1_3repE0EEENS1_44radix_sort_block_sort_config_static_selectorELNS0_4arch9wavefront6targetE1EEEvSH_.private_seg_size, 0
	.set _ZN7rocprim17ROCPRIM_400000_NS6detail17trampoline_kernelINS0_13kernel_configILj256ELj4ELj4294967295EEENS1_37radix_sort_block_sort_config_selectorIssEEZNS1_21radix_sort_block_sortIS4_Lb0EN6thrust23THRUST_200600_302600_NS6detail15normal_iteratorINS9_10device_ptrIsEEEESE_SE_SE_NS0_19identity_decomposerEEE10hipError_tT1_T2_T3_T4_jRjT5_jjP12ihipStream_tbEUlT_E_NS1_11comp_targetILNS1_3genE10ELNS1_11target_archE1200ELNS1_3gpuE4ELNS1_3repE0EEENS1_44radix_sort_block_sort_config_static_selectorELNS0_4arch9wavefront6targetE1EEEvSH_.uses_vcc, 0
	.set _ZN7rocprim17ROCPRIM_400000_NS6detail17trampoline_kernelINS0_13kernel_configILj256ELj4ELj4294967295EEENS1_37radix_sort_block_sort_config_selectorIssEEZNS1_21radix_sort_block_sortIS4_Lb0EN6thrust23THRUST_200600_302600_NS6detail15normal_iteratorINS9_10device_ptrIsEEEESE_SE_SE_NS0_19identity_decomposerEEE10hipError_tT1_T2_T3_T4_jRjT5_jjP12ihipStream_tbEUlT_E_NS1_11comp_targetILNS1_3genE10ELNS1_11target_archE1200ELNS1_3gpuE4ELNS1_3repE0EEENS1_44radix_sort_block_sort_config_static_selectorELNS0_4arch9wavefront6targetE1EEEvSH_.uses_flat_scratch, 0
	.set _ZN7rocprim17ROCPRIM_400000_NS6detail17trampoline_kernelINS0_13kernel_configILj256ELj4ELj4294967295EEENS1_37radix_sort_block_sort_config_selectorIssEEZNS1_21radix_sort_block_sortIS4_Lb0EN6thrust23THRUST_200600_302600_NS6detail15normal_iteratorINS9_10device_ptrIsEEEESE_SE_SE_NS0_19identity_decomposerEEE10hipError_tT1_T2_T3_T4_jRjT5_jjP12ihipStream_tbEUlT_E_NS1_11comp_targetILNS1_3genE10ELNS1_11target_archE1200ELNS1_3gpuE4ELNS1_3repE0EEENS1_44radix_sort_block_sort_config_static_selectorELNS0_4arch9wavefront6targetE1EEEvSH_.has_dyn_sized_stack, 0
	.set _ZN7rocprim17ROCPRIM_400000_NS6detail17trampoline_kernelINS0_13kernel_configILj256ELj4ELj4294967295EEENS1_37radix_sort_block_sort_config_selectorIssEEZNS1_21radix_sort_block_sortIS4_Lb0EN6thrust23THRUST_200600_302600_NS6detail15normal_iteratorINS9_10device_ptrIsEEEESE_SE_SE_NS0_19identity_decomposerEEE10hipError_tT1_T2_T3_T4_jRjT5_jjP12ihipStream_tbEUlT_E_NS1_11comp_targetILNS1_3genE10ELNS1_11target_archE1200ELNS1_3gpuE4ELNS1_3repE0EEENS1_44radix_sort_block_sort_config_static_selectorELNS0_4arch9wavefront6targetE1EEEvSH_.has_recursion, 0
	.set _ZN7rocprim17ROCPRIM_400000_NS6detail17trampoline_kernelINS0_13kernel_configILj256ELj4ELj4294967295EEENS1_37radix_sort_block_sort_config_selectorIssEEZNS1_21radix_sort_block_sortIS4_Lb0EN6thrust23THRUST_200600_302600_NS6detail15normal_iteratorINS9_10device_ptrIsEEEESE_SE_SE_NS0_19identity_decomposerEEE10hipError_tT1_T2_T3_T4_jRjT5_jjP12ihipStream_tbEUlT_E_NS1_11comp_targetILNS1_3genE10ELNS1_11target_archE1200ELNS1_3gpuE4ELNS1_3repE0EEENS1_44radix_sort_block_sort_config_static_selectorELNS0_4arch9wavefront6targetE1EEEvSH_.has_indirect_call, 0
	.section	.AMDGPU.csdata,"",@progbits
; Kernel info:
; codeLenInByte = 0
; TotalNumSgprs: 6
; NumVgprs: 0
; NumAgprs: 0
; TotalNumVgprs: 0
; ScratchSize: 0
; MemoryBound: 0
; FloatMode: 240
; IeeeMode: 1
; LDSByteSize: 0 bytes/workgroup (compile time only)
; SGPRBlocks: 0
; VGPRBlocks: 0
; NumSGPRsForWavesPerEU: 6
; NumVGPRsForWavesPerEU: 1
; AccumOffset: 4
; Occupancy: 8
; WaveLimiterHint : 0
; COMPUTE_PGM_RSRC2:SCRATCH_EN: 0
; COMPUTE_PGM_RSRC2:USER_SGPR: 2
; COMPUTE_PGM_RSRC2:TRAP_HANDLER: 0
; COMPUTE_PGM_RSRC2:TGID_X_EN: 1
; COMPUTE_PGM_RSRC2:TGID_Y_EN: 0
; COMPUTE_PGM_RSRC2:TGID_Z_EN: 0
; COMPUTE_PGM_RSRC2:TIDIG_COMP_CNT: 0
; COMPUTE_PGM_RSRC3_GFX90A:ACCUM_OFFSET: 0
; COMPUTE_PGM_RSRC3_GFX90A:TG_SPLIT: 0
	.section	.text._ZN7rocprim17ROCPRIM_400000_NS6detail17trampoline_kernelINS0_13kernel_configILj256ELj4ELj4294967295EEENS1_37radix_sort_block_sort_config_selectorIssEEZNS1_21radix_sort_block_sortIS4_Lb0EN6thrust23THRUST_200600_302600_NS6detail15normal_iteratorINS9_10device_ptrIsEEEESE_SE_SE_NS0_19identity_decomposerEEE10hipError_tT1_T2_T3_T4_jRjT5_jjP12ihipStream_tbEUlT_E_NS1_11comp_targetILNS1_3genE9ELNS1_11target_archE1100ELNS1_3gpuE3ELNS1_3repE0EEENS1_44radix_sort_block_sort_config_static_selectorELNS0_4arch9wavefront6targetE1EEEvSH_,"axG",@progbits,_ZN7rocprim17ROCPRIM_400000_NS6detail17trampoline_kernelINS0_13kernel_configILj256ELj4ELj4294967295EEENS1_37radix_sort_block_sort_config_selectorIssEEZNS1_21radix_sort_block_sortIS4_Lb0EN6thrust23THRUST_200600_302600_NS6detail15normal_iteratorINS9_10device_ptrIsEEEESE_SE_SE_NS0_19identity_decomposerEEE10hipError_tT1_T2_T3_T4_jRjT5_jjP12ihipStream_tbEUlT_E_NS1_11comp_targetILNS1_3genE9ELNS1_11target_archE1100ELNS1_3gpuE3ELNS1_3repE0EEENS1_44radix_sort_block_sort_config_static_selectorELNS0_4arch9wavefront6targetE1EEEvSH_,comdat
	.protected	_ZN7rocprim17ROCPRIM_400000_NS6detail17trampoline_kernelINS0_13kernel_configILj256ELj4ELj4294967295EEENS1_37radix_sort_block_sort_config_selectorIssEEZNS1_21radix_sort_block_sortIS4_Lb0EN6thrust23THRUST_200600_302600_NS6detail15normal_iteratorINS9_10device_ptrIsEEEESE_SE_SE_NS0_19identity_decomposerEEE10hipError_tT1_T2_T3_T4_jRjT5_jjP12ihipStream_tbEUlT_E_NS1_11comp_targetILNS1_3genE9ELNS1_11target_archE1100ELNS1_3gpuE3ELNS1_3repE0EEENS1_44radix_sort_block_sort_config_static_selectorELNS0_4arch9wavefront6targetE1EEEvSH_ ; -- Begin function _ZN7rocprim17ROCPRIM_400000_NS6detail17trampoline_kernelINS0_13kernel_configILj256ELj4ELj4294967295EEENS1_37radix_sort_block_sort_config_selectorIssEEZNS1_21radix_sort_block_sortIS4_Lb0EN6thrust23THRUST_200600_302600_NS6detail15normal_iteratorINS9_10device_ptrIsEEEESE_SE_SE_NS0_19identity_decomposerEEE10hipError_tT1_T2_T3_T4_jRjT5_jjP12ihipStream_tbEUlT_E_NS1_11comp_targetILNS1_3genE9ELNS1_11target_archE1100ELNS1_3gpuE3ELNS1_3repE0EEENS1_44radix_sort_block_sort_config_static_selectorELNS0_4arch9wavefront6targetE1EEEvSH_
	.globl	_ZN7rocprim17ROCPRIM_400000_NS6detail17trampoline_kernelINS0_13kernel_configILj256ELj4ELj4294967295EEENS1_37radix_sort_block_sort_config_selectorIssEEZNS1_21radix_sort_block_sortIS4_Lb0EN6thrust23THRUST_200600_302600_NS6detail15normal_iteratorINS9_10device_ptrIsEEEESE_SE_SE_NS0_19identity_decomposerEEE10hipError_tT1_T2_T3_T4_jRjT5_jjP12ihipStream_tbEUlT_E_NS1_11comp_targetILNS1_3genE9ELNS1_11target_archE1100ELNS1_3gpuE3ELNS1_3repE0EEENS1_44radix_sort_block_sort_config_static_selectorELNS0_4arch9wavefront6targetE1EEEvSH_
	.p2align	8
	.type	_ZN7rocprim17ROCPRIM_400000_NS6detail17trampoline_kernelINS0_13kernel_configILj256ELj4ELj4294967295EEENS1_37radix_sort_block_sort_config_selectorIssEEZNS1_21radix_sort_block_sortIS4_Lb0EN6thrust23THRUST_200600_302600_NS6detail15normal_iteratorINS9_10device_ptrIsEEEESE_SE_SE_NS0_19identity_decomposerEEE10hipError_tT1_T2_T3_T4_jRjT5_jjP12ihipStream_tbEUlT_E_NS1_11comp_targetILNS1_3genE9ELNS1_11target_archE1100ELNS1_3gpuE3ELNS1_3repE0EEENS1_44radix_sort_block_sort_config_static_selectorELNS0_4arch9wavefront6targetE1EEEvSH_,@function
_ZN7rocprim17ROCPRIM_400000_NS6detail17trampoline_kernelINS0_13kernel_configILj256ELj4ELj4294967295EEENS1_37radix_sort_block_sort_config_selectorIssEEZNS1_21radix_sort_block_sortIS4_Lb0EN6thrust23THRUST_200600_302600_NS6detail15normal_iteratorINS9_10device_ptrIsEEEESE_SE_SE_NS0_19identity_decomposerEEE10hipError_tT1_T2_T3_T4_jRjT5_jjP12ihipStream_tbEUlT_E_NS1_11comp_targetILNS1_3genE9ELNS1_11target_archE1100ELNS1_3gpuE3ELNS1_3repE0EEENS1_44radix_sort_block_sort_config_static_selectorELNS0_4arch9wavefront6targetE1EEEvSH_: ; @_ZN7rocprim17ROCPRIM_400000_NS6detail17trampoline_kernelINS0_13kernel_configILj256ELj4ELj4294967295EEENS1_37radix_sort_block_sort_config_selectorIssEEZNS1_21radix_sort_block_sortIS4_Lb0EN6thrust23THRUST_200600_302600_NS6detail15normal_iteratorINS9_10device_ptrIsEEEESE_SE_SE_NS0_19identity_decomposerEEE10hipError_tT1_T2_T3_T4_jRjT5_jjP12ihipStream_tbEUlT_E_NS1_11comp_targetILNS1_3genE9ELNS1_11target_archE1100ELNS1_3gpuE3ELNS1_3repE0EEENS1_44radix_sort_block_sort_config_static_selectorELNS0_4arch9wavefront6targetE1EEEvSH_
; %bb.0:
	.section	.rodata,"a",@progbits
	.p2align	6, 0x0
	.amdhsa_kernel _ZN7rocprim17ROCPRIM_400000_NS6detail17trampoline_kernelINS0_13kernel_configILj256ELj4ELj4294967295EEENS1_37radix_sort_block_sort_config_selectorIssEEZNS1_21radix_sort_block_sortIS4_Lb0EN6thrust23THRUST_200600_302600_NS6detail15normal_iteratorINS9_10device_ptrIsEEEESE_SE_SE_NS0_19identity_decomposerEEE10hipError_tT1_T2_T3_T4_jRjT5_jjP12ihipStream_tbEUlT_E_NS1_11comp_targetILNS1_3genE9ELNS1_11target_archE1100ELNS1_3gpuE3ELNS1_3repE0EEENS1_44radix_sort_block_sort_config_static_selectorELNS0_4arch9wavefront6targetE1EEEvSH_
		.amdhsa_group_segment_fixed_size 0
		.amdhsa_private_segment_fixed_size 0
		.amdhsa_kernarg_size 48
		.amdhsa_user_sgpr_count 2
		.amdhsa_user_sgpr_dispatch_ptr 0
		.amdhsa_user_sgpr_queue_ptr 0
		.amdhsa_user_sgpr_kernarg_segment_ptr 1
		.amdhsa_user_sgpr_dispatch_id 0
		.amdhsa_user_sgpr_kernarg_preload_length 0
		.amdhsa_user_sgpr_kernarg_preload_offset 0
		.amdhsa_user_sgpr_private_segment_size 0
		.amdhsa_uses_dynamic_stack 0
		.amdhsa_enable_private_segment 0
		.amdhsa_system_sgpr_workgroup_id_x 1
		.amdhsa_system_sgpr_workgroup_id_y 0
		.amdhsa_system_sgpr_workgroup_id_z 0
		.amdhsa_system_sgpr_workgroup_info 0
		.amdhsa_system_vgpr_workitem_id 0
		.amdhsa_next_free_vgpr 1
		.amdhsa_next_free_sgpr 0
		.amdhsa_accum_offset 4
		.amdhsa_reserve_vcc 0
		.amdhsa_float_round_mode_32 0
		.amdhsa_float_round_mode_16_64 0
		.amdhsa_float_denorm_mode_32 3
		.amdhsa_float_denorm_mode_16_64 3
		.amdhsa_dx10_clamp 1
		.amdhsa_ieee_mode 1
		.amdhsa_fp16_overflow 0
		.amdhsa_tg_split 0
		.amdhsa_exception_fp_ieee_invalid_op 0
		.amdhsa_exception_fp_denorm_src 0
		.amdhsa_exception_fp_ieee_div_zero 0
		.amdhsa_exception_fp_ieee_overflow 0
		.amdhsa_exception_fp_ieee_underflow 0
		.amdhsa_exception_fp_ieee_inexact 0
		.amdhsa_exception_int_div_zero 0
	.end_amdhsa_kernel
	.section	.text._ZN7rocprim17ROCPRIM_400000_NS6detail17trampoline_kernelINS0_13kernel_configILj256ELj4ELj4294967295EEENS1_37radix_sort_block_sort_config_selectorIssEEZNS1_21radix_sort_block_sortIS4_Lb0EN6thrust23THRUST_200600_302600_NS6detail15normal_iteratorINS9_10device_ptrIsEEEESE_SE_SE_NS0_19identity_decomposerEEE10hipError_tT1_T2_T3_T4_jRjT5_jjP12ihipStream_tbEUlT_E_NS1_11comp_targetILNS1_3genE9ELNS1_11target_archE1100ELNS1_3gpuE3ELNS1_3repE0EEENS1_44radix_sort_block_sort_config_static_selectorELNS0_4arch9wavefront6targetE1EEEvSH_,"axG",@progbits,_ZN7rocprim17ROCPRIM_400000_NS6detail17trampoline_kernelINS0_13kernel_configILj256ELj4ELj4294967295EEENS1_37radix_sort_block_sort_config_selectorIssEEZNS1_21radix_sort_block_sortIS4_Lb0EN6thrust23THRUST_200600_302600_NS6detail15normal_iteratorINS9_10device_ptrIsEEEESE_SE_SE_NS0_19identity_decomposerEEE10hipError_tT1_T2_T3_T4_jRjT5_jjP12ihipStream_tbEUlT_E_NS1_11comp_targetILNS1_3genE9ELNS1_11target_archE1100ELNS1_3gpuE3ELNS1_3repE0EEENS1_44radix_sort_block_sort_config_static_selectorELNS0_4arch9wavefront6targetE1EEEvSH_,comdat
.Lfunc_end1499:
	.size	_ZN7rocprim17ROCPRIM_400000_NS6detail17trampoline_kernelINS0_13kernel_configILj256ELj4ELj4294967295EEENS1_37radix_sort_block_sort_config_selectorIssEEZNS1_21radix_sort_block_sortIS4_Lb0EN6thrust23THRUST_200600_302600_NS6detail15normal_iteratorINS9_10device_ptrIsEEEESE_SE_SE_NS0_19identity_decomposerEEE10hipError_tT1_T2_T3_T4_jRjT5_jjP12ihipStream_tbEUlT_E_NS1_11comp_targetILNS1_3genE9ELNS1_11target_archE1100ELNS1_3gpuE3ELNS1_3repE0EEENS1_44radix_sort_block_sort_config_static_selectorELNS0_4arch9wavefront6targetE1EEEvSH_, .Lfunc_end1499-_ZN7rocprim17ROCPRIM_400000_NS6detail17trampoline_kernelINS0_13kernel_configILj256ELj4ELj4294967295EEENS1_37radix_sort_block_sort_config_selectorIssEEZNS1_21radix_sort_block_sortIS4_Lb0EN6thrust23THRUST_200600_302600_NS6detail15normal_iteratorINS9_10device_ptrIsEEEESE_SE_SE_NS0_19identity_decomposerEEE10hipError_tT1_T2_T3_T4_jRjT5_jjP12ihipStream_tbEUlT_E_NS1_11comp_targetILNS1_3genE9ELNS1_11target_archE1100ELNS1_3gpuE3ELNS1_3repE0EEENS1_44radix_sort_block_sort_config_static_selectorELNS0_4arch9wavefront6targetE1EEEvSH_
                                        ; -- End function
	.set _ZN7rocprim17ROCPRIM_400000_NS6detail17trampoline_kernelINS0_13kernel_configILj256ELj4ELj4294967295EEENS1_37radix_sort_block_sort_config_selectorIssEEZNS1_21radix_sort_block_sortIS4_Lb0EN6thrust23THRUST_200600_302600_NS6detail15normal_iteratorINS9_10device_ptrIsEEEESE_SE_SE_NS0_19identity_decomposerEEE10hipError_tT1_T2_T3_T4_jRjT5_jjP12ihipStream_tbEUlT_E_NS1_11comp_targetILNS1_3genE9ELNS1_11target_archE1100ELNS1_3gpuE3ELNS1_3repE0EEENS1_44radix_sort_block_sort_config_static_selectorELNS0_4arch9wavefront6targetE1EEEvSH_.num_vgpr, 0
	.set _ZN7rocprim17ROCPRIM_400000_NS6detail17trampoline_kernelINS0_13kernel_configILj256ELj4ELj4294967295EEENS1_37radix_sort_block_sort_config_selectorIssEEZNS1_21radix_sort_block_sortIS4_Lb0EN6thrust23THRUST_200600_302600_NS6detail15normal_iteratorINS9_10device_ptrIsEEEESE_SE_SE_NS0_19identity_decomposerEEE10hipError_tT1_T2_T3_T4_jRjT5_jjP12ihipStream_tbEUlT_E_NS1_11comp_targetILNS1_3genE9ELNS1_11target_archE1100ELNS1_3gpuE3ELNS1_3repE0EEENS1_44radix_sort_block_sort_config_static_selectorELNS0_4arch9wavefront6targetE1EEEvSH_.num_agpr, 0
	.set _ZN7rocprim17ROCPRIM_400000_NS6detail17trampoline_kernelINS0_13kernel_configILj256ELj4ELj4294967295EEENS1_37radix_sort_block_sort_config_selectorIssEEZNS1_21radix_sort_block_sortIS4_Lb0EN6thrust23THRUST_200600_302600_NS6detail15normal_iteratorINS9_10device_ptrIsEEEESE_SE_SE_NS0_19identity_decomposerEEE10hipError_tT1_T2_T3_T4_jRjT5_jjP12ihipStream_tbEUlT_E_NS1_11comp_targetILNS1_3genE9ELNS1_11target_archE1100ELNS1_3gpuE3ELNS1_3repE0EEENS1_44radix_sort_block_sort_config_static_selectorELNS0_4arch9wavefront6targetE1EEEvSH_.numbered_sgpr, 0
	.set _ZN7rocprim17ROCPRIM_400000_NS6detail17trampoline_kernelINS0_13kernel_configILj256ELj4ELj4294967295EEENS1_37radix_sort_block_sort_config_selectorIssEEZNS1_21radix_sort_block_sortIS4_Lb0EN6thrust23THRUST_200600_302600_NS6detail15normal_iteratorINS9_10device_ptrIsEEEESE_SE_SE_NS0_19identity_decomposerEEE10hipError_tT1_T2_T3_T4_jRjT5_jjP12ihipStream_tbEUlT_E_NS1_11comp_targetILNS1_3genE9ELNS1_11target_archE1100ELNS1_3gpuE3ELNS1_3repE0EEENS1_44radix_sort_block_sort_config_static_selectorELNS0_4arch9wavefront6targetE1EEEvSH_.num_named_barrier, 0
	.set _ZN7rocprim17ROCPRIM_400000_NS6detail17trampoline_kernelINS0_13kernel_configILj256ELj4ELj4294967295EEENS1_37radix_sort_block_sort_config_selectorIssEEZNS1_21radix_sort_block_sortIS4_Lb0EN6thrust23THRUST_200600_302600_NS6detail15normal_iteratorINS9_10device_ptrIsEEEESE_SE_SE_NS0_19identity_decomposerEEE10hipError_tT1_T2_T3_T4_jRjT5_jjP12ihipStream_tbEUlT_E_NS1_11comp_targetILNS1_3genE9ELNS1_11target_archE1100ELNS1_3gpuE3ELNS1_3repE0EEENS1_44radix_sort_block_sort_config_static_selectorELNS0_4arch9wavefront6targetE1EEEvSH_.private_seg_size, 0
	.set _ZN7rocprim17ROCPRIM_400000_NS6detail17trampoline_kernelINS0_13kernel_configILj256ELj4ELj4294967295EEENS1_37radix_sort_block_sort_config_selectorIssEEZNS1_21radix_sort_block_sortIS4_Lb0EN6thrust23THRUST_200600_302600_NS6detail15normal_iteratorINS9_10device_ptrIsEEEESE_SE_SE_NS0_19identity_decomposerEEE10hipError_tT1_T2_T3_T4_jRjT5_jjP12ihipStream_tbEUlT_E_NS1_11comp_targetILNS1_3genE9ELNS1_11target_archE1100ELNS1_3gpuE3ELNS1_3repE0EEENS1_44radix_sort_block_sort_config_static_selectorELNS0_4arch9wavefront6targetE1EEEvSH_.uses_vcc, 0
	.set _ZN7rocprim17ROCPRIM_400000_NS6detail17trampoline_kernelINS0_13kernel_configILj256ELj4ELj4294967295EEENS1_37radix_sort_block_sort_config_selectorIssEEZNS1_21radix_sort_block_sortIS4_Lb0EN6thrust23THRUST_200600_302600_NS6detail15normal_iteratorINS9_10device_ptrIsEEEESE_SE_SE_NS0_19identity_decomposerEEE10hipError_tT1_T2_T3_T4_jRjT5_jjP12ihipStream_tbEUlT_E_NS1_11comp_targetILNS1_3genE9ELNS1_11target_archE1100ELNS1_3gpuE3ELNS1_3repE0EEENS1_44radix_sort_block_sort_config_static_selectorELNS0_4arch9wavefront6targetE1EEEvSH_.uses_flat_scratch, 0
	.set _ZN7rocprim17ROCPRIM_400000_NS6detail17trampoline_kernelINS0_13kernel_configILj256ELj4ELj4294967295EEENS1_37radix_sort_block_sort_config_selectorIssEEZNS1_21radix_sort_block_sortIS4_Lb0EN6thrust23THRUST_200600_302600_NS6detail15normal_iteratorINS9_10device_ptrIsEEEESE_SE_SE_NS0_19identity_decomposerEEE10hipError_tT1_T2_T3_T4_jRjT5_jjP12ihipStream_tbEUlT_E_NS1_11comp_targetILNS1_3genE9ELNS1_11target_archE1100ELNS1_3gpuE3ELNS1_3repE0EEENS1_44radix_sort_block_sort_config_static_selectorELNS0_4arch9wavefront6targetE1EEEvSH_.has_dyn_sized_stack, 0
	.set _ZN7rocprim17ROCPRIM_400000_NS6detail17trampoline_kernelINS0_13kernel_configILj256ELj4ELj4294967295EEENS1_37radix_sort_block_sort_config_selectorIssEEZNS1_21radix_sort_block_sortIS4_Lb0EN6thrust23THRUST_200600_302600_NS6detail15normal_iteratorINS9_10device_ptrIsEEEESE_SE_SE_NS0_19identity_decomposerEEE10hipError_tT1_T2_T3_T4_jRjT5_jjP12ihipStream_tbEUlT_E_NS1_11comp_targetILNS1_3genE9ELNS1_11target_archE1100ELNS1_3gpuE3ELNS1_3repE0EEENS1_44radix_sort_block_sort_config_static_selectorELNS0_4arch9wavefront6targetE1EEEvSH_.has_recursion, 0
	.set _ZN7rocprim17ROCPRIM_400000_NS6detail17trampoline_kernelINS0_13kernel_configILj256ELj4ELj4294967295EEENS1_37radix_sort_block_sort_config_selectorIssEEZNS1_21radix_sort_block_sortIS4_Lb0EN6thrust23THRUST_200600_302600_NS6detail15normal_iteratorINS9_10device_ptrIsEEEESE_SE_SE_NS0_19identity_decomposerEEE10hipError_tT1_T2_T3_T4_jRjT5_jjP12ihipStream_tbEUlT_E_NS1_11comp_targetILNS1_3genE9ELNS1_11target_archE1100ELNS1_3gpuE3ELNS1_3repE0EEENS1_44radix_sort_block_sort_config_static_selectorELNS0_4arch9wavefront6targetE1EEEvSH_.has_indirect_call, 0
	.section	.AMDGPU.csdata,"",@progbits
; Kernel info:
; codeLenInByte = 0
; TotalNumSgprs: 6
; NumVgprs: 0
; NumAgprs: 0
; TotalNumVgprs: 0
; ScratchSize: 0
; MemoryBound: 0
; FloatMode: 240
; IeeeMode: 1
; LDSByteSize: 0 bytes/workgroup (compile time only)
; SGPRBlocks: 0
; VGPRBlocks: 0
; NumSGPRsForWavesPerEU: 6
; NumVGPRsForWavesPerEU: 1
; AccumOffset: 4
; Occupancy: 8
; WaveLimiterHint : 0
; COMPUTE_PGM_RSRC2:SCRATCH_EN: 0
; COMPUTE_PGM_RSRC2:USER_SGPR: 2
; COMPUTE_PGM_RSRC2:TRAP_HANDLER: 0
; COMPUTE_PGM_RSRC2:TGID_X_EN: 1
; COMPUTE_PGM_RSRC2:TGID_Y_EN: 0
; COMPUTE_PGM_RSRC2:TGID_Z_EN: 0
; COMPUTE_PGM_RSRC2:TIDIG_COMP_CNT: 0
; COMPUTE_PGM_RSRC3_GFX90A:ACCUM_OFFSET: 0
; COMPUTE_PGM_RSRC3_GFX90A:TG_SPLIT: 0
	.section	.text._ZN7rocprim17ROCPRIM_400000_NS6detail17trampoline_kernelINS0_13kernel_configILj256ELj4ELj4294967295EEENS1_37radix_sort_block_sort_config_selectorIssEEZNS1_21radix_sort_block_sortIS4_Lb0EN6thrust23THRUST_200600_302600_NS6detail15normal_iteratorINS9_10device_ptrIsEEEESE_SE_SE_NS0_19identity_decomposerEEE10hipError_tT1_T2_T3_T4_jRjT5_jjP12ihipStream_tbEUlT_E_NS1_11comp_targetILNS1_3genE8ELNS1_11target_archE1030ELNS1_3gpuE2ELNS1_3repE0EEENS1_44radix_sort_block_sort_config_static_selectorELNS0_4arch9wavefront6targetE1EEEvSH_,"axG",@progbits,_ZN7rocprim17ROCPRIM_400000_NS6detail17trampoline_kernelINS0_13kernel_configILj256ELj4ELj4294967295EEENS1_37radix_sort_block_sort_config_selectorIssEEZNS1_21radix_sort_block_sortIS4_Lb0EN6thrust23THRUST_200600_302600_NS6detail15normal_iteratorINS9_10device_ptrIsEEEESE_SE_SE_NS0_19identity_decomposerEEE10hipError_tT1_T2_T3_T4_jRjT5_jjP12ihipStream_tbEUlT_E_NS1_11comp_targetILNS1_3genE8ELNS1_11target_archE1030ELNS1_3gpuE2ELNS1_3repE0EEENS1_44radix_sort_block_sort_config_static_selectorELNS0_4arch9wavefront6targetE1EEEvSH_,comdat
	.protected	_ZN7rocprim17ROCPRIM_400000_NS6detail17trampoline_kernelINS0_13kernel_configILj256ELj4ELj4294967295EEENS1_37radix_sort_block_sort_config_selectorIssEEZNS1_21radix_sort_block_sortIS4_Lb0EN6thrust23THRUST_200600_302600_NS6detail15normal_iteratorINS9_10device_ptrIsEEEESE_SE_SE_NS0_19identity_decomposerEEE10hipError_tT1_T2_T3_T4_jRjT5_jjP12ihipStream_tbEUlT_E_NS1_11comp_targetILNS1_3genE8ELNS1_11target_archE1030ELNS1_3gpuE2ELNS1_3repE0EEENS1_44radix_sort_block_sort_config_static_selectorELNS0_4arch9wavefront6targetE1EEEvSH_ ; -- Begin function _ZN7rocprim17ROCPRIM_400000_NS6detail17trampoline_kernelINS0_13kernel_configILj256ELj4ELj4294967295EEENS1_37radix_sort_block_sort_config_selectorIssEEZNS1_21radix_sort_block_sortIS4_Lb0EN6thrust23THRUST_200600_302600_NS6detail15normal_iteratorINS9_10device_ptrIsEEEESE_SE_SE_NS0_19identity_decomposerEEE10hipError_tT1_T2_T3_T4_jRjT5_jjP12ihipStream_tbEUlT_E_NS1_11comp_targetILNS1_3genE8ELNS1_11target_archE1030ELNS1_3gpuE2ELNS1_3repE0EEENS1_44radix_sort_block_sort_config_static_selectorELNS0_4arch9wavefront6targetE1EEEvSH_
	.globl	_ZN7rocprim17ROCPRIM_400000_NS6detail17trampoline_kernelINS0_13kernel_configILj256ELj4ELj4294967295EEENS1_37radix_sort_block_sort_config_selectorIssEEZNS1_21radix_sort_block_sortIS4_Lb0EN6thrust23THRUST_200600_302600_NS6detail15normal_iteratorINS9_10device_ptrIsEEEESE_SE_SE_NS0_19identity_decomposerEEE10hipError_tT1_T2_T3_T4_jRjT5_jjP12ihipStream_tbEUlT_E_NS1_11comp_targetILNS1_3genE8ELNS1_11target_archE1030ELNS1_3gpuE2ELNS1_3repE0EEENS1_44radix_sort_block_sort_config_static_selectorELNS0_4arch9wavefront6targetE1EEEvSH_
	.p2align	8
	.type	_ZN7rocprim17ROCPRIM_400000_NS6detail17trampoline_kernelINS0_13kernel_configILj256ELj4ELj4294967295EEENS1_37radix_sort_block_sort_config_selectorIssEEZNS1_21radix_sort_block_sortIS4_Lb0EN6thrust23THRUST_200600_302600_NS6detail15normal_iteratorINS9_10device_ptrIsEEEESE_SE_SE_NS0_19identity_decomposerEEE10hipError_tT1_T2_T3_T4_jRjT5_jjP12ihipStream_tbEUlT_E_NS1_11comp_targetILNS1_3genE8ELNS1_11target_archE1030ELNS1_3gpuE2ELNS1_3repE0EEENS1_44radix_sort_block_sort_config_static_selectorELNS0_4arch9wavefront6targetE1EEEvSH_,@function
_ZN7rocprim17ROCPRIM_400000_NS6detail17trampoline_kernelINS0_13kernel_configILj256ELj4ELj4294967295EEENS1_37radix_sort_block_sort_config_selectorIssEEZNS1_21radix_sort_block_sortIS4_Lb0EN6thrust23THRUST_200600_302600_NS6detail15normal_iteratorINS9_10device_ptrIsEEEESE_SE_SE_NS0_19identity_decomposerEEE10hipError_tT1_T2_T3_T4_jRjT5_jjP12ihipStream_tbEUlT_E_NS1_11comp_targetILNS1_3genE8ELNS1_11target_archE1030ELNS1_3gpuE2ELNS1_3repE0EEENS1_44radix_sort_block_sort_config_static_selectorELNS0_4arch9wavefront6targetE1EEEvSH_: ; @_ZN7rocprim17ROCPRIM_400000_NS6detail17trampoline_kernelINS0_13kernel_configILj256ELj4ELj4294967295EEENS1_37radix_sort_block_sort_config_selectorIssEEZNS1_21radix_sort_block_sortIS4_Lb0EN6thrust23THRUST_200600_302600_NS6detail15normal_iteratorINS9_10device_ptrIsEEEESE_SE_SE_NS0_19identity_decomposerEEE10hipError_tT1_T2_T3_T4_jRjT5_jjP12ihipStream_tbEUlT_E_NS1_11comp_targetILNS1_3genE8ELNS1_11target_archE1030ELNS1_3gpuE2ELNS1_3repE0EEENS1_44radix_sort_block_sort_config_static_selectorELNS0_4arch9wavefront6targetE1EEEvSH_
; %bb.0:
	.section	.rodata,"a",@progbits
	.p2align	6, 0x0
	.amdhsa_kernel _ZN7rocprim17ROCPRIM_400000_NS6detail17trampoline_kernelINS0_13kernel_configILj256ELj4ELj4294967295EEENS1_37radix_sort_block_sort_config_selectorIssEEZNS1_21radix_sort_block_sortIS4_Lb0EN6thrust23THRUST_200600_302600_NS6detail15normal_iteratorINS9_10device_ptrIsEEEESE_SE_SE_NS0_19identity_decomposerEEE10hipError_tT1_T2_T3_T4_jRjT5_jjP12ihipStream_tbEUlT_E_NS1_11comp_targetILNS1_3genE8ELNS1_11target_archE1030ELNS1_3gpuE2ELNS1_3repE0EEENS1_44radix_sort_block_sort_config_static_selectorELNS0_4arch9wavefront6targetE1EEEvSH_
		.amdhsa_group_segment_fixed_size 0
		.amdhsa_private_segment_fixed_size 0
		.amdhsa_kernarg_size 48
		.amdhsa_user_sgpr_count 2
		.amdhsa_user_sgpr_dispatch_ptr 0
		.amdhsa_user_sgpr_queue_ptr 0
		.amdhsa_user_sgpr_kernarg_segment_ptr 1
		.amdhsa_user_sgpr_dispatch_id 0
		.amdhsa_user_sgpr_kernarg_preload_length 0
		.amdhsa_user_sgpr_kernarg_preload_offset 0
		.amdhsa_user_sgpr_private_segment_size 0
		.amdhsa_uses_dynamic_stack 0
		.amdhsa_enable_private_segment 0
		.amdhsa_system_sgpr_workgroup_id_x 1
		.amdhsa_system_sgpr_workgroup_id_y 0
		.amdhsa_system_sgpr_workgroup_id_z 0
		.amdhsa_system_sgpr_workgroup_info 0
		.amdhsa_system_vgpr_workitem_id 0
		.amdhsa_next_free_vgpr 1
		.amdhsa_next_free_sgpr 0
		.amdhsa_accum_offset 4
		.amdhsa_reserve_vcc 0
		.amdhsa_float_round_mode_32 0
		.amdhsa_float_round_mode_16_64 0
		.amdhsa_float_denorm_mode_32 3
		.amdhsa_float_denorm_mode_16_64 3
		.amdhsa_dx10_clamp 1
		.amdhsa_ieee_mode 1
		.amdhsa_fp16_overflow 0
		.amdhsa_tg_split 0
		.amdhsa_exception_fp_ieee_invalid_op 0
		.amdhsa_exception_fp_denorm_src 0
		.amdhsa_exception_fp_ieee_div_zero 0
		.amdhsa_exception_fp_ieee_overflow 0
		.amdhsa_exception_fp_ieee_underflow 0
		.amdhsa_exception_fp_ieee_inexact 0
		.amdhsa_exception_int_div_zero 0
	.end_amdhsa_kernel
	.section	.text._ZN7rocprim17ROCPRIM_400000_NS6detail17trampoline_kernelINS0_13kernel_configILj256ELj4ELj4294967295EEENS1_37radix_sort_block_sort_config_selectorIssEEZNS1_21radix_sort_block_sortIS4_Lb0EN6thrust23THRUST_200600_302600_NS6detail15normal_iteratorINS9_10device_ptrIsEEEESE_SE_SE_NS0_19identity_decomposerEEE10hipError_tT1_T2_T3_T4_jRjT5_jjP12ihipStream_tbEUlT_E_NS1_11comp_targetILNS1_3genE8ELNS1_11target_archE1030ELNS1_3gpuE2ELNS1_3repE0EEENS1_44radix_sort_block_sort_config_static_selectorELNS0_4arch9wavefront6targetE1EEEvSH_,"axG",@progbits,_ZN7rocprim17ROCPRIM_400000_NS6detail17trampoline_kernelINS0_13kernel_configILj256ELj4ELj4294967295EEENS1_37radix_sort_block_sort_config_selectorIssEEZNS1_21radix_sort_block_sortIS4_Lb0EN6thrust23THRUST_200600_302600_NS6detail15normal_iteratorINS9_10device_ptrIsEEEESE_SE_SE_NS0_19identity_decomposerEEE10hipError_tT1_T2_T3_T4_jRjT5_jjP12ihipStream_tbEUlT_E_NS1_11comp_targetILNS1_3genE8ELNS1_11target_archE1030ELNS1_3gpuE2ELNS1_3repE0EEENS1_44radix_sort_block_sort_config_static_selectorELNS0_4arch9wavefront6targetE1EEEvSH_,comdat
.Lfunc_end1500:
	.size	_ZN7rocprim17ROCPRIM_400000_NS6detail17trampoline_kernelINS0_13kernel_configILj256ELj4ELj4294967295EEENS1_37radix_sort_block_sort_config_selectorIssEEZNS1_21radix_sort_block_sortIS4_Lb0EN6thrust23THRUST_200600_302600_NS6detail15normal_iteratorINS9_10device_ptrIsEEEESE_SE_SE_NS0_19identity_decomposerEEE10hipError_tT1_T2_T3_T4_jRjT5_jjP12ihipStream_tbEUlT_E_NS1_11comp_targetILNS1_3genE8ELNS1_11target_archE1030ELNS1_3gpuE2ELNS1_3repE0EEENS1_44radix_sort_block_sort_config_static_selectorELNS0_4arch9wavefront6targetE1EEEvSH_, .Lfunc_end1500-_ZN7rocprim17ROCPRIM_400000_NS6detail17trampoline_kernelINS0_13kernel_configILj256ELj4ELj4294967295EEENS1_37radix_sort_block_sort_config_selectorIssEEZNS1_21radix_sort_block_sortIS4_Lb0EN6thrust23THRUST_200600_302600_NS6detail15normal_iteratorINS9_10device_ptrIsEEEESE_SE_SE_NS0_19identity_decomposerEEE10hipError_tT1_T2_T3_T4_jRjT5_jjP12ihipStream_tbEUlT_E_NS1_11comp_targetILNS1_3genE8ELNS1_11target_archE1030ELNS1_3gpuE2ELNS1_3repE0EEENS1_44radix_sort_block_sort_config_static_selectorELNS0_4arch9wavefront6targetE1EEEvSH_
                                        ; -- End function
	.set _ZN7rocprim17ROCPRIM_400000_NS6detail17trampoline_kernelINS0_13kernel_configILj256ELj4ELj4294967295EEENS1_37radix_sort_block_sort_config_selectorIssEEZNS1_21radix_sort_block_sortIS4_Lb0EN6thrust23THRUST_200600_302600_NS6detail15normal_iteratorINS9_10device_ptrIsEEEESE_SE_SE_NS0_19identity_decomposerEEE10hipError_tT1_T2_T3_T4_jRjT5_jjP12ihipStream_tbEUlT_E_NS1_11comp_targetILNS1_3genE8ELNS1_11target_archE1030ELNS1_3gpuE2ELNS1_3repE0EEENS1_44radix_sort_block_sort_config_static_selectorELNS0_4arch9wavefront6targetE1EEEvSH_.num_vgpr, 0
	.set _ZN7rocprim17ROCPRIM_400000_NS6detail17trampoline_kernelINS0_13kernel_configILj256ELj4ELj4294967295EEENS1_37radix_sort_block_sort_config_selectorIssEEZNS1_21radix_sort_block_sortIS4_Lb0EN6thrust23THRUST_200600_302600_NS6detail15normal_iteratorINS9_10device_ptrIsEEEESE_SE_SE_NS0_19identity_decomposerEEE10hipError_tT1_T2_T3_T4_jRjT5_jjP12ihipStream_tbEUlT_E_NS1_11comp_targetILNS1_3genE8ELNS1_11target_archE1030ELNS1_3gpuE2ELNS1_3repE0EEENS1_44radix_sort_block_sort_config_static_selectorELNS0_4arch9wavefront6targetE1EEEvSH_.num_agpr, 0
	.set _ZN7rocprim17ROCPRIM_400000_NS6detail17trampoline_kernelINS0_13kernel_configILj256ELj4ELj4294967295EEENS1_37radix_sort_block_sort_config_selectorIssEEZNS1_21radix_sort_block_sortIS4_Lb0EN6thrust23THRUST_200600_302600_NS6detail15normal_iteratorINS9_10device_ptrIsEEEESE_SE_SE_NS0_19identity_decomposerEEE10hipError_tT1_T2_T3_T4_jRjT5_jjP12ihipStream_tbEUlT_E_NS1_11comp_targetILNS1_3genE8ELNS1_11target_archE1030ELNS1_3gpuE2ELNS1_3repE0EEENS1_44radix_sort_block_sort_config_static_selectorELNS0_4arch9wavefront6targetE1EEEvSH_.numbered_sgpr, 0
	.set _ZN7rocprim17ROCPRIM_400000_NS6detail17trampoline_kernelINS0_13kernel_configILj256ELj4ELj4294967295EEENS1_37radix_sort_block_sort_config_selectorIssEEZNS1_21radix_sort_block_sortIS4_Lb0EN6thrust23THRUST_200600_302600_NS6detail15normal_iteratorINS9_10device_ptrIsEEEESE_SE_SE_NS0_19identity_decomposerEEE10hipError_tT1_T2_T3_T4_jRjT5_jjP12ihipStream_tbEUlT_E_NS1_11comp_targetILNS1_3genE8ELNS1_11target_archE1030ELNS1_3gpuE2ELNS1_3repE0EEENS1_44radix_sort_block_sort_config_static_selectorELNS0_4arch9wavefront6targetE1EEEvSH_.num_named_barrier, 0
	.set _ZN7rocprim17ROCPRIM_400000_NS6detail17trampoline_kernelINS0_13kernel_configILj256ELj4ELj4294967295EEENS1_37radix_sort_block_sort_config_selectorIssEEZNS1_21radix_sort_block_sortIS4_Lb0EN6thrust23THRUST_200600_302600_NS6detail15normal_iteratorINS9_10device_ptrIsEEEESE_SE_SE_NS0_19identity_decomposerEEE10hipError_tT1_T2_T3_T4_jRjT5_jjP12ihipStream_tbEUlT_E_NS1_11comp_targetILNS1_3genE8ELNS1_11target_archE1030ELNS1_3gpuE2ELNS1_3repE0EEENS1_44radix_sort_block_sort_config_static_selectorELNS0_4arch9wavefront6targetE1EEEvSH_.private_seg_size, 0
	.set _ZN7rocprim17ROCPRIM_400000_NS6detail17trampoline_kernelINS0_13kernel_configILj256ELj4ELj4294967295EEENS1_37radix_sort_block_sort_config_selectorIssEEZNS1_21radix_sort_block_sortIS4_Lb0EN6thrust23THRUST_200600_302600_NS6detail15normal_iteratorINS9_10device_ptrIsEEEESE_SE_SE_NS0_19identity_decomposerEEE10hipError_tT1_T2_T3_T4_jRjT5_jjP12ihipStream_tbEUlT_E_NS1_11comp_targetILNS1_3genE8ELNS1_11target_archE1030ELNS1_3gpuE2ELNS1_3repE0EEENS1_44radix_sort_block_sort_config_static_selectorELNS0_4arch9wavefront6targetE1EEEvSH_.uses_vcc, 0
	.set _ZN7rocprim17ROCPRIM_400000_NS6detail17trampoline_kernelINS0_13kernel_configILj256ELj4ELj4294967295EEENS1_37radix_sort_block_sort_config_selectorIssEEZNS1_21radix_sort_block_sortIS4_Lb0EN6thrust23THRUST_200600_302600_NS6detail15normal_iteratorINS9_10device_ptrIsEEEESE_SE_SE_NS0_19identity_decomposerEEE10hipError_tT1_T2_T3_T4_jRjT5_jjP12ihipStream_tbEUlT_E_NS1_11comp_targetILNS1_3genE8ELNS1_11target_archE1030ELNS1_3gpuE2ELNS1_3repE0EEENS1_44radix_sort_block_sort_config_static_selectorELNS0_4arch9wavefront6targetE1EEEvSH_.uses_flat_scratch, 0
	.set _ZN7rocprim17ROCPRIM_400000_NS6detail17trampoline_kernelINS0_13kernel_configILj256ELj4ELj4294967295EEENS1_37radix_sort_block_sort_config_selectorIssEEZNS1_21radix_sort_block_sortIS4_Lb0EN6thrust23THRUST_200600_302600_NS6detail15normal_iteratorINS9_10device_ptrIsEEEESE_SE_SE_NS0_19identity_decomposerEEE10hipError_tT1_T2_T3_T4_jRjT5_jjP12ihipStream_tbEUlT_E_NS1_11comp_targetILNS1_3genE8ELNS1_11target_archE1030ELNS1_3gpuE2ELNS1_3repE0EEENS1_44radix_sort_block_sort_config_static_selectorELNS0_4arch9wavefront6targetE1EEEvSH_.has_dyn_sized_stack, 0
	.set _ZN7rocprim17ROCPRIM_400000_NS6detail17trampoline_kernelINS0_13kernel_configILj256ELj4ELj4294967295EEENS1_37radix_sort_block_sort_config_selectorIssEEZNS1_21radix_sort_block_sortIS4_Lb0EN6thrust23THRUST_200600_302600_NS6detail15normal_iteratorINS9_10device_ptrIsEEEESE_SE_SE_NS0_19identity_decomposerEEE10hipError_tT1_T2_T3_T4_jRjT5_jjP12ihipStream_tbEUlT_E_NS1_11comp_targetILNS1_3genE8ELNS1_11target_archE1030ELNS1_3gpuE2ELNS1_3repE0EEENS1_44radix_sort_block_sort_config_static_selectorELNS0_4arch9wavefront6targetE1EEEvSH_.has_recursion, 0
	.set _ZN7rocprim17ROCPRIM_400000_NS6detail17trampoline_kernelINS0_13kernel_configILj256ELj4ELj4294967295EEENS1_37radix_sort_block_sort_config_selectorIssEEZNS1_21radix_sort_block_sortIS4_Lb0EN6thrust23THRUST_200600_302600_NS6detail15normal_iteratorINS9_10device_ptrIsEEEESE_SE_SE_NS0_19identity_decomposerEEE10hipError_tT1_T2_T3_T4_jRjT5_jjP12ihipStream_tbEUlT_E_NS1_11comp_targetILNS1_3genE8ELNS1_11target_archE1030ELNS1_3gpuE2ELNS1_3repE0EEENS1_44radix_sort_block_sort_config_static_selectorELNS0_4arch9wavefront6targetE1EEEvSH_.has_indirect_call, 0
	.section	.AMDGPU.csdata,"",@progbits
; Kernel info:
; codeLenInByte = 0
; TotalNumSgprs: 6
; NumVgprs: 0
; NumAgprs: 0
; TotalNumVgprs: 0
; ScratchSize: 0
; MemoryBound: 0
; FloatMode: 240
; IeeeMode: 1
; LDSByteSize: 0 bytes/workgroup (compile time only)
; SGPRBlocks: 0
; VGPRBlocks: 0
; NumSGPRsForWavesPerEU: 6
; NumVGPRsForWavesPerEU: 1
; AccumOffset: 4
; Occupancy: 8
; WaveLimiterHint : 0
; COMPUTE_PGM_RSRC2:SCRATCH_EN: 0
; COMPUTE_PGM_RSRC2:USER_SGPR: 2
; COMPUTE_PGM_RSRC2:TRAP_HANDLER: 0
; COMPUTE_PGM_RSRC2:TGID_X_EN: 1
; COMPUTE_PGM_RSRC2:TGID_Y_EN: 0
; COMPUTE_PGM_RSRC2:TGID_Z_EN: 0
; COMPUTE_PGM_RSRC2:TIDIG_COMP_CNT: 0
; COMPUTE_PGM_RSRC3_GFX90A:ACCUM_OFFSET: 0
; COMPUTE_PGM_RSRC3_GFX90A:TG_SPLIT: 0
	.section	.text._ZN7rocprim17ROCPRIM_400000_NS6detail44device_merge_sort_compile_time_verifier_archINS1_11comp_targetILNS1_3genE0ELNS1_11target_archE4294967295ELNS1_3gpuE0ELNS1_3repE0EEES8_NS1_28merge_sort_block_sort_configILj256ELj4ELNS0_20block_sort_algorithmE0EEENS0_14default_configENS1_37merge_sort_block_sort_config_selectorIssEENS1_38merge_sort_block_merge_config_selectorIssEEEEvv,"axG",@progbits,_ZN7rocprim17ROCPRIM_400000_NS6detail44device_merge_sort_compile_time_verifier_archINS1_11comp_targetILNS1_3genE0ELNS1_11target_archE4294967295ELNS1_3gpuE0ELNS1_3repE0EEES8_NS1_28merge_sort_block_sort_configILj256ELj4ELNS0_20block_sort_algorithmE0EEENS0_14default_configENS1_37merge_sort_block_sort_config_selectorIssEENS1_38merge_sort_block_merge_config_selectorIssEEEEvv,comdat
	.protected	_ZN7rocprim17ROCPRIM_400000_NS6detail44device_merge_sort_compile_time_verifier_archINS1_11comp_targetILNS1_3genE0ELNS1_11target_archE4294967295ELNS1_3gpuE0ELNS1_3repE0EEES8_NS1_28merge_sort_block_sort_configILj256ELj4ELNS0_20block_sort_algorithmE0EEENS0_14default_configENS1_37merge_sort_block_sort_config_selectorIssEENS1_38merge_sort_block_merge_config_selectorIssEEEEvv ; -- Begin function _ZN7rocprim17ROCPRIM_400000_NS6detail44device_merge_sort_compile_time_verifier_archINS1_11comp_targetILNS1_3genE0ELNS1_11target_archE4294967295ELNS1_3gpuE0ELNS1_3repE0EEES8_NS1_28merge_sort_block_sort_configILj256ELj4ELNS0_20block_sort_algorithmE0EEENS0_14default_configENS1_37merge_sort_block_sort_config_selectorIssEENS1_38merge_sort_block_merge_config_selectorIssEEEEvv
	.globl	_ZN7rocprim17ROCPRIM_400000_NS6detail44device_merge_sort_compile_time_verifier_archINS1_11comp_targetILNS1_3genE0ELNS1_11target_archE4294967295ELNS1_3gpuE0ELNS1_3repE0EEES8_NS1_28merge_sort_block_sort_configILj256ELj4ELNS0_20block_sort_algorithmE0EEENS0_14default_configENS1_37merge_sort_block_sort_config_selectorIssEENS1_38merge_sort_block_merge_config_selectorIssEEEEvv
	.p2align	8
	.type	_ZN7rocprim17ROCPRIM_400000_NS6detail44device_merge_sort_compile_time_verifier_archINS1_11comp_targetILNS1_3genE0ELNS1_11target_archE4294967295ELNS1_3gpuE0ELNS1_3repE0EEES8_NS1_28merge_sort_block_sort_configILj256ELj4ELNS0_20block_sort_algorithmE0EEENS0_14default_configENS1_37merge_sort_block_sort_config_selectorIssEENS1_38merge_sort_block_merge_config_selectorIssEEEEvv,@function
_ZN7rocprim17ROCPRIM_400000_NS6detail44device_merge_sort_compile_time_verifier_archINS1_11comp_targetILNS1_3genE0ELNS1_11target_archE4294967295ELNS1_3gpuE0ELNS1_3repE0EEES8_NS1_28merge_sort_block_sort_configILj256ELj4ELNS0_20block_sort_algorithmE0EEENS0_14default_configENS1_37merge_sort_block_sort_config_selectorIssEENS1_38merge_sort_block_merge_config_selectorIssEEEEvv: ; @_ZN7rocprim17ROCPRIM_400000_NS6detail44device_merge_sort_compile_time_verifier_archINS1_11comp_targetILNS1_3genE0ELNS1_11target_archE4294967295ELNS1_3gpuE0ELNS1_3repE0EEES8_NS1_28merge_sort_block_sort_configILj256ELj4ELNS0_20block_sort_algorithmE0EEENS0_14default_configENS1_37merge_sort_block_sort_config_selectorIssEENS1_38merge_sort_block_merge_config_selectorIssEEEEvv
; %bb.0:
	s_endpgm
	.section	.rodata,"a",@progbits
	.p2align	6, 0x0
	.amdhsa_kernel _ZN7rocprim17ROCPRIM_400000_NS6detail44device_merge_sort_compile_time_verifier_archINS1_11comp_targetILNS1_3genE0ELNS1_11target_archE4294967295ELNS1_3gpuE0ELNS1_3repE0EEES8_NS1_28merge_sort_block_sort_configILj256ELj4ELNS0_20block_sort_algorithmE0EEENS0_14default_configENS1_37merge_sort_block_sort_config_selectorIssEENS1_38merge_sort_block_merge_config_selectorIssEEEEvv
		.amdhsa_group_segment_fixed_size 0
		.amdhsa_private_segment_fixed_size 0
		.amdhsa_kernarg_size 0
		.amdhsa_user_sgpr_count 0
		.amdhsa_user_sgpr_dispatch_ptr 0
		.amdhsa_user_sgpr_queue_ptr 0
		.amdhsa_user_sgpr_kernarg_segment_ptr 0
		.amdhsa_user_sgpr_dispatch_id 0
		.amdhsa_user_sgpr_kernarg_preload_length 0
		.amdhsa_user_sgpr_kernarg_preload_offset 0
		.amdhsa_user_sgpr_private_segment_size 0
		.amdhsa_uses_dynamic_stack 0
		.amdhsa_enable_private_segment 0
		.amdhsa_system_sgpr_workgroup_id_x 1
		.amdhsa_system_sgpr_workgroup_id_y 0
		.amdhsa_system_sgpr_workgroup_id_z 0
		.amdhsa_system_sgpr_workgroup_info 0
		.amdhsa_system_vgpr_workitem_id 0
		.amdhsa_next_free_vgpr 1
		.amdhsa_next_free_sgpr 0
		.amdhsa_accum_offset 4
		.amdhsa_reserve_vcc 0
		.amdhsa_float_round_mode_32 0
		.amdhsa_float_round_mode_16_64 0
		.amdhsa_float_denorm_mode_32 3
		.amdhsa_float_denorm_mode_16_64 3
		.amdhsa_dx10_clamp 1
		.amdhsa_ieee_mode 1
		.amdhsa_fp16_overflow 0
		.amdhsa_tg_split 0
		.amdhsa_exception_fp_ieee_invalid_op 0
		.amdhsa_exception_fp_denorm_src 0
		.amdhsa_exception_fp_ieee_div_zero 0
		.amdhsa_exception_fp_ieee_overflow 0
		.amdhsa_exception_fp_ieee_underflow 0
		.amdhsa_exception_fp_ieee_inexact 0
		.amdhsa_exception_int_div_zero 0
	.end_amdhsa_kernel
	.section	.text._ZN7rocprim17ROCPRIM_400000_NS6detail44device_merge_sort_compile_time_verifier_archINS1_11comp_targetILNS1_3genE0ELNS1_11target_archE4294967295ELNS1_3gpuE0ELNS1_3repE0EEES8_NS1_28merge_sort_block_sort_configILj256ELj4ELNS0_20block_sort_algorithmE0EEENS0_14default_configENS1_37merge_sort_block_sort_config_selectorIssEENS1_38merge_sort_block_merge_config_selectorIssEEEEvv,"axG",@progbits,_ZN7rocprim17ROCPRIM_400000_NS6detail44device_merge_sort_compile_time_verifier_archINS1_11comp_targetILNS1_3genE0ELNS1_11target_archE4294967295ELNS1_3gpuE0ELNS1_3repE0EEES8_NS1_28merge_sort_block_sort_configILj256ELj4ELNS0_20block_sort_algorithmE0EEENS0_14default_configENS1_37merge_sort_block_sort_config_selectorIssEENS1_38merge_sort_block_merge_config_selectorIssEEEEvv,comdat
.Lfunc_end1501:
	.size	_ZN7rocprim17ROCPRIM_400000_NS6detail44device_merge_sort_compile_time_verifier_archINS1_11comp_targetILNS1_3genE0ELNS1_11target_archE4294967295ELNS1_3gpuE0ELNS1_3repE0EEES8_NS1_28merge_sort_block_sort_configILj256ELj4ELNS0_20block_sort_algorithmE0EEENS0_14default_configENS1_37merge_sort_block_sort_config_selectorIssEENS1_38merge_sort_block_merge_config_selectorIssEEEEvv, .Lfunc_end1501-_ZN7rocprim17ROCPRIM_400000_NS6detail44device_merge_sort_compile_time_verifier_archINS1_11comp_targetILNS1_3genE0ELNS1_11target_archE4294967295ELNS1_3gpuE0ELNS1_3repE0EEES8_NS1_28merge_sort_block_sort_configILj256ELj4ELNS0_20block_sort_algorithmE0EEENS0_14default_configENS1_37merge_sort_block_sort_config_selectorIssEENS1_38merge_sort_block_merge_config_selectorIssEEEEvv
                                        ; -- End function
	.set _ZN7rocprim17ROCPRIM_400000_NS6detail44device_merge_sort_compile_time_verifier_archINS1_11comp_targetILNS1_3genE0ELNS1_11target_archE4294967295ELNS1_3gpuE0ELNS1_3repE0EEES8_NS1_28merge_sort_block_sort_configILj256ELj4ELNS0_20block_sort_algorithmE0EEENS0_14default_configENS1_37merge_sort_block_sort_config_selectorIssEENS1_38merge_sort_block_merge_config_selectorIssEEEEvv.num_vgpr, 0
	.set _ZN7rocprim17ROCPRIM_400000_NS6detail44device_merge_sort_compile_time_verifier_archINS1_11comp_targetILNS1_3genE0ELNS1_11target_archE4294967295ELNS1_3gpuE0ELNS1_3repE0EEES8_NS1_28merge_sort_block_sort_configILj256ELj4ELNS0_20block_sort_algorithmE0EEENS0_14default_configENS1_37merge_sort_block_sort_config_selectorIssEENS1_38merge_sort_block_merge_config_selectorIssEEEEvv.num_agpr, 0
	.set _ZN7rocprim17ROCPRIM_400000_NS6detail44device_merge_sort_compile_time_verifier_archINS1_11comp_targetILNS1_3genE0ELNS1_11target_archE4294967295ELNS1_3gpuE0ELNS1_3repE0EEES8_NS1_28merge_sort_block_sort_configILj256ELj4ELNS0_20block_sort_algorithmE0EEENS0_14default_configENS1_37merge_sort_block_sort_config_selectorIssEENS1_38merge_sort_block_merge_config_selectorIssEEEEvv.numbered_sgpr, 0
	.set _ZN7rocprim17ROCPRIM_400000_NS6detail44device_merge_sort_compile_time_verifier_archINS1_11comp_targetILNS1_3genE0ELNS1_11target_archE4294967295ELNS1_3gpuE0ELNS1_3repE0EEES8_NS1_28merge_sort_block_sort_configILj256ELj4ELNS0_20block_sort_algorithmE0EEENS0_14default_configENS1_37merge_sort_block_sort_config_selectorIssEENS1_38merge_sort_block_merge_config_selectorIssEEEEvv.num_named_barrier, 0
	.set _ZN7rocprim17ROCPRIM_400000_NS6detail44device_merge_sort_compile_time_verifier_archINS1_11comp_targetILNS1_3genE0ELNS1_11target_archE4294967295ELNS1_3gpuE0ELNS1_3repE0EEES8_NS1_28merge_sort_block_sort_configILj256ELj4ELNS0_20block_sort_algorithmE0EEENS0_14default_configENS1_37merge_sort_block_sort_config_selectorIssEENS1_38merge_sort_block_merge_config_selectorIssEEEEvv.private_seg_size, 0
	.set _ZN7rocprim17ROCPRIM_400000_NS6detail44device_merge_sort_compile_time_verifier_archINS1_11comp_targetILNS1_3genE0ELNS1_11target_archE4294967295ELNS1_3gpuE0ELNS1_3repE0EEES8_NS1_28merge_sort_block_sort_configILj256ELj4ELNS0_20block_sort_algorithmE0EEENS0_14default_configENS1_37merge_sort_block_sort_config_selectorIssEENS1_38merge_sort_block_merge_config_selectorIssEEEEvv.uses_vcc, 0
	.set _ZN7rocprim17ROCPRIM_400000_NS6detail44device_merge_sort_compile_time_verifier_archINS1_11comp_targetILNS1_3genE0ELNS1_11target_archE4294967295ELNS1_3gpuE0ELNS1_3repE0EEES8_NS1_28merge_sort_block_sort_configILj256ELj4ELNS0_20block_sort_algorithmE0EEENS0_14default_configENS1_37merge_sort_block_sort_config_selectorIssEENS1_38merge_sort_block_merge_config_selectorIssEEEEvv.uses_flat_scratch, 0
	.set _ZN7rocprim17ROCPRIM_400000_NS6detail44device_merge_sort_compile_time_verifier_archINS1_11comp_targetILNS1_3genE0ELNS1_11target_archE4294967295ELNS1_3gpuE0ELNS1_3repE0EEES8_NS1_28merge_sort_block_sort_configILj256ELj4ELNS0_20block_sort_algorithmE0EEENS0_14default_configENS1_37merge_sort_block_sort_config_selectorIssEENS1_38merge_sort_block_merge_config_selectorIssEEEEvv.has_dyn_sized_stack, 0
	.set _ZN7rocprim17ROCPRIM_400000_NS6detail44device_merge_sort_compile_time_verifier_archINS1_11comp_targetILNS1_3genE0ELNS1_11target_archE4294967295ELNS1_3gpuE0ELNS1_3repE0EEES8_NS1_28merge_sort_block_sort_configILj256ELj4ELNS0_20block_sort_algorithmE0EEENS0_14default_configENS1_37merge_sort_block_sort_config_selectorIssEENS1_38merge_sort_block_merge_config_selectorIssEEEEvv.has_recursion, 0
	.set _ZN7rocprim17ROCPRIM_400000_NS6detail44device_merge_sort_compile_time_verifier_archINS1_11comp_targetILNS1_3genE0ELNS1_11target_archE4294967295ELNS1_3gpuE0ELNS1_3repE0EEES8_NS1_28merge_sort_block_sort_configILj256ELj4ELNS0_20block_sort_algorithmE0EEENS0_14default_configENS1_37merge_sort_block_sort_config_selectorIssEENS1_38merge_sort_block_merge_config_selectorIssEEEEvv.has_indirect_call, 0
	.section	.AMDGPU.csdata,"",@progbits
; Kernel info:
; codeLenInByte = 4
; TotalNumSgprs: 6
; NumVgprs: 0
; NumAgprs: 0
; TotalNumVgprs: 0
; ScratchSize: 0
; MemoryBound: 0
; FloatMode: 240
; IeeeMode: 1
; LDSByteSize: 0 bytes/workgroup (compile time only)
; SGPRBlocks: 0
; VGPRBlocks: 0
; NumSGPRsForWavesPerEU: 6
; NumVGPRsForWavesPerEU: 1
; AccumOffset: 4
; Occupancy: 8
; WaveLimiterHint : 0
; COMPUTE_PGM_RSRC2:SCRATCH_EN: 0
; COMPUTE_PGM_RSRC2:USER_SGPR: 0
; COMPUTE_PGM_RSRC2:TRAP_HANDLER: 0
; COMPUTE_PGM_RSRC2:TGID_X_EN: 1
; COMPUTE_PGM_RSRC2:TGID_Y_EN: 0
; COMPUTE_PGM_RSRC2:TGID_Z_EN: 0
; COMPUTE_PGM_RSRC2:TIDIG_COMP_CNT: 0
; COMPUTE_PGM_RSRC3_GFX90A:ACCUM_OFFSET: 0
; COMPUTE_PGM_RSRC3_GFX90A:TG_SPLIT: 0
	.section	.text._ZN7rocprim17ROCPRIM_400000_NS6detail44device_merge_sort_compile_time_verifier_archINS1_11comp_targetILNS1_3genE5ELNS1_11target_archE942ELNS1_3gpuE9ELNS1_3repE0EEES8_NS1_28merge_sort_block_sort_configILj256ELj4ELNS0_20block_sort_algorithmE0EEENS0_14default_configENS1_37merge_sort_block_sort_config_selectorIssEENS1_38merge_sort_block_merge_config_selectorIssEEEEvv,"axG",@progbits,_ZN7rocprim17ROCPRIM_400000_NS6detail44device_merge_sort_compile_time_verifier_archINS1_11comp_targetILNS1_3genE5ELNS1_11target_archE942ELNS1_3gpuE9ELNS1_3repE0EEES8_NS1_28merge_sort_block_sort_configILj256ELj4ELNS0_20block_sort_algorithmE0EEENS0_14default_configENS1_37merge_sort_block_sort_config_selectorIssEENS1_38merge_sort_block_merge_config_selectorIssEEEEvv,comdat
	.protected	_ZN7rocprim17ROCPRIM_400000_NS6detail44device_merge_sort_compile_time_verifier_archINS1_11comp_targetILNS1_3genE5ELNS1_11target_archE942ELNS1_3gpuE9ELNS1_3repE0EEES8_NS1_28merge_sort_block_sort_configILj256ELj4ELNS0_20block_sort_algorithmE0EEENS0_14default_configENS1_37merge_sort_block_sort_config_selectorIssEENS1_38merge_sort_block_merge_config_selectorIssEEEEvv ; -- Begin function _ZN7rocprim17ROCPRIM_400000_NS6detail44device_merge_sort_compile_time_verifier_archINS1_11comp_targetILNS1_3genE5ELNS1_11target_archE942ELNS1_3gpuE9ELNS1_3repE0EEES8_NS1_28merge_sort_block_sort_configILj256ELj4ELNS0_20block_sort_algorithmE0EEENS0_14default_configENS1_37merge_sort_block_sort_config_selectorIssEENS1_38merge_sort_block_merge_config_selectorIssEEEEvv
	.globl	_ZN7rocprim17ROCPRIM_400000_NS6detail44device_merge_sort_compile_time_verifier_archINS1_11comp_targetILNS1_3genE5ELNS1_11target_archE942ELNS1_3gpuE9ELNS1_3repE0EEES8_NS1_28merge_sort_block_sort_configILj256ELj4ELNS0_20block_sort_algorithmE0EEENS0_14default_configENS1_37merge_sort_block_sort_config_selectorIssEENS1_38merge_sort_block_merge_config_selectorIssEEEEvv
	.p2align	8
	.type	_ZN7rocprim17ROCPRIM_400000_NS6detail44device_merge_sort_compile_time_verifier_archINS1_11comp_targetILNS1_3genE5ELNS1_11target_archE942ELNS1_3gpuE9ELNS1_3repE0EEES8_NS1_28merge_sort_block_sort_configILj256ELj4ELNS0_20block_sort_algorithmE0EEENS0_14default_configENS1_37merge_sort_block_sort_config_selectorIssEENS1_38merge_sort_block_merge_config_selectorIssEEEEvv,@function
_ZN7rocprim17ROCPRIM_400000_NS6detail44device_merge_sort_compile_time_verifier_archINS1_11comp_targetILNS1_3genE5ELNS1_11target_archE942ELNS1_3gpuE9ELNS1_3repE0EEES8_NS1_28merge_sort_block_sort_configILj256ELj4ELNS0_20block_sort_algorithmE0EEENS0_14default_configENS1_37merge_sort_block_sort_config_selectorIssEENS1_38merge_sort_block_merge_config_selectorIssEEEEvv: ; @_ZN7rocprim17ROCPRIM_400000_NS6detail44device_merge_sort_compile_time_verifier_archINS1_11comp_targetILNS1_3genE5ELNS1_11target_archE942ELNS1_3gpuE9ELNS1_3repE0EEES8_NS1_28merge_sort_block_sort_configILj256ELj4ELNS0_20block_sort_algorithmE0EEENS0_14default_configENS1_37merge_sort_block_sort_config_selectorIssEENS1_38merge_sort_block_merge_config_selectorIssEEEEvv
; %bb.0:
	s_endpgm
	.section	.rodata,"a",@progbits
	.p2align	6, 0x0
	.amdhsa_kernel _ZN7rocprim17ROCPRIM_400000_NS6detail44device_merge_sort_compile_time_verifier_archINS1_11comp_targetILNS1_3genE5ELNS1_11target_archE942ELNS1_3gpuE9ELNS1_3repE0EEES8_NS1_28merge_sort_block_sort_configILj256ELj4ELNS0_20block_sort_algorithmE0EEENS0_14default_configENS1_37merge_sort_block_sort_config_selectorIssEENS1_38merge_sort_block_merge_config_selectorIssEEEEvv
		.amdhsa_group_segment_fixed_size 0
		.amdhsa_private_segment_fixed_size 0
		.amdhsa_kernarg_size 0
		.amdhsa_user_sgpr_count 0
		.amdhsa_user_sgpr_dispatch_ptr 0
		.amdhsa_user_sgpr_queue_ptr 0
		.amdhsa_user_sgpr_kernarg_segment_ptr 0
		.amdhsa_user_sgpr_dispatch_id 0
		.amdhsa_user_sgpr_kernarg_preload_length 0
		.amdhsa_user_sgpr_kernarg_preload_offset 0
		.amdhsa_user_sgpr_private_segment_size 0
		.amdhsa_uses_dynamic_stack 0
		.amdhsa_enable_private_segment 0
		.amdhsa_system_sgpr_workgroup_id_x 1
		.amdhsa_system_sgpr_workgroup_id_y 0
		.amdhsa_system_sgpr_workgroup_id_z 0
		.amdhsa_system_sgpr_workgroup_info 0
		.amdhsa_system_vgpr_workitem_id 0
		.amdhsa_next_free_vgpr 1
		.amdhsa_next_free_sgpr 0
		.amdhsa_accum_offset 4
		.amdhsa_reserve_vcc 0
		.amdhsa_float_round_mode_32 0
		.amdhsa_float_round_mode_16_64 0
		.amdhsa_float_denorm_mode_32 3
		.amdhsa_float_denorm_mode_16_64 3
		.amdhsa_dx10_clamp 1
		.amdhsa_ieee_mode 1
		.amdhsa_fp16_overflow 0
		.amdhsa_tg_split 0
		.amdhsa_exception_fp_ieee_invalid_op 0
		.amdhsa_exception_fp_denorm_src 0
		.amdhsa_exception_fp_ieee_div_zero 0
		.amdhsa_exception_fp_ieee_overflow 0
		.amdhsa_exception_fp_ieee_underflow 0
		.amdhsa_exception_fp_ieee_inexact 0
		.amdhsa_exception_int_div_zero 0
	.end_amdhsa_kernel
	.section	.text._ZN7rocprim17ROCPRIM_400000_NS6detail44device_merge_sort_compile_time_verifier_archINS1_11comp_targetILNS1_3genE5ELNS1_11target_archE942ELNS1_3gpuE9ELNS1_3repE0EEES8_NS1_28merge_sort_block_sort_configILj256ELj4ELNS0_20block_sort_algorithmE0EEENS0_14default_configENS1_37merge_sort_block_sort_config_selectorIssEENS1_38merge_sort_block_merge_config_selectorIssEEEEvv,"axG",@progbits,_ZN7rocprim17ROCPRIM_400000_NS6detail44device_merge_sort_compile_time_verifier_archINS1_11comp_targetILNS1_3genE5ELNS1_11target_archE942ELNS1_3gpuE9ELNS1_3repE0EEES8_NS1_28merge_sort_block_sort_configILj256ELj4ELNS0_20block_sort_algorithmE0EEENS0_14default_configENS1_37merge_sort_block_sort_config_selectorIssEENS1_38merge_sort_block_merge_config_selectorIssEEEEvv,comdat
.Lfunc_end1502:
	.size	_ZN7rocprim17ROCPRIM_400000_NS6detail44device_merge_sort_compile_time_verifier_archINS1_11comp_targetILNS1_3genE5ELNS1_11target_archE942ELNS1_3gpuE9ELNS1_3repE0EEES8_NS1_28merge_sort_block_sort_configILj256ELj4ELNS0_20block_sort_algorithmE0EEENS0_14default_configENS1_37merge_sort_block_sort_config_selectorIssEENS1_38merge_sort_block_merge_config_selectorIssEEEEvv, .Lfunc_end1502-_ZN7rocprim17ROCPRIM_400000_NS6detail44device_merge_sort_compile_time_verifier_archINS1_11comp_targetILNS1_3genE5ELNS1_11target_archE942ELNS1_3gpuE9ELNS1_3repE0EEES8_NS1_28merge_sort_block_sort_configILj256ELj4ELNS0_20block_sort_algorithmE0EEENS0_14default_configENS1_37merge_sort_block_sort_config_selectorIssEENS1_38merge_sort_block_merge_config_selectorIssEEEEvv
                                        ; -- End function
	.set _ZN7rocprim17ROCPRIM_400000_NS6detail44device_merge_sort_compile_time_verifier_archINS1_11comp_targetILNS1_3genE5ELNS1_11target_archE942ELNS1_3gpuE9ELNS1_3repE0EEES8_NS1_28merge_sort_block_sort_configILj256ELj4ELNS0_20block_sort_algorithmE0EEENS0_14default_configENS1_37merge_sort_block_sort_config_selectorIssEENS1_38merge_sort_block_merge_config_selectorIssEEEEvv.num_vgpr, 0
	.set _ZN7rocprim17ROCPRIM_400000_NS6detail44device_merge_sort_compile_time_verifier_archINS1_11comp_targetILNS1_3genE5ELNS1_11target_archE942ELNS1_3gpuE9ELNS1_3repE0EEES8_NS1_28merge_sort_block_sort_configILj256ELj4ELNS0_20block_sort_algorithmE0EEENS0_14default_configENS1_37merge_sort_block_sort_config_selectorIssEENS1_38merge_sort_block_merge_config_selectorIssEEEEvv.num_agpr, 0
	.set _ZN7rocprim17ROCPRIM_400000_NS6detail44device_merge_sort_compile_time_verifier_archINS1_11comp_targetILNS1_3genE5ELNS1_11target_archE942ELNS1_3gpuE9ELNS1_3repE0EEES8_NS1_28merge_sort_block_sort_configILj256ELj4ELNS0_20block_sort_algorithmE0EEENS0_14default_configENS1_37merge_sort_block_sort_config_selectorIssEENS1_38merge_sort_block_merge_config_selectorIssEEEEvv.numbered_sgpr, 0
	.set _ZN7rocprim17ROCPRIM_400000_NS6detail44device_merge_sort_compile_time_verifier_archINS1_11comp_targetILNS1_3genE5ELNS1_11target_archE942ELNS1_3gpuE9ELNS1_3repE0EEES8_NS1_28merge_sort_block_sort_configILj256ELj4ELNS0_20block_sort_algorithmE0EEENS0_14default_configENS1_37merge_sort_block_sort_config_selectorIssEENS1_38merge_sort_block_merge_config_selectorIssEEEEvv.num_named_barrier, 0
	.set _ZN7rocprim17ROCPRIM_400000_NS6detail44device_merge_sort_compile_time_verifier_archINS1_11comp_targetILNS1_3genE5ELNS1_11target_archE942ELNS1_3gpuE9ELNS1_3repE0EEES8_NS1_28merge_sort_block_sort_configILj256ELj4ELNS0_20block_sort_algorithmE0EEENS0_14default_configENS1_37merge_sort_block_sort_config_selectorIssEENS1_38merge_sort_block_merge_config_selectorIssEEEEvv.private_seg_size, 0
	.set _ZN7rocprim17ROCPRIM_400000_NS6detail44device_merge_sort_compile_time_verifier_archINS1_11comp_targetILNS1_3genE5ELNS1_11target_archE942ELNS1_3gpuE9ELNS1_3repE0EEES8_NS1_28merge_sort_block_sort_configILj256ELj4ELNS0_20block_sort_algorithmE0EEENS0_14default_configENS1_37merge_sort_block_sort_config_selectorIssEENS1_38merge_sort_block_merge_config_selectorIssEEEEvv.uses_vcc, 0
	.set _ZN7rocprim17ROCPRIM_400000_NS6detail44device_merge_sort_compile_time_verifier_archINS1_11comp_targetILNS1_3genE5ELNS1_11target_archE942ELNS1_3gpuE9ELNS1_3repE0EEES8_NS1_28merge_sort_block_sort_configILj256ELj4ELNS0_20block_sort_algorithmE0EEENS0_14default_configENS1_37merge_sort_block_sort_config_selectorIssEENS1_38merge_sort_block_merge_config_selectorIssEEEEvv.uses_flat_scratch, 0
	.set _ZN7rocprim17ROCPRIM_400000_NS6detail44device_merge_sort_compile_time_verifier_archINS1_11comp_targetILNS1_3genE5ELNS1_11target_archE942ELNS1_3gpuE9ELNS1_3repE0EEES8_NS1_28merge_sort_block_sort_configILj256ELj4ELNS0_20block_sort_algorithmE0EEENS0_14default_configENS1_37merge_sort_block_sort_config_selectorIssEENS1_38merge_sort_block_merge_config_selectorIssEEEEvv.has_dyn_sized_stack, 0
	.set _ZN7rocprim17ROCPRIM_400000_NS6detail44device_merge_sort_compile_time_verifier_archINS1_11comp_targetILNS1_3genE5ELNS1_11target_archE942ELNS1_3gpuE9ELNS1_3repE0EEES8_NS1_28merge_sort_block_sort_configILj256ELj4ELNS0_20block_sort_algorithmE0EEENS0_14default_configENS1_37merge_sort_block_sort_config_selectorIssEENS1_38merge_sort_block_merge_config_selectorIssEEEEvv.has_recursion, 0
	.set _ZN7rocprim17ROCPRIM_400000_NS6detail44device_merge_sort_compile_time_verifier_archINS1_11comp_targetILNS1_3genE5ELNS1_11target_archE942ELNS1_3gpuE9ELNS1_3repE0EEES8_NS1_28merge_sort_block_sort_configILj256ELj4ELNS0_20block_sort_algorithmE0EEENS0_14default_configENS1_37merge_sort_block_sort_config_selectorIssEENS1_38merge_sort_block_merge_config_selectorIssEEEEvv.has_indirect_call, 0
	.section	.AMDGPU.csdata,"",@progbits
; Kernel info:
; codeLenInByte = 4
; TotalNumSgprs: 6
; NumVgprs: 0
; NumAgprs: 0
; TotalNumVgprs: 0
; ScratchSize: 0
; MemoryBound: 0
; FloatMode: 240
; IeeeMode: 1
; LDSByteSize: 0 bytes/workgroup (compile time only)
; SGPRBlocks: 0
; VGPRBlocks: 0
; NumSGPRsForWavesPerEU: 6
; NumVGPRsForWavesPerEU: 1
; AccumOffset: 4
; Occupancy: 8
; WaveLimiterHint : 0
; COMPUTE_PGM_RSRC2:SCRATCH_EN: 0
; COMPUTE_PGM_RSRC2:USER_SGPR: 0
; COMPUTE_PGM_RSRC2:TRAP_HANDLER: 0
; COMPUTE_PGM_RSRC2:TGID_X_EN: 1
; COMPUTE_PGM_RSRC2:TGID_Y_EN: 0
; COMPUTE_PGM_RSRC2:TGID_Z_EN: 0
; COMPUTE_PGM_RSRC2:TIDIG_COMP_CNT: 0
; COMPUTE_PGM_RSRC3_GFX90A:ACCUM_OFFSET: 0
; COMPUTE_PGM_RSRC3_GFX90A:TG_SPLIT: 0
	.section	.text._ZN7rocprim17ROCPRIM_400000_NS6detail44device_merge_sort_compile_time_verifier_archINS1_11comp_targetILNS1_3genE4ELNS1_11target_archE910ELNS1_3gpuE8ELNS1_3repE0EEES8_NS1_28merge_sort_block_sort_configILj256ELj4ELNS0_20block_sort_algorithmE0EEENS0_14default_configENS1_37merge_sort_block_sort_config_selectorIssEENS1_38merge_sort_block_merge_config_selectorIssEEEEvv,"axG",@progbits,_ZN7rocprim17ROCPRIM_400000_NS6detail44device_merge_sort_compile_time_verifier_archINS1_11comp_targetILNS1_3genE4ELNS1_11target_archE910ELNS1_3gpuE8ELNS1_3repE0EEES8_NS1_28merge_sort_block_sort_configILj256ELj4ELNS0_20block_sort_algorithmE0EEENS0_14default_configENS1_37merge_sort_block_sort_config_selectorIssEENS1_38merge_sort_block_merge_config_selectorIssEEEEvv,comdat
	.protected	_ZN7rocprim17ROCPRIM_400000_NS6detail44device_merge_sort_compile_time_verifier_archINS1_11comp_targetILNS1_3genE4ELNS1_11target_archE910ELNS1_3gpuE8ELNS1_3repE0EEES8_NS1_28merge_sort_block_sort_configILj256ELj4ELNS0_20block_sort_algorithmE0EEENS0_14default_configENS1_37merge_sort_block_sort_config_selectorIssEENS1_38merge_sort_block_merge_config_selectorIssEEEEvv ; -- Begin function _ZN7rocprim17ROCPRIM_400000_NS6detail44device_merge_sort_compile_time_verifier_archINS1_11comp_targetILNS1_3genE4ELNS1_11target_archE910ELNS1_3gpuE8ELNS1_3repE0EEES8_NS1_28merge_sort_block_sort_configILj256ELj4ELNS0_20block_sort_algorithmE0EEENS0_14default_configENS1_37merge_sort_block_sort_config_selectorIssEENS1_38merge_sort_block_merge_config_selectorIssEEEEvv
	.globl	_ZN7rocprim17ROCPRIM_400000_NS6detail44device_merge_sort_compile_time_verifier_archINS1_11comp_targetILNS1_3genE4ELNS1_11target_archE910ELNS1_3gpuE8ELNS1_3repE0EEES8_NS1_28merge_sort_block_sort_configILj256ELj4ELNS0_20block_sort_algorithmE0EEENS0_14default_configENS1_37merge_sort_block_sort_config_selectorIssEENS1_38merge_sort_block_merge_config_selectorIssEEEEvv
	.p2align	8
	.type	_ZN7rocprim17ROCPRIM_400000_NS6detail44device_merge_sort_compile_time_verifier_archINS1_11comp_targetILNS1_3genE4ELNS1_11target_archE910ELNS1_3gpuE8ELNS1_3repE0EEES8_NS1_28merge_sort_block_sort_configILj256ELj4ELNS0_20block_sort_algorithmE0EEENS0_14default_configENS1_37merge_sort_block_sort_config_selectorIssEENS1_38merge_sort_block_merge_config_selectorIssEEEEvv,@function
_ZN7rocprim17ROCPRIM_400000_NS6detail44device_merge_sort_compile_time_verifier_archINS1_11comp_targetILNS1_3genE4ELNS1_11target_archE910ELNS1_3gpuE8ELNS1_3repE0EEES8_NS1_28merge_sort_block_sort_configILj256ELj4ELNS0_20block_sort_algorithmE0EEENS0_14default_configENS1_37merge_sort_block_sort_config_selectorIssEENS1_38merge_sort_block_merge_config_selectorIssEEEEvv: ; @_ZN7rocprim17ROCPRIM_400000_NS6detail44device_merge_sort_compile_time_verifier_archINS1_11comp_targetILNS1_3genE4ELNS1_11target_archE910ELNS1_3gpuE8ELNS1_3repE0EEES8_NS1_28merge_sort_block_sort_configILj256ELj4ELNS0_20block_sort_algorithmE0EEENS0_14default_configENS1_37merge_sort_block_sort_config_selectorIssEENS1_38merge_sort_block_merge_config_selectorIssEEEEvv
; %bb.0:
	s_endpgm
	.section	.rodata,"a",@progbits
	.p2align	6, 0x0
	.amdhsa_kernel _ZN7rocprim17ROCPRIM_400000_NS6detail44device_merge_sort_compile_time_verifier_archINS1_11comp_targetILNS1_3genE4ELNS1_11target_archE910ELNS1_3gpuE8ELNS1_3repE0EEES8_NS1_28merge_sort_block_sort_configILj256ELj4ELNS0_20block_sort_algorithmE0EEENS0_14default_configENS1_37merge_sort_block_sort_config_selectorIssEENS1_38merge_sort_block_merge_config_selectorIssEEEEvv
		.amdhsa_group_segment_fixed_size 0
		.amdhsa_private_segment_fixed_size 0
		.amdhsa_kernarg_size 0
		.amdhsa_user_sgpr_count 0
		.amdhsa_user_sgpr_dispatch_ptr 0
		.amdhsa_user_sgpr_queue_ptr 0
		.amdhsa_user_sgpr_kernarg_segment_ptr 0
		.amdhsa_user_sgpr_dispatch_id 0
		.amdhsa_user_sgpr_kernarg_preload_length 0
		.amdhsa_user_sgpr_kernarg_preload_offset 0
		.amdhsa_user_sgpr_private_segment_size 0
		.amdhsa_uses_dynamic_stack 0
		.amdhsa_enable_private_segment 0
		.amdhsa_system_sgpr_workgroup_id_x 1
		.amdhsa_system_sgpr_workgroup_id_y 0
		.amdhsa_system_sgpr_workgroup_id_z 0
		.amdhsa_system_sgpr_workgroup_info 0
		.amdhsa_system_vgpr_workitem_id 0
		.amdhsa_next_free_vgpr 1
		.amdhsa_next_free_sgpr 0
		.amdhsa_accum_offset 4
		.amdhsa_reserve_vcc 0
		.amdhsa_float_round_mode_32 0
		.amdhsa_float_round_mode_16_64 0
		.amdhsa_float_denorm_mode_32 3
		.amdhsa_float_denorm_mode_16_64 3
		.amdhsa_dx10_clamp 1
		.amdhsa_ieee_mode 1
		.amdhsa_fp16_overflow 0
		.amdhsa_tg_split 0
		.amdhsa_exception_fp_ieee_invalid_op 0
		.amdhsa_exception_fp_denorm_src 0
		.amdhsa_exception_fp_ieee_div_zero 0
		.amdhsa_exception_fp_ieee_overflow 0
		.amdhsa_exception_fp_ieee_underflow 0
		.amdhsa_exception_fp_ieee_inexact 0
		.amdhsa_exception_int_div_zero 0
	.end_amdhsa_kernel
	.section	.text._ZN7rocprim17ROCPRIM_400000_NS6detail44device_merge_sort_compile_time_verifier_archINS1_11comp_targetILNS1_3genE4ELNS1_11target_archE910ELNS1_3gpuE8ELNS1_3repE0EEES8_NS1_28merge_sort_block_sort_configILj256ELj4ELNS0_20block_sort_algorithmE0EEENS0_14default_configENS1_37merge_sort_block_sort_config_selectorIssEENS1_38merge_sort_block_merge_config_selectorIssEEEEvv,"axG",@progbits,_ZN7rocprim17ROCPRIM_400000_NS6detail44device_merge_sort_compile_time_verifier_archINS1_11comp_targetILNS1_3genE4ELNS1_11target_archE910ELNS1_3gpuE8ELNS1_3repE0EEES8_NS1_28merge_sort_block_sort_configILj256ELj4ELNS0_20block_sort_algorithmE0EEENS0_14default_configENS1_37merge_sort_block_sort_config_selectorIssEENS1_38merge_sort_block_merge_config_selectorIssEEEEvv,comdat
.Lfunc_end1503:
	.size	_ZN7rocprim17ROCPRIM_400000_NS6detail44device_merge_sort_compile_time_verifier_archINS1_11comp_targetILNS1_3genE4ELNS1_11target_archE910ELNS1_3gpuE8ELNS1_3repE0EEES8_NS1_28merge_sort_block_sort_configILj256ELj4ELNS0_20block_sort_algorithmE0EEENS0_14default_configENS1_37merge_sort_block_sort_config_selectorIssEENS1_38merge_sort_block_merge_config_selectorIssEEEEvv, .Lfunc_end1503-_ZN7rocprim17ROCPRIM_400000_NS6detail44device_merge_sort_compile_time_verifier_archINS1_11comp_targetILNS1_3genE4ELNS1_11target_archE910ELNS1_3gpuE8ELNS1_3repE0EEES8_NS1_28merge_sort_block_sort_configILj256ELj4ELNS0_20block_sort_algorithmE0EEENS0_14default_configENS1_37merge_sort_block_sort_config_selectorIssEENS1_38merge_sort_block_merge_config_selectorIssEEEEvv
                                        ; -- End function
	.set _ZN7rocprim17ROCPRIM_400000_NS6detail44device_merge_sort_compile_time_verifier_archINS1_11comp_targetILNS1_3genE4ELNS1_11target_archE910ELNS1_3gpuE8ELNS1_3repE0EEES8_NS1_28merge_sort_block_sort_configILj256ELj4ELNS0_20block_sort_algorithmE0EEENS0_14default_configENS1_37merge_sort_block_sort_config_selectorIssEENS1_38merge_sort_block_merge_config_selectorIssEEEEvv.num_vgpr, 0
	.set _ZN7rocprim17ROCPRIM_400000_NS6detail44device_merge_sort_compile_time_verifier_archINS1_11comp_targetILNS1_3genE4ELNS1_11target_archE910ELNS1_3gpuE8ELNS1_3repE0EEES8_NS1_28merge_sort_block_sort_configILj256ELj4ELNS0_20block_sort_algorithmE0EEENS0_14default_configENS1_37merge_sort_block_sort_config_selectorIssEENS1_38merge_sort_block_merge_config_selectorIssEEEEvv.num_agpr, 0
	.set _ZN7rocprim17ROCPRIM_400000_NS6detail44device_merge_sort_compile_time_verifier_archINS1_11comp_targetILNS1_3genE4ELNS1_11target_archE910ELNS1_3gpuE8ELNS1_3repE0EEES8_NS1_28merge_sort_block_sort_configILj256ELj4ELNS0_20block_sort_algorithmE0EEENS0_14default_configENS1_37merge_sort_block_sort_config_selectorIssEENS1_38merge_sort_block_merge_config_selectorIssEEEEvv.numbered_sgpr, 0
	.set _ZN7rocprim17ROCPRIM_400000_NS6detail44device_merge_sort_compile_time_verifier_archINS1_11comp_targetILNS1_3genE4ELNS1_11target_archE910ELNS1_3gpuE8ELNS1_3repE0EEES8_NS1_28merge_sort_block_sort_configILj256ELj4ELNS0_20block_sort_algorithmE0EEENS0_14default_configENS1_37merge_sort_block_sort_config_selectorIssEENS1_38merge_sort_block_merge_config_selectorIssEEEEvv.num_named_barrier, 0
	.set _ZN7rocprim17ROCPRIM_400000_NS6detail44device_merge_sort_compile_time_verifier_archINS1_11comp_targetILNS1_3genE4ELNS1_11target_archE910ELNS1_3gpuE8ELNS1_3repE0EEES8_NS1_28merge_sort_block_sort_configILj256ELj4ELNS0_20block_sort_algorithmE0EEENS0_14default_configENS1_37merge_sort_block_sort_config_selectorIssEENS1_38merge_sort_block_merge_config_selectorIssEEEEvv.private_seg_size, 0
	.set _ZN7rocprim17ROCPRIM_400000_NS6detail44device_merge_sort_compile_time_verifier_archINS1_11comp_targetILNS1_3genE4ELNS1_11target_archE910ELNS1_3gpuE8ELNS1_3repE0EEES8_NS1_28merge_sort_block_sort_configILj256ELj4ELNS0_20block_sort_algorithmE0EEENS0_14default_configENS1_37merge_sort_block_sort_config_selectorIssEENS1_38merge_sort_block_merge_config_selectorIssEEEEvv.uses_vcc, 0
	.set _ZN7rocprim17ROCPRIM_400000_NS6detail44device_merge_sort_compile_time_verifier_archINS1_11comp_targetILNS1_3genE4ELNS1_11target_archE910ELNS1_3gpuE8ELNS1_3repE0EEES8_NS1_28merge_sort_block_sort_configILj256ELj4ELNS0_20block_sort_algorithmE0EEENS0_14default_configENS1_37merge_sort_block_sort_config_selectorIssEENS1_38merge_sort_block_merge_config_selectorIssEEEEvv.uses_flat_scratch, 0
	.set _ZN7rocprim17ROCPRIM_400000_NS6detail44device_merge_sort_compile_time_verifier_archINS1_11comp_targetILNS1_3genE4ELNS1_11target_archE910ELNS1_3gpuE8ELNS1_3repE0EEES8_NS1_28merge_sort_block_sort_configILj256ELj4ELNS0_20block_sort_algorithmE0EEENS0_14default_configENS1_37merge_sort_block_sort_config_selectorIssEENS1_38merge_sort_block_merge_config_selectorIssEEEEvv.has_dyn_sized_stack, 0
	.set _ZN7rocprim17ROCPRIM_400000_NS6detail44device_merge_sort_compile_time_verifier_archINS1_11comp_targetILNS1_3genE4ELNS1_11target_archE910ELNS1_3gpuE8ELNS1_3repE0EEES8_NS1_28merge_sort_block_sort_configILj256ELj4ELNS0_20block_sort_algorithmE0EEENS0_14default_configENS1_37merge_sort_block_sort_config_selectorIssEENS1_38merge_sort_block_merge_config_selectorIssEEEEvv.has_recursion, 0
	.set _ZN7rocprim17ROCPRIM_400000_NS6detail44device_merge_sort_compile_time_verifier_archINS1_11comp_targetILNS1_3genE4ELNS1_11target_archE910ELNS1_3gpuE8ELNS1_3repE0EEES8_NS1_28merge_sort_block_sort_configILj256ELj4ELNS0_20block_sort_algorithmE0EEENS0_14default_configENS1_37merge_sort_block_sort_config_selectorIssEENS1_38merge_sort_block_merge_config_selectorIssEEEEvv.has_indirect_call, 0
	.section	.AMDGPU.csdata,"",@progbits
; Kernel info:
; codeLenInByte = 4
; TotalNumSgprs: 6
; NumVgprs: 0
; NumAgprs: 0
; TotalNumVgprs: 0
; ScratchSize: 0
; MemoryBound: 0
; FloatMode: 240
; IeeeMode: 1
; LDSByteSize: 0 bytes/workgroup (compile time only)
; SGPRBlocks: 0
; VGPRBlocks: 0
; NumSGPRsForWavesPerEU: 6
; NumVGPRsForWavesPerEU: 1
; AccumOffset: 4
; Occupancy: 8
; WaveLimiterHint : 0
; COMPUTE_PGM_RSRC2:SCRATCH_EN: 0
; COMPUTE_PGM_RSRC2:USER_SGPR: 0
; COMPUTE_PGM_RSRC2:TRAP_HANDLER: 0
; COMPUTE_PGM_RSRC2:TGID_X_EN: 1
; COMPUTE_PGM_RSRC2:TGID_Y_EN: 0
; COMPUTE_PGM_RSRC2:TGID_Z_EN: 0
; COMPUTE_PGM_RSRC2:TIDIG_COMP_CNT: 0
; COMPUTE_PGM_RSRC3_GFX90A:ACCUM_OFFSET: 0
; COMPUTE_PGM_RSRC3_GFX90A:TG_SPLIT: 0
	.section	.text._ZN7rocprim17ROCPRIM_400000_NS6detail44device_merge_sort_compile_time_verifier_archINS1_11comp_targetILNS1_3genE3ELNS1_11target_archE908ELNS1_3gpuE7ELNS1_3repE0EEES8_NS1_28merge_sort_block_sort_configILj256ELj4ELNS0_20block_sort_algorithmE0EEENS0_14default_configENS1_37merge_sort_block_sort_config_selectorIssEENS1_38merge_sort_block_merge_config_selectorIssEEEEvv,"axG",@progbits,_ZN7rocprim17ROCPRIM_400000_NS6detail44device_merge_sort_compile_time_verifier_archINS1_11comp_targetILNS1_3genE3ELNS1_11target_archE908ELNS1_3gpuE7ELNS1_3repE0EEES8_NS1_28merge_sort_block_sort_configILj256ELj4ELNS0_20block_sort_algorithmE0EEENS0_14default_configENS1_37merge_sort_block_sort_config_selectorIssEENS1_38merge_sort_block_merge_config_selectorIssEEEEvv,comdat
	.protected	_ZN7rocprim17ROCPRIM_400000_NS6detail44device_merge_sort_compile_time_verifier_archINS1_11comp_targetILNS1_3genE3ELNS1_11target_archE908ELNS1_3gpuE7ELNS1_3repE0EEES8_NS1_28merge_sort_block_sort_configILj256ELj4ELNS0_20block_sort_algorithmE0EEENS0_14default_configENS1_37merge_sort_block_sort_config_selectorIssEENS1_38merge_sort_block_merge_config_selectorIssEEEEvv ; -- Begin function _ZN7rocprim17ROCPRIM_400000_NS6detail44device_merge_sort_compile_time_verifier_archINS1_11comp_targetILNS1_3genE3ELNS1_11target_archE908ELNS1_3gpuE7ELNS1_3repE0EEES8_NS1_28merge_sort_block_sort_configILj256ELj4ELNS0_20block_sort_algorithmE0EEENS0_14default_configENS1_37merge_sort_block_sort_config_selectorIssEENS1_38merge_sort_block_merge_config_selectorIssEEEEvv
	.globl	_ZN7rocprim17ROCPRIM_400000_NS6detail44device_merge_sort_compile_time_verifier_archINS1_11comp_targetILNS1_3genE3ELNS1_11target_archE908ELNS1_3gpuE7ELNS1_3repE0EEES8_NS1_28merge_sort_block_sort_configILj256ELj4ELNS0_20block_sort_algorithmE0EEENS0_14default_configENS1_37merge_sort_block_sort_config_selectorIssEENS1_38merge_sort_block_merge_config_selectorIssEEEEvv
	.p2align	8
	.type	_ZN7rocprim17ROCPRIM_400000_NS6detail44device_merge_sort_compile_time_verifier_archINS1_11comp_targetILNS1_3genE3ELNS1_11target_archE908ELNS1_3gpuE7ELNS1_3repE0EEES8_NS1_28merge_sort_block_sort_configILj256ELj4ELNS0_20block_sort_algorithmE0EEENS0_14default_configENS1_37merge_sort_block_sort_config_selectorIssEENS1_38merge_sort_block_merge_config_selectorIssEEEEvv,@function
_ZN7rocprim17ROCPRIM_400000_NS6detail44device_merge_sort_compile_time_verifier_archINS1_11comp_targetILNS1_3genE3ELNS1_11target_archE908ELNS1_3gpuE7ELNS1_3repE0EEES8_NS1_28merge_sort_block_sort_configILj256ELj4ELNS0_20block_sort_algorithmE0EEENS0_14default_configENS1_37merge_sort_block_sort_config_selectorIssEENS1_38merge_sort_block_merge_config_selectorIssEEEEvv: ; @_ZN7rocprim17ROCPRIM_400000_NS6detail44device_merge_sort_compile_time_verifier_archINS1_11comp_targetILNS1_3genE3ELNS1_11target_archE908ELNS1_3gpuE7ELNS1_3repE0EEES8_NS1_28merge_sort_block_sort_configILj256ELj4ELNS0_20block_sort_algorithmE0EEENS0_14default_configENS1_37merge_sort_block_sort_config_selectorIssEENS1_38merge_sort_block_merge_config_selectorIssEEEEvv
; %bb.0:
	s_endpgm
	.section	.rodata,"a",@progbits
	.p2align	6, 0x0
	.amdhsa_kernel _ZN7rocprim17ROCPRIM_400000_NS6detail44device_merge_sort_compile_time_verifier_archINS1_11comp_targetILNS1_3genE3ELNS1_11target_archE908ELNS1_3gpuE7ELNS1_3repE0EEES8_NS1_28merge_sort_block_sort_configILj256ELj4ELNS0_20block_sort_algorithmE0EEENS0_14default_configENS1_37merge_sort_block_sort_config_selectorIssEENS1_38merge_sort_block_merge_config_selectorIssEEEEvv
		.amdhsa_group_segment_fixed_size 0
		.amdhsa_private_segment_fixed_size 0
		.amdhsa_kernarg_size 0
		.amdhsa_user_sgpr_count 0
		.amdhsa_user_sgpr_dispatch_ptr 0
		.amdhsa_user_sgpr_queue_ptr 0
		.amdhsa_user_sgpr_kernarg_segment_ptr 0
		.amdhsa_user_sgpr_dispatch_id 0
		.amdhsa_user_sgpr_kernarg_preload_length 0
		.amdhsa_user_sgpr_kernarg_preload_offset 0
		.amdhsa_user_sgpr_private_segment_size 0
		.amdhsa_uses_dynamic_stack 0
		.amdhsa_enable_private_segment 0
		.amdhsa_system_sgpr_workgroup_id_x 1
		.amdhsa_system_sgpr_workgroup_id_y 0
		.amdhsa_system_sgpr_workgroup_id_z 0
		.amdhsa_system_sgpr_workgroup_info 0
		.amdhsa_system_vgpr_workitem_id 0
		.amdhsa_next_free_vgpr 1
		.amdhsa_next_free_sgpr 0
		.amdhsa_accum_offset 4
		.amdhsa_reserve_vcc 0
		.amdhsa_float_round_mode_32 0
		.amdhsa_float_round_mode_16_64 0
		.amdhsa_float_denorm_mode_32 3
		.amdhsa_float_denorm_mode_16_64 3
		.amdhsa_dx10_clamp 1
		.amdhsa_ieee_mode 1
		.amdhsa_fp16_overflow 0
		.amdhsa_tg_split 0
		.amdhsa_exception_fp_ieee_invalid_op 0
		.amdhsa_exception_fp_denorm_src 0
		.amdhsa_exception_fp_ieee_div_zero 0
		.amdhsa_exception_fp_ieee_overflow 0
		.amdhsa_exception_fp_ieee_underflow 0
		.amdhsa_exception_fp_ieee_inexact 0
		.amdhsa_exception_int_div_zero 0
	.end_amdhsa_kernel
	.section	.text._ZN7rocprim17ROCPRIM_400000_NS6detail44device_merge_sort_compile_time_verifier_archINS1_11comp_targetILNS1_3genE3ELNS1_11target_archE908ELNS1_3gpuE7ELNS1_3repE0EEES8_NS1_28merge_sort_block_sort_configILj256ELj4ELNS0_20block_sort_algorithmE0EEENS0_14default_configENS1_37merge_sort_block_sort_config_selectorIssEENS1_38merge_sort_block_merge_config_selectorIssEEEEvv,"axG",@progbits,_ZN7rocprim17ROCPRIM_400000_NS6detail44device_merge_sort_compile_time_verifier_archINS1_11comp_targetILNS1_3genE3ELNS1_11target_archE908ELNS1_3gpuE7ELNS1_3repE0EEES8_NS1_28merge_sort_block_sort_configILj256ELj4ELNS0_20block_sort_algorithmE0EEENS0_14default_configENS1_37merge_sort_block_sort_config_selectorIssEENS1_38merge_sort_block_merge_config_selectorIssEEEEvv,comdat
.Lfunc_end1504:
	.size	_ZN7rocprim17ROCPRIM_400000_NS6detail44device_merge_sort_compile_time_verifier_archINS1_11comp_targetILNS1_3genE3ELNS1_11target_archE908ELNS1_3gpuE7ELNS1_3repE0EEES8_NS1_28merge_sort_block_sort_configILj256ELj4ELNS0_20block_sort_algorithmE0EEENS0_14default_configENS1_37merge_sort_block_sort_config_selectorIssEENS1_38merge_sort_block_merge_config_selectorIssEEEEvv, .Lfunc_end1504-_ZN7rocprim17ROCPRIM_400000_NS6detail44device_merge_sort_compile_time_verifier_archINS1_11comp_targetILNS1_3genE3ELNS1_11target_archE908ELNS1_3gpuE7ELNS1_3repE0EEES8_NS1_28merge_sort_block_sort_configILj256ELj4ELNS0_20block_sort_algorithmE0EEENS0_14default_configENS1_37merge_sort_block_sort_config_selectorIssEENS1_38merge_sort_block_merge_config_selectorIssEEEEvv
                                        ; -- End function
	.set _ZN7rocprim17ROCPRIM_400000_NS6detail44device_merge_sort_compile_time_verifier_archINS1_11comp_targetILNS1_3genE3ELNS1_11target_archE908ELNS1_3gpuE7ELNS1_3repE0EEES8_NS1_28merge_sort_block_sort_configILj256ELj4ELNS0_20block_sort_algorithmE0EEENS0_14default_configENS1_37merge_sort_block_sort_config_selectorIssEENS1_38merge_sort_block_merge_config_selectorIssEEEEvv.num_vgpr, 0
	.set _ZN7rocprim17ROCPRIM_400000_NS6detail44device_merge_sort_compile_time_verifier_archINS1_11comp_targetILNS1_3genE3ELNS1_11target_archE908ELNS1_3gpuE7ELNS1_3repE0EEES8_NS1_28merge_sort_block_sort_configILj256ELj4ELNS0_20block_sort_algorithmE0EEENS0_14default_configENS1_37merge_sort_block_sort_config_selectorIssEENS1_38merge_sort_block_merge_config_selectorIssEEEEvv.num_agpr, 0
	.set _ZN7rocprim17ROCPRIM_400000_NS6detail44device_merge_sort_compile_time_verifier_archINS1_11comp_targetILNS1_3genE3ELNS1_11target_archE908ELNS1_3gpuE7ELNS1_3repE0EEES8_NS1_28merge_sort_block_sort_configILj256ELj4ELNS0_20block_sort_algorithmE0EEENS0_14default_configENS1_37merge_sort_block_sort_config_selectorIssEENS1_38merge_sort_block_merge_config_selectorIssEEEEvv.numbered_sgpr, 0
	.set _ZN7rocprim17ROCPRIM_400000_NS6detail44device_merge_sort_compile_time_verifier_archINS1_11comp_targetILNS1_3genE3ELNS1_11target_archE908ELNS1_3gpuE7ELNS1_3repE0EEES8_NS1_28merge_sort_block_sort_configILj256ELj4ELNS0_20block_sort_algorithmE0EEENS0_14default_configENS1_37merge_sort_block_sort_config_selectorIssEENS1_38merge_sort_block_merge_config_selectorIssEEEEvv.num_named_barrier, 0
	.set _ZN7rocprim17ROCPRIM_400000_NS6detail44device_merge_sort_compile_time_verifier_archINS1_11comp_targetILNS1_3genE3ELNS1_11target_archE908ELNS1_3gpuE7ELNS1_3repE0EEES8_NS1_28merge_sort_block_sort_configILj256ELj4ELNS0_20block_sort_algorithmE0EEENS0_14default_configENS1_37merge_sort_block_sort_config_selectorIssEENS1_38merge_sort_block_merge_config_selectorIssEEEEvv.private_seg_size, 0
	.set _ZN7rocprim17ROCPRIM_400000_NS6detail44device_merge_sort_compile_time_verifier_archINS1_11comp_targetILNS1_3genE3ELNS1_11target_archE908ELNS1_3gpuE7ELNS1_3repE0EEES8_NS1_28merge_sort_block_sort_configILj256ELj4ELNS0_20block_sort_algorithmE0EEENS0_14default_configENS1_37merge_sort_block_sort_config_selectorIssEENS1_38merge_sort_block_merge_config_selectorIssEEEEvv.uses_vcc, 0
	.set _ZN7rocprim17ROCPRIM_400000_NS6detail44device_merge_sort_compile_time_verifier_archINS1_11comp_targetILNS1_3genE3ELNS1_11target_archE908ELNS1_3gpuE7ELNS1_3repE0EEES8_NS1_28merge_sort_block_sort_configILj256ELj4ELNS0_20block_sort_algorithmE0EEENS0_14default_configENS1_37merge_sort_block_sort_config_selectorIssEENS1_38merge_sort_block_merge_config_selectorIssEEEEvv.uses_flat_scratch, 0
	.set _ZN7rocprim17ROCPRIM_400000_NS6detail44device_merge_sort_compile_time_verifier_archINS1_11comp_targetILNS1_3genE3ELNS1_11target_archE908ELNS1_3gpuE7ELNS1_3repE0EEES8_NS1_28merge_sort_block_sort_configILj256ELj4ELNS0_20block_sort_algorithmE0EEENS0_14default_configENS1_37merge_sort_block_sort_config_selectorIssEENS1_38merge_sort_block_merge_config_selectorIssEEEEvv.has_dyn_sized_stack, 0
	.set _ZN7rocprim17ROCPRIM_400000_NS6detail44device_merge_sort_compile_time_verifier_archINS1_11comp_targetILNS1_3genE3ELNS1_11target_archE908ELNS1_3gpuE7ELNS1_3repE0EEES8_NS1_28merge_sort_block_sort_configILj256ELj4ELNS0_20block_sort_algorithmE0EEENS0_14default_configENS1_37merge_sort_block_sort_config_selectorIssEENS1_38merge_sort_block_merge_config_selectorIssEEEEvv.has_recursion, 0
	.set _ZN7rocprim17ROCPRIM_400000_NS6detail44device_merge_sort_compile_time_verifier_archINS1_11comp_targetILNS1_3genE3ELNS1_11target_archE908ELNS1_3gpuE7ELNS1_3repE0EEES8_NS1_28merge_sort_block_sort_configILj256ELj4ELNS0_20block_sort_algorithmE0EEENS0_14default_configENS1_37merge_sort_block_sort_config_selectorIssEENS1_38merge_sort_block_merge_config_selectorIssEEEEvv.has_indirect_call, 0
	.section	.AMDGPU.csdata,"",@progbits
; Kernel info:
; codeLenInByte = 4
; TotalNumSgprs: 6
; NumVgprs: 0
; NumAgprs: 0
; TotalNumVgprs: 0
; ScratchSize: 0
; MemoryBound: 0
; FloatMode: 240
; IeeeMode: 1
; LDSByteSize: 0 bytes/workgroup (compile time only)
; SGPRBlocks: 0
; VGPRBlocks: 0
; NumSGPRsForWavesPerEU: 6
; NumVGPRsForWavesPerEU: 1
; AccumOffset: 4
; Occupancy: 8
; WaveLimiterHint : 0
; COMPUTE_PGM_RSRC2:SCRATCH_EN: 0
; COMPUTE_PGM_RSRC2:USER_SGPR: 0
; COMPUTE_PGM_RSRC2:TRAP_HANDLER: 0
; COMPUTE_PGM_RSRC2:TGID_X_EN: 1
; COMPUTE_PGM_RSRC2:TGID_Y_EN: 0
; COMPUTE_PGM_RSRC2:TGID_Z_EN: 0
; COMPUTE_PGM_RSRC2:TIDIG_COMP_CNT: 0
; COMPUTE_PGM_RSRC3_GFX90A:ACCUM_OFFSET: 0
; COMPUTE_PGM_RSRC3_GFX90A:TG_SPLIT: 0
	.section	.text._ZN7rocprim17ROCPRIM_400000_NS6detail44device_merge_sort_compile_time_verifier_archINS1_11comp_targetILNS1_3genE2ELNS1_11target_archE906ELNS1_3gpuE6ELNS1_3repE0EEES8_NS1_28merge_sort_block_sort_configILj256ELj4ELNS0_20block_sort_algorithmE0EEENS0_14default_configENS1_37merge_sort_block_sort_config_selectorIssEENS1_38merge_sort_block_merge_config_selectorIssEEEEvv,"axG",@progbits,_ZN7rocprim17ROCPRIM_400000_NS6detail44device_merge_sort_compile_time_verifier_archINS1_11comp_targetILNS1_3genE2ELNS1_11target_archE906ELNS1_3gpuE6ELNS1_3repE0EEES8_NS1_28merge_sort_block_sort_configILj256ELj4ELNS0_20block_sort_algorithmE0EEENS0_14default_configENS1_37merge_sort_block_sort_config_selectorIssEENS1_38merge_sort_block_merge_config_selectorIssEEEEvv,comdat
	.protected	_ZN7rocprim17ROCPRIM_400000_NS6detail44device_merge_sort_compile_time_verifier_archINS1_11comp_targetILNS1_3genE2ELNS1_11target_archE906ELNS1_3gpuE6ELNS1_3repE0EEES8_NS1_28merge_sort_block_sort_configILj256ELj4ELNS0_20block_sort_algorithmE0EEENS0_14default_configENS1_37merge_sort_block_sort_config_selectorIssEENS1_38merge_sort_block_merge_config_selectorIssEEEEvv ; -- Begin function _ZN7rocprim17ROCPRIM_400000_NS6detail44device_merge_sort_compile_time_verifier_archINS1_11comp_targetILNS1_3genE2ELNS1_11target_archE906ELNS1_3gpuE6ELNS1_3repE0EEES8_NS1_28merge_sort_block_sort_configILj256ELj4ELNS0_20block_sort_algorithmE0EEENS0_14default_configENS1_37merge_sort_block_sort_config_selectorIssEENS1_38merge_sort_block_merge_config_selectorIssEEEEvv
	.globl	_ZN7rocprim17ROCPRIM_400000_NS6detail44device_merge_sort_compile_time_verifier_archINS1_11comp_targetILNS1_3genE2ELNS1_11target_archE906ELNS1_3gpuE6ELNS1_3repE0EEES8_NS1_28merge_sort_block_sort_configILj256ELj4ELNS0_20block_sort_algorithmE0EEENS0_14default_configENS1_37merge_sort_block_sort_config_selectorIssEENS1_38merge_sort_block_merge_config_selectorIssEEEEvv
	.p2align	8
	.type	_ZN7rocprim17ROCPRIM_400000_NS6detail44device_merge_sort_compile_time_verifier_archINS1_11comp_targetILNS1_3genE2ELNS1_11target_archE906ELNS1_3gpuE6ELNS1_3repE0EEES8_NS1_28merge_sort_block_sort_configILj256ELj4ELNS0_20block_sort_algorithmE0EEENS0_14default_configENS1_37merge_sort_block_sort_config_selectorIssEENS1_38merge_sort_block_merge_config_selectorIssEEEEvv,@function
_ZN7rocprim17ROCPRIM_400000_NS6detail44device_merge_sort_compile_time_verifier_archINS1_11comp_targetILNS1_3genE2ELNS1_11target_archE906ELNS1_3gpuE6ELNS1_3repE0EEES8_NS1_28merge_sort_block_sort_configILj256ELj4ELNS0_20block_sort_algorithmE0EEENS0_14default_configENS1_37merge_sort_block_sort_config_selectorIssEENS1_38merge_sort_block_merge_config_selectorIssEEEEvv: ; @_ZN7rocprim17ROCPRIM_400000_NS6detail44device_merge_sort_compile_time_verifier_archINS1_11comp_targetILNS1_3genE2ELNS1_11target_archE906ELNS1_3gpuE6ELNS1_3repE0EEES8_NS1_28merge_sort_block_sort_configILj256ELj4ELNS0_20block_sort_algorithmE0EEENS0_14default_configENS1_37merge_sort_block_sort_config_selectorIssEENS1_38merge_sort_block_merge_config_selectorIssEEEEvv
; %bb.0:
	s_endpgm
	.section	.rodata,"a",@progbits
	.p2align	6, 0x0
	.amdhsa_kernel _ZN7rocprim17ROCPRIM_400000_NS6detail44device_merge_sort_compile_time_verifier_archINS1_11comp_targetILNS1_3genE2ELNS1_11target_archE906ELNS1_3gpuE6ELNS1_3repE0EEES8_NS1_28merge_sort_block_sort_configILj256ELj4ELNS0_20block_sort_algorithmE0EEENS0_14default_configENS1_37merge_sort_block_sort_config_selectorIssEENS1_38merge_sort_block_merge_config_selectorIssEEEEvv
		.amdhsa_group_segment_fixed_size 0
		.amdhsa_private_segment_fixed_size 0
		.amdhsa_kernarg_size 0
		.amdhsa_user_sgpr_count 0
		.amdhsa_user_sgpr_dispatch_ptr 0
		.amdhsa_user_sgpr_queue_ptr 0
		.amdhsa_user_sgpr_kernarg_segment_ptr 0
		.amdhsa_user_sgpr_dispatch_id 0
		.amdhsa_user_sgpr_kernarg_preload_length 0
		.amdhsa_user_sgpr_kernarg_preload_offset 0
		.amdhsa_user_sgpr_private_segment_size 0
		.amdhsa_uses_dynamic_stack 0
		.amdhsa_enable_private_segment 0
		.amdhsa_system_sgpr_workgroup_id_x 1
		.amdhsa_system_sgpr_workgroup_id_y 0
		.amdhsa_system_sgpr_workgroup_id_z 0
		.amdhsa_system_sgpr_workgroup_info 0
		.amdhsa_system_vgpr_workitem_id 0
		.amdhsa_next_free_vgpr 1
		.amdhsa_next_free_sgpr 0
		.amdhsa_accum_offset 4
		.amdhsa_reserve_vcc 0
		.amdhsa_float_round_mode_32 0
		.amdhsa_float_round_mode_16_64 0
		.amdhsa_float_denorm_mode_32 3
		.amdhsa_float_denorm_mode_16_64 3
		.amdhsa_dx10_clamp 1
		.amdhsa_ieee_mode 1
		.amdhsa_fp16_overflow 0
		.amdhsa_tg_split 0
		.amdhsa_exception_fp_ieee_invalid_op 0
		.amdhsa_exception_fp_denorm_src 0
		.amdhsa_exception_fp_ieee_div_zero 0
		.amdhsa_exception_fp_ieee_overflow 0
		.amdhsa_exception_fp_ieee_underflow 0
		.amdhsa_exception_fp_ieee_inexact 0
		.amdhsa_exception_int_div_zero 0
	.end_amdhsa_kernel
	.section	.text._ZN7rocprim17ROCPRIM_400000_NS6detail44device_merge_sort_compile_time_verifier_archINS1_11comp_targetILNS1_3genE2ELNS1_11target_archE906ELNS1_3gpuE6ELNS1_3repE0EEES8_NS1_28merge_sort_block_sort_configILj256ELj4ELNS0_20block_sort_algorithmE0EEENS0_14default_configENS1_37merge_sort_block_sort_config_selectorIssEENS1_38merge_sort_block_merge_config_selectorIssEEEEvv,"axG",@progbits,_ZN7rocprim17ROCPRIM_400000_NS6detail44device_merge_sort_compile_time_verifier_archINS1_11comp_targetILNS1_3genE2ELNS1_11target_archE906ELNS1_3gpuE6ELNS1_3repE0EEES8_NS1_28merge_sort_block_sort_configILj256ELj4ELNS0_20block_sort_algorithmE0EEENS0_14default_configENS1_37merge_sort_block_sort_config_selectorIssEENS1_38merge_sort_block_merge_config_selectorIssEEEEvv,comdat
.Lfunc_end1505:
	.size	_ZN7rocprim17ROCPRIM_400000_NS6detail44device_merge_sort_compile_time_verifier_archINS1_11comp_targetILNS1_3genE2ELNS1_11target_archE906ELNS1_3gpuE6ELNS1_3repE0EEES8_NS1_28merge_sort_block_sort_configILj256ELj4ELNS0_20block_sort_algorithmE0EEENS0_14default_configENS1_37merge_sort_block_sort_config_selectorIssEENS1_38merge_sort_block_merge_config_selectorIssEEEEvv, .Lfunc_end1505-_ZN7rocprim17ROCPRIM_400000_NS6detail44device_merge_sort_compile_time_verifier_archINS1_11comp_targetILNS1_3genE2ELNS1_11target_archE906ELNS1_3gpuE6ELNS1_3repE0EEES8_NS1_28merge_sort_block_sort_configILj256ELj4ELNS0_20block_sort_algorithmE0EEENS0_14default_configENS1_37merge_sort_block_sort_config_selectorIssEENS1_38merge_sort_block_merge_config_selectorIssEEEEvv
                                        ; -- End function
	.set _ZN7rocprim17ROCPRIM_400000_NS6detail44device_merge_sort_compile_time_verifier_archINS1_11comp_targetILNS1_3genE2ELNS1_11target_archE906ELNS1_3gpuE6ELNS1_3repE0EEES8_NS1_28merge_sort_block_sort_configILj256ELj4ELNS0_20block_sort_algorithmE0EEENS0_14default_configENS1_37merge_sort_block_sort_config_selectorIssEENS1_38merge_sort_block_merge_config_selectorIssEEEEvv.num_vgpr, 0
	.set _ZN7rocprim17ROCPRIM_400000_NS6detail44device_merge_sort_compile_time_verifier_archINS1_11comp_targetILNS1_3genE2ELNS1_11target_archE906ELNS1_3gpuE6ELNS1_3repE0EEES8_NS1_28merge_sort_block_sort_configILj256ELj4ELNS0_20block_sort_algorithmE0EEENS0_14default_configENS1_37merge_sort_block_sort_config_selectorIssEENS1_38merge_sort_block_merge_config_selectorIssEEEEvv.num_agpr, 0
	.set _ZN7rocprim17ROCPRIM_400000_NS6detail44device_merge_sort_compile_time_verifier_archINS1_11comp_targetILNS1_3genE2ELNS1_11target_archE906ELNS1_3gpuE6ELNS1_3repE0EEES8_NS1_28merge_sort_block_sort_configILj256ELj4ELNS0_20block_sort_algorithmE0EEENS0_14default_configENS1_37merge_sort_block_sort_config_selectorIssEENS1_38merge_sort_block_merge_config_selectorIssEEEEvv.numbered_sgpr, 0
	.set _ZN7rocprim17ROCPRIM_400000_NS6detail44device_merge_sort_compile_time_verifier_archINS1_11comp_targetILNS1_3genE2ELNS1_11target_archE906ELNS1_3gpuE6ELNS1_3repE0EEES8_NS1_28merge_sort_block_sort_configILj256ELj4ELNS0_20block_sort_algorithmE0EEENS0_14default_configENS1_37merge_sort_block_sort_config_selectorIssEENS1_38merge_sort_block_merge_config_selectorIssEEEEvv.num_named_barrier, 0
	.set _ZN7rocprim17ROCPRIM_400000_NS6detail44device_merge_sort_compile_time_verifier_archINS1_11comp_targetILNS1_3genE2ELNS1_11target_archE906ELNS1_3gpuE6ELNS1_3repE0EEES8_NS1_28merge_sort_block_sort_configILj256ELj4ELNS0_20block_sort_algorithmE0EEENS0_14default_configENS1_37merge_sort_block_sort_config_selectorIssEENS1_38merge_sort_block_merge_config_selectorIssEEEEvv.private_seg_size, 0
	.set _ZN7rocprim17ROCPRIM_400000_NS6detail44device_merge_sort_compile_time_verifier_archINS1_11comp_targetILNS1_3genE2ELNS1_11target_archE906ELNS1_3gpuE6ELNS1_3repE0EEES8_NS1_28merge_sort_block_sort_configILj256ELj4ELNS0_20block_sort_algorithmE0EEENS0_14default_configENS1_37merge_sort_block_sort_config_selectorIssEENS1_38merge_sort_block_merge_config_selectorIssEEEEvv.uses_vcc, 0
	.set _ZN7rocprim17ROCPRIM_400000_NS6detail44device_merge_sort_compile_time_verifier_archINS1_11comp_targetILNS1_3genE2ELNS1_11target_archE906ELNS1_3gpuE6ELNS1_3repE0EEES8_NS1_28merge_sort_block_sort_configILj256ELj4ELNS0_20block_sort_algorithmE0EEENS0_14default_configENS1_37merge_sort_block_sort_config_selectorIssEENS1_38merge_sort_block_merge_config_selectorIssEEEEvv.uses_flat_scratch, 0
	.set _ZN7rocprim17ROCPRIM_400000_NS6detail44device_merge_sort_compile_time_verifier_archINS1_11comp_targetILNS1_3genE2ELNS1_11target_archE906ELNS1_3gpuE6ELNS1_3repE0EEES8_NS1_28merge_sort_block_sort_configILj256ELj4ELNS0_20block_sort_algorithmE0EEENS0_14default_configENS1_37merge_sort_block_sort_config_selectorIssEENS1_38merge_sort_block_merge_config_selectorIssEEEEvv.has_dyn_sized_stack, 0
	.set _ZN7rocprim17ROCPRIM_400000_NS6detail44device_merge_sort_compile_time_verifier_archINS1_11comp_targetILNS1_3genE2ELNS1_11target_archE906ELNS1_3gpuE6ELNS1_3repE0EEES8_NS1_28merge_sort_block_sort_configILj256ELj4ELNS0_20block_sort_algorithmE0EEENS0_14default_configENS1_37merge_sort_block_sort_config_selectorIssEENS1_38merge_sort_block_merge_config_selectorIssEEEEvv.has_recursion, 0
	.set _ZN7rocprim17ROCPRIM_400000_NS6detail44device_merge_sort_compile_time_verifier_archINS1_11comp_targetILNS1_3genE2ELNS1_11target_archE906ELNS1_3gpuE6ELNS1_3repE0EEES8_NS1_28merge_sort_block_sort_configILj256ELj4ELNS0_20block_sort_algorithmE0EEENS0_14default_configENS1_37merge_sort_block_sort_config_selectorIssEENS1_38merge_sort_block_merge_config_selectorIssEEEEvv.has_indirect_call, 0
	.section	.AMDGPU.csdata,"",@progbits
; Kernel info:
; codeLenInByte = 4
; TotalNumSgprs: 6
; NumVgprs: 0
; NumAgprs: 0
; TotalNumVgprs: 0
; ScratchSize: 0
; MemoryBound: 0
; FloatMode: 240
; IeeeMode: 1
; LDSByteSize: 0 bytes/workgroup (compile time only)
; SGPRBlocks: 0
; VGPRBlocks: 0
; NumSGPRsForWavesPerEU: 6
; NumVGPRsForWavesPerEU: 1
; AccumOffset: 4
; Occupancy: 8
; WaveLimiterHint : 0
; COMPUTE_PGM_RSRC2:SCRATCH_EN: 0
; COMPUTE_PGM_RSRC2:USER_SGPR: 0
; COMPUTE_PGM_RSRC2:TRAP_HANDLER: 0
; COMPUTE_PGM_RSRC2:TGID_X_EN: 1
; COMPUTE_PGM_RSRC2:TGID_Y_EN: 0
; COMPUTE_PGM_RSRC2:TGID_Z_EN: 0
; COMPUTE_PGM_RSRC2:TIDIG_COMP_CNT: 0
; COMPUTE_PGM_RSRC3_GFX90A:ACCUM_OFFSET: 0
; COMPUTE_PGM_RSRC3_GFX90A:TG_SPLIT: 0
	.section	.text._ZN7rocprim17ROCPRIM_400000_NS6detail44device_merge_sort_compile_time_verifier_archINS1_11comp_targetILNS1_3genE10ELNS1_11target_archE1201ELNS1_3gpuE5ELNS1_3repE0EEES8_NS1_28merge_sort_block_sort_configILj256ELj4ELNS0_20block_sort_algorithmE0EEENS0_14default_configENS1_37merge_sort_block_sort_config_selectorIssEENS1_38merge_sort_block_merge_config_selectorIssEEEEvv,"axG",@progbits,_ZN7rocprim17ROCPRIM_400000_NS6detail44device_merge_sort_compile_time_verifier_archINS1_11comp_targetILNS1_3genE10ELNS1_11target_archE1201ELNS1_3gpuE5ELNS1_3repE0EEES8_NS1_28merge_sort_block_sort_configILj256ELj4ELNS0_20block_sort_algorithmE0EEENS0_14default_configENS1_37merge_sort_block_sort_config_selectorIssEENS1_38merge_sort_block_merge_config_selectorIssEEEEvv,comdat
	.protected	_ZN7rocprim17ROCPRIM_400000_NS6detail44device_merge_sort_compile_time_verifier_archINS1_11comp_targetILNS1_3genE10ELNS1_11target_archE1201ELNS1_3gpuE5ELNS1_3repE0EEES8_NS1_28merge_sort_block_sort_configILj256ELj4ELNS0_20block_sort_algorithmE0EEENS0_14default_configENS1_37merge_sort_block_sort_config_selectorIssEENS1_38merge_sort_block_merge_config_selectorIssEEEEvv ; -- Begin function _ZN7rocprim17ROCPRIM_400000_NS6detail44device_merge_sort_compile_time_verifier_archINS1_11comp_targetILNS1_3genE10ELNS1_11target_archE1201ELNS1_3gpuE5ELNS1_3repE0EEES8_NS1_28merge_sort_block_sort_configILj256ELj4ELNS0_20block_sort_algorithmE0EEENS0_14default_configENS1_37merge_sort_block_sort_config_selectorIssEENS1_38merge_sort_block_merge_config_selectorIssEEEEvv
	.globl	_ZN7rocprim17ROCPRIM_400000_NS6detail44device_merge_sort_compile_time_verifier_archINS1_11comp_targetILNS1_3genE10ELNS1_11target_archE1201ELNS1_3gpuE5ELNS1_3repE0EEES8_NS1_28merge_sort_block_sort_configILj256ELj4ELNS0_20block_sort_algorithmE0EEENS0_14default_configENS1_37merge_sort_block_sort_config_selectorIssEENS1_38merge_sort_block_merge_config_selectorIssEEEEvv
	.p2align	8
	.type	_ZN7rocprim17ROCPRIM_400000_NS6detail44device_merge_sort_compile_time_verifier_archINS1_11comp_targetILNS1_3genE10ELNS1_11target_archE1201ELNS1_3gpuE5ELNS1_3repE0EEES8_NS1_28merge_sort_block_sort_configILj256ELj4ELNS0_20block_sort_algorithmE0EEENS0_14default_configENS1_37merge_sort_block_sort_config_selectorIssEENS1_38merge_sort_block_merge_config_selectorIssEEEEvv,@function
_ZN7rocprim17ROCPRIM_400000_NS6detail44device_merge_sort_compile_time_verifier_archINS1_11comp_targetILNS1_3genE10ELNS1_11target_archE1201ELNS1_3gpuE5ELNS1_3repE0EEES8_NS1_28merge_sort_block_sort_configILj256ELj4ELNS0_20block_sort_algorithmE0EEENS0_14default_configENS1_37merge_sort_block_sort_config_selectorIssEENS1_38merge_sort_block_merge_config_selectorIssEEEEvv: ; @_ZN7rocprim17ROCPRIM_400000_NS6detail44device_merge_sort_compile_time_verifier_archINS1_11comp_targetILNS1_3genE10ELNS1_11target_archE1201ELNS1_3gpuE5ELNS1_3repE0EEES8_NS1_28merge_sort_block_sort_configILj256ELj4ELNS0_20block_sort_algorithmE0EEENS0_14default_configENS1_37merge_sort_block_sort_config_selectorIssEENS1_38merge_sort_block_merge_config_selectorIssEEEEvv
; %bb.0:
	s_endpgm
	.section	.rodata,"a",@progbits
	.p2align	6, 0x0
	.amdhsa_kernel _ZN7rocprim17ROCPRIM_400000_NS6detail44device_merge_sort_compile_time_verifier_archINS1_11comp_targetILNS1_3genE10ELNS1_11target_archE1201ELNS1_3gpuE5ELNS1_3repE0EEES8_NS1_28merge_sort_block_sort_configILj256ELj4ELNS0_20block_sort_algorithmE0EEENS0_14default_configENS1_37merge_sort_block_sort_config_selectorIssEENS1_38merge_sort_block_merge_config_selectorIssEEEEvv
		.amdhsa_group_segment_fixed_size 0
		.amdhsa_private_segment_fixed_size 0
		.amdhsa_kernarg_size 0
		.amdhsa_user_sgpr_count 0
		.amdhsa_user_sgpr_dispatch_ptr 0
		.amdhsa_user_sgpr_queue_ptr 0
		.amdhsa_user_sgpr_kernarg_segment_ptr 0
		.amdhsa_user_sgpr_dispatch_id 0
		.amdhsa_user_sgpr_kernarg_preload_length 0
		.amdhsa_user_sgpr_kernarg_preload_offset 0
		.amdhsa_user_sgpr_private_segment_size 0
		.amdhsa_uses_dynamic_stack 0
		.amdhsa_enable_private_segment 0
		.amdhsa_system_sgpr_workgroup_id_x 1
		.amdhsa_system_sgpr_workgroup_id_y 0
		.amdhsa_system_sgpr_workgroup_id_z 0
		.amdhsa_system_sgpr_workgroup_info 0
		.amdhsa_system_vgpr_workitem_id 0
		.amdhsa_next_free_vgpr 1
		.amdhsa_next_free_sgpr 0
		.amdhsa_accum_offset 4
		.amdhsa_reserve_vcc 0
		.amdhsa_float_round_mode_32 0
		.amdhsa_float_round_mode_16_64 0
		.amdhsa_float_denorm_mode_32 3
		.amdhsa_float_denorm_mode_16_64 3
		.amdhsa_dx10_clamp 1
		.amdhsa_ieee_mode 1
		.amdhsa_fp16_overflow 0
		.amdhsa_tg_split 0
		.amdhsa_exception_fp_ieee_invalid_op 0
		.amdhsa_exception_fp_denorm_src 0
		.amdhsa_exception_fp_ieee_div_zero 0
		.amdhsa_exception_fp_ieee_overflow 0
		.amdhsa_exception_fp_ieee_underflow 0
		.amdhsa_exception_fp_ieee_inexact 0
		.amdhsa_exception_int_div_zero 0
	.end_amdhsa_kernel
	.section	.text._ZN7rocprim17ROCPRIM_400000_NS6detail44device_merge_sort_compile_time_verifier_archINS1_11comp_targetILNS1_3genE10ELNS1_11target_archE1201ELNS1_3gpuE5ELNS1_3repE0EEES8_NS1_28merge_sort_block_sort_configILj256ELj4ELNS0_20block_sort_algorithmE0EEENS0_14default_configENS1_37merge_sort_block_sort_config_selectorIssEENS1_38merge_sort_block_merge_config_selectorIssEEEEvv,"axG",@progbits,_ZN7rocprim17ROCPRIM_400000_NS6detail44device_merge_sort_compile_time_verifier_archINS1_11comp_targetILNS1_3genE10ELNS1_11target_archE1201ELNS1_3gpuE5ELNS1_3repE0EEES8_NS1_28merge_sort_block_sort_configILj256ELj4ELNS0_20block_sort_algorithmE0EEENS0_14default_configENS1_37merge_sort_block_sort_config_selectorIssEENS1_38merge_sort_block_merge_config_selectorIssEEEEvv,comdat
.Lfunc_end1506:
	.size	_ZN7rocprim17ROCPRIM_400000_NS6detail44device_merge_sort_compile_time_verifier_archINS1_11comp_targetILNS1_3genE10ELNS1_11target_archE1201ELNS1_3gpuE5ELNS1_3repE0EEES8_NS1_28merge_sort_block_sort_configILj256ELj4ELNS0_20block_sort_algorithmE0EEENS0_14default_configENS1_37merge_sort_block_sort_config_selectorIssEENS1_38merge_sort_block_merge_config_selectorIssEEEEvv, .Lfunc_end1506-_ZN7rocprim17ROCPRIM_400000_NS6detail44device_merge_sort_compile_time_verifier_archINS1_11comp_targetILNS1_3genE10ELNS1_11target_archE1201ELNS1_3gpuE5ELNS1_3repE0EEES8_NS1_28merge_sort_block_sort_configILj256ELj4ELNS0_20block_sort_algorithmE0EEENS0_14default_configENS1_37merge_sort_block_sort_config_selectorIssEENS1_38merge_sort_block_merge_config_selectorIssEEEEvv
                                        ; -- End function
	.set _ZN7rocprim17ROCPRIM_400000_NS6detail44device_merge_sort_compile_time_verifier_archINS1_11comp_targetILNS1_3genE10ELNS1_11target_archE1201ELNS1_3gpuE5ELNS1_3repE0EEES8_NS1_28merge_sort_block_sort_configILj256ELj4ELNS0_20block_sort_algorithmE0EEENS0_14default_configENS1_37merge_sort_block_sort_config_selectorIssEENS1_38merge_sort_block_merge_config_selectorIssEEEEvv.num_vgpr, 0
	.set _ZN7rocprim17ROCPRIM_400000_NS6detail44device_merge_sort_compile_time_verifier_archINS1_11comp_targetILNS1_3genE10ELNS1_11target_archE1201ELNS1_3gpuE5ELNS1_3repE0EEES8_NS1_28merge_sort_block_sort_configILj256ELj4ELNS0_20block_sort_algorithmE0EEENS0_14default_configENS1_37merge_sort_block_sort_config_selectorIssEENS1_38merge_sort_block_merge_config_selectorIssEEEEvv.num_agpr, 0
	.set _ZN7rocprim17ROCPRIM_400000_NS6detail44device_merge_sort_compile_time_verifier_archINS1_11comp_targetILNS1_3genE10ELNS1_11target_archE1201ELNS1_3gpuE5ELNS1_3repE0EEES8_NS1_28merge_sort_block_sort_configILj256ELj4ELNS0_20block_sort_algorithmE0EEENS0_14default_configENS1_37merge_sort_block_sort_config_selectorIssEENS1_38merge_sort_block_merge_config_selectorIssEEEEvv.numbered_sgpr, 0
	.set _ZN7rocprim17ROCPRIM_400000_NS6detail44device_merge_sort_compile_time_verifier_archINS1_11comp_targetILNS1_3genE10ELNS1_11target_archE1201ELNS1_3gpuE5ELNS1_3repE0EEES8_NS1_28merge_sort_block_sort_configILj256ELj4ELNS0_20block_sort_algorithmE0EEENS0_14default_configENS1_37merge_sort_block_sort_config_selectorIssEENS1_38merge_sort_block_merge_config_selectorIssEEEEvv.num_named_barrier, 0
	.set _ZN7rocprim17ROCPRIM_400000_NS6detail44device_merge_sort_compile_time_verifier_archINS1_11comp_targetILNS1_3genE10ELNS1_11target_archE1201ELNS1_3gpuE5ELNS1_3repE0EEES8_NS1_28merge_sort_block_sort_configILj256ELj4ELNS0_20block_sort_algorithmE0EEENS0_14default_configENS1_37merge_sort_block_sort_config_selectorIssEENS1_38merge_sort_block_merge_config_selectorIssEEEEvv.private_seg_size, 0
	.set _ZN7rocprim17ROCPRIM_400000_NS6detail44device_merge_sort_compile_time_verifier_archINS1_11comp_targetILNS1_3genE10ELNS1_11target_archE1201ELNS1_3gpuE5ELNS1_3repE0EEES8_NS1_28merge_sort_block_sort_configILj256ELj4ELNS0_20block_sort_algorithmE0EEENS0_14default_configENS1_37merge_sort_block_sort_config_selectorIssEENS1_38merge_sort_block_merge_config_selectorIssEEEEvv.uses_vcc, 0
	.set _ZN7rocprim17ROCPRIM_400000_NS6detail44device_merge_sort_compile_time_verifier_archINS1_11comp_targetILNS1_3genE10ELNS1_11target_archE1201ELNS1_3gpuE5ELNS1_3repE0EEES8_NS1_28merge_sort_block_sort_configILj256ELj4ELNS0_20block_sort_algorithmE0EEENS0_14default_configENS1_37merge_sort_block_sort_config_selectorIssEENS1_38merge_sort_block_merge_config_selectorIssEEEEvv.uses_flat_scratch, 0
	.set _ZN7rocprim17ROCPRIM_400000_NS6detail44device_merge_sort_compile_time_verifier_archINS1_11comp_targetILNS1_3genE10ELNS1_11target_archE1201ELNS1_3gpuE5ELNS1_3repE0EEES8_NS1_28merge_sort_block_sort_configILj256ELj4ELNS0_20block_sort_algorithmE0EEENS0_14default_configENS1_37merge_sort_block_sort_config_selectorIssEENS1_38merge_sort_block_merge_config_selectorIssEEEEvv.has_dyn_sized_stack, 0
	.set _ZN7rocprim17ROCPRIM_400000_NS6detail44device_merge_sort_compile_time_verifier_archINS1_11comp_targetILNS1_3genE10ELNS1_11target_archE1201ELNS1_3gpuE5ELNS1_3repE0EEES8_NS1_28merge_sort_block_sort_configILj256ELj4ELNS0_20block_sort_algorithmE0EEENS0_14default_configENS1_37merge_sort_block_sort_config_selectorIssEENS1_38merge_sort_block_merge_config_selectorIssEEEEvv.has_recursion, 0
	.set _ZN7rocprim17ROCPRIM_400000_NS6detail44device_merge_sort_compile_time_verifier_archINS1_11comp_targetILNS1_3genE10ELNS1_11target_archE1201ELNS1_3gpuE5ELNS1_3repE0EEES8_NS1_28merge_sort_block_sort_configILj256ELj4ELNS0_20block_sort_algorithmE0EEENS0_14default_configENS1_37merge_sort_block_sort_config_selectorIssEENS1_38merge_sort_block_merge_config_selectorIssEEEEvv.has_indirect_call, 0
	.section	.AMDGPU.csdata,"",@progbits
; Kernel info:
; codeLenInByte = 4
; TotalNumSgprs: 6
; NumVgprs: 0
; NumAgprs: 0
; TotalNumVgprs: 0
; ScratchSize: 0
; MemoryBound: 0
; FloatMode: 240
; IeeeMode: 1
; LDSByteSize: 0 bytes/workgroup (compile time only)
; SGPRBlocks: 0
; VGPRBlocks: 0
; NumSGPRsForWavesPerEU: 6
; NumVGPRsForWavesPerEU: 1
; AccumOffset: 4
; Occupancy: 8
; WaveLimiterHint : 0
; COMPUTE_PGM_RSRC2:SCRATCH_EN: 0
; COMPUTE_PGM_RSRC2:USER_SGPR: 0
; COMPUTE_PGM_RSRC2:TRAP_HANDLER: 0
; COMPUTE_PGM_RSRC2:TGID_X_EN: 1
; COMPUTE_PGM_RSRC2:TGID_Y_EN: 0
; COMPUTE_PGM_RSRC2:TGID_Z_EN: 0
; COMPUTE_PGM_RSRC2:TIDIG_COMP_CNT: 0
; COMPUTE_PGM_RSRC3_GFX90A:ACCUM_OFFSET: 0
; COMPUTE_PGM_RSRC3_GFX90A:TG_SPLIT: 0
	.section	.text._ZN7rocprim17ROCPRIM_400000_NS6detail44device_merge_sort_compile_time_verifier_archINS1_11comp_targetILNS1_3genE10ELNS1_11target_archE1200ELNS1_3gpuE4ELNS1_3repE0EEENS3_ILS4_10ELS5_1201ELS6_5ELS7_0EEENS1_28merge_sort_block_sort_configILj256ELj4ELNS0_20block_sort_algorithmE0EEENS0_14default_configENS1_37merge_sort_block_sort_config_selectorIssEENS1_38merge_sort_block_merge_config_selectorIssEEEEvv,"axG",@progbits,_ZN7rocprim17ROCPRIM_400000_NS6detail44device_merge_sort_compile_time_verifier_archINS1_11comp_targetILNS1_3genE10ELNS1_11target_archE1200ELNS1_3gpuE4ELNS1_3repE0EEENS3_ILS4_10ELS5_1201ELS6_5ELS7_0EEENS1_28merge_sort_block_sort_configILj256ELj4ELNS0_20block_sort_algorithmE0EEENS0_14default_configENS1_37merge_sort_block_sort_config_selectorIssEENS1_38merge_sort_block_merge_config_selectorIssEEEEvv,comdat
	.protected	_ZN7rocprim17ROCPRIM_400000_NS6detail44device_merge_sort_compile_time_verifier_archINS1_11comp_targetILNS1_3genE10ELNS1_11target_archE1200ELNS1_3gpuE4ELNS1_3repE0EEENS3_ILS4_10ELS5_1201ELS6_5ELS7_0EEENS1_28merge_sort_block_sort_configILj256ELj4ELNS0_20block_sort_algorithmE0EEENS0_14default_configENS1_37merge_sort_block_sort_config_selectorIssEENS1_38merge_sort_block_merge_config_selectorIssEEEEvv ; -- Begin function _ZN7rocprim17ROCPRIM_400000_NS6detail44device_merge_sort_compile_time_verifier_archINS1_11comp_targetILNS1_3genE10ELNS1_11target_archE1200ELNS1_3gpuE4ELNS1_3repE0EEENS3_ILS4_10ELS5_1201ELS6_5ELS7_0EEENS1_28merge_sort_block_sort_configILj256ELj4ELNS0_20block_sort_algorithmE0EEENS0_14default_configENS1_37merge_sort_block_sort_config_selectorIssEENS1_38merge_sort_block_merge_config_selectorIssEEEEvv
	.globl	_ZN7rocprim17ROCPRIM_400000_NS6detail44device_merge_sort_compile_time_verifier_archINS1_11comp_targetILNS1_3genE10ELNS1_11target_archE1200ELNS1_3gpuE4ELNS1_3repE0EEENS3_ILS4_10ELS5_1201ELS6_5ELS7_0EEENS1_28merge_sort_block_sort_configILj256ELj4ELNS0_20block_sort_algorithmE0EEENS0_14default_configENS1_37merge_sort_block_sort_config_selectorIssEENS1_38merge_sort_block_merge_config_selectorIssEEEEvv
	.p2align	8
	.type	_ZN7rocprim17ROCPRIM_400000_NS6detail44device_merge_sort_compile_time_verifier_archINS1_11comp_targetILNS1_3genE10ELNS1_11target_archE1200ELNS1_3gpuE4ELNS1_3repE0EEENS3_ILS4_10ELS5_1201ELS6_5ELS7_0EEENS1_28merge_sort_block_sort_configILj256ELj4ELNS0_20block_sort_algorithmE0EEENS0_14default_configENS1_37merge_sort_block_sort_config_selectorIssEENS1_38merge_sort_block_merge_config_selectorIssEEEEvv,@function
_ZN7rocprim17ROCPRIM_400000_NS6detail44device_merge_sort_compile_time_verifier_archINS1_11comp_targetILNS1_3genE10ELNS1_11target_archE1200ELNS1_3gpuE4ELNS1_3repE0EEENS3_ILS4_10ELS5_1201ELS6_5ELS7_0EEENS1_28merge_sort_block_sort_configILj256ELj4ELNS0_20block_sort_algorithmE0EEENS0_14default_configENS1_37merge_sort_block_sort_config_selectorIssEENS1_38merge_sort_block_merge_config_selectorIssEEEEvv: ; @_ZN7rocprim17ROCPRIM_400000_NS6detail44device_merge_sort_compile_time_verifier_archINS1_11comp_targetILNS1_3genE10ELNS1_11target_archE1200ELNS1_3gpuE4ELNS1_3repE0EEENS3_ILS4_10ELS5_1201ELS6_5ELS7_0EEENS1_28merge_sort_block_sort_configILj256ELj4ELNS0_20block_sort_algorithmE0EEENS0_14default_configENS1_37merge_sort_block_sort_config_selectorIssEENS1_38merge_sort_block_merge_config_selectorIssEEEEvv
; %bb.0:
	s_endpgm
	.section	.rodata,"a",@progbits
	.p2align	6, 0x0
	.amdhsa_kernel _ZN7rocprim17ROCPRIM_400000_NS6detail44device_merge_sort_compile_time_verifier_archINS1_11comp_targetILNS1_3genE10ELNS1_11target_archE1200ELNS1_3gpuE4ELNS1_3repE0EEENS3_ILS4_10ELS5_1201ELS6_5ELS7_0EEENS1_28merge_sort_block_sort_configILj256ELj4ELNS0_20block_sort_algorithmE0EEENS0_14default_configENS1_37merge_sort_block_sort_config_selectorIssEENS1_38merge_sort_block_merge_config_selectorIssEEEEvv
		.amdhsa_group_segment_fixed_size 0
		.amdhsa_private_segment_fixed_size 0
		.amdhsa_kernarg_size 0
		.amdhsa_user_sgpr_count 0
		.amdhsa_user_sgpr_dispatch_ptr 0
		.amdhsa_user_sgpr_queue_ptr 0
		.amdhsa_user_sgpr_kernarg_segment_ptr 0
		.amdhsa_user_sgpr_dispatch_id 0
		.amdhsa_user_sgpr_kernarg_preload_length 0
		.amdhsa_user_sgpr_kernarg_preload_offset 0
		.amdhsa_user_sgpr_private_segment_size 0
		.amdhsa_uses_dynamic_stack 0
		.amdhsa_enable_private_segment 0
		.amdhsa_system_sgpr_workgroup_id_x 1
		.amdhsa_system_sgpr_workgroup_id_y 0
		.amdhsa_system_sgpr_workgroup_id_z 0
		.amdhsa_system_sgpr_workgroup_info 0
		.amdhsa_system_vgpr_workitem_id 0
		.amdhsa_next_free_vgpr 1
		.amdhsa_next_free_sgpr 0
		.amdhsa_accum_offset 4
		.amdhsa_reserve_vcc 0
		.amdhsa_float_round_mode_32 0
		.amdhsa_float_round_mode_16_64 0
		.amdhsa_float_denorm_mode_32 3
		.amdhsa_float_denorm_mode_16_64 3
		.amdhsa_dx10_clamp 1
		.amdhsa_ieee_mode 1
		.amdhsa_fp16_overflow 0
		.amdhsa_tg_split 0
		.amdhsa_exception_fp_ieee_invalid_op 0
		.amdhsa_exception_fp_denorm_src 0
		.amdhsa_exception_fp_ieee_div_zero 0
		.amdhsa_exception_fp_ieee_overflow 0
		.amdhsa_exception_fp_ieee_underflow 0
		.amdhsa_exception_fp_ieee_inexact 0
		.amdhsa_exception_int_div_zero 0
	.end_amdhsa_kernel
	.section	.text._ZN7rocprim17ROCPRIM_400000_NS6detail44device_merge_sort_compile_time_verifier_archINS1_11comp_targetILNS1_3genE10ELNS1_11target_archE1200ELNS1_3gpuE4ELNS1_3repE0EEENS3_ILS4_10ELS5_1201ELS6_5ELS7_0EEENS1_28merge_sort_block_sort_configILj256ELj4ELNS0_20block_sort_algorithmE0EEENS0_14default_configENS1_37merge_sort_block_sort_config_selectorIssEENS1_38merge_sort_block_merge_config_selectorIssEEEEvv,"axG",@progbits,_ZN7rocprim17ROCPRIM_400000_NS6detail44device_merge_sort_compile_time_verifier_archINS1_11comp_targetILNS1_3genE10ELNS1_11target_archE1200ELNS1_3gpuE4ELNS1_3repE0EEENS3_ILS4_10ELS5_1201ELS6_5ELS7_0EEENS1_28merge_sort_block_sort_configILj256ELj4ELNS0_20block_sort_algorithmE0EEENS0_14default_configENS1_37merge_sort_block_sort_config_selectorIssEENS1_38merge_sort_block_merge_config_selectorIssEEEEvv,comdat
.Lfunc_end1507:
	.size	_ZN7rocprim17ROCPRIM_400000_NS6detail44device_merge_sort_compile_time_verifier_archINS1_11comp_targetILNS1_3genE10ELNS1_11target_archE1200ELNS1_3gpuE4ELNS1_3repE0EEENS3_ILS4_10ELS5_1201ELS6_5ELS7_0EEENS1_28merge_sort_block_sort_configILj256ELj4ELNS0_20block_sort_algorithmE0EEENS0_14default_configENS1_37merge_sort_block_sort_config_selectorIssEENS1_38merge_sort_block_merge_config_selectorIssEEEEvv, .Lfunc_end1507-_ZN7rocprim17ROCPRIM_400000_NS6detail44device_merge_sort_compile_time_verifier_archINS1_11comp_targetILNS1_3genE10ELNS1_11target_archE1200ELNS1_3gpuE4ELNS1_3repE0EEENS3_ILS4_10ELS5_1201ELS6_5ELS7_0EEENS1_28merge_sort_block_sort_configILj256ELj4ELNS0_20block_sort_algorithmE0EEENS0_14default_configENS1_37merge_sort_block_sort_config_selectorIssEENS1_38merge_sort_block_merge_config_selectorIssEEEEvv
                                        ; -- End function
	.set _ZN7rocprim17ROCPRIM_400000_NS6detail44device_merge_sort_compile_time_verifier_archINS1_11comp_targetILNS1_3genE10ELNS1_11target_archE1200ELNS1_3gpuE4ELNS1_3repE0EEENS3_ILS4_10ELS5_1201ELS6_5ELS7_0EEENS1_28merge_sort_block_sort_configILj256ELj4ELNS0_20block_sort_algorithmE0EEENS0_14default_configENS1_37merge_sort_block_sort_config_selectorIssEENS1_38merge_sort_block_merge_config_selectorIssEEEEvv.num_vgpr, 0
	.set _ZN7rocprim17ROCPRIM_400000_NS6detail44device_merge_sort_compile_time_verifier_archINS1_11comp_targetILNS1_3genE10ELNS1_11target_archE1200ELNS1_3gpuE4ELNS1_3repE0EEENS3_ILS4_10ELS5_1201ELS6_5ELS7_0EEENS1_28merge_sort_block_sort_configILj256ELj4ELNS0_20block_sort_algorithmE0EEENS0_14default_configENS1_37merge_sort_block_sort_config_selectorIssEENS1_38merge_sort_block_merge_config_selectorIssEEEEvv.num_agpr, 0
	.set _ZN7rocprim17ROCPRIM_400000_NS6detail44device_merge_sort_compile_time_verifier_archINS1_11comp_targetILNS1_3genE10ELNS1_11target_archE1200ELNS1_3gpuE4ELNS1_3repE0EEENS3_ILS4_10ELS5_1201ELS6_5ELS7_0EEENS1_28merge_sort_block_sort_configILj256ELj4ELNS0_20block_sort_algorithmE0EEENS0_14default_configENS1_37merge_sort_block_sort_config_selectorIssEENS1_38merge_sort_block_merge_config_selectorIssEEEEvv.numbered_sgpr, 0
	.set _ZN7rocprim17ROCPRIM_400000_NS6detail44device_merge_sort_compile_time_verifier_archINS1_11comp_targetILNS1_3genE10ELNS1_11target_archE1200ELNS1_3gpuE4ELNS1_3repE0EEENS3_ILS4_10ELS5_1201ELS6_5ELS7_0EEENS1_28merge_sort_block_sort_configILj256ELj4ELNS0_20block_sort_algorithmE0EEENS0_14default_configENS1_37merge_sort_block_sort_config_selectorIssEENS1_38merge_sort_block_merge_config_selectorIssEEEEvv.num_named_barrier, 0
	.set _ZN7rocprim17ROCPRIM_400000_NS6detail44device_merge_sort_compile_time_verifier_archINS1_11comp_targetILNS1_3genE10ELNS1_11target_archE1200ELNS1_3gpuE4ELNS1_3repE0EEENS3_ILS4_10ELS5_1201ELS6_5ELS7_0EEENS1_28merge_sort_block_sort_configILj256ELj4ELNS0_20block_sort_algorithmE0EEENS0_14default_configENS1_37merge_sort_block_sort_config_selectorIssEENS1_38merge_sort_block_merge_config_selectorIssEEEEvv.private_seg_size, 0
	.set _ZN7rocprim17ROCPRIM_400000_NS6detail44device_merge_sort_compile_time_verifier_archINS1_11comp_targetILNS1_3genE10ELNS1_11target_archE1200ELNS1_3gpuE4ELNS1_3repE0EEENS3_ILS4_10ELS5_1201ELS6_5ELS7_0EEENS1_28merge_sort_block_sort_configILj256ELj4ELNS0_20block_sort_algorithmE0EEENS0_14default_configENS1_37merge_sort_block_sort_config_selectorIssEENS1_38merge_sort_block_merge_config_selectorIssEEEEvv.uses_vcc, 0
	.set _ZN7rocprim17ROCPRIM_400000_NS6detail44device_merge_sort_compile_time_verifier_archINS1_11comp_targetILNS1_3genE10ELNS1_11target_archE1200ELNS1_3gpuE4ELNS1_3repE0EEENS3_ILS4_10ELS5_1201ELS6_5ELS7_0EEENS1_28merge_sort_block_sort_configILj256ELj4ELNS0_20block_sort_algorithmE0EEENS0_14default_configENS1_37merge_sort_block_sort_config_selectorIssEENS1_38merge_sort_block_merge_config_selectorIssEEEEvv.uses_flat_scratch, 0
	.set _ZN7rocprim17ROCPRIM_400000_NS6detail44device_merge_sort_compile_time_verifier_archINS1_11comp_targetILNS1_3genE10ELNS1_11target_archE1200ELNS1_3gpuE4ELNS1_3repE0EEENS3_ILS4_10ELS5_1201ELS6_5ELS7_0EEENS1_28merge_sort_block_sort_configILj256ELj4ELNS0_20block_sort_algorithmE0EEENS0_14default_configENS1_37merge_sort_block_sort_config_selectorIssEENS1_38merge_sort_block_merge_config_selectorIssEEEEvv.has_dyn_sized_stack, 0
	.set _ZN7rocprim17ROCPRIM_400000_NS6detail44device_merge_sort_compile_time_verifier_archINS1_11comp_targetILNS1_3genE10ELNS1_11target_archE1200ELNS1_3gpuE4ELNS1_3repE0EEENS3_ILS4_10ELS5_1201ELS6_5ELS7_0EEENS1_28merge_sort_block_sort_configILj256ELj4ELNS0_20block_sort_algorithmE0EEENS0_14default_configENS1_37merge_sort_block_sort_config_selectorIssEENS1_38merge_sort_block_merge_config_selectorIssEEEEvv.has_recursion, 0
	.set _ZN7rocprim17ROCPRIM_400000_NS6detail44device_merge_sort_compile_time_verifier_archINS1_11comp_targetILNS1_3genE10ELNS1_11target_archE1200ELNS1_3gpuE4ELNS1_3repE0EEENS3_ILS4_10ELS5_1201ELS6_5ELS7_0EEENS1_28merge_sort_block_sort_configILj256ELj4ELNS0_20block_sort_algorithmE0EEENS0_14default_configENS1_37merge_sort_block_sort_config_selectorIssEENS1_38merge_sort_block_merge_config_selectorIssEEEEvv.has_indirect_call, 0
	.section	.AMDGPU.csdata,"",@progbits
; Kernel info:
; codeLenInByte = 4
; TotalNumSgprs: 6
; NumVgprs: 0
; NumAgprs: 0
; TotalNumVgprs: 0
; ScratchSize: 0
; MemoryBound: 0
; FloatMode: 240
; IeeeMode: 1
; LDSByteSize: 0 bytes/workgroup (compile time only)
; SGPRBlocks: 0
; VGPRBlocks: 0
; NumSGPRsForWavesPerEU: 6
; NumVGPRsForWavesPerEU: 1
; AccumOffset: 4
; Occupancy: 8
; WaveLimiterHint : 0
; COMPUTE_PGM_RSRC2:SCRATCH_EN: 0
; COMPUTE_PGM_RSRC2:USER_SGPR: 0
; COMPUTE_PGM_RSRC2:TRAP_HANDLER: 0
; COMPUTE_PGM_RSRC2:TGID_X_EN: 1
; COMPUTE_PGM_RSRC2:TGID_Y_EN: 0
; COMPUTE_PGM_RSRC2:TGID_Z_EN: 0
; COMPUTE_PGM_RSRC2:TIDIG_COMP_CNT: 0
; COMPUTE_PGM_RSRC3_GFX90A:ACCUM_OFFSET: 0
; COMPUTE_PGM_RSRC3_GFX90A:TG_SPLIT: 0
	.section	.text._ZN7rocprim17ROCPRIM_400000_NS6detail44device_merge_sort_compile_time_verifier_archINS1_11comp_targetILNS1_3genE9ELNS1_11target_archE1100ELNS1_3gpuE3ELNS1_3repE0EEES8_NS1_28merge_sort_block_sort_configILj256ELj4ELNS0_20block_sort_algorithmE0EEENS0_14default_configENS1_37merge_sort_block_sort_config_selectorIssEENS1_38merge_sort_block_merge_config_selectorIssEEEEvv,"axG",@progbits,_ZN7rocprim17ROCPRIM_400000_NS6detail44device_merge_sort_compile_time_verifier_archINS1_11comp_targetILNS1_3genE9ELNS1_11target_archE1100ELNS1_3gpuE3ELNS1_3repE0EEES8_NS1_28merge_sort_block_sort_configILj256ELj4ELNS0_20block_sort_algorithmE0EEENS0_14default_configENS1_37merge_sort_block_sort_config_selectorIssEENS1_38merge_sort_block_merge_config_selectorIssEEEEvv,comdat
	.protected	_ZN7rocprim17ROCPRIM_400000_NS6detail44device_merge_sort_compile_time_verifier_archINS1_11comp_targetILNS1_3genE9ELNS1_11target_archE1100ELNS1_3gpuE3ELNS1_3repE0EEES8_NS1_28merge_sort_block_sort_configILj256ELj4ELNS0_20block_sort_algorithmE0EEENS0_14default_configENS1_37merge_sort_block_sort_config_selectorIssEENS1_38merge_sort_block_merge_config_selectorIssEEEEvv ; -- Begin function _ZN7rocprim17ROCPRIM_400000_NS6detail44device_merge_sort_compile_time_verifier_archINS1_11comp_targetILNS1_3genE9ELNS1_11target_archE1100ELNS1_3gpuE3ELNS1_3repE0EEES8_NS1_28merge_sort_block_sort_configILj256ELj4ELNS0_20block_sort_algorithmE0EEENS0_14default_configENS1_37merge_sort_block_sort_config_selectorIssEENS1_38merge_sort_block_merge_config_selectorIssEEEEvv
	.globl	_ZN7rocprim17ROCPRIM_400000_NS6detail44device_merge_sort_compile_time_verifier_archINS1_11comp_targetILNS1_3genE9ELNS1_11target_archE1100ELNS1_3gpuE3ELNS1_3repE0EEES8_NS1_28merge_sort_block_sort_configILj256ELj4ELNS0_20block_sort_algorithmE0EEENS0_14default_configENS1_37merge_sort_block_sort_config_selectorIssEENS1_38merge_sort_block_merge_config_selectorIssEEEEvv
	.p2align	8
	.type	_ZN7rocprim17ROCPRIM_400000_NS6detail44device_merge_sort_compile_time_verifier_archINS1_11comp_targetILNS1_3genE9ELNS1_11target_archE1100ELNS1_3gpuE3ELNS1_3repE0EEES8_NS1_28merge_sort_block_sort_configILj256ELj4ELNS0_20block_sort_algorithmE0EEENS0_14default_configENS1_37merge_sort_block_sort_config_selectorIssEENS1_38merge_sort_block_merge_config_selectorIssEEEEvv,@function
_ZN7rocprim17ROCPRIM_400000_NS6detail44device_merge_sort_compile_time_verifier_archINS1_11comp_targetILNS1_3genE9ELNS1_11target_archE1100ELNS1_3gpuE3ELNS1_3repE0EEES8_NS1_28merge_sort_block_sort_configILj256ELj4ELNS0_20block_sort_algorithmE0EEENS0_14default_configENS1_37merge_sort_block_sort_config_selectorIssEENS1_38merge_sort_block_merge_config_selectorIssEEEEvv: ; @_ZN7rocprim17ROCPRIM_400000_NS6detail44device_merge_sort_compile_time_verifier_archINS1_11comp_targetILNS1_3genE9ELNS1_11target_archE1100ELNS1_3gpuE3ELNS1_3repE0EEES8_NS1_28merge_sort_block_sort_configILj256ELj4ELNS0_20block_sort_algorithmE0EEENS0_14default_configENS1_37merge_sort_block_sort_config_selectorIssEENS1_38merge_sort_block_merge_config_selectorIssEEEEvv
; %bb.0:
	s_endpgm
	.section	.rodata,"a",@progbits
	.p2align	6, 0x0
	.amdhsa_kernel _ZN7rocprim17ROCPRIM_400000_NS6detail44device_merge_sort_compile_time_verifier_archINS1_11comp_targetILNS1_3genE9ELNS1_11target_archE1100ELNS1_3gpuE3ELNS1_3repE0EEES8_NS1_28merge_sort_block_sort_configILj256ELj4ELNS0_20block_sort_algorithmE0EEENS0_14default_configENS1_37merge_sort_block_sort_config_selectorIssEENS1_38merge_sort_block_merge_config_selectorIssEEEEvv
		.amdhsa_group_segment_fixed_size 0
		.amdhsa_private_segment_fixed_size 0
		.amdhsa_kernarg_size 0
		.amdhsa_user_sgpr_count 0
		.amdhsa_user_sgpr_dispatch_ptr 0
		.amdhsa_user_sgpr_queue_ptr 0
		.amdhsa_user_sgpr_kernarg_segment_ptr 0
		.amdhsa_user_sgpr_dispatch_id 0
		.amdhsa_user_sgpr_kernarg_preload_length 0
		.amdhsa_user_sgpr_kernarg_preload_offset 0
		.amdhsa_user_sgpr_private_segment_size 0
		.amdhsa_uses_dynamic_stack 0
		.amdhsa_enable_private_segment 0
		.amdhsa_system_sgpr_workgroup_id_x 1
		.amdhsa_system_sgpr_workgroup_id_y 0
		.amdhsa_system_sgpr_workgroup_id_z 0
		.amdhsa_system_sgpr_workgroup_info 0
		.amdhsa_system_vgpr_workitem_id 0
		.amdhsa_next_free_vgpr 1
		.amdhsa_next_free_sgpr 0
		.amdhsa_accum_offset 4
		.amdhsa_reserve_vcc 0
		.amdhsa_float_round_mode_32 0
		.amdhsa_float_round_mode_16_64 0
		.amdhsa_float_denorm_mode_32 3
		.amdhsa_float_denorm_mode_16_64 3
		.amdhsa_dx10_clamp 1
		.amdhsa_ieee_mode 1
		.amdhsa_fp16_overflow 0
		.amdhsa_tg_split 0
		.amdhsa_exception_fp_ieee_invalid_op 0
		.amdhsa_exception_fp_denorm_src 0
		.amdhsa_exception_fp_ieee_div_zero 0
		.amdhsa_exception_fp_ieee_overflow 0
		.amdhsa_exception_fp_ieee_underflow 0
		.amdhsa_exception_fp_ieee_inexact 0
		.amdhsa_exception_int_div_zero 0
	.end_amdhsa_kernel
	.section	.text._ZN7rocprim17ROCPRIM_400000_NS6detail44device_merge_sort_compile_time_verifier_archINS1_11comp_targetILNS1_3genE9ELNS1_11target_archE1100ELNS1_3gpuE3ELNS1_3repE0EEES8_NS1_28merge_sort_block_sort_configILj256ELj4ELNS0_20block_sort_algorithmE0EEENS0_14default_configENS1_37merge_sort_block_sort_config_selectorIssEENS1_38merge_sort_block_merge_config_selectorIssEEEEvv,"axG",@progbits,_ZN7rocprim17ROCPRIM_400000_NS6detail44device_merge_sort_compile_time_verifier_archINS1_11comp_targetILNS1_3genE9ELNS1_11target_archE1100ELNS1_3gpuE3ELNS1_3repE0EEES8_NS1_28merge_sort_block_sort_configILj256ELj4ELNS0_20block_sort_algorithmE0EEENS0_14default_configENS1_37merge_sort_block_sort_config_selectorIssEENS1_38merge_sort_block_merge_config_selectorIssEEEEvv,comdat
.Lfunc_end1508:
	.size	_ZN7rocprim17ROCPRIM_400000_NS6detail44device_merge_sort_compile_time_verifier_archINS1_11comp_targetILNS1_3genE9ELNS1_11target_archE1100ELNS1_3gpuE3ELNS1_3repE0EEES8_NS1_28merge_sort_block_sort_configILj256ELj4ELNS0_20block_sort_algorithmE0EEENS0_14default_configENS1_37merge_sort_block_sort_config_selectorIssEENS1_38merge_sort_block_merge_config_selectorIssEEEEvv, .Lfunc_end1508-_ZN7rocprim17ROCPRIM_400000_NS6detail44device_merge_sort_compile_time_verifier_archINS1_11comp_targetILNS1_3genE9ELNS1_11target_archE1100ELNS1_3gpuE3ELNS1_3repE0EEES8_NS1_28merge_sort_block_sort_configILj256ELj4ELNS0_20block_sort_algorithmE0EEENS0_14default_configENS1_37merge_sort_block_sort_config_selectorIssEENS1_38merge_sort_block_merge_config_selectorIssEEEEvv
                                        ; -- End function
	.set _ZN7rocprim17ROCPRIM_400000_NS6detail44device_merge_sort_compile_time_verifier_archINS1_11comp_targetILNS1_3genE9ELNS1_11target_archE1100ELNS1_3gpuE3ELNS1_3repE0EEES8_NS1_28merge_sort_block_sort_configILj256ELj4ELNS0_20block_sort_algorithmE0EEENS0_14default_configENS1_37merge_sort_block_sort_config_selectorIssEENS1_38merge_sort_block_merge_config_selectorIssEEEEvv.num_vgpr, 0
	.set _ZN7rocprim17ROCPRIM_400000_NS6detail44device_merge_sort_compile_time_verifier_archINS1_11comp_targetILNS1_3genE9ELNS1_11target_archE1100ELNS1_3gpuE3ELNS1_3repE0EEES8_NS1_28merge_sort_block_sort_configILj256ELj4ELNS0_20block_sort_algorithmE0EEENS0_14default_configENS1_37merge_sort_block_sort_config_selectorIssEENS1_38merge_sort_block_merge_config_selectorIssEEEEvv.num_agpr, 0
	.set _ZN7rocprim17ROCPRIM_400000_NS6detail44device_merge_sort_compile_time_verifier_archINS1_11comp_targetILNS1_3genE9ELNS1_11target_archE1100ELNS1_3gpuE3ELNS1_3repE0EEES8_NS1_28merge_sort_block_sort_configILj256ELj4ELNS0_20block_sort_algorithmE0EEENS0_14default_configENS1_37merge_sort_block_sort_config_selectorIssEENS1_38merge_sort_block_merge_config_selectorIssEEEEvv.numbered_sgpr, 0
	.set _ZN7rocprim17ROCPRIM_400000_NS6detail44device_merge_sort_compile_time_verifier_archINS1_11comp_targetILNS1_3genE9ELNS1_11target_archE1100ELNS1_3gpuE3ELNS1_3repE0EEES8_NS1_28merge_sort_block_sort_configILj256ELj4ELNS0_20block_sort_algorithmE0EEENS0_14default_configENS1_37merge_sort_block_sort_config_selectorIssEENS1_38merge_sort_block_merge_config_selectorIssEEEEvv.num_named_barrier, 0
	.set _ZN7rocprim17ROCPRIM_400000_NS6detail44device_merge_sort_compile_time_verifier_archINS1_11comp_targetILNS1_3genE9ELNS1_11target_archE1100ELNS1_3gpuE3ELNS1_3repE0EEES8_NS1_28merge_sort_block_sort_configILj256ELj4ELNS0_20block_sort_algorithmE0EEENS0_14default_configENS1_37merge_sort_block_sort_config_selectorIssEENS1_38merge_sort_block_merge_config_selectorIssEEEEvv.private_seg_size, 0
	.set _ZN7rocprim17ROCPRIM_400000_NS6detail44device_merge_sort_compile_time_verifier_archINS1_11comp_targetILNS1_3genE9ELNS1_11target_archE1100ELNS1_3gpuE3ELNS1_3repE0EEES8_NS1_28merge_sort_block_sort_configILj256ELj4ELNS0_20block_sort_algorithmE0EEENS0_14default_configENS1_37merge_sort_block_sort_config_selectorIssEENS1_38merge_sort_block_merge_config_selectorIssEEEEvv.uses_vcc, 0
	.set _ZN7rocprim17ROCPRIM_400000_NS6detail44device_merge_sort_compile_time_verifier_archINS1_11comp_targetILNS1_3genE9ELNS1_11target_archE1100ELNS1_3gpuE3ELNS1_3repE0EEES8_NS1_28merge_sort_block_sort_configILj256ELj4ELNS0_20block_sort_algorithmE0EEENS0_14default_configENS1_37merge_sort_block_sort_config_selectorIssEENS1_38merge_sort_block_merge_config_selectorIssEEEEvv.uses_flat_scratch, 0
	.set _ZN7rocprim17ROCPRIM_400000_NS6detail44device_merge_sort_compile_time_verifier_archINS1_11comp_targetILNS1_3genE9ELNS1_11target_archE1100ELNS1_3gpuE3ELNS1_3repE0EEES8_NS1_28merge_sort_block_sort_configILj256ELj4ELNS0_20block_sort_algorithmE0EEENS0_14default_configENS1_37merge_sort_block_sort_config_selectorIssEENS1_38merge_sort_block_merge_config_selectorIssEEEEvv.has_dyn_sized_stack, 0
	.set _ZN7rocprim17ROCPRIM_400000_NS6detail44device_merge_sort_compile_time_verifier_archINS1_11comp_targetILNS1_3genE9ELNS1_11target_archE1100ELNS1_3gpuE3ELNS1_3repE0EEES8_NS1_28merge_sort_block_sort_configILj256ELj4ELNS0_20block_sort_algorithmE0EEENS0_14default_configENS1_37merge_sort_block_sort_config_selectorIssEENS1_38merge_sort_block_merge_config_selectorIssEEEEvv.has_recursion, 0
	.set _ZN7rocprim17ROCPRIM_400000_NS6detail44device_merge_sort_compile_time_verifier_archINS1_11comp_targetILNS1_3genE9ELNS1_11target_archE1100ELNS1_3gpuE3ELNS1_3repE0EEES8_NS1_28merge_sort_block_sort_configILj256ELj4ELNS0_20block_sort_algorithmE0EEENS0_14default_configENS1_37merge_sort_block_sort_config_selectorIssEENS1_38merge_sort_block_merge_config_selectorIssEEEEvv.has_indirect_call, 0
	.section	.AMDGPU.csdata,"",@progbits
; Kernel info:
; codeLenInByte = 4
; TotalNumSgprs: 6
; NumVgprs: 0
; NumAgprs: 0
; TotalNumVgprs: 0
; ScratchSize: 0
; MemoryBound: 0
; FloatMode: 240
; IeeeMode: 1
; LDSByteSize: 0 bytes/workgroup (compile time only)
; SGPRBlocks: 0
; VGPRBlocks: 0
; NumSGPRsForWavesPerEU: 6
; NumVGPRsForWavesPerEU: 1
; AccumOffset: 4
; Occupancy: 8
; WaveLimiterHint : 0
; COMPUTE_PGM_RSRC2:SCRATCH_EN: 0
; COMPUTE_PGM_RSRC2:USER_SGPR: 0
; COMPUTE_PGM_RSRC2:TRAP_HANDLER: 0
; COMPUTE_PGM_RSRC2:TGID_X_EN: 1
; COMPUTE_PGM_RSRC2:TGID_Y_EN: 0
; COMPUTE_PGM_RSRC2:TGID_Z_EN: 0
; COMPUTE_PGM_RSRC2:TIDIG_COMP_CNT: 0
; COMPUTE_PGM_RSRC3_GFX90A:ACCUM_OFFSET: 0
; COMPUTE_PGM_RSRC3_GFX90A:TG_SPLIT: 0
	.section	.text._ZN7rocprim17ROCPRIM_400000_NS6detail44device_merge_sort_compile_time_verifier_archINS1_11comp_targetILNS1_3genE8ELNS1_11target_archE1030ELNS1_3gpuE2ELNS1_3repE0EEES8_NS1_28merge_sort_block_sort_configILj256ELj4ELNS0_20block_sort_algorithmE0EEENS0_14default_configENS1_37merge_sort_block_sort_config_selectorIssEENS1_38merge_sort_block_merge_config_selectorIssEEEEvv,"axG",@progbits,_ZN7rocprim17ROCPRIM_400000_NS6detail44device_merge_sort_compile_time_verifier_archINS1_11comp_targetILNS1_3genE8ELNS1_11target_archE1030ELNS1_3gpuE2ELNS1_3repE0EEES8_NS1_28merge_sort_block_sort_configILj256ELj4ELNS0_20block_sort_algorithmE0EEENS0_14default_configENS1_37merge_sort_block_sort_config_selectorIssEENS1_38merge_sort_block_merge_config_selectorIssEEEEvv,comdat
	.protected	_ZN7rocprim17ROCPRIM_400000_NS6detail44device_merge_sort_compile_time_verifier_archINS1_11comp_targetILNS1_3genE8ELNS1_11target_archE1030ELNS1_3gpuE2ELNS1_3repE0EEES8_NS1_28merge_sort_block_sort_configILj256ELj4ELNS0_20block_sort_algorithmE0EEENS0_14default_configENS1_37merge_sort_block_sort_config_selectorIssEENS1_38merge_sort_block_merge_config_selectorIssEEEEvv ; -- Begin function _ZN7rocprim17ROCPRIM_400000_NS6detail44device_merge_sort_compile_time_verifier_archINS1_11comp_targetILNS1_3genE8ELNS1_11target_archE1030ELNS1_3gpuE2ELNS1_3repE0EEES8_NS1_28merge_sort_block_sort_configILj256ELj4ELNS0_20block_sort_algorithmE0EEENS0_14default_configENS1_37merge_sort_block_sort_config_selectorIssEENS1_38merge_sort_block_merge_config_selectorIssEEEEvv
	.globl	_ZN7rocprim17ROCPRIM_400000_NS6detail44device_merge_sort_compile_time_verifier_archINS1_11comp_targetILNS1_3genE8ELNS1_11target_archE1030ELNS1_3gpuE2ELNS1_3repE0EEES8_NS1_28merge_sort_block_sort_configILj256ELj4ELNS0_20block_sort_algorithmE0EEENS0_14default_configENS1_37merge_sort_block_sort_config_selectorIssEENS1_38merge_sort_block_merge_config_selectorIssEEEEvv
	.p2align	8
	.type	_ZN7rocprim17ROCPRIM_400000_NS6detail44device_merge_sort_compile_time_verifier_archINS1_11comp_targetILNS1_3genE8ELNS1_11target_archE1030ELNS1_3gpuE2ELNS1_3repE0EEES8_NS1_28merge_sort_block_sort_configILj256ELj4ELNS0_20block_sort_algorithmE0EEENS0_14default_configENS1_37merge_sort_block_sort_config_selectorIssEENS1_38merge_sort_block_merge_config_selectorIssEEEEvv,@function
_ZN7rocprim17ROCPRIM_400000_NS6detail44device_merge_sort_compile_time_verifier_archINS1_11comp_targetILNS1_3genE8ELNS1_11target_archE1030ELNS1_3gpuE2ELNS1_3repE0EEES8_NS1_28merge_sort_block_sort_configILj256ELj4ELNS0_20block_sort_algorithmE0EEENS0_14default_configENS1_37merge_sort_block_sort_config_selectorIssEENS1_38merge_sort_block_merge_config_selectorIssEEEEvv: ; @_ZN7rocprim17ROCPRIM_400000_NS6detail44device_merge_sort_compile_time_verifier_archINS1_11comp_targetILNS1_3genE8ELNS1_11target_archE1030ELNS1_3gpuE2ELNS1_3repE0EEES8_NS1_28merge_sort_block_sort_configILj256ELj4ELNS0_20block_sort_algorithmE0EEENS0_14default_configENS1_37merge_sort_block_sort_config_selectorIssEENS1_38merge_sort_block_merge_config_selectorIssEEEEvv
; %bb.0:
	s_endpgm
	.section	.rodata,"a",@progbits
	.p2align	6, 0x0
	.amdhsa_kernel _ZN7rocprim17ROCPRIM_400000_NS6detail44device_merge_sort_compile_time_verifier_archINS1_11comp_targetILNS1_3genE8ELNS1_11target_archE1030ELNS1_3gpuE2ELNS1_3repE0EEES8_NS1_28merge_sort_block_sort_configILj256ELj4ELNS0_20block_sort_algorithmE0EEENS0_14default_configENS1_37merge_sort_block_sort_config_selectorIssEENS1_38merge_sort_block_merge_config_selectorIssEEEEvv
		.amdhsa_group_segment_fixed_size 0
		.amdhsa_private_segment_fixed_size 0
		.amdhsa_kernarg_size 0
		.amdhsa_user_sgpr_count 0
		.amdhsa_user_sgpr_dispatch_ptr 0
		.amdhsa_user_sgpr_queue_ptr 0
		.amdhsa_user_sgpr_kernarg_segment_ptr 0
		.amdhsa_user_sgpr_dispatch_id 0
		.amdhsa_user_sgpr_kernarg_preload_length 0
		.amdhsa_user_sgpr_kernarg_preload_offset 0
		.amdhsa_user_sgpr_private_segment_size 0
		.amdhsa_uses_dynamic_stack 0
		.amdhsa_enable_private_segment 0
		.amdhsa_system_sgpr_workgroup_id_x 1
		.amdhsa_system_sgpr_workgroup_id_y 0
		.amdhsa_system_sgpr_workgroup_id_z 0
		.amdhsa_system_sgpr_workgroup_info 0
		.amdhsa_system_vgpr_workitem_id 0
		.amdhsa_next_free_vgpr 1
		.amdhsa_next_free_sgpr 0
		.amdhsa_accum_offset 4
		.amdhsa_reserve_vcc 0
		.amdhsa_float_round_mode_32 0
		.amdhsa_float_round_mode_16_64 0
		.amdhsa_float_denorm_mode_32 3
		.amdhsa_float_denorm_mode_16_64 3
		.amdhsa_dx10_clamp 1
		.amdhsa_ieee_mode 1
		.amdhsa_fp16_overflow 0
		.amdhsa_tg_split 0
		.amdhsa_exception_fp_ieee_invalid_op 0
		.amdhsa_exception_fp_denorm_src 0
		.amdhsa_exception_fp_ieee_div_zero 0
		.amdhsa_exception_fp_ieee_overflow 0
		.amdhsa_exception_fp_ieee_underflow 0
		.amdhsa_exception_fp_ieee_inexact 0
		.amdhsa_exception_int_div_zero 0
	.end_amdhsa_kernel
	.section	.text._ZN7rocprim17ROCPRIM_400000_NS6detail44device_merge_sort_compile_time_verifier_archINS1_11comp_targetILNS1_3genE8ELNS1_11target_archE1030ELNS1_3gpuE2ELNS1_3repE0EEES8_NS1_28merge_sort_block_sort_configILj256ELj4ELNS0_20block_sort_algorithmE0EEENS0_14default_configENS1_37merge_sort_block_sort_config_selectorIssEENS1_38merge_sort_block_merge_config_selectorIssEEEEvv,"axG",@progbits,_ZN7rocprim17ROCPRIM_400000_NS6detail44device_merge_sort_compile_time_verifier_archINS1_11comp_targetILNS1_3genE8ELNS1_11target_archE1030ELNS1_3gpuE2ELNS1_3repE0EEES8_NS1_28merge_sort_block_sort_configILj256ELj4ELNS0_20block_sort_algorithmE0EEENS0_14default_configENS1_37merge_sort_block_sort_config_selectorIssEENS1_38merge_sort_block_merge_config_selectorIssEEEEvv,comdat
.Lfunc_end1509:
	.size	_ZN7rocprim17ROCPRIM_400000_NS6detail44device_merge_sort_compile_time_verifier_archINS1_11comp_targetILNS1_3genE8ELNS1_11target_archE1030ELNS1_3gpuE2ELNS1_3repE0EEES8_NS1_28merge_sort_block_sort_configILj256ELj4ELNS0_20block_sort_algorithmE0EEENS0_14default_configENS1_37merge_sort_block_sort_config_selectorIssEENS1_38merge_sort_block_merge_config_selectorIssEEEEvv, .Lfunc_end1509-_ZN7rocprim17ROCPRIM_400000_NS6detail44device_merge_sort_compile_time_verifier_archINS1_11comp_targetILNS1_3genE8ELNS1_11target_archE1030ELNS1_3gpuE2ELNS1_3repE0EEES8_NS1_28merge_sort_block_sort_configILj256ELj4ELNS0_20block_sort_algorithmE0EEENS0_14default_configENS1_37merge_sort_block_sort_config_selectorIssEENS1_38merge_sort_block_merge_config_selectorIssEEEEvv
                                        ; -- End function
	.set _ZN7rocprim17ROCPRIM_400000_NS6detail44device_merge_sort_compile_time_verifier_archINS1_11comp_targetILNS1_3genE8ELNS1_11target_archE1030ELNS1_3gpuE2ELNS1_3repE0EEES8_NS1_28merge_sort_block_sort_configILj256ELj4ELNS0_20block_sort_algorithmE0EEENS0_14default_configENS1_37merge_sort_block_sort_config_selectorIssEENS1_38merge_sort_block_merge_config_selectorIssEEEEvv.num_vgpr, 0
	.set _ZN7rocprim17ROCPRIM_400000_NS6detail44device_merge_sort_compile_time_verifier_archINS1_11comp_targetILNS1_3genE8ELNS1_11target_archE1030ELNS1_3gpuE2ELNS1_3repE0EEES8_NS1_28merge_sort_block_sort_configILj256ELj4ELNS0_20block_sort_algorithmE0EEENS0_14default_configENS1_37merge_sort_block_sort_config_selectorIssEENS1_38merge_sort_block_merge_config_selectorIssEEEEvv.num_agpr, 0
	.set _ZN7rocprim17ROCPRIM_400000_NS6detail44device_merge_sort_compile_time_verifier_archINS1_11comp_targetILNS1_3genE8ELNS1_11target_archE1030ELNS1_3gpuE2ELNS1_3repE0EEES8_NS1_28merge_sort_block_sort_configILj256ELj4ELNS0_20block_sort_algorithmE0EEENS0_14default_configENS1_37merge_sort_block_sort_config_selectorIssEENS1_38merge_sort_block_merge_config_selectorIssEEEEvv.numbered_sgpr, 0
	.set _ZN7rocprim17ROCPRIM_400000_NS6detail44device_merge_sort_compile_time_verifier_archINS1_11comp_targetILNS1_3genE8ELNS1_11target_archE1030ELNS1_3gpuE2ELNS1_3repE0EEES8_NS1_28merge_sort_block_sort_configILj256ELj4ELNS0_20block_sort_algorithmE0EEENS0_14default_configENS1_37merge_sort_block_sort_config_selectorIssEENS1_38merge_sort_block_merge_config_selectorIssEEEEvv.num_named_barrier, 0
	.set _ZN7rocprim17ROCPRIM_400000_NS6detail44device_merge_sort_compile_time_verifier_archINS1_11comp_targetILNS1_3genE8ELNS1_11target_archE1030ELNS1_3gpuE2ELNS1_3repE0EEES8_NS1_28merge_sort_block_sort_configILj256ELj4ELNS0_20block_sort_algorithmE0EEENS0_14default_configENS1_37merge_sort_block_sort_config_selectorIssEENS1_38merge_sort_block_merge_config_selectorIssEEEEvv.private_seg_size, 0
	.set _ZN7rocprim17ROCPRIM_400000_NS6detail44device_merge_sort_compile_time_verifier_archINS1_11comp_targetILNS1_3genE8ELNS1_11target_archE1030ELNS1_3gpuE2ELNS1_3repE0EEES8_NS1_28merge_sort_block_sort_configILj256ELj4ELNS0_20block_sort_algorithmE0EEENS0_14default_configENS1_37merge_sort_block_sort_config_selectorIssEENS1_38merge_sort_block_merge_config_selectorIssEEEEvv.uses_vcc, 0
	.set _ZN7rocprim17ROCPRIM_400000_NS6detail44device_merge_sort_compile_time_verifier_archINS1_11comp_targetILNS1_3genE8ELNS1_11target_archE1030ELNS1_3gpuE2ELNS1_3repE0EEES8_NS1_28merge_sort_block_sort_configILj256ELj4ELNS0_20block_sort_algorithmE0EEENS0_14default_configENS1_37merge_sort_block_sort_config_selectorIssEENS1_38merge_sort_block_merge_config_selectorIssEEEEvv.uses_flat_scratch, 0
	.set _ZN7rocprim17ROCPRIM_400000_NS6detail44device_merge_sort_compile_time_verifier_archINS1_11comp_targetILNS1_3genE8ELNS1_11target_archE1030ELNS1_3gpuE2ELNS1_3repE0EEES8_NS1_28merge_sort_block_sort_configILj256ELj4ELNS0_20block_sort_algorithmE0EEENS0_14default_configENS1_37merge_sort_block_sort_config_selectorIssEENS1_38merge_sort_block_merge_config_selectorIssEEEEvv.has_dyn_sized_stack, 0
	.set _ZN7rocprim17ROCPRIM_400000_NS6detail44device_merge_sort_compile_time_verifier_archINS1_11comp_targetILNS1_3genE8ELNS1_11target_archE1030ELNS1_3gpuE2ELNS1_3repE0EEES8_NS1_28merge_sort_block_sort_configILj256ELj4ELNS0_20block_sort_algorithmE0EEENS0_14default_configENS1_37merge_sort_block_sort_config_selectorIssEENS1_38merge_sort_block_merge_config_selectorIssEEEEvv.has_recursion, 0
	.set _ZN7rocprim17ROCPRIM_400000_NS6detail44device_merge_sort_compile_time_verifier_archINS1_11comp_targetILNS1_3genE8ELNS1_11target_archE1030ELNS1_3gpuE2ELNS1_3repE0EEES8_NS1_28merge_sort_block_sort_configILj256ELj4ELNS0_20block_sort_algorithmE0EEENS0_14default_configENS1_37merge_sort_block_sort_config_selectorIssEENS1_38merge_sort_block_merge_config_selectorIssEEEEvv.has_indirect_call, 0
	.section	.AMDGPU.csdata,"",@progbits
; Kernel info:
; codeLenInByte = 4
; TotalNumSgprs: 6
; NumVgprs: 0
; NumAgprs: 0
; TotalNumVgprs: 0
; ScratchSize: 0
; MemoryBound: 0
; FloatMode: 240
; IeeeMode: 1
; LDSByteSize: 0 bytes/workgroup (compile time only)
; SGPRBlocks: 0
; VGPRBlocks: 0
; NumSGPRsForWavesPerEU: 6
; NumVGPRsForWavesPerEU: 1
; AccumOffset: 4
; Occupancy: 8
; WaveLimiterHint : 0
; COMPUTE_PGM_RSRC2:SCRATCH_EN: 0
; COMPUTE_PGM_RSRC2:USER_SGPR: 0
; COMPUTE_PGM_RSRC2:TRAP_HANDLER: 0
; COMPUTE_PGM_RSRC2:TGID_X_EN: 1
; COMPUTE_PGM_RSRC2:TGID_Y_EN: 0
; COMPUTE_PGM_RSRC2:TGID_Z_EN: 0
; COMPUTE_PGM_RSRC2:TIDIG_COMP_CNT: 0
; COMPUTE_PGM_RSRC3_GFX90A:ACCUM_OFFSET: 0
; COMPUTE_PGM_RSRC3_GFX90A:TG_SPLIT: 0
	.section	.text._ZN7rocprim17ROCPRIM_400000_NS6detail17trampoline_kernelINS0_14default_configENS1_38merge_sort_block_merge_config_selectorIssEEZZNS1_27merge_sort_block_merge_implIS3_N6thrust23THRUST_200600_302600_NS6detail15normal_iteratorINS8_10device_ptrIsEEEESD_jNS1_19radix_merge_compareILb0ELb0EsNS0_19identity_decomposerEEEEE10hipError_tT0_T1_T2_jT3_P12ihipStream_tbPNSt15iterator_traitsISI_E10value_typeEPNSO_ISJ_E10value_typeEPSK_NS1_7vsmem_tEENKUlT_SI_SJ_SK_E_clIPsSD_S10_SD_EESH_SX_SI_SJ_SK_EUlSX_E_NS1_11comp_targetILNS1_3genE0ELNS1_11target_archE4294967295ELNS1_3gpuE0ELNS1_3repE0EEENS1_48merge_mergepath_partition_config_static_selectorELNS0_4arch9wavefront6targetE1EEEvSJ_,"axG",@progbits,_ZN7rocprim17ROCPRIM_400000_NS6detail17trampoline_kernelINS0_14default_configENS1_38merge_sort_block_merge_config_selectorIssEEZZNS1_27merge_sort_block_merge_implIS3_N6thrust23THRUST_200600_302600_NS6detail15normal_iteratorINS8_10device_ptrIsEEEESD_jNS1_19radix_merge_compareILb0ELb0EsNS0_19identity_decomposerEEEEE10hipError_tT0_T1_T2_jT3_P12ihipStream_tbPNSt15iterator_traitsISI_E10value_typeEPNSO_ISJ_E10value_typeEPSK_NS1_7vsmem_tEENKUlT_SI_SJ_SK_E_clIPsSD_S10_SD_EESH_SX_SI_SJ_SK_EUlSX_E_NS1_11comp_targetILNS1_3genE0ELNS1_11target_archE4294967295ELNS1_3gpuE0ELNS1_3repE0EEENS1_48merge_mergepath_partition_config_static_selectorELNS0_4arch9wavefront6targetE1EEEvSJ_,comdat
	.protected	_ZN7rocprim17ROCPRIM_400000_NS6detail17trampoline_kernelINS0_14default_configENS1_38merge_sort_block_merge_config_selectorIssEEZZNS1_27merge_sort_block_merge_implIS3_N6thrust23THRUST_200600_302600_NS6detail15normal_iteratorINS8_10device_ptrIsEEEESD_jNS1_19radix_merge_compareILb0ELb0EsNS0_19identity_decomposerEEEEE10hipError_tT0_T1_T2_jT3_P12ihipStream_tbPNSt15iterator_traitsISI_E10value_typeEPNSO_ISJ_E10value_typeEPSK_NS1_7vsmem_tEENKUlT_SI_SJ_SK_E_clIPsSD_S10_SD_EESH_SX_SI_SJ_SK_EUlSX_E_NS1_11comp_targetILNS1_3genE0ELNS1_11target_archE4294967295ELNS1_3gpuE0ELNS1_3repE0EEENS1_48merge_mergepath_partition_config_static_selectorELNS0_4arch9wavefront6targetE1EEEvSJ_ ; -- Begin function _ZN7rocprim17ROCPRIM_400000_NS6detail17trampoline_kernelINS0_14default_configENS1_38merge_sort_block_merge_config_selectorIssEEZZNS1_27merge_sort_block_merge_implIS3_N6thrust23THRUST_200600_302600_NS6detail15normal_iteratorINS8_10device_ptrIsEEEESD_jNS1_19radix_merge_compareILb0ELb0EsNS0_19identity_decomposerEEEEE10hipError_tT0_T1_T2_jT3_P12ihipStream_tbPNSt15iterator_traitsISI_E10value_typeEPNSO_ISJ_E10value_typeEPSK_NS1_7vsmem_tEENKUlT_SI_SJ_SK_E_clIPsSD_S10_SD_EESH_SX_SI_SJ_SK_EUlSX_E_NS1_11comp_targetILNS1_3genE0ELNS1_11target_archE4294967295ELNS1_3gpuE0ELNS1_3repE0EEENS1_48merge_mergepath_partition_config_static_selectorELNS0_4arch9wavefront6targetE1EEEvSJ_
	.globl	_ZN7rocprim17ROCPRIM_400000_NS6detail17trampoline_kernelINS0_14default_configENS1_38merge_sort_block_merge_config_selectorIssEEZZNS1_27merge_sort_block_merge_implIS3_N6thrust23THRUST_200600_302600_NS6detail15normal_iteratorINS8_10device_ptrIsEEEESD_jNS1_19radix_merge_compareILb0ELb0EsNS0_19identity_decomposerEEEEE10hipError_tT0_T1_T2_jT3_P12ihipStream_tbPNSt15iterator_traitsISI_E10value_typeEPNSO_ISJ_E10value_typeEPSK_NS1_7vsmem_tEENKUlT_SI_SJ_SK_E_clIPsSD_S10_SD_EESH_SX_SI_SJ_SK_EUlSX_E_NS1_11comp_targetILNS1_3genE0ELNS1_11target_archE4294967295ELNS1_3gpuE0ELNS1_3repE0EEENS1_48merge_mergepath_partition_config_static_selectorELNS0_4arch9wavefront6targetE1EEEvSJ_
	.p2align	8
	.type	_ZN7rocprim17ROCPRIM_400000_NS6detail17trampoline_kernelINS0_14default_configENS1_38merge_sort_block_merge_config_selectorIssEEZZNS1_27merge_sort_block_merge_implIS3_N6thrust23THRUST_200600_302600_NS6detail15normal_iteratorINS8_10device_ptrIsEEEESD_jNS1_19radix_merge_compareILb0ELb0EsNS0_19identity_decomposerEEEEE10hipError_tT0_T1_T2_jT3_P12ihipStream_tbPNSt15iterator_traitsISI_E10value_typeEPNSO_ISJ_E10value_typeEPSK_NS1_7vsmem_tEENKUlT_SI_SJ_SK_E_clIPsSD_S10_SD_EESH_SX_SI_SJ_SK_EUlSX_E_NS1_11comp_targetILNS1_3genE0ELNS1_11target_archE4294967295ELNS1_3gpuE0ELNS1_3repE0EEENS1_48merge_mergepath_partition_config_static_selectorELNS0_4arch9wavefront6targetE1EEEvSJ_,@function
_ZN7rocprim17ROCPRIM_400000_NS6detail17trampoline_kernelINS0_14default_configENS1_38merge_sort_block_merge_config_selectorIssEEZZNS1_27merge_sort_block_merge_implIS3_N6thrust23THRUST_200600_302600_NS6detail15normal_iteratorINS8_10device_ptrIsEEEESD_jNS1_19radix_merge_compareILb0ELb0EsNS0_19identity_decomposerEEEEE10hipError_tT0_T1_T2_jT3_P12ihipStream_tbPNSt15iterator_traitsISI_E10value_typeEPNSO_ISJ_E10value_typeEPSK_NS1_7vsmem_tEENKUlT_SI_SJ_SK_E_clIPsSD_S10_SD_EESH_SX_SI_SJ_SK_EUlSX_E_NS1_11comp_targetILNS1_3genE0ELNS1_11target_archE4294967295ELNS1_3gpuE0ELNS1_3repE0EEENS1_48merge_mergepath_partition_config_static_selectorELNS0_4arch9wavefront6targetE1EEEvSJ_: ; @_ZN7rocprim17ROCPRIM_400000_NS6detail17trampoline_kernelINS0_14default_configENS1_38merge_sort_block_merge_config_selectorIssEEZZNS1_27merge_sort_block_merge_implIS3_N6thrust23THRUST_200600_302600_NS6detail15normal_iteratorINS8_10device_ptrIsEEEESD_jNS1_19radix_merge_compareILb0ELb0EsNS0_19identity_decomposerEEEEE10hipError_tT0_T1_T2_jT3_P12ihipStream_tbPNSt15iterator_traitsISI_E10value_typeEPNSO_ISJ_E10value_typeEPSK_NS1_7vsmem_tEENKUlT_SI_SJ_SK_E_clIPsSD_S10_SD_EESH_SX_SI_SJ_SK_EUlSX_E_NS1_11comp_targetILNS1_3genE0ELNS1_11target_archE4294967295ELNS1_3gpuE0ELNS1_3repE0EEENS1_48merge_mergepath_partition_config_static_selectorELNS0_4arch9wavefront6targetE1EEEvSJ_
; %bb.0:
	s_load_dword s3, s[0:1], 0x0
	v_lshl_or_b32 v0, s2, 7, v0
	s_waitcnt lgkmcnt(0)
	v_cmp_gt_u32_e32 vcc, s3, v0
	s_and_saveexec_b64 s[2:3], vcc
	s_cbranch_execz .LBB1510_6
; %bb.1:
	s_load_dwordx2 s[4:5], s[0:1], 0x4
	s_load_dwordx2 s[2:3], s[0:1], 0x20
	s_waitcnt lgkmcnt(0)
	s_lshr_b32 s6, s4, 9
	s_and_b32 s6, s6, 0x7ffffe
	s_add_i32 s7, s6, -1
	s_sub_i32 s6, 0, s6
	v_and_b32_e32 v1, s6, v0
	v_lshlrev_b32_e32 v1, 10, v1
	v_min_u32_e32 v2, s5, v1
	v_add_u32_e32 v1, s4, v1
	v_min_u32_e32 v4, s5, v1
	v_add_u32_e32 v1, s4, v4
	v_and_b32_e32 v3, s7, v0
	v_min_u32_e32 v1, s5, v1
	v_sub_u32_e32 v5, v1, v2
	v_lshlrev_b32_e32 v3, 10, v3
	v_min_u32_e32 v10, v5, v3
	v_sub_u32_e32 v3, v4, v2
	v_sub_u32_e32 v1, v1, v4
	v_sub_u32_e64 v1, v10, v1 clamp
	v_min_u32_e32 v11, v10, v3
	v_cmp_lt_u32_e32 vcc, v1, v11
	s_and_saveexec_b64 s[4:5], vcc
	s_cbranch_execz .LBB1510_5
; %bb.2:
	s_load_dwordx2 s[0:1], s[0:1], 0x10
	v_mov_b32_e32 v5, 0
	v_mov_b32_e32 v3, v5
	s_waitcnt lgkmcnt(0)
	v_lshl_add_u64 v[6:7], v[2:3], 1, s[0:1]
	v_lshl_add_u64 v[8:9], v[4:5], 1, s[0:1]
	s_mov_b64 s[0:1], 0
.LBB1510_3:                             ; =>This Inner Loop Header: Depth=1
	v_add_u32_e32 v3, v11, v1
	v_lshrrev_b32_e32 v16, 1, v3
	v_and_b32_e32 v4, -2, v3
	v_mov_b32_e32 v13, v5
	v_xad_u32 v12, v16, -1, v10
	v_lshl_add_u64 v[14:15], v[6:7], 0, v[4:5]
	v_lshl_add_u64 v[12:13], v[12:13], 1, v[8:9]
	global_load_ushort v3, v[14:15], off
	global_load_ushort v4, v[12:13], off
	v_add_u32_e32 v12, 1, v16
	s_waitcnt vmcnt(0)
	v_cmp_gt_i16_e32 vcc, v3, v4
	s_nop 1
	v_cndmask_b32_e32 v11, v11, v16, vcc
	v_cndmask_b32_e32 v1, v12, v1, vcc
	v_cmp_ge_u32_e32 vcc, v1, v11
	s_or_b64 s[0:1], vcc, s[0:1]
	s_andn2_b64 exec, exec, s[0:1]
	s_cbranch_execnz .LBB1510_3
; %bb.4:
	s_or_b64 exec, exec, s[0:1]
.LBB1510_5:
	s_or_b64 exec, exec, s[4:5]
	v_add_u32_e32 v2, v1, v2
	v_mov_b32_e32 v1, 0
	v_lshl_add_u64 v[0:1], v[0:1], 2, s[2:3]
	global_store_dword v[0:1], v2, off
.LBB1510_6:
	s_endpgm
	.section	.rodata,"a",@progbits
	.p2align	6, 0x0
	.amdhsa_kernel _ZN7rocprim17ROCPRIM_400000_NS6detail17trampoline_kernelINS0_14default_configENS1_38merge_sort_block_merge_config_selectorIssEEZZNS1_27merge_sort_block_merge_implIS3_N6thrust23THRUST_200600_302600_NS6detail15normal_iteratorINS8_10device_ptrIsEEEESD_jNS1_19radix_merge_compareILb0ELb0EsNS0_19identity_decomposerEEEEE10hipError_tT0_T1_T2_jT3_P12ihipStream_tbPNSt15iterator_traitsISI_E10value_typeEPNSO_ISJ_E10value_typeEPSK_NS1_7vsmem_tEENKUlT_SI_SJ_SK_E_clIPsSD_S10_SD_EESH_SX_SI_SJ_SK_EUlSX_E_NS1_11comp_targetILNS1_3genE0ELNS1_11target_archE4294967295ELNS1_3gpuE0ELNS1_3repE0EEENS1_48merge_mergepath_partition_config_static_selectorELNS0_4arch9wavefront6targetE1EEEvSJ_
		.amdhsa_group_segment_fixed_size 0
		.amdhsa_private_segment_fixed_size 0
		.amdhsa_kernarg_size 40
		.amdhsa_user_sgpr_count 2
		.amdhsa_user_sgpr_dispatch_ptr 0
		.amdhsa_user_sgpr_queue_ptr 0
		.amdhsa_user_sgpr_kernarg_segment_ptr 1
		.amdhsa_user_sgpr_dispatch_id 0
		.amdhsa_user_sgpr_kernarg_preload_length 0
		.amdhsa_user_sgpr_kernarg_preload_offset 0
		.amdhsa_user_sgpr_private_segment_size 0
		.amdhsa_uses_dynamic_stack 0
		.amdhsa_enable_private_segment 0
		.amdhsa_system_sgpr_workgroup_id_x 1
		.amdhsa_system_sgpr_workgroup_id_y 0
		.amdhsa_system_sgpr_workgroup_id_z 0
		.amdhsa_system_sgpr_workgroup_info 0
		.amdhsa_system_vgpr_workitem_id 0
		.amdhsa_next_free_vgpr 17
		.amdhsa_next_free_sgpr 8
		.amdhsa_accum_offset 20
		.amdhsa_reserve_vcc 1
		.amdhsa_float_round_mode_32 0
		.amdhsa_float_round_mode_16_64 0
		.amdhsa_float_denorm_mode_32 3
		.amdhsa_float_denorm_mode_16_64 3
		.amdhsa_dx10_clamp 1
		.amdhsa_ieee_mode 1
		.amdhsa_fp16_overflow 0
		.amdhsa_tg_split 0
		.amdhsa_exception_fp_ieee_invalid_op 0
		.amdhsa_exception_fp_denorm_src 0
		.amdhsa_exception_fp_ieee_div_zero 0
		.amdhsa_exception_fp_ieee_overflow 0
		.amdhsa_exception_fp_ieee_underflow 0
		.amdhsa_exception_fp_ieee_inexact 0
		.amdhsa_exception_int_div_zero 0
	.end_amdhsa_kernel
	.section	.text._ZN7rocprim17ROCPRIM_400000_NS6detail17trampoline_kernelINS0_14default_configENS1_38merge_sort_block_merge_config_selectorIssEEZZNS1_27merge_sort_block_merge_implIS3_N6thrust23THRUST_200600_302600_NS6detail15normal_iteratorINS8_10device_ptrIsEEEESD_jNS1_19radix_merge_compareILb0ELb0EsNS0_19identity_decomposerEEEEE10hipError_tT0_T1_T2_jT3_P12ihipStream_tbPNSt15iterator_traitsISI_E10value_typeEPNSO_ISJ_E10value_typeEPSK_NS1_7vsmem_tEENKUlT_SI_SJ_SK_E_clIPsSD_S10_SD_EESH_SX_SI_SJ_SK_EUlSX_E_NS1_11comp_targetILNS1_3genE0ELNS1_11target_archE4294967295ELNS1_3gpuE0ELNS1_3repE0EEENS1_48merge_mergepath_partition_config_static_selectorELNS0_4arch9wavefront6targetE1EEEvSJ_,"axG",@progbits,_ZN7rocprim17ROCPRIM_400000_NS6detail17trampoline_kernelINS0_14default_configENS1_38merge_sort_block_merge_config_selectorIssEEZZNS1_27merge_sort_block_merge_implIS3_N6thrust23THRUST_200600_302600_NS6detail15normal_iteratorINS8_10device_ptrIsEEEESD_jNS1_19radix_merge_compareILb0ELb0EsNS0_19identity_decomposerEEEEE10hipError_tT0_T1_T2_jT3_P12ihipStream_tbPNSt15iterator_traitsISI_E10value_typeEPNSO_ISJ_E10value_typeEPSK_NS1_7vsmem_tEENKUlT_SI_SJ_SK_E_clIPsSD_S10_SD_EESH_SX_SI_SJ_SK_EUlSX_E_NS1_11comp_targetILNS1_3genE0ELNS1_11target_archE4294967295ELNS1_3gpuE0ELNS1_3repE0EEENS1_48merge_mergepath_partition_config_static_selectorELNS0_4arch9wavefront6targetE1EEEvSJ_,comdat
.Lfunc_end1510:
	.size	_ZN7rocprim17ROCPRIM_400000_NS6detail17trampoline_kernelINS0_14default_configENS1_38merge_sort_block_merge_config_selectorIssEEZZNS1_27merge_sort_block_merge_implIS3_N6thrust23THRUST_200600_302600_NS6detail15normal_iteratorINS8_10device_ptrIsEEEESD_jNS1_19radix_merge_compareILb0ELb0EsNS0_19identity_decomposerEEEEE10hipError_tT0_T1_T2_jT3_P12ihipStream_tbPNSt15iterator_traitsISI_E10value_typeEPNSO_ISJ_E10value_typeEPSK_NS1_7vsmem_tEENKUlT_SI_SJ_SK_E_clIPsSD_S10_SD_EESH_SX_SI_SJ_SK_EUlSX_E_NS1_11comp_targetILNS1_3genE0ELNS1_11target_archE4294967295ELNS1_3gpuE0ELNS1_3repE0EEENS1_48merge_mergepath_partition_config_static_selectorELNS0_4arch9wavefront6targetE1EEEvSJ_, .Lfunc_end1510-_ZN7rocprim17ROCPRIM_400000_NS6detail17trampoline_kernelINS0_14default_configENS1_38merge_sort_block_merge_config_selectorIssEEZZNS1_27merge_sort_block_merge_implIS3_N6thrust23THRUST_200600_302600_NS6detail15normal_iteratorINS8_10device_ptrIsEEEESD_jNS1_19radix_merge_compareILb0ELb0EsNS0_19identity_decomposerEEEEE10hipError_tT0_T1_T2_jT3_P12ihipStream_tbPNSt15iterator_traitsISI_E10value_typeEPNSO_ISJ_E10value_typeEPSK_NS1_7vsmem_tEENKUlT_SI_SJ_SK_E_clIPsSD_S10_SD_EESH_SX_SI_SJ_SK_EUlSX_E_NS1_11comp_targetILNS1_3genE0ELNS1_11target_archE4294967295ELNS1_3gpuE0ELNS1_3repE0EEENS1_48merge_mergepath_partition_config_static_selectorELNS0_4arch9wavefront6targetE1EEEvSJ_
                                        ; -- End function
	.set _ZN7rocprim17ROCPRIM_400000_NS6detail17trampoline_kernelINS0_14default_configENS1_38merge_sort_block_merge_config_selectorIssEEZZNS1_27merge_sort_block_merge_implIS3_N6thrust23THRUST_200600_302600_NS6detail15normal_iteratorINS8_10device_ptrIsEEEESD_jNS1_19radix_merge_compareILb0ELb0EsNS0_19identity_decomposerEEEEE10hipError_tT0_T1_T2_jT3_P12ihipStream_tbPNSt15iterator_traitsISI_E10value_typeEPNSO_ISJ_E10value_typeEPSK_NS1_7vsmem_tEENKUlT_SI_SJ_SK_E_clIPsSD_S10_SD_EESH_SX_SI_SJ_SK_EUlSX_E_NS1_11comp_targetILNS1_3genE0ELNS1_11target_archE4294967295ELNS1_3gpuE0ELNS1_3repE0EEENS1_48merge_mergepath_partition_config_static_selectorELNS0_4arch9wavefront6targetE1EEEvSJ_.num_vgpr, 17
	.set _ZN7rocprim17ROCPRIM_400000_NS6detail17trampoline_kernelINS0_14default_configENS1_38merge_sort_block_merge_config_selectorIssEEZZNS1_27merge_sort_block_merge_implIS3_N6thrust23THRUST_200600_302600_NS6detail15normal_iteratorINS8_10device_ptrIsEEEESD_jNS1_19radix_merge_compareILb0ELb0EsNS0_19identity_decomposerEEEEE10hipError_tT0_T1_T2_jT3_P12ihipStream_tbPNSt15iterator_traitsISI_E10value_typeEPNSO_ISJ_E10value_typeEPSK_NS1_7vsmem_tEENKUlT_SI_SJ_SK_E_clIPsSD_S10_SD_EESH_SX_SI_SJ_SK_EUlSX_E_NS1_11comp_targetILNS1_3genE0ELNS1_11target_archE4294967295ELNS1_3gpuE0ELNS1_3repE0EEENS1_48merge_mergepath_partition_config_static_selectorELNS0_4arch9wavefront6targetE1EEEvSJ_.num_agpr, 0
	.set _ZN7rocprim17ROCPRIM_400000_NS6detail17trampoline_kernelINS0_14default_configENS1_38merge_sort_block_merge_config_selectorIssEEZZNS1_27merge_sort_block_merge_implIS3_N6thrust23THRUST_200600_302600_NS6detail15normal_iteratorINS8_10device_ptrIsEEEESD_jNS1_19radix_merge_compareILb0ELb0EsNS0_19identity_decomposerEEEEE10hipError_tT0_T1_T2_jT3_P12ihipStream_tbPNSt15iterator_traitsISI_E10value_typeEPNSO_ISJ_E10value_typeEPSK_NS1_7vsmem_tEENKUlT_SI_SJ_SK_E_clIPsSD_S10_SD_EESH_SX_SI_SJ_SK_EUlSX_E_NS1_11comp_targetILNS1_3genE0ELNS1_11target_archE4294967295ELNS1_3gpuE0ELNS1_3repE0EEENS1_48merge_mergepath_partition_config_static_selectorELNS0_4arch9wavefront6targetE1EEEvSJ_.numbered_sgpr, 8
	.set _ZN7rocprim17ROCPRIM_400000_NS6detail17trampoline_kernelINS0_14default_configENS1_38merge_sort_block_merge_config_selectorIssEEZZNS1_27merge_sort_block_merge_implIS3_N6thrust23THRUST_200600_302600_NS6detail15normal_iteratorINS8_10device_ptrIsEEEESD_jNS1_19radix_merge_compareILb0ELb0EsNS0_19identity_decomposerEEEEE10hipError_tT0_T1_T2_jT3_P12ihipStream_tbPNSt15iterator_traitsISI_E10value_typeEPNSO_ISJ_E10value_typeEPSK_NS1_7vsmem_tEENKUlT_SI_SJ_SK_E_clIPsSD_S10_SD_EESH_SX_SI_SJ_SK_EUlSX_E_NS1_11comp_targetILNS1_3genE0ELNS1_11target_archE4294967295ELNS1_3gpuE0ELNS1_3repE0EEENS1_48merge_mergepath_partition_config_static_selectorELNS0_4arch9wavefront6targetE1EEEvSJ_.num_named_barrier, 0
	.set _ZN7rocprim17ROCPRIM_400000_NS6detail17trampoline_kernelINS0_14default_configENS1_38merge_sort_block_merge_config_selectorIssEEZZNS1_27merge_sort_block_merge_implIS3_N6thrust23THRUST_200600_302600_NS6detail15normal_iteratorINS8_10device_ptrIsEEEESD_jNS1_19radix_merge_compareILb0ELb0EsNS0_19identity_decomposerEEEEE10hipError_tT0_T1_T2_jT3_P12ihipStream_tbPNSt15iterator_traitsISI_E10value_typeEPNSO_ISJ_E10value_typeEPSK_NS1_7vsmem_tEENKUlT_SI_SJ_SK_E_clIPsSD_S10_SD_EESH_SX_SI_SJ_SK_EUlSX_E_NS1_11comp_targetILNS1_3genE0ELNS1_11target_archE4294967295ELNS1_3gpuE0ELNS1_3repE0EEENS1_48merge_mergepath_partition_config_static_selectorELNS0_4arch9wavefront6targetE1EEEvSJ_.private_seg_size, 0
	.set _ZN7rocprim17ROCPRIM_400000_NS6detail17trampoline_kernelINS0_14default_configENS1_38merge_sort_block_merge_config_selectorIssEEZZNS1_27merge_sort_block_merge_implIS3_N6thrust23THRUST_200600_302600_NS6detail15normal_iteratorINS8_10device_ptrIsEEEESD_jNS1_19radix_merge_compareILb0ELb0EsNS0_19identity_decomposerEEEEE10hipError_tT0_T1_T2_jT3_P12ihipStream_tbPNSt15iterator_traitsISI_E10value_typeEPNSO_ISJ_E10value_typeEPSK_NS1_7vsmem_tEENKUlT_SI_SJ_SK_E_clIPsSD_S10_SD_EESH_SX_SI_SJ_SK_EUlSX_E_NS1_11comp_targetILNS1_3genE0ELNS1_11target_archE4294967295ELNS1_3gpuE0ELNS1_3repE0EEENS1_48merge_mergepath_partition_config_static_selectorELNS0_4arch9wavefront6targetE1EEEvSJ_.uses_vcc, 1
	.set _ZN7rocprim17ROCPRIM_400000_NS6detail17trampoline_kernelINS0_14default_configENS1_38merge_sort_block_merge_config_selectorIssEEZZNS1_27merge_sort_block_merge_implIS3_N6thrust23THRUST_200600_302600_NS6detail15normal_iteratorINS8_10device_ptrIsEEEESD_jNS1_19radix_merge_compareILb0ELb0EsNS0_19identity_decomposerEEEEE10hipError_tT0_T1_T2_jT3_P12ihipStream_tbPNSt15iterator_traitsISI_E10value_typeEPNSO_ISJ_E10value_typeEPSK_NS1_7vsmem_tEENKUlT_SI_SJ_SK_E_clIPsSD_S10_SD_EESH_SX_SI_SJ_SK_EUlSX_E_NS1_11comp_targetILNS1_3genE0ELNS1_11target_archE4294967295ELNS1_3gpuE0ELNS1_3repE0EEENS1_48merge_mergepath_partition_config_static_selectorELNS0_4arch9wavefront6targetE1EEEvSJ_.uses_flat_scratch, 0
	.set _ZN7rocprim17ROCPRIM_400000_NS6detail17trampoline_kernelINS0_14default_configENS1_38merge_sort_block_merge_config_selectorIssEEZZNS1_27merge_sort_block_merge_implIS3_N6thrust23THRUST_200600_302600_NS6detail15normal_iteratorINS8_10device_ptrIsEEEESD_jNS1_19radix_merge_compareILb0ELb0EsNS0_19identity_decomposerEEEEE10hipError_tT0_T1_T2_jT3_P12ihipStream_tbPNSt15iterator_traitsISI_E10value_typeEPNSO_ISJ_E10value_typeEPSK_NS1_7vsmem_tEENKUlT_SI_SJ_SK_E_clIPsSD_S10_SD_EESH_SX_SI_SJ_SK_EUlSX_E_NS1_11comp_targetILNS1_3genE0ELNS1_11target_archE4294967295ELNS1_3gpuE0ELNS1_3repE0EEENS1_48merge_mergepath_partition_config_static_selectorELNS0_4arch9wavefront6targetE1EEEvSJ_.has_dyn_sized_stack, 0
	.set _ZN7rocprim17ROCPRIM_400000_NS6detail17trampoline_kernelINS0_14default_configENS1_38merge_sort_block_merge_config_selectorIssEEZZNS1_27merge_sort_block_merge_implIS3_N6thrust23THRUST_200600_302600_NS6detail15normal_iteratorINS8_10device_ptrIsEEEESD_jNS1_19radix_merge_compareILb0ELb0EsNS0_19identity_decomposerEEEEE10hipError_tT0_T1_T2_jT3_P12ihipStream_tbPNSt15iterator_traitsISI_E10value_typeEPNSO_ISJ_E10value_typeEPSK_NS1_7vsmem_tEENKUlT_SI_SJ_SK_E_clIPsSD_S10_SD_EESH_SX_SI_SJ_SK_EUlSX_E_NS1_11comp_targetILNS1_3genE0ELNS1_11target_archE4294967295ELNS1_3gpuE0ELNS1_3repE0EEENS1_48merge_mergepath_partition_config_static_selectorELNS0_4arch9wavefront6targetE1EEEvSJ_.has_recursion, 0
	.set _ZN7rocprim17ROCPRIM_400000_NS6detail17trampoline_kernelINS0_14default_configENS1_38merge_sort_block_merge_config_selectorIssEEZZNS1_27merge_sort_block_merge_implIS3_N6thrust23THRUST_200600_302600_NS6detail15normal_iteratorINS8_10device_ptrIsEEEESD_jNS1_19radix_merge_compareILb0ELb0EsNS0_19identity_decomposerEEEEE10hipError_tT0_T1_T2_jT3_P12ihipStream_tbPNSt15iterator_traitsISI_E10value_typeEPNSO_ISJ_E10value_typeEPSK_NS1_7vsmem_tEENKUlT_SI_SJ_SK_E_clIPsSD_S10_SD_EESH_SX_SI_SJ_SK_EUlSX_E_NS1_11comp_targetILNS1_3genE0ELNS1_11target_archE4294967295ELNS1_3gpuE0ELNS1_3repE0EEENS1_48merge_mergepath_partition_config_static_selectorELNS0_4arch9wavefront6targetE1EEEvSJ_.has_indirect_call, 0
	.section	.AMDGPU.csdata,"",@progbits
; Kernel info:
; codeLenInByte = 320
; TotalNumSgprs: 14
; NumVgprs: 17
; NumAgprs: 0
; TotalNumVgprs: 17
; ScratchSize: 0
; MemoryBound: 0
; FloatMode: 240
; IeeeMode: 1
; LDSByteSize: 0 bytes/workgroup (compile time only)
; SGPRBlocks: 1
; VGPRBlocks: 2
; NumSGPRsForWavesPerEU: 14
; NumVGPRsForWavesPerEU: 17
; AccumOffset: 20
; Occupancy: 8
; WaveLimiterHint : 0
; COMPUTE_PGM_RSRC2:SCRATCH_EN: 0
; COMPUTE_PGM_RSRC2:USER_SGPR: 2
; COMPUTE_PGM_RSRC2:TRAP_HANDLER: 0
; COMPUTE_PGM_RSRC2:TGID_X_EN: 1
; COMPUTE_PGM_RSRC2:TGID_Y_EN: 0
; COMPUTE_PGM_RSRC2:TGID_Z_EN: 0
; COMPUTE_PGM_RSRC2:TIDIG_COMP_CNT: 0
; COMPUTE_PGM_RSRC3_GFX90A:ACCUM_OFFSET: 4
; COMPUTE_PGM_RSRC3_GFX90A:TG_SPLIT: 0
	.section	.text._ZN7rocprim17ROCPRIM_400000_NS6detail17trampoline_kernelINS0_14default_configENS1_38merge_sort_block_merge_config_selectorIssEEZZNS1_27merge_sort_block_merge_implIS3_N6thrust23THRUST_200600_302600_NS6detail15normal_iteratorINS8_10device_ptrIsEEEESD_jNS1_19radix_merge_compareILb0ELb0EsNS0_19identity_decomposerEEEEE10hipError_tT0_T1_T2_jT3_P12ihipStream_tbPNSt15iterator_traitsISI_E10value_typeEPNSO_ISJ_E10value_typeEPSK_NS1_7vsmem_tEENKUlT_SI_SJ_SK_E_clIPsSD_S10_SD_EESH_SX_SI_SJ_SK_EUlSX_E_NS1_11comp_targetILNS1_3genE10ELNS1_11target_archE1201ELNS1_3gpuE5ELNS1_3repE0EEENS1_48merge_mergepath_partition_config_static_selectorELNS0_4arch9wavefront6targetE1EEEvSJ_,"axG",@progbits,_ZN7rocprim17ROCPRIM_400000_NS6detail17trampoline_kernelINS0_14default_configENS1_38merge_sort_block_merge_config_selectorIssEEZZNS1_27merge_sort_block_merge_implIS3_N6thrust23THRUST_200600_302600_NS6detail15normal_iteratorINS8_10device_ptrIsEEEESD_jNS1_19radix_merge_compareILb0ELb0EsNS0_19identity_decomposerEEEEE10hipError_tT0_T1_T2_jT3_P12ihipStream_tbPNSt15iterator_traitsISI_E10value_typeEPNSO_ISJ_E10value_typeEPSK_NS1_7vsmem_tEENKUlT_SI_SJ_SK_E_clIPsSD_S10_SD_EESH_SX_SI_SJ_SK_EUlSX_E_NS1_11comp_targetILNS1_3genE10ELNS1_11target_archE1201ELNS1_3gpuE5ELNS1_3repE0EEENS1_48merge_mergepath_partition_config_static_selectorELNS0_4arch9wavefront6targetE1EEEvSJ_,comdat
	.protected	_ZN7rocprim17ROCPRIM_400000_NS6detail17trampoline_kernelINS0_14default_configENS1_38merge_sort_block_merge_config_selectorIssEEZZNS1_27merge_sort_block_merge_implIS3_N6thrust23THRUST_200600_302600_NS6detail15normal_iteratorINS8_10device_ptrIsEEEESD_jNS1_19radix_merge_compareILb0ELb0EsNS0_19identity_decomposerEEEEE10hipError_tT0_T1_T2_jT3_P12ihipStream_tbPNSt15iterator_traitsISI_E10value_typeEPNSO_ISJ_E10value_typeEPSK_NS1_7vsmem_tEENKUlT_SI_SJ_SK_E_clIPsSD_S10_SD_EESH_SX_SI_SJ_SK_EUlSX_E_NS1_11comp_targetILNS1_3genE10ELNS1_11target_archE1201ELNS1_3gpuE5ELNS1_3repE0EEENS1_48merge_mergepath_partition_config_static_selectorELNS0_4arch9wavefront6targetE1EEEvSJ_ ; -- Begin function _ZN7rocprim17ROCPRIM_400000_NS6detail17trampoline_kernelINS0_14default_configENS1_38merge_sort_block_merge_config_selectorIssEEZZNS1_27merge_sort_block_merge_implIS3_N6thrust23THRUST_200600_302600_NS6detail15normal_iteratorINS8_10device_ptrIsEEEESD_jNS1_19radix_merge_compareILb0ELb0EsNS0_19identity_decomposerEEEEE10hipError_tT0_T1_T2_jT3_P12ihipStream_tbPNSt15iterator_traitsISI_E10value_typeEPNSO_ISJ_E10value_typeEPSK_NS1_7vsmem_tEENKUlT_SI_SJ_SK_E_clIPsSD_S10_SD_EESH_SX_SI_SJ_SK_EUlSX_E_NS1_11comp_targetILNS1_3genE10ELNS1_11target_archE1201ELNS1_3gpuE5ELNS1_3repE0EEENS1_48merge_mergepath_partition_config_static_selectorELNS0_4arch9wavefront6targetE1EEEvSJ_
	.globl	_ZN7rocprim17ROCPRIM_400000_NS6detail17trampoline_kernelINS0_14default_configENS1_38merge_sort_block_merge_config_selectorIssEEZZNS1_27merge_sort_block_merge_implIS3_N6thrust23THRUST_200600_302600_NS6detail15normal_iteratorINS8_10device_ptrIsEEEESD_jNS1_19radix_merge_compareILb0ELb0EsNS0_19identity_decomposerEEEEE10hipError_tT0_T1_T2_jT3_P12ihipStream_tbPNSt15iterator_traitsISI_E10value_typeEPNSO_ISJ_E10value_typeEPSK_NS1_7vsmem_tEENKUlT_SI_SJ_SK_E_clIPsSD_S10_SD_EESH_SX_SI_SJ_SK_EUlSX_E_NS1_11comp_targetILNS1_3genE10ELNS1_11target_archE1201ELNS1_3gpuE5ELNS1_3repE0EEENS1_48merge_mergepath_partition_config_static_selectorELNS0_4arch9wavefront6targetE1EEEvSJ_
	.p2align	8
	.type	_ZN7rocprim17ROCPRIM_400000_NS6detail17trampoline_kernelINS0_14default_configENS1_38merge_sort_block_merge_config_selectorIssEEZZNS1_27merge_sort_block_merge_implIS3_N6thrust23THRUST_200600_302600_NS6detail15normal_iteratorINS8_10device_ptrIsEEEESD_jNS1_19radix_merge_compareILb0ELb0EsNS0_19identity_decomposerEEEEE10hipError_tT0_T1_T2_jT3_P12ihipStream_tbPNSt15iterator_traitsISI_E10value_typeEPNSO_ISJ_E10value_typeEPSK_NS1_7vsmem_tEENKUlT_SI_SJ_SK_E_clIPsSD_S10_SD_EESH_SX_SI_SJ_SK_EUlSX_E_NS1_11comp_targetILNS1_3genE10ELNS1_11target_archE1201ELNS1_3gpuE5ELNS1_3repE0EEENS1_48merge_mergepath_partition_config_static_selectorELNS0_4arch9wavefront6targetE1EEEvSJ_,@function
_ZN7rocprim17ROCPRIM_400000_NS6detail17trampoline_kernelINS0_14default_configENS1_38merge_sort_block_merge_config_selectorIssEEZZNS1_27merge_sort_block_merge_implIS3_N6thrust23THRUST_200600_302600_NS6detail15normal_iteratorINS8_10device_ptrIsEEEESD_jNS1_19radix_merge_compareILb0ELb0EsNS0_19identity_decomposerEEEEE10hipError_tT0_T1_T2_jT3_P12ihipStream_tbPNSt15iterator_traitsISI_E10value_typeEPNSO_ISJ_E10value_typeEPSK_NS1_7vsmem_tEENKUlT_SI_SJ_SK_E_clIPsSD_S10_SD_EESH_SX_SI_SJ_SK_EUlSX_E_NS1_11comp_targetILNS1_3genE10ELNS1_11target_archE1201ELNS1_3gpuE5ELNS1_3repE0EEENS1_48merge_mergepath_partition_config_static_selectorELNS0_4arch9wavefront6targetE1EEEvSJ_: ; @_ZN7rocprim17ROCPRIM_400000_NS6detail17trampoline_kernelINS0_14default_configENS1_38merge_sort_block_merge_config_selectorIssEEZZNS1_27merge_sort_block_merge_implIS3_N6thrust23THRUST_200600_302600_NS6detail15normal_iteratorINS8_10device_ptrIsEEEESD_jNS1_19radix_merge_compareILb0ELb0EsNS0_19identity_decomposerEEEEE10hipError_tT0_T1_T2_jT3_P12ihipStream_tbPNSt15iterator_traitsISI_E10value_typeEPNSO_ISJ_E10value_typeEPSK_NS1_7vsmem_tEENKUlT_SI_SJ_SK_E_clIPsSD_S10_SD_EESH_SX_SI_SJ_SK_EUlSX_E_NS1_11comp_targetILNS1_3genE10ELNS1_11target_archE1201ELNS1_3gpuE5ELNS1_3repE0EEENS1_48merge_mergepath_partition_config_static_selectorELNS0_4arch9wavefront6targetE1EEEvSJ_
; %bb.0:
	.section	.rodata,"a",@progbits
	.p2align	6, 0x0
	.amdhsa_kernel _ZN7rocprim17ROCPRIM_400000_NS6detail17trampoline_kernelINS0_14default_configENS1_38merge_sort_block_merge_config_selectorIssEEZZNS1_27merge_sort_block_merge_implIS3_N6thrust23THRUST_200600_302600_NS6detail15normal_iteratorINS8_10device_ptrIsEEEESD_jNS1_19radix_merge_compareILb0ELb0EsNS0_19identity_decomposerEEEEE10hipError_tT0_T1_T2_jT3_P12ihipStream_tbPNSt15iterator_traitsISI_E10value_typeEPNSO_ISJ_E10value_typeEPSK_NS1_7vsmem_tEENKUlT_SI_SJ_SK_E_clIPsSD_S10_SD_EESH_SX_SI_SJ_SK_EUlSX_E_NS1_11comp_targetILNS1_3genE10ELNS1_11target_archE1201ELNS1_3gpuE5ELNS1_3repE0EEENS1_48merge_mergepath_partition_config_static_selectorELNS0_4arch9wavefront6targetE1EEEvSJ_
		.amdhsa_group_segment_fixed_size 0
		.amdhsa_private_segment_fixed_size 0
		.amdhsa_kernarg_size 40
		.amdhsa_user_sgpr_count 2
		.amdhsa_user_sgpr_dispatch_ptr 0
		.amdhsa_user_sgpr_queue_ptr 0
		.amdhsa_user_sgpr_kernarg_segment_ptr 1
		.amdhsa_user_sgpr_dispatch_id 0
		.amdhsa_user_sgpr_kernarg_preload_length 0
		.amdhsa_user_sgpr_kernarg_preload_offset 0
		.amdhsa_user_sgpr_private_segment_size 0
		.amdhsa_uses_dynamic_stack 0
		.amdhsa_enable_private_segment 0
		.amdhsa_system_sgpr_workgroup_id_x 1
		.amdhsa_system_sgpr_workgroup_id_y 0
		.amdhsa_system_sgpr_workgroup_id_z 0
		.amdhsa_system_sgpr_workgroup_info 0
		.amdhsa_system_vgpr_workitem_id 0
		.amdhsa_next_free_vgpr 1
		.amdhsa_next_free_sgpr 0
		.amdhsa_accum_offset 4
		.amdhsa_reserve_vcc 0
		.amdhsa_float_round_mode_32 0
		.amdhsa_float_round_mode_16_64 0
		.amdhsa_float_denorm_mode_32 3
		.amdhsa_float_denorm_mode_16_64 3
		.amdhsa_dx10_clamp 1
		.amdhsa_ieee_mode 1
		.amdhsa_fp16_overflow 0
		.amdhsa_tg_split 0
		.amdhsa_exception_fp_ieee_invalid_op 0
		.amdhsa_exception_fp_denorm_src 0
		.amdhsa_exception_fp_ieee_div_zero 0
		.amdhsa_exception_fp_ieee_overflow 0
		.amdhsa_exception_fp_ieee_underflow 0
		.amdhsa_exception_fp_ieee_inexact 0
		.amdhsa_exception_int_div_zero 0
	.end_amdhsa_kernel
	.section	.text._ZN7rocprim17ROCPRIM_400000_NS6detail17trampoline_kernelINS0_14default_configENS1_38merge_sort_block_merge_config_selectorIssEEZZNS1_27merge_sort_block_merge_implIS3_N6thrust23THRUST_200600_302600_NS6detail15normal_iteratorINS8_10device_ptrIsEEEESD_jNS1_19radix_merge_compareILb0ELb0EsNS0_19identity_decomposerEEEEE10hipError_tT0_T1_T2_jT3_P12ihipStream_tbPNSt15iterator_traitsISI_E10value_typeEPNSO_ISJ_E10value_typeEPSK_NS1_7vsmem_tEENKUlT_SI_SJ_SK_E_clIPsSD_S10_SD_EESH_SX_SI_SJ_SK_EUlSX_E_NS1_11comp_targetILNS1_3genE10ELNS1_11target_archE1201ELNS1_3gpuE5ELNS1_3repE0EEENS1_48merge_mergepath_partition_config_static_selectorELNS0_4arch9wavefront6targetE1EEEvSJ_,"axG",@progbits,_ZN7rocprim17ROCPRIM_400000_NS6detail17trampoline_kernelINS0_14default_configENS1_38merge_sort_block_merge_config_selectorIssEEZZNS1_27merge_sort_block_merge_implIS3_N6thrust23THRUST_200600_302600_NS6detail15normal_iteratorINS8_10device_ptrIsEEEESD_jNS1_19radix_merge_compareILb0ELb0EsNS0_19identity_decomposerEEEEE10hipError_tT0_T1_T2_jT3_P12ihipStream_tbPNSt15iterator_traitsISI_E10value_typeEPNSO_ISJ_E10value_typeEPSK_NS1_7vsmem_tEENKUlT_SI_SJ_SK_E_clIPsSD_S10_SD_EESH_SX_SI_SJ_SK_EUlSX_E_NS1_11comp_targetILNS1_3genE10ELNS1_11target_archE1201ELNS1_3gpuE5ELNS1_3repE0EEENS1_48merge_mergepath_partition_config_static_selectorELNS0_4arch9wavefront6targetE1EEEvSJ_,comdat
.Lfunc_end1511:
	.size	_ZN7rocprim17ROCPRIM_400000_NS6detail17trampoline_kernelINS0_14default_configENS1_38merge_sort_block_merge_config_selectorIssEEZZNS1_27merge_sort_block_merge_implIS3_N6thrust23THRUST_200600_302600_NS6detail15normal_iteratorINS8_10device_ptrIsEEEESD_jNS1_19radix_merge_compareILb0ELb0EsNS0_19identity_decomposerEEEEE10hipError_tT0_T1_T2_jT3_P12ihipStream_tbPNSt15iterator_traitsISI_E10value_typeEPNSO_ISJ_E10value_typeEPSK_NS1_7vsmem_tEENKUlT_SI_SJ_SK_E_clIPsSD_S10_SD_EESH_SX_SI_SJ_SK_EUlSX_E_NS1_11comp_targetILNS1_3genE10ELNS1_11target_archE1201ELNS1_3gpuE5ELNS1_3repE0EEENS1_48merge_mergepath_partition_config_static_selectorELNS0_4arch9wavefront6targetE1EEEvSJ_, .Lfunc_end1511-_ZN7rocprim17ROCPRIM_400000_NS6detail17trampoline_kernelINS0_14default_configENS1_38merge_sort_block_merge_config_selectorIssEEZZNS1_27merge_sort_block_merge_implIS3_N6thrust23THRUST_200600_302600_NS6detail15normal_iteratorINS8_10device_ptrIsEEEESD_jNS1_19radix_merge_compareILb0ELb0EsNS0_19identity_decomposerEEEEE10hipError_tT0_T1_T2_jT3_P12ihipStream_tbPNSt15iterator_traitsISI_E10value_typeEPNSO_ISJ_E10value_typeEPSK_NS1_7vsmem_tEENKUlT_SI_SJ_SK_E_clIPsSD_S10_SD_EESH_SX_SI_SJ_SK_EUlSX_E_NS1_11comp_targetILNS1_3genE10ELNS1_11target_archE1201ELNS1_3gpuE5ELNS1_3repE0EEENS1_48merge_mergepath_partition_config_static_selectorELNS0_4arch9wavefront6targetE1EEEvSJ_
                                        ; -- End function
	.set _ZN7rocprim17ROCPRIM_400000_NS6detail17trampoline_kernelINS0_14default_configENS1_38merge_sort_block_merge_config_selectorIssEEZZNS1_27merge_sort_block_merge_implIS3_N6thrust23THRUST_200600_302600_NS6detail15normal_iteratorINS8_10device_ptrIsEEEESD_jNS1_19radix_merge_compareILb0ELb0EsNS0_19identity_decomposerEEEEE10hipError_tT0_T1_T2_jT3_P12ihipStream_tbPNSt15iterator_traitsISI_E10value_typeEPNSO_ISJ_E10value_typeEPSK_NS1_7vsmem_tEENKUlT_SI_SJ_SK_E_clIPsSD_S10_SD_EESH_SX_SI_SJ_SK_EUlSX_E_NS1_11comp_targetILNS1_3genE10ELNS1_11target_archE1201ELNS1_3gpuE5ELNS1_3repE0EEENS1_48merge_mergepath_partition_config_static_selectorELNS0_4arch9wavefront6targetE1EEEvSJ_.num_vgpr, 0
	.set _ZN7rocprim17ROCPRIM_400000_NS6detail17trampoline_kernelINS0_14default_configENS1_38merge_sort_block_merge_config_selectorIssEEZZNS1_27merge_sort_block_merge_implIS3_N6thrust23THRUST_200600_302600_NS6detail15normal_iteratorINS8_10device_ptrIsEEEESD_jNS1_19radix_merge_compareILb0ELb0EsNS0_19identity_decomposerEEEEE10hipError_tT0_T1_T2_jT3_P12ihipStream_tbPNSt15iterator_traitsISI_E10value_typeEPNSO_ISJ_E10value_typeEPSK_NS1_7vsmem_tEENKUlT_SI_SJ_SK_E_clIPsSD_S10_SD_EESH_SX_SI_SJ_SK_EUlSX_E_NS1_11comp_targetILNS1_3genE10ELNS1_11target_archE1201ELNS1_3gpuE5ELNS1_3repE0EEENS1_48merge_mergepath_partition_config_static_selectorELNS0_4arch9wavefront6targetE1EEEvSJ_.num_agpr, 0
	.set _ZN7rocprim17ROCPRIM_400000_NS6detail17trampoline_kernelINS0_14default_configENS1_38merge_sort_block_merge_config_selectorIssEEZZNS1_27merge_sort_block_merge_implIS3_N6thrust23THRUST_200600_302600_NS6detail15normal_iteratorINS8_10device_ptrIsEEEESD_jNS1_19radix_merge_compareILb0ELb0EsNS0_19identity_decomposerEEEEE10hipError_tT0_T1_T2_jT3_P12ihipStream_tbPNSt15iterator_traitsISI_E10value_typeEPNSO_ISJ_E10value_typeEPSK_NS1_7vsmem_tEENKUlT_SI_SJ_SK_E_clIPsSD_S10_SD_EESH_SX_SI_SJ_SK_EUlSX_E_NS1_11comp_targetILNS1_3genE10ELNS1_11target_archE1201ELNS1_3gpuE5ELNS1_3repE0EEENS1_48merge_mergepath_partition_config_static_selectorELNS0_4arch9wavefront6targetE1EEEvSJ_.numbered_sgpr, 0
	.set _ZN7rocprim17ROCPRIM_400000_NS6detail17trampoline_kernelINS0_14default_configENS1_38merge_sort_block_merge_config_selectorIssEEZZNS1_27merge_sort_block_merge_implIS3_N6thrust23THRUST_200600_302600_NS6detail15normal_iteratorINS8_10device_ptrIsEEEESD_jNS1_19radix_merge_compareILb0ELb0EsNS0_19identity_decomposerEEEEE10hipError_tT0_T1_T2_jT3_P12ihipStream_tbPNSt15iterator_traitsISI_E10value_typeEPNSO_ISJ_E10value_typeEPSK_NS1_7vsmem_tEENKUlT_SI_SJ_SK_E_clIPsSD_S10_SD_EESH_SX_SI_SJ_SK_EUlSX_E_NS1_11comp_targetILNS1_3genE10ELNS1_11target_archE1201ELNS1_3gpuE5ELNS1_3repE0EEENS1_48merge_mergepath_partition_config_static_selectorELNS0_4arch9wavefront6targetE1EEEvSJ_.num_named_barrier, 0
	.set _ZN7rocprim17ROCPRIM_400000_NS6detail17trampoline_kernelINS0_14default_configENS1_38merge_sort_block_merge_config_selectorIssEEZZNS1_27merge_sort_block_merge_implIS3_N6thrust23THRUST_200600_302600_NS6detail15normal_iteratorINS8_10device_ptrIsEEEESD_jNS1_19radix_merge_compareILb0ELb0EsNS0_19identity_decomposerEEEEE10hipError_tT0_T1_T2_jT3_P12ihipStream_tbPNSt15iterator_traitsISI_E10value_typeEPNSO_ISJ_E10value_typeEPSK_NS1_7vsmem_tEENKUlT_SI_SJ_SK_E_clIPsSD_S10_SD_EESH_SX_SI_SJ_SK_EUlSX_E_NS1_11comp_targetILNS1_3genE10ELNS1_11target_archE1201ELNS1_3gpuE5ELNS1_3repE0EEENS1_48merge_mergepath_partition_config_static_selectorELNS0_4arch9wavefront6targetE1EEEvSJ_.private_seg_size, 0
	.set _ZN7rocprim17ROCPRIM_400000_NS6detail17trampoline_kernelINS0_14default_configENS1_38merge_sort_block_merge_config_selectorIssEEZZNS1_27merge_sort_block_merge_implIS3_N6thrust23THRUST_200600_302600_NS6detail15normal_iteratorINS8_10device_ptrIsEEEESD_jNS1_19radix_merge_compareILb0ELb0EsNS0_19identity_decomposerEEEEE10hipError_tT0_T1_T2_jT3_P12ihipStream_tbPNSt15iterator_traitsISI_E10value_typeEPNSO_ISJ_E10value_typeEPSK_NS1_7vsmem_tEENKUlT_SI_SJ_SK_E_clIPsSD_S10_SD_EESH_SX_SI_SJ_SK_EUlSX_E_NS1_11comp_targetILNS1_3genE10ELNS1_11target_archE1201ELNS1_3gpuE5ELNS1_3repE0EEENS1_48merge_mergepath_partition_config_static_selectorELNS0_4arch9wavefront6targetE1EEEvSJ_.uses_vcc, 0
	.set _ZN7rocprim17ROCPRIM_400000_NS6detail17trampoline_kernelINS0_14default_configENS1_38merge_sort_block_merge_config_selectorIssEEZZNS1_27merge_sort_block_merge_implIS3_N6thrust23THRUST_200600_302600_NS6detail15normal_iteratorINS8_10device_ptrIsEEEESD_jNS1_19radix_merge_compareILb0ELb0EsNS0_19identity_decomposerEEEEE10hipError_tT0_T1_T2_jT3_P12ihipStream_tbPNSt15iterator_traitsISI_E10value_typeEPNSO_ISJ_E10value_typeEPSK_NS1_7vsmem_tEENKUlT_SI_SJ_SK_E_clIPsSD_S10_SD_EESH_SX_SI_SJ_SK_EUlSX_E_NS1_11comp_targetILNS1_3genE10ELNS1_11target_archE1201ELNS1_3gpuE5ELNS1_3repE0EEENS1_48merge_mergepath_partition_config_static_selectorELNS0_4arch9wavefront6targetE1EEEvSJ_.uses_flat_scratch, 0
	.set _ZN7rocprim17ROCPRIM_400000_NS6detail17trampoline_kernelINS0_14default_configENS1_38merge_sort_block_merge_config_selectorIssEEZZNS1_27merge_sort_block_merge_implIS3_N6thrust23THRUST_200600_302600_NS6detail15normal_iteratorINS8_10device_ptrIsEEEESD_jNS1_19radix_merge_compareILb0ELb0EsNS0_19identity_decomposerEEEEE10hipError_tT0_T1_T2_jT3_P12ihipStream_tbPNSt15iterator_traitsISI_E10value_typeEPNSO_ISJ_E10value_typeEPSK_NS1_7vsmem_tEENKUlT_SI_SJ_SK_E_clIPsSD_S10_SD_EESH_SX_SI_SJ_SK_EUlSX_E_NS1_11comp_targetILNS1_3genE10ELNS1_11target_archE1201ELNS1_3gpuE5ELNS1_3repE0EEENS1_48merge_mergepath_partition_config_static_selectorELNS0_4arch9wavefront6targetE1EEEvSJ_.has_dyn_sized_stack, 0
	.set _ZN7rocprim17ROCPRIM_400000_NS6detail17trampoline_kernelINS0_14default_configENS1_38merge_sort_block_merge_config_selectorIssEEZZNS1_27merge_sort_block_merge_implIS3_N6thrust23THRUST_200600_302600_NS6detail15normal_iteratorINS8_10device_ptrIsEEEESD_jNS1_19radix_merge_compareILb0ELb0EsNS0_19identity_decomposerEEEEE10hipError_tT0_T1_T2_jT3_P12ihipStream_tbPNSt15iterator_traitsISI_E10value_typeEPNSO_ISJ_E10value_typeEPSK_NS1_7vsmem_tEENKUlT_SI_SJ_SK_E_clIPsSD_S10_SD_EESH_SX_SI_SJ_SK_EUlSX_E_NS1_11comp_targetILNS1_3genE10ELNS1_11target_archE1201ELNS1_3gpuE5ELNS1_3repE0EEENS1_48merge_mergepath_partition_config_static_selectorELNS0_4arch9wavefront6targetE1EEEvSJ_.has_recursion, 0
	.set _ZN7rocprim17ROCPRIM_400000_NS6detail17trampoline_kernelINS0_14default_configENS1_38merge_sort_block_merge_config_selectorIssEEZZNS1_27merge_sort_block_merge_implIS3_N6thrust23THRUST_200600_302600_NS6detail15normal_iteratorINS8_10device_ptrIsEEEESD_jNS1_19radix_merge_compareILb0ELb0EsNS0_19identity_decomposerEEEEE10hipError_tT0_T1_T2_jT3_P12ihipStream_tbPNSt15iterator_traitsISI_E10value_typeEPNSO_ISJ_E10value_typeEPSK_NS1_7vsmem_tEENKUlT_SI_SJ_SK_E_clIPsSD_S10_SD_EESH_SX_SI_SJ_SK_EUlSX_E_NS1_11comp_targetILNS1_3genE10ELNS1_11target_archE1201ELNS1_3gpuE5ELNS1_3repE0EEENS1_48merge_mergepath_partition_config_static_selectorELNS0_4arch9wavefront6targetE1EEEvSJ_.has_indirect_call, 0
	.section	.AMDGPU.csdata,"",@progbits
; Kernel info:
; codeLenInByte = 0
; TotalNumSgprs: 6
; NumVgprs: 0
; NumAgprs: 0
; TotalNumVgprs: 0
; ScratchSize: 0
; MemoryBound: 0
; FloatMode: 240
; IeeeMode: 1
; LDSByteSize: 0 bytes/workgroup (compile time only)
; SGPRBlocks: 0
; VGPRBlocks: 0
; NumSGPRsForWavesPerEU: 6
; NumVGPRsForWavesPerEU: 1
; AccumOffset: 4
; Occupancy: 8
; WaveLimiterHint : 0
; COMPUTE_PGM_RSRC2:SCRATCH_EN: 0
; COMPUTE_PGM_RSRC2:USER_SGPR: 2
; COMPUTE_PGM_RSRC2:TRAP_HANDLER: 0
; COMPUTE_PGM_RSRC2:TGID_X_EN: 1
; COMPUTE_PGM_RSRC2:TGID_Y_EN: 0
; COMPUTE_PGM_RSRC2:TGID_Z_EN: 0
; COMPUTE_PGM_RSRC2:TIDIG_COMP_CNT: 0
; COMPUTE_PGM_RSRC3_GFX90A:ACCUM_OFFSET: 0
; COMPUTE_PGM_RSRC3_GFX90A:TG_SPLIT: 0
	.section	.text._ZN7rocprim17ROCPRIM_400000_NS6detail17trampoline_kernelINS0_14default_configENS1_38merge_sort_block_merge_config_selectorIssEEZZNS1_27merge_sort_block_merge_implIS3_N6thrust23THRUST_200600_302600_NS6detail15normal_iteratorINS8_10device_ptrIsEEEESD_jNS1_19radix_merge_compareILb0ELb0EsNS0_19identity_decomposerEEEEE10hipError_tT0_T1_T2_jT3_P12ihipStream_tbPNSt15iterator_traitsISI_E10value_typeEPNSO_ISJ_E10value_typeEPSK_NS1_7vsmem_tEENKUlT_SI_SJ_SK_E_clIPsSD_S10_SD_EESH_SX_SI_SJ_SK_EUlSX_E_NS1_11comp_targetILNS1_3genE5ELNS1_11target_archE942ELNS1_3gpuE9ELNS1_3repE0EEENS1_48merge_mergepath_partition_config_static_selectorELNS0_4arch9wavefront6targetE1EEEvSJ_,"axG",@progbits,_ZN7rocprim17ROCPRIM_400000_NS6detail17trampoline_kernelINS0_14default_configENS1_38merge_sort_block_merge_config_selectorIssEEZZNS1_27merge_sort_block_merge_implIS3_N6thrust23THRUST_200600_302600_NS6detail15normal_iteratorINS8_10device_ptrIsEEEESD_jNS1_19radix_merge_compareILb0ELb0EsNS0_19identity_decomposerEEEEE10hipError_tT0_T1_T2_jT3_P12ihipStream_tbPNSt15iterator_traitsISI_E10value_typeEPNSO_ISJ_E10value_typeEPSK_NS1_7vsmem_tEENKUlT_SI_SJ_SK_E_clIPsSD_S10_SD_EESH_SX_SI_SJ_SK_EUlSX_E_NS1_11comp_targetILNS1_3genE5ELNS1_11target_archE942ELNS1_3gpuE9ELNS1_3repE0EEENS1_48merge_mergepath_partition_config_static_selectorELNS0_4arch9wavefront6targetE1EEEvSJ_,comdat
	.protected	_ZN7rocprim17ROCPRIM_400000_NS6detail17trampoline_kernelINS0_14default_configENS1_38merge_sort_block_merge_config_selectorIssEEZZNS1_27merge_sort_block_merge_implIS3_N6thrust23THRUST_200600_302600_NS6detail15normal_iteratorINS8_10device_ptrIsEEEESD_jNS1_19radix_merge_compareILb0ELb0EsNS0_19identity_decomposerEEEEE10hipError_tT0_T1_T2_jT3_P12ihipStream_tbPNSt15iterator_traitsISI_E10value_typeEPNSO_ISJ_E10value_typeEPSK_NS1_7vsmem_tEENKUlT_SI_SJ_SK_E_clIPsSD_S10_SD_EESH_SX_SI_SJ_SK_EUlSX_E_NS1_11comp_targetILNS1_3genE5ELNS1_11target_archE942ELNS1_3gpuE9ELNS1_3repE0EEENS1_48merge_mergepath_partition_config_static_selectorELNS0_4arch9wavefront6targetE1EEEvSJ_ ; -- Begin function _ZN7rocprim17ROCPRIM_400000_NS6detail17trampoline_kernelINS0_14default_configENS1_38merge_sort_block_merge_config_selectorIssEEZZNS1_27merge_sort_block_merge_implIS3_N6thrust23THRUST_200600_302600_NS6detail15normal_iteratorINS8_10device_ptrIsEEEESD_jNS1_19radix_merge_compareILb0ELb0EsNS0_19identity_decomposerEEEEE10hipError_tT0_T1_T2_jT3_P12ihipStream_tbPNSt15iterator_traitsISI_E10value_typeEPNSO_ISJ_E10value_typeEPSK_NS1_7vsmem_tEENKUlT_SI_SJ_SK_E_clIPsSD_S10_SD_EESH_SX_SI_SJ_SK_EUlSX_E_NS1_11comp_targetILNS1_3genE5ELNS1_11target_archE942ELNS1_3gpuE9ELNS1_3repE0EEENS1_48merge_mergepath_partition_config_static_selectorELNS0_4arch9wavefront6targetE1EEEvSJ_
	.globl	_ZN7rocprim17ROCPRIM_400000_NS6detail17trampoline_kernelINS0_14default_configENS1_38merge_sort_block_merge_config_selectorIssEEZZNS1_27merge_sort_block_merge_implIS3_N6thrust23THRUST_200600_302600_NS6detail15normal_iteratorINS8_10device_ptrIsEEEESD_jNS1_19radix_merge_compareILb0ELb0EsNS0_19identity_decomposerEEEEE10hipError_tT0_T1_T2_jT3_P12ihipStream_tbPNSt15iterator_traitsISI_E10value_typeEPNSO_ISJ_E10value_typeEPSK_NS1_7vsmem_tEENKUlT_SI_SJ_SK_E_clIPsSD_S10_SD_EESH_SX_SI_SJ_SK_EUlSX_E_NS1_11comp_targetILNS1_3genE5ELNS1_11target_archE942ELNS1_3gpuE9ELNS1_3repE0EEENS1_48merge_mergepath_partition_config_static_selectorELNS0_4arch9wavefront6targetE1EEEvSJ_
	.p2align	8
	.type	_ZN7rocprim17ROCPRIM_400000_NS6detail17trampoline_kernelINS0_14default_configENS1_38merge_sort_block_merge_config_selectorIssEEZZNS1_27merge_sort_block_merge_implIS3_N6thrust23THRUST_200600_302600_NS6detail15normal_iteratorINS8_10device_ptrIsEEEESD_jNS1_19radix_merge_compareILb0ELb0EsNS0_19identity_decomposerEEEEE10hipError_tT0_T1_T2_jT3_P12ihipStream_tbPNSt15iterator_traitsISI_E10value_typeEPNSO_ISJ_E10value_typeEPSK_NS1_7vsmem_tEENKUlT_SI_SJ_SK_E_clIPsSD_S10_SD_EESH_SX_SI_SJ_SK_EUlSX_E_NS1_11comp_targetILNS1_3genE5ELNS1_11target_archE942ELNS1_3gpuE9ELNS1_3repE0EEENS1_48merge_mergepath_partition_config_static_selectorELNS0_4arch9wavefront6targetE1EEEvSJ_,@function
_ZN7rocprim17ROCPRIM_400000_NS6detail17trampoline_kernelINS0_14default_configENS1_38merge_sort_block_merge_config_selectorIssEEZZNS1_27merge_sort_block_merge_implIS3_N6thrust23THRUST_200600_302600_NS6detail15normal_iteratorINS8_10device_ptrIsEEEESD_jNS1_19radix_merge_compareILb0ELb0EsNS0_19identity_decomposerEEEEE10hipError_tT0_T1_T2_jT3_P12ihipStream_tbPNSt15iterator_traitsISI_E10value_typeEPNSO_ISJ_E10value_typeEPSK_NS1_7vsmem_tEENKUlT_SI_SJ_SK_E_clIPsSD_S10_SD_EESH_SX_SI_SJ_SK_EUlSX_E_NS1_11comp_targetILNS1_3genE5ELNS1_11target_archE942ELNS1_3gpuE9ELNS1_3repE0EEENS1_48merge_mergepath_partition_config_static_selectorELNS0_4arch9wavefront6targetE1EEEvSJ_: ; @_ZN7rocprim17ROCPRIM_400000_NS6detail17trampoline_kernelINS0_14default_configENS1_38merge_sort_block_merge_config_selectorIssEEZZNS1_27merge_sort_block_merge_implIS3_N6thrust23THRUST_200600_302600_NS6detail15normal_iteratorINS8_10device_ptrIsEEEESD_jNS1_19radix_merge_compareILb0ELb0EsNS0_19identity_decomposerEEEEE10hipError_tT0_T1_T2_jT3_P12ihipStream_tbPNSt15iterator_traitsISI_E10value_typeEPNSO_ISJ_E10value_typeEPSK_NS1_7vsmem_tEENKUlT_SI_SJ_SK_E_clIPsSD_S10_SD_EESH_SX_SI_SJ_SK_EUlSX_E_NS1_11comp_targetILNS1_3genE5ELNS1_11target_archE942ELNS1_3gpuE9ELNS1_3repE0EEENS1_48merge_mergepath_partition_config_static_selectorELNS0_4arch9wavefront6targetE1EEEvSJ_
; %bb.0:
	.section	.rodata,"a",@progbits
	.p2align	6, 0x0
	.amdhsa_kernel _ZN7rocprim17ROCPRIM_400000_NS6detail17trampoline_kernelINS0_14default_configENS1_38merge_sort_block_merge_config_selectorIssEEZZNS1_27merge_sort_block_merge_implIS3_N6thrust23THRUST_200600_302600_NS6detail15normal_iteratorINS8_10device_ptrIsEEEESD_jNS1_19radix_merge_compareILb0ELb0EsNS0_19identity_decomposerEEEEE10hipError_tT0_T1_T2_jT3_P12ihipStream_tbPNSt15iterator_traitsISI_E10value_typeEPNSO_ISJ_E10value_typeEPSK_NS1_7vsmem_tEENKUlT_SI_SJ_SK_E_clIPsSD_S10_SD_EESH_SX_SI_SJ_SK_EUlSX_E_NS1_11comp_targetILNS1_3genE5ELNS1_11target_archE942ELNS1_3gpuE9ELNS1_3repE0EEENS1_48merge_mergepath_partition_config_static_selectorELNS0_4arch9wavefront6targetE1EEEvSJ_
		.amdhsa_group_segment_fixed_size 0
		.amdhsa_private_segment_fixed_size 0
		.amdhsa_kernarg_size 40
		.amdhsa_user_sgpr_count 2
		.amdhsa_user_sgpr_dispatch_ptr 0
		.amdhsa_user_sgpr_queue_ptr 0
		.amdhsa_user_sgpr_kernarg_segment_ptr 1
		.amdhsa_user_sgpr_dispatch_id 0
		.amdhsa_user_sgpr_kernarg_preload_length 0
		.amdhsa_user_sgpr_kernarg_preload_offset 0
		.amdhsa_user_sgpr_private_segment_size 0
		.amdhsa_uses_dynamic_stack 0
		.amdhsa_enable_private_segment 0
		.amdhsa_system_sgpr_workgroup_id_x 1
		.amdhsa_system_sgpr_workgroup_id_y 0
		.amdhsa_system_sgpr_workgroup_id_z 0
		.amdhsa_system_sgpr_workgroup_info 0
		.amdhsa_system_vgpr_workitem_id 0
		.amdhsa_next_free_vgpr 1
		.amdhsa_next_free_sgpr 0
		.amdhsa_accum_offset 4
		.amdhsa_reserve_vcc 0
		.amdhsa_float_round_mode_32 0
		.amdhsa_float_round_mode_16_64 0
		.amdhsa_float_denorm_mode_32 3
		.amdhsa_float_denorm_mode_16_64 3
		.amdhsa_dx10_clamp 1
		.amdhsa_ieee_mode 1
		.amdhsa_fp16_overflow 0
		.amdhsa_tg_split 0
		.amdhsa_exception_fp_ieee_invalid_op 0
		.amdhsa_exception_fp_denorm_src 0
		.amdhsa_exception_fp_ieee_div_zero 0
		.amdhsa_exception_fp_ieee_overflow 0
		.amdhsa_exception_fp_ieee_underflow 0
		.amdhsa_exception_fp_ieee_inexact 0
		.amdhsa_exception_int_div_zero 0
	.end_amdhsa_kernel
	.section	.text._ZN7rocprim17ROCPRIM_400000_NS6detail17trampoline_kernelINS0_14default_configENS1_38merge_sort_block_merge_config_selectorIssEEZZNS1_27merge_sort_block_merge_implIS3_N6thrust23THRUST_200600_302600_NS6detail15normal_iteratorINS8_10device_ptrIsEEEESD_jNS1_19radix_merge_compareILb0ELb0EsNS0_19identity_decomposerEEEEE10hipError_tT0_T1_T2_jT3_P12ihipStream_tbPNSt15iterator_traitsISI_E10value_typeEPNSO_ISJ_E10value_typeEPSK_NS1_7vsmem_tEENKUlT_SI_SJ_SK_E_clIPsSD_S10_SD_EESH_SX_SI_SJ_SK_EUlSX_E_NS1_11comp_targetILNS1_3genE5ELNS1_11target_archE942ELNS1_3gpuE9ELNS1_3repE0EEENS1_48merge_mergepath_partition_config_static_selectorELNS0_4arch9wavefront6targetE1EEEvSJ_,"axG",@progbits,_ZN7rocprim17ROCPRIM_400000_NS6detail17trampoline_kernelINS0_14default_configENS1_38merge_sort_block_merge_config_selectorIssEEZZNS1_27merge_sort_block_merge_implIS3_N6thrust23THRUST_200600_302600_NS6detail15normal_iteratorINS8_10device_ptrIsEEEESD_jNS1_19radix_merge_compareILb0ELb0EsNS0_19identity_decomposerEEEEE10hipError_tT0_T1_T2_jT3_P12ihipStream_tbPNSt15iterator_traitsISI_E10value_typeEPNSO_ISJ_E10value_typeEPSK_NS1_7vsmem_tEENKUlT_SI_SJ_SK_E_clIPsSD_S10_SD_EESH_SX_SI_SJ_SK_EUlSX_E_NS1_11comp_targetILNS1_3genE5ELNS1_11target_archE942ELNS1_3gpuE9ELNS1_3repE0EEENS1_48merge_mergepath_partition_config_static_selectorELNS0_4arch9wavefront6targetE1EEEvSJ_,comdat
.Lfunc_end1512:
	.size	_ZN7rocprim17ROCPRIM_400000_NS6detail17trampoline_kernelINS0_14default_configENS1_38merge_sort_block_merge_config_selectorIssEEZZNS1_27merge_sort_block_merge_implIS3_N6thrust23THRUST_200600_302600_NS6detail15normal_iteratorINS8_10device_ptrIsEEEESD_jNS1_19radix_merge_compareILb0ELb0EsNS0_19identity_decomposerEEEEE10hipError_tT0_T1_T2_jT3_P12ihipStream_tbPNSt15iterator_traitsISI_E10value_typeEPNSO_ISJ_E10value_typeEPSK_NS1_7vsmem_tEENKUlT_SI_SJ_SK_E_clIPsSD_S10_SD_EESH_SX_SI_SJ_SK_EUlSX_E_NS1_11comp_targetILNS1_3genE5ELNS1_11target_archE942ELNS1_3gpuE9ELNS1_3repE0EEENS1_48merge_mergepath_partition_config_static_selectorELNS0_4arch9wavefront6targetE1EEEvSJ_, .Lfunc_end1512-_ZN7rocprim17ROCPRIM_400000_NS6detail17trampoline_kernelINS0_14default_configENS1_38merge_sort_block_merge_config_selectorIssEEZZNS1_27merge_sort_block_merge_implIS3_N6thrust23THRUST_200600_302600_NS6detail15normal_iteratorINS8_10device_ptrIsEEEESD_jNS1_19radix_merge_compareILb0ELb0EsNS0_19identity_decomposerEEEEE10hipError_tT0_T1_T2_jT3_P12ihipStream_tbPNSt15iterator_traitsISI_E10value_typeEPNSO_ISJ_E10value_typeEPSK_NS1_7vsmem_tEENKUlT_SI_SJ_SK_E_clIPsSD_S10_SD_EESH_SX_SI_SJ_SK_EUlSX_E_NS1_11comp_targetILNS1_3genE5ELNS1_11target_archE942ELNS1_3gpuE9ELNS1_3repE0EEENS1_48merge_mergepath_partition_config_static_selectorELNS0_4arch9wavefront6targetE1EEEvSJ_
                                        ; -- End function
	.set _ZN7rocprim17ROCPRIM_400000_NS6detail17trampoline_kernelINS0_14default_configENS1_38merge_sort_block_merge_config_selectorIssEEZZNS1_27merge_sort_block_merge_implIS3_N6thrust23THRUST_200600_302600_NS6detail15normal_iteratorINS8_10device_ptrIsEEEESD_jNS1_19radix_merge_compareILb0ELb0EsNS0_19identity_decomposerEEEEE10hipError_tT0_T1_T2_jT3_P12ihipStream_tbPNSt15iterator_traitsISI_E10value_typeEPNSO_ISJ_E10value_typeEPSK_NS1_7vsmem_tEENKUlT_SI_SJ_SK_E_clIPsSD_S10_SD_EESH_SX_SI_SJ_SK_EUlSX_E_NS1_11comp_targetILNS1_3genE5ELNS1_11target_archE942ELNS1_3gpuE9ELNS1_3repE0EEENS1_48merge_mergepath_partition_config_static_selectorELNS0_4arch9wavefront6targetE1EEEvSJ_.num_vgpr, 0
	.set _ZN7rocprim17ROCPRIM_400000_NS6detail17trampoline_kernelINS0_14default_configENS1_38merge_sort_block_merge_config_selectorIssEEZZNS1_27merge_sort_block_merge_implIS3_N6thrust23THRUST_200600_302600_NS6detail15normal_iteratorINS8_10device_ptrIsEEEESD_jNS1_19radix_merge_compareILb0ELb0EsNS0_19identity_decomposerEEEEE10hipError_tT0_T1_T2_jT3_P12ihipStream_tbPNSt15iterator_traitsISI_E10value_typeEPNSO_ISJ_E10value_typeEPSK_NS1_7vsmem_tEENKUlT_SI_SJ_SK_E_clIPsSD_S10_SD_EESH_SX_SI_SJ_SK_EUlSX_E_NS1_11comp_targetILNS1_3genE5ELNS1_11target_archE942ELNS1_3gpuE9ELNS1_3repE0EEENS1_48merge_mergepath_partition_config_static_selectorELNS0_4arch9wavefront6targetE1EEEvSJ_.num_agpr, 0
	.set _ZN7rocprim17ROCPRIM_400000_NS6detail17trampoline_kernelINS0_14default_configENS1_38merge_sort_block_merge_config_selectorIssEEZZNS1_27merge_sort_block_merge_implIS3_N6thrust23THRUST_200600_302600_NS6detail15normal_iteratorINS8_10device_ptrIsEEEESD_jNS1_19radix_merge_compareILb0ELb0EsNS0_19identity_decomposerEEEEE10hipError_tT0_T1_T2_jT3_P12ihipStream_tbPNSt15iterator_traitsISI_E10value_typeEPNSO_ISJ_E10value_typeEPSK_NS1_7vsmem_tEENKUlT_SI_SJ_SK_E_clIPsSD_S10_SD_EESH_SX_SI_SJ_SK_EUlSX_E_NS1_11comp_targetILNS1_3genE5ELNS1_11target_archE942ELNS1_3gpuE9ELNS1_3repE0EEENS1_48merge_mergepath_partition_config_static_selectorELNS0_4arch9wavefront6targetE1EEEvSJ_.numbered_sgpr, 0
	.set _ZN7rocprim17ROCPRIM_400000_NS6detail17trampoline_kernelINS0_14default_configENS1_38merge_sort_block_merge_config_selectorIssEEZZNS1_27merge_sort_block_merge_implIS3_N6thrust23THRUST_200600_302600_NS6detail15normal_iteratorINS8_10device_ptrIsEEEESD_jNS1_19radix_merge_compareILb0ELb0EsNS0_19identity_decomposerEEEEE10hipError_tT0_T1_T2_jT3_P12ihipStream_tbPNSt15iterator_traitsISI_E10value_typeEPNSO_ISJ_E10value_typeEPSK_NS1_7vsmem_tEENKUlT_SI_SJ_SK_E_clIPsSD_S10_SD_EESH_SX_SI_SJ_SK_EUlSX_E_NS1_11comp_targetILNS1_3genE5ELNS1_11target_archE942ELNS1_3gpuE9ELNS1_3repE0EEENS1_48merge_mergepath_partition_config_static_selectorELNS0_4arch9wavefront6targetE1EEEvSJ_.num_named_barrier, 0
	.set _ZN7rocprim17ROCPRIM_400000_NS6detail17trampoline_kernelINS0_14default_configENS1_38merge_sort_block_merge_config_selectorIssEEZZNS1_27merge_sort_block_merge_implIS3_N6thrust23THRUST_200600_302600_NS6detail15normal_iteratorINS8_10device_ptrIsEEEESD_jNS1_19radix_merge_compareILb0ELb0EsNS0_19identity_decomposerEEEEE10hipError_tT0_T1_T2_jT3_P12ihipStream_tbPNSt15iterator_traitsISI_E10value_typeEPNSO_ISJ_E10value_typeEPSK_NS1_7vsmem_tEENKUlT_SI_SJ_SK_E_clIPsSD_S10_SD_EESH_SX_SI_SJ_SK_EUlSX_E_NS1_11comp_targetILNS1_3genE5ELNS1_11target_archE942ELNS1_3gpuE9ELNS1_3repE0EEENS1_48merge_mergepath_partition_config_static_selectorELNS0_4arch9wavefront6targetE1EEEvSJ_.private_seg_size, 0
	.set _ZN7rocprim17ROCPRIM_400000_NS6detail17trampoline_kernelINS0_14default_configENS1_38merge_sort_block_merge_config_selectorIssEEZZNS1_27merge_sort_block_merge_implIS3_N6thrust23THRUST_200600_302600_NS6detail15normal_iteratorINS8_10device_ptrIsEEEESD_jNS1_19radix_merge_compareILb0ELb0EsNS0_19identity_decomposerEEEEE10hipError_tT0_T1_T2_jT3_P12ihipStream_tbPNSt15iterator_traitsISI_E10value_typeEPNSO_ISJ_E10value_typeEPSK_NS1_7vsmem_tEENKUlT_SI_SJ_SK_E_clIPsSD_S10_SD_EESH_SX_SI_SJ_SK_EUlSX_E_NS1_11comp_targetILNS1_3genE5ELNS1_11target_archE942ELNS1_3gpuE9ELNS1_3repE0EEENS1_48merge_mergepath_partition_config_static_selectorELNS0_4arch9wavefront6targetE1EEEvSJ_.uses_vcc, 0
	.set _ZN7rocprim17ROCPRIM_400000_NS6detail17trampoline_kernelINS0_14default_configENS1_38merge_sort_block_merge_config_selectorIssEEZZNS1_27merge_sort_block_merge_implIS3_N6thrust23THRUST_200600_302600_NS6detail15normal_iteratorINS8_10device_ptrIsEEEESD_jNS1_19radix_merge_compareILb0ELb0EsNS0_19identity_decomposerEEEEE10hipError_tT0_T1_T2_jT3_P12ihipStream_tbPNSt15iterator_traitsISI_E10value_typeEPNSO_ISJ_E10value_typeEPSK_NS1_7vsmem_tEENKUlT_SI_SJ_SK_E_clIPsSD_S10_SD_EESH_SX_SI_SJ_SK_EUlSX_E_NS1_11comp_targetILNS1_3genE5ELNS1_11target_archE942ELNS1_3gpuE9ELNS1_3repE0EEENS1_48merge_mergepath_partition_config_static_selectorELNS0_4arch9wavefront6targetE1EEEvSJ_.uses_flat_scratch, 0
	.set _ZN7rocprim17ROCPRIM_400000_NS6detail17trampoline_kernelINS0_14default_configENS1_38merge_sort_block_merge_config_selectorIssEEZZNS1_27merge_sort_block_merge_implIS3_N6thrust23THRUST_200600_302600_NS6detail15normal_iteratorINS8_10device_ptrIsEEEESD_jNS1_19radix_merge_compareILb0ELb0EsNS0_19identity_decomposerEEEEE10hipError_tT0_T1_T2_jT3_P12ihipStream_tbPNSt15iterator_traitsISI_E10value_typeEPNSO_ISJ_E10value_typeEPSK_NS1_7vsmem_tEENKUlT_SI_SJ_SK_E_clIPsSD_S10_SD_EESH_SX_SI_SJ_SK_EUlSX_E_NS1_11comp_targetILNS1_3genE5ELNS1_11target_archE942ELNS1_3gpuE9ELNS1_3repE0EEENS1_48merge_mergepath_partition_config_static_selectorELNS0_4arch9wavefront6targetE1EEEvSJ_.has_dyn_sized_stack, 0
	.set _ZN7rocprim17ROCPRIM_400000_NS6detail17trampoline_kernelINS0_14default_configENS1_38merge_sort_block_merge_config_selectorIssEEZZNS1_27merge_sort_block_merge_implIS3_N6thrust23THRUST_200600_302600_NS6detail15normal_iteratorINS8_10device_ptrIsEEEESD_jNS1_19radix_merge_compareILb0ELb0EsNS0_19identity_decomposerEEEEE10hipError_tT0_T1_T2_jT3_P12ihipStream_tbPNSt15iterator_traitsISI_E10value_typeEPNSO_ISJ_E10value_typeEPSK_NS1_7vsmem_tEENKUlT_SI_SJ_SK_E_clIPsSD_S10_SD_EESH_SX_SI_SJ_SK_EUlSX_E_NS1_11comp_targetILNS1_3genE5ELNS1_11target_archE942ELNS1_3gpuE9ELNS1_3repE0EEENS1_48merge_mergepath_partition_config_static_selectorELNS0_4arch9wavefront6targetE1EEEvSJ_.has_recursion, 0
	.set _ZN7rocprim17ROCPRIM_400000_NS6detail17trampoline_kernelINS0_14default_configENS1_38merge_sort_block_merge_config_selectorIssEEZZNS1_27merge_sort_block_merge_implIS3_N6thrust23THRUST_200600_302600_NS6detail15normal_iteratorINS8_10device_ptrIsEEEESD_jNS1_19radix_merge_compareILb0ELb0EsNS0_19identity_decomposerEEEEE10hipError_tT0_T1_T2_jT3_P12ihipStream_tbPNSt15iterator_traitsISI_E10value_typeEPNSO_ISJ_E10value_typeEPSK_NS1_7vsmem_tEENKUlT_SI_SJ_SK_E_clIPsSD_S10_SD_EESH_SX_SI_SJ_SK_EUlSX_E_NS1_11comp_targetILNS1_3genE5ELNS1_11target_archE942ELNS1_3gpuE9ELNS1_3repE0EEENS1_48merge_mergepath_partition_config_static_selectorELNS0_4arch9wavefront6targetE1EEEvSJ_.has_indirect_call, 0
	.section	.AMDGPU.csdata,"",@progbits
; Kernel info:
; codeLenInByte = 0
; TotalNumSgprs: 6
; NumVgprs: 0
; NumAgprs: 0
; TotalNumVgprs: 0
; ScratchSize: 0
; MemoryBound: 0
; FloatMode: 240
; IeeeMode: 1
; LDSByteSize: 0 bytes/workgroup (compile time only)
; SGPRBlocks: 0
; VGPRBlocks: 0
; NumSGPRsForWavesPerEU: 6
; NumVGPRsForWavesPerEU: 1
; AccumOffset: 4
; Occupancy: 8
; WaveLimiterHint : 0
; COMPUTE_PGM_RSRC2:SCRATCH_EN: 0
; COMPUTE_PGM_RSRC2:USER_SGPR: 2
; COMPUTE_PGM_RSRC2:TRAP_HANDLER: 0
; COMPUTE_PGM_RSRC2:TGID_X_EN: 1
; COMPUTE_PGM_RSRC2:TGID_Y_EN: 0
; COMPUTE_PGM_RSRC2:TGID_Z_EN: 0
; COMPUTE_PGM_RSRC2:TIDIG_COMP_CNT: 0
; COMPUTE_PGM_RSRC3_GFX90A:ACCUM_OFFSET: 0
; COMPUTE_PGM_RSRC3_GFX90A:TG_SPLIT: 0
	.section	.text._ZN7rocprim17ROCPRIM_400000_NS6detail17trampoline_kernelINS0_14default_configENS1_38merge_sort_block_merge_config_selectorIssEEZZNS1_27merge_sort_block_merge_implIS3_N6thrust23THRUST_200600_302600_NS6detail15normal_iteratorINS8_10device_ptrIsEEEESD_jNS1_19radix_merge_compareILb0ELb0EsNS0_19identity_decomposerEEEEE10hipError_tT0_T1_T2_jT3_P12ihipStream_tbPNSt15iterator_traitsISI_E10value_typeEPNSO_ISJ_E10value_typeEPSK_NS1_7vsmem_tEENKUlT_SI_SJ_SK_E_clIPsSD_S10_SD_EESH_SX_SI_SJ_SK_EUlSX_E_NS1_11comp_targetILNS1_3genE4ELNS1_11target_archE910ELNS1_3gpuE8ELNS1_3repE0EEENS1_48merge_mergepath_partition_config_static_selectorELNS0_4arch9wavefront6targetE1EEEvSJ_,"axG",@progbits,_ZN7rocprim17ROCPRIM_400000_NS6detail17trampoline_kernelINS0_14default_configENS1_38merge_sort_block_merge_config_selectorIssEEZZNS1_27merge_sort_block_merge_implIS3_N6thrust23THRUST_200600_302600_NS6detail15normal_iteratorINS8_10device_ptrIsEEEESD_jNS1_19radix_merge_compareILb0ELb0EsNS0_19identity_decomposerEEEEE10hipError_tT0_T1_T2_jT3_P12ihipStream_tbPNSt15iterator_traitsISI_E10value_typeEPNSO_ISJ_E10value_typeEPSK_NS1_7vsmem_tEENKUlT_SI_SJ_SK_E_clIPsSD_S10_SD_EESH_SX_SI_SJ_SK_EUlSX_E_NS1_11comp_targetILNS1_3genE4ELNS1_11target_archE910ELNS1_3gpuE8ELNS1_3repE0EEENS1_48merge_mergepath_partition_config_static_selectorELNS0_4arch9wavefront6targetE1EEEvSJ_,comdat
	.protected	_ZN7rocprim17ROCPRIM_400000_NS6detail17trampoline_kernelINS0_14default_configENS1_38merge_sort_block_merge_config_selectorIssEEZZNS1_27merge_sort_block_merge_implIS3_N6thrust23THRUST_200600_302600_NS6detail15normal_iteratorINS8_10device_ptrIsEEEESD_jNS1_19radix_merge_compareILb0ELb0EsNS0_19identity_decomposerEEEEE10hipError_tT0_T1_T2_jT3_P12ihipStream_tbPNSt15iterator_traitsISI_E10value_typeEPNSO_ISJ_E10value_typeEPSK_NS1_7vsmem_tEENKUlT_SI_SJ_SK_E_clIPsSD_S10_SD_EESH_SX_SI_SJ_SK_EUlSX_E_NS1_11comp_targetILNS1_3genE4ELNS1_11target_archE910ELNS1_3gpuE8ELNS1_3repE0EEENS1_48merge_mergepath_partition_config_static_selectorELNS0_4arch9wavefront6targetE1EEEvSJ_ ; -- Begin function _ZN7rocprim17ROCPRIM_400000_NS6detail17trampoline_kernelINS0_14default_configENS1_38merge_sort_block_merge_config_selectorIssEEZZNS1_27merge_sort_block_merge_implIS3_N6thrust23THRUST_200600_302600_NS6detail15normal_iteratorINS8_10device_ptrIsEEEESD_jNS1_19radix_merge_compareILb0ELb0EsNS0_19identity_decomposerEEEEE10hipError_tT0_T1_T2_jT3_P12ihipStream_tbPNSt15iterator_traitsISI_E10value_typeEPNSO_ISJ_E10value_typeEPSK_NS1_7vsmem_tEENKUlT_SI_SJ_SK_E_clIPsSD_S10_SD_EESH_SX_SI_SJ_SK_EUlSX_E_NS1_11comp_targetILNS1_3genE4ELNS1_11target_archE910ELNS1_3gpuE8ELNS1_3repE0EEENS1_48merge_mergepath_partition_config_static_selectorELNS0_4arch9wavefront6targetE1EEEvSJ_
	.globl	_ZN7rocprim17ROCPRIM_400000_NS6detail17trampoline_kernelINS0_14default_configENS1_38merge_sort_block_merge_config_selectorIssEEZZNS1_27merge_sort_block_merge_implIS3_N6thrust23THRUST_200600_302600_NS6detail15normal_iteratorINS8_10device_ptrIsEEEESD_jNS1_19radix_merge_compareILb0ELb0EsNS0_19identity_decomposerEEEEE10hipError_tT0_T1_T2_jT3_P12ihipStream_tbPNSt15iterator_traitsISI_E10value_typeEPNSO_ISJ_E10value_typeEPSK_NS1_7vsmem_tEENKUlT_SI_SJ_SK_E_clIPsSD_S10_SD_EESH_SX_SI_SJ_SK_EUlSX_E_NS1_11comp_targetILNS1_3genE4ELNS1_11target_archE910ELNS1_3gpuE8ELNS1_3repE0EEENS1_48merge_mergepath_partition_config_static_selectorELNS0_4arch9wavefront6targetE1EEEvSJ_
	.p2align	8
	.type	_ZN7rocprim17ROCPRIM_400000_NS6detail17trampoline_kernelINS0_14default_configENS1_38merge_sort_block_merge_config_selectorIssEEZZNS1_27merge_sort_block_merge_implIS3_N6thrust23THRUST_200600_302600_NS6detail15normal_iteratorINS8_10device_ptrIsEEEESD_jNS1_19radix_merge_compareILb0ELb0EsNS0_19identity_decomposerEEEEE10hipError_tT0_T1_T2_jT3_P12ihipStream_tbPNSt15iterator_traitsISI_E10value_typeEPNSO_ISJ_E10value_typeEPSK_NS1_7vsmem_tEENKUlT_SI_SJ_SK_E_clIPsSD_S10_SD_EESH_SX_SI_SJ_SK_EUlSX_E_NS1_11comp_targetILNS1_3genE4ELNS1_11target_archE910ELNS1_3gpuE8ELNS1_3repE0EEENS1_48merge_mergepath_partition_config_static_selectorELNS0_4arch9wavefront6targetE1EEEvSJ_,@function
_ZN7rocprim17ROCPRIM_400000_NS6detail17trampoline_kernelINS0_14default_configENS1_38merge_sort_block_merge_config_selectorIssEEZZNS1_27merge_sort_block_merge_implIS3_N6thrust23THRUST_200600_302600_NS6detail15normal_iteratorINS8_10device_ptrIsEEEESD_jNS1_19radix_merge_compareILb0ELb0EsNS0_19identity_decomposerEEEEE10hipError_tT0_T1_T2_jT3_P12ihipStream_tbPNSt15iterator_traitsISI_E10value_typeEPNSO_ISJ_E10value_typeEPSK_NS1_7vsmem_tEENKUlT_SI_SJ_SK_E_clIPsSD_S10_SD_EESH_SX_SI_SJ_SK_EUlSX_E_NS1_11comp_targetILNS1_3genE4ELNS1_11target_archE910ELNS1_3gpuE8ELNS1_3repE0EEENS1_48merge_mergepath_partition_config_static_selectorELNS0_4arch9wavefront6targetE1EEEvSJ_: ; @_ZN7rocprim17ROCPRIM_400000_NS6detail17trampoline_kernelINS0_14default_configENS1_38merge_sort_block_merge_config_selectorIssEEZZNS1_27merge_sort_block_merge_implIS3_N6thrust23THRUST_200600_302600_NS6detail15normal_iteratorINS8_10device_ptrIsEEEESD_jNS1_19radix_merge_compareILb0ELb0EsNS0_19identity_decomposerEEEEE10hipError_tT0_T1_T2_jT3_P12ihipStream_tbPNSt15iterator_traitsISI_E10value_typeEPNSO_ISJ_E10value_typeEPSK_NS1_7vsmem_tEENKUlT_SI_SJ_SK_E_clIPsSD_S10_SD_EESH_SX_SI_SJ_SK_EUlSX_E_NS1_11comp_targetILNS1_3genE4ELNS1_11target_archE910ELNS1_3gpuE8ELNS1_3repE0EEENS1_48merge_mergepath_partition_config_static_selectorELNS0_4arch9wavefront6targetE1EEEvSJ_
; %bb.0:
	.section	.rodata,"a",@progbits
	.p2align	6, 0x0
	.amdhsa_kernel _ZN7rocprim17ROCPRIM_400000_NS6detail17trampoline_kernelINS0_14default_configENS1_38merge_sort_block_merge_config_selectorIssEEZZNS1_27merge_sort_block_merge_implIS3_N6thrust23THRUST_200600_302600_NS6detail15normal_iteratorINS8_10device_ptrIsEEEESD_jNS1_19radix_merge_compareILb0ELb0EsNS0_19identity_decomposerEEEEE10hipError_tT0_T1_T2_jT3_P12ihipStream_tbPNSt15iterator_traitsISI_E10value_typeEPNSO_ISJ_E10value_typeEPSK_NS1_7vsmem_tEENKUlT_SI_SJ_SK_E_clIPsSD_S10_SD_EESH_SX_SI_SJ_SK_EUlSX_E_NS1_11comp_targetILNS1_3genE4ELNS1_11target_archE910ELNS1_3gpuE8ELNS1_3repE0EEENS1_48merge_mergepath_partition_config_static_selectorELNS0_4arch9wavefront6targetE1EEEvSJ_
		.amdhsa_group_segment_fixed_size 0
		.amdhsa_private_segment_fixed_size 0
		.amdhsa_kernarg_size 40
		.amdhsa_user_sgpr_count 2
		.amdhsa_user_sgpr_dispatch_ptr 0
		.amdhsa_user_sgpr_queue_ptr 0
		.amdhsa_user_sgpr_kernarg_segment_ptr 1
		.amdhsa_user_sgpr_dispatch_id 0
		.amdhsa_user_sgpr_kernarg_preload_length 0
		.amdhsa_user_sgpr_kernarg_preload_offset 0
		.amdhsa_user_sgpr_private_segment_size 0
		.amdhsa_uses_dynamic_stack 0
		.amdhsa_enable_private_segment 0
		.amdhsa_system_sgpr_workgroup_id_x 1
		.amdhsa_system_sgpr_workgroup_id_y 0
		.amdhsa_system_sgpr_workgroup_id_z 0
		.amdhsa_system_sgpr_workgroup_info 0
		.amdhsa_system_vgpr_workitem_id 0
		.amdhsa_next_free_vgpr 1
		.amdhsa_next_free_sgpr 0
		.amdhsa_accum_offset 4
		.amdhsa_reserve_vcc 0
		.amdhsa_float_round_mode_32 0
		.amdhsa_float_round_mode_16_64 0
		.amdhsa_float_denorm_mode_32 3
		.amdhsa_float_denorm_mode_16_64 3
		.amdhsa_dx10_clamp 1
		.amdhsa_ieee_mode 1
		.amdhsa_fp16_overflow 0
		.amdhsa_tg_split 0
		.amdhsa_exception_fp_ieee_invalid_op 0
		.amdhsa_exception_fp_denorm_src 0
		.amdhsa_exception_fp_ieee_div_zero 0
		.amdhsa_exception_fp_ieee_overflow 0
		.amdhsa_exception_fp_ieee_underflow 0
		.amdhsa_exception_fp_ieee_inexact 0
		.amdhsa_exception_int_div_zero 0
	.end_amdhsa_kernel
	.section	.text._ZN7rocprim17ROCPRIM_400000_NS6detail17trampoline_kernelINS0_14default_configENS1_38merge_sort_block_merge_config_selectorIssEEZZNS1_27merge_sort_block_merge_implIS3_N6thrust23THRUST_200600_302600_NS6detail15normal_iteratorINS8_10device_ptrIsEEEESD_jNS1_19radix_merge_compareILb0ELb0EsNS0_19identity_decomposerEEEEE10hipError_tT0_T1_T2_jT3_P12ihipStream_tbPNSt15iterator_traitsISI_E10value_typeEPNSO_ISJ_E10value_typeEPSK_NS1_7vsmem_tEENKUlT_SI_SJ_SK_E_clIPsSD_S10_SD_EESH_SX_SI_SJ_SK_EUlSX_E_NS1_11comp_targetILNS1_3genE4ELNS1_11target_archE910ELNS1_3gpuE8ELNS1_3repE0EEENS1_48merge_mergepath_partition_config_static_selectorELNS0_4arch9wavefront6targetE1EEEvSJ_,"axG",@progbits,_ZN7rocprim17ROCPRIM_400000_NS6detail17trampoline_kernelINS0_14default_configENS1_38merge_sort_block_merge_config_selectorIssEEZZNS1_27merge_sort_block_merge_implIS3_N6thrust23THRUST_200600_302600_NS6detail15normal_iteratorINS8_10device_ptrIsEEEESD_jNS1_19radix_merge_compareILb0ELb0EsNS0_19identity_decomposerEEEEE10hipError_tT0_T1_T2_jT3_P12ihipStream_tbPNSt15iterator_traitsISI_E10value_typeEPNSO_ISJ_E10value_typeEPSK_NS1_7vsmem_tEENKUlT_SI_SJ_SK_E_clIPsSD_S10_SD_EESH_SX_SI_SJ_SK_EUlSX_E_NS1_11comp_targetILNS1_3genE4ELNS1_11target_archE910ELNS1_3gpuE8ELNS1_3repE0EEENS1_48merge_mergepath_partition_config_static_selectorELNS0_4arch9wavefront6targetE1EEEvSJ_,comdat
.Lfunc_end1513:
	.size	_ZN7rocprim17ROCPRIM_400000_NS6detail17trampoline_kernelINS0_14default_configENS1_38merge_sort_block_merge_config_selectorIssEEZZNS1_27merge_sort_block_merge_implIS3_N6thrust23THRUST_200600_302600_NS6detail15normal_iteratorINS8_10device_ptrIsEEEESD_jNS1_19radix_merge_compareILb0ELb0EsNS0_19identity_decomposerEEEEE10hipError_tT0_T1_T2_jT3_P12ihipStream_tbPNSt15iterator_traitsISI_E10value_typeEPNSO_ISJ_E10value_typeEPSK_NS1_7vsmem_tEENKUlT_SI_SJ_SK_E_clIPsSD_S10_SD_EESH_SX_SI_SJ_SK_EUlSX_E_NS1_11comp_targetILNS1_3genE4ELNS1_11target_archE910ELNS1_3gpuE8ELNS1_3repE0EEENS1_48merge_mergepath_partition_config_static_selectorELNS0_4arch9wavefront6targetE1EEEvSJ_, .Lfunc_end1513-_ZN7rocprim17ROCPRIM_400000_NS6detail17trampoline_kernelINS0_14default_configENS1_38merge_sort_block_merge_config_selectorIssEEZZNS1_27merge_sort_block_merge_implIS3_N6thrust23THRUST_200600_302600_NS6detail15normal_iteratorINS8_10device_ptrIsEEEESD_jNS1_19radix_merge_compareILb0ELb0EsNS0_19identity_decomposerEEEEE10hipError_tT0_T1_T2_jT3_P12ihipStream_tbPNSt15iterator_traitsISI_E10value_typeEPNSO_ISJ_E10value_typeEPSK_NS1_7vsmem_tEENKUlT_SI_SJ_SK_E_clIPsSD_S10_SD_EESH_SX_SI_SJ_SK_EUlSX_E_NS1_11comp_targetILNS1_3genE4ELNS1_11target_archE910ELNS1_3gpuE8ELNS1_3repE0EEENS1_48merge_mergepath_partition_config_static_selectorELNS0_4arch9wavefront6targetE1EEEvSJ_
                                        ; -- End function
	.set _ZN7rocprim17ROCPRIM_400000_NS6detail17trampoline_kernelINS0_14default_configENS1_38merge_sort_block_merge_config_selectorIssEEZZNS1_27merge_sort_block_merge_implIS3_N6thrust23THRUST_200600_302600_NS6detail15normal_iteratorINS8_10device_ptrIsEEEESD_jNS1_19radix_merge_compareILb0ELb0EsNS0_19identity_decomposerEEEEE10hipError_tT0_T1_T2_jT3_P12ihipStream_tbPNSt15iterator_traitsISI_E10value_typeEPNSO_ISJ_E10value_typeEPSK_NS1_7vsmem_tEENKUlT_SI_SJ_SK_E_clIPsSD_S10_SD_EESH_SX_SI_SJ_SK_EUlSX_E_NS1_11comp_targetILNS1_3genE4ELNS1_11target_archE910ELNS1_3gpuE8ELNS1_3repE0EEENS1_48merge_mergepath_partition_config_static_selectorELNS0_4arch9wavefront6targetE1EEEvSJ_.num_vgpr, 0
	.set _ZN7rocprim17ROCPRIM_400000_NS6detail17trampoline_kernelINS0_14default_configENS1_38merge_sort_block_merge_config_selectorIssEEZZNS1_27merge_sort_block_merge_implIS3_N6thrust23THRUST_200600_302600_NS6detail15normal_iteratorINS8_10device_ptrIsEEEESD_jNS1_19radix_merge_compareILb0ELb0EsNS0_19identity_decomposerEEEEE10hipError_tT0_T1_T2_jT3_P12ihipStream_tbPNSt15iterator_traitsISI_E10value_typeEPNSO_ISJ_E10value_typeEPSK_NS1_7vsmem_tEENKUlT_SI_SJ_SK_E_clIPsSD_S10_SD_EESH_SX_SI_SJ_SK_EUlSX_E_NS1_11comp_targetILNS1_3genE4ELNS1_11target_archE910ELNS1_3gpuE8ELNS1_3repE0EEENS1_48merge_mergepath_partition_config_static_selectorELNS0_4arch9wavefront6targetE1EEEvSJ_.num_agpr, 0
	.set _ZN7rocprim17ROCPRIM_400000_NS6detail17trampoline_kernelINS0_14default_configENS1_38merge_sort_block_merge_config_selectorIssEEZZNS1_27merge_sort_block_merge_implIS3_N6thrust23THRUST_200600_302600_NS6detail15normal_iteratorINS8_10device_ptrIsEEEESD_jNS1_19radix_merge_compareILb0ELb0EsNS0_19identity_decomposerEEEEE10hipError_tT0_T1_T2_jT3_P12ihipStream_tbPNSt15iterator_traitsISI_E10value_typeEPNSO_ISJ_E10value_typeEPSK_NS1_7vsmem_tEENKUlT_SI_SJ_SK_E_clIPsSD_S10_SD_EESH_SX_SI_SJ_SK_EUlSX_E_NS1_11comp_targetILNS1_3genE4ELNS1_11target_archE910ELNS1_3gpuE8ELNS1_3repE0EEENS1_48merge_mergepath_partition_config_static_selectorELNS0_4arch9wavefront6targetE1EEEvSJ_.numbered_sgpr, 0
	.set _ZN7rocprim17ROCPRIM_400000_NS6detail17trampoline_kernelINS0_14default_configENS1_38merge_sort_block_merge_config_selectorIssEEZZNS1_27merge_sort_block_merge_implIS3_N6thrust23THRUST_200600_302600_NS6detail15normal_iteratorINS8_10device_ptrIsEEEESD_jNS1_19radix_merge_compareILb0ELb0EsNS0_19identity_decomposerEEEEE10hipError_tT0_T1_T2_jT3_P12ihipStream_tbPNSt15iterator_traitsISI_E10value_typeEPNSO_ISJ_E10value_typeEPSK_NS1_7vsmem_tEENKUlT_SI_SJ_SK_E_clIPsSD_S10_SD_EESH_SX_SI_SJ_SK_EUlSX_E_NS1_11comp_targetILNS1_3genE4ELNS1_11target_archE910ELNS1_3gpuE8ELNS1_3repE0EEENS1_48merge_mergepath_partition_config_static_selectorELNS0_4arch9wavefront6targetE1EEEvSJ_.num_named_barrier, 0
	.set _ZN7rocprim17ROCPRIM_400000_NS6detail17trampoline_kernelINS0_14default_configENS1_38merge_sort_block_merge_config_selectorIssEEZZNS1_27merge_sort_block_merge_implIS3_N6thrust23THRUST_200600_302600_NS6detail15normal_iteratorINS8_10device_ptrIsEEEESD_jNS1_19radix_merge_compareILb0ELb0EsNS0_19identity_decomposerEEEEE10hipError_tT0_T1_T2_jT3_P12ihipStream_tbPNSt15iterator_traitsISI_E10value_typeEPNSO_ISJ_E10value_typeEPSK_NS1_7vsmem_tEENKUlT_SI_SJ_SK_E_clIPsSD_S10_SD_EESH_SX_SI_SJ_SK_EUlSX_E_NS1_11comp_targetILNS1_3genE4ELNS1_11target_archE910ELNS1_3gpuE8ELNS1_3repE0EEENS1_48merge_mergepath_partition_config_static_selectorELNS0_4arch9wavefront6targetE1EEEvSJ_.private_seg_size, 0
	.set _ZN7rocprim17ROCPRIM_400000_NS6detail17trampoline_kernelINS0_14default_configENS1_38merge_sort_block_merge_config_selectorIssEEZZNS1_27merge_sort_block_merge_implIS3_N6thrust23THRUST_200600_302600_NS6detail15normal_iteratorINS8_10device_ptrIsEEEESD_jNS1_19radix_merge_compareILb0ELb0EsNS0_19identity_decomposerEEEEE10hipError_tT0_T1_T2_jT3_P12ihipStream_tbPNSt15iterator_traitsISI_E10value_typeEPNSO_ISJ_E10value_typeEPSK_NS1_7vsmem_tEENKUlT_SI_SJ_SK_E_clIPsSD_S10_SD_EESH_SX_SI_SJ_SK_EUlSX_E_NS1_11comp_targetILNS1_3genE4ELNS1_11target_archE910ELNS1_3gpuE8ELNS1_3repE0EEENS1_48merge_mergepath_partition_config_static_selectorELNS0_4arch9wavefront6targetE1EEEvSJ_.uses_vcc, 0
	.set _ZN7rocprim17ROCPRIM_400000_NS6detail17trampoline_kernelINS0_14default_configENS1_38merge_sort_block_merge_config_selectorIssEEZZNS1_27merge_sort_block_merge_implIS3_N6thrust23THRUST_200600_302600_NS6detail15normal_iteratorINS8_10device_ptrIsEEEESD_jNS1_19radix_merge_compareILb0ELb0EsNS0_19identity_decomposerEEEEE10hipError_tT0_T1_T2_jT3_P12ihipStream_tbPNSt15iterator_traitsISI_E10value_typeEPNSO_ISJ_E10value_typeEPSK_NS1_7vsmem_tEENKUlT_SI_SJ_SK_E_clIPsSD_S10_SD_EESH_SX_SI_SJ_SK_EUlSX_E_NS1_11comp_targetILNS1_3genE4ELNS1_11target_archE910ELNS1_3gpuE8ELNS1_3repE0EEENS1_48merge_mergepath_partition_config_static_selectorELNS0_4arch9wavefront6targetE1EEEvSJ_.uses_flat_scratch, 0
	.set _ZN7rocprim17ROCPRIM_400000_NS6detail17trampoline_kernelINS0_14default_configENS1_38merge_sort_block_merge_config_selectorIssEEZZNS1_27merge_sort_block_merge_implIS3_N6thrust23THRUST_200600_302600_NS6detail15normal_iteratorINS8_10device_ptrIsEEEESD_jNS1_19radix_merge_compareILb0ELb0EsNS0_19identity_decomposerEEEEE10hipError_tT0_T1_T2_jT3_P12ihipStream_tbPNSt15iterator_traitsISI_E10value_typeEPNSO_ISJ_E10value_typeEPSK_NS1_7vsmem_tEENKUlT_SI_SJ_SK_E_clIPsSD_S10_SD_EESH_SX_SI_SJ_SK_EUlSX_E_NS1_11comp_targetILNS1_3genE4ELNS1_11target_archE910ELNS1_3gpuE8ELNS1_3repE0EEENS1_48merge_mergepath_partition_config_static_selectorELNS0_4arch9wavefront6targetE1EEEvSJ_.has_dyn_sized_stack, 0
	.set _ZN7rocprim17ROCPRIM_400000_NS6detail17trampoline_kernelINS0_14default_configENS1_38merge_sort_block_merge_config_selectorIssEEZZNS1_27merge_sort_block_merge_implIS3_N6thrust23THRUST_200600_302600_NS6detail15normal_iteratorINS8_10device_ptrIsEEEESD_jNS1_19radix_merge_compareILb0ELb0EsNS0_19identity_decomposerEEEEE10hipError_tT0_T1_T2_jT3_P12ihipStream_tbPNSt15iterator_traitsISI_E10value_typeEPNSO_ISJ_E10value_typeEPSK_NS1_7vsmem_tEENKUlT_SI_SJ_SK_E_clIPsSD_S10_SD_EESH_SX_SI_SJ_SK_EUlSX_E_NS1_11comp_targetILNS1_3genE4ELNS1_11target_archE910ELNS1_3gpuE8ELNS1_3repE0EEENS1_48merge_mergepath_partition_config_static_selectorELNS0_4arch9wavefront6targetE1EEEvSJ_.has_recursion, 0
	.set _ZN7rocprim17ROCPRIM_400000_NS6detail17trampoline_kernelINS0_14default_configENS1_38merge_sort_block_merge_config_selectorIssEEZZNS1_27merge_sort_block_merge_implIS3_N6thrust23THRUST_200600_302600_NS6detail15normal_iteratorINS8_10device_ptrIsEEEESD_jNS1_19radix_merge_compareILb0ELb0EsNS0_19identity_decomposerEEEEE10hipError_tT0_T1_T2_jT3_P12ihipStream_tbPNSt15iterator_traitsISI_E10value_typeEPNSO_ISJ_E10value_typeEPSK_NS1_7vsmem_tEENKUlT_SI_SJ_SK_E_clIPsSD_S10_SD_EESH_SX_SI_SJ_SK_EUlSX_E_NS1_11comp_targetILNS1_3genE4ELNS1_11target_archE910ELNS1_3gpuE8ELNS1_3repE0EEENS1_48merge_mergepath_partition_config_static_selectorELNS0_4arch9wavefront6targetE1EEEvSJ_.has_indirect_call, 0
	.section	.AMDGPU.csdata,"",@progbits
; Kernel info:
; codeLenInByte = 0
; TotalNumSgprs: 6
; NumVgprs: 0
; NumAgprs: 0
; TotalNumVgprs: 0
; ScratchSize: 0
; MemoryBound: 0
; FloatMode: 240
; IeeeMode: 1
; LDSByteSize: 0 bytes/workgroup (compile time only)
; SGPRBlocks: 0
; VGPRBlocks: 0
; NumSGPRsForWavesPerEU: 6
; NumVGPRsForWavesPerEU: 1
; AccumOffset: 4
; Occupancy: 8
; WaveLimiterHint : 0
; COMPUTE_PGM_RSRC2:SCRATCH_EN: 0
; COMPUTE_PGM_RSRC2:USER_SGPR: 2
; COMPUTE_PGM_RSRC2:TRAP_HANDLER: 0
; COMPUTE_PGM_RSRC2:TGID_X_EN: 1
; COMPUTE_PGM_RSRC2:TGID_Y_EN: 0
; COMPUTE_PGM_RSRC2:TGID_Z_EN: 0
; COMPUTE_PGM_RSRC2:TIDIG_COMP_CNT: 0
; COMPUTE_PGM_RSRC3_GFX90A:ACCUM_OFFSET: 0
; COMPUTE_PGM_RSRC3_GFX90A:TG_SPLIT: 0
	.section	.text._ZN7rocprim17ROCPRIM_400000_NS6detail17trampoline_kernelINS0_14default_configENS1_38merge_sort_block_merge_config_selectorIssEEZZNS1_27merge_sort_block_merge_implIS3_N6thrust23THRUST_200600_302600_NS6detail15normal_iteratorINS8_10device_ptrIsEEEESD_jNS1_19radix_merge_compareILb0ELb0EsNS0_19identity_decomposerEEEEE10hipError_tT0_T1_T2_jT3_P12ihipStream_tbPNSt15iterator_traitsISI_E10value_typeEPNSO_ISJ_E10value_typeEPSK_NS1_7vsmem_tEENKUlT_SI_SJ_SK_E_clIPsSD_S10_SD_EESH_SX_SI_SJ_SK_EUlSX_E_NS1_11comp_targetILNS1_3genE3ELNS1_11target_archE908ELNS1_3gpuE7ELNS1_3repE0EEENS1_48merge_mergepath_partition_config_static_selectorELNS0_4arch9wavefront6targetE1EEEvSJ_,"axG",@progbits,_ZN7rocprim17ROCPRIM_400000_NS6detail17trampoline_kernelINS0_14default_configENS1_38merge_sort_block_merge_config_selectorIssEEZZNS1_27merge_sort_block_merge_implIS3_N6thrust23THRUST_200600_302600_NS6detail15normal_iteratorINS8_10device_ptrIsEEEESD_jNS1_19radix_merge_compareILb0ELb0EsNS0_19identity_decomposerEEEEE10hipError_tT0_T1_T2_jT3_P12ihipStream_tbPNSt15iterator_traitsISI_E10value_typeEPNSO_ISJ_E10value_typeEPSK_NS1_7vsmem_tEENKUlT_SI_SJ_SK_E_clIPsSD_S10_SD_EESH_SX_SI_SJ_SK_EUlSX_E_NS1_11comp_targetILNS1_3genE3ELNS1_11target_archE908ELNS1_3gpuE7ELNS1_3repE0EEENS1_48merge_mergepath_partition_config_static_selectorELNS0_4arch9wavefront6targetE1EEEvSJ_,comdat
	.protected	_ZN7rocprim17ROCPRIM_400000_NS6detail17trampoline_kernelINS0_14default_configENS1_38merge_sort_block_merge_config_selectorIssEEZZNS1_27merge_sort_block_merge_implIS3_N6thrust23THRUST_200600_302600_NS6detail15normal_iteratorINS8_10device_ptrIsEEEESD_jNS1_19radix_merge_compareILb0ELb0EsNS0_19identity_decomposerEEEEE10hipError_tT0_T1_T2_jT3_P12ihipStream_tbPNSt15iterator_traitsISI_E10value_typeEPNSO_ISJ_E10value_typeEPSK_NS1_7vsmem_tEENKUlT_SI_SJ_SK_E_clIPsSD_S10_SD_EESH_SX_SI_SJ_SK_EUlSX_E_NS1_11comp_targetILNS1_3genE3ELNS1_11target_archE908ELNS1_3gpuE7ELNS1_3repE0EEENS1_48merge_mergepath_partition_config_static_selectorELNS0_4arch9wavefront6targetE1EEEvSJ_ ; -- Begin function _ZN7rocprim17ROCPRIM_400000_NS6detail17trampoline_kernelINS0_14default_configENS1_38merge_sort_block_merge_config_selectorIssEEZZNS1_27merge_sort_block_merge_implIS3_N6thrust23THRUST_200600_302600_NS6detail15normal_iteratorINS8_10device_ptrIsEEEESD_jNS1_19radix_merge_compareILb0ELb0EsNS0_19identity_decomposerEEEEE10hipError_tT0_T1_T2_jT3_P12ihipStream_tbPNSt15iterator_traitsISI_E10value_typeEPNSO_ISJ_E10value_typeEPSK_NS1_7vsmem_tEENKUlT_SI_SJ_SK_E_clIPsSD_S10_SD_EESH_SX_SI_SJ_SK_EUlSX_E_NS1_11comp_targetILNS1_3genE3ELNS1_11target_archE908ELNS1_3gpuE7ELNS1_3repE0EEENS1_48merge_mergepath_partition_config_static_selectorELNS0_4arch9wavefront6targetE1EEEvSJ_
	.globl	_ZN7rocprim17ROCPRIM_400000_NS6detail17trampoline_kernelINS0_14default_configENS1_38merge_sort_block_merge_config_selectorIssEEZZNS1_27merge_sort_block_merge_implIS3_N6thrust23THRUST_200600_302600_NS6detail15normal_iteratorINS8_10device_ptrIsEEEESD_jNS1_19radix_merge_compareILb0ELb0EsNS0_19identity_decomposerEEEEE10hipError_tT0_T1_T2_jT3_P12ihipStream_tbPNSt15iterator_traitsISI_E10value_typeEPNSO_ISJ_E10value_typeEPSK_NS1_7vsmem_tEENKUlT_SI_SJ_SK_E_clIPsSD_S10_SD_EESH_SX_SI_SJ_SK_EUlSX_E_NS1_11comp_targetILNS1_3genE3ELNS1_11target_archE908ELNS1_3gpuE7ELNS1_3repE0EEENS1_48merge_mergepath_partition_config_static_selectorELNS0_4arch9wavefront6targetE1EEEvSJ_
	.p2align	8
	.type	_ZN7rocprim17ROCPRIM_400000_NS6detail17trampoline_kernelINS0_14default_configENS1_38merge_sort_block_merge_config_selectorIssEEZZNS1_27merge_sort_block_merge_implIS3_N6thrust23THRUST_200600_302600_NS6detail15normal_iteratorINS8_10device_ptrIsEEEESD_jNS1_19radix_merge_compareILb0ELb0EsNS0_19identity_decomposerEEEEE10hipError_tT0_T1_T2_jT3_P12ihipStream_tbPNSt15iterator_traitsISI_E10value_typeEPNSO_ISJ_E10value_typeEPSK_NS1_7vsmem_tEENKUlT_SI_SJ_SK_E_clIPsSD_S10_SD_EESH_SX_SI_SJ_SK_EUlSX_E_NS1_11comp_targetILNS1_3genE3ELNS1_11target_archE908ELNS1_3gpuE7ELNS1_3repE0EEENS1_48merge_mergepath_partition_config_static_selectorELNS0_4arch9wavefront6targetE1EEEvSJ_,@function
_ZN7rocprim17ROCPRIM_400000_NS6detail17trampoline_kernelINS0_14default_configENS1_38merge_sort_block_merge_config_selectorIssEEZZNS1_27merge_sort_block_merge_implIS3_N6thrust23THRUST_200600_302600_NS6detail15normal_iteratorINS8_10device_ptrIsEEEESD_jNS1_19radix_merge_compareILb0ELb0EsNS0_19identity_decomposerEEEEE10hipError_tT0_T1_T2_jT3_P12ihipStream_tbPNSt15iterator_traitsISI_E10value_typeEPNSO_ISJ_E10value_typeEPSK_NS1_7vsmem_tEENKUlT_SI_SJ_SK_E_clIPsSD_S10_SD_EESH_SX_SI_SJ_SK_EUlSX_E_NS1_11comp_targetILNS1_3genE3ELNS1_11target_archE908ELNS1_3gpuE7ELNS1_3repE0EEENS1_48merge_mergepath_partition_config_static_selectorELNS0_4arch9wavefront6targetE1EEEvSJ_: ; @_ZN7rocprim17ROCPRIM_400000_NS6detail17trampoline_kernelINS0_14default_configENS1_38merge_sort_block_merge_config_selectorIssEEZZNS1_27merge_sort_block_merge_implIS3_N6thrust23THRUST_200600_302600_NS6detail15normal_iteratorINS8_10device_ptrIsEEEESD_jNS1_19radix_merge_compareILb0ELb0EsNS0_19identity_decomposerEEEEE10hipError_tT0_T1_T2_jT3_P12ihipStream_tbPNSt15iterator_traitsISI_E10value_typeEPNSO_ISJ_E10value_typeEPSK_NS1_7vsmem_tEENKUlT_SI_SJ_SK_E_clIPsSD_S10_SD_EESH_SX_SI_SJ_SK_EUlSX_E_NS1_11comp_targetILNS1_3genE3ELNS1_11target_archE908ELNS1_3gpuE7ELNS1_3repE0EEENS1_48merge_mergepath_partition_config_static_selectorELNS0_4arch9wavefront6targetE1EEEvSJ_
; %bb.0:
	.section	.rodata,"a",@progbits
	.p2align	6, 0x0
	.amdhsa_kernel _ZN7rocprim17ROCPRIM_400000_NS6detail17trampoline_kernelINS0_14default_configENS1_38merge_sort_block_merge_config_selectorIssEEZZNS1_27merge_sort_block_merge_implIS3_N6thrust23THRUST_200600_302600_NS6detail15normal_iteratorINS8_10device_ptrIsEEEESD_jNS1_19radix_merge_compareILb0ELb0EsNS0_19identity_decomposerEEEEE10hipError_tT0_T1_T2_jT3_P12ihipStream_tbPNSt15iterator_traitsISI_E10value_typeEPNSO_ISJ_E10value_typeEPSK_NS1_7vsmem_tEENKUlT_SI_SJ_SK_E_clIPsSD_S10_SD_EESH_SX_SI_SJ_SK_EUlSX_E_NS1_11comp_targetILNS1_3genE3ELNS1_11target_archE908ELNS1_3gpuE7ELNS1_3repE0EEENS1_48merge_mergepath_partition_config_static_selectorELNS0_4arch9wavefront6targetE1EEEvSJ_
		.amdhsa_group_segment_fixed_size 0
		.amdhsa_private_segment_fixed_size 0
		.amdhsa_kernarg_size 40
		.amdhsa_user_sgpr_count 2
		.amdhsa_user_sgpr_dispatch_ptr 0
		.amdhsa_user_sgpr_queue_ptr 0
		.amdhsa_user_sgpr_kernarg_segment_ptr 1
		.amdhsa_user_sgpr_dispatch_id 0
		.amdhsa_user_sgpr_kernarg_preload_length 0
		.amdhsa_user_sgpr_kernarg_preload_offset 0
		.amdhsa_user_sgpr_private_segment_size 0
		.amdhsa_uses_dynamic_stack 0
		.amdhsa_enable_private_segment 0
		.amdhsa_system_sgpr_workgroup_id_x 1
		.amdhsa_system_sgpr_workgroup_id_y 0
		.amdhsa_system_sgpr_workgroup_id_z 0
		.amdhsa_system_sgpr_workgroup_info 0
		.amdhsa_system_vgpr_workitem_id 0
		.amdhsa_next_free_vgpr 1
		.amdhsa_next_free_sgpr 0
		.amdhsa_accum_offset 4
		.amdhsa_reserve_vcc 0
		.amdhsa_float_round_mode_32 0
		.amdhsa_float_round_mode_16_64 0
		.amdhsa_float_denorm_mode_32 3
		.amdhsa_float_denorm_mode_16_64 3
		.amdhsa_dx10_clamp 1
		.amdhsa_ieee_mode 1
		.amdhsa_fp16_overflow 0
		.amdhsa_tg_split 0
		.amdhsa_exception_fp_ieee_invalid_op 0
		.amdhsa_exception_fp_denorm_src 0
		.amdhsa_exception_fp_ieee_div_zero 0
		.amdhsa_exception_fp_ieee_overflow 0
		.amdhsa_exception_fp_ieee_underflow 0
		.amdhsa_exception_fp_ieee_inexact 0
		.amdhsa_exception_int_div_zero 0
	.end_amdhsa_kernel
	.section	.text._ZN7rocprim17ROCPRIM_400000_NS6detail17trampoline_kernelINS0_14default_configENS1_38merge_sort_block_merge_config_selectorIssEEZZNS1_27merge_sort_block_merge_implIS3_N6thrust23THRUST_200600_302600_NS6detail15normal_iteratorINS8_10device_ptrIsEEEESD_jNS1_19radix_merge_compareILb0ELb0EsNS0_19identity_decomposerEEEEE10hipError_tT0_T1_T2_jT3_P12ihipStream_tbPNSt15iterator_traitsISI_E10value_typeEPNSO_ISJ_E10value_typeEPSK_NS1_7vsmem_tEENKUlT_SI_SJ_SK_E_clIPsSD_S10_SD_EESH_SX_SI_SJ_SK_EUlSX_E_NS1_11comp_targetILNS1_3genE3ELNS1_11target_archE908ELNS1_3gpuE7ELNS1_3repE0EEENS1_48merge_mergepath_partition_config_static_selectorELNS0_4arch9wavefront6targetE1EEEvSJ_,"axG",@progbits,_ZN7rocprim17ROCPRIM_400000_NS6detail17trampoline_kernelINS0_14default_configENS1_38merge_sort_block_merge_config_selectorIssEEZZNS1_27merge_sort_block_merge_implIS3_N6thrust23THRUST_200600_302600_NS6detail15normal_iteratorINS8_10device_ptrIsEEEESD_jNS1_19radix_merge_compareILb0ELb0EsNS0_19identity_decomposerEEEEE10hipError_tT0_T1_T2_jT3_P12ihipStream_tbPNSt15iterator_traitsISI_E10value_typeEPNSO_ISJ_E10value_typeEPSK_NS1_7vsmem_tEENKUlT_SI_SJ_SK_E_clIPsSD_S10_SD_EESH_SX_SI_SJ_SK_EUlSX_E_NS1_11comp_targetILNS1_3genE3ELNS1_11target_archE908ELNS1_3gpuE7ELNS1_3repE0EEENS1_48merge_mergepath_partition_config_static_selectorELNS0_4arch9wavefront6targetE1EEEvSJ_,comdat
.Lfunc_end1514:
	.size	_ZN7rocprim17ROCPRIM_400000_NS6detail17trampoline_kernelINS0_14default_configENS1_38merge_sort_block_merge_config_selectorIssEEZZNS1_27merge_sort_block_merge_implIS3_N6thrust23THRUST_200600_302600_NS6detail15normal_iteratorINS8_10device_ptrIsEEEESD_jNS1_19radix_merge_compareILb0ELb0EsNS0_19identity_decomposerEEEEE10hipError_tT0_T1_T2_jT3_P12ihipStream_tbPNSt15iterator_traitsISI_E10value_typeEPNSO_ISJ_E10value_typeEPSK_NS1_7vsmem_tEENKUlT_SI_SJ_SK_E_clIPsSD_S10_SD_EESH_SX_SI_SJ_SK_EUlSX_E_NS1_11comp_targetILNS1_3genE3ELNS1_11target_archE908ELNS1_3gpuE7ELNS1_3repE0EEENS1_48merge_mergepath_partition_config_static_selectorELNS0_4arch9wavefront6targetE1EEEvSJ_, .Lfunc_end1514-_ZN7rocprim17ROCPRIM_400000_NS6detail17trampoline_kernelINS0_14default_configENS1_38merge_sort_block_merge_config_selectorIssEEZZNS1_27merge_sort_block_merge_implIS3_N6thrust23THRUST_200600_302600_NS6detail15normal_iteratorINS8_10device_ptrIsEEEESD_jNS1_19radix_merge_compareILb0ELb0EsNS0_19identity_decomposerEEEEE10hipError_tT0_T1_T2_jT3_P12ihipStream_tbPNSt15iterator_traitsISI_E10value_typeEPNSO_ISJ_E10value_typeEPSK_NS1_7vsmem_tEENKUlT_SI_SJ_SK_E_clIPsSD_S10_SD_EESH_SX_SI_SJ_SK_EUlSX_E_NS1_11comp_targetILNS1_3genE3ELNS1_11target_archE908ELNS1_3gpuE7ELNS1_3repE0EEENS1_48merge_mergepath_partition_config_static_selectorELNS0_4arch9wavefront6targetE1EEEvSJ_
                                        ; -- End function
	.set _ZN7rocprim17ROCPRIM_400000_NS6detail17trampoline_kernelINS0_14default_configENS1_38merge_sort_block_merge_config_selectorIssEEZZNS1_27merge_sort_block_merge_implIS3_N6thrust23THRUST_200600_302600_NS6detail15normal_iteratorINS8_10device_ptrIsEEEESD_jNS1_19radix_merge_compareILb0ELb0EsNS0_19identity_decomposerEEEEE10hipError_tT0_T1_T2_jT3_P12ihipStream_tbPNSt15iterator_traitsISI_E10value_typeEPNSO_ISJ_E10value_typeEPSK_NS1_7vsmem_tEENKUlT_SI_SJ_SK_E_clIPsSD_S10_SD_EESH_SX_SI_SJ_SK_EUlSX_E_NS1_11comp_targetILNS1_3genE3ELNS1_11target_archE908ELNS1_3gpuE7ELNS1_3repE0EEENS1_48merge_mergepath_partition_config_static_selectorELNS0_4arch9wavefront6targetE1EEEvSJ_.num_vgpr, 0
	.set _ZN7rocprim17ROCPRIM_400000_NS6detail17trampoline_kernelINS0_14default_configENS1_38merge_sort_block_merge_config_selectorIssEEZZNS1_27merge_sort_block_merge_implIS3_N6thrust23THRUST_200600_302600_NS6detail15normal_iteratorINS8_10device_ptrIsEEEESD_jNS1_19radix_merge_compareILb0ELb0EsNS0_19identity_decomposerEEEEE10hipError_tT0_T1_T2_jT3_P12ihipStream_tbPNSt15iterator_traitsISI_E10value_typeEPNSO_ISJ_E10value_typeEPSK_NS1_7vsmem_tEENKUlT_SI_SJ_SK_E_clIPsSD_S10_SD_EESH_SX_SI_SJ_SK_EUlSX_E_NS1_11comp_targetILNS1_3genE3ELNS1_11target_archE908ELNS1_3gpuE7ELNS1_3repE0EEENS1_48merge_mergepath_partition_config_static_selectorELNS0_4arch9wavefront6targetE1EEEvSJ_.num_agpr, 0
	.set _ZN7rocprim17ROCPRIM_400000_NS6detail17trampoline_kernelINS0_14default_configENS1_38merge_sort_block_merge_config_selectorIssEEZZNS1_27merge_sort_block_merge_implIS3_N6thrust23THRUST_200600_302600_NS6detail15normal_iteratorINS8_10device_ptrIsEEEESD_jNS1_19radix_merge_compareILb0ELb0EsNS0_19identity_decomposerEEEEE10hipError_tT0_T1_T2_jT3_P12ihipStream_tbPNSt15iterator_traitsISI_E10value_typeEPNSO_ISJ_E10value_typeEPSK_NS1_7vsmem_tEENKUlT_SI_SJ_SK_E_clIPsSD_S10_SD_EESH_SX_SI_SJ_SK_EUlSX_E_NS1_11comp_targetILNS1_3genE3ELNS1_11target_archE908ELNS1_3gpuE7ELNS1_3repE0EEENS1_48merge_mergepath_partition_config_static_selectorELNS0_4arch9wavefront6targetE1EEEvSJ_.numbered_sgpr, 0
	.set _ZN7rocprim17ROCPRIM_400000_NS6detail17trampoline_kernelINS0_14default_configENS1_38merge_sort_block_merge_config_selectorIssEEZZNS1_27merge_sort_block_merge_implIS3_N6thrust23THRUST_200600_302600_NS6detail15normal_iteratorINS8_10device_ptrIsEEEESD_jNS1_19radix_merge_compareILb0ELb0EsNS0_19identity_decomposerEEEEE10hipError_tT0_T1_T2_jT3_P12ihipStream_tbPNSt15iterator_traitsISI_E10value_typeEPNSO_ISJ_E10value_typeEPSK_NS1_7vsmem_tEENKUlT_SI_SJ_SK_E_clIPsSD_S10_SD_EESH_SX_SI_SJ_SK_EUlSX_E_NS1_11comp_targetILNS1_3genE3ELNS1_11target_archE908ELNS1_3gpuE7ELNS1_3repE0EEENS1_48merge_mergepath_partition_config_static_selectorELNS0_4arch9wavefront6targetE1EEEvSJ_.num_named_barrier, 0
	.set _ZN7rocprim17ROCPRIM_400000_NS6detail17trampoline_kernelINS0_14default_configENS1_38merge_sort_block_merge_config_selectorIssEEZZNS1_27merge_sort_block_merge_implIS3_N6thrust23THRUST_200600_302600_NS6detail15normal_iteratorINS8_10device_ptrIsEEEESD_jNS1_19radix_merge_compareILb0ELb0EsNS0_19identity_decomposerEEEEE10hipError_tT0_T1_T2_jT3_P12ihipStream_tbPNSt15iterator_traitsISI_E10value_typeEPNSO_ISJ_E10value_typeEPSK_NS1_7vsmem_tEENKUlT_SI_SJ_SK_E_clIPsSD_S10_SD_EESH_SX_SI_SJ_SK_EUlSX_E_NS1_11comp_targetILNS1_3genE3ELNS1_11target_archE908ELNS1_3gpuE7ELNS1_3repE0EEENS1_48merge_mergepath_partition_config_static_selectorELNS0_4arch9wavefront6targetE1EEEvSJ_.private_seg_size, 0
	.set _ZN7rocprim17ROCPRIM_400000_NS6detail17trampoline_kernelINS0_14default_configENS1_38merge_sort_block_merge_config_selectorIssEEZZNS1_27merge_sort_block_merge_implIS3_N6thrust23THRUST_200600_302600_NS6detail15normal_iteratorINS8_10device_ptrIsEEEESD_jNS1_19radix_merge_compareILb0ELb0EsNS0_19identity_decomposerEEEEE10hipError_tT0_T1_T2_jT3_P12ihipStream_tbPNSt15iterator_traitsISI_E10value_typeEPNSO_ISJ_E10value_typeEPSK_NS1_7vsmem_tEENKUlT_SI_SJ_SK_E_clIPsSD_S10_SD_EESH_SX_SI_SJ_SK_EUlSX_E_NS1_11comp_targetILNS1_3genE3ELNS1_11target_archE908ELNS1_3gpuE7ELNS1_3repE0EEENS1_48merge_mergepath_partition_config_static_selectorELNS0_4arch9wavefront6targetE1EEEvSJ_.uses_vcc, 0
	.set _ZN7rocprim17ROCPRIM_400000_NS6detail17trampoline_kernelINS0_14default_configENS1_38merge_sort_block_merge_config_selectorIssEEZZNS1_27merge_sort_block_merge_implIS3_N6thrust23THRUST_200600_302600_NS6detail15normal_iteratorINS8_10device_ptrIsEEEESD_jNS1_19radix_merge_compareILb0ELb0EsNS0_19identity_decomposerEEEEE10hipError_tT0_T1_T2_jT3_P12ihipStream_tbPNSt15iterator_traitsISI_E10value_typeEPNSO_ISJ_E10value_typeEPSK_NS1_7vsmem_tEENKUlT_SI_SJ_SK_E_clIPsSD_S10_SD_EESH_SX_SI_SJ_SK_EUlSX_E_NS1_11comp_targetILNS1_3genE3ELNS1_11target_archE908ELNS1_3gpuE7ELNS1_3repE0EEENS1_48merge_mergepath_partition_config_static_selectorELNS0_4arch9wavefront6targetE1EEEvSJ_.uses_flat_scratch, 0
	.set _ZN7rocprim17ROCPRIM_400000_NS6detail17trampoline_kernelINS0_14default_configENS1_38merge_sort_block_merge_config_selectorIssEEZZNS1_27merge_sort_block_merge_implIS3_N6thrust23THRUST_200600_302600_NS6detail15normal_iteratorINS8_10device_ptrIsEEEESD_jNS1_19radix_merge_compareILb0ELb0EsNS0_19identity_decomposerEEEEE10hipError_tT0_T1_T2_jT3_P12ihipStream_tbPNSt15iterator_traitsISI_E10value_typeEPNSO_ISJ_E10value_typeEPSK_NS1_7vsmem_tEENKUlT_SI_SJ_SK_E_clIPsSD_S10_SD_EESH_SX_SI_SJ_SK_EUlSX_E_NS1_11comp_targetILNS1_3genE3ELNS1_11target_archE908ELNS1_3gpuE7ELNS1_3repE0EEENS1_48merge_mergepath_partition_config_static_selectorELNS0_4arch9wavefront6targetE1EEEvSJ_.has_dyn_sized_stack, 0
	.set _ZN7rocprim17ROCPRIM_400000_NS6detail17trampoline_kernelINS0_14default_configENS1_38merge_sort_block_merge_config_selectorIssEEZZNS1_27merge_sort_block_merge_implIS3_N6thrust23THRUST_200600_302600_NS6detail15normal_iteratorINS8_10device_ptrIsEEEESD_jNS1_19radix_merge_compareILb0ELb0EsNS0_19identity_decomposerEEEEE10hipError_tT0_T1_T2_jT3_P12ihipStream_tbPNSt15iterator_traitsISI_E10value_typeEPNSO_ISJ_E10value_typeEPSK_NS1_7vsmem_tEENKUlT_SI_SJ_SK_E_clIPsSD_S10_SD_EESH_SX_SI_SJ_SK_EUlSX_E_NS1_11comp_targetILNS1_3genE3ELNS1_11target_archE908ELNS1_3gpuE7ELNS1_3repE0EEENS1_48merge_mergepath_partition_config_static_selectorELNS0_4arch9wavefront6targetE1EEEvSJ_.has_recursion, 0
	.set _ZN7rocprim17ROCPRIM_400000_NS6detail17trampoline_kernelINS0_14default_configENS1_38merge_sort_block_merge_config_selectorIssEEZZNS1_27merge_sort_block_merge_implIS3_N6thrust23THRUST_200600_302600_NS6detail15normal_iteratorINS8_10device_ptrIsEEEESD_jNS1_19radix_merge_compareILb0ELb0EsNS0_19identity_decomposerEEEEE10hipError_tT0_T1_T2_jT3_P12ihipStream_tbPNSt15iterator_traitsISI_E10value_typeEPNSO_ISJ_E10value_typeEPSK_NS1_7vsmem_tEENKUlT_SI_SJ_SK_E_clIPsSD_S10_SD_EESH_SX_SI_SJ_SK_EUlSX_E_NS1_11comp_targetILNS1_3genE3ELNS1_11target_archE908ELNS1_3gpuE7ELNS1_3repE0EEENS1_48merge_mergepath_partition_config_static_selectorELNS0_4arch9wavefront6targetE1EEEvSJ_.has_indirect_call, 0
	.section	.AMDGPU.csdata,"",@progbits
; Kernel info:
; codeLenInByte = 0
; TotalNumSgprs: 6
; NumVgprs: 0
; NumAgprs: 0
; TotalNumVgprs: 0
; ScratchSize: 0
; MemoryBound: 0
; FloatMode: 240
; IeeeMode: 1
; LDSByteSize: 0 bytes/workgroup (compile time only)
; SGPRBlocks: 0
; VGPRBlocks: 0
; NumSGPRsForWavesPerEU: 6
; NumVGPRsForWavesPerEU: 1
; AccumOffset: 4
; Occupancy: 8
; WaveLimiterHint : 0
; COMPUTE_PGM_RSRC2:SCRATCH_EN: 0
; COMPUTE_PGM_RSRC2:USER_SGPR: 2
; COMPUTE_PGM_RSRC2:TRAP_HANDLER: 0
; COMPUTE_PGM_RSRC2:TGID_X_EN: 1
; COMPUTE_PGM_RSRC2:TGID_Y_EN: 0
; COMPUTE_PGM_RSRC2:TGID_Z_EN: 0
; COMPUTE_PGM_RSRC2:TIDIG_COMP_CNT: 0
; COMPUTE_PGM_RSRC3_GFX90A:ACCUM_OFFSET: 0
; COMPUTE_PGM_RSRC3_GFX90A:TG_SPLIT: 0
	.section	.text._ZN7rocprim17ROCPRIM_400000_NS6detail17trampoline_kernelINS0_14default_configENS1_38merge_sort_block_merge_config_selectorIssEEZZNS1_27merge_sort_block_merge_implIS3_N6thrust23THRUST_200600_302600_NS6detail15normal_iteratorINS8_10device_ptrIsEEEESD_jNS1_19radix_merge_compareILb0ELb0EsNS0_19identity_decomposerEEEEE10hipError_tT0_T1_T2_jT3_P12ihipStream_tbPNSt15iterator_traitsISI_E10value_typeEPNSO_ISJ_E10value_typeEPSK_NS1_7vsmem_tEENKUlT_SI_SJ_SK_E_clIPsSD_S10_SD_EESH_SX_SI_SJ_SK_EUlSX_E_NS1_11comp_targetILNS1_3genE2ELNS1_11target_archE906ELNS1_3gpuE6ELNS1_3repE0EEENS1_48merge_mergepath_partition_config_static_selectorELNS0_4arch9wavefront6targetE1EEEvSJ_,"axG",@progbits,_ZN7rocprim17ROCPRIM_400000_NS6detail17trampoline_kernelINS0_14default_configENS1_38merge_sort_block_merge_config_selectorIssEEZZNS1_27merge_sort_block_merge_implIS3_N6thrust23THRUST_200600_302600_NS6detail15normal_iteratorINS8_10device_ptrIsEEEESD_jNS1_19radix_merge_compareILb0ELb0EsNS0_19identity_decomposerEEEEE10hipError_tT0_T1_T2_jT3_P12ihipStream_tbPNSt15iterator_traitsISI_E10value_typeEPNSO_ISJ_E10value_typeEPSK_NS1_7vsmem_tEENKUlT_SI_SJ_SK_E_clIPsSD_S10_SD_EESH_SX_SI_SJ_SK_EUlSX_E_NS1_11comp_targetILNS1_3genE2ELNS1_11target_archE906ELNS1_3gpuE6ELNS1_3repE0EEENS1_48merge_mergepath_partition_config_static_selectorELNS0_4arch9wavefront6targetE1EEEvSJ_,comdat
	.protected	_ZN7rocprim17ROCPRIM_400000_NS6detail17trampoline_kernelINS0_14default_configENS1_38merge_sort_block_merge_config_selectorIssEEZZNS1_27merge_sort_block_merge_implIS3_N6thrust23THRUST_200600_302600_NS6detail15normal_iteratorINS8_10device_ptrIsEEEESD_jNS1_19radix_merge_compareILb0ELb0EsNS0_19identity_decomposerEEEEE10hipError_tT0_T1_T2_jT3_P12ihipStream_tbPNSt15iterator_traitsISI_E10value_typeEPNSO_ISJ_E10value_typeEPSK_NS1_7vsmem_tEENKUlT_SI_SJ_SK_E_clIPsSD_S10_SD_EESH_SX_SI_SJ_SK_EUlSX_E_NS1_11comp_targetILNS1_3genE2ELNS1_11target_archE906ELNS1_3gpuE6ELNS1_3repE0EEENS1_48merge_mergepath_partition_config_static_selectorELNS0_4arch9wavefront6targetE1EEEvSJ_ ; -- Begin function _ZN7rocprim17ROCPRIM_400000_NS6detail17trampoline_kernelINS0_14default_configENS1_38merge_sort_block_merge_config_selectorIssEEZZNS1_27merge_sort_block_merge_implIS3_N6thrust23THRUST_200600_302600_NS6detail15normal_iteratorINS8_10device_ptrIsEEEESD_jNS1_19radix_merge_compareILb0ELb0EsNS0_19identity_decomposerEEEEE10hipError_tT0_T1_T2_jT3_P12ihipStream_tbPNSt15iterator_traitsISI_E10value_typeEPNSO_ISJ_E10value_typeEPSK_NS1_7vsmem_tEENKUlT_SI_SJ_SK_E_clIPsSD_S10_SD_EESH_SX_SI_SJ_SK_EUlSX_E_NS1_11comp_targetILNS1_3genE2ELNS1_11target_archE906ELNS1_3gpuE6ELNS1_3repE0EEENS1_48merge_mergepath_partition_config_static_selectorELNS0_4arch9wavefront6targetE1EEEvSJ_
	.globl	_ZN7rocprim17ROCPRIM_400000_NS6detail17trampoline_kernelINS0_14default_configENS1_38merge_sort_block_merge_config_selectorIssEEZZNS1_27merge_sort_block_merge_implIS3_N6thrust23THRUST_200600_302600_NS6detail15normal_iteratorINS8_10device_ptrIsEEEESD_jNS1_19radix_merge_compareILb0ELb0EsNS0_19identity_decomposerEEEEE10hipError_tT0_T1_T2_jT3_P12ihipStream_tbPNSt15iterator_traitsISI_E10value_typeEPNSO_ISJ_E10value_typeEPSK_NS1_7vsmem_tEENKUlT_SI_SJ_SK_E_clIPsSD_S10_SD_EESH_SX_SI_SJ_SK_EUlSX_E_NS1_11comp_targetILNS1_3genE2ELNS1_11target_archE906ELNS1_3gpuE6ELNS1_3repE0EEENS1_48merge_mergepath_partition_config_static_selectorELNS0_4arch9wavefront6targetE1EEEvSJ_
	.p2align	8
	.type	_ZN7rocprim17ROCPRIM_400000_NS6detail17trampoline_kernelINS0_14default_configENS1_38merge_sort_block_merge_config_selectorIssEEZZNS1_27merge_sort_block_merge_implIS3_N6thrust23THRUST_200600_302600_NS6detail15normal_iteratorINS8_10device_ptrIsEEEESD_jNS1_19radix_merge_compareILb0ELb0EsNS0_19identity_decomposerEEEEE10hipError_tT0_T1_T2_jT3_P12ihipStream_tbPNSt15iterator_traitsISI_E10value_typeEPNSO_ISJ_E10value_typeEPSK_NS1_7vsmem_tEENKUlT_SI_SJ_SK_E_clIPsSD_S10_SD_EESH_SX_SI_SJ_SK_EUlSX_E_NS1_11comp_targetILNS1_3genE2ELNS1_11target_archE906ELNS1_3gpuE6ELNS1_3repE0EEENS1_48merge_mergepath_partition_config_static_selectorELNS0_4arch9wavefront6targetE1EEEvSJ_,@function
_ZN7rocprim17ROCPRIM_400000_NS6detail17trampoline_kernelINS0_14default_configENS1_38merge_sort_block_merge_config_selectorIssEEZZNS1_27merge_sort_block_merge_implIS3_N6thrust23THRUST_200600_302600_NS6detail15normal_iteratorINS8_10device_ptrIsEEEESD_jNS1_19radix_merge_compareILb0ELb0EsNS0_19identity_decomposerEEEEE10hipError_tT0_T1_T2_jT3_P12ihipStream_tbPNSt15iterator_traitsISI_E10value_typeEPNSO_ISJ_E10value_typeEPSK_NS1_7vsmem_tEENKUlT_SI_SJ_SK_E_clIPsSD_S10_SD_EESH_SX_SI_SJ_SK_EUlSX_E_NS1_11comp_targetILNS1_3genE2ELNS1_11target_archE906ELNS1_3gpuE6ELNS1_3repE0EEENS1_48merge_mergepath_partition_config_static_selectorELNS0_4arch9wavefront6targetE1EEEvSJ_: ; @_ZN7rocprim17ROCPRIM_400000_NS6detail17trampoline_kernelINS0_14default_configENS1_38merge_sort_block_merge_config_selectorIssEEZZNS1_27merge_sort_block_merge_implIS3_N6thrust23THRUST_200600_302600_NS6detail15normal_iteratorINS8_10device_ptrIsEEEESD_jNS1_19radix_merge_compareILb0ELb0EsNS0_19identity_decomposerEEEEE10hipError_tT0_T1_T2_jT3_P12ihipStream_tbPNSt15iterator_traitsISI_E10value_typeEPNSO_ISJ_E10value_typeEPSK_NS1_7vsmem_tEENKUlT_SI_SJ_SK_E_clIPsSD_S10_SD_EESH_SX_SI_SJ_SK_EUlSX_E_NS1_11comp_targetILNS1_3genE2ELNS1_11target_archE906ELNS1_3gpuE6ELNS1_3repE0EEENS1_48merge_mergepath_partition_config_static_selectorELNS0_4arch9wavefront6targetE1EEEvSJ_
; %bb.0:
	.section	.rodata,"a",@progbits
	.p2align	6, 0x0
	.amdhsa_kernel _ZN7rocprim17ROCPRIM_400000_NS6detail17trampoline_kernelINS0_14default_configENS1_38merge_sort_block_merge_config_selectorIssEEZZNS1_27merge_sort_block_merge_implIS3_N6thrust23THRUST_200600_302600_NS6detail15normal_iteratorINS8_10device_ptrIsEEEESD_jNS1_19radix_merge_compareILb0ELb0EsNS0_19identity_decomposerEEEEE10hipError_tT0_T1_T2_jT3_P12ihipStream_tbPNSt15iterator_traitsISI_E10value_typeEPNSO_ISJ_E10value_typeEPSK_NS1_7vsmem_tEENKUlT_SI_SJ_SK_E_clIPsSD_S10_SD_EESH_SX_SI_SJ_SK_EUlSX_E_NS1_11comp_targetILNS1_3genE2ELNS1_11target_archE906ELNS1_3gpuE6ELNS1_3repE0EEENS1_48merge_mergepath_partition_config_static_selectorELNS0_4arch9wavefront6targetE1EEEvSJ_
		.amdhsa_group_segment_fixed_size 0
		.amdhsa_private_segment_fixed_size 0
		.amdhsa_kernarg_size 40
		.amdhsa_user_sgpr_count 2
		.amdhsa_user_sgpr_dispatch_ptr 0
		.amdhsa_user_sgpr_queue_ptr 0
		.amdhsa_user_sgpr_kernarg_segment_ptr 1
		.amdhsa_user_sgpr_dispatch_id 0
		.amdhsa_user_sgpr_kernarg_preload_length 0
		.amdhsa_user_sgpr_kernarg_preload_offset 0
		.amdhsa_user_sgpr_private_segment_size 0
		.amdhsa_uses_dynamic_stack 0
		.amdhsa_enable_private_segment 0
		.amdhsa_system_sgpr_workgroup_id_x 1
		.amdhsa_system_sgpr_workgroup_id_y 0
		.amdhsa_system_sgpr_workgroup_id_z 0
		.amdhsa_system_sgpr_workgroup_info 0
		.amdhsa_system_vgpr_workitem_id 0
		.amdhsa_next_free_vgpr 1
		.amdhsa_next_free_sgpr 0
		.amdhsa_accum_offset 4
		.amdhsa_reserve_vcc 0
		.amdhsa_float_round_mode_32 0
		.amdhsa_float_round_mode_16_64 0
		.amdhsa_float_denorm_mode_32 3
		.amdhsa_float_denorm_mode_16_64 3
		.amdhsa_dx10_clamp 1
		.amdhsa_ieee_mode 1
		.amdhsa_fp16_overflow 0
		.amdhsa_tg_split 0
		.amdhsa_exception_fp_ieee_invalid_op 0
		.amdhsa_exception_fp_denorm_src 0
		.amdhsa_exception_fp_ieee_div_zero 0
		.amdhsa_exception_fp_ieee_overflow 0
		.amdhsa_exception_fp_ieee_underflow 0
		.amdhsa_exception_fp_ieee_inexact 0
		.amdhsa_exception_int_div_zero 0
	.end_amdhsa_kernel
	.section	.text._ZN7rocprim17ROCPRIM_400000_NS6detail17trampoline_kernelINS0_14default_configENS1_38merge_sort_block_merge_config_selectorIssEEZZNS1_27merge_sort_block_merge_implIS3_N6thrust23THRUST_200600_302600_NS6detail15normal_iteratorINS8_10device_ptrIsEEEESD_jNS1_19radix_merge_compareILb0ELb0EsNS0_19identity_decomposerEEEEE10hipError_tT0_T1_T2_jT3_P12ihipStream_tbPNSt15iterator_traitsISI_E10value_typeEPNSO_ISJ_E10value_typeEPSK_NS1_7vsmem_tEENKUlT_SI_SJ_SK_E_clIPsSD_S10_SD_EESH_SX_SI_SJ_SK_EUlSX_E_NS1_11comp_targetILNS1_3genE2ELNS1_11target_archE906ELNS1_3gpuE6ELNS1_3repE0EEENS1_48merge_mergepath_partition_config_static_selectorELNS0_4arch9wavefront6targetE1EEEvSJ_,"axG",@progbits,_ZN7rocprim17ROCPRIM_400000_NS6detail17trampoline_kernelINS0_14default_configENS1_38merge_sort_block_merge_config_selectorIssEEZZNS1_27merge_sort_block_merge_implIS3_N6thrust23THRUST_200600_302600_NS6detail15normal_iteratorINS8_10device_ptrIsEEEESD_jNS1_19radix_merge_compareILb0ELb0EsNS0_19identity_decomposerEEEEE10hipError_tT0_T1_T2_jT3_P12ihipStream_tbPNSt15iterator_traitsISI_E10value_typeEPNSO_ISJ_E10value_typeEPSK_NS1_7vsmem_tEENKUlT_SI_SJ_SK_E_clIPsSD_S10_SD_EESH_SX_SI_SJ_SK_EUlSX_E_NS1_11comp_targetILNS1_3genE2ELNS1_11target_archE906ELNS1_3gpuE6ELNS1_3repE0EEENS1_48merge_mergepath_partition_config_static_selectorELNS0_4arch9wavefront6targetE1EEEvSJ_,comdat
.Lfunc_end1515:
	.size	_ZN7rocprim17ROCPRIM_400000_NS6detail17trampoline_kernelINS0_14default_configENS1_38merge_sort_block_merge_config_selectorIssEEZZNS1_27merge_sort_block_merge_implIS3_N6thrust23THRUST_200600_302600_NS6detail15normal_iteratorINS8_10device_ptrIsEEEESD_jNS1_19radix_merge_compareILb0ELb0EsNS0_19identity_decomposerEEEEE10hipError_tT0_T1_T2_jT3_P12ihipStream_tbPNSt15iterator_traitsISI_E10value_typeEPNSO_ISJ_E10value_typeEPSK_NS1_7vsmem_tEENKUlT_SI_SJ_SK_E_clIPsSD_S10_SD_EESH_SX_SI_SJ_SK_EUlSX_E_NS1_11comp_targetILNS1_3genE2ELNS1_11target_archE906ELNS1_3gpuE6ELNS1_3repE0EEENS1_48merge_mergepath_partition_config_static_selectorELNS0_4arch9wavefront6targetE1EEEvSJ_, .Lfunc_end1515-_ZN7rocprim17ROCPRIM_400000_NS6detail17trampoline_kernelINS0_14default_configENS1_38merge_sort_block_merge_config_selectorIssEEZZNS1_27merge_sort_block_merge_implIS3_N6thrust23THRUST_200600_302600_NS6detail15normal_iteratorINS8_10device_ptrIsEEEESD_jNS1_19radix_merge_compareILb0ELb0EsNS0_19identity_decomposerEEEEE10hipError_tT0_T1_T2_jT3_P12ihipStream_tbPNSt15iterator_traitsISI_E10value_typeEPNSO_ISJ_E10value_typeEPSK_NS1_7vsmem_tEENKUlT_SI_SJ_SK_E_clIPsSD_S10_SD_EESH_SX_SI_SJ_SK_EUlSX_E_NS1_11comp_targetILNS1_3genE2ELNS1_11target_archE906ELNS1_3gpuE6ELNS1_3repE0EEENS1_48merge_mergepath_partition_config_static_selectorELNS0_4arch9wavefront6targetE1EEEvSJ_
                                        ; -- End function
	.set _ZN7rocprim17ROCPRIM_400000_NS6detail17trampoline_kernelINS0_14default_configENS1_38merge_sort_block_merge_config_selectorIssEEZZNS1_27merge_sort_block_merge_implIS3_N6thrust23THRUST_200600_302600_NS6detail15normal_iteratorINS8_10device_ptrIsEEEESD_jNS1_19radix_merge_compareILb0ELb0EsNS0_19identity_decomposerEEEEE10hipError_tT0_T1_T2_jT3_P12ihipStream_tbPNSt15iterator_traitsISI_E10value_typeEPNSO_ISJ_E10value_typeEPSK_NS1_7vsmem_tEENKUlT_SI_SJ_SK_E_clIPsSD_S10_SD_EESH_SX_SI_SJ_SK_EUlSX_E_NS1_11comp_targetILNS1_3genE2ELNS1_11target_archE906ELNS1_3gpuE6ELNS1_3repE0EEENS1_48merge_mergepath_partition_config_static_selectorELNS0_4arch9wavefront6targetE1EEEvSJ_.num_vgpr, 0
	.set _ZN7rocprim17ROCPRIM_400000_NS6detail17trampoline_kernelINS0_14default_configENS1_38merge_sort_block_merge_config_selectorIssEEZZNS1_27merge_sort_block_merge_implIS3_N6thrust23THRUST_200600_302600_NS6detail15normal_iteratorINS8_10device_ptrIsEEEESD_jNS1_19radix_merge_compareILb0ELb0EsNS0_19identity_decomposerEEEEE10hipError_tT0_T1_T2_jT3_P12ihipStream_tbPNSt15iterator_traitsISI_E10value_typeEPNSO_ISJ_E10value_typeEPSK_NS1_7vsmem_tEENKUlT_SI_SJ_SK_E_clIPsSD_S10_SD_EESH_SX_SI_SJ_SK_EUlSX_E_NS1_11comp_targetILNS1_3genE2ELNS1_11target_archE906ELNS1_3gpuE6ELNS1_3repE0EEENS1_48merge_mergepath_partition_config_static_selectorELNS0_4arch9wavefront6targetE1EEEvSJ_.num_agpr, 0
	.set _ZN7rocprim17ROCPRIM_400000_NS6detail17trampoline_kernelINS0_14default_configENS1_38merge_sort_block_merge_config_selectorIssEEZZNS1_27merge_sort_block_merge_implIS3_N6thrust23THRUST_200600_302600_NS6detail15normal_iteratorINS8_10device_ptrIsEEEESD_jNS1_19radix_merge_compareILb0ELb0EsNS0_19identity_decomposerEEEEE10hipError_tT0_T1_T2_jT3_P12ihipStream_tbPNSt15iterator_traitsISI_E10value_typeEPNSO_ISJ_E10value_typeEPSK_NS1_7vsmem_tEENKUlT_SI_SJ_SK_E_clIPsSD_S10_SD_EESH_SX_SI_SJ_SK_EUlSX_E_NS1_11comp_targetILNS1_3genE2ELNS1_11target_archE906ELNS1_3gpuE6ELNS1_3repE0EEENS1_48merge_mergepath_partition_config_static_selectorELNS0_4arch9wavefront6targetE1EEEvSJ_.numbered_sgpr, 0
	.set _ZN7rocprim17ROCPRIM_400000_NS6detail17trampoline_kernelINS0_14default_configENS1_38merge_sort_block_merge_config_selectorIssEEZZNS1_27merge_sort_block_merge_implIS3_N6thrust23THRUST_200600_302600_NS6detail15normal_iteratorINS8_10device_ptrIsEEEESD_jNS1_19radix_merge_compareILb0ELb0EsNS0_19identity_decomposerEEEEE10hipError_tT0_T1_T2_jT3_P12ihipStream_tbPNSt15iterator_traitsISI_E10value_typeEPNSO_ISJ_E10value_typeEPSK_NS1_7vsmem_tEENKUlT_SI_SJ_SK_E_clIPsSD_S10_SD_EESH_SX_SI_SJ_SK_EUlSX_E_NS1_11comp_targetILNS1_3genE2ELNS1_11target_archE906ELNS1_3gpuE6ELNS1_3repE0EEENS1_48merge_mergepath_partition_config_static_selectorELNS0_4arch9wavefront6targetE1EEEvSJ_.num_named_barrier, 0
	.set _ZN7rocprim17ROCPRIM_400000_NS6detail17trampoline_kernelINS0_14default_configENS1_38merge_sort_block_merge_config_selectorIssEEZZNS1_27merge_sort_block_merge_implIS3_N6thrust23THRUST_200600_302600_NS6detail15normal_iteratorINS8_10device_ptrIsEEEESD_jNS1_19radix_merge_compareILb0ELb0EsNS0_19identity_decomposerEEEEE10hipError_tT0_T1_T2_jT3_P12ihipStream_tbPNSt15iterator_traitsISI_E10value_typeEPNSO_ISJ_E10value_typeEPSK_NS1_7vsmem_tEENKUlT_SI_SJ_SK_E_clIPsSD_S10_SD_EESH_SX_SI_SJ_SK_EUlSX_E_NS1_11comp_targetILNS1_3genE2ELNS1_11target_archE906ELNS1_3gpuE6ELNS1_3repE0EEENS1_48merge_mergepath_partition_config_static_selectorELNS0_4arch9wavefront6targetE1EEEvSJ_.private_seg_size, 0
	.set _ZN7rocprim17ROCPRIM_400000_NS6detail17trampoline_kernelINS0_14default_configENS1_38merge_sort_block_merge_config_selectorIssEEZZNS1_27merge_sort_block_merge_implIS3_N6thrust23THRUST_200600_302600_NS6detail15normal_iteratorINS8_10device_ptrIsEEEESD_jNS1_19radix_merge_compareILb0ELb0EsNS0_19identity_decomposerEEEEE10hipError_tT0_T1_T2_jT3_P12ihipStream_tbPNSt15iterator_traitsISI_E10value_typeEPNSO_ISJ_E10value_typeEPSK_NS1_7vsmem_tEENKUlT_SI_SJ_SK_E_clIPsSD_S10_SD_EESH_SX_SI_SJ_SK_EUlSX_E_NS1_11comp_targetILNS1_3genE2ELNS1_11target_archE906ELNS1_3gpuE6ELNS1_3repE0EEENS1_48merge_mergepath_partition_config_static_selectorELNS0_4arch9wavefront6targetE1EEEvSJ_.uses_vcc, 0
	.set _ZN7rocprim17ROCPRIM_400000_NS6detail17trampoline_kernelINS0_14default_configENS1_38merge_sort_block_merge_config_selectorIssEEZZNS1_27merge_sort_block_merge_implIS3_N6thrust23THRUST_200600_302600_NS6detail15normal_iteratorINS8_10device_ptrIsEEEESD_jNS1_19radix_merge_compareILb0ELb0EsNS0_19identity_decomposerEEEEE10hipError_tT0_T1_T2_jT3_P12ihipStream_tbPNSt15iterator_traitsISI_E10value_typeEPNSO_ISJ_E10value_typeEPSK_NS1_7vsmem_tEENKUlT_SI_SJ_SK_E_clIPsSD_S10_SD_EESH_SX_SI_SJ_SK_EUlSX_E_NS1_11comp_targetILNS1_3genE2ELNS1_11target_archE906ELNS1_3gpuE6ELNS1_3repE0EEENS1_48merge_mergepath_partition_config_static_selectorELNS0_4arch9wavefront6targetE1EEEvSJ_.uses_flat_scratch, 0
	.set _ZN7rocprim17ROCPRIM_400000_NS6detail17trampoline_kernelINS0_14default_configENS1_38merge_sort_block_merge_config_selectorIssEEZZNS1_27merge_sort_block_merge_implIS3_N6thrust23THRUST_200600_302600_NS6detail15normal_iteratorINS8_10device_ptrIsEEEESD_jNS1_19radix_merge_compareILb0ELb0EsNS0_19identity_decomposerEEEEE10hipError_tT0_T1_T2_jT3_P12ihipStream_tbPNSt15iterator_traitsISI_E10value_typeEPNSO_ISJ_E10value_typeEPSK_NS1_7vsmem_tEENKUlT_SI_SJ_SK_E_clIPsSD_S10_SD_EESH_SX_SI_SJ_SK_EUlSX_E_NS1_11comp_targetILNS1_3genE2ELNS1_11target_archE906ELNS1_3gpuE6ELNS1_3repE0EEENS1_48merge_mergepath_partition_config_static_selectorELNS0_4arch9wavefront6targetE1EEEvSJ_.has_dyn_sized_stack, 0
	.set _ZN7rocprim17ROCPRIM_400000_NS6detail17trampoline_kernelINS0_14default_configENS1_38merge_sort_block_merge_config_selectorIssEEZZNS1_27merge_sort_block_merge_implIS3_N6thrust23THRUST_200600_302600_NS6detail15normal_iteratorINS8_10device_ptrIsEEEESD_jNS1_19radix_merge_compareILb0ELb0EsNS0_19identity_decomposerEEEEE10hipError_tT0_T1_T2_jT3_P12ihipStream_tbPNSt15iterator_traitsISI_E10value_typeEPNSO_ISJ_E10value_typeEPSK_NS1_7vsmem_tEENKUlT_SI_SJ_SK_E_clIPsSD_S10_SD_EESH_SX_SI_SJ_SK_EUlSX_E_NS1_11comp_targetILNS1_3genE2ELNS1_11target_archE906ELNS1_3gpuE6ELNS1_3repE0EEENS1_48merge_mergepath_partition_config_static_selectorELNS0_4arch9wavefront6targetE1EEEvSJ_.has_recursion, 0
	.set _ZN7rocprim17ROCPRIM_400000_NS6detail17trampoline_kernelINS0_14default_configENS1_38merge_sort_block_merge_config_selectorIssEEZZNS1_27merge_sort_block_merge_implIS3_N6thrust23THRUST_200600_302600_NS6detail15normal_iteratorINS8_10device_ptrIsEEEESD_jNS1_19radix_merge_compareILb0ELb0EsNS0_19identity_decomposerEEEEE10hipError_tT0_T1_T2_jT3_P12ihipStream_tbPNSt15iterator_traitsISI_E10value_typeEPNSO_ISJ_E10value_typeEPSK_NS1_7vsmem_tEENKUlT_SI_SJ_SK_E_clIPsSD_S10_SD_EESH_SX_SI_SJ_SK_EUlSX_E_NS1_11comp_targetILNS1_3genE2ELNS1_11target_archE906ELNS1_3gpuE6ELNS1_3repE0EEENS1_48merge_mergepath_partition_config_static_selectorELNS0_4arch9wavefront6targetE1EEEvSJ_.has_indirect_call, 0
	.section	.AMDGPU.csdata,"",@progbits
; Kernel info:
; codeLenInByte = 0
; TotalNumSgprs: 6
; NumVgprs: 0
; NumAgprs: 0
; TotalNumVgprs: 0
; ScratchSize: 0
; MemoryBound: 0
; FloatMode: 240
; IeeeMode: 1
; LDSByteSize: 0 bytes/workgroup (compile time only)
; SGPRBlocks: 0
; VGPRBlocks: 0
; NumSGPRsForWavesPerEU: 6
; NumVGPRsForWavesPerEU: 1
; AccumOffset: 4
; Occupancy: 8
; WaveLimiterHint : 0
; COMPUTE_PGM_RSRC2:SCRATCH_EN: 0
; COMPUTE_PGM_RSRC2:USER_SGPR: 2
; COMPUTE_PGM_RSRC2:TRAP_HANDLER: 0
; COMPUTE_PGM_RSRC2:TGID_X_EN: 1
; COMPUTE_PGM_RSRC2:TGID_Y_EN: 0
; COMPUTE_PGM_RSRC2:TGID_Z_EN: 0
; COMPUTE_PGM_RSRC2:TIDIG_COMP_CNT: 0
; COMPUTE_PGM_RSRC3_GFX90A:ACCUM_OFFSET: 0
; COMPUTE_PGM_RSRC3_GFX90A:TG_SPLIT: 0
	.section	.text._ZN7rocprim17ROCPRIM_400000_NS6detail17trampoline_kernelINS0_14default_configENS1_38merge_sort_block_merge_config_selectorIssEEZZNS1_27merge_sort_block_merge_implIS3_N6thrust23THRUST_200600_302600_NS6detail15normal_iteratorINS8_10device_ptrIsEEEESD_jNS1_19radix_merge_compareILb0ELb0EsNS0_19identity_decomposerEEEEE10hipError_tT0_T1_T2_jT3_P12ihipStream_tbPNSt15iterator_traitsISI_E10value_typeEPNSO_ISJ_E10value_typeEPSK_NS1_7vsmem_tEENKUlT_SI_SJ_SK_E_clIPsSD_S10_SD_EESH_SX_SI_SJ_SK_EUlSX_E_NS1_11comp_targetILNS1_3genE9ELNS1_11target_archE1100ELNS1_3gpuE3ELNS1_3repE0EEENS1_48merge_mergepath_partition_config_static_selectorELNS0_4arch9wavefront6targetE1EEEvSJ_,"axG",@progbits,_ZN7rocprim17ROCPRIM_400000_NS6detail17trampoline_kernelINS0_14default_configENS1_38merge_sort_block_merge_config_selectorIssEEZZNS1_27merge_sort_block_merge_implIS3_N6thrust23THRUST_200600_302600_NS6detail15normal_iteratorINS8_10device_ptrIsEEEESD_jNS1_19radix_merge_compareILb0ELb0EsNS0_19identity_decomposerEEEEE10hipError_tT0_T1_T2_jT3_P12ihipStream_tbPNSt15iterator_traitsISI_E10value_typeEPNSO_ISJ_E10value_typeEPSK_NS1_7vsmem_tEENKUlT_SI_SJ_SK_E_clIPsSD_S10_SD_EESH_SX_SI_SJ_SK_EUlSX_E_NS1_11comp_targetILNS1_3genE9ELNS1_11target_archE1100ELNS1_3gpuE3ELNS1_3repE0EEENS1_48merge_mergepath_partition_config_static_selectorELNS0_4arch9wavefront6targetE1EEEvSJ_,comdat
	.protected	_ZN7rocprim17ROCPRIM_400000_NS6detail17trampoline_kernelINS0_14default_configENS1_38merge_sort_block_merge_config_selectorIssEEZZNS1_27merge_sort_block_merge_implIS3_N6thrust23THRUST_200600_302600_NS6detail15normal_iteratorINS8_10device_ptrIsEEEESD_jNS1_19radix_merge_compareILb0ELb0EsNS0_19identity_decomposerEEEEE10hipError_tT0_T1_T2_jT3_P12ihipStream_tbPNSt15iterator_traitsISI_E10value_typeEPNSO_ISJ_E10value_typeEPSK_NS1_7vsmem_tEENKUlT_SI_SJ_SK_E_clIPsSD_S10_SD_EESH_SX_SI_SJ_SK_EUlSX_E_NS1_11comp_targetILNS1_3genE9ELNS1_11target_archE1100ELNS1_3gpuE3ELNS1_3repE0EEENS1_48merge_mergepath_partition_config_static_selectorELNS0_4arch9wavefront6targetE1EEEvSJ_ ; -- Begin function _ZN7rocprim17ROCPRIM_400000_NS6detail17trampoline_kernelINS0_14default_configENS1_38merge_sort_block_merge_config_selectorIssEEZZNS1_27merge_sort_block_merge_implIS3_N6thrust23THRUST_200600_302600_NS6detail15normal_iteratorINS8_10device_ptrIsEEEESD_jNS1_19radix_merge_compareILb0ELb0EsNS0_19identity_decomposerEEEEE10hipError_tT0_T1_T2_jT3_P12ihipStream_tbPNSt15iterator_traitsISI_E10value_typeEPNSO_ISJ_E10value_typeEPSK_NS1_7vsmem_tEENKUlT_SI_SJ_SK_E_clIPsSD_S10_SD_EESH_SX_SI_SJ_SK_EUlSX_E_NS1_11comp_targetILNS1_3genE9ELNS1_11target_archE1100ELNS1_3gpuE3ELNS1_3repE0EEENS1_48merge_mergepath_partition_config_static_selectorELNS0_4arch9wavefront6targetE1EEEvSJ_
	.globl	_ZN7rocprim17ROCPRIM_400000_NS6detail17trampoline_kernelINS0_14default_configENS1_38merge_sort_block_merge_config_selectorIssEEZZNS1_27merge_sort_block_merge_implIS3_N6thrust23THRUST_200600_302600_NS6detail15normal_iteratorINS8_10device_ptrIsEEEESD_jNS1_19radix_merge_compareILb0ELb0EsNS0_19identity_decomposerEEEEE10hipError_tT0_T1_T2_jT3_P12ihipStream_tbPNSt15iterator_traitsISI_E10value_typeEPNSO_ISJ_E10value_typeEPSK_NS1_7vsmem_tEENKUlT_SI_SJ_SK_E_clIPsSD_S10_SD_EESH_SX_SI_SJ_SK_EUlSX_E_NS1_11comp_targetILNS1_3genE9ELNS1_11target_archE1100ELNS1_3gpuE3ELNS1_3repE0EEENS1_48merge_mergepath_partition_config_static_selectorELNS0_4arch9wavefront6targetE1EEEvSJ_
	.p2align	8
	.type	_ZN7rocprim17ROCPRIM_400000_NS6detail17trampoline_kernelINS0_14default_configENS1_38merge_sort_block_merge_config_selectorIssEEZZNS1_27merge_sort_block_merge_implIS3_N6thrust23THRUST_200600_302600_NS6detail15normal_iteratorINS8_10device_ptrIsEEEESD_jNS1_19radix_merge_compareILb0ELb0EsNS0_19identity_decomposerEEEEE10hipError_tT0_T1_T2_jT3_P12ihipStream_tbPNSt15iterator_traitsISI_E10value_typeEPNSO_ISJ_E10value_typeEPSK_NS1_7vsmem_tEENKUlT_SI_SJ_SK_E_clIPsSD_S10_SD_EESH_SX_SI_SJ_SK_EUlSX_E_NS1_11comp_targetILNS1_3genE9ELNS1_11target_archE1100ELNS1_3gpuE3ELNS1_3repE0EEENS1_48merge_mergepath_partition_config_static_selectorELNS0_4arch9wavefront6targetE1EEEvSJ_,@function
_ZN7rocprim17ROCPRIM_400000_NS6detail17trampoline_kernelINS0_14default_configENS1_38merge_sort_block_merge_config_selectorIssEEZZNS1_27merge_sort_block_merge_implIS3_N6thrust23THRUST_200600_302600_NS6detail15normal_iteratorINS8_10device_ptrIsEEEESD_jNS1_19radix_merge_compareILb0ELb0EsNS0_19identity_decomposerEEEEE10hipError_tT0_T1_T2_jT3_P12ihipStream_tbPNSt15iterator_traitsISI_E10value_typeEPNSO_ISJ_E10value_typeEPSK_NS1_7vsmem_tEENKUlT_SI_SJ_SK_E_clIPsSD_S10_SD_EESH_SX_SI_SJ_SK_EUlSX_E_NS1_11comp_targetILNS1_3genE9ELNS1_11target_archE1100ELNS1_3gpuE3ELNS1_3repE0EEENS1_48merge_mergepath_partition_config_static_selectorELNS0_4arch9wavefront6targetE1EEEvSJ_: ; @_ZN7rocprim17ROCPRIM_400000_NS6detail17trampoline_kernelINS0_14default_configENS1_38merge_sort_block_merge_config_selectorIssEEZZNS1_27merge_sort_block_merge_implIS3_N6thrust23THRUST_200600_302600_NS6detail15normal_iteratorINS8_10device_ptrIsEEEESD_jNS1_19radix_merge_compareILb0ELb0EsNS0_19identity_decomposerEEEEE10hipError_tT0_T1_T2_jT3_P12ihipStream_tbPNSt15iterator_traitsISI_E10value_typeEPNSO_ISJ_E10value_typeEPSK_NS1_7vsmem_tEENKUlT_SI_SJ_SK_E_clIPsSD_S10_SD_EESH_SX_SI_SJ_SK_EUlSX_E_NS1_11comp_targetILNS1_3genE9ELNS1_11target_archE1100ELNS1_3gpuE3ELNS1_3repE0EEENS1_48merge_mergepath_partition_config_static_selectorELNS0_4arch9wavefront6targetE1EEEvSJ_
; %bb.0:
	.section	.rodata,"a",@progbits
	.p2align	6, 0x0
	.amdhsa_kernel _ZN7rocprim17ROCPRIM_400000_NS6detail17trampoline_kernelINS0_14default_configENS1_38merge_sort_block_merge_config_selectorIssEEZZNS1_27merge_sort_block_merge_implIS3_N6thrust23THRUST_200600_302600_NS6detail15normal_iteratorINS8_10device_ptrIsEEEESD_jNS1_19radix_merge_compareILb0ELb0EsNS0_19identity_decomposerEEEEE10hipError_tT0_T1_T2_jT3_P12ihipStream_tbPNSt15iterator_traitsISI_E10value_typeEPNSO_ISJ_E10value_typeEPSK_NS1_7vsmem_tEENKUlT_SI_SJ_SK_E_clIPsSD_S10_SD_EESH_SX_SI_SJ_SK_EUlSX_E_NS1_11comp_targetILNS1_3genE9ELNS1_11target_archE1100ELNS1_3gpuE3ELNS1_3repE0EEENS1_48merge_mergepath_partition_config_static_selectorELNS0_4arch9wavefront6targetE1EEEvSJ_
		.amdhsa_group_segment_fixed_size 0
		.amdhsa_private_segment_fixed_size 0
		.amdhsa_kernarg_size 40
		.amdhsa_user_sgpr_count 2
		.amdhsa_user_sgpr_dispatch_ptr 0
		.amdhsa_user_sgpr_queue_ptr 0
		.amdhsa_user_sgpr_kernarg_segment_ptr 1
		.amdhsa_user_sgpr_dispatch_id 0
		.amdhsa_user_sgpr_kernarg_preload_length 0
		.amdhsa_user_sgpr_kernarg_preload_offset 0
		.amdhsa_user_sgpr_private_segment_size 0
		.amdhsa_uses_dynamic_stack 0
		.amdhsa_enable_private_segment 0
		.amdhsa_system_sgpr_workgroup_id_x 1
		.amdhsa_system_sgpr_workgroup_id_y 0
		.amdhsa_system_sgpr_workgroup_id_z 0
		.amdhsa_system_sgpr_workgroup_info 0
		.amdhsa_system_vgpr_workitem_id 0
		.amdhsa_next_free_vgpr 1
		.amdhsa_next_free_sgpr 0
		.amdhsa_accum_offset 4
		.amdhsa_reserve_vcc 0
		.amdhsa_float_round_mode_32 0
		.amdhsa_float_round_mode_16_64 0
		.amdhsa_float_denorm_mode_32 3
		.amdhsa_float_denorm_mode_16_64 3
		.amdhsa_dx10_clamp 1
		.amdhsa_ieee_mode 1
		.amdhsa_fp16_overflow 0
		.amdhsa_tg_split 0
		.amdhsa_exception_fp_ieee_invalid_op 0
		.amdhsa_exception_fp_denorm_src 0
		.amdhsa_exception_fp_ieee_div_zero 0
		.amdhsa_exception_fp_ieee_overflow 0
		.amdhsa_exception_fp_ieee_underflow 0
		.amdhsa_exception_fp_ieee_inexact 0
		.amdhsa_exception_int_div_zero 0
	.end_amdhsa_kernel
	.section	.text._ZN7rocprim17ROCPRIM_400000_NS6detail17trampoline_kernelINS0_14default_configENS1_38merge_sort_block_merge_config_selectorIssEEZZNS1_27merge_sort_block_merge_implIS3_N6thrust23THRUST_200600_302600_NS6detail15normal_iteratorINS8_10device_ptrIsEEEESD_jNS1_19radix_merge_compareILb0ELb0EsNS0_19identity_decomposerEEEEE10hipError_tT0_T1_T2_jT3_P12ihipStream_tbPNSt15iterator_traitsISI_E10value_typeEPNSO_ISJ_E10value_typeEPSK_NS1_7vsmem_tEENKUlT_SI_SJ_SK_E_clIPsSD_S10_SD_EESH_SX_SI_SJ_SK_EUlSX_E_NS1_11comp_targetILNS1_3genE9ELNS1_11target_archE1100ELNS1_3gpuE3ELNS1_3repE0EEENS1_48merge_mergepath_partition_config_static_selectorELNS0_4arch9wavefront6targetE1EEEvSJ_,"axG",@progbits,_ZN7rocprim17ROCPRIM_400000_NS6detail17trampoline_kernelINS0_14default_configENS1_38merge_sort_block_merge_config_selectorIssEEZZNS1_27merge_sort_block_merge_implIS3_N6thrust23THRUST_200600_302600_NS6detail15normal_iteratorINS8_10device_ptrIsEEEESD_jNS1_19radix_merge_compareILb0ELb0EsNS0_19identity_decomposerEEEEE10hipError_tT0_T1_T2_jT3_P12ihipStream_tbPNSt15iterator_traitsISI_E10value_typeEPNSO_ISJ_E10value_typeEPSK_NS1_7vsmem_tEENKUlT_SI_SJ_SK_E_clIPsSD_S10_SD_EESH_SX_SI_SJ_SK_EUlSX_E_NS1_11comp_targetILNS1_3genE9ELNS1_11target_archE1100ELNS1_3gpuE3ELNS1_3repE0EEENS1_48merge_mergepath_partition_config_static_selectorELNS0_4arch9wavefront6targetE1EEEvSJ_,comdat
.Lfunc_end1516:
	.size	_ZN7rocprim17ROCPRIM_400000_NS6detail17trampoline_kernelINS0_14default_configENS1_38merge_sort_block_merge_config_selectorIssEEZZNS1_27merge_sort_block_merge_implIS3_N6thrust23THRUST_200600_302600_NS6detail15normal_iteratorINS8_10device_ptrIsEEEESD_jNS1_19radix_merge_compareILb0ELb0EsNS0_19identity_decomposerEEEEE10hipError_tT0_T1_T2_jT3_P12ihipStream_tbPNSt15iterator_traitsISI_E10value_typeEPNSO_ISJ_E10value_typeEPSK_NS1_7vsmem_tEENKUlT_SI_SJ_SK_E_clIPsSD_S10_SD_EESH_SX_SI_SJ_SK_EUlSX_E_NS1_11comp_targetILNS1_3genE9ELNS1_11target_archE1100ELNS1_3gpuE3ELNS1_3repE0EEENS1_48merge_mergepath_partition_config_static_selectorELNS0_4arch9wavefront6targetE1EEEvSJ_, .Lfunc_end1516-_ZN7rocprim17ROCPRIM_400000_NS6detail17trampoline_kernelINS0_14default_configENS1_38merge_sort_block_merge_config_selectorIssEEZZNS1_27merge_sort_block_merge_implIS3_N6thrust23THRUST_200600_302600_NS6detail15normal_iteratorINS8_10device_ptrIsEEEESD_jNS1_19radix_merge_compareILb0ELb0EsNS0_19identity_decomposerEEEEE10hipError_tT0_T1_T2_jT3_P12ihipStream_tbPNSt15iterator_traitsISI_E10value_typeEPNSO_ISJ_E10value_typeEPSK_NS1_7vsmem_tEENKUlT_SI_SJ_SK_E_clIPsSD_S10_SD_EESH_SX_SI_SJ_SK_EUlSX_E_NS1_11comp_targetILNS1_3genE9ELNS1_11target_archE1100ELNS1_3gpuE3ELNS1_3repE0EEENS1_48merge_mergepath_partition_config_static_selectorELNS0_4arch9wavefront6targetE1EEEvSJ_
                                        ; -- End function
	.set _ZN7rocprim17ROCPRIM_400000_NS6detail17trampoline_kernelINS0_14default_configENS1_38merge_sort_block_merge_config_selectorIssEEZZNS1_27merge_sort_block_merge_implIS3_N6thrust23THRUST_200600_302600_NS6detail15normal_iteratorINS8_10device_ptrIsEEEESD_jNS1_19radix_merge_compareILb0ELb0EsNS0_19identity_decomposerEEEEE10hipError_tT0_T1_T2_jT3_P12ihipStream_tbPNSt15iterator_traitsISI_E10value_typeEPNSO_ISJ_E10value_typeEPSK_NS1_7vsmem_tEENKUlT_SI_SJ_SK_E_clIPsSD_S10_SD_EESH_SX_SI_SJ_SK_EUlSX_E_NS1_11comp_targetILNS1_3genE9ELNS1_11target_archE1100ELNS1_3gpuE3ELNS1_3repE0EEENS1_48merge_mergepath_partition_config_static_selectorELNS0_4arch9wavefront6targetE1EEEvSJ_.num_vgpr, 0
	.set _ZN7rocprim17ROCPRIM_400000_NS6detail17trampoline_kernelINS0_14default_configENS1_38merge_sort_block_merge_config_selectorIssEEZZNS1_27merge_sort_block_merge_implIS3_N6thrust23THRUST_200600_302600_NS6detail15normal_iteratorINS8_10device_ptrIsEEEESD_jNS1_19radix_merge_compareILb0ELb0EsNS0_19identity_decomposerEEEEE10hipError_tT0_T1_T2_jT3_P12ihipStream_tbPNSt15iterator_traitsISI_E10value_typeEPNSO_ISJ_E10value_typeEPSK_NS1_7vsmem_tEENKUlT_SI_SJ_SK_E_clIPsSD_S10_SD_EESH_SX_SI_SJ_SK_EUlSX_E_NS1_11comp_targetILNS1_3genE9ELNS1_11target_archE1100ELNS1_3gpuE3ELNS1_3repE0EEENS1_48merge_mergepath_partition_config_static_selectorELNS0_4arch9wavefront6targetE1EEEvSJ_.num_agpr, 0
	.set _ZN7rocprim17ROCPRIM_400000_NS6detail17trampoline_kernelINS0_14default_configENS1_38merge_sort_block_merge_config_selectorIssEEZZNS1_27merge_sort_block_merge_implIS3_N6thrust23THRUST_200600_302600_NS6detail15normal_iteratorINS8_10device_ptrIsEEEESD_jNS1_19radix_merge_compareILb0ELb0EsNS0_19identity_decomposerEEEEE10hipError_tT0_T1_T2_jT3_P12ihipStream_tbPNSt15iterator_traitsISI_E10value_typeEPNSO_ISJ_E10value_typeEPSK_NS1_7vsmem_tEENKUlT_SI_SJ_SK_E_clIPsSD_S10_SD_EESH_SX_SI_SJ_SK_EUlSX_E_NS1_11comp_targetILNS1_3genE9ELNS1_11target_archE1100ELNS1_3gpuE3ELNS1_3repE0EEENS1_48merge_mergepath_partition_config_static_selectorELNS0_4arch9wavefront6targetE1EEEvSJ_.numbered_sgpr, 0
	.set _ZN7rocprim17ROCPRIM_400000_NS6detail17trampoline_kernelINS0_14default_configENS1_38merge_sort_block_merge_config_selectorIssEEZZNS1_27merge_sort_block_merge_implIS3_N6thrust23THRUST_200600_302600_NS6detail15normal_iteratorINS8_10device_ptrIsEEEESD_jNS1_19radix_merge_compareILb0ELb0EsNS0_19identity_decomposerEEEEE10hipError_tT0_T1_T2_jT3_P12ihipStream_tbPNSt15iterator_traitsISI_E10value_typeEPNSO_ISJ_E10value_typeEPSK_NS1_7vsmem_tEENKUlT_SI_SJ_SK_E_clIPsSD_S10_SD_EESH_SX_SI_SJ_SK_EUlSX_E_NS1_11comp_targetILNS1_3genE9ELNS1_11target_archE1100ELNS1_3gpuE3ELNS1_3repE0EEENS1_48merge_mergepath_partition_config_static_selectorELNS0_4arch9wavefront6targetE1EEEvSJ_.num_named_barrier, 0
	.set _ZN7rocprim17ROCPRIM_400000_NS6detail17trampoline_kernelINS0_14default_configENS1_38merge_sort_block_merge_config_selectorIssEEZZNS1_27merge_sort_block_merge_implIS3_N6thrust23THRUST_200600_302600_NS6detail15normal_iteratorINS8_10device_ptrIsEEEESD_jNS1_19radix_merge_compareILb0ELb0EsNS0_19identity_decomposerEEEEE10hipError_tT0_T1_T2_jT3_P12ihipStream_tbPNSt15iterator_traitsISI_E10value_typeEPNSO_ISJ_E10value_typeEPSK_NS1_7vsmem_tEENKUlT_SI_SJ_SK_E_clIPsSD_S10_SD_EESH_SX_SI_SJ_SK_EUlSX_E_NS1_11comp_targetILNS1_3genE9ELNS1_11target_archE1100ELNS1_3gpuE3ELNS1_3repE0EEENS1_48merge_mergepath_partition_config_static_selectorELNS0_4arch9wavefront6targetE1EEEvSJ_.private_seg_size, 0
	.set _ZN7rocprim17ROCPRIM_400000_NS6detail17trampoline_kernelINS0_14default_configENS1_38merge_sort_block_merge_config_selectorIssEEZZNS1_27merge_sort_block_merge_implIS3_N6thrust23THRUST_200600_302600_NS6detail15normal_iteratorINS8_10device_ptrIsEEEESD_jNS1_19radix_merge_compareILb0ELb0EsNS0_19identity_decomposerEEEEE10hipError_tT0_T1_T2_jT3_P12ihipStream_tbPNSt15iterator_traitsISI_E10value_typeEPNSO_ISJ_E10value_typeEPSK_NS1_7vsmem_tEENKUlT_SI_SJ_SK_E_clIPsSD_S10_SD_EESH_SX_SI_SJ_SK_EUlSX_E_NS1_11comp_targetILNS1_3genE9ELNS1_11target_archE1100ELNS1_3gpuE3ELNS1_3repE0EEENS1_48merge_mergepath_partition_config_static_selectorELNS0_4arch9wavefront6targetE1EEEvSJ_.uses_vcc, 0
	.set _ZN7rocprim17ROCPRIM_400000_NS6detail17trampoline_kernelINS0_14default_configENS1_38merge_sort_block_merge_config_selectorIssEEZZNS1_27merge_sort_block_merge_implIS3_N6thrust23THRUST_200600_302600_NS6detail15normal_iteratorINS8_10device_ptrIsEEEESD_jNS1_19radix_merge_compareILb0ELb0EsNS0_19identity_decomposerEEEEE10hipError_tT0_T1_T2_jT3_P12ihipStream_tbPNSt15iterator_traitsISI_E10value_typeEPNSO_ISJ_E10value_typeEPSK_NS1_7vsmem_tEENKUlT_SI_SJ_SK_E_clIPsSD_S10_SD_EESH_SX_SI_SJ_SK_EUlSX_E_NS1_11comp_targetILNS1_3genE9ELNS1_11target_archE1100ELNS1_3gpuE3ELNS1_3repE0EEENS1_48merge_mergepath_partition_config_static_selectorELNS0_4arch9wavefront6targetE1EEEvSJ_.uses_flat_scratch, 0
	.set _ZN7rocprim17ROCPRIM_400000_NS6detail17trampoline_kernelINS0_14default_configENS1_38merge_sort_block_merge_config_selectorIssEEZZNS1_27merge_sort_block_merge_implIS3_N6thrust23THRUST_200600_302600_NS6detail15normal_iteratorINS8_10device_ptrIsEEEESD_jNS1_19radix_merge_compareILb0ELb0EsNS0_19identity_decomposerEEEEE10hipError_tT0_T1_T2_jT3_P12ihipStream_tbPNSt15iterator_traitsISI_E10value_typeEPNSO_ISJ_E10value_typeEPSK_NS1_7vsmem_tEENKUlT_SI_SJ_SK_E_clIPsSD_S10_SD_EESH_SX_SI_SJ_SK_EUlSX_E_NS1_11comp_targetILNS1_3genE9ELNS1_11target_archE1100ELNS1_3gpuE3ELNS1_3repE0EEENS1_48merge_mergepath_partition_config_static_selectorELNS0_4arch9wavefront6targetE1EEEvSJ_.has_dyn_sized_stack, 0
	.set _ZN7rocprim17ROCPRIM_400000_NS6detail17trampoline_kernelINS0_14default_configENS1_38merge_sort_block_merge_config_selectorIssEEZZNS1_27merge_sort_block_merge_implIS3_N6thrust23THRUST_200600_302600_NS6detail15normal_iteratorINS8_10device_ptrIsEEEESD_jNS1_19radix_merge_compareILb0ELb0EsNS0_19identity_decomposerEEEEE10hipError_tT0_T1_T2_jT3_P12ihipStream_tbPNSt15iterator_traitsISI_E10value_typeEPNSO_ISJ_E10value_typeEPSK_NS1_7vsmem_tEENKUlT_SI_SJ_SK_E_clIPsSD_S10_SD_EESH_SX_SI_SJ_SK_EUlSX_E_NS1_11comp_targetILNS1_3genE9ELNS1_11target_archE1100ELNS1_3gpuE3ELNS1_3repE0EEENS1_48merge_mergepath_partition_config_static_selectorELNS0_4arch9wavefront6targetE1EEEvSJ_.has_recursion, 0
	.set _ZN7rocprim17ROCPRIM_400000_NS6detail17trampoline_kernelINS0_14default_configENS1_38merge_sort_block_merge_config_selectorIssEEZZNS1_27merge_sort_block_merge_implIS3_N6thrust23THRUST_200600_302600_NS6detail15normal_iteratorINS8_10device_ptrIsEEEESD_jNS1_19radix_merge_compareILb0ELb0EsNS0_19identity_decomposerEEEEE10hipError_tT0_T1_T2_jT3_P12ihipStream_tbPNSt15iterator_traitsISI_E10value_typeEPNSO_ISJ_E10value_typeEPSK_NS1_7vsmem_tEENKUlT_SI_SJ_SK_E_clIPsSD_S10_SD_EESH_SX_SI_SJ_SK_EUlSX_E_NS1_11comp_targetILNS1_3genE9ELNS1_11target_archE1100ELNS1_3gpuE3ELNS1_3repE0EEENS1_48merge_mergepath_partition_config_static_selectorELNS0_4arch9wavefront6targetE1EEEvSJ_.has_indirect_call, 0
	.section	.AMDGPU.csdata,"",@progbits
; Kernel info:
; codeLenInByte = 0
; TotalNumSgprs: 6
; NumVgprs: 0
; NumAgprs: 0
; TotalNumVgprs: 0
; ScratchSize: 0
; MemoryBound: 0
; FloatMode: 240
; IeeeMode: 1
; LDSByteSize: 0 bytes/workgroup (compile time only)
; SGPRBlocks: 0
; VGPRBlocks: 0
; NumSGPRsForWavesPerEU: 6
; NumVGPRsForWavesPerEU: 1
; AccumOffset: 4
; Occupancy: 8
; WaveLimiterHint : 0
; COMPUTE_PGM_RSRC2:SCRATCH_EN: 0
; COMPUTE_PGM_RSRC2:USER_SGPR: 2
; COMPUTE_PGM_RSRC2:TRAP_HANDLER: 0
; COMPUTE_PGM_RSRC2:TGID_X_EN: 1
; COMPUTE_PGM_RSRC2:TGID_Y_EN: 0
; COMPUTE_PGM_RSRC2:TGID_Z_EN: 0
; COMPUTE_PGM_RSRC2:TIDIG_COMP_CNT: 0
; COMPUTE_PGM_RSRC3_GFX90A:ACCUM_OFFSET: 0
; COMPUTE_PGM_RSRC3_GFX90A:TG_SPLIT: 0
	.section	.text._ZN7rocprim17ROCPRIM_400000_NS6detail17trampoline_kernelINS0_14default_configENS1_38merge_sort_block_merge_config_selectorIssEEZZNS1_27merge_sort_block_merge_implIS3_N6thrust23THRUST_200600_302600_NS6detail15normal_iteratorINS8_10device_ptrIsEEEESD_jNS1_19radix_merge_compareILb0ELb0EsNS0_19identity_decomposerEEEEE10hipError_tT0_T1_T2_jT3_P12ihipStream_tbPNSt15iterator_traitsISI_E10value_typeEPNSO_ISJ_E10value_typeEPSK_NS1_7vsmem_tEENKUlT_SI_SJ_SK_E_clIPsSD_S10_SD_EESH_SX_SI_SJ_SK_EUlSX_E_NS1_11comp_targetILNS1_3genE8ELNS1_11target_archE1030ELNS1_3gpuE2ELNS1_3repE0EEENS1_48merge_mergepath_partition_config_static_selectorELNS0_4arch9wavefront6targetE1EEEvSJ_,"axG",@progbits,_ZN7rocprim17ROCPRIM_400000_NS6detail17trampoline_kernelINS0_14default_configENS1_38merge_sort_block_merge_config_selectorIssEEZZNS1_27merge_sort_block_merge_implIS3_N6thrust23THRUST_200600_302600_NS6detail15normal_iteratorINS8_10device_ptrIsEEEESD_jNS1_19radix_merge_compareILb0ELb0EsNS0_19identity_decomposerEEEEE10hipError_tT0_T1_T2_jT3_P12ihipStream_tbPNSt15iterator_traitsISI_E10value_typeEPNSO_ISJ_E10value_typeEPSK_NS1_7vsmem_tEENKUlT_SI_SJ_SK_E_clIPsSD_S10_SD_EESH_SX_SI_SJ_SK_EUlSX_E_NS1_11comp_targetILNS1_3genE8ELNS1_11target_archE1030ELNS1_3gpuE2ELNS1_3repE0EEENS1_48merge_mergepath_partition_config_static_selectorELNS0_4arch9wavefront6targetE1EEEvSJ_,comdat
	.protected	_ZN7rocprim17ROCPRIM_400000_NS6detail17trampoline_kernelINS0_14default_configENS1_38merge_sort_block_merge_config_selectorIssEEZZNS1_27merge_sort_block_merge_implIS3_N6thrust23THRUST_200600_302600_NS6detail15normal_iteratorINS8_10device_ptrIsEEEESD_jNS1_19radix_merge_compareILb0ELb0EsNS0_19identity_decomposerEEEEE10hipError_tT0_T1_T2_jT3_P12ihipStream_tbPNSt15iterator_traitsISI_E10value_typeEPNSO_ISJ_E10value_typeEPSK_NS1_7vsmem_tEENKUlT_SI_SJ_SK_E_clIPsSD_S10_SD_EESH_SX_SI_SJ_SK_EUlSX_E_NS1_11comp_targetILNS1_3genE8ELNS1_11target_archE1030ELNS1_3gpuE2ELNS1_3repE0EEENS1_48merge_mergepath_partition_config_static_selectorELNS0_4arch9wavefront6targetE1EEEvSJ_ ; -- Begin function _ZN7rocprim17ROCPRIM_400000_NS6detail17trampoline_kernelINS0_14default_configENS1_38merge_sort_block_merge_config_selectorIssEEZZNS1_27merge_sort_block_merge_implIS3_N6thrust23THRUST_200600_302600_NS6detail15normal_iteratorINS8_10device_ptrIsEEEESD_jNS1_19radix_merge_compareILb0ELb0EsNS0_19identity_decomposerEEEEE10hipError_tT0_T1_T2_jT3_P12ihipStream_tbPNSt15iterator_traitsISI_E10value_typeEPNSO_ISJ_E10value_typeEPSK_NS1_7vsmem_tEENKUlT_SI_SJ_SK_E_clIPsSD_S10_SD_EESH_SX_SI_SJ_SK_EUlSX_E_NS1_11comp_targetILNS1_3genE8ELNS1_11target_archE1030ELNS1_3gpuE2ELNS1_3repE0EEENS1_48merge_mergepath_partition_config_static_selectorELNS0_4arch9wavefront6targetE1EEEvSJ_
	.globl	_ZN7rocprim17ROCPRIM_400000_NS6detail17trampoline_kernelINS0_14default_configENS1_38merge_sort_block_merge_config_selectorIssEEZZNS1_27merge_sort_block_merge_implIS3_N6thrust23THRUST_200600_302600_NS6detail15normal_iteratorINS8_10device_ptrIsEEEESD_jNS1_19radix_merge_compareILb0ELb0EsNS0_19identity_decomposerEEEEE10hipError_tT0_T1_T2_jT3_P12ihipStream_tbPNSt15iterator_traitsISI_E10value_typeEPNSO_ISJ_E10value_typeEPSK_NS1_7vsmem_tEENKUlT_SI_SJ_SK_E_clIPsSD_S10_SD_EESH_SX_SI_SJ_SK_EUlSX_E_NS1_11comp_targetILNS1_3genE8ELNS1_11target_archE1030ELNS1_3gpuE2ELNS1_3repE0EEENS1_48merge_mergepath_partition_config_static_selectorELNS0_4arch9wavefront6targetE1EEEvSJ_
	.p2align	8
	.type	_ZN7rocprim17ROCPRIM_400000_NS6detail17trampoline_kernelINS0_14default_configENS1_38merge_sort_block_merge_config_selectorIssEEZZNS1_27merge_sort_block_merge_implIS3_N6thrust23THRUST_200600_302600_NS6detail15normal_iteratorINS8_10device_ptrIsEEEESD_jNS1_19radix_merge_compareILb0ELb0EsNS0_19identity_decomposerEEEEE10hipError_tT0_T1_T2_jT3_P12ihipStream_tbPNSt15iterator_traitsISI_E10value_typeEPNSO_ISJ_E10value_typeEPSK_NS1_7vsmem_tEENKUlT_SI_SJ_SK_E_clIPsSD_S10_SD_EESH_SX_SI_SJ_SK_EUlSX_E_NS1_11comp_targetILNS1_3genE8ELNS1_11target_archE1030ELNS1_3gpuE2ELNS1_3repE0EEENS1_48merge_mergepath_partition_config_static_selectorELNS0_4arch9wavefront6targetE1EEEvSJ_,@function
_ZN7rocprim17ROCPRIM_400000_NS6detail17trampoline_kernelINS0_14default_configENS1_38merge_sort_block_merge_config_selectorIssEEZZNS1_27merge_sort_block_merge_implIS3_N6thrust23THRUST_200600_302600_NS6detail15normal_iteratorINS8_10device_ptrIsEEEESD_jNS1_19radix_merge_compareILb0ELb0EsNS0_19identity_decomposerEEEEE10hipError_tT0_T1_T2_jT3_P12ihipStream_tbPNSt15iterator_traitsISI_E10value_typeEPNSO_ISJ_E10value_typeEPSK_NS1_7vsmem_tEENKUlT_SI_SJ_SK_E_clIPsSD_S10_SD_EESH_SX_SI_SJ_SK_EUlSX_E_NS1_11comp_targetILNS1_3genE8ELNS1_11target_archE1030ELNS1_3gpuE2ELNS1_3repE0EEENS1_48merge_mergepath_partition_config_static_selectorELNS0_4arch9wavefront6targetE1EEEvSJ_: ; @_ZN7rocprim17ROCPRIM_400000_NS6detail17trampoline_kernelINS0_14default_configENS1_38merge_sort_block_merge_config_selectorIssEEZZNS1_27merge_sort_block_merge_implIS3_N6thrust23THRUST_200600_302600_NS6detail15normal_iteratorINS8_10device_ptrIsEEEESD_jNS1_19radix_merge_compareILb0ELb0EsNS0_19identity_decomposerEEEEE10hipError_tT0_T1_T2_jT3_P12ihipStream_tbPNSt15iterator_traitsISI_E10value_typeEPNSO_ISJ_E10value_typeEPSK_NS1_7vsmem_tEENKUlT_SI_SJ_SK_E_clIPsSD_S10_SD_EESH_SX_SI_SJ_SK_EUlSX_E_NS1_11comp_targetILNS1_3genE8ELNS1_11target_archE1030ELNS1_3gpuE2ELNS1_3repE0EEENS1_48merge_mergepath_partition_config_static_selectorELNS0_4arch9wavefront6targetE1EEEvSJ_
; %bb.0:
	.section	.rodata,"a",@progbits
	.p2align	6, 0x0
	.amdhsa_kernel _ZN7rocprim17ROCPRIM_400000_NS6detail17trampoline_kernelINS0_14default_configENS1_38merge_sort_block_merge_config_selectorIssEEZZNS1_27merge_sort_block_merge_implIS3_N6thrust23THRUST_200600_302600_NS6detail15normal_iteratorINS8_10device_ptrIsEEEESD_jNS1_19radix_merge_compareILb0ELb0EsNS0_19identity_decomposerEEEEE10hipError_tT0_T1_T2_jT3_P12ihipStream_tbPNSt15iterator_traitsISI_E10value_typeEPNSO_ISJ_E10value_typeEPSK_NS1_7vsmem_tEENKUlT_SI_SJ_SK_E_clIPsSD_S10_SD_EESH_SX_SI_SJ_SK_EUlSX_E_NS1_11comp_targetILNS1_3genE8ELNS1_11target_archE1030ELNS1_3gpuE2ELNS1_3repE0EEENS1_48merge_mergepath_partition_config_static_selectorELNS0_4arch9wavefront6targetE1EEEvSJ_
		.amdhsa_group_segment_fixed_size 0
		.amdhsa_private_segment_fixed_size 0
		.amdhsa_kernarg_size 40
		.amdhsa_user_sgpr_count 2
		.amdhsa_user_sgpr_dispatch_ptr 0
		.amdhsa_user_sgpr_queue_ptr 0
		.amdhsa_user_sgpr_kernarg_segment_ptr 1
		.amdhsa_user_sgpr_dispatch_id 0
		.amdhsa_user_sgpr_kernarg_preload_length 0
		.amdhsa_user_sgpr_kernarg_preload_offset 0
		.amdhsa_user_sgpr_private_segment_size 0
		.amdhsa_uses_dynamic_stack 0
		.amdhsa_enable_private_segment 0
		.amdhsa_system_sgpr_workgroup_id_x 1
		.amdhsa_system_sgpr_workgroup_id_y 0
		.amdhsa_system_sgpr_workgroup_id_z 0
		.amdhsa_system_sgpr_workgroup_info 0
		.amdhsa_system_vgpr_workitem_id 0
		.amdhsa_next_free_vgpr 1
		.amdhsa_next_free_sgpr 0
		.amdhsa_accum_offset 4
		.amdhsa_reserve_vcc 0
		.amdhsa_float_round_mode_32 0
		.amdhsa_float_round_mode_16_64 0
		.amdhsa_float_denorm_mode_32 3
		.amdhsa_float_denorm_mode_16_64 3
		.amdhsa_dx10_clamp 1
		.amdhsa_ieee_mode 1
		.amdhsa_fp16_overflow 0
		.amdhsa_tg_split 0
		.amdhsa_exception_fp_ieee_invalid_op 0
		.amdhsa_exception_fp_denorm_src 0
		.amdhsa_exception_fp_ieee_div_zero 0
		.amdhsa_exception_fp_ieee_overflow 0
		.amdhsa_exception_fp_ieee_underflow 0
		.amdhsa_exception_fp_ieee_inexact 0
		.amdhsa_exception_int_div_zero 0
	.end_amdhsa_kernel
	.section	.text._ZN7rocprim17ROCPRIM_400000_NS6detail17trampoline_kernelINS0_14default_configENS1_38merge_sort_block_merge_config_selectorIssEEZZNS1_27merge_sort_block_merge_implIS3_N6thrust23THRUST_200600_302600_NS6detail15normal_iteratorINS8_10device_ptrIsEEEESD_jNS1_19radix_merge_compareILb0ELb0EsNS0_19identity_decomposerEEEEE10hipError_tT0_T1_T2_jT3_P12ihipStream_tbPNSt15iterator_traitsISI_E10value_typeEPNSO_ISJ_E10value_typeEPSK_NS1_7vsmem_tEENKUlT_SI_SJ_SK_E_clIPsSD_S10_SD_EESH_SX_SI_SJ_SK_EUlSX_E_NS1_11comp_targetILNS1_3genE8ELNS1_11target_archE1030ELNS1_3gpuE2ELNS1_3repE0EEENS1_48merge_mergepath_partition_config_static_selectorELNS0_4arch9wavefront6targetE1EEEvSJ_,"axG",@progbits,_ZN7rocprim17ROCPRIM_400000_NS6detail17trampoline_kernelINS0_14default_configENS1_38merge_sort_block_merge_config_selectorIssEEZZNS1_27merge_sort_block_merge_implIS3_N6thrust23THRUST_200600_302600_NS6detail15normal_iteratorINS8_10device_ptrIsEEEESD_jNS1_19radix_merge_compareILb0ELb0EsNS0_19identity_decomposerEEEEE10hipError_tT0_T1_T2_jT3_P12ihipStream_tbPNSt15iterator_traitsISI_E10value_typeEPNSO_ISJ_E10value_typeEPSK_NS1_7vsmem_tEENKUlT_SI_SJ_SK_E_clIPsSD_S10_SD_EESH_SX_SI_SJ_SK_EUlSX_E_NS1_11comp_targetILNS1_3genE8ELNS1_11target_archE1030ELNS1_3gpuE2ELNS1_3repE0EEENS1_48merge_mergepath_partition_config_static_selectorELNS0_4arch9wavefront6targetE1EEEvSJ_,comdat
.Lfunc_end1517:
	.size	_ZN7rocprim17ROCPRIM_400000_NS6detail17trampoline_kernelINS0_14default_configENS1_38merge_sort_block_merge_config_selectorIssEEZZNS1_27merge_sort_block_merge_implIS3_N6thrust23THRUST_200600_302600_NS6detail15normal_iteratorINS8_10device_ptrIsEEEESD_jNS1_19radix_merge_compareILb0ELb0EsNS0_19identity_decomposerEEEEE10hipError_tT0_T1_T2_jT3_P12ihipStream_tbPNSt15iterator_traitsISI_E10value_typeEPNSO_ISJ_E10value_typeEPSK_NS1_7vsmem_tEENKUlT_SI_SJ_SK_E_clIPsSD_S10_SD_EESH_SX_SI_SJ_SK_EUlSX_E_NS1_11comp_targetILNS1_3genE8ELNS1_11target_archE1030ELNS1_3gpuE2ELNS1_3repE0EEENS1_48merge_mergepath_partition_config_static_selectorELNS0_4arch9wavefront6targetE1EEEvSJ_, .Lfunc_end1517-_ZN7rocprim17ROCPRIM_400000_NS6detail17trampoline_kernelINS0_14default_configENS1_38merge_sort_block_merge_config_selectorIssEEZZNS1_27merge_sort_block_merge_implIS3_N6thrust23THRUST_200600_302600_NS6detail15normal_iteratorINS8_10device_ptrIsEEEESD_jNS1_19radix_merge_compareILb0ELb0EsNS0_19identity_decomposerEEEEE10hipError_tT0_T1_T2_jT3_P12ihipStream_tbPNSt15iterator_traitsISI_E10value_typeEPNSO_ISJ_E10value_typeEPSK_NS1_7vsmem_tEENKUlT_SI_SJ_SK_E_clIPsSD_S10_SD_EESH_SX_SI_SJ_SK_EUlSX_E_NS1_11comp_targetILNS1_3genE8ELNS1_11target_archE1030ELNS1_3gpuE2ELNS1_3repE0EEENS1_48merge_mergepath_partition_config_static_selectorELNS0_4arch9wavefront6targetE1EEEvSJ_
                                        ; -- End function
	.set _ZN7rocprim17ROCPRIM_400000_NS6detail17trampoline_kernelINS0_14default_configENS1_38merge_sort_block_merge_config_selectorIssEEZZNS1_27merge_sort_block_merge_implIS3_N6thrust23THRUST_200600_302600_NS6detail15normal_iteratorINS8_10device_ptrIsEEEESD_jNS1_19radix_merge_compareILb0ELb0EsNS0_19identity_decomposerEEEEE10hipError_tT0_T1_T2_jT3_P12ihipStream_tbPNSt15iterator_traitsISI_E10value_typeEPNSO_ISJ_E10value_typeEPSK_NS1_7vsmem_tEENKUlT_SI_SJ_SK_E_clIPsSD_S10_SD_EESH_SX_SI_SJ_SK_EUlSX_E_NS1_11comp_targetILNS1_3genE8ELNS1_11target_archE1030ELNS1_3gpuE2ELNS1_3repE0EEENS1_48merge_mergepath_partition_config_static_selectorELNS0_4arch9wavefront6targetE1EEEvSJ_.num_vgpr, 0
	.set _ZN7rocprim17ROCPRIM_400000_NS6detail17trampoline_kernelINS0_14default_configENS1_38merge_sort_block_merge_config_selectorIssEEZZNS1_27merge_sort_block_merge_implIS3_N6thrust23THRUST_200600_302600_NS6detail15normal_iteratorINS8_10device_ptrIsEEEESD_jNS1_19radix_merge_compareILb0ELb0EsNS0_19identity_decomposerEEEEE10hipError_tT0_T1_T2_jT3_P12ihipStream_tbPNSt15iterator_traitsISI_E10value_typeEPNSO_ISJ_E10value_typeEPSK_NS1_7vsmem_tEENKUlT_SI_SJ_SK_E_clIPsSD_S10_SD_EESH_SX_SI_SJ_SK_EUlSX_E_NS1_11comp_targetILNS1_3genE8ELNS1_11target_archE1030ELNS1_3gpuE2ELNS1_3repE0EEENS1_48merge_mergepath_partition_config_static_selectorELNS0_4arch9wavefront6targetE1EEEvSJ_.num_agpr, 0
	.set _ZN7rocprim17ROCPRIM_400000_NS6detail17trampoline_kernelINS0_14default_configENS1_38merge_sort_block_merge_config_selectorIssEEZZNS1_27merge_sort_block_merge_implIS3_N6thrust23THRUST_200600_302600_NS6detail15normal_iteratorINS8_10device_ptrIsEEEESD_jNS1_19radix_merge_compareILb0ELb0EsNS0_19identity_decomposerEEEEE10hipError_tT0_T1_T2_jT3_P12ihipStream_tbPNSt15iterator_traitsISI_E10value_typeEPNSO_ISJ_E10value_typeEPSK_NS1_7vsmem_tEENKUlT_SI_SJ_SK_E_clIPsSD_S10_SD_EESH_SX_SI_SJ_SK_EUlSX_E_NS1_11comp_targetILNS1_3genE8ELNS1_11target_archE1030ELNS1_3gpuE2ELNS1_3repE0EEENS1_48merge_mergepath_partition_config_static_selectorELNS0_4arch9wavefront6targetE1EEEvSJ_.numbered_sgpr, 0
	.set _ZN7rocprim17ROCPRIM_400000_NS6detail17trampoline_kernelINS0_14default_configENS1_38merge_sort_block_merge_config_selectorIssEEZZNS1_27merge_sort_block_merge_implIS3_N6thrust23THRUST_200600_302600_NS6detail15normal_iteratorINS8_10device_ptrIsEEEESD_jNS1_19radix_merge_compareILb0ELb0EsNS0_19identity_decomposerEEEEE10hipError_tT0_T1_T2_jT3_P12ihipStream_tbPNSt15iterator_traitsISI_E10value_typeEPNSO_ISJ_E10value_typeEPSK_NS1_7vsmem_tEENKUlT_SI_SJ_SK_E_clIPsSD_S10_SD_EESH_SX_SI_SJ_SK_EUlSX_E_NS1_11comp_targetILNS1_3genE8ELNS1_11target_archE1030ELNS1_3gpuE2ELNS1_3repE0EEENS1_48merge_mergepath_partition_config_static_selectorELNS0_4arch9wavefront6targetE1EEEvSJ_.num_named_barrier, 0
	.set _ZN7rocprim17ROCPRIM_400000_NS6detail17trampoline_kernelINS0_14default_configENS1_38merge_sort_block_merge_config_selectorIssEEZZNS1_27merge_sort_block_merge_implIS3_N6thrust23THRUST_200600_302600_NS6detail15normal_iteratorINS8_10device_ptrIsEEEESD_jNS1_19radix_merge_compareILb0ELb0EsNS0_19identity_decomposerEEEEE10hipError_tT0_T1_T2_jT3_P12ihipStream_tbPNSt15iterator_traitsISI_E10value_typeEPNSO_ISJ_E10value_typeEPSK_NS1_7vsmem_tEENKUlT_SI_SJ_SK_E_clIPsSD_S10_SD_EESH_SX_SI_SJ_SK_EUlSX_E_NS1_11comp_targetILNS1_3genE8ELNS1_11target_archE1030ELNS1_3gpuE2ELNS1_3repE0EEENS1_48merge_mergepath_partition_config_static_selectorELNS0_4arch9wavefront6targetE1EEEvSJ_.private_seg_size, 0
	.set _ZN7rocprim17ROCPRIM_400000_NS6detail17trampoline_kernelINS0_14default_configENS1_38merge_sort_block_merge_config_selectorIssEEZZNS1_27merge_sort_block_merge_implIS3_N6thrust23THRUST_200600_302600_NS6detail15normal_iteratorINS8_10device_ptrIsEEEESD_jNS1_19radix_merge_compareILb0ELb0EsNS0_19identity_decomposerEEEEE10hipError_tT0_T1_T2_jT3_P12ihipStream_tbPNSt15iterator_traitsISI_E10value_typeEPNSO_ISJ_E10value_typeEPSK_NS1_7vsmem_tEENKUlT_SI_SJ_SK_E_clIPsSD_S10_SD_EESH_SX_SI_SJ_SK_EUlSX_E_NS1_11comp_targetILNS1_3genE8ELNS1_11target_archE1030ELNS1_3gpuE2ELNS1_3repE0EEENS1_48merge_mergepath_partition_config_static_selectorELNS0_4arch9wavefront6targetE1EEEvSJ_.uses_vcc, 0
	.set _ZN7rocprim17ROCPRIM_400000_NS6detail17trampoline_kernelINS0_14default_configENS1_38merge_sort_block_merge_config_selectorIssEEZZNS1_27merge_sort_block_merge_implIS3_N6thrust23THRUST_200600_302600_NS6detail15normal_iteratorINS8_10device_ptrIsEEEESD_jNS1_19radix_merge_compareILb0ELb0EsNS0_19identity_decomposerEEEEE10hipError_tT0_T1_T2_jT3_P12ihipStream_tbPNSt15iterator_traitsISI_E10value_typeEPNSO_ISJ_E10value_typeEPSK_NS1_7vsmem_tEENKUlT_SI_SJ_SK_E_clIPsSD_S10_SD_EESH_SX_SI_SJ_SK_EUlSX_E_NS1_11comp_targetILNS1_3genE8ELNS1_11target_archE1030ELNS1_3gpuE2ELNS1_3repE0EEENS1_48merge_mergepath_partition_config_static_selectorELNS0_4arch9wavefront6targetE1EEEvSJ_.uses_flat_scratch, 0
	.set _ZN7rocprim17ROCPRIM_400000_NS6detail17trampoline_kernelINS0_14default_configENS1_38merge_sort_block_merge_config_selectorIssEEZZNS1_27merge_sort_block_merge_implIS3_N6thrust23THRUST_200600_302600_NS6detail15normal_iteratorINS8_10device_ptrIsEEEESD_jNS1_19radix_merge_compareILb0ELb0EsNS0_19identity_decomposerEEEEE10hipError_tT0_T1_T2_jT3_P12ihipStream_tbPNSt15iterator_traitsISI_E10value_typeEPNSO_ISJ_E10value_typeEPSK_NS1_7vsmem_tEENKUlT_SI_SJ_SK_E_clIPsSD_S10_SD_EESH_SX_SI_SJ_SK_EUlSX_E_NS1_11comp_targetILNS1_3genE8ELNS1_11target_archE1030ELNS1_3gpuE2ELNS1_3repE0EEENS1_48merge_mergepath_partition_config_static_selectorELNS0_4arch9wavefront6targetE1EEEvSJ_.has_dyn_sized_stack, 0
	.set _ZN7rocprim17ROCPRIM_400000_NS6detail17trampoline_kernelINS0_14default_configENS1_38merge_sort_block_merge_config_selectorIssEEZZNS1_27merge_sort_block_merge_implIS3_N6thrust23THRUST_200600_302600_NS6detail15normal_iteratorINS8_10device_ptrIsEEEESD_jNS1_19radix_merge_compareILb0ELb0EsNS0_19identity_decomposerEEEEE10hipError_tT0_T1_T2_jT3_P12ihipStream_tbPNSt15iterator_traitsISI_E10value_typeEPNSO_ISJ_E10value_typeEPSK_NS1_7vsmem_tEENKUlT_SI_SJ_SK_E_clIPsSD_S10_SD_EESH_SX_SI_SJ_SK_EUlSX_E_NS1_11comp_targetILNS1_3genE8ELNS1_11target_archE1030ELNS1_3gpuE2ELNS1_3repE0EEENS1_48merge_mergepath_partition_config_static_selectorELNS0_4arch9wavefront6targetE1EEEvSJ_.has_recursion, 0
	.set _ZN7rocprim17ROCPRIM_400000_NS6detail17trampoline_kernelINS0_14default_configENS1_38merge_sort_block_merge_config_selectorIssEEZZNS1_27merge_sort_block_merge_implIS3_N6thrust23THRUST_200600_302600_NS6detail15normal_iteratorINS8_10device_ptrIsEEEESD_jNS1_19radix_merge_compareILb0ELb0EsNS0_19identity_decomposerEEEEE10hipError_tT0_T1_T2_jT3_P12ihipStream_tbPNSt15iterator_traitsISI_E10value_typeEPNSO_ISJ_E10value_typeEPSK_NS1_7vsmem_tEENKUlT_SI_SJ_SK_E_clIPsSD_S10_SD_EESH_SX_SI_SJ_SK_EUlSX_E_NS1_11comp_targetILNS1_3genE8ELNS1_11target_archE1030ELNS1_3gpuE2ELNS1_3repE0EEENS1_48merge_mergepath_partition_config_static_selectorELNS0_4arch9wavefront6targetE1EEEvSJ_.has_indirect_call, 0
	.section	.AMDGPU.csdata,"",@progbits
; Kernel info:
; codeLenInByte = 0
; TotalNumSgprs: 6
; NumVgprs: 0
; NumAgprs: 0
; TotalNumVgprs: 0
; ScratchSize: 0
; MemoryBound: 0
; FloatMode: 240
; IeeeMode: 1
; LDSByteSize: 0 bytes/workgroup (compile time only)
; SGPRBlocks: 0
; VGPRBlocks: 0
; NumSGPRsForWavesPerEU: 6
; NumVGPRsForWavesPerEU: 1
; AccumOffset: 4
; Occupancy: 8
; WaveLimiterHint : 0
; COMPUTE_PGM_RSRC2:SCRATCH_EN: 0
; COMPUTE_PGM_RSRC2:USER_SGPR: 2
; COMPUTE_PGM_RSRC2:TRAP_HANDLER: 0
; COMPUTE_PGM_RSRC2:TGID_X_EN: 1
; COMPUTE_PGM_RSRC2:TGID_Y_EN: 0
; COMPUTE_PGM_RSRC2:TGID_Z_EN: 0
; COMPUTE_PGM_RSRC2:TIDIG_COMP_CNT: 0
; COMPUTE_PGM_RSRC3_GFX90A:ACCUM_OFFSET: 0
; COMPUTE_PGM_RSRC3_GFX90A:TG_SPLIT: 0
	.section	.text._ZN7rocprim17ROCPRIM_400000_NS6detail17trampoline_kernelINS0_14default_configENS1_38merge_sort_block_merge_config_selectorIssEEZZNS1_27merge_sort_block_merge_implIS3_N6thrust23THRUST_200600_302600_NS6detail15normal_iteratorINS8_10device_ptrIsEEEESD_jNS1_19radix_merge_compareILb0ELb0EsNS0_19identity_decomposerEEEEE10hipError_tT0_T1_T2_jT3_P12ihipStream_tbPNSt15iterator_traitsISI_E10value_typeEPNSO_ISJ_E10value_typeEPSK_NS1_7vsmem_tEENKUlT_SI_SJ_SK_E_clIPsSD_S10_SD_EESH_SX_SI_SJ_SK_EUlSX_E0_NS1_11comp_targetILNS1_3genE0ELNS1_11target_archE4294967295ELNS1_3gpuE0ELNS1_3repE0EEENS1_38merge_mergepath_config_static_selectorELNS0_4arch9wavefront6targetE1EEEvSJ_,"axG",@progbits,_ZN7rocprim17ROCPRIM_400000_NS6detail17trampoline_kernelINS0_14default_configENS1_38merge_sort_block_merge_config_selectorIssEEZZNS1_27merge_sort_block_merge_implIS3_N6thrust23THRUST_200600_302600_NS6detail15normal_iteratorINS8_10device_ptrIsEEEESD_jNS1_19radix_merge_compareILb0ELb0EsNS0_19identity_decomposerEEEEE10hipError_tT0_T1_T2_jT3_P12ihipStream_tbPNSt15iterator_traitsISI_E10value_typeEPNSO_ISJ_E10value_typeEPSK_NS1_7vsmem_tEENKUlT_SI_SJ_SK_E_clIPsSD_S10_SD_EESH_SX_SI_SJ_SK_EUlSX_E0_NS1_11comp_targetILNS1_3genE0ELNS1_11target_archE4294967295ELNS1_3gpuE0ELNS1_3repE0EEENS1_38merge_mergepath_config_static_selectorELNS0_4arch9wavefront6targetE1EEEvSJ_,comdat
	.protected	_ZN7rocprim17ROCPRIM_400000_NS6detail17trampoline_kernelINS0_14default_configENS1_38merge_sort_block_merge_config_selectorIssEEZZNS1_27merge_sort_block_merge_implIS3_N6thrust23THRUST_200600_302600_NS6detail15normal_iteratorINS8_10device_ptrIsEEEESD_jNS1_19radix_merge_compareILb0ELb0EsNS0_19identity_decomposerEEEEE10hipError_tT0_T1_T2_jT3_P12ihipStream_tbPNSt15iterator_traitsISI_E10value_typeEPNSO_ISJ_E10value_typeEPSK_NS1_7vsmem_tEENKUlT_SI_SJ_SK_E_clIPsSD_S10_SD_EESH_SX_SI_SJ_SK_EUlSX_E0_NS1_11comp_targetILNS1_3genE0ELNS1_11target_archE4294967295ELNS1_3gpuE0ELNS1_3repE0EEENS1_38merge_mergepath_config_static_selectorELNS0_4arch9wavefront6targetE1EEEvSJ_ ; -- Begin function _ZN7rocprim17ROCPRIM_400000_NS6detail17trampoline_kernelINS0_14default_configENS1_38merge_sort_block_merge_config_selectorIssEEZZNS1_27merge_sort_block_merge_implIS3_N6thrust23THRUST_200600_302600_NS6detail15normal_iteratorINS8_10device_ptrIsEEEESD_jNS1_19radix_merge_compareILb0ELb0EsNS0_19identity_decomposerEEEEE10hipError_tT0_T1_T2_jT3_P12ihipStream_tbPNSt15iterator_traitsISI_E10value_typeEPNSO_ISJ_E10value_typeEPSK_NS1_7vsmem_tEENKUlT_SI_SJ_SK_E_clIPsSD_S10_SD_EESH_SX_SI_SJ_SK_EUlSX_E0_NS1_11comp_targetILNS1_3genE0ELNS1_11target_archE4294967295ELNS1_3gpuE0ELNS1_3repE0EEENS1_38merge_mergepath_config_static_selectorELNS0_4arch9wavefront6targetE1EEEvSJ_
	.globl	_ZN7rocprim17ROCPRIM_400000_NS6detail17trampoline_kernelINS0_14default_configENS1_38merge_sort_block_merge_config_selectorIssEEZZNS1_27merge_sort_block_merge_implIS3_N6thrust23THRUST_200600_302600_NS6detail15normal_iteratorINS8_10device_ptrIsEEEESD_jNS1_19radix_merge_compareILb0ELb0EsNS0_19identity_decomposerEEEEE10hipError_tT0_T1_T2_jT3_P12ihipStream_tbPNSt15iterator_traitsISI_E10value_typeEPNSO_ISJ_E10value_typeEPSK_NS1_7vsmem_tEENKUlT_SI_SJ_SK_E_clIPsSD_S10_SD_EESH_SX_SI_SJ_SK_EUlSX_E0_NS1_11comp_targetILNS1_3genE0ELNS1_11target_archE4294967295ELNS1_3gpuE0ELNS1_3repE0EEENS1_38merge_mergepath_config_static_selectorELNS0_4arch9wavefront6targetE1EEEvSJ_
	.p2align	8
	.type	_ZN7rocprim17ROCPRIM_400000_NS6detail17trampoline_kernelINS0_14default_configENS1_38merge_sort_block_merge_config_selectorIssEEZZNS1_27merge_sort_block_merge_implIS3_N6thrust23THRUST_200600_302600_NS6detail15normal_iteratorINS8_10device_ptrIsEEEESD_jNS1_19radix_merge_compareILb0ELb0EsNS0_19identity_decomposerEEEEE10hipError_tT0_T1_T2_jT3_P12ihipStream_tbPNSt15iterator_traitsISI_E10value_typeEPNSO_ISJ_E10value_typeEPSK_NS1_7vsmem_tEENKUlT_SI_SJ_SK_E_clIPsSD_S10_SD_EESH_SX_SI_SJ_SK_EUlSX_E0_NS1_11comp_targetILNS1_3genE0ELNS1_11target_archE4294967295ELNS1_3gpuE0ELNS1_3repE0EEENS1_38merge_mergepath_config_static_selectorELNS0_4arch9wavefront6targetE1EEEvSJ_,@function
_ZN7rocprim17ROCPRIM_400000_NS6detail17trampoline_kernelINS0_14default_configENS1_38merge_sort_block_merge_config_selectorIssEEZZNS1_27merge_sort_block_merge_implIS3_N6thrust23THRUST_200600_302600_NS6detail15normal_iteratorINS8_10device_ptrIsEEEESD_jNS1_19radix_merge_compareILb0ELb0EsNS0_19identity_decomposerEEEEE10hipError_tT0_T1_T2_jT3_P12ihipStream_tbPNSt15iterator_traitsISI_E10value_typeEPNSO_ISJ_E10value_typeEPSK_NS1_7vsmem_tEENKUlT_SI_SJ_SK_E_clIPsSD_S10_SD_EESH_SX_SI_SJ_SK_EUlSX_E0_NS1_11comp_targetILNS1_3genE0ELNS1_11target_archE4294967295ELNS1_3gpuE0ELNS1_3repE0EEENS1_38merge_mergepath_config_static_selectorELNS0_4arch9wavefront6targetE1EEEvSJ_: ; @_ZN7rocprim17ROCPRIM_400000_NS6detail17trampoline_kernelINS0_14default_configENS1_38merge_sort_block_merge_config_selectorIssEEZZNS1_27merge_sort_block_merge_implIS3_N6thrust23THRUST_200600_302600_NS6detail15normal_iteratorINS8_10device_ptrIsEEEESD_jNS1_19radix_merge_compareILb0ELb0EsNS0_19identity_decomposerEEEEE10hipError_tT0_T1_T2_jT3_P12ihipStream_tbPNSt15iterator_traitsISI_E10value_typeEPNSO_ISJ_E10value_typeEPSK_NS1_7vsmem_tEENKUlT_SI_SJ_SK_E_clIPsSD_S10_SD_EESH_SX_SI_SJ_SK_EUlSX_E0_NS1_11comp_targetILNS1_3genE0ELNS1_11target_archE4294967295ELNS1_3gpuE0ELNS1_3repE0EEENS1_38merge_mergepath_config_static_selectorELNS0_4arch9wavefront6targetE1EEEvSJ_
; %bb.0:
	s_load_dwordx2 s[28:29], s[0:1], 0x40
	s_load_dword s5, s[0:1], 0x30
	s_add_u32 s12, s0, 64
	s_addc_u32 s13, s1, 0
	s_waitcnt lgkmcnt(0)
	s_mul_i32 s4, s29, s4
	s_add_i32 s3, s4, s3
	s_mul_i32 s3, s3, s28
	s_add_i32 s26, s3, s2
	s_cmp_ge_u32 s26, s5
	s_cbranch_scc1 .LBB1518_70
; %bb.1:
	s_load_dwordx8 s[16:23], s[0:1], 0x10
	s_load_dwordx2 s[8:9], s[0:1], 0x8
	s_load_dwordx2 s[4:5], s[0:1], 0x38
	s_mov_b32 s27, 0
	s_mov_b32 s11, s27
	s_waitcnt lgkmcnt(0)
	s_lshr_b32 s29, s22, 10
	s_cmp_lg_u32 s26, s29
	s_cselect_b64 s[24:25], -1, 0
	s_lshl_b64 s[0:1], s[26:27], 2
	s_add_u32 s0, s4, s0
	s_addc_u32 s1, s5, s1
	s_load_dwordx2 s[4:5], s[0:1], 0x0
	s_lshr_b32 s0, s23, 9
	s_and_b32 s0, s0, 0x7ffffe
	s_sub_i32 s0, 0, s0
	s_and_b32 s1, s26, s0
	s_lshl_b32 s3, s1, 10
	s_lshl_b32 s14, s26, 10
	;; [unrolled: 1-line block ×3, first 2 shown]
	s_sub_i32 s6, s14, s3
	s_add_i32 s1, s1, s23
	s_add_i32 s6, s1, s6
	s_waitcnt lgkmcnt(0)
	s_sub_i32 s7, s6, s4
	s_sub_i32 s6, s6, s5
	;; [unrolled: 1-line block ×3, first 2 shown]
	s_min_u32 s10, s22, s7
	s_addk_i32 s6, 0x400
	s_or_b32 s0, s26, s0
	s_min_u32 s3, s22, s1
	s_add_i32 s1, s1, s23
	s_cmp_eq_u32 s0, -1
	s_cselect_b32 s0, s1, s6
	s_cselect_b32 s1, s3, s5
	s_mov_b32 s5, s27
	s_min_u32 s23, s0, s22
	s_sub_i32 s15, s1, s4
	s_lshl_b64 s[0:1], s[4:5], 1
	s_add_u32 s6, s8, s0
	s_addc_u32 s7, s9, s1
	s_lshl_b64 s[4:5], s[10:11], 1
	s_add_u32 s8, s8, s4
	s_addc_u32 s9, s9, s5
	s_cmp_lt_u32 s2, s28
	v_mov_b32_e32 v11, 0
	s_cselect_b32 s2, 12, 18
	global_load_dword v1, v11, s[12:13] offset:14
	s_add_u32 s2, s12, s2
	s_addc_u32 s3, s13, 0
	global_load_ushort v2, v11, s[2:3]
	s_cmp_eq_u32 s26, s29
	v_lshlrev_b32_e32 v10, 1, v0
	s_waitcnt vmcnt(1)
	v_lshrrev_b32_e32 v3, 16, v1
	v_and_b32_e32 v1, 0xffff, v1
	v_mul_lo_u32 v1, v1, v3
	s_waitcnt vmcnt(0)
	v_mul_lo_u32 v1, v1, v2
	v_add_u32_e32 v14, v1, v0
	v_add_u32_e32 v12, v14, v1
	s_cbranch_scc1 .LBB1518_3
; %bb.2:
	v_subrev_co_u32_e32 v4, vcc, s15, v0
	v_mov_b32_e32 v5, v11
	v_lshl_add_u64 v[2:3], s[6:7], 0, v[10:11]
	v_lshl_add_u64 v[4:5], v[4:5], 1, s[8:9]
	v_cndmask_b32_e32 v3, v5, v3, vcc
	v_cndmask_b32_e32 v2, v4, v2, vcc
	v_mov_b32_e32 v15, v11
	v_subrev_co_u32_e32 v4, vcc, s15, v14
	v_mov_b32_e32 v5, v11
	global_load_ushort v8, v[2:3], off
	v_lshl_add_u64 v[2:3], v[14:15], 1, s[6:7]
	v_lshl_add_u64 v[4:5], v[4:5], 1, s[8:9]
	v_cndmask_b32_e32 v3, v5, v3, vcc
	v_cndmask_b32_e32 v2, v4, v2, vcc
	v_mov_b32_e32 v13, v11
	v_subrev_co_u32_e32 v4, vcc, s15, v12
	v_mov_b32_e32 v5, v11
	global_load_ushort v9, v[2:3], off
	v_lshl_add_u64 v[2:3], v[12:13], 1, s[6:7]
	v_lshl_add_u64 v[4:5], v[4:5], 1, s[8:9]
	v_cndmask_b32_e32 v3, v5, v3, vcc
	v_cndmask_b32_e32 v2, v4, v2, vcc
	global_load_ushort v13, v[2:3], off
	v_add_u32_e32 v2, v12, v1
	v_mov_b32_e32 v3, v11
	v_subrev_co_u32_e32 v6, vcc, s15, v2
	v_mov_b32_e32 v7, v11
	v_lshl_add_u64 v[4:5], v[2:3], 1, s[6:7]
	v_lshl_add_u64 v[6:7], v[6:7], 1, s[8:9]
	v_add_u32_e32 v2, v2, v1
	v_cndmask_b32_e32 v5, v7, v5, vcc
	v_cndmask_b32_e32 v4, v6, v4, vcc
	v_subrev_co_u32_e32 v6, vcc, s15, v2
	v_mov_b32_e32 v7, v11
	global_load_ushort v15, v[4:5], off
	v_lshl_add_u64 v[4:5], v[2:3], 1, s[6:7]
	v_lshl_add_u64 v[6:7], v[6:7], 1, s[8:9]
	v_add_u32_e32 v2, v2, v1
	v_cndmask_b32_e32 v5, v7, v5, vcc
	v_cndmask_b32_e32 v4, v6, v4, vcc
	v_subrev_co_u32_e32 v6, vcc, s15, v2
	v_mov_b32_e32 v7, v11
	global_load_ushort v16, v[4:5], off
	;; [unrolled: 8-line block ×3, first 2 shown]
	v_lshl_add_u64 v[4:5], v[2:3], 1, s[6:7]
	v_lshl_add_u64 v[6:7], v[6:7], 1, s[8:9]
	v_cndmask_b32_e32 v5, v7, v5, vcc
	v_cndmask_b32_e32 v4, v6, v4, vcc
	global_load_ushort v5, v[4:5], off
	s_mov_b32 s2, 0x5040100
	v_add_u32_e32 v6, v2, v1
	s_waitcnt vmcnt(5)
	v_perm_b32 v2, v9, v8, s2
	s_waitcnt vmcnt(3)
	v_perm_b32 v3, v15, v13, s2
	s_waitcnt vmcnt(1)
	v_perm_b32 v4, v17, v16, s2
	s_mov_b64 s[2:3], -1
	s_sub_i32 s12, s23, s10
	s_cbranch_execz .LBB1518_4
	s_branch .LBB1518_17
.LBB1518_3:
	s_mov_b64 s[2:3], 0
                                        ; implicit-def: $vgpr6
                                        ; implicit-def: $vgpr2_vgpr3_vgpr4_vgpr5
	s_sub_i32 s12, s23, s10
.LBB1518_4:
	s_add_i32 s10, s12, s15
	v_mov_b32_e32 v2, 0
	v_cmp_gt_u32_e32 vcc, s10, v0
	v_mov_b32_e32 v3, v2
	v_mov_b32_e32 v4, v2
	s_waitcnt vmcnt(0)
	v_mov_b32_e32 v5, v2
	s_and_saveexec_b64 s[2:3], vcc
	s_cbranch_execnz .LBB1518_71
; %bb.5:
	s_or_b64 exec, exec, s[2:3]
	v_cmp_gt_u32_e32 vcc, s10, v14
	s_and_saveexec_b64 s[2:3], vcc
	s_cbranch_execnz .LBB1518_72
.LBB1518_6:
	s_or_b64 exec, exec, s[2:3]
	v_cmp_gt_u32_e32 vcc, s10, v12
	s_and_saveexec_b64 s[2:3], vcc
	s_cbranch_execz .LBB1518_8
.LBB1518_7:
	v_mov_b32_e32 v13, 0
	v_subrev_co_u32_e32 v8, vcc, s15, v12
	v_mov_b32_e32 v9, v13
	v_lshl_add_u64 v[6:7], v[12:13], 1, s[6:7]
	v_lshl_add_u64 v[8:9], v[8:9], 1, s[8:9]
	v_cndmask_b32_e32 v7, v9, v7, vcc
	v_cndmask_b32_e32 v6, v8, v6, vcc
	global_load_ushort v6, v[6:7], off
	s_mov_b32 s11, 0xffff
	s_waitcnt vmcnt(0)
	v_bfi_b32 v3, s11, v6, v3
.LBB1518_8:
	s_or_b64 exec, exec, s[2:3]
	v_add_u32_e32 v6, v12, v1
	v_cmp_gt_u32_e32 vcc, s10, v6
	s_and_saveexec_b64 s[2:3], vcc
	s_cbranch_execz .LBB1518_10
; %bb.9:
	v_mov_b32_e32 v7, 0
	v_subrev_co_u32_e32 v16, vcc, s15, v6
	v_mov_b32_e32 v17, v7
	v_lshl_add_u64 v[8:9], v[6:7], 1, s[6:7]
	v_lshl_add_u64 v[16:17], v[16:17], 1, s[8:9]
	v_cndmask_b32_e32 v9, v17, v9, vcc
	v_cndmask_b32_e32 v8, v16, v8, vcc
	global_load_ushort v7, v[8:9], off
	s_mov_b32 s11, 0x5040100
	s_waitcnt vmcnt(0)
	v_perm_b32 v3, v7, v3, s11
.LBB1518_10:
	s_or_b64 exec, exec, s[2:3]
	v_add_u32_e32 v6, v6, v1
	v_cmp_gt_u32_e32 vcc, s10, v6
	s_and_saveexec_b64 s[2:3], vcc
	s_cbranch_execz .LBB1518_12
; %bb.11:
	v_mov_b32_e32 v7, 0
	v_subrev_co_u32_e32 v16, vcc, s15, v6
	v_mov_b32_e32 v17, v7
	v_lshl_add_u64 v[8:9], v[6:7], 1, s[6:7]
	v_lshl_add_u64 v[16:17], v[16:17], 1, s[8:9]
	v_cndmask_b32_e32 v9, v17, v9, vcc
	v_cndmask_b32_e32 v8, v16, v8, vcc
	global_load_ushort v7, v[8:9], off
	s_mov_b32 s11, 0xffff
	s_waitcnt vmcnt(0)
	v_bfi_b32 v4, s11, v7, v4
.LBB1518_12:
	s_or_b64 exec, exec, s[2:3]
	v_add_u32_e32 v6, v6, v1
	v_cmp_gt_u32_e32 vcc, s10, v6
	s_and_saveexec_b64 s[2:3], vcc
	s_cbranch_execz .LBB1518_14
; %bb.13:
	v_mov_b32_e32 v7, 0
	v_subrev_co_u32_e32 v16, vcc, s15, v6
	v_mov_b32_e32 v17, v7
	v_lshl_add_u64 v[8:9], v[6:7], 1, s[6:7]
	v_lshl_add_u64 v[16:17], v[16:17], 1, s[8:9]
	v_cndmask_b32_e32 v9, v17, v9, vcc
	v_cndmask_b32_e32 v8, v16, v8, vcc
	global_load_ushort v7, v[8:9], off
	s_mov_b32 s11, 0x5040100
	s_waitcnt vmcnt(0)
	v_perm_b32 v4, v7, v4, s11
.LBB1518_14:
	s_or_b64 exec, exec, s[2:3]
	v_add_u32_e32 v6, v6, v1
	v_cmp_gt_u32_e32 vcc, s10, v6
	s_and_saveexec_b64 s[2:3], vcc
	s_cbranch_execz .LBB1518_16
; %bb.15:
	v_mov_b32_e32 v7, 0
	v_subrev_co_u32_e32 v16, vcc, s15, v6
	v_mov_b32_e32 v17, v7
	v_lshl_add_u64 v[8:9], v[6:7], 1, s[6:7]
	v_lshl_add_u64 v[16:17], v[16:17], 1, s[8:9]
	v_cndmask_b32_e32 v9, v17, v9, vcc
	v_cndmask_b32_e32 v8, v16, v8, vcc
	global_load_ushort v7, v[8:9], off
	s_mov_b32 s11, 0xffff
	s_waitcnt vmcnt(0)
	v_bfi_b32 v5, s11, v7, v5
.LBB1518_16:
	s_or_b64 exec, exec, s[2:3]
	v_add_u32_e32 v6, v6, v1
	v_cmp_gt_u32_e64 s[2:3], s10, v6
.LBB1518_17:
	s_and_saveexec_b64 s[10:11], s[2:3]
	s_cbranch_execz .LBB1518_19
; %bb.18:
	v_mov_b32_e32 v7, 0
	v_lshl_add_u64 v[8:9], v[6:7], 1, s[6:7]
	v_subrev_co_u32_e32 v6, vcc, s15, v6
	v_lshl_add_u64 v[6:7], v[6:7], 1, s[8:9]
	s_nop 0
	v_cndmask_b32_e32 v7, v7, v9, vcc
	v_cndmask_b32_e32 v6, v6, v8, vcc
	global_load_ushort v6, v[6:7], off
	s_mov_b32 s2, 0x5040100
	s_waitcnt vmcnt(0)
	v_perm_b32 v5, v6, v5, s2
.LBB1518_19:
	s_or_b64 exec, exec, s[10:11]
	s_add_u32 s0, s18, s0
	s_addc_u32 s1, s19, s1
	s_add_u32 s2, s18, s4
	v_mov_b32_e32 v11, 0
	v_lshrrev_b32_e32 v16, 16, v2
	v_lshrrev_b32_e32 v17, 16, v3
	;; [unrolled: 1-line block ×3, first 2 shown]
	s_waitcnt vmcnt(0)
	v_lshrrev_b32_e32 v19, 16, v5
	s_addc_u32 s3, s19, s5
	s_andn2_b64 vcc, exec, s[24:25]
	ds_write_b16 v10, v2
	ds_write_b16 v10, v16 offset:256
	ds_write_b16 v10, v3 offset:512
	;; [unrolled: 1-line block ×7, first 2 shown]
	s_cbranch_vccnz .LBB1518_21
; %bb.20:
	v_subrev_co_u32_e32 v8, vcc, s15, v0
	v_mov_b32_e32 v9, v11
	v_lshl_add_u64 v[6:7], s[0:1], 0, v[10:11]
	v_lshl_add_u64 v[8:9], v[8:9], 1, s[2:3]
	v_cndmask_b32_e32 v7, v9, v7, vcc
	v_cndmask_b32_e32 v6, v8, v6, vcc
	v_mov_b32_e32 v15, v11
	v_subrev_co_u32_e32 v8, vcc, s15, v14
	v_mov_b32_e32 v9, v11
	global_load_ushort v22, v[6:7], off
	v_lshl_add_u64 v[6:7], v[14:15], 1, s[0:1]
	v_lshl_add_u64 v[8:9], v[8:9], 1, s[2:3]
	v_cndmask_b32_e32 v7, v9, v7, vcc
	v_cndmask_b32_e32 v6, v8, v6, vcc
	v_mov_b32_e32 v13, v11
	v_subrev_co_u32_e32 v8, vcc, s15, v12
	v_mov_b32_e32 v9, v11
	global_load_ushort v15, v[6:7], off
	v_lshl_add_u64 v[6:7], v[12:13], 1, s[0:1]
	v_lshl_add_u64 v[8:9], v[8:9], 1, s[2:3]
	v_cndmask_b32_e32 v7, v9, v7, vcc
	v_cndmask_b32_e32 v6, v8, v6, vcc
	global_load_ushort v13, v[6:7], off
	v_add_u32_e32 v6, v12, v1
	v_mov_b32_e32 v7, v11
	v_subrev_co_u32_e32 v20, vcc, s15, v6
	v_mov_b32_e32 v21, v11
	v_lshl_add_u64 v[8:9], v[6:7], 1, s[0:1]
	v_lshl_add_u64 v[20:21], v[20:21], 1, s[2:3]
	v_add_u32_e32 v6, v6, v1
	v_cndmask_b32_e32 v9, v21, v9, vcc
	v_cndmask_b32_e32 v8, v20, v8, vcc
	v_subrev_co_u32_e32 v20, vcc, s15, v6
	v_mov_b32_e32 v21, v11
	global_load_ushort v23, v[8:9], off
	v_lshl_add_u64 v[8:9], v[6:7], 1, s[0:1]
	v_lshl_add_u64 v[20:21], v[20:21], 1, s[2:3]
	v_add_u32_e32 v6, v6, v1
	v_cndmask_b32_e32 v9, v21, v9, vcc
	v_cndmask_b32_e32 v8, v20, v8, vcc
	v_subrev_co_u32_e32 v20, vcc, s15, v6
	v_mov_b32_e32 v21, v11
	global_load_ushort v24, v[8:9], off
	;; [unrolled: 8-line block ×3, first 2 shown]
	v_lshl_add_u64 v[8:9], v[6:7], 1, s[0:1]
	v_lshl_add_u64 v[20:21], v[20:21], 1, s[2:3]
	v_cndmask_b32_e32 v9, v21, v9, vcc
	v_cndmask_b32_e32 v8, v20, v8, vcc
	v_add_u32_e32 v6, v6, v1
	global_load_ushort v20, v[8:9], off
	v_lshl_add_u64 v[8:9], v[6:7], 1, s[0:1]
	v_subrev_co_u32_e32 v6, vcc, s15, v6
	v_lshl_add_u64 v[6:7], v[6:7], 1, s[2:3]
	s_nop 0
	v_cndmask_b32_e32 v7, v7, v9, vcc
	v_cndmask_b32_e32 v6, v6, v8, vcc
	global_load_ushort v9, v[6:7], off
	s_mov_b32 s4, 0x5040100
	s_add_i32 s23, s12, s15
	s_waitcnt vmcnt(6)
	v_perm_b32 v6, v15, v22, s4
	s_waitcnt vmcnt(4)
	v_perm_b32 v7, v23, v13, s4
	;; [unrolled: 2-line block ×4, first 2 shown]
	s_cbranch_execz .LBB1518_22
	s_branch .LBB1518_37
.LBB1518_21:
                                        ; implicit-def: $vgpr6_vgpr7_vgpr8_vgpr9
                                        ; implicit-def: $sgpr23
.LBB1518_22:
	s_add_i32 s23, s12, s15
	v_mov_b32_e32 v6, 0
	v_cmp_gt_u32_e32 vcc, s23, v0
	v_mov_b32_e32 v7, v6
	v_mov_b32_e32 v8, v6
	;; [unrolled: 1-line block ×3, first 2 shown]
	s_and_saveexec_b64 s[4:5], vcc
	s_cbranch_execnz .LBB1518_73
; %bb.23:
	s_or_b64 exec, exec, s[4:5]
	v_cmp_gt_u32_e32 vcc, s23, v14
	s_and_saveexec_b64 s[4:5], vcc
	s_cbranch_execnz .LBB1518_74
.LBB1518_24:
	s_or_b64 exec, exec, s[4:5]
	v_cmp_gt_u32_e32 vcc, s23, v12
	s_and_saveexec_b64 s[4:5], vcc
	s_cbranch_execz .LBB1518_26
.LBB1518_25:
	v_mov_b32_e32 v13, 0
	v_subrev_co_u32_e32 v20, vcc, s15, v12
	v_mov_b32_e32 v21, v13
	v_lshl_add_u64 v[14:15], v[12:13], 1, s[0:1]
	v_lshl_add_u64 v[20:21], v[20:21], 1, s[2:3]
	v_cndmask_b32_e32 v15, v21, v15, vcc
	v_cndmask_b32_e32 v14, v20, v14, vcc
	global_load_ushort v11, v[14:15], off
	s_mov_b32 s6, 0xffff
	s_waitcnt vmcnt(0)
	v_bfi_b32 v7, s6, v11, v7
.LBB1518_26:
	s_or_b64 exec, exec, s[4:5]
	v_add_u32_e32 v12, v12, v1
	v_cmp_gt_u32_e32 vcc, s23, v12
	s_and_saveexec_b64 s[4:5], vcc
	s_cbranch_execz .LBB1518_28
; %bb.27:
	v_mov_b32_e32 v13, 0
	v_subrev_co_u32_e32 v20, vcc, s15, v12
	v_mov_b32_e32 v21, v13
	v_lshl_add_u64 v[14:15], v[12:13], 1, s[0:1]
	v_lshl_add_u64 v[20:21], v[20:21], 1, s[2:3]
	v_cndmask_b32_e32 v15, v21, v15, vcc
	v_cndmask_b32_e32 v14, v20, v14, vcc
	global_load_ushort v11, v[14:15], off
	s_mov_b32 s6, 0x5040100
	s_waitcnt vmcnt(0)
	v_perm_b32 v7, v11, v7, s6
.LBB1518_28:
	s_or_b64 exec, exec, s[4:5]
	v_add_u32_e32 v12, v12, v1
	v_cmp_gt_u32_e32 vcc, s23, v12
	s_and_saveexec_b64 s[4:5], vcc
	s_cbranch_execz .LBB1518_30
; %bb.29:
	v_mov_b32_e32 v13, 0
	v_subrev_co_u32_e32 v20, vcc, s15, v12
	v_mov_b32_e32 v21, v13
	v_lshl_add_u64 v[14:15], v[12:13], 1, s[0:1]
	v_lshl_add_u64 v[20:21], v[20:21], 1, s[2:3]
	v_cndmask_b32_e32 v15, v21, v15, vcc
	v_cndmask_b32_e32 v14, v20, v14, vcc
	global_load_ushort v11, v[14:15], off
	s_mov_b32 s6, 0xffff
	s_waitcnt vmcnt(0)
	v_bfi_b32 v8, s6, v11, v8
.LBB1518_30:
	s_or_b64 exec, exec, s[4:5]
	v_add_u32_e32 v12, v12, v1
	v_cmp_gt_u32_e32 vcc, s23, v12
	s_and_saveexec_b64 s[4:5], vcc
	s_cbranch_execz .LBB1518_32
; %bb.31:
	v_mov_b32_e32 v13, 0
	v_subrev_co_u32_e32 v20, vcc, s15, v12
	v_mov_b32_e32 v21, v13
	v_lshl_add_u64 v[14:15], v[12:13], 1, s[0:1]
	v_lshl_add_u64 v[20:21], v[20:21], 1, s[2:3]
	v_cndmask_b32_e32 v15, v21, v15, vcc
	v_cndmask_b32_e32 v14, v20, v14, vcc
	global_load_ushort v11, v[14:15], off
	s_mov_b32 s6, 0x5040100
	s_waitcnt vmcnt(0)
	v_perm_b32 v8, v11, v8, s6
.LBB1518_32:
	s_or_b64 exec, exec, s[4:5]
	v_add_u32_e32 v12, v12, v1
	v_cmp_gt_u32_e32 vcc, s23, v12
	s_and_saveexec_b64 s[4:5], vcc
	s_cbranch_execz .LBB1518_34
; %bb.33:
	v_mov_b32_e32 v13, 0
	v_subrev_co_u32_e32 v20, vcc, s15, v12
	v_mov_b32_e32 v21, v13
	v_lshl_add_u64 v[14:15], v[12:13], 1, s[0:1]
	v_lshl_add_u64 v[20:21], v[20:21], 1, s[2:3]
	v_cndmask_b32_e32 v15, v21, v15, vcc
	v_cndmask_b32_e32 v14, v20, v14, vcc
	global_load_ushort v11, v[14:15], off
	s_mov_b32 s6, 0xffff
	s_waitcnt vmcnt(0)
	v_bfi_b32 v9, s6, v11, v9
.LBB1518_34:
	s_or_b64 exec, exec, s[4:5]
	v_add_u32_e32 v12, v12, v1
	v_cmp_gt_u32_e32 vcc, s23, v12
	s_and_saveexec_b64 s[4:5], vcc
	s_cbranch_execz .LBB1518_36
; %bb.35:
	v_mov_b32_e32 v13, 0
	v_lshl_add_u64 v[14:15], v[12:13], 1, s[0:1]
	v_subrev_co_u32_e32 v12, vcc, s15, v12
	v_lshl_add_u64 v[12:13], v[12:13], 1, s[2:3]
	s_nop 0
	v_cndmask_b32_e32 v13, v13, v15, vcc
	v_cndmask_b32_e32 v12, v12, v14, vcc
	global_load_ushort v1, v[12:13], off
	s_mov_b32 s0, 0x5040100
	s_waitcnt vmcnt(0)
	v_perm_b32 v9, v1, v9, s0
.LBB1518_36:
	s_or_b64 exec, exec, s[4:5]
.LBB1518_37:
	v_lshlrev_b32_e32 v1, 3, v0
	v_min_u32_e32 v11, s23, v1
	v_sub_u32_e64 v20, v11, s12 clamp
	v_min_u32_e32 v12, s15, v11
	v_cmp_lt_u32_e32 vcc, v20, v12
	s_waitcnt lgkmcnt(0)
	s_barrier
	s_and_saveexec_b64 s[0:1], vcc
	s_cbranch_execz .LBB1518_41
; %bb.38:
	v_lshlrev_b32_e32 v13, 1, v11
	v_lshl_add_u32 v13, s15, 1, v13
	s_mov_b64 s[2:3], 0
.LBB1518_39:                            ; =>This Inner Loop Header: Depth=1
	v_add_u32_e32 v14, v12, v20
	v_lshrrev_b32_e32 v15, 1, v14
	v_not_b32_e32 v21, v15
	v_and_b32_e32 v14, -2, v14
	v_lshl_add_u32 v21, v21, 1, v13
	ds_read_u16 v14, v14
	ds_read_u16 v21, v21
	v_add_u32_e32 v22, 1, v15
	s_waitcnt lgkmcnt(0)
	v_cmp_gt_i16_e32 vcc, v14, v21
	s_nop 1
	v_cndmask_b32_e32 v12, v12, v15, vcc
	v_cndmask_b32_e32 v20, v22, v20, vcc
	v_cmp_ge_u32_e32 vcc, v20, v12
	s_or_b64 s[2:3], vcc, s[2:3]
	s_andn2_b64 exec, exec, s[2:3]
	s_cbranch_execnz .LBB1518_39
; %bb.40:
	s_or_b64 exec, exec, s[2:3]
.LBB1518_41:
	s_or_b64 exec, exec, s[0:1]
	v_sub_u32_e32 v11, v11, v20
	v_add_u32_e32 v24, s15, v11
	v_cmp_ge_u32_e32 vcc, s15, v20
	v_cmp_ge_u32_e64 s[0:1], s23, v24
	s_or_b64 s[0:1], vcc, s[0:1]
	v_mov_b32_e32 v23, 0
	v_mov_b32_e32 v22, 0
	v_mov_b32_e32 v21, 0
	v_mov_b32_e32 v15, 0
	v_mov_b32_e32 v14, 0
	v_mov_b32_e32 v13, 0
	v_mov_b32_e32 v12, 0
	v_mov_b32_e32 v11, 0
	s_and_saveexec_b64 s[18:19], s[0:1]
	s_cbranch_execz .LBB1518_47
; %bb.42:
	v_cmp_gt_u32_e32 vcc, s15, v20
                                        ; implicit-def: $vgpr2
	s_and_saveexec_b64 s[0:1], vcc
; %bb.43:
	v_lshlrev_b32_e32 v2, 1, v20
	ds_read_u16 v2, v2
; %bb.44:
	s_or_b64 exec, exec, s[0:1]
	v_cmp_le_u32_e64 s[0:1], s23, v24
	v_cmp_gt_u32_e64 s[2:3], s23, v24
                                        ; implicit-def: $vgpr3
	s_and_saveexec_b64 s[4:5], s[2:3]
; %bb.45:
	v_lshlrev_b32_e32 v3, 1, v24
	ds_read_u16 v3, v3
; %bb.46:
	s_or_b64 exec, exec, s[4:5]
	s_waitcnt lgkmcnt(0)
	v_cmp_le_i16_e64 s[2:3], v2, v3
	s_and_b64 s[2:3], vcc, s[2:3]
	s_or_b64 vcc, s[0:1], s[2:3]
	v_mov_b32_e32 v4, s23
	v_mov_b32_e32 v5, s15
	v_cndmask_b32_e32 v11, v24, v20, vcc
	v_cndmask_b32_e32 v12, v4, v5, vcc
	v_add_u32_e32 v13, 1, v11
	v_add_u32_e32 v12, -1, v12
	v_min_u32_e32 v12, v13, v12
	v_lshlrev_b32_e32 v12, 1, v12
	ds_read_u16 v12, v12
	v_cndmask_b32_e32 v14, v13, v24, vcc
	v_cndmask_b32_e32 v13, v20, v13, vcc
	v_cmp_gt_u32_e64 s[2:3], s15, v13
	v_cmp_le_u32_e64 s[0:1], s23, v14
	s_waitcnt lgkmcnt(0)
	v_cndmask_b32_e32 v16, v12, v3, vcc
	v_cndmask_b32_e32 v17, v2, v12, vcc
	v_cmp_le_i16_e64 s[4:5], v17, v16
	s_and_b64 s[2:3], s[2:3], s[4:5]
	s_or_b64 s[0:1], s[0:1], s[2:3]
	v_cndmask_b32_e64 v12, v14, v13, s[0:1]
	v_cndmask_b32_e64 v15, v4, v5, s[0:1]
	v_add_u32_e32 v18, 1, v12
	v_add_u32_e32 v15, -1, v15
	v_min_u32_e32 v15, v18, v15
	v_lshlrev_b32_e32 v15, 1, v15
	ds_read_u16 v15, v15
	v_cndmask_b32_e64 v14, v18, v14, s[0:1]
	v_cmp_le_u32_e64 s[2:3], s23, v14
	v_cndmask_b32_e32 v2, v3, v2, vcc
	s_waitcnt lgkmcnt(0)
	v_cndmask_b32_e64 v19, v15, v16, s[0:1]
	v_cndmask_b32_e64 v20, v17, v15, s[0:1]
	;; [unrolled: 1-line block ×3, first 2 shown]
	v_cmp_gt_u32_e64 s[4:5], s15, v15
	v_cmp_le_i16_e64 s[6:7], v20, v19
	s_and_b64 s[4:5], s[4:5], s[6:7]
	s_or_b64 s[2:3], s[2:3], s[4:5]
	v_cndmask_b32_e64 v13, v14, v15, s[2:3]
	v_cndmask_b32_e64 v18, v4, v5, s[2:3]
	v_add_u32_e32 v21, 1, v13
	v_add_u32_e32 v18, -1, v18
	v_min_u32_e32 v18, v21, v18
	v_lshlrev_b32_e32 v18, 1, v18
	ds_read_u16 v18, v18
	v_cndmask_b32_e64 v15, v15, v21, s[2:3]
	v_cndmask_b32_e64 v22, v21, v14, s[2:3]
	v_cmp_gt_u32_e64 s[6:7], s15, v15
	v_cmp_le_u32_e64 s[4:5], s23, v22
	s_waitcnt lgkmcnt(0)
	v_cndmask_b32_e64 v23, v18, v19, s[2:3]
	v_cndmask_b32_e64 v18, v20, v18, s[2:3]
	v_cmp_le_i16_e64 s[8:9], v18, v23
	s_and_b64 s[6:7], s[6:7], s[8:9]
	s_or_b64 s[4:5], s[4:5], s[6:7]
	v_cndmask_b32_e64 v14, v22, v15, s[4:5]
	v_cndmask_b32_e64 v21, v4, v5, s[4:5]
	v_add_u32_e32 v24, 1, v14
	v_add_u32_e32 v21, -1, v21
	v_min_u32_e32 v21, v24, v21
	v_lshlrev_b32_e32 v21, 1, v21
	ds_read_u16 v21, v21
	v_cndmask_b32_e64 v3, v19, v20, s[2:3]
	v_cndmask_b32_e64 v16, v16, v17, s[0:1]
	;; [unrolled: 1-line block ×3, first 2 shown]
	s_waitcnt lgkmcnt(0)
	v_cndmask_b32_e64 v25, v21, v23, s[4:5]
	v_cndmask_b32_e64 v26, v18, v21, s[4:5]
	;; [unrolled: 1-line block ×4, first 2 shown]
	v_cmp_gt_u32_e64 s[8:9], s15, v22
	v_cmp_le_i16_e64 s[10:11], v26, v25
	v_cmp_le_u32_e64 s[6:7], s23, v21
	s_and_b64 s[8:9], s[8:9], s[10:11]
	s_or_b64 s[6:7], s[6:7], s[8:9]
	v_cndmask_b32_e64 v15, v21, v22, s[6:7]
	v_cndmask_b32_e64 v24, v4, v5, s[6:7]
	v_add_u32_e32 v27, 1, v15
	v_add_u32_e32 v24, -1, v24
	v_min_u32_e32 v24, v27, v24
	v_lshlrev_b32_e32 v24, 1, v24
	ds_read_u16 v24, v24
	v_cndmask_b32_e64 v22, v22, v27, s[6:7]
	v_cndmask_b32_e64 v29, v27, v21, s[6:7]
	v_cmp_gt_u32_e64 s[10:11], s15, v22
	v_cmp_le_u32_e64 s[8:9], s23, v29
	s_waitcnt lgkmcnt(0)
	v_cndmask_b32_e64 v28, v24, v25, s[6:7]
	v_cndmask_b32_e64 v24, v26, v24, s[6:7]
	v_cmp_le_i16_e64 s[12:13], v24, v28
	s_and_b64 s[10:11], s[10:11], s[12:13]
	s_or_b64 s[8:9], s[8:9], s[10:11]
	v_cndmask_b32_e64 v21, v29, v22, s[8:9]
	v_cndmask_b32_e64 v27, v4, v5, s[8:9]
	v_add_u32_e32 v30, 1, v21
	v_add_u32_e32 v27, -1, v27
	v_min_u32_e32 v27, v30, v27
	v_lshlrev_b32_e32 v27, 1, v27
	ds_read_u16 v27, v27
	v_cndmask_b32_e64 v18, v28, v24, s[8:9]
	s_waitcnt lgkmcnt(0)
	v_cndmask_b32_e64 v19, v27, v28, s[8:9]
	v_cndmask_b32_e64 v20, v24, v27, s[8:9]
	;; [unrolled: 1-line block ×4, first 2 shown]
	v_cmp_gt_u32_e64 s[0:1], s15, v29
	v_cmp_le_i16_e64 s[2:3], v20, v19
	v_cmp_le_u32_e32 vcc, s23, v27
	s_and_b64 s[0:1], s[0:1], s[2:3]
	s_or_b64 vcc, vcc, s[0:1]
	v_cndmask_b32_e32 v22, v27, v29, vcc
	v_cndmask_b32_e32 v4, v4, v5, vcc
	v_add_u32_e32 v30, 1, v22
	v_add_u32_e32 v4, -1, v4
	v_min_u32_e32 v4, v30, v4
	v_lshlrev_b32_e32 v4, 1, v4
	ds_read_u16 v31, v4
	v_cndmask_b32_e32 v5, v19, v20, vcc
	v_cndmask_b32_e32 v24, v29, v30, vcc
	;; [unrolled: 1-line block ×3, first 2 shown]
	v_cmp_gt_u32_e64 s[0:1], s15, v24
	s_waitcnt lgkmcnt(0)
	v_cndmask_b32_e32 v19, v31, v19, vcc
	v_cndmask_b32_e32 v20, v20, v31, vcc
	v_cmp_le_i16_e64 s[2:3], v20, v19
	v_cmp_le_u32_e32 vcc, s23, v23
	s_and_b64 s[0:1], s[0:1], s[2:3]
	s_or_b64 vcc, vcc, s[0:1]
	v_cndmask_b32_e64 v4, v25, v26, s[6:7]
	v_cndmask_b32_e32 v23, v23, v24, vcc
	v_cndmask_b32_e32 v19, v19, v20, vcc
.LBB1518_47:
	s_or_b64 exec, exec, s[18:19]
	s_barrier
	ds_write_b16 v10, v6
	ds_write_b16_d16_hi v10, v6 offset:256
	ds_write_b16 v10, v7 offset:512
	ds_write_b16_d16_hi v10, v7 offset:768
	ds_write_b16 v10, v8 offset:1024
	;; [unrolled: 2-line block ×3, first 2 shown]
	ds_write_b16_d16_hi v10, v9 offset:1792
	v_lshlrev_b32_e32 v6, 1, v11
	v_lshlrev_b32_e32 v7, 1, v12
	;; [unrolled: 1-line block ×7, first 2 shown]
	s_waitcnt lgkmcnt(0)
	s_barrier
	v_lshlrev_b32_e32 v20, 1, v23
	ds_read_u16 v6, v6
	ds_read_u16 v7, v7
	;; [unrolled: 1-line block ×8, first 2 shown]
	v_lshrrev_b32_e32 v11, 1, v0
	v_and_b32_e32 v11, 60, v11
	s_mov_b32 s0, 0x5040100
	v_lshl_add_u32 v1, v1, 1, v11
	v_perm_b32 v3, v17, v3, s0
	v_perm_b32 v2, v16, v2, s0
	s_waitcnt lgkmcnt(0)
	s_barrier
	s_barrier
	ds_write2_b32 v1, v2, v3 offset1:1
	v_perm_b32 v2, v19, v5, s0
	v_perm_b32 v3, v18, v4, s0
	ds_write2_b32 v1, v3, v2 offset0:2 offset1:3
	v_lshrrev_b32_e32 v2, 4, v0
	v_and_b32_e32 v2, 4, v2
	v_or_b32_e32 v28, 0x80, v0
	v_add_u32_e32 v4, v2, v10
	v_lshrrev_b32_e32 v2, 4, v28
	v_and_b32_e32 v2, 12, v2
	v_or_b32_e32 v27, 0x100, v0
	v_add_u32_e32 v5, v2, v10
	;; [unrolled: 4-line block ×5, first 2 shown]
	v_lshrrev_b32_e32 v2, 4, v24
	v_and_b32_e32 v2, 44, v2
	v_or_b32_e32 v23, 0x300, v0
	s_mov_b32 s15, 0
	v_add_u32_e32 v19, v2, v10
	v_lshrrev_b32_e32 v2, 4, v23
	s_lshl_b64 s[12:13], s[14:15], 1
	v_and_b32_e32 v2, 52, v2
	v_or_b32_e32 v22, 0x380, v0
	s_add_u32 s2, s16, s12
	v_add_u32_e32 v20, v2, v10
	v_lshrrev_b32_e32 v2, 4, v22
	s_addc_u32 s3, s17, s13
	v_and_b32_e32 v2, 60, v2
	v_mov_b32_e32 v11, 0
	v_add_u32_e32 v21, v2, v10
	v_lshl_add_u64 v[2:3], s[2:3], 0, v[10:11]
	s_and_b64 vcc, exec, s[24:25]
	s_waitcnt lgkmcnt(0)
	s_cbranch_vccz .LBB1518_49
; %bb.48:
	s_barrier
	ds_read_u16 v11, v4
	ds_read_u16 v29, v5 offset:256
	ds_read_u16 v30, v16 offset:512
	;; [unrolled: 1-line block ×7, first 2 shown]
	s_add_u32 s2, s20, s12
	s_addc_u32 s3, s21, s13
	s_waitcnt lgkmcnt(7)
	global_store_short v[2:3], v11, off
	s_waitcnt lgkmcnt(6)
	global_store_short v[2:3], v29, off offset:256
	s_waitcnt lgkmcnt(5)
	global_store_short v[2:3], v30, off offset:512
	;; [unrolled: 2-line block ×7, first 2 shown]
	v_perm_b32 v11, v13, v12, s0
	v_perm_b32 v29, v7, v6, s0
	s_barrier
	ds_write2_b32 v1, v29, v11 offset1:1
	v_perm_b32 v11, v15, v14, s0
	v_perm_b32 v29, v9, v8, s0
	ds_write2_b32 v1, v29, v11 offset0:2 offset1:3
	s_waitcnt lgkmcnt(0)
	s_barrier
	ds_read_u16 v11, v4
	ds_read_u16 v30, v5 offset:256
	ds_read_u16 v31, v16 offset:512
	;; [unrolled: 1-line block ×7, first 2 shown]
	s_waitcnt lgkmcnt(7)
	global_store_short v10, v11, s[2:3]
	s_waitcnt lgkmcnt(6)
	global_store_short v10, v30, s[2:3] offset:256
	s_waitcnt lgkmcnt(5)
	global_store_short v10, v31, s[2:3] offset:512
	;; [unrolled: 2-line block ×6, first 2 shown]
	s_mov_b64 s[16:17], -1
	s_cbranch_execz .LBB1518_50
	s_branch .LBB1518_68
.LBB1518_49:
	s_mov_b64 s[16:17], 0
                                        ; implicit-def: $vgpr29
.LBB1518_50:
	s_barrier
	s_waitcnt lgkmcnt(0)
	ds_read_u16 v34, v5 offset:256
	ds_read_u16 v33, v16 offset:512
	;; [unrolled: 1-line block ×7, first 2 shown]
	s_sub_i32 s16, s22, s14
	v_cmp_gt_u32_e32 vcc, s16, v0
	s_and_saveexec_b64 s[0:1], vcc
	s_cbranch_execnz .LBB1518_75
; %bb.51:
	s_or_b64 exec, exec, s[0:1]
	v_cmp_gt_u32_e64 s[0:1], s16, v28
	s_and_saveexec_b64 s[2:3], s[0:1]
	s_cbranch_execnz .LBB1518_76
.LBB1518_52:
	s_or_b64 exec, exec, s[2:3]
	v_cmp_gt_u32_e64 s[2:3], s16, v27
	s_and_saveexec_b64 s[4:5], s[2:3]
	s_cbranch_execnz .LBB1518_77
.LBB1518_53:
	s_or_b64 exec, exec, s[4:5]
	v_cmp_gt_u32_e64 s[4:5], s16, v26
	s_and_saveexec_b64 s[6:7], s[4:5]
	s_cbranch_execnz .LBB1518_78
.LBB1518_54:
	s_or_b64 exec, exec, s[6:7]
	v_cmp_gt_u32_e64 s[6:7], s16, v25
	s_and_saveexec_b64 s[8:9], s[6:7]
	s_cbranch_execnz .LBB1518_79
.LBB1518_55:
	s_or_b64 exec, exec, s[8:9]
	v_cmp_gt_u32_e64 s[8:9], s16, v24
	s_and_saveexec_b64 s[10:11], s[8:9]
	s_cbranch_execnz .LBB1518_80
.LBB1518_56:
	s_or_b64 exec, exec, s[10:11]
	v_cmp_gt_u32_e64 s[10:11], s16, v23
	s_and_saveexec_b64 s[14:15], s[10:11]
	s_cbranch_execnz .LBB1518_81
.LBB1518_57:
	s_or_b64 exec, exec, s[14:15]
	v_cmp_gt_u32_e64 s[16:17], s16, v22
	s_and_saveexec_b64 s[14:15], s[16:17]
	s_cbranch_execz .LBB1518_59
.LBB1518_58:
	s_waitcnt lgkmcnt(0)
	global_store_short v[2:3], v11, off offset:1792
.LBB1518_59:
	s_or_b64 exec, exec, s[14:15]
	s_mov_b32 s14, 0x5040100
	v_perm_b32 v0, v13, v12, s14
	v_perm_b32 v2, v7, v6, s14
	s_waitcnt lgkmcnt(0)
	s_barrier
	ds_write2_b32 v1, v2, v0 offset1:1
	v_perm_b32 v0, v15, v14, s14
	v_perm_b32 v2, v9, v8, s14
	ds_write2_b32 v1, v2, v0 offset0:2 offset1:3
	s_waitcnt lgkmcnt(0)
	s_barrier
	ds_read_u16 v8, v5 offset:256
	ds_read_u16 v7, v16 offset:512
	;; [unrolled: 1-line block ×7, first 2 shown]
	s_add_u32 s14, s20, s12
	s_addc_u32 s15, s21, s13
	v_mov_b32_e32 v11, 0
	v_lshl_add_u64 v[0:1], s[14:15], 0, v[10:11]
	s_and_saveexec_b64 s[14:15], vcc
	s_cbranch_execnz .LBB1518_82
; %bb.60:
	s_or_b64 exec, exec, s[14:15]
	s_and_saveexec_b64 s[14:15], s[0:1]
	s_cbranch_execnz .LBB1518_83
.LBB1518_61:
	s_or_b64 exec, exec, s[14:15]
	s_and_saveexec_b64 s[0:1], s[2:3]
	s_cbranch_execnz .LBB1518_84
.LBB1518_62:
	s_or_b64 exec, exec, s[0:1]
	s_and_saveexec_b64 s[0:1], s[4:5]
	s_cbranch_execnz .LBB1518_85
.LBB1518_63:
	s_or_b64 exec, exec, s[0:1]
	s_and_saveexec_b64 s[0:1], s[6:7]
	s_cbranch_execnz .LBB1518_86
.LBB1518_64:
	s_or_b64 exec, exec, s[0:1]
	s_and_saveexec_b64 s[0:1], s[8:9]
	s_cbranch_execnz .LBB1518_87
.LBB1518_65:
	s_or_b64 exec, exec, s[0:1]
	s_and_saveexec_b64 s[0:1], s[10:11]
	s_cbranch_execz .LBB1518_67
.LBB1518_66:
	s_waitcnt lgkmcnt(1)
	global_store_short v[0:1], v2, off offset:1536
.LBB1518_67:
	s_or_b64 exec, exec, s[0:1]
.LBB1518_68:
	s_and_saveexec_b64 s[0:1], s[16:17]
	s_cbranch_execz .LBB1518_70
; %bb.69:
	s_add_u32 s0, s20, s12
	s_addc_u32 s1, s21, s13
	s_waitcnt lgkmcnt(0)
	global_store_short v10, v29, s[0:1] offset:1792
.LBB1518_70:
	s_endpgm
.LBB1518_71:
	v_mov_b32_e32 v11, v2
	v_subrev_co_u32_e32 v6, vcc, s15, v0
	v_mov_b32_e32 v7, v2
	v_lshl_add_u64 v[4:5], s[6:7], 0, v[10:11]
	v_lshl_add_u64 v[6:7], v[6:7], 1, s[8:9]
	v_cndmask_b32_e32 v5, v7, v5, vcc
	v_cndmask_b32_e32 v4, v6, v4, vcc
	global_load_ushort v3, v[4:5], off
	v_mov_b32_e32 v5, v2
	v_mov_b32_e32 v6, v2
	;; [unrolled: 1-line block ×3, first 2 shown]
	s_waitcnt vmcnt(0)
	v_and_b32_e32 v4, 0xffff, v3
	v_mov_b64_e32 v[2:3], v[4:5]
	v_mov_b64_e32 v[4:5], v[6:7]
	s_or_b64 exec, exec, s[2:3]
	v_cmp_gt_u32_e32 vcc, s10, v14
	s_and_saveexec_b64 s[2:3], vcc
	s_cbranch_execz .LBB1518_6
.LBB1518_72:
	v_mov_b32_e32 v15, 0
	v_subrev_co_u32_e32 v8, vcc, s15, v14
	v_mov_b32_e32 v9, v15
	v_lshl_add_u64 v[6:7], v[14:15], 1, s[6:7]
	v_lshl_add_u64 v[8:9], v[8:9], 1, s[8:9]
	v_cndmask_b32_e32 v7, v9, v7, vcc
	v_cndmask_b32_e32 v6, v8, v6, vcc
	global_load_ushort v6, v[6:7], off
	s_mov_b32 s11, 0x5040100
	s_waitcnt vmcnt(0)
	v_perm_b32 v2, v6, v2, s11
	s_or_b64 exec, exec, s[2:3]
	v_cmp_gt_u32_e32 vcc, s10, v12
	s_and_saveexec_b64 s[2:3], vcc
	s_cbranch_execnz .LBB1518_7
	s_branch .LBB1518_8
.LBB1518_73:
	v_mov_b32_e32 v11, v6
	v_subrev_co_u32_e32 v20, vcc, s15, v0
	v_mov_b32_e32 v21, v6
	v_lshl_add_u64 v[8:9], s[0:1], 0, v[10:11]
	v_lshl_add_u64 v[20:21], v[20:21], 1, s[2:3]
	v_cndmask_b32_e32 v9, v21, v9, vcc
	v_cndmask_b32_e32 v8, v20, v8, vcc
	global_load_ushort v7, v[8:9], off
	v_mov_b32_e32 v21, v6
	v_mov_b32_e32 v22, v6
	;; [unrolled: 1-line block ×3, first 2 shown]
	s_waitcnt vmcnt(0)
	v_and_b32_e32 v20, 0xffff, v7
	v_mov_b64_e32 v[6:7], v[20:21]
	v_mov_b64_e32 v[8:9], v[22:23]
	s_or_b64 exec, exec, s[4:5]
	v_cmp_gt_u32_e32 vcc, s23, v14
	s_and_saveexec_b64 s[4:5], vcc
	s_cbranch_execz .LBB1518_24
.LBB1518_74:
	v_mov_b32_e32 v15, 0
	v_lshl_add_u64 v[20:21], v[14:15], 1, s[0:1]
	v_subrev_co_u32_e32 v14, vcc, s15, v14
	v_lshl_add_u64 v[14:15], v[14:15], 1, s[2:3]
	s_nop 0
	v_cndmask_b32_e32 v15, v15, v21, vcc
	v_cndmask_b32_e32 v14, v14, v20, vcc
	global_load_ushort v11, v[14:15], off
	s_mov_b32 s6, 0x5040100
	s_waitcnt vmcnt(0)
	v_perm_b32 v6, v11, v6, s6
	s_or_b64 exec, exec, s[4:5]
	v_cmp_gt_u32_e32 vcc, s23, v12
	s_and_saveexec_b64 s[4:5], vcc
	s_cbranch_execnz .LBB1518_25
	s_branch .LBB1518_26
.LBB1518_75:
	ds_read_u16 v0, v4
	s_waitcnt lgkmcnt(0)
	global_store_short v[2:3], v0, off
	s_or_b64 exec, exec, s[0:1]
	v_cmp_gt_u32_e64 s[0:1], s16, v28
	s_and_saveexec_b64 s[2:3], s[0:1]
	s_cbranch_execz .LBB1518_52
.LBB1518_76:
	s_waitcnt lgkmcnt(6)
	global_store_short v[2:3], v34, off offset:256
	s_or_b64 exec, exec, s[2:3]
	v_cmp_gt_u32_e64 s[2:3], s16, v27
	s_and_saveexec_b64 s[4:5], s[2:3]
	s_cbranch_execz .LBB1518_53
.LBB1518_77:
	s_waitcnt lgkmcnt(5)
	global_store_short v[2:3], v33, off offset:512
	s_or_b64 exec, exec, s[4:5]
	v_cmp_gt_u32_e64 s[4:5], s16, v26
	s_and_saveexec_b64 s[6:7], s[4:5]
	s_cbranch_execz .LBB1518_54
.LBB1518_78:
	s_waitcnt lgkmcnt(4)
	global_store_short v[2:3], v32, off offset:768
	s_or_b64 exec, exec, s[6:7]
	v_cmp_gt_u32_e64 s[6:7], s16, v25
	s_and_saveexec_b64 s[8:9], s[6:7]
	s_cbranch_execz .LBB1518_55
.LBB1518_79:
	s_waitcnt lgkmcnt(3)
	global_store_short v[2:3], v31, off offset:1024
	s_or_b64 exec, exec, s[8:9]
	v_cmp_gt_u32_e64 s[8:9], s16, v24
	s_and_saveexec_b64 s[10:11], s[8:9]
	s_cbranch_execz .LBB1518_56
.LBB1518_80:
	s_waitcnt lgkmcnt(2)
	global_store_short v[2:3], v30, off offset:1280
	s_or_b64 exec, exec, s[10:11]
	v_cmp_gt_u32_e64 s[10:11], s16, v23
	s_and_saveexec_b64 s[14:15], s[10:11]
	s_cbranch_execz .LBB1518_57
.LBB1518_81:
	s_waitcnt lgkmcnt(1)
	global_store_short v[2:3], v29, off offset:1536
	s_or_b64 exec, exec, s[14:15]
	v_cmp_gt_u32_e64 s[16:17], s16, v22
	s_and_saveexec_b64 s[14:15], s[16:17]
	s_cbranch_execnz .LBB1518_58
	s_branch .LBB1518_59
.LBB1518_82:
	ds_read_u16 v4, v4
	s_waitcnt lgkmcnt(0)
	global_store_short v[0:1], v4, off
	s_or_b64 exec, exec, s[14:15]
	s_and_saveexec_b64 s[14:15], s[0:1]
	s_cbranch_execz .LBB1518_61
.LBB1518_83:
	s_waitcnt lgkmcnt(6)
	global_store_short v[0:1], v8, off offset:256
	s_or_b64 exec, exec, s[14:15]
	s_and_saveexec_b64 s[0:1], s[2:3]
	s_cbranch_execz .LBB1518_62
.LBB1518_84:
	s_waitcnt lgkmcnt(5)
	global_store_short v[0:1], v7, off offset:512
	s_or_b64 exec, exec, s[0:1]
	s_and_saveexec_b64 s[0:1], s[4:5]
	s_cbranch_execz .LBB1518_63
.LBB1518_85:
	s_waitcnt lgkmcnt(4)
	global_store_short v[0:1], v6, off offset:768
	s_or_b64 exec, exec, s[0:1]
	s_and_saveexec_b64 s[0:1], s[6:7]
	s_cbranch_execz .LBB1518_64
.LBB1518_86:
	s_waitcnt lgkmcnt(3)
	global_store_short v[0:1], v5, off offset:1024
	s_or_b64 exec, exec, s[0:1]
	s_and_saveexec_b64 s[0:1], s[8:9]
	s_cbranch_execz .LBB1518_65
.LBB1518_87:
	s_waitcnt lgkmcnt(2)
	global_store_short v[0:1], v3, off offset:1280
	s_or_b64 exec, exec, s[0:1]
	s_and_saveexec_b64 s[0:1], s[10:11]
	s_cbranch_execnz .LBB1518_66
	s_branch .LBB1518_67
	.section	.rodata,"a",@progbits
	.p2align	6, 0x0
	.amdhsa_kernel _ZN7rocprim17ROCPRIM_400000_NS6detail17trampoline_kernelINS0_14default_configENS1_38merge_sort_block_merge_config_selectorIssEEZZNS1_27merge_sort_block_merge_implIS3_N6thrust23THRUST_200600_302600_NS6detail15normal_iteratorINS8_10device_ptrIsEEEESD_jNS1_19radix_merge_compareILb0ELb0EsNS0_19identity_decomposerEEEEE10hipError_tT0_T1_T2_jT3_P12ihipStream_tbPNSt15iterator_traitsISI_E10value_typeEPNSO_ISJ_E10value_typeEPSK_NS1_7vsmem_tEENKUlT_SI_SJ_SK_E_clIPsSD_S10_SD_EESH_SX_SI_SJ_SK_EUlSX_E0_NS1_11comp_targetILNS1_3genE0ELNS1_11target_archE4294967295ELNS1_3gpuE0ELNS1_3repE0EEENS1_38merge_mergepath_config_static_selectorELNS0_4arch9wavefront6targetE1EEEvSJ_
		.amdhsa_group_segment_fixed_size 2112
		.amdhsa_private_segment_fixed_size 0
		.amdhsa_kernarg_size 320
		.amdhsa_user_sgpr_count 2
		.amdhsa_user_sgpr_dispatch_ptr 0
		.amdhsa_user_sgpr_queue_ptr 0
		.amdhsa_user_sgpr_kernarg_segment_ptr 1
		.amdhsa_user_sgpr_dispatch_id 0
		.amdhsa_user_sgpr_kernarg_preload_length 0
		.amdhsa_user_sgpr_kernarg_preload_offset 0
		.amdhsa_user_sgpr_private_segment_size 0
		.amdhsa_uses_dynamic_stack 0
		.amdhsa_enable_private_segment 0
		.amdhsa_system_sgpr_workgroup_id_x 1
		.amdhsa_system_sgpr_workgroup_id_y 1
		.amdhsa_system_sgpr_workgroup_id_z 1
		.amdhsa_system_sgpr_workgroup_info 0
		.amdhsa_system_vgpr_workitem_id 0
		.amdhsa_next_free_vgpr 36
		.amdhsa_next_free_sgpr 30
		.amdhsa_accum_offset 36
		.amdhsa_reserve_vcc 1
		.amdhsa_float_round_mode_32 0
		.amdhsa_float_round_mode_16_64 0
		.amdhsa_float_denorm_mode_32 3
		.amdhsa_float_denorm_mode_16_64 3
		.amdhsa_dx10_clamp 1
		.amdhsa_ieee_mode 1
		.amdhsa_fp16_overflow 0
		.amdhsa_tg_split 0
		.amdhsa_exception_fp_ieee_invalid_op 0
		.amdhsa_exception_fp_denorm_src 0
		.amdhsa_exception_fp_ieee_div_zero 0
		.amdhsa_exception_fp_ieee_overflow 0
		.amdhsa_exception_fp_ieee_underflow 0
		.amdhsa_exception_fp_ieee_inexact 0
		.amdhsa_exception_int_div_zero 0
	.end_amdhsa_kernel
	.section	.text._ZN7rocprim17ROCPRIM_400000_NS6detail17trampoline_kernelINS0_14default_configENS1_38merge_sort_block_merge_config_selectorIssEEZZNS1_27merge_sort_block_merge_implIS3_N6thrust23THRUST_200600_302600_NS6detail15normal_iteratorINS8_10device_ptrIsEEEESD_jNS1_19radix_merge_compareILb0ELb0EsNS0_19identity_decomposerEEEEE10hipError_tT0_T1_T2_jT3_P12ihipStream_tbPNSt15iterator_traitsISI_E10value_typeEPNSO_ISJ_E10value_typeEPSK_NS1_7vsmem_tEENKUlT_SI_SJ_SK_E_clIPsSD_S10_SD_EESH_SX_SI_SJ_SK_EUlSX_E0_NS1_11comp_targetILNS1_3genE0ELNS1_11target_archE4294967295ELNS1_3gpuE0ELNS1_3repE0EEENS1_38merge_mergepath_config_static_selectorELNS0_4arch9wavefront6targetE1EEEvSJ_,"axG",@progbits,_ZN7rocprim17ROCPRIM_400000_NS6detail17trampoline_kernelINS0_14default_configENS1_38merge_sort_block_merge_config_selectorIssEEZZNS1_27merge_sort_block_merge_implIS3_N6thrust23THRUST_200600_302600_NS6detail15normal_iteratorINS8_10device_ptrIsEEEESD_jNS1_19radix_merge_compareILb0ELb0EsNS0_19identity_decomposerEEEEE10hipError_tT0_T1_T2_jT3_P12ihipStream_tbPNSt15iterator_traitsISI_E10value_typeEPNSO_ISJ_E10value_typeEPSK_NS1_7vsmem_tEENKUlT_SI_SJ_SK_E_clIPsSD_S10_SD_EESH_SX_SI_SJ_SK_EUlSX_E0_NS1_11comp_targetILNS1_3genE0ELNS1_11target_archE4294967295ELNS1_3gpuE0ELNS1_3repE0EEENS1_38merge_mergepath_config_static_selectorELNS0_4arch9wavefront6targetE1EEEvSJ_,comdat
.Lfunc_end1518:
	.size	_ZN7rocprim17ROCPRIM_400000_NS6detail17trampoline_kernelINS0_14default_configENS1_38merge_sort_block_merge_config_selectorIssEEZZNS1_27merge_sort_block_merge_implIS3_N6thrust23THRUST_200600_302600_NS6detail15normal_iteratorINS8_10device_ptrIsEEEESD_jNS1_19radix_merge_compareILb0ELb0EsNS0_19identity_decomposerEEEEE10hipError_tT0_T1_T2_jT3_P12ihipStream_tbPNSt15iterator_traitsISI_E10value_typeEPNSO_ISJ_E10value_typeEPSK_NS1_7vsmem_tEENKUlT_SI_SJ_SK_E_clIPsSD_S10_SD_EESH_SX_SI_SJ_SK_EUlSX_E0_NS1_11comp_targetILNS1_3genE0ELNS1_11target_archE4294967295ELNS1_3gpuE0ELNS1_3repE0EEENS1_38merge_mergepath_config_static_selectorELNS0_4arch9wavefront6targetE1EEEvSJ_, .Lfunc_end1518-_ZN7rocprim17ROCPRIM_400000_NS6detail17trampoline_kernelINS0_14default_configENS1_38merge_sort_block_merge_config_selectorIssEEZZNS1_27merge_sort_block_merge_implIS3_N6thrust23THRUST_200600_302600_NS6detail15normal_iteratorINS8_10device_ptrIsEEEESD_jNS1_19radix_merge_compareILb0ELb0EsNS0_19identity_decomposerEEEEE10hipError_tT0_T1_T2_jT3_P12ihipStream_tbPNSt15iterator_traitsISI_E10value_typeEPNSO_ISJ_E10value_typeEPSK_NS1_7vsmem_tEENKUlT_SI_SJ_SK_E_clIPsSD_S10_SD_EESH_SX_SI_SJ_SK_EUlSX_E0_NS1_11comp_targetILNS1_3genE0ELNS1_11target_archE4294967295ELNS1_3gpuE0ELNS1_3repE0EEENS1_38merge_mergepath_config_static_selectorELNS0_4arch9wavefront6targetE1EEEvSJ_
                                        ; -- End function
	.set _ZN7rocprim17ROCPRIM_400000_NS6detail17trampoline_kernelINS0_14default_configENS1_38merge_sort_block_merge_config_selectorIssEEZZNS1_27merge_sort_block_merge_implIS3_N6thrust23THRUST_200600_302600_NS6detail15normal_iteratorINS8_10device_ptrIsEEEESD_jNS1_19radix_merge_compareILb0ELb0EsNS0_19identity_decomposerEEEEE10hipError_tT0_T1_T2_jT3_P12ihipStream_tbPNSt15iterator_traitsISI_E10value_typeEPNSO_ISJ_E10value_typeEPSK_NS1_7vsmem_tEENKUlT_SI_SJ_SK_E_clIPsSD_S10_SD_EESH_SX_SI_SJ_SK_EUlSX_E0_NS1_11comp_targetILNS1_3genE0ELNS1_11target_archE4294967295ELNS1_3gpuE0ELNS1_3repE0EEENS1_38merge_mergepath_config_static_selectorELNS0_4arch9wavefront6targetE1EEEvSJ_.num_vgpr, 36
	.set _ZN7rocprim17ROCPRIM_400000_NS6detail17trampoline_kernelINS0_14default_configENS1_38merge_sort_block_merge_config_selectorIssEEZZNS1_27merge_sort_block_merge_implIS3_N6thrust23THRUST_200600_302600_NS6detail15normal_iteratorINS8_10device_ptrIsEEEESD_jNS1_19radix_merge_compareILb0ELb0EsNS0_19identity_decomposerEEEEE10hipError_tT0_T1_T2_jT3_P12ihipStream_tbPNSt15iterator_traitsISI_E10value_typeEPNSO_ISJ_E10value_typeEPSK_NS1_7vsmem_tEENKUlT_SI_SJ_SK_E_clIPsSD_S10_SD_EESH_SX_SI_SJ_SK_EUlSX_E0_NS1_11comp_targetILNS1_3genE0ELNS1_11target_archE4294967295ELNS1_3gpuE0ELNS1_3repE0EEENS1_38merge_mergepath_config_static_selectorELNS0_4arch9wavefront6targetE1EEEvSJ_.num_agpr, 0
	.set _ZN7rocprim17ROCPRIM_400000_NS6detail17trampoline_kernelINS0_14default_configENS1_38merge_sort_block_merge_config_selectorIssEEZZNS1_27merge_sort_block_merge_implIS3_N6thrust23THRUST_200600_302600_NS6detail15normal_iteratorINS8_10device_ptrIsEEEESD_jNS1_19radix_merge_compareILb0ELb0EsNS0_19identity_decomposerEEEEE10hipError_tT0_T1_T2_jT3_P12ihipStream_tbPNSt15iterator_traitsISI_E10value_typeEPNSO_ISJ_E10value_typeEPSK_NS1_7vsmem_tEENKUlT_SI_SJ_SK_E_clIPsSD_S10_SD_EESH_SX_SI_SJ_SK_EUlSX_E0_NS1_11comp_targetILNS1_3genE0ELNS1_11target_archE4294967295ELNS1_3gpuE0ELNS1_3repE0EEENS1_38merge_mergepath_config_static_selectorELNS0_4arch9wavefront6targetE1EEEvSJ_.numbered_sgpr, 30
	.set _ZN7rocprim17ROCPRIM_400000_NS6detail17trampoline_kernelINS0_14default_configENS1_38merge_sort_block_merge_config_selectorIssEEZZNS1_27merge_sort_block_merge_implIS3_N6thrust23THRUST_200600_302600_NS6detail15normal_iteratorINS8_10device_ptrIsEEEESD_jNS1_19radix_merge_compareILb0ELb0EsNS0_19identity_decomposerEEEEE10hipError_tT0_T1_T2_jT3_P12ihipStream_tbPNSt15iterator_traitsISI_E10value_typeEPNSO_ISJ_E10value_typeEPSK_NS1_7vsmem_tEENKUlT_SI_SJ_SK_E_clIPsSD_S10_SD_EESH_SX_SI_SJ_SK_EUlSX_E0_NS1_11comp_targetILNS1_3genE0ELNS1_11target_archE4294967295ELNS1_3gpuE0ELNS1_3repE0EEENS1_38merge_mergepath_config_static_selectorELNS0_4arch9wavefront6targetE1EEEvSJ_.num_named_barrier, 0
	.set _ZN7rocprim17ROCPRIM_400000_NS6detail17trampoline_kernelINS0_14default_configENS1_38merge_sort_block_merge_config_selectorIssEEZZNS1_27merge_sort_block_merge_implIS3_N6thrust23THRUST_200600_302600_NS6detail15normal_iteratorINS8_10device_ptrIsEEEESD_jNS1_19radix_merge_compareILb0ELb0EsNS0_19identity_decomposerEEEEE10hipError_tT0_T1_T2_jT3_P12ihipStream_tbPNSt15iterator_traitsISI_E10value_typeEPNSO_ISJ_E10value_typeEPSK_NS1_7vsmem_tEENKUlT_SI_SJ_SK_E_clIPsSD_S10_SD_EESH_SX_SI_SJ_SK_EUlSX_E0_NS1_11comp_targetILNS1_3genE0ELNS1_11target_archE4294967295ELNS1_3gpuE0ELNS1_3repE0EEENS1_38merge_mergepath_config_static_selectorELNS0_4arch9wavefront6targetE1EEEvSJ_.private_seg_size, 0
	.set _ZN7rocprim17ROCPRIM_400000_NS6detail17trampoline_kernelINS0_14default_configENS1_38merge_sort_block_merge_config_selectorIssEEZZNS1_27merge_sort_block_merge_implIS3_N6thrust23THRUST_200600_302600_NS6detail15normal_iteratorINS8_10device_ptrIsEEEESD_jNS1_19radix_merge_compareILb0ELb0EsNS0_19identity_decomposerEEEEE10hipError_tT0_T1_T2_jT3_P12ihipStream_tbPNSt15iterator_traitsISI_E10value_typeEPNSO_ISJ_E10value_typeEPSK_NS1_7vsmem_tEENKUlT_SI_SJ_SK_E_clIPsSD_S10_SD_EESH_SX_SI_SJ_SK_EUlSX_E0_NS1_11comp_targetILNS1_3genE0ELNS1_11target_archE4294967295ELNS1_3gpuE0ELNS1_3repE0EEENS1_38merge_mergepath_config_static_selectorELNS0_4arch9wavefront6targetE1EEEvSJ_.uses_vcc, 1
	.set _ZN7rocprim17ROCPRIM_400000_NS6detail17trampoline_kernelINS0_14default_configENS1_38merge_sort_block_merge_config_selectorIssEEZZNS1_27merge_sort_block_merge_implIS3_N6thrust23THRUST_200600_302600_NS6detail15normal_iteratorINS8_10device_ptrIsEEEESD_jNS1_19radix_merge_compareILb0ELb0EsNS0_19identity_decomposerEEEEE10hipError_tT0_T1_T2_jT3_P12ihipStream_tbPNSt15iterator_traitsISI_E10value_typeEPNSO_ISJ_E10value_typeEPSK_NS1_7vsmem_tEENKUlT_SI_SJ_SK_E_clIPsSD_S10_SD_EESH_SX_SI_SJ_SK_EUlSX_E0_NS1_11comp_targetILNS1_3genE0ELNS1_11target_archE4294967295ELNS1_3gpuE0ELNS1_3repE0EEENS1_38merge_mergepath_config_static_selectorELNS0_4arch9wavefront6targetE1EEEvSJ_.uses_flat_scratch, 0
	.set _ZN7rocprim17ROCPRIM_400000_NS6detail17trampoline_kernelINS0_14default_configENS1_38merge_sort_block_merge_config_selectorIssEEZZNS1_27merge_sort_block_merge_implIS3_N6thrust23THRUST_200600_302600_NS6detail15normal_iteratorINS8_10device_ptrIsEEEESD_jNS1_19radix_merge_compareILb0ELb0EsNS0_19identity_decomposerEEEEE10hipError_tT0_T1_T2_jT3_P12ihipStream_tbPNSt15iterator_traitsISI_E10value_typeEPNSO_ISJ_E10value_typeEPSK_NS1_7vsmem_tEENKUlT_SI_SJ_SK_E_clIPsSD_S10_SD_EESH_SX_SI_SJ_SK_EUlSX_E0_NS1_11comp_targetILNS1_3genE0ELNS1_11target_archE4294967295ELNS1_3gpuE0ELNS1_3repE0EEENS1_38merge_mergepath_config_static_selectorELNS0_4arch9wavefront6targetE1EEEvSJ_.has_dyn_sized_stack, 0
	.set _ZN7rocprim17ROCPRIM_400000_NS6detail17trampoline_kernelINS0_14default_configENS1_38merge_sort_block_merge_config_selectorIssEEZZNS1_27merge_sort_block_merge_implIS3_N6thrust23THRUST_200600_302600_NS6detail15normal_iteratorINS8_10device_ptrIsEEEESD_jNS1_19radix_merge_compareILb0ELb0EsNS0_19identity_decomposerEEEEE10hipError_tT0_T1_T2_jT3_P12ihipStream_tbPNSt15iterator_traitsISI_E10value_typeEPNSO_ISJ_E10value_typeEPSK_NS1_7vsmem_tEENKUlT_SI_SJ_SK_E_clIPsSD_S10_SD_EESH_SX_SI_SJ_SK_EUlSX_E0_NS1_11comp_targetILNS1_3genE0ELNS1_11target_archE4294967295ELNS1_3gpuE0ELNS1_3repE0EEENS1_38merge_mergepath_config_static_selectorELNS0_4arch9wavefront6targetE1EEEvSJ_.has_recursion, 0
	.set _ZN7rocprim17ROCPRIM_400000_NS6detail17trampoline_kernelINS0_14default_configENS1_38merge_sort_block_merge_config_selectorIssEEZZNS1_27merge_sort_block_merge_implIS3_N6thrust23THRUST_200600_302600_NS6detail15normal_iteratorINS8_10device_ptrIsEEEESD_jNS1_19radix_merge_compareILb0ELb0EsNS0_19identity_decomposerEEEEE10hipError_tT0_T1_T2_jT3_P12ihipStream_tbPNSt15iterator_traitsISI_E10value_typeEPNSO_ISJ_E10value_typeEPSK_NS1_7vsmem_tEENKUlT_SI_SJ_SK_E_clIPsSD_S10_SD_EESH_SX_SI_SJ_SK_EUlSX_E0_NS1_11comp_targetILNS1_3genE0ELNS1_11target_archE4294967295ELNS1_3gpuE0ELNS1_3repE0EEENS1_38merge_mergepath_config_static_selectorELNS0_4arch9wavefront6targetE1EEEvSJ_.has_indirect_call, 0
	.section	.AMDGPU.csdata,"",@progbits
; Kernel info:
; codeLenInByte = 5520
; TotalNumSgprs: 36
; NumVgprs: 36
; NumAgprs: 0
; TotalNumVgprs: 36
; ScratchSize: 0
; MemoryBound: 0
; FloatMode: 240
; IeeeMode: 1
; LDSByteSize: 2112 bytes/workgroup (compile time only)
; SGPRBlocks: 4
; VGPRBlocks: 4
; NumSGPRsForWavesPerEU: 36
; NumVGPRsForWavesPerEU: 36
; AccumOffset: 36
; Occupancy: 8
; WaveLimiterHint : 1
; COMPUTE_PGM_RSRC2:SCRATCH_EN: 0
; COMPUTE_PGM_RSRC2:USER_SGPR: 2
; COMPUTE_PGM_RSRC2:TRAP_HANDLER: 0
; COMPUTE_PGM_RSRC2:TGID_X_EN: 1
; COMPUTE_PGM_RSRC2:TGID_Y_EN: 1
; COMPUTE_PGM_RSRC2:TGID_Z_EN: 1
; COMPUTE_PGM_RSRC2:TIDIG_COMP_CNT: 0
; COMPUTE_PGM_RSRC3_GFX90A:ACCUM_OFFSET: 8
; COMPUTE_PGM_RSRC3_GFX90A:TG_SPLIT: 0
	.section	.text._ZN7rocprim17ROCPRIM_400000_NS6detail17trampoline_kernelINS0_14default_configENS1_38merge_sort_block_merge_config_selectorIssEEZZNS1_27merge_sort_block_merge_implIS3_N6thrust23THRUST_200600_302600_NS6detail15normal_iteratorINS8_10device_ptrIsEEEESD_jNS1_19radix_merge_compareILb0ELb0EsNS0_19identity_decomposerEEEEE10hipError_tT0_T1_T2_jT3_P12ihipStream_tbPNSt15iterator_traitsISI_E10value_typeEPNSO_ISJ_E10value_typeEPSK_NS1_7vsmem_tEENKUlT_SI_SJ_SK_E_clIPsSD_S10_SD_EESH_SX_SI_SJ_SK_EUlSX_E0_NS1_11comp_targetILNS1_3genE10ELNS1_11target_archE1201ELNS1_3gpuE5ELNS1_3repE0EEENS1_38merge_mergepath_config_static_selectorELNS0_4arch9wavefront6targetE1EEEvSJ_,"axG",@progbits,_ZN7rocprim17ROCPRIM_400000_NS6detail17trampoline_kernelINS0_14default_configENS1_38merge_sort_block_merge_config_selectorIssEEZZNS1_27merge_sort_block_merge_implIS3_N6thrust23THRUST_200600_302600_NS6detail15normal_iteratorINS8_10device_ptrIsEEEESD_jNS1_19radix_merge_compareILb0ELb0EsNS0_19identity_decomposerEEEEE10hipError_tT0_T1_T2_jT3_P12ihipStream_tbPNSt15iterator_traitsISI_E10value_typeEPNSO_ISJ_E10value_typeEPSK_NS1_7vsmem_tEENKUlT_SI_SJ_SK_E_clIPsSD_S10_SD_EESH_SX_SI_SJ_SK_EUlSX_E0_NS1_11comp_targetILNS1_3genE10ELNS1_11target_archE1201ELNS1_3gpuE5ELNS1_3repE0EEENS1_38merge_mergepath_config_static_selectorELNS0_4arch9wavefront6targetE1EEEvSJ_,comdat
	.protected	_ZN7rocprim17ROCPRIM_400000_NS6detail17trampoline_kernelINS0_14default_configENS1_38merge_sort_block_merge_config_selectorIssEEZZNS1_27merge_sort_block_merge_implIS3_N6thrust23THRUST_200600_302600_NS6detail15normal_iteratorINS8_10device_ptrIsEEEESD_jNS1_19radix_merge_compareILb0ELb0EsNS0_19identity_decomposerEEEEE10hipError_tT0_T1_T2_jT3_P12ihipStream_tbPNSt15iterator_traitsISI_E10value_typeEPNSO_ISJ_E10value_typeEPSK_NS1_7vsmem_tEENKUlT_SI_SJ_SK_E_clIPsSD_S10_SD_EESH_SX_SI_SJ_SK_EUlSX_E0_NS1_11comp_targetILNS1_3genE10ELNS1_11target_archE1201ELNS1_3gpuE5ELNS1_3repE0EEENS1_38merge_mergepath_config_static_selectorELNS0_4arch9wavefront6targetE1EEEvSJ_ ; -- Begin function _ZN7rocprim17ROCPRIM_400000_NS6detail17trampoline_kernelINS0_14default_configENS1_38merge_sort_block_merge_config_selectorIssEEZZNS1_27merge_sort_block_merge_implIS3_N6thrust23THRUST_200600_302600_NS6detail15normal_iteratorINS8_10device_ptrIsEEEESD_jNS1_19radix_merge_compareILb0ELb0EsNS0_19identity_decomposerEEEEE10hipError_tT0_T1_T2_jT3_P12ihipStream_tbPNSt15iterator_traitsISI_E10value_typeEPNSO_ISJ_E10value_typeEPSK_NS1_7vsmem_tEENKUlT_SI_SJ_SK_E_clIPsSD_S10_SD_EESH_SX_SI_SJ_SK_EUlSX_E0_NS1_11comp_targetILNS1_3genE10ELNS1_11target_archE1201ELNS1_3gpuE5ELNS1_3repE0EEENS1_38merge_mergepath_config_static_selectorELNS0_4arch9wavefront6targetE1EEEvSJ_
	.globl	_ZN7rocprim17ROCPRIM_400000_NS6detail17trampoline_kernelINS0_14default_configENS1_38merge_sort_block_merge_config_selectorIssEEZZNS1_27merge_sort_block_merge_implIS3_N6thrust23THRUST_200600_302600_NS6detail15normal_iteratorINS8_10device_ptrIsEEEESD_jNS1_19radix_merge_compareILb0ELb0EsNS0_19identity_decomposerEEEEE10hipError_tT0_T1_T2_jT3_P12ihipStream_tbPNSt15iterator_traitsISI_E10value_typeEPNSO_ISJ_E10value_typeEPSK_NS1_7vsmem_tEENKUlT_SI_SJ_SK_E_clIPsSD_S10_SD_EESH_SX_SI_SJ_SK_EUlSX_E0_NS1_11comp_targetILNS1_3genE10ELNS1_11target_archE1201ELNS1_3gpuE5ELNS1_3repE0EEENS1_38merge_mergepath_config_static_selectorELNS0_4arch9wavefront6targetE1EEEvSJ_
	.p2align	8
	.type	_ZN7rocprim17ROCPRIM_400000_NS6detail17trampoline_kernelINS0_14default_configENS1_38merge_sort_block_merge_config_selectorIssEEZZNS1_27merge_sort_block_merge_implIS3_N6thrust23THRUST_200600_302600_NS6detail15normal_iteratorINS8_10device_ptrIsEEEESD_jNS1_19radix_merge_compareILb0ELb0EsNS0_19identity_decomposerEEEEE10hipError_tT0_T1_T2_jT3_P12ihipStream_tbPNSt15iterator_traitsISI_E10value_typeEPNSO_ISJ_E10value_typeEPSK_NS1_7vsmem_tEENKUlT_SI_SJ_SK_E_clIPsSD_S10_SD_EESH_SX_SI_SJ_SK_EUlSX_E0_NS1_11comp_targetILNS1_3genE10ELNS1_11target_archE1201ELNS1_3gpuE5ELNS1_3repE0EEENS1_38merge_mergepath_config_static_selectorELNS0_4arch9wavefront6targetE1EEEvSJ_,@function
_ZN7rocprim17ROCPRIM_400000_NS6detail17trampoline_kernelINS0_14default_configENS1_38merge_sort_block_merge_config_selectorIssEEZZNS1_27merge_sort_block_merge_implIS3_N6thrust23THRUST_200600_302600_NS6detail15normal_iteratorINS8_10device_ptrIsEEEESD_jNS1_19radix_merge_compareILb0ELb0EsNS0_19identity_decomposerEEEEE10hipError_tT0_T1_T2_jT3_P12ihipStream_tbPNSt15iterator_traitsISI_E10value_typeEPNSO_ISJ_E10value_typeEPSK_NS1_7vsmem_tEENKUlT_SI_SJ_SK_E_clIPsSD_S10_SD_EESH_SX_SI_SJ_SK_EUlSX_E0_NS1_11comp_targetILNS1_3genE10ELNS1_11target_archE1201ELNS1_3gpuE5ELNS1_3repE0EEENS1_38merge_mergepath_config_static_selectorELNS0_4arch9wavefront6targetE1EEEvSJ_: ; @_ZN7rocprim17ROCPRIM_400000_NS6detail17trampoline_kernelINS0_14default_configENS1_38merge_sort_block_merge_config_selectorIssEEZZNS1_27merge_sort_block_merge_implIS3_N6thrust23THRUST_200600_302600_NS6detail15normal_iteratorINS8_10device_ptrIsEEEESD_jNS1_19radix_merge_compareILb0ELb0EsNS0_19identity_decomposerEEEEE10hipError_tT0_T1_T2_jT3_P12ihipStream_tbPNSt15iterator_traitsISI_E10value_typeEPNSO_ISJ_E10value_typeEPSK_NS1_7vsmem_tEENKUlT_SI_SJ_SK_E_clIPsSD_S10_SD_EESH_SX_SI_SJ_SK_EUlSX_E0_NS1_11comp_targetILNS1_3genE10ELNS1_11target_archE1201ELNS1_3gpuE5ELNS1_3repE0EEENS1_38merge_mergepath_config_static_selectorELNS0_4arch9wavefront6targetE1EEEvSJ_
; %bb.0:
	.section	.rodata,"a",@progbits
	.p2align	6, 0x0
	.amdhsa_kernel _ZN7rocprim17ROCPRIM_400000_NS6detail17trampoline_kernelINS0_14default_configENS1_38merge_sort_block_merge_config_selectorIssEEZZNS1_27merge_sort_block_merge_implIS3_N6thrust23THRUST_200600_302600_NS6detail15normal_iteratorINS8_10device_ptrIsEEEESD_jNS1_19radix_merge_compareILb0ELb0EsNS0_19identity_decomposerEEEEE10hipError_tT0_T1_T2_jT3_P12ihipStream_tbPNSt15iterator_traitsISI_E10value_typeEPNSO_ISJ_E10value_typeEPSK_NS1_7vsmem_tEENKUlT_SI_SJ_SK_E_clIPsSD_S10_SD_EESH_SX_SI_SJ_SK_EUlSX_E0_NS1_11comp_targetILNS1_3genE10ELNS1_11target_archE1201ELNS1_3gpuE5ELNS1_3repE0EEENS1_38merge_mergepath_config_static_selectorELNS0_4arch9wavefront6targetE1EEEvSJ_
		.amdhsa_group_segment_fixed_size 0
		.amdhsa_private_segment_fixed_size 0
		.amdhsa_kernarg_size 64
		.amdhsa_user_sgpr_count 2
		.amdhsa_user_sgpr_dispatch_ptr 0
		.amdhsa_user_sgpr_queue_ptr 0
		.amdhsa_user_sgpr_kernarg_segment_ptr 1
		.amdhsa_user_sgpr_dispatch_id 0
		.amdhsa_user_sgpr_kernarg_preload_length 0
		.amdhsa_user_sgpr_kernarg_preload_offset 0
		.amdhsa_user_sgpr_private_segment_size 0
		.amdhsa_uses_dynamic_stack 0
		.amdhsa_enable_private_segment 0
		.amdhsa_system_sgpr_workgroup_id_x 1
		.amdhsa_system_sgpr_workgroup_id_y 0
		.amdhsa_system_sgpr_workgroup_id_z 0
		.amdhsa_system_sgpr_workgroup_info 0
		.amdhsa_system_vgpr_workitem_id 0
		.amdhsa_next_free_vgpr 1
		.amdhsa_next_free_sgpr 0
		.amdhsa_accum_offset 4
		.amdhsa_reserve_vcc 0
		.amdhsa_float_round_mode_32 0
		.amdhsa_float_round_mode_16_64 0
		.amdhsa_float_denorm_mode_32 3
		.amdhsa_float_denorm_mode_16_64 3
		.amdhsa_dx10_clamp 1
		.amdhsa_ieee_mode 1
		.amdhsa_fp16_overflow 0
		.amdhsa_tg_split 0
		.amdhsa_exception_fp_ieee_invalid_op 0
		.amdhsa_exception_fp_denorm_src 0
		.amdhsa_exception_fp_ieee_div_zero 0
		.amdhsa_exception_fp_ieee_overflow 0
		.amdhsa_exception_fp_ieee_underflow 0
		.amdhsa_exception_fp_ieee_inexact 0
		.amdhsa_exception_int_div_zero 0
	.end_amdhsa_kernel
	.section	.text._ZN7rocprim17ROCPRIM_400000_NS6detail17trampoline_kernelINS0_14default_configENS1_38merge_sort_block_merge_config_selectorIssEEZZNS1_27merge_sort_block_merge_implIS3_N6thrust23THRUST_200600_302600_NS6detail15normal_iteratorINS8_10device_ptrIsEEEESD_jNS1_19radix_merge_compareILb0ELb0EsNS0_19identity_decomposerEEEEE10hipError_tT0_T1_T2_jT3_P12ihipStream_tbPNSt15iterator_traitsISI_E10value_typeEPNSO_ISJ_E10value_typeEPSK_NS1_7vsmem_tEENKUlT_SI_SJ_SK_E_clIPsSD_S10_SD_EESH_SX_SI_SJ_SK_EUlSX_E0_NS1_11comp_targetILNS1_3genE10ELNS1_11target_archE1201ELNS1_3gpuE5ELNS1_3repE0EEENS1_38merge_mergepath_config_static_selectorELNS0_4arch9wavefront6targetE1EEEvSJ_,"axG",@progbits,_ZN7rocprim17ROCPRIM_400000_NS6detail17trampoline_kernelINS0_14default_configENS1_38merge_sort_block_merge_config_selectorIssEEZZNS1_27merge_sort_block_merge_implIS3_N6thrust23THRUST_200600_302600_NS6detail15normal_iteratorINS8_10device_ptrIsEEEESD_jNS1_19radix_merge_compareILb0ELb0EsNS0_19identity_decomposerEEEEE10hipError_tT0_T1_T2_jT3_P12ihipStream_tbPNSt15iterator_traitsISI_E10value_typeEPNSO_ISJ_E10value_typeEPSK_NS1_7vsmem_tEENKUlT_SI_SJ_SK_E_clIPsSD_S10_SD_EESH_SX_SI_SJ_SK_EUlSX_E0_NS1_11comp_targetILNS1_3genE10ELNS1_11target_archE1201ELNS1_3gpuE5ELNS1_3repE0EEENS1_38merge_mergepath_config_static_selectorELNS0_4arch9wavefront6targetE1EEEvSJ_,comdat
.Lfunc_end1519:
	.size	_ZN7rocprim17ROCPRIM_400000_NS6detail17trampoline_kernelINS0_14default_configENS1_38merge_sort_block_merge_config_selectorIssEEZZNS1_27merge_sort_block_merge_implIS3_N6thrust23THRUST_200600_302600_NS6detail15normal_iteratorINS8_10device_ptrIsEEEESD_jNS1_19radix_merge_compareILb0ELb0EsNS0_19identity_decomposerEEEEE10hipError_tT0_T1_T2_jT3_P12ihipStream_tbPNSt15iterator_traitsISI_E10value_typeEPNSO_ISJ_E10value_typeEPSK_NS1_7vsmem_tEENKUlT_SI_SJ_SK_E_clIPsSD_S10_SD_EESH_SX_SI_SJ_SK_EUlSX_E0_NS1_11comp_targetILNS1_3genE10ELNS1_11target_archE1201ELNS1_3gpuE5ELNS1_3repE0EEENS1_38merge_mergepath_config_static_selectorELNS0_4arch9wavefront6targetE1EEEvSJ_, .Lfunc_end1519-_ZN7rocprim17ROCPRIM_400000_NS6detail17trampoline_kernelINS0_14default_configENS1_38merge_sort_block_merge_config_selectorIssEEZZNS1_27merge_sort_block_merge_implIS3_N6thrust23THRUST_200600_302600_NS6detail15normal_iteratorINS8_10device_ptrIsEEEESD_jNS1_19radix_merge_compareILb0ELb0EsNS0_19identity_decomposerEEEEE10hipError_tT0_T1_T2_jT3_P12ihipStream_tbPNSt15iterator_traitsISI_E10value_typeEPNSO_ISJ_E10value_typeEPSK_NS1_7vsmem_tEENKUlT_SI_SJ_SK_E_clIPsSD_S10_SD_EESH_SX_SI_SJ_SK_EUlSX_E0_NS1_11comp_targetILNS1_3genE10ELNS1_11target_archE1201ELNS1_3gpuE5ELNS1_3repE0EEENS1_38merge_mergepath_config_static_selectorELNS0_4arch9wavefront6targetE1EEEvSJ_
                                        ; -- End function
	.set _ZN7rocprim17ROCPRIM_400000_NS6detail17trampoline_kernelINS0_14default_configENS1_38merge_sort_block_merge_config_selectorIssEEZZNS1_27merge_sort_block_merge_implIS3_N6thrust23THRUST_200600_302600_NS6detail15normal_iteratorINS8_10device_ptrIsEEEESD_jNS1_19radix_merge_compareILb0ELb0EsNS0_19identity_decomposerEEEEE10hipError_tT0_T1_T2_jT3_P12ihipStream_tbPNSt15iterator_traitsISI_E10value_typeEPNSO_ISJ_E10value_typeEPSK_NS1_7vsmem_tEENKUlT_SI_SJ_SK_E_clIPsSD_S10_SD_EESH_SX_SI_SJ_SK_EUlSX_E0_NS1_11comp_targetILNS1_3genE10ELNS1_11target_archE1201ELNS1_3gpuE5ELNS1_3repE0EEENS1_38merge_mergepath_config_static_selectorELNS0_4arch9wavefront6targetE1EEEvSJ_.num_vgpr, 0
	.set _ZN7rocprim17ROCPRIM_400000_NS6detail17trampoline_kernelINS0_14default_configENS1_38merge_sort_block_merge_config_selectorIssEEZZNS1_27merge_sort_block_merge_implIS3_N6thrust23THRUST_200600_302600_NS6detail15normal_iteratorINS8_10device_ptrIsEEEESD_jNS1_19radix_merge_compareILb0ELb0EsNS0_19identity_decomposerEEEEE10hipError_tT0_T1_T2_jT3_P12ihipStream_tbPNSt15iterator_traitsISI_E10value_typeEPNSO_ISJ_E10value_typeEPSK_NS1_7vsmem_tEENKUlT_SI_SJ_SK_E_clIPsSD_S10_SD_EESH_SX_SI_SJ_SK_EUlSX_E0_NS1_11comp_targetILNS1_3genE10ELNS1_11target_archE1201ELNS1_3gpuE5ELNS1_3repE0EEENS1_38merge_mergepath_config_static_selectorELNS0_4arch9wavefront6targetE1EEEvSJ_.num_agpr, 0
	.set _ZN7rocprim17ROCPRIM_400000_NS6detail17trampoline_kernelINS0_14default_configENS1_38merge_sort_block_merge_config_selectorIssEEZZNS1_27merge_sort_block_merge_implIS3_N6thrust23THRUST_200600_302600_NS6detail15normal_iteratorINS8_10device_ptrIsEEEESD_jNS1_19radix_merge_compareILb0ELb0EsNS0_19identity_decomposerEEEEE10hipError_tT0_T1_T2_jT3_P12ihipStream_tbPNSt15iterator_traitsISI_E10value_typeEPNSO_ISJ_E10value_typeEPSK_NS1_7vsmem_tEENKUlT_SI_SJ_SK_E_clIPsSD_S10_SD_EESH_SX_SI_SJ_SK_EUlSX_E0_NS1_11comp_targetILNS1_3genE10ELNS1_11target_archE1201ELNS1_3gpuE5ELNS1_3repE0EEENS1_38merge_mergepath_config_static_selectorELNS0_4arch9wavefront6targetE1EEEvSJ_.numbered_sgpr, 0
	.set _ZN7rocprim17ROCPRIM_400000_NS6detail17trampoline_kernelINS0_14default_configENS1_38merge_sort_block_merge_config_selectorIssEEZZNS1_27merge_sort_block_merge_implIS3_N6thrust23THRUST_200600_302600_NS6detail15normal_iteratorINS8_10device_ptrIsEEEESD_jNS1_19radix_merge_compareILb0ELb0EsNS0_19identity_decomposerEEEEE10hipError_tT0_T1_T2_jT3_P12ihipStream_tbPNSt15iterator_traitsISI_E10value_typeEPNSO_ISJ_E10value_typeEPSK_NS1_7vsmem_tEENKUlT_SI_SJ_SK_E_clIPsSD_S10_SD_EESH_SX_SI_SJ_SK_EUlSX_E0_NS1_11comp_targetILNS1_3genE10ELNS1_11target_archE1201ELNS1_3gpuE5ELNS1_3repE0EEENS1_38merge_mergepath_config_static_selectorELNS0_4arch9wavefront6targetE1EEEvSJ_.num_named_barrier, 0
	.set _ZN7rocprim17ROCPRIM_400000_NS6detail17trampoline_kernelINS0_14default_configENS1_38merge_sort_block_merge_config_selectorIssEEZZNS1_27merge_sort_block_merge_implIS3_N6thrust23THRUST_200600_302600_NS6detail15normal_iteratorINS8_10device_ptrIsEEEESD_jNS1_19radix_merge_compareILb0ELb0EsNS0_19identity_decomposerEEEEE10hipError_tT0_T1_T2_jT3_P12ihipStream_tbPNSt15iterator_traitsISI_E10value_typeEPNSO_ISJ_E10value_typeEPSK_NS1_7vsmem_tEENKUlT_SI_SJ_SK_E_clIPsSD_S10_SD_EESH_SX_SI_SJ_SK_EUlSX_E0_NS1_11comp_targetILNS1_3genE10ELNS1_11target_archE1201ELNS1_3gpuE5ELNS1_3repE0EEENS1_38merge_mergepath_config_static_selectorELNS0_4arch9wavefront6targetE1EEEvSJ_.private_seg_size, 0
	.set _ZN7rocprim17ROCPRIM_400000_NS6detail17trampoline_kernelINS0_14default_configENS1_38merge_sort_block_merge_config_selectorIssEEZZNS1_27merge_sort_block_merge_implIS3_N6thrust23THRUST_200600_302600_NS6detail15normal_iteratorINS8_10device_ptrIsEEEESD_jNS1_19radix_merge_compareILb0ELb0EsNS0_19identity_decomposerEEEEE10hipError_tT0_T1_T2_jT3_P12ihipStream_tbPNSt15iterator_traitsISI_E10value_typeEPNSO_ISJ_E10value_typeEPSK_NS1_7vsmem_tEENKUlT_SI_SJ_SK_E_clIPsSD_S10_SD_EESH_SX_SI_SJ_SK_EUlSX_E0_NS1_11comp_targetILNS1_3genE10ELNS1_11target_archE1201ELNS1_3gpuE5ELNS1_3repE0EEENS1_38merge_mergepath_config_static_selectorELNS0_4arch9wavefront6targetE1EEEvSJ_.uses_vcc, 0
	.set _ZN7rocprim17ROCPRIM_400000_NS6detail17trampoline_kernelINS0_14default_configENS1_38merge_sort_block_merge_config_selectorIssEEZZNS1_27merge_sort_block_merge_implIS3_N6thrust23THRUST_200600_302600_NS6detail15normal_iteratorINS8_10device_ptrIsEEEESD_jNS1_19radix_merge_compareILb0ELb0EsNS0_19identity_decomposerEEEEE10hipError_tT0_T1_T2_jT3_P12ihipStream_tbPNSt15iterator_traitsISI_E10value_typeEPNSO_ISJ_E10value_typeEPSK_NS1_7vsmem_tEENKUlT_SI_SJ_SK_E_clIPsSD_S10_SD_EESH_SX_SI_SJ_SK_EUlSX_E0_NS1_11comp_targetILNS1_3genE10ELNS1_11target_archE1201ELNS1_3gpuE5ELNS1_3repE0EEENS1_38merge_mergepath_config_static_selectorELNS0_4arch9wavefront6targetE1EEEvSJ_.uses_flat_scratch, 0
	.set _ZN7rocprim17ROCPRIM_400000_NS6detail17trampoline_kernelINS0_14default_configENS1_38merge_sort_block_merge_config_selectorIssEEZZNS1_27merge_sort_block_merge_implIS3_N6thrust23THRUST_200600_302600_NS6detail15normal_iteratorINS8_10device_ptrIsEEEESD_jNS1_19radix_merge_compareILb0ELb0EsNS0_19identity_decomposerEEEEE10hipError_tT0_T1_T2_jT3_P12ihipStream_tbPNSt15iterator_traitsISI_E10value_typeEPNSO_ISJ_E10value_typeEPSK_NS1_7vsmem_tEENKUlT_SI_SJ_SK_E_clIPsSD_S10_SD_EESH_SX_SI_SJ_SK_EUlSX_E0_NS1_11comp_targetILNS1_3genE10ELNS1_11target_archE1201ELNS1_3gpuE5ELNS1_3repE0EEENS1_38merge_mergepath_config_static_selectorELNS0_4arch9wavefront6targetE1EEEvSJ_.has_dyn_sized_stack, 0
	.set _ZN7rocprim17ROCPRIM_400000_NS6detail17trampoline_kernelINS0_14default_configENS1_38merge_sort_block_merge_config_selectorIssEEZZNS1_27merge_sort_block_merge_implIS3_N6thrust23THRUST_200600_302600_NS6detail15normal_iteratorINS8_10device_ptrIsEEEESD_jNS1_19radix_merge_compareILb0ELb0EsNS0_19identity_decomposerEEEEE10hipError_tT0_T1_T2_jT3_P12ihipStream_tbPNSt15iterator_traitsISI_E10value_typeEPNSO_ISJ_E10value_typeEPSK_NS1_7vsmem_tEENKUlT_SI_SJ_SK_E_clIPsSD_S10_SD_EESH_SX_SI_SJ_SK_EUlSX_E0_NS1_11comp_targetILNS1_3genE10ELNS1_11target_archE1201ELNS1_3gpuE5ELNS1_3repE0EEENS1_38merge_mergepath_config_static_selectorELNS0_4arch9wavefront6targetE1EEEvSJ_.has_recursion, 0
	.set _ZN7rocprim17ROCPRIM_400000_NS6detail17trampoline_kernelINS0_14default_configENS1_38merge_sort_block_merge_config_selectorIssEEZZNS1_27merge_sort_block_merge_implIS3_N6thrust23THRUST_200600_302600_NS6detail15normal_iteratorINS8_10device_ptrIsEEEESD_jNS1_19radix_merge_compareILb0ELb0EsNS0_19identity_decomposerEEEEE10hipError_tT0_T1_T2_jT3_P12ihipStream_tbPNSt15iterator_traitsISI_E10value_typeEPNSO_ISJ_E10value_typeEPSK_NS1_7vsmem_tEENKUlT_SI_SJ_SK_E_clIPsSD_S10_SD_EESH_SX_SI_SJ_SK_EUlSX_E0_NS1_11comp_targetILNS1_3genE10ELNS1_11target_archE1201ELNS1_3gpuE5ELNS1_3repE0EEENS1_38merge_mergepath_config_static_selectorELNS0_4arch9wavefront6targetE1EEEvSJ_.has_indirect_call, 0
	.section	.AMDGPU.csdata,"",@progbits
; Kernel info:
; codeLenInByte = 0
; TotalNumSgprs: 6
; NumVgprs: 0
; NumAgprs: 0
; TotalNumVgprs: 0
; ScratchSize: 0
; MemoryBound: 0
; FloatMode: 240
; IeeeMode: 1
; LDSByteSize: 0 bytes/workgroup (compile time only)
; SGPRBlocks: 0
; VGPRBlocks: 0
; NumSGPRsForWavesPerEU: 6
; NumVGPRsForWavesPerEU: 1
; AccumOffset: 4
; Occupancy: 8
; WaveLimiterHint : 0
; COMPUTE_PGM_RSRC2:SCRATCH_EN: 0
; COMPUTE_PGM_RSRC2:USER_SGPR: 2
; COMPUTE_PGM_RSRC2:TRAP_HANDLER: 0
; COMPUTE_PGM_RSRC2:TGID_X_EN: 1
; COMPUTE_PGM_RSRC2:TGID_Y_EN: 0
; COMPUTE_PGM_RSRC2:TGID_Z_EN: 0
; COMPUTE_PGM_RSRC2:TIDIG_COMP_CNT: 0
; COMPUTE_PGM_RSRC3_GFX90A:ACCUM_OFFSET: 0
; COMPUTE_PGM_RSRC3_GFX90A:TG_SPLIT: 0
	.section	.text._ZN7rocprim17ROCPRIM_400000_NS6detail17trampoline_kernelINS0_14default_configENS1_38merge_sort_block_merge_config_selectorIssEEZZNS1_27merge_sort_block_merge_implIS3_N6thrust23THRUST_200600_302600_NS6detail15normal_iteratorINS8_10device_ptrIsEEEESD_jNS1_19radix_merge_compareILb0ELb0EsNS0_19identity_decomposerEEEEE10hipError_tT0_T1_T2_jT3_P12ihipStream_tbPNSt15iterator_traitsISI_E10value_typeEPNSO_ISJ_E10value_typeEPSK_NS1_7vsmem_tEENKUlT_SI_SJ_SK_E_clIPsSD_S10_SD_EESH_SX_SI_SJ_SK_EUlSX_E0_NS1_11comp_targetILNS1_3genE5ELNS1_11target_archE942ELNS1_3gpuE9ELNS1_3repE0EEENS1_38merge_mergepath_config_static_selectorELNS0_4arch9wavefront6targetE1EEEvSJ_,"axG",@progbits,_ZN7rocprim17ROCPRIM_400000_NS6detail17trampoline_kernelINS0_14default_configENS1_38merge_sort_block_merge_config_selectorIssEEZZNS1_27merge_sort_block_merge_implIS3_N6thrust23THRUST_200600_302600_NS6detail15normal_iteratorINS8_10device_ptrIsEEEESD_jNS1_19radix_merge_compareILb0ELb0EsNS0_19identity_decomposerEEEEE10hipError_tT0_T1_T2_jT3_P12ihipStream_tbPNSt15iterator_traitsISI_E10value_typeEPNSO_ISJ_E10value_typeEPSK_NS1_7vsmem_tEENKUlT_SI_SJ_SK_E_clIPsSD_S10_SD_EESH_SX_SI_SJ_SK_EUlSX_E0_NS1_11comp_targetILNS1_3genE5ELNS1_11target_archE942ELNS1_3gpuE9ELNS1_3repE0EEENS1_38merge_mergepath_config_static_selectorELNS0_4arch9wavefront6targetE1EEEvSJ_,comdat
	.protected	_ZN7rocprim17ROCPRIM_400000_NS6detail17trampoline_kernelINS0_14default_configENS1_38merge_sort_block_merge_config_selectorIssEEZZNS1_27merge_sort_block_merge_implIS3_N6thrust23THRUST_200600_302600_NS6detail15normal_iteratorINS8_10device_ptrIsEEEESD_jNS1_19radix_merge_compareILb0ELb0EsNS0_19identity_decomposerEEEEE10hipError_tT0_T1_T2_jT3_P12ihipStream_tbPNSt15iterator_traitsISI_E10value_typeEPNSO_ISJ_E10value_typeEPSK_NS1_7vsmem_tEENKUlT_SI_SJ_SK_E_clIPsSD_S10_SD_EESH_SX_SI_SJ_SK_EUlSX_E0_NS1_11comp_targetILNS1_3genE5ELNS1_11target_archE942ELNS1_3gpuE9ELNS1_3repE0EEENS1_38merge_mergepath_config_static_selectorELNS0_4arch9wavefront6targetE1EEEvSJ_ ; -- Begin function _ZN7rocprim17ROCPRIM_400000_NS6detail17trampoline_kernelINS0_14default_configENS1_38merge_sort_block_merge_config_selectorIssEEZZNS1_27merge_sort_block_merge_implIS3_N6thrust23THRUST_200600_302600_NS6detail15normal_iteratorINS8_10device_ptrIsEEEESD_jNS1_19radix_merge_compareILb0ELb0EsNS0_19identity_decomposerEEEEE10hipError_tT0_T1_T2_jT3_P12ihipStream_tbPNSt15iterator_traitsISI_E10value_typeEPNSO_ISJ_E10value_typeEPSK_NS1_7vsmem_tEENKUlT_SI_SJ_SK_E_clIPsSD_S10_SD_EESH_SX_SI_SJ_SK_EUlSX_E0_NS1_11comp_targetILNS1_3genE5ELNS1_11target_archE942ELNS1_3gpuE9ELNS1_3repE0EEENS1_38merge_mergepath_config_static_selectorELNS0_4arch9wavefront6targetE1EEEvSJ_
	.globl	_ZN7rocprim17ROCPRIM_400000_NS6detail17trampoline_kernelINS0_14default_configENS1_38merge_sort_block_merge_config_selectorIssEEZZNS1_27merge_sort_block_merge_implIS3_N6thrust23THRUST_200600_302600_NS6detail15normal_iteratorINS8_10device_ptrIsEEEESD_jNS1_19radix_merge_compareILb0ELb0EsNS0_19identity_decomposerEEEEE10hipError_tT0_T1_T2_jT3_P12ihipStream_tbPNSt15iterator_traitsISI_E10value_typeEPNSO_ISJ_E10value_typeEPSK_NS1_7vsmem_tEENKUlT_SI_SJ_SK_E_clIPsSD_S10_SD_EESH_SX_SI_SJ_SK_EUlSX_E0_NS1_11comp_targetILNS1_3genE5ELNS1_11target_archE942ELNS1_3gpuE9ELNS1_3repE0EEENS1_38merge_mergepath_config_static_selectorELNS0_4arch9wavefront6targetE1EEEvSJ_
	.p2align	8
	.type	_ZN7rocprim17ROCPRIM_400000_NS6detail17trampoline_kernelINS0_14default_configENS1_38merge_sort_block_merge_config_selectorIssEEZZNS1_27merge_sort_block_merge_implIS3_N6thrust23THRUST_200600_302600_NS6detail15normal_iteratorINS8_10device_ptrIsEEEESD_jNS1_19radix_merge_compareILb0ELb0EsNS0_19identity_decomposerEEEEE10hipError_tT0_T1_T2_jT3_P12ihipStream_tbPNSt15iterator_traitsISI_E10value_typeEPNSO_ISJ_E10value_typeEPSK_NS1_7vsmem_tEENKUlT_SI_SJ_SK_E_clIPsSD_S10_SD_EESH_SX_SI_SJ_SK_EUlSX_E0_NS1_11comp_targetILNS1_3genE5ELNS1_11target_archE942ELNS1_3gpuE9ELNS1_3repE0EEENS1_38merge_mergepath_config_static_selectorELNS0_4arch9wavefront6targetE1EEEvSJ_,@function
_ZN7rocprim17ROCPRIM_400000_NS6detail17trampoline_kernelINS0_14default_configENS1_38merge_sort_block_merge_config_selectorIssEEZZNS1_27merge_sort_block_merge_implIS3_N6thrust23THRUST_200600_302600_NS6detail15normal_iteratorINS8_10device_ptrIsEEEESD_jNS1_19radix_merge_compareILb0ELb0EsNS0_19identity_decomposerEEEEE10hipError_tT0_T1_T2_jT3_P12ihipStream_tbPNSt15iterator_traitsISI_E10value_typeEPNSO_ISJ_E10value_typeEPSK_NS1_7vsmem_tEENKUlT_SI_SJ_SK_E_clIPsSD_S10_SD_EESH_SX_SI_SJ_SK_EUlSX_E0_NS1_11comp_targetILNS1_3genE5ELNS1_11target_archE942ELNS1_3gpuE9ELNS1_3repE0EEENS1_38merge_mergepath_config_static_selectorELNS0_4arch9wavefront6targetE1EEEvSJ_: ; @_ZN7rocprim17ROCPRIM_400000_NS6detail17trampoline_kernelINS0_14default_configENS1_38merge_sort_block_merge_config_selectorIssEEZZNS1_27merge_sort_block_merge_implIS3_N6thrust23THRUST_200600_302600_NS6detail15normal_iteratorINS8_10device_ptrIsEEEESD_jNS1_19radix_merge_compareILb0ELb0EsNS0_19identity_decomposerEEEEE10hipError_tT0_T1_T2_jT3_P12ihipStream_tbPNSt15iterator_traitsISI_E10value_typeEPNSO_ISJ_E10value_typeEPSK_NS1_7vsmem_tEENKUlT_SI_SJ_SK_E_clIPsSD_S10_SD_EESH_SX_SI_SJ_SK_EUlSX_E0_NS1_11comp_targetILNS1_3genE5ELNS1_11target_archE942ELNS1_3gpuE9ELNS1_3repE0EEENS1_38merge_mergepath_config_static_selectorELNS0_4arch9wavefront6targetE1EEEvSJ_
; %bb.0:
	.section	.rodata,"a",@progbits
	.p2align	6, 0x0
	.amdhsa_kernel _ZN7rocprim17ROCPRIM_400000_NS6detail17trampoline_kernelINS0_14default_configENS1_38merge_sort_block_merge_config_selectorIssEEZZNS1_27merge_sort_block_merge_implIS3_N6thrust23THRUST_200600_302600_NS6detail15normal_iteratorINS8_10device_ptrIsEEEESD_jNS1_19radix_merge_compareILb0ELb0EsNS0_19identity_decomposerEEEEE10hipError_tT0_T1_T2_jT3_P12ihipStream_tbPNSt15iterator_traitsISI_E10value_typeEPNSO_ISJ_E10value_typeEPSK_NS1_7vsmem_tEENKUlT_SI_SJ_SK_E_clIPsSD_S10_SD_EESH_SX_SI_SJ_SK_EUlSX_E0_NS1_11comp_targetILNS1_3genE5ELNS1_11target_archE942ELNS1_3gpuE9ELNS1_3repE0EEENS1_38merge_mergepath_config_static_selectorELNS0_4arch9wavefront6targetE1EEEvSJ_
		.amdhsa_group_segment_fixed_size 0
		.amdhsa_private_segment_fixed_size 0
		.amdhsa_kernarg_size 64
		.amdhsa_user_sgpr_count 2
		.amdhsa_user_sgpr_dispatch_ptr 0
		.amdhsa_user_sgpr_queue_ptr 0
		.amdhsa_user_sgpr_kernarg_segment_ptr 1
		.amdhsa_user_sgpr_dispatch_id 0
		.amdhsa_user_sgpr_kernarg_preload_length 0
		.amdhsa_user_sgpr_kernarg_preload_offset 0
		.amdhsa_user_sgpr_private_segment_size 0
		.amdhsa_uses_dynamic_stack 0
		.amdhsa_enable_private_segment 0
		.amdhsa_system_sgpr_workgroup_id_x 1
		.amdhsa_system_sgpr_workgroup_id_y 0
		.amdhsa_system_sgpr_workgroup_id_z 0
		.amdhsa_system_sgpr_workgroup_info 0
		.amdhsa_system_vgpr_workitem_id 0
		.amdhsa_next_free_vgpr 1
		.amdhsa_next_free_sgpr 0
		.amdhsa_accum_offset 4
		.amdhsa_reserve_vcc 0
		.amdhsa_float_round_mode_32 0
		.amdhsa_float_round_mode_16_64 0
		.amdhsa_float_denorm_mode_32 3
		.amdhsa_float_denorm_mode_16_64 3
		.amdhsa_dx10_clamp 1
		.amdhsa_ieee_mode 1
		.amdhsa_fp16_overflow 0
		.amdhsa_tg_split 0
		.amdhsa_exception_fp_ieee_invalid_op 0
		.amdhsa_exception_fp_denorm_src 0
		.amdhsa_exception_fp_ieee_div_zero 0
		.amdhsa_exception_fp_ieee_overflow 0
		.amdhsa_exception_fp_ieee_underflow 0
		.amdhsa_exception_fp_ieee_inexact 0
		.amdhsa_exception_int_div_zero 0
	.end_amdhsa_kernel
	.section	.text._ZN7rocprim17ROCPRIM_400000_NS6detail17trampoline_kernelINS0_14default_configENS1_38merge_sort_block_merge_config_selectorIssEEZZNS1_27merge_sort_block_merge_implIS3_N6thrust23THRUST_200600_302600_NS6detail15normal_iteratorINS8_10device_ptrIsEEEESD_jNS1_19radix_merge_compareILb0ELb0EsNS0_19identity_decomposerEEEEE10hipError_tT0_T1_T2_jT3_P12ihipStream_tbPNSt15iterator_traitsISI_E10value_typeEPNSO_ISJ_E10value_typeEPSK_NS1_7vsmem_tEENKUlT_SI_SJ_SK_E_clIPsSD_S10_SD_EESH_SX_SI_SJ_SK_EUlSX_E0_NS1_11comp_targetILNS1_3genE5ELNS1_11target_archE942ELNS1_3gpuE9ELNS1_3repE0EEENS1_38merge_mergepath_config_static_selectorELNS0_4arch9wavefront6targetE1EEEvSJ_,"axG",@progbits,_ZN7rocprim17ROCPRIM_400000_NS6detail17trampoline_kernelINS0_14default_configENS1_38merge_sort_block_merge_config_selectorIssEEZZNS1_27merge_sort_block_merge_implIS3_N6thrust23THRUST_200600_302600_NS6detail15normal_iteratorINS8_10device_ptrIsEEEESD_jNS1_19radix_merge_compareILb0ELb0EsNS0_19identity_decomposerEEEEE10hipError_tT0_T1_T2_jT3_P12ihipStream_tbPNSt15iterator_traitsISI_E10value_typeEPNSO_ISJ_E10value_typeEPSK_NS1_7vsmem_tEENKUlT_SI_SJ_SK_E_clIPsSD_S10_SD_EESH_SX_SI_SJ_SK_EUlSX_E0_NS1_11comp_targetILNS1_3genE5ELNS1_11target_archE942ELNS1_3gpuE9ELNS1_3repE0EEENS1_38merge_mergepath_config_static_selectorELNS0_4arch9wavefront6targetE1EEEvSJ_,comdat
.Lfunc_end1520:
	.size	_ZN7rocprim17ROCPRIM_400000_NS6detail17trampoline_kernelINS0_14default_configENS1_38merge_sort_block_merge_config_selectorIssEEZZNS1_27merge_sort_block_merge_implIS3_N6thrust23THRUST_200600_302600_NS6detail15normal_iteratorINS8_10device_ptrIsEEEESD_jNS1_19radix_merge_compareILb0ELb0EsNS0_19identity_decomposerEEEEE10hipError_tT0_T1_T2_jT3_P12ihipStream_tbPNSt15iterator_traitsISI_E10value_typeEPNSO_ISJ_E10value_typeEPSK_NS1_7vsmem_tEENKUlT_SI_SJ_SK_E_clIPsSD_S10_SD_EESH_SX_SI_SJ_SK_EUlSX_E0_NS1_11comp_targetILNS1_3genE5ELNS1_11target_archE942ELNS1_3gpuE9ELNS1_3repE0EEENS1_38merge_mergepath_config_static_selectorELNS0_4arch9wavefront6targetE1EEEvSJ_, .Lfunc_end1520-_ZN7rocprim17ROCPRIM_400000_NS6detail17trampoline_kernelINS0_14default_configENS1_38merge_sort_block_merge_config_selectorIssEEZZNS1_27merge_sort_block_merge_implIS3_N6thrust23THRUST_200600_302600_NS6detail15normal_iteratorINS8_10device_ptrIsEEEESD_jNS1_19radix_merge_compareILb0ELb0EsNS0_19identity_decomposerEEEEE10hipError_tT0_T1_T2_jT3_P12ihipStream_tbPNSt15iterator_traitsISI_E10value_typeEPNSO_ISJ_E10value_typeEPSK_NS1_7vsmem_tEENKUlT_SI_SJ_SK_E_clIPsSD_S10_SD_EESH_SX_SI_SJ_SK_EUlSX_E0_NS1_11comp_targetILNS1_3genE5ELNS1_11target_archE942ELNS1_3gpuE9ELNS1_3repE0EEENS1_38merge_mergepath_config_static_selectorELNS0_4arch9wavefront6targetE1EEEvSJ_
                                        ; -- End function
	.set _ZN7rocprim17ROCPRIM_400000_NS6detail17trampoline_kernelINS0_14default_configENS1_38merge_sort_block_merge_config_selectorIssEEZZNS1_27merge_sort_block_merge_implIS3_N6thrust23THRUST_200600_302600_NS6detail15normal_iteratorINS8_10device_ptrIsEEEESD_jNS1_19radix_merge_compareILb0ELb0EsNS0_19identity_decomposerEEEEE10hipError_tT0_T1_T2_jT3_P12ihipStream_tbPNSt15iterator_traitsISI_E10value_typeEPNSO_ISJ_E10value_typeEPSK_NS1_7vsmem_tEENKUlT_SI_SJ_SK_E_clIPsSD_S10_SD_EESH_SX_SI_SJ_SK_EUlSX_E0_NS1_11comp_targetILNS1_3genE5ELNS1_11target_archE942ELNS1_3gpuE9ELNS1_3repE0EEENS1_38merge_mergepath_config_static_selectorELNS0_4arch9wavefront6targetE1EEEvSJ_.num_vgpr, 0
	.set _ZN7rocprim17ROCPRIM_400000_NS6detail17trampoline_kernelINS0_14default_configENS1_38merge_sort_block_merge_config_selectorIssEEZZNS1_27merge_sort_block_merge_implIS3_N6thrust23THRUST_200600_302600_NS6detail15normal_iteratorINS8_10device_ptrIsEEEESD_jNS1_19radix_merge_compareILb0ELb0EsNS0_19identity_decomposerEEEEE10hipError_tT0_T1_T2_jT3_P12ihipStream_tbPNSt15iterator_traitsISI_E10value_typeEPNSO_ISJ_E10value_typeEPSK_NS1_7vsmem_tEENKUlT_SI_SJ_SK_E_clIPsSD_S10_SD_EESH_SX_SI_SJ_SK_EUlSX_E0_NS1_11comp_targetILNS1_3genE5ELNS1_11target_archE942ELNS1_3gpuE9ELNS1_3repE0EEENS1_38merge_mergepath_config_static_selectorELNS0_4arch9wavefront6targetE1EEEvSJ_.num_agpr, 0
	.set _ZN7rocprim17ROCPRIM_400000_NS6detail17trampoline_kernelINS0_14default_configENS1_38merge_sort_block_merge_config_selectorIssEEZZNS1_27merge_sort_block_merge_implIS3_N6thrust23THRUST_200600_302600_NS6detail15normal_iteratorINS8_10device_ptrIsEEEESD_jNS1_19radix_merge_compareILb0ELb0EsNS0_19identity_decomposerEEEEE10hipError_tT0_T1_T2_jT3_P12ihipStream_tbPNSt15iterator_traitsISI_E10value_typeEPNSO_ISJ_E10value_typeEPSK_NS1_7vsmem_tEENKUlT_SI_SJ_SK_E_clIPsSD_S10_SD_EESH_SX_SI_SJ_SK_EUlSX_E0_NS1_11comp_targetILNS1_3genE5ELNS1_11target_archE942ELNS1_3gpuE9ELNS1_3repE0EEENS1_38merge_mergepath_config_static_selectorELNS0_4arch9wavefront6targetE1EEEvSJ_.numbered_sgpr, 0
	.set _ZN7rocprim17ROCPRIM_400000_NS6detail17trampoline_kernelINS0_14default_configENS1_38merge_sort_block_merge_config_selectorIssEEZZNS1_27merge_sort_block_merge_implIS3_N6thrust23THRUST_200600_302600_NS6detail15normal_iteratorINS8_10device_ptrIsEEEESD_jNS1_19radix_merge_compareILb0ELb0EsNS0_19identity_decomposerEEEEE10hipError_tT0_T1_T2_jT3_P12ihipStream_tbPNSt15iterator_traitsISI_E10value_typeEPNSO_ISJ_E10value_typeEPSK_NS1_7vsmem_tEENKUlT_SI_SJ_SK_E_clIPsSD_S10_SD_EESH_SX_SI_SJ_SK_EUlSX_E0_NS1_11comp_targetILNS1_3genE5ELNS1_11target_archE942ELNS1_3gpuE9ELNS1_3repE0EEENS1_38merge_mergepath_config_static_selectorELNS0_4arch9wavefront6targetE1EEEvSJ_.num_named_barrier, 0
	.set _ZN7rocprim17ROCPRIM_400000_NS6detail17trampoline_kernelINS0_14default_configENS1_38merge_sort_block_merge_config_selectorIssEEZZNS1_27merge_sort_block_merge_implIS3_N6thrust23THRUST_200600_302600_NS6detail15normal_iteratorINS8_10device_ptrIsEEEESD_jNS1_19radix_merge_compareILb0ELb0EsNS0_19identity_decomposerEEEEE10hipError_tT0_T1_T2_jT3_P12ihipStream_tbPNSt15iterator_traitsISI_E10value_typeEPNSO_ISJ_E10value_typeEPSK_NS1_7vsmem_tEENKUlT_SI_SJ_SK_E_clIPsSD_S10_SD_EESH_SX_SI_SJ_SK_EUlSX_E0_NS1_11comp_targetILNS1_3genE5ELNS1_11target_archE942ELNS1_3gpuE9ELNS1_3repE0EEENS1_38merge_mergepath_config_static_selectorELNS0_4arch9wavefront6targetE1EEEvSJ_.private_seg_size, 0
	.set _ZN7rocprim17ROCPRIM_400000_NS6detail17trampoline_kernelINS0_14default_configENS1_38merge_sort_block_merge_config_selectorIssEEZZNS1_27merge_sort_block_merge_implIS3_N6thrust23THRUST_200600_302600_NS6detail15normal_iteratorINS8_10device_ptrIsEEEESD_jNS1_19radix_merge_compareILb0ELb0EsNS0_19identity_decomposerEEEEE10hipError_tT0_T1_T2_jT3_P12ihipStream_tbPNSt15iterator_traitsISI_E10value_typeEPNSO_ISJ_E10value_typeEPSK_NS1_7vsmem_tEENKUlT_SI_SJ_SK_E_clIPsSD_S10_SD_EESH_SX_SI_SJ_SK_EUlSX_E0_NS1_11comp_targetILNS1_3genE5ELNS1_11target_archE942ELNS1_3gpuE9ELNS1_3repE0EEENS1_38merge_mergepath_config_static_selectorELNS0_4arch9wavefront6targetE1EEEvSJ_.uses_vcc, 0
	.set _ZN7rocprim17ROCPRIM_400000_NS6detail17trampoline_kernelINS0_14default_configENS1_38merge_sort_block_merge_config_selectorIssEEZZNS1_27merge_sort_block_merge_implIS3_N6thrust23THRUST_200600_302600_NS6detail15normal_iteratorINS8_10device_ptrIsEEEESD_jNS1_19radix_merge_compareILb0ELb0EsNS0_19identity_decomposerEEEEE10hipError_tT0_T1_T2_jT3_P12ihipStream_tbPNSt15iterator_traitsISI_E10value_typeEPNSO_ISJ_E10value_typeEPSK_NS1_7vsmem_tEENKUlT_SI_SJ_SK_E_clIPsSD_S10_SD_EESH_SX_SI_SJ_SK_EUlSX_E0_NS1_11comp_targetILNS1_3genE5ELNS1_11target_archE942ELNS1_3gpuE9ELNS1_3repE0EEENS1_38merge_mergepath_config_static_selectorELNS0_4arch9wavefront6targetE1EEEvSJ_.uses_flat_scratch, 0
	.set _ZN7rocprim17ROCPRIM_400000_NS6detail17trampoline_kernelINS0_14default_configENS1_38merge_sort_block_merge_config_selectorIssEEZZNS1_27merge_sort_block_merge_implIS3_N6thrust23THRUST_200600_302600_NS6detail15normal_iteratorINS8_10device_ptrIsEEEESD_jNS1_19radix_merge_compareILb0ELb0EsNS0_19identity_decomposerEEEEE10hipError_tT0_T1_T2_jT3_P12ihipStream_tbPNSt15iterator_traitsISI_E10value_typeEPNSO_ISJ_E10value_typeEPSK_NS1_7vsmem_tEENKUlT_SI_SJ_SK_E_clIPsSD_S10_SD_EESH_SX_SI_SJ_SK_EUlSX_E0_NS1_11comp_targetILNS1_3genE5ELNS1_11target_archE942ELNS1_3gpuE9ELNS1_3repE0EEENS1_38merge_mergepath_config_static_selectorELNS0_4arch9wavefront6targetE1EEEvSJ_.has_dyn_sized_stack, 0
	.set _ZN7rocprim17ROCPRIM_400000_NS6detail17trampoline_kernelINS0_14default_configENS1_38merge_sort_block_merge_config_selectorIssEEZZNS1_27merge_sort_block_merge_implIS3_N6thrust23THRUST_200600_302600_NS6detail15normal_iteratorINS8_10device_ptrIsEEEESD_jNS1_19radix_merge_compareILb0ELb0EsNS0_19identity_decomposerEEEEE10hipError_tT0_T1_T2_jT3_P12ihipStream_tbPNSt15iterator_traitsISI_E10value_typeEPNSO_ISJ_E10value_typeEPSK_NS1_7vsmem_tEENKUlT_SI_SJ_SK_E_clIPsSD_S10_SD_EESH_SX_SI_SJ_SK_EUlSX_E0_NS1_11comp_targetILNS1_3genE5ELNS1_11target_archE942ELNS1_3gpuE9ELNS1_3repE0EEENS1_38merge_mergepath_config_static_selectorELNS0_4arch9wavefront6targetE1EEEvSJ_.has_recursion, 0
	.set _ZN7rocprim17ROCPRIM_400000_NS6detail17trampoline_kernelINS0_14default_configENS1_38merge_sort_block_merge_config_selectorIssEEZZNS1_27merge_sort_block_merge_implIS3_N6thrust23THRUST_200600_302600_NS6detail15normal_iteratorINS8_10device_ptrIsEEEESD_jNS1_19radix_merge_compareILb0ELb0EsNS0_19identity_decomposerEEEEE10hipError_tT0_T1_T2_jT3_P12ihipStream_tbPNSt15iterator_traitsISI_E10value_typeEPNSO_ISJ_E10value_typeEPSK_NS1_7vsmem_tEENKUlT_SI_SJ_SK_E_clIPsSD_S10_SD_EESH_SX_SI_SJ_SK_EUlSX_E0_NS1_11comp_targetILNS1_3genE5ELNS1_11target_archE942ELNS1_3gpuE9ELNS1_3repE0EEENS1_38merge_mergepath_config_static_selectorELNS0_4arch9wavefront6targetE1EEEvSJ_.has_indirect_call, 0
	.section	.AMDGPU.csdata,"",@progbits
; Kernel info:
; codeLenInByte = 0
; TotalNumSgprs: 6
; NumVgprs: 0
; NumAgprs: 0
; TotalNumVgprs: 0
; ScratchSize: 0
; MemoryBound: 0
; FloatMode: 240
; IeeeMode: 1
; LDSByteSize: 0 bytes/workgroup (compile time only)
; SGPRBlocks: 0
; VGPRBlocks: 0
; NumSGPRsForWavesPerEU: 6
; NumVGPRsForWavesPerEU: 1
; AccumOffset: 4
; Occupancy: 8
; WaveLimiterHint : 0
; COMPUTE_PGM_RSRC2:SCRATCH_EN: 0
; COMPUTE_PGM_RSRC2:USER_SGPR: 2
; COMPUTE_PGM_RSRC2:TRAP_HANDLER: 0
; COMPUTE_PGM_RSRC2:TGID_X_EN: 1
; COMPUTE_PGM_RSRC2:TGID_Y_EN: 0
; COMPUTE_PGM_RSRC2:TGID_Z_EN: 0
; COMPUTE_PGM_RSRC2:TIDIG_COMP_CNT: 0
; COMPUTE_PGM_RSRC3_GFX90A:ACCUM_OFFSET: 0
; COMPUTE_PGM_RSRC3_GFX90A:TG_SPLIT: 0
	.section	.text._ZN7rocprim17ROCPRIM_400000_NS6detail17trampoline_kernelINS0_14default_configENS1_38merge_sort_block_merge_config_selectorIssEEZZNS1_27merge_sort_block_merge_implIS3_N6thrust23THRUST_200600_302600_NS6detail15normal_iteratorINS8_10device_ptrIsEEEESD_jNS1_19radix_merge_compareILb0ELb0EsNS0_19identity_decomposerEEEEE10hipError_tT0_T1_T2_jT3_P12ihipStream_tbPNSt15iterator_traitsISI_E10value_typeEPNSO_ISJ_E10value_typeEPSK_NS1_7vsmem_tEENKUlT_SI_SJ_SK_E_clIPsSD_S10_SD_EESH_SX_SI_SJ_SK_EUlSX_E0_NS1_11comp_targetILNS1_3genE4ELNS1_11target_archE910ELNS1_3gpuE8ELNS1_3repE0EEENS1_38merge_mergepath_config_static_selectorELNS0_4arch9wavefront6targetE1EEEvSJ_,"axG",@progbits,_ZN7rocprim17ROCPRIM_400000_NS6detail17trampoline_kernelINS0_14default_configENS1_38merge_sort_block_merge_config_selectorIssEEZZNS1_27merge_sort_block_merge_implIS3_N6thrust23THRUST_200600_302600_NS6detail15normal_iteratorINS8_10device_ptrIsEEEESD_jNS1_19radix_merge_compareILb0ELb0EsNS0_19identity_decomposerEEEEE10hipError_tT0_T1_T2_jT3_P12ihipStream_tbPNSt15iterator_traitsISI_E10value_typeEPNSO_ISJ_E10value_typeEPSK_NS1_7vsmem_tEENKUlT_SI_SJ_SK_E_clIPsSD_S10_SD_EESH_SX_SI_SJ_SK_EUlSX_E0_NS1_11comp_targetILNS1_3genE4ELNS1_11target_archE910ELNS1_3gpuE8ELNS1_3repE0EEENS1_38merge_mergepath_config_static_selectorELNS0_4arch9wavefront6targetE1EEEvSJ_,comdat
	.protected	_ZN7rocprim17ROCPRIM_400000_NS6detail17trampoline_kernelINS0_14default_configENS1_38merge_sort_block_merge_config_selectorIssEEZZNS1_27merge_sort_block_merge_implIS3_N6thrust23THRUST_200600_302600_NS6detail15normal_iteratorINS8_10device_ptrIsEEEESD_jNS1_19radix_merge_compareILb0ELb0EsNS0_19identity_decomposerEEEEE10hipError_tT0_T1_T2_jT3_P12ihipStream_tbPNSt15iterator_traitsISI_E10value_typeEPNSO_ISJ_E10value_typeEPSK_NS1_7vsmem_tEENKUlT_SI_SJ_SK_E_clIPsSD_S10_SD_EESH_SX_SI_SJ_SK_EUlSX_E0_NS1_11comp_targetILNS1_3genE4ELNS1_11target_archE910ELNS1_3gpuE8ELNS1_3repE0EEENS1_38merge_mergepath_config_static_selectorELNS0_4arch9wavefront6targetE1EEEvSJ_ ; -- Begin function _ZN7rocprim17ROCPRIM_400000_NS6detail17trampoline_kernelINS0_14default_configENS1_38merge_sort_block_merge_config_selectorIssEEZZNS1_27merge_sort_block_merge_implIS3_N6thrust23THRUST_200600_302600_NS6detail15normal_iteratorINS8_10device_ptrIsEEEESD_jNS1_19radix_merge_compareILb0ELb0EsNS0_19identity_decomposerEEEEE10hipError_tT0_T1_T2_jT3_P12ihipStream_tbPNSt15iterator_traitsISI_E10value_typeEPNSO_ISJ_E10value_typeEPSK_NS1_7vsmem_tEENKUlT_SI_SJ_SK_E_clIPsSD_S10_SD_EESH_SX_SI_SJ_SK_EUlSX_E0_NS1_11comp_targetILNS1_3genE4ELNS1_11target_archE910ELNS1_3gpuE8ELNS1_3repE0EEENS1_38merge_mergepath_config_static_selectorELNS0_4arch9wavefront6targetE1EEEvSJ_
	.globl	_ZN7rocprim17ROCPRIM_400000_NS6detail17trampoline_kernelINS0_14default_configENS1_38merge_sort_block_merge_config_selectorIssEEZZNS1_27merge_sort_block_merge_implIS3_N6thrust23THRUST_200600_302600_NS6detail15normal_iteratorINS8_10device_ptrIsEEEESD_jNS1_19radix_merge_compareILb0ELb0EsNS0_19identity_decomposerEEEEE10hipError_tT0_T1_T2_jT3_P12ihipStream_tbPNSt15iterator_traitsISI_E10value_typeEPNSO_ISJ_E10value_typeEPSK_NS1_7vsmem_tEENKUlT_SI_SJ_SK_E_clIPsSD_S10_SD_EESH_SX_SI_SJ_SK_EUlSX_E0_NS1_11comp_targetILNS1_3genE4ELNS1_11target_archE910ELNS1_3gpuE8ELNS1_3repE0EEENS1_38merge_mergepath_config_static_selectorELNS0_4arch9wavefront6targetE1EEEvSJ_
	.p2align	8
	.type	_ZN7rocprim17ROCPRIM_400000_NS6detail17trampoline_kernelINS0_14default_configENS1_38merge_sort_block_merge_config_selectorIssEEZZNS1_27merge_sort_block_merge_implIS3_N6thrust23THRUST_200600_302600_NS6detail15normal_iteratorINS8_10device_ptrIsEEEESD_jNS1_19radix_merge_compareILb0ELb0EsNS0_19identity_decomposerEEEEE10hipError_tT0_T1_T2_jT3_P12ihipStream_tbPNSt15iterator_traitsISI_E10value_typeEPNSO_ISJ_E10value_typeEPSK_NS1_7vsmem_tEENKUlT_SI_SJ_SK_E_clIPsSD_S10_SD_EESH_SX_SI_SJ_SK_EUlSX_E0_NS1_11comp_targetILNS1_3genE4ELNS1_11target_archE910ELNS1_3gpuE8ELNS1_3repE0EEENS1_38merge_mergepath_config_static_selectorELNS0_4arch9wavefront6targetE1EEEvSJ_,@function
_ZN7rocprim17ROCPRIM_400000_NS6detail17trampoline_kernelINS0_14default_configENS1_38merge_sort_block_merge_config_selectorIssEEZZNS1_27merge_sort_block_merge_implIS3_N6thrust23THRUST_200600_302600_NS6detail15normal_iteratorINS8_10device_ptrIsEEEESD_jNS1_19radix_merge_compareILb0ELb0EsNS0_19identity_decomposerEEEEE10hipError_tT0_T1_T2_jT3_P12ihipStream_tbPNSt15iterator_traitsISI_E10value_typeEPNSO_ISJ_E10value_typeEPSK_NS1_7vsmem_tEENKUlT_SI_SJ_SK_E_clIPsSD_S10_SD_EESH_SX_SI_SJ_SK_EUlSX_E0_NS1_11comp_targetILNS1_3genE4ELNS1_11target_archE910ELNS1_3gpuE8ELNS1_3repE0EEENS1_38merge_mergepath_config_static_selectorELNS0_4arch9wavefront6targetE1EEEvSJ_: ; @_ZN7rocprim17ROCPRIM_400000_NS6detail17trampoline_kernelINS0_14default_configENS1_38merge_sort_block_merge_config_selectorIssEEZZNS1_27merge_sort_block_merge_implIS3_N6thrust23THRUST_200600_302600_NS6detail15normal_iteratorINS8_10device_ptrIsEEEESD_jNS1_19radix_merge_compareILb0ELb0EsNS0_19identity_decomposerEEEEE10hipError_tT0_T1_T2_jT3_P12ihipStream_tbPNSt15iterator_traitsISI_E10value_typeEPNSO_ISJ_E10value_typeEPSK_NS1_7vsmem_tEENKUlT_SI_SJ_SK_E_clIPsSD_S10_SD_EESH_SX_SI_SJ_SK_EUlSX_E0_NS1_11comp_targetILNS1_3genE4ELNS1_11target_archE910ELNS1_3gpuE8ELNS1_3repE0EEENS1_38merge_mergepath_config_static_selectorELNS0_4arch9wavefront6targetE1EEEvSJ_
; %bb.0:
	.section	.rodata,"a",@progbits
	.p2align	6, 0x0
	.amdhsa_kernel _ZN7rocprim17ROCPRIM_400000_NS6detail17trampoline_kernelINS0_14default_configENS1_38merge_sort_block_merge_config_selectorIssEEZZNS1_27merge_sort_block_merge_implIS3_N6thrust23THRUST_200600_302600_NS6detail15normal_iteratorINS8_10device_ptrIsEEEESD_jNS1_19radix_merge_compareILb0ELb0EsNS0_19identity_decomposerEEEEE10hipError_tT0_T1_T2_jT3_P12ihipStream_tbPNSt15iterator_traitsISI_E10value_typeEPNSO_ISJ_E10value_typeEPSK_NS1_7vsmem_tEENKUlT_SI_SJ_SK_E_clIPsSD_S10_SD_EESH_SX_SI_SJ_SK_EUlSX_E0_NS1_11comp_targetILNS1_3genE4ELNS1_11target_archE910ELNS1_3gpuE8ELNS1_3repE0EEENS1_38merge_mergepath_config_static_selectorELNS0_4arch9wavefront6targetE1EEEvSJ_
		.amdhsa_group_segment_fixed_size 0
		.amdhsa_private_segment_fixed_size 0
		.amdhsa_kernarg_size 64
		.amdhsa_user_sgpr_count 2
		.amdhsa_user_sgpr_dispatch_ptr 0
		.amdhsa_user_sgpr_queue_ptr 0
		.amdhsa_user_sgpr_kernarg_segment_ptr 1
		.amdhsa_user_sgpr_dispatch_id 0
		.amdhsa_user_sgpr_kernarg_preload_length 0
		.amdhsa_user_sgpr_kernarg_preload_offset 0
		.amdhsa_user_sgpr_private_segment_size 0
		.amdhsa_uses_dynamic_stack 0
		.amdhsa_enable_private_segment 0
		.amdhsa_system_sgpr_workgroup_id_x 1
		.amdhsa_system_sgpr_workgroup_id_y 0
		.amdhsa_system_sgpr_workgroup_id_z 0
		.amdhsa_system_sgpr_workgroup_info 0
		.amdhsa_system_vgpr_workitem_id 0
		.amdhsa_next_free_vgpr 1
		.amdhsa_next_free_sgpr 0
		.amdhsa_accum_offset 4
		.amdhsa_reserve_vcc 0
		.amdhsa_float_round_mode_32 0
		.amdhsa_float_round_mode_16_64 0
		.amdhsa_float_denorm_mode_32 3
		.amdhsa_float_denorm_mode_16_64 3
		.amdhsa_dx10_clamp 1
		.amdhsa_ieee_mode 1
		.amdhsa_fp16_overflow 0
		.amdhsa_tg_split 0
		.amdhsa_exception_fp_ieee_invalid_op 0
		.amdhsa_exception_fp_denorm_src 0
		.amdhsa_exception_fp_ieee_div_zero 0
		.amdhsa_exception_fp_ieee_overflow 0
		.amdhsa_exception_fp_ieee_underflow 0
		.amdhsa_exception_fp_ieee_inexact 0
		.amdhsa_exception_int_div_zero 0
	.end_amdhsa_kernel
	.section	.text._ZN7rocprim17ROCPRIM_400000_NS6detail17trampoline_kernelINS0_14default_configENS1_38merge_sort_block_merge_config_selectorIssEEZZNS1_27merge_sort_block_merge_implIS3_N6thrust23THRUST_200600_302600_NS6detail15normal_iteratorINS8_10device_ptrIsEEEESD_jNS1_19radix_merge_compareILb0ELb0EsNS0_19identity_decomposerEEEEE10hipError_tT0_T1_T2_jT3_P12ihipStream_tbPNSt15iterator_traitsISI_E10value_typeEPNSO_ISJ_E10value_typeEPSK_NS1_7vsmem_tEENKUlT_SI_SJ_SK_E_clIPsSD_S10_SD_EESH_SX_SI_SJ_SK_EUlSX_E0_NS1_11comp_targetILNS1_3genE4ELNS1_11target_archE910ELNS1_3gpuE8ELNS1_3repE0EEENS1_38merge_mergepath_config_static_selectorELNS0_4arch9wavefront6targetE1EEEvSJ_,"axG",@progbits,_ZN7rocprim17ROCPRIM_400000_NS6detail17trampoline_kernelINS0_14default_configENS1_38merge_sort_block_merge_config_selectorIssEEZZNS1_27merge_sort_block_merge_implIS3_N6thrust23THRUST_200600_302600_NS6detail15normal_iteratorINS8_10device_ptrIsEEEESD_jNS1_19radix_merge_compareILb0ELb0EsNS0_19identity_decomposerEEEEE10hipError_tT0_T1_T2_jT3_P12ihipStream_tbPNSt15iterator_traitsISI_E10value_typeEPNSO_ISJ_E10value_typeEPSK_NS1_7vsmem_tEENKUlT_SI_SJ_SK_E_clIPsSD_S10_SD_EESH_SX_SI_SJ_SK_EUlSX_E0_NS1_11comp_targetILNS1_3genE4ELNS1_11target_archE910ELNS1_3gpuE8ELNS1_3repE0EEENS1_38merge_mergepath_config_static_selectorELNS0_4arch9wavefront6targetE1EEEvSJ_,comdat
.Lfunc_end1521:
	.size	_ZN7rocprim17ROCPRIM_400000_NS6detail17trampoline_kernelINS0_14default_configENS1_38merge_sort_block_merge_config_selectorIssEEZZNS1_27merge_sort_block_merge_implIS3_N6thrust23THRUST_200600_302600_NS6detail15normal_iteratorINS8_10device_ptrIsEEEESD_jNS1_19radix_merge_compareILb0ELb0EsNS0_19identity_decomposerEEEEE10hipError_tT0_T1_T2_jT3_P12ihipStream_tbPNSt15iterator_traitsISI_E10value_typeEPNSO_ISJ_E10value_typeEPSK_NS1_7vsmem_tEENKUlT_SI_SJ_SK_E_clIPsSD_S10_SD_EESH_SX_SI_SJ_SK_EUlSX_E0_NS1_11comp_targetILNS1_3genE4ELNS1_11target_archE910ELNS1_3gpuE8ELNS1_3repE0EEENS1_38merge_mergepath_config_static_selectorELNS0_4arch9wavefront6targetE1EEEvSJ_, .Lfunc_end1521-_ZN7rocprim17ROCPRIM_400000_NS6detail17trampoline_kernelINS0_14default_configENS1_38merge_sort_block_merge_config_selectorIssEEZZNS1_27merge_sort_block_merge_implIS3_N6thrust23THRUST_200600_302600_NS6detail15normal_iteratorINS8_10device_ptrIsEEEESD_jNS1_19radix_merge_compareILb0ELb0EsNS0_19identity_decomposerEEEEE10hipError_tT0_T1_T2_jT3_P12ihipStream_tbPNSt15iterator_traitsISI_E10value_typeEPNSO_ISJ_E10value_typeEPSK_NS1_7vsmem_tEENKUlT_SI_SJ_SK_E_clIPsSD_S10_SD_EESH_SX_SI_SJ_SK_EUlSX_E0_NS1_11comp_targetILNS1_3genE4ELNS1_11target_archE910ELNS1_3gpuE8ELNS1_3repE0EEENS1_38merge_mergepath_config_static_selectorELNS0_4arch9wavefront6targetE1EEEvSJ_
                                        ; -- End function
	.set _ZN7rocprim17ROCPRIM_400000_NS6detail17trampoline_kernelINS0_14default_configENS1_38merge_sort_block_merge_config_selectorIssEEZZNS1_27merge_sort_block_merge_implIS3_N6thrust23THRUST_200600_302600_NS6detail15normal_iteratorINS8_10device_ptrIsEEEESD_jNS1_19radix_merge_compareILb0ELb0EsNS0_19identity_decomposerEEEEE10hipError_tT0_T1_T2_jT3_P12ihipStream_tbPNSt15iterator_traitsISI_E10value_typeEPNSO_ISJ_E10value_typeEPSK_NS1_7vsmem_tEENKUlT_SI_SJ_SK_E_clIPsSD_S10_SD_EESH_SX_SI_SJ_SK_EUlSX_E0_NS1_11comp_targetILNS1_3genE4ELNS1_11target_archE910ELNS1_3gpuE8ELNS1_3repE0EEENS1_38merge_mergepath_config_static_selectorELNS0_4arch9wavefront6targetE1EEEvSJ_.num_vgpr, 0
	.set _ZN7rocprim17ROCPRIM_400000_NS6detail17trampoline_kernelINS0_14default_configENS1_38merge_sort_block_merge_config_selectorIssEEZZNS1_27merge_sort_block_merge_implIS3_N6thrust23THRUST_200600_302600_NS6detail15normal_iteratorINS8_10device_ptrIsEEEESD_jNS1_19radix_merge_compareILb0ELb0EsNS0_19identity_decomposerEEEEE10hipError_tT0_T1_T2_jT3_P12ihipStream_tbPNSt15iterator_traitsISI_E10value_typeEPNSO_ISJ_E10value_typeEPSK_NS1_7vsmem_tEENKUlT_SI_SJ_SK_E_clIPsSD_S10_SD_EESH_SX_SI_SJ_SK_EUlSX_E0_NS1_11comp_targetILNS1_3genE4ELNS1_11target_archE910ELNS1_3gpuE8ELNS1_3repE0EEENS1_38merge_mergepath_config_static_selectorELNS0_4arch9wavefront6targetE1EEEvSJ_.num_agpr, 0
	.set _ZN7rocprim17ROCPRIM_400000_NS6detail17trampoline_kernelINS0_14default_configENS1_38merge_sort_block_merge_config_selectorIssEEZZNS1_27merge_sort_block_merge_implIS3_N6thrust23THRUST_200600_302600_NS6detail15normal_iteratorINS8_10device_ptrIsEEEESD_jNS1_19radix_merge_compareILb0ELb0EsNS0_19identity_decomposerEEEEE10hipError_tT0_T1_T2_jT3_P12ihipStream_tbPNSt15iterator_traitsISI_E10value_typeEPNSO_ISJ_E10value_typeEPSK_NS1_7vsmem_tEENKUlT_SI_SJ_SK_E_clIPsSD_S10_SD_EESH_SX_SI_SJ_SK_EUlSX_E0_NS1_11comp_targetILNS1_3genE4ELNS1_11target_archE910ELNS1_3gpuE8ELNS1_3repE0EEENS1_38merge_mergepath_config_static_selectorELNS0_4arch9wavefront6targetE1EEEvSJ_.numbered_sgpr, 0
	.set _ZN7rocprim17ROCPRIM_400000_NS6detail17trampoline_kernelINS0_14default_configENS1_38merge_sort_block_merge_config_selectorIssEEZZNS1_27merge_sort_block_merge_implIS3_N6thrust23THRUST_200600_302600_NS6detail15normal_iteratorINS8_10device_ptrIsEEEESD_jNS1_19radix_merge_compareILb0ELb0EsNS0_19identity_decomposerEEEEE10hipError_tT0_T1_T2_jT3_P12ihipStream_tbPNSt15iterator_traitsISI_E10value_typeEPNSO_ISJ_E10value_typeEPSK_NS1_7vsmem_tEENKUlT_SI_SJ_SK_E_clIPsSD_S10_SD_EESH_SX_SI_SJ_SK_EUlSX_E0_NS1_11comp_targetILNS1_3genE4ELNS1_11target_archE910ELNS1_3gpuE8ELNS1_3repE0EEENS1_38merge_mergepath_config_static_selectorELNS0_4arch9wavefront6targetE1EEEvSJ_.num_named_barrier, 0
	.set _ZN7rocprim17ROCPRIM_400000_NS6detail17trampoline_kernelINS0_14default_configENS1_38merge_sort_block_merge_config_selectorIssEEZZNS1_27merge_sort_block_merge_implIS3_N6thrust23THRUST_200600_302600_NS6detail15normal_iteratorINS8_10device_ptrIsEEEESD_jNS1_19radix_merge_compareILb0ELb0EsNS0_19identity_decomposerEEEEE10hipError_tT0_T1_T2_jT3_P12ihipStream_tbPNSt15iterator_traitsISI_E10value_typeEPNSO_ISJ_E10value_typeEPSK_NS1_7vsmem_tEENKUlT_SI_SJ_SK_E_clIPsSD_S10_SD_EESH_SX_SI_SJ_SK_EUlSX_E0_NS1_11comp_targetILNS1_3genE4ELNS1_11target_archE910ELNS1_3gpuE8ELNS1_3repE0EEENS1_38merge_mergepath_config_static_selectorELNS0_4arch9wavefront6targetE1EEEvSJ_.private_seg_size, 0
	.set _ZN7rocprim17ROCPRIM_400000_NS6detail17trampoline_kernelINS0_14default_configENS1_38merge_sort_block_merge_config_selectorIssEEZZNS1_27merge_sort_block_merge_implIS3_N6thrust23THRUST_200600_302600_NS6detail15normal_iteratorINS8_10device_ptrIsEEEESD_jNS1_19radix_merge_compareILb0ELb0EsNS0_19identity_decomposerEEEEE10hipError_tT0_T1_T2_jT3_P12ihipStream_tbPNSt15iterator_traitsISI_E10value_typeEPNSO_ISJ_E10value_typeEPSK_NS1_7vsmem_tEENKUlT_SI_SJ_SK_E_clIPsSD_S10_SD_EESH_SX_SI_SJ_SK_EUlSX_E0_NS1_11comp_targetILNS1_3genE4ELNS1_11target_archE910ELNS1_3gpuE8ELNS1_3repE0EEENS1_38merge_mergepath_config_static_selectorELNS0_4arch9wavefront6targetE1EEEvSJ_.uses_vcc, 0
	.set _ZN7rocprim17ROCPRIM_400000_NS6detail17trampoline_kernelINS0_14default_configENS1_38merge_sort_block_merge_config_selectorIssEEZZNS1_27merge_sort_block_merge_implIS3_N6thrust23THRUST_200600_302600_NS6detail15normal_iteratorINS8_10device_ptrIsEEEESD_jNS1_19radix_merge_compareILb0ELb0EsNS0_19identity_decomposerEEEEE10hipError_tT0_T1_T2_jT3_P12ihipStream_tbPNSt15iterator_traitsISI_E10value_typeEPNSO_ISJ_E10value_typeEPSK_NS1_7vsmem_tEENKUlT_SI_SJ_SK_E_clIPsSD_S10_SD_EESH_SX_SI_SJ_SK_EUlSX_E0_NS1_11comp_targetILNS1_3genE4ELNS1_11target_archE910ELNS1_3gpuE8ELNS1_3repE0EEENS1_38merge_mergepath_config_static_selectorELNS0_4arch9wavefront6targetE1EEEvSJ_.uses_flat_scratch, 0
	.set _ZN7rocprim17ROCPRIM_400000_NS6detail17trampoline_kernelINS0_14default_configENS1_38merge_sort_block_merge_config_selectorIssEEZZNS1_27merge_sort_block_merge_implIS3_N6thrust23THRUST_200600_302600_NS6detail15normal_iteratorINS8_10device_ptrIsEEEESD_jNS1_19radix_merge_compareILb0ELb0EsNS0_19identity_decomposerEEEEE10hipError_tT0_T1_T2_jT3_P12ihipStream_tbPNSt15iterator_traitsISI_E10value_typeEPNSO_ISJ_E10value_typeEPSK_NS1_7vsmem_tEENKUlT_SI_SJ_SK_E_clIPsSD_S10_SD_EESH_SX_SI_SJ_SK_EUlSX_E0_NS1_11comp_targetILNS1_3genE4ELNS1_11target_archE910ELNS1_3gpuE8ELNS1_3repE0EEENS1_38merge_mergepath_config_static_selectorELNS0_4arch9wavefront6targetE1EEEvSJ_.has_dyn_sized_stack, 0
	.set _ZN7rocprim17ROCPRIM_400000_NS6detail17trampoline_kernelINS0_14default_configENS1_38merge_sort_block_merge_config_selectorIssEEZZNS1_27merge_sort_block_merge_implIS3_N6thrust23THRUST_200600_302600_NS6detail15normal_iteratorINS8_10device_ptrIsEEEESD_jNS1_19radix_merge_compareILb0ELb0EsNS0_19identity_decomposerEEEEE10hipError_tT0_T1_T2_jT3_P12ihipStream_tbPNSt15iterator_traitsISI_E10value_typeEPNSO_ISJ_E10value_typeEPSK_NS1_7vsmem_tEENKUlT_SI_SJ_SK_E_clIPsSD_S10_SD_EESH_SX_SI_SJ_SK_EUlSX_E0_NS1_11comp_targetILNS1_3genE4ELNS1_11target_archE910ELNS1_3gpuE8ELNS1_3repE0EEENS1_38merge_mergepath_config_static_selectorELNS0_4arch9wavefront6targetE1EEEvSJ_.has_recursion, 0
	.set _ZN7rocprim17ROCPRIM_400000_NS6detail17trampoline_kernelINS0_14default_configENS1_38merge_sort_block_merge_config_selectorIssEEZZNS1_27merge_sort_block_merge_implIS3_N6thrust23THRUST_200600_302600_NS6detail15normal_iteratorINS8_10device_ptrIsEEEESD_jNS1_19radix_merge_compareILb0ELb0EsNS0_19identity_decomposerEEEEE10hipError_tT0_T1_T2_jT3_P12ihipStream_tbPNSt15iterator_traitsISI_E10value_typeEPNSO_ISJ_E10value_typeEPSK_NS1_7vsmem_tEENKUlT_SI_SJ_SK_E_clIPsSD_S10_SD_EESH_SX_SI_SJ_SK_EUlSX_E0_NS1_11comp_targetILNS1_3genE4ELNS1_11target_archE910ELNS1_3gpuE8ELNS1_3repE0EEENS1_38merge_mergepath_config_static_selectorELNS0_4arch9wavefront6targetE1EEEvSJ_.has_indirect_call, 0
	.section	.AMDGPU.csdata,"",@progbits
; Kernel info:
; codeLenInByte = 0
; TotalNumSgprs: 6
; NumVgprs: 0
; NumAgprs: 0
; TotalNumVgprs: 0
; ScratchSize: 0
; MemoryBound: 0
; FloatMode: 240
; IeeeMode: 1
; LDSByteSize: 0 bytes/workgroup (compile time only)
; SGPRBlocks: 0
; VGPRBlocks: 0
; NumSGPRsForWavesPerEU: 6
; NumVGPRsForWavesPerEU: 1
; AccumOffset: 4
; Occupancy: 8
; WaveLimiterHint : 0
; COMPUTE_PGM_RSRC2:SCRATCH_EN: 0
; COMPUTE_PGM_RSRC2:USER_SGPR: 2
; COMPUTE_PGM_RSRC2:TRAP_HANDLER: 0
; COMPUTE_PGM_RSRC2:TGID_X_EN: 1
; COMPUTE_PGM_RSRC2:TGID_Y_EN: 0
; COMPUTE_PGM_RSRC2:TGID_Z_EN: 0
; COMPUTE_PGM_RSRC2:TIDIG_COMP_CNT: 0
; COMPUTE_PGM_RSRC3_GFX90A:ACCUM_OFFSET: 0
; COMPUTE_PGM_RSRC3_GFX90A:TG_SPLIT: 0
	.section	.text._ZN7rocprim17ROCPRIM_400000_NS6detail17trampoline_kernelINS0_14default_configENS1_38merge_sort_block_merge_config_selectorIssEEZZNS1_27merge_sort_block_merge_implIS3_N6thrust23THRUST_200600_302600_NS6detail15normal_iteratorINS8_10device_ptrIsEEEESD_jNS1_19radix_merge_compareILb0ELb0EsNS0_19identity_decomposerEEEEE10hipError_tT0_T1_T2_jT3_P12ihipStream_tbPNSt15iterator_traitsISI_E10value_typeEPNSO_ISJ_E10value_typeEPSK_NS1_7vsmem_tEENKUlT_SI_SJ_SK_E_clIPsSD_S10_SD_EESH_SX_SI_SJ_SK_EUlSX_E0_NS1_11comp_targetILNS1_3genE3ELNS1_11target_archE908ELNS1_3gpuE7ELNS1_3repE0EEENS1_38merge_mergepath_config_static_selectorELNS0_4arch9wavefront6targetE1EEEvSJ_,"axG",@progbits,_ZN7rocprim17ROCPRIM_400000_NS6detail17trampoline_kernelINS0_14default_configENS1_38merge_sort_block_merge_config_selectorIssEEZZNS1_27merge_sort_block_merge_implIS3_N6thrust23THRUST_200600_302600_NS6detail15normal_iteratorINS8_10device_ptrIsEEEESD_jNS1_19radix_merge_compareILb0ELb0EsNS0_19identity_decomposerEEEEE10hipError_tT0_T1_T2_jT3_P12ihipStream_tbPNSt15iterator_traitsISI_E10value_typeEPNSO_ISJ_E10value_typeEPSK_NS1_7vsmem_tEENKUlT_SI_SJ_SK_E_clIPsSD_S10_SD_EESH_SX_SI_SJ_SK_EUlSX_E0_NS1_11comp_targetILNS1_3genE3ELNS1_11target_archE908ELNS1_3gpuE7ELNS1_3repE0EEENS1_38merge_mergepath_config_static_selectorELNS0_4arch9wavefront6targetE1EEEvSJ_,comdat
	.protected	_ZN7rocprim17ROCPRIM_400000_NS6detail17trampoline_kernelINS0_14default_configENS1_38merge_sort_block_merge_config_selectorIssEEZZNS1_27merge_sort_block_merge_implIS3_N6thrust23THRUST_200600_302600_NS6detail15normal_iteratorINS8_10device_ptrIsEEEESD_jNS1_19radix_merge_compareILb0ELb0EsNS0_19identity_decomposerEEEEE10hipError_tT0_T1_T2_jT3_P12ihipStream_tbPNSt15iterator_traitsISI_E10value_typeEPNSO_ISJ_E10value_typeEPSK_NS1_7vsmem_tEENKUlT_SI_SJ_SK_E_clIPsSD_S10_SD_EESH_SX_SI_SJ_SK_EUlSX_E0_NS1_11comp_targetILNS1_3genE3ELNS1_11target_archE908ELNS1_3gpuE7ELNS1_3repE0EEENS1_38merge_mergepath_config_static_selectorELNS0_4arch9wavefront6targetE1EEEvSJ_ ; -- Begin function _ZN7rocprim17ROCPRIM_400000_NS6detail17trampoline_kernelINS0_14default_configENS1_38merge_sort_block_merge_config_selectorIssEEZZNS1_27merge_sort_block_merge_implIS3_N6thrust23THRUST_200600_302600_NS6detail15normal_iteratorINS8_10device_ptrIsEEEESD_jNS1_19radix_merge_compareILb0ELb0EsNS0_19identity_decomposerEEEEE10hipError_tT0_T1_T2_jT3_P12ihipStream_tbPNSt15iterator_traitsISI_E10value_typeEPNSO_ISJ_E10value_typeEPSK_NS1_7vsmem_tEENKUlT_SI_SJ_SK_E_clIPsSD_S10_SD_EESH_SX_SI_SJ_SK_EUlSX_E0_NS1_11comp_targetILNS1_3genE3ELNS1_11target_archE908ELNS1_3gpuE7ELNS1_3repE0EEENS1_38merge_mergepath_config_static_selectorELNS0_4arch9wavefront6targetE1EEEvSJ_
	.globl	_ZN7rocprim17ROCPRIM_400000_NS6detail17trampoline_kernelINS0_14default_configENS1_38merge_sort_block_merge_config_selectorIssEEZZNS1_27merge_sort_block_merge_implIS3_N6thrust23THRUST_200600_302600_NS6detail15normal_iteratorINS8_10device_ptrIsEEEESD_jNS1_19radix_merge_compareILb0ELb0EsNS0_19identity_decomposerEEEEE10hipError_tT0_T1_T2_jT3_P12ihipStream_tbPNSt15iterator_traitsISI_E10value_typeEPNSO_ISJ_E10value_typeEPSK_NS1_7vsmem_tEENKUlT_SI_SJ_SK_E_clIPsSD_S10_SD_EESH_SX_SI_SJ_SK_EUlSX_E0_NS1_11comp_targetILNS1_3genE3ELNS1_11target_archE908ELNS1_3gpuE7ELNS1_3repE0EEENS1_38merge_mergepath_config_static_selectorELNS0_4arch9wavefront6targetE1EEEvSJ_
	.p2align	8
	.type	_ZN7rocprim17ROCPRIM_400000_NS6detail17trampoline_kernelINS0_14default_configENS1_38merge_sort_block_merge_config_selectorIssEEZZNS1_27merge_sort_block_merge_implIS3_N6thrust23THRUST_200600_302600_NS6detail15normal_iteratorINS8_10device_ptrIsEEEESD_jNS1_19radix_merge_compareILb0ELb0EsNS0_19identity_decomposerEEEEE10hipError_tT0_T1_T2_jT3_P12ihipStream_tbPNSt15iterator_traitsISI_E10value_typeEPNSO_ISJ_E10value_typeEPSK_NS1_7vsmem_tEENKUlT_SI_SJ_SK_E_clIPsSD_S10_SD_EESH_SX_SI_SJ_SK_EUlSX_E0_NS1_11comp_targetILNS1_3genE3ELNS1_11target_archE908ELNS1_3gpuE7ELNS1_3repE0EEENS1_38merge_mergepath_config_static_selectorELNS0_4arch9wavefront6targetE1EEEvSJ_,@function
_ZN7rocprim17ROCPRIM_400000_NS6detail17trampoline_kernelINS0_14default_configENS1_38merge_sort_block_merge_config_selectorIssEEZZNS1_27merge_sort_block_merge_implIS3_N6thrust23THRUST_200600_302600_NS6detail15normal_iteratorINS8_10device_ptrIsEEEESD_jNS1_19radix_merge_compareILb0ELb0EsNS0_19identity_decomposerEEEEE10hipError_tT0_T1_T2_jT3_P12ihipStream_tbPNSt15iterator_traitsISI_E10value_typeEPNSO_ISJ_E10value_typeEPSK_NS1_7vsmem_tEENKUlT_SI_SJ_SK_E_clIPsSD_S10_SD_EESH_SX_SI_SJ_SK_EUlSX_E0_NS1_11comp_targetILNS1_3genE3ELNS1_11target_archE908ELNS1_3gpuE7ELNS1_3repE0EEENS1_38merge_mergepath_config_static_selectorELNS0_4arch9wavefront6targetE1EEEvSJ_: ; @_ZN7rocprim17ROCPRIM_400000_NS6detail17trampoline_kernelINS0_14default_configENS1_38merge_sort_block_merge_config_selectorIssEEZZNS1_27merge_sort_block_merge_implIS3_N6thrust23THRUST_200600_302600_NS6detail15normal_iteratorINS8_10device_ptrIsEEEESD_jNS1_19radix_merge_compareILb0ELb0EsNS0_19identity_decomposerEEEEE10hipError_tT0_T1_T2_jT3_P12ihipStream_tbPNSt15iterator_traitsISI_E10value_typeEPNSO_ISJ_E10value_typeEPSK_NS1_7vsmem_tEENKUlT_SI_SJ_SK_E_clIPsSD_S10_SD_EESH_SX_SI_SJ_SK_EUlSX_E0_NS1_11comp_targetILNS1_3genE3ELNS1_11target_archE908ELNS1_3gpuE7ELNS1_3repE0EEENS1_38merge_mergepath_config_static_selectorELNS0_4arch9wavefront6targetE1EEEvSJ_
; %bb.0:
	.section	.rodata,"a",@progbits
	.p2align	6, 0x0
	.amdhsa_kernel _ZN7rocprim17ROCPRIM_400000_NS6detail17trampoline_kernelINS0_14default_configENS1_38merge_sort_block_merge_config_selectorIssEEZZNS1_27merge_sort_block_merge_implIS3_N6thrust23THRUST_200600_302600_NS6detail15normal_iteratorINS8_10device_ptrIsEEEESD_jNS1_19radix_merge_compareILb0ELb0EsNS0_19identity_decomposerEEEEE10hipError_tT0_T1_T2_jT3_P12ihipStream_tbPNSt15iterator_traitsISI_E10value_typeEPNSO_ISJ_E10value_typeEPSK_NS1_7vsmem_tEENKUlT_SI_SJ_SK_E_clIPsSD_S10_SD_EESH_SX_SI_SJ_SK_EUlSX_E0_NS1_11comp_targetILNS1_3genE3ELNS1_11target_archE908ELNS1_3gpuE7ELNS1_3repE0EEENS1_38merge_mergepath_config_static_selectorELNS0_4arch9wavefront6targetE1EEEvSJ_
		.amdhsa_group_segment_fixed_size 0
		.amdhsa_private_segment_fixed_size 0
		.amdhsa_kernarg_size 64
		.amdhsa_user_sgpr_count 2
		.amdhsa_user_sgpr_dispatch_ptr 0
		.amdhsa_user_sgpr_queue_ptr 0
		.amdhsa_user_sgpr_kernarg_segment_ptr 1
		.amdhsa_user_sgpr_dispatch_id 0
		.amdhsa_user_sgpr_kernarg_preload_length 0
		.amdhsa_user_sgpr_kernarg_preload_offset 0
		.amdhsa_user_sgpr_private_segment_size 0
		.amdhsa_uses_dynamic_stack 0
		.amdhsa_enable_private_segment 0
		.amdhsa_system_sgpr_workgroup_id_x 1
		.amdhsa_system_sgpr_workgroup_id_y 0
		.amdhsa_system_sgpr_workgroup_id_z 0
		.amdhsa_system_sgpr_workgroup_info 0
		.amdhsa_system_vgpr_workitem_id 0
		.amdhsa_next_free_vgpr 1
		.amdhsa_next_free_sgpr 0
		.amdhsa_accum_offset 4
		.amdhsa_reserve_vcc 0
		.amdhsa_float_round_mode_32 0
		.amdhsa_float_round_mode_16_64 0
		.amdhsa_float_denorm_mode_32 3
		.amdhsa_float_denorm_mode_16_64 3
		.amdhsa_dx10_clamp 1
		.amdhsa_ieee_mode 1
		.amdhsa_fp16_overflow 0
		.amdhsa_tg_split 0
		.amdhsa_exception_fp_ieee_invalid_op 0
		.amdhsa_exception_fp_denorm_src 0
		.amdhsa_exception_fp_ieee_div_zero 0
		.amdhsa_exception_fp_ieee_overflow 0
		.amdhsa_exception_fp_ieee_underflow 0
		.amdhsa_exception_fp_ieee_inexact 0
		.amdhsa_exception_int_div_zero 0
	.end_amdhsa_kernel
	.section	.text._ZN7rocprim17ROCPRIM_400000_NS6detail17trampoline_kernelINS0_14default_configENS1_38merge_sort_block_merge_config_selectorIssEEZZNS1_27merge_sort_block_merge_implIS3_N6thrust23THRUST_200600_302600_NS6detail15normal_iteratorINS8_10device_ptrIsEEEESD_jNS1_19radix_merge_compareILb0ELb0EsNS0_19identity_decomposerEEEEE10hipError_tT0_T1_T2_jT3_P12ihipStream_tbPNSt15iterator_traitsISI_E10value_typeEPNSO_ISJ_E10value_typeEPSK_NS1_7vsmem_tEENKUlT_SI_SJ_SK_E_clIPsSD_S10_SD_EESH_SX_SI_SJ_SK_EUlSX_E0_NS1_11comp_targetILNS1_3genE3ELNS1_11target_archE908ELNS1_3gpuE7ELNS1_3repE0EEENS1_38merge_mergepath_config_static_selectorELNS0_4arch9wavefront6targetE1EEEvSJ_,"axG",@progbits,_ZN7rocprim17ROCPRIM_400000_NS6detail17trampoline_kernelINS0_14default_configENS1_38merge_sort_block_merge_config_selectorIssEEZZNS1_27merge_sort_block_merge_implIS3_N6thrust23THRUST_200600_302600_NS6detail15normal_iteratorINS8_10device_ptrIsEEEESD_jNS1_19radix_merge_compareILb0ELb0EsNS0_19identity_decomposerEEEEE10hipError_tT0_T1_T2_jT3_P12ihipStream_tbPNSt15iterator_traitsISI_E10value_typeEPNSO_ISJ_E10value_typeEPSK_NS1_7vsmem_tEENKUlT_SI_SJ_SK_E_clIPsSD_S10_SD_EESH_SX_SI_SJ_SK_EUlSX_E0_NS1_11comp_targetILNS1_3genE3ELNS1_11target_archE908ELNS1_3gpuE7ELNS1_3repE0EEENS1_38merge_mergepath_config_static_selectorELNS0_4arch9wavefront6targetE1EEEvSJ_,comdat
.Lfunc_end1522:
	.size	_ZN7rocprim17ROCPRIM_400000_NS6detail17trampoline_kernelINS0_14default_configENS1_38merge_sort_block_merge_config_selectorIssEEZZNS1_27merge_sort_block_merge_implIS3_N6thrust23THRUST_200600_302600_NS6detail15normal_iteratorINS8_10device_ptrIsEEEESD_jNS1_19radix_merge_compareILb0ELb0EsNS0_19identity_decomposerEEEEE10hipError_tT0_T1_T2_jT3_P12ihipStream_tbPNSt15iterator_traitsISI_E10value_typeEPNSO_ISJ_E10value_typeEPSK_NS1_7vsmem_tEENKUlT_SI_SJ_SK_E_clIPsSD_S10_SD_EESH_SX_SI_SJ_SK_EUlSX_E0_NS1_11comp_targetILNS1_3genE3ELNS1_11target_archE908ELNS1_3gpuE7ELNS1_3repE0EEENS1_38merge_mergepath_config_static_selectorELNS0_4arch9wavefront6targetE1EEEvSJ_, .Lfunc_end1522-_ZN7rocprim17ROCPRIM_400000_NS6detail17trampoline_kernelINS0_14default_configENS1_38merge_sort_block_merge_config_selectorIssEEZZNS1_27merge_sort_block_merge_implIS3_N6thrust23THRUST_200600_302600_NS6detail15normal_iteratorINS8_10device_ptrIsEEEESD_jNS1_19radix_merge_compareILb0ELb0EsNS0_19identity_decomposerEEEEE10hipError_tT0_T1_T2_jT3_P12ihipStream_tbPNSt15iterator_traitsISI_E10value_typeEPNSO_ISJ_E10value_typeEPSK_NS1_7vsmem_tEENKUlT_SI_SJ_SK_E_clIPsSD_S10_SD_EESH_SX_SI_SJ_SK_EUlSX_E0_NS1_11comp_targetILNS1_3genE3ELNS1_11target_archE908ELNS1_3gpuE7ELNS1_3repE0EEENS1_38merge_mergepath_config_static_selectorELNS0_4arch9wavefront6targetE1EEEvSJ_
                                        ; -- End function
	.set _ZN7rocprim17ROCPRIM_400000_NS6detail17trampoline_kernelINS0_14default_configENS1_38merge_sort_block_merge_config_selectorIssEEZZNS1_27merge_sort_block_merge_implIS3_N6thrust23THRUST_200600_302600_NS6detail15normal_iteratorINS8_10device_ptrIsEEEESD_jNS1_19radix_merge_compareILb0ELb0EsNS0_19identity_decomposerEEEEE10hipError_tT0_T1_T2_jT3_P12ihipStream_tbPNSt15iterator_traitsISI_E10value_typeEPNSO_ISJ_E10value_typeEPSK_NS1_7vsmem_tEENKUlT_SI_SJ_SK_E_clIPsSD_S10_SD_EESH_SX_SI_SJ_SK_EUlSX_E0_NS1_11comp_targetILNS1_3genE3ELNS1_11target_archE908ELNS1_3gpuE7ELNS1_3repE0EEENS1_38merge_mergepath_config_static_selectorELNS0_4arch9wavefront6targetE1EEEvSJ_.num_vgpr, 0
	.set _ZN7rocprim17ROCPRIM_400000_NS6detail17trampoline_kernelINS0_14default_configENS1_38merge_sort_block_merge_config_selectorIssEEZZNS1_27merge_sort_block_merge_implIS3_N6thrust23THRUST_200600_302600_NS6detail15normal_iteratorINS8_10device_ptrIsEEEESD_jNS1_19radix_merge_compareILb0ELb0EsNS0_19identity_decomposerEEEEE10hipError_tT0_T1_T2_jT3_P12ihipStream_tbPNSt15iterator_traitsISI_E10value_typeEPNSO_ISJ_E10value_typeEPSK_NS1_7vsmem_tEENKUlT_SI_SJ_SK_E_clIPsSD_S10_SD_EESH_SX_SI_SJ_SK_EUlSX_E0_NS1_11comp_targetILNS1_3genE3ELNS1_11target_archE908ELNS1_3gpuE7ELNS1_3repE0EEENS1_38merge_mergepath_config_static_selectorELNS0_4arch9wavefront6targetE1EEEvSJ_.num_agpr, 0
	.set _ZN7rocprim17ROCPRIM_400000_NS6detail17trampoline_kernelINS0_14default_configENS1_38merge_sort_block_merge_config_selectorIssEEZZNS1_27merge_sort_block_merge_implIS3_N6thrust23THRUST_200600_302600_NS6detail15normal_iteratorINS8_10device_ptrIsEEEESD_jNS1_19radix_merge_compareILb0ELb0EsNS0_19identity_decomposerEEEEE10hipError_tT0_T1_T2_jT3_P12ihipStream_tbPNSt15iterator_traitsISI_E10value_typeEPNSO_ISJ_E10value_typeEPSK_NS1_7vsmem_tEENKUlT_SI_SJ_SK_E_clIPsSD_S10_SD_EESH_SX_SI_SJ_SK_EUlSX_E0_NS1_11comp_targetILNS1_3genE3ELNS1_11target_archE908ELNS1_3gpuE7ELNS1_3repE0EEENS1_38merge_mergepath_config_static_selectorELNS0_4arch9wavefront6targetE1EEEvSJ_.numbered_sgpr, 0
	.set _ZN7rocprim17ROCPRIM_400000_NS6detail17trampoline_kernelINS0_14default_configENS1_38merge_sort_block_merge_config_selectorIssEEZZNS1_27merge_sort_block_merge_implIS3_N6thrust23THRUST_200600_302600_NS6detail15normal_iteratorINS8_10device_ptrIsEEEESD_jNS1_19radix_merge_compareILb0ELb0EsNS0_19identity_decomposerEEEEE10hipError_tT0_T1_T2_jT3_P12ihipStream_tbPNSt15iterator_traitsISI_E10value_typeEPNSO_ISJ_E10value_typeEPSK_NS1_7vsmem_tEENKUlT_SI_SJ_SK_E_clIPsSD_S10_SD_EESH_SX_SI_SJ_SK_EUlSX_E0_NS1_11comp_targetILNS1_3genE3ELNS1_11target_archE908ELNS1_3gpuE7ELNS1_3repE0EEENS1_38merge_mergepath_config_static_selectorELNS0_4arch9wavefront6targetE1EEEvSJ_.num_named_barrier, 0
	.set _ZN7rocprim17ROCPRIM_400000_NS6detail17trampoline_kernelINS0_14default_configENS1_38merge_sort_block_merge_config_selectorIssEEZZNS1_27merge_sort_block_merge_implIS3_N6thrust23THRUST_200600_302600_NS6detail15normal_iteratorINS8_10device_ptrIsEEEESD_jNS1_19radix_merge_compareILb0ELb0EsNS0_19identity_decomposerEEEEE10hipError_tT0_T1_T2_jT3_P12ihipStream_tbPNSt15iterator_traitsISI_E10value_typeEPNSO_ISJ_E10value_typeEPSK_NS1_7vsmem_tEENKUlT_SI_SJ_SK_E_clIPsSD_S10_SD_EESH_SX_SI_SJ_SK_EUlSX_E0_NS1_11comp_targetILNS1_3genE3ELNS1_11target_archE908ELNS1_3gpuE7ELNS1_3repE0EEENS1_38merge_mergepath_config_static_selectorELNS0_4arch9wavefront6targetE1EEEvSJ_.private_seg_size, 0
	.set _ZN7rocprim17ROCPRIM_400000_NS6detail17trampoline_kernelINS0_14default_configENS1_38merge_sort_block_merge_config_selectorIssEEZZNS1_27merge_sort_block_merge_implIS3_N6thrust23THRUST_200600_302600_NS6detail15normal_iteratorINS8_10device_ptrIsEEEESD_jNS1_19radix_merge_compareILb0ELb0EsNS0_19identity_decomposerEEEEE10hipError_tT0_T1_T2_jT3_P12ihipStream_tbPNSt15iterator_traitsISI_E10value_typeEPNSO_ISJ_E10value_typeEPSK_NS1_7vsmem_tEENKUlT_SI_SJ_SK_E_clIPsSD_S10_SD_EESH_SX_SI_SJ_SK_EUlSX_E0_NS1_11comp_targetILNS1_3genE3ELNS1_11target_archE908ELNS1_3gpuE7ELNS1_3repE0EEENS1_38merge_mergepath_config_static_selectorELNS0_4arch9wavefront6targetE1EEEvSJ_.uses_vcc, 0
	.set _ZN7rocprim17ROCPRIM_400000_NS6detail17trampoline_kernelINS0_14default_configENS1_38merge_sort_block_merge_config_selectorIssEEZZNS1_27merge_sort_block_merge_implIS3_N6thrust23THRUST_200600_302600_NS6detail15normal_iteratorINS8_10device_ptrIsEEEESD_jNS1_19radix_merge_compareILb0ELb0EsNS0_19identity_decomposerEEEEE10hipError_tT0_T1_T2_jT3_P12ihipStream_tbPNSt15iterator_traitsISI_E10value_typeEPNSO_ISJ_E10value_typeEPSK_NS1_7vsmem_tEENKUlT_SI_SJ_SK_E_clIPsSD_S10_SD_EESH_SX_SI_SJ_SK_EUlSX_E0_NS1_11comp_targetILNS1_3genE3ELNS1_11target_archE908ELNS1_3gpuE7ELNS1_3repE0EEENS1_38merge_mergepath_config_static_selectorELNS0_4arch9wavefront6targetE1EEEvSJ_.uses_flat_scratch, 0
	.set _ZN7rocprim17ROCPRIM_400000_NS6detail17trampoline_kernelINS0_14default_configENS1_38merge_sort_block_merge_config_selectorIssEEZZNS1_27merge_sort_block_merge_implIS3_N6thrust23THRUST_200600_302600_NS6detail15normal_iteratorINS8_10device_ptrIsEEEESD_jNS1_19radix_merge_compareILb0ELb0EsNS0_19identity_decomposerEEEEE10hipError_tT0_T1_T2_jT3_P12ihipStream_tbPNSt15iterator_traitsISI_E10value_typeEPNSO_ISJ_E10value_typeEPSK_NS1_7vsmem_tEENKUlT_SI_SJ_SK_E_clIPsSD_S10_SD_EESH_SX_SI_SJ_SK_EUlSX_E0_NS1_11comp_targetILNS1_3genE3ELNS1_11target_archE908ELNS1_3gpuE7ELNS1_3repE0EEENS1_38merge_mergepath_config_static_selectorELNS0_4arch9wavefront6targetE1EEEvSJ_.has_dyn_sized_stack, 0
	.set _ZN7rocprim17ROCPRIM_400000_NS6detail17trampoline_kernelINS0_14default_configENS1_38merge_sort_block_merge_config_selectorIssEEZZNS1_27merge_sort_block_merge_implIS3_N6thrust23THRUST_200600_302600_NS6detail15normal_iteratorINS8_10device_ptrIsEEEESD_jNS1_19radix_merge_compareILb0ELb0EsNS0_19identity_decomposerEEEEE10hipError_tT0_T1_T2_jT3_P12ihipStream_tbPNSt15iterator_traitsISI_E10value_typeEPNSO_ISJ_E10value_typeEPSK_NS1_7vsmem_tEENKUlT_SI_SJ_SK_E_clIPsSD_S10_SD_EESH_SX_SI_SJ_SK_EUlSX_E0_NS1_11comp_targetILNS1_3genE3ELNS1_11target_archE908ELNS1_3gpuE7ELNS1_3repE0EEENS1_38merge_mergepath_config_static_selectorELNS0_4arch9wavefront6targetE1EEEvSJ_.has_recursion, 0
	.set _ZN7rocprim17ROCPRIM_400000_NS6detail17trampoline_kernelINS0_14default_configENS1_38merge_sort_block_merge_config_selectorIssEEZZNS1_27merge_sort_block_merge_implIS3_N6thrust23THRUST_200600_302600_NS6detail15normal_iteratorINS8_10device_ptrIsEEEESD_jNS1_19radix_merge_compareILb0ELb0EsNS0_19identity_decomposerEEEEE10hipError_tT0_T1_T2_jT3_P12ihipStream_tbPNSt15iterator_traitsISI_E10value_typeEPNSO_ISJ_E10value_typeEPSK_NS1_7vsmem_tEENKUlT_SI_SJ_SK_E_clIPsSD_S10_SD_EESH_SX_SI_SJ_SK_EUlSX_E0_NS1_11comp_targetILNS1_3genE3ELNS1_11target_archE908ELNS1_3gpuE7ELNS1_3repE0EEENS1_38merge_mergepath_config_static_selectorELNS0_4arch9wavefront6targetE1EEEvSJ_.has_indirect_call, 0
	.section	.AMDGPU.csdata,"",@progbits
; Kernel info:
; codeLenInByte = 0
; TotalNumSgprs: 6
; NumVgprs: 0
; NumAgprs: 0
; TotalNumVgprs: 0
; ScratchSize: 0
; MemoryBound: 0
; FloatMode: 240
; IeeeMode: 1
; LDSByteSize: 0 bytes/workgroup (compile time only)
; SGPRBlocks: 0
; VGPRBlocks: 0
; NumSGPRsForWavesPerEU: 6
; NumVGPRsForWavesPerEU: 1
; AccumOffset: 4
; Occupancy: 8
; WaveLimiterHint : 0
; COMPUTE_PGM_RSRC2:SCRATCH_EN: 0
; COMPUTE_PGM_RSRC2:USER_SGPR: 2
; COMPUTE_PGM_RSRC2:TRAP_HANDLER: 0
; COMPUTE_PGM_RSRC2:TGID_X_EN: 1
; COMPUTE_PGM_RSRC2:TGID_Y_EN: 0
; COMPUTE_PGM_RSRC2:TGID_Z_EN: 0
; COMPUTE_PGM_RSRC2:TIDIG_COMP_CNT: 0
; COMPUTE_PGM_RSRC3_GFX90A:ACCUM_OFFSET: 0
; COMPUTE_PGM_RSRC3_GFX90A:TG_SPLIT: 0
	.section	.text._ZN7rocprim17ROCPRIM_400000_NS6detail17trampoline_kernelINS0_14default_configENS1_38merge_sort_block_merge_config_selectorIssEEZZNS1_27merge_sort_block_merge_implIS3_N6thrust23THRUST_200600_302600_NS6detail15normal_iteratorINS8_10device_ptrIsEEEESD_jNS1_19radix_merge_compareILb0ELb0EsNS0_19identity_decomposerEEEEE10hipError_tT0_T1_T2_jT3_P12ihipStream_tbPNSt15iterator_traitsISI_E10value_typeEPNSO_ISJ_E10value_typeEPSK_NS1_7vsmem_tEENKUlT_SI_SJ_SK_E_clIPsSD_S10_SD_EESH_SX_SI_SJ_SK_EUlSX_E0_NS1_11comp_targetILNS1_3genE2ELNS1_11target_archE906ELNS1_3gpuE6ELNS1_3repE0EEENS1_38merge_mergepath_config_static_selectorELNS0_4arch9wavefront6targetE1EEEvSJ_,"axG",@progbits,_ZN7rocprim17ROCPRIM_400000_NS6detail17trampoline_kernelINS0_14default_configENS1_38merge_sort_block_merge_config_selectorIssEEZZNS1_27merge_sort_block_merge_implIS3_N6thrust23THRUST_200600_302600_NS6detail15normal_iteratorINS8_10device_ptrIsEEEESD_jNS1_19radix_merge_compareILb0ELb0EsNS0_19identity_decomposerEEEEE10hipError_tT0_T1_T2_jT3_P12ihipStream_tbPNSt15iterator_traitsISI_E10value_typeEPNSO_ISJ_E10value_typeEPSK_NS1_7vsmem_tEENKUlT_SI_SJ_SK_E_clIPsSD_S10_SD_EESH_SX_SI_SJ_SK_EUlSX_E0_NS1_11comp_targetILNS1_3genE2ELNS1_11target_archE906ELNS1_3gpuE6ELNS1_3repE0EEENS1_38merge_mergepath_config_static_selectorELNS0_4arch9wavefront6targetE1EEEvSJ_,comdat
	.protected	_ZN7rocprim17ROCPRIM_400000_NS6detail17trampoline_kernelINS0_14default_configENS1_38merge_sort_block_merge_config_selectorIssEEZZNS1_27merge_sort_block_merge_implIS3_N6thrust23THRUST_200600_302600_NS6detail15normal_iteratorINS8_10device_ptrIsEEEESD_jNS1_19radix_merge_compareILb0ELb0EsNS0_19identity_decomposerEEEEE10hipError_tT0_T1_T2_jT3_P12ihipStream_tbPNSt15iterator_traitsISI_E10value_typeEPNSO_ISJ_E10value_typeEPSK_NS1_7vsmem_tEENKUlT_SI_SJ_SK_E_clIPsSD_S10_SD_EESH_SX_SI_SJ_SK_EUlSX_E0_NS1_11comp_targetILNS1_3genE2ELNS1_11target_archE906ELNS1_3gpuE6ELNS1_3repE0EEENS1_38merge_mergepath_config_static_selectorELNS0_4arch9wavefront6targetE1EEEvSJ_ ; -- Begin function _ZN7rocprim17ROCPRIM_400000_NS6detail17trampoline_kernelINS0_14default_configENS1_38merge_sort_block_merge_config_selectorIssEEZZNS1_27merge_sort_block_merge_implIS3_N6thrust23THRUST_200600_302600_NS6detail15normal_iteratorINS8_10device_ptrIsEEEESD_jNS1_19radix_merge_compareILb0ELb0EsNS0_19identity_decomposerEEEEE10hipError_tT0_T1_T2_jT3_P12ihipStream_tbPNSt15iterator_traitsISI_E10value_typeEPNSO_ISJ_E10value_typeEPSK_NS1_7vsmem_tEENKUlT_SI_SJ_SK_E_clIPsSD_S10_SD_EESH_SX_SI_SJ_SK_EUlSX_E0_NS1_11comp_targetILNS1_3genE2ELNS1_11target_archE906ELNS1_3gpuE6ELNS1_3repE0EEENS1_38merge_mergepath_config_static_selectorELNS0_4arch9wavefront6targetE1EEEvSJ_
	.globl	_ZN7rocprim17ROCPRIM_400000_NS6detail17trampoline_kernelINS0_14default_configENS1_38merge_sort_block_merge_config_selectorIssEEZZNS1_27merge_sort_block_merge_implIS3_N6thrust23THRUST_200600_302600_NS6detail15normal_iteratorINS8_10device_ptrIsEEEESD_jNS1_19radix_merge_compareILb0ELb0EsNS0_19identity_decomposerEEEEE10hipError_tT0_T1_T2_jT3_P12ihipStream_tbPNSt15iterator_traitsISI_E10value_typeEPNSO_ISJ_E10value_typeEPSK_NS1_7vsmem_tEENKUlT_SI_SJ_SK_E_clIPsSD_S10_SD_EESH_SX_SI_SJ_SK_EUlSX_E0_NS1_11comp_targetILNS1_3genE2ELNS1_11target_archE906ELNS1_3gpuE6ELNS1_3repE0EEENS1_38merge_mergepath_config_static_selectorELNS0_4arch9wavefront6targetE1EEEvSJ_
	.p2align	8
	.type	_ZN7rocprim17ROCPRIM_400000_NS6detail17trampoline_kernelINS0_14default_configENS1_38merge_sort_block_merge_config_selectorIssEEZZNS1_27merge_sort_block_merge_implIS3_N6thrust23THRUST_200600_302600_NS6detail15normal_iteratorINS8_10device_ptrIsEEEESD_jNS1_19radix_merge_compareILb0ELb0EsNS0_19identity_decomposerEEEEE10hipError_tT0_T1_T2_jT3_P12ihipStream_tbPNSt15iterator_traitsISI_E10value_typeEPNSO_ISJ_E10value_typeEPSK_NS1_7vsmem_tEENKUlT_SI_SJ_SK_E_clIPsSD_S10_SD_EESH_SX_SI_SJ_SK_EUlSX_E0_NS1_11comp_targetILNS1_3genE2ELNS1_11target_archE906ELNS1_3gpuE6ELNS1_3repE0EEENS1_38merge_mergepath_config_static_selectorELNS0_4arch9wavefront6targetE1EEEvSJ_,@function
_ZN7rocprim17ROCPRIM_400000_NS6detail17trampoline_kernelINS0_14default_configENS1_38merge_sort_block_merge_config_selectorIssEEZZNS1_27merge_sort_block_merge_implIS3_N6thrust23THRUST_200600_302600_NS6detail15normal_iteratorINS8_10device_ptrIsEEEESD_jNS1_19radix_merge_compareILb0ELb0EsNS0_19identity_decomposerEEEEE10hipError_tT0_T1_T2_jT3_P12ihipStream_tbPNSt15iterator_traitsISI_E10value_typeEPNSO_ISJ_E10value_typeEPSK_NS1_7vsmem_tEENKUlT_SI_SJ_SK_E_clIPsSD_S10_SD_EESH_SX_SI_SJ_SK_EUlSX_E0_NS1_11comp_targetILNS1_3genE2ELNS1_11target_archE906ELNS1_3gpuE6ELNS1_3repE0EEENS1_38merge_mergepath_config_static_selectorELNS0_4arch9wavefront6targetE1EEEvSJ_: ; @_ZN7rocprim17ROCPRIM_400000_NS6detail17trampoline_kernelINS0_14default_configENS1_38merge_sort_block_merge_config_selectorIssEEZZNS1_27merge_sort_block_merge_implIS3_N6thrust23THRUST_200600_302600_NS6detail15normal_iteratorINS8_10device_ptrIsEEEESD_jNS1_19radix_merge_compareILb0ELb0EsNS0_19identity_decomposerEEEEE10hipError_tT0_T1_T2_jT3_P12ihipStream_tbPNSt15iterator_traitsISI_E10value_typeEPNSO_ISJ_E10value_typeEPSK_NS1_7vsmem_tEENKUlT_SI_SJ_SK_E_clIPsSD_S10_SD_EESH_SX_SI_SJ_SK_EUlSX_E0_NS1_11comp_targetILNS1_3genE2ELNS1_11target_archE906ELNS1_3gpuE6ELNS1_3repE0EEENS1_38merge_mergepath_config_static_selectorELNS0_4arch9wavefront6targetE1EEEvSJ_
; %bb.0:
	.section	.rodata,"a",@progbits
	.p2align	6, 0x0
	.amdhsa_kernel _ZN7rocprim17ROCPRIM_400000_NS6detail17trampoline_kernelINS0_14default_configENS1_38merge_sort_block_merge_config_selectorIssEEZZNS1_27merge_sort_block_merge_implIS3_N6thrust23THRUST_200600_302600_NS6detail15normal_iteratorINS8_10device_ptrIsEEEESD_jNS1_19radix_merge_compareILb0ELb0EsNS0_19identity_decomposerEEEEE10hipError_tT0_T1_T2_jT3_P12ihipStream_tbPNSt15iterator_traitsISI_E10value_typeEPNSO_ISJ_E10value_typeEPSK_NS1_7vsmem_tEENKUlT_SI_SJ_SK_E_clIPsSD_S10_SD_EESH_SX_SI_SJ_SK_EUlSX_E0_NS1_11comp_targetILNS1_3genE2ELNS1_11target_archE906ELNS1_3gpuE6ELNS1_3repE0EEENS1_38merge_mergepath_config_static_selectorELNS0_4arch9wavefront6targetE1EEEvSJ_
		.amdhsa_group_segment_fixed_size 0
		.amdhsa_private_segment_fixed_size 0
		.amdhsa_kernarg_size 64
		.amdhsa_user_sgpr_count 2
		.amdhsa_user_sgpr_dispatch_ptr 0
		.amdhsa_user_sgpr_queue_ptr 0
		.amdhsa_user_sgpr_kernarg_segment_ptr 1
		.amdhsa_user_sgpr_dispatch_id 0
		.amdhsa_user_sgpr_kernarg_preload_length 0
		.amdhsa_user_sgpr_kernarg_preload_offset 0
		.amdhsa_user_sgpr_private_segment_size 0
		.amdhsa_uses_dynamic_stack 0
		.amdhsa_enable_private_segment 0
		.amdhsa_system_sgpr_workgroup_id_x 1
		.amdhsa_system_sgpr_workgroup_id_y 0
		.amdhsa_system_sgpr_workgroup_id_z 0
		.amdhsa_system_sgpr_workgroup_info 0
		.amdhsa_system_vgpr_workitem_id 0
		.amdhsa_next_free_vgpr 1
		.amdhsa_next_free_sgpr 0
		.amdhsa_accum_offset 4
		.amdhsa_reserve_vcc 0
		.amdhsa_float_round_mode_32 0
		.amdhsa_float_round_mode_16_64 0
		.amdhsa_float_denorm_mode_32 3
		.amdhsa_float_denorm_mode_16_64 3
		.amdhsa_dx10_clamp 1
		.amdhsa_ieee_mode 1
		.amdhsa_fp16_overflow 0
		.amdhsa_tg_split 0
		.amdhsa_exception_fp_ieee_invalid_op 0
		.amdhsa_exception_fp_denorm_src 0
		.amdhsa_exception_fp_ieee_div_zero 0
		.amdhsa_exception_fp_ieee_overflow 0
		.amdhsa_exception_fp_ieee_underflow 0
		.amdhsa_exception_fp_ieee_inexact 0
		.amdhsa_exception_int_div_zero 0
	.end_amdhsa_kernel
	.section	.text._ZN7rocprim17ROCPRIM_400000_NS6detail17trampoline_kernelINS0_14default_configENS1_38merge_sort_block_merge_config_selectorIssEEZZNS1_27merge_sort_block_merge_implIS3_N6thrust23THRUST_200600_302600_NS6detail15normal_iteratorINS8_10device_ptrIsEEEESD_jNS1_19radix_merge_compareILb0ELb0EsNS0_19identity_decomposerEEEEE10hipError_tT0_T1_T2_jT3_P12ihipStream_tbPNSt15iterator_traitsISI_E10value_typeEPNSO_ISJ_E10value_typeEPSK_NS1_7vsmem_tEENKUlT_SI_SJ_SK_E_clIPsSD_S10_SD_EESH_SX_SI_SJ_SK_EUlSX_E0_NS1_11comp_targetILNS1_3genE2ELNS1_11target_archE906ELNS1_3gpuE6ELNS1_3repE0EEENS1_38merge_mergepath_config_static_selectorELNS0_4arch9wavefront6targetE1EEEvSJ_,"axG",@progbits,_ZN7rocprim17ROCPRIM_400000_NS6detail17trampoline_kernelINS0_14default_configENS1_38merge_sort_block_merge_config_selectorIssEEZZNS1_27merge_sort_block_merge_implIS3_N6thrust23THRUST_200600_302600_NS6detail15normal_iteratorINS8_10device_ptrIsEEEESD_jNS1_19radix_merge_compareILb0ELb0EsNS0_19identity_decomposerEEEEE10hipError_tT0_T1_T2_jT3_P12ihipStream_tbPNSt15iterator_traitsISI_E10value_typeEPNSO_ISJ_E10value_typeEPSK_NS1_7vsmem_tEENKUlT_SI_SJ_SK_E_clIPsSD_S10_SD_EESH_SX_SI_SJ_SK_EUlSX_E0_NS1_11comp_targetILNS1_3genE2ELNS1_11target_archE906ELNS1_3gpuE6ELNS1_3repE0EEENS1_38merge_mergepath_config_static_selectorELNS0_4arch9wavefront6targetE1EEEvSJ_,comdat
.Lfunc_end1523:
	.size	_ZN7rocprim17ROCPRIM_400000_NS6detail17trampoline_kernelINS0_14default_configENS1_38merge_sort_block_merge_config_selectorIssEEZZNS1_27merge_sort_block_merge_implIS3_N6thrust23THRUST_200600_302600_NS6detail15normal_iteratorINS8_10device_ptrIsEEEESD_jNS1_19radix_merge_compareILb0ELb0EsNS0_19identity_decomposerEEEEE10hipError_tT0_T1_T2_jT3_P12ihipStream_tbPNSt15iterator_traitsISI_E10value_typeEPNSO_ISJ_E10value_typeEPSK_NS1_7vsmem_tEENKUlT_SI_SJ_SK_E_clIPsSD_S10_SD_EESH_SX_SI_SJ_SK_EUlSX_E0_NS1_11comp_targetILNS1_3genE2ELNS1_11target_archE906ELNS1_3gpuE6ELNS1_3repE0EEENS1_38merge_mergepath_config_static_selectorELNS0_4arch9wavefront6targetE1EEEvSJ_, .Lfunc_end1523-_ZN7rocprim17ROCPRIM_400000_NS6detail17trampoline_kernelINS0_14default_configENS1_38merge_sort_block_merge_config_selectorIssEEZZNS1_27merge_sort_block_merge_implIS3_N6thrust23THRUST_200600_302600_NS6detail15normal_iteratorINS8_10device_ptrIsEEEESD_jNS1_19radix_merge_compareILb0ELb0EsNS0_19identity_decomposerEEEEE10hipError_tT0_T1_T2_jT3_P12ihipStream_tbPNSt15iterator_traitsISI_E10value_typeEPNSO_ISJ_E10value_typeEPSK_NS1_7vsmem_tEENKUlT_SI_SJ_SK_E_clIPsSD_S10_SD_EESH_SX_SI_SJ_SK_EUlSX_E0_NS1_11comp_targetILNS1_3genE2ELNS1_11target_archE906ELNS1_3gpuE6ELNS1_3repE0EEENS1_38merge_mergepath_config_static_selectorELNS0_4arch9wavefront6targetE1EEEvSJ_
                                        ; -- End function
	.set _ZN7rocprim17ROCPRIM_400000_NS6detail17trampoline_kernelINS0_14default_configENS1_38merge_sort_block_merge_config_selectorIssEEZZNS1_27merge_sort_block_merge_implIS3_N6thrust23THRUST_200600_302600_NS6detail15normal_iteratorINS8_10device_ptrIsEEEESD_jNS1_19radix_merge_compareILb0ELb0EsNS0_19identity_decomposerEEEEE10hipError_tT0_T1_T2_jT3_P12ihipStream_tbPNSt15iterator_traitsISI_E10value_typeEPNSO_ISJ_E10value_typeEPSK_NS1_7vsmem_tEENKUlT_SI_SJ_SK_E_clIPsSD_S10_SD_EESH_SX_SI_SJ_SK_EUlSX_E0_NS1_11comp_targetILNS1_3genE2ELNS1_11target_archE906ELNS1_3gpuE6ELNS1_3repE0EEENS1_38merge_mergepath_config_static_selectorELNS0_4arch9wavefront6targetE1EEEvSJ_.num_vgpr, 0
	.set _ZN7rocprim17ROCPRIM_400000_NS6detail17trampoline_kernelINS0_14default_configENS1_38merge_sort_block_merge_config_selectorIssEEZZNS1_27merge_sort_block_merge_implIS3_N6thrust23THRUST_200600_302600_NS6detail15normal_iteratorINS8_10device_ptrIsEEEESD_jNS1_19radix_merge_compareILb0ELb0EsNS0_19identity_decomposerEEEEE10hipError_tT0_T1_T2_jT3_P12ihipStream_tbPNSt15iterator_traitsISI_E10value_typeEPNSO_ISJ_E10value_typeEPSK_NS1_7vsmem_tEENKUlT_SI_SJ_SK_E_clIPsSD_S10_SD_EESH_SX_SI_SJ_SK_EUlSX_E0_NS1_11comp_targetILNS1_3genE2ELNS1_11target_archE906ELNS1_3gpuE6ELNS1_3repE0EEENS1_38merge_mergepath_config_static_selectorELNS0_4arch9wavefront6targetE1EEEvSJ_.num_agpr, 0
	.set _ZN7rocprim17ROCPRIM_400000_NS6detail17trampoline_kernelINS0_14default_configENS1_38merge_sort_block_merge_config_selectorIssEEZZNS1_27merge_sort_block_merge_implIS3_N6thrust23THRUST_200600_302600_NS6detail15normal_iteratorINS8_10device_ptrIsEEEESD_jNS1_19radix_merge_compareILb0ELb0EsNS0_19identity_decomposerEEEEE10hipError_tT0_T1_T2_jT3_P12ihipStream_tbPNSt15iterator_traitsISI_E10value_typeEPNSO_ISJ_E10value_typeEPSK_NS1_7vsmem_tEENKUlT_SI_SJ_SK_E_clIPsSD_S10_SD_EESH_SX_SI_SJ_SK_EUlSX_E0_NS1_11comp_targetILNS1_3genE2ELNS1_11target_archE906ELNS1_3gpuE6ELNS1_3repE0EEENS1_38merge_mergepath_config_static_selectorELNS0_4arch9wavefront6targetE1EEEvSJ_.numbered_sgpr, 0
	.set _ZN7rocprim17ROCPRIM_400000_NS6detail17trampoline_kernelINS0_14default_configENS1_38merge_sort_block_merge_config_selectorIssEEZZNS1_27merge_sort_block_merge_implIS3_N6thrust23THRUST_200600_302600_NS6detail15normal_iteratorINS8_10device_ptrIsEEEESD_jNS1_19radix_merge_compareILb0ELb0EsNS0_19identity_decomposerEEEEE10hipError_tT0_T1_T2_jT3_P12ihipStream_tbPNSt15iterator_traitsISI_E10value_typeEPNSO_ISJ_E10value_typeEPSK_NS1_7vsmem_tEENKUlT_SI_SJ_SK_E_clIPsSD_S10_SD_EESH_SX_SI_SJ_SK_EUlSX_E0_NS1_11comp_targetILNS1_3genE2ELNS1_11target_archE906ELNS1_3gpuE6ELNS1_3repE0EEENS1_38merge_mergepath_config_static_selectorELNS0_4arch9wavefront6targetE1EEEvSJ_.num_named_barrier, 0
	.set _ZN7rocprim17ROCPRIM_400000_NS6detail17trampoline_kernelINS0_14default_configENS1_38merge_sort_block_merge_config_selectorIssEEZZNS1_27merge_sort_block_merge_implIS3_N6thrust23THRUST_200600_302600_NS6detail15normal_iteratorINS8_10device_ptrIsEEEESD_jNS1_19radix_merge_compareILb0ELb0EsNS0_19identity_decomposerEEEEE10hipError_tT0_T1_T2_jT3_P12ihipStream_tbPNSt15iterator_traitsISI_E10value_typeEPNSO_ISJ_E10value_typeEPSK_NS1_7vsmem_tEENKUlT_SI_SJ_SK_E_clIPsSD_S10_SD_EESH_SX_SI_SJ_SK_EUlSX_E0_NS1_11comp_targetILNS1_3genE2ELNS1_11target_archE906ELNS1_3gpuE6ELNS1_3repE0EEENS1_38merge_mergepath_config_static_selectorELNS0_4arch9wavefront6targetE1EEEvSJ_.private_seg_size, 0
	.set _ZN7rocprim17ROCPRIM_400000_NS6detail17trampoline_kernelINS0_14default_configENS1_38merge_sort_block_merge_config_selectorIssEEZZNS1_27merge_sort_block_merge_implIS3_N6thrust23THRUST_200600_302600_NS6detail15normal_iteratorINS8_10device_ptrIsEEEESD_jNS1_19radix_merge_compareILb0ELb0EsNS0_19identity_decomposerEEEEE10hipError_tT0_T1_T2_jT3_P12ihipStream_tbPNSt15iterator_traitsISI_E10value_typeEPNSO_ISJ_E10value_typeEPSK_NS1_7vsmem_tEENKUlT_SI_SJ_SK_E_clIPsSD_S10_SD_EESH_SX_SI_SJ_SK_EUlSX_E0_NS1_11comp_targetILNS1_3genE2ELNS1_11target_archE906ELNS1_3gpuE6ELNS1_3repE0EEENS1_38merge_mergepath_config_static_selectorELNS0_4arch9wavefront6targetE1EEEvSJ_.uses_vcc, 0
	.set _ZN7rocprim17ROCPRIM_400000_NS6detail17trampoline_kernelINS0_14default_configENS1_38merge_sort_block_merge_config_selectorIssEEZZNS1_27merge_sort_block_merge_implIS3_N6thrust23THRUST_200600_302600_NS6detail15normal_iteratorINS8_10device_ptrIsEEEESD_jNS1_19radix_merge_compareILb0ELb0EsNS0_19identity_decomposerEEEEE10hipError_tT0_T1_T2_jT3_P12ihipStream_tbPNSt15iterator_traitsISI_E10value_typeEPNSO_ISJ_E10value_typeEPSK_NS1_7vsmem_tEENKUlT_SI_SJ_SK_E_clIPsSD_S10_SD_EESH_SX_SI_SJ_SK_EUlSX_E0_NS1_11comp_targetILNS1_3genE2ELNS1_11target_archE906ELNS1_3gpuE6ELNS1_3repE0EEENS1_38merge_mergepath_config_static_selectorELNS0_4arch9wavefront6targetE1EEEvSJ_.uses_flat_scratch, 0
	.set _ZN7rocprim17ROCPRIM_400000_NS6detail17trampoline_kernelINS0_14default_configENS1_38merge_sort_block_merge_config_selectorIssEEZZNS1_27merge_sort_block_merge_implIS3_N6thrust23THRUST_200600_302600_NS6detail15normal_iteratorINS8_10device_ptrIsEEEESD_jNS1_19radix_merge_compareILb0ELb0EsNS0_19identity_decomposerEEEEE10hipError_tT0_T1_T2_jT3_P12ihipStream_tbPNSt15iterator_traitsISI_E10value_typeEPNSO_ISJ_E10value_typeEPSK_NS1_7vsmem_tEENKUlT_SI_SJ_SK_E_clIPsSD_S10_SD_EESH_SX_SI_SJ_SK_EUlSX_E0_NS1_11comp_targetILNS1_3genE2ELNS1_11target_archE906ELNS1_3gpuE6ELNS1_3repE0EEENS1_38merge_mergepath_config_static_selectorELNS0_4arch9wavefront6targetE1EEEvSJ_.has_dyn_sized_stack, 0
	.set _ZN7rocprim17ROCPRIM_400000_NS6detail17trampoline_kernelINS0_14default_configENS1_38merge_sort_block_merge_config_selectorIssEEZZNS1_27merge_sort_block_merge_implIS3_N6thrust23THRUST_200600_302600_NS6detail15normal_iteratorINS8_10device_ptrIsEEEESD_jNS1_19radix_merge_compareILb0ELb0EsNS0_19identity_decomposerEEEEE10hipError_tT0_T1_T2_jT3_P12ihipStream_tbPNSt15iterator_traitsISI_E10value_typeEPNSO_ISJ_E10value_typeEPSK_NS1_7vsmem_tEENKUlT_SI_SJ_SK_E_clIPsSD_S10_SD_EESH_SX_SI_SJ_SK_EUlSX_E0_NS1_11comp_targetILNS1_3genE2ELNS1_11target_archE906ELNS1_3gpuE6ELNS1_3repE0EEENS1_38merge_mergepath_config_static_selectorELNS0_4arch9wavefront6targetE1EEEvSJ_.has_recursion, 0
	.set _ZN7rocprim17ROCPRIM_400000_NS6detail17trampoline_kernelINS0_14default_configENS1_38merge_sort_block_merge_config_selectorIssEEZZNS1_27merge_sort_block_merge_implIS3_N6thrust23THRUST_200600_302600_NS6detail15normal_iteratorINS8_10device_ptrIsEEEESD_jNS1_19radix_merge_compareILb0ELb0EsNS0_19identity_decomposerEEEEE10hipError_tT0_T1_T2_jT3_P12ihipStream_tbPNSt15iterator_traitsISI_E10value_typeEPNSO_ISJ_E10value_typeEPSK_NS1_7vsmem_tEENKUlT_SI_SJ_SK_E_clIPsSD_S10_SD_EESH_SX_SI_SJ_SK_EUlSX_E0_NS1_11comp_targetILNS1_3genE2ELNS1_11target_archE906ELNS1_3gpuE6ELNS1_3repE0EEENS1_38merge_mergepath_config_static_selectorELNS0_4arch9wavefront6targetE1EEEvSJ_.has_indirect_call, 0
	.section	.AMDGPU.csdata,"",@progbits
; Kernel info:
; codeLenInByte = 0
; TotalNumSgprs: 6
; NumVgprs: 0
; NumAgprs: 0
; TotalNumVgprs: 0
; ScratchSize: 0
; MemoryBound: 0
; FloatMode: 240
; IeeeMode: 1
; LDSByteSize: 0 bytes/workgroup (compile time only)
; SGPRBlocks: 0
; VGPRBlocks: 0
; NumSGPRsForWavesPerEU: 6
; NumVGPRsForWavesPerEU: 1
; AccumOffset: 4
; Occupancy: 8
; WaveLimiterHint : 0
; COMPUTE_PGM_RSRC2:SCRATCH_EN: 0
; COMPUTE_PGM_RSRC2:USER_SGPR: 2
; COMPUTE_PGM_RSRC2:TRAP_HANDLER: 0
; COMPUTE_PGM_RSRC2:TGID_X_EN: 1
; COMPUTE_PGM_RSRC2:TGID_Y_EN: 0
; COMPUTE_PGM_RSRC2:TGID_Z_EN: 0
; COMPUTE_PGM_RSRC2:TIDIG_COMP_CNT: 0
; COMPUTE_PGM_RSRC3_GFX90A:ACCUM_OFFSET: 0
; COMPUTE_PGM_RSRC3_GFX90A:TG_SPLIT: 0
	.section	.text._ZN7rocprim17ROCPRIM_400000_NS6detail17trampoline_kernelINS0_14default_configENS1_38merge_sort_block_merge_config_selectorIssEEZZNS1_27merge_sort_block_merge_implIS3_N6thrust23THRUST_200600_302600_NS6detail15normal_iteratorINS8_10device_ptrIsEEEESD_jNS1_19radix_merge_compareILb0ELb0EsNS0_19identity_decomposerEEEEE10hipError_tT0_T1_T2_jT3_P12ihipStream_tbPNSt15iterator_traitsISI_E10value_typeEPNSO_ISJ_E10value_typeEPSK_NS1_7vsmem_tEENKUlT_SI_SJ_SK_E_clIPsSD_S10_SD_EESH_SX_SI_SJ_SK_EUlSX_E0_NS1_11comp_targetILNS1_3genE9ELNS1_11target_archE1100ELNS1_3gpuE3ELNS1_3repE0EEENS1_38merge_mergepath_config_static_selectorELNS0_4arch9wavefront6targetE1EEEvSJ_,"axG",@progbits,_ZN7rocprim17ROCPRIM_400000_NS6detail17trampoline_kernelINS0_14default_configENS1_38merge_sort_block_merge_config_selectorIssEEZZNS1_27merge_sort_block_merge_implIS3_N6thrust23THRUST_200600_302600_NS6detail15normal_iteratorINS8_10device_ptrIsEEEESD_jNS1_19radix_merge_compareILb0ELb0EsNS0_19identity_decomposerEEEEE10hipError_tT0_T1_T2_jT3_P12ihipStream_tbPNSt15iterator_traitsISI_E10value_typeEPNSO_ISJ_E10value_typeEPSK_NS1_7vsmem_tEENKUlT_SI_SJ_SK_E_clIPsSD_S10_SD_EESH_SX_SI_SJ_SK_EUlSX_E0_NS1_11comp_targetILNS1_3genE9ELNS1_11target_archE1100ELNS1_3gpuE3ELNS1_3repE0EEENS1_38merge_mergepath_config_static_selectorELNS0_4arch9wavefront6targetE1EEEvSJ_,comdat
	.protected	_ZN7rocprim17ROCPRIM_400000_NS6detail17trampoline_kernelINS0_14default_configENS1_38merge_sort_block_merge_config_selectorIssEEZZNS1_27merge_sort_block_merge_implIS3_N6thrust23THRUST_200600_302600_NS6detail15normal_iteratorINS8_10device_ptrIsEEEESD_jNS1_19radix_merge_compareILb0ELb0EsNS0_19identity_decomposerEEEEE10hipError_tT0_T1_T2_jT3_P12ihipStream_tbPNSt15iterator_traitsISI_E10value_typeEPNSO_ISJ_E10value_typeEPSK_NS1_7vsmem_tEENKUlT_SI_SJ_SK_E_clIPsSD_S10_SD_EESH_SX_SI_SJ_SK_EUlSX_E0_NS1_11comp_targetILNS1_3genE9ELNS1_11target_archE1100ELNS1_3gpuE3ELNS1_3repE0EEENS1_38merge_mergepath_config_static_selectorELNS0_4arch9wavefront6targetE1EEEvSJ_ ; -- Begin function _ZN7rocprim17ROCPRIM_400000_NS6detail17trampoline_kernelINS0_14default_configENS1_38merge_sort_block_merge_config_selectorIssEEZZNS1_27merge_sort_block_merge_implIS3_N6thrust23THRUST_200600_302600_NS6detail15normal_iteratorINS8_10device_ptrIsEEEESD_jNS1_19radix_merge_compareILb0ELb0EsNS0_19identity_decomposerEEEEE10hipError_tT0_T1_T2_jT3_P12ihipStream_tbPNSt15iterator_traitsISI_E10value_typeEPNSO_ISJ_E10value_typeEPSK_NS1_7vsmem_tEENKUlT_SI_SJ_SK_E_clIPsSD_S10_SD_EESH_SX_SI_SJ_SK_EUlSX_E0_NS1_11comp_targetILNS1_3genE9ELNS1_11target_archE1100ELNS1_3gpuE3ELNS1_3repE0EEENS1_38merge_mergepath_config_static_selectorELNS0_4arch9wavefront6targetE1EEEvSJ_
	.globl	_ZN7rocprim17ROCPRIM_400000_NS6detail17trampoline_kernelINS0_14default_configENS1_38merge_sort_block_merge_config_selectorIssEEZZNS1_27merge_sort_block_merge_implIS3_N6thrust23THRUST_200600_302600_NS6detail15normal_iteratorINS8_10device_ptrIsEEEESD_jNS1_19radix_merge_compareILb0ELb0EsNS0_19identity_decomposerEEEEE10hipError_tT0_T1_T2_jT3_P12ihipStream_tbPNSt15iterator_traitsISI_E10value_typeEPNSO_ISJ_E10value_typeEPSK_NS1_7vsmem_tEENKUlT_SI_SJ_SK_E_clIPsSD_S10_SD_EESH_SX_SI_SJ_SK_EUlSX_E0_NS1_11comp_targetILNS1_3genE9ELNS1_11target_archE1100ELNS1_3gpuE3ELNS1_3repE0EEENS1_38merge_mergepath_config_static_selectorELNS0_4arch9wavefront6targetE1EEEvSJ_
	.p2align	8
	.type	_ZN7rocprim17ROCPRIM_400000_NS6detail17trampoline_kernelINS0_14default_configENS1_38merge_sort_block_merge_config_selectorIssEEZZNS1_27merge_sort_block_merge_implIS3_N6thrust23THRUST_200600_302600_NS6detail15normal_iteratorINS8_10device_ptrIsEEEESD_jNS1_19radix_merge_compareILb0ELb0EsNS0_19identity_decomposerEEEEE10hipError_tT0_T1_T2_jT3_P12ihipStream_tbPNSt15iterator_traitsISI_E10value_typeEPNSO_ISJ_E10value_typeEPSK_NS1_7vsmem_tEENKUlT_SI_SJ_SK_E_clIPsSD_S10_SD_EESH_SX_SI_SJ_SK_EUlSX_E0_NS1_11comp_targetILNS1_3genE9ELNS1_11target_archE1100ELNS1_3gpuE3ELNS1_3repE0EEENS1_38merge_mergepath_config_static_selectorELNS0_4arch9wavefront6targetE1EEEvSJ_,@function
_ZN7rocprim17ROCPRIM_400000_NS6detail17trampoline_kernelINS0_14default_configENS1_38merge_sort_block_merge_config_selectorIssEEZZNS1_27merge_sort_block_merge_implIS3_N6thrust23THRUST_200600_302600_NS6detail15normal_iteratorINS8_10device_ptrIsEEEESD_jNS1_19radix_merge_compareILb0ELb0EsNS0_19identity_decomposerEEEEE10hipError_tT0_T1_T2_jT3_P12ihipStream_tbPNSt15iterator_traitsISI_E10value_typeEPNSO_ISJ_E10value_typeEPSK_NS1_7vsmem_tEENKUlT_SI_SJ_SK_E_clIPsSD_S10_SD_EESH_SX_SI_SJ_SK_EUlSX_E0_NS1_11comp_targetILNS1_3genE9ELNS1_11target_archE1100ELNS1_3gpuE3ELNS1_3repE0EEENS1_38merge_mergepath_config_static_selectorELNS0_4arch9wavefront6targetE1EEEvSJ_: ; @_ZN7rocprim17ROCPRIM_400000_NS6detail17trampoline_kernelINS0_14default_configENS1_38merge_sort_block_merge_config_selectorIssEEZZNS1_27merge_sort_block_merge_implIS3_N6thrust23THRUST_200600_302600_NS6detail15normal_iteratorINS8_10device_ptrIsEEEESD_jNS1_19radix_merge_compareILb0ELb0EsNS0_19identity_decomposerEEEEE10hipError_tT0_T1_T2_jT3_P12ihipStream_tbPNSt15iterator_traitsISI_E10value_typeEPNSO_ISJ_E10value_typeEPSK_NS1_7vsmem_tEENKUlT_SI_SJ_SK_E_clIPsSD_S10_SD_EESH_SX_SI_SJ_SK_EUlSX_E0_NS1_11comp_targetILNS1_3genE9ELNS1_11target_archE1100ELNS1_3gpuE3ELNS1_3repE0EEENS1_38merge_mergepath_config_static_selectorELNS0_4arch9wavefront6targetE1EEEvSJ_
; %bb.0:
	.section	.rodata,"a",@progbits
	.p2align	6, 0x0
	.amdhsa_kernel _ZN7rocprim17ROCPRIM_400000_NS6detail17trampoline_kernelINS0_14default_configENS1_38merge_sort_block_merge_config_selectorIssEEZZNS1_27merge_sort_block_merge_implIS3_N6thrust23THRUST_200600_302600_NS6detail15normal_iteratorINS8_10device_ptrIsEEEESD_jNS1_19radix_merge_compareILb0ELb0EsNS0_19identity_decomposerEEEEE10hipError_tT0_T1_T2_jT3_P12ihipStream_tbPNSt15iterator_traitsISI_E10value_typeEPNSO_ISJ_E10value_typeEPSK_NS1_7vsmem_tEENKUlT_SI_SJ_SK_E_clIPsSD_S10_SD_EESH_SX_SI_SJ_SK_EUlSX_E0_NS1_11comp_targetILNS1_3genE9ELNS1_11target_archE1100ELNS1_3gpuE3ELNS1_3repE0EEENS1_38merge_mergepath_config_static_selectorELNS0_4arch9wavefront6targetE1EEEvSJ_
		.amdhsa_group_segment_fixed_size 0
		.amdhsa_private_segment_fixed_size 0
		.amdhsa_kernarg_size 64
		.amdhsa_user_sgpr_count 2
		.amdhsa_user_sgpr_dispatch_ptr 0
		.amdhsa_user_sgpr_queue_ptr 0
		.amdhsa_user_sgpr_kernarg_segment_ptr 1
		.amdhsa_user_sgpr_dispatch_id 0
		.amdhsa_user_sgpr_kernarg_preload_length 0
		.amdhsa_user_sgpr_kernarg_preload_offset 0
		.amdhsa_user_sgpr_private_segment_size 0
		.amdhsa_uses_dynamic_stack 0
		.amdhsa_enable_private_segment 0
		.amdhsa_system_sgpr_workgroup_id_x 1
		.amdhsa_system_sgpr_workgroup_id_y 0
		.amdhsa_system_sgpr_workgroup_id_z 0
		.amdhsa_system_sgpr_workgroup_info 0
		.amdhsa_system_vgpr_workitem_id 0
		.amdhsa_next_free_vgpr 1
		.amdhsa_next_free_sgpr 0
		.amdhsa_accum_offset 4
		.amdhsa_reserve_vcc 0
		.amdhsa_float_round_mode_32 0
		.amdhsa_float_round_mode_16_64 0
		.amdhsa_float_denorm_mode_32 3
		.amdhsa_float_denorm_mode_16_64 3
		.amdhsa_dx10_clamp 1
		.amdhsa_ieee_mode 1
		.amdhsa_fp16_overflow 0
		.amdhsa_tg_split 0
		.amdhsa_exception_fp_ieee_invalid_op 0
		.amdhsa_exception_fp_denorm_src 0
		.amdhsa_exception_fp_ieee_div_zero 0
		.amdhsa_exception_fp_ieee_overflow 0
		.amdhsa_exception_fp_ieee_underflow 0
		.amdhsa_exception_fp_ieee_inexact 0
		.amdhsa_exception_int_div_zero 0
	.end_amdhsa_kernel
	.section	.text._ZN7rocprim17ROCPRIM_400000_NS6detail17trampoline_kernelINS0_14default_configENS1_38merge_sort_block_merge_config_selectorIssEEZZNS1_27merge_sort_block_merge_implIS3_N6thrust23THRUST_200600_302600_NS6detail15normal_iteratorINS8_10device_ptrIsEEEESD_jNS1_19radix_merge_compareILb0ELb0EsNS0_19identity_decomposerEEEEE10hipError_tT0_T1_T2_jT3_P12ihipStream_tbPNSt15iterator_traitsISI_E10value_typeEPNSO_ISJ_E10value_typeEPSK_NS1_7vsmem_tEENKUlT_SI_SJ_SK_E_clIPsSD_S10_SD_EESH_SX_SI_SJ_SK_EUlSX_E0_NS1_11comp_targetILNS1_3genE9ELNS1_11target_archE1100ELNS1_3gpuE3ELNS1_3repE0EEENS1_38merge_mergepath_config_static_selectorELNS0_4arch9wavefront6targetE1EEEvSJ_,"axG",@progbits,_ZN7rocprim17ROCPRIM_400000_NS6detail17trampoline_kernelINS0_14default_configENS1_38merge_sort_block_merge_config_selectorIssEEZZNS1_27merge_sort_block_merge_implIS3_N6thrust23THRUST_200600_302600_NS6detail15normal_iteratorINS8_10device_ptrIsEEEESD_jNS1_19radix_merge_compareILb0ELb0EsNS0_19identity_decomposerEEEEE10hipError_tT0_T1_T2_jT3_P12ihipStream_tbPNSt15iterator_traitsISI_E10value_typeEPNSO_ISJ_E10value_typeEPSK_NS1_7vsmem_tEENKUlT_SI_SJ_SK_E_clIPsSD_S10_SD_EESH_SX_SI_SJ_SK_EUlSX_E0_NS1_11comp_targetILNS1_3genE9ELNS1_11target_archE1100ELNS1_3gpuE3ELNS1_3repE0EEENS1_38merge_mergepath_config_static_selectorELNS0_4arch9wavefront6targetE1EEEvSJ_,comdat
.Lfunc_end1524:
	.size	_ZN7rocprim17ROCPRIM_400000_NS6detail17trampoline_kernelINS0_14default_configENS1_38merge_sort_block_merge_config_selectorIssEEZZNS1_27merge_sort_block_merge_implIS3_N6thrust23THRUST_200600_302600_NS6detail15normal_iteratorINS8_10device_ptrIsEEEESD_jNS1_19radix_merge_compareILb0ELb0EsNS0_19identity_decomposerEEEEE10hipError_tT0_T1_T2_jT3_P12ihipStream_tbPNSt15iterator_traitsISI_E10value_typeEPNSO_ISJ_E10value_typeEPSK_NS1_7vsmem_tEENKUlT_SI_SJ_SK_E_clIPsSD_S10_SD_EESH_SX_SI_SJ_SK_EUlSX_E0_NS1_11comp_targetILNS1_3genE9ELNS1_11target_archE1100ELNS1_3gpuE3ELNS1_3repE0EEENS1_38merge_mergepath_config_static_selectorELNS0_4arch9wavefront6targetE1EEEvSJ_, .Lfunc_end1524-_ZN7rocprim17ROCPRIM_400000_NS6detail17trampoline_kernelINS0_14default_configENS1_38merge_sort_block_merge_config_selectorIssEEZZNS1_27merge_sort_block_merge_implIS3_N6thrust23THRUST_200600_302600_NS6detail15normal_iteratorINS8_10device_ptrIsEEEESD_jNS1_19radix_merge_compareILb0ELb0EsNS0_19identity_decomposerEEEEE10hipError_tT0_T1_T2_jT3_P12ihipStream_tbPNSt15iterator_traitsISI_E10value_typeEPNSO_ISJ_E10value_typeEPSK_NS1_7vsmem_tEENKUlT_SI_SJ_SK_E_clIPsSD_S10_SD_EESH_SX_SI_SJ_SK_EUlSX_E0_NS1_11comp_targetILNS1_3genE9ELNS1_11target_archE1100ELNS1_3gpuE3ELNS1_3repE0EEENS1_38merge_mergepath_config_static_selectorELNS0_4arch9wavefront6targetE1EEEvSJ_
                                        ; -- End function
	.set _ZN7rocprim17ROCPRIM_400000_NS6detail17trampoline_kernelINS0_14default_configENS1_38merge_sort_block_merge_config_selectorIssEEZZNS1_27merge_sort_block_merge_implIS3_N6thrust23THRUST_200600_302600_NS6detail15normal_iteratorINS8_10device_ptrIsEEEESD_jNS1_19radix_merge_compareILb0ELb0EsNS0_19identity_decomposerEEEEE10hipError_tT0_T1_T2_jT3_P12ihipStream_tbPNSt15iterator_traitsISI_E10value_typeEPNSO_ISJ_E10value_typeEPSK_NS1_7vsmem_tEENKUlT_SI_SJ_SK_E_clIPsSD_S10_SD_EESH_SX_SI_SJ_SK_EUlSX_E0_NS1_11comp_targetILNS1_3genE9ELNS1_11target_archE1100ELNS1_3gpuE3ELNS1_3repE0EEENS1_38merge_mergepath_config_static_selectorELNS0_4arch9wavefront6targetE1EEEvSJ_.num_vgpr, 0
	.set _ZN7rocprim17ROCPRIM_400000_NS6detail17trampoline_kernelINS0_14default_configENS1_38merge_sort_block_merge_config_selectorIssEEZZNS1_27merge_sort_block_merge_implIS3_N6thrust23THRUST_200600_302600_NS6detail15normal_iteratorINS8_10device_ptrIsEEEESD_jNS1_19radix_merge_compareILb0ELb0EsNS0_19identity_decomposerEEEEE10hipError_tT0_T1_T2_jT3_P12ihipStream_tbPNSt15iterator_traitsISI_E10value_typeEPNSO_ISJ_E10value_typeEPSK_NS1_7vsmem_tEENKUlT_SI_SJ_SK_E_clIPsSD_S10_SD_EESH_SX_SI_SJ_SK_EUlSX_E0_NS1_11comp_targetILNS1_3genE9ELNS1_11target_archE1100ELNS1_3gpuE3ELNS1_3repE0EEENS1_38merge_mergepath_config_static_selectorELNS0_4arch9wavefront6targetE1EEEvSJ_.num_agpr, 0
	.set _ZN7rocprim17ROCPRIM_400000_NS6detail17trampoline_kernelINS0_14default_configENS1_38merge_sort_block_merge_config_selectorIssEEZZNS1_27merge_sort_block_merge_implIS3_N6thrust23THRUST_200600_302600_NS6detail15normal_iteratorINS8_10device_ptrIsEEEESD_jNS1_19radix_merge_compareILb0ELb0EsNS0_19identity_decomposerEEEEE10hipError_tT0_T1_T2_jT3_P12ihipStream_tbPNSt15iterator_traitsISI_E10value_typeEPNSO_ISJ_E10value_typeEPSK_NS1_7vsmem_tEENKUlT_SI_SJ_SK_E_clIPsSD_S10_SD_EESH_SX_SI_SJ_SK_EUlSX_E0_NS1_11comp_targetILNS1_3genE9ELNS1_11target_archE1100ELNS1_3gpuE3ELNS1_3repE0EEENS1_38merge_mergepath_config_static_selectorELNS0_4arch9wavefront6targetE1EEEvSJ_.numbered_sgpr, 0
	.set _ZN7rocprim17ROCPRIM_400000_NS6detail17trampoline_kernelINS0_14default_configENS1_38merge_sort_block_merge_config_selectorIssEEZZNS1_27merge_sort_block_merge_implIS3_N6thrust23THRUST_200600_302600_NS6detail15normal_iteratorINS8_10device_ptrIsEEEESD_jNS1_19radix_merge_compareILb0ELb0EsNS0_19identity_decomposerEEEEE10hipError_tT0_T1_T2_jT3_P12ihipStream_tbPNSt15iterator_traitsISI_E10value_typeEPNSO_ISJ_E10value_typeEPSK_NS1_7vsmem_tEENKUlT_SI_SJ_SK_E_clIPsSD_S10_SD_EESH_SX_SI_SJ_SK_EUlSX_E0_NS1_11comp_targetILNS1_3genE9ELNS1_11target_archE1100ELNS1_3gpuE3ELNS1_3repE0EEENS1_38merge_mergepath_config_static_selectorELNS0_4arch9wavefront6targetE1EEEvSJ_.num_named_barrier, 0
	.set _ZN7rocprim17ROCPRIM_400000_NS6detail17trampoline_kernelINS0_14default_configENS1_38merge_sort_block_merge_config_selectorIssEEZZNS1_27merge_sort_block_merge_implIS3_N6thrust23THRUST_200600_302600_NS6detail15normal_iteratorINS8_10device_ptrIsEEEESD_jNS1_19radix_merge_compareILb0ELb0EsNS0_19identity_decomposerEEEEE10hipError_tT0_T1_T2_jT3_P12ihipStream_tbPNSt15iterator_traitsISI_E10value_typeEPNSO_ISJ_E10value_typeEPSK_NS1_7vsmem_tEENKUlT_SI_SJ_SK_E_clIPsSD_S10_SD_EESH_SX_SI_SJ_SK_EUlSX_E0_NS1_11comp_targetILNS1_3genE9ELNS1_11target_archE1100ELNS1_3gpuE3ELNS1_3repE0EEENS1_38merge_mergepath_config_static_selectorELNS0_4arch9wavefront6targetE1EEEvSJ_.private_seg_size, 0
	.set _ZN7rocprim17ROCPRIM_400000_NS6detail17trampoline_kernelINS0_14default_configENS1_38merge_sort_block_merge_config_selectorIssEEZZNS1_27merge_sort_block_merge_implIS3_N6thrust23THRUST_200600_302600_NS6detail15normal_iteratorINS8_10device_ptrIsEEEESD_jNS1_19radix_merge_compareILb0ELb0EsNS0_19identity_decomposerEEEEE10hipError_tT0_T1_T2_jT3_P12ihipStream_tbPNSt15iterator_traitsISI_E10value_typeEPNSO_ISJ_E10value_typeEPSK_NS1_7vsmem_tEENKUlT_SI_SJ_SK_E_clIPsSD_S10_SD_EESH_SX_SI_SJ_SK_EUlSX_E0_NS1_11comp_targetILNS1_3genE9ELNS1_11target_archE1100ELNS1_3gpuE3ELNS1_3repE0EEENS1_38merge_mergepath_config_static_selectorELNS0_4arch9wavefront6targetE1EEEvSJ_.uses_vcc, 0
	.set _ZN7rocprim17ROCPRIM_400000_NS6detail17trampoline_kernelINS0_14default_configENS1_38merge_sort_block_merge_config_selectorIssEEZZNS1_27merge_sort_block_merge_implIS3_N6thrust23THRUST_200600_302600_NS6detail15normal_iteratorINS8_10device_ptrIsEEEESD_jNS1_19radix_merge_compareILb0ELb0EsNS0_19identity_decomposerEEEEE10hipError_tT0_T1_T2_jT3_P12ihipStream_tbPNSt15iterator_traitsISI_E10value_typeEPNSO_ISJ_E10value_typeEPSK_NS1_7vsmem_tEENKUlT_SI_SJ_SK_E_clIPsSD_S10_SD_EESH_SX_SI_SJ_SK_EUlSX_E0_NS1_11comp_targetILNS1_3genE9ELNS1_11target_archE1100ELNS1_3gpuE3ELNS1_3repE0EEENS1_38merge_mergepath_config_static_selectorELNS0_4arch9wavefront6targetE1EEEvSJ_.uses_flat_scratch, 0
	.set _ZN7rocprim17ROCPRIM_400000_NS6detail17trampoline_kernelINS0_14default_configENS1_38merge_sort_block_merge_config_selectorIssEEZZNS1_27merge_sort_block_merge_implIS3_N6thrust23THRUST_200600_302600_NS6detail15normal_iteratorINS8_10device_ptrIsEEEESD_jNS1_19radix_merge_compareILb0ELb0EsNS0_19identity_decomposerEEEEE10hipError_tT0_T1_T2_jT3_P12ihipStream_tbPNSt15iterator_traitsISI_E10value_typeEPNSO_ISJ_E10value_typeEPSK_NS1_7vsmem_tEENKUlT_SI_SJ_SK_E_clIPsSD_S10_SD_EESH_SX_SI_SJ_SK_EUlSX_E0_NS1_11comp_targetILNS1_3genE9ELNS1_11target_archE1100ELNS1_3gpuE3ELNS1_3repE0EEENS1_38merge_mergepath_config_static_selectorELNS0_4arch9wavefront6targetE1EEEvSJ_.has_dyn_sized_stack, 0
	.set _ZN7rocprim17ROCPRIM_400000_NS6detail17trampoline_kernelINS0_14default_configENS1_38merge_sort_block_merge_config_selectorIssEEZZNS1_27merge_sort_block_merge_implIS3_N6thrust23THRUST_200600_302600_NS6detail15normal_iteratorINS8_10device_ptrIsEEEESD_jNS1_19radix_merge_compareILb0ELb0EsNS0_19identity_decomposerEEEEE10hipError_tT0_T1_T2_jT3_P12ihipStream_tbPNSt15iterator_traitsISI_E10value_typeEPNSO_ISJ_E10value_typeEPSK_NS1_7vsmem_tEENKUlT_SI_SJ_SK_E_clIPsSD_S10_SD_EESH_SX_SI_SJ_SK_EUlSX_E0_NS1_11comp_targetILNS1_3genE9ELNS1_11target_archE1100ELNS1_3gpuE3ELNS1_3repE0EEENS1_38merge_mergepath_config_static_selectorELNS0_4arch9wavefront6targetE1EEEvSJ_.has_recursion, 0
	.set _ZN7rocprim17ROCPRIM_400000_NS6detail17trampoline_kernelINS0_14default_configENS1_38merge_sort_block_merge_config_selectorIssEEZZNS1_27merge_sort_block_merge_implIS3_N6thrust23THRUST_200600_302600_NS6detail15normal_iteratorINS8_10device_ptrIsEEEESD_jNS1_19radix_merge_compareILb0ELb0EsNS0_19identity_decomposerEEEEE10hipError_tT0_T1_T2_jT3_P12ihipStream_tbPNSt15iterator_traitsISI_E10value_typeEPNSO_ISJ_E10value_typeEPSK_NS1_7vsmem_tEENKUlT_SI_SJ_SK_E_clIPsSD_S10_SD_EESH_SX_SI_SJ_SK_EUlSX_E0_NS1_11comp_targetILNS1_3genE9ELNS1_11target_archE1100ELNS1_3gpuE3ELNS1_3repE0EEENS1_38merge_mergepath_config_static_selectorELNS0_4arch9wavefront6targetE1EEEvSJ_.has_indirect_call, 0
	.section	.AMDGPU.csdata,"",@progbits
; Kernel info:
; codeLenInByte = 0
; TotalNumSgprs: 6
; NumVgprs: 0
; NumAgprs: 0
; TotalNumVgprs: 0
; ScratchSize: 0
; MemoryBound: 0
; FloatMode: 240
; IeeeMode: 1
; LDSByteSize: 0 bytes/workgroup (compile time only)
; SGPRBlocks: 0
; VGPRBlocks: 0
; NumSGPRsForWavesPerEU: 6
; NumVGPRsForWavesPerEU: 1
; AccumOffset: 4
; Occupancy: 8
; WaveLimiterHint : 0
; COMPUTE_PGM_RSRC2:SCRATCH_EN: 0
; COMPUTE_PGM_RSRC2:USER_SGPR: 2
; COMPUTE_PGM_RSRC2:TRAP_HANDLER: 0
; COMPUTE_PGM_RSRC2:TGID_X_EN: 1
; COMPUTE_PGM_RSRC2:TGID_Y_EN: 0
; COMPUTE_PGM_RSRC2:TGID_Z_EN: 0
; COMPUTE_PGM_RSRC2:TIDIG_COMP_CNT: 0
; COMPUTE_PGM_RSRC3_GFX90A:ACCUM_OFFSET: 0
; COMPUTE_PGM_RSRC3_GFX90A:TG_SPLIT: 0
	.section	.text._ZN7rocprim17ROCPRIM_400000_NS6detail17trampoline_kernelINS0_14default_configENS1_38merge_sort_block_merge_config_selectorIssEEZZNS1_27merge_sort_block_merge_implIS3_N6thrust23THRUST_200600_302600_NS6detail15normal_iteratorINS8_10device_ptrIsEEEESD_jNS1_19radix_merge_compareILb0ELb0EsNS0_19identity_decomposerEEEEE10hipError_tT0_T1_T2_jT3_P12ihipStream_tbPNSt15iterator_traitsISI_E10value_typeEPNSO_ISJ_E10value_typeEPSK_NS1_7vsmem_tEENKUlT_SI_SJ_SK_E_clIPsSD_S10_SD_EESH_SX_SI_SJ_SK_EUlSX_E0_NS1_11comp_targetILNS1_3genE8ELNS1_11target_archE1030ELNS1_3gpuE2ELNS1_3repE0EEENS1_38merge_mergepath_config_static_selectorELNS0_4arch9wavefront6targetE1EEEvSJ_,"axG",@progbits,_ZN7rocprim17ROCPRIM_400000_NS6detail17trampoline_kernelINS0_14default_configENS1_38merge_sort_block_merge_config_selectorIssEEZZNS1_27merge_sort_block_merge_implIS3_N6thrust23THRUST_200600_302600_NS6detail15normal_iteratorINS8_10device_ptrIsEEEESD_jNS1_19radix_merge_compareILb0ELb0EsNS0_19identity_decomposerEEEEE10hipError_tT0_T1_T2_jT3_P12ihipStream_tbPNSt15iterator_traitsISI_E10value_typeEPNSO_ISJ_E10value_typeEPSK_NS1_7vsmem_tEENKUlT_SI_SJ_SK_E_clIPsSD_S10_SD_EESH_SX_SI_SJ_SK_EUlSX_E0_NS1_11comp_targetILNS1_3genE8ELNS1_11target_archE1030ELNS1_3gpuE2ELNS1_3repE0EEENS1_38merge_mergepath_config_static_selectorELNS0_4arch9wavefront6targetE1EEEvSJ_,comdat
	.protected	_ZN7rocprim17ROCPRIM_400000_NS6detail17trampoline_kernelINS0_14default_configENS1_38merge_sort_block_merge_config_selectorIssEEZZNS1_27merge_sort_block_merge_implIS3_N6thrust23THRUST_200600_302600_NS6detail15normal_iteratorINS8_10device_ptrIsEEEESD_jNS1_19radix_merge_compareILb0ELb0EsNS0_19identity_decomposerEEEEE10hipError_tT0_T1_T2_jT3_P12ihipStream_tbPNSt15iterator_traitsISI_E10value_typeEPNSO_ISJ_E10value_typeEPSK_NS1_7vsmem_tEENKUlT_SI_SJ_SK_E_clIPsSD_S10_SD_EESH_SX_SI_SJ_SK_EUlSX_E0_NS1_11comp_targetILNS1_3genE8ELNS1_11target_archE1030ELNS1_3gpuE2ELNS1_3repE0EEENS1_38merge_mergepath_config_static_selectorELNS0_4arch9wavefront6targetE1EEEvSJ_ ; -- Begin function _ZN7rocprim17ROCPRIM_400000_NS6detail17trampoline_kernelINS0_14default_configENS1_38merge_sort_block_merge_config_selectorIssEEZZNS1_27merge_sort_block_merge_implIS3_N6thrust23THRUST_200600_302600_NS6detail15normal_iteratorINS8_10device_ptrIsEEEESD_jNS1_19radix_merge_compareILb0ELb0EsNS0_19identity_decomposerEEEEE10hipError_tT0_T1_T2_jT3_P12ihipStream_tbPNSt15iterator_traitsISI_E10value_typeEPNSO_ISJ_E10value_typeEPSK_NS1_7vsmem_tEENKUlT_SI_SJ_SK_E_clIPsSD_S10_SD_EESH_SX_SI_SJ_SK_EUlSX_E0_NS1_11comp_targetILNS1_3genE8ELNS1_11target_archE1030ELNS1_3gpuE2ELNS1_3repE0EEENS1_38merge_mergepath_config_static_selectorELNS0_4arch9wavefront6targetE1EEEvSJ_
	.globl	_ZN7rocprim17ROCPRIM_400000_NS6detail17trampoline_kernelINS0_14default_configENS1_38merge_sort_block_merge_config_selectorIssEEZZNS1_27merge_sort_block_merge_implIS3_N6thrust23THRUST_200600_302600_NS6detail15normal_iteratorINS8_10device_ptrIsEEEESD_jNS1_19radix_merge_compareILb0ELb0EsNS0_19identity_decomposerEEEEE10hipError_tT0_T1_T2_jT3_P12ihipStream_tbPNSt15iterator_traitsISI_E10value_typeEPNSO_ISJ_E10value_typeEPSK_NS1_7vsmem_tEENKUlT_SI_SJ_SK_E_clIPsSD_S10_SD_EESH_SX_SI_SJ_SK_EUlSX_E0_NS1_11comp_targetILNS1_3genE8ELNS1_11target_archE1030ELNS1_3gpuE2ELNS1_3repE0EEENS1_38merge_mergepath_config_static_selectorELNS0_4arch9wavefront6targetE1EEEvSJ_
	.p2align	8
	.type	_ZN7rocprim17ROCPRIM_400000_NS6detail17trampoline_kernelINS0_14default_configENS1_38merge_sort_block_merge_config_selectorIssEEZZNS1_27merge_sort_block_merge_implIS3_N6thrust23THRUST_200600_302600_NS6detail15normal_iteratorINS8_10device_ptrIsEEEESD_jNS1_19radix_merge_compareILb0ELb0EsNS0_19identity_decomposerEEEEE10hipError_tT0_T1_T2_jT3_P12ihipStream_tbPNSt15iterator_traitsISI_E10value_typeEPNSO_ISJ_E10value_typeEPSK_NS1_7vsmem_tEENKUlT_SI_SJ_SK_E_clIPsSD_S10_SD_EESH_SX_SI_SJ_SK_EUlSX_E0_NS1_11comp_targetILNS1_3genE8ELNS1_11target_archE1030ELNS1_3gpuE2ELNS1_3repE0EEENS1_38merge_mergepath_config_static_selectorELNS0_4arch9wavefront6targetE1EEEvSJ_,@function
_ZN7rocprim17ROCPRIM_400000_NS6detail17trampoline_kernelINS0_14default_configENS1_38merge_sort_block_merge_config_selectorIssEEZZNS1_27merge_sort_block_merge_implIS3_N6thrust23THRUST_200600_302600_NS6detail15normal_iteratorINS8_10device_ptrIsEEEESD_jNS1_19radix_merge_compareILb0ELb0EsNS0_19identity_decomposerEEEEE10hipError_tT0_T1_T2_jT3_P12ihipStream_tbPNSt15iterator_traitsISI_E10value_typeEPNSO_ISJ_E10value_typeEPSK_NS1_7vsmem_tEENKUlT_SI_SJ_SK_E_clIPsSD_S10_SD_EESH_SX_SI_SJ_SK_EUlSX_E0_NS1_11comp_targetILNS1_3genE8ELNS1_11target_archE1030ELNS1_3gpuE2ELNS1_3repE0EEENS1_38merge_mergepath_config_static_selectorELNS0_4arch9wavefront6targetE1EEEvSJ_: ; @_ZN7rocprim17ROCPRIM_400000_NS6detail17trampoline_kernelINS0_14default_configENS1_38merge_sort_block_merge_config_selectorIssEEZZNS1_27merge_sort_block_merge_implIS3_N6thrust23THRUST_200600_302600_NS6detail15normal_iteratorINS8_10device_ptrIsEEEESD_jNS1_19radix_merge_compareILb0ELb0EsNS0_19identity_decomposerEEEEE10hipError_tT0_T1_T2_jT3_P12ihipStream_tbPNSt15iterator_traitsISI_E10value_typeEPNSO_ISJ_E10value_typeEPSK_NS1_7vsmem_tEENKUlT_SI_SJ_SK_E_clIPsSD_S10_SD_EESH_SX_SI_SJ_SK_EUlSX_E0_NS1_11comp_targetILNS1_3genE8ELNS1_11target_archE1030ELNS1_3gpuE2ELNS1_3repE0EEENS1_38merge_mergepath_config_static_selectorELNS0_4arch9wavefront6targetE1EEEvSJ_
; %bb.0:
	.section	.rodata,"a",@progbits
	.p2align	6, 0x0
	.amdhsa_kernel _ZN7rocprim17ROCPRIM_400000_NS6detail17trampoline_kernelINS0_14default_configENS1_38merge_sort_block_merge_config_selectorIssEEZZNS1_27merge_sort_block_merge_implIS3_N6thrust23THRUST_200600_302600_NS6detail15normal_iteratorINS8_10device_ptrIsEEEESD_jNS1_19radix_merge_compareILb0ELb0EsNS0_19identity_decomposerEEEEE10hipError_tT0_T1_T2_jT3_P12ihipStream_tbPNSt15iterator_traitsISI_E10value_typeEPNSO_ISJ_E10value_typeEPSK_NS1_7vsmem_tEENKUlT_SI_SJ_SK_E_clIPsSD_S10_SD_EESH_SX_SI_SJ_SK_EUlSX_E0_NS1_11comp_targetILNS1_3genE8ELNS1_11target_archE1030ELNS1_3gpuE2ELNS1_3repE0EEENS1_38merge_mergepath_config_static_selectorELNS0_4arch9wavefront6targetE1EEEvSJ_
		.amdhsa_group_segment_fixed_size 0
		.amdhsa_private_segment_fixed_size 0
		.amdhsa_kernarg_size 64
		.amdhsa_user_sgpr_count 2
		.amdhsa_user_sgpr_dispatch_ptr 0
		.amdhsa_user_sgpr_queue_ptr 0
		.amdhsa_user_sgpr_kernarg_segment_ptr 1
		.amdhsa_user_sgpr_dispatch_id 0
		.amdhsa_user_sgpr_kernarg_preload_length 0
		.amdhsa_user_sgpr_kernarg_preload_offset 0
		.amdhsa_user_sgpr_private_segment_size 0
		.amdhsa_uses_dynamic_stack 0
		.amdhsa_enable_private_segment 0
		.amdhsa_system_sgpr_workgroup_id_x 1
		.amdhsa_system_sgpr_workgroup_id_y 0
		.amdhsa_system_sgpr_workgroup_id_z 0
		.amdhsa_system_sgpr_workgroup_info 0
		.amdhsa_system_vgpr_workitem_id 0
		.amdhsa_next_free_vgpr 1
		.amdhsa_next_free_sgpr 0
		.amdhsa_accum_offset 4
		.amdhsa_reserve_vcc 0
		.amdhsa_float_round_mode_32 0
		.amdhsa_float_round_mode_16_64 0
		.amdhsa_float_denorm_mode_32 3
		.amdhsa_float_denorm_mode_16_64 3
		.amdhsa_dx10_clamp 1
		.amdhsa_ieee_mode 1
		.amdhsa_fp16_overflow 0
		.amdhsa_tg_split 0
		.amdhsa_exception_fp_ieee_invalid_op 0
		.amdhsa_exception_fp_denorm_src 0
		.amdhsa_exception_fp_ieee_div_zero 0
		.amdhsa_exception_fp_ieee_overflow 0
		.amdhsa_exception_fp_ieee_underflow 0
		.amdhsa_exception_fp_ieee_inexact 0
		.amdhsa_exception_int_div_zero 0
	.end_amdhsa_kernel
	.section	.text._ZN7rocprim17ROCPRIM_400000_NS6detail17trampoline_kernelINS0_14default_configENS1_38merge_sort_block_merge_config_selectorIssEEZZNS1_27merge_sort_block_merge_implIS3_N6thrust23THRUST_200600_302600_NS6detail15normal_iteratorINS8_10device_ptrIsEEEESD_jNS1_19radix_merge_compareILb0ELb0EsNS0_19identity_decomposerEEEEE10hipError_tT0_T1_T2_jT3_P12ihipStream_tbPNSt15iterator_traitsISI_E10value_typeEPNSO_ISJ_E10value_typeEPSK_NS1_7vsmem_tEENKUlT_SI_SJ_SK_E_clIPsSD_S10_SD_EESH_SX_SI_SJ_SK_EUlSX_E0_NS1_11comp_targetILNS1_3genE8ELNS1_11target_archE1030ELNS1_3gpuE2ELNS1_3repE0EEENS1_38merge_mergepath_config_static_selectorELNS0_4arch9wavefront6targetE1EEEvSJ_,"axG",@progbits,_ZN7rocprim17ROCPRIM_400000_NS6detail17trampoline_kernelINS0_14default_configENS1_38merge_sort_block_merge_config_selectorIssEEZZNS1_27merge_sort_block_merge_implIS3_N6thrust23THRUST_200600_302600_NS6detail15normal_iteratorINS8_10device_ptrIsEEEESD_jNS1_19radix_merge_compareILb0ELb0EsNS0_19identity_decomposerEEEEE10hipError_tT0_T1_T2_jT3_P12ihipStream_tbPNSt15iterator_traitsISI_E10value_typeEPNSO_ISJ_E10value_typeEPSK_NS1_7vsmem_tEENKUlT_SI_SJ_SK_E_clIPsSD_S10_SD_EESH_SX_SI_SJ_SK_EUlSX_E0_NS1_11comp_targetILNS1_3genE8ELNS1_11target_archE1030ELNS1_3gpuE2ELNS1_3repE0EEENS1_38merge_mergepath_config_static_selectorELNS0_4arch9wavefront6targetE1EEEvSJ_,comdat
.Lfunc_end1525:
	.size	_ZN7rocprim17ROCPRIM_400000_NS6detail17trampoline_kernelINS0_14default_configENS1_38merge_sort_block_merge_config_selectorIssEEZZNS1_27merge_sort_block_merge_implIS3_N6thrust23THRUST_200600_302600_NS6detail15normal_iteratorINS8_10device_ptrIsEEEESD_jNS1_19radix_merge_compareILb0ELb0EsNS0_19identity_decomposerEEEEE10hipError_tT0_T1_T2_jT3_P12ihipStream_tbPNSt15iterator_traitsISI_E10value_typeEPNSO_ISJ_E10value_typeEPSK_NS1_7vsmem_tEENKUlT_SI_SJ_SK_E_clIPsSD_S10_SD_EESH_SX_SI_SJ_SK_EUlSX_E0_NS1_11comp_targetILNS1_3genE8ELNS1_11target_archE1030ELNS1_3gpuE2ELNS1_3repE0EEENS1_38merge_mergepath_config_static_selectorELNS0_4arch9wavefront6targetE1EEEvSJ_, .Lfunc_end1525-_ZN7rocprim17ROCPRIM_400000_NS6detail17trampoline_kernelINS0_14default_configENS1_38merge_sort_block_merge_config_selectorIssEEZZNS1_27merge_sort_block_merge_implIS3_N6thrust23THRUST_200600_302600_NS6detail15normal_iteratorINS8_10device_ptrIsEEEESD_jNS1_19radix_merge_compareILb0ELb0EsNS0_19identity_decomposerEEEEE10hipError_tT0_T1_T2_jT3_P12ihipStream_tbPNSt15iterator_traitsISI_E10value_typeEPNSO_ISJ_E10value_typeEPSK_NS1_7vsmem_tEENKUlT_SI_SJ_SK_E_clIPsSD_S10_SD_EESH_SX_SI_SJ_SK_EUlSX_E0_NS1_11comp_targetILNS1_3genE8ELNS1_11target_archE1030ELNS1_3gpuE2ELNS1_3repE0EEENS1_38merge_mergepath_config_static_selectorELNS0_4arch9wavefront6targetE1EEEvSJ_
                                        ; -- End function
	.set _ZN7rocprim17ROCPRIM_400000_NS6detail17trampoline_kernelINS0_14default_configENS1_38merge_sort_block_merge_config_selectorIssEEZZNS1_27merge_sort_block_merge_implIS3_N6thrust23THRUST_200600_302600_NS6detail15normal_iteratorINS8_10device_ptrIsEEEESD_jNS1_19radix_merge_compareILb0ELb0EsNS0_19identity_decomposerEEEEE10hipError_tT0_T1_T2_jT3_P12ihipStream_tbPNSt15iterator_traitsISI_E10value_typeEPNSO_ISJ_E10value_typeEPSK_NS1_7vsmem_tEENKUlT_SI_SJ_SK_E_clIPsSD_S10_SD_EESH_SX_SI_SJ_SK_EUlSX_E0_NS1_11comp_targetILNS1_3genE8ELNS1_11target_archE1030ELNS1_3gpuE2ELNS1_3repE0EEENS1_38merge_mergepath_config_static_selectorELNS0_4arch9wavefront6targetE1EEEvSJ_.num_vgpr, 0
	.set _ZN7rocprim17ROCPRIM_400000_NS6detail17trampoline_kernelINS0_14default_configENS1_38merge_sort_block_merge_config_selectorIssEEZZNS1_27merge_sort_block_merge_implIS3_N6thrust23THRUST_200600_302600_NS6detail15normal_iteratorINS8_10device_ptrIsEEEESD_jNS1_19radix_merge_compareILb0ELb0EsNS0_19identity_decomposerEEEEE10hipError_tT0_T1_T2_jT3_P12ihipStream_tbPNSt15iterator_traitsISI_E10value_typeEPNSO_ISJ_E10value_typeEPSK_NS1_7vsmem_tEENKUlT_SI_SJ_SK_E_clIPsSD_S10_SD_EESH_SX_SI_SJ_SK_EUlSX_E0_NS1_11comp_targetILNS1_3genE8ELNS1_11target_archE1030ELNS1_3gpuE2ELNS1_3repE0EEENS1_38merge_mergepath_config_static_selectorELNS0_4arch9wavefront6targetE1EEEvSJ_.num_agpr, 0
	.set _ZN7rocprim17ROCPRIM_400000_NS6detail17trampoline_kernelINS0_14default_configENS1_38merge_sort_block_merge_config_selectorIssEEZZNS1_27merge_sort_block_merge_implIS3_N6thrust23THRUST_200600_302600_NS6detail15normal_iteratorINS8_10device_ptrIsEEEESD_jNS1_19radix_merge_compareILb0ELb0EsNS0_19identity_decomposerEEEEE10hipError_tT0_T1_T2_jT3_P12ihipStream_tbPNSt15iterator_traitsISI_E10value_typeEPNSO_ISJ_E10value_typeEPSK_NS1_7vsmem_tEENKUlT_SI_SJ_SK_E_clIPsSD_S10_SD_EESH_SX_SI_SJ_SK_EUlSX_E0_NS1_11comp_targetILNS1_3genE8ELNS1_11target_archE1030ELNS1_3gpuE2ELNS1_3repE0EEENS1_38merge_mergepath_config_static_selectorELNS0_4arch9wavefront6targetE1EEEvSJ_.numbered_sgpr, 0
	.set _ZN7rocprim17ROCPRIM_400000_NS6detail17trampoline_kernelINS0_14default_configENS1_38merge_sort_block_merge_config_selectorIssEEZZNS1_27merge_sort_block_merge_implIS3_N6thrust23THRUST_200600_302600_NS6detail15normal_iteratorINS8_10device_ptrIsEEEESD_jNS1_19radix_merge_compareILb0ELb0EsNS0_19identity_decomposerEEEEE10hipError_tT0_T1_T2_jT3_P12ihipStream_tbPNSt15iterator_traitsISI_E10value_typeEPNSO_ISJ_E10value_typeEPSK_NS1_7vsmem_tEENKUlT_SI_SJ_SK_E_clIPsSD_S10_SD_EESH_SX_SI_SJ_SK_EUlSX_E0_NS1_11comp_targetILNS1_3genE8ELNS1_11target_archE1030ELNS1_3gpuE2ELNS1_3repE0EEENS1_38merge_mergepath_config_static_selectorELNS0_4arch9wavefront6targetE1EEEvSJ_.num_named_barrier, 0
	.set _ZN7rocprim17ROCPRIM_400000_NS6detail17trampoline_kernelINS0_14default_configENS1_38merge_sort_block_merge_config_selectorIssEEZZNS1_27merge_sort_block_merge_implIS3_N6thrust23THRUST_200600_302600_NS6detail15normal_iteratorINS8_10device_ptrIsEEEESD_jNS1_19radix_merge_compareILb0ELb0EsNS0_19identity_decomposerEEEEE10hipError_tT0_T1_T2_jT3_P12ihipStream_tbPNSt15iterator_traitsISI_E10value_typeEPNSO_ISJ_E10value_typeEPSK_NS1_7vsmem_tEENKUlT_SI_SJ_SK_E_clIPsSD_S10_SD_EESH_SX_SI_SJ_SK_EUlSX_E0_NS1_11comp_targetILNS1_3genE8ELNS1_11target_archE1030ELNS1_3gpuE2ELNS1_3repE0EEENS1_38merge_mergepath_config_static_selectorELNS0_4arch9wavefront6targetE1EEEvSJ_.private_seg_size, 0
	.set _ZN7rocprim17ROCPRIM_400000_NS6detail17trampoline_kernelINS0_14default_configENS1_38merge_sort_block_merge_config_selectorIssEEZZNS1_27merge_sort_block_merge_implIS3_N6thrust23THRUST_200600_302600_NS6detail15normal_iteratorINS8_10device_ptrIsEEEESD_jNS1_19radix_merge_compareILb0ELb0EsNS0_19identity_decomposerEEEEE10hipError_tT0_T1_T2_jT3_P12ihipStream_tbPNSt15iterator_traitsISI_E10value_typeEPNSO_ISJ_E10value_typeEPSK_NS1_7vsmem_tEENKUlT_SI_SJ_SK_E_clIPsSD_S10_SD_EESH_SX_SI_SJ_SK_EUlSX_E0_NS1_11comp_targetILNS1_3genE8ELNS1_11target_archE1030ELNS1_3gpuE2ELNS1_3repE0EEENS1_38merge_mergepath_config_static_selectorELNS0_4arch9wavefront6targetE1EEEvSJ_.uses_vcc, 0
	.set _ZN7rocprim17ROCPRIM_400000_NS6detail17trampoline_kernelINS0_14default_configENS1_38merge_sort_block_merge_config_selectorIssEEZZNS1_27merge_sort_block_merge_implIS3_N6thrust23THRUST_200600_302600_NS6detail15normal_iteratorINS8_10device_ptrIsEEEESD_jNS1_19radix_merge_compareILb0ELb0EsNS0_19identity_decomposerEEEEE10hipError_tT0_T1_T2_jT3_P12ihipStream_tbPNSt15iterator_traitsISI_E10value_typeEPNSO_ISJ_E10value_typeEPSK_NS1_7vsmem_tEENKUlT_SI_SJ_SK_E_clIPsSD_S10_SD_EESH_SX_SI_SJ_SK_EUlSX_E0_NS1_11comp_targetILNS1_3genE8ELNS1_11target_archE1030ELNS1_3gpuE2ELNS1_3repE0EEENS1_38merge_mergepath_config_static_selectorELNS0_4arch9wavefront6targetE1EEEvSJ_.uses_flat_scratch, 0
	.set _ZN7rocprim17ROCPRIM_400000_NS6detail17trampoline_kernelINS0_14default_configENS1_38merge_sort_block_merge_config_selectorIssEEZZNS1_27merge_sort_block_merge_implIS3_N6thrust23THRUST_200600_302600_NS6detail15normal_iteratorINS8_10device_ptrIsEEEESD_jNS1_19radix_merge_compareILb0ELb0EsNS0_19identity_decomposerEEEEE10hipError_tT0_T1_T2_jT3_P12ihipStream_tbPNSt15iterator_traitsISI_E10value_typeEPNSO_ISJ_E10value_typeEPSK_NS1_7vsmem_tEENKUlT_SI_SJ_SK_E_clIPsSD_S10_SD_EESH_SX_SI_SJ_SK_EUlSX_E0_NS1_11comp_targetILNS1_3genE8ELNS1_11target_archE1030ELNS1_3gpuE2ELNS1_3repE0EEENS1_38merge_mergepath_config_static_selectorELNS0_4arch9wavefront6targetE1EEEvSJ_.has_dyn_sized_stack, 0
	.set _ZN7rocprim17ROCPRIM_400000_NS6detail17trampoline_kernelINS0_14default_configENS1_38merge_sort_block_merge_config_selectorIssEEZZNS1_27merge_sort_block_merge_implIS3_N6thrust23THRUST_200600_302600_NS6detail15normal_iteratorINS8_10device_ptrIsEEEESD_jNS1_19radix_merge_compareILb0ELb0EsNS0_19identity_decomposerEEEEE10hipError_tT0_T1_T2_jT3_P12ihipStream_tbPNSt15iterator_traitsISI_E10value_typeEPNSO_ISJ_E10value_typeEPSK_NS1_7vsmem_tEENKUlT_SI_SJ_SK_E_clIPsSD_S10_SD_EESH_SX_SI_SJ_SK_EUlSX_E0_NS1_11comp_targetILNS1_3genE8ELNS1_11target_archE1030ELNS1_3gpuE2ELNS1_3repE0EEENS1_38merge_mergepath_config_static_selectorELNS0_4arch9wavefront6targetE1EEEvSJ_.has_recursion, 0
	.set _ZN7rocprim17ROCPRIM_400000_NS6detail17trampoline_kernelINS0_14default_configENS1_38merge_sort_block_merge_config_selectorIssEEZZNS1_27merge_sort_block_merge_implIS3_N6thrust23THRUST_200600_302600_NS6detail15normal_iteratorINS8_10device_ptrIsEEEESD_jNS1_19radix_merge_compareILb0ELb0EsNS0_19identity_decomposerEEEEE10hipError_tT0_T1_T2_jT3_P12ihipStream_tbPNSt15iterator_traitsISI_E10value_typeEPNSO_ISJ_E10value_typeEPSK_NS1_7vsmem_tEENKUlT_SI_SJ_SK_E_clIPsSD_S10_SD_EESH_SX_SI_SJ_SK_EUlSX_E0_NS1_11comp_targetILNS1_3genE8ELNS1_11target_archE1030ELNS1_3gpuE2ELNS1_3repE0EEENS1_38merge_mergepath_config_static_selectorELNS0_4arch9wavefront6targetE1EEEvSJ_.has_indirect_call, 0
	.section	.AMDGPU.csdata,"",@progbits
; Kernel info:
; codeLenInByte = 0
; TotalNumSgprs: 6
; NumVgprs: 0
; NumAgprs: 0
; TotalNumVgprs: 0
; ScratchSize: 0
; MemoryBound: 0
; FloatMode: 240
; IeeeMode: 1
; LDSByteSize: 0 bytes/workgroup (compile time only)
; SGPRBlocks: 0
; VGPRBlocks: 0
; NumSGPRsForWavesPerEU: 6
; NumVGPRsForWavesPerEU: 1
; AccumOffset: 4
; Occupancy: 8
; WaveLimiterHint : 0
; COMPUTE_PGM_RSRC2:SCRATCH_EN: 0
; COMPUTE_PGM_RSRC2:USER_SGPR: 2
; COMPUTE_PGM_RSRC2:TRAP_HANDLER: 0
; COMPUTE_PGM_RSRC2:TGID_X_EN: 1
; COMPUTE_PGM_RSRC2:TGID_Y_EN: 0
; COMPUTE_PGM_RSRC2:TGID_Z_EN: 0
; COMPUTE_PGM_RSRC2:TIDIG_COMP_CNT: 0
; COMPUTE_PGM_RSRC3_GFX90A:ACCUM_OFFSET: 0
; COMPUTE_PGM_RSRC3_GFX90A:TG_SPLIT: 0
	.section	.text._ZN7rocprim17ROCPRIM_400000_NS6detail17trampoline_kernelINS0_14default_configENS1_38merge_sort_block_merge_config_selectorIssEEZZNS1_27merge_sort_block_merge_implIS3_N6thrust23THRUST_200600_302600_NS6detail15normal_iteratorINS8_10device_ptrIsEEEESD_jNS1_19radix_merge_compareILb0ELb0EsNS0_19identity_decomposerEEEEE10hipError_tT0_T1_T2_jT3_P12ihipStream_tbPNSt15iterator_traitsISI_E10value_typeEPNSO_ISJ_E10value_typeEPSK_NS1_7vsmem_tEENKUlT_SI_SJ_SK_E_clIPsSD_S10_SD_EESH_SX_SI_SJ_SK_EUlSX_E1_NS1_11comp_targetILNS1_3genE0ELNS1_11target_archE4294967295ELNS1_3gpuE0ELNS1_3repE0EEENS1_36merge_oddeven_config_static_selectorELNS0_4arch9wavefront6targetE1EEEvSJ_,"axG",@progbits,_ZN7rocprim17ROCPRIM_400000_NS6detail17trampoline_kernelINS0_14default_configENS1_38merge_sort_block_merge_config_selectorIssEEZZNS1_27merge_sort_block_merge_implIS3_N6thrust23THRUST_200600_302600_NS6detail15normal_iteratorINS8_10device_ptrIsEEEESD_jNS1_19radix_merge_compareILb0ELb0EsNS0_19identity_decomposerEEEEE10hipError_tT0_T1_T2_jT3_P12ihipStream_tbPNSt15iterator_traitsISI_E10value_typeEPNSO_ISJ_E10value_typeEPSK_NS1_7vsmem_tEENKUlT_SI_SJ_SK_E_clIPsSD_S10_SD_EESH_SX_SI_SJ_SK_EUlSX_E1_NS1_11comp_targetILNS1_3genE0ELNS1_11target_archE4294967295ELNS1_3gpuE0ELNS1_3repE0EEENS1_36merge_oddeven_config_static_selectorELNS0_4arch9wavefront6targetE1EEEvSJ_,comdat
	.protected	_ZN7rocprim17ROCPRIM_400000_NS6detail17trampoline_kernelINS0_14default_configENS1_38merge_sort_block_merge_config_selectorIssEEZZNS1_27merge_sort_block_merge_implIS3_N6thrust23THRUST_200600_302600_NS6detail15normal_iteratorINS8_10device_ptrIsEEEESD_jNS1_19radix_merge_compareILb0ELb0EsNS0_19identity_decomposerEEEEE10hipError_tT0_T1_T2_jT3_P12ihipStream_tbPNSt15iterator_traitsISI_E10value_typeEPNSO_ISJ_E10value_typeEPSK_NS1_7vsmem_tEENKUlT_SI_SJ_SK_E_clIPsSD_S10_SD_EESH_SX_SI_SJ_SK_EUlSX_E1_NS1_11comp_targetILNS1_3genE0ELNS1_11target_archE4294967295ELNS1_3gpuE0ELNS1_3repE0EEENS1_36merge_oddeven_config_static_selectorELNS0_4arch9wavefront6targetE1EEEvSJ_ ; -- Begin function _ZN7rocprim17ROCPRIM_400000_NS6detail17trampoline_kernelINS0_14default_configENS1_38merge_sort_block_merge_config_selectorIssEEZZNS1_27merge_sort_block_merge_implIS3_N6thrust23THRUST_200600_302600_NS6detail15normal_iteratorINS8_10device_ptrIsEEEESD_jNS1_19radix_merge_compareILb0ELb0EsNS0_19identity_decomposerEEEEE10hipError_tT0_T1_T2_jT3_P12ihipStream_tbPNSt15iterator_traitsISI_E10value_typeEPNSO_ISJ_E10value_typeEPSK_NS1_7vsmem_tEENKUlT_SI_SJ_SK_E_clIPsSD_S10_SD_EESH_SX_SI_SJ_SK_EUlSX_E1_NS1_11comp_targetILNS1_3genE0ELNS1_11target_archE4294967295ELNS1_3gpuE0ELNS1_3repE0EEENS1_36merge_oddeven_config_static_selectorELNS0_4arch9wavefront6targetE1EEEvSJ_
	.globl	_ZN7rocprim17ROCPRIM_400000_NS6detail17trampoline_kernelINS0_14default_configENS1_38merge_sort_block_merge_config_selectorIssEEZZNS1_27merge_sort_block_merge_implIS3_N6thrust23THRUST_200600_302600_NS6detail15normal_iteratorINS8_10device_ptrIsEEEESD_jNS1_19radix_merge_compareILb0ELb0EsNS0_19identity_decomposerEEEEE10hipError_tT0_T1_T2_jT3_P12ihipStream_tbPNSt15iterator_traitsISI_E10value_typeEPNSO_ISJ_E10value_typeEPSK_NS1_7vsmem_tEENKUlT_SI_SJ_SK_E_clIPsSD_S10_SD_EESH_SX_SI_SJ_SK_EUlSX_E1_NS1_11comp_targetILNS1_3genE0ELNS1_11target_archE4294967295ELNS1_3gpuE0ELNS1_3repE0EEENS1_36merge_oddeven_config_static_selectorELNS0_4arch9wavefront6targetE1EEEvSJ_
	.p2align	8
	.type	_ZN7rocprim17ROCPRIM_400000_NS6detail17trampoline_kernelINS0_14default_configENS1_38merge_sort_block_merge_config_selectorIssEEZZNS1_27merge_sort_block_merge_implIS3_N6thrust23THRUST_200600_302600_NS6detail15normal_iteratorINS8_10device_ptrIsEEEESD_jNS1_19radix_merge_compareILb0ELb0EsNS0_19identity_decomposerEEEEE10hipError_tT0_T1_T2_jT3_P12ihipStream_tbPNSt15iterator_traitsISI_E10value_typeEPNSO_ISJ_E10value_typeEPSK_NS1_7vsmem_tEENKUlT_SI_SJ_SK_E_clIPsSD_S10_SD_EESH_SX_SI_SJ_SK_EUlSX_E1_NS1_11comp_targetILNS1_3genE0ELNS1_11target_archE4294967295ELNS1_3gpuE0ELNS1_3repE0EEENS1_36merge_oddeven_config_static_selectorELNS0_4arch9wavefront6targetE1EEEvSJ_,@function
_ZN7rocprim17ROCPRIM_400000_NS6detail17trampoline_kernelINS0_14default_configENS1_38merge_sort_block_merge_config_selectorIssEEZZNS1_27merge_sort_block_merge_implIS3_N6thrust23THRUST_200600_302600_NS6detail15normal_iteratorINS8_10device_ptrIsEEEESD_jNS1_19radix_merge_compareILb0ELb0EsNS0_19identity_decomposerEEEEE10hipError_tT0_T1_T2_jT3_P12ihipStream_tbPNSt15iterator_traitsISI_E10value_typeEPNSO_ISJ_E10value_typeEPSK_NS1_7vsmem_tEENKUlT_SI_SJ_SK_E_clIPsSD_S10_SD_EESH_SX_SI_SJ_SK_EUlSX_E1_NS1_11comp_targetILNS1_3genE0ELNS1_11target_archE4294967295ELNS1_3gpuE0ELNS1_3repE0EEENS1_36merge_oddeven_config_static_selectorELNS0_4arch9wavefront6targetE1EEEvSJ_: ; @_ZN7rocprim17ROCPRIM_400000_NS6detail17trampoline_kernelINS0_14default_configENS1_38merge_sort_block_merge_config_selectorIssEEZZNS1_27merge_sort_block_merge_implIS3_N6thrust23THRUST_200600_302600_NS6detail15normal_iteratorINS8_10device_ptrIsEEEESD_jNS1_19radix_merge_compareILb0ELb0EsNS0_19identity_decomposerEEEEE10hipError_tT0_T1_T2_jT3_P12ihipStream_tbPNSt15iterator_traitsISI_E10value_typeEPNSO_ISJ_E10value_typeEPSK_NS1_7vsmem_tEENKUlT_SI_SJ_SK_E_clIPsSD_S10_SD_EESH_SX_SI_SJ_SK_EUlSX_E1_NS1_11comp_targetILNS1_3genE0ELNS1_11target_archE4294967295ELNS1_3gpuE0ELNS1_3repE0EEENS1_36merge_oddeven_config_static_selectorELNS0_4arch9wavefront6targetE1EEEvSJ_
; %bb.0:
	s_load_dword s18, s[0:1], 0x20
	s_waitcnt lgkmcnt(0)
	s_lshr_b32 s3, s18, 8
	s_cmp_eq_u32 s2, s3
	s_cselect_b64 s[6:7], -1, 0
	s_cmp_lg_u32 s2, s3
	s_cselect_b64 s[8:9], -1, 0
	s_lshl_b32 s16, s2, 8
	s_sub_i32 s3, s18, s16
	v_cmp_gt_u32_e64 s[4:5], s3, v0
	s_or_b64 s[8:9], s[8:9], s[4:5]
	s_and_saveexec_b64 s[10:11], s[8:9]
	s_cbranch_execz .LBB1526_24
; %bb.1:
	s_load_dwordx8 s[8:15], s[0:1], 0x0
	s_mov_b32 s17, 0
	s_lshl_b64 s[20:21], s[16:17], 1
	v_lshlrev_b32_e32 v1, 1, v0
	s_load_dword s17, s[0:1], 0x24
	s_waitcnt lgkmcnt(0)
	s_add_u32 s22, s8, s20
	s_addc_u32 s23, s9, s21
	s_add_u32 s12, s12, s20
	s_addc_u32 s13, s13, s21
	global_load_ushort v2, v1, s[12:13]
	global_load_ushort v3, v1, s[22:23]
	s_lshr_b32 s0, s17, 8
	s_sub_i32 s1, 0, s0
	s_and_b32 s1, s2, s1
	s_and_b32 s0, s1, s0
	s_lshl_b32 s19, s1, 8
	s_sub_i32 s12, 0, s17
	s_cmp_eq_u32 s0, 0
	s_cselect_b64 s[0:1], -1, 0
	s_and_b64 s[2:3], s[0:1], exec
	s_cselect_b32 s12, s17, s12
	s_add_i32 s12, s12, s19
	s_mov_b64 s[2:3], -1
	s_cmp_gt_u32 s18, s12
	v_add_u32_e32 v0, s16, v0
	s_cbranch_scc1 .LBB1526_9
; %bb.2:
	s_and_b64 vcc, exec, s[6:7]
	s_cbranch_vccz .LBB1526_6
; %bb.3:
	v_cmp_gt_u32_e32 vcc, s18, v0
	s_and_saveexec_b64 s[2:3], vcc
	s_cbranch_execz .LBB1526_5
; %bb.4:
	v_mov_b32_e32 v1, 0
	v_lshlrev_b64 v[4:5], 1, v[0:1]
	v_lshl_add_u64 v[6:7], s[10:11], 0, v[4:5]
	v_lshl_add_u64 v[4:5], s[14:15], 0, v[4:5]
	s_waitcnt vmcnt(0)
	global_store_short v[6:7], v3, off
	global_store_short v[4:5], v2, off
.LBB1526_5:
	s_or_b64 exec, exec, s[2:3]
	s_mov_b64 s[2:3], 0
.LBB1526_6:
	s_andn2_b64 vcc, exec, s[2:3]
	s_cbranch_vccnz .LBB1526_8
; %bb.7:
	v_mov_b32_e32 v1, 0
	v_lshlrev_b64 v[4:5], 1, v[0:1]
	v_lshl_add_u64 v[6:7], s[10:11], 0, v[4:5]
	v_lshl_add_u64 v[4:5], s[14:15], 0, v[4:5]
	s_waitcnt vmcnt(0)
	global_store_short v[6:7], v3, off
	global_store_short v[4:5], v2, off
.LBB1526_8:
	s_mov_b64 s[2:3], 0
.LBB1526_9:
	s_andn2_b64 vcc, exec, s[2:3]
	s_cbranch_vccnz .LBB1526_24
; %bb.10:
	s_min_u32 s13, s12, s18
	s_add_i32 s2, s13, s17
	s_min_u32 s16, s2, s18
	s_min_u32 s2, s19, s13
	s_add_i32 s19, s19, s13
	v_subrev_u32_e32 v0, s19, v0
	v_add_u32_e32 v0, s2, v0
	s_andn2_b64 vcc, exec, s[6:7]
	s_mov_b64 s[2:3], -1
	s_cbranch_vccnz .LBB1526_18
; %bb.11:
	s_and_saveexec_b64 s[2:3], s[4:5]
	s_cbranch_execz .LBB1526_17
; %bb.12:
	s_cmp_ge_u32 s12, s16
	v_mov_b32_e32 v1, s13
	s_cbranch_scc1 .LBB1526_16
; %bb.13:
	s_mov_b64 s[4:5], 0
	v_mov_b32_e32 v4, s16
	v_mov_b32_e32 v1, s13
.LBB1526_14:                            ; =>This Inner Loop Header: Depth=1
	v_add_u32_e32 v5, v1, v4
	v_and_b32_e32 v6, -2, v5
	global_load_ushort v6, v6, s[8:9]
	v_lshrrev_b32_e32 v5, 1, v5
	v_add_u32_e32 v7, 1, v5
	s_waitcnt vmcnt(0)
	v_cmp_gt_i16_e32 vcc, v3, v6
	s_nop 1
	v_cndmask_b32_e64 v8, 0, 1, vcc
	v_cmp_le_i16_e32 vcc, v6, v3
	s_nop 1
	v_cndmask_b32_e64 v6, 0, 1, vcc
	v_cndmask_b32_e64 v6, v6, v8, s[0:1]
	v_and_b32_e32 v6, 1, v6
	v_cmp_eq_u32_e32 vcc, 1, v6
	s_nop 1
	v_cndmask_b32_e32 v4, v5, v4, vcc
	v_cndmask_b32_e32 v1, v1, v7, vcc
	v_cmp_ge_u32_e32 vcc, v1, v4
	s_or_b64 s[4:5], vcc, s[4:5]
	s_andn2_b64 exec, exec, s[4:5]
	s_cbranch_execnz .LBB1526_14
; %bb.15:
	s_or_b64 exec, exec, s[4:5]
.LBB1526_16:
	v_add_u32_e32 v4, v1, v0
	v_mov_b32_e32 v5, 0
	v_lshlrev_b64 v[4:5], 1, v[4:5]
	v_lshl_add_u64 v[6:7], s[10:11], 0, v[4:5]
	v_lshl_add_u64 v[4:5], s[14:15], 0, v[4:5]
	s_waitcnt vmcnt(0)
	global_store_short v[6:7], v3, off
	global_store_short v[4:5], v2, off
.LBB1526_17:
	s_or_b64 exec, exec, s[2:3]
	s_mov_b64 s[2:3], 0
.LBB1526_18:
	s_andn2_b64 vcc, exec, s[2:3]
	s_cbranch_vccnz .LBB1526_24
; %bb.19:
	s_cmp_ge_u32 s12, s16
	v_mov_b32_e32 v1, s13
	s_cbranch_scc1 .LBB1526_23
; %bb.20:
	s_mov_b64 s[2:3], 0
	v_mov_b32_e32 v4, s16
	v_mov_b32_e32 v1, s13
.LBB1526_21:                            ; =>This Inner Loop Header: Depth=1
	v_add_u32_e32 v5, v1, v4
	v_and_b32_e32 v6, -2, v5
	global_load_ushort v6, v6, s[8:9]
	v_lshrrev_b32_e32 v5, 1, v5
	v_add_u32_e32 v7, 1, v5
	s_waitcnt vmcnt(0)
	v_cmp_gt_i16_e32 vcc, v3, v6
	s_nop 1
	v_cndmask_b32_e64 v8, 0, 1, vcc
	v_cmp_le_i16_e32 vcc, v6, v3
	s_nop 1
	v_cndmask_b32_e64 v6, 0, 1, vcc
	v_cndmask_b32_e64 v6, v6, v8, s[0:1]
	v_and_b32_e32 v6, 1, v6
	v_cmp_eq_u32_e32 vcc, 1, v6
	s_nop 1
	v_cndmask_b32_e32 v4, v5, v4, vcc
	v_cndmask_b32_e32 v1, v1, v7, vcc
	v_cmp_ge_u32_e32 vcc, v1, v4
	s_or_b64 s[2:3], vcc, s[2:3]
	s_andn2_b64 exec, exec, s[2:3]
	s_cbranch_execnz .LBB1526_21
; %bb.22:
	s_or_b64 exec, exec, s[2:3]
.LBB1526_23:
	v_add_u32_e32 v0, v1, v0
	v_mov_b32_e32 v1, 0
	v_lshlrev_b64 v[0:1], 1, v[0:1]
	v_lshl_add_u64 v[4:5], s[10:11], 0, v[0:1]
	v_lshl_add_u64 v[0:1], s[14:15], 0, v[0:1]
	s_waitcnt vmcnt(0)
	global_store_short v[4:5], v3, off
	global_store_short v[0:1], v2, off
.LBB1526_24:
	s_endpgm
	.section	.rodata,"a",@progbits
	.p2align	6, 0x0
	.amdhsa_kernel _ZN7rocprim17ROCPRIM_400000_NS6detail17trampoline_kernelINS0_14default_configENS1_38merge_sort_block_merge_config_selectorIssEEZZNS1_27merge_sort_block_merge_implIS3_N6thrust23THRUST_200600_302600_NS6detail15normal_iteratorINS8_10device_ptrIsEEEESD_jNS1_19radix_merge_compareILb0ELb0EsNS0_19identity_decomposerEEEEE10hipError_tT0_T1_T2_jT3_P12ihipStream_tbPNSt15iterator_traitsISI_E10value_typeEPNSO_ISJ_E10value_typeEPSK_NS1_7vsmem_tEENKUlT_SI_SJ_SK_E_clIPsSD_S10_SD_EESH_SX_SI_SJ_SK_EUlSX_E1_NS1_11comp_targetILNS1_3genE0ELNS1_11target_archE4294967295ELNS1_3gpuE0ELNS1_3repE0EEENS1_36merge_oddeven_config_static_selectorELNS0_4arch9wavefront6targetE1EEEvSJ_
		.amdhsa_group_segment_fixed_size 0
		.amdhsa_private_segment_fixed_size 0
		.amdhsa_kernarg_size 48
		.amdhsa_user_sgpr_count 2
		.amdhsa_user_sgpr_dispatch_ptr 0
		.amdhsa_user_sgpr_queue_ptr 0
		.amdhsa_user_sgpr_kernarg_segment_ptr 1
		.amdhsa_user_sgpr_dispatch_id 0
		.amdhsa_user_sgpr_kernarg_preload_length 0
		.amdhsa_user_sgpr_kernarg_preload_offset 0
		.amdhsa_user_sgpr_private_segment_size 0
		.amdhsa_uses_dynamic_stack 0
		.amdhsa_enable_private_segment 0
		.amdhsa_system_sgpr_workgroup_id_x 1
		.amdhsa_system_sgpr_workgroup_id_y 0
		.amdhsa_system_sgpr_workgroup_id_z 0
		.amdhsa_system_sgpr_workgroup_info 0
		.amdhsa_system_vgpr_workitem_id 0
		.amdhsa_next_free_vgpr 9
		.amdhsa_next_free_sgpr 24
		.amdhsa_accum_offset 12
		.amdhsa_reserve_vcc 1
		.amdhsa_float_round_mode_32 0
		.amdhsa_float_round_mode_16_64 0
		.amdhsa_float_denorm_mode_32 3
		.amdhsa_float_denorm_mode_16_64 3
		.amdhsa_dx10_clamp 1
		.amdhsa_ieee_mode 1
		.amdhsa_fp16_overflow 0
		.amdhsa_tg_split 0
		.amdhsa_exception_fp_ieee_invalid_op 0
		.amdhsa_exception_fp_denorm_src 0
		.amdhsa_exception_fp_ieee_div_zero 0
		.amdhsa_exception_fp_ieee_overflow 0
		.amdhsa_exception_fp_ieee_underflow 0
		.amdhsa_exception_fp_ieee_inexact 0
		.amdhsa_exception_int_div_zero 0
	.end_amdhsa_kernel
	.section	.text._ZN7rocprim17ROCPRIM_400000_NS6detail17trampoline_kernelINS0_14default_configENS1_38merge_sort_block_merge_config_selectorIssEEZZNS1_27merge_sort_block_merge_implIS3_N6thrust23THRUST_200600_302600_NS6detail15normal_iteratorINS8_10device_ptrIsEEEESD_jNS1_19radix_merge_compareILb0ELb0EsNS0_19identity_decomposerEEEEE10hipError_tT0_T1_T2_jT3_P12ihipStream_tbPNSt15iterator_traitsISI_E10value_typeEPNSO_ISJ_E10value_typeEPSK_NS1_7vsmem_tEENKUlT_SI_SJ_SK_E_clIPsSD_S10_SD_EESH_SX_SI_SJ_SK_EUlSX_E1_NS1_11comp_targetILNS1_3genE0ELNS1_11target_archE4294967295ELNS1_3gpuE0ELNS1_3repE0EEENS1_36merge_oddeven_config_static_selectorELNS0_4arch9wavefront6targetE1EEEvSJ_,"axG",@progbits,_ZN7rocprim17ROCPRIM_400000_NS6detail17trampoline_kernelINS0_14default_configENS1_38merge_sort_block_merge_config_selectorIssEEZZNS1_27merge_sort_block_merge_implIS3_N6thrust23THRUST_200600_302600_NS6detail15normal_iteratorINS8_10device_ptrIsEEEESD_jNS1_19radix_merge_compareILb0ELb0EsNS0_19identity_decomposerEEEEE10hipError_tT0_T1_T2_jT3_P12ihipStream_tbPNSt15iterator_traitsISI_E10value_typeEPNSO_ISJ_E10value_typeEPSK_NS1_7vsmem_tEENKUlT_SI_SJ_SK_E_clIPsSD_S10_SD_EESH_SX_SI_SJ_SK_EUlSX_E1_NS1_11comp_targetILNS1_3genE0ELNS1_11target_archE4294967295ELNS1_3gpuE0ELNS1_3repE0EEENS1_36merge_oddeven_config_static_selectorELNS0_4arch9wavefront6targetE1EEEvSJ_,comdat
.Lfunc_end1526:
	.size	_ZN7rocprim17ROCPRIM_400000_NS6detail17trampoline_kernelINS0_14default_configENS1_38merge_sort_block_merge_config_selectorIssEEZZNS1_27merge_sort_block_merge_implIS3_N6thrust23THRUST_200600_302600_NS6detail15normal_iteratorINS8_10device_ptrIsEEEESD_jNS1_19radix_merge_compareILb0ELb0EsNS0_19identity_decomposerEEEEE10hipError_tT0_T1_T2_jT3_P12ihipStream_tbPNSt15iterator_traitsISI_E10value_typeEPNSO_ISJ_E10value_typeEPSK_NS1_7vsmem_tEENKUlT_SI_SJ_SK_E_clIPsSD_S10_SD_EESH_SX_SI_SJ_SK_EUlSX_E1_NS1_11comp_targetILNS1_3genE0ELNS1_11target_archE4294967295ELNS1_3gpuE0ELNS1_3repE0EEENS1_36merge_oddeven_config_static_selectorELNS0_4arch9wavefront6targetE1EEEvSJ_, .Lfunc_end1526-_ZN7rocprim17ROCPRIM_400000_NS6detail17trampoline_kernelINS0_14default_configENS1_38merge_sort_block_merge_config_selectorIssEEZZNS1_27merge_sort_block_merge_implIS3_N6thrust23THRUST_200600_302600_NS6detail15normal_iteratorINS8_10device_ptrIsEEEESD_jNS1_19radix_merge_compareILb0ELb0EsNS0_19identity_decomposerEEEEE10hipError_tT0_T1_T2_jT3_P12ihipStream_tbPNSt15iterator_traitsISI_E10value_typeEPNSO_ISJ_E10value_typeEPSK_NS1_7vsmem_tEENKUlT_SI_SJ_SK_E_clIPsSD_S10_SD_EESH_SX_SI_SJ_SK_EUlSX_E1_NS1_11comp_targetILNS1_3genE0ELNS1_11target_archE4294967295ELNS1_3gpuE0ELNS1_3repE0EEENS1_36merge_oddeven_config_static_selectorELNS0_4arch9wavefront6targetE1EEEvSJ_
                                        ; -- End function
	.set _ZN7rocprim17ROCPRIM_400000_NS6detail17trampoline_kernelINS0_14default_configENS1_38merge_sort_block_merge_config_selectorIssEEZZNS1_27merge_sort_block_merge_implIS3_N6thrust23THRUST_200600_302600_NS6detail15normal_iteratorINS8_10device_ptrIsEEEESD_jNS1_19radix_merge_compareILb0ELb0EsNS0_19identity_decomposerEEEEE10hipError_tT0_T1_T2_jT3_P12ihipStream_tbPNSt15iterator_traitsISI_E10value_typeEPNSO_ISJ_E10value_typeEPSK_NS1_7vsmem_tEENKUlT_SI_SJ_SK_E_clIPsSD_S10_SD_EESH_SX_SI_SJ_SK_EUlSX_E1_NS1_11comp_targetILNS1_3genE0ELNS1_11target_archE4294967295ELNS1_3gpuE0ELNS1_3repE0EEENS1_36merge_oddeven_config_static_selectorELNS0_4arch9wavefront6targetE1EEEvSJ_.num_vgpr, 9
	.set _ZN7rocprim17ROCPRIM_400000_NS6detail17trampoline_kernelINS0_14default_configENS1_38merge_sort_block_merge_config_selectorIssEEZZNS1_27merge_sort_block_merge_implIS3_N6thrust23THRUST_200600_302600_NS6detail15normal_iteratorINS8_10device_ptrIsEEEESD_jNS1_19radix_merge_compareILb0ELb0EsNS0_19identity_decomposerEEEEE10hipError_tT0_T1_T2_jT3_P12ihipStream_tbPNSt15iterator_traitsISI_E10value_typeEPNSO_ISJ_E10value_typeEPSK_NS1_7vsmem_tEENKUlT_SI_SJ_SK_E_clIPsSD_S10_SD_EESH_SX_SI_SJ_SK_EUlSX_E1_NS1_11comp_targetILNS1_3genE0ELNS1_11target_archE4294967295ELNS1_3gpuE0ELNS1_3repE0EEENS1_36merge_oddeven_config_static_selectorELNS0_4arch9wavefront6targetE1EEEvSJ_.num_agpr, 0
	.set _ZN7rocprim17ROCPRIM_400000_NS6detail17trampoline_kernelINS0_14default_configENS1_38merge_sort_block_merge_config_selectorIssEEZZNS1_27merge_sort_block_merge_implIS3_N6thrust23THRUST_200600_302600_NS6detail15normal_iteratorINS8_10device_ptrIsEEEESD_jNS1_19radix_merge_compareILb0ELb0EsNS0_19identity_decomposerEEEEE10hipError_tT0_T1_T2_jT3_P12ihipStream_tbPNSt15iterator_traitsISI_E10value_typeEPNSO_ISJ_E10value_typeEPSK_NS1_7vsmem_tEENKUlT_SI_SJ_SK_E_clIPsSD_S10_SD_EESH_SX_SI_SJ_SK_EUlSX_E1_NS1_11comp_targetILNS1_3genE0ELNS1_11target_archE4294967295ELNS1_3gpuE0ELNS1_3repE0EEENS1_36merge_oddeven_config_static_selectorELNS0_4arch9wavefront6targetE1EEEvSJ_.numbered_sgpr, 24
	.set _ZN7rocprim17ROCPRIM_400000_NS6detail17trampoline_kernelINS0_14default_configENS1_38merge_sort_block_merge_config_selectorIssEEZZNS1_27merge_sort_block_merge_implIS3_N6thrust23THRUST_200600_302600_NS6detail15normal_iteratorINS8_10device_ptrIsEEEESD_jNS1_19radix_merge_compareILb0ELb0EsNS0_19identity_decomposerEEEEE10hipError_tT0_T1_T2_jT3_P12ihipStream_tbPNSt15iterator_traitsISI_E10value_typeEPNSO_ISJ_E10value_typeEPSK_NS1_7vsmem_tEENKUlT_SI_SJ_SK_E_clIPsSD_S10_SD_EESH_SX_SI_SJ_SK_EUlSX_E1_NS1_11comp_targetILNS1_3genE0ELNS1_11target_archE4294967295ELNS1_3gpuE0ELNS1_3repE0EEENS1_36merge_oddeven_config_static_selectorELNS0_4arch9wavefront6targetE1EEEvSJ_.num_named_barrier, 0
	.set _ZN7rocprim17ROCPRIM_400000_NS6detail17trampoline_kernelINS0_14default_configENS1_38merge_sort_block_merge_config_selectorIssEEZZNS1_27merge_sort_block_merge_implIS3_N6thrust23THRUST_200600_302600_NS6detail15normal_iteratorINS8_10device_ptrIsEEEESD_jNS1_19radix_merge_compareILb0ELb0EsNS0_19identity_decomposerEEEEE10hipError_tT0_T1_T2_jT3_P12ihipStream_tbPNSt15iterator_traitsISI_E10value_typeEPNSO_ISJ_E10value_typeEPSK_NS1_7vsmem_tEENKUlT_SI_SJ_SK_E_clIPsSD_S10_SD_EESH_SX_SI_SJ_SK_EUlSX_E1_NS1_11comp_targetILNS1_3genE0ELNS1_11target_archE4294967295ELNS1_3gpuE0ELNS1_3repE0EEENS1_36merge_oddeven_config_static_selectorELNS0_4arch9wavefront6targetE1EEEvSJ_.private_seg_size, 0
	.set _ZN7rocprim17ROCPRIM_400000_NS6detail17trampoline_kernelINS0_14default_configENS1_38merge_sort_block_merge_config_selectorIssEEZZNS1_27merge_sort_block_merge_implIS3_N6thrust23THRUST_200600_302600_NS6detail15normal_iteratorINS8_10device_ptrIsEEEESD_jNS1_19radix_merge_compareILb0ELb0EsNS0_19identity_decomposerEEEEE10hipError_tT0_T1_T2_jT3_P12ihipStream_tbPNSt15iterator_traitsISI_E10value_typeEPNSO_ISJ_E10value_typeEPSK_NS1_7vsmem_tEENKUlT_SI_SJ_SK_E_clIPsSD_S10_SD_EESH_SX_SI_SJ_SK_EUlSX_E1_NS1_11comp_targetILNS1_3genE0ELNS1_11target_archE4294967295ELNS1_3gpuE0ELNS1_3repE0EEENS1_36merge_oddeven_config_static_selectorELNS0_4arch9wavefront6targetE1EEEvSJ_.uses_vcc, 1
	.set _ZN7rocprim17ROCPRIM_400000_NS6detail17trampoline_kernelINS0_14default_configENS1_38merge_sort_block_merge_config_selectorIssEEZZNS1_27merge_sort_block_merge_implIS3_N6thrust23THRUST_200600_302600_NS6detail15normal_iteratorINS8_10device_ptrIsEEEESD_jNS1_19radix_merge_compareILb0ELb0EsNS0_19identity_decomposerEEEEE10hipError_tT0_T1_T2_jT3_P12ihipStream_tbPNSt15iterator_traitsISI_E10value_typeEPNSO_ISJ_E10value_typeEPSK_NS1_7vsmem_tEENKUlT_SI_SJ_SK_E_clIPsSD_S10_SD_EESH_SX_SI_SJ_SK_EUlSX_E1_NS1_11comp_targetILNS1_3genE0ELNS1_11target_archE4294967295ELNS1_3gpuE0ELNS1_3repE0EEENS1_36merge_oddeven_config_static_selectorELNS0_4arch9wavefront6targetE1EEEvSJ_.uses_flat_scratch, 0
	.set _ZN7rocprim17ROCPRIM_400000_NS6detail17trampoline_kernelINS0_14default_configENS1_38merge_sort_block_merge_config_selectorIssEEZZNS1_27merge_sort_block_merge_implIS3_N6thrust23THRUST_200600_302600_NS6detail15normal_iteratorINS8_10device_ptrIsEEEESD_jNS1_19radix_merge_compareILb0ELb0EsNS0_19identity_decomposerEEEEE10hipError_tT0_T1_T2_jT3_P12ihipStream_tbPNSt15iterator_traitsISI_E10value_typeEPNSO_ISJ_E10value_typeEPSK_NS1_7vsmem_tEENKUlT_SI_SJ_SK_E_clIPsSD_S10_SD_EESH_SX_SI_SJ_SK_EUlSX_E1_NS1_11comp_targetILNS1_3genE0ELNS1_11target_archE4294967295ELNS1_3gpuE0ELNS1_3repE0EEENS1_36merge_oddeven_config_static_selectorELNS0_4arch9wavefront6targetE1EEEvSJ_.has_dyn_sized_stack, 0
	.set _ZN7rocprim17ROCPRIM_400000_NS6detail17trampoline_kernelINS0_14default_configENS1_38merge_sort_block_merge_config_selectorIssEEZZNS1_27merge_sort_block_merge_implIS3_N6thrust23THRUST_200600_302600_NS6detail15normal_iteratorINS8_10device_ptrIsEEEESD_jNS1_19radix_merge_compareILb0ELb0EsNS0_19identity_decomposerEEEEE10hipError_tT0_T1_T2_jT3_P12ihipStream_tbPNSt15iterator_traitsISI_E10value_typeEPNSO_ISJ_E10value_typeEPSK_NS1_7vsmem_tEENKUlT_SI_SJ_SK_E_clIPsSD_S10_SD_EESH_SX_SI_SJ_SK_EUlSX_E1_NS1_11comp_targetILNS1_3genE0ELNS1_11target_archE4294967295ELNS1_3gpuE0ELNS1_3repE0EEENS1_36merge_oddeven_config_static_selectorELNS0_4arch9wavefront6targetE1EEEvSJ_.has_recursion, 0
	.set _ZN7rocprim17ROCPRIM_400000_NS6detail17trampoline_kernelINS0_14default_configENS1_38merge_sort_block_merge_config_selectorIssEEZZNS1_27merge_sort_block_merge_implIS3_N6thrust23THRUST_200600_302600_NS6detail15normal_iteratorINS8_10device_ptrIsEEEESD_jNS1_19radix_merge_compareILb0ELb0EsNS0_19identity_decomposerEEEEE10hipError_tT0_T1_T2_jT3_P12ihipStream_tbPNSt15iterator_traitsISI_E10value_typeEPNSO_ISJ_E10value_typeEPSK_NS1_7vsmem_tEENKUlT_SI_SJ_SK_E_clIPsSD_S10_SD_EESH_SX_SI_SJ_SK_EUlSX_E1_NS1_11comp_targetILNS1_3genE0ELNS1_11target_archE4294967295ELNS1_3gpuE0ELNS1_3repE0EEENS1_36merge_oddeven_config_static_selectorELNS0_4arch9wavefront6targetE1EEEvSJ_.has_indirect_call, 0
	.section	.AMDGPU.csdata,"",@progbits
; Kernel info:
; codeLenInByte = 764
; TotalNumSgprs: 30
; NumVgprs: 9
; NumAgprs: 0
; TotalNumVgprs: 9
; ScratchSize: 0
; MemoryBound: 0
; FloatMode: 240
; IeeeMode: 1
; LDSByteSize: 0 bytes/workgroup (compile time only)
; SGPRBlocks: 3
; VGPRBlocks: 1
; NumSGPRsForWavesPerEU: 30
; NumVGPRsForWavesPerEU: 9
; AccumOffset: 12
; Occupancy: 8
; WaveLimiterHint : 0
; COMPUTE_PGM_RSRC2:SCRATCH_EN: 0
; COMPUTE_PGM_RSRC2:USER_SGPR: 2
; COMPUTE_PGM_RSRC2:TRAP_HANDLER: 0
; COMPUTE_PGM_RSRC2:TGID_X_EN: 1
; COMPUTE_PGM_RSRC2:TGID_Y_EN: 0
; COMPUTE_PGM_RSRC2:TGID_Z_EN: 0
; COMPUTE_PGM_RSRC2:TIDIG_COMP_CNT: 0
; COMPUTE_PGM_RSRC3_GFX90A:ACCUM_OFFSET: 2
; COMPUTE_PGM_RSRC3_GFX90A:TG_SPLIT: 0
	.section	.text._ZN7rocprim17ROCPRIM_400000_NS6detail17trampoline_kernelINS0_14default_configENS1_38merge_sort_block_merge_config_selectorIssEEZZNS1_27merge_sort_block_merge_implIS3_N6thrust23THRUST_200600_302600_NS6detail15normal_iteratorINS8_10device_ptrIsEEEESD_jNS1_19radix_merge_compareILb0ELb0EsNS0_19identity_decomposerEEEEE10hipError_tT0_T1_T2_jT3_P12ihipStream_tbPNSt15iterator_traitsISI_E10value_typeEPNSO_ISJ_E10value_typeEPSK_NS1_7vsmem_tEENKUlT_SI_SJ_SK_E_clIPsSD_S10_SD_EESH_SX_SI_SJ_SK_EUlSX_E1_NS1_11comp_targetILNS1_3genE10ELNS1_11target_archE1201ELNS1_3gpuE5ELNS1_3repE0EEENS1_36merge_oddeven_config_static_selectorELNS0_4arch9wavefront6targetE1EEEvSJ_,"axG",@progbits,_ZN7rocprim17ROCPRIM_400000_NS6detail17trampoline_kernelINS0_14default_configENS1_38merge_sort_block_merge_config_selectorIssEEZZNS1_27merge_sort_block_merge_implIS3_N6thrust23THRUST_200600_302600_NS6detail15normal_iteratorINS8_10device_ptrIsEEEESD_jNS1_19radix_merge_compareILb0ELb0EsNS0_19identity_decomposerEEEEE10hipError_tT0_T1_T2_jT3_P12ihipStream_tbPNSt15iterator_traitsISI_E10value_typeEPNSO_ISJ_E10value_typeEPSK_NS1_7vsmem_tEENKUlT_SI_SJ_SK_E_clIPsSD_S10_SD_EESH_SX_SI_SJ_SK_EUlSX_E1_NS1_11comp_targetILNS1_3genE10ELNS1_11target_archE1201ELNS1_3gpuE5ELNS1_3repE0EEENS1_36merge_oddeven_config_static_selectorELNS0_4arch9wavefront6targetE1EEEvSJ_,comdat
	.protected	_ZN7rocprim17ROCPRIM_400000_NS6detail17trampoline_kernelINS0_14default_configENS1_38merge_sort_block_merge_config_selectorIssEEZZNS1_27merge_sort_block_merge_implIS3_N6thrust23THRUST_200600_302600_NS6detail15normal_iteratorINS8_10device_ptrIsEEEESD_jNS1_19radix_merge_compareILb0ELb0EsNS0_19identity_decomposerEEEEE10hipError_tT0_T1_T2_jT3_P12ihipStream_tbPNSt15iterator_traitsISI_E10value_typeEPNSO_ISJ_E10value_typeEPSK_NS1_7vsmem_tEENKUlT_SI_SJ_SK_E_clIPsSD_S10_SD_EESH_SX_SI_SJ_SK_EUlSX_E1_NS1_11comp_targetILNS1_3genE10ELNS1_11target_archE1201ELNS1_3gpuE5ELNS1_3repE0EEENS1_36merge_oddeven_config_static_selectorELNS0_4arch9wavefront6targetE1EEEvSJ_ ; -- Begin function _ZN7rocprim17ROCPRIM_400000_NS6detail17trampoline_kernelINS0_14default_configENS1_38merge_sort_block_merge_config_selectorIssEEZZNS1_27merge_sort_block_merge_implIS3_N6thrust23THRUST_200600_302600_NS6detail15normal_iteratorINS8_10device_ptrIsEEEESD_jNS1_19radix_merge_compareILb0ELb0EsNS0_19identity_decomposerEEEEE10hipError_tT0_T1_T2_jT3_P12ihipStream_tbPNSt15iterator_traitsISI_E10value_typeEPNSO_ISJ_E10value_typeEPSK_NS1_7vsmem_tEENKUlT_SI_SJ_SK_E_clIPsSD_S10_SD_EESH_SX_SI_SJ_SK_EUlSX_E1_NS1_11comp_targetILNS1_3genE10ELNS1_11target_archE1201ELNS1_3gpuE5ELNS1_3repE0EEENS1_36merge_oddeven_config_static_selectorELNS0_4arch9wavefront6targetE1EEEvSJ_
	.globl	_ZN7rocprim17ROCPRIM_400000_NS6detail17trampoline_kernelINS0_14default_configENS1_38merge_sort_block_merge_config_selectorIssEEZZNS1_27merge_sort_block_merge_implIS3_N6thrust23THRUST_200600_302600_NS6detail15normal_iteratorINS8_10device_ptrIsEEEESD_jNS1_19radix_merge_compareILb0ELb0EsNS0_19identity_decomposerEEEEE10hipError_tT0_T1_T2_jT3_P12ihipStream_tbPNSt15iterator_traitsISI_E10value_typeEPNSO_ISJ_E10value_typeEPSK_NS1_7vsmem_tEENKUlT_SI_SJ_SK_E_clIPsSD_S10_SD_EESH_SX_SI_SJ_SK_EUlSX_E1_NS1_11comp_targetILNS1_3genE10ELNS1_11target_archE1201ELNS1_3gpuE5ELNS1_3repE0EEENS1_36merge_oddeven_config_static_selectorELNS0_4arch9wavefront6targetE1EEEvSJ_
	.p2align	8
	.type	_ZN7rocprim17ROCPRIM_400000_NS6detail17trampoline_kernelINS0_14default_configENS1_38merge_sort_block_merge_config_selectorIssEEZZNS1_27merge_sort_block_merge_implIS3_N6thrust23THRUST_200600_302600_NS6detail15normal_iteratorINS8_10device_ptrIsEEEESD_jNS1_19radix_merge_compareILb0ELb0EsNS0_19identity_decomposerEEEEE10hipError_tT0_T1_T2_jT3_P12ihipStream_tbPNSt15iterator_traitsISI_E10value_typeEPNSO_ISJ_E10value_typeEPSK_NS1_7vsmem_tEENKUlT_SI_SJ_SK_E_clIPsSD_S10_SD_EESH_SX_SI_SJ_SK_EUlSX_E1_NS1_11comp_targetILNS1_3genE10ELNS1_11target_archE1201ELNS1_3gpuE5ELNS1_3repE0EEENS1_36merge_oddeven_config_static_selectorELNS0_4arch9wavefront6targetE1EEEvSJ_,@function
_ZN7rocprim17ROCPRIM_400000_NS6detail17trampoline_kernelINS0_14default_configENS1_38merge_sort_block_merge_config_selectorIssEEZZNS1_27merge_sort_block_merge_implIS3_N6thrust23THRUST_200600_302600_NS6detail15normal_iteratorINS8_10device_ptrIsEEEESD_jNS1_19radix_merge_compareILb0ELb0EsNS0_19identity_decomposerEEEEE10hipError_tT0_T1_T2_jT3_P12ihipStream_tbPNSt15iterator_traitsISI_E10value_typeEPNSO_ISJ_E10value_typeEPSK_NS1_7vsmem_tEENKUlT_SI_SJ_SK_E_clIPsSD_S10_SD_EESH_SX_SI_SJ_SK_EUlSX_E1_NS1_11comp_targetILNS1_3genE10ELNS1_11target_archE1201ELNS1_3gpuE5ELNS1_3repE0EEENS1_36merge_oddeven_config_static_selectorELNS0_4arch9wavefront6targetE1EEEvSJ_: ; @_ZN7rocprim17ROCPRIM_400000_NS6detail17trampoline_kernelINS0_14default_configENS1_38merge_sort_block_merge_config_selectorIssEEZZNS1_27merge_sort_block_merge_implIS3_N6thrust23THRUST_200600_302600_NS6detail15normal_iteratorINS8_10device_ptrIsEEEESD_jNS1_19radix_merge_compareILb0ELb0EsNS0_19identity_decomposerEEEEE10hipError_tT0_T1_T2_jT3_P12ihipStream_tbPNSt15iterator_traitsISI_E10value_typeEPNSO_ISJ_E10value_typeEPSK_NS1_7vsmem_tEENKUlT_SI_SJ_SK_E_clIPsSD_S10_SD_EESH_SX_SI_SJ_SK_EUlSX_E1_NS1_11comp_targetILNS1_3genE10ELNS1_11target_archE1201ELNS1_3gpuE5ELNS1_3repE0EEENS1_36merge_oddeven_config_static_selectorELNS0_4arch9wavefront6targetE1EEEvSJ_
; %bb.0:
	.section	.rodata,"a",@progbits
	.p2align	6, 0x0
	.amdhsa_kernel _ZN7rocprim17ROCPRIM_400000_NS6detail17trampoline_kernelINS0_14default_configENS1_38merge_sort_block_merge_config_selectorIssEEZZNS1_27merge_sort_block_merge_implIS3_N6thrust23THRUST_200600_302600_NS6detail15normal_iteratorINS8_10device_ptrIsEEEESD_jNS1_19radix_merge_compareILb0ELb0EsNS0_19identity_decomposerEEEEE10hipError_tT0_T1_T2_jT3_P12ihipStream_tbPNSt15iterator_traitsISI_E10value_typeEPNSO_ISJ_E10value_typeEPSK_NS1_7vsmem_tEENKUlT_SI_SJ_SK_E_clIPsSD_S10_SD_EESH_SX_SI_SJ_SK_EUlSX_E1_NS1_11comp_targetILNS1_3genE10ELNS1_11target_archE1201ELNS1_3gpuE5ELNS1_3repE0EEENS1_36merge_oddeven_config_static_selectorELNS0_4arch9wavefront6targetE1EEEvSJ_
		.amdhsa_group_segment_fixed_size 0
		.amdhsa_private_segment_fixed_size 0
		.amdhsa_kernarg_size 48
		.amdhsa_user_sgpr_count 2
		.amdhsa_user_sgpr_dispatch_ptr 0
		.amdhsa_user_sgpr_queue_ptr 0
		.amdhsa_user_sgpr_kernarg_segment_ptr 1
		.amdhsa_user_sgpr_dispatch_id 0
		.amdhsa_user_sgpr_kernarg_preload_length 0
		.amdhsa_user_sgpr_kernarg_preload_offset 0
		.amdhsa_user_sgpr_private_segment_size 0
		.amdhsa_uses_dynamic_stack 0
		.amdhsa_enable_private_segment 0
		.amdhsa_system_sgpr_workgroup_id_x 1
		.amdhsa_system_sgpr_workgroup_id_y 0
		.amdhsa_system_sgpr_workgroup_id_z 0
		.amdhsa_system_sgpr_workgroup_info 0
		.amdhsa_system_vgpr_workitem_id 0
		.amdhsa_next_free_vgpr 1
		.amdhsa_next_free_sgpr 0
		.amdhsa_accum_offset 4
		.amdhsa_reserve_vcc 0
		.amdhsa_float_round_mode_32 0
		.amdhsa_float_round_mode_16_64 0
		.amdhsa_float_denorm_mode_32 3
		.amdhsa_float_denorm_mode_16_64 3
		.amdhsa_dx10_clamp 1
		.amdhsa_ieee_mode 1
		.amdhsa_fp16_overflow 0
		.amdhsa_tg_split 0
		.amdhsa_exception_fp_ieee_invalid_op 0
		.amdhsa_exception_fp_denorm_src 0
		.amdhsa_exception_fp_ieee_div_zero 0
		.amdhsa_exception_fp_ieee_overflow 0
		.amdhsa_exception_fp_ieee_underflow 0
		.amdhsa_exception_fp_ieee_inexact 0
		.amdhsa_exception_int_div_zero 0
	.end_amdhsa_kernel
	.section	.text._ZN7rocprim17ROCPRIM_400000_NS6detail17trampoline_kernelINS0_14default_configENS1_38merge_sort_block_merge_config_selectorIssEEZZNS1_27merge_sort_block_merge_implIS3_N6thrust23THRUST_200600_302600_NS6detail15normal_iteratorINS8_10device_ptrIsEEEESD_jNS1_19radix_merge_compareILb0ELb0EsNS0_19identity_decomposerEEEEE10hipError_tT0_T1_T2_jT3_P12ihipStream_tbPNSt15iterator_traitsISI_E10value_typeEPNSO_ISJ_E10value_typeEPSK_NS1_7vsmem_tEENKUlT_SI_SJ_SK_E_clIPsSD_S10_SD_EESH_SX_SI_SJ_SK_EUlSX_E1_NS1_11comp_targetILNS1_3genE10ELNS1_11target_archE1201ELNS1_3gpuE5ELNS1_3repE0EEENS1_36merge_oddeven_config_static_selectorELNS0_4arch9wavefront6targetE1EEEvSJ_,"axG",@progbits,_ZN7rocprim17ROCPRIM_400000_NS6detail17trampoline_kernelINS0_14default_configENS1_38merge_sort_block_merge_config_selectorIssEEZZNS1_27merge_sort_block_merge_implIS3_N6thrust23THRUST_200600_302600_NS6detail15normal_iteratorINS8_10device_ptrIsEEEESD_jNS1_19radix_merge_compareILb0ELb0EsNS0_19identity_decomposerEEEEE10hipError_tT0_T1_T2_jT3_P12ihipStream_tbPNSt15iterator_traitsISI_E10value_typeEPNSO_ISJ_E10value_typeEPSK_NS1_7vsmem_tEENKUlT_SI_SJ_SK_E_clIPsSD_S10_SD_EESH_SX_SI_SJ_SK_EUlSX_E1_NS1_11comp_targetILNS1_3genE10ELNS1_11target_archE1201ELNS1_3gpuE5ELNS1_3repE0EEENS1_36merge_oddeven_config_static_selectorELNS0_4arch9wavefront6targetE1EEEvSJ_,comdat
.Lfunc_end1527:
	.size	_ZN7rocprim17ROCPRIM_400000_NS6detail17trampoline_kernelINS0_14default_configENS1_38merge_sort_block_merge_config_selectorIssEEZZNS1_27merge_sort_block_merge_implIS3_N6thrust23THRUST_200600_302600_NS6detail15normal_iteratorINS8_10device_ptrIsEEEESD_jNS1_19radix_merge_compareILb0ELb0EsNS0_19identity_decomposerEEEEE10hipError_tT0_T1_T2_jT3_P12ihipStream_tbPNSt15iterator_traitsISI_E10value_typeEPNSO_ISJ_E10value_typeEPSK_NS1_7vsmem_tEENKUlT_SI_SJ_SK_E_clIPsSD_S10_SD_EESH_SX_SI_SJ_SK_EUlSX_E1_NS1_11comp_targetILNS1_3genE10ELNS1_11target_archE1201ELNS1_3gpuE5ELNS1_3repE0EEENS1_36merge_oddeven_config_static_selectorELNS0_4arch9wavefront6targetE1EEEvSJ_, .Lfunc_end1527-_ZN7rocprim17ROCPRIM_400000_NS6detail17trampoline_kernelINS0_14default_configENS1_38merge_sort_block_merge_config_selectorIssEEZZNS1_27merge_sort_block_merge_implIS3_N6thrust23THRUST_200600_302600_NS6detail15normal_iteratorINS8_10device_ptrIsEEEESD_jNS1_19radix_merge_compareILb0ELb0EsNS0_19identity_decomposerEEEEE10hipError_tT0_T1_T2_jT3_P12ihipStream_tbPNSt15iterator_traitsISI_E10value_typeEPNSO_ISJ_E10value_typeEPSK_NS1_7vsmem_tEENKUlT_SI_SJ_SK_E_clIPsSD_S10_SD_EESH_SX_SI_SJ_SK_EUlSX_E1_NS1_11comp_targetILNS1_3genE10ELNS1_11target_archE1201ELNS1_3gpuE5ELNS1_3repE0EEENS1_36merge_oddeven_config_static_selectorELNS0_4arch9wavefront6targetE1EEEvSJ_
                                        ; -- End function
	.set _ZN7rocprim17ROCPRIM_400000_NS6detail17trampoline_kernelINS0_14default_configENS1_38merge_sort_block_merge_config_selectorIssEEZZNS1_27merge_sort_block_merge_implIS3_N6thrust23THRUST_200600_302600_NS6detail15normal_iteratorINS8_10device_ptrIsEEEESD_jNS1_19radix_merge_compareILb0ELb0EsNS0_19identity_decomposerEEEEE10hipError_tT0_T1_T2_jT3_P12ihipStream_tbPNSt15iterator_traitsISI_E10value_typeEPNSO_ISJ_E10value_typeEPSK_NS1_7vsmem_tEENKUlT_SI_SJ_SK_E_clIPsSD_S10_SD_EESH_SX_SI_SJ_SK_EUlSX_E1_NS1_11comp_targetILNS1_3genE10ELNS1_11target_archE1201ELNS1_3gpuE5ELNS1_3repE0EEENS1_36merge_oddeven_config_static_selectorELNS0_4arch9wavefront6targetE1EEEvSJ_.num_vgpr, 0
	.set _ZN7rocprim17ROCPRIM_400000_NS6detail17trampoline_kernelINS0_14default_configENS1_38merge_sort_block_merge_config_selectorIssEEZZNS1_27merge_sort_block_merge_implIS3_N6thrust23THRUST_200600_302600_NS6detail15normal_iteratorINS8_10device_ptrIsEEEESD_jNS1_19radix_merge_compareILb0ELb0EsNS0_19identity_decomposerEEEEE10hipError_tT0_T1_T2_jT3_P12ihipStream_tbPNSt15iterator_traitsISI_E10value_typeEPNSO_ISJ_E10value_typeEPSK_NS1_7vsmem_tEENKUlT_SI_SJ_SK_E_clIPsSD_S10_SD_EESH_SX_SI_SJ_SK_EUlSX_E1_NS1_11comp_targetILNS1_3genE10ELNS1_11target_archE1201ELNS1_3gpuE5ELNS1_3repE0EEENS1_36merge_oddeven_config_static_selectorELNS0_4arch9wavefront6targetE1EEEvSJ_.num_agpr, 0
	.set _ZN7rocprim17ROCPRIM_400000_NS6detail17trampoline_kernelINS0_14default_configENS1_38merge_sort_block_merge_config_selectorIssEEZZNS1_27merge_sort_block_merge_implIS3_N6thrust23THRUST_200600_302600_NS6detail15normal_iteratorINS8_10device_ptrIsEEEESD_jNS1_19radix_merge_compareILb0ELb0EsNS0_19identity_decomposerEEEEE10hipError_tT0_T1_T2_jT3_P12ihipStream_tbPNSt15iterator_traitsISI_E10value_typeEPNSO_ISJ_E10value_typeEPSK_NS1_7vsmem_tEENKUlT_SI_SJ_SK_E_clIPsSD_S10_SD_EESH_SX_SI_SJ_SK_EUlSX_E1_NS1_11comp_targetILNS1_3genE10ELNS1_11target_archE1201ELNS1_3gpuE5ELNS1_3repE0EEENS1_36merge_oddeven_config_static_selectorELNS0_4arch9wavefront6targetE1EEEvSJ_.numbered_sgpr, 0
	.set _ZN7rocprim17ROCPRIM_400000_NS6detail17trampoline_kernelINS0_14default_configENS1_38merge_sort_block_merge_config_selectorIssEEZZNS1_27merge_sort_block_merge_implIS3_N6thrust23THRUST_200600_302600_NS6detail15normal_iteratorINS8_10device_ptrIsEEEESD_jNS1_19radix_merge_compareILb0ELb0EsNS0_19identity_decomposerEEEEE10hipError_tT0_T1_T2_jT3_P12ihipStream_tbPNSt15iterator_traitsISI_E10value_typeEPNSO_ISJ_E10value_typeEPSK_NS1_7vsmem_tEENKUlT_SI_SJ_SK_E_clIPsSD_S10_SD_EESH_SX_SI_SJ_SK_EUlSX_E1_NS1_11comp_targetILNS1_3genE10ELNS1_11target_archE1201ELNS1_3gpuE5ELNS1_3repE0EEENS1_36merge_oddeven_config_static_selectorELNS0_4arch9wavefront6targetE1EEEvSJ_.num_named_barrier, 0
	.set _ZN7rocprim17ROCPRIM_400000_NS6detail17trampoline_kernelINS0_14default_configENS1_38merge_sort_block_merge_config_selectorIssEEZZNS1_27merge_sort_block_merge_implIS3_N6thrust23THRUST_200600_302600_NS6detail15normal_iteratorINS8_10device_ptrIsEEEESD_jNS1_19radix_merge_compareILb0ELb0EsNS0_19identity_decomposerEEEEE10hipError_tT0_T1_T2_jT3_P12ihipStream_tbPNSt15iterator_traitsISI_E10value_typeEPNSO_ISJ_E10value_typeEPSK_NS1_7vsmem_tEENKUlT_SI_SJ_SK_E_clIPsSD_S10_SD_EESH_SX_SI_SJ_SK_EUlSX_E1_NS1_11comp_targetILNS1_3genE10ELNS1_11target_archE1201ELNS1_3gpuE5ELNS1_3repE0EEENS1_36merge_oddeven_config_static_selectorELNS0_4arch9wavefront6targetE1EEEvSJ_.private_seg_size, 0
	.set _ZN7rocprim17ROCPRIM_400000_NS6detail17trampoline_kernelINS0_14default_configENS1_38merge_sort_block_merge_config_selectorIssEEZZNS1_27merge_sort_block_merge_implIS3_N6thrust23THRUST_200600_302600_NS6detail15normal_iteratorINS8_10device_ptrIsEEEESD_jNS1_19radix_merge_compareILb0ELb0EsNS0_19identity_decomposerEEEEE10hipError_tT0_T1_T2_jT3_P12ihipStream_tbPNSt15iterator_traitsISI_E10value_typeEPNSO_ISJ_E10value_typeEPSK_NS1_7vsmem_tEENKUlT_SI_SJ_SK_E_clIPsSD_S10_SD_EESH_SX_SI_SJ_SK_EUlSX_E1_NS1_11comp_targetILNS1_3genE10ELNS1_11target_archE1201ELNS1_3gpuE5ELNS1_3repE0EEENS1_36merge_oddeven_config_static_selectorELNS0_4arch9wavefront6targetE1EEEvSJ_.uses_vcc, 0
	.set _ZN7rocprim17ROCPRIM_400000_NS6detail17trampoline_kernelINS0_14default_configENS1_38merge_sort_block_merge_config_selectorIssEEZZNS1_27merge_sort_block_merge_implIS3_N6thrust23THRUST_200600_302600_NS6detail15normal_iteratorINS8_10device_ptrIsEEEESD_jNS1_19radix_merge_compareILb0ELb0EsNS0_19identity_decomposerEEEEE10hipError_tT0_T1_T2_jT3_P12ihipStream_tbPNSt15iterator_traitsISI_E10value_typeEPNSO_ISJ_E10value_typeEPSK_NS1_7vsmem_tEENKUlT_SI_SJ_SK_E_clIPsSD_S10_SD_EESH_SX_SI_SJ_SK_EUlSX_E1_NS1_11comp_targetILNS1_3genE10ELNS1_11target_archE1201ELNS1_3gpuE5ELNS1_3repE0EEENS1_36merge_oddeven_config_static_selectorELNS0_4arch9wavefront6targetE1EEEvSJ_.uses_flat_scratch, 0
	.set _ZN7rocprim17ROCPRIM_400000_NS6detail17trampoline_kernelINS0_14default_configENS1_38merge_sort_block_merge_config_selectorIssEEZZNS1_27merge_sort_block_merge_implIS3_N6thrust23THRUST_200600_302600_NS6detail15normal_iteratorINS8_10device_ptrIsEEEESD_jNS1_19radix_merge_compareILb0ELb0EsNS0_19identity_decomposerEEEEE10hipError_tT0_T1_T2_jT3_P12ihipStream_tbPNSt15iterator_traitsISI_E10value_typeEPNSO_ISJ_E10value_typeEPSK_NS1_7vsmem_tEENKUlT_SI_SJ_SK_E_clIPsSD_S10_SD_EESH_SX_SI_SJ_SK_EUlSX_E1_NS1_11comp_targetILNS1_3genE10ELNS1_11target_archE1201ELNS1_3gpuE5ELNS1_3repE0EEENS1_36merge_oddeven_config_static_selectorELNS0_4arch9wavefront6targetE1EEEvSJ_.has_dyn_sized_stack, 0
	.set _ZN7rocprim17ROCPRIM_400000_NS6detail17trampoline_kernelINS0_14default_configENS1_38merge_sort_block_merge_config_selectorIssEEZZNS1_27merge_sort_block_merge_implIS3_N6thrust23THRUST_200600_302600_NS6detail15normal_iteratorINS8_10device_ptrIsEEEESD_jNS1_19radix_merge_compareILb0ELb0EsNS0_19identity_decomposerEEEEE10hipError_tT0_T1_T2_jT3_P12ihipStream_tbPNSt15iterator_traitsISI_E10value_typeEPNSO_ISJ_E10value_typeEPSK_NS1_7vsmem_tEENKUlT_SI_SJ_SK_E_clIPsSD_S10_SD_EESH_SX_SI_SJ_SK_EUlSX_E1_NS1_11comp_targetILNS1_3genE10ELNS1_11target_archE1201ELNS1_3gpuE5ELNS1_3repE0EEENS1_36merge_oddeven_config_static_selectorELNS0_4arch9wavefront6targetE1EEEvSJ_.has_recursion, 0
	.set _ZN7rocprim17ROCPRIM_400000_NS6detail17trampoline_kernelINS0_14default_configENS1_38merge_sort_block_merge_config_selectorIssEEZZNS1_27merge_sort_block_merge_implIS3_N6thrust23THRUST_200600_302600_NS6detail15normal_iteratorINS8_10device_ptrIsEEEESD_jNS1_19radix_merge_compareILb0ELb0EsNS0_19identity_decomposerEEEEE10hipError_tT0_T1_T2_jT3_P12ihipStream_tbPNSt15iterator_traitsISI_E10value_typeEPNSO_ISJ_E10value_typeEPSK_NS1_7vsmem_tEENKUlT_SI_SJ_SK_E_clIPsSD_S10_SD_EESH_SX_SI_SJ_SK_EUlSX_E1_NS1_11comp_targetILNS1_3genE10ELNS1_11target_archE1201ELNS1_3gpuE5ELNS1_3repE0EEENS1_36merge_oddeven_config_static_selectorELNS0_4arch9wavefront6targetE1EEEvSJ_.has_indirect_call, 0
	.section	.AMDGPU.csdata,"",@progbits
; Kernel info:
; codeLenInByte = 0
; TotalNumSgprs: 6
; NumVgprs: 0
; NumAgprs: 0
; TotalNumVgprs: 0
; ScratchSize: 0
; MemoryBound: 0
; FloatMode: 240
; IeeeMode: 1
; LDSByteSize: 0 bytes/workgroup (compile time only)
; SGPRBlocks: 0
; VGPRBlocks: 0
; NumSGPRsForWavesPerEU: 6
; NumVGPRsForWavesPerEU: 1
; AccumOffset: 4
; Occupancy: 8
; WaveLimiterHint : 0
; COMPUTE_PGM_RSRC2:SCRATCH_EN: 0
; COMPUTE_PGM_RSRC2:USER_SGPR: 2
; COMPUTE_PGM_RSRC2:TRAP_HANDLER: 0
; COMPUTE_PGM_RSRC2:TGID_X_EN: 1
; COMPUTE_PGM_RSRC2:TGID_Y_EN: 0
; COMPUTE_PGM_RSRC2:TGID_Z_EN: 0
; COMPUTE_PGM_RSRC2:TIDIG_COMP_CNT: 0
; COMPUTE_PGM_RSRC3_GFX90A:ACCUM_OFFSET: 0
; COMPUTE_PGM_RSRC3_GFX90A:TG_SPLIT: 0
	.section	.text._ZN7rocprim17ROCPRIM_400000_NS6detail17trampoline_kernelINS0_14default_configENS1_38merge_sort_block_merge_config_selectorIssEEZZNS1_27merge_sort_block_merge_implIS3_N6thrust23THRUST_200600_302600_NS6detail15normal_iteratorINS8_10device_ptrIsEEEESD_jNS1_19radix_merge_compareILb0ELb0EsNS0_19identity_decomposerEEEEE10hipError_tT0_T1_T2_jT3_P12ihipStream_tbPNSt15iterator_traitsISI_E10value_typeEPNSO_ISJ_E10value_typeEPSK_NS1_7vsmem_tEENKUlT_SI_SJ_SK_E_clIPsSD_S10_SD_EESH_SX_SI_SJ_SK_EUlSX_E1_NS1_11comp_targetILNS1_3genE5ELNS1_11target_archE942ELNS1_3gpuE9ELNS1_3repE0EEENS1_36merge_oddeven_config_static_selectorELNS0_4arch9wavefront6targetE1EEEvSJ_,"axG",@progbits,_ZN7rocprim17ROCPRIM_400000_NS6detail17trampoline_kernelINS0_14default_configENS1_38merge_sort_block_merge_config_selectorIssEEZZNS1_27merge_sort_block_merge_implIS3_N6thrust23THRUST_200600_302600_NS6detail15normal_iteratorINS8_10device_ptrIsEEEESD_jNS1_19radix_merge_compareILb0ELb0EsNS0_19identity_decomposerEEEEE10hipError_tT0_T1_T2_jT3_P12ihipStream_tbPNSt15iterator_traitsISI_E10value_typeEPNSO_ISJ_E10value_typeEPSK_NS1_7vsmem_tEENKUlT_SI_SJ_SK_E_clIPsSD_S10_SD_EESH_SX_SI_SJ_SK_EUlSX_E1_NS1_11comp_targetILNS1_3genE5ELNS1_11target_archE942ELNS1_3gpuE9ELNS1_3repE0EEENS1_36merge_oddeven_config_static_selectorELNS0_4arch9wavefront6targetE1EEEvSJ_,comdat
	.protected	_ZN7rocprim17ROCPRIM_400000_NS6detail17trampoline_kernelINS0_14default_configENS1_38merge_sort_block_merge_config_selectorIssEEZZNS1_27merge_sort_block_merge_implIS3_N6thrust23THRUST_200600_302600_NS6detail15normal_iteratorINS8_10device_ptrIsEEEESD_jNS1_19radix_merge_compareILb0ELb0EsNS0_19identity_decomposerEEEEE10hipError_tT0_T1_T2_jT3_P12ihipStream_tbPNSt15iterator_traitsISI_E10value_typeEPNSO_ISJ_E10value_typeEPSK_NS1_7vsmem_tEENKUlT_SI_SJ_SK_E_clIPsSD_S10_SD_EESH_SX_SI_SJ_SK_EUlSX_E1_NS1_11comp_targetILNS1_3genE5ELNS1_11target_archE942ELNS1_3gpuE9ELNS1_3repE0EEENS1_36merge_oddeven_config_static_selectorELNS0_4arch9wavefront6targetE1EEEvSJ_ ; -- Begin function _ZN7rocprim17ROCPRIM_400000_NS6detail17trampoline_kernelINS0_14default_configENS1_38merge_sort_block_merge_config_selectorIssEEZZNS1_27merge_sort_block_merge_implIS3_N6thrust23THRUST_200600_302600_NS6detail15normal_iteratorINS8_10device_ptrIsEEEESD_jNS1_19radix_merge_compareILb0ELb0EsNS0_19identity_decomposerEEEEE10hipError_tT0_T1_T2_jT3_P12ihipStream_tbPNSt15iterator_traitsISI_E10value_typeEPNSO_ISJ_E10value_typeEPSK_NS1_7vsmem_tEENKUlT_SI_SJ_SK_E_clIPsSD_S10_SD_EESH_SX_SI_SJ_SK_EUlSX_E1_NS1_11comp_targetILNS1_3genE5ELNS1_11target_archE942ELNS1_3gpuE9ELNS1_3repE0EEENS1_36merge_oddeven_config_static_selectorELNS0_4arch9wavefront6targetE1EEEvSJ_
	.globl	_ZN7rocprim17ROCPRIM_400000_NS6detail17trampoline_kernelINS0_14default_configENS1_38merge_sort_block_merge_config_selectorIssEEZZNS1_27merge_sort_block_merge_implIS3_N6thrust23THRUST_200600_302600_NS6detail15normal_iteratorINS8_10device_ptrIsEEEESD_jNS1_19radix_merge_compareILb0ELb0EsNS0_19identity_decomposerEEEEE10hipError_tT0_T1_T2_jT3_P12ihipStream_tbPNSt15iterator_traitsISI_E10value_typeEPNSO_ISJ_E10value_typeEPSK_NS1_7vsmem_tEENKUlT_SI_SJ_SK_E_clIPsSD_S10_SD_EESH_SX_SI_SJ_SK_EUlSX_E1_NS1_11comp_targetILNS1_3genE5ELNS1_11target_archE942ELNS1_3gpuE9ELNS1_3repE0EEENS1_36merge_oddeven_config_static_selectorELNS0_4arch9wavefront6targetE1EEEvSJ_
	.p2align	8
	.type	_ZN7rocprim17ROCPRIM_400000_NS6detail17trampoline_kernelINS0_14default_configENS1_38merge_sort_block_merge_config_selectorIssEEZZNS1_27merge_sort_block_merge_implIS3_N6thrust23THRUST_200600_302600_NS6detail15normal_iteratorINS8_10device_ptrIsEEEESD_jNS1_19radix_merge_compareILb0ELb0EsNS0_19identity_decomposerEEEEE10hipError_tT0_T1_T2_jT3_P12ihipStream_tbPNSt15iterator_traitsISI_E10value_typeEPNSO_ISJ_E10value_typeEPSK_NS1_7vsmem_tEENKUlT_SI_SJ_SK_E_clIPsSD_S10_SD_EESH_SX_SI_SJ_SK_EUlSX_E1_NS1_11comp_targetILNS1_3genE5ELNS1_11target_archE942ELNS1_3gpuE9ELNS1_3repE0EEENS1_36merge_oddeven_config_static_selectorELNS0_4arch9wavefront6targetE1EEEvSJ_,@function
_ZN7rocprim17ROCPRIM_400000_NS6detail17trampoline_kernelINS0_14default_configENS1_38merge_sort_block_merge_config_selectorIssEEZZNS1_27merge_sort_block_merge_implIS3_N6thrust23THRUST_200600_302600_NS6detail15normal_iteratorINS8_10device_ptrIsEEEESD_jNS1_19radix_merge_compareILb0ELb0EsNS0_19identity_decomposerEEEEE10hipError_tT0_T1_T2_jT3_P12ihipStream_tbPNSt15iterator_traitsISI_E10value_typeEPNSO_ISJ_E10value_typeEPSK_NS1_7vsmem_tEENKUlT_SI_SJ_SK_E_clIPsSD_S10_SD_EESH_SX_SI_SJ_SK_EUlSX_E1_NS1_11comp_targetILNS1_3genE5ELNS1_11target_archE942ELNS1_3gpuE9ELNS1_3repE0EEENS1_36merge_oddeven_config_static_selectorELNS0_4arch9wavefront6targetE1EEEvSJ_: ; @_ZN7rocprim17ROCPRIM_400000_NS6detail17trampoline_kernelINS0_14default_configENS1_38merge_sort_block_merge_config_selectorIssEEZZNS1_27merge_sort_block_merge_implIS3_N6thrust23THRUST_200600_302600_NS6detail15normal_iteratorINS8_10device_ptrIsEEEESD_jNS1_19radix_merge_compareILb0ELb0EsNS0_19identity_decomposerEEEEE10hipError_tT0_T1_T2_jT3_P12ihipStream_tbPNSt15iterator_traitsISI_E10value_typeEPNSO_ISJ_E10value_typeEPSK_NS1_7vsmem_tEENKUlT_SI_SJ_SK_E_clIPsSD_S10_SD_EESH_SX_SI_SJ_SK_EUlSX_E1_NS1_11comp_targetILNS1_3genE5ELNS1_11target_archE942ELNS1_3gpuE9ELNS1_3repE0EEENS1_36merge_oddeven_config_static_selectorELNS0_4arch9wavefront6targetE1EEEvSJ_
; %bb.0:
	.section	.rodata,"a",@progbits
	.p2align	6, 0x0
	.amdhsa_kernel _ZN7rocprim17ROCPRIM_400000_NS6detail17trampoline_kernelINS0_14default_configENS1_38merge_sort_block_merge_config_selectorIssEEZZNS1_27merge_sort_block_merge_implIS3_N6thrust23THRUST_200600_302600_NS6detail15normal_iteratorINS8_10device_ptrIsEEEESD_jNS1_19radix_merge_compareILb0ELb0EsNS0_19identity_decomposerEEEEE10hipError_tT0_T1_T2_jT3_P12ihipStream_tbPNSt15iterator_traitsISI_E10value_typeEPNSO_ISJ_E10value_typeEPSK_NS1_7vsmem_tEENKUlT_SI_SJ_SK_E_clIPsSD_S10_SD_EESH_SX_SI_SJ_SK_EUlSX_E1_NS1_11comp_targetILNS1_3genE5ELNS1_11target_archE942ELNS1_3gpuE9ELNS1_3repE0EEENS1_36merge_oddeven_config_static_selectorELNS0_4arch9wavefront6targetE1EEEvSJ_
		.amdhsa_group_segment_fixed_size 0
		.amdhsa_private_segment_fixed_size 0
		.amdhsa_kernarg_size 48
		.amdhsa_user_sgpr_count 2
		.amdhsa_user_sgpr_dispatch_ptr 0
		.amdhsa_user_sgpr_queue_ptr 0
		.amdhsa_user_sgpr_kernarg_segment_ptr 1
		.amdhsa_user_sgpr_dispatch_id 0
		.amdhsa_user_sgpr_kernarg_preload_length 0
		.amdhsa_user_sgpr_kernarg_preload_offset 0
		.amdhsa_user_sgpr_private_segment_size 0
		.amdhsa_uses_dynamic_stack 0
		.amdhsa_enable_private_segment 0
		.amdhsa_system_sgpr_workgroup_id_x 1
		.amdhsa_system_sgpr_workgroup_id_y 0
		.amdhsa_system_sgpr_workgroup_id_z 0
		.amdhsa_system_sgpr_workgroup_info 0
		.amdhsa_system_vgpr_workitem_id 0
		.amdhsa_next_free_vgpr 1
		.amdhsa_next_free_sgpr 0
		.amdhsa_accum_offset 4
		.amdhsa_reserve_vcc 0
		.amdhsa_float_round_mode_32 0
		.amdhsa_float_round_mode_16_64 0
		.amdhsa_float_denorm_mode_32 3
		.amdhsa_float_denorm_mode_16_64 3
		.amdhsa_dx10_clamp 1
		.amdhsa_ieee_mode 1
		.amdhsa_fp16_overflow 0
		.amdhsa_tg_split 0
		.amdhsa_exception_fp_ieee_invalid_op 0
		.amdhsa_exception_fp_denorm_src 0
		.amdhsa_exception_fp_ieee_div_zero 0
		.amdhsa_exception_fp_ieee_overflow 0
		.amdhsa_exception_fp_ieee_underflow 0
		.amdhsa_exception_fp_ieee_inexact 0
		.amdhsa_exception_int_div_zero 0
	.end_amdhsa_kernel
	.section	.text._ZN7rocprim17ROCPRIM_400000_NS6detail17trampoline_kernelINS0_14default_configENS1_38merge_sort_block_merge_config_selectorIssEEZZNS1_27merge_sort_block_merge_implIS3_N6thrust23THRUST_200600_302600_NS6detail15normal_iteratorINS8_10device_ptrIsEEEESD_jNS1_19radix_merge_compareILb0ELb0EsNS0_19identity_decomposerEEEEE10hipError_tT0_T1_T2_jT3_P12ihipStream_tbPNSt15iterator_traitsISI_E10value_typeEPNSO_ISJ_E10value_typeEPSK_NS1_7vsmem_tEENKUlT_SI_SJ_SK_E_clIPsSD_S10_SD_EESH_SX_SI_SJ_SK_EUlSX_E1_NS1_11comp_targetILNS1_3genE5ELNS1_11target_archE942ELNS1_3gpuE9ELNS1_3repE0EEENS1_36merge_oddeven_config_static_selectorELNS0_4arch9wavefront6targetE1EEEvSJ_,"axG",@progbits,_ZN7rocprim17ROCPRIM_400000_NS6detail17trampoline_kernelINS0_14default_configENS1_38merge_sort_block_merge_config_selectorIssEEZZNS1_27merge_sort_block_merge_implIS3_N6thrust23THRUST_200600_302600_NS6detail15normal_iteratorINS8_10device_ptrIsEEEESD_jNS1_19radix_merge_compareILb0ELb0EsNS0_19identity_decomposerEEEEE10hipError_tT0_T1_T2_jT3_P12ihipStream_tbPNSt15iterator_traitsISI_E10value_typeEPNSO_ISJ_E10value_typeEPSK_NS1_7vsmem_tEENKUlT_SI_SJ_SK_E_clIPsSD_S10_SD_EESH_SX_SI_SJ_SK_EUlSX_E1_NS1_11comp_targetILNS1_3genE5ELNS1_11target_archE942ELNS1_3gpuE9ELNS1_3repE0EEENS1_36merge_oddeven_config_static_selectorELNS0_4arch9wavefront6targetE1EEEvSJ_,comdat
.Lfunc_end1528:
	.size	_ZN7rocprim17ROCPRIM_400000_NS6detail17trampoline_kernelINS0_14default_configENS1_38merge_sort_block_merge_config_selectorIssEEZZNS1_27merge_sort_block_merge_implIS3_N6thrust23THRUST_200600_302600_NS6detail15normal_iteratorINS8_10device_ptrIsEEEESD_jNS1_19radix_merge_compareILb0ELb0EsNS0_19identity_decomposerEEEEE10hipError_tT0_T1_T2_jT3_P12ihipStream_tbPNSt15iterator_traitsISI_E10value_typeEPNSO_ISJ_E10value_typeEPSK_NS1_7vsmem_tEENKUlT_SI_SJ_SK_E_clIPsSD_S10_SD_EESH_SX_SI_SJ_SK_EUlSX_E1_NS1_11comp_targetILNS1_3genE5ELNS1_11target_archE942ELNS1_3gpuE9ELNS1_3repE0EEENS1_36merge_oddeven_config_static_selectorELNS0_4arch9wavefront6targetE1EEEvSJ_, .Lfunc_end1528-_ZN7rocprim17ROCPRIM_400000_NS6detail17trampoline_kernelINS0_14default_configENS1_38merge_sort_block_merge_config_selectorIssEEZZNS1_27merge_sort_block_merge_implIS3_N6thrust23THRUST_200600_302600_NS6detail15normal_iteratorINS8_10device_ptrIsEEEESD_jNS1_19radix_merge_compareILb0ELb0EsNS0_19identity_decomposerEEEEE10hipError_tT0_T1_T2_jT3_P12ihipStream_tbPNSt15iterator_traitsISI_E10value_typeEPNSO_ISJ_E10value_typeEPSK_NS1_7vsmem_tEENKUlT_SI_SJ_SK_E_clIPsSD_S10_SD_EESH_SX_SI_SJ_SK_EUlSX_E1_NS1_11comp_targetILNS1_3genE5ELNS1_11target_archE942ELNS1_3gpuE9ELNS1_3repE0EEENS1_36merge_oddeven_config_static_selectorELNS0_4arch9wavefront6targetE1EEEvSJ_
                                        ; -- End function
	.set _ZN7rocprim17ROCPRIM_400000_NS6detail17trampoline_kernelINS0_14default_configENS1_38merge_sort_block_merge_config_selectorIssEEZZNS1_27merge_sort_block_merge_implIS3_N6thrust23THRUST_200600_302600_NS6detail15normal_iteratorINS8_10device_ptrIsEEEESD_jNS1_19radix_merge_compareILb0ELb0EsNS0_19identity_decomposerEEEEE10hipError_tT0_T1_T2_jT3_P12ihipStream_tbPNSt15iterator_traitsISI_E10value_typeEPNSO_ISJ_E10value_typeEPSK_NS1_7vsmem_tEENKUlT_SI_SJ_SK_E_clIPsSD_S10_SD_EESH_SX_SI_SJ_SK_EUlSX_E1_NS1_11comp_targetILNS1_3genE5ELNS1_11target_archE942ELNS1_3gpuE9ELNS1_3repE0EEENS1_36merge_oddeven_config_static_selectorELNS0_4arch9wavefront6targetE1EEEvSJ_.num_vgpr, 0
	.set _ZN7rocprim17ROCPRIM_400000_NS6detail17trampoline_kernelINS0_14default_configENS1_38merge_sort_block_merge_config_selectorIssEEZZNS1_27merge_sort_block_merge_implIS3_N6thrust23THRUST_200600_302600_NS6detail15normal_iteratorINS8_10device_ptrIsEEEESD_jNS1_19radix_merge_compareILb0ELb0EsNS0_19identity_decomposerEEEEE10hipError_tT0_T1_T2_jT3_P12ihipStream_tbPNSt15iterator_traitsISI_E10value_typeEPNSO_ISJ_E10value_typeEPSK_NS1_7vsmem_tEENKUlT_SI_SJ_SK_E_clIPsSD_S10_SD_EESH_SX_SI_SJ_SK_EUlSX_E1_NS1_11comp_targetILNS1_3genE5ELNS1_11target_archE942ELNS1_3gpuE9ELNS1_3repE0EEENS1_36merge_oddeven_config_static_selectorELNS0_4arch9wavefront6targetE1EEEvSJ_.num_agpr, 0
	.set _ZN7rocprim17ROCPRIM_400000_NS6detail17trampoline_kernelINS0_14default_configENS1_38merge_sort_block_merge_config_selectorIssEEZZNS1_27merge_sort_block_merge_implIS3_N6thrust23THRUST_200600_302600_NS6detail15normal_iteratorINS8_10device_ptrIsEEEESD_jNS1_19radix_merge_compareILb0ELb0EsNS0_19identity_decomposerEEEEE10hipError_tT0_T1_T2_jT3_P12ihipStream_tbPNSt15iterator_traitsISI_E10value_typeEPNSO_ISJ_E10value_typeEPSK_NS1_7vsmem_tEENKUlT_SI_SJ_SK_E_clIPsSD_S10_SD_EESH_SX_SI_SJ_SK_EUlSX_E1_NS1_11comp_targetILNS1_3genE5ELNS1_11target_archE942ELNS1_3gpuE9ELNS1_3repE0EEENS1_36merge_oddeven_config_static_selectorELNS0_4arch9wavefront6targetE1EEEvSJ_.numbered_sgpr, 0
	.set _ZN7rocprim17ROCPRIM_400000_NS6detail17trampoline_kernelINS0_14default_configENS1_38merge_sort_block_merge_config_selectorIssEEZZNS1_27merge_sort_block_merge_implIS3_N6thrust23THRUST_200600_302600_NS6detail15normal_iteratorINS8_10device_ptrIsEEEESD_jNS1_19radix_merge_compareILb0ELb0EsNS0_19identity_decomposerEEEEE10hipError_tT0_T1_T2_jT3_P12ihipStream_tbPNSt15iterator_traitsISI_E10value_typeEPNSO_ISJ_E10value_typeEPSK_NS1_7vsmem_tEENKUlT_SI_SJ_SK_E_clIPsSD_S10_SD_EESH_SX_SI_SJ_SK_EUlSX_E1_NS1_11comp_targetILNS1_3genE5ELNS1_11target_archE942ELNS1_3gpuE9ELNS1_3repE0EEENS1_36merge_oddeven_config_static_selectorELNS0_4arch9wavefront6targetE1EEEvSJ_.num_named_barrier, 0
	.set _ZN7rocprim17ROCPRIM_400000_NS6detail17trampoline_kernelINS0_14default_configENS1_38merge_sort_block_merge_config_selectorIssEEZZNS1_27merge_sort_block_merge_implIS3_N6thrust23THRUST_200600_302600_NS6detail15normal_iteratorINS8_10device_ptrIsEEEESD_jNS1_19radix_merge_compareILb0ELb0EsNS0_19identity_decomposerEEEEE10hipError_tT0_T1_T2_jT3_P12ihipStream_tbPNSt15iterator_traitsISI_E10value_typeEPNSO_ISJ_E10value_typeEPSK_NS1_7vsmem_tEENKUlT_SI_SJ_SK_E_clIPsSD_S10_SD_EESH_SX_SI_SJ_SK_EUlSX_E1_NS1_11comp_targetILNS1_3genE5ELNS1_11target_archE942ELNS1_3gpuE9ELNS1_3repE0EEENS1_36merge_oddeven_config_static_selectorELNS0_4arch9wavefront6targetE1EEEvSJ_.private_seg_size, 0
	.set _ZN7rocprim17ROCPRIM_400000_NS6detail17trampoline_kernelINS0_14default_configENS1_38merge_sort_block_merge_config_selectorIssEEZZNS1_27merge_sort_block_merge_implIS3_N6thrust23THRUST_200600_302600_NS6detail15normal_iteratorINS8_10device_ptrIsEEEESD_jNS1_19radix_merge_compareILb0ELb0EsNS0_19identity_decomposerEEEEE10hipError_tT0_T1_T2_jT3_P12ihipStream_tbPNSt15iterator_traitsISI_E10value_typeEPNSO_ISJ_E10value_typeEPSK_NS1_7vsmem_tEENKUlT_SI_SJ_SK_E_clIPsSD_S10_SD_EESH_SX_SI_SJ_SK_EUlSX_E1_NS1_11comp_targetILNS1_3genE5ELNS1_11target_archE942ELNS1_3gpuE9ELNS1_3repE0EEENS1_36merge_oddeven_config_static_selectorELNS0_4arch9wavefront6targetE1EEEvSJ_.uses_vcc, 0
	.set _ZN7rocprim17ROCPRIM_400000_NS6detail17trampoline_kernelINS0_14default_configENS1_38merge_sort_block_merge_config_selectorIssEEZZNS1_27merge_sort_block_merge_implIS3_N6thrust23THRUST_200600_302600_NS6detail15normal_iteratorINS8_10device_ptrIsEEEESD_jNS1_19radix_merge_compareILb0ELb0EsNS0_19identity_decomposerEEEEE10hipError_tT0_T1_T2_jT3_P12ihipStream_tbPNSt15iterator_traitsISI_E10value_typeEPNSO_ISJ_E10value_typeEPSK_NS1_7vsmem_tEENKUlT_SI_SJ_SK_E_clIPsSD_S10_SD_EESH_SX_SI_SJ_SK_EUlSX_E1_NS1_11comp_targetILNS1_3genE5ELNS1_11target_archE942ELNS1_3gpuE9ELNS1_3repE0EEENS1_36merge_oddeven_config_static_selectorELNS0_4arch9wavefront6targetE1EEEvSJ_.uses_flat_scratch, 0
	.set _ZN7rocprim17ROCPRIM_400000_NS6detail17trampoline_kernelINS0_14default_configENS1_38merge_sort_block_merge_config_selectorIssEEZZNS1_27merge_sort_block_merge_implIS3_N6thrust23THRUST_200600_302600_NS6detail15normal_iteratorINS8_10device_ptrIsEEEESD_jNS1_19radix_merge_compareILb0ELb0EsNS0_19identity_decomposerEEEEE10hipError_tT0_T1_T2_jT3_P12ihipStream_tbPNSt15iterator_traitsISI_E10value_typeEPNSO_ISJ_E10value_typeEPSK_NS1_7vsmem_tEENKUlT_SI_SJ_SK_E_clIPsSD_S10_SD_EESH_SX_SI_SJ_SK_EUlSX_E1_NS1_11comp_targetILNS1_3genE5ELNS1_11target_archE942ELNS1_3gpuE9ELNS1_3repE0EEENS1_36merge_oddeven_config_static_selectorELNS0_4arch9wavefront6targetE1EEEvSJ_.has_dyn_sized_stack, 0
	.set _ZN7rocprim17ROCPRIM_400000_NS6detail17trampoline_kernelINS0_14default_configENS1_38merge_sort_block_merge_config_selectorIssEEZZNS1_27merge_sort_block_merge_implIS3_N6thrust23THRUST_200600_302600_NS6detail15normal_iteratorINS8_10device_ptrIsEEEESD_jNS1_19radix_merge_compareILb0ELb0EsNS0_19identity_decomposerEEEEE10hipError_tT0_T1_T2_jT3_P12ihipStream_tbPNSt15iterator_traitsISI_E10value_typeEPNSO_ISJ_E10value_typeEPSK_NS1_7vsmem_tEENKUlT_SI_SJ_SK_E_clIPsSD_S10_SD_EESH_SX_SI_SJ_SK_EUlSX_E1_NS1_11comp_targetILNS1_3genE5ELNS1_11target_archE942ELNS1_3gpuE9ELNS1_3repE0EEENS1_36merge_oddeven_config_static_selectorELNS0_4arch9wavefront6targetE1EEEvSJ_.has_recursion, 0
	.set _ZN7rocprim17ROCPRIM_400000_NS6detail17trampoline_kernelINS0_14default_configENS1_38merge_sort_block_merge_config_selectorIssEEZZNS1_27merge_sort_block_merge_implIS3_N6thrust23THRUST_200600_302600_NS6detail15normal_iteratorINS8_10device_ptrIsEEEESD_jNS1_19radix_merge_compareILb0ELb0EsNS0_19identity_decomposerEEEEE10hipError_tT0_T1_T2_jT3_P12ihipStream_tbPNSt15iterator_traitsISI_E10value_typeEPNSO_ISJ_E10value_typeEPSK_NS1_7vsmem_tEENKUlT_SI_SJ_SK_E_clIPsSD_S10_SD_EESH_SX_SI_SJ_SK_EUlSX_E1_NS1_11comp_targetILNS1_3genE5ELNS1_11target_archE942ELNS1_3gpuE9ELNS1_3repE0EEENS1_36merge_oddeven_config_static_selectorELNS0_4arch9wavefront6targetE1EEEvSJ_.has_indirect_call, 0
	.section	.AMDGPU.csdata,"",@progbits
; Kernel info:
; codeLenInByte = 0
; TotalNumSgprs: 6
; NumVgprs: 0
; NumAgprs: 0
; TotalNumVgprs: 0
; ScratchSize: 0
; MemoryBound: 0
; FloatMode: 240
; IeeeMode: 1
; LDSByteSize: 0 bytes/workgroup (compile time only)
; SGPRBlocks: 0
; VGPRBlocks: 0
; NumSGPRsForWavesPerEU: 6
; NumVGPRsForWavesPerEU: 1
; AccumOffset: 4
; Occupancy: 8
; WaveLimiterHint : 0
; COMPUTE_PGM_RSRC2:SCRATCH_EN: 0
; COMPUTE_PGM_RSRC2:USER_SGPR: 2
; COMPUTE_PGM_RSRC2:TRAP_HANDLER: 0
; COMPUTE_PGM_RSRC2:TGID_X_EN: 1
; COMPUTE_PGM_RSRC2:TGID_Y_EN: 0
; COMPUTE_PGM_RSRC2:TGID_Z_EN: 0
; COMPUTE_PGM_RSRC2:TIDIG_COMP_CNT: 0
; COMPUTE_PGM_RSRC3_GFX90A:ACCUM_OFFSET: 0
; COMPUTE_PGM_RSRC3_GFX90A:TG_SPLIT: 0
	.section	.text._ZN7rocprim17ROCPRIM_400000_NS6detail17trampoline_kernelINS0_14default_configENS1_38merge_sort_block_merge_config_selectorIssEEZZNS1_27merge_sort_block_merge_implIS3_N6thrust23THRUST_200600_302600_NS6detail15normal_iteratorINS8_10device_ptrIsEEEESD_jNS1_19radix_merge_compareILb0ELb0EsNS0_19identity_decomposerEEEEE10hipError_tT0_T1_T2_jT3_P12ihipStream_tbPNSt15iterator_traitsISI_E10value_typeEPNSO_ISJ_E10value_typeEPSK_NS1_7vsmem_tEENKUlT_SI_SJ_SK_E_clIPsSD_S10_SD_EESH_SX_SI_SJ_SK_EUlSX_E1_NS1_11comp_targetILNS1_3genE4ELNS1_11target_archE910ELNS1_3gpuE8ELNS1_3repE0EEENS1_36merge_oddeven_config_static_selectorELNS0_4arch9wavefront6targetE1EEEvSJ_,"axG",@progbits,_ZN7rocprim17ROCPRIM_400000_NS6detail17trampoline_kernelINS0_14default_configENS1_38merge_sort_block_merge_config_selectorIssEEZZNS1_27merge_sort_block_merge_implIS3_N6thrust23THRUST_200600_302600_NS6detail15normal_iteratorINS8_10device_ptrIsEEEESD_jNS1_19radix_merge_compareILb0ELb0EsNS0_19identity_decomposerEEEEE10hipError_tT0_T1_T2_jT3_P12ihipStream_tbPNSt15iterator_traitsISI_E10value_typeEPNSO_ISJ_E10value_typeEPSK_NS1_7vsmem_tEENKUlT_SI_SJ_SK_E_clIPsSD_S10_SD_EESH_SX_SI_SJ_SK_EUlSX_E1_NS1_11comp_targetILNS1_3genE4ELNS1_11target_archE910ELNS1_3gpuE8ELNS1_3repE0EEENS1_36merge_oddeven_config_static_selectorELNS0_4arch9wavefront6targetE1EEEvSJ_,comdat
	.protected	_ZN7rocprim17ROCPRIM_400000_NS6detail17trampoline_kernelINS0_14default_configENS1_38merge_sort_block_merge_config_selectorIssEEZZNS1_27merge_sort_block_merge_implIS3_N6thrust23THRUST_200600_302600_NS6detail15normal_iteratorINS8_10device_ptrIsEEEESD_jNS1_19radix_merge_compareILb0ELb0EsNS0_19identity_decomposerEEEEE10hipError_tT0_T1_T2_jT3_P12ihipStream_tbPNSt15iterator_traitsISI_E10value_typeEPNSO_ISJ_E10value_typeEPSK_NS1_7vsmem_tEENKUlT_SI_SJ_SK_E_clIPsSD_S10_SD_EESH_SX_SI_SJ_SK_EUlSX_E1_NS1_11comp_targetILNS1_3genE4ELNS1_11target_archE910ELNS1_3gpuE8ELNS1_3repE0EEENS1_36merge_oddeven_config_static_selectorELNS0_4arch9wavefront6targetE1EEEvSJ_ ; -- Begin function _ZN7rocprim17ROCPRIM_400000_NS6detail17trampoline_kernelINS0_14default_configENS1_38merge_sort_block_merge_config_selectorIssEEZZNS1_27merge_sort_block_merge_implIS3_N6thrust23THRUST_200600_302600_NS6detail15normal_iteratorINS8_10device_ptrIsEEEESD_jNS1_19radix_merge_compareILb0ELb0EsNS0_19identity_decomposerEEEEE10hipError_tT0_T1_T2_jT3_P12ihipStream_tbPNSt15iterator_traitsISI_E10value_typeEPNSO_ISJ_E10value_typeEPSK_NS1_7vsmem_tEENKUlT_SI_SJ_SK_E_clIPsSD_S10_SD_EESH_SX_SI_SJ_SK_EUlSX_E1_NS1_11comp_targetILNS1_3genE4ELNS1_11target_archE910ELNS1_3gpuE8ELNS1_3repE0EEENS1_36merge_oddeven_config_static_selectorELNS0_4arch9wavefront6targetE1EEEvSJ_
	.globl	_ZN7rocprim17ROCPRIM_400000_NS6detail17trampoline_kernelINS0_14default_configENS1_38merge_sort_block_merge_config_selectorIssEEZZNS1_27merge_sort_block_merge_implIS3_N6thrust23THRUST_200600_302600_NS6detail15normal_iteratorINS8_10device_ptrIsEEEESD_jNS1_19radix_merge_compareILb0ELb0EsNS0_19identity_decomposerEEEEE10hipError_tT0_T1_T2_jT3_P12ihipStream_tbPNSt15iterator_traitsISI_E10value_typeEPNSO_ISJ_E10value_typeEPSK_NS1_7vsmem_tEENKUlT_SI_SJ_SK_E_clIPsSD_S10_SD_EESH_SX_SI_SJ_SK_EUlSX_E1_NS1_11comp_targetILNS1_3genE4ELNS1_11target_archE910ELNS1_3gpuE8ELNS1_3repE0EEENS1_36merge_oddeven_config_static_selectorELNS0_4arch9wavefront6targetE1EEEvSJ_
	.p2align	8
	.type	_ZN7rocprim17ROCPRIM_400000_NS6detail17trampoline_kernelINS0_14default_configENS1_38merge_sort_block_merge_config_selectorIssEEZZNS1_27merge_sort_block_merge_implIS3_N6thrust23THRUST_200600_302600_NS6detail15normal_iteratorINS8_10device_ptrIsEEEESD_jNS1_19radix_merge_compareILb0ELb0EsNS0_19identity_decomposerEEEEE10hipError_tT0_T1_T2_jT3_P12ihipStream_tbPNSt15iterator_traitsISI_E10value_typeEPNSO_ISJ_E10value_typeEPSK_NS1_7vsmem_tEENKUlT_SI_SJ_SK_E_clIPsSD_S10_SD_EESH_SX_SI_SJ_SK_EUlSX_E1_NS1_11comp_targetILNS1_3genE4ELNS1_11target_archE910ELNS1_3gpuE8ELNS1_3repE0EEENS1_36merge_oddeven_config_static_selectorELNS0_4arch9wavefront6targetE1EEEvSJ_,@function
_ZN7rocprim17ROCPRIM_400000_NS6detail17trampoline_kernelINS0_14default_configENS1_38merge_sort_block_merge_config_selectorIssEEZZNS1_27merge_sort_block_merge_implIS3_N6thrust23THRUST_200600_302600_NS6detail15normal_iteratorINS8_10device_ptrIsEEEESD_jNS1_19radix_merge_compareILb0ELb0EsNS0_19identity_decomposerEEEEE10hipError_tT0_T1_T2_jT3_P12ihipStream_tbPNSt15iterator_traitsISI_E10value_typeEPNSO_ISJ_E10value_typeEPSK_NS1_7vsmem_tEENKUlT_SI_SJ_SK_E_clIPsSD_S10_SD_EESH_SX_SI_SJ_SK_EUlSX_E1_NS1_11comp_targetILNS1_3genE4ELNS1_11target_archE910ELNS1_3gpuE8ELNS1_3repE0EEENS1_36merge_oddeven_config_static_selectorELNS0_4arch9wavefront6targetE1EEEvSJ_: ; @_ZN7rocprim17ROCPRIM_400000_NS6detail17trampoline_kernelINS0_14default_configENS1_38merge_sort_block_merge_config_selectorIssEEZZNS1_27merge_sort_block_merge_implIS3_N6thrust23THRUST_200600_302600_NS6detail15normal_iteratorINS8_10device_ptrIsEEEESD_jNS1_19radix_merge_compareILb0ELb0EsNS0_19identity_decomposerEEEEE10hipError_tT0_T1_T2_jT3_P12ihipStream_tbPNSt15iterator_traitsISI_E10value_typeEPNSO_ISJ_E10value_typeEPSK_NS1_7vsmem_tEENKUlT_SI_SJ_SK_E_clIPsSD_S10_SD_EESH_SX_SI_SJ_SK_EUlSX_E1_NS1_11comp_targetILNS1_3genE4ELNS1_11target_archE910ELNS1_3gpuE8ELNS1_3repE0EEENS1_36merge_oddeven_config_static_selectorELNS0_4arch9wavefront6targetE1EEEvSJ_
; %bb.0:
	.section	.rodata,"a",@progbits
	.p2align	6, 0x0
	.amdhsa_kernel _ZN7rocprim17ROCPRIM_400000_NS6detail17trampoline_kernelINS0_14default_configENS1_38merge_sort_block_merge_config_selectorIssEEZZNS1_27merge_sort_block_merge_implIS3_N6thrust23THRUST_200600_302600_NS6detail15normal_iteratorINS8_10device_ptrIsEEEESD_jNS1_19radix_merge_compareILb0ELb0EsNS0_19identity_decomposerEEEEE10hipError_tT0_T1_T2_jT3_P12ihipStream_tbPNSt15iterator_traitsISI_E10value_typeEPNSO_ISJ_E10value_typeEPSK_NS1_7vsmem_tEENKUlT_SI_SJ_SK_E_clIPsSD_S10_SD_EESH_SX_SI_SJ_SK_EUlSX_E1_NS1_11comp_targetILNS1_3genE4ELNS1_11target_archE910ELNS1_3gpuE8ELNS1_3repE0EEENS1_36merge_oddeven_config_static_selectorELNS0_4arch9wavefront6targetE1EEEvSJ_
		.amdhsa_group_segment_fixed_size 0
		.amdhsa_private_segment_fixed_size 0
		.amdhsa_kernarg_size 48
		.amdhsa_user_sgpr_count 2
		.amdhsa_user_sgpr_dispatch_ptr 0
		.amdhsa_user_sgpr_queue_ptr 0
		.amdhsa_user_sgpr_kernarg_segment_ptr 1
		.amdhsa_user_sgpr_dispatch_id 0
		.amdhsa_user_sgpr_kernarg_preload_length 0
		.amdhsa_user_sgpr_kernarg_preload_offset 0
		.amdhsa_user_sgpr_private_segment_size 0
		.amdhsa_uses_dynamic_stack 0
		.amdhsa_enable_private_segment 0
		.amdhsa_system_sgpr_workgroup_id_x 1
		.amdhsa_system_sgpr_workgroup_id_y 0
		.amdhsa_system_sgpr_workgroup_id_z 0
		.amdhsa_system_sgpr_workgroup_info 0
		.amdhsa_system_vgpr_workitem_id 0
		.amdhsa_next_free_vgpr 1
		.amdhsa_next_free_sgpr 0
		.amdhsa_accum_offset 4
		.amdhsa_reserve_vcc 0
		.amdhsa_float_round_mode_32 0
		.amdhsa_float_round_mode_16_64 0
		.amdhsa_float_denorm_mode_32 3
		.amdhsa_float_denorm_mode_16_64 3
		.amdhsa_dx10_clamp 1
		.amdhsa_ieee_mode 1
		.amdhsa_fp16_overflow 0
		.amdhsa_tg_split 0
		.amdhsa_exception_fp_ieee_invalid_op 0
		.amdhsa_exception_fp_denorm_src 0
		.amdhsa_exception_fp_ieee_div_zero 0
		.amdhsa_exception_fp_ieee_overflow 0
		.amdhsa_exception_fp_ieee_underflow 0
		.amdhsa_exception_fp_ieee_inexact 0
		.amdhsa_exception_int_div_zero 0
	.end_amdhsa_kernel
	.section	.text._ZN7rocprim17ROCPRIM_400000_NS6detail17trampoline_kernelINS0_14default_configENS1_38merge_sort_block_merge_config_selectorIssEEZZNS1_27merge_sort_block_merge_implIS3_N6thrust23THRUST_200600_302600_NS6detail15normal_iteratorINS8_10device_ptrIsEEEESD_jNS1_19radix_merge_compareILb0ELb0EsNS0_19identity_decomposerEEEEE10hipError_tT0_T1_T2_jT3_P12ihipStream_tbPNSt15iterator_traitsISI_E10value_typeEPNSO_ISJ_E10value_typeEPSK_NS1_7vsmem_tEENKUlT_SI_SJ_SK_E_clIPsSD_S10_SD_EESH_SX_SI_SJ_SK_EUlSX_E1_NS1_11comp_targetILNS1_3genE4ELNS1_11target_archE910ELNS1_3gpuE8ELNS1_3repE0EEENS1_36merge_oddeven_config_static_selectorELNS0_4arch9wavefront6targetE1EEEvSJ_,"axG",@progbits,_ZN7rocprim17ROCPRIM_400000_NS6detail17trampoline_kernelINS0_14default_configENS1_38merge_sort_block_merge_config_selectorIssEEZZNS1_27merge_sort_block_merge_implIS3_N6thrust23THRUST_200600_302600_NS6detail15normal_iteratorINS8_10device_ptrIsEEEESD_jNS1_19radix_merge_compareILb0ELb0EsNS0_19identity_decomposerEEEEE10hipError_tT0_T1_T2_jT3_P12ihipStream_tbPNSt15iterator_traitsISI_E10value_typeEPNSO_ISJ_E10value_typeEPSK_NS1_7vsmem_tEENKUlT_SI_SJ_SK_E_clIPsSD_S10_SD_EESH_SX_SI_SJ_SK_EUlSX_E1_NS1_11comp_targetILNS1_3genE4ELNS1_11target_archE910ELNS1_3gpuE8ELNS1_3repE0EEENS1_36merge_oddeven_config_static_selectorELNS0_4arch9wavefront6targetE1EEEvSJ_,comdat
.Lfunc_end1529:
	.size	_ZN7rocprim17ROCPRIM_400000_NS6detail17trampoline_kernelINS0_14default_configENS1_38merge_sort_block_merge_config_selectorIssEEZZNS1_27merge_sort_block_merge_implIS3_N6thrust23THRUST_200600_302600_NS6detail15normal_iteratorINS8_10device_ptrIsEEEESD_jNS1_19radix_merge_compareILb0ELb0EsNS0_19identity_decomposerEEEEE10hipError_tT0_T1_T2_jT3_P12ihipStream_tbPNSt15iterator_traitsISI_E10value_typeEPNSO_ISJ_E10value_typeEPSK_NS1_7vsmem_tEENKUlT_SI_SJ_SK_E_clIPsSD_S10_SD_EESH_SX_SI_SJ_SK_EUlSX_E1_NS1_11comp_targetILNS1_3genE4ELNS1_11target_archE910ELNS1_3gpuE8ELNS1_3repE0EEENS1_36merge_oddeven_config_static_selectorELNS0_4arch9wavefront6targetE1EEEvSJ_, .Lfunc_end1529-_ZN7rocprim17ROCPRIM_400000_NS6detail17trampoline_kernelINS0_14default_configENS1_38merge_sort_block_merge_config_selectorIssEEZZNS1_27merge_sort_block_merge_implIS3_N6thrust23THRUST_200600_302600_NS6detail15normal_iteratorINS8_10device_ptrIsEEEESD_jNS1_19radix_merge_compareILb0ELb0EsNS0_19identity_decomposerEEEEE10hipError_tT0_T1_T2_jT3_P12ihipStream_tbPNSt15iterator_traitsISI_E10value_typeEPNSO_ISJ_E10value_typeEPSK_NS1_7vsmem_tEENKUlT_SI_SJ_SK_E_clIPsSD_S10_SD_EESH_SX_SI_SJ_SK_EUlSX_E1_NS1_11comp_targetILNS1_3genE4ELNS1_11target_archE910ELNS1_3gpuE8ELNS1_3repE0EEENS1_36merge_oddeven_config_static_selectorELNS0_4arch9wavefront6targetE1EEEvSJ_
                                        ; -- End function
	.set _ZN7rocprim17ROCPRIM_400000_NS6detail17trampoline_kernelINS0_14default_configENS1_38merge_sort_block_merge_config_selectorIssEEZZNS1_27merge_sort_block_merge_implIS3_N6thrust23THRUST_200600_302600_NS6detail15normal_iteratorINS8_10device_ptrIsEEEESD_jNS1_19radix_merge_compareILb0ELb0EsNS0_19identity_decomposerEEEEE10hipError_tT0_T1_T2_jT3_P12ihipStream_tbPNSt15iterator_traitsISI_E10value_typeEPNSO_ISJ_E10value_typeEPSK_NS1_7vsmem_tEENKUlT_SI_SJ_SK_E_clIPsSD_S10_SD_EESH_SX_SI_SJ_SK_EUlSX_E1_NS1_11comp_targetILNS1_3genE4ELNS1_11target_archE910ELNS1_3gpuE8ELNS1_3repE0EEENS1_36merge_oddeven_config_static_selectorELNS0_4arch9wavefront6targetE1EEEvSJ_.num_vgpr, 0
	.set _ZN7rocprim17ROCPRIM_400000_NS6detail17trampoline_kernelINS0_14default_configENS1_38merge_sort_block_merge_config_selectorIssEEZZNS1_27merge_sort_block_merge_implIS3_N6thrust23THRUST_200600_302600_NS6detail15normal_iteratorINS8_10device_ptrIsEEEESD_jNS1_19radix_merge_compareILb0ELb0EsNS0_19identity_decomposerEEEEE10hipError_tT0_T1_T2_jT3_P12ihipStream_tbPNSt15iterator_traitsISI_E10value_typeEPNSO_ISJ_E10value_typeEPSK_NS1_7vsmem_tEENKUlT_SI_SJ_SK_E_clIPsSD_S10_SD_EESH_SX_SI_SJ_SK_EUlSX_E1_NS1_11comp_targetILNS1_3genE4ELNS1_11target_archE910ELNS1_3gpuE8ELNS1_3repE0EEENS1_36merge_oddeven_config_static_selectorELNS0_4arch9wavefront6targetE1EEEvSJ_.num_agpr, 0
	.set _ZN7rocprim17ROCPRIM_400000_NS6detail17trampoline_kernelINS0_14default_configENS1_38merge_sort_block_merge_config_selectorIssEEZZNS1_27merge_sort_block_merge_implIS3_N6thrust23THRUST_200600_302600_NS6detail15normal_iteratorINS8_10device_ptrIsEEEESD_jNS1_19radix_merge_compareILb0ELb0EsNS0_19identity_decomposerEEEEE10hipError_tT0_T1_T2_jT3_P12ihipStream_tbPNSt15iterator_traitsISI_E10value_typeEPNSO_ISJ_E10value_typeEPSK_NS1_7vsmem_tEENKUlT_SI_SJ_SK_E_clIPsSD_S10_SD_EESH_SX_SI_SJ_SK_EUlSX_E1_NS1_11comp_targetILNS1_3genE4ELNS1_11target_archE910ELNS1_3gpuE8ELNS1_3repE0EEENS1_36merge_oddeven_config_static_selectorELNS0_4arch9wavefront6targetE1EEEvSJ_.numbered_sgpr, 0
	.set _ZN7rocprim17ROCPRIM_400000_NS6detail17trampoline_kernelINS0_14default_configENS1_38merge_sort_block_merge_config_selectorIssEEZZNS1_27merge_sort_block_merge_implIS3_N6thrust23THRUST_200600_302600_NS6detail15normal_iteratorINS8_10device_ptrIsEEEESD_jNS1_19radix_merge_compareILb0ELb0EsNS0_19identity_decomposerEEEEE10hipError_tT0_T1_T2_jT3_P12ihipStream_tbPNSt15iterator_traitsISI_E10value_typeEPNSO_ISJ_E10value_typeEPSK_NS1_7vsmem_tEENKUlT_SI_SJ_SK_E_clIPsSD_S10_SD_EESH_SX_SI_SJ_SK_EUlSX_E1_NS1_11comp_targetILNS1_3genE4ELNS1_11target_archE910ELNS1_3gpuE8ELNS1_3repE0EEENS1_36merge_oddeven_config_static_selectorELNS0_4arch9wavefront6targetE1EEEvSJ_.num_named_barrier, 0
	.set _ZN7rocprim17ROCPRIM_400000_NS6detail17trampoline_kernelINS0_14default_configENS1_38merge_sort_block_merge_config_selectorIssEEZZNS1_27merge_sort_block_merge_implIS3_N6thrust23THRUST_200600_302600_NS6detail15normal_iteratorINS8_10device_ptrIsEEEESD_jNS1_19radix_merge_compareILb0ELb0EsNS0_19identity_decomposerEEEEE10hipError_tT0_T1_T2_jT3_P12ihipStream_tbPNSt15iterator_traitsISI_E10value_typeEPNSO_ISJ_E10value_typeEPSK_NS1_7vsmem_tEENKUlT_SI_SJ_SK_E_clIPsSD_S10_SD_EESH_SX_SI_SJ_SK_EUlSX_E1_NS1_11comp_targetILNS1_3genE4ELNS1_11target_archE910ELNS1_3gpuE8ELNS1_3repE0EEENS1_36merge_oddeven_config_static_selectorELNS0_4arch9wavefront6targetE1EEEvSJ_.private_seg_size, 0
	.set _ZN7rocprim17ROCPRIM_400000_NS6detail17trampoline_kernelINS0_14default_configENS1_38merge_sort_block_merge_config_selectorIssEEZZNS1_27merge_sort_block_merge_implIS3_N6thrust23THRUST_200600_302600_NS6detail15normal_iteratorINS8_10device_ptrIsEEEESD_jNS1_19radix_merge_compareILb0ELb0EsNS0_19identity_decomposerEEEEE10hipError_tT0_T1_T2_jT3_P12ihipStream_tbPNSt15iterator_traitsISI_E10value_typeEPNSO_ISJ_E10value_typeEPSK_NS1_7vsmem_tEENKUlT_SI_SJ_SK_E_clIPsSD_S10_SD_EESH_SX_SI_SJ_SK_EUlSX_E1_NS1_11comp_targetILNS1_3genE4ELNS1_11target_archE910ELNS1_3gpuE8ELNS1_3repE0EEENS1_36merge_oddeven_config_static_selectorELNS0_4arch9wavefront6targetE1EEEvSJ_.uses_vcc, 0
	.set _ZN7rocprim17ROCPRIM_400000_NS6detail17trampoline_kernelINS0_14default_configENS1_38merge_sort_block_merge_config_selectorIssEEZZNS1_27merge_sort_block_merge_implIS3_N6thrust23THRUST_200600_302600_NS6detail15normal_iteratorINS8_10device_ptrIsEEEESD_jNS1_19radix_merge_compareILb0ELb0EsNS0_19identity_decomposerEEEEE10hipError_tT0_T1_T2_jT3_P12ihipStream_tbPNSt15iterator_traitsISI_E10value_typeEPNSO_ISJ_E10value_typeEPSK_NS1_7vsmem_tEENKUlT_SI_SJ_SK_E_clIPsSD_S10_SD_EESH_SX_SI_SJ_SK_EUlSX_E1_NS1_11comp_targetILNS1_3genE4ELNS1_11target_archE910ELNS1_3gpuE8ELNS1_3repE0EEENS1_36merge_oddeven_config_static_selectorELNS0_4arch9wavefront6targetE1EEEvSJ_.uses_flat_scratch, 0
	.set _ZN7rocprim17ROCPRIM_400000_NS6detail17trampoline_kernelINS0_14default_configENS1_38merge_sort_block_merge_config_selectorIssEEZZNS1_27merge_sort_block_merge_implIS3_N6thrust23THRUST_200600_302600_NS6detail15normal_iteratorINS8_10device_ptrIsEEEESD_jNS1_19radix_merge_compareILb0ELb0EsNS0_19identity_decomposerEEEEE10hipError_tT0_T1_T2_jT3_P12ihipStream_tbPNSt15iterator_traitsISI_E10value_typeEPNSO_ISJ_E10value_typeEPSK_NS1_7vsmem_tEENKUlT_SI_SJ_SK_E_clIPsSD_S10_SD_EESH_SX_SI_SJ_SK_EUlSX_E1_NS1_11comp_targetILNS1_3genE4ELNS1_11target_archE910ELNS1_3gpuE8ELNS1_3repE0EEENS1_36merge_oddeven_config_static_selectorELNS0_4arch9wavefront6targetE1EEEvSJ_.has_dyn_sized_stack, 0
	.set _ZN7rocprim17ROCPRIM_400000_NS6detail17trampoline_kernelINS0_14default_configENS1_38merge_sort_block_merge_config_selectorIssEEZZNS1_27merge_sort_block_merge_implIS3_N6thrust23THRUST_200600_302600_NS6detail15normal_iteratorINS8_10device_ptrIsEEEESD_jNS1_19radix_merge_compareILb0ELb0EsNS0_19identity_decomposerEEEEE10hipError_tT0_T1_T2_jT3_P12ihipStream_tbPNSt15iterator_traitsISI_E10value_typeEPNSO_ISJ_E10value_typeEPSK_NS1_7vsmem_tEENKUlT_SI_SJ_SK_E_clIPsSD_S10_SD_EESH_SX_SI_SJ_SK_EUlSX_E1_NS1_11comp_targetILNS1_3genE4ELNS1_11target_archE910ELNS1_3gpuE8ELNS1_3repE0EEENS1_36merge_oddeven_config_static_selectorELNS0_4arch9wavefront6targetE1EEEvSJ_.has_recursion, 0
	.set _ZN7rocprim17ROCPRIM_400000_NS6detail17trampoline_kernelINS0_14default_configENS1_38merge_sort_block_merge_config_selectorIssEEZZNS1_27merge_sort_block_merge_implIS3_N6thrust23THRUST_200600_302600_NS6detail15normal_iteratorINS8_10device_ptrIsEEEESD_jNS1_19radix_merge_compareILb0ELb0EsNS0_19identity_decomposerEEEEE10hipError_tT0_T1_T2_jT3_P12ihipStream_tbPNSt15iterator_traitsISI_E10value_typeEPNSO_ISJ_E10value_typeEPSK_NS1_7vsmem_tEENKUlT_SI_SJ_SK_E_clIPsSD_S10_SD_EESH_SX_SI_SJ_SK_EUlSX_E1_NS1_11comp_targetILNS1_3genE4ELNS1_11target_archE910ELNS1_3gpuE8ELNS1_3repE0EEENS1_36merge_oddeven_config_static_selectorELNS0_4arch9wavefront6targetE1EEEvSJ_.has_indirect_call, 0
	.section	.AMDGPU.csdata,"",@progbits
; Kernel info:
; codeLenInByte = 0
; TotalNumSgprs: 6
; NumVgprs: 0
; NumAgprs: 0
; TotalNumVgprs: 0
; ScratchSize: 0
; MemoryBound: 0
; FloatMode: 240
; IeeeMode: 1
; LDSByteSize: 0 bytes/workgroup (compile time only)
; SGPRBlocks: 0
; VGPRBlocks: 0
; NumSGPRsForWavesPerEU: 6
; NumVGPRsForWavesPerEU: 1
; AccumOffset: 4
; Occupancy: 8
; WaveLimiterHint : 0
; COMPUTE_PGM_RSRC2:SCRATCH_EN: 0
; COMPUTE_PGM_RSRC2:USER_SGPR: 2
; COMPUTE_PGM_RSRC2:TRAP_HANDLER: 0
; COMPUTE_PGM_RSRC2:TGID_X_EN: 1
; COMPUTE_PGM_RSRC2:TGID_Y_EN: 0
; COMPUTE_PGM_RSRC2:TGID_Z_EN: 0
; COMPUTE_PGM_RSRC2:TIDIG_COMP_CNT: 0
; COMPUTE_PGM_RSRC3_GFX90A:ACCUM_OFFSET: 0
; COMPUTE_PGM_RSRC3_GFX90A:TG_SPLIT: 0
	.section	.text._ZN7rocprim17ROCPRIM_400000_NS6detail17trampoline_kernelINS0_14default_configENS1_38merge_sort_block_merge_config_selectorIssEEZZNS1_27merge_sort_block_merge_implIS3_N6thrust23THRUST_200600_302600_NS6detail15normal_iteratorINS8_10device_ptrIsEEEESD_jNS1_19radix_merge_compareILb0ELb0EsNS0_19identity_decomposerEEEEE10hipError_tT0_T1_T2_jT3_P12ihipStream_tbPNSt15iterator_traitsISI_E10value_typeEPNSO_ISJ_E10value_typeEPSK_NS1_7vsmem_tEENKUlT_SI_SJ_SK_E_clIPsSD_S10_SD_EESH_SX_SI_SJ_SK_EUlSX_E1_NS1_11comp_targetILNS1_3genE3ELNS1_11target_archE908ELNS1_3gpuE7ELNS1_3repE0EEENS1_36merge_oddeven_config_static_selectorELNS0_4arch9wavefront6targetE1EEEvSJ_,"axG",@progbits,_ZN7rocprim17ROCPRIM_400000_NS6detail17trampoline_kernelINS0_14default_configENS1_38merge_sort_block_merge_config_selectorIssEEZZNS1_27merge_sort_block_merge_implIS3_N6thrust23THRUST_200600_302600_NS6detail15normal_iteratorINS8_10device_ptrIsEEEESD_jNS1_19radix_merge_compareILb0ELb0EsNS0_19identity_decomposerEEEEE10hipError_tT0_T1_T2_jT3_P12ihipStream_tbPNSt15iterator_traitsISI_E10value_typeEPNSO_ISJ_E10value_typeEPSK_NS1_7vsmem_tEENKUlT_SI_SJ_SK_E_clIPsSD_S10_SD_EESH_SX_SI_SJ_SK_EUlSX_E1_NS1_11comp_targetILNS1_3genE3ELNS1_11target_archE908ELNS1_3gpuE7ELNS1_3repE0EEENS1_36merge_oddeven_config_static_selectorELNS0_4arch9wavefront6targetE1EEEvSJ_,comdat
	.protected	_ZN7rocprim17ROCPRIM_400000_NS6detail17trampoline_kernelINS0_14default_configENS1_38merge_sort_block_merge_config_selectorIssEEZZNS1_27merge_sort_block_merge_implIS3_N6thrust23THRUST_200600_302600_NS6detail15normal_iteratorINS8_10device_ptrIsEEEESD_jNS1_19radix_merge_compareILb0ELb0EsNS0_19identity_decomposerEEEEE10hipError_tT0_T1_T2_jT3_P12ihipStream_tbPNSt15iterator_traitsISI_E10value_typeEPNSO_ISJ_E10value_typeEPSK_NS1_7vsmem_tEENKUlT_SI_SJ_SK_E_clIPsSD_S10_SD_EESH_SX_SI_SJ_SK_EUlSX_E1_NS1_11comp_targetILNS1_3genE3ELNS1_11target_archE908ELNS1_3gpuE7ELNS1_3repE0EEENS1_36merge_oddeven_config_static_selectorELNS0_4arch9wavefront6targetE1EEEvSJ_ ; -- Begin function _ZN7rocprim17ROCPRIM_400000_NS6detail17trampoline_kernelINS0_14default_configENS1_38merge_sort_block_merge_config_selectorIssEEZZNS1_27merge_sort_block_merge_implIS3_N6thrust23THRUST_200600_302600_NS6detail15normal_iteratorINS8_10device_ptrIsEEEESD_jNS1_19radix_merge_compareILb0ELb0EsNS0_19identity_decomposerEEEEE10hipError_tT0_T1_T2_jT3_P12ihipStream_tbPNSt15iterator_traitsISI_E10value_typeEPNSO_ISJ_E10value_typeEPSK_NS1_7vsmem_tEENKUlT_SI_SJ_SK_E_clIPsSD_S10_SD_EESH_SX_SI_SJ_SK_EUlSX_E1_NS1_11comp_targetILNS1_3genE3ELNS1_11target_archE908ELNS1_3gpuE7ELNS1_3repE0EEENS1_36merge_oddeven_config_static_selectorELNS0_4arch9wavefront6targetE1EEEvSJ_
	.globl	_ZN7rocprim17ROCPRIM_400000_NS6detail17trampoline_kernelINS0_14default_configENS1_38merge_sort_block_merge_config_selectorIssEEZZNS1_27merge_sort_block_merge_implIS3_N6thrust23THRUST_200600_302600_NS6detail15normal_iteratorINS8_10device_ptrIsEEEESD_jNS1_19radix_merge_compareILb0ELb0EsNS0_19identity_decomposerEEEEE10hipError_tT0_T1_T2_jT3_P12ihipStream_tbPNSt15iterator_traitsISI_E10value_typeEPNSO_ISJ_E10value_typeEPSK_NS1_7vsmem_tEENKUlT_SI_SJ_SK_E_clIPsSD_S10_SD_EESH_SX_SI_SJ_SK_EUlSX_E1_NS1_11comp_targetILNS1_3genE3ELNS1_11target_archE908ELNS1_3gpuE7ELNS1_3repE0EEENS1_36merge_oddeven_config_static_selectorELNS0_4arch9wavefront6targetE1EEEvSJ_
	.p2align	8
	.type	_ZN7rocprim17ROCPRIM_400000_NS6detail17trampoline_kernelINS0_14default_configENS1_38merge_sort_block_merge_config_selectorIssEEZZNS1_27merge_sort_block_merge_implIS3_N6thrust23THRUST_200600_302600_NS6detail15normal_iteratorINS8_10device_ptrIsEEEESD_jNS1_19radix_merge_compareILb0ELb0EsNS0_19identity_decomposerEEEEE10hipError_tT0_T1_T2_jT3_P12ihipStream_tbPNSt15iterator_traitsISI_E10value_typeEPNSO_ISJ_E10value_typeEPSK_NS1_7vsmem_tEENKUlT_SI_SJ_SK_E_clIPsSD_S10_SD_EESH_SX_SI_SJ_SK_EUlSX_E1_NS1_11comp_targetILNS1_3genE3ELNS1_11target_archE908ELNS1_3gpuE7ELNS1_3repE0EEENS1_36merge_oddeven_config_static_selectorELNS0_4arch9wavefront6targetE1EEEvSJ_,@function
_ZN7rocprim17ROCPRIM_400000_NS6detail17trampoline_kernelINS0_14default_configENS1_38merge_sort_block_merge_config_selectorIssEEZZNS1_27merge_sort_block_merge_implIS3_N6thrust23THRUST_200600_302600_NS6detail15normal_iteratorINS8_10device_ptrIsEEEESD_jNS1_19radix_merge_compareILb0ELb0EsNS0_19identity_decomposerEEEEE10hipError_tT0_T1_T2_jT3_P12ihipStream_tbPNSt15iterator_traitsISI_E10value_typeEPNSO_ISJ_E10value_typeEPSK_NS1_7vsmem_tEENKUlT_SI_SJ_SK_E_clIPsSD_S10_SD_EESH_SX_SI_SJ_SK_EUlSX_E1_NS1_11comp_targetILNS1_3genE3ELNS1_11target_archE908ELNS1_3gpuE7ELNS1_3repE0EEENS1_36merge_oddeven_config_static_selectorELNS0_4arch9wavefront6targetE1EEEvSJ_: ; @_ZN7rocprim17ROCPRIM_400000_NS6detail17trampoline_kernelINS0_14default_configENS1_38merge_sort_block_merge_config_selectorIssEEZZNS1_27merge_sort_block_merge_implIS3_N6thrust23THRUST_200600_302600_NS6detail15normal_iteratorINS8_10device_ptrIsEEEESD_jNS1_19radix_merge_compareILb0ELb0EsNS0_19identity_decomposerEEEEE10hipError_tT0_T1_T2_jT3_P12ihipStream_tbPNSt15iterator_traitsISI_E10value_typeEPNSO_ISJ_E10value_typeEPSK_NS1_7vsmem_tEENKUlT_SI_SJ_SK_E_clIPsSD_S10_SD_EESH_SX_SI_SJ_SK_EUlSX_E1_NS1_11comp_targetILNS1_3genE3ELNS1_11target_archE908ELNS1_3gpuE7ELNS1_3repE0EEENS1_36merge_oddeven_config_static_selectorELNS0_4arch9wavefront6targetE1EEEvSJ_
; %bb.0:
	.section	.rodata,"a",@progbits
	.p2align	6, 0x0
	.amdhsa_kernel _ZN7rocprim17ROCPRIM_400000_NS6detail17trampoline_kernelINS0_14default_configENS1_38merge_sort_block_merge_config_selectorIssEEZZNS1_27merge_sort_block_merge_implIS3_N6thrust23THRUST_200600_302600_NS6detail15normal_iteratorINS8_10device_ptrIsEEEESD_jNS1_19radix_merge_compareILb0ELb0EsNS0_19identity_decomposerEEEEE10hipError_tT0_T1_T2_jT3_P12ihipStream_tbPNSt15iterator_traitsISI_E10value_typeEPNSO_ISJ_E10value_typeEPSK_NS1_7vsmem_tEENKUlT_SI_SJ_SK_E_clIPsSD_S10_SD_EESH_SX_SI_SJ_SK_EUlSX_E1_NS1_11comp_targetILNS1_3genE3ELNS1_11target_archE908ELNS1_3gpuE7ELNS1_3repE0EEENS1_36merge_oddeven_config_static_selectorELNS0_4arch9wavefront6targetE1EEEvSJ_
		.amdhsa_group_segment_fixed_size 0
		.amdhsa_private_segment_fixed_size 0
		.amdhsa_kernarg_size 48
		.amdhsa_user_sgpr_count 2
		.amdhsa_user_sgpr_dispatch_ptr 0
		.amdhsa_user_sgpr_queue_ptr 0
		.amdhsa_user_sgpr_kernarg_segment_ptr 1
		.amdhsa_user_sgpr_dispatch_id 0
		.amdhsa_user_sgpr_kernarg_preload_length 0
		.amdhsa_user_sgpr_kernarg_preload_offset 0
		.amdhsa_user_sgpr_private_segment_size 0
		.amdhsa_uses_dynamic_stack 0
		.amdhsa_enable_private_segment 0
		.amdhsa_system_sgpr_workgroup_id_x 1
		.amdhsa_system_sgpr_workgroup_id_y 0
		.amdhsa_system_sgpr_workgroup_id_z 0
		.amdhsa_system_sgpr_workgroup_info 0
		.amdhsa_system_vgpr_workitem_id 0
		.amdhsa_next_free_vgpr 1
		.amdhsa_next_free_sgpr 0
		.amdhsa_accum_offset 4
		.amdhsa_reserve_vcc 0
		.amdhsa_float_round_mode_32 0
		.amdhsa_float_round_mode_16_64 0
		.amdhsa_float_denorm_mode_32 3
		.amdhsa_float_denorm_mode_16_64 3
		.amdhsa_dx10_clamp 1
		.amdhsa_ieee_mode 1
		.amdhsa_fp16_overflow 0
		.amdhsa_tg_split 0
		.amdhsa_exception_fp_ieee_invalid_op 0
		.amdhsa_exception_fp_denorm_src 0
		.amdhsa_exception_fp_ieee_div_zero 0
		.amdhsa_exception_fp_ieee_overflow 0
		.amdhsa_exception_fp_ieee_underflow 0
		.amdhsa_exception_fp_ieee_inexact 0
		.amdhsa_exception_int_div_zero 0
	.end_amdhsa_kernel
	.section	.text._ZN7rocprim17ROCPRIM_400000_NS6detail17trampoline_kernelINS0_14default_configENS1_38merge_sort_block_merge_config_selectorIssEEZZNS1_27merge_sort_block_merge_implIS3_N6thrust23THRUST_200600_302600_NS6detail15normal_iteratorINS8_10device_ptrIsEEEESD_jNS1_19radix_merge_compareILb0ELb0EsNS0_19identity_decomposerEEEEE10hipError_tT0_T1_T2_jT3_P12ihipStream_tbPNSt15iterator_traitsISI_E10value_typeEPNSO_ISJ_E10value_typeEPSK_NS1_7vsmem_tEENKUlT_SI_SJ_SK_E_clIPsSD_S10_SD_EESH_SX_SI_SJ_SK_EUlSX_E1_NS1_11comp_targetILNS1_3genE3ELNS1_11target_archE908ELNS1_3gpuE7ELNS1_3repE0EEENS1_36merge_oddeven_config_static_selectorELNS0_4arch9wavefront6targetE1EEEvSJ_,"axG",@progbits,_ZN7rocprim17ROCPRIM_400000_NS6detail17trampoline_kernelINS0_14default_configENS1_38merge_sort_block_merge_config_selectorIssEEZZNS1_27merge_sort_block_merge_implIS3_N6thrust23THRUST_200600_302600_NS6detail15normal_iteratorINS8_10device_ptrIsEEEESD_jNS1_19radix_merge_compareILb0ELb0EsNS0_19identity_decomposerEEEEE10hipError_tT0_T1_T2_jT3_P12ihipStream_tbPNSt15iterator_traitsISI_E10value_typeEPNSO_ISJ_E10value_typeEPSK_NS1_7vsmem_tEENKUlT_SI_SJ_SK_E_clIPsSD_S10_SD_EESH_SX_SI_SJ_SK_EUlSX_E1_NS1_11comp_targetILNS1_3genE3ELNS1_11target_archE908ELNS1_3gpuE7ELNS1_3repE0EEENS1_36merge_oddeven_config_static_selectorELNS0_4arch9wavefront6targetE1EEEvSJ_,comdat
.Lfunc_end1530:
	.size	_ZN7rocprim17ROCPRIM_400000_NS6detail17trampoline_kernelINS0_14default_configENS1_38merge_sort_block_merge_config_selectorIssEEZZNS1_27merge_sort_block_merge_implIS3_N6thrust23THRUST_200600_302600_NS6detail15normal_iteratorINS8_10device_ptrIsEEEESD_jNS1_19radix_merge_compareILb0ELb0EsNS0_19identity_decomposerEEEEE10hipError_tT0_T1_T2_jT3_P12ihipStream_tbPNSt15iterator_traitsISI_E10value_typeEPNSO_ISJ_E10value_typeEPSK_NS1_7vsmem_tEENKUlT_SI_SJ_SK_E_clIPsSD_S10_SD_EESH_SX_SI_SJ_SK_EUlSX_E1_NS1_11comp_targetILNS1_3genE3ELNS1_11target_archE908ELNS1_3gpuE7ELNS1_3repE0EEENS1_36merge_oddeven_config_static_selectorELNS0_4arch9wavefront6targetE1EEEvSJ_, .Lfunc_end1530-_ZN7rocprim17ROCPRIM_400000_NS6detail17trampoline_kernelINS0_14default_configENS1_38merge_sort_block_merge_config_selectorIssEEZZNS1_27merge_sort_block_merge_implIS3_N6thrust23THRUST_200600_302600_NS6detail15normal_iteratorINS8_10device_ptrIsEEEESD_jNS1_19radix_merge_compareILb0ELb0EsNS0_19identity_decomposerEEEEE10hipError_tT0_T1_T2_jT3_P12ihipStream_tbPNSt15iterator_traitsISI_E10value_typeEPNSO_ISJ_E10value_typeEPSK_NS1_7vsmem_tEENKUlT_SI_SJ_SK_E_clIPsSD_S10_SD_EESH_SX_SI_SJ_SK_EUlSX_E1_NS1_11comp_targetILNS1_3genE3ELNS1_11target_archE908ELNS1_3gpuE7ELNS1_3repE0EEENS1_36merge_oddeven_config_static_selectorELNS0_4arch9wavefront6targetE1EEEvSJ_
                                        ; -- End function
	.set _ZN7rocprim17ROCPRIM_400000_NS6detail17trampoline_kernelINS0_14default_configENS1_38merge_sort_block_merge_config_selectorIssEEZZNS1_27merge_sort_block_merge_implIS3_N6thrust23THRUST_200600_302600_NS6detail15normal_iteratorINS8_10device_ptrIsEEEESD_jNS1_19radix_merge_compareILb0ELb0EsNS0_19identity_decomposerEEEEE10hipError_tT0_T1_T2_jT3_P12ihipStream_tbPNSt15iterator_traitsISI_E10value_typeEPNSO_ISJ_E10value_typeEPSK_NS1_7vsmem_tEENKUlT_SI_SJ_SK_E_clIPsSD_S10_SD_EESH_SX_SI_SJ_SK_EUlSX_E1_NS1_11comp_targetILNS1_3genE3ELNS1_11target_archE908ELNS1_3gpuE7ELNS1_3repE0EEENS1_36merge_oddeven_config_static_selectorELNS0_4arch9wavefront6targetE1EEEvSJ_.num_vgpr, 0
	.set _ZN7rocprim17ROCPRIM_400000_NS6detail17trampoline_kernelINS0_14default_configENS1_38merge_sort_block_merge_config_selectorIssEEZZNS1_27merge_sort_block_merge_implIS3_N6thrust23THRUST_200600_302600_NS6detail15normal_iteratorINS8_10device_ptrIsEEEESD_jNS1_19radix_merge_compareILb0ELb0EsNS0_19identity_decomposerEEEEE10hipError_tT0_T1_T2_jT3_P12ihipStream_tbPNSt15iterator_traitsISI_E10value_typeEPNSO_ISJ_E10value_typeEPSK_NS1_7vsmem_tEENKUlT_SI_SJ_SK_E_clIPsSD_S10_SD_EESH_SX_SI_SJ_SK_EUlSX_E1_NS1_11comp_targetILNS1_3genE3ELNS1_11target_archE908ELNS1_3gpuE7ELNS1_3repE0EEENS1_36merge_oddeven_config_static_selectorELNS0_4arch9wavefront6targetE1EEEvSJ_.num_agpr, 0
	.set _ZN7rocprim17ROCPRIM_400000_NS6detail17trampoline_kernelINS0_14default_configENS1_38merge_sort_block_merge_config_selectorIssEEZZNS1_27merge_sort_block_merge_implIS3_N6thrust23THRUST_200600_302600_NS6detail15normal_iteratorINS8_10device_ptrIsEEEESD_jNS1_19radix_merge_compareILb0ELb0EsNS0_19identity_decomposerEEEEE10hipError_tT0_T1_T2_jT3_P12ihipStream_tbPNSt15iterator_traitsISI_E10value_typeEPNSO_ISJ_E10value_typeEPSK_NS1_7vsmem_tEENKUlT_SI_SJ_SK_E_clIPsSD_S10_SD_EESH_SX_SI_SJ_SK_EUlSX_E1_NS1_11comp_targetILNS1_3genE3ELNS1_11target_archE908ELNS1_3gpuE7ELNS1_3repE0EEENS1_36merge_oddeven_config_static_selectorELNS0_4arch9wavefront6targetE1EEEvSJ_.numbered_sgpr, 0
	.set _ZN7rocprim17ROCPRIM_400000_NS6detail17trampoline_kernelINS0_14default_configENS1_38merge_sort_block_merge_config_selectorIssEEZZNS1_27merge_sort_block_merge_implIS3_N6thrust23THRUST_200600_302600_NS6detail15normal_iteratorINS8_10device_ptrIsEEEESD_jNS1_19radix_merge_compareILb0ELb0EsNS0_19identity_decomposerEEEEE10hipError_tT0_T1_T2_jT3_P12ihipStream_tbPNSt15iterator_traitsISI_E10value_typeEPNSO_ISJ_E10value_typeEPSK_NS1_7vsmem_tEENKUlT_SI_SJ_SK_E_clIPsSD_S10_SD_EESH_SX_SI_SJ_SK_EUlSX_E1_NS1_11comp_targetILNS1_3genE3ELNS1_11target_archE908ELNS1_3gpuE7ELNS1_3repE0EEENS1_36merge_oddeven_config_static_selectorELNS0_4arch9wavefront6targetE1EEEvSJ_.num_named_barrier, 0
	.set _ZN7rocprim17ROCPRIM_400000_NS6detail17trampoline_kernelINS0_14default_configENS1_38merge_sort_block_merge_config_selectorIssEEZZNS1_27merge_sort_block_merge_implIS3_N6thrust23THRUST_200600_302600_NS6detail15normal_iteratorINS8_10device_ptrIsEEEESD_jNS1_19radix_merge_compareILb0ELb0EsNS0_19identity_decomposerEEEEE10hipError_tT0_T1_T2_jT3_P12ihipStream_tbPNSt15iterator_traitsISI_E10value_typeEPNSO_ISJ_E10value_typeEPSK_NS1_7vsmem_tEENKUlT_SI_SJ_SK_E_clIPsSD_S10_SD_EESH_SX_SI_SJ_SK_EUlSX_E1_NS1_11comp_targetILNS1_3genE3ELNS1_11target_archE908ELNS1_3gpuE7ELNS1_3repE0EEENS1_36merge_oddeven_config_static_selectorELNS0_4arch9wavefront6targetE1EEEvSJ_.private_seg_size, 0
	.set _ZN7rocprim17ROCPRIM_400000_NS6detail17trampoline_kernelINS0_14default_configENS1_38merge_sort_block_merge_config_selectorIssEEZZNS1_27merge_sort_block_merge_implIS3_N6thrust23THRUST_200600_302600_NS6detail15normal_iteratorINS8_10device_ptrIsEEEESD_jNS1_19radix_merge_compareILb0ELb0EsNS0_19identity_decomposerEEEEE10hipError_tT0_T1_T2_jT3_P12ihipStream_tbPNSt15iterator_traitsISI_E10value_typeEPNSO_ISJ_E10value_typeEPSK_NS1_7vsmem_tEENKUlT_SI_SJ_SK_E_clIPsSD_S10_SD_EESH_SX_SI_SJ_SK_EUlSX_E1_NS1_11comp_targetILNS1_3genE3ELNS1_11target_archE908ELNS1_3gpuE7ELNS1_3repE0EEENS1_36merge_oddeven_config_static_selectorELNS0_4arch9wavefront6targetE1EEEvSJ_.uses_vcc, 0
	.set _ZN7rocprim17ROCPRIM_400000_NS6detail17trampoline_kernelINS0_14default_configENS1_38merge_sort_block_merge_config_selectorIssEEZZNS1_27merge_sort_block_merge_implIS3_N6thrust23THRUST_200600_302600_NS6detail15normal_iteratorINS8_10device_ptrIsEEEESD_jNS1_19radix_merge_compareILb0ELb0EsNS0_19identity_decomposerEEEEE10hipError_tT0_T1_T2_jT3_P12ihipStream_tbPNSt15iterator_traitsISI_E10value_typeEPNSO_ISJ_E10value_typeEPSK_NS1_7vsmem_tEENKUlT_SI_SJ_SK_E_clIPsSD_S10_SD_EESH_SX_SI_SJ_SK_EUlSX_E1_NS1_11comp_targetILNS1_3genE3ELNS1_11target_archE908ELNS1_3gpuE7ELNS1_3repE0EEENS1_36merge_oddeven_config_static_selectorELNS0_4arch9wavefront6targetE1EEEvSJ_.uses_flat_scratch, 0
	.set _ZN7rocprim17ROCPRIM_400000_NS6detail17trampoline_kernelINS0_14default_configENS1_38merge_sort_block_merge_config_selectorIssEEZZNS1_27merge_sort_block_merge_implIS3_N6thrust23THRUST_200600_302600_NS6detail15normal_iteratorINS8_10device_ptrIsEEEESD_jNS1_19radix_merge_compareILb0ELb0EsNS0_19identity_decomposerEEEEE10hipError_tT0_T1_T2_jT3_P12ihipStream_tbPNSt15iterator_traitsISI_E10value_typeEPNSO_ISJ_E10value_typeEPSK_NS1_7vsmem_tEENKUlT_SI_SJ_SK_E_clIPsSD_S10_SD_EESH_SX_SI_SJ_SK_EUlSX_E1_NS1_11comp_targetILNS1_3genE3ELNS1_11target_archE908ELNS1_3gpuE7ELNS1_3repE0EEENS1_36merge_oddeven_config_static_selectorELNS0_4arch9wavefront6targetE1EEEvSJ_.has_dyn_sized_stack, 0
	.set _ZN7rocprim17ROCPRIM_400000_NS6detail17trampoline_kernelINS0_14default_configENS1_38merge_sort_block_merge_config_selectorIssEEZZNS1_27merge_sort_block_merge_implIS3_N6thrust23THRUST_200600_302600_NS6detail15normal_iteratorINS8_10device_ptrIsEEEESD_jNS1_19radix_merge_compareILb0ELb0EsNS0_19identity_decomposerEEEEE10hipError_tT0_T1_T2_jT3_P12ihipStream_tbPNSt15iterator_traitsISI_E10value_typeEPNSO_ISJ_E10value_typeEPSK_NS1_7vsmem_tEENKUlT_SI_SJ_SK_E_clIPsSD_S10_SD_EESH_SX_SI_SJ_SK_EUlSX_E1_NS1_11comp_targetILNS1_3genE3ELNS1_11target_archE908ELNS1_3gpuE7ELNS1_3repE0EEENS1_36merge_oddeven_config_static_selectorELNS0_4arch9wavefront6targetE1EEEvSJ_.has_recursion, 0
	.set _ZN7rocprim17ROCPRIM_400000_NS6detail17trampoline_kernelINS0_14default_configENS1_38merge_sort_block_merge_config_selectorIssEEZZNS1_27merge_sort_block_merge_implIS3_N6thrust23THRUST_200600_302600_NS6detail15normal_iteratorINS8_10device_ptrIsEEEESD_jNS1_19radix_merge_compareILb0ELb0EsNS0_19identity_decomposerEEEEE10hipError_tT0_T1_T2_jT3_P12ihipStream_tbPNSt15iterator_traitsISI_E10value_typeEPNSO_ISJ_E10value_typeEPSK_NS1_7vsmem_tEENKUlT_SI_SJ_SK_E_clIPsSD_S10_SD_EESH_SX_SI_SJ_SK_EUlSX_E1_NS1_11comp_targetILNS1_3genE3ELNS1_11target_archE908ELNS1_3gpuE7ELNS1_3repE0EEENS1_36merge_oddeven_config_static_selectorELNS0_4arch9wavefront6targetE1EEEvSJ_.has_indirect_call, 0
	.section	.AMDGPU.csdata,"",@progbits
; Kernel info:
; codeLenInByte = 0
; TotalNumSgprs: 6
; NumVgprs: 0
; NumAgprs: 0
; TotalNumVgprs: 0
; ScratchSize: 0
; MemoryBound: 0
; FloatMode: 240
; IeeeMode: 1
; LDSByteSize: 0 bytes/workgroup (compile time only)
; SGPRBlocks: 0
; VGPRBlocks: 0
; NumSGPRsForWavesPerEU: 6
; NumVGPRsForWavesPerEU: 1
; AccumOffset: 4
; Occupancy: 8
; WaveLimiterHint : 0
; COMPUTE_PGM_RSRC2:SCRATCH_EN: 0
; COMPUTE_PGM_RSRC2:USER_SGPR: 2
; COMPUTE_PGM_RSRC2:TRAP_HANDLER: 0
; COMPUTE_PGM_RSRC2:TGID_X_EN: 1
; COMPUTE_PGM_RSRC2:TGID_Y_EN: 0
; COMPUTE_PGM_RSRC2:TGID_Z_EN: 0
; COMPUTE_PGM_RSRC2:TIDIG_COMP_CNT: 0
; COMPUTE_PGM_RSRC3_GFX90A:ACCUM_OFFSET: 0
; COMPUTE_PGM_RSRC3_GFX90A:TG_SPLIT: 0
	.section	.text._ZN7rocprim17ROCPRIM_400000_NS6detail17trampoline_kernelINS0_14default_configENS1_38merge_sort_block_merge_config_selectorIssEEZZNS1_27merge_sort_block_merge_implIS3_N6thrust23THRUST_200600_302600_NS6detail15normal_iteratorINS8_10device_ptrIsEEEESD_jNS1_19radix_merge_compareILb0ELb0EsNS0_19identity_decomposerEEEEE10hipError_tT0_T1_T2_jT3_P12ihipStream_tbPNSt15iterator_traitsISI_E10value_typeEPNSO_ISJ_E10value_typeEPSK_NS1_7vsmem_tEENKUlT_SI_SJ_SK_E_clIPsSD_S10_SD_EESH_SX_SI_SJ_SK_EUlSX_E1_NS1_11comp_targetILNS1_3genE2ELNS1_11target_archE906ELNS1_3gpuE6ELNS1_3repE0EEENS1_36merge_oddeven_config_static_selectorELNS0_4arch9wavefront6targetE1EEEvSJ_,"axG",@progbits,_ZN7rocprim17ROCPRIM_400000_NS6detail17trampoline_kernelINS0_14default_configENS1_38merge_sort_block_merge_config_selectorIssEEZZNS1_27merge_sort_block_merge_implIS3_N6thrust23THRUST_200600_302600_NS6detail15normal_iteratorINS8_10device_ptrIsEEEESD_jNS1_19radix_merge_compareILb0ELb0EsNS0_19identity_decomposerEEEEE10hipError_tT0_T1_T2_jT3_P12ihipStream_tbPNSt15iterator_traitsISI_E10value_typeEPNSO_ISJ_E10value_typeEPSK_NS1_7vsmem_tEENKUlT_SI_SJ_SK_E_clIPsSD_S10_SD_EESH_SX_SI_SJ_SK_EUlSX_E1_NS1_11comp_targetILNS1_3genE2ELNS1_11target_archE906ELNS1_3gpuE6ELNS1_3repE0EEENS1_36merge_oddeven_config_static_selectorELNS0_4arch9wavefront6targetE1EEEvSJ_,comdat
	.protected	_ZN7rocprim17ROCPRIM_400000_NS6detail17trampoline_kernelINS0_14default_configENS1_38merge_sort_block_merge_config_selectorIssEEZZNS1_27merge_sort_block_merge_implIS3_N6thrust23THRUST_200600_302600_NS6detail15normal_iteratorINS8_10device_ptrIsEEEESD_jNS1_19radix_merge_compareILb0ELb0EsNS0_19identity_decomposerEEEEE10hipError_tT0_T1_T2_jT3_P12ihipStream_tbPNSt15iterator_traitsISI_E10value_typeEPNSO_ISJ_E10value_typeEPSK_NS1_7vsmem_tEENKUlT_SI_SJ_SK_E_clIPsSD_S10_SD_EESH_SX_SI_SJ_SK_EUlSX_E1_NS1_11comp_targetILNS1_3genE2ELNS1_11target_archE906ELNS1_3gpuE6ELNS1_3repE0EEENS1_36merge_oddeven_config_static_selectorELNS0_4arch9wavefront6targetE1EEEvSJ_ ; -- Begin function _ZN7rocprim17ROCPRIM_400000_NS6detail17trampoline_kernelINS0_14default_configENS1_38merge_sort_block_merge_config_selectorIssEEZZNS1_27merge_sort_block_merge_implIS3_N6thrust23THRUST_200600_302600_NS6detail15normal_iteratorINS8_10device_ptrIsEEEESD_jNS1_19radix_merge_compareILb0ELb0EsNS0_19identity_decomposerEEEEE10hipError_tT0_T1_T2_jT3_P12ihipStream_tbPNSt15iterator_traitsISI_E10value_typeEPNSO_ISJ_E10value_typeEPSK_NS1_7vsmem_tEENKUlT_SI_SJ_SK_E_clIPsSD_S10_SD_EESH_SX_SI_SJ_SK_EUlSX_E1_NS1_11comp_targetILNS1_3genE2ELNS1_11target_archE906ELNS1_3gpuE6ELNS1_3repE0EEENS1_36merge_oddeven_config_static_selectorELNS0_4arch9wavefront6targetE1EEEvSJ_
	.globl	_ZN7rocprim17ROCPRIM_400000_NS6detail17trampoline_kernelINS0_14default_configENS1_38merge_sort_block_merge_config_selectorIssEEZZNS1_27merge_sort_block_merge_implIS3_N6thrust23THRUST_200600_302600_NS6detail15normal_iteratorINS8_10device_ptrIsEEEESD_jNS1_19radix_merge_compareILb0ELb0EsNS0_19identity_decomposerEEEEE10hipError_tT0_T1_T2_jT3_P12ihipStream_tbPNSt15iterator_traitsISI_E10value_typeEPNSO_ISJ_E10value_typeEPSK_NS1_7vsmem_tEENKUlT_SI_SJ_SK_E_clIPsSD_S10_SD_EESH_SX_SI_SJ_SK_EUlSX_E1_NS1_11comp_targetILNS1_3genE2ELNS1_11target_archE906ELNS1_3gpuE6ELNS1_3repE0EEENS1_36merge_oddeven_config_static_selectorELNS0_4arch9wavefront6targetE1EEEvSJ_
	.p2align	8
	.type	_ZN7rocprim17ROCPRIM_400000_NS6detail17trampoline_kernelINS0_14default_configENS1_38merge_sort_block_merge_config_selectorIssEEZZNS1_27merge_sort_block_merge_implIS3_N6thrust23THRUST_200600_302600_NS6detail15normal_iteratorINS8_10device_ptrIsEEEESD_jNS1_19radix_merge_compareILb0ELb0EsNS0_19identity_decomposerEEEEE10hipError_tT0_T1_T2_jT3_P12ihipStream_tbPNSt15iterator_traitsISI_E10value_typeEPNSO_ISJ_E10value_typeEPSK_NS1_7vsmem_tEENKUlT_SI_SJ_SK_E_clIPsSD_S10_SD_EESH_SX_SI_SJ_SK_EUlSX_E1_NS1_11comp_targetILNS1_3genE2ELNS1_11target_archE906ELNS1_3gpuE6ELNS1_3repE0EEENS1_36merge_oddeven_config_static_selectorELNS0_4arch9wavefront6targetE1EEEvSJ_,@function
_ZN7rocprim17ROCPRIM_400000_NS6detail17trampoline_kernelINS0_14default_configENS1_38merge_sort_block_merge_config_selectorIssEEZZNS1_27merge_sort_block_merge_implIS3_N6thrust23THRUST_200600_302600_NS6detail15normal_iteratorINS8_10device_ptrIsEEEESD_jNS1_19radix_merge_compareILb0ELb0EsNS0_19identity_decomposerEEEEE10hipError_tT0_T1_T2_jT3_P12ihipStream_tbPNSt15iterator_traitsISI_E10value_typeEPNSO_ISJ_E10value_typeEPSK_NS1_7vsmem_tEENKUlT_SI_SJ_SK_E_clIPsSD_S10_SD_EESH_SX_SI_SJ_SK_EUlSX_E1_NS1_11comp_targetILNS1_3genE2ELNS1_11target_archE906ELNS1_3gpuE6ELNS1_3repE0EEENS1_36merge_oddeven_config_static_selectorELNS0_4arch9wavefront6targetE1EEEvSJ_: ; @_ZN7rocprim17ROCPRIM_400000_NS6detail17trampoline_kernelINS0_14default_configENS1_38merge_sort_block_merge_config_selectorIssEEZZNS1_27merge_sort_block_merge_implIS3_N6thrust23THRUST_200600_302600_NS6detail15normal_iteratorINS8_10device_ptrIsEEEESD_jNS1_19radix_merge_compareILb0ELb0EsNS0_19identity_decomposerEEEEE10hipError_tT0_T1_T2_jT3_P12ihipStream_tbPNSt15iterator_traitsISI_E10value_typeEPNSO_ISJ_E10value_typeEPSK_NS1_7vsmem_tEENKUlT_SI_SJ_SK_E_clIPsSD_S10_SD_EESH_SX_SI_SJ_SK_EUlSX_E1_NS1_11comp_targetILNS1_3genE2ELNS1_11target_archE906ELNS1_3gpuE6ELNS1_3repE0EEENS1_36merge_oddeven_config_static_selectorELNS0_4arch9wavefront6targetE1EEEvSJ_
; %bb.0:
	.section	.rodata,"a",@progbits
	.p2align	6, 0x0
	.amdhsa_kernel _ZN7rocprim17ROCPRIM_400000_NS6detail17trampoline_kernelINS0_14default_configENS1_38merge_sort_block_merge_config_selectorIssEEZZNS1_27merge_sort_block_merge_implIS3_N6thrust23THRUST_200600_302600_NS6detail15normal_iteratorINS8_10device_ptrIsEEEESD_jNS1_19radix_merge_compareILb0ELb0EsNS0_19identity_decomposerEEEEE10hipError_tT0_T1_T2_jT3_P12ihipStream_tbPNSt15iterator_traitsISI_E10value_typeEPNSO_ISJ_E10value_typeEPSK_NS1_7vsmem_tEENKUlT_SI_SJ_SK_E_clIPsSD_S10_SD_EESH_SX_SI_SJ_SK_EUlSX_E1_NS1_11comp_targetILNS1_3genE2ELNS1_11target_archE906ELNS1_3gpuE6ELNS1_3repE0EEENS1_36merge_oddeven_config_static_selectorELNS0_4arch9wavefront6targetE1EEEvSJ_
		.amdhsa_group_segment_fixed_size 0
		.amdhsa_private_segment_fixed_size 0
		.amdhsa_kernarg_size 48
		.amdhsa_user_sgpr_count 2
		.amdhsa_user_sgpr_dispatch_ptr 0
		.amdhsa_user_sgpr_queue_ptr 0
		.amdhsa_user_sgpr_kernarg_segment_ptr 1
		.amdhsa_user_sgpr_dispatch_id 0
		.amdhsa_user_sgpr_kernarg_preload_length 0
		.amdhsa_user_sgpr_kernarg_preload_offset 0
		.amdhsa_user_sgpr_private_segment_size 0
		.amdhsa_uses_dynamic_stack 0
		.amdhsa_enable_private_segment 0
		.amdhsa_system_sgpr_workgroup_id_x 1
		.amdhsa_system_sgpr_workgroup_id_y 0
		.amdhsa_system_sgpr_workgroup_id_z 0
		.amdhsa_system_sgpr_workgroup_info 0
		.amdhsa_system_vgpr_workitem_id 0
		.amdhsa_next_free_vgpr 1
		.amdhsa_next_free_sgpr 0
		.amdhsa_accum_offset 4
		.amdhsa_reserve_vcc 0
		.amdhsa_float_round_mode_32 0
		.amdhsa_float_round_mode_16_64 0
		.amdhsa_float_denorm_mode_32 3
		.amdhsa_float_denorm_mode_16_64 3
		.amdhsa_dx10_clamp 1
		.amdhsa_ieee_mode 1
		.amdhsa_fp16_overflow 0
		.amdhsa_tg_split 0
		.amdhsa_exception_fp_ieee_invalid_op 0
		.amdhsa_exception_fp_denorm_src 0
		.amdhsa_exception_fp_ieee_div_zero 0
		.amdhsa_exception_fp_ieee_overflow 0
		.amdhsa_exception_fp_ieee_underflow 0
		.amdhsa_exception_fp_ieee_inexact 0
		.amdhsa_exception_int_div_zero 0
	.end_amdhsa_kernel
	.section	.text._ZN7rocprim17ROCPRIM_400000_NS6detail17trampoline_kernelINS0_14default_configENS1_38merge_sort_block_merge_config_selectorIssEEZZNS1_27merge_sort_block_merge_implIS3_N6thrust23THRUST_200600_302600_NS6detail15normal_iteratorINS8_10device_ptrIsEEEESD_jNS1_19radix_merge_compareILb0ELb0EsNS0_19identity_decomposerEEEEE10hipError_tT0_T1_T2_jT3_P12ihipStream_tbPNSt15iterator_traitsISI_E10value_typeEPNSO_ISJ_E10value_typeEPSK_NS1_7vsmem_tEENKUlT_SI_SJ_SK_E_clIPsSD_S10_SD_EESH_SX_SI_SJ_SK_EUlSX_E1_NS1_11comp_targetILNS1_3genE2ELNS1_11target_archE906ELNS1_3gpuE6ELNS1_3repE0EEENS1_36merge_oddeven_config_static_selectorELNS0_4arch9wavefront6targetE1EEEvSJ_,"axG",@progbits,_ZN7rocprim17ROCPRIM_400000_NS6detail17trampoline_kernelINS0_14default_configENS1_38merge_sort_block_merge_config_selectorIssEEZZNS1_27merge_sort_block_merge_implIS3_N6thrust23THRUST_200600_302600_NS6detail15normal_iteratorINS8_10device_ptrIsEEEESD_jNS1_19radix_merge_compareILb0ELb0EsNS0_19identity_decomposerEEEEE10hipError_tT0_T1_T2_jT3_P12ihipStream_tbPNSt15iterator_traitsISI_E10value_typeEPNSO_ISJ_E10value_typeEPSK_NS1_7vsmem_tEENKUlT_SI_SJ_SK_E_clIPsSD_S10_SD_EESH_SX_SI_SJ_SK_EUlSX_E1_NS1_11comp_targetILNS1_3genE2ELNS1_11target_archE906ELNS1_3gpuE6ELNS1_3repE0EEENS1_36merge_oddeven_config_static_selectorELNS0_4arch9wavefront6targetE1EEEvSJ_,comdat
.Lfunc_end1531:
	.size	_ZN7rocprim17ROCPRIM_400000_NS6detail17trampoline_kernelINS0_14default_configENS1_38merge_sort_block_merge_config_selectorIssEEZZNS1_27merge_sort_block_merge_implIS3_N6thrust23THRUST_200600_302600_NS6detail15normal_iteratorINS8_10device_ptrIsEEEESD_jNS1_19radix_merge_compareILb0ELb0EsNS0_19identity_decomposerEEEEE10hipError_tT0_T1_T2_jT3_P12ihipStream_tbPNSt15iterator_traitsISI_E10value_typeEPNSO_ISJ_E10value_typeEPSK_NS1_7vsmem_tEENKUlT_SI_SJ_SK_E_clIPsSD_S10_SD_EESH_SX_SI_SJ_SK_EUlSX_E1_NS1_11comp_targetILNS1_3genE2ELNS1_11target_archE906ELNS1_3gpuE6ELNS1_3repE0EEENS1_36merge_oddeven_config_static_selectorELNS0_4arch9wavefront6targetE1EEEvSJ_, .Lfunc_end1531-_ZN7rocprim17ROCPRIM_400000_NS6detail17trampoline_kernelINS0_14default_configENS1_38merge_sort_block_merge_config_selectorIssEEZZNS1_27merge_sort_block_merge_implIS3_N6thrust23THRUST_200600_302600_NS6detail15normal_iteratorINS8_10device_ptrIsEEEESD_jNS1_19radix_merge_compareILb0ELb0EsNS0_19identity_decomposerEEEEE10hipError_tT0_T1_T2_jT3_P12ihipStream_tbPNSt15iterator_traitsISI_E10value_typeEPNSO_ISJ_E10value_typeEPSK_NS1_7vsmem_tEENKUlT_SI_SJ_SK_E_clIPsSD_S10_SD_EESH_SX_SI_SJ_SK_EUlSX_E1_NS1_11comp_targetILNS1_3genE2ELNS1_11target_archE906ELNS1_3gpuE6ELNS1_3repE0EEENS1_36merge_oddeven_config_static_selectorELNS0_4arch9wavefront6targetE1EEEvSJ_
                                        ; -- End function
	.set _ZN7rocprim17ROCPRIM_400000_NS6detail17trampoline_kernelINS0_14default_configENS1_38merge_sort_block_merge_config_selectorIssEEZZNS1_27merge_sort_block_merge_implIS3_N6thrust23THRUST_200600_302600_NS6detail15normal_iteratorINS8_10device_ptrIsEEEESD_jNS1_19radix_merge_compareILb0ELb0EsNS0_19identity_decomposerEEEEE10hipError_tT0_T1_T2_jT3_P12ihipStream_tbPNSt15iterator_traitsISI_E10value_typeEPNSO_ISJ_E10value_typeEPSK_NS1_7vsmem_tEENKUlT_SI_SJ_SK_E_clIPsSD_S10_SD_EESH_SX_SI_SJ_SK_EUlSX_E1_NS1_11comp_targetILNS1_3genE2ELNS1_11target_archE906ELNS1_3gpuE6ELNS1_3repE0EEENS1_36merge_oddeven_config_static_selectorELNS0_4arch9wavefront6targetE1EEEvSJ_.num_vgpr, 0
	.set _ZN7rocprim17ROCPRIM_400000_NS6detail17trampoline_kernelINS0_14default_configENS1_38merge_sort_block_merge_config_selectorIssEEZZNS1_27merge_sort_block_merge_implIS3_N6thrust23THRUST_200600_302600_NS6detail15normal_iteratorINS8_10device_ptrIsEEEESD_jNS1_19radix_merge_compareILb0ELb0EsNS0_19identity_decomposerEEEEE10hipError_tT0_T1_T2_jT3_P12ihipStream_tbPNSt15iterator_traitsISI_E10value_typeEPNSO_ISJ_E10value_typeEPSK_NS1_7vsmem_tEENKUlT_SI_SJ_SK_E_clIPsSD_S10_SD_EESH_SX_SI_SJ_SK_EUlSX_E1_NS1_11comp_targetILNS1_3genE2ELNS1_11target_archE906ELNS1_3gpuE6ELNS1_3repE0EEENS1_36merge_oddeven_config_static_selectorELNS0_4arch9wavefront6targetE1EEEvSJ_.num_agpr, 0
	.set _ZN7rocprim17ROCPRIM_400000_NS6detail17trampoline_kernelINS0_14default_configENS1_38merge_sort_block_merge_config_selectorIssEEZZNS1_27merge_sort_block_merge_implIS3_N6thrust23THRUST_200600_302600_NS6detail15normal_iteratorINS8_10device_ptrIsEEEESD_jNS1_19radix_merge_compareILb0ELb0EsNS0_19identity_decomposerEEEEE10hipError_tT0_T1_T2_jT3_P12ihipStream_tbPNSt15iterator_traitsISI_E10value_typeEPNSO_ISJ_E10value_typeEPSK_NS1_7vsmem_tEENKUlT_SI_SJ_SK_E_clIPsSD_S10_SD_EESH_SX_SI_SJ_SK_EUlSX_E1_NS1_11comp_targetILNS1_3genE2ELNS1_11target_archE906ELNS1_3gpuE6ELNS1_3repE0EEENS1_36merge_oddeven_config_static_selectorELNS0_4arch9wavefront6targetE1EEEvSJ_.numbered_sgpr, 0
	.set _ZN7rocprim17ROCPRIM_400000_NS6detail17trampoline_kernelINS0_14default_configENS1_38merge_sort_block_merge_config_selectorIssEEZZNS1_27merge_sort_block_merge_implIS3_N6thrust23THRUST_200600_302600_NS6detail15normal_iteratorINS8_10device_ptrIsEEEESD_jNS1_19radix_merge_compareILb0ELb0EsNS0_19identity_decomposerEEEEE10hipError_tT0_T1_T2_jT3_P12ihipStream_tbPNSt15iterator_traitsISI_E10value_typeEPNSO_ISJ_E10value_typeEPSK_NS1_7vsmem_tEENKUlT_SI_SJ_SK_E_clIPsSD_S10_SD_EESH_SX_SI_SJ_SK_EUlSX_E1_NS1_11comp_targetILNS1_3genE2ELNS1_11target_archE906ELNS1_3gpuE6ELNS1_3repE0EEENS1_36merge_oddeven_config_static_selectorELNS0_4arch9wavefront6targetE1EEEvSJ_.num_named_barrier, 0
	.set _ZN7rocprim17ROCPRIM_400000_NS6detail17trampoline_kernelINS0_14default_configENS1_38merge_sort_block_merge_config_selectorIssEEZZNS1_27merge_sort_block_merge_implIS3_N6thrust23THRUST_200600_302600_NS6detail15normal_iteratorINS8_10device_ptrIsEEEESD_jNS1_19radix_merge_compareILb0ELb0EsNS0_19identity_decomposerEEEEE10hipError_tT0_T1_T2_jT3_P12ihipStream_tbPNSt15iterator_traitsISI_E10value_typeEPNSO_ISJ_E10value_typeEPSK_NS1_7vsmem_tEENKUlT_SI_SJ_SK_E_clIPsSD_S10_SD_EESH_SX_SI_SJ_SK_EUlSX_E1_NS1_11comp_targetILNS1_3genE2ELNS1_11target_archE906ELNS1_3gpuE6ELNS1_3repE0EEENS1_36merge_oddeven_config_static_selectorELNS0_4arch9wavefront6targetE1EEEvSJ_.private_seg_size, 0
	.set _ZN7rocprim17ROCPRIM_400000_NS6detail17trampoline_kernelINS0_14default_configENS1_38merge_sort_block_merge_config_selectorIssEEZZNS1_27merge_sort_block_merge_implIS3_N6thrust23THRUST_200600_302600_NS6detail15normal_iteratorINS8_10device_ptrIsEEEESD_jNS1_19radix_merge_compareILb0ELb0EsNS0_19identity_decomposerEEEEE10hipError_tT0_T1_T2_jT3_P12ihipStream_tbPNSt15iterator_traitsISI_E10value_typeEPNSO_ISJ_E10value_typeEPSK_NS1_7vsmem_tEENKUlT_SI_SJ_SK_E_clIPsSD_S10_SD_EESH_SX_SI_SJ_SK_EUlSX_E1_NS1_11comp_targetILNS1_3genE2ELNS1_11target_archE906ELNS1_3gpuE6ELNS1_3repE0EEENS1_36merge_oddeven_config_static_selectorELNS0_4arch9wavefront6targetE1EEEvSJ_.uses_vcc, 0
	.set _ZN7rocprim17ROCPRIM_400000_NS6detail17trampoline_kernelINS0_14default_configENS1_38merge_sort_block_merge_config_selectorIssEEZZNS1_27merge_sort_block_merge_implIS3_N6thrust23THRUST_200600_302600_NS6detail15normal_iteratorINS8_10device_ptrIsEEEESD_jNS1_19radix_merge_compareILb0ELb0EsNS0_19identity_decomposerEEEEE10hipError_tT0_T1_T2_jT3_P12ihipStream_tbPNSt15iterator_traitsISI_E10value_typeEPNSO_ISJ_E10value_typeEPSK_NS1_7vsmem_tEENKUlT_SI_SJ_SK_E_clIPsSD_S10_SD_EESH_SX_SI_SJ_SK_EUlSX_E1_NS1_11comp_targetILNS1_3genE2ELNS1_11target_archE906ELNS1_3gpuE6ELNS1_3repE0EEENS1_36merge_oddeven_config_static_selectorELNS0_4arch9wavefront6targetE1EEEvSJ_.uses_flat_scratch, 0
	.set _ZN7rocprim17ROCPRIM_400000_NS6detail17trampoline_kernelINS0_14default_configENS1_38merge_sort_block_merge_config_selectorIssEEZZNS1_27merge_sort_block_merge_implIS3_N6thrust23THRUST_200600_302600_NS6detail15normal_iteratorINS8_10device_ptrIsEEEESD_jNS1_19radix_merge_compareILb0ELb0EsNS0_19identity_decomposerEEEEE10hipError_tT0_T1_T2_jT3_P12ihipStream_tbPNSt15iterator_traitsISI_E10value_typeEPNSO_ISJ_E10value_typeEPSK_NS1_7vsmem_tEENKUlT_SI_SJ_SK_E_clIPsSD_S10_SD_EESH_SX_SI_SJ_SK_EUlSX_E1_NS1_11comp_targetILNS1_3genE2ELNS1_11target_archE906ELNS1_3gpuE6ELNS1_3repE0EEENS1_36merge_oddeven_config_static_selectorELNS0_4arch9wavefront6targetE1EEEvSJ_.has_dyn_sized_stack, 0
	.set _ZN7rocprim17ROCPRIM_400000_NS6detail17trampoline_kernelINS0_14default_configENS1_38merge_sort_block_merge_config_selectorIssEEZZNS1_27merge_sort_block_merge_implIS3_N6thrust23THRUST_200600_302600_NS6detail15normal_iteratorINS8_10device_ptrIsEEEESD_jNS1_19radix_merge_compareILb0ELb0EsNS0_19identity_decomposerEEEEE10hipError_tT0_T1_T2_jT3_P12ihipStream_tbPNSt15iterator_traitsISI_E10value_typeEPNSO_ISJ_E10value_typeEPSK_NS1_7vsmem_tEENKUlT_SI_SJ_SK_E_clIPsSD_S10_SD_EESH_SX_SI_SJ_SK_EUlSX_E1_NS1_11comp_targetILNS1_3genE2ELNS1_11target_archE906ELNS1_3gpuE6ELNS1_3repE0EEENS1_36merge_oddeven_config_static_selectorELNS0_4arch9wavefront6targetE1EEEvSJ_.has_recursion, 0
	.set _ZN7rocprim17ROCPRIM_400000_NS6detail17trampoline_kernelINS0_14default_configENS1_38merge_sort_block_merge_config_selectorIssEEZZNS1_27merge_sort_block_merge_implIS3_N6thrust23THRUST_200600_302600_NS6detail15normal_iteratorINS8_10device_ptrIsEEEESD_jNS1_19radix_merge_compareILb0ELb0EsNS0_19identity_decomposerEEEEE10hipError_tT0_T1_T2_jT3_P12ihipStream_tbPNSt15iterator_traitsISI_E10value_typeEPNSO_ISJ_E10value_typeEPSK_NS1_7vsmem_tEENKUlT_SI_SJ_SK_E_clIPsSD_S10_SD_EESH_SX_SI_SJ_SK_EUlSX_E1_NS1_11comp_targetILNS1_3genE2ELNS1_11target_archE906ELNS1_3gpuE6ELNS1_3repE0EEENS1_36merge_oddeven_config_static_selectorELNS0_4arch9wavefront6targetE1EEEvSJ_.has_indirect_call, 0
	.section	.AMDGPU.csdata,"",@progbits
; Kernel info:
; codeLenInByte = 0
; TotalNumSgprs: 6
; NumVgprs: 0
; NumAgprs: 0
; TotalNumVgprs: 0
; ScratchSize: 0
; MemoryBound: 0
; FloatMode: 240
; IeeeMode: 1
; LDSByteSize: 0 bytes/workgroup (compile time only)
; SGPRBlocks: 0
; VGPRBlocks: 0
; NumSGPRsForWavesPerEU: 6
; NumVGPRsForWavesPerEU: 1
; AccumOffset: 4
; Occupancy: 8
; WaveLimiterHint : 0
; COMPUTE_PGM_RSRC2:SCRATCH_EN: 0
; COMPUTE_PGM_RSRC2:USER_SGPR: 2
; COMPUTE_PGM_RSRC2:TRAP_HANDLER: 0
; COMPUTE_PGM_RSRC2:TGID_X_EN: 1
; COMPUTE_PGM_RSRC2:TGID_Y_EN: 0
; COMPUTE_PGM_RSRC2:TGID_Z_EN: 0
; COMPUTE_PGM_RSRC2:TIDIG_COMP_CNT: 0
; COMPUTE_PGM_RSRC3_GFX90A:ACCUM_OFFSET: 0
; COMPUTE_PGM_RSRC3_GFX90A:TG_SPLIT: 0
	.section	.text._ZN7rocprim17ROCPRIM_400000_NS6detail17trampoline_kernelINS0_14default_configENS1_38merge_sort_block_merge_config_selectorIssEEZZNS1_27merge_sort_block_merge_implIS3_N6thrust23THRUST_200600_302600_NS6detail15normal_iteratorINS8_10device_ptrIsEEEESD_jNS1_19radix_merge_compareILb0ELb0EsNS0_19identity_decomposerEEEEE10hipError_tT0_T1_T2_jT3_P12ihipStream_tbPNSt15iterator_traitsISI_E10value_typeEPNSO_ISJ_E10value_typeEPSK_NS1_7vsmem_tEENKUlT_SI_SJ_SK_E_clIPsSD_S10_SD_EESH_SX_SI_SJ_SK_EUlSX_E1_NS1_11comp_targetILNS1_3genE9ELNS1_11target_archE1100ELNS1_3gpuE3ELNS1_3repE0EEENS1_36merge_oddeven_config_static_selectorELNS0_4arch9wavefront6targetE1EEEvSJ_,"axG",@progbits,_ZN7rocprim17ROCPRIM_400000_NS6detail17trampoline_kernelINS0_14default_configENS1_38merge_sort_block_merge_config_selectorIssEEZZNS1_27merge_sort_block_merge_implIS3_N6thrust23THRUST_200600_302600_NS6detail15normal_iteratorINS8_10device_ptrIsEEEESD_jNS1_19radix_merge_compareILb0ELb0EsNS0_19identity_decomposerEEEEE10hipError_tT0_T1_T2_jT3_P12ihipStream_tbPNSt15iterator_traitsISI_E10value_typeEPNSO_ISJ_E10value_typeEPSK_NS1_7vsmem_tEENKUlT_SI_SJ_SK_E_clIPsSD_S10_SD_EESH_SX_SI_SJ_SK_EUlSX_E1_NS1_11comp_targetILNS1_3genE9ELNS1_11target_archE1100ELNS1_3gpuE3ELNS1_3repE0EEENS1_36merge_oddeven_config_static_selectorELNS0_4arch9wavefront6targetE1EEEvSJ_,comdat
	.protected	_ZN7rocprim17ROCPRIM_400000_NS6detail17trampoline_kernelINS0_14default_configENS1_38merge_sort_block_merge_config_selectorIssEEZZNS1_27merge_sort_block_merge_implIS3_N6thrust23THRUST_200600_302600_NS6detail15normal_iteratorINS8_10device_ptrIsEEEESD_jNS1_19radix_merge_compareILb0ELb0EsNS0_19identity_decomposerEEEEE10hipError_tT0_T1_T2_jT3_P12ihipStream_tbPNSt15iterator_traitsISI_E10value_typeEPNSO_ISJ_E10value_typeEPSK_NS1_7vsmem_tEENKUlT_SI_SJ_SK_E_clIPsSD_S10_SD_EESH_SX_SI_SJ_SK_EUlSX_E1_NS1_11comp_targetILNS1_3genE9ELNS1_11target_archE1100ELNS1_3gpuE3ELNS1_3repE0EEENS1_36merge_oddeven_config_static_selectorELNS0_4arch9wavefront6targetE1EEEvSJ_ ; -- Begin function _ZN7rocprim17ROCPRIM_400000_NS6detail17trampoline_kernelINS0_14default_configENS1_38merge_sort_block_merge_config_selectorIssEEZZNS1_27merge_sort_block_merge_implIS3_N6thrust23THRUST_200600_302600_NS6detail15normal_iteratorINS8_10device_ptrIsEEEESD_jNS1_19radix_merge_compareILb0ELb0EsNS0_19identity_decomposerEEEEE10hipError_tT0_T1_T2_jT3_P12ihipStream_tbPNSt15iterator_traitsISI_E10value_typeEPNSO_ISJ_E10value_typeEPSK_NS1_7vsmem_tEENKUlT_SI_SJ_SK_E_clIPsSD_S10_SD_EESH_SX_SI_SJ_SK_EUlSX_E1_NS1_11comp_targetILNS1_3genE9ELNS1_11target_archE1100ELNS1_3gpuE3ELNS1_3repE0EEENS1_36merge_oddeven_config_static_selectorELNS0_4arch9wavefront6targetE1EEEvSJ_
	.globl	_ZN7rocprim17ROCPRIM_400000_NS6detail17trampoline_kernelINS0_14default_configENS1_38merge_sort_block_merge_config_selectorIssEEZZNS1_27merge_sort_block_merge_implIS3_N6thrust23THRUST_200600_302600_NS6detail15normal_iteratorINS8_10device_ptrIsEEEESD_jNS1_19radix_merge_compareILb0ELb0EsNS0_19identity_decomposerEEEEE10hipError_tT0_T1_T2_jT3_P12ihipStream_tbPNSt15iterator_traitsISI_E10value_typeEPNSO_ISJ_E10value_typeEPSK_NS1_7vsmem_tEENKUlT_SI_SJ_SK_E_clIPsSD_S10_SD_EESH_SX_SI_SJ_SK_EUlSX_E1_NS1_11comp_targetILNS1_3genE9ELNS1_11target_archE1100ELNS1_3gpuE3ELNS1_3repE0EEENS1_36merge_oddeven_config_static_selectorELNS0_4arch9wavefront6targetE1EEEvSJ_
	.p2align	8
	.type	_ZN7rocprim17ROCPRIM_400000_NS6detail17trampoline_kernelINS0_14default_configENS1_38merge_sort_block_merge_config_selectorIssEEZZNS1_27merge_sort_block_merge_implIS3_N6thrust23THRUST_200600_302600_NS6detail15normal_iteratorINS8_10device_ptrIsEEEESD_jNS1_19radix_merge_compareILb0ELb0EsNS0_19identity_decomposerEEEEE10hipError_tT0_T1_T2_jT3_P12ihipStream_tbPNSt15iterator_traitsISI_E10value_typeEPNSO_ISJ_E10value_typeEPSK_NS1_7vsmem_tEENKUlT_SI_SJ_SK_E_clIPsSD_S10_SD_EESH_SX_SI_SJ_SK_EUlSX_E1_NS1_11comp_targetILNS1_3genE9ELNS1_11target_archE1100ELNS1_3gpuE3ELNS1_3repE0EEENS1_36merge_oddeven_config_static_selectorELNS0_4arch9wavefront6targetE1EEEvSJ_,@function
_ZN7rocprim17ROCPRIM_400000_NS6detail17trampoline_kernelINS0_14default_configENS1_38merge_sort_block_merge_config_selectorIssEEZZNS1_27merge_sort_block_merge_implIS3_N6thrust23THRUST_200600_302600_NS6detail15normal_iteratorINS8_10device_ptrIsEEEESD_jNS1_19radix_merge_compareILb0ELb0EsNS0_19identity_decomposerEEEEE10hipError_tT0_T1_T2_jT3_P12ihipStream_tbPNSt15iterator_traitsISI_E10value_typeEPNSO_ISJ_E10value_typeEPSK_NS1_7vsmem_tEENKUlT_SI_SJ_SK_E_clIPsSD_S10_SD_EESH_SX_SI_SJ_SK_EUlSX_E1_NS1_11comp_targetILNS1_3genE9ELNS1_11target_archE1100ELNS1_3gpuE3ELNS1_3repE0EEENS1_36merge_oddeven_config_static_selectorELNS0_4arch9wavefront6targetE1EEEvSJ_: ; @_ZN7rocprim17ROCPRIM_400000_NS6detail17trampoline_kernelINS0_14default_configENS1_38merge_sort_block_merge_config_selectorIssEEZZNS1_27merge_sort_block_merge_implIS3_N6thrust23THRUST_200600_302600_NS6detail15normal_iteratorINS8_10device_ptrIsEEEESD_jNS1_19radix_merge_compareILb0ELb0EsNS0_19identity_decomposerEEEEE10hipError_tT0_T1_T2_jT3_P12ihipStream_tbPNSt15iterator_traitsISI_E10value_typeEPNSO_ISJ_E10value_typeEPSK_NS1_7vsmem_tEENKUlT_SI_SJ_SK_E_clIPsSD_S10_SD_EESH_SX_SI_SJ_SK_EUlSX_E1_NS1_11comp_targetILNS1_3genE9ELNS1_11target_archE1100ELNS1_3gpuE3ELNS1_3repE0EEENS1_36merge_oddeven_config_static_selectorELNS0_4arch9wavefront6targetE1EEEvSJ_
; %bb.0:
	.section	.rodata,"a",@progbits
	.p2align	6, 0x0
	.amdhsa_kernel _ZN7rocprim17ROCPRIM_400000_NS6detail17trampoline_kernelINS0_14default_configENS1_38merge_sort_block_merge_config_selectorIssEEZZNS1_27merge_sort_block_merge_implIS3_N6thrust23THRUST_200600_302600_NS6detail15normal_iteratorINS8_10device_ptrIsEEEESD_jNS1_19radix_merge_compareILb0ELb0EsNS0_19identity_decomposerEEEEE10hipError_tT0_T1_T2_jT3_P12ihipStream_tbPNSt15iterator_traitsISI_E10value_typeEPNSO_ISJ_E10value_typeEPSK_NS1_7vsmem_tEENKUlT_SI_SJ_SK_E_clIPsSD_S10_SD_EESH_SX_SI_SJ_SK_EUlSX_E1_NS1_11comp_targetILNS1_3genE9ELNS1_11target_archE1100ELNS1_3gpuE3ELNS1_3repE0EEENS1_36merge_oddeven_config_static_selectorELNS0_4arch9wavefront6targetE1EEEvSJ_
		.amdhsa_group_segment_fixed_size 0
		.amdhsa_private_segment_fixed_size 0
		.amdhsa_kernarg_size 48
		.amdhsa_user_sgpr_count 2
		.amdhsa_user_sgpr_dispatch_ptr 0
		.amdhsa_user_sgpr_queue_ptr 0
		.amdhsa_user_sgpr_kernarg_segment_ptr 1
		.amdhsa_user_sgpr_dispatch_id 0
		.amdhsa_user_sgpr_kernarg_preload_length 0
		.amdhsa_user_sgpr_kernarg_preload_offset 0
		.amdhsa_user_sgpr_private_segment_size 0
		.amdhsa_uses_dynamic_stack 0
		.amdhsa_enable_private_segment 0
		.amdhsa_system_sgpr_workgroup_id_x 1
		.amdhsa_system_sgpr_workgroup_id_y 0
		.amdhsa_system_sgpr_workgroup_id_z 0
		.amdhsa_system_sgpr_workgroup_info 0
		.amdhsa_system_vgpr_workitem_id 0
		.amdhsa_next_free_vgpr 1
		.amdhsa_next_free_sgpr 0
		.amdhsa_accum_offset 4
		.amdhsa_reserve_vcc 0
		.amdhsa_float_round_mode_32 0
		.amdhsa_float_round_mode_16_64 0
		.amdhsa_float_denorm_mode_32 3
		.amdhsa_float_denorm_mode_16_64 3
		.amdhsa_dx10_clamp 1
		.amdhsa_ieee_mode 1
		.amdhsa_fp16_overflow 0
		.amdhsa_tg_split 0
		.amdhsa_exception_fp_ieee_invalid_op 0
		.amdhsa_exception_fp_denorm_src 0
		.amdhsa_exception_fp_ieee_div_zero 0
		.amdhsa_exception_fp_ieee_overflow 0
		.amdhsa_exception_fp_ieee_underflow 0
		.amdhsa_exception_fp_ieee_inexact 0
		.amdhsa_exception_int_div_zero 0
	.end_amdhsa_kernel
	.section	.text._ZN7rocprim17ROCPRIM_400000_NS6detail17trampoline_kernelINS0_14default_configENS1_38merge_sort_block_merge_config_selectorIssEEZZNS1_27merge_sort_block_merge_implIS3_N6thrust23THRUST_200600_302600_NS6detail15normal_iteratorINS8_10device_ptrIsEEEESD_jNS1_19radix_merge_compareILb0ELb0EsNS0_19identity_decomposerEEEEE10hipError_tT0_T1_T2_jT3_P12ihipStream_tbPNSt15iterator_traitsISI_E10value_typeEPNSO_ISJ_E10value_typeEPSK_NS1_7vsmem_tEENKUlT_SI_SJ_SK_E_clIPsSD_S10_SD_EESH_SX_SI_SJ_SK_EUlSX_E1_NS1_11comp_targetILNS1_3genE9ELNS1_11target_archE1100ELNS1_3gpuE3ELNS1_3repE0EEENS1_36merge_oddeven_config_static_selectorELNS0_4arch9wavefront6targetE1EEEvSJ_,"axG",@progbits,_ZN7rocprim17ROCPRIM_400000_NS6detail17trampoline_kernelINS0_14default_configENS1_38merge_sort_block_merge_config_selectorIssEEZZNS1_27merge_sort_block_merge_implIS3_N6thrust23THRUST_200600_302600_NS6detail15normal_iteratorINS8_10device_ptrIsEEEESD_jNS1_19radix_merge_compareILb0ELb0EsNS0_19identity_decomposerEEEEE10hipError_tT0_T1_T2_jT3_P12ihipStream_tbPNSt15iterator_traitsISI_E10value_typeEPNSO_ISJ_E10value_typeEPSK_NS1_7vsmem_tEENKUlT_SI_SJ_SK_E_clIPsSD_S10_SD_EESH_SX_SI_SJ_SK_EUlSX_E1_NS1_11comp_targetILNS1_3genE9ELNS1_11target_archE1100ELNS1_3gpuE3ELNS1_3repE0EEENS1_36merge_oddeven_config_static_selectorELNS0_4arch9wavefront6targetE1EEEvSJ_,comdat
.Lfunc_end1532:
	.size	_ZN7rocprim17ROCPRIM_400000_NS6detail17trampoline_kernelINS0_14default_configENS1_38merge_sort_block_merge_config_selectorIssEEZZNS1_27merge_sort_block_merge_implIS3_N6thrust23THRUST_200600_302600_NS6detail15normal_iteratorINS8_10device_ptrIsEEEESD_jNS1_19radix_merge_compareILb0ELb0EsNS0_19identity_decomposerEEEEE10hipError_tT0_T1_T2_jT3_P12ihipStream_tbPNSt15iterator_traitsISI_E10value_typeEPNSO_ISJ_E10value_typeEPSK_NS1_7vsmem_tEENKUlT_SI_SJ_SK_E_clIPsSD_S10_SD_EESH_SX_SI_SJ_SK_EUlSX_E1_NS1_11comp_targetILNS1_3genE9ELNS1_11target_archE1100ELNS1_3gpuE3ELNS1_3repE0EEENS1_36merge_oddeven_config_static_selectorELNS0_4arch9wavefront6targetE1EEEvSJ_, .Lfunc_end1532-_ZN7rocprim17ROCPRIM_400000_NS6detail17trampoline_kernelINS0_14default_configENS1_38merge_sort_block_merge_config_selectorIssEEZZNS1_27merge_sort_block_merge_implIS3_N6thrust23THRUST_200600_302600_NS6detail15normal_iteratorINS8_10device_ptrIsEEEESD_jNS1_19radix_merge_compareILb0ELb0EsNS0_19identity_decomposerEEEEE10hipError_tT0_T1_T2_jT3_P12ihipStream_tbPNSt15iterator_traitsISI_E10value_typeEPNSO_ISJ_E10value_typeEPSK_NS1_7vsmem_tEENKUlT_SI_SJ_SK_E_clIPsSD_S10_SD_EESH_SX_SI_SJ_SK_EUlSX_E1_NS1_11comp_targetILNS1_3genE9ELNS1_11target_archE1100ELNS1_3gpuE3ELNS1_3repE0EEENS1_36merge_oddeven_config_static_selectorELNS0_4arch9wavefront6targetE1EEEvSJ_
                                        ; -- End function
	.set _ZN7rocprim17ROCPRIM_400000_NS6detail17trampoline_kernelINS0_14default_configENS1_38merge_sort_block_merge_config_selectorIssEEZZNS1_27merge_sort_block_merge_implIS3_N6thrust23THRUST_200600_302600_NS6detail15normal_iteratorINS8_10device_ptrIsEEEESD_jNS1_19radix_merge_compareILb0ELb0EsNS0_19identity_decomposerEEEEE10hipError_tT0_T1_T2_jT3_P12ihipStream_tbPNSt15iterator_traitsISI_E10value_typeEPNSO_ISJ_E10value_typeEPSK_NS1_7vsmem_tEENKUlT_SI_SJ_SK_E_clIPsSD_S10_SD_EESH_SX_SI_SJ_SK_EUlSX_E1_NS1_11comp_targetILNS1_3genE9ELNS1_11target_archE1100ELNS1_3gpuE3ELNS1_3repE0EEENS1_36merge_oddeven_config_static_selectorELNS0_4arch9wavefront6targetE1EEEvSJ_.num_vgpr, 0
	.set _ZN7rocprim17ROCPRIM_400000_NS6detail17trampoline_kernelINS0_14default_configENS1_38merge_sort_block_merge_config_selectorIssEEZZNS1_27merge_sort_block_merge_implIS3_N6thrust23THRUST_200600_302600_NS6detail15normal_iteratorINS8_10device_ptrIsEEEESD_jNS1_19radix_merge_compareILb0ELb0EsNS0_19identity_decomposerEEEEE10hipError_tT0_T1_T2_jT3_P12ihipStream_tbPNSt15iterator_traitsISI_E10value_typeEPNSO_ISJ_E10value_typeEPSK_NS1_7vsmem_tEENKUlT_SI_SJ_SK_E_clIPsSD_S10_SD_EESH_SX_SI_SJ_SK_EUlSX_E1_NS1_11comp_targetILNS1_3genE9ELNS1_11target_archE1100ELNS1_3gpuE3ELNS1_3repE0EEENS1_36merge_oddeven_config_static_selectorELNS0_4arch9wavefront6targetE1EEEvSJ_.num_agpr, 0
	.set _ZN7rocprim17ROCPRIM_400000_NS6detail17trampoline_kernelINS0_14default_configENS1_38merge_sort_block_merge_config_selectorIssEEZZNS1_27merge_sort_block_merge_implIS3_N6thrust23THRUST_200600_302600_NS6detail15normal_iteratorINS8_10device_ptrIsEEEESD_jNS1_19radix_merge_compareILb0ELb0EsNS0_19identity_decomposerEEEEE10hipError_tT0_T1_T2_jT3_P12ihipStream_tbPNSt15iterator_traitsISI_E10value_typeEPNSO_ISJ_E10value_typeEPSK_NS1_7vsmem_tEENKUlT_SI_SJ_SK_E_clIPsSD_S10_SD_EESH_SX_SI_SJ_SK_EUlSX_E1_NS1_11comp_targetILNS1_3genE9ELNS1_11target_archE1100ELNS1_3gpuE3ELNS1_3repE0EEENS1_36merge_oddeven_config_static_selectorELNS0_4arch9wavefront6targetE1EEEvSJ_.numbered_sgpr, 0
	.set _ZN7rocprim17ROCPRIM_400000_NS6detail17trampoline_kernelINS0_14default_configENS1_38merge_sort_block_merge_config_selectorIssEEZZNS1_27merge_sort_block_merge_implIS3_N6thrust23THRUST_200600_302600_NS6detail15normal_iteratorINS8_10device_ptrIsEEEESD_jNS1_19radix_merge_compareILb0ELb0EsNS0_19identity_decomposerEEEEE10hipError_tT0_T1_T2_jT3_P12ihipStream_tbPNSt15iterator_traitsISI_E10value_typeEPNSO_ISJ_E10value_typeEPSK_NS1_7vsmem_tEENKUlT_SI_SJ_SK_E_clIPsSD_S10_SD_EESH_SX_SI_SJ_SK_EUlSX_E1_NS1_11comp_targetILNS1_3genE9ELNS1_11target_archE1100ELNS1_3gpuE3ELNS1_3repE0EEENS1_36merge_oddeven_config_static_selectorELNS0_4arch9wavefront6targetE1EEEvSJ_.num_named_barrier, 0
	.set _ZN7rocprim17ROCPRIM_400000_NS6detail17trampoline_kernelINS0_14default_configENS1_38merge_sort_block_merge_config_selectorIssEEZZNS1_27merge_sort_block_merge_implIS3_N6thrust23THRUST_200600_302600_NS6detail15normal_iteratorINS8_10device_ptrIsEEEESD_jNS1_19radix_merge_compareILb0ELb0EsNS0_19identity_decomposerEEEEE10hipError_tT0_T1_T2_jT3_P12ihipStream_tbPNSt15iterator_traitsISI_E10value_typeEPNSO_ISJ_E10value_typeEPSK_NS1_7vsmem_tEENKUlT_SI_SJ_SK_E_clIPsSD_S10_SD_EESH_SX_SI_SJ_SK_EUlSX_E1_NS1_11comp_targetILNS1_3genE9ELNS1_11target_archE1100ELNS1_3gpuE3ELNS1_3repE0EEENS1_36merge_oddeven_config_static_selectorELNS0_4arch9wavefront6targetE1EEEvSJ_.private_seg_size, 0
	.set _ZN7rocprim17ROCPRIM_400000_NS6detail17trampoline_kernelINS0_14default_configENS1_38merge_sort_block_merge_config_selectorIssEEZZNS1_27merge_sort_block_merge_implIS3_N6thrust23THRUST_200600_302600_NS6detail15normal_iteratorINS8_10device_ptrIsEEEESD_jNS1_19radix_merge_compareILb0ELb0EsNS0_19identity_decomposerEEEEE10hipError_tT0_T1_T2_jT3_P12ihipStream_tbPNSt15iterator_traitsISI_E10value_typeEPNSO_ISJ_E10value_typeEPSK_NS1_7vsmem_tEENKUlT_SI_SJ_SK_E_clIPsSD_S10_SD_EESH_SX_SI_SJ_SK_EUlSX_E1_NS1_11comp_targetILNS1_3genE9ELNS1_11target_archE1100ELNS1_3gpuE3ELNS1_3repE0EEENS1_36merge_oddeven_config_static_selectorELNS0_4arch9wavefront6targetE1EEEvSJ_.uses_vcc, 0
	.set _ZN7rocprim17ROCPRIM_400000_NS6detail17trampoline_kernelINS0_14default_configENS1_38merge_sort_block_merge_config_selectorIssEEZZNS1_27merge_sort_block_merge_implIS3_N6thrust23THRUST_200600_302600_NS6detail15normal_iteratorINS8_10device_ptrIsEEEESD_jNS1_19radix_merge_compareILb0ELb0EsNS0_19identity_decomposerEEEEE10hipError_tT0_T1_T2_jT3_P12ihipStream_tbPNSt15iterator_traitsISI_E10value_typeEPNSO_ISJ_E10value_typeEPSK_NS1_7vsmem_tEENKUlT_SI_SJ_SK_E_clIPsSD_S10_SD_EESH_SX_SI_SJ_SK_EUlSX_E1_NS1_11comp_targetILNS1_3genE9ELNS1_11target_archE1100ELNS1_3gpuE3ELNS1_3repE0EEENS1_36merge_oddeven_config_static_selectorELNS0_4arch9wavefront6targetE1EEEvSJ_.uses_flat_scratch, 0
	.set _ZN7rocprim17ROCPRIM_400000_NS6detail17trampoline_kernelINS0_14default_configENS1_38merge_sort_block_merge_config_selectorIssEEZZNS1_27merge_sort_block_merge_implIS3_N6thrust23THRUST_200600_302600_NS6detail15normal_iteratorINS8_10device_ptrIsEEEESD_jNS1_19radix_merge_compareILb0ELb0EsNS0_19identity_decomposerEEEEE10hipError_tT0_T1_T2_jT3_P12ihipStream_tbPNSt15iterator_traitsISI_E10value_typeEPNSO_ISJ_E10value_typeEPSK_NS1_7vsmem_tEENKUlT_SI_SJ_SK_E_clIPsSD_S10_SD_EESH_SX_SI_SJ_SK_EUlSX_E1_NS1_11comp_targetILNS1_3genE9ELNS1_11target_archE1100ELNS1_3gpuE3ELNS1_3repE0EEENS1_36merge_oddeven_config_static_selectorELNS0_4arch9wavefront6targetE1EEEvSJ_.has_dyn_sized_stack, 0
	.set _ZN7rocprim17ROCPRIM_400000_NS6detail17trampoline_kernelINS0_14default_configENS1_38merge_sort_block_merge_config_selectorIssEEZZNS1_27merge_sort_block_merge_implIS3_N6thrust23THRUST_200600_302600_NS6detail15normal_iteratorINS8_10device_ptrIsEEEESD_jNS1_19radix_merge_compareILb0ELb0EsNS0_19identity_decomposerEEEEE10hipError_tT0_T1_T2_jT3_P12ihipStream_tbPNSt15iterator_traitsISI_E10value_typeEPNSO_ISJ_E10value_typeEPSK_NS1_7vsmem_tEENKUlT_SI_SJ_SK_E_clIPsSD_S10_SD_EESH_SX_SI_SJ_SK_EUlSX_E1_NS1_11comp_targetILNS1_3genE9ELNS1_11target_archE1100ELNS1_3gpuE3ELNS1_3repE0EEENS1_36merge_oddeven_config_static_selectorELNS0_4arch9wavefront6targetE1EEEvSJ_.has_recursion, 0
	.set _ZN7rocprim17ROCPRIM_400000_NS6detail17trampoline_kernelINS0_14default_configENS1_38merge_sort_block_merge_config_selectorIssEEZZNS1_27merge_sort_block_merge_implIS3_N6thrust23THRUST_200600_302600_NS6detail15normal_iteratorINS8_10device_ptrIsEEEESD_jNS1_19radix_merge_compareILb0ELb0EsNS0_19identity_decomposerEEEEE10hipError_tT0_T1_T2_jT3_P12ihipStream_tbPNSt15iterator_traitsISI_E10value_typeEPNSO_ISJ_E10value_typeEPSK_NS1_7vsmem_tEENKUlT_SI_SJ_SK_E_clIPsSD_S10_SD_EESH_SX_SI_SJ_SK_EUlSX_E1_NS1_11comp_targetILNS1_3genE9ELNS1_11target_archE1100ELNS1_3gpuE3ELNS1_3repE0EEENS1_36merge_oddeven_config_static_selectorELNS0_4arch9wavefront6targetE1EEEvSJ_.has_indirect_call, 0
	.section	.AMDGPU.csdata,"",@progbits
; Kernel info:
; codeLenInByte = 0
; TotalNumSgprs: 6
; NumVgprs: 0
; NumAgprs: 0
; TotalNumVgprs: 0
; ScratchSize: 0
; MemoryBound: 0
; FloatMode: 240
; IeeeMode: 1
; LDSByteSize: 0 bytes/workgroup (compile time only)
; SGPRBlocks: 0
; VGPRBlocks: 0
; NumSGPRsForWavesPerEU: 6
; NumVGPRsForWavesPerEU: 1
; AccumOffset: 4
; Occupancy: 8
; WaveLimiterHint : 0
; COMPUTE_PGM_RSRC2:SCRATCH_EN: 0
; COMPUTE_PGM_RSRC2:USER_SGPR: 2
; COMPUTE_PGM_RSRC2:TRAP_HANDLER: 0
; COMPUTE_PGM_RSRC2:TGID_X_EN: 1
; COMPUTE_PGM_RSRC2:TGID_Y_EN: 0
; COMPUTE_PGM_RSRC2:TGID_Z_EN: 0
; COMPUTE_PGM_RSRC2:TIDIG_COMP_CNT: 0
; COMPUTE_PGM_RSRC3_GFX90A:ACCUM_OFFSET: 0
; COMPUTE_PGM_RSRC3_GFX90A:TG_SPLIT: 0
	.section	.text._ZN7rocprim17ROCPRIM_400000_NS6detail17trampoline_kernelINS0_14default_configENS1_38merge_sort_block_merge_config_selectorIssEEZZNS1_27merge_sort_block_merge_implIS3_N6thrust23THRUST_200600_302600_NS6detail15normal_iteratorINS8_10device_ptrIsEEEESD_jNS1_19radix_merge_compareILb0ELb0EsNS0_19identity_decomposerEEEEE10hipError_tT0_T1_T2_jT3_P12ihipStream_tbPNSt15iterator_traitsISI_E10value_typeEPNSO_ISJ_E10value_typeEPSK_NS1_7vsmem_tEENKUlT_SI_SJ_SK_E_clIPsSD_S10_SD_EESH_SX_SI_SJ_SK_EUlSX_E1_NS1_11comp_targetILNS1_3genE8ELNS1_11target_archE1030ELNS1_3gpuE2ELNS1_3repE0EEENS1_36merge_oddeven_config_static_selectorELNS0_4arch9wavefront6targetE1EEEvSJ_,"axG",@progbits,_ZN7rocprim17ROCPRIM_400000_NS6detail17trampoline_kernelINS0_14default_configENS1_38merge_sort_block_merge_config_selectorIssEEZZNS1_27merge_sort_block_merge_implIS3_N6thrust23THRUST_200600_302600_NS6detail15normal_iteratorINS8_10device_ptrIsEEEESD_jNS1_19radix_merge_compareILb0ELb0EsNS0_19identity_decomposerEEEEE10hipError_tT0_T1_T2_jT3_P12ihipStream_tbPNSt15iterator_traitsISI_E10value_typeEPNSO_ISJ_E10value_typeEPSK_NS1_7vsmem_tEENKUlT_SI_SJ_SK_E_clIPsSD_S10_SD_EESH_SX_SI_SJ_SK_EUlSX_E1_NS1_11comp_targetILNS1_3genE8ELNS1_11target_archE1030ELNS1_3gpuE2ELNS1_3repE0EEENS1_36merge_oddeven_config_static_selectorELNS0_4arch9wavefront6targetE1EEEvSJ_,comdat
	.protected	_ZN7rocprim17ROCPRIM_400000_NS6detail17trampoline_kernelINS0_14default_configENS1_38merge_sort_block_merge_config_selectorIssEEZZNS1_27merge_sort_block_merge_implIS3_N6thrust23THRUST_200600_302600_NS6detail15normal_iteratorINS8_10device_ptrIsEEEESD_jNS1_19radix_merge_compareILb0ELb0EsNS0_19identity_decomposerEEEEE10hipError_tT0_T1_T2_jT3_P12ihipStream_tbPNSt15iterator_traitsISI_E10value_typeEPNSO_ISJ_E10value_typeEPSK_NS1_7vsmem_tEENKUlT_SI_SJ_SK_E_clIPsSD_S10_SD_EESH_SX_SI_SJ_SK_EUlSX_E1_NS1_11comp_targetILNS1_3genE8ELNS1_11target_archE1030ELNS1_3gpuE2ELNS1_3repE0EEENS1_36merge_oddeven_config_static_selectorELNS0_4arch9wavefront6targetE1EEEvSJ_ ; -- Begin function _ZN7rocprim17ROCPRIM_400000_NS6detail17trampoline_kernelINS0_14default_configENS1_38merge_sort_block_merge_config_selectorIssEEZZNS1_27merge_sort_block_merge_implIS3_N6thrust23THRUST_200600_302600_NS6detail15normal_iteratorINS8_10device_ptrIsEEEESD_jNS1_19radix_merge_compareILb0ELb0EsNS0_19identity_decomposerEEEEE10hipError_tT0_T1_T2_jT3_P12ihipStream_tbPNSt15iterator_traitsISI_E10value_typeEPNSO_ISJ_E10value_typeEPSK_NS1_7vsmem_tEENKUlT_SI_SJ_SK_E_clIPsSD_S10_SD_EESH_SX_SI_SJ_SK_EUlSX_E1_NS1_11comp_targetILNS1_3genE8ELNS1_11target_archE1030ELNS1_3gpuE2ELNS1_3repE0EEENS1_36merge_oddeven_config_static_selectorELNS0_4arch9wavefront6targetE1EEEvSJ_
	.globl	_ZN7rocprim17ROCPRIM_400000_NS6detail17trampoline_kernelINS0_14default_configENS1_38merge_sort_block_merge_config_selectorIssEEZZNS1_27merge_sort_block_merge_implIS3_N6thrust23THRUST_200600_302600_NS6detail15normal_iteratorINS8_10device_ptrIsEEEESD_jNS1_19radix_merge_compareILb0ELb0EsNS0_19identity_decomposerEEEEE10hipError_tT0_T1_T2_jT3_P12ihipStream_tbPNSt15iterator_traitsISI_E10value_typeEPNSO_ISJ_E10value_typeEPSK_NS1_7vsmem_tEENKUlT_SI_SJ_SK_E_clIPsSD_S10_SD_EESH_SX_SI_SJ_SK_EUlSX_E1_NS1_11comp_targetILNS1_3genE8ELNS1_11target_archE1030ELNS1_3gpuE2ELNS1_3repE0EEENS1_36merge_oddeven_config_static_selectorELNS0_4arch9wavefront6targetE1EEEvSJ_
	.p2align	8
	.type	_ZN7rocprim17ROCPRIM_400000_NS6detail17trampoline_kernelINS0_14default_configENS1_38merge_sort_block_merge_config_selectorIssEEZZNS1_27merge_sort_block_merge_implIS3_N6thrust23THRUST_200600_302600_NS6detail15normal_iteratorINS8_10device_ptrIsEEEESD_jNS1_19radix_merge_compareILb0ELb0EsNS0_19identity_decomposerEEEEE10hipError_tT0_T1_T2_jT3_P12ihipStream_tbPNSt15iterator_traitsISI_E10value_typeEPNSO_ISJ_E10value_typeEPSK_NS1_7vsmem_tEENKUlT_SI_SJ_SK_E_clIPsSD_S10_SD_EESH_SX_SI_SJ_SK_EUlSX_E1_NS1_11comp_targetILNS1_3genE8ELNS1_11target_archE1030ELNS1_3gpuE2ELNS1_3repE0EEENS1_36merge_oddeven_config_static_selectorELNS0_4arch9wavefront6targetE1EEEvSJ_,@function
_ZN7rocprim17ROCPRIM_400000_NS6detail17trampoline_kernelINS0_14default_configENS1_38merge_sort_block_merge_config_selectorIssEEZZNS1_27merge_sort_block_merge_implIS3_N6thrust23THRUST_200600_302600_NS6detail15normal_iteratorINS8_10device_ptrIsEEEESD_jNS1_19radix_merge_compareILb0ELb0EsNS0_19identity_decomposerEEEEE10hipError_tT0_T1_T2_jT3_P12ihipStream_tbPNSt15iterator_traitsISI_E10value_typeEPNSO_ISJ_E10value_typeEPSK_NS1_7vsmem_tEENKUlT_SI_SJ_SK_E_clIPsSD_S10_SD_EESH_SX_SI_SJ_SK_EUlSX_E1_NS1_11comp_targetILNS1_3genE8ELNS1_11target_archE1030ELNS1_3gpuE2ELNS1_3repE0EEENS1_36merge_oddeven_config_static_selectorELNS0_4arch9wavefront6targetE1EEEvSJ_: ; @_ZN7rocprim17ROCPRIM_400000_NS6detail17trampoline_kernelINS0_14default_configENS1_38merge_sort_block_merge_config_selectorIssEEZZNS1_27merge_sort_block_merge_implIS3_N6thrust23THRUST_200600_302600_NS6detail15normal_iteratorINS8_10device_ptrIsEEEESD_jNS1_19radix_merge_compareILb0ELb0EsNS0_19identity_decomposerEEEEE10hipError_tT0_T1_T2_jT3_P12ihipStream_tbPNSt15iterator_traitsISI_E10value_typeEPNSO_ISJ_E10value_typeEPSK_NS1_7vsmem_tEENKUlT_SI_SJ_SK_E_clIPsSD_S10_SD_EESH_SX_SI_SJ_SK_EUlSX_E1_NS1_11comp_targetILNS1_3genE8ELNS1_11target_archE1030ELNS1_3gpuE2ELNS1_3repE0EEENS1_36merge_oddeven_config_static_selectorELNS0_4arch9wavefront6targetE1EEEvSJ_
; %bb.0:
	.section	.rodata,"a",@progbits
	.p2align	6, 0x0
	.amdhsa_kernel _ZN7rocprim17ROCPRIM_400000_NS6detail17trampoline_kernelINS0_14default_configENS1_38merge_sort_block_merge_config_selectorIssEEZZNS1_27merge_sort_block_merge_implIS3_N6thrust23THRUST_200600_302600_NS6detail15normal_iteratorINS8_10device_ptrIsEEEESD_jNS1_19radix_merge_compareILb0ELb0EsNS0_19identity_decomposerEEEEE10hipError_tT0_T1_T2_jT3_P12ihipStream_tbPNSt15iterator_traitsISI_E10value_typeEPNSO_ISJ_E10value_typeEPSK_NS1_7vsmem_tEENKUlT_SI_SJ_SK_E_clIPsSD_S10_SD_EESH_SX_SI_SJ_SK_EUlSX_E1_NS1_11comp_targetILNS1_3genE8ELNS1_11target_archE1030ELNS1_3gpuE2ELNS1_3repE0EEENS1_36merge_oddeven_config_static_selectorELNS0_4arch9wavefront6targetE1EEEvSJ_
		.amdhsa_group_segment_fixed_size 0
		.amdhsa_private_segment_fixed_size 0
		.amdhsa_kernarg_size 48
		.amdhsa_user_sgpr_count 2
		.amdhsa_user_sgpr_dispatch_ptr 0
		.amdhsa_user_sgpr_queue_ptr 0
		.amdhsa_user_sgpr_kernarg_segment_ptr 1
		.amdhsa_user_sgpr_dispatch_id 0
		.amdhsa_user_sgpr_kernarg_preload_length 0
		.amdhsa_user_sgpr_kernarg_preload_offset 0
		.amdhsa_user_sgpr_private_segment_size 0
		.amdhsa_uses_dynamic_stack 0
		.amdhsa_enable_private_segment 0
		.amdhsa_system_sgpr_workgroup_id_x 1
		.amdhsa_system_sgpr_workgroup_id_y 0
		.amdhsa_system_sgpr_workgroup_id_z 0
		.amdhsa_system_sgpr_workgroup_info 0
		.amdhsa_system_vgpr_workitem_id 0
		.amdhsa_next_free_vgpr 1
		.amdhsa_next_free_sgpr 0
		.amdhsa_accum_offset 4
		.amdhsa_reserve_vcc 0
		.amdhsa_float_round_mode_32 0
		.amdhsa_float_round_mode_16_64 0
		.amdhsa_float_denorm_mode_32 3
		.amdhsa_float_denorm_mode_16_64 3
		.amdhsa_dx10_clamp 1
		.amdhsa_ieee_mode 1
		.amdhsa_fp16_overflow 0
		.amdhsa_tg_split 0
		.amdhsa_exception_fp_ieee_invalid_op 0
		.amdhsa_exception_fp_denorm_src 0
		.amdhsa_exception_fp_ieee_div_zero 0
		.amdhsa_exception_fp_ieee_overflow 0
		.amdhsa_exception_fp_ieee_underflow 0
		.amdhsa_exception_fp_ieee_inexact 0
		.amdhsa_exception_int_div_zero 0
	.end_amdhsa_kernel
	.section	.text._ZN7rocprim17ROCPRIM_400000_NS6detail17trampoline_kernelINS0_14default_configENS1_38merge_sort_block_merge_config_selectorIssEEZZNS1_27merge_sort_block_merge_implIS3_N6thrust23THRUST_200600_302600_NS6detail15normal_iteratorINS8_10device_ptrIsEEEESD_jNS1_19radix_merge_compareILb0ELb0EsNS0_19identity_decomposerEEEEE10hipError_tT0_T1_T2_jT3_P12ihipStream_tbPNSt15iterator_traitsISI_E10value_typeEPNSO_ISJ_E10value_typeEPSK_NS1_7vsmem_tEENKUlT_SI_SJ_SK_E_clIPsSD_S10_SD_EESH_SX_SI_SJ_SK_EUlSX_E1_NS1_11comp_targetILNS1_3genE8ELNS1_11target_archE1030ELNS1_3gpuE2ELNS1_3repE0EEENS1_36merge_oddeven_config_static_selectorELNS0_4arch9wavefront6targetE1EEEvSJ_,"axG",@progbits,_ZN7rocprim17ROCPRIM_400000_NS6detail17trampoline_kernelINS0_14default_configENS1_38merge_sort_block_merge_config_selectorIssEEZZNS1_27merge_sort_block_merge_implIS3_N6thrust23THRUST_200600_302600_NS6detail15normal_iteratorINS8_10device_ptrIsEEEESD_jNS1_19radix_merge_compareILb0ELb0EsNS0_19identity_decomposerEEEEE10hipError_tT0_T1_T2_jT3_P12ihipStream_tbPNSt15iterator_traitsISI_E10value_typeEPNSO_ISJ_E10value_typeEPSK_NS1_7vsmem_tEENKUlT_SI_SJ_SK_E_clIPsSD_S10_SD_EESH_SX_SI_SJ_SK_EUlSX_E1_NS1_11comp_targetILNS1_3genE8ELNS1_11target_archE1030ELNS1_3gpuE2ELNS1_3repE0EEENS1_36merge_oddeven_config_static_selectorELNS0_4arch9wavefront6targetE1EEEvSJ_,comdat
.Lfunc_end1533:
	.size	_ZN7rocprim17ROCPRIM_400000_NS6detail17trampoline_kernelINS0_14default_configENS1_38merge_sort_block_merge_config_selectorIssEEZZNS1_27merge_sort_block_merge_implIS3_N6thrust23THRUST_200600_302600_NS6detail15normal_iteratorINS8_10device_ptrIsEEEESD_jNS1_19radix_merge_compareILb0ELb0EsNS0_19identity_decomposerEEEEE10hipError_tT0_T1_T2_jT3_P12ihipStream_tbPNSt15iterator_traitsISI_E10value_typeEPNSO_ISJ_E10value_typeEPSK_NS1_7vsmem_tEENKUlT_SI_SJ_SK_E_clIPsSD_S10_SD_EESH_SX_SI_SJ_SK_EUlSX_E1_NS1_11comp_targetILNS1_3genE8ELNS1_11target_archE1030ELNS1_3gpuE2ELNS1_3repE0EEENS1_36merge_oddeven_config_static_selectorELNS0_4arch9wavefront6targetE1EEEvSJ_, .Lfunc_end1533-_ZN7rocprim17ROCPRIM_400000_NS6detail17trampoline_kernelINS0_14default_configENS1_38merge_sort_block_merge_config_selectorIssEEZZNS1_27merge_sort_block_merge_implIS3_N6thrust23THRUST_200600_302600_NS6detail15normal_iteratorINS8_10device_ptrIsEEEESD_jNS1_19radix_merge_compareILb0ELb0EsNS0_19identity_decomposerEEEEE10hipError_tT0_T1_T2_jT3_P12ihipStream_tbPNSt15iterator_traitsISI_E10value_typeEPNSO_ISJ_E10value_typeEPSK_NS1_7vsmem_tEENKUlT_SI_SJ_SK_E_clIPsSD_S10_SD_EESH_SX_SI_SJ_SK_EUlSX_E1_NS1_11comp_targetILNS1_3genE8ELNS1_11target_archE1030ELNS1_3gpuE2ELNS1_3repE0EEENS1_36merge_oddeven_config_static_selectorELNS0_4arch9wavefront6targetE1EEEvSJ_
                                        ; -- End function
	.set _ZN7rocprim17ROCPRIM_400000_NS6detail17trampoline_kernelINS0_14default_configENS1_38merge_sort_block_merge_config_selectorIssEEZZNS1_27merge_sort_block_merge_implIS3_N6thrust23THRUST_200600_302600_NS6detail15normal_iteratorINS8_10device_ptrIsEEEESD_jNS1_19radix_merge_compareILb0ELb0EsNS0_19identity_decomposerEEEEE10hipError_tT0_T1_T2_jT3_P12ihipStream_tbPNSt15iterator_traitsISI_E10value_typeEPNSO_ISJ_E10value_typeEPSK_NS1_7vsmem_tEENKUlT_SI_SJ_SK_E_clIPsSD_S10_SD_EESH_SX_SI_SJ_SK_EUlSX_E1_NS1_11comp_targetILNS1_3genE8ELNS1_11target_archE1030ELNS1_3gpuE2ELNS1_3repE0EEENS1_36merge_oddeven_config_static_selectorELNS0_4arch9wavefront6targetE1EEEvSJ_.num_vgpr, 0
	.set _ZN7rocprim17ROCPRIM_400000_NS6detail17trampoline_kernelINS0_14default_configENS1_38merge_sort_block_merge_config_selectorIssEEZZNS1_27merge_sort_block_merge_implIS3_N6thrust23THRUST_200600_302600_NS6detail15normal_iteratorINS8_10device_ptrIsEEEESD_jNS1_19radix_merge_compareILb0ELb0EsNS0_19identity_decomposerEEEEE10hipError_tT0_T1_T2_jT3_P12ihipStream_tbPNSt15iterator_traitsISI_E10value_typeEPNSO_ISJ_E10value_typeEPSK_NS1_7vsmem_tEENKUlT_SI_SJ_SK_E_clIPsSD_S10_SD_EESH_SX_SI_SJ_SK_EUlSX_E1_NS1_11comp_targetILNS1_3genE8ELNS1_11target_archE1030ELNS1_3gpuE2ELNS1_3repE0EEENS1_36merge_oddeven_config_static_selectorELNS0_4arch9wavefront6targetE1EEEvSJ_.num_agpr, 0
	.set _ZN7rocprim17ROCPRIM_400000_NS6detail17trampoline_kernelINS0_14default_configENS1_38merge_sort_block_merge_config_selectorIssEEZZNS1_27merge_sort_block_merge_implIS3_N6thrust23THRUST_200600_302600_NS6detail15normal_iteratorINS8_10device_ptrIsEEEESD_jNS1_19radix_merge_compareILb0ELb0EsNS0_19identity_decomposerEEEEE10hipError_tT0_T1_T2_jT3_P12ihipStream_tbPNSt15iterator_traitsISI_E10value_typeEPNSO_ISJ_E10value_typeEPSK_NS1_7vsmem_tEENKUlT_SI_SJ_SK_E_clIPsSD_S10_SD_EESH_SX_SI_SJ_SK_EUlSX_E1_NS1_11comp_targetILNS1_3genE8ELNS1_11target_archE1030ELNS1_3gpuE2ELNS1_3repE0EEENS1_36merge_oddeven_config_static_selectorELNS0_4arch9wavefront6targetE1EEEvSJ_.numbered_sgpr, 0
	.set _ZN7rocprim17ROCPRIM_400000_NS6detail17trampoline_kernelINS0_14default_configENS1_38merge_sort_block_merge_config_selectorIssEEZZNS1_27merge_sort_block_merge_implIS3_N6thrust23THRUST_200600_302600_NS6detail15normal_iteratorINS8_10device_ptrIsEEEESD_jNS1_19radix_merge_compareILb0ELb0EsNS0_19identity_decomposerEEEEE10hipError_tT0_T1_T2_jT3_P12ihipStream_tbPNSt15iterator_traitsISI_E10value_typeEPNSO_ISJ_E10value_typeEPSK_NS1_7vsmem_tEENKUlT_SI_SJ_SK_E_clIPsSD_S10_SD_EESH_SX_SI_SJ_SK_EUlSX_E1_NS1_11comp_targetILNS1_3genE8ELNS1_11target_archE1030ELNS1_3gpuE2ELNS1_3repE0EEENS1_36merge_oddeven_config_static_selectorELNS0_4arch9wavefront6targetE1EEEvSJ_.num_named_barrier, 0
	.set _ZN7rocprim17ROCPRIM_400000_NS6detail17trampoline_kernelINS0_14default_configENS1_38merge_sort_block_merge_config_selectorIssEEZZNS1_27merge_sort_block_merge_implIS3_N6thrust23THRUST_200600_302600_NS6detail15normal_iteratorINS8_10device_ptrIsEEEESD_jNS1_19radix_merge_compareILb0ELb0EsNS0_19identity_decomposerEEEEE10hipError_tT0_T1_T2_jT3_P12ihipStream_tbPNSt15iterator_traitsISI_E10value_typeEPNSO_ISJ_E10value_typeEPSK_NS1_7vsmem_tEENKUlT_SI_SJ_SK_E_clIPsSD_S10_SD_EESH_SX_SI_SJ_SK_EUlSX_E1_NS1_11comp_targetILNS1_3genE8ELNS1_11target_archE1030ELNS1_3gpuE2ELNS1_3repE0EEENS1_36merge_oddeven_config_static_selectorELNS0_4arch9wavefront6targetE1EEEvSJ_.private_seg_size, 0
	.set _ZN7rocprim17ROCPRIM_400000_NS6detail17trampoline_kernelINS0_14default_configENS1_38merge_sort_block_merge_config_selectorIssEEZZNS1_27merge_sort_block_merge_implIS3_N6thrust23THRUST_200600_302600_NS6detail15normal_iteratorINS8_10device_ptrIsEEEESD_jNS1_19radix_merge_compareILb0ELb0EsNS0_19identity_decomposerEEEEE10hipError_tT0_T1_T2_jT3_P12ihipStream_tbPNSt15iterator_traitsISI_E10value_typeEPNSO_ISJ_E10value_typeEPSK_NS1_7vsmem_tEENKUlT_SI_SJ_SK_E_clIPsSD_S10_SD_EESH_SX_SI_SJ_SK_EUlSX_E1_NS1_11comp_targetILNS1_3genE8ELNS1_11target_archE1030ELNS1_3gpuE2ELNS1_3repE0EEENS1_36merge_oddeven_config_static_selectorELNS0_4arch9wavefront6targetE1EEEvSJ_.uses_vcc, 0
	.set _ZN7rocprim17ROCPRIM_400000_NS6detail17trampoline_kernelINS0_14default_configENS1_38merge_sort_block_merge_config_selectorIssEEZZNS1_27merge_sort_block_merge_implIS3_N6thrust23THRUST_200600_302600_NS6detail15normal_iteratorINS8_10device_ptrIsEEEESD_jNS1_19radix_merge_compareILb0ELb0EsNS0_19identity_decomposerEEEEE10hipError_tT0_T1_T2_jT3_P12ihipStream_tbPNSt15iterator_traitsISI_E10value_typeEPNSO_ISJ_E10value_typeEPSK_NS1_7vsmem_tEENKUlT_SI_SJ_SK_E_clIPsSD_S10_SD_EESH_SX_SI_SJ_SK_EUlSX_E1_NS1_11comp_targetILNS1_3genE8ELNS1_11target_archE1030ELNS1_3gpuE2ELNS1_3repE0EEENS1_36merge_oddeven_config_static_selectorELNS0_4arch9wavefront6targetE1EEEvSJ_.uses_flat_scratch, 0
	.set _ZN7rocprim17ROCPRIM_400000_NS6detail17trampoline_kernelINS0_14default_configENS1_38merge_sort_block_merge_config_selectorIssEEZZNS1_27merge_sort_block_merge_implIS3_N6thrust23THRUST_200600_302600_NS6detail15normal_iteratorINS8_10device_ptrIsEEEESD_jNS1_19radix_merge_compareILb0ELb0EsNS0_19identity_decomposerEEEEE10hipError_tT0_T1_T2_jT3_P12ihipStream_tbPNSt15iterator_traitsISI_E10value_typeEPNSO_ISJ_E10value_typeEPSK_NS1_7vsmem_tEENKUlT_SI_SJ_SK_E_clIPsSD_S10_SD_EESH_SX_SI_SJ_SK_EUlSX_E1_NS1_11comp_targetILNS1_3genE8ELNS1_11target_archE1030ELNS1_3gpuE2ELNS1_3repE0EEENS1_36merge_oddeven_config_static_selectorELNS0_4arch9wavefront6targetE1EEEvSJ_.has_dyn_sized_stack, 0
	.set _ZN7rocprim17ROCPRIM_400000_NS6detail17trampoline_kernelINS0_14default_configENS1_38merge_sort_block_merge_config_selectorIssEEZZNS1_27merge_sort_block_merge_implIS3_N6thrust23THRUST_200600_302600_NS6detail15normal_iteratorINS8_10device_ptrIsEEEESD_jNS1_19radix_merge_compareILb0ELb0EsNS0_19identity_decomposerEEEEE10hipError_tT0_T1_T2_jT3_P12ihipStream_tbPNSt15iterator_traitsISI_E10value_typeEPNSO_ISJ_E10value_typeEPSK_NS1_7vsmem_tEENKUlT_SI_SJ_SK_E_clIPsSD_S10_SD_EESH_SX_SI_SJ_SK_EUlSX_E1_NS1_11comp_targetILNS1_3genE8ELNS1_11target_archE1030ELNS1_3gpuE2ELNS1_3repE0EEENS1_36merge_oddeven_config_static_selectorELNS0_4arch9wavefront6targetE1EEEvSJ_.has_recursion, 0
	.set _ZN7rocprim17ROCPRIM_400000_NS6detail17trampoline_kernelINS0_14default_configENS1_38merge_sort_block_merge_config_selectorIssEEZZNS1_27merge_sort_block_merge_implIS3_N6thrust23THRUST_200600_302600_NS6detail15normal_iteratorINS8_10device_ptrIsEEEESD_jNS1_19radix_merge_compareILb0ELb0EsNS0_19identity_decomposerEEEEE10hipError_tT0_T1_T2_jT3_P12ihipStream_tbPNSt15iterator_traitsISI_E10value_typeEPNSO_ISJ_E10value_typeEPSK_NS1_7vsmem_tEENKUlT_SI_SJ_SK_E_clIPsSD_S10_SD_EESH_SX_SI_SJ_SK_EUlSX_E1_NS1_11comp_targetILNS1_3genE8ELNS1_11target_archE1030ELNS1_3gpuE2ELNS1_3repE0EEENS1_36merge_oddeven_config_static_selectorELNS0_4arch9wavefront6targetE1EEEvSJ_.has_indirect_call, 0
	.section	.AMDGPU.csdata,"",@progbits
; Kernel info:
; codeLenInByte = 0
; TotalNumSgprs: 6
; NumVgprs: 0
; NumAgprs: 0
; TotalNumVgprs: 0
; ScratchSize: 0
; MemoryBound: 0
; FloatMode: 240
; IeeeMode: 1
; LDSByteSize: 0 bytes/workgroup (compile time only)
; SGPRBlocks: 0
; VGPRBlocks: 0
; NumSGPRsForWavesPerEU: 6
; NumVGPRsForWavesPerEU: 1
; AccumOffset: 4
; Occupancy: 8
; WaveLimiterHint : 0
; COMPUTE_PGM_RSRC2:SCRATCH_EN: 0
; COMPUTE_PGM_RSRC2:USER_SGPR: 2
; COMPUTE_PGM_RSRC2:TRAP_HANDLER: 0
; COMPUTE_PGM_RSRC2:TGID_X_EN: 1
; COMPUTE_PGM_RSRC2:TGID_Y_EN: 0
; COMPUTE_PGM_RSRC2:TGID_Z_EN: 0
; COMPUTE_PGM_RSRC2:TIDIG_COMP_CNT: 0
; COMPUTE_PGM_RSRC3_GFX90A:ACCUM_OFFSET: 0
; COMPUTE_PGM_RSRC3_GFX90A:TG_SPLIT: 0
	.section	.text._ZN7rocprim17ROCPRIM_400000_NS6detail17trampoline_kernelINS0_14default_configENS1_38merge_sort_block_merge_config_selectorIssEEZZNS1_27merge_sort_block_merge_implIS3_N6thrust23THRUST_200600_302600_NS6detail15normal_iteratorINS8_10device_ptrIsEEEESD_jNS1_19radix_merge_compareILb0ELb0EsNS0_19identity_decomposerEEEEE10hipError_tT0_T1_T2_jT3_P12ihipStream_tbPNSt15iterator_traitsISI_E10value_typeEPNSO_ISJ_E10value_typeEPSK_NS1_7vsmem_tEENKUlT_SI_SJ_SK_E_clISD_PsSD_S10_EESH_SX_SI_SJ_SK_EUlSX_E_NS1_11comp_targetILNS1_3genE0ELNS1_11target_archE4294967295ELNS1_3gpuE0ELNS1_3repE0EEENS1_48merge_mergepath_partition_config_static_selectorELNS0_4arch9wavefront6targetE1EEEvSJ_,"axG",@progbits,_ZN7rocprim17ROCPRIM_400000_NS6detail17trampoline_kernelINS0_14default_configENS1_38merge_sort_block_merge_config_selectorIssEEZZNS1_27merge_sort_block_merge_implIS3_N6thrust23THRUST_200600_302600_NS6detail15normal_iteratorINS8_10device_ptrIsEEEESD_jNS1_19radix_merge_compareILb0ELb0EsNS0_19identity_decomposerEEEEE10hipError_tT0_T1_T2_jT3_P12ihipStream_tbPNSt15iterator_traitsISI_E10value_typeEPNSO_ISJ_E10value_typeEPSK_NS1_7vsmem_tEENKUlT_SI_SJ_SK_E_clISD_PsSD_S10_EESH_SX_SI_SJ_SK_EUlSX_E_NS1_11comp_targetILNS1_3genE0ELNS1_11target_archE4294967295ELNS1_3gpuE0ELNS1_3repE0EEENS1_48merge_mergepath_partition_config_static_selectorELNS0_4arch9wavefront6targetE1EEEvSJ_,comdat
	.protected	_ZN7rocprim17ROCPRIM_400000_NS6detail17trampoline_kernelINS0_14default_configENS1_38merge_sort_block_merge_config_selectorIssEEZZNS1_27merge_sort_block_merge_implIS3_N6thrust23THRUST_200600_302600_NS6detail15normal_iteratorINS8_10device_ptrIsEEEESD_jNS1_19radix_merge_compareILb0ELb0EsNS0_19identity_decomposerEEEEE10hipError_tT0_T1_T2_jT3_P12ihipStream_tbPNSt15iterator_traitsISI_E10value_typeEPNSO_ISJ_E10value_typeEPSK_NS1_7vsmem_tEENKUlT_SI_SJ_SK_E_clISD_PsSD_S10_EESH_SX_SI_SJ_SK_EUlSX_E_NS1_11comp_targetILNS1_3genE0ELNS1_11target_archE4294967295ELNS1_3gpuE0ELNS1_3repE0EEENS1_48merge_mergepath_partition_config_static_selectorELNS0_4arch9wavefront6targetE1EEEvSJ_ ; -- Begin function _ZN7rocprim17ROCPRIM_400000_NS6detail17trampoline_kernelINS0_14default_configENS1_38merge_sort_block_merge_config_selectorIssEEZZNS1_27merge_sort_block_merge_implIS3_N6thrust23THRUST_200600_302600_NS6detail15normal_iteratorINS8_10device_ptrIsEEEESD_jNS1_19radix_merge_compareILb0ELb0EsNS0_19identity_decomposerEEEEE10hipError_tT0_T1_T2_jT3_P12ihipStream_tbPNSt15iterator_traitsISI_E10value_typeEPNSO_ISJ_E10value_typeEPSK_NS1_7vsmem_tEENKUlT_SI_SJ_SK_E_clISD_PsSD_S10_EESH_SX_SI_SJ_SK_EUlSX_E_NS1_11comp_targetILNS1_3genE0ELNS1_11target_archE4294967295ELNS1_3gpuE0ELNS1_3repE0EEENS1_48merge_mergepath_partition_config_static_selectorELNS0_4arch9wavefront6targetE1EEEvSJ_
	.globl	_ZN7rocprim17ROCPRIM_400000_NS6detail17trampoline_kernelINS0_14default_configENS1_38merge_sort_block_merge_config_selectorIssEEZZNS1_27merge_sort_block_merge_implIS3_N6thrust23THRUST_200600_302600_NS6detail15normal_iteratorINS8_10device_ptrIsEEEESD_jNS1_19radix_merge_compareILb0ELb0EsNS0_19identity_decomposerEEEEE10hipError_tT0_T1_T2_jT3_P12ihipStream_tbPNSt15iterator_traitsISI_E10value_typeEPNSO_ISJ_E10value_typeEPSK_NS1_7vsmem_tEENKUlT_SI_SJ_SK_E_clISD_PsSD_S10_EESH_SX_SI_SJ_SK_EUlSX_E_NS1_11comp_targetILNS1_3genE0ELNS1_11target_archE4294967295ELNS1_3gpuE0ELNS1_3repE0EEENS1_48merge_mergepath_partition_config_static_selectorELNS0_4arch9wavefront6targetE1EEEvSJ_
	.p2align	8
	.type	_ZN7rocprim17ROCPRIM_400000_NS6detail17trampoline_kernelINS0_14default_configENS1_38merge_sort_block_merge_config_selectorIssEEZZNS1_27merge_sort_block_merge_implIS3_N6thrust23THRUST_200600_302600_NS6detail15normal_iteratorINS8_10device_ptrIsEEEESD_jNS1_19radix_merge_compareILb0ELb0EsNS0_19identity_decomposerEEEEE10hipError_tT0_T1_T2_jT3_P12ihipStream_tbPNSt15iterator_traitsISI_E10value_typeEPNSO_ISJ_E10value_typeEPSK_NS1_7vsmem_tEENKUlT_SI_SJ_SK_E_clISD_PsSD_S10_EESH_SX_SI_SJ_SK_EUlSX_E_NS1_11comp_targetILNS1_3genE0ELNS1_11target_archE4294967295ELNS1_3gpuE0ELNS1_3repE0EEENS1_48merge_mergepath_partition_config_static_selectorELNS0_4arch9wavefront6targetE1EEEvSJ_,@function
_ZN7rocprim17ROCPRIM_400000_NS6detail17trampoline_kernelINS0_14default_configENS1_38merge_sort_block_merge_config_selectorIssEEZZNS1_27merge_sort_block_merge_implIS3_N6thrust23THRUST_200600_302600_NS6detail15normal_iteratorINS8_10device_ptrIsEEEESD_jNS1_19radix_merge_compareILb0ELb0EsNS0_19identity_decomposerEEEEE10hipError_tT0_T1_T2_jT3_P12ihipStream_tbPNSt15iterator_traitsISI_E10value_typeEPNSO_ISJ_E10value_typeEPSK_NS1_7vsmem_tEENKUlT_SI_SJ_SK_E_clISD_PsSD_S10_EESH_SX_SI_SJ_SK_EUlSX_E_NS1_11comp_targetILNS1_3genE0ELNS1_11target_archE4294967295ELNS1_3gpuE0ELNS1_3repE0EEENS1_48merge_mergepath_partition_config_static_selectorELNS0_4arch9wavefront6targetE1EEEvSJ_: ; @_ZN7rocprim17ROCPRIM_400000_NS6detail17trampoline_kernelINS0_14default_configENS1_38merge_sort_block_merge_config_selectorIssEEZZNS1_27merge_sort_block_merge_implIS3_N6thrust23THRUST_200600_302600_NS6detail15normal_iteratorINS8_10device_ptrIsEEEESD_jNS1_19radix_merge_compareILb0ELb0EsNS0_19identity_decomposerEEEEE10hipError_tT0_T1_T2_jT3_P12ihipStream_tbPNSt15iterator_traitsISI_E10value_typeEPNSO_ISJ_E10value_typeEPSK_NS1_7vsmem_tEENKUlT_SI_SJ_SK_E_clISD_PsSD_S10_EESH_SX_SI_SJ_SK_EUlSX_E_NS1_11comp_targetILNS1_3genE0ELNS1_11target_archE4294967295ELNS1_3gpuE0ELNS1_3repE0EEENS1_48merge_mergepath_partition_config_static_selectorELNS0_4arch9wavefront6targetE1EEEvSJ_
; %bb.0:
	s_load_dword s3, s[0:1], 0x0
	v_lshl_or_b32 v0, s2, 7, v0
	s_waitcnt lgkmcnt(0)
	v_cmp_gt_u32_e32 vcc, s3, v0
	s_and_saveexec_b64 s[2:3], vcc
	s_cbranch_execz .LBB1534_6
; %bb.1:
	s_load_dwordx2 s[4:5], s[0:1], 0x4
	s_load_dwordx2 s[2:3], s[0:1], 0x20
	s_waitcnt lgkmcnt(0)
	s_lshr_b32 s6, s4, 9
	s_and_b32 s6, s6, 0x7ffffe
	s_add_i32 s7, s6, -1
	s_sub_i32 s6, 0, s6
	v_and_b32_e32 v1, s6, v0
	v_lshlrev_b32_e32 v1, 10, v1
	v_min_u32_e32 v2, s5, v1
	v_add_u32_e32 v1, s4, v1
	v_min_u32_e32 v4, s5, v1
	v_add_u32_e32 v1, s4, v4
	v_and_b32_e32 v3, s7, v0
	v_min_u32_e32 v1, s5, v1
	v_sub_u32_e32 v5, v1, v2
	v_lshlrev_b32_e32 v3, 10, v3
	v_min_u32_e32 v10, v5, v3
	v_sub_u32_e32 v3, v4, v2
	v_sub_u32_e32 v1, v1, v4
	v_sub_u32_e64 v1, v10, v1 clamp
	v_min_u32_e32 v11, v10, v3
	v_cmp_lt_u32_e32 vcc, v1, v11
	s_and_saveexec_b64 s[4:5], vcc
	s_cbranch_execz .LBB1534_5
; %bb.2:
	s_load_dwordx2 s[0:1], s[0:1], 0x10
	v_mov_b32_e32 v5, 0
	v_mov_b32_e32 v3, v5
	s_waitcnt lgkmcnt(0)
	v_lshl_add_u64 v[6:7], v[2:3], 1, s[0:1]
	v_lshl_add_u64 v[8:9], v[4:5], 1, s[0:1]
	s_mov_b64 s[0:1], 0
.LBB1534_3:                             ; =>This Inner Loop Header: Depth=1
	v_add_u32_e32 v3, v11, v1
	v_lshrrev_b32_e32 v16, 1, v3
	v_and_b32_e32 v4, -2, v3
	v_mov_b32_e32 v13, v5
	v_xad_u32 v12, v16, -1, v10
	v_lshl_add_u64 v[14:15], v[6:7], 0, v[4:5]
	v_lshl_add_u64 v[12:13], v[12:13], 1, v[8:9]
	flat_load_ushort v3, v[14:15]
	flat_load_ushort v4, v[12:13]
	v_add_u32_e32 v12, 1, v16
	s_waitcnt vmcnt(0) lgkmcnt(0)
	v_cmp_gt_i16_e32 vcc, v3, v4
	s_nop 1
	v_cndmask_b32_e32 v11, v11, v16, vcc
	v_cndmask_b32_e32 v1, v12, v1, vcc
	v_cmp_ge_u32_e32 vcc, v1, v11
	s_or_b64 s[0:1], vcc, s[0:1]
	s_andn2_b64 exec, exec, s[0:1]
	s_cbranch_execnz .LBB1534_3
; %bb.4:
	s_or_b64 exec, exec, s[0:1]
.LBB1534_5:
	s_or_b64 exec, exec, s[4:5]
	v_add_u32_e32 v2, v1, v2
	v_mov_b32_e32 v1, 0
	v_lshl_add_u64 v[0:1], v[0:1], 2, s[2:3]
	global_store_dword v[0:1], v2, off
.LBB1534_6:
	s_endpgm
	.section	.rodata,"a",@progbits
	.p2align	6, 0x0
	.amdhsa_kernel _ZN7rocprim17ROCPRIM_400000_NS6detail17trampoline_kernelINS0_14default_configENS1_38merge_sort_block_merge_config_selectorIssEEZZNS1_27merge_sort_block_merge_implIS3_N6thrust23THRUST_200600_302600_NS6detail15normal_iteratorINS8_10device_ptrIsEEEESD_jNS1_19radix_merge_compareILb0ELb0EsNS0_19identity_decomposerEEEEE10hipError_tT0_T1_T2_jT3_P12ihipStream_tbPNSt15iterator_traitsISI_E10value_typeEPNSO_ISJ_E10value_typeEPSK_NS1_7vsmem_tEENKUlT_SI_SJ_SK_E_clISD_PsSD_S10_EESH_SX_SI_SJ_SK_EUlSX_E_NS1_11comp_targetILNS1_3genE0ELNS1_11target_archE4294967295ELNS1_3gpuE0ELNS1_3repE0EEENS1_48merge_mergepath_partition_config_static_selectorELNS0_4arch9wavefront6targetE1EEEvSJ_
		.amdhsa_group_segment_fixed_size 0
		.amdhsa_private_segment_fixed_size 0
		.amdhsa_kernarg_size 40
		.amdhsa_user_sgpr_count 2
		.amdhsa_user_sgpr_dispatch_ptr 0
		.amdhsa_user_sgpr_queue_ptr 0
		.amdhsa_user_sgpr_kernarg_segment_ptr 1
		.amdhsa_user_sgpr_dispatch_id 0
		.amdhsa_user_sgpr_kernarg_preload_length 0
		.amdhsa_user_sgpr_kernarg_preload_offset 0
		.amdhsa_user_sgpr_private_segment_size 0
		.amdhsa_uses_dynamic_stack 0
		.amdhsa_enable_private_segment 0
		.amdhsa_system_sgpr_workgroup_id_x 1
		.amdhsa_system_sgpr_workgroup_id_y 0
		.amdhsa_system_sgpr_workgroup_id_z 0
		.amdhsa_system_sgpr_workgroup_info 0
		.amdhsa_system_vgpr_workitem_id 0
		.amdhsa_next_free_vgpr 17
		.amdhsa_next_free_sgpr 8
		.amdhsa_accum_offset 20
		.amdhsa_reserve_vcc 1
		.amdhsa_float_round_mode_32 0
		.amdhsa_float_round_mode_16_64 0
		.amdhsa_float_denorm_mode_32 3
		.amdhsa_float_denorm_mode_16_64 3
		.amdhsa_dx10_clamp 1
		.amdhsa_ieee_mode 1
		.amdhsa_fp16_overflow 0
		.amdhsa_tg_split 0
		.amdhsa_exception_fp_ieee_invalid_op 0
		.amdhsa_exception_fp_denorm_src 0
		.amdhsa_exception_fp_ieee_div_zero 0
		.amdhsa_exception_fp_ieee_overflow 0
		.amdhsa_exception_fp_ieee_underflow 0
		.amdhsa_exception_fp_ieee_inexact 0
		.amdhsa_exception_int_div_zero 0
	.end_amdhsa_kernel
	.section	.text._ZN7rocprim17ROCPRIM_400000_NS6detail17trampoline_kernelINS0_14default_configENS1_38merge_sort_block_merge_config_selectorIssEEZZNS1_27merge_sort_block_merge_implIS3_N6thrust23THRUST_200600_302600_NS6detail15normal_iteratorINS8_10device_ptrIsEEEESD_jNS1_19radix_merge_compareILb0ELb0EsNS0_19identity_decomposerEEEEE10hipError_tT0_T1_T2_jT3_P12ihipStream_tbPNSt15iterator_traitsISI_E10value_typeEPNSO_ISJ_E10value_typeEPSK_NS1_7vsmem_tEENKUlT_SI_SJ_SK_E_clISD_PsSD_S10_EESH_SX_SI_SJ_SK_EUlSX_E_NS1_11comp_targetILNS1_3genE0ELNS1_11target_archE4294967295ELNS1_3gpuE0ELNS1_3repE0EEENS1_48merge_mergepath_partition_config_static_selectorELNS0_4arch9wavefront6targetE1EEEvSJ_,"axG",@progbits,_ZN7rocprim17ROCPRIM_400000_NS6detail17trampoline_kernelINS0_14default_configENS1_38merge_sort_block_merge_config_selectorIssEEZZNS1_27merge_sort_block_merge_implIS3_N6thrust23THRUST_200600_302600_NS6detail15normal_iteratorINS8_10device_ptrIsEEEESD_jNS1_19radix_merge_compareILb0ELb0EsNS0_19identity_decomposerEEEEE10hipError_tT0_T1_T2_jT3_P12ihipStream_tbPNSt15iterator_traitsISI_E10value_typeEPNSO_ISJ_E10value_typeEPSK_NS1_7vsmem_tEENKUlT_SI_SJ_SK_E_clISD_PsSD_S10_EESH_SX_SI_SJ_SK_EUlSX_E_NS1_11comp_targetILNS1_3genE0ELNS1_11target_archE4294967295ELNS1_3gpuE0ELNS1_3repE0EEENS1_48merge_mergepath_partition_config_static_selectorELNS0_4arch9wavefront6targetE1EEEvSJ_,comdat
.Lfunc_end1534:
	.size	_ZN7rocprim17ROCPRIM_400000_NS6detail17trampoline_kernelINS0_14default_configENS1_38merge_sort_block_merge_config_selectorIssEEZZNS1_27merge_sort_block_merge_implIS3_N6thrust23THRUST_200600_302600_NS6detail15normal_iteratorINS8_10device_ptrIsEEEESD_jNS1_19radix_merge_compareILb0ELb0EsNS0_19identity_decomposerEEEEE10hipError_tT0_T1_T2_jT3_P12ihipStream_tbPNSt15iterator_traitsISI_E10value_typeEPNSO_ISJ_E10value_typeEPSK_NS1_7vsmem_tEENKUlT_SI_SJ_SK_E_clISD_PsSD_S10_EESH_SX_SI_SJ_SK_EUlSX_E_NS1_11comp_targetILNS1_3genE0ELNS1_11target_archE4294967295ELNS1_3gpuE0ELNS1_3repE0EEENS1_48merge_mergepath_partition_config_static_selectorELNS0_4arch9wavefront6targetE1EEEvSJ_, .Lfunc_end1534-_ZN7rocprim17ROCPRIM_400000_NS6detail17trampoline_kernelINS0_14default_configENS1_38merge_sort_block_merge_config_selectorIssEEZZNS1_27merge_sort_block_merge_implIS3_N6thrust23THRUST_200600_302600_NS6detail15normal_iteratorINS8_10device_ptrIsEEEESD_jNS1_19radix_merge_compareILb0ELb0EsNS0_19identity_decomposerEEEEE10hipError_tT0_T1_T2_jT3_P12ihipStream_tbPNSt15iterator_traitsISI_E10value_typeEPNSO_ISJ_E10value_typeEPSK_NS1_7vsmem_tEENKUlT_SI_SJ_SK_E_clISD_PsSD_S10_EESH_SX_SI_SJ_SK_EUlSX_E_NS1_11comp_targetILNS1_3genE0ELNS1_11target_archE4294967295ELNS1_3gpuE0ELNS1_3repE0EEENS1_48merge_mergepath_partition_config_static_selectorELNS0_4arch9wavefront6targetE1EEEvSJ_
                                        ; -- End function
	.set _ZN7rocprim17ROCPRIM_400000_NS6detail17trampoline_kernelINS0_14default_configENS1_38merge_sort_block_merge_config_selectorIssEEZZNS1_27merge_sort_block_merge_implIS3_N6thrust23THRUST_200600_302600_NS6detail15normal_iteratorINS8_10device_ptrIsEEEESD_jNS1_19radix_merge_compareILb0ELb0EsNS0_19identity_decomposerEEEEE10hipError_tT0_T1_T2_jT3_P12ihipStream_tbPNSt15iterator_traitsISI_E10value_typeEPNSO_ISJ_E10value_typeEPSK_NS1_7vsmem_tEENKUlT_SI_SJ_SK_E_clISD_PsSD_S10_EESH_SX_SI_SJ_SK_EUlSX_E_NS1_11comp_targetILNS1_3genE0ELNS1_11target_archE4294967295ELNS1_3gpuE0ELNS1_3repE0EEENS1_48merge_mergepath_partition_config_static_selectorELNS0_4arch9wavefront6targetE1EEEvSJ_.num_vgpr, 17
	.set _ZN7rocprim17ROCPRIM_400000_NS6detail17trampoline_kernelINS0_14default_configENS1_38merge_sort_block_merge_config_selectorIssEEZZNS1_27merge_sort_block_merge_implIS3_N6thrust23THRUST_200600_302600_NS6detail15normal_iteratorINS8_10device_ptrIsEEEESD_jNS1_19radix_merge_compareILb0ELb0EsNS0_19identity_decomposerEEEEE10hipError_tT0_T1_T2_jT3_P12ihipStream_tbPNSt15iterator_traitsISI_E10value_typeEPNSO_ISJ_E10value_typeEPSK_NS1_7vsmem_tEENKUlT_SI_SJ_SK_E_clISD_PsSD_S10_EESH_SX_SI_SJ_SK_EUlSX_E_NS1_11comp_targetILNS1_3genE0ELNS1_11target_archE4294967295ELNS1_3gpuE0ELNS1_3repE0EEENS1_48merge_mergepath_partition_config_static_selectorELNS0_4arch9wavefront6targetE1EEEvSJ_.num_agpr, 0
	.set _ZN7rocprim17ROCPRIM_400000_NS6detail17trampoline_kernelINS0_14default_configENS1_38merge_sort_block_merge_config_selectorIssEEZZNS1_27merge_sort_block_merge_implIS3_N6thrust23THRUST_200600_302600_NS6detail15normal_iteratorINS8_10device_ptrIsEEEESD_jNS1_19radix_merge_compareILb0ELb0EsNS0_19identity_decomposerEEEEE10hipError_tT0_T1_T2_jT3_P12ihipStream_tbPNSt15iterator_traitsISI_E10value_typeEPNSO_ISJ_E10value_typeEPSK_NS1_7vsmem_tEENKUlT_SI_SJ_SK_E_clISD_PsSD_S10_EESH_SX_SI_SJ_SK_EUlSX_E_NS1_11comp_targetILNS1_3genE0ELNS1_11target_archE4294967295ELNS1_3gpuE0ELNS1_3repE0EEENS1_48merge_mergepath_partition_config_static_selectorELNS0_4arch9wavefront6targetE1EEEvSJ_.numbered_sgpr, 8
	.set _ZN7rocprim17ROCPRIM_400000_NS6detail17trampoline_kernelINS0_14default_configENS1_38merge_sort_block_merge_config_selectorIssEEZZNS1_27merge_sort_block_merge_implIS3_N6thrust23THRUST_200600_302600_NS6detail15normal_iteratorINS8_10device_ptrIsEEEESD_jNS1_19radix_merge_compareILb0ELb0EsNS0_19identity_decomposerEEEEE10hipError_tT0_T1_T2_jT3_P12ihipStream_tbPNSt15iterator_traitsISI_E10value_typeEPNSO_ISJ_E10value_typeEPSK_NS1_7vsmem_tEENKUlT_SI_SJ_SK_E_clISD_PsSD_S10_EESH_SX_SI_SJ_SK_EUlSX_E_NS1_11comp_targetILNS1_3genE0ELNS1_11target_archE4294967295ELNS1_3gpuE0ELNS1_3repE0EEENS1_48merge_mergepath_partition_config_static_selectorELNS0_4arch9wavefront6targetE1EEEvSJ_.num_named_barrier, 0
	.set _ZN7rocprim17ROCPRIM_400000_NS6detail17trampoline_kernelINS0_14default_configENS1_38merge_sort_block_merge_config_selectorIssEEZZNS1_27merge_sort_block_merge_implIS3_N6thrust23THRUST_200600_302600_NS6detail15normal_iteratorINS8_10device_ptrIsEEEESD_jNS1_19radix_merge_compareILb0ELb0EsNS0_19identity_decomposerEEEEE10hipError_tT0_T1_T2_jT3_P12ihipStream_tbPNSt15iterator_traitsISI_E10value_typeEPNSO_ISJ_E10value_typeEPSK_NS1_7vsmem_tEENKUlT_SI_SJ_SK_E_clISD_PsSD_S10_EESH_SX_SI_SJ_SK_EUlSX_E_NS1_11comp_targetILNS1_3genE0ELNS1_11target_archE4294967295ELNS1_3gpuE0ELNS1_3repE0EEENS1_48merge_mergepath_partition_config_static_selectorELNS0_4arch9wavefront6targetE1EEEvSJ_.private_seg_size, 0
	.set _ZN7rocprim17ROCPRIM_400000_NS6detail17trampoline_kernelINS0_14default_configENS1_38merge_sort_block_merge_config_selectorIssEEZZNS1_27merge_sort_block_merge_implIS3_N6thrust23THRUST_200600_302600_NS6detail15normal_iteratorINS8_10device_ptrIsEEEESD_jNS1_19radix_merge_compareILb0ELb0EsNS0_19identity_decomposerEEEEE10hipError_tT0_T1_T2_jT3_P12ihipStream_tbPNSt15iterator_traitsISI_E10value_typeEPNSO_ISJ_E10value_typeEPSK_NS1_7vsmem_tEENKUlT_SI_SJ_SK_E_clISD_PsSD_S10_EESH_SX_SI_SJ_SK_EUlSX_E_NS1_11comp_targetILNS1_3genE0ELNS1_11target_archE4294967295ELNS1_3gpuE0ELNS1_3repE0EEENS1_48merge_mergepath_partition_config_static_selectorELNS0_4arch9wavefront6targetE1EEEvSJ_.uses_vcc, 1
	.set _ZN7rocprim17ROCPRIM_400000_NS6detail17trampoline_kernelINS0_14default_configENS1_38merge_sort_block_merge_config_selectorIssEEZZNS1_27merge_sort_block_merge_implIS3_N6thrust23THRUST_200600_302600_NS6detail15normal_iteratorINS8_10device_ptrIsEEEESD_jNS1_19radix_merge_compareILb0ELb0EsNS0_19identity_decomposerEEEEE10hipError_tT0_T1_T2_jT3_P12ihipStream_tbPNSt15iterator_traitsISI_E10value_typeEPNSO_ISJ_E10value_typeEPSK_NS1_7vsmem_tEENKUlT_SI_SJ_SK_E_clISD_PsSD_S10_EESH_SX_SI_SJ_SK_EUlSX_E_NS1_11comp_targetILNS1_3genE0ELNS1_11target_archE4294967295ELNS1_3gpuE0ELNS1_3repE0EEENS1_48merge_mergepath_partition_config_static_selectorELNS0_4arch9wavefront6targetE1EEEvSJ_.uses_flat_scratch, 0
	.set _ZN7rocprim17ROCPRIM_400000_NS6detail17trampoline_kernelINS0_14default_configENS1_38merge_sort_block_merge_config_selectorIssEEZZNS1_27merge_sort_block_merge_implIS3_N6thrust23THRUST_200600_302600_NS6detail15normal_iteratorINS8_10device_ptrIsEEEESD_jNS1_19radix_merge_compareILb0ELb0EsNS0_19identity_decomposerEEEEE10hipError_tT0_T1_T2_jT3_P12ihipStream_tbPNSt15iterator_traitsISI_E10value_typeEPNSO_ISJ_E10value_typeEPSK_NS1_7vsmem_tEENKUlT_SI_SJ_SK_E_clISD_PsSD_S10_EESH_SX_SI_SJ_SK_EUlSX_E_NS1_11comp_targetILNS1_3genE0ELNS1_11target_archE4294967295ELNS1_3gpuE0ELNS1_3repE0EEENS1_48merge_mergepath_partition_config_static_selectorELNS0_4arch9wavefront6targetE1EEEvSJ_.has_dyn_sized_stack, 0
	.set _ZN7rocprim17ROCPRIM_400000_NS6detail17trampoline_kernelINS0_14default_configENS1_38merge_sort_block_merge_config_selectorIssEEZZNS1_27merge_sort_block_merge_implIS3_N6thrust23THRUST_200600_302600_NS6detail15normal_iteratorINS8_10device_ptrIsEEEESD_jNS1_19radix_merge_compareILb0ELb0EsNS0_19identity_decomposerEEEEE10hipError_tT0_T1_T2_jT3_P12ihipStream_tbPNSt15iterator_traitsISI_E10value_typeEPNSO_ISJ_E10value_typeEPSK_NS1_7vsmem_tEENKUlT_SI_SJ_SK_E_clISD_PsSD_S10_EESH_SX_SI_SJ_SK_EUlSX_E_NS1_11comp_targetILNS1_3genE0ELNS1_11target_archE4294967295ELNS1_3gpuE0ELNS1_3repE0EEENS1_48merge_mergepath_partition_config_static_selectorELNS0_4arch9wavefront6targetE1EEEvSJ_.has_recursion, 0
	.set _ZN7rocprim17ROCPRIM_400000_NS6detail17trampoline_kernelINS0_14default_configENS1_38merge_sort_block_merge_config_selectorIssEEZZNS1_27merge_sort_block_merge_implIS3_N6thrust23THRUST_200600_302600_NS6detail15normal_iteratorINS8_10device_ptrIsEEEESD_jNS1_19radix_merge_compareILb0ELb0EsNS0_19identity_decomposerEEEEE10hipError_tT0_T1_T2_jT3_P12ihipStream_tbPNSt15iterator_traitsISI_E10value_typeEPNSO_ISJ_E10value_typeEPSK_NS1_7vsmem_tEENKUlT_SI_SJ_SK_E_clISD_PsSD_S10_EESH_SX_SI_SJ_SK_EUlSX_E_NS1_11comp_targetILNS1_3genE0ELNS1_11target_archE4294967295ELNS1_3gpuE0ELNS1_3repE0EEENS1_48merge_mergepath_partition_config_static_selectorELNS0_4arch9wavefront6targetE1EEEvSJ_.has_indirect_call, 0
	.section	.AMDGPU.csdata,"",@progbits
; Kernel info:
; codeLenInByte = 320
; TotalNumSgprs: 14
; NumVgprs: 17
; NumAgprs: 0
; TotalNumVgprs: 17
; ScratchSize: 0
; MemoryBound: 0
; FloatMode: 240
; IeeeMode: 1
; LDSByteSize: 0 bytes/workgroup (compile time only)
; SGPRBlocks: 1
; VGPRBlocks: 2
; NumSGPRsForWavesPerEU: 14
; NumVGPRsForWavesPerEU: 17
; AccumOffset: 20
; Occupancy: 8
; WaveLimiterHint : 0
; COMPUTE_PGM_RSRC2:SCRATCH_EN: 0
; COMPUTE_PGM_RSRC2:USER_SGPR: 2
; COMPUTE_PGM_RSRC2:TRAP_HANDLER: 0
; COMPUTE_PGM_RSRC2:TGID_X_EN: 1
; COMPUTE_PGM_RSRC2:TGID_Y_EN: 0
; COMPUTE_PGM_RSRC2:TGID_Z_EN: 0
; COMPUTE_PGM_RSRC2:TIDIG_COMP_CNT: 0
; COMPUTE_PGM_RSRC3_GFX90A:ACCUM_OFFSET: 4
; COMPUTE_PGM_RSRC3_GFX90A:TG_SPLIT: 0
	.section	.text._ZN7rocprim17ROCPRIM_400000_NS6detail17trampoline_kernelINS0_14default_configENS1_38merge_sort_block_merge_config_selectorIssEEZZNS1_27merge_sort_block_merge_implIS3_N6thrust23THRUST_200600_302600_NS6detail15normal_iteratorINS8_10device_ptrIsEEEESD_jNS1_19radix_merge_compareILb0ELb0EsNS0_19identity_decomposerEEEEE10hipError_tT0_T1_T2_jT3_P12ihipStream_tbPNSt15iterator_traitsISI_E10value_typeEPNSO_ISJ_E10value_typeEPSK_NS1_7vsmem_tEENKUlT_SI_SJ_SK_E_clISD_PsSD_S10_EESH_SX_SI_SJ_SK_EUlSX_E_NS1_11comp_targetILNS1_3genE10ELNS1_11target_archE1201ELNS1_3gpuE5ELNS1_3repE0EEENS1_48merge_mergepath_partition_config_static_selectorELNS0_4arch9wavefront6targetE1EEEvSJ_,"axG",@progbits,_ZN7rocprim17ROCPRIM_400000_NS6detail17trampoline_kernelINS0_14default_configENS1_38merge_sort_block_merge_config_selectorIssEEZZNS1_27merge_sort_block_merge_implIS3_N6thrust23THRUST_200600_302600_NS6detail15normal_iteratorINS8_10device_ptrIsEEEESD_jNS1_19radix_merge_compareILb0ELb0EsNS0_19identity_decomposerEEEEE10hipError_tT0_T1_T2_jT3_P12ihipStream_tbPNSt15iterator_traitsISI_E10value_typeEPNSO_ISJ_E10value_typeEPSK_NS1_7vsmem_tEENKUlT_SI_SJ_SK_E_clISD_PsSD_S10_EESH_SX_SI_SJ_SK_EUlSX_E_NS1_11comp_targetILNS1_3genE10ELNS1_11target_archE1201ELNS1_3gpuE5ELNS1_3repE0EEENS1_48merge_mergepath_partition_config_static_selectorELNS0_4arch9wavefront6targetE1EEEvSJ_,comdat
	.protected	_ZN7rocprim17ROCPRIM_400000_NS6detail17trampoline_kernelINS0_14default_configENS1_38merge_sort_block_merge_config_selectorIssEEZZNS1_27merge_sort_block_merge_implIS3_N6thrust23THRUST_200600_302600_NS6detail15normal_iteratorINS8_10device_ptrIsEEEESD_jNS1_19radix_merge_compareILb0ELb0EsNS0_19identity_decomposerEEEEE10hipError_tT0_T1_T2_jT3_P12ihipStream_tbPNSt15iterator_traitsISI_E10value_typeEPNSO_ISJ_E10value_typeEPSK_NS1_7vsmem_tEENKUlT_SI_SJ_SK_E_clISD_PsSD_S10_EESH_SX_SI_SJ_SK_EUlSX_E_NS1_11comp_targetILNS1_3genE10ELNS1_11target_archE1201ELNS1_3gpuE5ELNS1_3repE0EEENS1_48merge_mergepath_partition_config_static_selectorELNS0_4arch9wavefront6targetE1EEEvSJ_ ; -- Begin function _ZN7rocprim17ROCPRIM_400000_NS6detail17trampoline_kernelINS0_14default_configENS1_38merge_sort_block_merge_config_selectorIssEEZZNS1_27merge_sort_block_merge_implIS3_N6thrust23THRUST_200600_302600_NS6detail15normal_iteratorINS8_10device_ptrIsEEEESD_jNS1_19radix_merge_compareILb0ELb0EsNS0_19identity_decomposerEEEEE10hipError_tT0_T1_T2_jT3_P12ihipStream_tbPNSt15iterator_traitsISI_E10value_typeEPNSO_ISJ_E10value_typeEPSK_NS1_7vsmem_tEENKUlT_SI_SJ_SK_E_clISD_PsSD_S10_EESH_SX_SI_SJ_SK_EUlSX_E_NS1_11comp_targetILNS1_3genE10ELNS1_11target_archE1201ELNS1_3gpuE5ELNS1_3repE0EEENS1_48merge_mergepath_partition_config_static_selectorELNS0_4arch9wavefront6targetE1EEEvSJ_
	.globl	_ZN7rocprim17ROCPRIM_400000_NS6detail17trampoline_kernelINS0_14default_configENS1_38merge_sort_block_merge_config_selectorIssEEZZNS1_27merge_sort_block_merge_implIS3_N6thrust23THRUST_200600_302600_NS6detail15normal_iteratorINS8_10device_ptrIsEEEESD_jNS1_19radix_merge_compareILb0ELb0EsNS0_19identity_decomposerEEEEE10hipError_tT0_T1_T2_jT3_P12ihipStream_tbPNSt15iterator_traitsISI_E10value_typeEPNSO_ISJ_E10value_typeEPSK_NS1_7vsmem_tEENKUlT_SI_SJ_SK_E_clISD_PsSD_S10_EESH_SX_SI_SJ_SK_EUlSX_E_NS1_11comp_targetILNS1_3genE10ELNS1_11target_archE1201ELNS1_3gpuE5ELNS1_3repE0EEENS1_48merge_mergepath_partition_config_static_selectorELNS0_4arch9wavefront6targetE1EEEvSJ_
	.p2align	8
	.type	_ZN7rocprim17ROCPRIM_400000_NS6detail17trampoline_kernelINS0_14default_configENS1_38merge_sort_block_merge_config_selectorIssEEZZNS1_27merge_sort_block_merge_implIS3_N6thrust23THRUST_200600_302600_NS6detail15normal_iteratorINS8_10device_ptrIsEEEESD_jNS1_19radix_merge_compareILb0ELb0EsNS0_19identity_decomposerEEEEE10hipError_tT0_T1_T2_jT3_P12ihipStream_tbPNSt15iterator_traitsISI_E10value_typeEPNSO_ISJ_E10value_typeEPSK_NS1_7vsmem_tEENKUlT_SI_SJ_SK_E_clISD_PsSD_S10_EESH_SX_SI_SJ_SK_EUlSX_E_NS1_11comp_targetILNS1_3genE10ELNS1_11target_archE1201ELNS1_3gpuE5ELNS1_3repE0EEENS1_48merge_mergepath_partition_config_static_selectorELNS0_4arch9wavefront6targetE1EEEvSJ_,@function
_ZN7rocprim17ROCPRIM_400000_NS6detail17trampoline_kernelINS0_14default_configENS1_38merge_sort_block_merge_config_selectorIssEEZZNS1_27merge_sort_block_merge_implIS3_N6thrust23THRUST_200600_302600_NS6detail15normal_iteratorINS8_10device_ptrIsEEEESD_jNS1_19radix_merge_compareILb0ELb0EsNS0_19identity_decomposerEEEEE10hipError_tT0_T1_T2_jT3_P12ihipStream_tbPNSt15iterator_traitsISI_E10value_typeEPNSO_ISJ_E10value_typeEPSK_NS1_7vsmem_tEENKUlT_SI_SJ_SK_E_clISD_PsSD_S10_EESH_SX_SI_SJ_SK_EUlSX_E_NS1_11comp_targetILNS1_3genE10ELNS1_11target_archE1201ELNS1_3gpuE5ELNS1_3repE0EEENS1_48merge_mergepath_partition_config_static_selectorELNS0_4arch9wavefront6targetE1EEEvSJ_: ; @_ZN7rocprim17ROCPRIM_400000_NS6detail17trampoline_kernelINS0_14default_configENS1_38merge_sort_block_merge_config_selectorIssEEZZNS1_27merge_sort_block_merge_implIS3_N6thrust23THRUST_200600_302600_NS6detail15normal_iteratorINS8_10device_ptrIsEEEESD_jNS1_19radix_merge_compareILb0ELb0EsNS0_19identity_decomposerEEEEE10hipError_tT0_T1_T2_jT3_P12ihipStream_tbPNSt15iterator_traitsISI_E10value_typeEPNSO_ISJ_E10value_typeEPSK_NS1_7vsmem_tEENKUlT_SI_SJ_SK_E_clISD_PsSD_S10_EESH_SX_SI_SJ_SK_EUlSX_E_NS1_11comp_targetILNS1_3genE10ELNS1_11target_archE1201ELNS1_3gpuE5ELNS1_3repE0EEENS1_48merge_mergepath_partition_config_static_selectorELNS0_4arch9wavefront6targetE1EEEvSJ_
; %bb.0:
	.section	.rodata,"a",@progbits
	.p2align	6, 0x0
	.amdhsa_kernel _ZN7rocprim17ROCPRIM_400000_NS6detail17trampoline_kernelINS0_14default_configENS1_38merge_sort_block_merge_config_selectorIssEEZZNS1_27merge_sort_block_merge_implIS3_N6thrust23THRUST_200600_302600_NS6detail15normal_iteratorINS8_10device_ptrIsEEEESD_jNS1_19radix_merge_compareILb0ELb0EsNS0_19identity_decomposerEEEEE10hipError_tT0_T1_T2_jT3_P12ihipStream_tbPNSt15iterator_traitsISI_E10value_typeEPNSO_ISJ_E10value_typeEPSK_NS1_7vsmem_tEENKUlT_SI_SJ_SK_E_clISD_PsSD_S10_EESH_SX_SI_SJ_SK_EUlSX_E_NS1_11comp_targetILNS1_3genE10ELNS1_11target_archE1201ELNS1_3gpuE5ELNS1_3repE0EEENS1_48merge_mergepath_partition_config_static_selectorELNS0_4arch9wavefront6targetE1EEEvSJ_
		.amdhsa_group_segment_fixed_size 0
		.amdhsa_private_segment_fixed_size 0
		.amdhsa_kernarg_size 40
		.amdhsa_user_sgpr_count 2
		.amdhsa_user_sgpr_dispatch_ptr 0
		.amdhsa_user_sgpr_queue_ptr 0
		.amdhsa_user_sgpr_kernarg_segment_ptr 1
		.amdhsa_user_sgpr_dispatch_id 0
		.amdhsa_user_sgpr_kernarg_preload_length 0
		.amdhsa_user_sgpr_kernarg_preload_offset 0
		.amdhsa_user_sgpr_private_segment_size 0
		.amdhsa_uses_dynamic_stack 0
		.amdhsa_enable_private_segment 0
		.amdhsa_system_sgpr_workgroup_id_x 1
		.amdhsa_system_sgpr_workgroup_id_y 0
		.amdhsa_system_sgpr_workgroup_id_z 0
		.amdhsa_system_sgpr_workgroup_info 0
		.amdhsa_system_vgpr_workitem_id 0
		.amdhsa_next_free_vgpr 1
		.amdhsa_next_free_sgpr 0
		.amdhsa_accum_offset 4
		.amdhsa_reserve_vcc 0
		.amdhsa_float_round_mode_32 0
		.amdhsa_float_round_mode_16_64 0
		.amdhsa_float_denorm_mode_32 3
		.amdhsa_float_denorm_mode_16_64 3
		.amdhsa_dx10_clamp 1
		.amdhsa_ieee_mode 1
		.amdhsa_fp16_overflow 0
		.amdhsa_tg_split 0
		.amdhsa_exception_fp_ieee_invalid_op 0
		.amdhsa_exception_fp_denorm_src 0
		.amdhsa_exception_fp_ieee_div_zero 0
		.amdhsa_exception_fp_ieee_overflow 0
		.amdhsa_exception_fp_ieee_underflow 0
		.amdhsa_exception_fp_ieee_inexact 0
		.amdhsa_exception_int_div_zero 0
	.end_amdhsa_kernel
	.section	.text._ZN7rocprim17ROCPRIM_400000_NS6detail17trampoline_kernelINS0_14default_configENS1_38merge_sort_block_merge_config_selectorIssEEZZNS1_27merge_sort_block_merge_implIS3_N6thrust23THRUST_200600_302600_NS6detail15normal_iteratorINS8_10device_ptrIsEEEESD_jNS1_19radix_merge_compareILb0ELb0EsNS0_19identity_decomposerEEEEE10hipError_tT0_T1_T2_jT3_P12ihipStream_tbPNSt15iterator_traitsISI_E10value_typeEPNSO_ISJ_E10value_typeEPSK_NS1_7vsmem_tEENKUlT_SI_SJ_SK_E_clISD_PsSD_S10_EESH_SX_SI_SJ_SK_EUlSX_E_NS1_11comp_targetILNS1_3genE10ELNS1_11target_archE1201ELNS1_3gpuE5ELNS1_3repE0EEENS1_48merge_mergepath_partition_config_static_selectorELNS0_4arch9wavefront6targetE1EEEvSJ_,"axG",@progbits,_ZN7rocprim17ROCPRIM_400000_NS6detail17trampoline_kernelINS0_14default_configENS1_38merge_sort_block_merge_config_selectorIssEEZZNS1_27merge_sort_block_merge_implIS3_N6thrust23THRUST_200600_302600_NS6detail15normal_iteratorINS8_10device_ptrIsEEEESD_jNS1_19radix_merge_compareILb0ELb0EsNS0_19identity_decomposerEEEEE10hipError_tT0_T1_T2_jT3_P12ihipStream_tbPNSt15iterator_traitsISI_E10value_typeEPNSO_ISJ_E10value_typeEPSK_NS1_7vsmem_tEENKUlT_SI_SJ_SK_E_clISD_PsSD_S10_EESH_SX_SI_SJ_SK_EUlSX_E_NS1_11comp_targetILNS1_3genE10ELNS1_11target_archE1201ELNS1_3gpuE5ELNS1_3repE0EEENS1_48merge_mergepath_partition_config_static_selectorELNS0_4arch9wavefront6targetE1EEEvSJ_,comdat
.Lfunc_end1535:
	.size	_ZN7rocprim17ROCPRIM_400000_NS6detail17trampoline_kernelINS0_14default_configENS1_38merge_sort_block_merge_config_selectorIssEEZZNS1_27merge_sort_block_merge_implIS3_N6thrust23THRUST_200600_302600_NS6detail15normal_iteratorINS8_10device_ptrIsEEEESD_jNS1_19radix_merge_compareILb0ELb0EsNS0_19identity_decomposerEEEEE10hipError_tT0_T1_T2_jT3_P12ihipStream_tbPNSt15iterator_traitsISI_E10value_typeEPNSO_ISJ_E10value_typeEPSK_NS1_7vsmem_tEENKUlT_SI_SJ_SK_E_clISD_PsSD_S10_EESH_SX_SI_SJ_SK_EUlSX_E_NS1_11comp_targetILNS1_3genE10ELNS1_11target_archE1201ELNS1_3gpuE5ELNS1_3repE0EEENS1_48merge_mergepath_partition_config_static_selectorELNS0_4arch9wavefront6targetE1EEEvSJ_, .Lfunc_end1535-_ZN7rocprim17ROCPRIM_400000_NS6detail17trampoline_kernelINS0_14default_configENS1_38merge_sort_block_merge_config_selectorIssEEZZNS1_27merge_sort_block_merge_implIS3_N6thrust23THRUST_200600_302600_NS6detail15normal_iteratorINS8_10device_ptrIsEEEESD_jNS1_19radix_merge_compareILb0ELb0EsNS0_19identity_decomposerEEEEE10hipError_tT0_T1_T2_jT3_P12ihipStream_tbPNSt15iterator_traitsISI_E10value_typeEPNSO_ISJ_E10value_typeEPSK_NS1_7vsmem_tEENKUlT_SI_SJ_SK_E_clISD_PsSD_S10_EESH_SX_SI_SJ_SK_EUlSX_E_NS1_11comp_targetILNS1_3genE10ELNS1_11target_archE1201ELNS1_3gpuE5ELNS1_3repE0EEENS1_48merge_mergepath_partition_config_static_selectorELNS0_4arch9wavefront6targetE1EEEvSJ_
                                        ; -- End function
	.set _ZN7rocprim17ROCPRIM_400000_NS6detail17trampoline_kernelINS0_14default_configENS1_38merge_sort_block_merge_config_selectorIssEEZZNS1_27merge_sort_block_merge_implIS3_N6thrust23THRUST_200600_302600_NS6detail15normal_iteratorINS8_10device_ptrIsEEEESD_jNS1_19radix_merge_compareILb0ELb0EsNS0_19identity_decomposerEEEEE10hipError_tT0_T1_T2_jT3_P12ihipStream_tbPNSt15iterator_traitsISI_E10value_typeEPNSO_ISJ_E10value_typeEPSK_NS1_7vsmem_tEENKUlT_SI_SJ_SK_E_clISD_PsSD_S10_EESH_SX_SI_SJ_SK_EUlSX_E_NS1_11comp_targetILNS1_3genE10ELNS1_11target_archE1201ELNS1_3gpuE5ELNS1_3repE0EEENS1_48merge_mergepath_partition_config_static_selectorELNS0_4arch9wavefront6targetE1EEEvSJ_.num_vgpr, 0
	.set _ZN7rocprim17ROCPRIM_400000_NS6detail17trampoline_kernelINS0_14default_configENS1_38merge_sort_block_merge_config_selectorIssEEZZNS1_27merge_sort_block_merge_implIS3_N6thrust23THRUST_200600_302600_NS6detail15normal_iteratorINS8_10device_ptrIsEEEESD_jNS1_19radix_merge_compareILb0ELb0EsNS0_19identity_decomposerEEEEE10hipError_tT0_T1_T2_jT3_P12ihipStream_tbPNSt15iterator_traitsISI_E10value_typeEPNSO_ISJ_E10value_typeEPSK_NS1_7vsmem_tEENKUlT_SI_SJ_SK_E_clISD_PsSD_S10_EESH_SX_SI_SJ_SK_EUlSX_E_NS1_11comp_targetILNS1_3genE10ELNS1_11target_archE1201ELNS1_3gpuE5ELNS1_3repE0EEENS1_48merge_mergepath_partition_config_static_selectorELNS0_4arch9wavefront6targetE1EEEvSJ_.num_agpr, 0
	.set _ZN7rocprim17ROCPRIM_400000_NS6detail17trampoline_kernelINS0_14default_configENS1_38merge_sort_block_merge_config_selectorIssEEZZNS1_27merge_sort_block_merge_implIS3_N6thrust23THRUST_200600_302600_NS6detail15normal_iteratorINS8_10device_ptrIsEEEESD_jNS1_19radix_merge_compareILb0ELb0EsNS0_19identity_decomposerEEEEE10hipError_tT0_T1_T2_jT3_P12ihipStream_tbPNSt15iterator_traitsISI_E10value_typeEPNSO_ISJ_E10value_typeEPSK_NS1_7vsmem_tEENKUlT_SI_SJ_SK_E_clISD_PsSD_S10_EESH_SX_SI_SJ_SK_EUlSX_E_NS1_11comp_targetILNS1_3genE10ELNS1_11target_archE1201ELNS1_3gpuE5ELNS1_3repE0EEENS1_48merge_mergepath_partition_config_static_selectorELNS0_4arch9wavefront6targetE1EEEvSJ_.numbered_sgpr, 0
	.set _ZN7rocprim17ROCPRIM_400000_NS6detail17trampoline_kernelINS0_14default_configENS1_38merge_sort_block_merge_config_selectorIssEEZZNS1_27merge_sort_block_merge_implIS3_N6thrust23THRUST_200600_302600_NS6detail15normal_iteratorINS8_10device_ptrIsEEEESD_jNS1_19radix_merge_compareILb0ELb0EsNS0_19identity_decomposerEEEEE10hipError_tT0_T1_T2_jT3_P12ihipStream_tbPNSt15iterator_traitsISI_E10value_typeEPNSO_ISJ_E10value_typeEPSK_NS1_7vsmem_tEENKUlT_SI_SJ_SK_E_clISD_PsSD_S10_EESH_SX_SI_SJ_SK_EUlSX_E_NS1_11comp_targetILNS1_3genE10ELNS1_11target_archE1201ELNS1_3gpuE5ELNS1_3repE0EEENS1_48merge_mergepath_partition_config_static_selectorELNS0_4arch9wavefront6targetE1EEEvSJ_.num_named_barrier, 0
	.set _ZN7rocprim17ROCPRIM_400000_NS6detail17trampoline_kernelINS0_14default_configENS1_38merge_sort_block_merge_config_selectorIssEEZZNS1_27merge_sort_block_merge_implIS3_N6thrust23THRUST_200600_302600_NS6detail15normal_iteratorINS8_10device_ptrIsEEEESD_jNS1_19radix_merge_compareILb0ELb0EsNS0_19identity_decomposerEEEEE10hipError_tT0_T1_T2_jT3_P12ihipStream_tbPNSt15iterator_traitsISI_E10value_typeEPNSO_ISJ_E10value_typeEPSK_NS1_7vsmem_tEENKUlT_SI_SJ_SK_E_clISD_PsSD_S10_EESH_SX_SI_SJ_SK_EUlSX_E_NS1_11comp_targetILNS1_3genE10ELNS1_11target_archE1201ELNS1_3gpuE5ELNS1_3repE0EEENS1_48merge_mergepath_partition_config_static_selectorELNS0_4arch9wavefront6targetE1EEEvSJ_.private_seg_size, 0
	.set _ZN7rocprim17ROCPRIM_400000_NS6detail17trampoline_kernelINS0_14default_configENS1_38merge_sort_block_merge_config_selectorIssEEZZNS1_27merge_sort_block_merge_implIS3_N6thrust23THRUST_200600_302600_NS6detail15normal_iteratorINS8_10device_ptrIsEEEESD_jNS1_19radix_merge_compareILb0ELb0EsNS0_19identity_decomposerEEEEE10hipError_tT0_T1_T2_jT3_P12ihipStream_tbPNSt15iterator_traitsISI_E10value_typeEPNSO_ISJ_E10value_typeEPSK_NS1_7vsmem_tEENKUlT_SI_SJ_SK_E_clISD_PsSD_S10_EESH_SX_SI_SJ_SK_EUlSX_E_NS1_11comp_targetILNS1_3genE10ELNS1_11target_archE1201ELNS1_3gpuE5ELNS1_3repE0EEENS1_48merge_mergepath_partition_config_static_selectorELNS0_4arch9wavefront6targetE1EEEvSJ_.uses_vcc, 0
	.set _ZN7rocprim17ROCPRIM_400000_NS6detail17trampoline_kernelINS0_14default_configENS1_38merge_sort_block_merge_config_selectorIssEEZZNS1_27merge_sort_block_merge_implIS3_N6thrust23THRUST_200600_302600_NS6detail15normal_iteratorINS8_10device_ptrIsEEEESD_jNS1_19radix_merge_compareILb0ELb0EsNS0_19identity_decomposerEEEEE10hipError_tT0_T1_T2_jT3_P12ihipStream_tbPNSt15iterator_traitsISI_E10value_typeEPNSO_ISJ_E10value_typeEPSK_NS1_7vsmem_tEENKUlT_SI_SJ_SK_E_clISD_PsSD_S10_EESH_SX_SI_SJ_SK_EUlSX_E_NS1_11comp_targetILNS1_3genE10ELNS1_11target_archE1201ELNS1_3gpuE5ELNS1_3repE0EEENS1_48merge_mergepath_partition_config_static_selectorELNS0_4arch9wavefront6targetE1EEEvSJ_.uses_flat_scratch, 0
	.set _ZN7rocprim17ROCPRIM_400000_NS6detail17trampoline_kernelINS0_14default_configENS1_38merge_sort_block_merge_config_selectorIssEEZZNS1_27merge_sort_block_merge_implIS3_N6thrust23THRUST_200600_302600_NS6detail15normal_iteratorINS8_10device_ptrIsEEEESD_jNS1_19radix_merge_compareILb0ELb0EsNS0_19identity_decomposerEEEEE10hipError_tT0_T1_T2_jT3_P12ihipStream_tbPNSt15iterator_traitsISI_E10value_typeEPNSO_ISJ_E10value_typeEPSK_NS1_7vsmem_tEENKUlT_SI_SJ_SK_E_clISD_PsSD_S10_EESH_SX_SI_SJ_SK_EUlSX_E_NS1_11comp_targetILNS1_3genE10ELNS1_11target_archE1201ELNS1_3gpuE5ELNS1_3repE0EEENS1_48merge_mergepath_partition_config_static_selectorELNS0_4arch9wavefront6targetE1EEEvSJ_.has_dyn_sized_stack, 0
	.set _ZN7rocprim17ROCPRIM_400000_NS6detail17trampoline_kernelINS0_14default_configENS1_38merge_sort_block_merge_config_selectorIssEEZZNS1_27merge_sort_block_merge_implIS3_N6thrust23THRUST_200600_302600_NS6detail15normal_iteratorINS8_10device_ptrIsEEEESD_jNS1_19radix_merge_compareILb0ELb0EsNS0_19identity_decomposerEEEEE10hipError_tT0_T1_T2_jT3_P12ihipStream_tbPNSt15iterator_traitsISI_E10value_typeEPNSO_ISJ_E10value_typeEPSK_NS1_7vsmem_tEENKUlT_SI_SJ_SK_E_clISD_PsSD_S10_EESH_SX_SI_SJ_SK_EUlSX_E_NS1_11comp_targetILNS1_3genE10ELNS1_11target_archE1201ELNS1_3gpuE5ELNS1_3repE0EEENS1_48merge_mergepath_partition_config_static_selectorELNS0_4arch9wavefront6targetE1EEEvSJ_.has_recursion, 0
	.set _ZN7rocprim17ROCPRIM_400000_NS6detail17trampoline_kernelINS0_14default_configENS1_38merge_sort_block_merge_config_selectorIssEEZZNS1_27merge_sort_block_merge_implIS3_N6thrust23THRUST_200600_302600_NS6detail15normal_iteratorINS8_10device_ptrIsEEEESD_jNS1_19radix_merge_compareILb0ELb0EsNS0_19identity_decomposerEEEEE10hipError_tT0_T1_T2_jT3_P12ihipStream_tbPNSt15iterator_traitsISI_E10value_typeEPNSO_ISJ_E10value_typeEPSK_NS1_7vsmem_tEENKUlT_SI_SJ_SK_E_clISD_PsSD_S10_EESH_SX_SI_SJ_SK_EUlSX_E_NS1_11comp_targetILNS1_3genE10ELNS1_11target_archE1201ELNS1_3gpuE5ELNS1_3repE0EEENS1_48merge_mergepath_partition_config_static_selectorELNS0_4arch9wavefront6targetE1EEEvSJ_.has_indirect_call, 0
	.section	.AMDGPU.csdata,"",@progbits
; Kernel info:
; codeLenInByte = 0
; TotalNumSgprs: 6
; NumVgprs: 0
; NumAgprs: 0
; TotalNumVgprs: 0
; ScratchSize: 0
; MemoryBound: 0
; FloatMode: 240
; IeeeMode: 1
; LDSByteSize: 0 bytes/workgroup (compile time only)
; SGPRBlocks: 0
; VGPRBlocks: 0
; NumSGPRsForWavesPerEU: 6
; NumVGPRsForWavesPerEU: 1
; AccumOffset: 4
; Occupancy: 8
; WaveLimiterHint : 0
; COMPUTE_PGM_RSRC2:SCRATCH_EN: 0
; COMPUTE_PGM_RSRC2:USER_SGPR: 2
; COMPUTE_PGM_RSRC2:TRAP_HANDLER: 0
; COMPUTE_PGM_RSRC2:TGID_X_EN: 1
; COMPUTE_PGM_RSRC2:TGID_Y_EN: 0
; COMPUTE_PGM_RSRC2:TGID_Z_EN: 0
; COMPUTE_PGM_RSRC2:TIDIG_COMP_CNT: 0
; COMPUTE_PGM_RSRC3_GFX90A:ACCUM_OFFSET: 0
; COMPUTE_PGM_RSRC3_GFX90A:TG_SPLIT: 0
	.section	.text._ZN7rocprim17ROCPRIM_400000_NS6detail17trampoline_kernelINS0_14default_configENS1_38merge_sort_block_merge_config_selectorIssEEZZNS1_27merge_sort_block_merge_implIS3_N6thrust23THRUST_200600_302600_NS6detail15normal_iteratorINS8_10device_ptrIsEEEESD_jNS1_19radix_merge_compareILb0ELb0EsNS0_19identity_decomposerEEEEE10hipError_tT0_T1_T2_jT3_P12ihipStream_tbPNSt15iterator_traitsISI_E10value_typeEPNSO_ISJ_E10value_typeEPSK_NS1_7vsmem_tEENKUlT_SI_SJ_SK_E_clISD_PsSD_S10_EESH_SX_SI_SJ_SK_EUlSX_E_NS1_11comp_targetILNS1_3genE5ELNS1_11target_archE942ELNS1_3gpuE9ELNS1_3repE0EEENS1_48merge_mergepath_partition_config_static_selectorELNS0_4arch9wavefront6targetE1EEEvSJ_,"axG",@progbits,_ZN7rocprim17ROCPRIM_400000_NS6detail17trampoline_kernelINS0_14default_configENS1_38merge_sort_block_merge_config_selectorIssEEZZNS1_27merge_sort_block_merge_implIS3_N6thrust23THRUST_200600_302600_NS6detail15normal_iteratorINS8_10device_ptrIsEEEESD_jNS1_19radix_merge_compareILb0ELb0EsNS0_19identity_decomposerEEEEE10hipError_tT0_T1_T2_jT3_P12ihipStream_tbPNSt15iterator_traitsISI_E10value_typeEPNSO_ISJ_E10value_typeEPSK_NS1_7vsmem_tEENKUlT_SI_SJ_SK_E_clISD_PsSD_S10_EESH_SX_SI_SJ_SK_EUlSX_E_NS1_11comp_targetILNS1_3genE5ELNS1_11target_archE942ELNS1_3gpuE9ELNS1_3repE0EEENS1_48merge_mergepath_partition_config_static_selectorELNS0_4arch9wavefront6targetE1EEEvSJ_,comdat
	.protected	_ZN7rocprim17ROCPRIM_400000_NS6detail17trampoline_kernelINS0_14default_configENS1_38merge_sort_block_merge_config_selectorIssEEZZNS1_27merge_sort_block_merge_implIS3_N6thrust23THRUST_200600_302600_NS6detail15normal_iteratorINS8_10device_ptrIsEEEESD_jNS1_19radix_merge_compareILb0ELb0EsNS0_19identity_decomposerEEEEE10hipError_tT0_T1_T2_jT3_P12ihipStream_tbPNSt15iterator_traitsISI_E10value_typeEPNSO_ISJ_E10value_typeEPSK_NS1_7vsmem_tEENKUlT_SI_SJ_SK_E_clISD_PsSD_S10_EESH_SX_SI_SJ_SK_EUlSX_E_NS1_11comp_targetILNS1_3genE5ELNS1_11target_archE942ELNS1_3gpuE9ELNS1_3repE0EEENS1_48merge_mergepath_partition_config_static_selectorELNS0_4arch9wavefront6targetE1EEEvSJ_ ; -- Begin function _ZN7rocprim17ROCPRIM_400000_NS6detail17trampoline_kernelINS0_14default_configENS1_38merge_sort_block_merge_config_selectorIssEEZZNS1_27merge_sort_block_merge_implIS3_N6thrust23THRUST_200600_302600_NS6detail15normal_iteratorINS8_10device_ptrIsEEEESD_jNS1_19radix_merge_compareILb0ELb0EsNS0_19identity_decomposerEEEEE10hipError_tT0_T1_T2_jT3_P12ihipStream_tbPNSt15iterator_traitsISI_E10value_typeEPNSO_ISJ_E10value_typeEPSK_NS1_7vsmem_tEENKUlT_SI_SJ_SK_E_clISD_PsSD_S10_EESH_SX_SI_SJ_SK_EUlSX_E_NS1_11comp_targetILNS1_3genE5ELNS1_11target_archE942ELNS1_3gpuE9ELNS1_3repE0EEENS1_48merge_mergepath_partition_config_static_selectorELNS0_4arch9wavefront6targetE1EEEvSJ_
	.globl	_ZN7rocprim17ROCPRIM_400000_NS6detail17trampoline_kernelINS0_14default_configENS1_38merge_sort_block_merge_config_selectorIssEEZZNS1_27merge_sort_block_merge_implIS3_N6thrust23THRUST_200600_302600_NS6detail15normal_iteratorINS8_10device_ptrIsEEEESD_jNS1_19radix_merge_compareILb0ELb0EsNS0_19identity_decomposerEEEEE10hipError_tT0_T1_T2_jT3_P12ihipStream_tbPNSt15iterator_traitsISI_E10value_typeEPNSO_ISJ_E10value_typeEPSK_NS1_7vsmem_tEENKUlT_SI_SJ_SK_E_clISD_PsSD_S10_EESH_SX_SI_SJ_SK_EUlSX_E_NS1_11comp_targetILNS1_3genE5ELNS1_11target_archE942ELNS1_3gpuE9ELNS1_3repE0EEENS1_48merge_mergepath_partition_config_static_selectorELNS0_4arch9wavefront6targetE1EEEvSJ_
	.p2align	8
	.type	_ZN7rocprim17ROCPRIM_400000_NS6detail17trampoline_kernelINS0_14default_configENS1_38merge_sort_block_merge_config_selectorIssEEZZNS1_27merge_sort_block_merge_implIS3_N6thrust23THRUST_200600_302600_NS6detail15normal_iteratorINS8_10device_ptrIsEEEESD_jNS1_19radix_merge_compareILb0ELb0EsNS0_19identity_decomposerEEEEE10hipError_tT0_T1_T2_jT3_P12ihipStream_tbPNSt15iterator_traitsISI_E10value_typeEPNSO_ISJ_E10value_typeEPSK_NS1_7vsmem_tEENKUlT_SI_SJ_SK_E_clISD_PsSD_S10_EESH_SX_SI_SJ_SK_EUlSX_E_NS1_11comp_targetILNS1_3genE5ELNS1_11target_archE942ELNS1_3gpuE9ELNS1_3repE0EEENS1_48merge_mergepath_partition_config_static_selectorELNS0_4arch9wavefront6targetE1EEEvSJ_,@function
_ZN7rocprim17ROCPRIM_400000_NS6detail17trampoline_kernelINS0_14default_configENS1_38merge_sort_block_merge_config_selectorIssEEZZNS1_27merge_sort_block_merge_implIS3_N6thrust23THRUST_200600_302600_NS6detail15normal_iteratorINS8_10device_ptrIsEEEESD_jNS1_19radix_merge_compareILb0ELb0EsNS0_19identity_decomposerEEEEE10hipError_tT0_T1_T2_jT3_P12ihipStream_tbPNSt15iterator_traitsISI_E10value_typeEPNSO_ISJ_E10value_typeEPSK_NS1_7vsmem_tEENKUlT_SI_SJ_SK_E_clISD_PsSD_S10_EESH_SX_SI_SJ_SK_EUlSX_E_NS1_11comp_targetILNS1_3genE5ELNS1_11target_archE942ELNS1_3gpuE9ELNS1_3repE0EEENS1_48merge_mergepath_partition_config_static_selectorELNS0_4arch9wavefront6targetE1EEEvSJ_: ; @_ZN7rocprim17ROCPRIM_400000_NS6detail17trampoline_kernelINS0_14default_configENS1_38merge_sort_block_merge_config_selectorIssEEZZNS1_27merge_sort_block_merge_implIS3_N6thrust23THRUST_200600_302600_NS6detail15normal_iteratorINS8_10device_ptrIsEEEESD_jNS1_19radix_merge_compareILb0ELb0EsNS0_19identity_decomposerEEEEE10hipError_tT0_T1_T2_jT3_P12ihipStream_tbPNSt15iterator_traitsISI_E10value_typeEPNSO_ISJ_E10value_typeEPSK_NS1_7vsmem_tEENKUlT_SI_SJ_SK_E_clISD_PsSD_S10_EESH_SX_SI_SJ_SK_EUlSX_E_NS1_11comp_targetILNS1_3genE5ELNS1_11target_archE942ELNS1_3gpuE9ELNS1_3repE0EEENS1_48merge_mergepath_partition_config_static_selectorELNS0_4arch9wavefront6targetE1EEEvSJ_
; %bb.0:
	.section	.rodata,"a",@progbits
	.p2align	6, 0x0
	.amdhsa_kernel _ZN7rocprim17ROCPRIM_400000_NS6detail17trampoline_kernelINS0_14default_configENS1_38merge_sort_block_merge_config_selectorIssEEZZNS1_27merge_sort_block_merge_implIS3_N6thrust23THRUST_200600_302600_NS6detail15normal_iteratorINS8_10device_ptrIsEEEESD_jNS1_19radix_merge_compareILb0ELb0EsNS0_19identity_decomposerEEEEE10hipError_tT0_T1_T2_jT3_P12ihipStream_tbPNSt15iterator_traitsISI_E10value_typeEPNSO_ISJ_E10value_typeEPSK_NS1_7vsmem_tEENKUlT_SI_SJ_SK_E_clISD_PsSD_S10_EESH_SX_SI_SJ_SK_EUlSX_E_NS1_11comp_targetILNS1_3genE5ELNS1_11target_archE942ELNS1_3gpuE9ELNS1_3repE0EEENS1_48merge_mergepath_partition_config_static_selectorELNS0_4arch9wavefront6targetE1EEEvSJ_
		.amdhsa_group_segment_fixed_size 0
		.amdhsa_private_segment_fixed_size 0
		.amdhsa_kernarg_size 40
		.amdhsa_user_sgpr_count 2
		.amdhsa_user_sgpr_dispatch_ptr 0
		.amdhsa_user_sgpr_queue_ptr 0
		.amdhsa_user_sgpr_kernarg_segment_ptr 1
		.amdhsa_user_sgpr_dispatch_id 0
		.amdhsa_user_sgpr_kernarg_preload_length 0
		.amdhsa_user_sgpr_kernarg_preload_offset 0
		.amdhsa_user_sgpr_private_segment_size 0
		.amdhsa_uses_dynamic_stack 0
		.amdhsa_enable_private_segment 0
		.amdhsa_system_sgpr_workgroup_id_x 1
		.amdhsa_system_sgpr_workgroup_id_y 0
		.amdhsa_system_sgpr_workgroup_id_z 0
		.amdhsa_system_sgpr_workgroup_info 0
		.amdhsa_system_vgpr_workitem_id 0
		.amdhsa_next_free_vgpr 1
		.amdhsa_next_free_sgpr 0
		.amdhsa_accum_offset 4
		.amdhsa_reserve_vcc 0
		.amdhsa_float_round_mode_32 0
		.amdhsa_float_round_mode_16_64 0
		.amdhsa_float_denorm_mode_32 3
		.amdhsa_float_denorm_mode_16_64 3
		.amdhsa_dx10_clamp 1
		.amdhsa_ieee_mode 1
		.amdhsa_fp16_overflow 0
		.amdhsa_tg_split 0
		.amdhsa_exception_fp_ieee_invalid_op 0
		.amdhsa_exception_fp_denorm_src 0
		.amdhsa_exception_fp_ieee_div_zero 0
		.amdhsa_exception_fp_ieee_overflow 0
		.amdhsa_exception_fp_ieee_underflow 0
		.amdhsa_exception_fp_ieee_inexact 0
		.amdhsa_exception_int_div_zero 0
	.end_amdhsa_kernel
	.section	.text._ZN7rocprim17ROCPRIM_400000_NS6detail17trampoline_kernelINS0_14default_configENS1_38merge_sort_block_merge_config_selectorIssEEZZNS1_27merge_sort_block_merge_implIS3_N6thrust23THRUST_200600_302600_NS6detail15normal_iteratorINS8_10device_ptrIsEEEESD_jNS1_19radix_merge_compareILb0ELb0EsNS0_19identity_decomposerEEEEE10hipError_tT0_T1_T2_jT3_P12ihipStream_tbPNSt15iterator_traitsISI_E10value_typeEPNSO_ISJ_E10value_typeEPSK_NS1_7vsmem_tEENKUlT_SI_SJ_SK_E_clISD_PsSD_S10_EESH_SX_SI_SJ_SK_EUlSX_E_NS1_11comp_targetILNS1_3genE5ELNS1_11target_archE942ELNS1_3gpuE9ELNS1_3repE0EEENS1_48merge_mergepath_partition_config_static_selectorELNS0_4arch9wavefront6targetE1EEEvSJ_,"axG",@progbits,_ZN7rocprim17ROCPRIM_400000_NS6detail17trampoline_kernelINS0_14default_configENS1_38merge_sort_block_merge_config_selectorIssEEZZNS1_27merge_sort_block_merge_implIS3_N6thrust23THRUST_200600_302600_NS6detail15normal_iteratorINS8_10device_ptrIsEEEESD_jNS1_19radix_merge_compareILb0ELb0EsNS0_19identity_decomposerEEEEE10hipError_tT0_T1_T2_jT3_P12ihipStream_tbPNSt15iterator_traitsISI_E10value_typeEPNSO_ISJ_E10value_typeEPSK_NS1_7vsmem_tEENKUlT_SI_SJ_SK_E_clISD_PsSD_S10_EESH_SX_SI_SJ_SK_EUlSX_E_NS1_11comp_targetILNS1_3genE5ELNS1_11target_archE942ELNS1_3gpuE9ELNS1_3repE0EEENS1_48merge_mergepath_partition_config_static_selectorELNS0_4arch9wavefront6targetE1EEEvSJ_,comdat
.Lfunc_end1536:
	.size	_ZN7rocprim17ROCPRIM_400000_NS6detail17trampoline_kernelINS0_14default_configENS1_38merge_sort_block_merge_config_selectorIssEEZZNS1_27merge_sort_block_merge_implIS3_N6thrust23THRUST_200600_302600_NS6detail15normal_iteratorINS8_10device_ptrIsEEEESD_jNS1_19radix_merge_compareILb0ELb0EsNS0_19identity_decomposerEEEEE10hipError_tT0_T1_T2_jT3_P12ihipStream_tbPNSt15iterator_traitsISI_E10value_typeEPNSO_ISJ_E10value_typeEPSK_NS1_7vsmem_tEENKUlT_SI_SJ_SK_E_clISD_PsSD_S10_EESH_SX_SI_SJ_SK_EUlSX_E_NS1_11comp_targetILNS1_3genE5ELNS1_11target_archE942ELNS1_3gpuE9ELNS1_3repE0EEENS1_48merge_mergepath_partition_config_static_selectorELNS0_4arch9wavefront6targetE1EEEvSJ_, .Lfunc_end1536-_ZN7rocprim17ROCPRIM_400000_NS6detail17trampoline_kernelINS0_14default_configENS1_38merge_sort_block_merge_config_selectorIssEEZZNS1_27merge_sort_block_merge_implIS3_N6thrust23THRUST_200600_302600_NS6detail15normal_iteratorINS8_10device_ptrIsEEEESD_jNS1_19radix_merge_compareILb0ELb0EsNS0_19identity_decomposerEEEEE10hipError_tT0_T1_T2_jT3_P12ihipStream_tbPNSt15iterator_traitsISI_E10value_typeEPNSO_ISJ_E10value_typeEPSK_NS1_7vsmem_tEENKUlT_SI_SJ_SK_E_clISD_PsSD_S10_EESH_SX_SI_SJ_SK_EUlSX_E_NS1_11comp_targetILNS1_3genE5ELNS1_11target_archE942ELNS1_3gpuE9ELNS1_3repE0EEENS1_48merge_mergepath_partition_config_static_selectorELNS0_4arch9wavefront6targetE1EEEvSJ_
                                        ; -- End function
	.set _ZN7rocprim17ROCPRIM_400000_NS6detail17trampoline_kernelINS0_14default_configENS1_38merge_sort_block_merge_config_selectorIssEEZZNS1_27merge_sort_block_merge_implIS3_N6thrust23THRUST_200600_302600_NS6detail15normal_iteratorINS8_10device_ptrIsEEEESD_jNS1_19radix_merge_compareILb0ELb0EsNS0_19identity_decomposerEEEEE10hipError_tT0_T1_T2_jT3_P12ihipStream_tbPNSt15iterator_traitsISI_E10value_typeEPNSO_ISJ_E10value_typeEPSK_NS1_7vsmem_tEENKUlT_SI_SJ_SK_E_clISD_PsSD_S10_EESH_SX_SI_SJ_SK_EUlSX_E_NS1_11comp_targetILNS1_3genE5ELNS1_11target_archE942ELNS1_3gpuE9ELNS1_3repE0EEENS1_48merge_mergepath_partition_config_static_selectorELNS0_4arch9wavefront6targetE1EEEvSJ_.num_vgpr, 0
	.set _ZN7rocprim17ROCPRIM_400000_NS6detail17trampoline_kernelINS0_14default_configENS1_38merge_sort_block_merge_config_selectorIssEEZZNS1_27merge_sort_block_merge_implIS3_N6thrust23THRUST_200600_302600_NS6detail15normal_iteratorINS8_10device_ptrIsEEEESD_jNS1_19radix_merge_compareILb0ELb0EsNS0_19identity_decomposerEEEEE10hipError_tT0_T1_T2_jT3_P12ihipStream_tbPNSt15iterator_traitsISI_E10value_typeEPNSO_ISJ_E10value_typeEPSK_NS1_7vsmem_tEENKUlT_SI_SJ_SK_E_clISD_PsSD_S10_EESH_SX_SI_SJ_SK_EUlSX_E_NS1_11comp_targetILNS1_3genE5ELNS1_11target_archE942ELNS1_3gpuE9ELNS1_3repE0EEENS1_48merge_mergepath_partition_config_static_selectorELNS0_4arch9wavefront6targetE1EEEvSJ_.num_agpr, 0
	.set _ZN7rocprim17ROCPRIM_400000_NS6detail17trampoline_kernelINS0_14default_configENS1_38merge_sort_block_merge_config_selectorIssEEZZNS1_27merge_sort_block_merge_implIS3_N6thrust23THRUST_200600_302600_NS6detail15normal_iteratorINS8_10device_ptrIsEEEESD_jNS1_19radix_merge_compareILb0ELb0EsNS0_19identity_decomposerEEEEE10hipError_tT0_T1_T2_jT3_P12ihipStream_tbPNSt15iterator_traitsISI_E10value_typeEPNSO_ISJ_E10value_typeEPSK_NS1_7vsmem_tEENKUlT_SI_SJ_SK_E_clISD_PsSD_S10_EESH_SX_SI_SJ_SK_EUlSX_E_NS1_11comp_targetILNS1_3genE5ELNS1_11target_archE942ELNS1_3gpuE9ELNS1_3repE0EEENS1_48merge_mergepath_partition_config_static_selectorELNS0_4arch9wavefront6targetE1EEEvSJ_.numbered_sgpr, 0
	.set _ZN7rocprim17ROCPRIM_400000_NS6detail17trampoline_kernelINS0_14default_configENS1_38merge_sort_block_merge_config_selectorIssEEZZNS1_27merge_sort_block_merge_implIS3_N6thrust23THRUST_200600_302600_NS6detail15normal_iteratorINS8_10device_ptrIsEEEESD_jNS1_19radix_merge_compareILb0ELb0EsNS0_19identity_decomposerEEEEE10hipError_tT0_T1_T2_jT3_P12ihipStream_tbPNSt15iterator_traitsISI_E10value_typeEPNSO_ISJ_E10value_typeEPSK_NS1_7vsmem_tEENKUlT_SI_SJ_SK_E_clISD_PsSD_S10_EESH_SX_SI_SJ_SK_EUlSX_E_NS1_11comp_targetILNS1_3genE5ELNS1_11target_archE942ELNS1_3gpuE9ELNS1_3repE0EEENS1_48merge_mergepath_partition_config_static_selectorELNS0_4arch9wavefront6targetE1EEEvSJ_.num_named_barrier, 0
	.set _ZN7rocprim17ROCPRIM_400000_NS6detail17trampoline_kernelINS0_14default_configENS1_38merge_sort_block_merge_config_selectorIssEEZZNS1_27merge_sort_block_merge_implIS3_N6thrust23THRUST_200600_302600_NS6detail15normal_iteratorINS8_10device_ptrIsEEEESD_jNS1_19radix_merge_compareILb0ELb0EsNS0_19identity_decomposerEEEEE10hipError_tT0_T1_T2_jT3_P12ihipStream_tbPNSt15iterator_traitsISI_E10value_typeEPNSO_ISJ_E10value_typeEPSK_NS1_7vsmem_tEENKUlT_SI_SJ_SK_E_clISD_PsSD_S10_EESH_SX_SI_SJ_SK_EUlSX_E_NS1_11comp_targetILNS1_3genE5ELNS1_11target_archE942ELNS1_3gpuE9ELNS1_3repE0EEENS1_48merge_mergepath_partition_config_static_selectorELNS0_4arch9wavefront6targetE1EEEvSJ_.private_seg_size, 0
	.set _ZN7rocprim17ROCPRIM_400000_NS6detail17trampoline_kernelINS0_14default_configENS1_38merge_sort_block_merge_config_selectorIssEEZZNS1_27merge_sort_block_merge_implIS3_N6thrust23THRUST_200600_302600_NS6detail15normal_iteratorINS8_10device_ptrIsEEEESD_jNS1_19radix_merge_compareILb0ELb0EsNS0_19identity_decomposerEEEEE10hipError_tT0_T1_T2_jT3_P12ihipStream_tbPNSt15iterator_traitsISI_E10value_typeEPNSO_ISJ_E10value_typeEPSK_NS1_7vsmem_tEENKUlT_SI_SJ_SK_E_clISD_PsSD_S10_EESH_SX_SI_SJ_SK_EUlSX_E_NS1_11comp_targetILNS1_3genE5ELNS1_11target_archE942ELNS1_3gpuE9ELNS1_3repE0EEENS1_48merge_mergepath_partition_config_static_selectorELNS0_4arch9wavefront6targetE1EEEvSJ_.uses_vcc, 0
	.set _ZN7rocprim17ROCPRIM_400000_NS6detail17trampoline_kernelINS0_14default_configENS1_38merge_sort_block_merge_config_selectorIssEEZZNS1_27merge_sort_block_merge_implIS3_N6thrust23THRUST_200600_302600_NS6detail15normal_iteratorINS8_10device_ptrIsEEEESD_jNS1_19radix_merge_compareILb0ELb0EsNS0_19identity_decomposerEEEEE10hipError_tT0_T1_T2_jT3_P12ihipStream_tbPNSt15iterator_traitsISI_E10value_typeEPNSO_ISJ_E10value_typeEPSK_NS1_7vsmem_tEENKUlT_SI_SJ_SK_E_clISD_PsSD_S10_EESH_SX_SI_SJ_SK_EUlSX_E_NS1_11comp_targetILNS1_3genE5ELNS1_11target_archE942ELNS1_3gpuE9ELNS1_3repE0EEENS1_48merge_mergepath_partition_config_static_selectorELNS0_4arch9wavefront6targetE1EEEvSJ_.uses_flat_scratch, 0
	.set _ZN7rocprim17ROCPRIM_400000_NS6detail17trampoline_kernelINS0_14default_configENS1_38merge_sort_block_merge_config_selectorIssEEZZNS1_27merge_sort_block_merge_implIS3_N6thrust23THRUST_200600_302600_NS6detail15normal_iteratorINS8_10device_ptrIsEEEESD_jNS1_19radix_merge_compareILb0ELb0EsNS0_19identity_decomposerEEEEE10hipError_tT0_T1_T2_jT3_P12ihipStream_tbPNSt15iterator_traitsISI_E10value_typeEPNSO_ISJ_E10value_typeEPSK_NS1_7vsmem_tEENKUlT_SI_SJ_SK_E_clISD_PsSD_S10_EESH_SX_SI_SJ_SK_EUlSX_E_NS1_11comp_targetILNS1_3genE5ELNS1_11target_archE942ELNS1_3gpuE9ELNS1_3repE0EEENS1_48merge_mergepath_partition_config_static_selectorELNS0_4arch9wavefront6targetE1EEEvSJ_.has_dyn_sized_stack, 0
	.set _ZN7rocprim17ROCPRIM_400000_NS6detail17trampoline_kernelINS0_14default_configENS1_38merge_sort_block_merge_config_selectorIssEEZZNS1_27merge_sort_block_merge_implIS3_N6thrust23THRUST_200600_302600_NS6detail15normal_iteratorINS8_10device_ptrIsEEEESD_jNS1_19radix_merge_compareILb0ELb0EsNS0_19identity_decomposerEEEEE10hipError_tT0_T1_T2_jT3_P12ihipStream_tbPNSt15iterator_traitsISI_E10value_typeEPNSO_ISJ_E10value_typeEPSK_NS1_7vsmem_tEENKUlT_SI_SJ_SK_E_clISD_PsSD_S10_EESH_SX_SI_SJ_SK_EUlSX_E_NS1_11comp_targetILNS1_3genE5ELNS1_11target_archE942ELNS1_3gpuE9ELNS1_3repE0EEENS1_48merge_mergepath_partition_config_static_selectorELNS0_4arch9wavefront6targetE1EEEvSJ_.has_recursion, 0
	.set _ZN7rocprim17ROCPRIM_400000_NS6detail17trampoline_kernelINS0_14default_configENS1_38merge_sort_block_merge_config_selectorIssEEZZNS1_27merge_sort_block_merge_implIS3_N6thrust23THRUST_200600_302600_NS6detail15normal_iteratorINS8_10device_ptrIsEEEESD_jNS1_19radix_merge_compareILb0ELb0EsNS0_19identity_decomposerEEEEE10hipError_tT0_T1_T2_jT3_P12ihipStream_tbPNSt15iterator_traitsISI_E10value_typeEPNSO_ISJ_E10value_typeEPSK_NS1_7vsmem_tEENKUlT_SI_SJ_SK_E_clISD_PsSD_S10_EESH_SX_SI_SJ_SK_EUlSX_E_NS1_11comp_targetILNS1_3genE5ELNS1_11target_archE942ELNS1_3gpuE9ELNS1_3repE0EEENS1_48merge_mergepath_partition_config_static_selectorELNS0_4arch9wavefront6targetE1EEEvSJ_.has_indirect_call, 0
	.section	.AMDGPU.csdata,"",@progbits
; Kernel info:
; codeLenInByte = 0
; TotalNumSgprs: 6
; NumVgprs: 0
; NumAgprs: 0
; TotalNumVgprs: 0
; ScratchSize: 0
; MemoryBound: 0
; FloatMode: 240
; IeeeMode: 1
; LDSByteSize: 0 bytes/workgroup (compile time only)
; SGPRBlocks: 0
; VGPRBlocks: 0
; NumSGPRsForWavesPerEU: 6
; NumVGPRsForWavesPerEU: 1
; AccumOffset: 4
; Occupancy: 8
; WaveLimiterHint : 0
; COMPUTE_PGM_RSRC2:SCRATCH_EN: 0
; COMPUTE_PGM_RSRC2:USER_SGPR: 2
; COMPUTE_PGM_RSRC2:TRAP_HANDLER: 0
; COMPUTE_PGM_RSRC2:TGID_X_EN: 1
; COMPUTE_PGM_RSRC2:TGID_Y_EN: 0
; COMPUTE_PGM_RSRC2:TGID_Z_EN: 0
; COMPUTE_PGM_RSRC2:TIDIG_COMP_CNT: 0
; COMPUTE_PGM_RSRC3_GFX90A:ACCUM_OFFSET: 0
; COMPUTE_PGM_RSRC3_GFX90A:TG_SPLIT: 0
	.section	.text._ZN7rocprim17ROCPRIM_400000_NS6detail17trampoline_kernelINS0_14default_configENS1_38merge_sort_block_merge_config_selectorIssEEZZNS1_27merge_sort_block_merge_implIS3_N6thrust23THRUST_200600_302600_NS6detail15normal_iteratorINS8_10device_ptrIsEEEESD_jNS1_19radix_merge_compareILb0ELb0EsNS0_19identity_decomposerEEEEE10hipError_tT0_T1_T2_jT3_P12ihipStream_tbPNSt15iterator_traitsISI_E10value_typeEPNSO_ISJ_E10value_typeEPSK_NS1_7vsmem_tEENKUlT_SI_SJ_SK_E_clISD_PsSD_S10_EESH_SX_SI_SJ_SK_EUlSX_E_NS1_11comp_targetILNS1_3genE4ELNS1_11target_archE910ELNS1_3gpuE8ELNS1_3repE0EEENS1_48merge_mergepath_partition_config_static_selectorELNS0_4arch9wavefront6targetE1EEEvSJ_,"axG",@progbits,_ZN7rocprim17ROCPRIM_400000_NS6detail17trampoline_kernelINS0_14default_configENS1_38merge_sort_block_merge_config_selectorIssEEZZNS1_27merge_sort_block_merge_implIS3_N6thrust23THRUST_200600_302600_NS6detail15normal_iteratorINS8_10device_ptrIsEEEESD_jNS1_19radix_merge_compareILb0ELb0EsNS0_19identity_decomposerEEEEE10hipError_tT0_T1_T2_jT3_P12ihipStream_tbPNSt15iterator_traitsISI_E10value_typeEPNSO_ISJ_E10value_typeEPSK_NS1_7vsmem_tEENKUlT_SI_SJ_SK_E_clISD_PsSD_S10_EESH_SX_SI_SJ_SK_EUlSX_E_NS1_11comp_targetILNS1_3genE4ELNS1_11target_archE910ELNS1_3gpuE8ELNS1_3repE0EEENS1_48merge_mergepath_partition_config_static_selectorELNS0_4arch9wavefront6targetE1EEEvSJ_,comdat
	.protected	_ZN7rocprim17ROCPRIM_400000_NS6detail17trampoline_kernelINS0_14default_configENS1_38merge_sort_block_merge_config_selectorIssEEZZNS1_27merge_sort_block_merge_implIS3_N6thrust23THRUST_200600_302600_NS6detail15normal_iteratorINS8_10device_ptrIsEEEESD_jNS1_19radix_merge_compareILb0ELb0EsNS0_19identity_decomposerEEEEE10hipError_tT0_T1_T2_jT3_P12ihipStream_tbPNSt15iterator_traitsISI_E10value_typeEPNSO_ISJ_E10value_typeEPSK_NS1_7vsmem_tEENKUlT_SI_SJ_SK_E_clISD_PsSD_S10_EESH_SX_SI_SJ_SK_EUlSX_E_NS1_11comp_targetILNS1_3genE4ELNS1_11target_archE910ELNS1_3gpuE8ELNS1_3repE0EEENS1_48merge_mergepath_partition_config_static_selectorELNS0_4arch9wavefront6targetE1EEEvSJ_ ; -- Begin function _ZN7rocprim17ROCPRIM_400000_NS6detail17trampoline_kernelINS0_14default_configENS1_38merge_sort_block_merge_config_selectorIssEEZZNS1_27merge_sort_block_merge_implIS3_N6thrust23THRUST_200600_302600_NS6detail15normal_iteratorINS8_10device_ptrIsEEEESD_jNS1_19radix_merge_compareILb0ELb0EsNS0_19identity_decomposerEEEEE10hipError_tT0_T1_T2_jT3_P12ihipStream_tbPNSt15iterator_traitsISI_E10value_typeEPNSO_ISJ_E10value_typeEPSK_NS1_7vsmem_tEENKUlT_SI_SJ_SK_E_clISD_PsSD_S10_EESH_SX_SI_SJ_SK_EUlSX_E_NS1_11comp_targetILNS1_3genE4ELNS1_11target_archE910ELNS1_3gpuE8ELNS1_3repE0EEENS1_48merge_mergepath_partition_config_static_selectorELNS0_4arch9wavefront6targetE1EEEvSJ_
	.globl	_ZN7rocprim17ROCPRIM_400000_NS6detail17trampoline_kernelINS0_14default_configENS1_38merge_sort_block_merge_config_selectorIssEEZZNS1_27merge_sort_block_merge_implIS3_N6thrust23THRUST_200600_302600_NS6detail15normal_iteratorINS8_10device_ptrIsEEEESD_jNS1_19radix_merge_compareILb0ELb0EsNS0_19identity_decomposerEEEEE10hipError_tT0_T1_T2_jT3_P12ihipStream_tbPNSt15iterator_traitsISI_E10value_typeEPNSO_ISJ_E10value_typeEPSK_NS1_7vsmem_tEENKUlT_SI_SJ_SK_E_clISD_PsSD_S10_EESH_SX_SI_SJ_SK_EUlSX_E_NS1_11comp_targetILNS1_3genE4ELNS1_11target_archE910ELNS1_3gpuE8ELNS1_3repE0EEENS1_48merge_mergepath_partition_config_static_selectorELNS0_4arch9wavefront6targetE1EEEvSJ_
	.p2align	8
	.type	_ZN7rocprim17ROCPRIM_400000_NS6detail17trampoline_kernelINS0_14default_configENS1_38merge_sort_block_merge_config_selectorIssEEZZNS1_27merge_sort_block_merge_implIS3_N6thrust23THRUST_200600_302600_NS6detail15normal_iteratorINS8_10device_ptrIsEEEESD_jNS1_19radix_merge_compareILb0ELb0EsNS0_19identity_decomposerEEEEE10hipError_tT0_T1_T2_jT3_P12ihipStream_tbPNSt15iterator_traitsISI_E10value_typeEPNSO_ISJ_E10value_typeEPSK_NS1_7vsmem_tEENKUlT_SI_SJ_SK_E_clISD_PsSD_S10_EESH_SX_SI_SJ_SK_EUlSX_E_NS1_11comp_targetILNS1_3genE4ELNS1_11target_archE910ELNS1_3gpuE8ELNS1_3repE0EEENS1_48merge_mergepath_partition_config_static_selectorELNS0_4arch9wavefront6targetE1EEEvSJ_,@function
_ZN7rocprim17ROCPRIM_400000_NS6detail17trampoline_kernelINS0_14default_configENS1_38merge_sort_block_merge_config_selectorIssEEZZNS1_27merge_sort_block_merge_implIS3_N6thrust23THRUST_200600_302600_NS6detail15normal_iteratorINS8_10device_ptrIsEEEESD_jNS1_19radix_merge_compareILb0ELb0EsNS0_19identity_decomposerEEEEE10hipError_tT0_T1_T2_jT3_P12ihipStream_tbPNSt15iterator_traitsISI_E10value_typeEPNSO_ISJ_E10value_typeEPSK_NS1_7vsmem_tEENKUlT_SI_SJ_SK_E_clISD_PsSD_S10_EESH_SX_SI_SJ_SK_EUlSX_E_NS1_11comp_targetILNS1_3genE4ELNS1_11target_archE910ELNS1_3gpuE8ELNS1_3repE0EEENS1_48merge_mergepath_partition_config_static_selectorELNS0_4arch9wavefront6targetE1EEEvSJ_: ; @_ZN7rocprim17ROCPRIM_400000_NS6detail17trampoline_kernelINS0_14default_configENS1_38merge_sort_block_merge_config_selectorIssEEZZNS1_27merge_sort_block_merge_implIS3_N6thrust23THRUST_200600_302600_NS6detail15normal_iteratorINS8_10device_ptrIsEEEESD_jNS1_19radix_merge_compareILb0ELb0EsNS0_19identity_decomposerEEEEE10hipError_tT0_T1_T2_jT3_P12ihipStream_tbPNSt15iterator_traitsISI_E10value_typeEPNSO_ISJ_E10value_typeEPSK_NS1_7vsmem_tEENKUlT_SI_SJ_SK_E_clISD_PsSD_S10_EESH_SX_SI_SJ_SK_EUlSX_E_NS1_11comp_targetILNS1_3genE4ELNS1_11target_archE910ELNS1_3gpuE8ELNS1_3repE0EEENS1_48merge_mergepath_partition_config_static_selectorELNS0_4arch9wavefront6targetE1EEEvSJ_
; %bb.0:
	.section	.rodata,"a",@progbits
	.p2align	6, 0x0
	.amdhsa_kernel _ZN7rocprim17ROCPRIM_400000_NS6detail17trampoline_kernelINS0_14default_configENS1_38merge_sort_block_merge_config_selectorIssEEZZNS1_27merge_sort_block_merge_implIS3_N6thrust23THRUST_200600_302600_NS6detail15normal_iteratorINS8_10device_ptrIsEEEESD_jNS1_19radix_merge_compareILb0ELb0EsNS0_19identity_decomposerEEEEE10hipError_tT0_T1_T2_jT3_P12ihipStream_tbPNSt15iterator_traitsISI_E10value_typeEPNSO_ISJ_E10value_typeEPSK_NS1_7vsmem_tEENKUlT_SI_SJ_SK_E_clISD_PsSD_S10_EESH_SX_SI_SJ_SK_EUlSX_E_NS1_11comp_targetILNS1_3genE4ELNS1_11target_archE910ELNS1_3gpuE8ELNS1_3repE0EEENS1_48merge_mergepath_partition_config_static_selectorELNS0_4arch9wavefront6targetE1EEEvSJ_
		.amdhsa_group_segment_fixed_size 0
		.amdhsa_private_segment_fixed_size 0
		.amdhsa_kernarg_size 40
		.amdhsa_user_sgpr_count 2
		.amdhsa_user_sgpr_dispatch_ptr 0
		.amdhsa_user_sgpr_queue_ptr 0
		.amdhsa_user_sgpr_kernarg_segment_ptr 1
		.amdhsa_user_sgpr_dispatch_id 0
		.amdhsa_user_sgpr_kernarg_preload_length 0
		.amdhsa_user_sgpr_kernarg_preload_offset 0
		.amdhsa_user_sgpr_private_segment_size 0
		.amdhsa_uses_dynamic_stack 0
		.amdhsa_enable_private_segment 0
		.amdhsa_system_sgpr_workgroup_id_x 1
		.amdhsa_system_sgpr_workgroup_id_y 0
		.amdhsa_system_sgpr_workgroup_id_z 0
		.amdhsa_system_sgpr_workgroup_info 0
		.amdhsa_system_vgpr_workitem_id 0
		.amdhsa_next_free_vgpr 1
		.amdhsa_next_free_sgpr 0
		.amdhsa_accum_offset 4
		.amdhsa_reserve_vcc 0
		.amdhsa_float_round_mode_32 0
		.amdhsa_float_round_mode_16_64 0
		.amdhsa_float_denorm_mode_32 3
		.amdhsa_float_denorm_mode_16_64 3
		.amdhsa_dx10_clamp 1
		.amdhsa_ieee_mode 1
		.amdhsa_fp16_overflow 0
		.amdhsa_tg_split 0
		.amdhsa_exception_fp_ieee_invalid_op 0
		.amdhsa_exception_fp_denorm_src 0
		.amdhsa_exception_fp_ieee_div_zero 0
		.amdhsa_exception_fp_ieee_overflow 0
		.amdhsa_exception_fp_ieee_underflow 0
		.amdhsa_exception_fp_ieee_inexact 0
		.amdhsa_exception_int_div_zero 0
	.end_amdhsa_kernel
	.section	.text._ZN7rocprim17ROCPRIM_400000_NS6detail17trampoline_kernelINS0_14default_configENS1_38merge_sort_block_merge_config_selectorIssEEZZNS1_27merge_sort_block_merge_implIS3_N6thrust23THRUST_200600_302600_NS6detail15normal_iteratorINS8_10device_ptrIsEEEESD_jNS1_19radix_merge_compareILb0ELb0EsNS0_19identity_decomposerEEEEE10hipError_tT0_T1_T2_jT3_P12ihipStream_tbPNSt15iterator_traitsISI_E10value_typeEPNSO_ISJ_E10value_typeEPSK_NS1_7vsmem_tEENKUlT_SI_SJ_SK_E_clISD_PsSD_S10_EESH_SX_SI_SJ_SK_EUlSX_E_NS1_11comp_targetILNS1_3genE4ELNS1_11target_archE910ELNS1_3gpuE8ELNS1_3repE0EEENS1_48merge_mergepath_partition_config_static_selectorELNS0_4arch9wavefront6targetE1EEEvSJ_,"axG",@progbits,_ZN7rocprim17ROCPRIM_400000_NS6detail17trampoline_kernelINS0_14default_configENS1_38merge_sort_block_merge_config_selectorIssEEZZNS1_27merge_sort_block_merge_implIS3_N6thrust23THRUST_200600_302600_NS6detail15normal_iteratorINS8_10device_ptrIsEEEESD_jNS1_19radix_merge_compareILb0ELb0EsNS0_19identity_decomposerEEEEE10hipError_tT0_T1_T2_jT3_P12ihipStream_tbPNSt15iterator_traitsISI_E10value_typeEPNSO_ISJ_E10value_typeEPSK_NS1_7vsmem_tEENKUlT_SI_SJ_SK_E_clISD_PsSD_S10_EESH_SX_SI_SJ_SK_EUlSX_E_NS1_11comp_targetILNS1_3genE4ELNS1_11target_archE910ELNS1_3gpuE8ELNS1_3repE0EEENS1_48merge_mergepath_partition_config_static_selectorELNS0_4arch9wavefront6targetE1EEEvSJ_,comdat
.Lfunc_end1537:
	.size	_ZN7rocprim17ROCPRIM_400000_NS6detail17trampoline_kernelINS0_14default_configENS1_38merge_sort_block_merge_config_selectorIssEEZZNS1_27merge_sort_block_merge_implIS3_N6thrust23THRUST_200600_302600_NS6detail15normal_iteratorINS8_10device_ptrIsEEEESD_jNS1_19radix_merge_compareILb0ELb0EsNS0_19identity_decomposerEEEEE10hipError_tT0_T1_T2_jT3_P12ihipStream_tbPNSt15iterator_traitsISI_E10value_typeEPNSO_ISJ_E10value_typeEPSK_NS1_7vsmem_tEENKUlT_SI_SJ_SK_E_clISD_PsSD_S10_EESH_SX_SI_SJ_SK_EUlSX_E_NS1_11comp_targetILNS1_3genE4ELNS1_11target_archE910ELNS1_3gpuE8ELNS1_3repE0EEENS1_48merge_mergepath_partition_config_static_selectorELNS0_4arch9wavefront6targetE1EEEvSJ_, .Lfunc_end1537-_ZN7rocprim17ROCPRIM_400000_NS6detail17trampoline_kernelINS0_14default_configENS1_38merge_sort_block_merge_config_selectorIssEEZZNS1_27merge_sort_block_merge_implIS3_N6thrust23THRUST_200600_302600_NS6detail15normal_iteratorINS8_10device_ptrIsEEEESD_jNS1_19radix_merge_compareILb0ELb0EsNS0_19identity_decomposerEEEEE10hipError_tT0_T1_T2_jT3_P12ihipStream_tbPNSt15iterator_traitsISI_E10value_typeEPNSO_ISJ_E10value_typeEPSK_NS1_7vsmem_tEENKUlT_SI_SJ_SK_E_clISD_PsSD_S10_EESH_SX_SI_SJ_SK_EUlSX_E_NS1_11comp_targetILNS1_3genE4ELNS1_11target_archE910ELNS1_3gpuE8ELNS1_3repE0EEENS1_48merge_mergepath_partition_config_static_selectorELNS0_4arch9wavefront6targetE1EEEvSJ_
                                        ; -- End function
	.set _ZN7rocprim17ROCPRIM_400000_NS6detail17trampoline_kernelINS0_14default_configENS1_38merge_sort_block_merge_config_selectorIssEEZZNS1_27merge_sort_block_merge_implIS3_N6thrust23THRUST_200600_302600_NS6detail15normal_iteratorINS8_10device_ptrIsEEEESD_jNS1_19radix_merge_compareILb0ELb0EsNS0_19identity_decomposerEEEEE10hipError_tT0_T1_T2_jT3_P12ihipStream_tbPNSt15iterator_traitsISI_E10value_typeEPNSO_ISJ_E10value_typeEPSK_NS1_7vsmem_tEENKUlT_SI_SJ_SK_E_clISD_PsSD_S10_EESH_SX_SI_SJ_SK_EUlSX_E_NS1_11comp_targetILNS1_3genE4ELNS1_11target_archE910ELNS1_3gpuE8ELNS1_3repE0EEENS1_48merge_mergepath_partition_config_static_selectorELNS0_4arch9wavefront6targetE1EEEvSJ_.num_vgpr, 0
	.set _ZN7rocprim17ROCPRIM_400000_NS6detail17trampoline_kernelINS0_14default_configENS1_38merge_sort_block_merge_config_selectorIssEEZZNS1_27merge_sort_block_merge_implIS3_N6thrust23THRUST_200600_302600_NS6detail15normal_iteratorINS8_10device_ptrIsEEEESD_jNS1_19radix_merge_compareILb0ELb0EsNS0_19identity_decomposerEEEEE10hipError_tT0_T1_T2_jT3_P12ihipStream_tbPNSt15iterator_traitsISI_E10value_typeEPNSO_ISJ_E10value_typeEPSK_NS1_7vsmem_tEENKUlT_SI_SJ_SK_E_clISD_PsSD_S10_EESH_SX_SI_SJ_SK_EUlSX_E_NS1_11comp_targetILNS1_3genE4ELNS1_11target_archE910ELNS1_3gpuE8ELNS1_3repE0EEENS1_48merge_mergepath_partition_config_static_selectorELNS0_4arch9wavefront6targetE1EEEvSJ_.num_agpr, 0
	.set _ZN7rocprim17ROCPRIM_400000_NS6detail17trampoline_kernelINS0_14default_configENS1_38merge_sort_block_merge_config_selectorIssEEZZNS1_27merge_sort_block_merge_implIS3_N6thrust23THRUST_200600_302600_NS6detail15normal_iteratorINS8_10device_ptrIsEEEESD_jNS1_19radix_merge_compareILb0ELb0EsNS0_19identity_decomposerEEEEE10hipError_tT0_T1_T2_jT3_P12ihipStream_tbPNSt15iterator_traitsISI_E10value_typeEPNSO_ISJ_E10value_typeEPSK_NS1_7vsmem_tEENKUlT_SI_SJ_SK_E_clISD_PsSD_S10_EESH_SX_SI_SJ_SK_EUlSX_E_NS1_11comp_targetILNS1_3genE4ELNS1_11target_archE910ELNS1_3gpuE8ELNS1_3repE0EEENS1_48merge_mergepath_partition_config_static_selectorELNS0_4arch9wavefront6targetE1EEEvSJ_.numbered_sgpr, 0
	.set _ZN7rocprim17ROCPRIM_400000_NS6detail17trampoline_kernelINS0_14default_configENS1_38merge_sort_block_merge_config_selectorIssEEZZNS1_27merge_sort_block_merge_implIS3_N6thrust23THRUST_200600_302600_NS6detail15normal_iteratorINS8_10device_ptrIsEEEESD_jNS1_19radix_merge_compareILb0ELb0EsNS0_19identity_decomposerEEEEE10hipError_tT0_T1_T2_jT3_P12ihipStream_tbPNSt15iterator_traitsISI_E10value_typeEPNSO_ISJ_E10value_typeEPSK_NS1_7vsmem_tEENKUlT_SI_SJ_SK_E_clISD_PsSD_S10_EESH_SX_SI_SJ_SK_EUlSX_E_NS1_11comp_targetILNS1_3genE4ELNS1_11target_archE910ELNS1_3gpuE8ELNS1_3repE0EEENS1_48merge_mergepath_partition_config_static_selectorELNS0_4arch9wavefront6targetE1EEEvSJ_.num_named_barrier, 0
	.set _ZN7rocprim17ROCPRIM_400000_NS6detail17trampoline_kernelINS0_14default_configENS1_38merge_sort_block_merge_config_selectorIssEEZZNS1_27merge_sort_block_merge_implIS3_N6thrust23THRUST_200600_302600_NS6detail15normal_iteratorINS8_10device_ptrIsEEEESD_jNS1_19radix_merge_compareILb0ELb0EsNS0_19identity_decomposerEEEEE10hipError_tT0_T1_T2_jT3_P12ihipStream_tbPNSt15iterator_traitsISI_E10value_typeEPNSO_ISJ_E10value_typeEPSK_NS1_7vsmem_tEENKUlT_SI_SJ_SK_E_clISD_PsSD_S10_EESH_SX_SI_SJ_SK_EUlSX_E_NS1_11comp_targetILNS1_3genE4ELNS1_11target_archE910ELNS1_3gpuE8ELNS1_3repE0EEENS1_48merge_mergepath_partition_config_static_selectorELNS0_4arch9wavefront6targetE1EEEvSJ_.private_seg_size, 0
	.set _ZN7rocprim17ROCPRIM_400000_NS6detail17trampoline_kernelINS0_14default_configENS1_38merge_sort_block_merge_config_selectorIssEEZZNS1_27merge_sort_block_merge_implIS3_N6thrust23THRUST_200600_302600_NS6detail15normal_iteratorINS8_10device_ptrIsEEEESD_jNS1_19radix_merge_compareILb0ELb0EsNS0_19identity_decomposerEEEEE10hipError_tT0_T1_T2_jT3_P12ihipStream_tbPNSt15iterator_traitsISI_E10value_typeEPNSO_ISJ_E10value_typeEPSK_NS1_7vsmem_tEENKUlT_SI_SJ_SK_E_clISD_PsSD_S10_EESH_SX_SI_SJ_SK_EUlSX_E_NS1_11comp_targetILNS1_3genE4ELNS1_11target_archE910ELNS1_3gpuE8ELNS1_3repE0EEENS1_48merge_mergepath_partition_config_static_selectorELNS0_4arch9wavefront6targetE1EEEvSJ_.uses_vcc, 0
	.set _ZN7rocprim17ROCPRIM_400000_NS6detail17trampoline_kernelINS0_14default_configENS1_38merge_sort_block_merge_config_selectorIssEEZZNS1_27merge_sort_block_merge_implIS3_N6thrust23THRUST_200600_302600_NS6detail15normal_iteratorINS8_10device_ptrIsEEEESD_jNS1_19radix_merge_compareILb0ELb0EsNS0_19identity_decomposerEEEEE10hipError_tT0_T1_T2_jT3_P12ihipStream_tbPNSt15iterator_traitsISI_E10value_typeEPNSO_ISJ_E10value_typeEPSK_NS1_7vsmem_tEENKUlT_SI_SJ_SK_E_clISD_PsSD_S10_EESH_SX_SI_SJ_SK_EUlSX_E_NS1_11comp_targetILNS1_3genE4ELNS1_11target_archE910ELNS1_3gpuE8ELNS1_3repE0EEENS1_48merge_mergepath_partition_config_static_selectorELNS0_4arch9wavefront6targetE1EEEvSJ_.uses_flat_scratch, 0
	.set _ZN7rocprim17ROCPRIM_400000_NS6detail17trampoline_kernelINS0_14default_configENS1_38merge_sort_block_merge_config_selectorIssEEZZNS1_27merge_sort_block_merge_implIS3_N6thrust23THRUST_200600_302600_NS6detail15normal_iteratorINS8_10device_ptrIsEEEESD_jNS1_19radix_merge_compareILb0ELb0EsNS0_19identity_decomposerEEEEE10hipError_tT0_T1_T2_jT3_P12ihipStream_tbPNSt15iterator_traitsISI_E10value_typeEPNSO_ISJ_E10value_typeEPSK_NS1_7vsmem_tEENKUlT_SI_SJ_SK_E_clISD_PsSD_S10_EESH_SX_SI_SJ_SK_EUlSX_E_NS1_11comp_targetILNS1_3genE4ELNS1_11target_archE910ELNS1_3gpuE8ELNS1_3repE0EEENS1_48merge_mergepath_partition_config_static_selectorELNS0_4arch9wavefront6targetE1EEEvSJ_.has_dyn_sized_stack, 0
	.set _ZN7rocprim17ROCPRIM_400000_NS6detail17trampoline_kernelINS0_14default_configENS1_38merge_sort_block_merge_config_selectorIssEEZZNS1_27merge_sort_block_merge_implIS3_N6thrust23THRUST_200600_302600_NS6detail15normal_iteratorINS8_10device_ptrIsEEEESD_jNS1_19radix_merge_compareILb0ELb0EsNS0_19identity_decomposerEEEEE10hipError_tT0_T1_T2_jT3_P12ihipStream_tbPNSt15iterator_traitsISI_E10value_typeEPNSO_ISJ_E10value_typeEPSK_NS1_7vsmem_tEENKUlT_SI_SJ_SK_E_clISD_PsSD_S10_EESH_SX_SI_SJ_SK_EUlSX_E_NS1_11comp_targetILNS1_3genE4ELNS1_11target_archE910ELNS1_3gpuE8ELNS1_3repE0EEENS1_48merge_mergepath_partition_config_static_selectorELNS0_4arch9wavefront6targetE1EEEvSJ_.has_recursion, 0
	.set _ZN7rocprim17ROCPRIM_400000_NS6detail17trampoline_kernelINS0_14default_configENS1_38merge_sort_block_merge_config_selectorIssEEZZNS1_27merge_sort_block_merge_implIS3_N6thrust23THRUST_200600_302600_NS6detail15normal_iteratorINS8_10device_ptrIsEEEESD_jNS1_19radix_merge_compareILb0ELb0EsNS0_19identity_decomposerEEEEE10hipError_tT0_T1_T2_jT3_P12ihipStream_tbPNSt15iterator_traitsISI_E10value_typeEPNSO_ISJ_E10value_typeEPSK_NS1_7vsmem_tEENKUlT_SI_SJ_SK_E_clISD_PsSD_S10_EESH_SX_SI_SJ_SK_EUlSX_E_NS1_11comp_targetILNS1_3genE4ELNS1_11target_archE910ELNS1_3gpuE8ELNS1_3repE0EEENS1_48merge_mergepath_partition_config_static_selectorELNS0_4arch9wavefront6targetE1EEEvSJ_.has_indirect_call, 0
	.section	.AMDGPU.csdata,"",@progbits
; Kernel info:
; codeLenInByte = 0
; TotalNumSgprs: 6
; NumVgprs: 0
; NumAgprs: 0
; TotalNumVgprs: 0
; ScratchSize: 0
; MemoryBound: 0
; FloatMode: 240
; IeeeMode: 1
; LDSByteSize: 0 bytes/workgroup (compile time only)
; SGPRBlocks: 0
; VGPRBlocks: 0
; NumSGPRsForWavesPerEU: 6
; NumVGPRsForWavesPerEU: 1
; AccumOffset: 4
; Occupancy: 8
; WaveLimiterHint : 0
; COMPUTE_PGM_RSRC2:SCRATCH_EN: 0
; COMPUTE_PGM_RSRC2:USER_SGPR: 2
; COMPUTE_PGM_RSRC2:TRAP_HANDLER: 0
; COMPUTE_PGM_RSRC2:TGID_X_EN: 1
; COMPUTE_PGM_RSRC2:TGID_Y_EN: 0
; COMPUTE_PGM_RSRC2:TGID_Z_EN: 0
; COMPUTE_PGM_RSRC2:TIDIG_COMP_CNT: 0
; COMPUTE_PGM_RSRC3_GFX90A:ACCUM_OFFSET: 0
; COMPUTE_PGM_RSRC3_GFX90A:TG_SPLIT: 0
	.section	.text._ZN7rocprim17ROCPRIM_400000_NS6detail17trampoline_kernelINS0_14default_configENS1_38merge_sort_block_merge_config_selectorIssEEZZNS1_27merge_sort_block_merge_implIS3_N6thrust23THRUST_200600_302600_NS6detail15normal_iteratorINS8_10device_ptrIsEEEESD_jNS1_19radix_merge_compareILb0ELb0EsNS0_19identity_decomposerEEEEE10hipError_tT0_T1_T2_jT3_P12ihipStream_tbPNSt15iterator_traitsISI_E10value_typeEPNSO_ISJ_E10value_typeEPSK_NS1_7vsmem_tEENKUlT_SI_SJ_SK_E_clISD_PsSD_S10_EESH_SX_SI_SJ_SK_EUlSX_E_NS1_11comp_targetILNS1_3genE3ELNS1_11target_archE908ELNS1_3gpuE7ELNS1_3repE0EEENS1_48merge_mergepath_partition_config_static_selectorELNS0_4arch9wavefront6targetE1EEEvSJ_,"axG",@progbits,_ZN7rocprim17ROCPRIM_400000_NS6detail17trampoline_kernelINS0_14default_configENS1_38merge_sort_block_merge_config_selectorIssEEZZNS1_27merge_sort_block_merge_implIS3_N6thrust23THRUST_200600_302600_NS6detail15normal_iteratorINS8_10device_ptrIsEEEESD_jNS1_19radix_merge_compareILb0ELb0EsNS0_19identity_decomposerEEEEE10hipError_tT0_T1_T2_jT3_P12ihipStream_tbPNSt15iterator_traitsISI_E10value_typeEPNSO_ISJ_E10value_typeEPSK_NS1_7vsmem_tEENKUlT_SI_SJ_SK_E_clISD_PsSD_S10_EESH_SX_SI_SJ_SK_EUlSX_E_NS1_11comp_targetILNS1_3genE3ELNS1_11target_archE908ELNS1_3gpuE7ELNS1_3repE0EEENS1_48merge_mergepath_partition_config_static_selectorELNS0_4arch9wavefront6targetE1EEEvSJ_,comdat
	.protected	_ZN7rocprim17ROCPRIM_400000_NS6detail17trampoline_kernelINS0_14default_configENS1_38merge_sort_block_merge_config_selectorIssEEZZNS1_27merge_sort_block_merge_implIS3_N6thrust23THRUST_200600_302600_NS6detail15normal_iteratorINS8_10device_ptrIsEEEESD_jNS1_19radix_merge_compareILb0ELb0EsNS0_19identity_decomposerEEEEE10hipError_tT0_T1_T2_jT3_P12ihipStream_tbPNSt15iterator_traitsISI_E10value_typeEPNSO_ISJ_E10value_typeEPSK_NS1_7vsmem_tEENKUlT_SI_SJ_SK_E_clISD_PsSD_S10_EESH_SX_SI_SJ_SK_EUlSX_E_NS1_11comp_targetILNS1_3genE3ELNS1_11target_archE908ELNS1_3gpuE7ELNS1_3repE0EEENS1_48merge_mergepath_partition_config_static_selectorELNS0_4arch9wavefront6targetE1EEEvSJ_ ; -- Begin function _ZN7rocprim17ROCPRIM_400000_NS6detail17trampoline_kernelINS0_14default_configENS1_38merge_sort_block_merge_config_selectorIssEEZZNS1_27merge_sort_block_merge_implIS3_N6thrust23THRUST_200600_302600_NS6detail15normal_iteratorINS8_10device_ptrIsEEEESD_jNS1_19radix_merge_compareILb0ELb0EsNS0_19identity_decomposerEEEEE10hipError_tT0_T1_T2_jT3_P12ihipStream_tbPNSt15iterator_traitsISI_E10value_typeEPNSO_ISJ_E10value_typeEPSK_NS1_7vsmem_tEENKUlT_SI_SJ_SK_E_clISD_PsSD_S10_EESH_SX_SI_SJ_SK_EUlSX_E_NS1_11comp_targetILNS1_3genE3ELNS1_11target_archE908ELNS1_3gpuE7ELNS1_3repE0EEENS1_48merge_mergepath_partition_config_static_selectorELNS0_4arch9wavefront6targetE1EEEvSJ_
	.globl	_ZN7rocprim17ROCPRIM_400000_NS6detail17trampoline_kernelINS0_14default_configENS1_38merge_sort_block_merge_config_selectorIssEEZZNS1_27merge_sort_block_merge_implIS3_N6thrust23THRUST_200600_302600_NS6detail15normal_iteratorINS8_10device_ptrIsEEEESD_jNS1_19radix_merge_compareILb0ELb0EsNS0_19identity_decomposerEEEEE10hipError_tT0_T1_T2_jT3_P12ihipStream_tbPNSt15iterator_traitsISI_E10value_typeEPNSO_ISJ_E10value_typeEPSK_NS1_7vsmem_tEENKUlT_SI_SJ_SK_E_clISD_PsSD_S10_EESH_SX_SI_SJ_SK_EUlSX_E_NS1_11comp_targetILNS1_3genE3ELNS1_11target_archE908ELNS1_3gpuE7ELNS1_3repE0EEENS1_48merge_mergepath_partition_config_static_selectorELNS0_4arch9wavefront6targetE1EEEvSJ_
	.p2align	8
	.type	_ZN7rocprim17ROCPRIM_400000_NS6detail17trampoline_kernelINS0_14default_configENS1_38merge_sort_block_merge_config_selectorIssEEZZNS1_27merge_sort_block_merge_implIS3_N6thrust23THRUST_200600_302600_NS6detail15normal_iteratorINS8_10device_ptrIsEEEESD_jNS1_19radix_merge_compareILb0ELb0EsNS0_19identity_decomposerEEEEE10hipError_tT0_T1_T2_jT3_P12ihipStream_tbPNSt15iterator_traitsISI_E10value_typeEPNSO_ISJ_E10value_typeEPSK_NS1_7vsmem_tEENKUlT_SI_SJ_SK_E_clISD_PsSD_S10_EESH_SX_SI_SJ_SK_EUlSX_E_NS1_11comp_targetILNS1_3genE3ELNS1_11target_archE908ELNS1_3gpuE7ELNS1_3repE0EEENS1_48merge_mergepath_partition_config_static_selectorELNS0_4arch9wavefront6targetE1EEEvSJ_,@function
_ZN7rocprim17ROCPRIM_400000_NS6detail17trampoline_kernelINS0_14default_configENS1_38merge_sort_block_merge_config_selectorIssEEZZNS1_27merge_sort_block_merge_implIS3_N6thrust23THRUST_200600_302600_NS6detail15normal_iteratorINS8_10device_ptrIsEEEESD_jNS1_19radix_merge_compareILb0ELb0EsNS0_19identity_decomposerEEEEE10hipError_tT0_T1_T2_jT3_P12ihipStream_tbPNSt15iterator_traitsISI_E10value_typeEPNSO_ISJ_E10value_typeEPSK_NS1_7vsmem_tEENKUlT_SI_SJ_SK_E_clISD_PsSD_S10_EESH_SX_SI_SJ_SK_EUlSX_E_NS1_11comp_targetILNS1_3genE3ELNS1_11target_archE908ELNS1_3gpuE7ELNS1_3repE0EEENS1_48merge_mergepath_partition_config_static_selectorELNS0_4arch9wavefront6targetE1EEEvSJ_: ; @_ZN7rocprim17ROCPRIM_400000_NS6detail17trampoline_kernelINS0_14default_configENS1_38merge_sort_block_merge_config_selectorIssEEZZNS1_27merge_sort_block_merge_implIS3_N6thrust23THRUST_200600_302600_NS6detail15normal_iteratorINS8_10device_ptrIsEEEESD_jNS1_19radix_merge_compareILb0ELb0EsNS0_19identity_decomposerEEEEE10hipError_tT0_T1_T2_jT3_P12ihipStream_tbPNSt15iterator_traitsISI_E10value_typeEPNSO_ISJ_E10value_typeEPSK_NS1_7vsmem_tEENKUlT_SI_SJ_SK_E_clISD_PsSD_S10_EESH_SX_SI_SJ_SK_EUlSX_E_NS1_11comp_targetILNS1_3genE3ELNS1_11target_archE908ELNS1_3gpuE7ELNS1_3repE0EEENS1_48merge_mergepath_partition_config_static_selectorELNS0_4arch9wavefront6targetE1EEEvSJ_
; %bb.0:
	.section	.rodata,"a",@progbits
	.p2align	6, 0x0
	.amdhsa_kernel _ZN7rocprim17ROCPRIM_400000_NS6detail17trampoline_kernelINS0_14default_configENS1_38merge_sort_block_merge_config_selectorIssEEZZNS1_27merge_sort_block_merge_implIS3_N6thrust23THRUST_200600_302600_NS6detail15normal_iteratorINS8_10device_ptrIsEEEESD_jNS1_19radix_merge_compareILb0ELb0EsNS0_19identity_decomposerEEEEE10hipError_tT0_T1_T2_jT3_P12ihipStream_tbPNSt15iterator_traitsISI_E10value_typeEPNSO_ISJ_E10value_typeEPSK_NS1_7vsmem_tEENKUlT_SI_SJ_SK_E_clISD_PsSD_S10_EESH_SX_SI_SJ_SK_EUlSX_E_NS1_11comp_targetILNS1_3genE3ELNS1_11target_archE908ELNS1_3gpuE7ELNS1_3repE0EEENS1_48merge_mergepath_partition_config_static_selectorELNS0_4arch9wavefront6targetE1EEEvSJ_
		.amdhsa_group_segment_fixed_size 0
		.amdhsa_private_segment_fixed_size 0
		.amdhsa_kernarg_size 40
		.amdhsa_user_sgpr_count 2
		.amdhsa_user_sgpr_dispatch_ptr 0
		.amdhsa_user_sgpr_queue_ptr 0
		.amdhsa_user_sgpr_kernarg_segment_ptr 1
		.amdhsa_user_sgpr_dispatch_id 0
		.amdhsa_user_sgpr_kernarg_preload_length 0
		.amdhsa_user_sgpr_kernarg_preload_offset 0
		.amdhsa_user_sgpr_private_segment_size 0
		.amdhsa_uses_dynamic_stack 0
		.amdhsa_enable_private_segment 0
		.amdhsa_system_sgpr_workgroup_id_x 1
		.amdhsa_system_sgpr_workgroup_id_y 0
		.amdhsa_system_sgpr_workgroup_id_z 0
		.amdhsa_system_sgpr_workgroup_info 0
		.amdhsa_system_vgpr_workitem_id 0
		.amdhsa_next_free_vgpr 1
		.amdhsa_next_free_sgpr 0
		.amdhsa_accum_offset 4
		.amdhsa_reserve_vcc 0
		.amdhsa_float_round_mode_32 0
		.amdhsa_float_round_mode_16_64 0
		.amdhsa_float_denorm_mode_32 3
		.amdhsa_float_denorm_mode_16_64 3
		.amdhsa_dx10_clamp 1
		.amdhsa_ieee_mode 1
		.amdhsa_fp16_overflow 0
		.amdhsa_tg_split 0
		.amdhsa_exception_fp_ieee_invalid_op 0
		.amdhsa_exception_fp_denorm_src 0
		.amdhsa_exception_fp_ieee_div_zero 0
		.amdhsa_exception_fp_ieee_overflow 0
		.amdhsa_exception_fp_ieee_underflow 0
		.amdhsa_exception_fp_ieee_inexact 0
		.amdhsa_exception_int_div_zero 0
	.end_amdhsa_kernel
	.section	.text._ZN7rocprim17ROCPRIM_400000_NS6detail17trampoline_kernelINS0_14default_configENS1_38merge_sort_block_merge_config_selectorIssEEZZNS1_27merge_sort_block_merge_implIS3_N6thrust23THRUST_200600_302600_NS6detail15normal_iteratorINS8_10device_ptrIsEEEESD_jNS1_19radix_merge_compareILb0ELb0EsNS0_19identity_decomposerEEEEE10hipError_tT0_T1_T2_jT3_P12ihipStream_tbPNSt15iterator_traitsISI_E10value_typeEPNSO_ISJ_E10value_typeEPSK_NS1_7vsmem_tEENKUlT_SI_SJ_SK_E_clISD_PsSD_S10_EESH_SX_SI_SJ_SK_EUlSX_E_NS1_11comp_targetILNS1_3genE3ELNS1_11target_archE908ELNS1_3gpuE7ELNS1_3repE0EEENS1_48merge_mergepath_partition_config_static_selectorELNS0_4arch9wavefront6targetE1EEEvSJ_,"axG",@progbits,_ZN7rocprim17ROCPRIM_400000_NS6detail17trampoline_kernelINS0_14default_configENS1_38merge_sort_block_merge_config_selectorIssEEZZNS1_27merge_sort_block_merge_implIS3_N6thrust23THRUST_200600_302600_NS6detail15normal_iteratorINS8_10device_ptrIsEEEESD_jNS1_19radix_merge_compareILb0ELb0EsNS0_19identity_decomposerEEEEE10hipError_tT0_T1_T2_jT3_P12ihipStream_tbPNSt15iterator_traitsISI_E10value_typeEPNSO_ISJ_E10value_typeEPSK_NS1_7vsmem_tEENKUlT_SI_SJ_SK_E_clISD_PsSD_S10_EESH_SX_SI_SJ_SK_EUlSX_E_NS1_11comp_targetILNS1_3genE3ELNS1_11target_archE908ELNS1_3gpuE7ELNS1_3repE0EEENS1_48merge_mergepath_partition_config_static_selectorELNS0_4arch9wavefront6targetE1EEEvSJ_,comdat
.Lfunc_end1538:
	.size	_ZN7rocprim17ROCPRIM_400000_NS6detail17trampoline_kernelINS0_14default_configENS1_38merge_sort_block_merge_config_selectorIssEEZZNS1_27merge_sort_block_merge_implIS3_N6thrust23THRUST_200600_302600_NS6detail15normal_iteratorINS8_10device_ptrIsEEEESD_jNS1_19radix_merge_compareILb0ELb0EsNS0_19identity_decomposerEEEEE10hipError_tT0_T1_T2_jT3_P12ihipStream_tbPNSt15iterator_traitsISI_E10value_typeEPNSO_ISJ_E10value_typeEPSK_NS1_7vsmem_tEENKUlT_SI_SJ_SK_E_clISD_PsSD_S10_EESH_SX_SI_SJ_SK_EUlSX_E_NS1_11comp_targetILNS1_3genE3ELNS1_11target_archE908ELNS1_3gpuE7ELNS1_3repE0EEENS1_48merge_mergepath_partition_config_static_selectorELNS0_4arch9wavefront6targetE1EEEvSJ_, .Lfunc_end1538-_ZN7rocprim17ROCPRIM_400000_NS6detail17trampoline_kernelINS0_14default_configENS1_38merge_sort_block_merge_config_selectorIssEEZZNS1_27merge_sort_block_merge_implIS3_N6thrust23THRUST_200600_302600_NS6detail15normal_iteratorINS8_10device_ptrIsEEEESD_jNS1_19radix_merge_compareILb0ELb0EsNS0_19identity_decomposerEEEEE10hipError_tT0_T1_T2_jT3_P12ihipStream_tbPNSt15iterator_traitsISI_E10value_typeEPNSO_ISJ_E10value_typeEPSK_NS1_7vsmem_tEENKUlT_SI_SJ_SK_E_clISD_PsSD_S10_EESH_SX_SI_SJ_SK_EUlSX_E_NS1_11comp_targetILNS1_3genE3ELNS1_11target_archE908ELNS1_3gpuE7ELNS1_3repE0EEENS1_48merge_mergepath_partition_config_static_selectorELNS0_4arch9wavefront6targetE1EEEvSJ_
                                        ; -- End function
	.set _ZN7rocprim17ROCPRIM_400000_NS6detail17trampoline_kernelINS0_14default_configENS1_38merge_sort_block_merge_config_selectorIssEEZZNS1_27merge_sort_block_merge_implIS3_N6thrust23THRUST_200600_302600_NS6detail15normal_iteratorINS8_10device_ptrIsEEEESD_jNS1_19radix_merge_compareILb0ELb0EsNS0_19identity_decomposerEEEEE10hipError_tT0_T1_T2_jT3_P12ihipStream_tbPNSt15iterator_traitsISI_E10value_typeEPNSO_ISJ_E10value_typeEPSK_NS1_7vsmem_tEENKUlT_SI_SJ_SK_E_clISD_PsSD_S10_EESH_SX_SI_SJ_SK_EUlSX_E_NS1_11comp_targetILNS1_3genE3ELNS1_11target_archE908ELNS1_3gpuE7ELNS1_3repE0EEENS1_48merge_mergepath_partition_config_static_selectorELNS0_4arch9wavefront6targetE1EEEvSJ_.num_vgpr, 0
	.set _ZN7rocprim17ROCPRIM_400000_NS6detail17trampoline_kernelINS0_14default_configENS1_38merge_sort_block_merge_config_selectorIssEEZZNS1_27merge_sort_block_merge_implIS3_N6thrust23THRUST_200600_302600_NS6detail15normal_iteratorINS8_10device_ptrIsEEEESD_jNS1_19radix_merge_compareILb0ELb0EsNS0_19identity_decomposerEEEEE10hipError_tT0_T1_T2_jT3_P12ihipStream_tbPNSt15iterator_traitsISI_E10value_typeEPNSO_ISJ_E10value_typeEPSK_NS1_7vsmem_tEENKUlT_SI_SJ_SK_E_clISD_PsSD_S10_EESH_SX_SI_SJ_SK_EUlSX_E_NS1_11comp_targetILNS1_3genE3ELNS1_11target_archE908ELNS1_3gpuE7ELNS1_3repE0EEENS1_48merge_mergepath_partition_config_static_selectorELNS0_4arch9wavefront6targetE1EEEvSJ_.num_agpr, 0
	.set _ZN7rocprim17ROCPRIM_400000_NS6detail17trampoline_kernelINS0_14default_configENS1_38merge_sort_block_merge_config_selectorIssEEZZNS1_27merge_sort_block_merge_implIS3_N6thrust23THRUST_200600_302600_NS6detail15normal_iteratorINS8_10device_ptrIsEEEESD_jNS1_19radix_merge_compareILb0ELb0EsNS0_19identity_decomposerEEEEE10hipError_tT0_T1_T2_jT3_P12ihipStream_tbPNSt15iterator_traitsISI_E10value_typeEPNSO_ISJ_E10value_typeEPSK_NS1_7vsmem_tEENKUlT_SI_SJ_SK_E_clISD_PsSD_S10_EESH_SX_SI_SJ_SK_EUlSX_E_NS1_11comp_targetILNS1_3genE3ELNS1_11target_archE908ELNS1_3gpuE7ELNS1_3repE0EEENS1_48merge_mergepath_partition_config_static_selectorELNS0_4arch9wavefront6targetE1EEEvSJ_.numbered_sgpr, 0
	.set _ZN7rocprim17ROCPRIM_400000_NS6detail17trampoline_kernelINS0_14default_configENS1_38merge_sort_block_merge_config_selectorIssEEZZNS1_27merge_sort_block_merge_implIS3_N6thrust23THRUST_200600_302600_NS6detail15normal_iteratorINS8_10device_ptrIsEEEESD_jNS1_19radix_merge_compareILb0ELb0EsNS0_19identity_decomposerEEEEE10hipError_tT0_T1_T2_jT3_P12ihipStream_tbPNSt15iterator_traitsISI_E10value_typeEPNSO_ISJ_E10value_typeEPSK_NS1_7vsmem_tEENKUlT_SI_SJ_SK_E_clISD_PsSD_S10_EESH_SX_SI_SJ_SK_EUlSX_E_NS1_11comp_targetILNS1_3genE3ELNS1_11target_archE908ELNS1_3gpuE7ELNS1_3repE0EEENS1_48merge_mergepath_partition_config_static_selectorELNS0_4arch9wavefront6targetE1EEEvSJ_.num_named_barrier, 0
	.set _ZN7rocprim17ROCPRIM_400000_NS6detail17trampoline_kernelINS0_14default_configENS1_38merge_sort_block_merge_config_selectorIssEEZZNS1_27merge_sort_block_merge_implIS3_N6thrust23THRUST_200600_302600_NS6detail15normal_iteratorINS8_10device_ptrIsEEEESD_jNS1_19radix_merge_compareILb0ELb0EsNS0_19identity_decomposerEEEEE10hipError_tT0_T1_T2_jT3_P12ihipStream_tbPNSt15iterator_traitsISI_E10value_typeEPNSO_ISJ_E10value_typeEPSK_NS1_7vsmem_tEENKUlT_SI_SJ_SK_E_clISD_PsSD_S10_EESH_SX_SI_SJ_SK_EUlSX_E_NS1_11comp_targetILNS1_3genE3ELNS1_11target_archE908ELNS1_3gpuE7ELNS1_3repE0EEENS1_48merge_mergepath_partition_config_static_selectorELNS0_4arch9wavefront6targetE1EEEvSJ_.private_seg_size, 0
	.set _ZN7rocprim17ROCPRIM_400000_NS6detail17trampoline_kernelINS0_14default_configENS1_38merge_sort_block_merge_config_selectorIssEEZZNS1_27merge_sort_block_merge_implIS3_N6thrust23THRUST_200600_302600_NS6detail15normal_iteratorINS8_10device_ptrIsEEEESD_jNS1_19radix_merge_compareILb0ELb0EsNS0_19identity_decomposerEEEEE10hipError_tT0_T1_T2_jT3_P12ihipStream_tbPNSt15iterator_traitsISI_E10value_typeEPNSO_ISJ_E10value_typeEPSK_NS1_7vsmem_tEENKUlT_SI_SJ_SK_E_clISD_PsSD_S10_EESH_SX_SI_SJ_SK_EUlSX_E_NS1_11comp_targetILNS1_3genE3ELNS1_11target_archE908ELNS1_3gpuE7ELNS1_3repE0EEENS1_48merge_mergepath_partition_config_static_selectorELNS0_4arch9wavefront6targetE1EEEvSJ_.uses_vcc, 0
	.set _ZN7rocprim17ROCPRIM_400000_NS6detail17trampoline_kernelINS0_14default_configENS1_38merge_sort_block_merge_config_selectorIssEEZZNS1_27merge_sort_block_merge_implIS3_N6thrust23THRUST_200600_302600_NS6detail15normal_iteratorINS8_10device_ptrIsEEEESD_jNS1_19radix_merge_compareILb0ELb0EsNS0_19identity_decomposerEEEEE10hipError_tT0_T1_T2_jT3_P12ihipStream_tbPNSt15iterator_traitsISI_E10value_typeEPNSO_ISJ_E10value_typeEPSK_NS1_7vsmem_tEENKUlT_SI_SJ_SK_E_clISD_PsSD_S10_EESH_SX_SI_SJ_SK_EUlSX_E_NS1_11comp_targetILNS1_3genE3ELNS1_11target_archE908ELNS1_3gpuE7ELNS1_3repE0EEENS1_48merge_mergepath_partition_config_static_selectorELNS0_4arch9wavefront6targetE1EEEvSJ_.uses_flat_scratch, 0
	.set _ZN7rocprim17ROCPRIM_400000_NS6detail17trampoline_kernelINS0_14default_configENS1_38merge_sort_block_merge_config_selectorIssEEZZNS1_27merge_sort_block_merge_implIS3_N6thrust23THRUST_200600_302600_NS6detail15normal_iteratorINS8_10device_ptrIsEEEESD_jNS1_19radix_merge_compareILb0ELb0EsNS0_19identity_decomposerEEEEE10hipError_tT0_T1_T2_jT3_P12ihipStream_tbPNSt15iterator_traitsISI_E10value_typeEPNSO_ISJ_E10value_typeEPSK_NS1_7vsmem_tEENKUlT_SI_SJ_SK_E_clISD_PsSD_S10_EESH_SX_SI_SJ_SK_EUlSX_E_NS1_11comp_targetILNS1_3genE3ELNS1_11target_archE908ELNS1_3gpuE7ELNS1_3repE0EEENS1_48merge_mergepath_partition_config_static_selectorELNS0_4arch9wavefront6targetE1EEEvSJ_.has_dyn_sized_stack, 0
	.set _ZN7rocprim17ROCPRIM_400000_NS6detail17trampoline_kernelINS0_14default_configENS1_38merge_sort_block_merge_config_selectorIssEEZZNS1_27merge_sort_block_merge_implIS3_N6thrust23THRUST_200600_302600_NS6detail15normal_iteratorINS8_10device_ptrIsEEEESD_jNS1_19radix_merge_compareILb0ELb0EsNS0_19identity_decomposerEEEEE10hipError_tT0_T1_T2_jT3_P12ihipStream_tbPNSt15iterator_traitsISI_E10value_typeEPNSO_ISJ_E10value_typeEPSK_NS1_7vsmem_tEENKUlT_SI_SJ_SK_E_clISD_PsSD_S10_EESH_SX_SI_SJ_SK_EUlSX_E_NS1_11comp_targetILNS1_3genE3ELNS1_11target_archE908ELNS1_3gpuE7ELNS1_3repE0EEENS1_48merge_mergepath_partition_config_static_selectorELNS0_4arch9wavefront6targetE1EEEvSJ_.has_recursion, 0
	.set _ZN7rocprim17ROCPRIM_400000_NS6detail17trampoline_kernelINS0_14default_configENS1_38merge_sort_block_merge_config_selectorIssEEZZNS1_27merge_sort_block_merge_implIS3_N6thrust23THRUST_200600_302600_NS6detail15normal_iteratorINS8_10device_ptrIsEEEESD_jNS1_19radix_merge_compareILb0ELb0EsNS0_19identity_decomposerEEEEE10hipError_tT0_T1_T2_jT3_P12ihipStream_tbPNSt15iterator_traitsISI_E10value_typeEPNSO_ISJ_E10value_typeEPSK_NS1_7vsmem_tEENKUlT_SI_SJ_SK_E_clISD_PsSD_S10_EESH_SX_SI_SJ_SK_EUlSX_E_NS1_11comp_targetILNS1_3genE3ELNS1_11target_archE908ELNS1_3gpuE7ELNS1_3repE0EEENS1_48merge_mergepath_partition_config_static_selectorELNS0_4arch9wavefront6targetE1EEEvSJ_.has_indirect_call, 0
	.section	.AMDGPU.csdata,"",@progbits
; Kernel info:
; codeLenInByte = 0
; TotalNumSgprs: 6
; NumVgprs: 0
; NumAgprs: 0
; TotalNumVgprs: 0
; ScratchSize: 0
; MemoryBound: 0
; FloatMode: 240
; IeeeMode: 1
; LDSByteSize: 0 bytes/workgroup (compile time only)
; SGPRBlocks: 0
; VGPRBlocks: 0
; NumSGPRsForWavesPerEU: 6
; NumVGPRsForWavesPerEU: 1
; AccumOffset: 4
; Occupancy: 8
; WaveLimiterHint : 0
; COMPUTE_PGM_RSRC2:SCRATCH_EN: 0
; COMPUTE_PGM_RSRC2:USER_SGPR: 2
; COMPUTE_PGM_RSRC2:TRAP_HANDLER: 0
; COMPUTE_PGM_RSRC2:TGID_X_EN: 1
; COMPUTE_PGM_RSRC2:TGID_Y_EN: 0
; COMPUTE_PGM_RSRC2:TGID_Z_EN: 0
; COMPUTE_PGM_RSRC2:TIDIG_COMP_CNT: 0
; COMPUTE_PGM_RSRC3_GFX90A:ACCUM_OFFSET: 0
; COMPUTE_PGM_RSRC3_GFX90A:TG_SPLIT: 0
	.section	.text._ZN7rocprim17ROCPRIM_400000_NS6detail17trampoline_kernelINS0_14default_configENS1_38merge_sort_block_merge_config_selectorIssEEZZNS1_27merge_sort_block_merge_implIS3_N6thrust23THRUST_200600_302600_NS6detail15normal_iteratorINS8_10device_ptrIsEEEESD_jNS1_19radix_merge_compareILb0ELb0EsNS0_19identity_decomposerEEEEE10hipError_tT0_T1_T2_jT3_P12ihipStream_tbPNSt15iterator_traitsISI_E10value_typeEPNSO_ISJ_E10value_typeEPSK_NS1_7vsmem_tEENKUlT_SI_SJ_SK_E_clISD_PsSD_S10_EESH_SX_SI_SJ_SK_EUlSX_E_NS1_11comp_targetILNS1_3genE2ELNS1_11target_archE906ELNS1_3gpuE6ELNS1_3repE0EEENS1_48merge_mergepath_partition_config_static_selectorELNS0_4arch9wavefront6targetE1EEEvSJ_,"axG",@progbits,_ZN7rocprim17ROCPRIM_400000_NS6detail17trampoline_kernelINS0_14default_configENS1_38merge_sort_block_merge_config_selectorIssEEZZNS1_27merge_sort_block_merge_implIS3_N6thrust23THRUST_200600_302600_NS6detail15normal_iteratorINS8_10device_ptrIsEEEESD_jNS1_19radix_merge_compareILb0ELb0EsNS0_19identity_decomposerEEEEE10hipError_tT0_T1_T2_jT3_P12ihipStream_tbPNSt15iterator_traitsISI_E10value_typeEPNSO_ISJ_E10value_typeEPSK_NS1_7vsmem_tEENKUlT_SI_SJ_SK_E_clISD_PsSD_S10_EESH_SX_SI_SJ_SK_EUlSX_E_NS1_11comp_targetILNS1_3genE2ELNS1_11target_archE906ELNS1_3gpuE6ELNS1_3repE0EEENS1_48merge_mergepath_partition_config_static_selectorELNS0_4arch9wavefront6targetE1EEEvSJ_,comdat
	.protected	_ZN7rocprim17ROCPRIM_400000_NS6detail17trampoline_kernelINS0_14default_configENS1_38merge_sort_block_merge_config_selectorIssEEZZNS1_27merge_sort_block_merge_implIS3_N6thrust23THRUST_200600_302600_NS6detail15normal_iteratorINS8_10device_ptrIsEEEESD_jNS1_19radix_merge_compareILb0ELb0EsNS0_19identity_decomposerEEEEE10hipError_tT0_T1_T2_jT3_P12ihipStream_tbPNSt15iterator_traitsISI_E10value_typeEPNSO_ISJ_E10value_typeEPSK_NS1_7vsmem_tEENKUlT_SI_SJ_SK_E_clISD_PsSD_S10_EESH_SX_SI_SJ_SK_EUlSX_E_NS1_11comp_targetILNS1_3genE2ELNS1_11target_archE906ELNS1_3gpuE6ELNS1_3repE0EEENS1_48merge_mergepath_partition_config_static_selectorELNS0_4arch9wavefront6targetE1EEEvSJ_ ; -- Begin function _ZN7rocprim17ROCPRIM_400000_NS6detail17trampoline_kernelINS0_14default_configENS1_38merge_sort_block_merge_config_selectorIssEEZZNS1_27merge_sort_block_merge_implIS3_N6thrust23THRUST_200600_302600_NS6detail15normal_iteratorINS8_10device_ptrIsEEEESD_jNS1_19radix_merge_compareILb0ELb0EsNS0_19identity_decomposerEEEEE10hipError_tT0_T1_T2_jT3_P12ihipStream_tbPNSt15iterator_traitsISI_E10value_typeEPNSO_ISJ_E10value_typeEPSK_NS1_7vsmem_tEENKUlT_SI_SJ_SK_E_clISD_PsSD_S10_EESH_SX_SI_SJ_SK_EUlSX_E_NS1_11comp_targetILNS1_3genE2ELNS1_11target_archE906ELNS1_3gpuE6ELNS1_3repE0EEENS1_48merge_mergepath_partition_config_static_selectorELNS0_4arch9wavefront6targetE1EEEvSJ_
	.globl	_ZN7rocprim17ROCPRIM_400000_NS6detail17trampoline_kernelINS0_14default_configENS1_38merge_sort_block_merge_config_selectorIssEEZZNS1_27merge_sort_block_merge_implIS3_N6thrust23THRUST_200600_302600_NS6detail15normal_iteratorINS8_10device_ptrIsEEEESD_jNS1_19radix_merge_compareILb0ELb0EsNS0_19identity_decomposerEEEEE10hipError_tT0_T1_T2_jT3_P12ihipStream_tbPNSt15iterator_traitsISI_E10value_typeEPNSO_ISJ_E10value_typeEPSK_NS1_7vsmem_tEENKUlT_SI_SJ_SK_E_clISD_PsSD_S10_EESH_SX_SI_SJ_SK_EUlSX_E_NS1_11comp_targetILNS1_3genE2ELNS1_11target_archE906ELNS1_3gpuE6ELNS1_3repE0EEENS1_48merge_mergepath_partition_config_static_selectorELNS0_4arch9wavefront6targetE1EEEvSJ_
	.p2align	8
	.type	_ZN7rocprim17ROCPRIM_400000_NS6detail17trampoline_kernelINS0_14default_configENS1_38merge_sort_block_merge_config_selectorIssEEZZNS1_27merge_sort_block_merge_implIS3_N6thrust23THRUST_200600_302600_NS6detail15normal_iteratorINS8_10device_ptrIsEEEESD_jNS1_19radix_merge_compareILb0ELb0EsNS0_19identity_decomposerEEEEE10hipError_tT0_T1_T2_jT3_P12ihipStream_tbPNSt15iterator_traitsISI_E10value_typeEPNSO_ISJ_E10value_typeEPSK_NS1_7vsmem_tEENKUlT_SI_SJ_SK_E_clISD_PsSD_S10_EESH_SX_SI_SJ_SK_EUlSX_E_NS1_11comp_targetILNS1_3genE2ELNS1_11target_archE906ELNS1_3gpuE6ELNS1_3repE0EEENS1_48merge_mergepath_partition_config_static_selectorELNS0_4arch9wavefront6targetE1EEEvSJ_,@function
_ZN7rocprim17ROCPRIM_400000_NS6detail17trampoline_kernelINS0_14default_configENS1_38merge_sort_block_merge_config_selectorIssEEZZNS1_27merge_sort_block_merge_implIS3_N6thrust23THRUST_200600_302600_NS6detail15normal_iteratorINS8_10device_ptrIsEEEESD_jNS1_19radix_merge_compareILb0ELb0EsNS0_19identity_decomposerEEEEE10hipError_tT0_T1_T2_jT3_P12ihipStream_tbPNSt15iterator_traitsISI_E10value_typeEPNSO_ISJ_E10value_typeEPSK_NS1_7vsmem_tEENKUlT_SI_SJ_SK_E_clISD_PsSD_S10_EESH_SX_SI_SJ_SK_EUlSX_E_NS1_11comp_targetILNS1_3genE2ELNS1_11target_archE906ELNS1_3gpuE6ELNS1_3repE0EEENS1_48merge_mergepath_partition_config_static_selectorELNS0_4arch9wavefront6targetE1EEEvSJ_: ; @_ZN7rocprim17ROCPRIM_400000_NS6detail17trampoline_kernelINS0_14default_configENS1_38merge_sort_block_merge_config_selectorIssEEZZNS1_27merge_sort_block_merge_implIS3_N6thrust23THRUST_200600_302600_NS6detail15normal_iteratorINS8_10device_ptrIsEEEESD_jNS1_19radix_merge_compareILb0ELb0EsNS0_19identity_decomposerEEEEE10hipError_tT0_T1_T2_jT3_P12ihipStream_tbPNSt15iterator_traitsISI_E10value_typeEPNSO_ISJ_E10value_typeEPSK_NS1_7vsmem_tEENKUlT_SI_SJ_SK_E_clISD_PsSD_S10_EESH_SX_SI_SJ_SK_EUlSX_E_NS1_11comp_targetILNS1_3genE2ELNS1_11target_archE906ELNS1_3gpuE6ELNS1_3repE0EEENS1_48merge_mergepath_partition_config_static_selectorELNS0_4arch9wavefront6targetE1EEEvSJ_
; %bb.0:
	.section	.rodata,"a",@progbits
	.p2align	6, 0x0
	.amdhsa_kernel _ZN7rocprim17ROCPRIM_400000_NS6detail17trampoline_kernelINS0_14default_configENS1_38merge_sort_block_merge_config_selectorIssEEZZNS1_27merge_sort_block_merge_implIS3_N6thrust23THRUST_200600_302600_NS6detail15normal_iteratorINS8_10device_ptrIsEEEESD_jNS1_19radix_merge_compareILb0ELb0EsNS0_19identity_decomposerEEEEE10hipError_tT0_T1_T2_jT3_P12ihipStream_tbPNSt15iterator_traitsISI_E10value_typeEPNSO_ISJ_E10value_typeEPSK_NS1_7vsmem_tEENKUlT_SI_SJ_SK_E_clISD_PsSD_S10_EESH_SX_SI_SJ_SK_EUlSX_E_NS1_11comp_targetILNS1_3genE2ELNS1_11target_archE906ELNS1_3gpuE6ELNS1_3repE0EEENS1_48merge_mergepath_partition_config_static_selectorELNS0_4arch9wavefront6targetE1EEEvSJ_
		.amdhsa_group_segment_fixed_size 0
		.amdhsa_private_segment_fixed_size 0
		.amdhsa_kernarg_size 40
		.amdhsa_user_sgpr_count 2
		.amdhsa_user_sgpr_dispatch_ptr 0
		.amdhsa_user_sgpr_queue_ptr 0
		.amdhsa_user_sgpr_kernarg_segment_ptr 1
		.amdhsa_user_sgpr_dispatch_id 0
		.amdhsa_user_sgpr_kernarg_preload_length 0
		.amdhsa_user_sgpr_kernarg_preload_offset 0
		.amdhsa_user_sgpr_private_segment_size 0
		.amdhsa_uses_dynamic_stack 0
		.amdhsa_enable_private_segment 0
		.amdhsa_system_sgpr_workgroup_id_x 1
		.amdhsa_system_sgpr_workgroup_id_y 0
		.amdhsa_system_sgpr_workgroup_id_z 0
		.amdhsa_system_sgpr_workgroup_info 0
		.amdhsa_system_vgpr_workitem_id 0
		.amdhsa_next_free_vgpr 1
		.amdhsa_next_free_sgpr 0
		.amdhsa_accum_offset 4
		.amdhsa_reserve_vcc 0
		.amdhsa_float_round_mode_32 0
		.amdhsa_float_round_mode_16_64 0
		.amdhsa_float_denorm_mode_32 3
		.amdhsa_float_denorm_mode_16_64 3
		.amdhsa_dx10_clamp 1
		.amdhsa_ieee_mode 1
		.amdhsa_fp16_overflow 0
		.amdhsa_tg_split 0
		.amdhsa_exception_fp_ieee_invalid_op 0
		.amdhsa_exception_fp_denorm_src 0
		.amdhsa_exception_fp_ieee_div_zero 0
		.amdhsa_exception_fp_ieee_overflow 0
		.amdhsa_exception_fp_ieee_underflow 0
		.amdhsa_exception_fp_ieee_inexact 0
		.amdhsa_exception_int_div_zero 0
	.end_amdhsa_kernel
	.section	.text._ZN7rocprim17ROCPRIM_400000_NS6detail17trampoline_kernelINS0_14default_configENS1_38merge_sort_block_merge_config_selectorIssEEZZNS1_27merge_sort_block_merge_implIS3_N6thrust23THRUST_200600_302600_NS6detail15normal_iteratorINS8_10device_ptrIsEEEESD_jNS1_19radix_merge_compareILb0ELb0EsNS0_19identity_decomposerEEEEE10hipError_tT0_T1_T2_jT3_P12ihipStream_tbPNSt15iterator_traitsISI_E10value_typeEPNSO_ISJ_E10value_typeEPSK_NS1_7vsmem_tEENKUlT_SI_SJ_SK_E_clISD_PsSD_S10_EESH_SX_SI_SJ_SK_EUlSX_E_NS1_11comp_targetILNS1_3genE2ELNS1_11target_archE906ELNS1_3gpuE6ELNS1_3repE0EEENS1_48merge_mergepath_partition_config_static_selectorELNS0_4arch9wavefront6targetE1EEEvSJ_,"axG",@progbits,_ZN7rocprim17ROCPRIM_400000_NS6detail17trampoline_kernelINS0_14default_configENS1_38merge_sort_block_merge_config_selectorIssEEZZNS1_27merge_sort_block_merge_implIS3_N6thrust23THRUST_200600_302600_NS6detail15normal_iteratorINS8_10device_ptrIsEEEESD_jNS1_19radix_merge_compareILb0ELb0EsNS0_19identity_decomposerEEEEE10hipError_tT0_T1_T2_jT3_P12ihipStream_tbPNSt15iterator_traitsISI_E10value_typeEPNSO_ISJ_E10value_typeEPSK_NS1_7vsmem_tEENKUlT_SI_SJ_SK_E_clISD_PsSD_S10_EESH_SX_SI_SJ_SK_EUlSX_E_NS1_11comp_targetILNS1_3genE2ELNS1_11target_archE906ELNS1_3gpuE6ELNS1_3repE0EEENS1_48merge_mergepath_partition_config_static_selectorELNS0_4arch9wavefront6targetE1EEEvSJ_,comdat
.Lfunc_end1539:
	.size	_ZN7rocprim17ROCPRIM_400000_NS6detail17trampoline_kernelINS0_14default_configENS1_38merge_sort_block_merge_config_selectorIssEEZZNS1_27merge_sort_block_merge_implIS3_N6thrust23THRUST_200600_302600_NS6detail15normal_iteratorINS8_10device_ptrIsEEEESD_jNS1_19radix_merge_compareILb0ELb0EsNS0_19identity_decomposerEEEEE10hipError_tT0_T1_T2_jT3_P12ihipStream_tbPNSt15iterator_traitsISI_E10value_typeEPNSO_ISJ_E10value_typeEPSK_NS1_7vsmem_tEENKUlT_SI_SJ_SK_E_clISD_PsSD_S10_EESH_SX_SI_SJ_SK_EUlSX_E_NS1_11comp_targetILNS1_3genE2ELNS1_11target_archE906ELNS1_3gpuE6ELNS1_3repE0EEENS1_48merge_mergepath_partition_config_static_selectorELNS0_4arch9wavefront6targetE1EEEvSJ_, .Lfunc_end1539-_ZN7rocprim17ROCPRIM_400000_NS6detail17trampoline_kernelINS0_14default_configENS1_38merge_sort_block_merge_config_selectorIssEEZZNS1_27merge_sort_block_merge_implIS3_N6thrust23THRUST_200600_302600_NS6detail15normal_iteratorINS8_10device_ptrIsEEEESD_jNS1_19radix_merge_compareILb0ELb0EsNS0_19identity_decomposerEEEEE10hipError_tT0_T1_T2_jT3_P12ihipStream_tbPNSt15iterator_traitsISI_E10value_typeEPNSO_ISJ_E10value_typeEPSK_NS1_7vsmem_tEENKUlT_SI_SJ_SK_E_clISD_PsSD_S10_EESH_SX_SI_SJ_SK_EUlSX_E_NS1_11comp_targetILNS1_3genE2ELNS1_11target_archE906ELNS1_3gpuE6ELNS1_3repE0EEENS1_48merge_mergepath_partition_config_static_selectorELNS0_4arch9wavefront6targetE1EEEvSJ_
                                        ; -- End function
	.set _ZN7rocprim17ROCPRIM_400000_NS6detail17trampoline_kernelINS0_14default_configENS1_38merge_sort_block_merge_config_selectorIssEEZZNS1_27merge_sort_block_merge_implIS3_N6thrust23THRUST_200600_302600_NS6detail15normal_iteratorINS8_10device_ptrIsEEEESD_jNS1_19radix_merge_compareILb0ELb0EsNS0_19identity_decomposerEEEEE10hipError_tT0_T1_T2_jT3_P12ihipStream_tbPNSt15iterator_traitsISI_E10value_typeEPNSO_ISJ_E10value_typeEPSK_NS1_7vsmem_tEENKUlT_SI_SJ_SK_E_clISD_PsSD_S10_EESH_SX_SI_SJ_SK_EUlSX_E_NS1_11comp_targetILNS1_3genE2ELNS1_11target_archE906ELNS1_3gpuE6ELNS1_3repE0EEENS1_48merge_mergepath_partition_config_static_selectorELNS0_4arch9wavefront6targetE1EEEvSJ_.num_vgpr, 0
	.set _ZN7rocprim17ROCPRIM_400000_NS6detail17trampoline_kernelINS0_14default_configENS1_38merge_sort_block_merge_config_selectorIssEEZZNS1_27merge_sort_block_merge_implIS3_N6thrust23THRUST_200600_302600_NS6detail15normal_iteratorINS8_10device_ptrIsEEEESD_jNS1_19radix_merge_compareILb0ELb0EsNS0_19identity_decomposerEEEEE10hipError_tT0_T1_T2_jT3_P12ihipStream_tbPNSt15iterator_traitsISI_E10value_typeEPNSO_ISJ_E10value_typeEPSK_NS1_7vsmem_tEENKUlT_SI_SJ_SK_E_clISD_PsSD_S10_EESH_SX_SI_SJ_SK_EUlSX_E_NS1_11comp_targetILNS1_3genE2ELNS1_11target_archE906ELNS1_3gpuE6ELNS1_3repE0EEENS1_48merge_mergepath_partition_config_static_selectorELNS0_4arch9wavefront6targetE1EEEvSJ_.num_agpr, 0
	.set _ZN7rocprim17ROCPRIM_400000_NS6detail17trampoline_kernelINS0_14default_configENS1_38merge_sort_block_merge_config_selectorIssEEZZNS1_27merge_sort_block_merge_implIS3_N6thrust23THRUST_200600_302600_NS6detail15normal_iteratorINS8_10device_ptrIsEEEESD_jNS1_19radix_merge_compareILb0ELb0EsNS0_19identity_decomposerEEEEE10hipError_tT0_T1_T2_jT3_P12ihipStream_tbPNSt15iterator_traitsISI_E10value_typeEPNSO_ISJ_E10value_typeEPSK_NS1_7vsmem_tEENKUlT_SI_SJ_SK_E_clISD_PsSD_S10_EESH_SX_SI_SJ_SK_EUlSX_E_NS1_11comp_targetILNS1_3genE2ELNS1_11target_archE906ELNS1_3gpuE6ELNS1_3repE0EEENS1_48merge_mergepath_partition_config_static_selectorELNS0_4arch9wavefront6targetE1EEEvSJ_.numbered_sgpr, 0
	.set _ZN7rocprim17ROCPRIM_400000_NS6detail17trampoline_kernelINS0_14default_configENS1_38merge_sort_block_merge_config_selectorIssEEZZNS1_27merge_sort_block_merge_implIS3_N6thrust23THRUST_200600_302600_NS6detail15normal_iteratorINS8_10device_ptrIsEEEESD_jNS1_19radix_merge_compareILb0ELb0EsNS0_19identity_decomposerEEEEE10hipError_tT0_T1_T2_jT3_P12ihipStream_tbPNSt15iterator_traitsISI_E10value_typeEPNSO_ISJ_E10value_typeEPSK_NS1_7vsmem_tEENKUlT_SI_SJ_SK_E_clISD_PsSD_S10_EESH_SX_SI_SJ_SK_EUlSX_E_NS1_11comp_targetILNS1_3genE2ELNS1_11target_archE906ELNS1_3gpuE6ELNS1_3repE0EEENS1_48merge_mergepath_partition_config_static_selectorELNS0_4arch9wavefront6targetE1EEEvSJ_.num_named_barrier, 0
	.set _ZN7rocprim17ROCPRIM_400000_NS6detail17trampoline_kernelINS0_14default_configENS1_38merge_sort_block_merge_config_selectorIssEEZZNS1_27merge_sort_block_merge_implIS3_N6thrust23THRUST_200600_302600_NS6detail15normal_iteratorINS8_10device_ptrIsEEEESD_jNS1_19radix_merge_compareILb0ELb0EsNS0_19identity_decomposerEEEEE10hipError_tT0_T1_T2_jT3_P12ihipStream_tbPNSt15iterator_traitsISI_E10value_typeEPNSO_ISJ_E10value_typeEPSK_NS1_7vsmem_tEENKUlT_SI_SJ_SK_E_clISD_PsSD_S10_EESH_SX_SI_SJ_SK_EUlSX_E_NS1_11comp_targetILNS1_3genE2ELNS1_11target_archE906ELNS1_3gpuE6ELNS1_3repE0EEENS1_48merge_mergepath_partition_config_static_selectorELNS0_4arch9wavefront6targetE1EEEvSJ_.private_seg_size, 0
	.set _ZN7rocprim17ROCPRIM_400000_NS6detail17trampoline_kernelINS0_14default_configENS1_38merge_sort_block_merge_config_selectorIssEEZZNS1_27merge_sort_block_merge_implIS3_N6thrust23THRUST_200600_302600_NS6detail15normal_iteratorINS8_10device_ptrIsEEEESD_jNS1_19radix_merge_compareILb0ELb0EsNS0_19identity_decomposerEEEEE10hipError_tT0_T1_T2_jT3_P12ihipStream_tbPNSt15iterator_traitsISI_E10value_typeEPNSO_ISJ_E10value_typeEPSK_NS1_7vsmem_tEENKUlT_SI_SJ_SK_E_clISD_PsSD_S10_EESH_SX_SI_SJ_SK_EUlSX_E_NS1_11comp_targetILNS1_3genE2ELNS1_11target_archE906ELNS1_3gpuE6ELNS1_3repE0EEENS1_48merge_mergepath_partition_config_static_selectorELNS0_4arch9wavefront6targetE1EEEvSJ_.uses_vcc, 0
	.set _ZN7rocprim17ROCPRIM_400000_NS6detail17trampoline_kernelINS0_14default_configENS1_38merge_sort_block_merge_config_selectorIssEEZZNS1_27merge_sort_block_merge_implIS3_N6thrust23THRUST_200600_302600_NS6detail15normal_iteratorINS8_10device_ptrIsEEEESD_jNS1_19radix_merge_compareILb0ELb0EsNS0_19identity_decomposerEEEEE10hipError_tT0_T1_T2_jT3_P12ihipStream_tbPNSt15iterator_traitsISI_E10value_typeEPNSO_ISJ_E10value_typeEPSK_NS1_7vsmem_tEENKUlT_SI_SJ_SK_E_clISD_PsSD_S10_EESH_SX_SI_SJ_SK_EUlSX_E_NS1_11comp_targetILNS1_3genE2ELNS1_11target_archE906ELNS1_3gpuE6ELNS1_3repE0EEENS1_48merge_mergepath_partition_config_static_selectorELNS0_4arch9wavefront6targetE1EEEvSJ_.uses_flat_scratch, 0
	.set _ZN7rocprim17ROCPRIM_400000_NS6detail17trampoline_kernelINS0_14default_configENS1_38merge_sort_block_merge_config_selectorIssEEZZNS1_27merge_sort_block_merge_implIS3_N6thrust23THRUST_200600_302600_NS6detail15normal_iteratorINS8_10device_ptrIsEEEESD_jNS1_19radix_merge_compareILb0ELb0EsNS0_19identity_decomposerEEEEE10hipError_tT0_T1_T2_jT3_P12ihipStream_tbPNSt15iterator_traitsISI_E10value_typeEPNSO_ISJ_E10value_typeEPSK_NS1_7vsmem_tEENKUlT_SI_SJ_SK_E_clISD_PsSD_S10_EESH_SX_SI_SJ_SK_EUlSX_E_NS1_11comp_targetILNS1_3genE2ELNS1_11target_archE906ELNS1_3gpuE6ELNS1_3repE0EEENS1_48merge_mergepath_partition_config_static_selectorELNS0_4arch9wavefront6targetE1EEEvSJ_.has_dyn_sized_stack, 0
	.set _ZN7rocprim17ROCPRIM_400000_NS6detail17trampoline_kernelINS0_14default_configENS1_38merge_sort_block_merge_config_selectorIssEEZZNS1_27merge_sort_block_merge_implIS3_N6thrust23THRUST_200600_302600_NS6detail15normal_iteratorINS8_10device_ptrIsEEEESD_jNS1_19radix_merge_compareILb0ELb0EsNS0_19identity_decomposerEEEEE10hipError_tT0_T1_T2_jT3_P12ihipStream_tbPNSt15iterator_traitsISI_E10value_typeEPNSO_ISJ_E10value_typeEPSK_NS1_7vsmem_tEENKUlT_SI_SJ_SK_E_clISD_PsSD_S10_EESH_SX_SI_SJ_SK_EUlSX_E_NS1_11comp_targetILNS1_3genE2ELNS1_11target_archE906ELNS1_3gpuE6ELNS1_3repE0EEENS1_48merge_mergepath_partition_config_static_selectorELNS0_4arch9wavefront6targetE1EEEvSJ_.has_recursion, 0
	.set _ZN7rocprim17ROCPRIM_400000_NS6detail17trampoline_kernelINS0_14default_configENS1_38merge_sort_block_merge_config_selectorIssEEZZNS1_27merge_sort_block_merge_implIS3_N6thrust23THRUST_200600_302600_NS6detail15normal_iteratorINS8_10device_ptrIsEEEESD_jNS1_19radix_merge_compareILb0ELb0EsNS0_19identity_decomposerEEEEE10hipError_tT0_T1_T2_jT3_P12ihipStream_tbPNSt15iterator_traitsISI_E10value_typeEPNSO_ISJ_E10value_typeEPSK_NS1_7vsmem_tEENKUlT_SI_SJ_SK_E_clISD_PsSD_S10_EESH_SX_SI_SJ_SK_EUlSX_E_NS1_11comp_targetILNS1_3genE2ELNS1_11target_archE906ELNS1_3gpuE6ELNS1_3repE0EEENS1_48merge_mergepath_partition_config_static_selectorELNS0_4arch9wavefront6targetE1EEEvSJ_.has_indirect_call, 0
	.section	.AMDGPU.csdata,"",@progbits
; Kernel info:
; codeLenInByte = 0
; TotalNumSgprs: 6
; NumVgprs: 0
; NumAgprs: 0
; TotalNumVgprs: 0
; ScratchSize: 0
; MemoryBound: 0
; FloatMode: 240
; IeeeMode: 1
; LDSByteSize: 0 bytes/workgroup (compile time only)
; SGPRBlocks: 0
; VGPRBlocks: 0
; NumSGPRsForWavesPerEU: 6
; NumVGPRsForWavesPerEU: 1
; AccumOffset: 4
; Occupancy: 8
; WaveLimiterHint : 0
; COMPUTE_PGM_RSRC2:SCRATCH_EN: 0
; COMPUTE_PGM_RSRC2:USER_SGPR: 2
; COMPUTE_PGM_RSRC2:TRAP_HANDLER: 0
; COMPUTE_PGM_RSRC2:TGID_X_EN: 1
; COMPUTE_PGM_RSRC2:TGID_Y_EN: 0
; COMPUTE_PGM_RSRC2:TGID_Z_EN: 0
; COMPUTE_PGM_RSRC2:TIDIG_COMP_CNT: 0
; COMPUTE_PGM_RSRC3_GFX90A:ACCUM_OFFSET: 0
; COMPUTE_PGM_RSRC3_GFX90A:TG_SPLIT: 0
	.section	.text._ZN7rocprim17ROCPRIM_400000_NS6detail17trampoline_kernelINS0_14default_configENS1_38merge_sort_block_merge_config_selectorIssEEZZNS1_27merge_sort_block_merge_implIS3_N6thrust23THRUST_200600_302600_NS6detail15normal_iteratorINS8_10device_ptrIsEEEESD_jNS1_19radix_merge_compareILb0ELb0EsNS0_19identity_decomposerEEEEE10hipError_tT0_T1_T2_jT3_P12ihipStream_tbPNSt15iterator_traitsISI_E10value_typeEPNSO_ISJ_E10value_typeEPSK_NS1_7vsmem_tEENKUlT_SI_SJ_SK_E_clISD_PsSD_S10_EESH_SX_SI_SJ_SK_EUlSX_E_NS1_11comp_targetILNS1_3genE9ELNS1_11target_archE1100ELNS1_3gpuE3ELNS1_3repE0EEENS1_48merge_mergepath_partition_config_static_selectorELNS0_4arch9wavefront6targetE1EEEvSJ_,"axG",@progbits,_ZN7rocprim17ROCPRIM_400000_NS6detail17trampoline_kernelINS0_14default_configENS1_38merge_sort_block_merge_config_selectorIssEEZZNS1_27merge_sort_block_merge_implIS3_N6thrust23THRUST_200600_302600_NS6detail15normal_iteratorINS8_10device_ptrIsEEEESD_jNS1_19radix_merge_compareILb0ELb0EsNS0_19identity_decomposerEEEEE10hipError_tT0_T1_T2_jT3_P12ihipStream_tbPNSt15iterator_traitsISI_E10value_typeEPNSO_ISJ_E10value_typeEPSK_NS1_7vsmem_tEENKUlT_SI_SJ_SK_E_clISD_PsSD_S10_EESH_SX_SI_SJ_SK_EUlSX_E_NS1_11comp_targetILNS1_3genE9ELNS1_11target_archE1100ELNS1_3gpuE3ELNS1_3repE0EEENS1_48merge_mergepath_partition_config_static_selectorELNS0_4arch9wavefront6targetE1EEEvSJ_,comdat
	.protected	_ZN7rocprim17ROCPRIM_400000_NS6detail17trampoline_kernelINS0_14default_configENS1_38merge_sort_block_merge_config_selectorIssEEZZNS1_27merge_sort_block_merge_implIS3_N6thrust23THRUST_200600_302600_NS6detail15normal_iteratorINS8_10device_ptrIsEEEESD_jNS1_19radix_merge_compareILb0ELb0EsNS0_19identity_decomposerEEEEE10hipError_tT0_T1_T2_jT3_P12ihipStream_tbPNSt15iterator_traitsISI_E10value_typeEPNSO_ISJ_E10value_typeEPSK_NS1_7vsmem_tEENKUlT_SI_SJ_SK_E_clISD_PsSD_S10_EESH_SX_SI_SJ_SK_EUlSX_E_NS1_11comp_targetILNS1_3genE9ELNS1_11target_archE1100ELNS1_3gpuE3ELNS1_3repE0EEENS1_48merge_mergepath_partition_config_static_selectorELNS0_4arch9wavefront6targetE1EEEvSJ_ ; -- Begin function _ZN7rocprim17ROCPRIM_400000_NS6detail17trampoline_kernelINS0_14default_configENS1_38merge_sort_block_merge_config_selectorIssEEZZNS1_27merge_sort_block_merge_implIS3_N6thrust23THRUST_200600_302600_NS6detail15normal_iteratorINS8_10device_ptrIsEEEESD_jNS1_19radix_merge_compareILb0ELb0EsNS0_19identity_decomposerEEEEE10hipError_tT0_T1_T2_jT3_P12ihipStream_tbPNSt15iterator_traitsISI_E10value_typeEPNSO_ISJ_E10value_typeEPSK_NS1_7vsmem_tEENKUlT_SI_SJ_SK_E_clISD_PsSD_S10_EESH_SX_SI_SJ_SK_EUlSX_E_NS1_11comp_targetILNS1_3genE9ELNS1_11target_archE1100ELNS1_3gpuE3ELNS1_3repE0EEENS1_48merge_mergepath_partition_config_static_selectorELNS0_4arch9wavefront6targetE1EEEvSJ_
	.globl	_ZN7rocprim17ROCPRIM_400000_NS6detail17trampoline_kernelINS0_14default_configENS1_38merge_sort_block_merge_config_selectorIssEEZZNS1_27merge_sort_block_merge_implIS3_N6thrust23THRUST_200600_302600_NS6detail15normal_iteratorINS8_10device_ptrIsEEEESD_jNS1_19radix_merge_compareILb0ELb0EsNS0_19identity_decomposerEEEEE10hipError_tT0_T1_T2_jT3_P12ihipStream_tbPNSt15iterator_traitsISI_E10value_typeEPNSO_ISJ_E10value_typeEPSK_NS1_7vsmem_tEENKUlT_SI_SJ_SK_E_clISD_PsSD_S10_EESH_SX_SI_SJ_SK_EUlSX_E_NS1_11comp_targetILNS1_3genE9ELNS1_11target_archE1100ELNS1_3gpuE3ELNS1_3repE0EEENS1_48merge_mergepath_partition_config_static_selectorELNS0_4arch9wavefront6targetE1EEEvSJ_
	.p2align	8
	.type	_ZN7rocprim17ROCPRIM_400000_NS6detail17trampoline_kernelINS0_14default_configENS1_38merge_sort_block_merge_config_selectorIssEEZZNS1_27merge_sort_block_merge_implIS3_N6thrust23THRUST_200600_302600_NS6detail15normal_iteratorINS8_10device_ptrIsEEEESD_jNS1_19radix_merge_compareILb0ELb0EsNS0_19identity_decomposerEEEEE10hipError_tT0_T1_T2_jT3_P12ihipStream_tbPNSt15iterator_traitsISI_E10value_typeEPNSO_ISJ_E10value_typeEPSK_NS1_7vsmem_tEENKUlT_SI_SJ_SK_E_clISD_PsSD_S10_EESH_SX_SI_SJ_SK_EUlSX_E_NS1_11comp_targetILNS1_3genE9ELNS1_11target_archE1100ELNS1_3gpuE3ELNS1_3repE0EEENS1_48merge_mergepath_partition_config_static_selectorELNS0_4arch9wavefront6targetE1EEEvSJ_,@function
_ZN7rocprim17ROCPRIM_400000_NS6detail17trampoline_kernelINS0_14default_configENS1_38merge_sort_block_merge_config_selectorIssEEZZNS1_27merge_sort_block_merge_implIS3_N6thrust23THRUST_200600_302600_NS6detail15normal_iteratorINS8_10device_ptrIsEEEESD_jNS1_19radix_merge_compareILb0ELb0EsNS0_19identity_decomposerEEEEE10hipError_tT0_T1_T2_jT3_P12ihipStream_tbPNSt15iterator_traitsISI_E10value_typeEPNSO_ISJ_E10value_typeEPSK_NS1_7vsmem_tEENKUlT_SI_SJ_SK_E_clISD_PsSD_S10_EESH_SX_SI_SJ_SK_EUlSX_E_NS1_11comp_targetILNS1_3genE9ELNS1_11target_archE1100ELNS1_3gpuE3ELNS1_3repE0EEENS1_48merge_mergepath_partition_config_static_selectorELNS0_4arch9wavefront6targetE1EEEvSJ_: ; @_ZN7rocprim17ROCPRIM_400000_NS6detail17trampoline_kernelINS0_14default_configENS1_38merge_sort_block_merge_config_selectorIssEEZZNS1_27merge_sort_block_merge_implIS3_N6thrust23THRUST_200600_302600_NS6detail15normal_iteratorINS8_10device_ptrIsEEEESD_jNS1_19radix_merge_compareILb0ELb0EsNS0_19identity_decomposerEEEEE10hipError_tT0_T1_T2_jT3_P12ihipStream_tbPNSt15iterator_traitsISI_E10value_typeEPNSO_ISJ_E10value_typeEPSK_NS1_7vsmem_tEENKUlT_SI_SJ_SK_E_clISD_PsSD_S10_EESH_SX_SI_SJ_SK_EUlSX_E_NS1_11comp_targetILNS1_3genE9ELNS1_11target_archE1100ELNS1_3gpuE3ELNS1_3repE0EEENS1_48merge_mergepath_partition_config_static_selectorELNS0_4arch9wavefront6targetE1EEEvSJ_
; %bb.0:
	.section	.rodata,"a",@progbits
	.p2align	6, 0x0
	.amdhsa_kernel _ZN7rocprim17ROCPRIM_400000_NS6detail17trampoline_kernelINS0_14default_configENS1_38merge_sort_block_merge_config_selectorIssEEZZNS1_27merge_sort_block_merge_implIS3_N6thrust23THRUST_200600_302600_NS6detail15normal_iteratorINS8_10device_ptrIsEEEESD_jNS1_19radix_merge_compareILb0ELb0EsNS0_19identity_decomposerEEEEE10hipError_tT0_T1_T2_jT3_P12ihipStream_tbPNSt15iterator_traitsISI_E10value_typeEPNSO_ISJ_E10value_typeEPSK_NS1_7vsmem_tEENKUlT_SI_SJ_SK_E_clISD_PsSD_S10_EESH_SX_SI_SJ_SK_EUlSX_E_NS1_11comp_targetILNS1_3genE9ELNS1_11target_archE1100ELNS1_3gpuE3ELNS1_3repE0EEENS1_48merge_mergepath_partition_config_static_selectorELNS0_4arch9wavefront6targetE1EEEvSJ_
		.amdhsa_group_segment_fixed_size 0
		.amdhsa_private_segment_fixed_size 0
		.amdhsa_kernarg_size 40
		.amdhsa_user_sgpr_count 2
		.amdhsa_user_sgpr_dispatch_ptr 0
		.amdhsa_user_sgpr_queue_ptr 0
		.amdhsa_user_sgpr_kernarg_segment_ptr 1
		.amdhsa_user_sgpr_dispatch_id 0
		.amdhsa_user_sgpr_kernarg_preload_length 0
		.amdhsa_user_sgpr_kernarg_preload_offset 0
		.amdhsa_user_sgpr_private_segment_size 0
		.amdhsa_uses_dynamic_stack 0
		.amdhsa_enable_private_segment 0
		.amdhsa_system_sgpr_workgroup_id_x 1
		.amdhsa_system_sgpr_workgroup_id_y 0
		.amdhsa_system_sgpr_workgroup_id_z 0
		.amdhsa_system_sgpr_workgroup_info 0
		.amdhsa_system_vgpr_workitem_id 0
		.amdhsa_next_free_vgpr 1
		.amdhsa_next_free_sgpr 0
		.amdhsa_accum_offset 4
		.amdhsa_reserve_vcc 0
		.amdhsa_float_round_mode_32 0
		.amdhsa_float_round_mode_16_64 0
		.amdhsa_float_denorm_mode_32 3
		.amdhsa_float_denorm_mode_16_64 3
		.amdhsa_dx10_clamp 1
		.amdhsa_ieee_mode 1
		.amdhsa_fp16_overflow 0
		.amdhsa_tg_split 0
		.amdhsa_exception_fp_ieee_invalid_op 0
		.amdhsa_exception_fp_denorm_src 0
		.amdhsa_exception_fp_ieee_div_zero 0
		.amdhsa_exception_fp_ieee_overflow 0
		.amdhsa_exception_fp_ieee_underflow 0
		.amdhsa_exception_fp_ieee_inexact 0
		.amdhsa_exception_int_div_zero 0
	.end_amdhsa_kernel
	.section	.text._ZN7rocprim17ROCPRIM_400000_NS6detail17trampoline_kernelINS0_14default_configENS1_38merge_sort_block_merge_config_selectorIssEEZZNS1_27merge_sort_block_merge_implIS3_N6thrust23THRUST_200600_302600_NS6detail15normal_iteratorINS8_10device_ptrIsEEEESD_jNS1_19radix_merge_compareILb0ELb0EsNS0_19identity_decomposerEEEEE10hipError_tT0_T1_T2_jT3_P12ihipStream_tbPNSt15iterator_traitsISI_E10value_typeEPNSO_ISJ_E10value_typeEPSK_NS1_7vsmem_tEENKUlT_SI_SJ_SK_E_clISD_PsSD_S10_EESH_SX_SI_SJ_SK_EUlSX_E_NS1_11comp_targetILNS1_3genE9ELNS1_11target_archE1100ELNS1_3gpuE3ELNS1_3repE0EEENS1_48merge_mergepath_partition_config_static_selectorELNS0_4arch9wavefront6targetE1EEEvSJ_,"axG",@progbits,_ZN7rocprim17ROCPRIM_400000_NS6detail17trampoline_kernelINS0_14default_configENS1_38merge_sort_block_merge_config_selectorIssEEZZNS1_27merge_sort_block_merge_implIS3_N6thrust23THRUST_200600_302600_NS6detail15normal_iteratorINS8_10device_ptrIsEEEESD_jNS1_19radix_merge_compareILb0ELb0EsNS0_19identity_decomposerEEEEE10hipError_tT0_T1_T2_jT3_P12ihipStream_tbPNSt15iterator_traitsISI_E10value_typeEPNSO_ISJ_E10value_typeEPSK_NS1_7vsmem_tEENKUlT_SI_SJ_SK_E_clISD_PsSD_S10_EESH_SX_SI_SJ_SK_EUlSX_E_NS1_11comp_targetILNS1_3genE9ELNS1_11target_archE1100ELNS1_3gpuE3ELNS1_3repE0EEENS1_48merge_mergepath_partition_config_static_selectorELNS0_4arch9wavefront6targetE1EEEvSJ_,comdat
.Lfunc_end1540:
	.size	_ZN7rocprim17ROCPRIM_400000_NS6detail17trampoline_kernelINS0_14default_configENS1_38merge_sort_block_merge_config_selectorIssEEZZNS1_27merge_sort_block_merge_implIS3_N6thrust23THRUST_200600_302600_NS6detail15normal_iteratorINS8_10device_ptrIsEEEESD_jNS1_19radix_merge_compareILb0ELb0EsNS0_19identity_decomposerEEEEE10hipError_tT0_T1_T2_jT3_P12ihipStream_tbPNSt15iterator_traitsISI_E10value_typeEPNSO_ISJ_E10value_typeEPSK_NS1_7vsmem_tEENKUlT_SI_SJ_SK_E_clISD_PsSD_S10_EESH_SX_SI_SJ_SK_EUlSX_E_NS1_11comp_targetILNS1_3genE9ELNS1_11target_archE1100ELNS1_3gpuE3ELNS1_3repE0EEENS1_48merge_mergepath_partition_config_static_selectorELNS0_4arch9wavefront6targetE1EEEvSJ_, .Lfunc_end1540-_ZN7rocprim17ROCPRIM_400000_NS6detail17trampoline_kernelINS0_14default_configENS1_38merge_sort_block_merge_config_selectorIssEEZZNS1_27merge_sort_block_merge_implIS3_N6thrust23THRUST_200600_302600_NS6detail15normal_iteratorINS8_10device_ptrIsEEEESD_jNS1_19radix_merge_compareILb0ELb0EsNS0_19identity_decomposerEEEEE10hipError_tT0_T1_T2_jT3_P12ihipStream_tbPNSt15iterator_traitsISI_E10value_typeEPNSO_ISJ_E10value_typeEPSK_NS1_7vsmem_tEENKUlT_SI_SJ_SK_E_clISD_PsSD_S10_EESH_SX_SI_SJ_SK_EUlSX_E_NS1_11comp_targetILNS1_3genE9ELNS1_11target_archE1100ELNS1_3gpuE3ELNS1_3repE0EEENS1_48merge_mergepath_partition_config_static_selectorELNS0_4arch9wavefront6targetE1EEEvSJ_
                                        ; -- End function
	.set _ZN7rocprim17ROCPRIM_400000_NS6detail17trampoline_kernelINS0_14default_configENS1_38merge_sort_block_merge_config_selectorIssEEZZNS1_27merge_sort_block_merge_implIS3_N6thrust23THRUST_200600_302600_NS6detail15normal_iteratorINS8_10device_ptrIsEEEESD_jNS1_19radix_merge_compareILb0ELb0EsNS0_19identity_decomposerEEEEE10hipError_tT0_T1_T2_jT3_P12ihipStream_tbPNSt15iterator_traitsISI_E10value_typeEPNSO_ISJ_E10value_typeEPSK_NS1_7vsmem_tEENKUlT_SI_SJ_SK_E_clISD_PsSD_S10_EESH_SX_SI_SJ_SK_EUlSX_E_NS1_11comp_targetILNS1_3genE9ELNS1_11target_archE1100ELNS1_3gpuE3ELNS1_3repE0EEENS1_48merge_mergepath_partition_config_static_selectorELNS0_4arch9wavefront6targetE1EEEvSJ_.num_vgpr, 0
	.set _ZN7rocprim17ROCPRIM_400000_NS6detail17trampoline_kernelINS0_14default_configENS1_38merge_sort_block_merge_config_selectorIssEEZZNS1_27merge_sort_block_merge_implIS3_N6thrust23THRUST_200600_302600_NS6detail15normal_iteratorINS8_10device_ptrIsEEEESD_jNS1_19radix_merge_compareILb0ELb0EsNS0_19identity_decomposerEEEEE10hipError_tT0_T1_T2_jT3_P12ihipStream_tbPNSt15iterator_traitsISI_E10value_typeEPNSO_ISJ_E10value_typeEPSK_NS1_7vsmem_tEENKUlT_SI_SJ_SK_E_clISD_PsSD_S10_EESH_SX_SI_SJ_SK_EUlSX_E_NS1_11comp_targetILNS1_3genE9ELNS1_11target_archE1100ELNS1_3gpuE3ELNS1_3repE0EEENS1_48merge_mergepath_partition_config_static_selectorELNS0_4arch9wavefront6targetE1EEEvSJ_.num_agpr, 0
	.set _ZN7rocprim17ROCPRIM_400000_NS6detail17trampoline_kernelINS0_14default_configENS1_38merge_sort_block_merge_config_selectorIssEEZZNS1_27merge_sort_block_merge_implIS3_N6thrust23THRUST_200600_302600_NS6detail15normal_iteratorINS8_10device_ptrIsEEEESD_jNS1_19radix_merge_compareILb0ELb0EsNS0_19identity_decomposerEEEEE10hipError_tT0_T1_T2_jT3_P12ihipStream_tbPNSt15iterator_traitsISI_E10value_typeEPNSO_ISJ_E10value_typeEPSK_NS1_7vsmem_tEENKUlT_SI_SJ_SK_E_clISD_PsSD_S10_EESH_SX_SI_SJ_SK_EUlSX_E_NS1_11comp_targetILNS1_3genE9ELNS1_11target_archE1100ELNS1_3gpuE3ELNS1_3repE0EEENS1_48merge_mergepath_partition_config_static_selectorELNS0_4arch9wavefront6targetE1EEEvSJ_.numbered_sgpr, 0
	.set _ZN7rocprim17ROCPRIM_400000_NS6detail17trampoline_kernelINS0_14default_configENS1_38merge_sort_block_merge_config_selectorIssEEZZNS1_27merge_sort_block_merge_implIS3_N6thrust23THRUST_200600_302600_NS6detail15normal_iteratorINS8_10device_ptrIsEEEESD_jNS1_19radix_merge_compareILb0ELb0EsNS0_19identity_decomposerEEEEE10hipError_tT0_T1_T2_jT3_P12ihipStream_tbPNSt15iterator_traitsISI_E10value_typeEPNSO_ISJ_E10value_typeEPSK_NS1_7vsmem_tEENKUlT_SI_SJ_SK_E_clISD_PsSD_S10_EESH_SX_SI_SJ_SK_EUlSX_E_NS1_11comp_targetILNS1_3genE9ELNS1_11target_archE1100ELNS1_3gpuE3ELNS1_3repE0EEENS1_48merge_mergepath_partition_config_static_selectorELNS0_4arch9wavefront6targetE1EEEvSJ_.num_named_barrier, 0
	.set _ZN7rocprim17ROCPRIM_400000_NS6detail17trampoline_kernelINS0_14default_configENS1_38merge_sort_block_merge_config_selectorIssEEZZNS1_27merge_sort_block_merge_implIS3_N6thrust23THRUST_200600_302600_NS6detail15normal_iteratorINS8_10device_ptrIsEEEESD_jNS1_19radix_merge_compareILb0ELb0EsNS0_19identity_decomposerEEEEE10hipError_tT0_T1_T2_jT3_P12ihipStream_tbPNSt15iterator_traitsISI_E10value_typeEPNSO_ISJ_E10value_typeEPSK_NS1_7vsmem_tEENKUlT_SI_SJ_SK_E_clISD_PsSD_S10_EESH_SX_SI_SJ_SK_EUlSX_E_NS1_11comp_targetILNS1_3genE9ELNS1_11target_archE1100ELNS1_3gpuE3ELNS1_3repE0EEENS1_48merge_mergepath_partition_config_static_selectorELNS0_4arch9wavefront6targetE1EEEvSJ_.private_seg_size, 0
	.set _ZN7rocprim17ROCPRIM_400000_NS6detail17trampoline_kernelINS0_14default_configENS1_38merge_sort_block_merge_config_selectorIssEEZZNS1_27merge_sort_block_merge_implIS3_N6thrust23THRUST_200600_302600_NS6detail15normal_iteratorINS8_10device_ptrIsEEEESD_jNS1_19radix_merge_compareILb0ELb0EsNS0_19identity_decomposerEEEEE10hipError_tT0_T1_T2_jT3_P12ihipStream_tbPNSt15iterator_traitsISI_E10value_typeEPNSO_ISJ_E10value_typeEPSK_NS1_7vsmem_tEENKUlT_SI_SJ_SK_E_clISD_PsSD_S10_EESH_SX_SI_SJ_SK_EUlSX_E_NS1_11comp_targetILNS1_3genE9ELNS1_11target_archE1100ELNS1_3gpuE3ELNS1_3repE0EEENS1_48merge_mergepath_partition_config_static_selectorELNS0_4arch9wavefront6targetE1EEEvSJ_.uses_vcc, 0
	.set _ZN7rocprim17ROCPRIM_400000_NS6detail17trampoline_kernelINS0_14default_configENS1_38merge_sort_block_merge_config_selectorIssEEZZNS1_27merge_sort_block_merge_implIS3_N6thrust23THRUST_200600_302600_NS6detail15normal_iteratorINS8_10device_ptrIsEEEESD_jNS1_19radix_merge_compareILb0ELb0EsNS0_19identity_decomposerEEEEE10hipError_tT0_T1_T2_jT3_P12ihipStream_tbPNSt15iterator_traitsISI_E10value_typeEPNSO_ISJ_E10value_typeEPSK_NS1_7vsmem_tEENKUlT_SI_SJ_SK_E_clISD_PsSD_S10_EESH_SX_SI_SJ_SK_EUlSX_E_NS1_11comp_targetILNS1_3genE9ELNS1_11target_archE1100ELNS1_3gpuE3ELNS1_3repE0EEENS1_48merge_mergepath_partition_config_static_selectorELNS0_4arch9wavefront6targetE1EEEvSJ_.uses_flat_scratch, 0
	.set _ZN7rocprim17ROCPRIM_400000_NS6detail17trampoline_kernelINS0_14default_configENS1_38merge_sort_block_merge_config_selectorIssEEZZNS1_27merge_sort_block_merge_implIS3_N6thrust23THRUST_200600_302600_NS6detail15normal_iteratorINS8_10device_ptrIsEEEESD_jNS1_19radix_merge_compareILb0ELb0EsNS0_19identity_decomposerEEEEE10hipError_tT0_T1_T2_jT3_P12ihipStream_tbPNSt15iterator_traitsISI_E10value_typeEPNSO_ISJ_E10value_typeEPSK_NS1_7vsmem_tEENKUlT_SI_SJ_SK_E_clISD_PsSD_S10_EESH_SX_SI_SJ_SK_EUlSX_E_NS1_11comp_targetILNS1_3genE9ELNS1_11target_archE1100ELNS1_3gpuE3ELNS1_3repE0EEENS1_48merge_mergepath_partition_config_static_selectorELNS0_4arch9wavefront6targetE1EEEvSJ_.has_dyn_sized_stack, 0
	.set _ZN7rocprim17ROCPRIM_400000_NS6detail17trampoline_kernelINS0_14default_configENS1_38merge_sort_block_merge_config_selectorIssEEZZNS1_27merge_sort_block_merge_implIS3_N6thrust23THRUST_200600_302600_NS6detail15normal_iteratorINS8_10device_ptrIsEEEESD_jNS1_19radix_merge_compareILb0ELb0EsNS0_19identity_decomposerEEEEE10hipError_tT0_T1_T2_jT3_P12ihipStream_tbPNSt15iterator_traitsISI_E10value_typeEPNSO_ISJ_E10value_typeEPSK_NS1_7vsmem_tEENKUlT_SI_SJ_SK_E_clISD_PsSD_S10_EESH_SX_SI_SJ_SK_EUlSX_E_NS1_11comp_targetILNS1_3genE9ELNS1_11target_archE1100ELNS1_3gpuE3ELNS1_3repE0EEENS1_48merge_mergepath_partition_config_static_selectorELNS0_4arch9wavefront6targetE1EEEvSJ_.has_recursion, 0
	.set _ZN7rocprim17ROCPRIM_400000_NS6detail17trampoline_kernelINS0_14default_configENS1_38merge_sort_block_merge_config_selectorIssEEZZNS1_27merge_sort_block_merge_implIS3_N6thrust23THRUST_200600_302600_NS6detail15normal_iteratorINS8_10device_ptrIsEEEESD_jNS1_19radix_merge_compareILb0ELb0EsNS0_19identity_decomposerEEEEE10hipError_tT0_T1_T2_jT3_P12ihipStream_tbPNSt15iterator_traitsISI_E10value_typeEPNSO_ISJ_E10value_typeEPSK_NS1_7vsmem_tEENKUlT_SI_SJ_SK_E_clISD_PsSD_S10_EESH_SX_SI_SJ_SK_EUlSX_E_NS1_11comp_targetILNS1_3genE9ELNS1_11target_archE1100ELNS1_3gpuE3ELNS1_3repE0EEENS1_48merge_mergepath_partition_config_static_selectorELNS0_4arch9wavefront6targetE1EEEvSJ_.has_indirect_call, 0
	.section	.AMDGPU.csdata,"",@progbits
; Kernel info:
; codeLenInByte = 0
; TotalNumSgprs: 6
; NumVgprs: 0
; NumAgprs: 0
; TotalNumVgprs: 0
; ScratchSize: 0
; MemoryBound: 0
; FloatMode: 240
; IeeeMode: 1
; LDSByteSize: 0 bytes/workgroup (compile time only)
; SGPRBlocks: 0
; VGPRBlocks: 0
; NumSGPRsForWavesPerEU: 6
; NumVGPRsForWavesPerEU: 1
; AccumOffset: 4
; Occupancy: 8
; WaveLimiterHint : 0
; COMPUTE_PGM_RSRC2:SCRATCH_EN: 0
; COMPUTE_PGM_RSRC2:USER_SGPR: 2
; COMPUTE_PGM_RSRC2:TRAP_HANDLER: 0
; COMPUTE_PGM_RSRC2:TGID_X_EN: 1
; COMPUTE_PGM_RSRC2:TGID_Y_EN: 0
; COMPUTE_PGM_RSRC2:TGID_Z_EN: 0
; COMPUTE_PGM_RSRC2:TIDIG_COMP_CNT: 0
; COMPUTE_PGM_RSRC3_GFX90A:ACCUM_OFFSET: 0
; COMPUTE_PGM_RSRC3_GFX90A:TG_SPLIT: 0
	.section	.text._ZN7rocprim17ROCPRIM_400000_NS6detail17trampoline_kernelINS0_14default_configENS1_38merge_sort_block_merge_config_selectorIssEEZZNS1_27merge_sort_block_merge_implIS3_N6thrust23THRUST_200600_302600_NS6detail15normal_iteratorINS8_10device_ptrIsEEEESD_jNS1_19radix_merge_compareILb0ELb0EsNS0_19identity_decomposerEEEEE10hipError_tT0_T1_T2_jT3_P12ihipStream_tbPNSt15iterator_traitsISI_E10value_typeEPNSO_ISJ_E10value_typeEPSK_NS1_7vsmem_tEENKUlT_SI_SJ_SK_E_clISD_PsSD_S10_EESH_SX_SI_SJ_SK_EUlSX_E_NS1_11comp_targetILNS1_3genE8ELNS1_11target_archE1030ELNS1_3gpuE2ELNS1_3repE0EEENS1_48merge_mergepath_partition_config_static_selectorELNS0_4arch9wavefront6targetE1EEEvSJ_,"axG",@progbits,_ZN7rocprim17ROCPRIM_400000_NS6detail17trampoline_kernelINS0_14default_configENS1_38merge_sort_block_merge_config_selectorIssEEZZNS1_27merge_sort_block_merge_implIS3_N6thrust23THRUST_200600_302600_NS6detail15normal_iteratorINS8_10device_ptrIsEEEESD_jNS1_19radix_merge_compareILb0ELb0EsNS0_19identity_decomposerEEEEE10hipError_tT0_T1_T2_jT3_P12ihipStream_tbPNSt15iterator_traitsISI_E10value_typeEPNSO_ISJ_E10value_typeEPSK_NS1_7vsmem_tEENKUlT_SI_SJ_SK_E_clISD_PsSD_S10_EESH_SX_SI_SJ_SK_EUlSX_E_NS1_11comp_targetILNS1_3genE8ELNS1_11target_archE1030ELNS1_3gpuE2ELNS1_3repE0EEENS1_48merge_mergepath_partition_config_static_selectorELNS0_4arch9wavefront6targetE1EEEvSJ_,comdat
	.protected	_ZN7rocprim17ROCPRIM_400000_NS6detail17trampoline_kernelINS0_14default_configENS1_38merge_sort_block_merge_config_selectorIssEEZZNS1_27merge_sort_block_merge_implIS3_N6thrust23THRUST_200600_302600_NS6detail15normal_iteratorINS8_10device_ptrIsEEEESD_jNS1_19radix_merge_compareILb0ELb0EsNS0_19identity_decomposerEEEEE10hipError_tT0_T1_T2_jT3_P12ihipStream_tbPNSt15iterator_traitsISI_E10value_typeEPNSO_ISJ_E10value_typeEPSK_NS1_7vsmem_tEENKUlT_SI_SJ_SK_E_clISD_PsSD_S10_EESH_SX_SI_SJ_SK_EUlSX_E_NS1_11comp_targetILNS1_3genE8ELNS1_11target_archE1030ELNS1_3gpuE2ELNS1_3repE0EEENS1_48merge_mergepath_partition_config_static_selectorELNS0_4arch9wavefront6targetE1EEEvSJ_ ; -- Begin function _ZN7rocprim17ROCPRIM_400000_NS6detail17trampoline_kernelINS0_14default_configENS1_38merge_sort_block_merge_config_selectorIssEEZZNS1_27merge_sort_block_merge_implIS3_N6thrust23THRUST_200600_302600_NS6detail15normal_iteratorINS8_10device_ptrIsEEEESD_jNS1_19radix_merge_compareILb0ELb0EsNS0_19identity_decomposerEEEEE10hipError_tT0_T1_T2_jT3_P12ihipStream_tbPNSt15iterator_traitsISI_E10value_typeEPNSO_ISJ_E10value_typeEPSK_NS1_7vsmem_tEENKUlT_SI_SJ_SK_E_clISD_PsSD_S10_EESH_SX_SI_SJ_SK_EUlSX_E_NS1_11comp_targetILNS1_3genE8ELNS1_11target_archE1030ELNS1_3gpuE2ELNS1_3repE0EEENS1_48merge_mergepath_partition_config_static_selectorELNS0_4arch9wavefront6targetE1EEEvSJ_
	.globl	_ZN7rocprim17ROCPRIM_400000_NS6detail17trampoline_kernelINS0_14default_configENS1_38merge_sort_block_merge_config_selectorIssEEZZNS1_27merge_sort_block_merge_implIS3_N6thrust23THRUST_200600_302600_NS6detail15normal_iteratorINS8_10device_ptrIsEEEESD_jNS1_19radix_merge_compareILb0ELb0EsNS0_19identity_decomposerEEEEE10hipError_tT0_T1_T2_jT3_P12ihipStream_tbPNSt15iterator_traitsISI_E10value_typeEPNSO_ISJ_E10value_typeEPSK_NS1_7vsmem_tEENKUlT_SI_SJ_SK_E_clISD_PsSD_S10_EESH_SX_SI_SJ_SK_EUlSX_E_NS1_11comp_targetILNS1_3genE8ELNS1_11target_archE1030ELNS1_3gpuE2ELNS1_3repE0EEENS1_48merge_mergepath_partition_config_static_selectorELNS0_4arch9wavefront6targetE1EEEvSJ_
	.p2align	8
	.type	_ZN7rocprim17ROCPRIM_400000_NS6detail17trampoline_kernelINS0_14default_configENS1_38merge_sort_block_merge_config_selectorIssEEZZNS1_27merge_sort_block_merge_implIS3_N6thrust23THRUST_200600_302600_NS6detail15normal_iteratorINS8_10device_ptrIsEEEESD_jNS1_19radix_merge_compareILb0ELb0EsNS0_19identity_decomposerEEEEE10hipError_tT0_T1_T2_jT3_P12ihipStream_tbPNSt15iterator_traitsISI_E10value_typeEPNSO_ISJ_E10value_typeEPSK_NS1_7vsmem_tEENKUlT_SI_SJ_SK_E_clISD_PsSD_S10_EESH_SX_SI_SJ_SK_EUlSX_E_NS1_11comp_targetILNS1_3genE8ELNS1_11target_archE1030ELNS1_3gpuE2ELNS1_3repE0EEENS1_48merge_mergepath_partition_config_static_selectorELNS0_4arch9wavefront6targetE1EEEvSJ_,@function
_ZN7rocprim17ROCPRIM_400000_NS6detail17trampoline_kernelINS0_14default_configENS1_38merge_sort_block_merge_config_selectorIssEEZZNS1_27merge_sort_block_merge_implIS3_N6thrust23THRUST_200600_302600_NS6detail15normal_iteratorINS8_10device_ptrIsEEEESD_jNS1_19radix_merge_compareILb0ELb0EsNS0_19identity_decomposerEEEEE10hipError_tT0_T1_T2_jT3_P12ihipStream_tbPNSt15iterator_traitsISI_E10value_typeEPNSO_ISJ_E10value_typeEPSK_NS1_7vsmem_tEENKUlT_SI_SJ_SK_E_clISD_PsSD_S10_EESH_SX_SI_SJ_SK_EUlSX_E_NS1_11comp_targetILNS1_3genE8ELNS1_11target_archE1030ELNS1_3gpuE2ELNS1_3repE0EEENS1_48merge_mergepath_partition_config_static_selectorELNS0_4arch9wavefront6targetE1EEEvSJ_: ; @_ZN7rocprim17ROCPRIM_400000_NS6detail17trampoline_kernelINS0_14default_configENS1_38merge_sort_block_merge_config_selectorIssEEZZNS1_27merge_sort_block_merge_implIS3_N6thrust23THRUST_200600_302600_NS6detail15normal_iteratorINS8_10device_ptrIsEEEESD_jNS1_19radix_merge_compareILb0ELb0EsNS0_19identity_decomposerEEEEE10hipError_tT0_T1_T2_jT3_P12ihipStream_tbPNSt15iterator_traitsISI_E10value_typeEPNSO_ISJ_E10value_typeEPSK_NS1_7vsmem_tEENKUlT_SI_SJ_SK_E_clISD_PsSD_S10_EESH_SX_SI_SJ_SK_EUlSX_E_NS1_11comp_targetILNS1_3genE8ELNS1_11target_archE1030ELNS1_3gpuE2ELNS1_3repE0EEENS1_48merge_mergepath_partition_config_static_selectorELNS0_4arch9wavefront6targetE1EEEvSJ_
; %bb.0:
	.section	.rodata,"a",@progbits
	.p2align	6, 0x0
	.amdhsa_kernel _ZN7rocprim17ROCPRIM_400000_NS6detail17trampoline_kernelINS0_14default_configENS1_38merge_sort_block_merge_config_selectorIssEEZZNS1_27merge_sort_block_merge_implIS3_N6thrust23THRUST_200600_302600_NS6detail15normal_iteratorINS8_10device_ptrIsEEEESD_jNS1_19radix_merge_compareILb0ELb0EsNS0_19identity_decomposerEEEEE10hipError_tT0_T1_T2_jT3_P12ihipStream_tbPNSt15iterator_traitsISI_E10value_typeEPNSO_ISJ_E10value_typeEPSK_NS1_7vsmem_tEENKUlT_SI_SJ_SK_E_clISD_PsSD_S10_EESH_SX_SI_SJ_SK_EUlSX_E_NS1_11comp_targetILNS1_3genE8ELNS1_11target_archE1030ELNS1_3gpuE2ELNS1_3repE0EEENS1_48merge_mergepath_partition_config_static_selectorELNS0_4arch9wavefront6targetE1EEEvSJ_
		.amdhsa_group_segment_fixed_size 0
		.amdhsa_private_segment_fixed_size 0
		.amdhsa_kernarg_size 40
		.amdhsa_user_sgpr_count 2
		.amdhsa_user_sgpr_dispatch_ptr 0
		.amdhsa_user_sgpr_queue_ptr 0
		.amdhsa_user_sgpr_kernarg_segment_ptr 1
		.amdhsa_user_sgpr_dispatch_id 0
		.amdhsa_user_sgpr_kernarg_preload_length 0
		.amdhsa_user_sgpr_kernarg_preload_offset 0
		.amdhsa_user_sgpr_private_segment_size 0
		.amdhsa_uses_dynamic_stack 0
		.amdhsa_enable_private_segment 0
		.amdhsa_system_sgpr_workgroup_id_x 1
		.amdhsa_system_sgpr_workgroup_id_y 0
		.amdhsa_system_sgpr_workgroup_id_z 0
		.amdhsa_system_sgpr_workgroup_info 0
		.amdhsa_system_vgpr_workitem_id 0
		.amdhsa_next_free_vgpr 1
		.amdhsa_next_free_sgpr 0
		.amdhsa_accum_offset 4
		.amdhsa_reserve_vcc 0
		.amdhsa_float_round_mode_32 0
		.amdhsa_float_round_mode_16_64 0
		.amdhsa_float_denorm_mode_32 3
		.amdhsa_float_denorm_mode_16_64 3
		.amdhsa_dx10_clamp 1
		.amdhsa_ieee_mode 1
		.amdhsa_fp16_overflow 0
		.amdhsa_tg_split 0
		.amdhsa_exception_fp_ieee_invalid_op 0
		.amdhsa_exception_fp_denorm_src 0
		.amdhsa_exception_fp_ieee_div_zero 0
		.amdhsa_exception_fp_ieee_overflow 0
		.amdhsa_exception_fp_ieee_underflow 0
		.amdhsa_exception_fp_ieee_inexact 0
		.amdhsa_exception_int_div_zero 0
	.end_amdhsa_kernel
	.section	.text._ZN7rocprim17ROCPRIM_400000_NS6detail17trampoline_kernelINS0_14default_configENS1_38merge_sort_block_merge_config_selectorIssEEZZNS1_27merge_sort_block_merge_implIS3_N6thrust23THRUST_200600_302600_NS6detail15normal_iteratorINS8_10device_ptrIsEEEESD_jNS1_19radix_merge_compareILb0ELb0EsNS0_19identity_decomposerEEEEE10hipError_tT0_T1_T2_jT3_P12ihipStream_tbPNSt15iterator_traitsISI_E10value_typeEPNSO_ISJ_E10value_typeEPSK_NS1_7vsmem_tEENKUlT_SI_SJ_SK_E_clISD_PsSD_S10_EESH_SX_SI_SJ_SK_EUlSX_E_NS1_11comp_targetILNS1_3genE8ELNS1_11target_archE1030ELNS1_3gpuE2ELNS1_3repE0EEENS1_48merge_mergepath_partition_config_static_selectorELNS0_4arch9wavefront6targetE1EEEvSJ_,"axG",@progbits,_ZN7rocprim17ROCPRIM_400000_NS6detail17trampoline_kernelINS0_14default_configENS1_38merge_sort_block_merge_config_selectorIssEEZZNS1_27merge_sort_block_merge_implIS3_N6thrust23THRUST_200600_302600_NS6detail15normal_iteratorINS8_10device_ptrIsEEEESD_jNS1_19radix_merge_compareILb0ELb0EsNS0_19identity_decomposerEEEEE10hipError_tT0_T1_T2_jT3_P12ihipStream_tbPNSt15iterator_traitsISI_E10value_typeEPNSO_ISJ_E10value_typeEPSK_NS1_7vsmem_tEENKUlT_SI_SJ_SK_E_clISD_PsSD_S10_EESH_SX_SI_SJ_SK_EUlSX_E_NS1_11comp_targetILNS1_3genE8ELNS1_11target_archE1030ELNS1_3gpuE2ELNS1_3repE0EEENS1_48merge_mergepath_partition_config_static_selectorELNS0_4arch9wavefront6targetE1EEEvSJ_,comdat
.Lfunc_end1541:
	.size	_ZN7rocprim17ROCPRIM_400000_NS6detail17trampoline_kernelINS0_14default_configENS1_38merge_sort_block_merge_config_selectorIssEEZZNS1_27merge_sort_block_merge_implIS3_N6thrust23THRUST_200600_302600_NS6detail15normal_iteratorINS8_10device_ptrIsEEEESD_jNS1_19radix_merge_compareILb0ELb0EsNS0_19identity_decomposerEEEEE10hipError_tT0_T1_T2_jT3_P12ihipStream_tbPNSt15iterator_traitsISI_E10value_typeEPNSO_ISJ_E10value_typeEPSK_NS1_7vsmem_tEENKUlT_SI_SJ_SK_E_clISD_PsSD_S10_EESH_SX_SI_SJ_SK_EUlSX_E_NS1_11comp_targetILNS1_3genE8ELNS1_11target_archE1030ELNS1_3gpuE2ELNS1_3repE0EEENS1_48merge_mergepath_partition_config_static_selectorELNS0_4arch9wavefront6targetE1EEEvSJ_, .Lfunc_end1541-_ZN7rocprim17ROCPRIM_400000_NS6detail17trampoline_kernelINS0_14default_configENS1_38merge_sort_block_merge_config_selectorIssEEZZNS1_27merge_sort_block_merge_implIS3_N6thrust23THRUST_200600_302600_NS6detail15normal_iteratorINS8_10device_ptrIsEEEESD_jNS1_19radix_merge_compareILb0ELb0EsNS0_19identity_decomposerEEEEE10hipError_tT0_T1_T2_jT3_P12ihipStream_tbPNSt15iterator_traitsISI_E10value_typeEPNSO_ISJ_E10value_typeEPSK_NS1_7vsmem_tEENKUlT_SI_SJ_SK_E_clISD_PsSD_S10_EESH_SX_SI_SJ_SK_EUlSX_E_NS1_11comp_targetILNS1_3genE8ELNS1_11target_archE1030ELNS1_3gpuE2ELNS1_3repE0EEENS1_48merge_mergepath_partition_config_static_selectorELNS0_4arch9wavefront6targetE1EEEvSJ_
                                        ; -- End function
	.set _ZN7rocprim17ROCPRIM_400000_NS6detail17trampoline_kernelINS0_14default_configENS1_38merge_sort_block_merge_config_selectorIssEEZZNS1_27merge_sort_block_merge_implIS3_N6thrust23THRUST_200600_302600_NS6detail15normal_iteratorINS8_10device_ptrIsEEEESD_jNS1_19radix_merge_compareILb0ELb0EsNS0_19identity_decomposerEEEEE10hipError_tT0_T1_T2_jT3_P12ihipStream_tbPNSt15iterator_traitsISI_E10value_typeEPNSO_ISJ_E10value_typeEPSK_NS1_7vsmem_tEENKUlT_SI_SJ_SK_E_clISD_PsSD_S10_EESH_SX_SI_SJ_SK_EUlSX_E_NS1_11comp_targetILNS1_3genE8ELNS1_11target_archE1030ELNS1_3gpuE2ELNS1_3repE0EEENS1_48merge_mergepath_partition_config_static_selectorELNS0_4arch9wavefront6targetE1EEEvSJ_.num_vgpr, 0
	.set _ZN7rocprim17ROCPRIM_400000_NS6detail17trampoline_kernelINS0_14default_configENS1_38merge_sort_block_merge_config_selectorIssEEZZNS1_27merge_sort_block_merge_implIS3_N6thrust23THRUST_200600_302600_NS6detail15normal_iteratorINS8_10device_ptrIsEEEESD_jNS1_19radix_merge_compareILb0ELb0EsNS0_19identity_decomposerEEEEE10hipError_tT0_T1_T2_jT3_P12ihipStream_tbPNSt15iterator_traitsISI_E10value_typeEPNSO_ISJ_E10value_typeEPSK_NS1_7vsmem_tEENKUlT_SI_SJ_SK_E_clISD_PsSD_S10_EESH_SX_SI_SJ_SK_EUlSX_E_NS1_11comp_targetILNS1_3genE8ELNS1_11target_archE1030ELNS1_3gpuE2ELNS1_3repE0EEENS1_48merge_mergepath_partition_config_static_selectorELNS0_4arch9wavefront6targetE1EEEvSJ_.num_agpr, 0
	.set _ZN7rocprim17ROCPRIM_400000_NS6detail17trampoline_kernelINS0_14default_configENS1_38merge_sort_block_merge_config_selectorIssEEZZNS1_27merge_sort_block_merge_implIS3_N6thrust23THRUST_200600_302600_NS6detail15normal_iteratorINS8_10device_ptrIsEEEESD_jNS1_19radix_merge_compareILb0ELb0EsNS0_19identity_decomposerEEEEE10hipError_tT0_T1_T2_jT3_P12ihipStream_tbPNSt15iterator_traitsISI_E10value_typeEPNSO_ISJ_E10value_typeEPSK_NS1_7vsmem_tEENKUlT_SI_SJ_SK_E_clISD_PsSD_S10_EESH_SX_SI_SJ_SK_EUlSX_E_NS1_11comp_targetILNS1_3genE8ELNS1_11target_archE1030ELNS1_3gpuE2ELNS1_3repE0EEENS1_48merge_mergepath_partition_config_static_selectorELNS0_4arch9wavefront6targetE1EEEvSJ_.numbered_sgpr, 0
	.set _ZN7rocprim17ROCPRIM_400000_NS6detail17trampoline_kernelINS0_14default_configENS1_38merge_sort_block_merge_config_selectorIssEEZZNS1_27merge_sort_block_merge_implIS3_N6thrust23THRUST_200600_302600_NS6detail15normal_iteratorINS8_10device_ptrIsEEEESD_jNS1_19radix_merge_compareILb0ELb0EsNS0_19identity_decomposerEEEEE10hipError_tT0_T1_T2_jT3_P12ihipStream_tbPNSt15iterator_traitsISI_E10value_typeEPNSO_ISJ_E10value_typeEPSK_NS1_7vsmem_tEENKUlT_SI_SJ_SK_E_clISD_PsSD_S10_EESH_SX_SI_SJ_SK_EUlSX_E_NS1_11comp_targetILNS1_3genE8ELNS1_11target_archE1030ELNS1_3gpuE2ELNS1_3repE0EEENS1_48merge_mergepath_partition_config_static_selectorELNS0_4arch9wavefront6targetE1EEEvSJ_.num_named_barrier, 0
	.set _ZN7rocprim17ROCPRIM_400000_NS6detail17trampoline_kernelINS0_14default_configENS1_38merge_sort_block_merge_config_selectorIssEEZZNS1_27merge_sort_block_merge_implIS3_N6thrust23THRUST_200600_302600_NS6detail15normal_iteratorINS8_10device_ptrIsEEEESD_jNS1_19radix_merge_compareILb0ELb0EsNS0_19identity_decomposerEEEEE10hipError_tT0_T1_T2_jT3_P12ihipStream_tbPNSt15iterator_traitsISI_E10value_typeEPNSO_ISJ_E10value_typeEPSK_NS1_7vsmem_tEENKUlT_SI_SJ_SK_E_clISD_PsSD_S10_EESH_SX_SI_SJ_SK_EUlSX_E_NS1_11comp_targetILNS1_3genE8ELNS1_11target_archE1030ELNS1_3gpuE2ELNS1_3repE0EEENS1_48merge_mergepath_partition_config_static_selectorELNS0_4arch9wavefront6targetE1EEEvSJ_.private_seg_size, 0
	.set _ZN7rocprim17ROCPRIM_400000_NS6detail17trampoline_kernelINS0_14default_configENS1_38merge_sort_block_merge_config_selectorIssEEZZNS1_27merge_sort_block_merge_implIS3_N6thrust23THRUST_200600_302600_NS6detail15normal_iteratorINS8_10device_ptrIsEEEESD_jNS1_19radix_merge_compareILb0ELb0EsNS0_19identity_decomposerEEEEE10hipError_tT0_T1_T2_jT3_P12ihipStream_tbPNSt15iterator_traitsISI_E10value_typeEPNSO_ISJ_E10value_typeEPSK_NS1_7vsmem_tEENKUlT_SI_SJ_SK_E_clISD_PsSD_S10_EESH_SX_SI_SJ_SK_EUlSX_E_NS1_11comp_targetILNS1_3genE8ELNS1_11target_archE1030ELNS1_3gpuE2ELNS1_3repE0EEENS1_48merge_mergepath_partition_config_static_selectorELNS0_4arch9wavefront6targetE1EEEvSJ_.uses_vcc, 0
	.set _ZN7rocprim17ROCPRIM_400000_NS6detail17trampoline_kernelINS0_14default_configENS1_38merge_sort_block_merge_config_selectorIssEEZZNS1_27merge_sort_block_merge_implIS3_N6thrust23THRUST_200600_302600_NS6detail15normal_iteratorINS8_10device_ptrIsEEEESD_jNS1_19radix_merge_compareILb0ELb0EsNS0_19identity_decomposerEEEEE10hipError_tT0_T1_T2_jT3_P12ihipStream_tbPNSt15iterator_traitsISI_E10value_typeEPNSO_ISJ_E10value_typeEPSK_NS1_7vsmem_tEENKUlT_SI_SJ_SK_E_clISD_PsSD_S10_EESH_SX_SI_SJ_SK_EUlSX_E_NS1_11comp_targetILNS1_3genE8ELNS1_11target_archE1030ELNS1_3gpuE2ELNS1_3repE0EEENS1_48merge_mergepath_partition_config_static_selectorELNS0_4arch9wavefront6targetE1EEEvSJ_.uses_flat_scratch, 0
	.set _ZN7rocprim17ROCPRIM_400000_NS6detail17trampoline_kernelINS0_14default_configENS1_38merge_sort_block_merge_config_selectorIssEEZZNS1_27merge_sort_block_merge_implIS3_N6thrust23THRUST_200600_302600_NS6detail15normal_iteratorINS8_10device_ptrIsEEEESD_jNS1_19radix_merge_compareILb0ELb0EsNS0_19identity_decomposerEEEEE10hipError_tT0_T1_T2_jT3_P12ihipStream_tbPNSt15iterator_traitsISI_E10value_typeEPNSO_ISJ_E10value_typeEPSK_NS1_7vsmem_tEENKUlT_SI_SJ_SK_E_clISD_PsSD_S10_EESH_SX_SI_SJ_SK_EUlSX_E_NS1_11comp_targetILNS1_3genE8ELNS1_11target_archE1030ELNS1_3gpuE2ELNS1_3repE0EEENS1_48merge_mergepath_partition_config_static_selectorELNS0_4arch9wavefront6targetE1EEEvSJ_.has_dyn_sized_stack, 0
	.set _ZN7rocprim17ROCPRIM_400000_NS6detail17trampoline_kernelINS0_14default_configENS1_38merge_sort_block_merge_config_selectorIssEEZZNS1_27merge_sort_block_merge_implIS3_N6thrust23THRUST_200600_302600_NS6detail15normal_iteratorINS8_10device_ptrIsEEEESD_jNS1_19radix_merge_compareILb0ELb0EsNS0_19identity_decomposerEEEEE10hipError_tT0_T1_T2_jT3_P12ihipStream_tbPNSt15iterator_traitsISI_E10value_typeEPNSO_ISJ_E10value_typeEPSK_NS1_7vsmem_tEENKUlT_SI_SJ_SK_E_clISD_PsSD_S10_EESH_SX_SI_SJ_SK_EUlSX_E_NS1_11comp_targetILNS1_3genE8ELNS1_11target_archE1030ELNS1_3gpuE2ELNS1_3repE0EEENS1_48merge_mergepath_partition_config_static_selectorELNS0_4arch9wavefront6targetE1EEEvSJ_.has_recursion, 0
	.set _ZN7rocprim17ROCPRIM_400000_NS6detail17trampoline_kernelINS0_14default_configENS1_38merge_sort_block_merge_config_selectorIssEEZZNS1_27merge_sort_block_merge_implIS3_N6thrust23THRUST_200600_302600_NS6detail15normal_iteratorINS8_10device_ptrIsEEEESD_jNS1_19radix_merge_compareILb0ELb0EsNS0_19identity_decomposerEEEEE10hipError_tT0_T1_T2_jT3_P12ihipStream_tbPNSt15iterator_traitsISI_E10value_typeEPNSO_ISJ_E10value_typeEPSK_NS1_7vsmem_tEENKUlT_SI_SJ_SK_E_clISD_PsSD_S10_EESH_SX_SI_SJ_SK_EUlSX_E_NS1_11comp_targetILNS1_3genE8ELNS1_11target_archE1030ELNS1_3gpuE2ELNS1_3repE0EEENS1_48merge_mergepath_partition_config_static_selectorELNS0_4arch9wavefront6targetE1EEEvSJ_.has_indirect_call, 0
	.section	.AMDGPU.csdata,"",@progbits
; Kernel info:
; codeLenInByte = 0
; TotalNumSgprs: 6
; NumVgprs: 0
; NumAgprs: 0
; TotalNumVgprs: 0
; ScratchSize: 0
; MemoryBound: 0
; FloatMode: 240
; IeeeMode: 1
; LDSByteSize: 0 bytes/workgroup (compile time only)
; SGPRBlocks: 0
; VGPRBlocks: 0
; NumSGPRsForWavesPerEU: 6
; NumVGPRsForWavesPerEU: 1
; AccumOffset: 4
; Occupancy: 8
; WaveLimiterHint : 0
; COMPUTE_PGM_RSRC2:SCRATCH_EN: 0
; COMPUTE_PGM_RSRC2:USER_SGPR: 2
; COMPUTE_PGM_RSRC2:TRAP_HANDLER: 0
; COMPUTE_PGM_RSRC2:TGID_X_EN: 1
; COMPUTE_PGM_RSRC2:TGID_Y_EN: 0
; COMPUTE_PGM_RSRC2:TGID_Z_EN: 0
; COMPUTE_PGM_RSRC2:TIDIG_COMP_CNT: 0
; COMPUTE_PGM_RSRC3_GFX90A:ACCUM_OFFSET: 0
; COMPUTE_PGM_RSRC3_GFX90A:TG_SPLIT: 0
	.section	.text._ZN7rocprim17ROCPRIM_400000_NS6detail17trampoline_kernelINS0_14default_configENS1_38merge_sort_block_merge_config_selectorIssEEZZNS1_27merge_sort_block_merge_implIS3_N6thrust23THRUST_200600_302600_NS6detail15normal_iteratorINS8_10device_ptrIsEEEESD_jNS1_19radix_merge_compareILb0ELb0EsNS0_19identity_decomposerEEEEE10hipError_tT0_T1_T2_jT3_P12ihipStream_tbPNSt15iterator_traitsISI_E10value_typeEPNSO_ISJ_E10value_typeEPSK_NS1_7vsmem_tEENKUlT_SI_SJ_SK_E_clISD_PsSD_S10_EESH_SX_SI_SJ_SK_EUlSX_E0_NS1_11comp_targetILNS1_3genE0ELNS1_11target_archE4294967295ELNS1_3gpuE0ELNS1_3repE0EEENS1_38merge_mergepath_config_static_selectorELNS0_4arch9wavefront6targetE1EEEvSJ_,"axG",@progbits,_ZN7rocprim17ROCPRIM_400000_NS6detail17trampoline_kernelINS0_14default_configENS1_38merge_sort_block_merge_config_selectorIssEEZZNS1_27merge_sort_block_merge_implIS3_N6thrust23THRUST_200600_302600_NS6detail15normal_iteratorINS8_10device_ptrIsEEEESD_jNS1_19radix_merge_compareILb0ELb0EsNS0_19identity_decomposerEEEEE10hipError_tT0_T1_T2_jT3_P12ihipStream_tbPNSt15iterator_traitsISI_E10value_typeEPNSO_ISJ_E10value_typeEPSK_NS1_7vsmem_tEENKUlT_SI_SJ_SK_E_clISD_PsSD_S10_EESH_SX_SI_SJ_SK_EUlSX_E0_NS1_11comp_targetILNS1_3genE0ELNS1_11target_archE4294967295ELNS1_3gpuE0ELNS1_3repE0EEENS1_38merge_mergepath_config_static_selectorELNS0_4arch9wavefront6targetE1EEEvSJ_,comdat
	.protected	_ZN7rocprim17ROCPRIM_400000_NS6detail17trampoline_kernelINS0_14default_configENS1_38merge_sort_block_merge_config_selectorIssEEZZNS1_27merge_sort_block_merge_implIS3_N6thrust23THRUST_200600_302600_NS6detail15normal_iteratorINS8_10device_ptrIsEEEESD_jNS1_19radix_merge_compareILb0ELb0EsNS0_19identity_decomposerEEEEE10hipError_tT0_T1_T2_jT3_P12ihipStream_tbPNSt15iterator_traitsISI_E10value_typeEPNSO_ISJ_E10value_typeEPSK_NS1_7vsmem_tEENKUlT_SI_SJ_SK_E_clISD_PsSD_S10_EESH_SX_SI_SJ_SK_EUlSX_E0_NS1_11comp_targetILNS1_3genE0ELNS1_11target_archE4294967295ELNS1_3gpuE0ELNS1_3repE0EEENS1_38merge_mergepath_config_static_selectorELNS0_4arch9wavefront6targetE1EEEvSJ_ ; -- Begin function _ZN7rocprim17ROCPRIM_400000_NS6detail17trampoline_kernelINS0_14default_configENS1_38merge_sort_block_merge_config_selectorIssEEZZNS1_27merge_sort_block_merge_implIS3_N6thrust23THRUST_200600_302600_NS6detail15normal_iteratorINS8_10device_ptrIsEEEESD_jNS1_19radix_merge_compareILb0ELb0EsNS0_19identity_decomposerEEEEE10hipError_tT0_T1_T2_jT3_P12ihipStream_tbPNSt15iterator_traitsISI_E10value_typeEPNSO_ISJ_E10value_typeEPSK_NS1_7vsmem_tEENKUlT_SI_SJ_SK_E_clISD_PsSD_S10_EESH_SX_SI_SJ_SK_EUlSX_E0_NS1_11comp_targetILNS1_3genE0ELNS1_11target_archE4294967295ELNS1_3gpuE0ELNS1_3repE0EEENS1_38merge_mergepath_config_static_selectorELNS0_4arch9wavefront6targetE1EEEvSJ_
	.globl	_ZN7rocprim17ROCPRIM_400000_NS6detail17trampoline_kernelINS0_14default_configENS1_38merge_sort_block_merge_config_selectorIssEEZZNS1_27merge_sort_block_merge_implIS3_N6thrust23THRUST_200600_302600_NS6detail15normal_iteratorINS8_10device_ptrIsEEEESD_jNS1_19radix_merge_compareILb0ELb0EsNS0_19identity_decomposerEEEEE10hipError_tT0_T1_T2_jT3_P12ihipStream_tbPNSt15iterator_traitsISI_E10value_typeEPNSO_ISJ_E10value_typeEPSK_NS1_7vsmem_tEENKUlT_SI_SJ_SK_E_clISD_PsSD_S10_EESH_SX_SI_SJ_SK_EUlSX_E0_NS1_11comp_targetILNS1_3genE0ELNS1_11target_archE4294967295ELNS1_3gpuE0ELNS1_3repE0EEENS1_38merge_mergepath_config_static_selectorELNS0_4arch9wavefront6targetE1EEEvSJ_
	.p2align	8
	.type	_ZN7rocprim17ROCPRIM_400000_NS6detail17trampoline_kernelINS0_14default_configENS1_38merge_sort_block_merge_config_selectorIssEEZZNS1_27merge_sort_block_merge_implIS3_N6thrust23THRUST_200600_302600_NS6detail15normal_iteratorINS8_10device_ptrIsEEEESD_jNS1_19radix_merge_compareILb0ELb0EsNS0_19identity_decomposerEEEEE10hipError_tT0_T1_T2_jT3_P12ihipStream_tbPNSt15iterator_traitsISI_E10value_typeEPNSO_ISJ_E10value_typeEPSK_NS1_7vsmem_tEENKUlT_SI_SJ_SK_E_clISD_PsSD_S10_EESH_SX_SI_SJ_SK_EUlSX_E0_NS1_11comp_targetILNS1_3genE0ELNS1_11target_archE4294967295ELNS1_3gpuE0ELNS1_3repE0EEENS1_38merge_mergepath_config_static_selectorELNS0_4arch9wavefront6targetE1EEEvSJ_,@function
_ZN7rocprim17ROCPRIM_400000_NS6detail17trampoline_kernelINS0_14default_configENS1_38merge_sort_block_merge_config_selectorIssEEZZNS1_27merge_sort_block_merge_implIS3_N6thrust23THRUST_200600_302600_NS6detail15normal_iteratorINS8_10device_ptrIsEEEESD_jNS1_19radix_merge_compareILb0ELb0EsNS0_19identity_decomposerEEEEE10hipError_tT0_T1_T2_jT3_P12ihipStream_tbPNSt15iterator_traitsISI_E10value_typeEPNSO_ISJ_E10value_typeEPSK_NS1_7vsmem_tEENKUlT_SI_SJ_SK_E_clISD_PsSD_S10_EESH_SX_SI_SJ_SK_EUlSX_E0_NS1_11comp_targetILNS1_3genE0ELNS1_11target_archE4294967295ELNS1_3gpuE0ELNS1_3repE0EEENS1_38merge_mergepath_config_static_selectorELNS0_4arch9wavefront6targetE1EEEvSJ_: ; @_ZN7rocprim17ROCPRIM_400000_NS6detail17trampoline_kernelINS0_14default_configENS1_38merge_sort_block_merge_config_selectorIssEEZZNS1_27merge_sort_block_merge_implIS3_N6thrust23THRUST_200600_302600_NS6detail15normal_iteratorINS8_10device_ptrIsEEEESD_jNS1_19radix_merge_compareILb0ELb0EsNS0_19identity_decomposerEEEEE10hipError_tT0_T1_T2_jT3_P12ihipStream_tbPNSt15iterator_traitsISI_E10value_typeEPNSO_ISJ_E10value_typeEPSK_NS1_7vsmem_tEENKUlT_SI_SJ_SK_E_clISD_PsSD_S10_EESH_SX_SI_SJ_SK_EUlSX_E0_NS1_11comp_targetILNS1_3genE0ELNS1_11target_archE4294967295ELNS1_3gpuE0ELNS1_3repE0EEENS1_38merge_mergepath_config_static_selectorELNS0_4arch9wavefront6targetE1EEEvSJ_
; %bb.0:
	s_load_dwordx2 s[28:29], s[0:1], 0x40
	s_load_dword s5, s[0:1], 0x30
	s_add_u32 s12, s0, 64
	s_addc_u32 s13, s1, 0
	s_waitcnt lgkmcnt(0)
	s_mul_i32 s4, s29, s4
	s_add_i32 s3, s4, s3
	s_mul_i32 s3, s3, s28
	s_add_i32 s26, s3, s2
	s_cmp_ge_u32 s26, s5
	s_cbranch_scc1 .LBB1542_70
; %bb.1:
	s_load_dwordx8 s[16:23], s[0:1], 0x10
	s_load_dwordx2 s[8:9], s[0:1], 0x8
	s_load_dwordx2 s[4:5], s[0:1], 0x38
	s_mov_b32 s27, 0
	s_mov_b32 s11, s27
	s_waitcnt lgkmcnt(0)
	s_lshr_b32 s29, s22, 10
	s_cmp_lg_u32 s26, s29
	s_cselect_b64 s[24:25], -1, 0
	s_lshl_b64 s[0:1], s[26:27], 2
	s_add_u32 s0, s4, s0
	s_addc_u32 s1, s5, s1
	s_load_dwordx2 s[4:5], s[0:1], 0x0
	s_lshr_b32 s0, s23, 9
	s_and_b32 s0, s0, 0x7ffffe
	s_sub_i32 s0, 0, s0
	s_and_b32 s1, s26, s0
	s_lshl_b32 s3, s1, 10
	s_lshl_b32 s14, s26, 10
	;; [unrolled: 1-line block ×3, first 2 shown]
	s_sub_i32 s6, s14, s3
	s_add_i32 s1, s1, s23
	s_add_i32 s6, s1, s6
	s_waitcnt lgkmcnt(0)
	s_sub_i32 s7, s6, s4
	s_sub_i32 s6, s6, s5
	;; [unrolled: 1-line block ×3, first 2 shown]
	s_min_u32 s10, s22, s7
	s_addk_i32 s6, 0x400
	s_or_b32 s0, s26, s0
	s_min_u32 s3, s22, s1
	s_add_i32 s1, s1, s23
	s_cmp_eq_u32 s0, -1
	s_cselect_b32 s0, s1, s6
	s_cselect_b32 s1, s3, s5
	s_mov_b32 s5, s27
	s_min_u32 s23, s0, s22
	s_sub_i32 s15, s1, s4
	s_lshl_b64 s[0:1], s[4:5], 1
	s_add_u32 s6, s8, s0
	s_addc_u32 s7, s9, s1
	s_lshl_b64 s[4:5], s[10:11], 1
	s_add_u32 s8, s8, s4
	s_addc_u32 s9, s9, s5
	s_cmp_lt_u32 s2, s28
	v_mov_b32_e32 v3, 0
	s_cselect_b32 s2, 12, 18
	global_load_dword v1, v3, s[12:13] offset:14
	s_add_u32 s2, s12, s2
	s_addc_u32 s3, s13, 0
	global_load_ushort v2, v3, s[2:3]
	s_cmp_eq_u32 s26, s29
	v_lshlrev_b32_e32 v10, 1, v0
	s_waitcnt vmcnt(1)
	v_lshrrev_b32_e32 v4, 16, v1
	v_and_b32_e32 v1, 0xffff, v1
	v_mul_lo_u32 v1, v1, v4
	s_waitcnt vmcnt(0)
	v_mul_lo_u32 v1, v1, v2
	v_add_u32_e32 v14, v1, v0
	v_add_u32_e32 v12, v14, v1
	s_cbranch_scc1 .LBB1542_3
; %bb.2:
	v_mov_b32_e32 v11, v3
	v_subrev_co_u32_e32 v2, vcc, s15, v0
	v_lshl_add_u64 v[4:5], s[6:7], 0, v[10:11]
	v_lshl_add_u64 v[6:7], v[2:3], 1, s[8:9]
	v_cndmask_b32_e32 v5, v7, v5, vcc
	v_cndmask_b32_e32 v4, v6, v4, vcc
	v_mov_b32_e32 v15, v3
	v_subrev_co_u32_e32 v2, vcc, s15, v14
	global_load_ushort v11, v[4:5], off
	v_lshl_add_u64 v[4:5], v[14:15], 1, s[6:7]
	v_lshl_add_u64 v[6:7], v[2:3], 1, s[8:9]
	v_cndmask_b32_e32 v5, v7, v5, vcc
	v_cndmask_b32_e32 v4, v6, v4, vcc
	v_mov_b32_e32 v13, v3
	v_subrev_co_u32_e32 v2, vcc, s15, v12
	global_load_ushort v15, v[4:5], off
	v_lshl_add_u64 v[4:5], v[12:13], 1, s[6:7]
	v_lshl_add_u64 v[6:7], v[2:3], 1, s[8:9]
	v_cndmask_b32_e32 v5, v7, v5, vcc
	v_cndmask_b32_e32 v4, v6, v4, vcc
	global_load_ushort v13, v[4:5], off
	v_add_u32_e32 v4, v12, v1
	v_mov_b32_e32 v5, v3
	v_subrev_co_u32_e32 v2, vcc, s15, v4
	v_lshl_add_u64 v[6:7], v[4:5], 1, s[6:7]
	v_lshl_add_u64 v[8:9], v[2:3], 1, s[8:9]
	v_add_u32_e32 v4, v4, v1
	v_cndmask_b32_e32 v7, v9, v7, vcc
	v_cndmask_b32_e32 v6, v8, v6, vcc
	v_subrev_co_u32_e32 v2, vcc, s15, v4
	global_load_ushort v16, v[6:7], off
	v_lshl_add_u64 v[6:7], v[4:5], 1, s[6:7]
	v_lshl_add_u64 v[8:9], v[2:3], 1, s[8:9]
	v_add_u32_e32 v4, v4, v1
	v_cndmask_b32_e32 v7, v9, v7, vcc
	v_cndmask_b32_e32 v6, v8, v6, vcc
	v_subrev_co_u32_e32 v2, vcc, s15, v4
	global_load_ushort v17, v[6:7], off
	;; [unrolled: 7-line block ×3, first 2 shown]
	v_lshl_add_u64 v[6:7], v[4:5], 1, s[6:7]
	v_lshl_add_u64 v[2:3], v[2:3], 1, s[8:9]
	v_cndmask_b32_e32 v3, v3, v7, vcc
	v_cndmask_b32_e32 v2, v2, v6, vcc
	global_load_ushort v5, v[2:3], off
	s_mov_b32 s2, 0x5040100
	v_add_u32_e32 v6, v4, v1
	s_waitcnt vmcnt(5)
	v_perm_b32 v2, v15, v11, s2
	s_waitcnt vmcnt(3)
	v_perm_b32 v3, v16, v13, s2
	;; [unrolled: 2-line block ×3, first 2 shown]
	s_mov_b64 s[2:3], -1
	s_waitcnt vmcnt(0)
	v_and_b32_e32 v5, 0xffff, v5
	s_sub_i32 s12, s23, s10
	s_cbranch_execz .LBB1542_4
	s_branch .LBB1542_17
.LBB1542_3:
	s_mov_b64 s[2:3], 0
                                        ; implicit-def: $vgpr6
                                        ; implicit-def: $vgpr2_vgpr3_vgpr4_vgpr5
	s_sub_i32 s12, s23, s10
.LBB1542_4:
	s_add_i32 s10, s12, s15
	v_mov_b32_e32 v2, 0
	v_cmp_gt_u32_e32 vcc, s10, v0
	v_mov_b32_e32 v3, v2
	v_mov_b32_e32 v4, v2
	;; [unrolled: 1-line block ×3, first 2 shown]
	s_and_saveexec_b64 s[2:3], vcc
	s_cbranch_execnz .LBB1542_71
; %bb.5:
	s_or_b64 exec, exec, s[2:3]
	v_cmp_gt_u32_e32 vcc, s10, v14
	s_and_saveexec_b64 s[2:3], vcc
	s_cbranch_execnz .LBB1542_72
.LBB1542_6:
	s_or_b64 exec, exec, s[2:3]
	v_cmp_gt_u32_e32 vcc, s10, v12
	s_and_saveexec_b64 s[2:3], vcc
	s_cbranch_execz .LBB1542_8
.LBB1542_7:
	v_mov_b32_e32 v13, 0
	v_subrev_co_u32_e32 v8, vcc, s15, v12
	v_mov_b32_e32 v9, v13
	v_lshl_add_u64 v[6:7], v[12:13], 1, s[6:7]
	v_lshl_add_u64 v[8:9], v[8:9], 1, s[8:9]
	v_cndmask_b32_e32 v7, v9, v7, vcc
	v_cndmask_b32_e32 v6, v8, v6, vcc
	global_load_ushort v6, v[6:7], off
	s_mov_b32 s11, 0xffff
	s_waitcnt vmcnt(0)
	v_bfi_b32 v3, s11, v6, v3
.LBB1542_8:
	s_or_b64 exec, exec, s[2:3]
	v_add_u32_e32 v6, v12, v1
	v_cmp_gt_u32_e32 vcc, s10, v6
	s_and_saveexec_b64 s[2:3], vcc
	s_cbranch_execz .LBB1542_10
; %bb.9:
	v_mov_b32_e32 v7, 0
	v_subrev_co_u32_e32 v16, vcc, s15, v6
	v_mov_b32_e32 v17, v7
	v_lshl_add_u64 v[8:9], v[6:7], 1, s[6:7]
	v_lshl_add_u64 v[16:17], v[16:17], 1, s[8:9]
	v_cndmask_b32_e32 v9, v17, v9, vcc
	v_cndmask_b32_e32 v8, v16, v8, vcc
	global_load_ushort v7, v[8:9], off
	s_mov_b32 s11, 0x5040100
	s_waitcnt vmcnt(0)
	v_perm_b32 v3, v7, v3, s11
.LBB1542_10:
	s_or_b64 exec, exec, s[2:3]
	v_add_u32_e32 v6, v6, v1
	v_cmp_gt_u32_e32 vcc, s10, v6
	s_and_saveexec_b64 s[2:3], vcc
	s_cbranch_execz .LBB1542_12
; %bb.11:
	v_mov_b32_e32 v7, 0
	v_subrev_co_u32_e32 v16, vcc, s15, v6
	v_mov_b32_e32 v17, v7
	v_lshl_add_u64 v[8:9], v[6:7], 1, s[6:7]
	v_lshl_add_u64 v[16:17], v[16:17], 1, s[8:9]
	v_cndmask_b32_e32 v9, v17, v9, vcc
	v_cndmask_b32_e32 v8, v16, v8, vcc
	global_load_ushort v7, v[8:9], off
	s_mov_b32 s11, 0xffff
	s_waitcnt vmcnt(0)
	v_bfi_b32 v4, s11, v7, v4
.LBB1542_12:
	s_or_b64 exec, exec, s[2:3]
	v_add_u32_e32 v6, v6, v1
	v_cmp_gt_u32_e32 vcc, s10, v6
	s_and_saveexec_b64 s[2:3], vcc
	s_cbranch_execz .LBB1542_14
; %bb.13:
	v_mov_b32_e32 v7, 0
	v_subrev_co_u32_e32 v16, vcc, s15, v6
	v_mov_b32_e32 v17, v7
	v_lshl_add_u64 v[8:9], v[6:7], 1, s[6:7]
	v_lshl_add_u64 v[16:17], v[16:17], 1, s[8:9]
	v_cndmask_b32_e32 v9, v17, v9, vcc
	v_cndmask_b32_e32 v8, v16, v8, vcc
	global_load_ushort v7, v[8:9], off
	s_mov_b32 s11, 0x5040100
	s_waitcnt vmcnt(0)
	v_perm_b32 v4, v7, v4, s11
.LBB1542_14:
	s_or_b64 exec, exec, s[2:3]
	v_add_u32_e32 v6, v6, v1
	v_cmp_gt_u32_e32 vcc, s10, v6
	s_and_saveexec_b64 s[2:3], vcc
	s_cbranch_execz .LBB1542_16
; %bb.15:
	v_mov_b32_e32 v7, 0
	v_subrev_co_u32_e32 v16, vcc, s15, v6
	v_mov_b32_e32 v17, v7
	v_lshl_add_u64 v[8:9], v[6:7], 1, s[6:7]
	v_lshl_add_u64 v[16:17], v[16:17], 1, s[8:9]
	v_cndmask_b32_e32 v9, v17, v9, vcc
	v_cndmask_b32_e32 v8, v16, v8, vcc
	global_load_ushort v7, v[8:9], off
	s_mov_b32 s11, 0xffff
	s_waitcnt vmcnt(0)
	v_bfi_b32 v5, s11, v7, v5
.LBB1542_16:
	s_or_b64 exec, exec, s[2:3]
	v_add_u32_e32 v6, v6, v1
	v_cmp_gt_u32_e64 s[2:3], s10, v6
.LBB1542_17:
	s_and_saveexec_b64 s[10:11], s[2:3]
	s_cbranch_execz .LBB1542_19
; %bb.18:
	v_mov_b32_e32 v9, 0
	v_mov_b32_e32 v7, v9
	v_subrev_co_u32_e32 v8, vcc, s15, v6
	v_lshl_add_u64 v[16:17], v[6:7], 1, s[6:7]
	v_lshl_add_u64 v[6:7], v[8:9], 1, s[8:9]
	v_cndmask_b32_e32 v7, v7, v17, vcc
	v_cndmask_b32_e32 v6, v6, v16, vcc
	global_load_ushort v6, v[6:7], off
	s_mov_b32 s2, 0x5040100
	s_waitcnt vmcnt(0)
	v_perm_b32 v5, v6, v5, s2
.LBB1542_19:
	s_or_b64 exec, exec, s[10:11]
	s_add_u32 s0, s18, s0
	s_addc_u32 s1, s19, s1
	s_add_u32 s2, s18, s4
	v_mov_b32_e32 v7, 0
	v_lshrrev_b32_e32 v18, 16, v2
	v_lshrrev_b32_e32 v19, 16, v3
	;; [unrolled: 1-line block ×4, first 2 shown]
	s_addc_u32 s3, s19, s5
	s_andn2_b64 vcc, exec, s[24:25]
	ds_write_b16 v10, v2
	ds_write_b16 v10, v18 offset:256
	ds_write_b16 v10, v3 offset:512
	;; [unrolled: 1-line block ×7, first 2 shown]
	s_cbranch_vccnz .LBB1542_21
; %bb.20:
	v_mov_b32_e32 v11, v7
	v_subrev_co_u32_e32 v6, vcc, s15, v0
	v_lshl_add_u64 v[8:9], s[0:1], 0, v[10:11]
	v_lshl_add_u64 v[16:17], v[6:7], 1, s[2:3]
	v_cndmask_b32_e32 v9, v17, v9, vcc
	v_cndmask_b32_e32 v8, v16, v8, vcc
	v_mov_b32_e32 v15, v7
	v_subrev_co_u32_e32 v6, vcc, s15, v14
	global_load_ushort v11, v[8:9], off
	v_lshl_add_u64 v[8:9], v[14:15], 1, s[0:1]
	v_lshl_add_u64 v[16:17], v[6:7], 1, s[2:3]
	v_cndmask_b32_e32 v9, v17, v9, vcc
	v_cndmask_b32_e32 v8, v16, v8, vcc
	v_mov_b32_e32 v13, v7
	v_subrev_co_u32_e32 v6, vcc, s15, v12
	global_load_ushort v15, v[8:9], off
	v_lshl_add_u64 v[8:9], v[12:13], 1, s[0:1]
	v_lshl_add_u64 v[16:17], v[6:7], 1, s[2:3]
	v_cndmask_b32_e32 v9, v17, v9, vcc
	v_cndmask_b32_e32 v8, v16, v8, vcc
	global_load_ushort v13, v[8:9], off
	v_add_u32_e32 v8, v12, v1
	v_mov_b32_e32 v9, v7
	v_subrev_co_u32_e32 v6, vcc, s15, v8
	v_lshl_add_u64 v[16:17], v[8:9], 1, s[0:1]
	v_lshl_add_u64 v[22:23], v[6:7], 1, s[2:3]
	v_add_u32_e32 v8, v8, v1
	v_cndmask_b32_e32 v17, v23, v17, vcc
	v_cndmask_b32_e32 v16, v22, v16, vcc
	v_subrev_co_u32_e32 v6, vcc, s15, v8
	global_load_ushort v24, v[16:17], off
	v_lshl_add_u64 v[16:17], v[8:9], 1, s[0:1]
	v_lshl_add_u64 v[22:23], v[6:7], 1, s[2:3]
	v_add_u32_e32 v8, v8, v1
	v_cndmask_b32_e32 v17, v23, v17, vcc
	v_cndmask_b32_e32 v16, v22, v16, vcc
	v_subrev_co_u32_e32 v6, vcc, s15, v8
	global_load_ushort v25, v[16:17], off
	;; [unrolled: 7-line block ×3, first 2 shown]
	v_lshl_add_u64 v[16:17], v[8:9], 1, s[0:1]
	v_lshl_add_u64 v[6:7], v[6:7], 1, s[2:3]
	v_cndmask_b32_e32 v7, v7, v17, vcc
	v_cndmask_b32_e32 v6, v6, v16, vcc
	global_load_ushort v9, v[6:7], off
	s_mov_b32 s8, 0x5040100
	s_add_i32 s9, s12, s15
	s_mov_b64 s[4:5], -1
	v_add_u32_e32 v16, v8, v1
	s_waitcnt vmcnt(5)
	v_perm_b32 v6, v15, v11, s8
	v_mov_b32_e32 v11, s9
	s_waitcnt vmcnt(3)
	v_perm_b32 v7, v24, v13, s8
	s_waitcnt vmcnt(1)
	v_perm_b32 v8, v22, v25, s8
	s_waitcnt vmcnt(0)
	v_and_b32_e32 v9, 0xffff, v9
	s_cbranch_execz .LBB1542_22
	s_branch .LBB1542_35
.LBB1542_21:
	s_mov_b64 s[4:5], 0
                                        ; implicit-def: $vgpr16
                                        ; implicit-def: $vgpr6_vgpr7_vgpr8_vgpr9
                                        ; implicit-def: $vgpr11
.LBB1542_22:
	s_add_i32 s6, s12, s15
	v_mov_b32_e32 v6, 0
	v_cmp_gt_u32_e32 vcc, s6, v0
	v_mov_b32_e32 v7, v6
	v_mov_b32_e32 v8, v6
	;; [unrolled: 1-line block ×3, first 2 shown]
	s_and_saveexec_b64 s[4:5], vcc
	s_cbranch_execnz .LBB1542_73
; %bb.23:
	s_or_b64 exec, exec, s[4:5]
	v_cmp_gt_u32_e32 vcc, s6, v14
	s_and_saveexec_b64 s[4:5], vcc
	s_cbranch_execnz .LBB1542_74
.LBB1542_24:
	s_or_b64 exec, exec, s[4:5]
	v_cmp_gt_u32_e32 vcc, s6, v12
	s_and_saveexec_b64 s[4:5], vcc
	s_cbranch_execz .LBB1542_26
.LBB1542_25:
	v_mov_b32_e32 v13, 0
	v_subrev_co_u32_e32 v16, vcc, s15, v12
	v_mov_b32_e32 v17, v13
	v_lshl_add_u64 v[14:15], v[12:13], 1, s[0:1]
	v_lshl_add_u64 v[16:17], v[16:17], 1, s[2:3]
	v_cndmask_b32_e32 v15, v17, v15, vcc
	v_cndmask_b32_e32 v14, v16, v14, vcc
	global_load_ushort v11, v[14:15], off
	s_mov_b32 s7, 0xffff
	s_waitcnt vmcnt(0)
	v_bfi_b32 v7, s7, v11, v7
.LBB1542_26:
	s_or_b64 exec, exec, s[4:5]
	v_add_u32_e32 v12, v12, v1
	v_cmp_gt_u32_e32 vcc, s6, v12
	s_and_saveexec_b64 s[4:5], vcc
	s_cbranch_execz .LBB1542_28
; %bb.27:
	v_mov_b32_e32 v13, 0
	v_subrev_co_u32_e32 v16, vcc, s15, v12
	v_mov_b32_e32 v17, v13
	v_lshl_add_u64 v[14:15], v[12:13], 1, s[0:1]
	v_lshl_add_u64 v[16:17], v[16:17], 1, s[2:3]
	v_cndmask_b32_e32 v15, v17, v15, vcc
	v_cndmask_b32_e32 v14, v16, v14, vcc
	global_load_ushort v11, v[14:15], off
	s_mov_b32 s7, 0x5040100
	s_waitcnt vmcnt(0)
	v_perm_b32 v7, v11, v7, s7
.LBB1542_28:
	s_or_b64 exec, exec, s[4:5]
	v_add_u32_e32 v12, v12, v1
	v_cmp_gt_u32_e32 vcc, s6, v12
	s_and_saveexec_b64 s[4:5], vcc
	s_cbranch_execz .LBB1542_30
; %bb.29:
	v_mov_b32_e32 v13, 0
	v_subrev_co_u32_e32 v16, vcc, s15, v12
	v_mov_b32_e32 v17, v13
	v_lshl_add_u64 v[14:15], v[12:13], 1, s[0:1]
	v_lshl_add_u64 v[16:17], v[16:17], 1, s[2:3]
	v_cndmask_b32_e32 v15, v17, v15, vcc
	v_cndmask_b32_e32 v14, v16, v14, vcc
	global_load_ushort v11, v[14:15], off
	s_mov_b32 s7, 0xffff
	s_waitcnt vmcnt(0)
	v_bfi_b32 v8, s7, v11, v8
.LBB1542_30:
	s_or_b64 exec, exec, s[4:5]
	v_add_u32_e32 v12, v12, v1
	v_cmp_gt_u32_e32 vcc, s6, v12
	s_and_saveexec_b64 s[4:5], vcc
	s_cbranch_execz .LBB1542_32
; %bb.31:
	v_mov_b32_e32 v13, 0
	v_subrev_co_u32_e32 v16, vcc, s15, v12
	v_mov_b32_e32 v17, v13
	v_lshl_add_u64 v[14:15], v[12:13], 1, s[0:1]
	v_lshl_add_u64 v[16:17], v[16:17], 1, s[2:3]
	v_cndmask_b32_e32 v15, v17, v15, vcc
	v_cndmask_b32_e32 v14, v16, v14, vcc
	global_load_ushort v11, v[14:15], off
	s_mov_b32 s7, 0x5040100
	s_waitcnt vmcnt(0)
	v_perm_b32 v8, v11, v8, s7
.LBB1542_32:
	s_or_b64 exec, exec, s[4:5]
	v_add_u32_e32 v12, v12, v1
	v_cmp_gt_u32_e32 vcc, s6, v12
	s_and_saveexec_b64 s[4:5], vcc
	s_cbranch_execz .LBB1542_34
; %bb.33:
	v_mov_b32_e32 v13, 0
	v_subrev_co_u32_e32 v16, vcc, s15, v12
	v_mov_b32_e32 v17, v13
	v_lshl_add_u64 v[14:15], v[12:13], 1, s[0:1]
	v_lshl_add_u64 v[16:17], v[16:17], 1, s[2:3]
	v_cndmask_b32_e32 v15, v17, v15, vcc
	v_cndmask_b32_e32 v14, v16, v14, vcc
	global_load_ushort v11, v[14:15], off
	s_mov_b32 s7, 0xffff
	s_waitcnt vmcnt(0)
	v_bfi_b32 v9, s7, v11, v9
.LBB1542_34:
	s_or_b64 exec, exec, s[4:5]
	v_add_u32_e32 v16, v12, v1
	v_cmp_gt_u32_e64 s[4:5], s6, v16
	v_mov_b32_e32 v11, s6
.LBB1542_35:
	s_and_saveexec_b64 s[6:7], s[4:5]
	s_cbranch_execz .LBB1542_37
; %bb.36:
	v_mov_b32_e32 v13, 0
	v_mov_b32_e32 v17, v13
	v_subrev_co_u32_e32 v12, vcc, s15, v16
	v_lshl_add_u64 v[14:15], v[16:17], 1, s[0:1]
	v_lshl_add_u64 v[12:13], v[12:13], 1, s[2:3]
	v_cndmask_b32_e32 v13, v13, v15, vcc
	v_cndmask_b32_e32 v12, v12, v14, vcc
	global_load_ushort v1, v[12:13], off
	s_mov_b32 s0, 0x5040100
	s_waitcnt vmcnt(0)
	v_perm_b32 v9, v1, v9, s0
.LBB1542_37:
	s_or_b64 exec, exec, s[6:7]
	v_lshlrev_b32_e32 v1, 3, v0
	v_min_u32_e32 v12, v11, v1
	v_sub_u32_e64 v17, v12, s12 clamp
	v_min_u32_e32 v13, s15, v12
	v_cmp_lt_u32_e32 vcc, v17, v13
	s_waitcnt lgkmcnt(0)
	s_barrier
	s_and_saveexec_b64 s[0:1], vcc
	s_cbranch_execz .LBB1542_41
; %bb.38:
	v_lshlrev_b32_e32 v14, 1, v12
	v_lshl_add_u32 v14, s15, 1, v14
	s_mov_b64 s[2:3], 0
.LBB1542_39:                            ; =>This Inner Loop Header: Depth=1
	v_add_u32_e32 v15, v13, v17
	v_lshrrev_b32_e32 v16, 1, v15
	v_not_b32_e32 v22, v16
	v_and_b32_e32 v15, -2, v15
	v_lshl_add_u32 v22, v22, 1, v14
	ds_read_u16 v15, v15
	ds_read_u16 v22, v22
	v_add_u32_e32 v23, 1, v16
	s_waitcnt lgkmcnt(0)
	v_cmp_gt_i16_e32 vcc, v15, v22
	s_nop 1
	v_cndmask_b32_e32 v13, v13, v16, vcc
	v_cndmask_b32_e32 v17, v23, v17, vcc
	v_cmp_ge_u32_e32 vcc, v17, v13
	s_or_b64 s[2:3], vcc, s[2:3]
	s_andn2_b64 exec, exec, s[2:3]
	s_cbranch_execnz .LBB1542_39
; %bb.40:
	s_or_b64 exec, exec, s[2:3]
.LBB1542_41:
	s_or_b64 exec, exec, s[0:1]
	v_sub_u32_e32 v12, v12, v17
	v_add_u32_e32 v25, s15, v12
	v_cmp_ge_u32_e32 vcc, s15, v17
	v_cmp_le_u32_e64 s[0:1], v25, v11
	s_or_b64 s[0:1], vcc, s[0:1]
	v_mov_b32_e32 v24, 0
	v_mov_b32_e32 v23, 0
	;; [unrolled: 1-line block ×8, first 2 shown]
	s_and_saveexec_b64 s[18:19], s[0:1]
	s_cbranch_execz .LBB1542_47
; %bb.42:
	v_cmp_gt_u32_e32 vcc, s15, v17
                                        ; implicit-def: $vgpr2
	s_and_saveexec_b64 s[0:1], vcc
; %bb.43:
	v_lshlrev_b32_e32 v2, 1, v17
	ds_read_u16 v2, v2
; %bb.44:
	s_or_b64 exec, exec, s[0:1]
	v_cmp_ge_u32_e64 s[0:1], v25, v11
	v_cmp_lt_u32_e64 s[2:3], v25, v11
                                        ; implicit-def: $vgpr3
	s_and_saveexec_b64 s[4:5], s[2:3]
; %bb.45:
	v_lshlrev_b32_e32 v3, 1, v25
	ds_read_u16 v3, v3
; %bb.46:
	s_or_b64 exec, exec, s[4:5]
	s_waitcnt lgkmcnt(0)
	v_cmp_le_i16_e64 s[2:3], v2, v3
	s_and_b64 s[2:3], vcc, s[2:3]
	s_or_b64 vcc, s[0:1], s[2:3]
	v_mov_b32_e32 v4, s15
	v_cndmask_b32_e32 v12, v25, v17, vcc
	v_cndmask_b32_e32 v5, v11, v4, vcc
	v_add_u32_e32 v13, 1, v12
	v_add_u32_e32 v5, -1, v5
	v_min_u32_e32 v5, v13, v5
	v_lshlrev_b32_e32 v5, 1, v5
	ds_read_u16 v5, v5
	v_cndmask_b32_e32 v15, v17, v13, vcc
	v_cndmask_b32_e32 v14, v13, v25, vcc
	v_cmp_gt_u32_e64 s[2:3], s15, v15
	v_cmp_ge_u32_e64 s[0:1], v14, v11
	s_waitcnt lgkmcnt(0)
	v_cndmask_b32_e32 v18, v5, v3, vcc
	v_cndmask_b32_e32 v5, v2, v5, vcc
	v_cmp_le_i16_e64 s[4:5], v5, v18
	s_and_b64 s[2:3], s[2:3], s[4:5]
	s_or_b64 s[0:1], s[0:1], s[2:3]
	v_cndmask_b32_e64 v13, v14, v15, s[0:1]
	v_cndmask_b32_e64 v16, v11, v4, s[0:1]
	v_add_u32_e32 v17, 1, v13
	v_add_u32_e32 v16, -1, v16
	v_min_u32_e32 v16, v17, v16
	v_lshlrev_b32_e32 v16, 1, v16
	ds_read_u16 v16, v16
	v_cndmask_b32_e64 v15, v15, v17, s[0:1]
	v_cmp_gt_u32_e64 s[4:5], s15, v15
	v_cndmask_b32_e32 v2, v3, v2, vcc
	s_waitcnt lgkmcnt(0)
	v_cndmask_b32_e64 v19, v16, v18, s[0:1]
	v_cndmask_b32_e64 v20, v5, v16, s[0:1]
	;; [unrolled: 1-line block ×3, first 2 shown]
	v_cmp_le_i16_e64 s[6:7], v20, v19
	v_cmp_ge_u32_e64 s[2:3], v16, v11
	s_and_b64 s[4:5], s[4:5], s[6:7]
	s_or_b64 s[2:3], s[2:3], s[4:5]
	v_cndmask_b32_e64 v14, v16, v15, s[2:3]
	v_cndmask_b32_e64 v17, v11, v4, s[2:3]
	v_add_u32_e32 v21, 1, v14
	v_add_u32_e32 v17, -1, v17
	v_min_u32_e32 v17, v21, v17
	v_lshlrev_b32_e32 v17, 1, v17
	ds_read_u16 v17, v17
	v_cndmask_b32_e64 v16, v21, v16, s[2:3]
	v_cndmask_b32_e64 v21, v15, v21, s[2:3]
	v_cmp_gt_u32_e64 s[6:7], s15, v21
	v_cmp_ge_u32_e64 s[4:5], v16, v11
	s_waitcnt lgkmcnt(0)
	v_cndmask_b32_e64 v24, v17, v19, s[2:3]
	v_cndmask_b32_e64 v17, v20, v17, s[2:3]
	v_cmp_le_i16_e64 s[8:9], v17, v24
	s_and_b64 s[6:7], s[6:7], s[8:9]
	s_or_b64 s[4:5], s[4:5], s[6:7]
	v_cndmask_b32_e64 v15, v16, v21, s[4:5]
	v_cndmask_b32_e64 v22, v11, v4, s[4:5]
	v_add_u32_e32 v23, 1, v15
	v_add_u32_e32 v22, -1, v22
	v_min_u32_e32 v22, v23, v22
	v_lshlrev_b32_e32 v22, 1, v22
	ds_read_u16 v22, v22
	v_cndmask_b32_e64 v21, v21, v23, s[4:5]
	v_cmp_gt_u32_e64 s[8:9], s15, v21
	v_cndmask_b32_e64 v18, v18, v5, s[0:1]
	v_cndmask_b32_e64 v3, v19, v20, s[2:3]
	s_waitcnt lgkmcnt(0)
	v_cndmask_b32_e64 v25, v22, v24, s[4:5]
	v_cndmask_b32_e64 v26, v17, v22, s[4:5]
	;; [unrolled: 1-line block ×3, first 2 shown]
	v_cmp_le_i16_e64 s[10:11], v26, v25
	v_cmp_ge_u32_e64 s[6:7], v22, v11
	s_and_b64 s[8:9], s[8:9], s[10:11]
	s_or_b64 s[6:7], s[6:7], s[8:9]
	v_cndmask_b32_e64 v16, v22, v21, s[6:7]
	v_cndmask_b32_e64 v23, v11, v4, s[6:7]
	v_add_u32_e32 v27, 1, v16
	v_add_u32_e32 v23, -1, v23
	v_min_u32_e32 v23, v27, v23
	v_lshlrev_b32_e32 v23, 1, v23
	ds_read_u16 v23, v23
	v_cndmask_b32_e64 v21, v21, v27, s[6:7]
	v_cmp_gt_u32_e64 s[10:11], s15, v21
	v_cndmask_b32_e64 v19, v24, v17, s[4:5]
	s_waitcnt lgkmcnt(0)
	v_cndmask_b32_e64 v28, v23, v25, s[6:7]
	v_cndmask_b32_e64 v29, v26, v23, s[6:7]
	;; [unrolled: 1-line block ×3, first 2 shown]
	v_cmp_le_i16_e64 s[12:13], v29, v28
	v_cmp_ge_u32_e64 s[8:9], v23, v11
	s_and_b64 s[10:11], s[10:11], s[12:13]
	s_or_b64 s[8:9], s[8:9], s[10:11]
	v_cndmask_b32_e64 v22, v23, v21, s[8:9]
	v_cndmask_b32_e64 v27, v11, v4, s[8:9]
	v_add_u32_e32 v30, 1, v22
	v_add_u32_e32 v27, -1, v27
	v_min_u32_e32 v27, v30, v27
	v_lshlrev_b32_e32 v27, 1, v27
	ds_read_u16 v27, v27
	v_cndmask_b32_e64 v21, v21, v30, s[8:9]
	v_cndmask_b32_e64 v32, v30, v23, s[8:9]
	v_cmp_gt_u32_e64 s[0:1], s15, v21
	v_cmp_ge_u32_e32 vcc, v32, v11
	s_waitcnt lgkmcnt(0)
	v_cndmask_b32_e64 v31, v27, v28, s[8:9]
	v_cndmask_b32_e64 v27, v29, v27, s[8:9]
	v_cmp_le_i16_e64 s[2:3], v27, v31
	s_and_b64 s[0:1], s[0:1], s[2:3]
	s_or_b64 vcc, vcc, s[0:1]
	v_cndmask_b32_e32 v23, v32, v21, vcc
	v_cndmask_b32_e32 v4, v11, v4, vcc
	v_add_u32_e32 v30, 1, v23
	v_add_u32_e32 v4, -1, v4
	v_min_u32_e32 v4, v30, v4
	v_lshlrev_b32_e32 v4, 1, v4
	ds_read_u16 v33, v4
	v_cndmask_b32_e64 v4, v25, v26, s[6:7]
	v_cndmask_b32_e32 v21, v21, v30, vcc
	v_cndmask_b32_e32 v24, v30, v32, vcc
	v_cmp_gt_u32_e64 s[0:1], s15, v21
	s_waitcnt lgkmcnt(0)
	v_cndmask_b32_e32 v17, v33, v31, vcc
	v_cndmask_b32_e32 v25, v27, v33, vcc
	v_cmp_le_i16_e64 s[2:3], v25, v17
	v_cndmask_b32_e32 v5, v31, v27, vcc
	v_cmp_ge_u32_e32 vcc, v24, v11
	s_and_b64 s[0:1], s[0:1], s[2:3]
	s_or_b64 vcc, vcc, s[0:1]
	v_cndmask_b32_e64 v20, v28, v29, s[8:9]
	v_cndmask_b32_e32 v24, v24, v21, vcc
	v_cndmask_b32_e32 v21, v17, v25, vcc
.LBB1542_47:
	s_or_b64 exec, exec, s[18:19]
	s_barrier
	ds_write_b16 v10, v6
	ds_write_b16_d16_hi v10, v6 offset:256
	ds_write_b16 v10, v7 offset:512
	ds_write_b16_d16_hi v10, v7 offset:768
	ds_write_b16 v10, v8 offset:1024
	;; [unrolled: 2-line block ×3, first 2 shown]
	ds_write_b16_d16_hi v10, v9 offset:1792
	v_lshlrev_b32_e32 v6, 1, v12
	v_lshlrev_b32_e32 v7, 1, v13
	;; [unrolled: 1-line block ×7, first 2 shown]
	s_waitcnt lgkmcnt(0)
	s_barrier
	v_lshlrev_b32_e32 v16, 1, v24
	ds_read_u16 v6, v6
	ds_read_u16 v7, v7
	;; [unrolled: 1-line block ×8, first 2 shown]
	v_lshrrev_b32_e32 v11, 1, v0
	v_and_b32_e32 v11, 60, v11
	s_mov_b32 s0, 0x5040100
	v_lshl_add_u32 v1, v1, 1, v11
	v_perm_b32 v3, v19, v3, s0
	v_perm_b32 v2, v18, v2, s0
	s_waitcnt lgkmcnt(0)
	s_barrier
	s_barrier
	ds_write2_b32 v1, v2, v3 offset1:1
	v_perm_b32 v2, v21, v5, s0
	v_perm_b32 v3, v20, v4, s0
	ds_write2_b32 v1, v3, v2 offset0:2 offset1:3
	v_lshrrev_b32_e32 v2, 4, v0
	v_and_b32_e32 v2, 4, v2
	v_or_b32_e32 v28, 0x80, v0
	v_add_u32_e32 v4, v2, v10
	v_lshrrev_b32_e32 v2, 4, v28
	v_and_b32_e32 v2, 12, v2
	v_or_b32_e32 v27, 0x100, v0
	v_add_u32_e32 v5, v2, v10
	;; [unrolled: 4-line block ×5, first 2 shown]
	v_lshrrev_b32_e32 v2, 4, v24
	v_and_b32_e32 v2, 44, v2
	v_or_b32_e32 v23, 0x300, v0
	s_mov_b32 s15, 0
	v_add_u32_e32 v19, v2, v10
	v_lshrrev_b32_e32 v2, 4, v23
	s_lshl_b64 s[12:13], s[14:15], 1
	v_and_b32_e32 v2, 52, v2
	v_or_b32_e32 v22, 0x380, v0
	s_add_u32 s2, s16, s12
	v_add_u32_e32 v20, v2, v10
	v_lshrrev_b32_e32 v2, 4, v22
	s_addc_u32 s3, s17, s13
	v_and_b32_e32 v2, 60, v2
	v_mov_b32_e32 v11, 0
	v_add_u32_e32 v21, v2, v10
	v_lshl_add_u64 v[2:3], s[2:3], 0, v[10:11]
	s_and_b64 vcc, exec, s[24:25]
	s_waitcnt lgkmcnt(0)
	s_cbranch_vccz .LBB1542_49
; %bb.48:
	s_barrier
	ds_read_u16 v11, v4
	ds_read_u16 v29, v5 offset:256
	ds_read_u16 v30, v16 offset:512
	;; [unrolled: 1-line block ×7, first 2 shown]
	s_add_u32 s2, s20, s12
	s_addc_u32 s3, s21, s13
	s_waitcnt lgkmcnt(7)
	global_store_short v[2:3], v11, off
	s_waitcnt lgkmcnt(6)
	global_store_short v[2:3], v29, off offset:256
	s_waitcnt lgkmcnt(5)
	global_store_short v[2:3], v30, off offset:512
	;; [unrolled: 2-line block ×7, first 2 shown]
	v_perm_b32 v11, v13, v12, s0
	v_perm_b32 v29, v7, v6, s0
	s_barrier
	ds_write2_b32 v1, v29, v11 offset1:1
	v_perm_b32 v11, v15, v14, s0
	v_perm_b32 v29, v9, v8, s0
	ds_write2_b32 v1, v29, v11 offset0:2 offset1:3
	s_waitcnt lgkmcnt(0)
	s_barrier
	ds_read_u16 v11, v4
	ds_read_u16 v30, v5 offset:256
	ds_read_u16 v31, v16 offset:512
	;; [unrolled: 1-line block ×7, first 2 shown]
	s_waitcnt lgkmcnt(7)
	global_store_short v10, v11, s[2:3]
	s_waitcnt lgkmcnt(6)
	global_store_short v10, v30, s[2:3] offset:256
	s_waitcnt lgkmcnt(5)
	global_store_short v10, v31, s[2:3] offset:512
	;; [unrolled: 2-line block ×6, first 2 shown]
	s_mov_b64 s[16:17], -1
	s_cbranch_execz .LBB1542_50
	s_branch .LBB1542_68
.LBB1542_49:
	s_mov_b64 s[16:17], 0
                                        ; implicit-def: $vgpr29
.LBB1542_50:
	s_barrier
	s_waitcnt lgkmcnt(0)
	ds_read_u16 v34, v5 offset:256
	ds_read_u16 v33, v16 offset:512
	;; [unrolled: 1-line block ×7, first 2 shown]
	s_sub_i32 s16, s22, s14
	v_cmp_gt_u32_e32 vcc, s16, v0
	s_and_saveexec_b64 s[0:1], vcc
	s_cbranch_execnz .LBB1542_75
; %bb.51:
	s_or_b64 exec, exec, s[0:1]
	v_cmp_gt_u32_e64 s[0:1], s16, v28
	s_and_saveexec_b64 s[2:3], s[0:1]
	s_cbranch_execnz .LBB1542_76
.LBB1542_52:
	s_or_b64 exec, exec, s[2:3]
	v_cmp_gt_u32_e64 s[2:3], s16, v27
	s_and_saveexec_b64 s[4:5], s[2:3]
	s_cbranch_execnz .LBB1542_77
.LBB1542_53:
	s_or_b64 exec, exec, s[4:5]
	v_cmp_gt_u32_e64 s[4:5], s16, v26
	s_and_saveexec_b64 s[6:7], s[4:5]
	s_cbranch_execnz .LBB1542_78
.LBB1542_54:
	s_or_b64 exec, exec, s[6:7]
	v_cmp_gt_u32_e64 s[6:7], s16, v25
	s_and_saveexec_b64 s[8:9], s[6:7]
	s_cbranch_execnz .LBB1542_79
.LBB1542_55:
	s_or_b64 exec, exec, s[8:9]
	v_cmp_gt_u32_e64 s[8:9], s16, v24
	s_and_saveexec_b64 s[10:11], s[8:9]
	s_cbranch_execnz .LBB1542_80
.LBB1542_56:
	s_or_b64 exec, exec, s[10:11]
	v_cmp_gt_u32_e64 s[10:11], s16, v23
	s_and_saveexec_b64 s[14:15], s[10:11]
	s_cbranch_execnz .LBB1542_81
.LBB1542_57:
	s_or_b64 exec, exec, s[14:15]
	v_cmp_gt_u32_e64 s[16:17], s16, v22
	s_and_saveexec_b64 s[14:15], s[16:17]
	s_cbranch_execz .LBB1542_59
.LBB1542_58:
	s_waitcnt lgkmcnt(0)
	global_store_short v[2:3], v11, off offset:1792
.LBB1542_59:
	s_or_b64 exec, exec, s[14:15]
	s_mov_b32 s14, 0x5040100
	v_perm_b32 v0, v13, v12, s14
	v_perm_b32 v2, v7, v6, s14
	s_waitcnt lgkmcnt(0)
	s_barrier
	ds_write2_b32 v1, v2, v0 offset1:1
	v_perm_b32 v0, v15, v14, s14
	v_perm_b32 v2, v9, v8, s14
	ds_write2_b32 v1, v2, v0 offset0:2 offset1:3
	s_waitcnt lgkmcnt(0)
	s_barrier
	ds_read_u16 v8, v5 offset:256
	ds_read_u16 v7, v16 offset:512
	ds_read_u16 v6, v17 offset:768
	ds_read_u16 v5, v18 offset:1024
	ds_read_u16 v3, v19 offset:1280
	ds_read_u16 v2, v20 offset:1536
	ds_read_u16 v29, v21 offset:1792
	s_add_u32 s14, s20, s12
	s_addc_u32 s15, s21, s13
	v_mov_b32_e32 v11, 0
	v_lshl_add_u64 v[0:1], s[14:15], 0, v[10:11]
	s_and_saveexec_b64 s[14:15], vcc
	s_cbranch_execnz .LBB1542_82
; %bb.60:
	s_or_b64 exec, exec, s[14:15]
	s_and_saveexec_b64 s[14:15], s[0:1]
	s_cbranch_execnz .LBB1542_83
.LBB1542_61:
	s_or_b64 exec, exec, s[14:15]
	s_and_saveexec_b64 s[0:1], s[2:3]
	s_cbranch_execnz .LBB1542_84
.LBB1542_62:
	s_or_b64 exec, exec, s[0:1]
	s_and_saveexec_b64 s[0:1], s[4:5]
	s_cbranch_execnz .LBB1542_85
.LBB1542_63:
	s_or_b64 exec, exec, s[0:1]
	s_and_saveexec_b64 s[0:1], s[6:7]
	s_cbranch_execnz .LBB1542_86
.LBB1542_64:
	s_or_b64 exec, exec, s[0:1]
	s_and_saveexec_b64 s[0:1], s[8:9]
	s_cbranch_execnz .LBB1542_87
.LBB1542_65:
	s_or_b64 exec, exec, s[0:1]
	s_and_saveexec_b64 s[0:1], s[10:11]
	s_cbranch_execz .LBB1542_67
.LBB1542_66:
	s_waitcnt lgkmcnt(1)
	global_store_short v[0:1], v2, off offset:1536
.LBB1542_67:
	s_or_b64 exec, exec, s[0:1]
.LBB1542_68:
	s_and_saveexec_b64 s[0:1], s[16:17]
	s_cbranch_execz .LBB1542_70
; %bb.69:
	s_add_u32 s0, s20, s12
	s_addc_u32 s1, s21, s13
	s_waitcnt lgkmcnt(0)
	global_store_short v10, v29, s[0:1] offset:1792
.LBB1542_70:
	s_endpgm
.LBB1542_71:
	v_mov_b32_e32 v11, v2
	v_subrev_co_u32_e32 v6, vcc, s15, v0
	v_mov_b32_e32 v7, v2
	v_lshl_add_u64 v[4:5], s[6:7], 0, v[10:11]
	v_lshl_add_u64 v[6:7], v[6:7], 1, s[8:9]
	v_cndmask_b32_e32 v5, v7, v5, vcc
	v_cndmask_b32_e32 v4, v6, v4, vcc
	global_load_ushort v3, v[4:5], off
	v_mov_b32_e32 v5, v2
	v_mov_b32_e32 v6, v2
	;; [unrolled: 1-line block ×3, first 2 shown]
	s_waitcnt vmcnt(0)
	v_and_b32_e32 v4, 0xffff, v3
	v_mov_b64_e32 v[2:3], v[4:5]
	v_mov_b64_e32 v[4:5], v[6:7]
	s_or_b64 exec, exec, s[2:3]
	v_cmp_gt_u32_e32 vcc, s10, v14
	s_and_saveexec_b64 s[2:3], vcc
	s_cbranch_execz .LBB1542_6
.LBB1542_72:
	v_mov_b32_e32 v15, 0
	v_subrev_co_u32_e32 v8, vcc, s15, v14
	v_mov_b32_e32 v9, v15
	v_lshl_add_u64 v[6:7], v[14:15], 1, s[6:7]
	v_lshl_add_u64 v[8:9], v[8:9], 1, s[8:9]
	v_cndmask_b32_e32 v7, v9, v7, vcc
	v_cndmask_b32_e32 v6, v8, v6, vcc
	global_load_ushort v6, v[6:7], off
	s_mov_b32 s11, 0x5040100
	s_waitcnt vmcnt(0)
	v_perm_b32 v2, v6, v2, s11
	s_or_b64 exec, exec, s[2:3]
	v_cmp_gt_u32_e32 vcc, s10, v12
	s_and_saveexec_b64 s[2:3], vcc
	s_cbranch_execnz .LBB1542_7
	s_branch .LBB1542_8
.LBB1542_73:
	v_mov_b32_e32 v11, v6
	v_subrev_co_u32_e32 v16, vcc, s15, v0
	v_mov_b32_e32 v17, v6
	v_lshl_add_u64 v[8:9], s[0:1], 0, v[10:11]
	v_lshl_add_u64 v[16:17], v[16:17], 1, s[2:3]
	v_cndmask_b32_e32 v9, v17, v9, vcc
	v_cndmask_b32_e32 v8, v16, v8, vcc
	global_load_ushort v7, v[8:9], off
	v_mov_b32_e32 v23, v6
	v_mov_b32_e32 v24, v6
	;; [unrolled: 1-line block ×3, first 2 shown]
	s_waitcnt vmcnt(0)
	v_and_b32_e32 v22, 0xffff, v7
	v_mov_b64_e32 v[6:7], v[22:23]
	v_mov_b64_e32 v[8:9], v[24:25]
	s_or_b64 exec, exec, s[4:5]
	v_cmp_gt_u32_e32 vcc, s6, v14
	s_and_saveexec_b64 s[4:5], vcc
	s_cbranch_execz .LBB1542_24
.LBB1542_74:
	v_mov_b32_e32 v15, 0
	v_lshl_add_u64 v[16:17], v[14:15], 1, s[0:1]
	v_subrev_co_u32_e32 v14, vcc, s15, v14
	v_lshl_add_u64 v[14:15], v[14:15], 1, s[2:3]
	s_nop 0
	v_cndmask_b32_e32 v15, v15, v17, vcc
	v_cndmask_b32_e32 v14, v14, v16, vcc
	global_load_ushort v11, v[14:15], off
	s_mov_b32 s7, 0x5040100
	s_waitcnt vmcnt(0)
	v_perm_b32 v6, v11, v6, s7
	s_or_b64 exec, exec, s[4:5]
	v_cmp_gt_u32_e32 vcc, s6, v12
	s_and_saveexec_b64 s[4:5], vcc
	s_cbranch_execnz .LBB1542_25
	s_branch .LBB1542_26
.LBB1542_75:
	ds_read_u16 v0, v4
	s_waitcnt lgkmcnt(0)
	global_store_short v[2:3], v0, off
	s_or_b64 exec, exec, s[0:1]
	v_cmp_gt_u32_e64 s[0:1], s16, v28
	s_and_saveexec_b64 s[2:3], s[0:1]
	s_cbranch_execz .LBB1542_52
.LBB1542_76:
	s_waitcnt lgkmcnt(6)
	global_store_short v[2:3], v34, off offset:256
	s_or_b64 exec, exec, s[2:3]
	v_cmp_gt_u32_e64 s[2:3], s16, v27
	s_and_saveexec_b64 s[4:5], s[2:3]
	s_cbranch_execz .LBB1542_53
.LBB1542_77:
	s_waitcnt lgkmcnt(5)
	global_store_short v[2:3], v33, off offset:512
	s_or_b64 exec, exec, s[4:5]
	v_cmp_gt_u32_e64 s[4:5], s16, v26
	s_and_saveexec_b64 s[6:7], s[4:5]
	s_cbranch_execz .LBB1542_54
.LBB1542_78:
	s_waitcnt lgkmcnt(4)
	global_store_short v[2:3], v32, off offset:768
	s_or_b64 exec, exec, s[6:7]
	v_cmp_gt_u32_e64 s[6:7], s16, v25
	s_and_saveexec_b64 s[8:9], s[6:7]
	s_cbranch_execz .LBB1542_55
.LBB1542_79:
	s_waitcnt lgkmcnt(3)
	global_store_short v[2:3], v31, off offset:1024
	s_or_b64 exec, exec, s[8:9]
	v_cmp_gt_u32_e64 s[8:9], s16, v24
	s_and_saveexec_b64 s[10:11], s[8:9]
	s_cbranch_execz .LBB1542_56
.LBB1542_80:
	s_waitcnt lgkmcnt(2)
	global_store_short v[2:3], v30, off offset:1280
	s_or_b64 exec, exec, s[10:11]
	v_cmp_gt_u32_e64 s[10:11], s16, v23
	s_and_saveexec_b64 s[14:15], s[10:11]
	s_cbranch_execz .LBB1542_57
.LBB1542_81:
	s_waitcnt lgkmcnt(1)
	global_store_short v[2:3], v29, off offset:1536
	s_or_b64 exec, exec, s[14:15]
	v_cmp_gt_u32_e64 s[16:17], s16, v22
	s_and_saveexec_b64 s[14:15], s[16:17]
	s_cbranch_execnz .LBB1542_58
	s_branch .LBB1542_59
.LBB1542_82:
	ds_read_u16 v4, v4
	s_waitcnt lgkmcnt(0)
	global_store_short v[0:1], v4, off
	s_or_b64 exec, exec, s[14:15]
	s_and_saveexec_b64 s[14:15], s[0:1]
	s_cbranch_execz .LBB1542_61
.LBB1542_83:
	s_waitcnt lgkmcnt(6)
	global_store_short v[0:1], v8, off offset:256
	s_or_b64 exec, exec, s[14:15]
	s_and_saveexec_b64 s[0:1], s[2:3]
	s_cbranch_execz .LBB1542_62
.LBB1542_84:
	s_waitcnt lgkmcnt(5)
	global_store_short v[0:1], v7, off offset:512
	s_or_b64 exec, exec, s[0:1]
	s_and_saveexec_b64 s[0:1], s[4:5]
	s_cbranch_execz .LBB1542_63
.LBB1542_85:
	s_waitcnt lgkmcnt(4)
	global_store_short v[0:1], v6, off offset:768
	s_or_b64 exec, exec, s[0:1]
	s_and_saveexec_b64 s[0:1], s[6:7]
	s_cbranch_execz .LBB1542_64
.LBB1542_86:
	s_waitcnt lgkmcnt(3)
	global_store_short v[0:1], v5, off offset:1024
	s_or_b64 exec, exec, s[0:1]
	s_and_saveexec_b64 s[0:1], s[8:9]
	s_cbranch_execz .LBB1542_65
.LBB1542_87:
	s_waitcnt lgkmcnt(2)
	global_store_short v[0:1], v3, off offset:1280
	s_or_b64 exec, exec, s[0:1]
	s_and_saveexec_b64 s[0:1], s[10:11]
	s_cbranch_execnz .LBB1542_66
	s_branch .LBB1542_67
	.section	.rodata,"a",@progbits
	.p2align	6, 0x0
	.amdhsa_kernel _ZN7rocprim17ROCPRIM_400000_NS6detail17trampoline_kernelINS0_14default_configENS1_38merge_sort_block_merge_config_selectorIssEEZZNS1_27merge_sort_block_merge_implIS3_N6thrust23THRUST_200600_302600_NS6detail15normal_iteratorINS8_10device_ptrIsEEEESD_jNS1_19radix_merge_compareILb0ELb0EsNS0_19identity_decomposerEEEEE10hipError_tT0_T1_T2_jT3_P12ihipStream_tbPNSt15iterator_traitsISI_E10value_typeEPNSO_ISJ_E10value_typeEPSK_NS1_7vsmem_tEENKUlT_SI_SJ_SK_E_clISD_PsSD_S10_EESH_SX_SI_SJ_SK_EUlSX_E0_NS1_11comp_targetILNS1_3genE0ELNS1_11target_archE4294967295ELNS1_3gpuE0ELNS1_3repE0EEENS1_38merge_mergepath_config_static_selectorELNS0_4arch9wavefront6targetE1EEEvSJ_
		.amdhsa_group_segment_fixed_size 2112
		.amdhsa_private_segment_fixed_size 0
		.amdhsa_kernarg_size 320
		.amdhsa_user_sgpr_count 2
		.amdhsa_user_sgpr_dispatch_ptr 0
		.amdhsa_user_sgpr_queue_ptr 0
		.amdhsa_user_sgpr_kernarg_segment_ptr 1
		.amdhsa_user_sgpr_dispatch_id 0
		.amdhsa_user_sgpr_kernarg_preload_length 0
		.amdhsa_user_sgpr_kernarg_preload_offset 0
		.amdhsa_user_sgpr_private_segment_size 0
		.amdhsa_uses_dynamic_stack 0
		.amdhsa_enable_private_segment 0
		.amdhsa_system_sgpr_workgroup_id_x 1
		.amdhsa_system_sgpr_workgroup_id_y 1
		.amdhsa_system_sgpr_workgroup_id_z 1
		.amdhsa_system_sgpr_workgroup_info 0
		.amdhsa_system_vgpr_workitem_id 0
		.amdhsa_next_free_vgpr 36
		.amdhsa_next_free_sgpr 30
		.amdhsa_accum_offset 36
		.amdhsa_reserve_vcc 1
		.amdhsa_float_round_mode_32 0
		.amdhsa_float_round_mode_16_64 0
		.amdhsa_float_denorm_mode_32 3
		.amdhsa_float_denorm_mode_16_64 3
		.amdhsa_dx10_clamp 1
		.amdhsa_ieee_mode 1
		.amdhsa_fp16_overflow 0
		.amdhsa_tg_split 0
		.amdhsa_exception_fp_ieee_invalid_op 0
		.amdhsa_exception_fp_denorm_src 0
		.amdhsa_exception_fp_ieee_div_zero 0
		.amdhsa_exception_fp_ieee_overflow 0
		.amdhsa_exception_fp_ieee_underflow 0
		.amdhsa_exception_fp_ieee_inexact 0
		.amdhsa_exception_int_div_zero 0
	.end_amdhsa_kernel
	.section	.text._ZN7rocprim17ROCPRIM_400000_NS6detail17trampoline_kernelINS0_14default_configENS1_38merge_sort_block_merge_config_selectorIssEEZZNS1_27merge_sort_block_merge_implIS3_N6thrust23THRUST_200600_302600_NS6detail15normal_iteratorINS8_10device_ptrIsEEEESD_jNS1_19radix_merge_compareILb0ELb0EsNS0_19identity_decomposerEEEEE10hipError_tT0_T1_T2_jT3_P12ihipStream_tbPNSt15iterator_traitsISI_E10value_typeEPNSO_ISJ_E10value_typeEPSK_NS1_7vsmem_tEENKUlT_SI_SJ_SK_E_clISD_PsSD_S10_EESH_SX_SI_SJ_SK_EUlSX_E0_NS1_11comp_targetILNS1_3genE0ELNS1_11target_archE4294967295ELNS1_3gpuE0ELNS1_3repE0EEENS1_38merge_mergepath_config_static_selectorELNS0_4arch9wavefront6targetE1EEEvSJ_,"axG",@progbits,_ZN7rocprim17ROCPRIM_400000_NS6detail17trampoline_kernelINS0_14default_configENS1_38merge_sort_block_merge_config_selectorIssEEZZNS1_27merge_sort_block_merge_implIS3_N6thrust23THRUST_200600_302600_NS6detail15normal_iteratorINS8_10device_ptrIsEEEESD_jNS1_19radix_merge_compareILb0ELb0EsNS0_19identity_decomposerEEEEE10hipError_tT0_T1_T2_jT3_P12ihipStream_tbPNSt15iterator_traitsISI_E10value_typeEPNSO_ISJ_E10value_typeEPSK_NS1_7vsmem_tEENKUlT_SI_SJ_SK_E_clISD_PsSD_S10_EESH_SX_SI_SJ_SK_EUlSX_E0_NS1_11comp_targetILNS1_3genE0ELNS1_11target_archE4294967295ELNS1_3gpuE0ELNS1_3repE0EEENS1_38merge_mergepath_config_static_selectorELNS0_4arch9wavefront6targetE1EEEvSJ_,comdat
.Lfunc_end1542:
	.size	_ZN7rocprim17ROCPRIM_400000_NS6detail17trampoline_kernelINS0_14default_configENS1_38merge_sort_block_merge_config_selectorIssEEZZNS1_27merge_sort_block_merge_implIS3_N6thrust23THRUST_200600_302600_NS6detail15normal_iteratorINS8_10device_ptrIsEEEESD_jNS1_19radix_merge_compareILb0ELb0EsNS0_19identity_decomposerEEEEE10hipError_tT0_T1_T2_jT3_P12ihipStream_tbPNSt15iterator_traitsISI_E10value_typeEPNSO_ISJ_E10value_typeEPSK_NS1_7vsmem_tEENKUlT_SI_SJ_SK_E_clISD_PsSD_S10_EESH_SX_SI_SJ_SK_EUlSX_E0_NS1_11comp_targetILNS1_3genE0ELNS1_11target_archE4294967295ELNS1_3gpuE0ELNS1_3repE0EEENS1_38merge_mergepath_config_static_selectorELNS0_4arch9wavefront6targetE1EEEvSJ_, .Lfunc_end1542-_ZN7rocprim17ROCPRIM_400000_NS6detail17trampoline_kernelINS0_14default_configENS1_38merge_sort_block_merge_config_selectorIssEEZZNS1_27merge_sort_block_merge_implIS3_N6thrust23THRUST_200600_302600_NS6detail15normal_iteratorINS8_10device_ptrIsEEEESD_jNS1_19radix_merge_compareILb0ELb0EsNS0_19identity_decomposerEEEEE10hipError_tT0_T1_T2_jT3_P12ihipStream_tbPNSt15iterator_traitsISI_E10value_typeEPNSO_ISJ_E10value_typeEPSK_NS1_7vsmem_tEENKUlT_SI_SJ_SK_E_clISD_PsSD_S10_EESH_SX_SI_SJ_SK_EUlSX_E0_NS1_11comp_targetILNS1_3genE0ELNS1_11target_archE4294967295ELNS1_3gpuE0ELNS1_3repE0EEENS1_38merge_mergepath_config_static_selectorELNS0_4arch9wavefront6targetE1EEEvSJ_
                                        ; -- End function
	.set _ZN7rocprim17ROCPRIM_400000_NS6detail17trampoline_kernelINS0_14default_configENS1_38merge_sort_block_merge_config_selectorIssEEZZNS1_27merge_sort_block_merge_implIS3_N6thrust23THRUST_200600_302600_NS6detail15normal_iteratorINS8_10device_ptrIsEEEESD_jNS1_19radix_merge_compareILb0ELb0EsNS0_19identity_decomposerEEEEE10hipError_tT0_T1_T2_jT3_P12ihipStream_tbPNSt15iterator_traitsISI_E10value_typeEPNSO_ISJ_E10value_typeEPSK_NS1_7vsmem_tEENKUlT_SI_SJ_SK_E_clISD_PsSD_S10_EESH_SX_SI_SJ_SK_EUlSX_E0_NS1_11comp_targetILNS1_3genE0ELNS1_11target_archE4294967295ELNS1_3gpuE0ELNS1_3repE0EEENS1_38merge_mergepath_config_static_selectorELNS0_4arch9wavefront6targetE1EEEvSJ_.num_vgpr, 36
	.set _ZN7rocprim17ROCPRIM_400000_NS6detail17trampoline_kernelINS0_14default_configENS1_38merge_sort_block_merge_config_selectorIssEEZZNS1_27merge_sort_block_merge_implIS3_N6thrust23THRUST_200600_302600_NS6detail15normal_iteratorINS8_10device_ptrIsEEEESD_jNS1_19radix_merge_compareILb0ELb0EsNS0_19identity_decomposerEEEEE10hipError_tT0_T1_T2_jT3_P12ihipStream_tbPNSt15iterator_traitsISI_E10value_typeEPNSO_ISJ_E10value_typeEPSK_NS1_7vsmem_tEENKUlT_SI_SJ_SK_E_clISD_PsSD_S10_EESH_SX_SI_SJ_SK_EUlSX_E0_NS1_11comp_targetILNS1_3genE0ELNS1_11target_archE4294967295ELNS1_3gpuE0ELNS1_3repE0EEENS1_38merge_mergepath_config_static_selectorELNS0_4arch9wavefront6targetE1EEEvSJ_.num_agpr, 0
	.set _ZN7rocprim17ROCPRIM_400000_NS6detail17trampoline_kernelINS0_14default_configENS1_38merge_sort_block_merge_config_selectorIssEEZZNS1_27merge_sort_block_merge_implIS3_N6thrust23THRUST_200600_302600_NS6detail15normal_iteratorINS8_10device_ptrIsEEEESD_jNS1_19radix_merge_compareILb0ELb0EsNS0_19identity_decomposerEEEEE10hipError_tT0_T1_T2_jT3_P12ihipStream_tbPNSt15iterator_traitsISI_E10value_typeEPNSO_ISJ_E10value_typeEPSK_NS1_7vsmem_tEENKUlT_SI_SJ_SK_E_clISD_PsSD_S10_EESH_SX_SI_SJ_SK_EUlSX_E0_NS1_11comp_targetILNS1_3genE0ELNS1_11target_archE4294967295ELNS1_3gpuE0ELNS1_3repE0EEENS1_38merge_mergepath_config_static_selectorELNS0_4arch9wavefront6targetE1EEEvSJ_.numbered_sgpr, 30
	.set _ZN7rocprim17ROCPRIM_400000_NS6detail17trampoline_kernelINS0_14default_configENS1_38merge_sort_block_merge_config_selectorIssEEZZNS1_27merge_sort_block_merge_implIS3_N6thrust23THRUST_200600_302600_NS6detail15normal_iteratorINS8_10device_ptrIsEEEESD_jNS1_19radix_merge_compareILb0ELb0EsNS0_19identity_decomposerEEEEE10hipError_tT0_T1_T2_jT3_P12ihipStream_tbPNSt15iterator_traitsISI_E10value_typeEPNSO_ISJ_E10value_typeEPSK_NS1_7vsmem_tEENKUlT_SI_SJ_SK_E_clISD_PsSD_S10_EESH_SX_SI_SJ_SK_EUlSX_E0_NS1_11comp_targetILNS1_3genE0ELNS1_11target_archE4294967295ELNS1_3gpuE0ELNS1_3repE0EEENS1_38merge_mergepath_config_static_selectorELNS0_4arch9wavefront6targetE1EEEvSJ_.num_named_barrier, 0
	.set _ZN7rocprim17ROCPRIM_400000_NS6detail17trampoline_kernelINS0_14default_configENS1_38merge_sort_block_merge_config_selectorIssEEZZNS1_27merge_sort_block_merge_implIS3_N6thrust23THRUST_200600_302600_NS6detail15normal_iteratorINS8_10device_ptrIsEEEESD_jNS1_19radix_merge_compareILb0ELb0EsNS0_19identity_decomposerEEEEE10hipError_tT0_T1_T2_jT3_P12ihipStream_tbPNSt15iterator_traitsISI_E10value_typeEPNSO_ISJ_E10value_typeEPSK_NS1_7vsmem_tEENKUlT_SI_SJ_SK_E_clISD_PsSD_S10_EESH_SX_SI_SJ_SK_EUlSX_E0_NS1_11comp_targetILNS1_3genE0ELNS1_11target_archE4294967295ELNS1_3gpuE0ELNS1_3repE0EEENS1_38merge_mergepath_config_static_selectorELNS0_4arch9wavefront6targetE1EEEvSJ_.private_seg_size, 0
	.set _ZN7rocprim17ROCPRIM_400000_NS6detail17trampoline_kernelINS0_14default_configENS1_38merge_sort_block_merge_config_selectorIssEEZZNS1_27merge_sort_block_merge_implIS3_N6thrust23THRUST_200600_302600_NS6detail15normal_iteratorINS8_10device_ptrIsEEEESD_jNS1_19radix_merge_compareILb0ELb0EsNS0_19identity_decomposerEEEEE10hipError_tT0_T1_T2_jT3_P12ihipStream_tbPNSt15iterator_traitsISI_E10value_typeEPNSO_ISJ_E10value_typeEPSK_NS1_7vsmem_tEENKUlT_SI_SJ_SK_E_clISD_PsSD_S10_EESH_SX_SI_SJ_SK_EUlSX_E0_NS1_11comp_targetILNS1_3genE0ELNS1_11target_archE4294967295ELNS1_3gpuE0ELNS1_3repE0EEENS1_38merge_mergepath_config_static_selectorELNS0_4arch9wavefront6targetE1EEEvSJ_.uses_vcc, 1
	.set _ZN7rocprim17ROCPRIM_400000_NS6detail17trampoline_kernelINS0_14default_configENS1_38merge_sort_block_merge_config_selectorIssEEZZNS1_27merge_sort_block_merge_implIS3_N6thrust23THRUST_200600_302600_NS6detail15normal_iteratorINS8_10device_ptrIsEEEESD_jNS1_19radix_merge_compareILb0ELb0EsNS0_19identity_decomposerEEEEE10hipError_tT0_T1_T2_jT3_P12ihipStream_tbPNSt15iterator_traitsISI_E10value_typeEPNSO_ISJ_E10value_typeEPSK_NS1_7vsmem_tEENKUlT_SI_SJ_SK_E_clISD_PsSD_S10_EESH_SX_SI_SJ_SK_EUlSX_E0_NS1_11comp_targetILNS1_3genE0ELNS1_11target_archE4294967295ELNS1_3gpuE0ELNS1_3repE0EEENS1_38merge_mergepath_config_static_selectorELNS0_4arch9wavefront6targetE1EEEvSJ_.uses_flat_scratch, 0
	.set _ZN7rocprim17ROCPRIM_400000_NS6detail17trampoline_kernelINS0_14default_configENS1_38merge_sort_block_merge_config_selectorIssEEZZNS1_27merge_sort_block_merge_implIS3_N6thrust23THRUST_200600_302600_NS6detail15normal_iteratorINS8_10device_ptrIsEEEESD_jNS1_19radix_merge_compareILb0ELb0EsNS0_19identity_decomposerEEEEE10hipError_tT0_T1_T2_jT3_P12ihipStream_tbPNSt15iterator_traitsISI_E10value_typeEPNSO_ISJ_E10value_typeEPSK_NS1_7vsmem_tEENKUlT_SI_SJ_SK_E_clISD_PsSD_S10_EESH_SX_SI_SJ_SK_EUlSX_E0_NS1_11comp_targetILNS1_3genE0ELNS1_11target_archE4294967295ELNS1_3gpuE0ELNS1_3repE0EEENS1_38merge_mergepath_config_static_selectorELNS0_4arch9wavefront6targetE1EEEvSJ_.has_dyn_sized_stack, 0
	.set _ZN7rocprim17ROCPRIM_400000_NS6detail17trampoline_kernelINS0_14default_configENS1_38merge_sort_block_merge_config_selectorIssEEZZNS1_27merge_sort_block_merge_implIS3_N6thrust23THRUST_200600_302600_NS6detail15normal_iteratorINS8_10device_ptrIsEEEESD_jNS1_19radix_merge_compareILb0ELb0EsNS0_19identity_decomposerEEEEE10hipError_tT0_T1_T2_jT3_P12ihipStream_tbPNSt15iterator_traitsISI_E10value_typeEPNSO_ISJ_E10value_typeEPSK_NS1_7vsmem_tEENKUlT_SI_SJ_SK_E_clISD_PsSD_S10_EESH_SX_SI_SJ_SK_EUlSX_E0_NS1_11comp_targetILNS1_3genE0ELNS1_11target_archE4294967295ELNS1_3gpuE0ELNS1_3repE0EEENS1_38merge_mergepath_config_static_selectorELNS0_4arch9wavefront6targetE1EEEvSJ_.has_recursion, 0
	.set _ZN7rocprim17ROCPRIM_400000_NS6detail17trampoline_kernelINS0_14default_configENS1_38merge_sort_block_merge_config_selectorIssEEZZNS1_27merge_sort_block_merge_implIS3_N6thrust23THRUST_200600_302600_NS6detail15normal_iteratorINS8_10device_ptrIsEEEESD_jNS1_19radix_merge_compareILb0ELb0EsNS0_19identity_decomposerEEEEE10hipError_tT0_T1_T2_jT3_P12ihipStream_tbPNSt15iterator_traitsISI_E10value_typeEPNSO_ISJ_E10value_typeEPSK_NS1_7vsmem_tEENKUlT_SI_SJ_SK_E_clISD_PsSD_S10_EESH_SX_SI_SJ_SK_EUlSX_E0_NS1_11comp_targetILNS1_3genE0ELNS1_11target_archE4294967295ELNS1_3gpuE0ELNS1_3repE0EEENS1_38merge_mergepath_config_static_selectorELNS0_4arch9wavefront6targetE1EEEvSJ_.has_indirect_call, 0
	.section	.AMDGPU.csdata,"",@progbits
; Kernel info:
; codeLenInByte = 5452
; TotalNumSgprs: 36
; NumVgprs: 36
; NumAgprs: 0
; TotalNumVgprs: 36
; ScratchSize: 0
; MemoryBound: 0
; FloatMode: 240
; IeeeMode: 1
; LDSByteSize: 2112 bytes/workgroup (compile time only)
; SGPRBlocks: 4
; VGPRBlocks: 4
; NumSGPRsForWavesPerEU: 36
; NumVGPRsForWavesPerEU: 36
; AccumOffset: 36
; Occupancy: 8
; WaveLimiterHint : 1
; COMPUTE_PGM_RSRC2:SCRATCH_EN: 0
; COMPUTE_PGM_RSRC2:USER_SGPR: 2
; COMPUTE_PGM_RSRC2:TRAP_HANDLER: 0
; COMPUTE_PGM_RSRC2:TGID_X_EN: 1
; COMPUTE_PGM_RSRC2:TGID_Y_EN: 1
; COMPUTE_PGM_RSRC2:TGID_Z_EN: 1
; COMPUTE_PGM_RSRC2:TIDIG_COMP_CNT: 0
; COMPUTE_PGM_RSRC3_GFX90A:ACCUM_OFFSET: 8
; COMPUTE_PGM_RSRC3_GFX90A:TG_SPLIT: 0
	.section	.text._ZN7rocprim17ROCPRIM_400000_NS6detail17trampoline_kernelINS0_14default_configENS1_38merge_sort_block_merge_config_selectorIssEEZZNS1_27merge_sort_block_merge_implIS3_N6thrust23THRUST_200600_302600_NS6detail15normal_iteratorINS8_10device_ptrIsEEEESD_jNS1_19radix_merge_compareILb0ELb0EsNS0_19identity_decomposerEEEEE10hipError_tT0_T1_T2_jT3_P12ihipStream_tbPNSt15iterator_traitsISI_E10value_typeEPNSO_ISJ_E10value_typeEPSK_NS1_7vsmem_tEENKUlT_SI_SJ_SK_E_clISD_PsSD_S10_EESH_SX_SI_SJ_SK_EUlSX_E0_NS1_11comp_targetILNS1_3genE10ELNS1_11target_archE1201ELNS1_3gpuE5ELNS1_3repE0EEENS1_38merge_mergepath_config_static_selectorELNS0_4arch9wavefront6targetE1EEEvSJ_,"axG",@progbits,_ZN7rocprim17ROCPRIM_400000_NS6detail17trampoline_kernelINS0_14default_configENS1_38merge_sort_block_merge_config_selectorIssEEZZNS1_27merge_sort_block_merge_implIS3_N6thrust23THRUST_200600_302600_NS6detail15normal_iteratorINS8_10device_ptrIsEEEESD_jNS1_19radix_merge_compareILb0ELb0EsNS0_19identity_decomposerEEEEE10hipError_tT0_T1_T2_jT3_P12ihipStream_tbPNSt15iterator_traitsISI_E10value_typeEPNSO_ISJ_E10value_typeEPSK_NS1_7vsmem_tEENKUlT_SI_SJ_SK_E_clISD_PsSD_S10_EESH_SX_SI_SJ_SK_EUlSX_E0_NS1_11comp_targetILNS1_3genE10ELNS1_11target_archE1201ELNS1_3gpuE5ELNS1_3repE0EEENS1_38merge_mergepath_config_static_selectorELNS0_4arch9wavefront6targetE1EEEvSJ_,comdat
	.protected	_ZN7rocprim17ROCPRIM_400000_NS6detail17trampoline_kernelINS0_14default_configENS1_38merge_sort_block_merge_config_selectorIssEEZZNS1_27merge_sort_block_merge_implIS3_N6thrust23THRUST_200600_302600_NS6detail15normal_iteratorINS8_10device_ptrIsEEEESD_jNS1_19radix_merge_compareILb0ELb0EsNS0_19identity_decomposerEEEEE10hipError_tT0_T1_T2_jT3_P12ihipStream_tbPNSt15iterator_traitsISI_E10value_typeEPNSO_ISJ_E10value_typeEPSK_NS1_7vsmem_tEENKUlT_SI_SJ_SK_E_clISD_PsSD_S10_EESH_SX_SI_SJ_SK_EUlSX_E0_NS1_11comp_targetILNS1_3genE10ELNS1_11target_archE1201ELNS1_3gpuE5ELNS1_3repE0EEENS1_38merge_mergepath_config_static_selectorELNS0_4arch9wavefront6targetE1EEEvSJ_ ; -- Begin function _ZN7rocprim17ROCPRIM_400000_NS6detail17trampoline_kernelINS0_14default_configENS1_38merge_sort_block_merge_config_selectorIssEEZZNS1_27merge_sort_block_merge_implIS3_N6thrust23THRUST_200600_302600_NS6detail15normal_iteratorINS8_10device_ptrIsEEEESD_jNS1_19radix_merge_compareILb0ELb0EsNS0_19identity_decomposerEEEEE10hipError_tT0_T1_T2_jT3_P12ihipStream_tbPNSt15iterator_traitsISI_E10value_typeEPNSO_ISJ_E10value_typeEPSK_NS1_7vsmem_tEENKUlT_SI_SJ_SK_E_clISD_PsSD_S10_EESH_SX_SI_SJ_SK_EUlSX_E0_NS1_11comp_targetILNS1_3genE10ELNS1_11target_archE1201ELNS1_3gpuE5ELNS1_3repE0EEENS1_38merge_mergepath_config_static_selectorELNS0_4arch9wavefront6targetE1EEEvSJ_
	.globl	_ZN7rocprim17ROCPRIM_400000_NS6detail17trampoline_kernelINS0_14default_configENS1_38merge_sort_block_merge_config_selectorIssEEZZNS1_27merge_sort_block_merge_implIS3_N6thrust23THRUST_200600_302600_NS6detail15normal_iteratorINS8_10device_ptrIsEEEESD_jNS1_19radix_merge_compareILb0ELb0EsNS0_19identity_decomposerEEEEE10hipError_tT0_T1_T2_jT3_P12ihipStream_tbPNSt15iterator_traitsISI_E10value_typeEPNSO_ISJ_E10value_typeEPSK_NS1_7vsmem_tEENKUlT_SI_SJ_SK_E_clISD_PsSD_S10_EESH_SX_SI_SJ_SK_EUlSX_E0_NS1_11comp_targetILNS1_3genE10ELNS1_11target_archE1201ELNS1_3gpuE5ELNS1_3repE0EEENS1_38merge_mergepath_config_static_selectorELNS0_4arch9wavefront6targetE1EEEvSJ_
	.p2align	8
	.type	_ZN7rocprim17ROCPRIM_400000_NS6detail17trampoline_kernelINS0_14default_configENS1_38merge_sort_block_merge_config_selectorIssEEZZNS1_27merge_sort_block_merge_implIS3_N6thrust23THRUST_200600_302600_NS6detail15normal_iteratorINS8_10device_ptrIsEEEESD_jNS1_19radix_merge_compareILb0ELb0EsNS0_19identity_decomposerEEEEE10hipError_tT0_T1_T2_jT3_P12ihipStream_tbPNSt15iterator_traitsISI_E10value_typeEPNSO_ISJ_E10value_typeEPSK_NS1_7vsmem_tEENKUlT_SI_SJ_SK_E_clISD_PsSD_S10_EESH_SX_SI_SJ_SK_EUlSX_E0_NS1_11comp_targetILNS1_3genE10ELNS1_11target_archE1201ELNS1_3gpuE5ELNS1_3repE0EEENS1_38merge_mergepath_config_static_selectorELNS0_4arch9wavefront6targetE1EEEvSJ_,@function
_ZN7rocprim17ROCPRIM_400000_NS6detail17trampoline_kernelINS0_14default_configENS1_38merge_sort_block_merge_config_selectorIssEEZZNS1_27merge_sort_block_merge_implIS3_N6thrust23THRUST_200600_302600_NS6detail15normal_iteratorINS8_10device_ptrIsEEEESD_jNS1_19radix_merge_compareILb0ELb0EsNS0_19identity_decomposerEEEEE10hipError_tT0_T1_T2_jT3_P12ihipStream_tbPNSt15iterator_traitsISI_E10value_typeEPNSO_ISJ_E10value_typeEPSK_NS1_7vsmem_tEENKUlT_SI_SJ_SK_E_clISD_PsSD_S10_EESH_SX_SI_SJ_SK_EUlSX_E0_NS1_11comp_targetILNS1_3genE10ELNS1_11target_archE1201ELNS1_3gpuE5ELNS1_3repE0EEENS1_38merge_mergepath_config_static_selectorELNS0_4arch9wavefront6targetE1EEEvSJ_: ; @_ZN7rocprim17ROCPRIM_400000_NS6detail17trampoline_kernelINS0_14default_configENS1_38merge_sort_block_merge_config_selectorIssEEZZNS1_27merge_sort_block_merge_implIS3_N6thrust23THRUST_200600_302600_NS6detail15normal_iteratorINS8_10device_ptrIsEEEESD_jNS1_19radix_merge_compareILb0ELb0EsNS0_19identity_decomposerEEEEE10hipError_tT0_T1_T2_jT3_P12ihipStream_tbPNSt15iterator_traitsISI_E10value_typeEPNSO_ISJ_E10value_typeEPSK_NS1_7vsmem_tEENKUlT_SI_SJ_SK_E_clISD_PsSD_S10_EESH_SX_SI_SJ_SK_EUlSX_E0_NS1_11comp_targetILNS1_3genE10ELNS1_11target_archE1201ELNS1_3gpuE5ELNS1_3repE0EEENS1_38merge_mergepath_config_static_selectorELNS0_4arch9wavefront6targetE1EEEvSJ_
; %bb.0:
	.section	.rodata,"a",@progbits
	.p2align	6, 0x0
	.amdhsa_kernel _ZN7rocprim17ROCPRIM_400000_NS6detail17trampoline_kernelINS0_14default_configENS1_38merge_sort_block_merge_config_selectorIssEEZZNS1_27merge_sort_block_merge_implIS3_N6thrust23THRUST_200600_302600_NS6detail15normal_iteratorINS8_10device_ptrIsEEEESD_jNS1_19radix_merge_compareILb0ELb0EsNS0_19identity_decomposerEEEEE10hipError_tT0_T1_T2_jT3_P12ihipStream_tbPNSt15iterator_traitsISI_E10value_typeEPNSO_ISJ_E10value_typeEPSK_NS1_7vsmem_tEENKUlT_SI_SJ_SK_E_clISD_PsSD_S10_EESH_SX_SI_SJ_SK_EUlSX_E0_NS1_11comp_targetILNS1_3genE10ELNS1_11target_archE1201ELNS1_3gpuE5ELNS1_3repE0EEENS1_38merge_mergepath_config_static_selectorELNS0_4arch9wavefront6targetE1EEEvSJ_
		.amdhsa_group_segment_fixed_size 0
		.amdhsa_private_segment_fixed_size 0
		.amdhsa_kernarg_size 64
		.amdhsa_user_sgpr_count 2
		.amdhsa_user_sgpr_dispatch_ptr 0
		.amdhsa_user_sgpr_queue_ptr 0
		.amdhsa_user_sgpr_kernarg_segment_ptr 1
		.amdhsa_user_sgpr_dispatch_id 0
		.amdhsa_user_sgpr_kernarg_preload_length 0
		.amdhsa_user_sgpr_kernarg_preload_offset 0
		.amdhsa_user_sgpr_private_segment_size 0
		.amdhsa_uses_dynamic_stack 0
		.amdhsa_enable_private_segment 0
		.amdhsa_system_sgpr_workgroup_id_x 1
		.amdhsa_system_sgpr_workgroup_id_y 0
		.amdhsa_system_sgpr_workgroup_id_z 0
		.amdhsa_system_sgpr_workgroup_info 0
		.amdhsa_system_vgpr_workitem_id 0
		.amdhsa_next_free_vgpr 1
		.amdhsa_next_free_sgpr 0
		.amdhsa_accum_offset 4
		.amdhsa_reserve_vcc 0
		.amdhsa_float_round_mode_32 0
		.amdhsa_float_round_mode_16_64 0
		.amdhsa_float_denorm_mode_32 3
		.amdhsa_float_denorm_mode_16_64 3
		.amdhsa_dx10_clamp 1
		.amdhsa_ieee_mode 1
		.amdhsa_fp16_overflow 0
		.amdhsa_tg_split 0
		.amdhsa_exception_fp_ieee_invalid_op 0
		.amdhsa_exception_fp_denorm_src 0
		.amdhsa_exception_fp_ieee_div_zero 0
		.amdhsa_exception_fp_ieee_overflow 0
		.amdhsa_exception_fp_ieee_underflow 0
		.amdhsa_exception_fp_ieee_inexact 0
		.amdhsa_exception_int_div_zero 0
	.end_amdhsa_kernel
	.section	.text._ZN7rocprim17ROCPRIM_400000_NS6detail17trampoline_kernelINS0_14default_configENS1_38merge_sort_block_merge_config_selectorIssEEZZNS1_27merge_sort_block_merge_implIS3_N6thrust23THRUST_200600_302600_NS6detail15normal_iteratorINS8_10device_ptrIsEEEESD_jNS1_19radix_merge_compareILb0ELb0EsNS0_19identity_decomposerEEEEE10hipError_tT0_T1_T2_jT3_P12ihipStream_tbPNSt15iterator_traitsISI_E10value_typeEPNSO_ISJ_E10value_typeEPSK_NS1_7vsmem_tEENKUlT_SI_SJ_SK_E_clISD_PsSD_S10_EESH_SX_SI_SJ_SK_EUlSX_E0_NS1_11comp_targetILNS1_3genE10ELNS1_11target_archE1201ELNS1_3gpuE5ELNS1_3repE0EEENS1_38merge_mergepath_config_static_selectorELNS0_4arch9wavefront6targetE1EEEvSJ_,"axG",@progbits,_ZN7rocprim17ROCPRIM_400000_NS6detail17trampoline_kernelINS0_14default_configENS1_38merge_sort_block_merge_config_selectorIssEEZZNS1_27merge_sort_block_merge_implIS3_N6thrust23THRUST_200600_302600_NS6detail15normal_iteratorINS8_10device_ptrIsEEEESD_jNS1_19radix_merge_compareILb0ELb0EsNS0_19identity_decomposerEEEEE10hipError_tT0_T1_T2_jT3_P12ihipStream_tbPNSt15iterator_traitsISI_E10value_typeEPNSO_ISJ_E10value_typeEPSK_NS1_7vsmem_tEENKUlT_SI_SJ_SK_E_clISD_PsSD_S10_EESH_SX_SI_SJ_SK_EUlSX_E0_NS1_11comp_targetILNS1_3genE10ELNS1_11target_archE1201ELNS1_3gpuE5ELNS1_3repE0EEENS1_38merge_mergepath_config_static_selectorELNS0_4arch9wavefront6targetE1EEEvSJ_,comdat
.Lfunc_end1543:
	.size	_ZN7rocprim17ROCPRIM_400000_NS6detail17trampoline_kernelINS0_14default_configENS1_38merge_sort_block_merge_config_selectorIssEEZZNS1_27merge_sort_block_merge_implIS3_N6thrust23THRUST_200600_302600_NS6detail15normal_iteratorINS8_10device_ptrIsEEEESD_jNS1_19radix_merge_compareILb0ELb0EsNS0_19identity_decomposerEEEEE10hipError_tT0_T1_T2_jT3_P12ihipStream_tbPNSt15iterator_traitsISI_E10value_typeEPNSO_ISJ_E10value_typeEPSK_NS1_7vsmem_tEENKUlT_SI_SJ_SK_E_clISD_PsSD_S10_EESH_SX_SI_SJ_SK_EUlSX_E0_NS1_11comp_targetILNS1_3genE10ELNS1_11target_archE1201ELNS1_3gpuE5ELNS1_3repE0EEENS1_38merge_mergepath_config_static_selectorELNS0_4arch9wavefront6targetE1EEEvSJ_, .Lfunc_end1543-_ZN7rocprim17ROCPRIM_400000_NS6detail17trampoline_kernelINS0_14default_configENS1_38merge_sort_block_merge_config_selectorIssEEZZNS1_27merge_sort_block_merge_implIS3_N6thrust23THRUST_200600_302600_NS6detail15normal_iteratorINS8_10device_ptrIsEEEESD_jNS1_19radix_merge_compareILb0ELb0EsNS0_19identity_decomposerEEEEE10hipError_tT0_T1_T2_jT3_P12ihipStream_tbPNSt15iterator_traitsISI_E10value_typeEPNSO_ISJ_E10value_typeEPSK_NS1_7vsmem_tEENKUlT_SI_SJ_SK_E_clISD_PsSD_S10_EESH_SX_SI_SJ_SK_EUlSX_E0_NS1_11comp_targetILNS1_3genE10ELNS1_11target_archE1201ELNS1_3gpuE5ELNS1_3repE0EEENS1_38merge_mergepath_config_static_selectorELNS0_4arch9wavefront6targetE1EEEvSJ_
                                        ; -- End function
	.set _ZN7rocprim17ROCPRIM_400000_NS6detail17trampoline_kernelINS0_14default_configENS1_38merge_sort_block_merge_config_selectorIssEEZZNS1_27merge_sort_block_merge_implIS3_N6thrust23THRUST_200600_302600_NS6detail15normal_iteratorINS8_10device_ptrIsEEEESD_jNS1_19radix_merge_compareILb0ELb0EsNS0_19identity_decomposerEEEEE10hipError_tT0_T1_T2_jT3_P12ihipStream_tbPNSt15iterator_traitsISI_E10value_typeEPNSO_ISJ_E10value_typeEPSK_NS1_7vsmem_tEENKUlT_SI_SJ_SK_E_clISD_PsSD_S10_EESH_SX_SI_SJ_SK_EUlSX_E0_NS1_11comp_targetILNS1_3genE10ELNS1_11target_archE1201ELNS1_3gpuE5ELNS1_3repE0EEENS1_38merge_mergepath_config_static_selectorELNS0_4arch9wavefront6targetE1EEEvSJ_.num_vgpr, 0
	.set _ZN7rocprim17ROCPRIM_400000_NS6detail17trampoline_kernelINS0_14default_configENS1_38merge_sort_block_merge_config_selectorIssEEZZNS1_27merge_sort_block_merge_implIS3_N6thrust23THRUST_200600_302600_NS6detail15normal_iteratorINS8_10device_ptrIsEEEESD_jNS1_19radix_merge_compareILb0ELb0EsNS0_19identity_decomposerEEEEE10hipError_tT0_T1_T2_jT3_P12ihipStream_tbPNSt15iterator_traitsISI_E10value_typeEPNSO_ISJ_E10value_typeEPSK_NS1_7vsmem_tEENKUlT_SI_SJ_SK_E_clISD_PsSD_S10_EESH_SX_SI_SJ_SK_EUlSX_E0_NS1_11comp_targetILNS1_3genE10ELNS1_11target_archE1201ELNS1_3gpuE5ELNS1_3repE0EEENS1_38merge_mergepath_config_static_selectorELNS0_4arch9wavefront6targetE1EEEvSJ_.num_agpr, 0
	.set _ZN7rocprim17ROCPRIM_400000_NS6detail17trampoline_kernelINS0_14default_configENS1_38merge_sort_block_merge_config_selectorIssEEZZNS1_27merge_sort_block_merge_implIS3_N6thrust23THRUST_200600_302600_NS6detail15normal_iteratorINS8_10device_ptrIsEEEESD_jNS1_19radix_merge_compareILb0ELb0EsNS0_19identity_decomposerEEEEE10hipError_tT0_T1_T2_jT3_P12ihipStream_tbPNSt15iterator_traitsISI_E10value_typeEPNSO_ISJ_E10value_typeEPSK_NS1_7vsmem_tEENKUlT_SI_SJ_SK_E_clISD_PsSD_S10_EESH_SX_SI_SJ_SK_EUlSX_E0_NS1_11comp_targetILNS1_3genE10ELNS1_11target_archE1201ELNS1_3gpuE5ELNS1_3repE0EEENS1_38merge_mergepath_config_static_selectorELNS0_4arch9wavefront6targetE1EEEvSJ_.numbered_sgpr, 0
	.set _ZN7rocprim17ROCPRIM_400000_NS6detail17trampoline_kernelINS0_14default_configENS1_38merge_sort_block_merge_config_selectorIssEEZZNS1_27merge_sort_block_merge_implIS3_N6thrust23THRUST_200600_302600_NS6detail15normal_iteratorINS8_10device_ptrIsEEEESD_jNS1_19radix_merge_compareILb0ELb0EsNS0_19identity_decomposerEEEEE10hipError_tT0_T1_T2_jT3_P12ihipStream_tbPNSt15iterator_traitsISI_E10value_typeEPNSO_ISJ_E10value_typeEPSK_NS1_7vsmem_tEENKUlT_SI_SJ_SK_E_clISD_PsSD_S10_EESH_SX_SI_SJ_SK_EUlSX_E0_NS1_11comp_targetILNS1_3genE10ELNS1_11target_archE1201ELNS1_3gpuE5ELNS1_3repE0EEENS1_38merge_mergepath_config_static_selectorELNS0_4arch9wavefront6targetE1EEEvSJ_.num_named_barrier, 0
	.set _ZN7rocprim17ROCPRIM_400000_NS6detail17trampoline_kernelINS0_14default_configENS1_38merge_sort_block_merge_config_selectorIssEEZZNS1_27merge_sort_block_merge_implIS3_N6thrust23THRUST_200600_302600_NS6detail15normal_iteratorINS8_10device_ptrIsEEEESD_jNS1_19radix_merge_compareILb0ELb0EsNS0_19identity_decomposerEEEEE10hipError_tT0_T1_T2_jT3_P12ihipStream_tbPNSt15iterator_traitsISI_E10value_typeEPNSO_ISJ_E10value_typeEPSK_NS1_7vsmem_tEENKUlT_SI_SJ_SK_E_clISD_PsSD_S10_EESH_SX_SI_SJ_SK_EUlSX_E0_NS1_11comp_targetILNS1_3genE10ELNS1_11target_archE1201ELNS1_3gpuE5ELNS1_3repE0EEENS1_38merge_mergepath_config_static_selectorELNS0_4arch9wavefront6targetE1EEEvSJ_.private_seg_size, 0
	.set _ZN7rocprim17ROCPRIM_400000_NS6detail17trampoline_kernelINS0_14default_configENS1_38merge_sort_block_merge_config_selectorIssEEZZNS1_27merge_sort_block_merge_implIS3_N6thrust23THRUST_200600_302600_NS6detail15normal_iteratorINS8_10device_ptrIsEEEESD_jNS1_19radix_merge_compareILb0ELb0EsNS0_19identity_decomposerEEEEE10hipError_tT0_T1_T2_jT3_P12ihipStream_tbPNSt15iterator_traitsISI_E10value_typeEPNSO_ISJ_E10value_typeEPSK_NS1_7vsmem_tEENKUlT_SI_SJ_SK_E_clISD_PsSD_S10_EESH_SX_SI_SJ_SK_EUlSX_E0_NS1_11comp_targetILNS1_3genE10ELNS1_11target_archE1201ELNS1_3gpuE5ELNS1_3repE0EEENS1_38merge_mergepath_config_static_selectorELNS0_4arch9wavefront6targetE1EEEvSJ_.uses_vcc, 0
	.set _ZN7rocprim17ROCPRIM_400000_NS6detail17trampoline_kernelINS0_14default_configENS1_38merge_sort_block_merge_config_selectorIssEEZZNS1_27merge_sort_block_merge_implIS3_N6thrust23THRUST_200600_302600_NS6detail15normal_iteratorINS8_10device_ptrIsEEEESD_jNS1_19radix_merge_compareILb0ELb0EsNS0_19identity_decomposerEEEEE10hipError_tT0_T1_T2_jT3_P12ihipStream_tbPNSt15iterator_traitsISI_E10value_typeEPNSO_ISJ_E10value_typeEPSK_NS1_7vsmem_tEENKUlT_SI_SJ_SK_E_clISD_PsSD_S10_EESH_SX_SI_SJ_SK_EUlSX_E0_NS1_11comp_targetILNS1_3genE10ELNS1_11target_archE1201ELNS1_3gpuE5ELNS1_3repE0EEENS1_38merge_mergepath_config_static_selectorELNS0_4arch9wavefront6targetE1EEEvSJ_.uses_flat_scratch, 0
	.set _ZN7rocprim17ROCPRIM_400000_NS6detail17trampoline_kernelINS0_14default_configENS1_38merge_sort_block_merge_config_selectorIssEEZZNS1_27merge_sort_block_merge_implIS3_N6thrust23THRUST_200600_302600_NS6detail15normal_iteratorINS8_10device_ptrIsEEEESD_jNS1_19radix_merge_compareILb0ELb0EsNS0_19identity_decomposerEEEEE10hipError_tT0_T1_T2_jT3_P12ihipStream_tbPNSt15iterator_traitsISI_E10value_typeEPNSO_ISJ_E10value_typeEPSK_NS1_7vsmem_tEENKUlT_SI_SJ_SK_E_clISD_PsSD_S10_EESH_SX_SI_SJ_SK_EUlSX_E0_NS1_11comp_targetILNS1_3genE10ELNS1_11target_archE1201ELNS1_3gpuE5ELNS1_3repE0EEENS1_38merge_mergepath_config_static_selectorELNS0_4arch9wavefront6targetE1EEEvSJ_.has_dyn_sized_stack, 0
	.set _ZN7rocprim17ROCPRIM_400000_NS6detail17trampoline_kernelINS0_14default_configENS1_38merge_sort_block_merge_config_selectorIssEEZZNS1_27merge_sort_block_merge_implIS3_N6thrust23THRUST_200600_302600_NS6detail15normal_iteratorINS8_10device_ptrIsEEEESD_jNS1_19radix_merge_compareILb0ELb0EsNS0_19identity_decomposerEEEEE10hipError_tT0_T1_T2_jT3_P12ihipStream_tbPNSt15iterator_traitsISI_E10value_typeEPNSO_ISJ_E10value_typeEPSK_NS1_7vsmem_tEENKUlT_SI_SJ_SK_E_clISD_PsSD_S10_EESH_SX_SI_SJ_SK_EUlSX_E0_NS1_11comp_targetILNS1_3genE10ELNS1_11target_archE1201ELNS1_3gpuE5ELNS1_3repE0EEENS1_38merge_mergepath_config_static_selectorELNS0_4arch9wavefront6targetE1EEEvSJ_.has_recursion, 0
	.set _ZN7rocprim17ROCPRIM_400000_NS6detail17trampoline_kernelINS0_14default_configENS1_38merge_sort_block_merge_config_selectorIssEEZZNS1_27merge_sort_block_merge_implIS3_N6thrust23THRUST_200600_302600_NS6detail15normal_iteratorINS8_10device_ptrIsEEEESD_jNS1_19radix_merge_compareILb0ELb0EsNS0_19identity_decomposerEEEEE10hipError_tT0_T1_T2_jT3_P12ihipStream_tbPNSt15iterator_traitsISI_E10value_typeEPNSO_ISJ_E10value_typeEPSK_NS1_7vsmem_tEENKUlT_SI_SJ_SK_E_clISD_PsSD_S10_EESH_SX_SI_SJ_SK_EUlSX_E0_NS1_11comp_targetILNS1_3genE10ELNS1_11target_archE1201ELNS1_3gpuE5ELNS1_3repE0EEENS1_38merge_mergepath_config_static_selectorELNS0_4arch9wavefront6targetE1EEEvSJ_.has_indirect_call, 0
	.section	.AMDGPU.csdata,"",@progbits
; Kernel info:
; codeLenInByte = 0
; TotalNumSgprs: 6
; NumVgprs: 0
; NumAgprs: 0
; TotalNumVgprs: 0
; ScratchSize: 0
; MemoryBound: 0
; FloatMode: 240
; IeeeMode: 1
; LDSByteSize: 0 bytes/workgroup (compile time only)
; SGPRBlocks: 0
; VGPRBlocks: 0
; NumSGPRsForWavesPerEU: 6
; NumVGPRsForWavesPerEU: 1
; AccumOffset: 4
; Occupancy: 8
; WaveLimiterHint : 0
; COMPUTE_PGM_RSRC2:SCRATCH_EN: 0
; COMPUTE_PGM_RSRC2:USER_SGPR: 2
; COMPUTE_PGM_RSRC2:TRAP_HANDLER: 0
; COMPUTE_PGM_RSRC2:TGID_X_EN: 1
; COMPUTE_PGM_RSRC2:TGID_Y_EN: 0
; COMPUTE_PGM_RSRC2:TGID_Z_EN: 0
; COMPUTE_PGM_RSRC2:TIDIG_COMP_CNT: 0
; COMPUTE_PGM_RSRC3_GFX90A:ACCUM_OFFSET: 0
; COMPUTE_PGM_RSRC3_GFX90A:TG_SPLIT: 0
	.section	.text._ZN7rocprim17ROCPRIM_400000_NS6detail17trampoline_kernelINS0_14default_configENS1_38merge_sort_block_merge_config_selectorIssEEZZNS1_27merge_sort_block_merge_implIS3_N6thrust23THRUST_200600_302600_NS6detail15normal_iteratorINS8_10device_ptrIsEEEESD_jNS1_19radix_merge_compareILb0ELb0EsNS0_19identity_decomposerEEEEE10hipError_tT0_T1_T2_jT3_P12ihipStream_tbPNSt15iterator_traitsISI_E10value_typeEPNSO_ISJ_E10value_typeEPSK_NS1_7vsmem_tEENKUlT_SI_SJ_SK_E_clISD_PsSD_S10_EESH_SX_SI_SJ_SK_EUlSX_E0_NS1_11comp_targetILNS1_3genE5ELNS1_11target_archE942ELNS1_3gpuE9ELNS1_3repE0EEENS1_38merge_mergepath_config_static_selectorELNS0_4arch9wavefront6targetE1EEEvSJ_,"axG",@progbits,_ZN7rocprim17ROCPRIM_400000_NS6detail17trampoline_kernelINS0_14default_configENS1_38merge_sort_block_merge_config_selectorIssEEZZNS1_27merge_sort_block_merge_implIS3_N6thrust23THRUST_200600_302600_NS6detail15normal_iteratorINS8_10device_ptrIsEEEESD_jNS1_19radix_merge_compareILb0ELb0EsNS0_19identity_decomposerEEEEE10hipError_tT0_T1_T2_jT3_P12ihipStream_tbPNSt15iterator_traitsISI_E10value_typeEPNSO_ISJ_E10value_typeEPSK_NS1_7vsmem_tEENKUlT_SI_SJ_SK_E_clISD_PsSD_S10_EESH_SX_SI_SJ_SK_EUlSX_E0_NS1_11comp_targetILNS1_3genE5ELNS1_11target_archE942ELNS1_3gpuE9ELNS1_3repE0EEENS1_38merge_mergepath_config_static_selectorELNS0_4arch9wavefront6targetE1EEEvSJ_,comdat
	.protected	_ZN7rocprim17ROCPRIM_400000_NS6detail17trampoline_kernelINS0_14default_configENS1_38merge_sort_block_merge_config_selectorIssEEZZNS1_27merge_sort_block_merge_implIS3_N6thrust23THRUST_200600_302600_NS6detail15normal_iteratorINS8_10device_ptrIsEEEESD_jNS1_19radix_merge_compareILb0ELb0EsNS0_19identity_decomposerEEEEE10hipError_tT0_T1_T2_jT3_P12ihipStream_tbPNSt15iterator_traitsISI_E10value_typeEPNSO_ISJ_E10value_typeEPSK_NS1_7vsmem_tEENKUlT_SI_SJ_SK_E_clISD_PsSD_S10_EESH_SX_SI_SJ_SK_EUlSX_E0_NS1_11comp_targetILNS1_3genE5ELNS1_11target_archE942ELNS1_3gpuE9ELNS1_3repE0EEENS1_38merge_mergepath_config_static_selectorELNS0_4arch9wavefront6targetE1EEEvSJ_ ; -- Begin function _ZN7rocprim17ROCPRIM_400000_NS6detail17trampoline_kernelINS0_14default_configENS1_38merge_sort_block_merge_config_selectorIssEEZZNS1_27merge_sort_block_merge_implIS3_N6thrust23THRUST_200600_302600_NS6detail15normal_iteratorINS8_10device_ptrIsEEEESD_jNS1_19radix_merge_compareILb0ELb0EsNS0_19identity_decomposerEEEEE10hipError_tT0_T1_T2_jT3_P12ihipStream_tbPNSt15iterator_traitsISI_E10value_typeEPNSO_ISJ_E10value_typeEPSK_NS1_7vsmem_tEENKUlT_SI_SJ_SK_E_clISD_PsSD_S10_EESH_SX_SI_SJ_SK_EUlSX_E0_NS1_11comp_targetILNS1_3genE5ELNS1_11target_archE942ELNS1_3gpuE9ELNS1_3repE0EEENS1_38merge_mergepath_config_static_selectorELNS0_4arch9wavefront6targetE1EEEvSJ_
	.globl	_ZN7rocprim17ROCPRIM_400000_NS6detail17trampoline_kernelINS0_14default_configENS1_38merge_sort_block_merge_config_selectorIssEEZZNS1_27merge_sort_block_merge_implIS3_N6thrust23THRUST_200600_302600_NS6detail15normal_iteratorINS8_10device_ptrIsEEEESD_jNS1_19radix_merge_compareILb0ELb0EsNS0_19identity_decomposerEEEEE10hipError_tT0_T1_T2_jT3_P12ihipStream_tbPNSt15iterator_traitsISI_E10value_typeEPNSO_ISJ_E10value_typeEPSK_NS1_7vsmem_tEENKUlT_SI_SJ_SK_E_clISD_PsSD_S10_EESH_SX_SI_SJ_SK_EUlSX_E0_NS1_11comp_targetILNS1_3genE5ELNS1_11target_archE942ELNS1_3gpuE9ELNS1_3repE0EEENS1_38merge_mergepath_config_static_selectorELNS0_4arch9wavefront6targetE1EEEvSJ_
	.p2align	8
	.type	_ZN7rocprim17ROCPRIM_400000_NS6detail17trampoline_kernelINS0_14default_configENS1_38merge_sort_block_merge_config_selectorIssEEZZNS1_27merge_sort_block_merge_implIS3_N6thrust23THRUST_200600_302600_NS6detail15normal_iteratorINS8_10device_ptrIsEEEESD_jNS1_19radix_merge_compareILb0ELb0EsNS0_19identity_decomposerEEEEE10hipError_tT0_T1_T2_jT3_P12ihipStream_tbPNSt15iterator_traitsISI_E10value_typeEPNSO_ISJ_E10value_typeEPSK_NS1_7vsmem_tEENKUlT_SI_SJ_SK_E_clISD_PsSD_S10_EESH_SX_SI_SJ_SK_EUlSX_E0_NS1_11comp_targetILNS1_3genE5ELNS1_11target_archE942ELNS1_3gpuE9ELNS1_3repE0EEENS1_38merge_mergepath_config_static_selectorELNS0_4arch9wavefront6targetE1EEEvSJ_,@function
_ZN7rocprim17ROCPRIM_400000_NS6detail17trampoline_kernelINS0_14default_configENS1_38merge_sort_block_merge_config_selectorIssEEZZNS1_27merge_sort_block_merge_implIS3_N6thrust23THRUST_200600_302600_NS6detail15normal_iteratorINS8_10device_ptrIsEEEESD_jNS1_19radix_merge_compareILb0ELb0EsNS0_19identity_decomposerEEEEE10hipError_tT0_T1_T2_jT3_P12ihipStream_tbPNSt15iterator_traitsISI_E10value_typeEPNSO_ISJ_E10value_typeEPSK_NS1_7vsmem_tEENKUlT_SI_SJ_SK_E_clISD_PsSD_S10_EESH_SX_SI_SJ_SK_EUlSX_E0_NS1_11comp_targetILNS1_3genE5ELNS1_11target_archE942ELNS1_3gpuE9ELNS1_3repE0EEENS1_38merge_mergepath_config_static_selectorELNS0_4arch9wavefront6targetE1EEEvSJ_: ; @_ZN7rocprim17ROCPRIM_400000_NS6detail17trampoline_kernelINS0_14default_configENS1_38merge_sort_block_merge_config_selectorIssEEZZNS1_27merge_sort_block_merge_implIS3_N6thrust23THRUST_200600_302600_NS6detail15normal_iteratorINS8_10device_ptrIsEEEESD_jNS1_19radix_merge_compareILb0ELb0EsNS0_19identity_decomposerEEEEE10hipError_tT0_T1_T2_jT3_P12ihipStream_tbPNSt15iterator_traitsISI_E10value_typeEPNSO_ISJ_E10value_typeEPSK_NS1_7vsmem_tEENKUlT_SI_SJ_SK_E_clISD_PsSD_S10_EESH_SX_SI_SJ_SK_EUlSX_E0_NS1_11comp_targetILNS1_3genE5ELNS1_11target_archE942ELNS1_3gpuE9ELNS1_3repE0EEENS1_38merge_mergepath_config_static_selectorELNS0_4arch9wavefront6targetE1EEEvSJ_
; %bb.0:
	.section	.rodata,"a",@progbits
	.p2align	6, 0x0
	.amdhsa_kernel _ZN7rocprim17ROCPRIM_400000_NS6detail17trampoline_kernelINS0_14default_configENS1_38merge_sort_block_merge_config_selectorIssEEZZNS1_27merge_sort_block_merge_implIS3_N6thrust23THRUST_200600_302600_NS6detail15normal_iteratorINS8_10device_ptrIsEEEESD_jNS1_19radix_merge_compareILb0ELb0EsNS0_19identity_decomposerEEEEE10hipError_tT0_T1_T2_jT3_P12ihipStream_tbPNSt15iterator_traitsISI_E10value_typeEPNSO_ISJ_E10value_typeEPSK_NS1_7vsmem_tEENKUlT_SI_SJ_SK_E_clISD_PsSD_S10_EESH_SX_SI_SJ_SK_EUlSX_E0_NS1_11comp_targetILNS1_3genE5ELNS1_11target_archE942ELNS1_3gpuE9ELNS1_3repE0EEENS1_38merge_mergepath_config_static_selectorELNS0_4arch9wavefront6targetE1EEEvSJ_
		.amdhsa_group_segment_fixed_size 0
		.amdhsa_private_segment_fixed_size 0
		.amdhsa_kernarg_size 64
		.amdhsa_user_sgpr_count 2
		.amdhsa_user_sgpr_dispatch_ptr 0
		.amdhsa_user_sgpr_queue_ptr 0
		.amdhsa_user_sgpr_kernarg_segment_ptr 1
		.amdhsa_user_sgpr_dispatch_id 0
		.amdhsa_user_sgpr_kernarg_preload_length 0
		.amdhsa_user_sgpr_kernarg_preload_offset 0
		.amdhsa_user_sgpr_private_segment_size 0
		.amdhsa_uses_dynamic_stack 0
		.amdhsa_enable_private_segment 0
		.amdhsa_system_sgpr_workgroup_id_x 1
		.amdhsa_system_sgpr_workgroup_id_y 0
		.amdhsa_system_sgpr_workgroup_id_z 0
		.amdhsa_system_sgpr_workgroup_info 0
		.amdhsa_system_vgpr_workitem_id 0
		.amdhsa_next_free_vgpr 1
		.amdhsa_next_free_sgpr 0
		.amdhsa_accum_offset 4
		.amdhsa_reserve_vcc 0
		.amdhsa_float_round_mode_32 0
		.amdhsa_float_round_mode_16_64 0
		.amdhsa_float_denorm_mode_32 3
		.amdhsa_float_denorm_mode_16_64 3
		.amdhsa_dx10_clamp 1
		.amdhsa_ieee_mode 1
		.amdhsa_fp16_overflow 0
		.amdhsa_tg_split 0
		.amdhsa_exception_fp_ieee_invalid_op 0
		.amdhsa_exception_fp_denorm_src 0
		.amdhsa_exception_fp_ieee_div_zero 0
		.amdhsa_exception_fp_ieee_overflow 0
		.amdhsa_exception_fp_ieee_underflow 0
		.amdhsa_exception_fp_ieee_inexact 0
		.amdhsa_exception_int_div_zero 0
	.end_amdhsa_kernel
	.section	.text._ZN7rocprim17ROCPRIM_400000_NS6detail17trampoline_kernelINS0_14default_configENS1_38merge_sort_block_merge_config_selectorIssEEZZNS1_27merge_sort_block_merge_implIS3_N6thrust23THRUST_200600_302600_NS6detail15normal_iteratorINS8_10device_ptrIsEEEESD_jNS1_19radix_merge_compareILb0ELb0EsNS0_19identity_decomposerEEEEE10hipError_tT0_T1_T2_jT3_P12ihipStream_tbPNSt15iterator_traitsISI_E10value_typeEPNSO_ISJ_E10value_typeEPSK_NS1_7vsmem_tEENKUlT_SI_SJ_SK_E_clISD_PsSD_S10_EESH_SX_SI_SJ_SK_EUlSX_E0_NS1_11comp_targetILNS1_3genE5ELNS1_11target_archE942ELNS1_3gpuE9ELNS1_3repE0EEENS1_38merge_mergepath_config_static_selectorELNS0_4arch9wavefront6targetE1EEEvSJ_,"axG",@progbits,_ZN7rocprim17ROCPRIM_400000_NS6detail17trampoline_kernelINS0_14default_configENS1_38merge_sort_block_merge_config_selectorIssEEZZNS1_27merge_sort_block_merge_implIS3_N6thrust23THRUST_200600_302600_NS6detail15normal_iteratorINS8_10device_ptrIsEEEESD_jNS1_19radix_merge_compareILb0ELb0EsNS0_19identity_decomposerEEEEE10hipError_tT0_T1_T2_jT3_P12ihipStream_tbPNSt15iterator_traitsISI_E10value_typeEPNSO_ISJ_E10value_typeEPSK_NS1_7vsmem_tEENKUlT_SI_SJ_SK_E_clISD_PsSD_S10_EESH_SX_SI_SJ_SK_EUlSX_E0_NS1_11comp_targetILNS1_3genE5ELNS1_11target_archE942ELNS1_3gpuE9ELNS1_3repE0EEENS1_38merge_mergepath_config_static_selectorELNS0_4arch9wavefront6targetE1EEEvSJ_,comdat
.Lfunc_end1544:
	.size	_ZN7rocprim17ROCPRIM_400000_NS6detail17trampoline_kernelINS0_14default_configENS1_38merge_sort_block_merge_config_selectorIssEEZZNS1_27merge_sort_block_merge_implIS3_N6thrust23THRUST_200600_302600_NS6detail15normal_iteratorINS8_10device_ptrIsEEEESD_jNS1_19radix_merge_compareILb0ELb0EsNS0_19identity_decomposerEEEEE10hipError_tT0_T1_T2_jT3_P12ihipStream_tbPNSt15iterator_traitsISI_E10value_typeEPNSO_ISJ_E10value_typeEPSK_NS1_7vsmem_tEENKUlT_SI_SJ_SK_E_clISD_PsSD_S10_EESH_SX_SI_SJ_SK_EUlSX_E0_NS1_11comp_targetILNS1_3genE5ELNS1_11target_archE942ELNS1_3gpuE9ELNS1_3repE0EEENS1_38merge_mergepath_config_static_selectorELNS0_4arch9wavefront6targetE1EEEvSJ_, .Lfunc_end1544-_ZN7rocprim17ROCPRIM_400000_NS6detail17trampoline_kernelINS0_14default_configENS1_38merge_sort_block_merge_config_selectorIssEEZZNS1_27merge_sort_block_merge_implIS3_N6thrust23THRUST_200600_302600_NS6detail15normal_iteratorINS8_10device_ptrIsEEEESD_jNS1_19radix_merge_compareILb0ELb0EsNS0_19identity_decomposerEEEEE10hipError_tT0_T1_T2_jT3_P12ihipStream_tbPNSt15iterator_traitsISI_E10value_typeEPNSO_ISJ_E10value_typeEPSK_NS1_7vsmem_tEENKUlT_SI_SJ_SK_E_clISD_PsSD_S10_EESH_SX_SI_SJ_SK_EUlSX_E0_NS1_11comp_targetILNS1_3genE5ELNS1_11target_archE942ELNS1_3gpuE9ELNS1_3repE0EEENS1_38merge_mergepath_config_static_selectorELNS0_4arch9wavefront6targetE1EEEvSJ_
                                        ; -- End function
	.set _ZN7rocprim17ROCPRIM_400000_NS6detail17trampoline_kernelINS0_14default_configENS1_38merge_sort_block_merge_config_selectorIssEEZZNS1_27merge_sort_block_merge_implIS3_N6thrust23THRUST_200600_302600_NS6detail15normal_iteratorINS8_10device_ptrIsEEEESD_jNS1_19radix_merge_compareILb0ELb0EsNS0_19identity_decomposerEEEEE10hipError_tT0_T1_T2_jT3_P12ihipStream_tbPNSt15iterator_traitsISI_E10value_typeEPNSO_ISJ_E10value_typeEPSK_NS1_7vsmem_tEENKUlT_SI_SJ_SK_E_clISD_PsSD_S10_EESH_SX_SI_SJ_SK_EUlSX_E0_NS1_11comp_targetILNS1_3genE5ELNS1_11target_archE942ELNS1_3gpuE9ELNS1_3repE0EEENS1_38merge_mergepath_config_static_selectorELNS0_4arch9wavefront6targetE1EEEvSJ_.num_vgpr, 0
	.set _ZN7rocprim17ROCPRIM_400000_NS6detail17trampoline_kernelINS0_14default_configENS1_38merge_sort_block_merge_config_selectorIssEEZZNS1_27merge_sort_block_merge_implIS3_N6thrust23THRUST_200600_302600_NS6detail15normal_iteratorINS8_10device_ptrIsEEEESD_jNS1_19radix_merge_compareILb0ELb0EsNS0_19identity_decomposerEEEEE10hipError_tT0_T1_T2_jT3_P12ihipStream_tbPNSt15iterator_traitsISI_E10value_typeEPNSO_ISJ_E10value_typeEPSK_NS1_7vsmem_tEENKUlT_SI_SJ_SK_E_clISD_PsSD_S10_EESH_SX_SI_SJ_SK_EUlSX_E0_NS1_11comp_targetILNS1_3genE5ELNS1_11target_archE942ELNS1_3gpuE9ELNS1_3repE0EEENS1_38merge_mergepath_config_static_selectorELNS0_4arch9wavefront6targetE1EEEvSJ_.num_agpr, 0
	.set _ZN7rocprim17ROCPRIM_400000_NS6detail17trampoline_kernelINS0_14default_configENS1_38merge_sort_block_merge_config_selectorIssEEZZNS1_27merge_sort_block_merge_implIS3_N6thrust23THRUST_200600_302600_NS6detail15normal_iteratorINS8_10device_ptrIsEEEESD_jNS1_19radix_merge_compareILb0ELb0EsNS0_19identity_decomposerEEEEE10hipError_tT0_T1_T2_jT3_P12ihipStream_tbPNSt15iterator_traitsISI_E10value_typeEPNSO_ISJ_E10value_typeEPSK_NS1_7vsmem_tEENKUlT_SI_SJ_SK_E_clISD_PsSD_S10_EESH_SX_SI_SJ_SK_EUlSX_E0_NS1_11comp_targetILNS1_3genE5ELNS1_11target_archE942ELNS1_3gpuE9ELNS1_3repE0EEENS1_38merge_mergepath_config_static_selectorELNS0_4arch9wavefront6targetE1EEEvSJ_.numbered_sgpr, 0
	.set _ZN7rocprim17ROCPRIM_400000_NS6detail17trampoline_kernelINS0_14default_configENS1_38merge_sort_block_merge_config_selectorIssEEZZNS1_27merge_sort_block_merge_implIS3_N6thrust23THRUST_200600_302600_NS6detail15normal_iteratorINS8_10device_ptrIsEEEESD_jNS1_19radix_merge_compareILb0ELb0EsNS0_19identity_decomposerEEEEE10hipError_tT0_T1_T2_jT3_P12ihipStream_tbPNSt15iterator_traitsISI_E10value_typeEPNSO_ISJ_E10value_typeEPSK_NS1_7vsmem_tEENKUlT_SI_SJ_SK_E_clISD_PsSD_S10_EESH_SX_SI_SJ_SK_EUlSX_E0_NS1_11comp_targetILNS1_3genE5ELNS1_11target_archE942ELNS1_3gpuE9ELNS1_3repE0EEENS1_38merge_mergepath_config_static_selectorELNS0_4arch9wavefront6targetE1EEEvSJ_.num_named_barrier, 0
	.set _ZN7rocprim17ROCPRIM_400000_NS6detail17trampoline_kernelINS0_14default_configENS1_38merge_sort_block_merge_config_selectorIssEEZZNS1_27merge_sort_block_merge_implIS3_N6thrust23THRUST_200600_302600_NS6detail15normal_iteratorINS8_10device_ptrIsEEEESD_jNS1_19radix_merge_compareILb0ELb0EsNS0_19identity_decomposerEEEEE10hipError_tT0_T1_T2_jT3_P12ihipStream_tbPNSt15iterator_traitsISI_E10value_typeEPNSO_ISJ_E10value_typeEPSK_NS1_7vsmem_tEENKUlT_SI_SJ_SK_E_clISD_PsSD_S10_EESH_SX_SI_SJ_SK_EUlSX_E0_NS1_11comp_targetILNS1_3genE5ELNS1_11target_archE942ELNS1_3gpuE9ELNS1_3repE0EEENS1_38merge_mergepath_config_static_selectorELNS0_4arch9wavefront6targetE1EEEvSJ_.private_seg_size, 0
	.set _ZN7rocprim17ROCPRIM_400000_NS6detail17trampoline_kernelINS0_14default_configENS1_38merge_sort_block_merge_config_selectorIssEEZZNS1_27merge_sort_block_merge_implIS3_N6thrust23THRUST_200600_302600_NS6detail15normal_iteratorINS8_10device_ptrIsEEEESD_jNS1_19radix_merge_compareILb0ELb0EsNS0_19identity_decomposerEEEEE10hipError_tT0_T1_T2_jT3_P12ihipStream_tbPNSt15iterator_traitsISI_E10value_typeEPNSO_ISJ_E10value_typeEPSK_NS1_7vsmem_tEENKUlT_SI_SJ_SK_E_clISD_PsSD_S10_EESH_SX_SI_SJ_SK_EUlSX_E0_NS1_11comp_targetILNS1_3genE5ELNS1_11target_archE942ELNS1_3gpuE9ELNS1_3repE0EEENS1_38merge_mergepath_config_static_selectorELNS0_4arch9wavefront6targetE1EEEvSJ_.uses_vcc, 0
	.set _ZN7rocprim17ROCPRIM_400000_NS6detail17trampoline_kernelINS0_14default_configENS1_38merge_sort_block_merge_config_selectorIssEEZZNS1_27merge_sort_block_merge_implIS3_N6thrust23THRUST_200600_302600_NS6detail15normal_iteratorINS8_10device_ptrIsEEEESD_jNS1_19radix_merge_compareILb0ELb0EsNS0_19identity_decomposerEEEEE10hipError_tT0_T1_T2_jT3_P12ihipStream_tbPNSt15iterator_traitsISI_E10value_typeEPNSO_ISJ_E10value_typeEPSK_NS1_7vsmem_tEENKUlT_SI_SJ_SK_E_clISD_PsSD_S10_EESH_SX_SI_SJ_SK_EUlSX_E0_NS1_11comp_targetILNS1_3genE5ELNS1_11target_archE942ELNS1_3gpuE9ELNS1_3repE0EEENS1_38merge_mergepath_config_static_selectorELNS0_4arch9wavefront6targetE1EEEvSJ_.uses_flat_scratch, 0
	.set _ZN7rocprim17ROCPRIM_400000_NS6detail17trampoline_kernelINS0_14default_configENS1_38merge_sort_block_merge_config_selectorIssEEZZNS1_27merge_sort_block_merge_implIS3_N6thrust23THRUST_200600_302600_NS6detail15normal_iteratorINS8_10device_ptrIsEEEESD_jNS1_19radix_merge_compareILb0ELb0EsNS0_19identity_decomposerEEEEE10hipError_tT0_T1_T2_jT3_P12ihipStream_tbPNSt15iterator_traitsISI_E10value_typeEPNSO_ISJ_E10value_typeEPSK_NS1_7vsmem_tEENKUlT_SI_SJ_SK_E_clISD_PsSD_S10_EESH_SX_SI_SJ_SK_EUlSX_E0_NS1_11comp_targetILNS1_3genE5ELNS1_11target_archE942ELNS1_3gpuE9ELNS1_3repE0EEENS1_38merge_mergepath_config_static_selectorELNS0_4arch9wavefront6targetE1EEEvSJ_.has_dyn_sized_stack, 0
	.set _ZN7rocprim17ROCPRIM_400000_NS6detail17trampoline_kernelINS0_14default_configENS1_38merge_sort_block_merge_config_selectorIssEEZZNS1_27merge_sort_block_merge_implIS3_N6thrust23THRUST_200600_302600_NS6detail15normal_iteratorINS8_10device_ptrIsEEEESD_jNS1_19radix_merge_compareILb0ELb0EsNS0_19identity_decomposerEEEEE10hipError_tT0_T1_T2_jT3_P12ihipStream_tbPNSt15iterator_traitsISI_E10value_typeEPNSO_ISJ_E10value_typeEPSK_NS1_7vsmem_tEENKUlT_SI_SJ_SK_E_clISD_PsSD_S10_EESH_SX_SI_SJ_SK_EUlSX_E0_NS1_11comp_targetILNS1_3genE5ELNS1_11target_archE942ELNS1_3gpuE9ELNS1_3repE0EEENS1_38merge_mergepath_config_static_selectorELNS0_4arch9wavefront6targetE1EEEvSJ_.has_recursion, 0
	.set _ZN7rocprim17ROCPRIM_400000_NS6detail17trampoline_kernelINS0_14default_configENS1_38merge_sort_block_merge_config_selectorIssEEZZNS1_27merge_sort_block_merge_implIS3_N6thrust23THRUST_200600_302600_NS6detail15normal_iteratorINS8_10device_ptrIsEEEESD_jNS1_19radix_merge_compareILb0ELb0EsNS0_19identity_decomposerEEEEE10hipError_tT0_T1_T2_jT3_P12ihipStream_tbPNSt15iterator_traitsISI_E10value_typeEPNSO_ISJ_E10value_typeEPSK_NS1_7vsmem_tEENKUlT_SI_SJ_SK_E_clISD_PsSD_S10_EESH_SX_SI_SJ_SK_EUlSX_E0_NS1_11comp_targetILNS1_3genE5ELNS1_11target_archE942ELNS1_3gpuE9ELNS1_3repE0EEENS1_38merge_mergepath_config_static_selectorELNS0_4arch9wavefront6targetE1EEEvSJ_.has_indirect_call, 0
	.section	.AMDGPU.csdata,"",@progbits
; Kernel info:
; codeLenInByte = 0
; TotalNumSgprs: 6
; NumVgprs: 0
; NumAgprs: 0
; TotalNumVgprs: 0
; ScratchSize: 0
; MemoryBound: 0
; FloatMode: 240
; IeeeMode: 1
; LDSByteSize: 0 bytes/workgroup (compile time only)
; SGPRBlocks: 0
; VGPRBlocks: 0
; NumSGPRsForWavesPerEU: 6
; NumVGPRsForWavesPerEU: 1
; AccumOffset: 4
; Occupancy: 8
; WaveLimiterHint : 0
; COMPUTE_PGM_RSRC2:SCRATCH_EN: 0
; COMPUTE_PGM_RSRC2:USER_SGPR: 2
; COMPUTE_PGM_RSRC2:TRAP_HANDLER: 0
; COMPUTE_PGM_RSRC2:TGID_X_EN: 1
; COMPUTE_PGM_RSRC2:TGID_Y_EN: 0
; COMPUTE_PGM_RSRC2:TGID_Z_EN: 0
; COMPUTE_PGM_RSRC2:TIDIG_COMP_CNT: 0
; COMPUTE_PGM_RSRC3_GFX90A:ACCUM_OFFSET: 0
; COMPUTE_PGM_RSRC3_GFX90A:TG_SPLIT: 0
	.section	.text._ZN7rocprim17ROCPRIM_400000_NS6detail17trampoline_kernelINS0_14default_configENS1_38merge_sort_block_merge_config_selectorIssEEZZNS1_27merge_sort_block_merge_implIS3_N6thrust23THRUST_200600_302600_NS6detail15normal_iteratorINS8_10device_ptrIsEEEESD_jNS1_19radix_merge_compareILb0ELb0EsNS0_19identity_decomposerEEEEE10hipError_tT0_T1_T2_jT3_P12ihipStream_tbPNSt15iterator_traitsISI_E10value_typeEPNSO_ISJ_E10value_typeEPSK_NS1_7vsmem_tEENKUlT_SI_SJ_SK_E_clISD_PsSD_S10_EESH_SX_SI_SJ_SK_EUlSX_E0_NS1_11comp_targetILNS1_3genE4ELNS1_11target_archE910ELNS1_3gpuE8ELNS1_3repE0EEENS1_38merge_mergepath_config_static_selectorELNS0_4arch9wavefront6targetE1EEEvSJ_,"axG",@progbits,_ZN7rocprim17ROCPRIM_400000_NS6detail17trampoline_kernelINS0_14default_configENS1_38merge_sort_block_merge_config_selectorIssEEZZNS1_27merge_sort_block_merge_implIS3_N6thrust23THRUST_200600_302600_NS6detail15normal_iteratorINS8_10device_ptrIsEEEESD_jNS1_19radix_merge_compareILb0ELb0EsNS0_19identity_decomposerEEEEE10hipError_tT0_T1_T2_jT3_P12ihipStream_tbPNSt15iterator_traitsISI_E10value_typeEPNSO_ISJ_E10value_typeEPSK_NS1_7vsmem_tEENKUlT_SI_SJ_SK_E_clISD_PsSD_S10_EESH_SX_SI_SJ_SK_EUlSX_E0_NS1_11comp_targetILNS1_3genE4ELNS1_11target_archE910ELNS1_3gpuE8ELNS1_3repE0EEENS1_38merge_mergepath_config_static_selectorELNS0_4arch9wavefront6targetE1EEEvSJ_,comdat
	.protected	_ZN7rocprim17ROCPRIM_400000_NS6detail17trampoline_kernelINS0_14default_configENS1_38merge_sort_block_merge_config_selectorIssEEZZNS1_27merge_sort_block_merge_implIS3_N6thrust23THRUST_200600_302600_NS6detail15normal_iteratorINS8_10device_ptrIsEEEESD_jNS1_19radix_merge_compareILb0ELb0EsNS0_19identity_decomposerEEEEE10hipError_tT0_T1_T2_jT3_P12ihipStream_tbPNSt15iterator_traitsISI_E10value_typeEPNSO_ISJ_E10value_typeEPSK_NS1_7vsmem_tEENKUlT_SI_SJ_SK_E_clISD_PsSD_S10_EESH_SX_SI_SJ_SK_EUlSX_E0_NS1_11comp_targetILNS1_3genE4ELNS1_11target_archE910ELNS1_3gpuE8ELNS1_3repE0EEENS1_38merge_mergepath_config_static_selectorELNS0_4arch9wavefront6targetE1EEEvSJ_ ; -- Begin function _ZN7rocprim17ROCPRIM_400000_NS6detail17trampoline_kernelINS0_14default_configENS1_38merge_sort_block_merge_config_selectorIssEEZZNS1_27merge_sort_block_merge_implIS3_N6thrust23THRUST_200600_302600_NS6detail15normal_iteratorINS8_10device_ptrIsEEEESD_jNS1_19radix_merge_compareILb0ELb0EsNS0_19identity_decomposerEEEEE10hipError_tT0_T1_T2_jT3_P12ihipStream_tbPNSt15iterator_traitsISI_E10value_typeEPNSO_ISJ_E10value_typeEPSK_NS1_7vsmem_tEENKUlT_SI_SJ_SK_E_clISD_PsSD_S10_EESH_SX_SI_SJ_SK_EUlSX_E0_NS1_11comp_targetILNS1_3genE4ELNS1_11target_archE910ELNS1_3gpuE8ELNS1_3repE0EEENS1_38merge_mergepath_config_static_selectorELNS0_4arch9wavefront6targetE1EEEvSJ_
	.globl	_ZN7rocprim17ROCPRIM_400000_NS6detail17trampoline_kernelINS0_14default_configENS1_38merge_sort_block_merge_config_selectorIssEEZZNS1_27merge_sort_block_merge_implIS3_N6thrust23THRUST_200600_302600_NS6detail15normal_iteratorINS8_10device_ptrIsEEEESD_jNS1_19radix_merge_compareILb0ELb0EsNS0_19identity_decomposerEEEEE10hipError_tT0_T1_T2_jT3_P12ihipStream_tbPNSt15iterator_traitsISI_E10value_typeEPNSO_ISJ_E10value_typeEPSK_NS1_7vsmem_tEENKUlT_SI_SJ_SK_E_clISD_PsSD_S10_EESH_SX_SI_SJ_SK_EUlSX_E0_NS1_11comp_targetILNS1_3genE4ELNS1_11target_archE910ELNS1_3gpuE8ELNS1_3repE0EEENS1_38merge_mergepath_config_static_selectorELNS0_4arch9wavefront6targetE1EEEvSJ_
	.p2align	8
	.type	_ZN7rocprim17ROCPRIM_400000_NS6detail17trampoline_kernelINS0_14default_configENS1_38merge_sort_block_merge_config_selectorIssEEZZNS1_27merge_sort_block_merge_implIS3_N6thrust23THRUST_200600_302600_NS6detail15normal_iteratorINS8_10device_ptrIsEEEESD_jNS1_19radix_merge_compareILb0ELb0EsNS0_19identity_decomposerEEEEE10hipError_tT0_T1_T2_jT3_P12ihipStream_tbPNSt15iterator_traitsISI_E10value_typeEPNSO_ISJ_E10value_typeEPSK_NS1_7vsmem_tEENKUlT_SI_SJ_SK_E_clISD_PsSD_S10_EESH_SX_SI_SJ_SK_EUlSX_E0_NS1_11comp_targetILNS1_3genE4ELNS1_11target_archE910ELNS1_3gpuE8ELNS1_3repE0EEENS1_38merge_mergepath_config_static_selectorELNS0_4arch9wavefront6targetE1EEEvSJ_,@function
_ZN7rocprim17ROCPRIM_400000_NS6detail17trampoline_kernelINS0_14default_configENS1_38merge_sort_block_merge_config_selectorIssEEZZNS1_27merge_sort_block_merge_implIS3_N6thrust23THRUST_200600_302600_NS6detail15normal_iteratorINS8_10device_ptrIsEEEESD_jNS1_19radix_merge_compareILb0ELb0EsNS0_19identity_decomposerEEEEE10hipError_tT0_T1_T2_jT3_P12ihipStream_tbPNSt15iterator_traitsISI_E10value_typeEPNSO_ISJ_E10value_typeEPSK_NS1_7vsmem_tEENKUlT_SI_SJ_SK_E_clISD_PsSD_S10_EESH_SX_SI_SJ_SK_EUlSX_E0_NS1_11comp_targetILNS1_3genE4ELNS1_11target_archE910ELNS1_3gpuE8ELNS1_3repE0EEENS1_38merge_mergepath_config_static_selectorELNS0_4arch9wavefront6targetE1EEEvSJ_: ; @_ZN7rocprim17ROCPRIM_400000_NS6detail17trampoline_kernelINS0_14default_configENS1_38merge_sort_block_merge_config_selectorIssEEZZNS1_27merge_sort_block_merge_implIS3_N6thrust23THRUST_200600_302600_NS6detail15normal_iteratorINS8_10device_ptrIsEEEESD_jNS1_19radix_merge_compareILb0ELb0EsNS0_19identity_decomposerEEEEE10hipError_tT0_T1_T2_jT3_P12ihipStream_tbPNSt15iterator_traitsISI_E10value_typeEPNSO_ISJ_E10value_typeEPSK_NS1_7vsmem_tEENKUlT_SI_SJ_SK_E_clISD_PsSD_S10_EESH_SX_SI_SJ_SK_EUlSX_E0_NS1_11comp_targetILNS1_3genE4ELNS1_11target_archE910ELNS1_3gpuE8ELNS1_3repE0EEENS1_38merge_mergepath_config_static_selectorELNS0_4arch9wavefront6targetE1EEEvSJ_
; %bb.0:
	.section	.rodata,"a",@progbits
	.p2align	6, 0x0
	.amdhsa_kernel _ZN7rocprim17ROCPRIM_400000_NS6detail17trampoline_kernelINS0_14default_configENS1_38merge_sort_block_merge_config_selectorIssEEZZNS1_27merge_sort_block_merge_implIS3_N6thrust23THRUST_200600_302600_NS6detail15normal_iteratorINS8_10device_ptrIsEEEESD_jNS1_19radix_merge_compareILb0ELb0EsNS0_19identity_decomposerEEEEE10hipError_tT0_T1_T2_jT3_P12ihipStream_tbPNSt15iterator_traitsISI_E10value_typeEPNSO_ISJ_E10value_typeEPSK_NS1_7vsmem_tEENKUlT_SI_SJ_SK_E_clISD_PsSD_S10_EESH_SX_SI_SJ_SK_EUlSX_E0_NS1_11comp_targetILNS1_3genE4ELNS1_11target_archE910ELNS1_3gpuE8ELNS1_3repE0EEENS1_38merge_mergepath_config_static_selectorELNS0_4arch9wavefront6targetE1EEEvSJ_
		.amdhsa_group_segment_fixed_size 0
		.amdhsa_private_segment_fixed_size 0
		.amdhsa_kernarg_size 64
		.amdhsa_user_sgpr_count 2
		.amdhsa_user_sgpr_dispatch_ptr 0
		.amdhsa_user_sgpr_queue_ptr 0
		.amdhsa_user_sgpr_kernarg_segment_ptr 1
		.amdhsa_user_sgpr_dispatch_id 0
		.amdhsa_user_sgpr_kernarg_preload_length 0
		.amdhsa_user_sgpr_kernarg_preload_offset 0
		.amdhsa_user_sgpr_private_segment_size 0
		.amdhsa_uses_dynamic_stack 0
		.amdhsa_enable_private_segment 0
		.amdhsa_system_sgpr_workgroup_id_x 1
		.amdhsa_system_sgpr_workgroup_id_y 0
		.amdhsa_system_sgpr_workgroup_id_z 0
		.amdhsa_system_sgpr_workgroup_info 0
		.amdhsa_system_vgpr_workitem_id 0
		.amdhsa_next_free_vgpr 1
		.amdhsa_next_free_sgpr 0
		.amdhsa_accum_offset 4
		.amdhsa_reserve_vcc 0
		.amdhsa_float_round_mode_32 0
		.amdhsa_float_round_mode_16_64 0
		.amdhsa_float_denorm_mode_32 3
		.amdhsa_float_denorm_mode_16_64 3
		.amdhsa_dx10_clamp 1
		.amdhsa_ieee_mode 1
		.amdhsa_fp16_overflow 0
		.amdhsa_tg_split 0
		.amdhsa_exception_fp_ieee_invalid_op 0
		.amdhsa_exception_fp_denorm_src 0
		.amdhsa_exception_fp_ieee_div_zero 0
		.amdhsa_exception_fp_ieee_overflow 0
		.amdhsa_exception_fp_ieee_underflow 0
		.amdhsa_exception_fp_ieee_inexact 0
		.amdhsa_exception_int_div_zero 0
	.end_amdhsa_kernel
	.section	.text._ZN7rocprim17ROCPRIM_400000_NS6detail17trampoline_kernelINS0_14default_configENS1_38merge_sort_block_merge_config_selectorIssEEZZNS1_27merge_sort_block_merge_implIS3_N6thrust23THRUST_200600_302600_NS6detail15normal_iteratorINS8_10device_ptrIsEEEESD_jNS1_19radix_merge_compareILb0ELb0EsNS0_19identity_decomposerEEEEE10hipError_tT0_T1_T2_jT3_P12ihipStream_tbPNSt15iterator_traitsISI_E10value_typeEPNSO_ISJ_E10value_typeEPSK_NS1_7vsmem_tEENKUlT_SI_SJ_SK_E_clISD_PsSD_S10_EESH_SX_SI_SJ_SK_EUlSX_E0_NS1_11comp_targetILNS1_3genE4ELNS1_11target_archE910ELNS1_3gpuE8ELNS1_3repE0EEENS1_38merge_mergepath_config_static_selectorELNS0_4arch9wavefront6targetE1EEEvSJ_,"axG",@progbits,_ZN7rocprim17ROCPRIM_400000_NS6detail17trampoline_kernelINS0_14default_configENS1_38merge_sort_block_merge_config_selectorIssEEZZNS1_27merge_sort_block_merge_implIS3_N6thrust23THRUST_200600_302600_NS6detail15normal_iteratorINS8_10device_ptrIsEEEESD_jNS1_19radix_merge_compareILb0ELb0EsNS0_19identity_decomposerEEEEE10hipError_tT0_T1_T2_jT3_P12ihipStream_tbPNSt15iterator_traitsISI_E10value_typeEPNSO_ISJ_E10value_typeEPSK_NS1_7vsmem_tEENKUlT_SI_SJ_SK_E_clISD_PsSD_S10_EESH_SX_SI_SJ_SK_EUlSX_E0_NS1_11comp_targetILNS1_3genE4ELNS1_11target_archE910ELNS1_3gpuE8ELNS1_3repE0EEENS1_38merge_mergepath_config_static_selectorELNS0_4arch9wavefront6targetE1EEEvSJ_,comdat
.Lfunc_end1545:
	.size	_ZN7rocprim17ROCPRIM_400000_NS6detail17trampoline_kernelINS0_14default_configENS1_38merge_sort_block_merge_config_selectorIssEEZZNS1_27merge_sort_block_merge_implIS3_N6thrust23THRUST_200600_302600_NS6detail15normal_iteratorINS8_10device_ptrIsEEEESD_jNS1_19radix_merge_compareILb0ELb0EsNS0_19identity_decomposerEEEEE10hipError_tT0_T1_T2_jT3_P12ihipStream_tbPNSt15iterator_traitsISI_E10value_typeEPNSO_ISJ_E10value_typeEPSK_NS1_7vsmem_tEENKUlT_SI_SJ_SK_E_clISD_PsSD_S10_EESH_SX_SI_SJ_SK_EUlSX_E0_NS1_11comp_targetILNS1_3genE4ELNS1_11target_archE910ELNS1_3gpuE8ELNS1_3repE0EEENS1_38merge_mergepath_config_static_selectorELNS0_4arch9wavefront6targetE1EEEvSJ_, .Lfunc_end1545-_ZN7rocprim17ROCPRIM_400000_NS6detail17trampoline_kernelINS0_14default_configENS1_38merge_sort_block_merge_config_selectorIssEEZZNS1_27merge_sort_block_merge_implIS3_N6thrust23THRUST_200600_302600_NS6detail15normal_iteratorINS8_10device_ptrIsEEEESD_jNS1_19radix_merge_compareILb0ELb0EsNS0_19identity_decomposerEEEEE10hipError_tT0_T1_T2_jT3_P12ihipStream_tbPNSt15iterator_traitsISI_E10value_typeEPNSO_ISJ_E10value_typeEPSK_NS1_7vsmem_tEENKUlT_SI_SJ_SK_E_clISD_PsSD_S10_EESH_SX_SI_SJ_SK_EUlSX_E0_NS1_11comp_targetILNS1_3genE4ELNS1_11target_archE910ELNS1_3gpuE8ELNS1_3repE0EEENS1_38merge_mergepath_config_static_selectorELNS0_4arch9wavefront6targetE1EEEvSJ_
                                        ; -- End function
	.set _ZN7rocprim17ROCPRIM_400000_NS6detail17trampoline_kernelINS0_14default_configENS1_38merge_sort_block_merge_config_selectorIssEEZZNS1_27merge_sort_block_merge_implIS3_N6thrust23THRUST_200600_302600_NS6detail15normal_iteratorINS8_10device_ptrIsEEEESD_jNS1_19radix_merge_compareILb0ELb0EsNS0_19identity_decomposerEEEEE10hipError_tT0_T1_T2_jT3_P12ihipStream_tbPNSt15iterator_traitsISI_E10value_typeEPNSO_ISJ_E10value_typeEPSK_NS1_7vsmem_tEENKUlT_SI_SJ_SK_E_clISD_PsSD_S10_EESH_SX_SI_SJ_SK_EUlSX_E0_NS1_11comp_targetILNS1_3genE4ELNS1_11target_archE910ELNS1_3gpuE8ELNS1_3repE0EEENS1_38merge_mergepath_config_static_selectorELNS0_4arch9wavefront6targetE1EEEvSJ_.num_vgpr, 0
	.set _ZN7rocprim17ROCPRIM_400000_NS6detail17trampoline_kernelINS0_14default_configENS1_38merge_sort_block_merge_config_selectorIssEEZZNS1_27merge_sort_block_merge_implIS3_N6thrust23THRUST_200600_302600_NS6detail15normal_iteratorINS8_10device_ptrIsEEEESD_jNS1_19radix_merge_compareILb0ELb0EsNS0_19identity_decomposerEEEEE10hipError_tT0_T1_T2_jT3_P12ihipStream_tbPNSt15iterator_traitsISI_E10value_typeEPNSO_ISJ_E10value_typeEPSK_NS1_7vsmem_tEENKUlT_SI_SJ_SK_E_clISD_PsSD_S10_EESH_SX_SI_SJ_SK_EUlSX_E0_NS1_11comp_targetILNS1_3genE4ELNS1_11target_archE910ELNS1_3gpuE8ELNS1_3repE0EEENS1_38merge_mergepath_config_static_selectorELNS0_4arch9wavefront6targetE1EEEvSJ_.num_agpr, 0
	.set _ZN7rocprim17ROCPRIM_400000_NS6detail17trampoline_kernelINS0_14default_configENS1_38merge_sort_block_merge_config_selectorIssEEZZNS1_27merge_sort_block_merge_implIS3_N6thrust23THRUST_200600_302600_NS6detail15normal_iteratorINS8_10device_ptrIsEEEESD_jNS1_19radix_merge_compareILb0ELb0EsNS0_19identity_decomposerEEEEE10hipError_tT0_T1_T2_jT3_P12ihipStream_tbPNSt15iterator_traitsISI_E10value_typeEPNSO_ISJ_E10value_typeEPSK_NS1_7vsmem_tEENKUlT_SI_SJ_SK_E_clISD_PsSD_S10_EESH_SX_SI_SJ_SK_EUlSX_E0_NS1_11comp_targetILNS1_3genE4ELNS1_11target_archE910ELNS1_3gpuE8ELNS1_3repE0EEENS1_38merge_mergepath_config_static_selectorELNS0_4arch9wavefront6targetE1EEEvSJ_.numbered_sgpr, 0
	.set _ZN7rocprim17ROCPRIM_400000_NS6detail17trampoline_kernelINS0_14default_configENS1_38merge_sort_block_merge_config_selectorIssEEZZNS1_27merge_sort_block_merge_implIS3_N6thrust23THRUST_200600_302600_NS6detail15normal_iteratorINS8_10device_ptrIsEEEESD_jNS1_19radix_merge_compareILb0ELb0EsNS0_19identity_decomposerEEEEE10hipError_tT0_T1_T2_jT3_P12ihipStream_tbPNSt15iterator_traitsISI_E10value_typeEPNSO_ISJ_E10value_typeEPSK_NS1_7vsmem_tEENKUlT_SI_SJ_SK_E_clISD_PsSD_S10_EESH_SX_SI_SJ_SK_EUlSX_E0_NS1_11comp_targetILNS1_3genE4ELNS1_11target_archE910ELNS1_3gpuE8ELNS1_3repE0EEENS1_38merge_mergepath_config_static_selectorELNS0_4arch9wavefront6targetE1EEEvSJ_.num_named_barrier, 0
	.set _ZN7rocprim17ROCPRIM_400000_NS6detail17trampoline_kernelINS0_14default_configENS1_38merge_sort_block_merge_config_selectorIssEEZZNS1_27merge_sort_block_merge_implIS3_N6thrust23THRUST_200600_302600_NS6detail15normal_iteratorINS8_10device_ptrIsEEEESD_jNS1_19radix_merge_compareILb0ELb0EsNS0_19identity_decomposerEEEEE10hipError_tT0_T1_T2_jT3_P12ihipStream_tbPNSt15iterator_traitsISI_E10value_typeEPNSO_ISJ_E10value_typeEPSK_NS1_7vsmem_tEENKUlT_SI_SJ_SK_E_clISD_PsSD_S10_EESH_SX_SI_SJ_SK_EUlSX_E0_NS1_11comp_targetILNS1_3genE4ELNS1_11target_archE910ELNS1_3gpuE8ELNS1_3repE0EEENS1_38merge_mergepath_config_static_selectorELNS0_4arch9wavefront6targetE1EEEvSJ_.private_seg_size, 0
	.set _ZN7rocprim17ROCPRIM_400000_NS6detail17trampoline_kernelINS0_14default_configENS1_38merge_sort_block_merge_config_selectorIssEEZZNS1_27merge_sort_block_merge_implIS3_N6thrust23THRUST_200600_302600_NS6detail15normal_iteratorINS8_10device_ptrIsEEEESD_jNS1_19radix_merge_compareILb0ELb0EsNS0_19identity_decomposerEEEEE10hipError_tT0_T1_T2_jT3_P12ihipStream_tbPNSt15iterator_traitsISI_E10value_typeEPNSO_ISJ_E10value_typeEPSK_NS1_7vsmem_tEENKUlT_SI_SJ_SK_E_clISD_PsSD_S10_EESH_SX_SI_SJ_SK_EUlSX_E0_NS1_11comp_targetILNS1_3genE4ELNS1_11target_archE910ELNS1_3gpuE8ELNS1_3repE0EEENS1_38merge_mergepath_config_static_selectorELNS0_4arch9wavefront6targetE1EEEvSJ_.uses_vcc, 0
	.set _ZN7rocprim17ROCPRIM_400000_NS6detail17trampoline_kernelINS0_14default_configENS1_38merge_sort_block_merge_config_selectorIssEEZZNS1_27merge_sort_block_merge_implIS3_N6thrust23THRUST_200600_302600_NS6detail15normal_iteratorINS8_10device_ptrIsEEEESD_jNS1_19radix_merge_compareILb0ELb0EsNS0_19identity_decomposerEEEEE10hipError_tT0_T1_T2_jT3_P12ihipStream_tbPNSt15iterator_traitsISI_E10value_typeEPNSO_ISJ_E10value_typeEPSK_NS1_7vsmem_tEENKUlT_SI_SJ_SK_E_clISD_PsSD_S10_EESH_SX_SI_SJ_SK_EUlSX_E0_NS1_11comp_targetILNS1_3genE4ELNS1_11target_archE910ELNS1_3gpuE8ELNS1_3repE0EEENS1_38merge_mergepath_config_static_selectorELNS0_4arch9wavefront6targetE1EEEvSJ_.uses_flat_scratch, 0
	.set _ZN7rocprim17ROCPRIM_400000_NS6detail17trampoline_kernelINS0_14default_configENS1_38merge_sort_block_merge_config_selectorIssEEZZNS1_27merge_sort_block_merge_implIS3_N6thrust23THRUST_200600_302600_NS6detail15normal_iteratorINS8_10device_ptrIsEEEESD_jNS1_19radix_merge_compareILb0ELb0EsNS0_19identity_decomposerEEEEE10hipError_tT0_T1_T2_jT3_P12ihipStream_tbPNSt15iterator_traitsISI_E10value_typeEPNSO_ISJ_E10value_typeEPSK_NS1_7vsmem_tEENKUlT_SI_SJ_SK_E_clISD_PsSD_S10_EESH_SX_SI_SJ_SK_EUlSX_E0_NS1_11comp_targetILNS1_3genE4ELNS1_11target_archE910ELNS1_3gpuE8ELNS1_3repE0EEENS1_38merge_mergepath_config_static_selectorELNS0_4arch9wavefront6targetE1EEEvSJ_.has_dyn_sized_stack, 0
	.set _ZN7rocprim17ROCPRIM_400000_NS6detail17trampoline_kernelINS0_14default_configENS1_38merge_sort_block_merge_config_selectorIssEEZZNS1_27merge_sort_block_merge_implIS3_N6thrust23THRUST_200600_302600_NS6detail15normal_iteratorINS8_10device_ptrIsEEEESD_jNS1_19radix_merge_compareILb0ELb0EsNS0_19identity_decomposerEEEEE10hipError_tT0_T1_T2_jT3_P12ihipStream_tbPNSt15iterator_traitsISI_E10value_typeEPNSO_ISJ_E10value_typeEPSK_NS1_7vsmem_tEENKUlT_SI_SJ_SK_E_clISD_PsSD_S10_EESH_SX_SI_SJ_SK_EUlSX_E0_NS1_11comp_targetILNS1_3genE4ELNS1_11target_archE910ELNS1_3gpuE8ELNS1_3repE0EEENS1_38merge_mergepath_config_static_selectorELNS0_4arch9wavefront6targetE1EEEvSJ_.has_recursion, 0
	.set _ZN7rocprim17ROCPRIM_400000_NS6detail17trampoline_kernelINS0_14default_configENS1_38merge_sort_block_merge_config_selectorIssEEZZNS1_27merge_sort_block_merge_implIS3_N6thrust23THRUST_200600_302600_NS6detail15normal_iteratorINS8_10device_ptrIsEEEESD_jNS1_19radix_merge_compareILb0ELb0EsNS0_19identity_decomposerEEEEE10hipError_tT0_T1_T2_jT3_P12ihipStream_tbPNSt15iterator_traitsISI_E10value_typeEPNSO_ISJ_E10value_typeEPSK_NS1_7vsmem_tEENKUlT_SI_SJ_SK_E_clISD_PsSD_S10_EESH_SX_SI_SJ_SK_EUlSX_E0_NS1_11comp_targetILNS1_3genE4ELNS1_11target_archE910ELNS1_3gpuE8ELNS1_3repE0EEENS1_38merge_mergepath_config_static_selectorELNS0_4arch9wavefront6targetE1EEEvSJ_.has_indirect_call, 0
	.section	.AMDGPU.csdata,"",@progbits
; Kernel info:
; codeLenInByte = 0
; TotalNumSgprs: 6
; NumVgprs: 0
; NumAgprs: 0
; TotalNumVgprs: 0
; ScratchSize: 0
; MemoryBound: 0
; FloatMode: 240
; IeeeMode: 1
; LDSByteSize: 0 bytes/workgroup (compile time only)
; SGPRBlocks: 0
; VGPRBlocks: 0
; NumSGPRsForWavesPerEU: 6
; NumVGPRsForWavesPerEU: 1
; AccumOffset: 4
; Occupancy: 8
; WaveLimiterHint : 0
; COMPUTE_PGM_RSRC2:SCRATCH_EN: 0
; COMPUTE_PGM_RSRC2:USER_SGPR: 2
; COMPUTE_PGM_RSRC2:TRAP_HANDLER: 0
; COMPUTE_PGM_RSRC2:TGID_X_EN: 1
; COMPUTE_PGM_RSRC2:TGID_Y_EN: 0
; COMPUTE_PGM_RSRC2:TGID_Z_EN: 0
; COMPUTE_PGM_RSRC2:TIDIG_COMP_CNT: 0
; COMPUTE_PGM_RSRC3_GFX90A:ACCUM_OFFSET: 0
; COMPUTE_PGM_RSRC3_GFX90A:TG_SPLIT: 0
	.section	.text._ZN7rocprim17ROCPRIM_400000_NS6detail17trampoline_kernelINS0_14default_configENS1_38merge_sort_block_merge_config_selectorIssEEZZNS1_27merge_sort_block_merge_implIS3_N6thrust23THRUST_200600_302600_NS6detail15normal_iteratorINS8_10device_ptrIsEEEESD_jNS1_19radix_merge_compareILb0ELb0EsNS0_19identity_decomposerEEEEE10hipError_tT0_T1_T2_jT3_P12ihipStream_tbPNSt15iterator_traitsISI_E10value_typeEPNSO_ISJ_E10value_typeEPSK_NS1_7vsmem_tEENKUlT_SI_SJ_SK_E_clISD_PsSD_S10_EESH_SX_SI_SJ_SK_EUlSX_E0_NS1_11comp_targetILNS1_3genE3ELNS1_11target_archE908ELNS1_3gpuE7ELNS1_3repE0EEENS1_38merge_mergepath_config_static_selectorELNS0_4arch9wavefront6targetE1EEEvSJ_,"axG",@progbits,_ZN7rocprim17ROCPRIM_400000_NS6detail17trampoline_kernelINS0_14default_configENS1_38merge_sort_block_merge_config_selectorIssEEZZNS1_27merge_sort_block_merge_implIS3_N6thrust23THRUST_200600_302600_NS6detail15normal_iteratorINS8_10device_ptrIsEEEESD_jNS1_19radix_merge_compareILb0ELb0EsNS0_19identity_decomposerEEEEE10hipError_tT0_T1_T2_jT3_P12ihipStream_tbPNSt15iterator_traitsISI_E10value_typeEPNSO_ISJ_E10value_typeEPSK_NS1_7vsmem_tEENKUlT_SI_SJ_SK_E_clISD_PsSD_S10_EESH_SX_SI_SJ_SK_EUlSX_E0_NS1_11comp_targetILNS1_3genE3ELNS1_11target_archE908ELNS1_3gpuE7ELNS1_3repE0EEENS1_38merge_mergepath_config_static_selectorELNS0_4arch9wavefront6targetE1EEEvSJ_,comdat
	.protected	_ZN7rocprim17ROCPRIM_400000_NS6detail17trampoline_kernelINS0_14default_configENS1_38merge_sort_block_merge_config_selectorIssEEZZNS1_27merge_sort_block_merge_implIS3_N6thrust23THRUST_200600_302600_NS6detail15normal_iteratorINS8_10device_ptrIsEEEESD_jNS1_19radix_merge_compareILb0ELb0EsNS0_19identity_decomposerEEEEE10hipError_tT0_T1_T2_jT3_P12ihipStream_tbPNSt15iterator_traitsISI_E10value_typeEPNSO_ISJ_E10value_typeEPSK_NS1_7vsmem_tEENKUlT_SI_SJ_SK_E_clISD_PsSD_S10_EESH_SX_SI_SJ_SK_EUlSX_E0_NS1_11comp_targetILNS1_3genE3ELNS1_11target_archE908ELNS1_3gpuE7ELNS1_3repE0EEENS1_38merge_mergepath_config_static_selectorELNS0_4arch9wavefront6targetE1EEEvSJ_ ; -- Begin function _ZN7rocprim17ROCPRIM_400000_NS6detail17trampoline_kernelINS0_14default_configENS1_38merge_sort_block_merge_config_selectorIssEEZZNS1_27merge_sort_block_merge_implIS3_N6thrust23THRUST_200600_302600_NS6detail15normal_iteratorINS8_10device_ptrIsEEEESD_jNS1_19radix_merge_compareILb0ELb0EsNS0_19identity_decomposerEEEEE10hipError_tT0_T1_T2_jT3_P12ihipStream_tbPNSt15iterator_traitsISI_E10value_typeEPNSO_ISJ_E10value_typeEPSK_NS1_7vsmem_tEENKUlT_SI_SJ_SK_E_clISD_PsSD_S10_EESH_SX_SI_SJ_SK_EUlSX_E0_NS1_11comp_targetILNS1_3genE3ELNS1_11target_archE908ELNS1_3gpuE7ELNS1_3repE0EEENS1_38merge_mergepath_config_static_selectorELNS0_4arch9wavefront6targetE1EEEvSJ_
	.globl	_ZN7rocprim17ROCPRIM_400000_NS6detail17trampoline_kernelINS0_14default_configENS1_38merge_sort_block_merge_config_selectorIssEEZZNS1_27merge_sort_block_merge_implIS3_N6thrust23THRUST_200600_302600_NS6detail15normal_iteratorINS8_10device_ptrIsEEEESD_jNS1_19radix_merge_compareILb0ELb0EsNS0_19identity_decomposerEEEEE10hipError_tT0_T1_T2_jT3_P12ihipStream_tbPNSt15iterator_traitsISI_E10value_typeEPNSO_ISJ_E10value_typeEPSK_NS1_7vsmem_tEENKUlT_SI_SJ_SK_E_clISD_PsSD_S10_EESH_SX_SI_SJ_SK_EUlSX_E0_NS1_11comp_targetILNS1_3genE3ELNS1_11target_archE908ELNS1_3gpuE7ELNS1_3repE0EEENS1_38merge_mergepath_config_static_selectorELNS0_4arch9wavefront6targetE1EEEvSJ_
	.p2align	8
	.type	_ZN7rocprim17ROCPRIM_400000_NS6detail17trampoline_kernelINS0_14default_configENS1_38merge_sort_block_merge_config_selectorIssEEZZNS1_27merge_sort_block_merge_implIS3_N6thrust23THRUST_200600_302600_NS6detail15normal_iteratorINS8_10device_ptrIsEEEESD_jNS1_19radix_merge_compareILb0ELb0EsNS0_19identity_decomposerEEEEE10hipError_tT0_T1_T2_jT3_P12ihipStream_tbPNSt15iterator_traitsISI_E10value_typeEPNSO_ISJ_E10value_typeEPSK_NS1_7vsmem_tEENKUlT_SI_SJ_SK_E_clISD_PsSD_S10_EESH_SX_SI_SJ_SK_EUlSX_E0_NS1_11comp_targetILNS1_3genE3ELNS1_11target_archE908ELNS1_3gpuE7ELNS1_3repE0EEENS1_38merge_mergepath_config_static_selectorELNS0_4arch9wavefront6targetE1EEEvSJ_,@function
_ZN7rocprim17ROCPRIM_400000_NS6detail17trampoline_kernelINS0_14default_configENS1_38merge_sort_block_merge_config_selectorIssEEZZNS1_27merge_sort_block_merge_implIS3_N6thrust23THRUST_200600_302600_NS6detail15normal_iteratorINS8_10device_ptrIsEEEESD_jNS1_19radix_merge_compareILb0ELb0EsNS0_19identity_decomposerEEEEE10hipError_tT0_T1_T2_jT3_P12ihipStream_tbPNSt15iterator_traitsISI_E10value_typeEPNSO_ISJ_E10value_typeEPSK_NS1_7vsmem_tEENKUlT_SI_SJ_SK_E_clISD_PsSD_S10_EESH_SX_SI_SJ_SK_EUlSX_E0_NS1_11comp_targetILNS1_3genE3ELNS1_11target_archE908ELNS1_3gpuE7ELNS1_3repE0EEENS1_38merge_mergepath_config_static_selectorELNS0_4arch9wavefront6targetE1EEEvSJ_: ; @_ZN7rocprim17ROCPRIM_400000_NS6detail17trampoline_kernelINS0_14default_configENS1_38merge_sort_block_merge_config_selectorIssEEZZNS1_27merge_sort_block_merge_implIS3_N6thrust23THRUST_200600_302600_NS6detail15normal_iteratorINS8_10device_ptrIsEEEESD_jNS1_19radix_merge_compareILb0ELb0EsNS0_19identity_decomposerEEEEE10hipError_tT0_T1_T2_jT3_P12ihipStream_tbPNSt15iterator_traitsISI_E10value_typeEPNSO_ISJ_E10value_typeEPSK_NS1_7vsmem_tEENKUlT_SI_SJ_SK_E_clISD_PsSD_S10_EESH_SX_SI_SJ_SK_EUlSX_E0_NS1_11comp_targetILNS1_3genE3ELNS1_11target_archE908ELNS1_3gpuE7ELNS1_3repE0EEENS1_38merge_mergepath_config_static_selectorELNS0_4arch9wavefront6targetE1EEEvSJ_
; %bb.0:
	.section	.rodata,"a",@progbits
	.p2align	6, 0x0
	.amdhsa_kernel _ZN7rocprim17ROCPRIM_400000_NS6detail17trampoline_kernelINS0_14default_configENS1_38merge_sort_block_merge_config_selectorIssEEZZNS1_27merge_sort_block_merge_implIS3_N6thrust23THRUST_200600_302600_NS6detail15normal_iteratorINS8_10device_ptrIsEEEESD_jNS1_19radix_merge_compareILb0ELb0EsNS0_19identity_decomposerEEEEE10hipError_tT0_T1_T2_jT3_P12ihipStream_tbPNSt15iterator_traitsISI_E10value_typeEPNSO_ISJ_E10value_typeEPSK_NS1_7vsmem_tEENKUlT_SI_SJ_SK_E_clISD_PsSD_S10_EESH_SX_SI_SJ_SK_EUlSX_E0_NS1_11comp_targetILNS1_3genE3ELNS1_11target_archE908ELNS1_3gpuE7ELNS1_3repE0EEENS1_38merge_mergepath_config_static_selectorELNS0_4arch9wavefront6targetE1EEEvSJ_
		.amdhsa_group_segment_fixed_size 0
		.amdhsa_private_segment_fixed_size 0
		.amdhsa_kernarg_size 64
		.amdhsa_user_sgpr_count 2
		.amdhsa_user_sgpr_dispatch_ptr 0
		.amdhsa_user_sgpr_queue_ptr 0
		.amdhsa_user_sgpr_kernarg_segment_ptr 1
		.amdhsa_user_sgpr_dispatch_id 0
		.amdhsa_user_sgpr_kernarg_preload_length 0
		.amdhsa_user_sgpr_kernarg_preload_offset 0
		.amdhsa_user_sgpr_private_segment_size 0
		.amdhsa_uses_dynamic_stack 0
		.amdhsa_enable_private_segment 0
		.amdhsa_system_sgpr_workgroup_id_x 1
		.amdhsa_system_sgpr_workgroup_id_y 0
		.amdhsa_system_sgpr_workgroup_id_z 0
		.amdhsa_system_sgpr_workgroup_info 0
		.amdhsa_system_vgpr_workitem_id 0
		.amdhsa_next_free_vgpr 1
		.amdhsa_next_free_sgpr 0
		.amdhsa_accum_offset 4
		.amdhsa_reserve_vcc 0
		.amdhsa_float_round_mode_32 0
		.amdhsa_float_round_mode_16_64 0
		.amdhsa_float_denorm_mode_32 3
		.amdhsa_float_denorm_mode_16_64 3
		.amdhsa_dx10_clamp 1
		.amdhsa_ieee_mode 1
		.amdhsa_fp16_overflow 0
		.amdhsa_tg_split 0
		.amdhsa_exception_fp_ieee_invalid_op 0
		.amdhsa_exception_fp_denorm_src 0
		.amdhsa_exception_fp_ieee_div_zero 0
		.amdhsa_exception_fp_ieee_overflow 0
		.amdhsa_exception_fp_ieee_underflow 0
		.amdhsa_exception_fp_ieee_inexact 0
		.amdhsa_exception_int_div_zero 0
	.end_amdhsa_kernel
	.section	.text._ZN7rocprim17ROCPRIM_400000_NS6detail17trampoline_kernelINS0_14default_configENS1_38merge_sort_block_merge_config_selectorIssEEZZNS1_27merge_sort_block_merge_implIS3_N6thrust23THRUST_200600_302600_NS6detail15normal_iteratorINS8_10device_ptrIsEEEESD_jNS1_19radix_merge_compareILb0ELb0EsNS0_19identity_decomposerEEEEE10hipError_tT0_T1_T2_jT3_P12ihipStream_tbPNSt15iterator_traitsISI_E10value_typeEPNSO_ISJ_E10value_typeEPSK_NS1_7vsmem_tEENKUlT_SI_SJ_SK_E_clISD_PsSD_S10_EESH_SX_SI_SJ_SK_EUlSX_E0_NS1_11comp_targetILNS1_3genE3ELNS1_11target_archE908ELNS1_3gpuE7ELNS1_3repE0EEENS1_38merge_mergepath_config_static_selectorELNS0_4arch9wavefront6targetE1EEEvSJ_,"axG",@progbits,_ZN7rocprim17ROCPRIM_400000_NS6detail17trampoline_kernelINS0_14default_configENS1_38merge_sort_block_merge_config_selectorIssEEZZNS1_27merge_sort_block_merge_implIS3_N6thrust23THRUST_200600_302600_NS6detail15normal_iteratorINS8_10device_ptrIsEEEESD_jNS1_19radix_merge_compareILb0ELb0EsNS0_19identity_decomposerEEEEE10hipError_tT0_T1_T2_jT3_P12ihipStream_tbPNSt15iterator_traitsISI_E10value_typeEPNSO_ISJ_E10value_typeEPSK_NS1_7vsmem_tEENKUlT_SI_SJ_SK_E_clISD_PsSD_S10_EESH_SX_SI_SJ_SK_EUlSX_E0_NS1_11comp_targetILNS1_3genE3ELNS1_11target_archE908ELNS1_3gpuE7ELNS1_3repE0EEENS1_38merge_mergepath_config_static_selectorELNS0_4arch9wavefront6targetE1EEEvSJ_,comdat
.Lfunc_end1546:
	.size	_ZN7rocprim17ROCPRIM_400000_NS6detail17trampoline_kernelINS0_14default_configENS1_38merge_sort_block_merge_config_selectorIssEEZZNS1_27merge_sort_block_merge_implIS3_N6thrust23THRUST_200600_302600_NS6detail15normal_iteratorINS8_10device_ptrIsEEEESD_jNS1_19radix_merge_compareILb0ELb0EsNS0_19identity_decomposerEEEEE10hipError_tT0_T1_T2_jT3_P12ihipStream_tbPNSt15iterator_traitsISI_E10value_typeEPNSO_ISJ_E10value_typeEPSK_NS1_7vsmem_tEENKUlT_SI_SJ_SK_E_clISD_PsSD_S10_EESH_SX_SI_SJ_SK_EUlSX_E0_NS1_11comp_targetILNS1_3genE3ELNS1_11target_archE908ELNS1_3gpuE7ELNS1_3repE0EEENS1_38merge_mergepath_config_static_selectorELNS0_4arch9wavefront6targetE1EEEvSJ_, .Lfunc_end1546-_ZN7rocprim17ROCPRIM_400000_NS6detail17trampoline_kernelINS0_14default_configENS1_38merge_sort_block_merge_config_selectorIssEEZZNS1_27merge_sort_block_merge_implIS3_N6thrust23THRUST_200600_302600_NS6detail15normal_iteratorINS8_10device_ptrIsEEEESD_jNS1_19radix_merge_compareILb0ELb0EsNS0_19identity_decomposerEEEEE10hipError_tT0_T1_T2_jT3_P12ihipStream_tbPNSt15iterator_traitsISI_E10value_typeEPNSO_ISJ_E10value_typeEPSK_NS1_7vsmem_tEENKUlT_SI_SJ_SK_E_clISD_PsSD_S10_EESH_SX_SI_SJ_SK_EUlSX_E0_NS1_11comp_targetILNS1_3genE3ELNS1_11target_archE908ELNS1_3gpuE7ELNS1_3repE0EEENS1_38merge_mergepath_config_static_selectorELNS0_4arch9wavefront6targetE1EEEvSJ_
                                        ; -- End function
	.set _ZN7rocprim17ROCPRIM_400000_NS6detail17trampoline_kernelINS0_14default_configENS1_38merge_sort_block_merge_config_selectorIssEEZZNS1_27merge_sort_block_merge_implIS3_N6thrust23THRUST_200600_302600_NS6detail15normal_iteratorINS8_10device_ptrIsEEEESD_jNS1_19radix_merge_compareILb0ELb0EsNS0_19identity_decomposerEEEEE10hipError_tT0_T1_T2_jT3_P12ihipStream_tbPNSt15iterator_traitsISI_E10value_typeEPNSO_ISJ_E10value_typeEPSK_NS1_7vsmem_tEENKUlT_SI_SJ_SK_E_clISD_PsSD_S10_EESH_SX_SI_SJ_SK_EUlSX_E0_NS1_11comp_targetILNS1_3genE3ELNS1_11target_archE908ELNS1_3gpuE7ELNS1_3repE0EEENS1_38merge_mergepath_config_static_selectorELNS0_4arch9wavefront6targetE1EEEvSJ_.num_vgpr, 0
	.set _ZN7rocprim17ROCPRIM_400000_NS6detail17trampoline_kernelINS0_14default_configENS1_38merge_sort_block_merge_config_selectorIssEEZZNS1_27merge_sort_block_merge_implIS3_N6thrust23THRUST_200600_302600_NS6detail15normal_iteratorINS8_10device_ptrIsEEEESD_jNS1_19radix_merge_compareILb0ELb0EsNS0_19identity_decomposerEEEEE10hipError_tT0_T1_T2_jT3_P12ihipStream_tbPNSt15iterator_traitsISI_E10value_typeEPNSO_ISJ_E10value_typeEPSK_NS1_7vsmem_tEENKUlT_SI_SJ_SK_E_clISD_PsSD_S10_EESH_SX_SI_SJ_SK_EUlSX_E0_NS1_11comp_targetILNS1_3genE3ELNS1_11target_archE908ELNS1_3gpuE7ELNS1_3repE0EEENS1_38merge_mergepath_config_static_selectorELNS0_4arch9wavefront6targetE1EEEvSJ_.num_agpr, 0
	.set _ZN7rocprim17ROCPRIM_400000_NS6detail17trampoline_kernelINS0_14default_configENS1_38merge_sort_block_merge_config_selectorIssEEZZNS1_27merge_sort_block_merge_implIS3_N6thrust23THRUST_200600_302600_NS6detail15normal_iteratorINS8_10device_ptrIsEEEESD_jNS1_19radix_merge_compareILb0ELb0EsNS0_19identity_decomposerEEEEE10hipError_tT0_T1_T2_jT3_P12ihipStream_tbPNSt15iterator_traitsISI_E10value_typeEPNSO_ISJ_E10value_typeEPSK_NS1_7vsmem_tEENKUlT_SI_SJ_SK_E_clISD_PsSD_S10_EESH_SX_SI_SJ_SK_EUlSX_E0_NS1_11comp_targetILNS1_3genE3ELNS1_11target_archE908ELNS1_3gpuE7ELNS1_3repE0EEENS1_38merge_mergepath_config_static_selectorELNS0_4arch9wavefront6targetE1EEEvSJ_.numbered_sgpr, 0
	.set _ZN7rocprim17ROCPRIM_400000_NS6detail17trampoline_kernelINS0_14default_configENS1_38merge_sort_block_merge_config_selectorIssEEZZNS1_27merge_sort_block_merge_implIS3_N6thrust23THRUST_200600_302600_NS6detail15normal_iteratorINS8_10device_ptrIsEEEESD_jNS1_19radix_merge_compareILb0ELb0EsNS0_19identity_decomposerEEEEE10hipError_tT0_T1_T2_jT3_P12ihipStream_tbPNSt15iterator_traitsISI_E10value_typeEPNSO_ISJ_E10value_typeEPSK_NS1_7vsmem_tEENKUlT_SI_SJ_SK_E_clISD_PsSD_S10_EESH_SX_SI_SJ_SK_EUlSX_E0_NS1_11comp_targetILNS1_3genE3ELNS1_11target_archE908ELNS1_3gpuE7ELNS1_3repE0EEENS1_38merge_mergepath_config_static_selectorELNS0_4arch9wavefront6targetE1EEEvSJ_.num_named_barrier, 0
	.set _ZN7rocprim17ROCPRIM_400000_NS6detail17trampoline_kernelINS0_14default_configENS1_38merge_sort_block_merge_config_selectorIssEEZZNS1_27merge_sort_block_merge_implIS3_N6thrust23THRUST_200600_302600_NS6detail15normal_iteratorINS8_10device_ptrIsEEEESD_jNS1_19radix_merge_compareILb0ELb0EsNS0_19identity_decomposerEEEEE10hipError_tT0_T1_T2_jT3_P12ihipStream_tbPNSt15iterator_traitsISI_E10value_typeEPNSO_ISJ_E10value_typeEPSK_NS1_7vsmem_tEENKUlT_SI_SJ_SK_E_clISD_PsSD_S10_EESH_SX_SI_SJ_SK_EUlSX_E0_NS1_11comp_targetILNS1_3genE3ELNS1_11target_archE908ELNS1_3gpuE7ELNS1_3repE0EEENS1_38merge_mergepath_config_static_selectorELNS0_4arch9wavefront6targetE1EEEvSJ_.private_seg_size, 0
	.set _ZN7rocprim17ROCPRIM_400000_NS6detail17trampoline_kernelINS0_14default_configENS1_38merge_sort_block_merge_config_selectorIssEEZZNS1_27merge_sort_block_merge_implIS3_N6thrust23THRUST_200600_302600_NS6detail15normal_iteratorINS8_10device_ptrIsEEEESD_jNS1_19radix_merge_compareILb0ELb0EsNS0_19identity_decomposerEEEEE10hipError_tT0_T1_T2_jT3_P12ihipStream_tbPNSt15iterator_traitsISI_E10value_typeEPNSO_ISJ_E10value_typeEPSK_NS1_7vsmem_tEENKUlT_SI_SJ_SK_E_clISD_PsSD_S10_EESH_SX_SI_SJ_SK_EUlSX_E0_NS1_11comp_targetILNS1_3genE3ELNS1_11target_archE908ELNS1_3gpuE7ELNS1_3repE0EEENS1_38merge_mergepath_config_static_selectorELNS0_4arch9wavefront6targetE1EEEvSJ_.uses_vcc, 0
	.set _ZN7rocprim17ROCPRIM_400000_NS6detail17trampoline_kernelINS0_14default_configENS1_38merge_sort_block_merge_config_selectorIssEEZZNS1_27merge_sort_block_merge_implIS3_N6thrust23THRUST_200600_302600_NS6detail15normal_iteratorINS8_10device_ptrIsEEEESD_jNS1_19radix_merge_compareILb0ELb0EsNS0_19identity_decomposerEEEEE10hipError_tT0_T1_T2_jT3_P12ihipStream_tbPNSt15iterator_traitsISI_E10value_typeEPNSO_ISJ_E10value_typeEPSK_NS1_7vsmem_tEENKUlT_SI_SJ_SK_E_clISD_PsSD_S10_EESH_SX_SI_SJ_SK_EUlSX_E0_NS1_11comp_targetILNS1_3genE3ELNS1_11target_archE908ELNS1_3gpuE7ELNS1_3repE0EEENS1_38merge_mergepath_config_static_selectorELNS0_4arch9wavefront6targetE1EEEvSJ_.uses_flat_scratch, 0
	.set _ZN7rocprim17ROCPRIM_400000_NS6detail17trampoline_kernelINS0_14default_configENS1_38merge_sort_block_merge_config_selectorIssEEZZNS1_27merge_sort_block_merge_implIS3_N6thrust23THRUST_200600_302600_NS6detail15normal_iteratorINS8_10device_ptrIsEEEESD_jNS1_19radix_merge_compareILb0ELb0EsNS0_19identity_decomposerEEEEE10hipError_tT0_T1_T2_jT3_P12ihipStream_tbPNSt15iterator_traitsISI_E10value_typeEPNSO_ISJ_E10value_typeEPSK_NS1_7vsmem_tEENKUlT_SI_SJ_SK_E_clISD_PsSD_S10_EESH_SX_SI_SJ_SK_EUlSX_E0_NS1_11comp_targetILNS1_3genE3ELNS1_11target_archE908ELNS1_3gpuE7ELNS1_3repE0EEENS1_38merge_mergepath_config_static_selectorELNS0_4arch9wavefront6targetE1EEEvSJ_.has_dyn_sized_stack, 0
	.set _ZN7rocprim17ROCPRIM_400000_NS6detail17trampoline_kernelINS0_14default_configENS1_38merge_sort_block_merge_config_selectorIssEEZZNS1_27merge_sort_block_merge_implIS3_N6thrust23THRUST_200600_302600_NS6detail15normal_iteratorINS8_10device_ptrIsEEEESD_jNS1_19radix_merge_compareILb0ELb0EsNS0_19identity_decomposerEEEEE10hipError_tT0_T1_T2_jT3_P12ihipStream_tbPNSt15iterator_traitsISI_E10value_typeEPNSO_ISJ_E10value_typeEPSK_NS1_7vsmem_tEENKUlT_SI_SJ_SK_E_clISD_PsSD_S10_EESH_SX_SI_SJ_SK_EUlSX_E0_NS1_11comp_targetILNS1_3genE3ELNS1_11target_archE908ELNS1_3gpuE7ELNS1_3repE0EEENS1_38merge_mergepath_config_static_selectorELNS0_4arch9wavefront6targetE1EEEvSJ_.has_recursion, 0
	.set _ZN7rocprim17ROCPRIM_400000_NS6detail17trampoline_kernelINS0_14default_configENS1_38merge_sort_block_merge_config_selectorIssEEZZNS1_27merge_sort_block_merge_implIS3_N6thrust23THRUST_200600_302600_NS6detail15normal_iteratorINS8_10device_ptrIsEEEESD_jNS1_19radix_merge_compareILb0ELb0EsNS0_19identity_decomposerEEEEE10hipError_tT0_T1_T2_jT3_P12ihipStream_tbPNSt15iterator_traitsISI_E10value_typeEPNSO_ISJ_E10value_typeEPSK_NS1_7vsmem_tEENKUlT_SI_SJ_SK_E_clISD_PsSD_S10_EESH_SX_SI_SJ_SK_EUlSX_E0_NS1_11comp_targetILNS1_3genE3ELNS1_11target_archE908ELNS1_3gpuE7ELNS1_3repE0EEENS1_38merge_mergepath_config_static_selectorELNS0_4arch9wavefront6targetE1EEEvSJ_.has_indirect_call, 0
	.section	.AMDGPU.csdata,"",@progbits
; Kernel info:
; codeLenInByte = 0
; TotalNumSgprs: 6
; NumVgprs: 0
; NumAgprs: 0
; TotalNumVgprs: 0
; ScratchSize: 0
; MemoryBound: 0
; FloatMode: 240
; IeeeMode: 1
; LDSByteSize: 0 bytes/workgroup (compile time only)
; SGPRBlocks: 0
; VGPRBlocks: 0
; NumSGPRsForWavesPerEU: 6
; NumVGPRsForWavesPerEU: 1
; AccumOffset: 4
; Occupancy: 8
; WaveLimiterHint : 0
; COMPUTE_PGM_RSRC2:SCRATCH_EN: 0
; COMPUTE_PGM_RSRC2:USER_SGPR: 2
; COMPUTE_PGM_RSRC2:TRAP_HANDLER: 0
; COMPUTE_PGM_RSRC2:TGID_X_EN: 1
; COMPUTE_PGM_RSRC2:TGID_Y_EN: 0
; COMPUTE_PGM_RSRC2:TGID_Z_EN: 0
; COMPUTE_PGM_RSRC2:TIDIG_COMP_CNT: 0
; COMPUTE_PGM_RSRC3_GFX90A:ACCUM_OFFSET: 0
; COMPUTE_PGM_RSRC3_GFX90A:TG_SPLIT: 0
	.section	.text._ZN7rocprim17ROCPRIM_400000_NS6detail17trampoline_kernelINS0_14default_configENS1_38merge_sort_block_merge_config_selectorIssEEZZNS1_27merge_sort_block_merge_implIS3_N6thrust23THRUST_200600_302600_NS6detail15normal_iteratorINS8_10device_ptrIsEEEESD_jNS1_19radix_merge_compareILb0ELb0EsNS0_19identity_decomposerEEEEE10hipError_tT0_T1_T2_jT3_P12ihipStream_tbPNSt15iterator_traitsISI_E10value_typeEPNSO_ISJ_E10value_typeEPSK_NS1_7vsmem_tEENKUlT_SI_SJ_SK_E_clISD_PsSD_S10_EESH_SX_SI_SJ_SK_EUlSX_E0_NS1_11comp_targetILNS1_3genE2ELNS1_11target_archE906ELNS1_3gpuE6ELNS1_3repE0EEENS1_38merge_mergepath_config_static_selectorELNS0_4arch9wavefront6targetE1EEEvSJ_,"axG",@progbits,_ZN7rocprim17ROCPRIM_400000_NS6detail17trampoline_kernelINS0_14default_configENS1_38merge_sort_block_merge_config_selectorIssEEZZNS1_27merge_sort_block_merge_implIS3_N6thrust23THRUST_200600_302600_NS6detail15normal_iteratorINS8_10device_ptrIsEEEESD_jNS1_19radix_merge_compareILb0ELb0EsNS0_19identity_decomposerEEEEE10hipError_tT0_T1_T2_jT3_P12ihipStream_tbPNSt15iterator_traitsISI_E10value_typeEPNSO_ISJ_E10value_typeEPSK_NS1_7vsmem_tEENKUlT_SI_SJ_SK_E_clISD_PsSD_S10_EESH_SX_SI_SJ_SK_EUlSX_E0_NS1_11comp_targetILNS1_3genE2ELNS1_11target_archE906ELNS1_3gpuE6ELNS1_3repE0EEENS1_38merge_mergepath_config_static_selectorELNS0_4arch9wavefront6targetE1EEEvSJ_,comdat
	.protected	_ZN7rocprim17ROCPRIM_400000_NS6detail17trampoline_kernelINS0_14default_configENS1_38merge_sort_block_merge_config_selectorIssEEZZNS1_27merge_sort_block_merge_implIS3_N6thrust23THRUST_200600_302600_NS6detail15normal_iteratorINS8_10device_ptrIsEEEESD_jNS1_19radix_merge_compareILb0ELb0EsNS0_19identity_decomposerEEEEE10hipError_tT0_T1_T2_jT3_P12ihipStream_tbPNSt15iterator_traitsISI_E10value_typeEPNSO_ISJ_E10value_typeEPSK_NS1_7vsmem_tEENKUlT_SI_SJ_SK_E_clISD_PsSD_S10_EESH_SX_SI_SJ_SK_EUlSX_E0_NS1_11comp_targetILNS1_3genE2ELNS1_11target_archE906ELNS1_3gpuE6ELNS1_3repE0EEENS1_38merge_mergepath_config_static_selectorELNS0_4arch9wavefront6targetE1EEEvSJ_ ; -- Begin function _ZN7rocprim17ROCPRIM_400000_NS6detail17trampoline_kernelINS0_14default_configENS1_38merge_sort_block_merge_config_selectorIssEEZZNS1_27merge_sort_block_merge_implIS3_N6thrust23THRUST_200600_302600_NS6detail15normal_iteratorINS8_10device_ptrIsEEEESD_jNS1_19radix_merge_compareILb0ELb0EsNS0_19identity_decomposerEEEEE10hipError_tT0_T1_T2_jT3_P12ihipStream_tbPNSt15iterator_traitsISI_E10value_typeEPNSO_ISJ_E10value_typeEPSK_NS1_7vsmem_tEENKUlT_SI_SJ_SK_E_clISD_PsSD_S10_EESH_SX_SI_SJ_SK_EUlSX_E0_NS1_11comp_targetILNS1_3genE2ELNS1_11target_archE906ELNS1_3gpuE6ELNS1_3repE0EEENS1_38merge_mergepath_config_static_selectorELNS0_4arch9wavefront6targetE1EEEvSJ_
	.globl	_ZN7rocprim17ROCPRIM_400000_NS6detail17trampoline_kernelINS0_14default_configENS1_38merge_sort_block_merge_config_selectorIssEEZZNS1_27merge_sort_block_merge_implIS3_N6thrust23THRUST_200600_302600_NS6detail15normal_iteratorINS8_10device_ptrIsEEEESD_jNS1_19radix_merge_compareILb0ELb0EsNS0_19identity_decomposerEEEEE10hipError_tT0_T1_T2_jT3_P12ihipStream_tbPNSt15iterator_traitsISI_E10value_typeEPNSO_ISJ_E10value_typeEPSK_NS1_7vsmem_tEENKUlT_SI_SJ_SK_E_clISD_PsSD_S10_EESH_SX_SI_SJ_SK_EUlSX_E0_NS1_11comp_targetILNS1_3genE2ELNS1_11target_archE906ELNS1_3gpuE6ELNS1_3repE0EEENS1_38merge_mergepath_config_static_selectorELNS0_4arch9wavefront6targetE1EEEvSJ_
	.p2align	8
	.type	_ZN7rocprim17ROCPRIM_400000_NS6detail17trampoline_kernelINS0_14default_configENS1_38merge_sort_block_merge_config_selectorIssEEZZNS1_27merge_sort_block_merge_implIS3_N6thrust23THRUST_200600_302600_NS6detail15normal_iteratorINS8_10device_ptrIsEEEESD_jNS1_19radix_merge_compareILb0ELb0EsNS0_19identity_decomposerEEEEE10hipError_tT0_T1_T2_jT3_P12ihipStream_tbPNSt15iterator_traitsISI_E10value_typeEPNSO_ISJ_E10value_typeEPSK_NS1_7vsmem_tEENKUlT_SI_SJ_SK_E_clISD_PsSD_S10_EESH_SX_SI_SJ_SK_EUlSX_E0_NS1_11comp_targetILNS1_3genE2ELNS1_11target_archE906ELNS1_3gpuE6ELNS1_3repE0EEENS1_38merge_mergepath_config_static_selectorELNS0_4arch9wavefront6targetE1EEEvSJ_,@function
_ZN7rocprim17ROCPRIM_400000_NS6detail17trampoline_kernelINS0_14default_configENS1_38merge_sort_block_merge_config_selectorIssEEZZNS1_27merge_sort_block_merge_implIS3_N6thrust23THRUST_200600_302600_NS6detail15normal_iteratorINS8_10device_ptrIsEEEESD_jNS1_19radix_merge_compareILb0ELb0EsNS0_19identity_decomposerEEEEE10hipError_tT0_T1_T2_jT3_P12ihipStream_tbPNSt15iterator_traitsISI_E10value_typeEPNSO_ISJ_E10value_typeEPSK_NS1_7vsmem_tEENKUlT_SI_SJ_SK_E_clISD_PsSD_S10_EESH_SX_SI_SJ_SK_EUlSX_E0_NS1_11comp_targetILNS1_3genE2ELNS1_11target_archE906ELNS1_3gpuE6ELNS1_3repE0EEENS1_38merge_mergepath_config_static_selectorELNS0_4arch9wavefront6targetE1EEEvSJ_: ; @_ZN7rocprim17ROCPRIM_400000_NS6detail17trampoline_kernelINS0_14default_configENS1_38merge_sort_block_merge_config_selectorIssEEZZNS1_27merge_sort_block_merge_implIS3_N6thrust23THRUST_200600_302600_NS6detail15normal_iteratorINS8_10device_ptrIsEEEESD_jNS1_19radix_merge_compareILb0ELb0EsNS0_19identity_decomposerEEEEE10hipError_tT0_T1_T2_jT3_P12ihipStream_tbPNSt15iterator_traitsISI_E10value_typeEPNSO_ISJ_E10value_typeEPSK_NS1_7vsmem_tEENKUlT_SI_SJ_SK_E_clISD_PsSD_S10_EESH_SX_SI_SJ_SK_EUlSX_E0_NS1_11comp_targetILNS1_3genE2ELNS1_11target_archE906ELNS1_3gpuE6ELNS1_3repE0EEENS1_38merge_mergepath_config_static_selectorELNS0_4arch9wavefront6targetE1EEEvSJ_
; %bb.0:
	.section	.rodata,"a",@progbits
	.p2align	6, 0x0
	.amdhsa_kernel _ZN7rocprim17ROCPRIM_400000_NS6detail17trampoline_kernelINS0_14default_configENS1_38merge_sort_block_merge_config_selectorIssEEZZNS1_27merge_sort_block_merge_implIS3_N6thrust23THRUST_200600_302600_NS6detail15normal_iteratorINS8_10device_ptrIsEEEESD_jNS1_19radix_merge_compareILb0ELb0EsNS0_19identity_decomposerEEEEE10hipError_tT0_T1_T2_jT3_P12ihipStream_tbPNSt15iterator_traitsISI_E10value_typeEPNSO_ISJ_E10value_typeEPSK_NS1_7vsmem_tEENKUlT_SI_SJ_SK_E_clISD_PsSD_S10_EESH_SX_SI_SJ_SK_EUlSX_E0_NS1_11comp_targetILNS1_3genE2ELNS1_11target_archE906ELNS1_3gpuE6ELNS1_3repE0EEENS1_38merge_mergepath_config_static_selectorELNS0_4arch9wavefront6targetE1EEEvSJ_
		.amdhsa_group_segment_fixed_size 0
		.amdhsa_private_segment_fixed_size 0
		.amdhsa_kernarg_size 64
		.amdhsa_user_sgpr_count 2
		.amdhsa_user_sgpr_dispatch_ptr 0
		.amdhsa_user_sgpr_queue_ptr 0
		.amdhsa_user_sgpr_kernarg_segment_ptr 1
		.amdhsa_user_sgpr_dispatch_id 0
		.amdhsa_user_sgpr_kernarg_preload_length 0
		.amdhsa_user_sgpr_kernarg_preload_offset 0
		.amdhsa_user_sgpr_private_segment_size 0
		.amdhsa_uses_dynamic_stack 0
		.amdhsa_enable_private_segment 0
		.amdhsa_system_sgpr_workgroup_id_x 1
		.amdhsa_system_sgpr_workgroup_id_y 0
		.amdhsa_system_sgpr_workgroup_id_z 0
		.amdhsa_system_sgpr_workgroup_info 0
		.amdhsa_system_vgpr_workitem_id 0
		.amdhsa_next_free_vgpr 1
		.amdhsa_next_free_sgpr 0
		.amdhsa_accum_offset 4
		.amdhsa_reserve_vcc 0
		.amdhsa_float_round_mode_32 0
		.amdhsa_float_round_mode_16_64 0
		.amdhsa_float_denorm_mode_32 3
		.amdhsa_float_denorm_mode_16_64 3
		.amdhsa_dx10_clamp 1
		.amdhsa_ieee_mode 1
		.amdhsa_fp16_overflow 0
		.amdhsa_tg_split 0
		.amdhsa_exception_fp_ieee_invalid_op 0
		.amdhsa_exception_fp_denorm_src 0
		.amdhsa_exception_fp_ieee_div_zero 0
		.amdhsa_exception_fp_ieee_overflow 0
		.amdhsa_exception_fp_ieee_underflow 0
		.amdhsa_exception_fp_ieee_inexact 0
		.amdhsa_exception_int_div_zero 0
	.end_amdhsa_kernel
	.section	.text._ZN7rocprim17ROCPRIM_400000_NS6detail17trampoline_kernelINS0_14default_configENS1_38merge_sort_block_merge_config_selectorIssEEZZNS1_27merge_sort_block_merge_implIS3_N6thrust23THRUST_200600_302600_NS6detail15normal_iteratorINS8_10device_ptrIsEEEESD_jNS1_19radix_merge_compareILb0ELb0EsNS0_19identity_decomposerEEEEE10hipError_tT0_T1_T2_jT3_P12ihipStream_tbPNSt15iterator_traitsISI_E10value_typeEPNSO_ISJ_E10value_typeEPSK_NS1_7vsmem_tEENKUlT_SI_SJ_SK_E_clISD_PsSD_S10_EESH_SX_SI_SJ_SK_EUlSX_E0_NS1_11comp_targetILNS1_3genE2ELNS1_11target_archE906ELNS1_3gpuE6ELNS1_3repE0EEENS1_38merge_mergepath_config_static_selectorELNS0_4arch9wavefront6targetE1EEEvSJ_,"axG",@progbits,_ZN7rocprim17ROCPRIM_400000_NS6detail17trampoline_kernelINS0_14default_configENS1_38merge_sort_block_merge_config_selectorIssEEZZNS1_27merge_sort_block_merge_implIS3_N6thrust23THRUST_200600_302600_NS6detail15normal_iteratorINS8_10device_ptrIsEEEESD_jNS1_19radix_merge_compareILb0ELb0EsNS0_19identity_decomposerEEEEE10hipError_tT0_T1_T2_jT3_P12ihipStream_tbPNSt15iterator_traitsISI_E10value_typeEPNSO_ISJ_E10value_typeEPSK_NS1_7vsmem_tEENKUlT_SI_SJ_SK_E_clISD_PsSD_S10_EESH_SX_SI_SJ_SK_EUlSX_E0_NS1_11comp_targetILNS1_3genE2ELNS1_11target_archE906ELNS1_3gpuE6ELNS1_3repE0EEENS1_38merge_mergepath_config_static_selectorELNS0_4arch9wavefront6targetE1EEEvSJ_,comdat
.Lfunc_end1547:
	.size	_ZN7rocprim17ROCPRIM_400000_NS6detail17trampoline_kernelINS0_14default_configENS1_38merge_sort_block_merge_config_selectorIssEEZZNS1_27merge_sort_block_merge_implIS3_N6thrust23THRUST_200600_302600_NS6detail15normal_iteratorINS8_10device_ptrIsEEEESD_jNS1_19radix_merge_compareILb0ELb0EsNS0_19identity_decomposerEEEEE10hipError_tT0_T1_T2_jT3_P12ihipStream_tbPNSt15iterator_traitsISI_E10value_typeEPNSO_ISJ_E10value_typeEPSK_NS1_7vsmem_tEENKUlT_SI_SJ_SK_E_clISD_PsSD_S10_EESH_SX_SI_SJ_SK_EUlSX_E0_NS1_11comp_targetILNS1_3genE2ELNS1_11target_archE906ELNS1_3gpuE6ELNS1_3repE0EEENS1_38merge_mergepath_config_static_selectorELNS0_4arch9wavefront6targetE1EEEvSJ_, .Lfunc_end1547-_ZN7rocprim17ROCPRIM_400000_NS6detail17trampoline_kernelINS0_14default_configENS1_38merge_sort_block_merge_config_selectorIssEEZZNS1_27merge_sort_block_merge_implIS3_N6thrust23THRUST_200600_302600_NS6detail15normal_iteratorINS8_10device_ptrIsEEEESD_jNS1_19radix_merge_compareILb0ELb0EsNS0_19identity_decomposerEEEEE10hipError_tT0_T1_T2_jT3_P12ihipStream_tbPNSt15iterator_traitsISI_E10value_typeEPNSO_ISJ_E10value_typeEPSK_NS1_7vsmem_tEENKUlT_SI_SJ_SK_E_clISD_PsSD_S10_EESH_SX_SI_SJ_SK_EUlSX_E0_NS1_11comp_targetILNS1_3genE2ELNS1_11target_archE906ELNS1_3gpuE6ELNS1_3repE0EEENS1_38merge_mergepath_config_static_selectorELNS0_4arch9wavefront6targetE1EEEvSJ_
                                        ; -- End function
	.set _ZN7rocprim17ROCPRIM_400000_NS6detail17trampoline_kernelINS0_14default_configENS1_38merge_sort_block_merge_config_selectorIssEEZZNS1_27merge_sort_block_merge_implIS3_N6thrust23THRUST_200600_302600_NS6detail15normal_iteratorINS8_10device_ptrIsEEEESD_jNS1_19radix_merge_compareILb0ELb0EsNS0_19identity_decomposerEEEEE10hipError_tT0_T1_T2_jT3_P12ihipStream_tbPNSt15iterator_traitsISI_E10value_typeEPNSO_ISJ_E10value_typeEPSK_NS1_7vsmem_tEENKUlT_SI_SJ_SK_E_clISD_PsSD_S10_EESH_SX_SI_SJ_SK_EUlSX_E0_NS1_11comp_targetILNS1_3genE2ELNS1_11target_archE906ELNS1_3gpuE6ELNS1_3repE0EEENS1_38merge_mergepath_config_static_selectorELNS0_4arch9wavefront6targetE1EEEvSJ_.num_vgpr, 0
	.set _ZN7rocprim17ROCPRIM_400000_NS6detail17trampoline_kernelINS0_14default_configENS1_38merge_sort_block_merge_config_selectorIssEEZZNS1_27merge_sort_block_merge_implIS3_N6thrust23THRUST_200600_302600_NS6detail15normal_iteratorINS8_10device_ptrIsEEEESD_jNS1_19radix_merge_compareILb0ELb0EsNS0_19identity_decomposerEEEEE10hipError_tT0_T1_T2_jT3_P12ihipStream_tbPNSt15iterator_traitsISI_E10value_typeEPNSO_ISJ_E10value_typeEPSK_NS1_7vsmem_tEENKUlT_SI_SJ_SK_E_clISD_PsSD_S10_EESH_SX_SI_SJ_SK_EUlSX_E0_NS1_11comp_targetILNS1_3genE2ELNS1_11target_archE906ELNS1_3gpuE6ELNS1_3repE0EEENS1_38merge_mergepath_config_static_selectorELNS0_4arch9wavefront6targetE1EEEvSJ_.num_agpr, 0
	.set _ZN7rocprim17ROCPRIM_400000_NS6detail17trampoline_kernelINS0_14default_configENS1_38merge_sort_block_merge_config_selectorIssEEZZNS1_27merge_sort_block_merge_implIS3_N6thrust23THRUST_200600_302600_NS6detail15normal_iteratorINS8_10device_ptrIsEEEESD_jNS1_19radix_merge_compareILb0ELb0EsNS0_19identity_decomposerEEEEE10hipError_tT0_T1_T2_jT3_P12ihipStream_tbPNSt15iterator_traitsISI_E10value_typeEPNSO_ISJ_E10value_typeEPSK_NS1_7vsmem_tEENKUlT_SI_SJ_SK_E_clISD_PsSD_S10_EESH_SX_SI_SJ_SK_EUlSX_E0_NS1_11comp_targetILNS1_3genE2ELNS1_11target_archE906ELNS1_3gpuE6ELNS1_3repE0EEENS1_38merge_mergepath_config_static_selectorELNS0_4arch9wavefront6targetE1EEEvSJ_.numbered_sgpr, 0
	.set _ZN7rocprim17ROCPRIM_400000_NS6detail17trampoline_kernelINS0_14default_configENS1_38merge_sort_block_merge_config_selectorIssEEZZNS1_27merge_sort_block_merge_implIS3_N6thrust23THRUST_200600_302600_NS6detail15normal_iteratorINS8_10device_ptrIsEEEESD_jNS1_19radix_merge_compareILb0ELb0EsNS0_19identity_decomposerEEEEE10hipError_tT0_T1_T2_jT3_P12ihipStream_tbPNSt15iterator_traitsISI_E10value_typeEPNSO_ISJ_E10value_typeEPSK_NS1_7vsmem_tEENKUlT_SI_SJ_SK_E_clISD_PsSD_S10_EESH_SX_SI_SJ_SK_EUlSX_E0_NS1_11comp_targetILNS1_3genE2ELNS1_11target_archE906ELNS1_3gpuE6ELNS1_3repE0EEENS1_38merge_mergepath_config_static_selectorELNS0_4arch9wavefront6targetE1EEEvSJ_.num_named_barrier, 0
	.set _ZN7rocprim17ROCPRIM_400000_NS6detail17trampoline_kernelINS0_14default_configENS1_38merge_sort_block_merge_config_selectorIssEEZZNS1_27merge_sort_block_merge_implIS3_N6thrust23THRUST_200600_302600_NS6detail15normal_iteratorINS8_10device_ptrIsEEEESD_jNS1_19radix_merge_compareILb0ELb0EsNS0_19identity_decomposerEEEEE10hipError_tT0_T1_T2_jT3_P12ihipStream_tbPNSt15iterator_traitsISI_E10value_typeEPNSO_ISJ_E10value_typeEPSK_NS1_7vsmem_tEENKUlT_SI_SJ_SK_E_clISD_PsSD_S10_EESH_SX_SI_SJ_SK_EUlSX_E0_NS1_11comp_targetILNS1_3genE2ELNS1_11target_archE906ELNS1_3gpuE6ELNS1_3repE0EEENS1_38merge_mergepath_config_static_selectorELNS0_4arch9wavefront6targetE1EEEvSJ_.private_seg_size, 0
	.set _ZN7rocprim17ROCPRIM_400000_NS6detail17trampoline_kernelINS0_14default_configENS1_38merge_sort_block_merge_config_selectorIssEEZZNS1_27merge_sort_block_merge_implIS3_N6thrust23THRUST_200600_302600_NS6detail15normal_iteratorINS8_10device_ptrIsEEEESD_jNS1_19radix_merge_compareILb0ELb0EsNS0_19identity_decomposerEEEEE10hipError_tT0_T1_T2_jT3_P12ihipStream_tbPNSt15iterator_traitsISI_E10value_typeEPNSO_ISJ_E10value_typeEPSK_NS1_7vsmem_tEENKUlT_SI_SJ_SK_E_clISD_PsSD_S10_EESH_SX_SI_SJ_SK_EUlSX_E0_NS1_11comp_targetILNS1_3genE2ELNS1_11target_archE906ELNS1_3gpuE6ELNS1_3repE0EEENS1_38merge_mergepath_config_static_selectorELNS0_4arch9wavefront6targetE1EEEvSJ_.uses_vcc, 0
	.set _ZN7rocprim17ROCPRIM_400000_NS6detail17trampoline_kernelINS0_14default_configENS1_38merge_sort_block_merge_config_selectorIssEEZZNS1_27merge_sort_block_merge_implIS3_N6thrust23THRUST_200600_302600_NS6detail15normal_iteratorINS8_10device_ptrIsEEEESD_jNS1_19radix_merge_compareILb0ELb0EsNS0_19identity_decomposerEEEEE10hipError_tT0_T1_T2_jT3_P12ihipStream_tbPNSt15iterator_traitsISI_E10value_typeEPNSO_ISJ_E10value_typeEPSK_NS1_7vsmem_tEENKUlT_SI_SJ_SK_E_clISD_PsSD_S10_EESH_SX_SI_SJ_SK_EUlSX_E0_NS1_11comp_targetILNS1_3genE2ELNS1_11target_archE906ELNS1_3gpuE6ELNS1_3repE0EEENS1_38merge_mergepath_config_static_selectorELNS0_4arch9wavefront6targetE1EEEvSJ_.uses_flat_scratch, 0
	.set _ZN7rocprim17ROCPRIM_400000_NS6detail17trampoline_kernelINS0_14default_configENS1_38merge_sort_block_merge_config_selectorIssEEZZNS1_27merge_sort_block_merge_implIS3_N6thrust23THRUST_200600_302600_NS6detail15normal_iteratorINS8_10device_ptrIsEEEESD_jNS1_19radix_merge_compareILb0ELb0EsNS0_19identity_decomposerEEEEE10hipError_tT0_T1_T2_jT3_P12ihipStream_tbPNSt15iterator_traitsISI_E10value_typeEPNSO_ISJ_E10value_typeEPSK_NS1_7vsmem_tEENKUlT_SI_SJ_SK_E_clISD_PsSD_S10_EESH_SX_SI_SJ_SK_EUlSX_E0_NS1_11comp_targetILNS1_3genE2ELNS1_11target_archE906ELNS1_3gpuE6ELNS1_3repE0EEENS1_38merge_mergepath_config_static_selectorELNS0_4arch9wavefront6targetE1EEEvSJ_.has_dyn_sized_stack, 0
	.set _ZN7rocprim17ROCPRIM_400000_NS6detail17trampoline_kernelINS0_14default_configENS1_38merge_sort_block_merge_config_selectorIssEEZZNS1_27merge_sort_block_merge_implIS3_N6thrust23THRUST_200600_302600_NS6detail15normal_iteratorINS8_10device_ptrIsEEEESD_jNS1_19radix_merge_compareILb0ELb0EsNS0_19identity_decomposerEEEEE10hipError_tT0_T1_T2_jT3_P12ihipStream_tbPNSt15iterator_traitsISI_E10value_typeEPNSO_ISJ_E10value_typeEPSK_NS1_7vsmem_tEENKUlT_SI_SJ_SK_E_clISD_PsSD_S10_EESH_SX_SI_SJ_SK_EUlSX_E0_NS1_11comp_targetILNS1_3genE2ELNS1_11target_archE906ELNS1_3gpuE6ELNS1_3repE0EEENS1_38merge_mergepath_config_static_selectorELNS0_4arch9wavefront6targetE1EEEvSJ_.has_recursion, 0
	.set _ZN7rocprim17ROCPRIM_400000_NS6detail17trampoline_kernelINS0_14default_configENS1_38merge_sort_block_merge_config_selectorIssEEZZNS1_27merge_sort_block_merge_implIS3_N6thrust23THRUST_200600_302600_NS6detail15normal_iteratorINS8_10device_ptrIsEEEESD_jNS1_19radix_merge_compareILb0ELb0EsNS0_19identity_decomposerEEEEE10hipError_tT0_T1_T2_jT3_P12ihipStream_tbPNSt15iterator_traitsISI_E10value_typeEPNSO_ISJ_E10value_typeEPSK_NS1_7vsmem_tEENKUlT_SI_SJ_SK_E_clISD_PsSD_S10_EESH_SX_SI_SJ_SK_EUlSX_E0_NS1_11comp_targetILNS1_3genE2ELNS1_11target_archE906ELNS1_3gpuE6ELNS1_3repE0EEENS1_38merge_mergepath_config_static_selectorELNS0_4arch9wavefront6targetE1EEEvSJ_.has_indirect_call, 0
	.section	.AMDGPU.csdata,"",@progbits
; Kernel info:
; codeLenInByte = 0
; TotalNumSgprs: 6
; NumVgprs: 0
; NumAgprs: 0
; TotalNumVgprs: 0
; ScratchSize: 0
; MemoryBound: 0
; FloatMode: 240
; IeeeMode: 1
; LDSByteSize: 0 bytes/workgroup (compile time only)
; SGPRBlocks: 0
; VGPRBlocks: 0
; NumSGPRsForWavesPerEU: 6
; NumVGPRsForWavesPerEU: 1
; AccumOffset: 4
; Occupancy: 8
; WaveLimiterHint : 0
; COMPUTE_PGM_RSRC2:SCRATCH_EN: 0
; COMPUTE_PGM_RSRC2:USER_SGPR: 2
; COMPUTE_PGM_RSRC2:TRAP_HANDLER: 0
; COMPUTE_PGM_RSRC2:TGID_X_EN: 1
; COMPUTE_PGM_RSRC2:TGID_Y_EN: 0
; COMPUTE_PGM_RSRC2:TGID_Z_EN: 0
; COMPUTE_PGM_RSRC2:TIDIG_COMP_CNT: 0
; COMPUTE_PGM_RSRC3_GFX90A:ACCUM_OFFSET: 0
; COMPUTE_PGM_RSRC3_GFX90A:TG_SPLIT: 0
	.section	.text._ZN7rocprim17ROCPRIM_400000_NS6detail17trampoline_kernelINS0_14default_configENS1_38merge_sort_block_merge_config_selectorIssEEZZNS1_27merge_sort_block_merge_implIS3_N6thrust23THRUST_200600_302600_NS6detail15normal_iteratorINS8_10device_ptrIsEEEESD_jNS1_19radix_merge_compareILb0ELb0EsNS0_19identity_decomposerEEEEE10hipError_tT0_T1_T2_jT3_P12ihipStream_tbPNSt15iterator_traitsISI_E10value_typeEPNSO_ISJ_E10value_typeEPSK_NS1_7vsmem_tEENKUlT_SI_SJ_SK_E_clISD_PsSD_S10_EESH_SX_SI_SJ_SK_EUlSX_E0_NS1_11comp_targetILNS1_3genE9ELNS1_11target_archE1100ELNS1_3gpuE3ELNS1_3repE0EEENS1_38merge_mergepath_config_static_selectorELNS0_4arch9wavefront6targetE1EEEvSJ_,"axG",@progbits,_ZN7rocprim17ROCPRIM_400000_NS6detail17trampoline_kernelINS0_14default_configENS1_38merge_sort_block_merge_config_selectorIssEEZZNS1_27merge_sort_block_merge_implIS3_N6thrust23THRUST_200600_302600_NS6detail15normal_iteratorINS8_10device_ptrIsEEEESD_jNS1_19radix_merge_compareILb0ELb0EsNS0_19identity_decomposerEEEEE10hipError_tT0_T1_T2_jT3_P12ihipStream_tbPNSt15iterator_traitsISI_E10value_typeEPNSO_ISJ_E10value_typeEPSK_NS1_7vsmem_tEENKUlT_SI_SJ_SK_E_clISD_PsSD_S10_EESH_SX_SI_SJ_SK_EUlSX_E0_NS1_11comp_targetILNS1_3genE9ELNS1_11target_archE1100ELNS1_3gpuE3ELNS1_3repE0EEENS1_38merge_mergepath_config_static_selectorELNS0_4arch9wavefront6targetE1EEEvSJ_,comdat
	.protected	_ZN7rocprim17ROCPRIM_400000_NS6detail17trampoline_kernelINS0_14default_configENS1_38merge_sort_block_merge_config_selectorIssEEZZNS1_27merge_sort_block_merge_implIS3_N6thrust23THRUST_200600_302600_NS6detail15normal_iteratorINS8_10device_ptrIsEEEESD_jNS1_19radix_merge_compareILb0ELb0EsNS0_19identity_decomposerEEEEE10hipError_tT0_T1_T2_jT3_P12ihipStream_tbPNSt15iterator_traitsISI_E10value_typeEPNSO_ISJ_E10value_typeEPSK_NS1_7vsmem_tEENKUlT_SI_SJ_SK_E_clISD_PsSD_S10_EESH_SX_SI_SJ_SK_EUlSX_E0_NS1_11comp_targetILNS1_3genE9ELNS1_11target_archE1100ELNS1_3gpuE3ELNS1_3repE0EEENS1_38merge_mergepath_config_static_selectorELNS0_4arch9wavefront6targetE1EEEvSJ_ ; -- Begin function _ZN7rocprim17ROCPRIM_400000_NS6detail17trampoline_kernelINS0_14default_configENS1_38merge_sort_block_merge_config_selectorIssEEZZNS1_27merge_sort_block_merge_implIS3_N6thrust23THRUST_200600_302600_NS6detail15normal_iteratorINS8_10device_ptrIsEEEESD_jNS1_19radix_merge_compareILb0ELb0EsNS0_19identity_decomposerEEEEE10hipError_tT0_T1_T2_jT3_P12ihipStream_tbPNSt15iterator_traitsISI_E10value_typeEPNSO_ISJ_E10value_typeEPSK_NS1_7vsmem_tEENKUlT_SI_SJ_SK_E_clISD_PsSD_S10_EESH_SX_SI_SJ_SK_EUlSX_E0_NS1_11comp_targetILNS1_3genE9ELNS1_11target_archE1100ELNS1_3gpuE3ELNS1_3repE0EEENS1_38merge_mergepath_config_static_selectorELNS0_4arch9wavefront6targetE1EEEvSJ_
	.globl	_ZN7rocprim17ROCPRIM_400000_NS6detail17trampoline_kernelINS0_14default_configENS1_38merge_sort_block_merge_config_selectorIssEEZZNS1_27merge_sort_block_merge_implIS3_N6thrust23THRUST_200600_302600_NS6detail15normal_iteratorINS8_10device_ptrIsEEEESD_jNS1_19radix_merge_compareILb0ELb0EsNS0_19identity_decomposerEEEEE10hipError_tT0_T1_T2_jT3_P12ihipStream_tbPNSt15iterator_traitsISI_E10value_typeEPNSO_ISJ_E10value_typeEPSK_NS1_7vsmem_tEENKUlT_SI_SJ_SK_E_clISD_PsSD_S10_EESH_SX_SI_SJ_SK_EUlSX_E0_NS1_11comp_targetILNS1_3genE9ELNS1_11target_archE1100ELNS1_3gpuE3ELNS1_3repE0EEENS1_38merge_mergepath_config_static_selectorELNS0_4arch9wavefront6targetE1EEEvSJ_
	.p2align	8
	.type	_ZN7rocprim17ROCPRIM_400000_NS6detail17trampoline_kernelINS0_14default_configENS1_38merge_sort_block_merge_config_selectorIssEEZZNS1_27merge_sort_block_merge_implIS3_N6thrust23THRUST_200600_302600_NS6detail15normal_iteratorINS8_10device_ptrIsEEEESD_jNS1_19radix_merge_compareILb0ELb0EsNS0_19identity_decomposerEEEEE10hipError_tT0_T1_T2_jT3_P12ihipStream_tbPNSt15iterator_traitsISI_E10value_typeEPNSO_ISJ_E10value_typeEPSK_NS1_7vsmem_tEENKUlT_SI_SJ_SK_E_clISD_PsSD_S10_EESH_SX_SI_SJ_SK_EUlSX_E0_NS1_11comp_targetILNS1_3genE9ELNS1_11target_archE1100ELNS1_3gpuE3ELNS1_3repE0EEENS1_38merge_mergepath_config_static_selectorELNS0_4arch9wavefront6targetE1EEEvSJ_,@function
_ZN7rocprim17ROCPRIM_400000_NS6detail17trampoline_kernelINS0_14default_configENS1_38merge_sort_block_merge_config_selectorIssEEZZNS1_27merge_sort_block_merge_implIS3_N6thrust23THRUST_200600_302600_NS6detail15normal_iteratorINS8_10device_ptrIsEEEESD_jNS1_19radix_merge_compareILb0ELb0EsNS0_19identity_decomposerEEEEE10hipError_tT0_T1_T2_jT3_P12ihipStream_tbPNSt15iterator_traitsISI_E10value_typeEPNSO_ISJ_E10value_typeEPSK_NS1_7vsmem_tEENKUlT_SI_SJ_SK_E_clISD_PsSD_S10_EESH_SX_SI_SJ_SK_EUlSX_E0_NS1_11comp_targetILNS1_3genE9ELNS1_11target_archE1100ELNS1_3gpuE3ELNS1_3repE0EEENS1_38merge_mergepath_config_static_selectorELNS0_4arch9wavefront6targetE1EEEvSJ_: ; @_ZN7rocprim17ROCPRIM_400000_NS6detail17trampoline_kernelINS0_14default_configENS1_38merge_sort_block_merge_config_selectorIssEEZZNS1_27merge_sort_block_merge_implIS3_N6thrust23THRUST_200600_302600_NS6detail15normal_iteratorINS8_10device_ptrIsEEEESD_jNS1_19radix_merge_compareILb0ELb0EsNS0_19identity_decomposerEEEEE10hipError_tT0_T1_T2_jT3_P12ihipStream_tbPNSt15iterator_traitsISI_E10value_typeEPNSO_ISJ_E10value_typeEPSK_NS1_7vsmem_tEENKUlT_SI_SJ_SK_E_clISD_PsSD_S10_EESH_SX_SI_SJ_SK_EUlSX_E0_NS1_11comp_targetILNS1_3genE9ELNS1_11target_archE1100ELNS1_3gpuE3ELNS1_3repE0EEENS1_38merge_mergepath_config_static_selectorELNS0_4arch9wavefront6targetE1EEEvSJ_
; %bb.0:
	.section	.rodata,"a",@progbits
	.p2align	6, 0x0
	.amdhsa_kernel _ZN7rocprim17ROCPRIM_400000_NS6detail17trampoline_kernelINS0_14default_configENS1_38merge_sort_block_merge_config_selectorIssEEZZNS1_27merge_sort_block_merge_implIS3_N6thrust23THRUST_200600_302600_NS6detail15normal_iteratorINS8_10device_ptrIsEEEESD_jNS1_19radix_merge_compareILb0ELb0EsNS0_19identity_decomposerEEEEE10hipError_tT0_T1_T2_jT3_P12ihipStream_tbPNSt15iterator_traitsISI_E10value_typeEPNSO_ISJ_E10value_typeEPSK_NS1_7vsmem_tEENKUlT_SI_SJ_SK_E_clISD_PsSD_S10_EESH_SX_SI_SJ_SK_EUlSX_E0_NS1_11comp_targetILNS1_3genE9ELNS1_11target_archE1100ELNS1_3gpuE3ELNS1_3repE0EEENS1_38merge_mergepath_config_static_selectorELNS0_4arch9wavefront6targetE1EEEvSJ_
		.amdhsa_group_segment_fixed_size 0
		.amdhsa_private_segment_fixed_size 0
		.amdhsa_kernarg_size 64
		.amdhsa_user_sgpr_count 2
		.amdhsa_user_sgpr_dispatch_ptr 0
		.amdhsa_user_sgpr_queue_ptr 0
		.amdhsa_user_sgpr_kernarg_segment_ptr 1
		.amdhsa_user_sgpr_dispatch_id 0
		.amdhsa_user_sgpr_kernarg_preload_length 0
		.amdhsa_user_sgpr_kernarg_preload_offset 0
		.amdhsa_user_sgpr_private_segment_size 0
		.amdhsa_uses_dynamic_stack 0
		.amdhsa_enable_private_segment 0
		.amdhsa_system_sgpr_workgroup_id_x 1
		.amdhsa_system_sgpr_workgroup_id_y 0
		.amdhsa_system_sgpr_workgroup_id_z 0
		.amdhsa_system_sgpr_workgroup_info 0
		.amdhsa_system_vgpr_workitem_id 0
		.amdhsa_next_free_vgpr 1
		.amdhsa_next_free_sgpr 0
		.amdhsa_accum_offset 4
		.amdhsa_reserve_vcc 0
		.amdhsa_float_round_mode_32 0
		.amdhsa_float_round_mode_16_64 0
		.amdhsa_float_denorm_mode_32 3
		.amdhsa_float_denorm_mode_16_64 3
		.amdhsa_dx10_clamp 1
		.amdhsa_ieee_mode 1
		.amdhsa_fp16_overflow 0
		.amdhsa_tg_split 0
		.amdhsa_exception_fp_ieee_invalid_op 0
		.amdhsa_exception_fp_denorm_src 0
		.amdhsa_exception_fp_ieee_div_zero 0
		.amdhsa_exception_fp_ieee_overflow 0
		.amdhsa_exception_fp_ieee_underflow 0
		.amdhsa_exception_fp_ieee_inexact 0
		.amdhsa_exception_int_div_zero 0
	.end_amdhsa_kernel
	.section	.text._ZN7rocprim17ROCPRIM_400000_NS6detail17trampoline_kernelINS0_14default_configENS1_38merge_sort_block_merge_config_selectorIssEEZZNS1_27merge_sort_block_merge_implIS3_N6thrust23THRUST_200600_302600_NS6detail15normal_iteratorINS8_10device_ptrIsEEEESD_jNS1_19radix_merge_compareILb0ELb0EsNS0_19identity_decomposerEEEEE10hipError_tT0_T1_T2_jT3_P12ihipStream_tbPNSt15iterator_traitsISI_E10value_typeEPNSO_ISJ_E10value_typeEPSK_NS1_7vsmem_tEENKUlT_SI_SJ_SK_E_clISD_PsSD_S10_EESH_SX_SI_SJ_SK_EUlSX_E0_NS1_11comp_targetILNS1_3genE9ELNS1_11target_archE1100ELNS1_3gpuE3ELNS1_3repE0EEENS1_38merge_mergepath_config_static_selectorELNS0_4arch9wavefront6targetE1EEEvSJ_,"axG",@progbits,_ZN7rocprim17ROCPRIM_400000_NS6detail17trampoline_kernelINS0_14default_configENS1_38merge_sort_block_merge_config_selectorIssEEZZNS1_27merge_sort_block_merge_implIS3_N6thrust23THRUST_200600_302600_NS6detail15normal_iteratorINS8_10device_ptrIsEEEESD_jNS1_19radix_merge_compareILb0ELb0EsNS0_19identity_decomposerEEEEE10hipError_tT0_T1_T2_jT3_P12ihipStream_tbPNSt15iterator_traitsISI_E10value_typeEPNSO_ISJ_E10value_typeEPSK_NS1_7vsmem_tEENKUlT_SI_SJ_SK_E_clISD_PsSD_S10_EESH_SX_SI_SJ_SK_EUlSX_E0_NS1_11comp_targetILNS1_3genE9ELNS1_11target_archE1100ELNS1_3gpuE3ELNS1_3repE0EEENS1_38merge_mergepath_config_static_selectorELNS0_4arch9wavefront6targetE1EEEvSJ_,comdat
.Lfunc_end1548:
	.size	_ZN7rocprim17ROCPRIM_400000_NS6detail17trampoline_kernelINS0_14default_configENS1_38merge_sort_block_merge_config_selectorIssEEZZNS1_27merge_sort_block_merge_implIS3_N6thrust23THRUST_200600_302600_NS6detail15normal_iteratorINS8_10device_ptrIsEEEESD_jNS1_19radix_merge_compareILb0ELb0EsNS0_19identity_decomposerEEEEE10hipError_tT0_T1_T2_jT3_P12ihipStream_tbPNSt15iterator_traitsISI_E10value_typeEPNSO_ISJ_E10value_typeEPSK_NS1_7vsmem_tEENKUlT_SI_SJ_SK_E_clISD_PsSD_S10_EESH_SX_SI_SJ_SK_EUlSX_E0_NS1_11comp_targetILNS1_3genE9ELNS1_11target_archE1100ELNS1_3gpuE3ELNS1_3repE0EEENS1_38merge_mergepath_config_static_selectorELNS0_4arch9wavefront6targetE1EEEvSJ_, .Lfunc_end1548-_ZN7rocprim17ROCPRIM_400000_NS6detail17trampoline_kernelINS0_14default_configENS1_38merge_sort_block_merge_config_selectorIssEEZZNS1_27merge_sort_block_merge_implIS3_N6thrust23THRUST_200600_302600_NS6detail15normal_iteratorINS8_10device_ptrIsEEEESD_jNS1_19radix_merge_compareILb0ELb0EsNS0_19identity_decomposerEEEEE10hipError_tT0_T1_T2_jT3_P12ihipStream_tbPNSt15iterator_traitsISI_E10value_typeEPNSO_ISJ_E10value_typeEPSK_NS1_7vsmem_tEENKUlT_SI_SJ_SK_E_clISD_PsSD_S10_EESH_SX_SI_SJ_SK_EUlSX_E0_NS1_11comp_targetILNS1_3genE9ELNS1_11target_archE1100ELNS1_3gpuE3ELNS1_3repE0EEENS1_38merge_mergepath_config_static_selectorELNS0_4arch9wavefront6targetE1EEEvSJ_
                                        ; -- End function
	.set _ZN7rocprim17ROCPRIM_400000_NS6detail17trampoline_kernelINS0_14default_configENS1_38merge_sort_block_merge_config_selectorIssEEZZNS1_27merge_sort_block_merge_implIS3_N6thrust23THRUST_200600_302600_NS6detail15normal_iteratorINS8_10device_ptrIsEEEESD_jNS1_19radix_merge_compareILb0ELb0EsNS0_19identity_decomposerEEEEE10hipError_tT0_T1_T2_jT3_P12ihipStream_tbPNSt15iterator_traitsISI_E10value_typeEPNSO_ISJ_E10value_typeEPSK_NS1_7vsmem_tEENKUlT_SI_SJ_SK_E_clISD_PsSD_S10_EESH_SX_SI_SJ_SK_EUlSX_E0_NS1_11comp_targetILNS1_3genE9ELNS1_11target_archE1100ELNS1_3gpuE3ELNS1_3repE0EEENS1_38merge_mergepath_config_static_selectorELNS0_4arch9wavefront6targetE1EEEvSJ_.num_vgpr, 0
	.set _ZN7rocprim17ROCPRIM_400000_NS6detail17trampoline_kernelINS0_14default_configENS1_38merge_sort_block_merge_config_selectorIssEEZZNS1_27merge_sort_block_merge_implIS3_N6thrust23THRUST_200600_302600_NS6detail15normal_iteratorINS8_10device_ptrIsEEEESD_jNS1_19radix_merge_compareILb0ELb0EsNS0_19identity_decomposerEEEEE10hipError_tT0_T1_T2_jT3_P12ihipStream_tbPNSt15iterator_traitsISI_E10value_typeEPNSO_ISJ_E10value_typeEPSK_NS1_7vsmem_tEENKUlT_SI_SJ_SK_E_clISD_PsSD_S10_EESH_SX_SI_SJ_SK_EUlSX_E0_NS1_11comp_targetILNS1_3genE9ELNS1_11target_archE1100ELNS1_3gpuE3ELNS1_3repE0EEENS1_38merge_mergepath_config_static_selectorELNS0_4arch9wavefront6targetE1EEEvSJ_.num_agpr, 0
	.set _ZN7rocprim17ROCPRIM_400000_NS6detail17trampoline_kernelINS0_14default_configENS1_38merge_sort_block_merge_config_selectorIssEEZZNS1_27merge_sort_block_merge_implIS3_N6thrust23THRUST_200600_302600_NS6detail15normal_iteratorINS8_10device_ptrIsEEEESD_jNS1_19radix_merge_compareILb0ELb0EsNS0_19identity_decomposerEEEEE10hipError_tT0_T1_T2_jT3_P12ihipStream_tbPNSt15iterator_traitsISI_E10value_typeEPNSO_ISJ_E10value_typeEPSK_NS1_7vsmem_tEENKUlT_SI_SJ_SK_E_clISD_PsSD_S10_EESH_SX_SI_SJ_SK_EUlSX_E0_NS1_11comp_targetILNS1_3genE9ELNS1_11target_archE1100ELNS1_3gpuE3ELNS1_3repE0EEENS1_38merge_mergepath_config_static_selectorELNS0_4arch9wavefront6targetE1EEEvSJ_.numbered_sgpr, 0
	.set _ZN7rocprim17ROCPRIM_400000_NS6detail17trampoline_kernelINS0_14default_configENS1_38merge_sort_block_merge_config_selectorIssEEZZNS1_27merge_sort_block_merge_implIS3_N6thrust23THRUST_200600_302600_NS6detail15normal_iteratorINS8_10device_ptrIsEEEESD_jNS1_19radix_merge_compareILb0ELb0EsNS0_19identity_decomposerEEEEE10hipError_tT0_T1_T2_jT3_P12ihipStream_tbPNSt15iterator_traitsISI_E10value_typeEPNSO_ISJ_E10value_typeEPSK_NS1_7vsmem_tEENKUlT_SI_SJ_SK_E_clISD_PsSD_S10_EESH_SX_SI_SJ_SK_EUlSX_E0_NS1_11comp_targetILNS1_3genE9ELNS1_11target_archE1100ELNS1_3gpuE3ELNS1_3repE0EEENS1_38merge_mergepath_config_static_selectorELNS0_4arch9wavefront6targetE1EEEvSJ_.num_named_barrier, 0
	.set _ZN7rocprim17ROCPRIM_400000_NS6detail17trampoline_kernelINS0_14default_configENS1_38merge_sort_block_merge_config_selectorIssEEZZNS1_27merge_sort_block_merge_implIS3_N6thrust23THRUST_200600_302600_NS6detail15normal_iteratorINS8_10device_ptrIsEEEESD_jNS1_19radix_merge_compareILb0ELb0EsNS0_19identity_decomposerEEEEE10hipError_tT0_T1_T2_jT3_P12ihipStream_tbPNSt15iterator_traitsISI_E10value_typeEPNSO_ISJ_E10value_typeEPSK_NS1_7vsmem_tEENKUlT_SI_SJ_SK_E_clISD_PsSD_S10_EESH_SX_SI_SJ_SK_EUlSX_E0_NS1_11comp_targetILNS1_3genE9ELNS1_11target_archE1100ELNS1_3gpuE3ELNS1_3repE0EEENS1_38merge_mergepath_config_static_selectorELNS0_4arch9wavefront6targetE1EEEvSJ_.private_seg_size, 0
	.set _ZN7rocprim17ROCPRIM_400000_NS6detail17trampoline_kernelINS0_14default_configENS1_38merge_sort_block_merge_config_selectorIssEEZZNS1_27merge_sort_block_merge_implIS3_N6thrust23THRUST_200600_302600_NS6detail15normal_iteratorINS8_10device_ptrIsEEEESD_jNS1_19radix_merge_compareILb0ELb0EsNS0_19identity_decomposerEEEEE10hipError_tT0_T1_T2_jT3_P12ihipStream_tbPNSt15iterator_traitsISI_E10value_typeEPNSO_ISJ_E10value_typeEPSK_NS1_7vsmem_tEENKUlT_SI_SJ_SK_E_clISD_PsSD_S10_EESH_SX_SI_SJ_SK_EUlSX_E0_NS1_11comp_targetILNS1_3genE9ELNS1_11target_archE1100ELNS1_3gpuE3ELNS1_3repE0EEENS1_38merge_mergepath_config_static_selectorELNS0_4arch9wavefront6targetE1EEEvSJ_.uses_vcc, 0
	.set _ZN7rocprim17ROCPRIM_400000_NS6detail17trampoline_kernelINS0_14default_configENS1_38merge_sort_block_merge_config_selectorIssEEZZNS1_27merge_sort_block_merge_implIS3_N6thrust23THRUST_200600_302600_NS6detail15normal_iteratorINS8_10device_ptrIsEEEESD_jNS1_19radix_merge_compareILb0ELb0EsNS0_19identity_decomposerEEEEE10hipError_tT0_T1_T2_jT3_P12ihipStream_tbPNSt15iterator_traitsISI_E10value_typeEPNSO_ISJ_E10value_typeEPSK_NS1_7vsmem_tEENKUlT_SI_SJ_SK_E_clISD_PsSD_S10_EESH_SX_SI_SJ_SK_EUlSX_E0_NS1_11comp_targetILNS1_3genE9ELNS1_11target_archE1100ELNS1_3gpuE3ELNS1_3repE0EEENS1_38merge_mergepath_config_static_selectorELNS0_4arch9wavefront6targetE1EEEvSJ_.uses_flat_scratch, 0
	.set _ZN7rocprim17ROCPRIM_400000_NS6detail17trampoline_kernelINS0_14default_configENS1_38merge_sort_block_merge_config_selectorIssEEZZNS1_27merge_sort_block_merge_implIS3_N6thrust23THRUST_200600_302600_NS6detail15normal_iteratorINS8_10device_ptrIsEEEESD_jNS1_19radix_merge_compareILb0ELb0EsNS0_19identity_decomposerEEEEE10hipError_tT0_T1_T2_jT3_P12ihipStream_tbPNSt15iterator_traitsISI_E10value_typeEPNSO_ISJ_E10value_typeEPSK_NS1_7vsmem_tEENKUlT_SI_SJ_SK_E_clISD_PsSD_S10_EESH_SX_SI_SJ_SK_EUlSX_E0_NS1_11comp_targetILNS1_3genE9ELNS1_11target_archE1100ELNS1_3gpuE3ELNS1_3repE0EEENS1_38merge_mergepath_config_static_selectorELNS0_4arch9wavefront6targetE1EEEvSJ_.has_dyn_sized_stack, 0
	.set _ZN7rocprim17ROCPRIM_400000_NS6detail17trampoline_kernelINS0_14default_configENS1_38merge_sort_block_merge_config_selectorIssEEZZNS1_27merge_sort_block_merge_implIS3_N6thrust23THRUST_200600_302600_NS6detail15normal_iteratorINS8_10device_ptrIsEEEESD_jNS1_19radix_merge_compareILb0ELb0EsNS0_19identity_decomposerEEEEE10hipError_tT0_T1_T2_jT3_P12ihipStream_tbPNSt15iterator_traitsISI_E10value_typeEPNSO_ISJ_E10value_typeEPSK_NS1_7vsmem_tEENKUlT_SI_SJ_SK_E_clISD_PsSD_S10_EESH_SX_SI_SJ_SK_EUlSX_E0_NS1_11comp_targetILNS1_3genE9ELNS1_11target_archE1100ELNS1_3gpuE3ELNS1_3repE0EEENS1_38merge_mergepath_config_static_selectorELNS0_4arch9wavefront6targetE1EEEvSJ_.has_recursion, 0
	.set _ZN7rocprim17ROCPRIM_400000_NS6detail17trampoline_kernelINS0_14default_configENS1_38merge_sort_block_merge_config_selectorIssEEZZNS1_27merge_sort_block_merge_implIS3_N6thrust23THRUST_200600_302600_NS6detail15normal_iteratorINS8_10device_ptrIsEEEESD_jNS1_19radix_merge_compareILb0ELb0EsNS0_19identity_decomposerEEEEE10hipError_tT0_T1_T2_jT3_P12ihipStream_tbPNSt15iterator_traitsISI_E10value_typeEPNSO_ISJ_E10value_typeEPSK_NS1_7vsmem_tEENKUlT_SI_SJ_SK_E_clISD_PsSD_S10_EESH_SX_SI_SJ_SK_EUlSX_E0_NS1_11comp_targetILNS1_3genE9ELNS1_11target_archE1100ELNS1_3gpuE3ELNS1_3repE0EEENS1_38merge_mergepath_config_static_selectorELNS0_4arch9wavefront6targetE1EEEvSJ_.has_indirect_call, 0
	.section	.AMDGPU.csdata,"",@progbits
; Kernel info:
; codeLenInByte = 0
; TotalNumSgprs: 6
; NumVgprs: 0
; NumAgprs: 0
; TotalNumVgprs: 0
; ScratchSize: 0
; MemoryBound: 0
; FloatMode: 240
; IeeeMode: 1
; LDSByteSize: 0 bytes/workgroup (compile time only)
; SGPRBlocks: 0
; VGPRBlocks: 0
; NumSGPRsForWavesPerEU: 6
; NumVGPRsForWavesPerEU: 1
; AccumOffset: 4
; Occupancy: 8
; WaveLimiterHint : 0
; COMPUTE_PGM_RSRC2:SCRATCH_EN: 0
; COMPUTE_PGM_RSRC2:USER_SGPR: 2
; COMPUTE_PGM_RSRC2:TRAP_HANDLER: 0
; COMPUTE_PGM_RSRC2:TGID_X_EN: 1
; COMPUTE_PGM_RSRC2:TGID_Y_EN: 0
; COMPUTE_PGM_RSRC2:TGID_Z_EN: 0
; COMPUTE_PGM_RSRC2:TIDIG_COMP_CNT: 0
; COMPUTE_PGM_RSRC3_GFX90A:ACCUM_OFFSET: 0
; COMPUTE_PGM_RSRC3_GFX90A:TG_SPLIT: 0
	.section	.text._ZN7rocprim17ROCPRIM_400000_NS6detail17trampoline_kernelINS0_14default_configENS1_38merge_sort_block_merge_config_selectorIssEEZZNS1_27merge_sort_block_merge_implIS3_N6thrust23THRUST_200600_302600_NS6detail15normal_iteratorINS8_10device_ptrIsEEEESD_jNS1_19radix_merge_compareILb0ELb0EsNS0_19identity_decomposerEEEEE10hipError_tT0_T1_T2_jT3_P12ihipStream_tbPNSt15iterator_traitsISI_E10value_typeEPNSO_ISJ_E10value_typeEPSK_NS1_7vsmem_tEENKUlT_SI_SJ_SK_E_clISD_PsSD_S10_EESH_SX_SI_SJ_SK_EUlSX_E0_NS1_11comp_targetILNS1_3genE8ELNS1_11target_archE1030ELNS1_3gpuE2ELNS1_3repE0EEENS1_38merge_mergepath_config_static_selectorELNS0_4arch9wavefront6targetE1EEEvSJ_,"axG",@progbits,_ZN7rocprim17ROCPRIM_400000_NS6detail17trampoline_kernelINS0_14default_configENS1_38merge_sort_block_merge_config_selectorIssEEZZNS1_27merge_sort_block_merge_implIS3_N6thrust23THRUST_200600_302600_NS6detail15normal_iteratorINS8_10device_ptrIsEEEESD_jNS1_19radix_merge_compareILb0ELb0EsNS0_19identity_decomposerEEEEE10hipError_tT0_T1_T2_jT3_P12ihipStream_tbPNSt15iterator_traitsISI_E10value_typeEPNSO_ISJ_E10value_typeEPSK_NS1_7vsmem_tEENKUlT_SI_SJ_SK_E_clISD_PsSD_S10_EESH_SX_SI_SJ_SK_EUlSX_E0_NS1_11comp_targetILNS1_3genE8ELNS1_11target_archE1030ELNS1_3gpuE2ELNS1_3repE0EEENS1_38merge_mergepath_config_static_selectorELNS0_4arch9wavefront6targetE1EEEvSJ_,comdat
	.protected	_ZN7rocprim17ROCPRIM_400000_NS6detail17trampoline_kernelINS0_14default_configENS1_38merge_sort_block_merge_config_selectorIssEEZZNS1_27merge_sort_block_merge_implIS3_N6thrust23THRUST_200600_302600_NS6detail15normal_iteratorINS8_10device_ptrIsEEEESD_jNS1_19radix_merge_compareILb0ELb0EsNS0_19identity_decomposerEEEEE10hipError_tT0_T1_T2_jT3_P12ihipStream_tbPNSt15iterator_traitsISI_E10value_typeEPNSO_ISJ_E10value_typeEPSK_NS1_7vsmem_tEENKUlT_SI_SJ_SK_E_clISD_PsSD_S10_EESH_SX_SI_SJ_SK_EUlSX_E0_NS1_11comp_targetILNS1_3genE8ELNS1_11target_archE1030ELNS1_3gpuE2ELNS1_3repE0EEENS1_38merge_mergepath_config_static_selectorELNS0_4arch9wavefront6targetE1EEEvSJ_ ; -- Begin function _ZN7rocprim17ROCPRIM_400000_NS6detail17trampoline_kernelINS0_14default_configENS1_38merge_sort_block_merge_config_selectorIssEEZZNS1_27merge_sort_block_merge_implIS3_N6thrust23THRUST_200600_302600_NS6detail15normal_iteratorINS8_10device_ptrIsEEEESD_jNS1_19radix_merge_compareILb0ELb0EsNS0_19identity_decomposerEEEEE10hipError_tT0_T1_T2_jT3_P12ihipStream_tbPNSt15iterator_traitsISI_E10value_typeEPNSO_ISJ_E10value_typeEPSK_NS1_7vsmem_tEENKUlT_SI_SJ_SK_E_clISD_PsSD_S10_EESH_SX_SI_SJ_SK_EUlSX_E0_NS1_11comp_targetILNS1_3genE8ELNS1_11target_archE1030ELNS1_3gpuE2ELNS1_3repE0EEENS1_38merge_mergepath_config_static_selectorELNS0_4arch9wavefront6targetE1EEEvSJ_
	.globl	_ZN7rocprim17ROCPRIM_400000_NS6detail17trampoline_kernelINS0_14default_configENS1_38merge_sort_block_merge_config_selectorIssEEZZNS1_27merge_sort_block_merge_implIS3_N6thrust23THRUST_200600_302600_NS6detail15normal_iteratorINS8_10device_ptrIsEEEESD_jNS1_19radix_merge_compareILb0ELb0EsNS0_19identity_decomposerEEEEE10hipError_tT0_T1_T2_jT3_P12ihipStream_tbPNSt15iterator_traitsISI_E10value_typeEPNSO_ISJ_E10value_typeEPSK_NS1_7vsmem_tEENKUlT_SI_SJ_SK_E_clISD_PsSD_S10_EESH_SX_SI_SJ_SK_EUlSX_E0_NS1_11comp_targetILNS1_3genE8ELNS1_11target_archE1030ELNS1_3gpuE2ELNS1_3repE0EEENS1_38merge_mergepath_config_static_selectorELNS0_4arch9wavefront6targetE1EEEvSJ_
	.p2align	8
	.type	_ZN7rocprim17ROCPRIM_400000_NS6detail17trampoline_kernelINS0_14default_configENS1_38merge_sort_block_merge_config_selectorIssEEZZNS1_27merge_sort_block_merge_implIS3_N6thrust23THRUST_200600_302600_NS6detail15normal_iteratorINS8_10device_ptrIsEEEESD_jNS1_19radix_merge_compareILb0ELb0EsNS0_19identity_decomposerEEEEE10hipError_tT0_T1_T2_jT3_P12ihipStream_tbPNSt15iterator_traitsISI_E10value_typeEPNSO_ISJ_E10value_typeEPSK_NS1_7vsmem_tEENKUlT_SI_SJ_SK_E_clISD_PsSD_S10_EESH_SX_SI_SJ_SK_EUlSX_E0_NS1_11comp_targetILNS1_3genE8ELNS1_11target_archE1030ELNS1_3gpuE2ELNS1_3repE0EEENS1_38merge_mergepath_config_static_selectorELNS0_4arch9wavefront6targetE1EEEvSJ_,@function
_ZN7rocprim17ROCPRIM_400000_NS6detail17trampoline_kernelINS0_14default_configENS1_38merge_sort_block_merge_config_selectorIssEEZZNS1_27merge_sort_block_merge_implIS3_N6thrust23THRUST_200600_302600_NS6detail15normal_iteratorINS8_10device_ptrIsEEEESD_jNS1_19radix_merge_compareILb0ELb0EsNS0_19identity_decomposerEEEEE10hipError_tT0_T1_T2_jT3_P12ihipStream_tbPNSt15iterator_traitsISI_E10value_typeEPNSO_ISJ_E10value_typeEPSK_NS1_7vsmem_tEENKUlT_SI_SJ_SK_E_clISD_PsSD_S10_EESH_SX_SI_SJ_SK_EUlSX_E0_NS1_11comp_targetILNS1_3genE8ELNS1_11target_archE1030ELNS1_3gpuE2ELNS1_3repE0EEENS1_38merge_mergepath_config_static_selectorELNS0_4arch9wavefront6targetE1EEEvSJ_: ; @_ZN7rocprim17ROCPRIM_400000_NS6detail17trampoline_kernelINS0_14default_configENS1_38merge_sort_block_merge_config_selectorIssEEZZNS1_27merge_sort_block_merge_implIS3_N6thrust23THRUST_200600_302600_NS6detail15normal_iteratorINS8_10device_ptrIsEEEESD_jNS1_19radix_merge_compareILb0ELb0EsNS0_19identity_decomposerEEEEE10hipError_tT0_T1_T2_jT3_P12ihipStream_tbPNSt15iterator_traitsISI_E10value_typeEPNSO_ISJ_E10value_typeEPSK_NS1_7vsmem_tEENKUlT_SI_SJ_SK_E_clISD_PsSD_S10_EESH_SX_SI_SJ_SK_EUlSX_E0_NS1_11comp_targetILNS1_3genE8ELNS1_11target_archE1030ELNS1_3gpuE2ELNS1_3repE0EEENS1_38merge_mergepath_config_static_selectorELNS0_4arch9wavefront6targetE1EEEvSJ_
; %bb.0:
	.section	.rodata,"a",@progbits
	.p2align	6, 0x0
	.amdhsa_kernel _ZN7rocprim17ROCPRIM_400000_NS6detail17trampoline_kernelINS0_14default_configENS1_38merge_sort_block_merge_config_selectorIssEEZZNS1_27merge_sort_block_merge_implIS3_N6thrust23THRUST_200600_302600_NS6detail15normal_iteratorINS8_10device_ptrIsEEEESD_jNS1_19radix_merge_compareILb0ELb0EsNS0_19identity_decomposerEEEEE10hipError_tT0_T1_T2_jT3_P12ihipStream_tbPNSt15iterator_traitsISI_E10value_typeEPNSO_ISJ_E10value_typeEPSK_NS1_7vsmem_tEENKUlT_SI_SJ_SK_E_clISD_PsSD_S10_EESH_SX_SI_SJ_SK_EUlSX_E0_NS1_11comp_targetILNS1_3genE8ELNS1_11target_archE1030ELNS1_3gpuE2ELNS1_3repE0EEENS1_38merge_mergepath_config_static_selectorELNS0_4arch9wavefront6targetE1EEEvSJ_
		.amdhsa_group_segment_fixed_size 0
		.amdhsa_private_segment_fixed_size 0
		.amdhsa_kernarg_size 64
		.amdhsa_user_sgpr_count 2
		.amdhsa_user_sgpr_dispatch_ptr 0
		.amdhsa_user_sgpr_queue_ptr 0
		.amdhsa_user_sgpr_kernarg_segment_ptr 1
		.amdhsa_user_sgpr_dispatch_id 0
		.amdhsa_user_sgpr_kernarg_preload_length 0
		.amdhsa_user_sgpr_kernarg_preload_offset 0
		.amdhsa_user_sgpr_private_segment_size 0
		.amdhsa_uses_dynamic_stack 0
		.amdhsa_enable_private_segment 0
		.amdhsa_system_sgpr_workgroup_id_x 1
		.amdhsa_system_sgpr_workgroup_id_y 0
		.amdhsa_system_sgpr_workgroup_id_z 0
		.amdhsa_system_sgpr_workgroup_info 0
		.amdhsa_system_vgpr_workitem_id 0
		.amdhsa_next_free_vgpr 1
		.amdhsa_next_free_sgpr 0
		.amdhsa_accum_offset 4
		.amdhsa_reserve_vcc 0
		.amdhsa_float_round_mode_32 0
		.amdhsa_float_round_mode_16_64 0
		.amdhsa_float_denorm_mode_32 3
		.amdhsa_float_denorm_mode_16_64 3
		.amdhsa_dx10_clamp 1
		.amdhsa_ieee_mode 1
		.amdhsa_fp16_overflow 0
		.amdhsa_tg_split 0
		.amdhsa_exception_fp_ieee_invalid_op 0
		.amdhsa_exception_fp_denorm_src 0
		.amdhsa_exception_fp_ieee_div_zero 0
		.amdhsa_exception_fp_ieee_overflow 0
		.amdhsa_exception_fp_ieee_underflow 0
		.amdhsa_exception_fp_ieee_inexact 0
		.amdhsa_exception_int_div_zero 0
	.end_amdhsa_kernel
	.section	.text._ZN7rocprim17ROCPRIM_400000_NS6detail17trampoline_kernelINS0_14default_configENS1_38merge_sort_block_merge_config_selectorIssEEZZNS1_27merge_sort_block_merge_implIS3_N6thrust23THRUST_200600_302600_NS6detail15normal_iteratorINS8_10device_ptrIsEEEESD_jNS1_19radix_merge_compareILb0ELb0EsNS0_19identity_decomposerEEEEE10hipError_tT0_T1_T2_jT3_P12ihipStream_tbPNSt15iterator_traitsISI_E10value_typeEPNSO_ISJ_E10value_typeEPSK_NS1_7vsmem_tEENKUlT_SI_SJ_SK_E_clISD_PsSD_S10_EESH_SX_SI_SJ_SK_EUlSX_E0_NS1_11comp_targetILNS1_3genE8ELNS1_11target_archE1030ELNS1_3gpuE2ELNS1_3repE0EEENS1_38merge_mergepath_config_static_selectorELNS0_4arch9wavefront6targetE1EEEvSJ_,"axG",@progbits,_ZN7rocprim17ROCPRIM_400000_NS6detail17trampoline_kernelINS0_14default_configENS1_38merge_sort_block_merge_config_selectorIssEEZZNS1_27merge_sort_block_merge_implIS3_N6thrust23THRUST_200600_302600_NS6detail15normal_iteratorINS8_10device_ptrIsEEEESD_jNS1_19radix_merge_compareILb0ELb0EsNS0_19identity_decomposerEEEEE10hipError_tT0_T1_T2_jT3_P12ihipStream_tbPNSt15iterator_traitsISI_E10value_typeEPNSO_ISJ_E10value_typeEPSK_NS1_7vsmem_tEENKUlT_SI_SJ_SK_E_clISD_PsSD_S10_EESH_SX_SI_SJ_SK_EUlSX_E0_NS1_11comp_targetILNS1_3genE8ELNS1_11target_archE1030ELNS1_3gpuE2ELNS1_3repE0EEENS1_38merge_mergepath_config_static_selectorELNS0_4arch9wavefront6targetE1EEEvSJ_,comdat
.Lfunc_end1549:
	.size	_ZN7rocprim17ROCPRIM_400000_NS6detail17trampoline_kernelINS0_14default_configENS1_38merge_sort_block_merge_config_selectorIssEEZZNS1_27merge_sort_block_merge_implIS3_N6thrust23THRUST_200600_302600_NS6detail15normal_iteratorINS8_10device_ptrIsEEEESD_jNS1_19radix_merge_compareILb0ELb0EsNS0_19identity_decomposerEEEEE10hipError_tT0_T1_T2_jT3_P12ihipStream_tbPNSt15iterator_traitsISI_E10value_typeEPNSO_ISJ_E10value_typeEPSK_NS1_7vsmem_tEENKUlT_SI_SJ_SK_E_clISD_PsSD_S10_EESH_SX_SI_SJ_SK_EUlSX_E0_NS1_11comp_targetILNS1_3genE8ELNS1_11target_archE1030ELNS1_3gpuE2ELNS1_3repE0EEENS1_38merge_mergepath_config_static_selectorELNS0_4arch9wavefront6targetE1EEEvSJ_, .Lfunc_end1549-_ZN7rocprim17ROCPRIM_400000_NS6detail17trampoline_kernelINS0_14default_configENS1_38merge_sort_block_merge_config_selectorIssEEZZNS1_27merge_sort_block_merge_implIS3_N6thrust23THRUST_200600_302600_NS6detail15normal_iteratorINS8_10device_ptrIsEEEESD_jNS1_19radix_merge_compareILb0ELb0EsNS0_19identity_decomposerEEEEE10hipError_tT0_T1_T2_jT3_P12ihipStream_tbPNSt15iterator_traitsISI_E10value_typeEPNSO_ISJ_E10value_typeEPSK_NS1_7vsmem_tEENKUlT_SI_SJ_SK_E_clISD_PsSD_S10_EESH_SX_SI_SJ_SK_EUlSX_E0_NS1_11comp_targetILNS1_3genE8ELNS1_11target_archE1030ELNS1_3gpuE2ELNS1_3repE0EEENS1_38merge_mergepath_config_static_selectorELNS0_4arch9wavefront6targetE1EEEvSJ_
                                        ; -- End function
	.set _ZN7rocprim17ROCPRIM_400000_NS6detail17trampoline_kernelINS0_14default_configENS1_38merge_sort_block_merge_config_selectorIssEEZZNS1_27merge_sort_block_merge_implIS3_N6thrust23THRUST_200600_302600_NS6detail15normal_iteratorINS8_10device_ptrIsEEEESD_jNS1_19radix_merge_compareILb0ELb0EsNS0_19identity_decomposerEEEEE10hipError_tT0_T1_T2_jT3_P12ihipStream_tbPNSt15iterator_traitsISI_E10value_typeEPNSO_ISJ_E10value_typeEPSK_NS1_7vsmem_tEENKUlT_SI_SJ_SK_E_clISD_PsSD_S10_EESH_SX_SI_SJ_SK_EUlSX_E0_NS1_11comp_targetILNS1_3genE8ELNS1_11target_archE1030ELNS1_3gpuE2ELNS1_3repE0EEENS1_38merge_mergepath_config_static_selectorELNS0_4arch9wavefront6targetE1EEEvSJ_.num_vgpr, 0
	.set _ZN7rocprim17ROCPRIM_400000_NS6detail17trampoline_kernelINS0_14default_configENS1_38merge_sort_block_merge_config_selectorIssEEZZNS1_27merge_sort_block_merge_implIS3_N6thrust23THRUST_200600_302600_NS6detail15normal_iteratorINS8_10device_ptrIsEEEESD_jNS1_19radix_merge_compareILb0ELb0EsNS0_19identity_decomposerEEEEE10hipError_tT0_T1_T2_jT3_P12ihipStream_tbPNSt15iterator_traitsISI_E10value_typeEPNSO_ISJ_E10value_typeEPSK_NS1_7vsmem_tEENKUlT_SI_SJ_SK_E_clISD_PsSD_S10_EESH_SX_SI_SJ_SK_EUlSX_E0_NS1_11comp_targetILNS1_3genE8ELNS1_11target_archE1030ELNS1_3gpuE2ELNS1_3repE0EEENS1_38merge_mergepath_config_static_selectorELNS0_4arch9wavefront6targetE1EEEvSJ_.num_agpr, 0
	.set _ZN7rocprim17ROCPRIM_400000_NS6detail17trampoline_kernelINS0_14default_configENS1_38merge_sort_block_merge_config_selectorIssEEZZNS1_27merge_sort_block_merge_implIS3_N6thrust23THRUST_200600_302600_NS6detail15normal_iteratorINS8_10device_ptrIsEEEESD_jNS1_19radix_merge_compareILb0ELb0EsNS0_19identity_decomposerEEEEE10hipError_tT0_T1_T2_jT3_P12ihipStream_tbPNSt15iterator_traitsISI_E10value_typeEPNSO_ISJ_E10value_typeEPSK_NS1_7vsmem_tEENKUlT_SI_SJ_SK_E_clISD_PsSD_S10_EESH_SX_SI_SJ_SK_EUlSX_E0_NS1_11comp_targetILNS1_3genE8ELNS1_11target_archE1030ELNS1_3gpuE2ELNS1_3repE0EEENS1_38merge_mergepath_config_static_selectorELNS0_4arch9wavefront6targetE1EEEvSJ_.numbered_sgpr, 0
	.set _ZN7rocprim17ROCPRIM_400000_NS6detail17trampoline_kernelINS0_14default_configENS1_38merge_sort_block_merge_config_selectorIssEEZZNS1_27merge_sort_block_merge_implIS3_N6thrust23THRUST_200600_302600_NS6detail15normal_iteratorINS8_10device_ptrIsEEEESD_jNS1_19radix_merge_compareILb0ELb0EsNS0_19identity_decomposerEEEEE10hipError_tT0_T1_T2_jT3_P12ihipStream_tbPNSt15iterator_traitsISI_E10value_typeEPNSO_ISJ_E10value_typeEPSK_NS1_7vsmem_tEENKUlT_SI_SJ_SK_E_clISD_PsSD_S10_EESH_SX_SI_SJ_SK_EUlSX_E0_NS1_11comp_targetILNS1_3genE8ELNS1_11target_archE1030ELNS1_3gpuE2ELNS1_3repE0EEENS1_38merge_mergepath_config_static_selectorELNS0_4arch9wavefront6targetE1EEEvSJ_.num_named_barrier, 0
	.set _ZN7rocprim17ROCPRIM_400000_NS6detail17trampoline_kernelINS0_14default_configENS1_38merge_sort_block_merge_config_selectorIssEEZZNS1_27merge_sort_block_merge_implIS3_N6thrust23THRUST_200600_302600_NS6detail15normal_iteratorINS8_10device_ptrIsEEEESD_jNS1_19radix_merge_compareILb0ELb0EsNS0_19identity_decomposerEEEEE10hipError_tT0_T1_T2_jT3_P12ihipStream_tbPNSt15iterator_traitsISI_E10value_typeEPNSO_ISJ_E10value_typeEPSK_NS1_7vsmem_tEENKUlT_SI_SJ_SK_E_clISD_PsSD_S10_EESH_SX_SI_SJ_SK_EUlSX_E0_NS1_11comp_targetILNS1_3genE8ELNS1_11target_archE1030ELNS1_3gpuE2ELNS1_3repE0EEENS1_38merge_mergepath_config_static_selectorELNS0_4arch9wavefront6targetE1EEEvSJ_.private_seg_size, 0
	.set _ZN7rocprim17ROCPRIM_400000_NS6detail17trampoline_kernelINS0_14default_configENS1_38merge_sort_block_merge_config_selectorIssEEZZNS1_27merge_sort_block_merge_implIS3_N6thrust23THRUST_200600_302600_NS6detail15normal_iteratorINS8_10device_ptrIsEEEESD_jNS1_19radix_merge_compareILb0ELb0EsNS0_19identity_decomposerEEEEE10hipError_tT0_T1_T2_jT3_P12ihipStream_tbPNSt15iterator_traitsISI_E10value_typeEPNSO_ISJ_E10value_typeEPSK_NS1_7vsmem_tEENKUlT_SI_SJ_SK_E_clISD_PsSD_S10_EESH_SX_SI_SJ_SK_EUlSX_E0_NS1_11comp_targetILNS1_3genE8ELNS1_11target_archE1030ELNS1_3gpuE2ELNS1_3repE0EEENS1_38merge_mergepath_config_static_selectorELNS0_4arch9wavefront6targetE1EEEvSJ_.uses_vcc, 0
	.set _ZN7rocprim17ROCPRIM_400000_NS6detail17trampoline_kernelINS0_14default_configENS1_38merge_sort_block_merge_config_selectorIssEEZZNS1_27merge_sort_block_merge_implIS3_N6thrust23THRUST_200600_302600_NS6detail15normal_iteratorINS8_10device_ptrIsEEEESD_jNS1_19radix_merge_compareILb0ELb0EsNS0_19identity_decomposerEEEEE10hipError_tT0_T1_T2_jT3_P12ihipStream_tbPNSt15iterator_traitsISI_E10value_typeEPNSO_ISJ_E10value_typeEPSK_NS1_7vsmem_tEENKUlT_SI_SJ_SK_E_clISD_PsSD_S10_EESH_SX_SI_SJ_SK_EUlSX_E0_NS1_11comp_targetILNS1_3genE8ELNS1_11target_archE1030ELNS1_3gpuE2ELNS1_3repE0EEENS1_38merge_mergepath_config_static_selectorELNS0_4arch9wavefront6targetE1EEEvSJ_.uses_flat_scratch, 0
	.set _ZN7rocprim17ROCPRIM_400000_NS6detail17trampoline_kernelINS0_14default_configENS1_38merge_sort_block_merge_config_selectorIssEEZZNS1_27merge_sort_block_merge_implIS3_N6thrust23THRUST_200600_302600_NS6detail15normal_iteratorINS8_10device_ptrIsEEEESD_jNS1_19radix_merge_compareILb0ELb0EsNS0_19identity_decomposerEEEEE10hipError_tT0_T1_T2_jT3_P12ihipStream_tbPNSt15iterator_traitsISI_E10value_typeEPNSO_ISJ_E10value_typeEPSK_NS1_7vsmem_tEENKUlT_SI_SJ_SK_E_clISD_PsSD_S10_EESH_SX_SI_SJ_SK_EUlSX_E0_NS1_11comp_targetILNS1_3genE8ELNS1_11target_archE1030ELNS1_3gpuE2ELNS1_3repE0EEENS1_38merge_mergepath_config_static_selectorELNS0_4arch9wavefront6targetE1EEEvSJ_.has_dyn_sized_stack, 0
	.set _ZN7rocprim17ROCPRIM_400000_NS6detail17trampoline_kernelINS0_14default_configENS1_38merge_sort_block_merge_config_selectorIssEEZZNS1_27merge_sort_block_merge_implIS3_N6thrust23THRUST_200600_302600_NS6detail15normal_iteratorINS8_10device_ptrIsEEEESD_jNS1_19radix_merge_compareILb0ELb0EsNS0_19identity_decomposerEEEEE10hipError_tT0_T1_T2_jT3_P12ihipStream_tbPNSt15iterator_traitsISI_E10value_typeEPNSO_ISJ_E10value_typeEPSK_NS1_7vsmem_tEENKUlT_SI_SJ_SK_E_clISD_PsSD_S10_EESH_SX_SI_SJ_SK_EUlSX_E0_NS1_11comp_targetILNS1_3genE8ELNS1_11target_archE1030ELNS1_3gpuE2ELNS1_3repE0EEENS1_38merge_mergepath_config_static_selectorELNS0_4arch9wavefront6targetE1EEEvSJ_.has_recursion, 0
	.set _ZN7rocprim17ROCPRIM_400000_NS6detail17trampoline_kernelINS0_14default_configENS1_38merge_sort_block_merge_config_selectorIssEEZZNS1_27merge_sort_block_merge_implIS3_N6thrust23THRUST_200600_302600_NS6detail15normal_iteratorINS8_10device_ptrIsEEEESD_jNS1_19radix_merge_compareILb0ELb0EsNS0_19identity_decomposerEEEEE10hipError_tT0_T1_T2_jT3_P12ihipStream_tbPNSt15iterator_traitsISI_E10value_typeEPNSO_ISJ_E10value_typeEPSK_NS1_7vsmem_tEENKUlT_SI_SJ_SK_E_clISD_PsSD_S10_EESH_SX_SI_SJ_SK_EUlSX_E0_NS1_11comp_targetILNS1_3genE8ELNS1_11target_archE1030ELNS1_3gpuE2ELNS1_3repE0EEENS1_38merge_mergepath_config_static_selectorELNS0_4arch9wavefront6targetE1EEEvSJ_.has_indirect_call, 0
	.section	.AMDGPU.csdata,"",@progbits
; Kernel info:
; codeLenInByte = 0
; TotalNumSgprs: 6
; NumVgprs: 0
; NumAgprs: 0
; TotalNumVgprs: 0
; ScratchSize: 0
; MemoryBound: 0
; FloatMode: 240
; IeeeMode: 1
; LDSByteSize: 0 bytes/workgroup (compile time only)
; SGPRBlocks: 0
; VGPRBlocks: 0
; NumSGPRsForWavesPerEU: 6
; NumVGPRsForWavesPerEU: 1
; AccumOffset: 4
; Occupancy: 8
; WaveLimiterHint : 0
; COMPUTE_PGM_RSRC2:SCRATCH_EN: 0
; COMPUTE_PGM_RSRC2:USER_SGPR: 2
; COMPUTE_PGM_RSRC2:TRAP_HANDLER: 0
; COMPUTE_PGM_RSRC2:TGID_X_EN: 1
; COMPUTE_PGM_RSRC2:TGID_Y_EN: 0
; COMPUTE_PGM_RSRC2:TGID_Z_EN: 0
; COMPUTE_PGM_RSRC2:TIDIG_COMP_CNT: 0
; COMPUTE_PGM_RSRC3_GFX90A:ACCUM_OFFSET: 0
; COMPUTE_PGM_RSRC3_GFX90A:TG_SPLIT: 0
	.section	.text._ZN7rocprim17ROCPRIM_400000_NS6detail17trampoline_kernelINS0_14default_configENS1_38merge_sort_block_merge_config_selectorIssEEZZNS1_27merge_sort_block_merge_implIS3_N6thrust23THRUST_200600_302600_NS6detail15normal_iteratorINS8_10device_ptrIsEEEESD_jNS1_19radix_merge_compareILb0ELb0EsNS0_19identity_decomposerEEEEE10hipError_tT0_T1_T2_jT3_P12ihipStream_tbPNSt15iterator_traitsISI_E10value_typeEPNSO_ISJ_E10value_typeEPSK_NS1_7vsmem_tEENKUlT_SI_SJ_SK_E_clISD_PsSD_S10_EESH_SX_SI_SJ_SK_EUlSX_E1_NS1_11comp_targetILNS1_3genE0ELNS1_11target_archE4294967295ELNS1_3gpuE0ELNS1_3repE0EEENS1_36merge_oddeven_config_static_selectorELNS0_4arch9wavefront6targetE1EEEvSJ_,"axG",@progbits,_ZN7rocprim17ROCPRIM_400000_NS6detail17trampoline_kernelINS0_14default_configENS1_38merge_sort_block_merge_config_selectorIssEEZZNS1_27merge_sort_block_merge_implIS3_N6thrust23THRUST_200600_302600_NS6detail15normal_iteratorINS8_10device_ptrIsEEEESD_jNS1_19radix_merge_compareILb0ELb0EsNS0_19identity_decomposerEEEEE10hipError_tT0_T1_T2_jT3_P12ihipStream_tbPNSt15iterator_traitsISI_E10value_typeEPNSO_ISJ_E10value_typeEPSK_NS1_7vsmem_tEENKUlT_SI_SJ_SK_E_clISD_PsSD_S10_EESH_SX_SI_SJ_SK_EUlSX_E1_NS1_11comp_targetILNS1_3genE0ELNS1_11target_archE4294967295ELNS1_3gpuE0ELNS1_3repE0EEENS1_36merge_oddeven_config_static_selectorELNS0_4arch9wavefront6targetE1EEEvSJ_,comdat
	.protected	_ZN7rocprim17ROCPRIM_400000_NS6detail17trampoline_kernelINS0_14default_configENS1_38merge_sort_block_merge_config_selectorIssEEZZNS1_27merge_sort_block_merge_implIS3_N6thrust23THRUST_200600_302600_NS6detail15normal_iteratorINS8_10device_ptrIsEEEESD_jNS1_19radix_merge_compareILb0ELb0EsNS0_19identity_decomposerEEEEE10hipError_tT0_T1_T2_jT3_P12ihipStream_tbPNSt15iterator_traitsISI_E10value_typeEPNSO_ISJ_E10value_typeEPSK_NS1_7vsmem_tEENKUlT_SI_SJ_SK_E_clISD_PsSD_S10_EESH_SX_SI_SJ_SK_EUlSX_E1_NS1_11comp_targetILNS1_3genE0ELNS1_11target_archE4294967295ELNS1_3gpuE0ELNS1_3repE0EEENS1_36merge_oddeven_config_static_selectorELNS0_4arch9wavefront6targetE1EEEvSJ_ ; -- Begin function _ZN7rocprim17ROCPRIM_400000_NS6detail17trampoline_kernelINS0_14default_configENS1_38merge_sort_block_merge_config_selectorIssEEZZNS1_27merge_sort_block_merge_implIS3_N6thrust23THRUST_200600_302600_NS6detail15normal_iteratorINS8_10device_ptrIsEEEESD_jNS1_19radix_merge_compareILb0ELb0EsNS0_19identity_decomposerEEEEE10hipError_tT0_T1_T2_jT3_P12ihipStream_tbPNSt15iterator_traitsISI_E10value_typeEPNSO_ISJ_E10value_typeEPSK_NS1_7vsmem_tEENKUlT_SI_SJ_SK_E_clISD_PsSD_S10_EESH_SX_SI_SJ_SK_EUlSX_E1_NS1_11comp_targetILNS1_3genE0ELNS1_11target_archE4294967295ELNS1_3gpuE0ELNS1_3repE0EEENS1_36merge_oddeven_config_static_selectorELNS0_4arch9wavefront6targetE1EEEvSJ_
	.globl	_ZN7rocprim17ROCPRIM_400000_NS6detail17trampoline_kernelINS0_14default_configENS1_38merge_sort_block_merge_config_selectorIssEEZZNS1_27merge_sort_block_merge_implIS3_N6thrust23THRUST_200600_302600_NS6detail15normal_iteratorINS8_10device_ptrIsEEEESD_jNS1_19radix_merge_compareILb0ELb0EsNS0_19identity_decomposerEEEEE10hipError_tT0_T1_T2_jT3_P12ihipStream_tbPNSt15iterator_traitsISI_E10value_typeEPNSO_ISJ_E10value_typeEPSK_NS1_7vsmem_tEENKUlT_SI_SJ_SK_E_clISD_PsSD_S10_EESH_SX_SI_SJ_SK_EUlSX_E1_NS1_11comp_targetILNS1_3genE0ELNS1_11target_archE4294967295ELNS1_3gpuE0ELNS1_3repE0EEENS1_36merge_oddeven_config_static_selectorELNS0_4arch9wavefront6targetE1EEEvSJ_
	.p2align	8
	.type	_ZN7rocprim17ROCPRIM_400000_NS6detail17trampoline_kernelINS0_14default_configENS1_38merge_sort_block_merge_config_selectorIssEEZZNS1_27merge_sort_block_merge_implIS3_N6thrust23THRUST_200600_302600_NS6detail15normal_iteratorINS8_10device_ptrIsEEEESD_jNS1_19radix_merge_compareILb0ELb0EsNS0_19identity_decomposerEEEEE10hipError_tT0_T1_T2_jT3_P12ihipStream_tbPNSt15iterator_traitsISI_E10value_typeEPNSO_ISJ_E10value_typeEPSK_NS1_7vsmem_tEENKUlT_SI_SJ_SK_E_clISD_PsSD_S10_EESH_SX_SI_SJ_SK_EUlSX_E1_NS1_11comp_targetILNS1_3genE0ELNS1_11target_archE4294967295ELNS1_3gpuE0ELNS1_3repE0EEENS1_36merge_oddeven_config_static_selectorELNS0_4arch9wavefront6targetE1EEEvSJ_,@function
_ZN7rocprim17ROCPRIM_400000_NS6detail17trampoline_kernelINS0_14default_configENS1_38merge_sort_block_merge_config_selectorIssEEZZNS1_27merge_sort_block_merge_implIS3_N6thrust23THRUST_200600_302600_NS6detail15normal_iteratorINS8_10device_ptrIsEEEESD_jNS1_19radix_merge_compareILb0ELb0EsNS0_19identity_decomposerEEEEE10hipError_tT0_T1_T2_jT3_P12ihipStream_tbPNSt15iterator_traitsISI_E10value_typeEPNSO_ISJ_E10value_typeEPSK_NS1_7vsmem_tEENKUlT_SI_SJ_SK_E_clISD_PsSD_S10_EESH_SX_SI_SJ_SK_EUlSX_E1_NS1_11comp_targetILNS1_3genE0ELNS1_11target_archE4294967295ELNS1_3gpuE0ELNS1_3repE0EEENS1_36merge_oddeven_config_static_selectorELNS0_4arch9wavefront6targetE1EEEvSJ_: ; @_ZN7rocprim17ROCPRIM_400000_NS6detail17trampoline_kernelINS0_14default_configENS1_38merge_sort_block_merge_config_selectorIssEEZZNS1_27merge_sort_block_merge_implIS3_N6thrust23THRUST_200600_302600_NS6detail15normal_iteratorINS8_10device_ptrIsEEEESD_jNS1_19radix_merge_compareILb0ELb0EsNS0_19identity_decomposerEEEEE10hipError_tT0_T1_T2_jT3_P12ihipStream_tbPNSt15iterator_traitsISI_E10value_typeEPNSO_ISJ_E10value_typeEPSK_NS1_7vsmem_tEENKUlT_SI_SJ_SK_E_clISD_PsSD_S10_EESH_SX_SI_SJ_SK_EUlSX_E1_NS1_11comp_targetILNS1_3genE0ELNS1_11target_archE4294967295ELNS1_3gpuE0ELNS1_3repE0EEENS1_36merge_oddeven_config_static_selectorELNS0_4arch9wavefront6targetE1EEEvSJ_
; %bb.0:
	s_load_dword s18, s[0:1], 0x20
	s_waitcnt lgkmcnt(0)
	s_lshr_b32 s3, s18, 8
	s_cmp_eq_u32 s2, s3
	s_cselect_b64 s[6:7], -1, 0
	s_cmp_lg_u32 s2, s3
	s_cselect_b64 s[8:9], -1, 0
	s_lshl_b32 s16, s2, 8
	s_sub_i32 s3, s18, s16
	v_cmp_gt_u32_e64 s[4:5], s3, v0
	s_or_b64 s[8:9], s[8:9], s[4:5]
	s_and_saveexec_b64 s[10:11], s[8:9]
	s_cbranch_execz .LBB1550_24
; %bb.1:
	s_load_dwordx8 s[8:15], s[0:1], 0x0
	s_mov_b32 s17, 0
	s_lshl_b64 s[20:21], s[16:17], 1
	v_lshlrev_b32_e32 v1, 1, v0
	s_load_dword s17, s[0:1], 0x24
	s_waitcnt lgkmcnt(0)
	s_add_u32 s22, s8, s20
	s_addc_u32 s23, s9, s21
	s_add_u32 s12, s12, s20
	s_addc_u32 s13, s13, s21
	global_load_ushort v2, v1, s[12:13]
	global_load_ushort v3, v1, s[22:23]
	s_lshr_b32 s0, s17, 8
	s_sub_i32 s1, 0, s0
	s_and_b32 s1, s2, s1
	s_and_b32 s0, s1, s0
	s_lshl_b32 s19, s1, 8
	s_sub_i32 s12, 0, s17
	s_cmp_eq_u32 s0, 0
	s_cselect_b64 s[0:1], -1, 0
	s_and_b64 s[2:3], s[0:1], exec
	s_cselect_b32 s12, s17, s12
	s_add_i32 s12, s12, s19
	s_mov_b64 s[2:3], -1
	s_cmp_gt_u32 s18, s12
	v_add_u32_e32 v0, s16, v0
	s_cbranch_scc1 .LBB1550_9
; %bb.2:
	s_and_b64 vcc, exec, s[6:7]
	s_cbranch_vccz .LBB1550_6
; %bb.3:
	v_cmp_gt_u32_e32 vcc, s18, v0
	s_and_saveexec_b64 s[2:3], vcc
	s_cbranch_execz .LBB1550_5
; %bb.4:
	v_mov_b32_e32 v1, 0
	v_lshlrev_b64 v[4:5], 1, v[0:1]
	v_lshl_add_u64 v[6:7], s[10:11], 0, v[4:5]
	v_lshl_add_u64 v[4:5], s[14:15], 0, v[4:5]
	s_waitcnt vmcnt(0)
	global_store_short v[6:7], v3, off
	global_store_short v[4:5], v2, off
.LBB1550_5:
	s_or_b64 exec, exec, s[2:3]
	s_mov_b64 s[2:3], 0
.LBB1550_6:
	s_andn2_b64 vcc, exec, s[2:3]
	s_cbranch_vccnz .LBB1550_8
; %bb.7:
	v_mov_b32_e32 v1, 0
	v_lshlrev_b64 v[4:5], 1, v[0:1]
	v_lshl_add_u64 v[6:7], s[10:11], 0, v[4:5]
	v_lshl_add_u64 v[4:5], s[14:15], 0, v[4:5]
	s_waitcnt vmcnt(0)
	global_store_short v[6:7], v3, off
	global_store_short v[4:5], v2, off
.LBB1550_8:
	s_mov_b64 s[2:3], 0
.LBB1550_9:
	s_andn2_b64 vcc, exec, s[2:3]
	s_cbranch_vccnz .LBB1550_24
; %bb.10:
	s_min_u32 s13, s12, s18
	s_add_i32 s2, s13, s17
	s_min_u32 s16, s2, s18
	s_min_u32 s2, s19, s13
	s_add_i32 s19, s19, s13
	v_subrev_u32_e32 v0, s19, v0
	v_add_u32_e32 v0, s2, v0
	s_andn2_b64 vcc, exec, s[6:7]
	s_mov_b64 s[2:3], -1
	s_cbranch_vccnz .LBB1550_18
; %bb.11:
	s_and_saveexec_b64 s[2:3], s[4:5]
	s_cbranch_execz .LBB1550_17
; %bb.12:
	s_cmp_ge_u32 s12, s16
	v_mov_b32_e32 v1, s13
	s_cbranch_scc1 .LBB1550_16
; %bb.13:
	s_mov_b64 s[4:5], 0
	v_mov_b32_e32 v4, s16
	v_mov_b32_e32 v1, s13
.LBB1550_14:                            ; =>This Inner Loop Header: Depth=1
	v_add_u32_e32 v5, v1, v4
	v_and_b32_e32 v6, -2, v5
	global_load_ushort v6, v6, s[8:9]
	v_lshrrev_b32_e32 v5, 1, v5
	v_add_u32_e32 v7, 1, v5
	s_waitcnt vmcnt(0)
	v_cmp_gt_i16_e32 vcc, v3, v6
	s_nop 1
	v_cndmask_b32_e64 v8, 0, 1, vcc
	v_cmp_le_i16_e32 vcc, v6, v3
	s_nop 1
	v_cndmask_b32_e64 v6, 0, 1, vcc
	v_cndmask_b32_e64 v6, v6, v8, s[0:1]
	v_and_b32_e32 v6, 1, v6
	v_cmp_eq_u32_e32 vcc, 1, v6
	s_nop 1
	v_cndmask_b32_e32 v4, v5, v4, vcc
	v_cndmask_b32_e32 v1, v1, v7, vcc
	v_cmp_ge_u32_e32 vcc, v1, v4
	s_or_b64 s[4:5], vcc, s[4:5]
	s_andn2_b64 exec, exec, s[4:5]
	s_cbranch_execnz .LBB1550_14
; %bb.15:
	s_or_b64 exec, exec, s[4:5]
.LBB1550_16:
	v_add_u32_e32 v4, v1, v0
	v_mov_b32_e32 v5, 0
	v_lshlrev_b64 v[4:5], 1, v[4:5]
	v_lshl_add_u64 v[6:7], s[10:11], 0, v[4:5]
	v_lshl_add_u64 v[4:5], s[14:15], 0, v[4:5]
	s_waitcnt vmcnt(0)
	global_store_short v[6:7], v3, off
	global_store_short v[4:5], v2, off
.LBB1550_17:
	s_or_b64 exec, exec, s[2:3]
	s_mov_b64 s[2:3], 0
.LBB1550_18:
	s_andn2_b64 vcc, exec, s[2:3]
	s_cbranch_vccnz .LBB1550_24
; %bb.19:
	s_cmp_ge_u32 s12, s16
	v_mov_b32_e32 v1, s13
	s_cbranch_scc1 .LBB1550_23
; %bb.20:
	s_mov_b64 s[2:3], 0
	v_mov_b32_e32 v4, s16
	v_mov_b32_e32 v1, s13
.LBB1550_21:                            ; =>This Inner Loop Header: Depth=1
	v_add_u32_e32 v5, v1, v4
	v_and_b32_e32 v6, -2, v5
	global_load_ushort v6, v6, s[8:9]
	v_lshrrev_b32_e32 v5, 1, v5
	v_add_u32_e32 v7, 1, v5
	s_waitcnt vmcnt(0)
	v_cmp_gt_i16_e32 vcc, v3, v6
	s_nop 1
	v_cndmask_b32_e64 v8, 0, 1, vcc
	v_cmp_le_i16_e32 vcc, v6, v3
	s_nop 1
	v_cndmask_b32_e64 v6, 0, 1, vcc
	v_cndmask_b32_e64 v6, v6, v8, s[0:1]
	v_and_b32_e32 v6, 1, v6
	v_cmp_eq_u32_e32 vcc, 1, v6
	s_nop 1
	v_cndmask_b32_e32 v4, v5, v4, vcc
	v_cndmask_b32_e32 v1, v1, v7, vcc
	v_cmp_ge_u32_e32 vcc, v1, v4
	s_or_b64 s[2:3], vcc, s[2:3]
	s_andn2_b64 exec, exec, s[2:3]
	s_cbranch_execnz .LBB1550_21
; %bb.22:
	s_or_b64 exec, exec, s[2:3]
.LBB1550_23:
	v_add_u32_e32 v0, v1, v0
	v_mov_b32_e32 v1, 0
	v_lshlrev_b64 v[0:1], 1, v[0:1]
	v_lshl_add_u64 v[4:5], s[10:11], 0, v[0:1]
	v_lshl_add_u64 v[0:1], s[14:15], 0, v[0:1]
	s_waitcnt vmcnt(0)
	global_store_short v[4:5], v3, off
	global_store_short v[0:1], v2, off
.LBB1550_24:
	s_endpgm
	.section	.rodata,"a",@progbits
	.p2align	6, 0x0
	.amdhsa_kernel _ZN7rocprim17ROCPRIM_400000_NS6detail17trampoline_kernelINS0_14default_configENS1_38merge_sort_block_merge_config_selectorIssEEZZNS1_27merge_sort_block_merge_implIS3_N6thrust23THRUST_200600_302600_NS6detail15normal_iteratorINS8_10device_ptrIsEEEESD_jNS1_19radix_merge_compareILb0ELb0EsNS0_19identity_decomposerEEEEE10hipError_tT0_T1_T2_jT3_P12ihipStream_tbPNSt15iterator_traitsISI_E10value_typeEPNSO_ISJ_E10value_typeEPSK_NS1_7vsmem_tEENKUlT_SI_SJ_SK_E_clISD_PsSD_S10_EESH_SX_SI_SJ_SK_EUlSX_E1_NS1_11comp_targetILNS1_3genE0ELNS1_11target_archE4294967295ELNS1_3gpuE0ELNS1_3repE0EEENS1_36merge_oddeven_config_static_selectorELNS0_4arch9wavefront6targetE1EEEvSJ_
		.amdhsa_group_segment_fixed_size 0
		.amdhsa_private_segment_fixed_size 0
		.amdhsa_kernarg_size 48
		.amdhsa_user_sgpr_count 2
		.amdhsa_user_sgpr_dispatch_ptr 0
		.amdhsa_user_sgpr_queue_ptr 0
		.amdhsa_user_sgpr_kernarg_segment_ptr 1
		.amdhsa_user_sgpr_dispatch_id 0
		.amdhsa_user_sgpr_kernarg_preload_length 0
		.amdhsa_user_sgpr_kernarg_preload_offset 0
		.amdhsa_user_sgpr_private_segment_size 0
		.amdhsa_uses_dynamic_stack 0
		.amdhsa_enable_private_segment 0
		.amdhsa_system_sgpr_workgroup_id_x 1
		.amdhsa_system_sgpr_workgroup_id_y 0
		.amdhsa_system_sgpr_workgroup_id_z 0
		.amdhsa_system_sgpr_workgroup_info 0
		.amdhsa_system_vgpr_workitem_id 0
		.amdhsa_next_free_vgpr 9
		.amdhsa_next_free_sgpr 24
		.amdhsa_accum_offset 12
		.amdhsa_reserve_vcc 1
		.amdhsa_float_round_mode_32 0
		.amdhsa_float_round_mode_16_64 0
		.amdhsa_float_denorm_mode_32 3
		.amdhsa_float_denorm_mode_16_64 3
		.amdhsa_dx10_clamp 1
		.amdhsa_ieee_mode 1
		.amdhsa_fp16_overflow 0
		.amdhsa_tg_split 0
		.amdhsa_exception_fp_ieee_invalid_op 0
		.amdhsa_exception_fp_denorm_src 0
		.amdhsa_exception_fp_ieee_div_zero 0
		.amdhsa_exception_fp_ieee_overflow 0
		.amdhsa_exception_fp_ieee_underflow 0
		.amdhsa_exception_fp_ieee_inexact 0
		.amdhsa_exception_int_div_zero 0
	.end_amdhsa_kernel
	.section	.text._ZN7rocprim17ROCPRIM_400000_NS6detail17trampoline_kernelINS0_14default_configENS1_38merge_sort_block_merge_config_selectorIssEEZZNS1_27merge_sort_block_merge_implIS3_N6thrust23THRUST_200600_302600_NS6detail15normal_iteratorINS8_10device_ptrIsEEEESD_jNS1_19radix_merge_compareILb0ELb0EsNS0_19identity_decomposerEEEEE10hipError_tT0_T1_T2_jT3_P12ihipStream_tbPNSt15iterator_traitsISI_E10value_typeEPNSO_ISJ_E10value_typeEPSK_NS1_7vsmem_tEENKUlT_SI_SJ_SK_E_clISD_PsSD_S10_EESH_SX_SI_SJ_SK_EUlSX_E1_NS1_11comp_targetILNS1_3genE0ELNS1_11target_archE4294967295ELNS1_3gpuE0ELNS1_3repE0EEENS1_36merge_oddeven_config_static_selectorELNS0_4arch9wavefront6targetE1EEEvSJ_,"axG",@progbits,_ZN7rocprim17ROCPRIM_400000_NS6detail17trampoline_kernelINS0_14default_configENS1_38merge_sort_block_merge_config_selectorIssEEZZNS1_27merge_sort_block_merge_implIS3_N6thrust23THRUST_200600_302600_NS6detail15normal_iteratorINS8_10device_ptrIsEEEESD_jNS1_19radix_merge_compareILb0ELb0EsNS0_19identity_decomposerEEEEE10hipError_tT0_T1_T2_jT3_P12ihipStream_tbPNSt15iterator_traitsISI_E10value_typeEPNSO_ISJ_E10value_typeEPSK_NS1_7vsmem_tEENKUlT_SI_SJ_SK_E_clISD_PsSD_S10_EESH_SX_SI_SJ_SK_EUlSX_E1_NS1_11comp_targetILNS1_3genE0ELNS1_11target_archE4294967295ELNS1_3gpuE0ELNS1_3repE0EEENS1_36merge_oddeven_config_static_selectorELNS0_4arch9wavefront6targetE1EEEvSJ_,comdat
.Lfunc_end1550:
	.size	_ZN7rocprim17ROCPRIM_400000_NS6detail17trampoline_kernelINS0_14default_configENS1_38merge_sort_block_merge_config_selectorIssEEZZNS1_27merge_sort_block_merge_implIS3_N6thrust23THRUST_200600_302600_NS6detail15normal_iteratorINS8_10device_ptrIsEEEESD_jNS1_19radix_merge_compareILb0ELb0EsNS0_19identity_decomposerEEEEE10hipError_tT0_T1_T2_jT3_P12ihipStream_tbPNSt15iterator_traitsISI_E10value_typeEPNSO_ISJ_E10value_typeEPSK_NS1_7vsmem_tEENKUlT_SI_SJ_SK_E_clISD_PsSD_S10_EESH_SX_SI_SJ_SK_EUlSX_E1_NS1_11comp_targetILNS1_3genE0ELNS1_11target_archE4294967295ELNS1_3gpuE0ELNS1_3repE0EEENS1_36merge_oddeven_config_static_selectorELNS0_4arch9wavefront6targetE1EEEvSJ_, .Lfunc_end1550-_ZN7rocprim17ROCPRIM_400000_NS6detail17trampoline_kernelINS0_14default_configENS1_38merge_sort_block_merge_config_selectorIssEEZZNS1_27merge_sort_block_merge_implIS3_N6thrust23THRUST_200600_302600_NS6detail15normal_iteratorINS8_10device_ptrIsEEEESD_jNS1_19radix_merge_compareILb0ELb0EsNS0_19identity_decomposerEEEEE10hipError_tT0_T1_T2_jT3_P12ihipStream_tbPNSt15iterator_traitsISI_E10value_typeEPNSO_ISJ_E10value_typeEPSK_NS1_7vsmem_tEENKUlT_SI_SJ_SK_E_clISD_PsSD_S10_EESH_SX_SI_SJ_SK_EUlSX_E1_NS1_11comp_targetILNS1_3genE0ELNS1_11target_archE4294967295ELNS1_3gpuE0ELNS1_3repE0EEENS1_36merge_oddeven_config_static_selectorELNS0_4arch9wavefront6targetE1EEEvSJ_
                                        ; -- End function
	.set _ZN7rocprim17ROCPRIM_400000_NS6detail17trampoline_kernelINS0_14default_configENS1_38merge_sort_block_merge_config_selectorIssEEZZNS1_27merge_sort_block_merge_implIS3_N6thrust23THRUST_200600_302600_NS6detail15normal_iteratorINS8_10device_ptrIsEEEESD_jNS1_19radix_merge_compareILb0ELb0EsNS0_19identity_decomposerEEEEE10hipError_tT0_T1_T2_jT3_P12ihipStream_tbPNSt15iterator_traitsISI_E10value_typeEPNSO_ISJ_E10value_typeEPSK_NS1_7vsmem_tEENKUlT_SI_SJ_SK_E_clISD_PsSD_S10_EESH_SX_SI_SJ_SK_EUlSX_E1_NS1_11comp_targetILNS1_3genE0ELNS1_11target_archE4294967295ELNS1_3gpuE0ELNS1_3repE0EEENS1_36merge_oddeven_config_static_selectorELNS0_4arch9wavefront6targetE1EEEvSJ_.num_vgpr, 9
	.set _ZN7rocprim17ROCPRIM_400000_NS6detail17trampoline_kernelINS0_14default_configENS1_38merge_sort_block_merge_config_selectorIssEEZZNS1_27merge_sort_block_merge_implIS3_N6thrust23THRUST_200600_302600_NS6detail15normal_iteratorINS8_10device_ptrIsEEEESD_jNS1_19radix_merge_compareILb0ELb0EsNS0_19identity_decomposerEEEEE10hipError_tT0_T1_T2_jT3_P12ihipStream_tbPNSt15iterator_traitsISI_E10value_typeEPNSO_ISJ_E10value_typeEPSK_NS1_7vsmem_tEENKUlT_SI_SJ_SK_E_clISD_PsSD_S10_EESH_SX_SI_SJ_SK_EUlSX_E1_NS1_11comp_targetILNS1_3genE0ELNS1_11target_archE4294967295ELNS1_3gpuE0ELNS1_3repE0EEENS1_36merge_oddeven_config_static_selectorELNS0_4arch9wavefront6targetE1EEEvSJ_.num_agpr, 0
	.set _ZN7rocprim17ROCPRIM_400000_NS6detail17trampoline_kernelINS0_14default_configENS1_38merge_sort_block_merge_config_selectorIssEEZZNS1_27merge_sort_block_merge_implIS3_N6thrust23THRUST_200600_302600_NS6detail15normal_iteratorINS8_10device_ptrIsEEEESD_jNS1_19radix_merge_compareILb0ELb0EsNS0_19identity_decomposerEEEEE10hipError_tT0_T1_T2_jT3_P12ihipStream_tbPNSt15iterator_traitsISI_E10value_typeEPNSO_ISJ_E10value_typeEPSK_NS1_7vsmem_tEENKUlT_SI_SJ_SK_E_clISD_PsSD_S10_EESH_SX_SI_SJ_SK_EUlSX_E1_NS1_11comp_targetILNS1_3genE0ELNS1_11target_archE4294967295ELNS1_3gpuE0ELNS1_3repE0EEENS1_36merge_oddeven_config_static_selectorELNS0_4arch9wavefront6targetE1EEEvSJ_.numbered_sgpr, 24
	.set _ZN7rocprim17ROCPRIM_400000_NS6detail17trampoline_kernelINS0_14default_configENS1_38merge_sort_block_merge_config_selectorIssEEZZNS1_27merge_sort_block_merge_implIS3_N6thrust23THRUST_200600_302600_NS6detail15normal_iteratorINS8_10device_ptrIsEEEESD_jNS1_19radix_merge_compareILb0ELb0EsNS0_19identity_decomposerEEEEE10hipError_tT0_T1_T2_jT3_P12ihipStream_tbPNSt15iterator_traitsISI_E10value_typeEPNSO_ISJ_E10value_typeEPSK_NS1_7vsmem_tEENKUlT_SI_SJ_SK_E_clISD_PsSD_S10_EESH_SX_SI_SJ_SK_EUlSX_E1_NS1_11comp_targetILNS1_3genE0ELNS1_11target_archE4294967295ELNS1_3gpuE0ELNS1_3repE0EEENS1_36merge_oddeven_config_static_selectorELNS0_4arch9wavefront6targetE1EEEvSJ_.num_named_barrier, 0
	.set _ZN7rocprim17ROCPRIM_400000_NS6detail17trampoline_kernelINS0_14default_configENS1_38merge_sort_block_merge_config_selectorIssEEZZNS1_27merge_sort_block_merge_implIS3_N6thrust23THRUST_200600_302600_NS6detail15normal_iteratorINS8_10device_ptrIsEEEESD_jNS1_19radix_merge_compareILb0ELb0EsNS0_19identity_decomposerEEEEE10hipError_tT0_T1_T2_jT3_P12ihipStream_tbPNSt15iterator_traitsISI_E10value_typeEPNSO_ISJ_E10value_typeEPSK_NS1_7vsmem_tEENKUlT_SI_SJ_SK_E_clISD_PsSD_S10_EESH_SX_SI_SJ_SK_EUlSX_E1_NS1_11comp_targetILNS1_3genE0ELNS1_11target_archE4294967295ELNS1_3gpuE0ELNS1_3repE0EEENS1_36merge_oddeven_config_static_selectorELNS0_4arch9wavefront6targetE1EEEvSJ_.private_seg_size, 0
	.set _ZN7rocprim17ROCPRIM_400000_NS6detail17trampoline_kernelINS0_14default_configENS1_38merge_sort_block_merge_config_selectorIssEEZZNS1_27merge_sort_block_merge_implIS3_N6thrust23THRUST_200600_302600_NS6detail15normal_iteratorINS8_10device_ptrIsEEEESD_jNS1_19radix_merge_compareILb0ELb0EsNS0_19identity_decomposerEEEEE10hipError_tT0_T1_T2_jT3_P12ihipStream_tbPNSt15iterator_traitsISI_E10value_typeEPNSO_ISJ_E10value_typeEPSK_NS1_7vsmem_tEENKUlT_SI_SJ_SK_E_clISD_PsSD_S10_EESH_SX_SI_SJ_SK_EUlSX_E1_NS1_11comp_targetILNS1_3genE0ELNS1_11target_archE4294967295ELNS1_3gpuE0ELNS1_3repE0EEENS1_36merge_oddeven_config_static_selectorELNS0_4arch9wavefront6targetE1EEEvSJ_.uses_vcc, 1
	.set _ZN7rocprim17ROCPRIM_400000_NS6detail17trampoline_kernelINS0_14default_configENS1_38merge_sort_block_merge_config_selectorIssEEZZNS1_27merge_sort_block_merge_implIS3_N6thrust23THRUST_200600_302600_NS6detail15normal_iteratorINS8_10device_ptrIsEEEESD_jNS1_19radix_merge_compareILb0ELb0EsNS0_19identity_decomposerEEEEE10hipError_tT0_T1_T2_jT3_P12ihipStream_tbPNSt15iterator_traitsISI_E10value_typeEPNSO_ISJ_E10value_typeEPSK_NS1_7vsmem_tEENKUlT_SI_SJ_SK_E_clISD_PsSD_S10_EESH_SX_SI_SJ_SK_EUlSX_E1_NS1_11comp_targetILNS1_3genE0ELNS1_11target_archE4294967295ELNS1_3gpuE0ELNS1_3repE0EEENS1_36merge_oddeven_config_static_selectorELNS0_4arch9wavefront6targetE1EEEvSJ_.uses_flat_scratch, 0
	.set _ZN7rocprim17ROCPRIM_400000_NS6detail17trampoline_kernelINS0_14default_configENS1_38merge_sort_block_merge_config_selectorIssEEZZNS1_27merge_sort_block_merge_implIS3_N6thrust23THRUST_200600_302600_NS6detail15normal_iteratorINS8_10device_ptrIsEEEESD_jNS1_19radix_merge_compareILb0ELb0EsNS0_19identity_decomposerEEEEE10hipError_tT0_T1_T2_jT3_P12ihipStream_tbPNSt15iterator_traitsISI_E10value_typeEPNSO_ISJ_E10value_typeEPSK_NS1_7vsmem_tEENKUlT_SI_SJ_SK_E_clISD_PsSD_S10_EESH_SX_SI_SJ_SK_EUlSX_E1_NS1_11comp_targetILNS1_3genE0ELNS1_11target_archE4294967295ELNS1_3gpuE0ELNS1_3repE0EEENS1_36merge_oddeven_config_static_selectorELNS0_4arch9wavefront6targetE1EEEvSJ_.has_dyn_sized_stack, 0
	.set _ZN7rocprim17ROCPRIM_400000_NS6detail17trampoline_kernelINS0_14default_configENS1_38merge_sort_block_merge_config_selectorIssEEZZNS1_27merge_sort_block_merge_implIS3_N6thrust23THRUST_200600_302600_NS6detail15normal_iteratorINS8_10device_ptrIsEEEESD_jNS1_19radix_merge_compareILb0ELb0EsNS0_19identity_decomposerEEEEE10hipError_tT0_T1_T2_jT3_P12ihipStream_tbPNSt15iterator_traitsISI_E10value_typeEPNSO_ISJ_E10value_typeEPSK_NS1_7vsmem_tEENKUlT_SI_SJ_SK_E_clISD_PsSD_S10_EESH_SX_SI_SJ_SK_EUlSX_E1_NS1_11comp_targetILNS1_3genE0ELNS1_11target_archE4294967295ELNS1_3gpuE0ELNS1_3repE0EEENS1_36merge_oddeven_config_static_selectorELNS0_4arch9wavefront6targetE1EEEvSJ_.has_recursion, 0
	.set _ZN7rocprim17ROCPRIM_400000_NS6detail17trampoline_kernelINS0_14default_configENS1_38merge_sort_block_merge_config_selectorIssEEZZNS1_27merge_sort_block_merge_implIS3_N6thrust23THRUST_200600_302600_NS6detail15normal_iteratorINS8_10device_ptrIsEEEESD_jNS1_19radix_merge_compareILb0ELb0EsNS0_19identity_decomposerEEEEE10hipError_tT0_T1_T2_jT3_P12ihipStream_tbPNSt15iterator_traitsISI_E10value_typeEPNSO_ISJ_E10value_typeEPSK_NS1_7vsmem_tEENKUlT_SI_SJ_SK_E_clISD_PsSD_S10_EESH_SX_SI_SJ_SK_EUlSX_E1_NS1_11comp_targetILNS1_3genE0ELNS1_11target_archE4294967295ELNS1_3gpuE0ELNS1_3repE0EEENS1_36merge_oddeven_config_static_selectorELNS0_4arch9wavefront6targetE1EEEvSJ_.has_indirect_call, 0
	.section	.AMDGPU.csdata,"",@progbits
; Kernel info:
; codeLenInByte = 764
; TotalNumSgprs: 30
; NumVgprs: 9
; NumAgprs: 0
; TotalNumVgprs: 9
; ScratchSize: 0
; MemoryBound: 0
; FloatMode: 240
; IeeeMode: 1
; LDSByteSize: 0 bytes/workgroup (compile time only)
; SGPRBlocks: 3
; VGPRBlocks: 1
; NumSGPRsForWavesPerEU: 30
; NumVGPRsForWavesPerEU: 9
; AccumOffset: 12
; Occupancy: 8
; WaveLimiterHint : 0
; COMPUTE_PGM_RSRC2:SCRATCH_EN: 0
; COMPUTE_PGM_RSRC2:USER_SGPR: 2
; COMPUTE_PGM_RSRC2:TRAP_HANDLER: 0
; COMPUTE_PGM_RSRC2:TGID_X_EN: 1
; COMPUTE_PGM_RSRC2:TGID_Y_EN: 0
; COMPUTE_PGM_RSRC2:TGID_Z_EN: 0
; COMPUTE_PGM_RSRC2:TIDIG_COMP_CNT: 0
; COMPUTE_PGM_RSRC3_GFX90A:ACCUM_OFFSET: 2
; COMPUTE_PGM_RSRC3_GFX90A:TG_SPLIT: 0
	.section	.text._ZN7rocprim17ROCPRIM_400000_NS6detail17trampoline_kernelINS0_14default_configENS1_38merge_sort_block_merge_config_selectorIssEEZZNS1_27merge_sort_block_merge_implIS3_N6thrust23THRUST_200600_302600_NS6detail15normal_iteratorINS8_10device_ptrIsEEEESD_jNS1_19radix_merge_compareILb0ELb0EsNS0_19identity_decomposerEEEEE10hipError_tT0_T1_T2_jT3_P12ihipStream_tbPNSt15iterator_traitsISI_E10value_typeEPNSO_ISJ_E10value_typeEPSK_NS1_7vsmem_tEENKUlT_SI_SJ_SK_E_clISD_PsSD_S10_EESH_SX_SI_SJ_SK_EUlSX_E1_NS1_11comp_targetILNS1_3genE10ELNS1_11target_archE1201ELNS1_3gpuE5ELNS1_3repE0EEENS1_36merge_oddeven_config_static_selectorELNS0_4arch9wavefront6targetE1EEEvSJ_,"axG",@progbits,_ZN7rocprim17ROCPRIM_400000_NS6detail17trampoline_kernelINS0_14default_configENS1_38merge_sort_block_merge_config_selectorIssEEZZNS1_27merge_sort_block_merge_implIS3_N6thrust23THRUST_200600_302600_NS6detail15normal_iteratorINS8_10device_ptrIsEEEESD_jNS1_19radix_merge_compareILb0ELb0EsNS0_19identity_decomposerEEEEE10hipError_tT0_T1_T2_jT3_P12ihipStream_tbPNSt15iterator_traitsISI_E10value_typeEPNSO_ISJ_E10value_typeEPSK_NS1_7vsmem_tEENKUlT_SI_SJ_SK_E_clISD_PsSD_S10_EESH_SX_SI_SJ_SK_EUlSX_E1_NS1_11comp_targetILNS1_3genE10ELNS1_11target_archE1201ELNS1_3gpuE5ELNS1_3repE0EEENS1_36merge_oddeven_config_static_selectorELNS0_4arch9wavefront6targetE1EEEvSJ_,comdat
	.protected	_ZN7rocprim17ROCPRIM_400000_NS6detail17trampoline_kernelINS0_14default_configENS1_38merge_sort_block_merge_config_selectorIssEEZZNS1_27merge_sort_block_merge_implIS3_N6thrust23THRUST_200600_302600_NS6detail15normal_iteratorINS8_10device_ptrIsEEEESD_jNS1_19radix_merge_compareILb0ELb0EsNS0_19identity_decomposerEEEEE10hipError_tT0_T1_T2_jT3_P12ihipStream_tbPNSt15iterator_traitsISI_E10value_typeEPNSO_ISJ_E10value_typeEPSK_NS1_7vsmem_tEENKUlT_SI_SJ_SK_E_clISD_PsSD_S10_EESH_SX_SI_SJ_SK_EUlSX_E1_NS1_11comp_targetILNS1_3genE10ELNS1_11target_archE1201ELNS1_3gpuE5ELNS1_3repE0EEENS1_36merge_oddeven_config_static_selectorELNS0_4arch9wavefront6targetE1EEEvSJ_ ; -- Begin function _ZN7rocprim17ROCPRIM_400000_NS6detail17trampoline_kernelINS0_14default_configENS1_38merge_sort_block_merge_config_selectorIssEEZZNS1_27merge_sort_block_merge_implIS3_N6thrust23THRUST_200600_302600_NS6detail15normal_iteratorINS8_10device_ptrIsEEEESD_jNS1_19radix_merge_compareILb0ELb0EsNS0_19identity_decomposerEEEEE10hipError_tT0_T1_T2_jT3_P12ihipStream_tbPNSt15iterator_traitsISI_E10value_typeEPNSO_ISJ_E10value_typeEPSK_NS1_7vsmem_tEENKUlT_SI_SJ_SK_E_clISD_PsSD_S10_EESH_SX_SI_SJ_SK_EUlSX_E1_NS1_11comp_targetILNS1_3genE10ELNS1_11target_archE1201ELNS1_3gpuE5ELNS1_3repE0EEENS1_36merge_oddeven_config_static_selectorELNS0_4arch9wavefront6targetE1EEEvSJ_
	.globl	_ZN7rocprim17ROCPRIM_400000_NS6detail17trampoline_kernelINS0_14default_configENS1_38merge_sort_block_merge_config_selectorIssEEZZNS1_27merge_sort_block_merge_implIS3_N6thrust23THRUST_200600_302600_NS6detail15normal_iteratorINS8_10device_ptrIsEEEESD_jNS1_19radix_merge_compareILb0ELb0EsNS0_19identity_decomposerEEEEE10hipError_tT0_T1_T2_jT3_P12ihipStream_tbPNSt15iterator_traitsISI_E10value_typeEPNSO_ISJ_E10value_typeEPSK_NS1_7vsmem_tEENKUlT_SI_SJ_SK_E_clISD_PsSD_S10_EESH_SX_SI_SJ_SK_EUlSX_E1_NS1_11comp_targetILNS1_3genE10ELNS1_11target_archE1201ELNS1_3gpuE5ELNS1_3repE0EEENS1_36merge_oddeven_config_static_selectorELNS0_4arch9wavefront6targetE1EEEvSJ_
	.p2align	8
	.type	_ZN7rocprim17ROCPRIM_400000_NS6detail17trampoline_kernelINS0_14default_configENS1_38merge_sort_block_merge_config_selectorIssEEZZNS1_27merge_sort_block_merge_implIS3_N6thrust23THRUST_200600_302600_NS6detail15normal_iteratorINS8_10device_ptrIsEEEESD_jNS1_19radix_merge_compareILb0ELb0EsNS0_19identity_decomposerEEEEE10hipError_tT0_T1_T2_jT3_P12ihipStream_tbPNSt15iterator_traitsISI_E10value_typeEPNSO_ISJ_E10value_typeEPSK_NS1_7vsmem_tEENKUlT_SI_SJ_SK_E_clISD_PsSD_S10_EESH_SX_SI_SJ_SK_EUlSX_E1_NS1_11comp_targetILNS1_3genE10ELNS1_11target_archE1201ELNS1_3gpuE5ELNS1_3repE0EEENS1_36merge_oddeven_config_static_selectorELNS0_4arch9wavefront6targetE1EEEvSJ_,@function
_ZN7rocprim17ROCPRIM_400000_NS6detail17trampoline_kernelINS0_14default_configENS1_38merge_sort_block_merge_config_selectorIssEEZZNS1_27merge_sort_block_merge_implIS3_N6thrust23THRUST_200600_302600_NS6detail15normal_iteratorINS8_10device_ptrIsEEEESD_jNS1_19radix_merge_compareILb0ELb0EsNS0_19identity_decomposerEEEEE10hipError_tT0_T1_T2_jT3_P12ihipStream_tbPNSt15iterator_traitsISI_E10value_typeEPNSO_ISJ_E10value_typeEPSK_NS1_7vsmem_tEENKUlT_SI_SJ_SK_E_clISD_PsSD_S10_EESH_SX_SI_SJ_SK_EUlSX_E1_NS1_11comp_targetILNS1_3genE10ELNS1_11target_archE1201ELNS1_3gpuE5ELNS1_3repE0EEENS1_36merge_oddeven_config_static_selectorELNS0_4arch9wavefront6targetE1EEEvSJ_: ; @_ZN7rocprim17ROCPRIM_400000_NS6detail17trampoline_kernelINS0_14default_configENS1_38merge_sort_block_merge_config_selectorIssEEZZNS1_27merge_sort_block_merge_implIS3_N6thrust23THRUST_200600_302600_NS6detail15normal_iteratorINS8_10device_ptrIsEEEESD_jNS1_19radix_merge_compareILb0ELb0EsNS0_19identity_decomposerEEEEE10hipError_tT0_T1_T2_jT3_P12ihipStream_tbPNSt15iterator_traitsISI_E10value_typeEPNSO_ISJ_E10value_typeEPSK_NS1_7vsmem_tEENKUlT_SI_SJ_SK_E_clISD_PsSD_S10_EESH_SX_SI_SJ_SK_EUlSX_E1_NS1_11comp_targetILNS1_3genE10ELNS1_11target_archE1201ELNS1_3gpuE5ELNS1_3repE0EEENS1_36merge_oddeven_config_static_selectorELNS0_4arch9wavefront6targetE1EEEvSJ_
; %bb.0:
	.section	.rodata,"a",@progbits
	.p2align	6, 0x0
	.amdhsa_kernel _ZN7rocprim17ROCPRIM_400000_NS6detail17trampoline_kernelINS0_14default_configENS1_38merge_sort_block_merge_config_selectorIssEEZZNS1_27merge_sort_block_merge_implIS3_N6thrust23THRUST_200600_302600_NS6detail15normal_iteratorINS8_10device_ptrIsEEEESD_jNS1_19radix_merge_compareILb0ELb0EsNS0_19identity_decomposerEEEEE10hipError_tT0_T1_T2_jT3_P12ihipStream_tbPNSt15iterator_traitsISI_E10value_typeEPNSO_ISJ_E10value_typeEPSK_NS1_7vsmem_tEENKUlT_SI_SJ_SK_E_clISD_PsSD_S10_EESH_SX_SI_SJ_SK_EUlSX_E1_NS1_11comp_targetILNS1_3genE10ELNS1_11target_archE1201ELNS1_3gpuE5ELNS1_3repE0EEENS1_36merge_oddeven_config_static_selectorELNS0_4arch9wavefront6targetE1EEEvSJ_
		.amdhsa_group_segment_fixed_size 0
		.amdhsa_private_segment_fixed_size 0
		.amdhsa_kernarg_size 48
		.amdhsa_user_sgpr_count 2
		.amdhsa_user_sgpr_dispatch_ptr 0
		.amdhsa_user_sgpr_queue_ptr 0
		.amdhsa_user_sgpr_kernarg_segment_ptr 1
		.amdhsa_user_sgpr_dispatch_id 0
		.amdhsa_user_sgpr_kernarg_preload_length 0
		.amdhsa_user_sgpr_kernarg_preload_offset 0
		.amdhsa_user_sgpr_private_segment_size 0
		.amdhsa_uses_dynamic_stack 0
		.amdhsa_enable_private_segment 0
		.amdhsa_system_sgpr_workgroup_id_x 1
		.amdhsa_system_sgpr_workgroup_id_y 0
		.amdhsa_system_sgpr_workgroup_id_z 0
		.amdhsa_system_sgpr_workgroup_info 0
		.amdhsa_system_vgpr_workitem_id 0
		.amdhsa_next_free_vgpr 1
		.amdhsa_next_free_sgpr 0
		.amdhsa_accum_offset 4
		.amdhsa_reserve_vcc 0
		.amdhsa_float_round_mode_32 0
		.amdhsa_float_round_mode_16_64 0
		.amdhsa_float_denorm_mode_32 3
		.amdhsa_float_denorm_mode_16_64 3
		.amdhsa_dx10_clamp 1
		.amdhsa_ieee_mode 1
		.amdhsa_fp16_overflow 0
		.amdhsa_tg_split 0
		.amdhsa_exception_fp_ieee_invalid_op 0
		.amdhsa_exception_fp_denorm_src 0
		.amdhsa_exception_fp_ieee_div_zero 0
		.amdhsa_exception_fp_ieee_overflow 0
		.amdhsa_exception_fp_ieee_underflow 0
		.amdhsa_exception_fp_ieee_inexact 0
		.amdhsa_exception_int_div_zero 0
	.end_amdhsa_kernel
	.section	.text._ZN7rocprim17ROCPRIM_400000_NS6detail17trampoline_kernelINS0_14default_configENS1_38merge_sort_block_merge_config_selectorIssEEZZNS1_27merge_sort_block_merge_implIS3_N6thrust23THRUST_200600_302600_NS6detail15normal_iteratorINS8_10device_ptrIsEEEESD_jNS1_19radix_merge_compareILb0ELb0EsNS0_19identity_decomposerEEEEE10hipError_tT0_T1_T2_jT3_P12ihipStream_tbPNSt15iterator_traitsISI_E10value_typeEPNSO_ISJ_E10value_typeEPSK_NS1_7vsmem_tEENKUlT_SI_SJ_SK_E_clISD_PsSD_S10_EESH_SX_SI_SJ_SK_EUlSX_E1_NS1_11comp_targetILNS1_3genE10ELNS1_11target_archE1201ELNS1_3gpuE5ELNS1_3repE0EEENS1_36merge_oddeven_config_static_selectorELNS0_4arch9wavefront6targetE1EEEvSJ_,"axG",@progbits,_ZN7rocprim17ROCPRIM_400000_NS6detail17trampoline_kernelINS0_14default_configENS1_38merge_sort_block_merge_config_selectorIssEEZZNS1_27merge_sort_block_merge_implIS3_N6thrust23THRUST_200600_302600_NS6detail15normal_iteratorINS8_10device_ptrIsEEEESD_jNS1_19radix_merge_compareILb0ELb0EsNS0_19identity_decomposerEEEEE10hipError_tT0_T1_T2_jT3_P12ihipStream_tbPNSt15iterator_traitsISI_E10value_typeEPNSO_ISJ_E10value_typeEPSK_NS1_7vsmem_tEENKUlT_SI_SJ_SK_E_clISD_PsSD_S10_EESH_SX_SI_SJ_SK_EUlSX_E1_NS1_11comp_targetILNS1_3genE10ELNS1_11target_archE1201ELNS1_3gpuE5ELNS1_3repE0EEENS1_36merge_oddeven_config_static_selectorELNS0_4arch9wavefront6targetE1EEEvSJ_,comdat
.Lfunc_end1551:
	.size	_ZN7rocprim17ROCPRIM_400000_NS6detail17trampoline_kernelINS0_14default_configENS1_38merge_sort_block_merge_config_selectorIssEEZZNS1_27merge_sort_block_merge_implIS3_N6thrust23THRUST_200600_302600_NS6detail15normal_iteratorINS8_10device_ptrIsEEEESD_jNS1_19radix_merge_compareILb0ELb0EsNS0_19identity_decomposerEEEEE10hipError_tT0_T1_T2_jT3_P12ihipStream_tbPNSt15iterator_traitsISI_E10value_typeEPNSO_ISJ_E10value_typeEPSK_NS1_7vsmem_tEENKUlT_SI_SJ_SK_E_clISD_PsSD_S10_EESH_SX_SI_SJ_SK_EUlSX_E1_NS1_11comp_targetILNS1_3genE10ELNS1_11target_archE1201ELNS1_3gpuE5ELNS1_3repE0EEENS1_36merge_oddeven_config_static_selectorELNS0_4arch9wavefront6targetE1EEEvSJ_, .Lfunc_end1551-_ZN7rocprim17ROCPRIM_400000_NS6detail17trampoline_kernelINS0_14default_configENS1_38merge_sort_block_merge_config_selectorIssEEZZNS1_27merge_sort_block_merge_implIS3_N6thrust23THRUST_200600_302600_NS6detail15normal_iteratorINS8_10device_ptrIsEEEESD_jNS1_19radix_merge_compareILb0ELb0EsNS0_19identity_decomposerEEEEE10hipError_tT0_T1_T2_jT3_P12ihipStream_tbPNSt15iterator_traitsISI_E10value_typeEPNSO_ISJ_E10value_typeEPSK_NS1_7vsmem_tEENKUlT_SI_SJ_SK_E_clISD_PsSD_S10_EESH_SX_SI_SJ_SK_EUlSX_E1_NS1_11comp_targetILNS1_3genE10ELNS1_11target_archE1201ELNS1_3gpuE5ELNS1_3repE0EEENS1_36merge_oddeven_config_static_selectorELNS0_4arch9wavefront6targetE1EEEvSJ_
                                        ; -- End function
	.set _ZN7rocprim17ROCPRIM_400000_NS6detail17trampoline_kernelINS0_14default_configENS1_38merge_sort_block_merge_config_selectorIssEEZZNS1_27merge_sort_block_merge_implIS3_N6thrust23THRUST_200600_302600_NS6detail15normal_iteratorINS8_10device_ptrIsEEEESD_jNS1_19radix_merge_compareILb0ELb0EsNS0_19identity_decomposerEEEEE10hipError_tT0_T1_T2_jT3_P12ihipStream_tbPNSt15iterator_traitsISI_E10value_typeEPNSO_ISJ_E10value_typeEPSK_NS1_7vsmem_tEENKUlT_SI_SJ_SK_E_clISD_PsSD_S10_EESH_SX_SI_SJ_SK_EUlSX_E1_NS1_11comp_targetILNS1_3genE10ELNS1_11target_archE1201ELNS1_3gpuE5ELNS1_3repE0EEENS1_36merge_oddeven_config_static_selectorELNS0_4arch9wavefront6targetE1EEEvSJ_.num_vgpr, 0
	.set _ZN7rocprim17ROCPRIM_400000_NS6detail17trampoline_kernelINS0_14default_configENS1_38merge_sort_block_merge_config_selectorIssEEZZNS1_27merge_sort_block_merge_implIS3_N6thrust23THRUST_200600_302600_NS6detail15normal_iteratorINS8_10device_ptrIsEEEESD_jNS1_19radix_merge_compareILb0ELb0EsNS0_19identity_decomposerEEEEE10hipError_tT0_T1_T2_jT3_P12ihipStream_tbPNSt15iterator_traitsISI_E10value_typeEPNSO_ISJ_E10value_typeEPSK_NS1_7vsmem_tEENKUlT_SI_SJ_SK_E_clISD_PsSD_S10_EESH_SX_SI_SJ_SK_EUlSX_E1_NS1_11comp_targetILNS1_3genE10ELNS1_11target_archE1201ELNS1_3gpuE5ELNS1_3repE0EEENS1_36merge_oddeven_config_static_selectorELNS0_4arch9wavefront6targetE1EEEvSJ_.num_agpr, 0
	.set _ZN7rocprim17ROCPRIM_400000_NS6detail17trampoline_kernelINS0_14default_configENS1_38merge_sort_block_merge_config_selectorIssEEZZNS1_27merge_sort_block_merge_implIS3_N6thrust23THRUST_200600_302600_NS6detail15normal_iteratorINS8_10device_ptrIsEEEESD_jNS1_19radix_merge_compareILb0ELb0EsNS0_19identity_decomposerEEEEE10hipError_tT0_T1_T2_jT3_P12ihipStream_tbPNSt15iterator_traitsISI_E10value_typeEPNSO_ISJ_E10value_typeEPSK_NS1_7vsmem_tEENKUlT_SI_SJ_SK_E_clISD_PsSD_S10_EESH_SX_SI_SJ_SK_EUlSX_E1_NS1_11comp_targetILNS1_3genE10ELNS1_11target_archE1201ELNS1_3gpuE5ELNS1_3repE0EEENS1_36merge_oddeven_config_static_selectorELNS0_4arch9wavefront6targetE1EEEvSJ_.numbered_sgpr, 0
	.set _ZN7rocprim17ROCPRIM_400000_NS6detail17trampoline_kernelINS0_14default_configENS1_38merge_sort_block_merge_config_selectorIssEEZZNS1_27merge_sort_block_merge_implIS3_N6thrust23THRUST_200600_302600_NS6detail15normal_iteratorINS8_10device_ptrIsEEEESD_jNS1_19radix_merge_compareILb0ELb0EsNS0_19identity_decomposerEEEEE10hipError_tT0_T1_T2_jT3_P12ihipStream_tbPNSt15iterator_traitsISI_E10value_typeEPNSO_ISJ_E10value_typeEPSK_NS1_7vsmem_tEENKUlT_SI_SJ_SK_E_clISD_PsSD_S10_EESH_SX_SI_SJ_SK_EUlSX_E1_NS1_11comp_targetILNS1_3genE10ELNS1_11target_archE1201ELNS1_3gpuE5ELNS1_3repE0EEENS1_36merge_oddeven_config_static_selectorELNS0_4arch9wavefront6targetE1EEEvSJ_.num_named_barrier, 0
	.set _ZN7rocprim17ROCPRIM_400000_NS6detail17trampoline_kernelINS0_14default_configENS1_38merge_sort_block_merge_config_selectorIssEEZZNS1_27merge_sort_block_merge_implIS3_N6thrust23THRUST_200600_302600_NS6detail15normal_iteratorINS8_10device_ptrIsEEEESD_jNS1_19radix_merge_compareILb0ELb0EsNS0_19identity_decomposerEEEEE10hipError_tT0_T1_T2_jT3_P12ihipStream_tbPNSt15iterator_traitsISI_E10value_typeEPNSO_ISJ_E10value_typeEPSK_NS1_7vsmem_tEENKUlT_SI_SJ_SK_E_clISD_PsSD_S10_EESH_SX_SI_SJ_SK_EUlSX_E1_NS1_11comp_targetILNS1_3genE10ELNS1_11target_archE1201ELNS1_3gpuE5ELNS1_3repE0EEENS1_36merge_oddeven_config_static_selectorELNS0_4arch9wavefront6targetE1EEEvSJ_.private_seg_size, 0
	.set _ZN7rocprim17ROCPRIM_400000_NS6detail17trampoline_kernelINS0_14default_configENS1_38merge_sort_block_merge_config_selectorIssEEZZNS1_27merge_sort_block_merge_implIS3_N6thrust23THRUST_200600_302600_NS6detail15normal_iteratorINS8_10device_ptrIsEEEESD_jNS1_19radix_merge_compareILb0ELb0EsNS0_19identity_decomposerEEEEE10hipError_tT0_T1_T2_jT3_P12ihipStream_tbPNSt15iterator_traitsISI_E10value_typeEPNSO_ISJ_E10value_typeEPSK_NS1_7vsmem_tEENKUlT_SI_SJ_SK_E_clISD_PsSD_S10_EESH_SX_SI_SJ_SK_EUlSX_E1_NS1_11comp_targetILNS1_3genE10ELNS1_11target_archE1201ELNS1_3gpuE5ELNS1_3repE0EEENS1_36merge_oddeven_config_static_selectorELNS0_4arch9wavefront6targetE1EEEvSJ_.uses_vcc, 0
	.set _ZN7rocprim17ROCPRIM_400000_NS6detail17trampoline_kernelINS0_14default_configENS1_38merge_sort_block_merge_config_selectorIssEEZZNS1_27merge_sort_block_merge_implIS3_N6thrust23THRUST_200600_302600_NS6detail15normal_iteratorINS8_10device_ptrIsEEEESD_jNS1_19radix_merge_compareILb0ELb0EsNS0_19identity_decomposerEEEEE10hipError_tT0_T1_T2_jT3_P12ihipStream_tbPNSt15iterator_traitsISI_E10value_typeEPNSO_ISJ_E10value_typeEPSK_NS1_7vsmem_tEENKUlT_SI_SJ_SK_E_clISD_PsSD_S10_EESH_SX_SI_SJ_SK_EUlSX_E1_NS1_11comp_targetILNS1_3genE10ELNS1_11target_archE1201ELNS1_3gpuE5ELNS1_3repE0EEENS1_36merge_oddeven_config_static_selectorELNS0_4arch9wavefront6targetE1EEEvSJ_.uses_flat_scratch, 0
	.set _ZN7rocprim17ROCPRIM_400000_NS6detail17trampoline_kernelINS0_14default_configENS1_38merge_sort_block_merge_config_selectorIssEEZZNS1_27merge_sort_block_merge_implIS3_N6thrust23THRUST_200600_302600_NS6detail15normal_iteratorINS8_10device_ptrIsEEEESD_jNS1_19radix_merge_compareILb0ELb0EsNS0_19identity_decomposerEEEEE10hipError_tT0_T1_T2_jT3_P12ihipStream_tbPNSt15iterator_traitsISI_E10value_typeEPNSO_ISJ_E10value_typeEPSK_NS1_7vsmem_tEENKUlT_SI_SJ_SK_E_clISD_PsSD_S10_EESH_SX_SI_SJ_SK_EUlSX_E1_NS1_11comp_targetILNS1_3genE10ELNS1_11target_archE1201ELNS1_3gpuE5ELNS1_3repE0EEENS1_36merge_oddeven_config_static_selectorELNS0_4arch9wavefront6targetE1EEEvSJ_.has_dyn_sized_stack, 0
	.set _ZN7rocprim17ROCPRIM_400000_NS6detail17trampoline_kernelINS0_14default_configENS1_38merge_sort_block_merge_config_selectorIssEEZZNS1_27merge_sort_block_merge_implIS3_N6thrust23THRUST_200600_302600_NS6detail15normal_iteratorINS8_10device_ptrIsEEEESD_jNS1_19radix_merge_compareILb0ELb0EsNS0_19identity_decomposerEEEEE10hipError_tT0_T1_T2_jT3_P12ihipStream_tbPNSt15iterator_traitsISI_E10value_typeEPNSO_ISJ_E10value_typeEPSK_NS1_7vsmem_tEENKUlT_SI_SJ_SK_E_clISD_PsSD_S10_EESH_SX_SI_SJ_SK_EUlSX_E1_NS1_11comp_targetILNS1_3genE10ELNS1_11target_archE1201ELNS1_3gpuE5ELNS1_3repE0EEENS1_36merge_oddeven_config_static_selectorELNS0_4arch9wavefront6targetE1EEEvSJ_.has_recursion, 0
	.set _ZN7rocprim17ROCPRIM_400000_NS6detail17trampoline_kernelINS0_14default_configENS1_38merge_sort_block_merge_config_selectorIssEEZZNS1_27merge_sort_block_merge_implIS3_N6thrust23THRUST_200600_302600_NS6detail15normal_iteratorINS8_10device_ptrIsEEEESD_jNS1_19radix_merge_compareILb0ELb0EsNS0_19identity_decomposerEEEEE10hipError_tT0_T1_T2_jT3_P12ihipStream_tbPNSt15iterator_traitsISI_E10value_typeEPNSO_ISJ_E10value_typeEPSK_NS1_7vsmem_tEENKUlT_SI_SJ_SK_E_clISD_PsSD_S10_EESH_SX_SI_SJ_SK_EUlSX_E1_NS1_11comp_targetILNS1_3genE10ELNS1_11target_archE1201ELNS1_3gpuE5ELNS1_3repE0EEENS1_36merge_oddeven_config_static_selectorELNS0_4arch9wavefront6targetE1EEEvSJ_.has_indirect_call, 0
	.section	.AMDGPU.csdata,"",@progbits
; Kernel info:
; codeLenInByte = 0
; TotalNumSgprs: 6
; NumVgprs: 0
; NumAgprs: 0
; TotalNumVgprs: 0
; ScratchSize: 0
; MemoryBound: 0
; FloatMode: 240
; IeeeMode: 1
; LDSByteSize: 0 bytes/workgroup (compile time only)
; SGPRBlocks: 0
; VGPRBlocks: 0
; NumSGPRsForWavesPerEU: 6
; NumVGPRsForWavesPerEU: 1
; AccumOffset: 4
; Occupancy: 8
; WaveLimiterHint : 0
; COMPUTE_PGM_RSRC2:SCRATCH_EN: 0
; COMPUTE_PGM_RSRC2:USER_SGPR: 2
; COMPUTE_PGM_RSRC2:TRAP_HANDLER: 0
; COMPUTE_PGM_RSRC2:TGID_X_EN: 1
; COMPUTE_PGM_RSRC2:TGID_Y_EN: 0
; COMPUTE_PGM_RSRC2:TGID_Z_EN: 0
; COMPUTE_PGM_RSRC2:TIDIG_COMP_CNT: 0
; COMPUTE_PGM_RSRC3_GFX90A:ACCUM_OFFSET: 0
; COMPUTE_PGM_RSRC3_GFX90A:TG_SPLIT: 0
	.section	.text._ZN7rocprim17ROCPRIM_400000_NS6detail17trampoline_kernelINS0_14default_configENS1_38merge_sort_block_merge_config_selectorIssEEZZNS1_27merge_sort_block_merge_implIS3_N6thrust23THRUST_200600_302600_NS6detail15normal_iteratorINS8_10device_ptrIsEEEESD_jNS1_19radix_merge_compareILb0ELb0EsNS0_19identity_decomposerEEEEE10hipError_tT0_T1_T2_jT3_P12ihipStream_tbPNSt15iterator_traitsISI_E10value_typeEPNSO_ISJ_E10value_typeEPSK_NS1_7vsmem_tEENKUlT_SI_SJ_SK_E_clISD_PsSD_S10_EESH_SX_SI_SJ_SK_EUlSX_E1_NS1_11comp_targetILNS1_3genE5ELNS1_11target_archE942ELNS1_3gpuE9ELNS1_3repE0EEENS1_36merge_oddeven_config_static_selectorELNS0_4arch9wavefront6targetE1EEEvSJ_,"axG",@progbits,_ZN7rocprim17ROCPRIM_400000_NS6detail17trampoline_kernelINS0_14default_configENS1_38merge_sort_block_merge_config_selectorIssEEZZNS1_27merge_sort_block_merge_implIS3_N6thrust23THRUST_200600_302600_NS6detail15normal_iteratorINS8_10device_ptrIsEEEESD_jNS1_19radix_merge_compareILb0ELb0EsNS0_19identity_decomposerEEEEE10hipError_tT0_T1_T2_jT3_P12ihipStream_tbPNSt15iterator_traitsISI_E10value_typeEPNSO_ISJ_E10value_typeEPSK_NS1_7vsmem_tEENKUlT_SI_SJ_SK_E_clISD_PsSD_S10_EESH_SX_SI_SJ_SK_EUlSX_E1_NS1_11comp_targetILNS1_3genE5ELNS1_11target_archE942ELNS1_3gpuE9ELNS1_3repE0EEENS1_36merge_oddeven_config_static_selectorELNS0_4arch9wavefront6targetE1EEEvSJ_,comdat
	.protected	_ZN7rocprim17ROCPRIM_400000_NS6detail17trampoline_kernelINS0_14default_configENS1_38merge_sort_block_merge_config_selectorIssEEZZNS1_27merge_sort_block_merge_implIS3_N6thrust23THRUST_200600_302600_NS6detail15normal_iteratorINS8_10device_ptrIsEEEESD_jNS1_19radix_merge_compareILb0ELb0EsNS0_19identity_decomposerEEEEE10hipError_tT0_T1_T2_jT3_P12ihipStream_tbPNSt15iterator_traitsISI_E10value_typeEPNSO_ISJ_E10value_typeEPSK_NS1_7vsmem_tEENKUlT_SI_SJ_SK_E_clISD_PsSD_S10_EESH_SX_SI_SJ_SK_EUlSX_E1_NS1_11comp_targetILNS1_3genE5ELNS1_11target_archE942ELNS1_3gpuE9ELNS1_3repE0EEENS1_36merge_oddeven_config_static_selectorELNS0_4arch9wavefront6targetE1EEEvSJ_ ; -- Begin function _ZN7rocprim17ROCPRIM_400000_NS6detail17trampoline_kernelINS0_14default_configENS1_38merge_sort_block_merge_config_selectorIssEEZZNS1_27merge_sort_block_merge_implIS3_N6thrust23THRUST_200600_302600_NS6detail15normal_iteratorINS8_10device_ptrIsEEEESD_jNS1_19radix_merge_compareILb0ELb0EsNS0_19identity_decomposerEEEEE10hipError_tT0_T1_T2_jT3_P12ihipStream_tbPNSt15iterator_traitsISI_E10value_typeEPNSO_ISJ_E10value_typeEPSK_NS1_7vsmem_tEENKUlT_SI_SJ_SK_E_clISD_PsSD_S10_EESH_SX_SI_SJ_SK_EUlSX_E1_NS1_11comp_targetILNS1_3genE5ELNS1_11target_archE942ELNS1_3gpuE9ELNS1_3repE0EEENS1_36merge_oddeven_config_static_selectorELNS0_4arch9wavefront6targetE1EEEvSJ_
	.globl	_ZN7rocprim17ROCPRIM_400000_NS6detail17trampoline_kernelINS0_14default_configENS1_38merge_sort_block_merge_config_selectorIssEEZZNS1_27merge_sort_block_merge_implIS3_N6thrust23THRUST_200600_302600_NS6detail15normal_iteratorINS8_10device_ptrIsEEEESD_jNS1_19radix_merge_compareILb0ELb0EsNS0_19identity_decomposerEEEEE10hipError_tT0_T1_T2_jT3_P12ihipStream_tbPNSt15iterator_traitsISI_E10value_typeEPNSO_ISJ_E10value_typeEPSK_NS1_7vsmem_tEENKUlT_SI_SJ_SK_E_clISD_PsSD_S10_EESH_SX_SI_SJ_SK_EUlSX_E1_NS1_11comp_targetILNS1_3genE5ELNS1_11target_archE942ELNS1_3gpuE9ELNS1_3repE0EEENS1_36merge_oddeven_config_static_selectorELNS0_4arch9wavefront6targetE1EEEvSJ_
	.p2align	8
	.type	_ZN7rocprim17ROCPRIM_400000_NS6detail17trampoline_kernelINS0_14default_configENS1_38merge_sort_block_merge_config_selectorIssEEZZNS1_27merge_sort_block_merge_implIS3_N6thrust23THRUST_200600_302600_NS6detail15normal_iteratorINS8_10device_ptrIsEEEESD_jNS1_19radix_merge_compareILb0ELb0EsNS0_19identity_decomposerEEEEE10hipError_tT0_T1_T2_jT3_P12ihipStream_tbPNSt15iterator_traitsISI_E10value_typeEPNSO_ISJ_E10value_typeEPSK_NS1_7vsmem_tEENKUlT_SI_SJ_SK_E_clISD_PsSD_S10_EESH_SX_SI_SJ_SK_EUlSX_E1_NS1_11comp_targetILNS1_3genE5ELNS1_11target_archE942ELNS1_3gpuE9ELNS1_3repE0EEENS1_36merge_oddeven_config_static_selectorELNS0_4arch9wavefront6targetE1EEEvSJ_,@function
_ZN7rocprim17ROCPRIM_400000_NS6detail17trampoline_kernelINS0_14default_configENS1_38merge_sort_block_merge_config_selectorIssEEZZNS1_27merge_sort_block_merge_implIS3_N6thrust23THRUST_200600_302600_NS6detail15normal_iteratorINS8_10device_ptrIsEEEESD_jNS1_19radix_merge_compareILb0ELb0EsNS0_19identity_decomposerEEEEE10hipError_tT0_T1_T2_jT3_P12ihipStream_tbPNSt15iterator_traitsISI_E10value_typeEPNSO_ISJ_E10value_typeEPSK_NS1_7vsmem_tEENKUlT_SI_SJ_SK_E_clISD_PsSD_S10_EESH_SX_SI_SJ_SK_EUlSX_E1_NS1_11comp_targetILNS1_3genE5ELNS1_11target_archE942ELNS1_3gpuE9ELNS1_3repE0EEENS1_36merge_oddeven_config_static_selectorELNS0_4arch9wavefront6targetE1EEEvSJ_: ; @_ZN7rocprim17ROCPRIM_400000_NS6detail17trampoline_kernelINS0_14default_configENS1_38merge_sort_block_merge_config_selectorIssEEZZNS1_27merge_sort_block_merge_implIS3_N6thrust23THRUST_200600_302600_NS6detail15normal_iteratorINS8_10device_ptrIsEEEESD_jNS1_19radix_merge_compareILb0ELb0EsNS0_19identity_decomposerEEEEE10hipError_tT0_T1_T2_jT3_P12ihipStream_tbPNSt15iterator_traitsISI_E10value_typeEPNSO_ISJ_E10value_typeEPSK_NS1_7vsmem_tEENKUlT_SI_SJ_SK_E_clISD_PsSD_S10_EESH_SX_SI_SJ_SK_EUlSX_E1_NS1_11comp_targetILNS1_3genE5ELNS1_11target_archE942ELNS1_3gpuE9ELNS1_3repE0EEENS1_36merge_oddeven_config_static_selectorELNS0_4arch9wavefront6targetE1EEEvSJ_
; %bb.0:
	.section	.rodata,"a",@progbits
	.p2align	6, 0x0
	.amdhsa_kernel _ZN7rocprim17ROCPRIM_400000_NS6detail17trampoline_kernelINS0_14default_configENS1_38merge_sort_block_merge_config_selectorIssEEZZNS1_27merge_sort_block_merge_implIS3_N6thrust23THRUST_200600_302600_NS6detail15normal_iteratorINS8_10device_ptrIsEEEESD_jNS1_19radix_merge_compareILb0ELb0EsNS0_19identity_decomposerEEEEE10hipError_tT0_T1_T2_jT3_P12ihipStream_tbPNSt15iterator_traitsISI_E10value_typeEPNSO_ISJ_E10value_typeEPSK_NS1_7vsmem_tEENKUlT_SI_SJ_SK_E_clISD_PsSD_S10_EESH_SX_SI_SJ_SK_EUlSX_E1_NS1_11comp_targetILNS1_3genE5ELNS1_11target_archE942ELNS1_3gpuE9ELNS1_3repE0EEENS1_36merge_oddeven_config_static_selectorELNS0_4arch9wavefront6targetE1EEEvSJ_
		.amdhsa_group_segment_fixed_size 0
		.amdhsa_private_segment_fixed_size 0
		.amdhsa_kernarg_size 48
		.amdhsa_user_sgpr_count 2
		.amdhsa_user_sgpr_dispatch_ptr 0
		.amdhsa_user_sgpr_queue_ptr 0
		.amdhsa_user_sgpr_kernarg_segment_ptr 1
		.amdhsa_user_sgpr_dispatch_id 0
		.amdhsa_user_sgpr_kernarg_preload_length 0
		.amdhsa_user_sgpr_kernarg_preload_offset 0
		.amdhsa_user_sgpr_private_segment_size 0
		.amdhsa_uses_dynamic_stack 0
		.amdhsa_enable_private_segment 0
		.amdhsa_system_sgpr_workgroup_id_x 1
		.amdhsa_system_sgpr_workgroup_id_y 0
		.amdhsa_system_sgpr_workgroup_id_z 0
		.amdhsa_system_sgpr_workgroup_info 0
		.amdhsa_system_vgpr_workitem_id 0
		.amdhsa_next_free_vgpr 1
		.amdhsa_next_free_sgpr 0
		.amdhsa_accum_offset 4
		.amdhsa_reserve_vcc 0
		.amdhsa_float_round_mode_32 0
		.amdhsa_float_round_mode_16_64 0
		.amdhsa_float_denorm_mode_32 3
		.amdhsa_float_denorm_mode_16_64 3
		.amdhsa_dx10_clamp 1
		.amdhsa_ieee_mode 1
		.amdhsa_fp16_overflow 0
		.amdhsa_tg_split 0
		.amdhsa_exception_fp_ieee_invalid_op 0
		.amdhsa_exception_fp_denorm_src 0
		.amdhsa_exception_fp_ieee_div_zero 0
		.amdhsa_exception_fp_ieee_overflow 0
		.amdhsa_exception_fp_ieee_underflow 0
		.amdhsa_exception_fp_ieee_inexact 0
		.amdhsa_exception_int_div_zero 0
	.end_amdhsa_kernel
	.section	.text._ZN7rocprim17ROCPRIM_400000_NS6detail17trampoline_kernelINS0_14default_configENS1_38merge_sort_block_merge_config_selectorIssEEZZNS1_27merge_sort_block_merge_implIS3_N6thrust23THRUST_200600_302600_NS6detail15normal_iteratorINS8_10device_ptrIsEEEESD_jNS1_19radix_merge_compareILb0ELb0EsNS0_19identity_decomposerEEEEE10hipError_tT0_T1_T2_jT3_P12ihipStream_tbPNSt15iterator_traitsISI_E10value_typeEPNSO_ISJ_E10value_typeEPSK_NS1_7vsmem_tEENKUlT_SI_SJ_SK_E_clISD_PsSD_S10_EESH_SX_SI_SJ_SK_EUlSX_E1_NS1_11comp_targetILNS1_3genE5ELNS1_11target_archE942ELNS1_3gpuE9ELNS1_3repE0EEENS1_36merge_oddeven_config_static_selectorELNS0_4arch9wavefront6targetE1EEEvSJ_,"axG",@progbits,_ZN7rocprim17ROCPRIM_400000_NS6detail17trampoline_kernelINS0_14default_configENS1_38merge_sort_block_merge_config_selectorIssEEZZNS1_27merge_sort_block_merge_implIS3_N6thrust23THRUST_200600_302600_NS6detail15normal_iteratorINS8_10device_ptrIsEEEESD_jNS1_19radix_merge_compareILb0ELb0EsNS0_19identity_decomposerEEEEE10hipError_tT0_T1_T2_jT3_P12ihipStream_tbPNSt15iterator_traitsISI_E10value_typeEPNSO_ISJ_E10value_typeEPSK_NS1_7vsmem_tEENKUlT_SI_SJ_SK_E_clISD_PsSD_S10_EESH_SX_SI_SJ_SK_EUlSX_E1_NS1_11comp_targetILNS1_3genE5ELNS1_11target_archE942ELNS1_3gpuE9ELNS1_3repE0EEENS1_36merge_oddeven_config_static_selectorELNS0_4arch9wavefront6targetE1EEEvSJ_,comdat
.Lfunc_end1552:
	.size	_ZN7rocprim17ROCPRIM_400000_NS6detail17trampoline_kernelINS0_14default_configENS1_38merge_sort_block_merge_config_selectorIssEEZZNS1_27merge_sort_block_merge_implIS3_N6thrust23THRUST_200600_302600_NS6detail15normal_iteratorINS8_10device_ptrIsEEEESD_jNS1_19radix_merge_compareILb0ELb0EsNS0_19identity_decomposerEEEEE10hipError_tT0_T1_T2_jT3_P12ihipStream_tbPNSt15iterator_traitsISI_E10value_typeEPNSO_ISJ_E10value_typeEPSK_NS1_7vsmem_tEENKUlT_SI_SJ_SK_E_clISD_PsSD_S10_EESH_SX_SI_SJ_SK_EUlSX_E1_NS1_11comp_targetILNS1_3genE5ELNS1_11target_archE942ELNS1_3gpuE9ELNS1_3repE0EEENS1_36merge_oddeven_config_static_selectorELNS0_4arch9wavefront6targetE1EEEvSJ_, .Lfunc_end1552-_ZN7rocprim17ROCPRIM_400000_NS6detail17trampoline_kernelINS0_14default_configENS1_38merge_sort_block_merge_config_selectorIssEEZZNS1_27merge_sort_block_merge_implIS3_N6thrust23THRUST_200600_302600_NS6detail15normal_iteratorINS8_10device_ptrIsEEEESD_jNS1_19radix_merge_compareILb0ELb0EsNS0_19identity_decomposerEEEEE10hipError_tT0_T1_T2_jT3_P12ihipStream_tbPNSt15iterator_traitsISI_E10value_typeEPNSO_ISJ_E10value_typeEPSK_NS1_7vsmem_tEENKUlT_SI_SJ_SK_E_clISD_PsSD_S10_EESH_SX_SI_SJ_SK_EUlSX_E1_NS1_11comp_targetILNS1_3genE5ELNS1_11target_archE942ELNS1_3gpuE9ELNS1_3repE0EEENS1_36merge_oddeven_config_static_selectorELNS0_4arch9wavefront6targetE1EEEvSJ_
                                        ; -- End function
	.set _ZN7rocprim17ROCPRIM_400000_NS6detail17trampoline_kernelINS0_14default_configENS1_38merge_sort_block_merge_config_selectorIssEEZZNS1_27merge_sort_block_merge_implIS3_N6thrust23THRUST_200600_302600_NS6detail15normal_iteratorINS8_10device_ptrIsEEEESD_jNS1_19radix_merge_compareILb0ELb0EsNS0_19identity_decomposerEEEEE10hipError_tT0_T1_T2_jT3_P12ihipStream_tbPNSt15iterator_traitsISI_E10value_typeEPNSO_ISJ_E10value_typeEPSK_NS1_7vsmem_tEENKUlT_SI_SJ_SK_E_clISD_PsSD_S10_EESH_SX_SI_SJ_SK_EUlSX_E1_NS1_11comp_targetILNS1_3genE5ELNS1_11target_archE942ELNS1_3gpuE9ELNS1_3repE0EEENS1_36merge_oddeven_config_static_selectorELNS0_4arch9wavefront6targetE1EEEvSJ_.num_vgpr, 0
	.set _ZN7rocprim17ROCPRIM_400000_NS6detail17trampoline_kernelINS0_14default_configENS1_38merge_sort_block_merge_config_selectorIssEEZZNS1_27merge_sort_block_merge_implIS3_N6thrust23THRUST_200600_302600_NS6detail15normal_iteratorINS8_10device_ptrIsEEEESD_jNS1_19radix_merge_compareILb0ELb0EsNS0_19identity_decomposerEEEEE10hipError_tT0_T1_T2_jT3_P12ihipStream_tbPNSt15iterator_traitsISI_E10value_typeEPNSO_ISJ_E10value_typeEPSK_NS1_7vsmem_tEENKUlT_SI_SJ_SK_E_clISD_PsSD_S10_EESH_SX_SI_SJ_SK_EUlSX_E1_NS1_11comp_targetILNS1_3genE5ELNS1_11target_archE942ELNS1_3gpuE9ELNS1_3repE0EEENS1_36merge_oddeven_config_static_selectorELNS0_4arch9wavefront6targetE1EEEvSJ_.num_agpr, 0
	.set _ZN7rocprim17ROCPRIM_400000_NS6detail17trampoline_kernelINS0_14default_configENS1_38merge_sort_block_merge_config_selectorIssEEZZNS1_27merge_sort_block_merge_implIS3_N6thrust23THRUST_200600_302600_NS6detail15normal_iteratorINS8_10device_ptrIsEEEESD_jNS1_19radix_merge_compareILb0ELb0EsNS0_19identity_decomposerEEEEE10hipError_tT0_T1_T2_jT3_P12ihipStream_tbPNSt15iterator_traitsISI_E10value_typeEPNSO_ISJ_E10value_typeEPSK_NS1_7vsmem_tEENKUlT_SI_SJ_SK_E_clISD_PsSD_S10_EESH_SX_SI_SJ_SK_EUlSX_E1_NS1_11comp_targetILNS1_3genE5ELNS1_11target_archE942ELNS1_3gpuE9ELNS1_3repE0EEENS1_36merge_oddeven_config_static_selectorELNS0_4arch9wavefront6targetE1EEEvSJ_.numbered_sgpr, 0
	.set _ZN7rocprim17ROCPRIM_400000_NS6detail17trampoline_kernelINS0_14default_configENS1_38merge_sort_block_merge_config_selectorIssEEZZNS1_27merge_sort_block_merge_implIS3_N6thrust23THRUST_200600_302600_NS6detail15normal_iteratorINS8_10device_ptrIsEEEESD_jNS1_19radix_merge_compareILb0ELb0EsNS0_19identity_decomposerEEEEE10hipError_tT0_T1_T2_jT3_P12ihipStream_tbPNSt15iterator_traitsISI_E10value_typeEPNSO_ISJ_E10value_typeEPSK_NS1_7vsmem_tEENKUlT_SI_SJ_SK_E_clISD_PsSD_S10_EESH_SX_SI_SJ_SK_EUlSX_E1_NS1_11comp_targetILNS1_3genE5ELNS1_11target_archE942ELNS1_3gpuE9ELNS1_3repE0EEENS1_36merge_oddeven_config_static_selectorELNS0_4arch9wavefront6targetE1EEEvSJ_.num_named_barrier, 0
	.set _ZN7rocprim17ROCPRIM_400000_NS6detail17trampoline_kernelINS0_14default_configENS1_38merge_sort_block_merge_config_selectorIssEEZZNS1_27merge_sort_block_merge_implIS3_N6thrust23THRUST_200600_302600_NS6detail15normal_iteratorINS8_10device_ptrIsEEEESD_jNS1_19radix_merge_compareILb0ELb0EsNS0_19identity_decomposerEEEEE10hipError_tT0_T1_T2_jT3_P12ihipStream_tbPNSt15iterator_traitsISI_E10value_typeEPNSO_ISJ_E10value_typeEPSK_NS1_7vsmem_tEENKUlT_SI_SJ_SK_E_clISD_PsSD_S10_EESH_SX_SI_SJ_SK_EUlSX_E1_NS1_11comp_targetILNS1_3genE5ELNS1_11target_archE942ELNS1_3gpuE9ELNS1_3repE0EEENS1_36merge_oddeven_config_static_selectorELNS0_4arch9wavefront6targetE1EEEvSJ_.private_seg_size, 0
	.set _ZN7rocprim17ROCPRIM_400000_NS6detail17trampoline_kernelINS0_14default_configENS1_38merge_sort_block_merge_config_selectorIssEEZZNS1_27merge_sort_block_merge_implIS3_N6thrust23THRUST_200600_302600_NS6detail15normal_iteratorINS8_10device_ptrIsEEEESD_jNS1_19radix_merge_compareILb0ELb0EsNS0_19identity_decomposerEEEEE10hipError_tT0_T1_T2_jT3_P12ihipStream_tbPNSt15iterator_traitsISI_E10value_typeEPNSO_ISJ_E10value_typeEPSK_NS1_7vsmem_tEENKUlT_SI_SJ_SK_E_clISD_PsSD_S10_EESH_SX_SI_SJ_SK_EUlSX_E1_NS1_11comp_targetILNS1_3genE5ELNS1_11target_archE942ELNS1_3gpuE9ELNS1_3repE0EEENS1_36merge_oddeven_config_static_selectorELNS0_4arch9wavefront6targetE1EEEvSJ_.uses_vcc, 0
	.set _ZN7rocprim17ROCPRIM_400000_NS6detail17trampoline_kernelINS0_14default_configENS1_38merge_sort_block_merge_config_selectorIssEEZZNS1_27merge_sort_block_merge_implIS3_N6thrust23THRUST_200600_302600_NS6detail15normal_iteratorINS8_10device_ptrIsEEEESD_jNS1_19radix_merge_compareILb0ELb0EsNS0_19identity_decomposerEEEEE10hipError_tT0_T1_T2_jT3_P12ihipStream_tbPNSt15iterator_traitsISI_E10value_typeEPNSO_ISJ_E10value_typeEPSK_NS1_7vsmem_tEENKUlT_SI_SJ_SK_E_clISD_PsSD_S10_EESH_SX_SI_SJ_SK_EUlSX_E1_NS1_11comp_targetILNS1_3genE5ELNS1_11target_archE942ELNS1_3gpuE9ELNS1_3repE0EEENS1_36merge_oddeven_config_static_selectorELNS0_4arch9wavefront6targetE1EEEvSJ_.uses_flat_scratch, 0
	.set _ZN7rocprim17ROCPRIM_400000_NS6detail17trampoline_kernelINS0_14default_configENS1_38merge_sort_block_merge_config_selectorIssEEZZNS1_27merge_sort_block_merge_implIS3_N6thrust23THRUST_200600_302600_NS6detail15normal_iteratorINS8_10device_ptrIsEEEESD_jNS1_19radix_merge_compareILb0ELb0EsNS0_19identity_decomposerEEEEE10hipError_tT0_T1_T2_jT3_P12ihipStream_tbPNSt15iterator_traitsISI_E10value_typeEPNSO_ISJ_E10value_typeEPSK_NS1_7vsmem_tEENKUlT_SI_SJ_SK_E_clISD_PsSD_S10_EESH_SX_SI_SJ_SK_EUlSX_E1_NS1_11comp_targetILNS1_3genE5ELNS1_11target_archE942ELNS1_3gpuE9ELNS1_3repE0EEENS1_36merge_oddeven_config_static_selectorELNS0_4arch9wavefront6targetE1EEEvSJ_.has_dyn_sized_stack, 0
	.set _ZN7rocprim17ROCPRIM_400000_NS6detail17trampoline_kernelINS0_14default_configENS1_38merge_sort_block_merge_config_selectorIssEEZZNS1_27merge_sort_block_merge_implIS3_N6thrust23THRUST_200600_302600_NS6detail15normal_iteratorINS8_10device_ptrIsEEEESD_jNS1_19radix_merge_compareILb0ELb0EsNS0_19identity_decomposerEEEEE10hipError_tT0_T1_T2_jT3_P12ihipStream_tbPNSt15iterator_traitsISI_E10value_typeEPNSO_ISJ_E10value_typeEPSK_NS1_7vsmem_tEENKUlT_SI_SJ_SK_E_clISD_PsSD_S10_EESH_SX_SI_SJ_SK_EUlSX_E1_NS1_11comp_targetILNS1_3genE5ELNS1_11target_archE942ELNS1_3gpuE9ELNS1_3repE0EEENS1_36merge_oddeven_config_static_selectorELNS0_4arch9wavefront6targetE1EEEvSJ_.has_recursion, 0
	.set _ZN7rocprim17ROCPRIM_400000_NS6detail17trampoline_kernelINS0_14default_configENS1_38merge_sort_block_merge_config_selectorIssEEZZNS1_27merge_sort_block_merge_implIS3_N6thrust23THRUST_200600_302600_NS6detail15normal_iteratorINS8_10device_ptrIsEEEESD_jNS1_19radix_merge_compareILb0ELb0EsNS0_19identity_decomposerEEEEE10hipError_tT0_T1_T2_jT3_P12ihipStream_tbPNSt15iterator_traitsISI_E10value_typeEPNSO_ISJ_E10value_typeEPSK_NS1_7vsmem_tEENKUlT_SI_SJ_SK_E_clISD_PsSD_S10_EESH_SX_SI_SJ_SK_EUlSX_E1_NS1_11comp_targetILNS1_3genE5ELNS1_11target_archE942ELNS1_3gpuE9ELNS1_3repE0EEENS1_36merge_oddeven_config_static_selectorELNS0_4arch9wavefront6targetE1EEEvSJ_.has_indirect_call, 0
	.section	.AMDGPU.csdata,"",@progbits
; Kernel info:
; codeLenInByte = 0
; TotalNumSgprs: 6
; NumVgprs: 0
; NumAgprs: 0
; TotalNumVgprs: 0
; ScratchSize: 0
; MemoryBound: 0
; FloatMode: 240
; IeeeMode: 1
; LDSByteSize: 0 bytes/workgroup (compile time only)
; SGPRBlocks: 0
; VGPRBlocks: 0
; NumSGPRsForWavesPerEU: 6
; NumVGPRsForWavesPerEU: 1
; AccumOffset: 4
; Occupancy: 8
; WaveLimiterHint : 0
; COMPUTE_PGM_RSRC2:SCRATCH_EN: 0
; COMPUTE_PGM_RSRC2:USER_SGPR: 2
; COMPUTE_PGM_RSRC2:TRAP_HANDLER: 0
; COMPUTE_PGM_RSRC2:TGID_X_EN: 1
; COMPUTE_PGM_RSRC2:TGID_Y_EN: 0
; COMPUTE_PGM_RSRC2:TGID_Z_EN: 0
; COMPUTE_PGM_RSRC2:TIDIG_COMP_CNT: 0
; COMPUTE_PGM_RSRC3_GFX90A:ACCUM_OFFSET: 0
; COMPUTE_PGM_RSRC3_GFX90A:TG_SPLIT: 0
	.section	.text._ZN7rocprim17ROCPRIM_400000_NS6detail17trampoline_kernelINS0_14default_configENS1_38merge_sort_block_merge_config_selectorIssEEZZNS1_27merge_sort_block_merge_implIS3_N6thrust23THRUST_200600_302600_NS6detail15normal_iteratorINS8_10device_ptrIsEEEESD_jNS1_19radix_merge_compareILb0ELb0EsNS0_19identity_decomposerEEEEE10hipError_tT0_T1_T2_jT3_P12ihipStream_tbPNSt15iterator_traitsISI_E10value_typeEPNSO_ISJ_E10value_typeEPSK_NS1_7vsmem_tEENKUlT_SI_SJ_SK_E_clISD_PsSD_S10_EESH_SX_SI_SJ_SK_EUlSX_E1_NS1_11comp_targetILNS1_3genE4ELNS1_11target_archE910ELNS1_3gpuE8ELNS1_3repE0EEENS1_36merge_oddeven_config_static_selectorELNS0_4arch9wavefront6targetE1EEEvSJ_,"axG",@progbits,_ZN7rocprim17ROCPRIM_400000_NS6detail17trampoline_kernelINS0_14default_configENS1_38merge_sort_block_merge_config_selectorIssEEZZNS1_27merge_sort_block_merge_implIS3_N6thrust23THRUST_200600_302600_NS6detail15normal_iteratorINS8_10device_ptrIsEEEESD_jNS1_19radix_merge_compareILb0ELb0EsNS0_19identity_decomposerEEEEE10hipError_tT0_T1_T2_jT3_P12ihipStream_tbPNSt15iterator_traitsISI_E10value_typeEPNSO_ISJ_E10value_typeEPSK_NS1_7vsmem_tEENKUlT_SI_SJ_SK_E_clISD_PsSD_S10_EESH_SX_SI_SJ_SK_EUlSX_E1_NS1_11comp_targetILNS1_3genE4ELNS1_11target_archE910ELNS1_3gpuE8ELNS1_3repE0EEENS1_36merge_oddeven_config_static_selectorELNS0_4arch9wavefront6targetE1EEEvSJ_,comdat
	.protected	_ZN7rocprim17ROCPRIM_400000_NS6detail17trampoline_kernelINS0_14default_configENS1_38merge_sort_block_merge_config_selectorIssEEZZNS1_27merge_sort_block_merge_implIS3_N6thrust23THRUST_200600_302600_NS6detail15normal_iteratorINS8_10device_ptrIsEEEESD_jNS1_19radix_merge_compareILb0ELb0EsNS0_19identity_decomposerEEEEE10hipError_tT0_T1_T2_jT3_P12ihipStream_tbPNSt15iterator_traitsISI_E10value_typeEPNSO_ISJ_E10value_typeEPSK_NS1_7vsmem_tEENKUlT_SI_SJ_SK_E_clISD_PsSD_S10_EESH_SX_SI_SJ_SK_EUlSX_E1_NS1_11comp_targetILNS1_3genE4ELNS1_11target_archE910ELNS1_3gpuE8ELNS1_3repE0EEENS1_36merge_oddeven_config_static_selectorELNS0_4arch9wavefront6targetE1EEEvSJ_ ; -- Begin function _ZN7rocprim17ROCPRIM_400000_NS6detail17trampoline_kernelINS0_14default_configENS1_38merge_sort_block_merge_config_selectorIssEEZZNS1_27merge_sort_block_merge_implIS3_N6thrust23THRUST_200600_302600_NS6detail15normal_iteratorINS8_10device_ptrIsEEEESD_jNS1_19radix_merge_compareILb0ELb0EsNS0_19identity_decomposerEEEEE10hipError_tT0_T1_T2_jT3_P12ihipStream_tbPNSt15iterator_traitsISI_E10value_typeEPNSO_ISJ_E10value_typeEPSK_NS1_7vsmem_tEENKUlT_SI_SJ_SK_E_clISD_PsSD_S10_EESH_SX_SI_SJ_SK_EUlSX_E1_NS1_11comp_targetILNS1_3genE4ELNS1_11target_archE910ELNS1_3gpuE8ELNS1_3repE0EEENS1_36merge_oddeven_config_static_selectorELNS0_4arch9wavefront6targetE1EEEvSJ_
	.globl	_ZN7rocprim17ROCPRIM_400000_NS6detail17trampoline_kernelINS0_14default_configENS1_38merge_sort_block_merge_config_selectorIssEEZZNS1_27merge_sort_block_merge_implIS3_N6thrust23THRUST_200600_302600_NS6detail15normal_iteratorINS8_10device_ptrIsEEEESD_jNS1_19radix_merge_compareILb0ELb0EsNS0_19identity_decomposerEEEEE10hipError_tT0_T1_T2_jT3_P12ihipStream_tbPNSt15iterator_traitsISI_E10value_typeEPNSO_ISJ_E10value_typeEPSK_NS1_7vsmem_tEENKUlT_SI_SJ_SK_E_clISD_PsSD_S10_EESH_SX_SI_SJ_SK_EUlSX_E1_NS1_11comp_targetILNS1_3genE4ELNS1_11target_archE910ELNS1_3gpuE8ELNS1_3repE0EEENS1_36merge_oddeven_config_static_selectorELNS0_4arch9wavefront6targetE1EEEvSJ_
	.p2align	8
	.type	_ZN7rocprim17ROCPRIM_400000_NS6detail17trampoline_kernelINS0_14default_configENS1_38merge_sort_block_merge_config_selectorIssEEZZNS1_27merge_sort_block_merge_implIS3_N6thrust23THRUST_200600_302600_NS6detail15normal_iteratorINS8_10device_ptrIsEEEESD_jNS1_19radix_merge_compareILb0ELb0EsNS0_19identity_decomposerEEEEE10hipError_tT0_T1_T2_jT3_P12ihipStream_tbPNSt15iterator_traitsISI_E10value_typeEPNSO_ISJ_E10value_typeEPSK_NS1_7vsmem_tEENKUlT_SI_SJ_SK_E_clISD_PsSD_S10_EESH_SX_SI_SJ_SK_EUlSX_E1_NS1_11comp_targetILNS1_3genE4ELNS1_11target_archE910ELNS1_3gpuE8ELNS1_3repE0EEENS1_36merge_oddeven_config_static_selectorELNS0_4arch9wavefront6targetE1EEEvSJ_,@function
_ZN7rocprim17ROCPRIM_400000_NS6detail17trampoline_kernelINS0_14default_configENS1_38merge_sort_block_merge_config_selectorIssEEZZNS1_27merge_sort_block_merge_implIS3_N6thrust23THRUST_200600_302600_NS6detail15normal_iteratorINS8_10device_ptrIsEEEESD_jNS1_19radix_merge_compareILb0ELb0EsNS0_19identity_decomposerEEEEE10hipError_tT0_T1_T2_jT3_P12ihipStream_tbPNSt15iterator_traitsISI_E10value_typeEPNSO_ISJ_E10value_typeEPSK_NS1_7vsmem_tEENKUlT_SI_SJ_SK_E_clISD_PsSD_S10_EESH_SX_SI_SJ_SK_EUlSX_E1_NS1_11comp_targetILNS1_3genE4ELNS1_11target_archE910ELNS1_3gpuE8ELNS1_3repE0EEENS1_36merge_oddeven_config_static_selectorELNS0_4arch9wavefront6targetE1EEEvSJ_: ; @_ZN7rocprim17ROCPRIM_400000_NS6detail17trampoline_kernelINS0_14default_configENS1_38merge_sort_block_merge_config_selectorIssEEZZNS1_27merge_sort_block_merge_implIS3_N6thrust23THRUST_200600_302600_NS6detail15normal_iteratorINS8_10device_ptrIsEEEESD_jNS1_19radix_merge_compareILb0ELb0EsNS0_19identity_decomposerEEEEE10hipError_tT0_T1_T2_jT3_P12ihipStream_tbPNSt15iterator_traitsISI_E10value_typeEPNSO_ISJ_E10value_typeEPSK_NS1_7vsmem_tEENKUlT_SI_SJ_SK_E_clISD_PsSD_S10_EESH_SX_SI_SJ_SK_EUlSX_E1_NS1_11comp_targetILNS1_3genE4ELNS1_11target_archE910ELNS1_3gpuE8ELNS1_3repE0EEENS1_36merge_oddeven_config_static_selectorELNS0_4arch9wavefront6targetE1EEEvSJ_
; %bb.0:
	.section	.rodata,"a",@progbits
	.p2align	6, 0x0
	.amdhsa_kernel _ZN7rocprim17ROCPRIM_400000_NS6detail17trampoline_kernelINS0_14default_configENS1_38merge_sort_block_merge_config_selectorIssEEZZNS1_27merge_sort_block_merge_implIS3_N6thrust23THRUST_200600_302600_NS6detail15normal_iteratorINS8_10device_ptrIsEEEESD_jNS1_19radix_merge_compareILb0ELb0EsNS0_19identity_decomposerEEEEE10hipError_tT0_T1_T2_jT3_P12ihipStream_tbPNSt15iterator_traitsISI_E10value_typeEPNSO_ISJ_E10value_typeEPSK_NS1_7vsmem_tEENKUlT_SI_SJ_SK_E_clISD_PsSD_S10_EESH_SX_SI_SJ_SK_EUlSX_E1_NS1_11comp_targetILNS1_3genE4ELNS1_11target_archE910ELNS1_3gpuE8ELNS1_3repE0EEENS1_36merge_oddeven_config_static_selectorELNS0_4arch9wavefront6targetE1EEEvSJ_
		.amdhsa_group_segment_fixed_size 0
		.amdhsa_private_segment_fixed_size 0
		.amdhsa_kernarg_size 48
		.amdhsa_user_sgpr_count 2
		.amdhsa_user_sgpr_dispatch_ptr 0
		.amdhsa_user_sgpr_queue_ptr 0
		.amdhsa_user_sgpr_kernarg_segment_ptr 1
		.amdhsa_user_sgpr_dispatch_id 0
		.amdhsa_user_sgpr_kernarg_preload_length 0
		.amdhsa_user_sgpr_kernarg_preload_offset 0
		.amdhsa_user_sgpr_private_segment_size 0
		.amdhsa_uses_dynamic_stack 0
		.amdhsa_enable_private_segment 0
		.amdhsa_system_sgpr_workgroup_id_x 1
		.amdhsa_system_sgpr_workgroup_id_y 0
		.amdhsa_system_sgpr_workgroup_id_z 0
		.amdhsa_system_sgpr_workgroup_info 0
		.amdhsa_system_vgpr_workitem_id 0
		.amdhsa_next_free_vgpr 1
		.amdhsa_next_free_sgpr 0
		.amdhsa_accum_offset 4
		.amdhsa_reserve_vcc 0
		.amdhsa_float_round_mode_32 0
		.amdhsa_float_round_mode_16_64 0
		.amdhsa_float_denorm_mode_32 3
		.amdhsa_float_denorm_mode_16_64 3
		.amdhsa_dx10_clamp 1
		.amdhsa_ieee_mode 1
		.amdhsa_fp16_overflow 0
		.amdhsa_tg_split 0
		.amdhsa_exception_fp_ieee_invalid_op 0
		.amdhsa_exception_fp_denorm_src 0
		.amdhsa_exception_fp_ieee_div_zero 0
		.amdhsa_exception_fp_ieee_overflow 0
		.amdhsa_exception_fp_ieee_underflow 0
		.amdhsa_exception_fp_ieee_inexact 0
		.amdhsa_exception_int_div_zero 0
	.end_amdhsa_kernel
	.section	.text._ZN7rocprim17ROCPRIM_400000_NS6detail17trampoline_kernelINS0_14default_configENS1_38merge_sort_block_merge_config_selectorIssEEZZNS1_27merge_sort_block_merge_implIS3_N6thrust23THRUST_200600_302600_NS6detail15normal_iteratorINS8_10device_ptrIsEEEESD_jNS1_19radix_merge_compareILb0ELb0EsNS0_19identity_decomposerEEEEE10hipError_tT0_T1_T2_jT3_P12ihipStream_tbPNSt15iterator_traitsISI_E10value_typeEPNSO_ISJ_E10value_typeEPSK_NS1_7vsmem_tEENKUlT_SI_SJ_SK_E_clISD_PsSD_S10_EESH_SX_SI_SJ_SK_EUlSX_E1_NS1_11comp_targetILNS1_3genE4ELNS1_11target_archE910ELNS1_3gpuE8ELNS1_3repE0EEENS1_36merge_oddeven_config_static_selectorELNS0_4arch9wavefront6targetE1EEEvSJ_,"axG",@progbits,_ZN7rocprim17ROCPRIM_400000_NS6detail17trampoline_kernelINS0_14default_configENS1_38merge_sort_block_merge_config_selectorIssEEZZNS1_27merge_sort_block_merge_implIS3_N6thrust23THRUST_200600_302600_NS6detail15normal_iteratorINS8_10device_ptrIsEEEESD_jNS1_19radix_merge_compareILb0ELb0EsNS0_19identity_decomposerEEEEE10hipError_tT0_T1_T2_jT3_P12ihipStream_tbPNSt15iterator_traitsISI_E10value_typeEPNSO_ISJ_E10value_typeEPSK_NS1_7vsmem_tEENKUlT_SI_SJ_SK_E_clISD_PsSD_S10_EESH_SX_SI_SJ_SK_EUlSX_E1_NS1_11comp_targetILNS1_3genE4ELNS1_11target_archE910ELNS1_3gpuE8ELNS1_3repE0EEENS1_36merge_oddeven_config_static_selectorELNS0_4arch9wavefront6targetE1EEEvSJ_,comdat
.Lfunc_end1553:
	.size	_ZN7rocprim17ROCPRIM_400000_NS6detail17trampoline_kernelINS0_14default_configENS1_38merge_sort_block_merge_config_selectorIssEEZZNS1_27merge_sort_block_merge_implIS3_N6thrust23THRUST_200600_302600_NS6detail15normal_iteratorINS8_10device_ptrIsEEEESD_jNS1_19radix_merge_compareILb0ELb0EsNS0_19identity_decomposerEEEEE10hipError_tT0_T1_T2_jT3_P12ihipStream_tbPNSt15iterator_traitsISI_E10value_typeEPNSO_ISJ_E10value_typeEPSK_NS1_7vsmem_tEENKUlT_SI_SJ_SK_E_clISD_PsSD_S10_EESH_SX_SI_SJ_SK_EUlSX_E1_NS1_11comp_targetILNS1_3genE4ELNS1_11target_archE910ELNS1_3gpuE8ELNS1_3repE0EEENS1_36merge_oddeven_config_static_selectorELNS0_4arch9wavefront6targetE1EEEvSJ_, .Lfunc_end1553-_ZN7rocprim17ROCPRIM_400000_NS6detail17trampoline_kernelINS0_14default_configENS1_38merge_sort_block_merge_config_selectorIssEEZZNS1_27merge_sort_block_merge_implIS3_N6thrust23THRUST_200600_302600_NS6detail15normal_iteratorINS8_10device_ptrIsEEEESD_jNS1_19radix_merge_compareILb0ELb0EsNS0_19identity_decomposerEEEEE10hipError_tT0_T1_T2_jT3_P12ihipStream_tbPNSt15iterator_traitsISI_E10value_typeEPNSO_ISJ_E10value_typeEPSK_NS1_7vsmem_tEENKUlT_SI_SJ_SK_E_clISD_PsSD_S10_EESH_SX_SI_SJ_SK_EUlSX_E1_NS1_11comp_targetILNS1_3genE4ELNS1_11target_archE910ELNS1_3gpuE8ELNS1_3repE0EEENS1_36merge_oddeven_config_static_selectorELNS0_4arch9wavefront6targetE1EEEvSJ_
                                        ; -- End function
	.set _ZN7rocprim17ROCPRIM_400000_NS6detail17trampoline_kernelINS0_14default_configENS1_38merge_sort_block_merge_config_selectorIssEEZZNS1_27merge_sort_block_merge_implIS3_N6thrust23THRUST_200600_302600_NS6detail15normal_iteratorINS8_10device_ptrIsEEEESD_jNS1_19radix_merge_compareILb0ELb0EsNS0_19identity_decomposerEEEEE10hipError_tT0_T1_T2_jT3_P12ihipStream_tbPNSt15iterator_traitsISI_E10value_typeEPNSO_ISJ_E10value_typeEPSK_NS1_7vsmem_tEENKUlT_SI_SJ_SK_E_clISD_PsSD_S10_EESH_SX_SI_SJ_SK_EUlSX_E1_NS1_11comp_targetILNS1_3genE4ELNS1_11target_archE910ELNS1_3gpuE8ELNS1_3repE0EEENS1_36merge_oddeven_config_static_selectorELNS0_4arch9wavefront6targetE1EEEvSJ_.num_vgpr, 0
	.set _ZN7rocprim17ROCPRIM_400000_NS6detail17trampoline_kernelINS0_14default_configENS1_38merge_sort_block_merge_config_selectorIssEEZZNS1_27merge_sort_block_merge_implIS3_N6thrust23THRUST_200600_302600_NS6detail15normal_iteratorINS8_10device_ptrIsEEEESD_jNS1_19radix_merge_compareILb0ELb0EsNS0_19identity_decomposerEEEEE10hipError_tT0_T1_T2_jT3_P12ihipStream_tbPNSt15iterator_traitsISI_E10value_typeEPNSO_ISJ_E10value_typeEPSK_NS1_7vsmem_tEENKUlT_SI_SJ_SK_E_clISD_PsSD_S10_EESH_SX_SI_SJ_SK_EUlSX_E1_NS1_11comp_targetILNS1_3genE4ELNS1_11target_archE910ELNS1_3gpuE8ELNS1_3repE0EEENS1_36merge_oddeven_config_static_selectorELNS0_4arch9wavefront6targetE1EEEvSJ_.num_agpr, 0
	.set _ZN7rocprim17ROCPRIM_400000_NS6detail17trampoline_kernelINS0_14default_configENS1_38merge_sort_block_merge_config_selectorIssEEZZNS1_27merge_sort_block_merge_implIS3_N6thrust23THRUST_200600_302600_NS6detail15normal_iteratorINS8_10device_ptrIsEEEESD_jNS1_19radix_merge_compareILb0ELb0EsNS0_19identity_decomposerEEEEE10hipError_tT0_T1_T2_jT3_P12ihipStream_tbPNSt15iterator_traitsISI_E10value_typeEPNSO_ISJ_E10value_typeEPSK_NS1_7vsmem_tEENKUlT_SI_SJ_SK_E_clISD_PsSD_S10_EESH_SX_SI_SJ_SK_EUlSX_E1_NS1_11comp_targetILNS1_3genE4ELNS1_11target_archE910ELNS1_3gpuE8ELNS1_3repE0EEENS1_36merge_oddeven_config_static_selectorELNS0_4arch9wavefront6targetE1EEEvSJ_.numbered_sgpr, 0
	.set _ZN7rocprim17ROCPRIM_400000_NS6detail17trampoline_kernelINS0_14default_configENS1_38merge_sort_block_merge_config_selectorIssEEZZNS1_27merge_sort_block_merge_implIS3_N6thrust23THRUST_200600_302600_NS6detail15normal_iteratorINS8_10device_ptrIsEEEESD_jNS1_19radix_merge_compareILb0ELb0EsNS0_19identity_decomposerEEEEE10hipError_tT0_T1_T2_jT3_P12ihipStream_tbPNSt15iterator_traitsISI_E10value_typeEPNSO_ISJ_E10value_typeEPSK_NS1_7vsmem_tEENKUlT_SI_SJ_SK_E_clISD_PsSD_S10_EESH_SX_SI_SJ_SK_EUlSX_E1_NS1_11comp_targetILNS1_3genE4ELNS1_11target_archE910ELNS1_3gpuE8ELNS1_3repE0EEENS1_36merge_oddeven_config_static_selectorELNS0_4arch9wavefront6targetE1EEEvSJ_.num_named_barrier, 0
	.set _ZN7rocprim17ROCPRIM_400000_NS6detail17trampoline_kernelINS0_14default_configENS1_38merge_sort_block_merge_config_selectorIssEEZZNS1_27merge_sort_block_merge_implIS3_N6thrust23THRUST_200600_302600_NS6detail15normal_iteratorINS8_10device_ptrIsEEEESD_jNS1_19radix_merge_compareILb0ELb0EsNS0_19identity_decomposerEEEEE10hipError_tT0_T1_T2_jT3_P12ihipStream_tbPNSt15iterator_traitsISI_E10value_typeEPNSO_ISJ_E10value_typeEPSK_NS1_7vsmem_tEENKUlT_SI_SJ_SK_E_clISD_PsSD_S10_EESH_SX_SI_SJ_SK_EUlSX_E1_NS1_11comp_targetILNS1_3genE4ELNS1_11target_archE910ELNS1_3gpuE8ELNS1_3repE0EEENS1_36merge_oddeven_config_static_selectorELNS0_4arch9wavefront6targetE1EEEvSJ_.private_seg_size, 0
	.set _ZN7rocprim17ROCPRIM_400000_NS6detail17trampoline_kernelINS0_14default_configENS1_38merge_sort_block_merge_config_selectorIssEEZZNS1_27merge_sort_block_merge_implIS3_N6thrust23THRUST_200600_302600_NS6detail15normal_iteratorINS8_10device_ptrIsEEEESD_jNS1_19radix_merge_compareILb0ELb0EsNS0_19identity_decomposerEEEEE10hipError_tT0_T1_T2_jT3_P12ihipStream_tbPNSt15iterator_traitsISI_E10value_typeEPNSO_ISJ_E10value_typeEPSK_NS1_7vsmem_tEENKUlT_SI_SJ_SK_E_clISD_PsSD_S10_EESH_SX_SI_SJ_SK_EUlSX_E1_NS1_11comp_targetILNS1_3genE4ELNS1_11target_archE910ELNS1_3gpuE8ELNS1_3repE0EEENS1_36merge_oddeven_config_static_selectorELNS0_4arch9wavefront6targetE1EEEvSJ_.uses_vcc, 0
	.set _ZN7rocprim17ROCPRIM_400000_NS6detail17trampoline_kernelINS0_14default_configENS1_38merge_sort_block_merge_config_selectorIssEEZZNS1_27merge_sort_block_merge_implIS3_N6thrust23THRUST_200600_302600_NS6detail15normal_iteratorINS8_10device_ptrIsEEEESD_jNS1_19radix_merge_compareILb0ELb0EsNS0_19identity_decomposerEEEEE10hipError_tT0_T1_T2_jT3_P12ihipStream_tbPNSt15iterator_traitsISI_E10value_typeEPNSO_ISJ_E10value_typeEPSK_NS1_7vsmem_tEENKUlT_SI_SJ_SK_E_clISD_PsSD_S10_EESH_SX_SI_SJ_SK_EUlSX_E1_NS1_11comp_targetILNS1_3genE4ELNS1_11target_archE910ELNS1_3gpuE8ELNS1_3repE0EEENS1_36merge_oddeven_config_static_selectorELNS0_4arch9wavefront6targetE1EEEvSJ_.uses_flat_scratch, 0
	.set _ZN7rocprim17ROCPRIM_400000_NS6detail17trampoline_kernelINS0_14default_configENS1_38merge_sort_block_merge_config_selectorIssEEZZNS1_27merge_sort_block_merge_implIS3_N6thrust23THRUST_200600_302600_NS6detail15normal_iteratorINS8_10device_ptrIsEEEESD_jNS1_19radix_merge_compareILb0ELb0EsNS0_19identity_decomposerEEEEE10hipError_tT0_T1_T2_jT3_P12ihipStream_tbPNSt15iterator_traitsISI_E10value_typeEPNSO_ISJ_E10value_typeEPSK_NS1_7vsmem_tEENKUlT_SI_SJ_SK_E_clISD_PsSD_S10_EESH_SX_SI_SJ_SK_EUlSX_E1_NS1_11comp_targetILNS1_3genE4ELNS1_11target_archE910ELNS1_3gpuE8ELNS1_3repE0EEENS1_36merge_oddeven_config_static_selectorELNS0_4arch9wavefront6targetE1EEEvSJ_.has_dyn_sized_stack, 0
	.set _ZN7rocprim17ROCPRIM_400000_NS6detail17trampoline_kernelINS0_14default_configENS1_38merge_sort_block_merge_config_selectorIssEEZZNS1_27merge_sort_block_merge_implIS3_N6thrust23THRUST_200600_302600_NS6detail15normal_iteratorINS8_10device_ptrIsEEEESD_jNS1_19radix_merge_compareILb0ELb0EsNS0_19identity_decomposerEEEEE10hipError_tT0_T1_T2_jT3_P12ihipStream_tbPNSt15iterator_traitsISI_E10value_typeEPNSO_ISJ_E10value_typeEPSK_NS1_7vsmem_tEENKUlT_SI_SJ_SK_E_clISD_PsSD_S10_EESH_SX_SI_SJ_SK_EUlSX_E1_NS1_11comp_targetILNS1_3genE4ELNS1_11target_archE910ELNS1_3gpuE8ELNS1_3repE0EEENS1_36merge_oddeven_config_static_selectorELNS0_4arch9wavefront6targetE1EEEvSJ_.has_recursion, 0
	.set _ZN7rocprim17ROCPRIM_400000_NS6detail17trampoline_kernelINS0_14default_configENS1_38merge_sort_block_merge_config_selectorIssEEZZNS1_27merge_sort_block_merge_implIS3_N6thrust23THRUST_200600_302600_NS6detail15normal_iteratorINS8_10device_ptrIsEEEESD_jNS1_19radix_merge_compareILb0ELb0EsNS0_19identity_decomposerEEEEE10hipError_tT0_T1_T2_jT3_P12ihipStream_tbPNSt15iterator_traitsISI_E10value_typeEPNSO_ISJ_E10value_typeEPSK_NS1_7vsmem_tEENKUlT_SI_SJ_SK_E_clISD_PsSD_S10_EESH_SX_SI_SJ_SK_EUlSX_E1_NS1_11comp_targetILNS1_3genE4ELNS1_11target_archE910ELNS1_3gpuE8ELNS1_3repE0EEENS1_36merge_oddeven_config_static_selectorELNS0_4arch9wavefront6targetE1EEEvSJ_.has_indirect_call, 0
	.section	.AMDGPU.csdata,"",@progbits
; Kernel info:
; codeLenInByte = 0
; TotalNumSgprs: 6
; NumVgprs: 0
; NumAgprs: 0
; TotalNumVgprs: 0
; ScratchSize: 0
; MemoryBound: 0
; FloatMode: 240
; IeeeMode: 1
; LDSByteSize: 0 bytes/workgroup (compile time only)
; SGPRBlocks: 0
; VGPRBlocks: 0
; NumSGPRsForWavesPerEU: 6
; NumVGPRsForWavesPerEU: 1
; AccumOffset: 4
; Occupancy: 8
; WaveLimiterHint : 0
; COMPUTE_PGM_RSRC2:SCRATCH_EN: 0
; COMPUTE_PGM_RSRC2:USER_SGPR: 2
; COMPUTE_PGM_RSRC2:TRAP_HANDLER: 0
; COMPUTE_PGM_RSRC2:TGID_X_EN: 1
; COMPUTE_PGM_RSRC2:TGID_Y_EN: 0
; COMPUTE_PGM_RSRC2:TGID_Z_EN: 0
; COMPUTE_PGM_RSRC2:TIDIG_COMP_CNT: 0
; COMPUTE_PGM_RSRC3_GFX90A:ACCUM_OFFSET: 0
; COMPUTE_PGM_RSRC3_GFX90A:TG_SPLIT: 0
	.section	.text._ZN7rocprim17ROCPRIM_400000_NS6detail17trampoline_kernelINS0_14default_configENS1_38merge_sort_block_merge_config_selectorIssEEZZNS1_27merge_sort_block_merge_implIS3_N6thrust23THRUST_200600_302600_NS6detail15normal_iteratorINS8_10device_ptrIsEEEESD_jNS1_19radix_merge_compareILb0ELb0EsNS0_19identity_decomposerEEEEE10hipError_tT0_T1_T2_jT3_P12ihipStream_tbPNSt15iterator_traitsISI_E10value_typeEPNSO_ISJ_E10value_typeEPSK_NS1_7vsmem_tEENKUlT_SI_SJ_SK_E_clISD_PsSD_S10_EESH_SX_SI_SJ_SK_EUlSX_E1_NS1_11comp_targetILNS1_3genE3ELNS1_11target_archE908ELNS1_3gpuE7ELNS1_3repE0EEENS1_36merge_oddeven_config_static_selectorELNS0_4arch9wavefront6targetE1EEEvSJ_,"axG",@progbits,_ZN7rocprim17ROCPRIM_400000_NS6detail17trampoline_kernelINS0_14default_configENS1_38merge_sort_block_merge_config_selectorIssEEZZNS1_27merge_sort_block_merge_implIS3_N6thrust23THRUST_200600_302600_NS6detail15normal_iteratorINS8_10device_ptrIsEEEESD_jNS1_19radix_merge_compareILb0ELb0EsNS0_19identity_decomposerEEEEE10hipError_tT0_T1_T2_jT3_P12ihipStream_tbPNSt15iterator_traitsISI_E10value_typeEPNSO_ISJ_E10value_typeEPSK_NS1_7vsmem_tEENKUlT_SI_SJ_SK_E_clISD_PsSD_S10_EESH_SX_SI_SJ_SK_EUlSX_E1_NS1_11comp_targetILNS1_3genE3ELNS1_11target_archE908ELNS1_3gpuE7ELNS1_3repE0EEENS1_36merge_oddeven_config_static_selectorELNS0_4arch9wavefront6targetE1EEEvSJ_,comdat
	.protected	_ZN7rocprim17ROCPRIM_400000_NS6detail17trampoline_kernelINS0_14default_configENS1_38merge_sort_block_merge_config_selectorIssEEZZNS1_27merge_sort_block_merge_implIS3_N6thrust23THRUST_200600_302600_NS6detail15normal_iteratorINS8_10device_ptrIsEEEESD_jNS1_19radix_merge_compareILb0ELb0EsNS0_19identity_decomposerEEEEE10hipError_tT0_T1_T2_jT3_P12ihipStream_tbPNSt15iterator_traitsISI_E10value_typeEPNSO_ISJ_E10value_typeEPSK_NS1_7vsmem_tEENKUlT_SI_SJ_SK_E_clISD_PsSD_S10_EESH_SX_SI_SJ_SK_EUlSX_E1_NS1_11comp_targetILNS1_3genE3ELNS1_11target_archE908ELNS1_3gpuE7ELNS1_3repE0EEENS1_36merge_oddeven_config_static_selectorELNS0_4arch9wavefront6targetE1EEEvSJ_ ; -- Begin function _ZN7rocprim17ROCPRIM_400000_NS6detail17trampoline_kernelINS0_14default_configENS1_38merge_sort_block_merge_config_selectorIssEEZZNS1_27merge_sort_block_merge_implIS3_N6thrust23THRUST_200600_302600_NS6detail15normal_iteratorINS8_10device_ptrIsEEEESD_jNS1_19radix_merge_compareILb0ELb0EsNS0_19identity_decomposerEEEEE10hipError_tT0_T1_T2_jT3_P12ihipStream_tbPNSt15iterator_traitsISI_E10value_typeEPNSO_ISJ_E10value_typeEPSK_NS1_7vsmem_tEENKUlT_SI_SJ_SK_E_clISD_PsSD_S10_EESH_SX_SI_SJ_SK_EUlSX_E1_NS1_11comp_targetILNS1_3genE3ELNS1_11target_archE908ELNS1_3gpuE7ELNS1_3repE0EEENS1_36merge_oddeven_config_static_selectorELNS0_4arch9wavefront6targetE1EEEvSJ_
	.globl	_ZN7rocprim17ROCPRIM_400000_NS6detail17trampoline_kernelINS0_14default_configENS1_38merge_sort_block_merge_config_selectorIssEEZZNS1_27merge_sort_block_merge_implIS3_N6thrust23THRUST_200600_302600_NS6detail15normal_iteratorINS8_10device_ptrIsEEEESD_jNS1_19radix_merge_compareILb0ELb0EsNS0_19identity_decomposerEEEEE10hipError_tT0_T1_T2_jT3_P12ihipStream_tbPNSt15iterator_traitsISI_E10value_typeEPNSO_ISJ_E10value_typeEPSK_NS1_7vsmem_tEENKUlT_SI_SJ_SK_E_clISD_PsSD_S10_EESH_SX_SI_SJ_SK_EUlSX_E1_NS1_11comp_targetILNS1_3genE3ELNS1_11target_archE908ELNS1_3gpuE7ELNS1_3repE0EEENS1_36merge_oddeven_config_static_selectorELNS0_4arch9wavefront6targetE1EEEvSJ_
	.p2align	8
	.type	_ZN7rocprim17ROCPRIM_400000_NS6detail17trampoline_kernelINS0_14default_configENS1_38merge_sort_block_merge_config_selectorIssEEZZNS1_27merge_sort_block_merge_implIS3_N6thrust23THRUST_200600_302600_NS6detail15normal_iteratorINS8_10device_ptrIsEEEESD_jNS1_19radix_merge_compareILb0ELb0EsNS0_19identity_decomposerEEEEE10hipError_tT0_T1_T2_jT3_P12ihipStream_tbPNSt15iterator_traitsISI_E10value_typeEPNSO_ISJ_E10value_typeEPSK_NS1_7vsmem_tEENKUlT_SI_SJ_SK_E_clISD_PsSD_S10_EESH_SX_SI_SJ_SK_EUlSX_E1_NS1_11comp_targetILNS1_3genE3ELNS1_11target_archE908ELNS1_3gpuE7ELNS1_3repE0EEENS1_36merge_oddeven_config_static_selectorELNS0_4arch9wavefront6targetE1EEEvSJ_,@function
_ZN7rocprim17ROCPRIM_400000_NS6detail17trampoline_kernelINS0_14default_configENS1_38merge_sort_block_merge_config_selectorIssEEZZNS1_27merge_sort_block_merge_implIS3_N6thrust23THRUST_200600_302600_NS6detail15normal_iteratorINS8_10device_ptrIsEEEESD_jNS1_19radix_merge_compareILb0ELb0EsNS0_19identity_decomposerEEEEE10hipError_tT0_T1_T2_jT3_P12ihipStream_tbPNSt15iterator_traitsISI_E10value_typeEPNSO_ISJ_E10value_typeEPSK_NS1_7vsmem_tEENKUlT_SI_SJ_SK_E_clISD_PsSD_S10_EESH_SX_SI_SJ_SK_EUlSX_E1_NS1_11comp_targetILNS1_3genE3ELNS1_11target_archE908ELNS1_3gpuE7ELNS1_3repE0EEENS1_36merge_oddeven_config_static_selectorELNS0_4arch9wavefront6targetE1EEEvSJ_: ; @_ZN7rocprim17ROCPRIM_400000_NS6detail17trampoline_kernelINS0_14default_configENS1_38merge_sort_block_merge_config_selectorIssEEZZNS1_27merge_sort_block_merge_implIS3_N6thrust23THRUST_200600_302600_NS6detail15normal_iteratorINS8_10device_ptrIsEEEESD_jNS1_19radix_merge_compareILb0ELb0EsNS0_19identity_decomposerEEEEE10hipError_tT0_T1_T2_jT3_P12ihipStream_tbPNSt15iterator_traitsISI_E10value_typeEPNSO_ISJ_E10value_typeEPSK_NS1_7vsmem_tEENKUlT_SI_SJ_SK_E_clISD_PsSD_S10_EESH_SX_SI_SJ_SK_EUlSX_E1_NS1_11comp_targetILNS1_3genE3ELNS1_11target_archE908ELNS1_3gpuE7ELNS1_3repE0EEENS1_36merge_oddeven_config_static_selectorELNS0_4arch9wavefront6targetE1EEEvSJ_
; %bb.0:
	.section	.rodata,"a",@progbits
	.p2align	6, 0x0
	.amdhsa_kernel _ZN7rocprim17ROCPRIM_400000_NS6detail17trampoline_kernelINS0_14default_configENS1_38merge_sort_block_merge_config_selectorIssEEZZNS1_27merge_sort_block_merge_implIS3_N6thrust23THRUST_200600_302600_NS6detail15normal_iteratorINS8_10device_ptrIsEEEESD_jNS1_19radix_merge_compareILb0ELb0EsNS0_19identity_decomposerEEEEE10hipError_tT0_T1_T2_jT3_P12ihipStream_tbPNSt15iterator_traitsISI_E10value_typeEPNSO_ISJ_E10value_typeEPSK_NS1_7vsmem_tEENKUlT_SI_SJ_SK_E_clISD_PsSD_S10_EESH_SX_SI_SJ_SK_EUlSX_E1_NS1_11comp_targetILNS1_3genE3ELNS1_11target_archE908ELNS1_3gpuE7ELNS1_3repE0EEENS1_36merge_oddeven_config_static_selectorELNS0_4arch9wavefront6targetE1EEEvSJ_
		.amdhsa_group_segment_fixed_size 0
		.amdhsa_private_segment_fixed_size 0
		.amdhsa_kernarg_size 48
		.amdhsa_user_sgpr_count 2
		.amdhsa_user_sgpr_dispatch_ptr 0
		.amdhsa_user_sgpr_queue_ptr 0
		.amdhsa_user_sgpr_kernarg_segment_ptr 1
		.amdhsa_user_sgpr_dispatch_id 0
		.amdhsa_user_sgpr_kernarg_preload_length 0
		.amdhsa_user_sgpr_kernarg_preload_offset 0
		.amdhsa_user_sgpr_private_segment_size 0
		.amdhsa_uses_dynamic_stack 0
		.amdhsa_enable_private_segment 0
		.amdhsa_system_sgpr_workgroup_id_x 1
		.amdhsa_system_sgpr_workgroup_id_y 0
		.amdhsa_system_sgpr_workgroup_id_z 0
		.amdhsa_system_sgpr_workgroup_info 0
		.amdhsa_system_vgpr_workitem_id 0
		.amdhsa_next_free_vgpr 1
		.amdhsa_next_free_sgpr 0
		.amdhsa_accum_offset 4
		.amdhsa_reserve_vcc 0
		.amdhsa_float_round_mode_32 0
		.amdhsa_float_round_mode_16_64 0
		.amdhsa_float_denorm_mode_32 3
		.amdhsa_float_denorm_mode_16_64 3
		.amdhsa_dx10_clamp 1
		.amdhsa_ieee_mode 1
		.amdhsa_fp16_overflow 0
		.amdhsa_tg_split 0
		.amdhsa_exception_fp_ieee_invalid_op 0
		.amdhsa_exception_fp_denorm_src 0
		.amdhsa_exception_fp_ieee_div_zero 0
		.amdhsa_exception_fp_ieee_overflow 0
		.amdhsa_exception_fp_ieee_underflow 0
		.amdhsa_exception_fp_ieee_inexact 0
		.amdhsa_exception_int_div_zero 0
	.end_amdhsa_kernel
	.section	.text._ZN7rocprim17ROCPRIM_400000_NS6detail17trampoline_kernelINS0_14default_configENS1_38merge_sort_block_merge_config_selectorIssEEZZNS1_27merge_sort_block_merge_implIS3_N6thrust23THRUST_200600_302600_NS6detail15normal_iteratorINS8_10device_ptrIsEEEESD_jNS1_19radix_merge_compareILb0ELb0EsNS0_19identity_decomposerEEEEE10hipError_tT0_T1_T2_jT3_P12ihipStream_tbPNSt15iterator_traitsISI_E10value_typeEPNSO_ISJ_E10value_typeEPSK_NS1_7vsmem_tEENKUlT_SI_SJ_SK_E_clISD_PsSD_S10_EESH_SX_SI_SJ_SK_EUlSX_E1_NS1_11comp_targetILNS1_3genE3ELNS1_11target_archE908ELNS1_3gpuE7ELNS1_3repE0EEENS1_36merge_oddeven_config_static_selectorELNS0_4arch9wavefront6targetE1EEEvSJ_,"axG",@progbits,_ZN7rocprim17ROCPRIM_400000_NS6detail17trampoline_kernelINS0_14default_configENS1_38merge_sort_block_merge_config_selectorIssEEZZNS1_27merge_sort_block_merge_implIS3_N6thrust23THRUST_200600_302600_NS6detail15normal_iteratorINS8_10device_ptrIsEEEESD_jNS1_19radix_merge_compareILb0ELb0EsNS0_19identity_decomposerEEEEE10hipError_tT0_T1_T2_jT3_P12ihipStream_tbPNSt15iterator_traitsISI_E10value_typeEPNSO_ISJ_E10value_typeEPSK_NS1_7vsmem_tEENKUlT_SI_SJ_SK_E_clISD_PsSD_S10_EESH_SX_SI_SJ_SK_EUlSX_E1_NS1_11comp_targetILNS1_3genE3ELNS1_11target_archE908ELNS1_3gpuE7ELNS1_3repE0EEENS1_36merge_oddeven_config_static_selectorELNS0_4arch9wavefront6targetE1EEEvSJ_,comdat
.Lfunc_end1554:
	.size	_ZN7rocprim17ROCPRIM_400000_NS6detail17trampoline_kernelINS0_14default_configENS1_38merge_sort_block_merge_config_selectorIssEEZZNS1_27merge_sort_block_merge_implIS3_N6thrust23THRUST_200600_302600_NS6detail15normal_iteratorINS8_10device_ptrIsEEEESD_jNS1_19radix_merge_compareILb0ELb0EsNS0_19identity_decomposerEEEEE10hipError_tT0_T1_T2_jT3_P12ihipStream_tbPNSt15iterator_traitsISI_E10value_typeEPNSO_ISJ_E10value_typeEPSK_NS1_7vsmem_tEENKUlT_SI_SJ_SK_E_clISD_PsSD_S10_EESH_SX_SI_SJ_SK_EUlSX_E1_NS1_11comp_targetILNS1_3genE3ELNS1_11target_archE908ELNS1_3gpuE7ELNS1_3repE0EEENS1_36merge_oddeven_config_static_selectorELNS0_4arch9wavefront6targetE1EEEvSJ_, .Lfunc_end1554-_ZN7rocprim17ROCPRIM_400000_NS6detail17trampoline_kernelINS0_14default_configENS1_38merge_sort_block_merge_config_selectorIssEEZZNS1_27merge_sort_block_merge_implIS3_N6thrust23THRUST_200600_302600_NS6detail15normal_iteratorINS8_10device_ptrIsEEEESD_jNS1_19radix_merge_compareILb0ELb0EsNS0_19identity_decomposerEEEEE10hipError_tT0_T1_T2_jT3_P12ihipStream_tbPNSt15iterator_traitsISI_E10value_typeEPNSO_ISJ_E10value_typeEPSK_NS1_7vsmem_tEENKUlT_SI_SJ_SK_E_clISD_PsSD_S10_EESH_SX_SI_SJ_SK_EUlSX_E1_NS1_11comp_targetILNS1_3genE3ELNS1_11target_archE908ELNS1_3gpuE7ELNS1_3repE0EEENS1_36merge_oddeven_config_static_selectorELNS0_4arch9wavefront6targetE1EEEvSJ_
                                        ; -- End function
	.set _ZN7rocprim17ROCPRIM_400000_NS6detail17trampoline_kernelINS0_14default_configENS1_38merge_sort_block_merge_config_selectorIssEEZZNS1_27merge_sort_block_merge_implIS3_N6thrust23THRUST_200600_302600_NS6detail15normal_iteratorINS8_10device_ptrIsEEEESD_jNS1_19radix_merge_compareILb0ELb0EsNS0_19identity_decomposerEEEEE10hipError_tT0_T1_T2_jT3_P12ihipStream_tbPNSt15iterator_traitsISI_E10value_typeEPNSO_ISJ_E10value_typeEPSK_NS1_7vsmem_tEENKUlT_SI_SJ_SK_E_clISD_PsSD_S10_EESH_SX_SI_SJ_SK_EUlSX_E1_NS1_11comp_targetILNS1_3genE3ELNS1_11target_archE908ELNS1_3gpuE7ELNS1_3repE0EEENS1_36merge_oddeven_config_static_selectorELNS0_4arch9wavefront6targetE1EEEvSJ_.num_vgpr, 0
	.set _ZN7rocprim17ROCPRIM_400000_NS6detail17trampoline_kernelINS0_14default_configENS1_38merge_sort_block_merge_config_selectorIssEEZZNS1_27merge_sort_block_merge_implIS3_N6thrust23THRUST_200600_302600_NS6detail15normal_iteratorINS8_10device_ptrIsEEEESD_jNS1_19radix_merge_compareILb0ELb0EsNS0_19identity_decomposerEEEEE10hipError_tT0_T1_T2_jT3_P12ihipStream_tbPNSt15iterator_traitsISI_E10value_typeEPNSO_ISJ_E10value_typeEPSK_NS1_7vsmem_tEENKUlT_SI_SJ_SK_E_clISD_PsSD_S10_EESH_SX_SI_SJ_SK_EUlSX_E1_NS1_11comp_targetILNS1_3genE3ELNS1_11target_archE908ELNS1_3gpuE7ELNS1_3repE0EEENS1_36merge_oddeven_config_static_selectorELNS0_4arch9wavefront6targetE1EEEvSJ_.num_agpr, 0
	.set _ZN7rocprim17ROCPRIM_400000_NS6detail17trampoline_kernelINS0_14default_configENS1_38merge_sort_block_merge_config_selectorIssEEZZNS1_27merge_sort_block_merge_implIS3_N6thrust23THRUST_200600_302600_NS6detail15normal_iteratorINS8_10device_ptrIsEEEESD_jNS1_19radix_merge_compareILb0ELb0EsNS0_19identity_decomposerEEEEE10hipError_tT0_T1_T2_jT3_P12ihipStream_tbPNSt15iterator_traitsISI_E10value_typeEPNSO_ISJ_E10value_typeEPSK_NS1_7vsmem_tEENKUlT_SI_SJ_SK_E_clISD_PsSD_S10_EESH_SX_SI_SJ_SK_EUlSX_E1_NS1_11comp_targetILNS1_3genE3ELNS1_11target_archE908ELNS1_3gpuE7ELNS1_3repE0EEENS1_36merge_oddeven_config_static_selectorELNS0_4arch9wavefront6targetE1EEEvSJ_.numbered_sgpr, 0
	.set _ZN7rocprim17ROCPRIM_400000_NS6detail17trampoline_kernelINS0_14default_configENS1_38merge_sort_block_merge_config_selectorIssEEZZNS1_27merge_sort_block_merge_implIS3_N6thrust23THRUST_200600_302600_NS6detail15normal_iteratorINS8_10device_ptrIsEEEESD_jNS1_19radix_merge_compareILb0ELb0EsNS0_19identity_decomposerEEEEE10hipError_tT0_T1_T2_jT3_P12ihipStream_tbPNSt15iterator_traitsISI_E10value_typeEPNSO_ISJ_E10value_typeEPSK_NS1_7vsmem_tEENKUlT_SI_SJ_SK_E_clISD_PsSD_S10_EESH_SX_SI_SJ_SK_EUlSX_E1_NS1_11comp_targetILNS1_3genE3ELNS1_11target_archE908ELNS1_3gpuE7ELNS1_3repE0EEENS1_36merge_oddeven_config_static_selectorELNS0_4arch9wavefront6targetE1EEEvSJ_.num_named_barrier, 0
	.set _ZN7rocprim17ROCPRIM_400000_NS6detail17trampoline_kernelINS0_14default_configENS1_38merge_sort_block_merge_config_selectorIssEEZZNS1_27merge_sort_block_merge_implIS3_N6thrust23THRUST_200600_302600_NS6detail15normal_iteratorINS8_10device_ptrIsEEEESD_jNS1_19radix_merge_compareILb0ELb0EsNS0_19identity_decomposerEEEEE10hipError_tT0_T1_T2_jT3_P12ihipStream_tbPNSt15iterator_traitsISI_E10value_typeEPNSO_ISJ_E10value_typeEPSK_NS1_7vsmem_tEENKUlT_SI_SJ_SK_E_clISD_PsSD_S10_EESH_SX_SI_SJ_SK_EUlSX_E1_NS1_11comp_targetILNS1_3genE3ELNS1_11target_archE908ELNS1_3gpuE7ELNS1_3repE0EEENS1_36merge_oddeven_config_static_selectorELNS0_4arch9wavefront6targetE1EEEvSJ_.private_seg_size, 0
	.set _ZN7rocprim17ROCPRIM_400000_NS6detail17trampoline_kernelINS0_14default_configENS1_38merge_sort_block_merge_config_selectorIssEEZZNS1_27merge_sort_block_merge_implIS3_N6thrust23THRUST_200600_302600_NS6detail15normal_iteratorINS8_10device_ptrIsEEEESD_jNS1_19radix_merge_compareILb0ELb0EsNS0_19identity_decomposerEEEEE10hipError_tT0_T1_T2_jT3_P12ihipStream_tbPNSt15iterator_traitsISI_E10value_typeEPNSO_ISJ_E10value_typeEPSK_NS1_7vsmem_tEENKUlT_SI_SJ_SK_E_clISD_PsSD_S10_EESH_SX_SI_SJ_SK_EUlSX_E1_NS1_11comp_targetILNS1_3genE3ELNS1_11target_archE908ELNS1_3gpuE7ELNS1_3repE0EEENS1_36merge_oddeven_config_static_selectorELNS0_4arch9wavefront6targetE1EEEvSJ_.uses_vcc, 0
	.set _ZN7rocprim17ROCPRIM_400000_NS6detail17trampoline_kernelINS0_14default_configENS1_38merge_sort_block_merge_config_selectorIssEEZZNS1_27merge_sort_block_merge_implIS3_N6thrust23THRUST_200600_302600_NS6detail15normal_iteratorINS8_10device_ptrIsEEEESD_jNS1_19radix_merge_compareILb0ELb0EsNS0_19identity_decomposerEEEEE10hipError_tT0_T1_T2_jT3_P12ihipStream_tbPNSt15iterator_traitsISI_E10value_typeEPNSO_ISJ_E10value_typeEPSK_NS1_7vsmem_tEENKUlT_SI_SJ_SK_E_clISD_PsSD_S10_EESH_SX_SI_SJ_SK_EUlSX_E1_NS1_11comp_targetILNS1_3genE3ELNS1_11target_archE908ELNS1_3gpuE7ELNS1_3repE0EEENS1_36merge_oddeven_config_static_selectorELNS0_4arch9wavefront6targetE1EEEvSJ_.uses_flat_scratch, 0
	.set _ZN7rocprim17ROCPRIM_400000_NS6detail17trampoline_kernelINS0_14default_configENS1_38merge_sort_block_merge_config_selectorIssEEZZNS1_27merge_sort_block_merge_implIS3_N6thrust23THRUST_200600_302600_NS6detail15normal_iteratorINS8_10device_ptrIsEEEESD_jNS1_19radix_merge_compareILb0ELb0EsNS0_19identity_decomposerEEEEE10hipError_tT0_T1_T2_jT3_P12ihipStream_tbPNSt15iterator_traitsISI_E10value_typeEPNSO_ISJ_E10value_typeEPSK_NS1_7vsmem_tEENKUlT_SI_SJ_SK_E_clISD_PsSD_S10_EESH_SX_SI_SJ_SK_EUlSX_E1_NS1_11comp_targetILNS1_3genE3ELNS1_11target_archE908ELNS1_3gpuE7ELNS1_3repE0EEENS1_36merge_oddeven_config_static_selectorELNS0_4arch9wavefront6targetE1EEEvSJ_.has_dyn_sized_stack, 0
	.set _ZN7rocprim17ROCPRIM_400000_NS6detail17trampoline_kernelINS0_14default_configENS1_38merge_sort_block_merge_config_selectorIssEEZZNS1_27merge_sort_block_merge_implIS3_N6thrust23THRUST_200600_302600_NS6detail15normal_iteratorINS8_10device_ptrIsEEEESD_jNS1_19radix_merge_compareILb0ELb0EsNS0_19identity_decomposerEEEEE10hipError_tT0_T1_T2_jT3_P12ihipStream_tbPNSt15iterator_traitsISI_E10value_typeEPNSO_ISJ_E10value_typeEPSK_NS1_7vsmem_tEENKUlT_SI_SJ_SK_E_clISD_PsSD_S10_EESH_SX_SI_SJ_SK_EUlSX_E1_NS1_11comp_targetILNS1_3genE3ELNS1_11target_archE908ELNS1_3gpuE7ELNS1_3repE0EEENS1_36merge_oddeven_config_static_selectorELNS0_4arch9wavefront6targetE1EEEvSJ_.has_recursion, 0
	.set _ZN7rocprim17ROCPRIM_400000_NS6detail17trampoline_kernelINS0_14default_configENS1_38merge_sort_block_merge_config_selectorIssEEZZNS1_27merge_sort_block_merge_implIS3_N6thrust23THRUST_200600_302600_NS6detail15normal_iteratorINS8_10device_ptrIsEEEESD_jNS1_19radix_merge_compareILb0ELb0EsNS0_19identity_decomposerEEEEE10hipError_tT0_T1_T2_jT3_P12ihipStream_tbPNSt15iterator_traitsISI_E10value_typeEPNSO_ISJ_E10value_typeEPSK_NS1_7vsmem_tEENKUlT_SI_SJ_SK_E_clISD_PsSD_S10_EESH_SX_SI_SJ_SK_EUlSX_E1_NS1_11comp_targetILNS1_3genE3ELNS1_11target_archE908ELNS1_3gpuE7ELNS1_3repE0EEENS1_36merge_oddeven_config_static_selectorELNS0_4arch9wavefront6targetE1EEEvSJ_.has_indirect_call, 0
	.section	.AMDGPU.csdata,"",@progbits
; Kernel info:
; codeLenInByte = 0
; TotalNumSgprs: 6
; NumVgprs: 0
; NumAgprs: 0
; TotalNumVgprs: 0
; ScratchSize: 0
; MemoryBound: 0
; FloatMode: 240
; IeeeMode: 1
; LDSByteSize: 0 bytes/workgroup (compile time only)
; SGPRBlocks: 0
; VGPRBlocks: 0
; NumSGPRsForWavesPerEU: 6
; NumVGPRsForWavesPerEU: 1
; AccumOffset: 4
; Occupancy: 8
; WaveLimiterHint : 0
; COMPUTE_PGM_RSRC2:SCRATCH_EN: 0
; COMPUTE_PGM_RSRC2:USER_SGPR: 2
; COMPUTE_PGM_RSRC2:TRAP_HANDLER: 0
; COMPUTE_PGM_RSRC2:TGID_X_EN: 1
; COMPUTE_PGM_RSRC2:TGID_Y_EN: 0
; COMPUTE_PGM_RSRC2:TGID_Z_EN: 0
; COMPUTE_PGM_RSRC2:TIDIG_COMP_CNT: 0
; COMPUTE_PGM_RSRC3_GFX90A:ACCUM_OFFSET: 0
; COMPUTE_PGM_RSRC3_GFX90A:TG_SPLIT: 0
	.section	.text._ZN7rocprim17ROCPRIM_400000_NS6detail17trampoline_kernelINS0_14default_configENS1_38merge_sort_block_merge_config_selectorIssEEZZNS1_27merge_sort_block_merge_implIS3_N6thrust23THRUST_200600_302600_NS6detail15normal_iteratorINS8_10device_ptrIsEEEESD_jNS1_19radix_merge_compareILb0ELb0EsNS0_19identity_decomposerEEEEE10hipError_tT0_T1_T2_jT3_P12ihipStream_tbPNSt15iterator_traitsISI_E10value_typeEPNSO_ISJ_E10value_typeEPSK_NS1_7vsmem_tEENKUlT_SI_SJ_SK_E_clISD_PsSD_S10_EESH_SX_SI_SJ_SK_EUlSX_E1_NS1_11comp_targetILNS1_3genE2ELNS1_11target_archE906ELNS1_3gpuE6ELNS1_3repE0EEENS1_36merge_oddeven_config_static_selectorELNS0_4arch9wavefront6targetE1EEEvSJ_,"axG",@progbits,_ZN7rocprim17ROCPRIM_400000_NS6detail17trampoline_kernelINS0_14default_configENS1_38merge_sort_block_merge_config_selectorIssEEZZNS1_27merge_sort_block_merge_implIS3_N6thrust23THRUST_200600_302600_NS6detail15normal_iteratorINS8_10device_ptrIsEEEESD_jNS1_19radix_merge_compareILb0ELb0EsNS0_19identity_decomposerEEEEE10hipError_tT0_T1_T2_jT3_P12ihipStream_tbPNSt15iterator_traitsISI_E10value_typeEPNSO_ISJ_E10value_typeEPSK_NS1_7vsmem_tEENKUlT_SI_SJ_SK_E_clISD_PsSD_S10_EESH_SX_SI_SJ_SK_EUlSX_E1_NS1_11comp_targetILNS1_3genE2ELNS1_11target_archE906ELNS1_3gpuE6ELNS1_3repE0EEENS1_36merge_oddeven_config_static_selectorELNS0_4arch9wavefront6targetE1EEEvSJ_,comdat
	.protected	_ZN7rocprim17ROCPRIM_400000_NS6detail17trampoline_kernelINS0_14default_configENS1_38merge_sort_block_merge_config_selectorIssEEZZNS1_27merge_sort_block_merge_implIS3_N6thrust23THRUST_200600_302600_NS6detail15normal_iteratorINS8_10device_ptrIsEEEESD_jNS1_19radix_merge_compareILb0ELb0EsNS0_19identity_decomposerEEEEE10hipError_tT0_T1_T2_jT3_P12ihipStream_tbPNSt15iterator_traitsISI_E10value_typeEPNSO_ISJ_E10value_typeEPSK_NS1_7vsmem_tEENKUlT_SI_SJ_SK_E_clISD_PsSD_S10_EESH_SX_SI_SJ_SK_EUlSX_E1_NS1_11comp_targetILNS1_3genE2ELNS1_11target_archE906ELNS1_3gpuE6ELNS1_3repE0EEENS1_36merge_oddeven_config_static_selectorELNS0_4arch9wavefront6targetE1EEEvSJ_ ; -- Begin function _ZN7rocprim17ROCPRIM_400000_NS6detail17trampoline_kernelINS0_14default_configENS1_38merge_sort_block_merge_config_selectorIssEEZZNS1_27merge_sort_block_merge_implIS3_N6thrust23THRUST_200600_302600_NS6detail15normal_iteratorINS8_10device_ptrIsEEEESD_jNS1_19radix_merge_compareILb0ELb0EsNS0_19identity_decomposerEEEEE10hipError_tT0_T1_T2_jT3_P12ihipStream_tbPNSt15iterator_traitsISI_E10value_typeEPNSO_ISJ_E10value_typeEPSK_NS1_7vsmem_tEENKUlT_SI_SJ_SK_E_clISD_PsSD_S10_EESH_SX_SI_SJ_SK_EUlSX_E1_NS1_11comp_targetILNS1_3genE2ELNS1_11target_archE906ELNS1_3gpuE6ELNS1_3repE0EEENS1_36merge_oddeven_config_static_selectorELNS0_4arch9wavefront6targetE1EEEvSJ_
	.globl	_ZN7rocprim17ROCPRIM_400000_NS6detail17trampoline_kernelINS0_14default_configENS1_38merge_sort_block_merge_config_selectorIssEEZZNS1_27merge_sort_block_merge_implIS3_N6thrust23THRUST_200600_302600_NS6detail15normal_iteratorINS8_10device_ptrIsEEEESD_jNS1_19radix_merge_compareILb0ELb0EsNS0_19identity_decomposerEEEEE10hipError_tT0_T1_T2_jT3_P12ihipStream_tbPNSt15iterator_traitsISI_E10value_typeEPNSO_ISJ_E10value_typeEPSK_NS1_7vsmem_tEENKUlT_SI_SJ_SK_E_clISD_PsSD_S10_EESH_SX_SI_SJ_SK_EUlSX_E1_NS1_11comp_targetILNS1_3genE2ELNS1_11target_archE906ELNS1_3gpuE6ELNS1_3repE0EEENS1_36merge_oddeven_config_static_selectorELNS0_4arch9wavefront6targetE1EEEvSJ_
	.p2align	8
	.type	_ZN7rocprim17ROCPRIM_400000_NS6detail17trampoline_kernelINS0_14default_configENS1_38merge_sort_block_merge_config_selectorIssEEZZNS1_27merge_sort_block_merge_implIS3_N6thrust23THRUST_200600_302600_NS6detail15normal_iteratorINS8_10device_ptrIsEEEESD_jNS1_19radix_merge_compareILb0ELb0EsNS0_19identity_decomposerEEEEE10hipError_tT0_T1_T2_jT3_P12ihipStream_tbPNSt15iterator_traitsISI_E10value_typeEPNSO_ISJ_E10value_typeEPSK_NS1_7vsmem_tEENKUlT_SI_SJ_SK_E_clISD_PsSD_S10_EESH_SX_SI_SJ_SK_EUlSX_E1_NS1_11comp_targetILNS1_3genE2ELNS1_11target_archE906ELNS1_3gpuE6ELNS1_3repE0EEENS1_36merge_oddeven_config_static_selectorELNS0_4arch9wavefront6targetE1EEEvSJ_,@function
_ZN7rocprim17ROCPRIM_400000_NS6detail17trampoline_kernelINS0_14default_configENS1_38merge_sort_block_merge_config_selectorIssEEZZNS1_27merge_sort_block_merge_implIS3_N6thrust23THRUST_200600_302600_NS6detail15normal_iteratorINS8_10device_ptrIsEEEESD_jNS1_19radix_merge_compareILb0ELb0EsNS0_19identity_decomposerEEEEE10hipError_tT0_T1_T2_jT3_P12ihipStream_tbPNSt15iterator_traitsISI_E10value_typeEPNSO_ISJ_E10value_typeEPSK_NS1_7vsmem_tEENKUlT_SI_SJ_SK_E_clISD_PsSD_S10_EESH_SX_SI_SJ_SK_EUlSX_E1_NS1_11comp_targetILNS1_3genE2ELNS1_11target_archE906ELNS1_3gpuE6ELNS1_3repE0EEENS1_36merge_oddeven_config_static_selectorELNS0_4arch9wavefront6targetE1EEEvSJ_: ; @_ZN7rocprim17ROCPRIM_400000_NS6detail17trampoline_kernelINS0_14default_configENS1_38merge_sort_block_merge_config_selectorIssEEZZNS1_27merge_sort_block_merge_implIS3_N6thrust23THRUST_200600_302600_NS6detail15normal_iteratorINS8_10device_ptrIsEEEESD_jNS1_19radix_merge_compareILb0ELb0EsNS0_19identity_decomposerEEEEE10hipError_tT0_T1_T2_jT3_P12ihipStream_tbPNSt15iterator_traitsISI_E10value_typeEPNSO_ISJ_E10value_typeEPSK_NS1_7vsmem_tEENKUlT_SI_SJ_SK_E_clISD_PsSD_S10_EESH_SX_SI_SJ_SK_EUlSX_E1_NS1_11comp_targetILNS1_3genE2ELNS1_11target_archE906ELNS1_3gpuE6ELNS1_3repE0EEENS1_36merge_oddeven_config_static_selectorELNS0_4arch9wavefront6targetE1EEEvSJ_
; %bb.0:
	.section	.rodata,"a",@progbits
	.p2align	6, 0x0
	.amdhsa_kernel _ZN7rocprim17ROCPRIM_400000_NS6detail17trampoline_kernelINS0_14default_configENS1_38merge_sort_block_merge_config_selectorIssEEZZNS1_27merge_sort_block_merge_implIS3_N6thrust23THRUST_200600_302600_NS6detail15normal_iteratorINS8_10device_ptrIsEEEESD_jNS1_19radix_merge_compareILb0ELb0EsNS0_19identity_decomposerEEEEE10hipError_tT0_T1_T2_jT3_P12ihipStream_tbPNSt15iterator_traitsISI_E10value_typeEPNSO_ISJ_E10value_typeEPSK_NS1_7vsmem_tEENKUlT_SI_SJ_SK_E_clISD_PsSD_S10_EESH_SX_SI_SJ_SK_EUlSX_E1_NS1_11comp_targetILNS1_3genE2ELNS1_11target_archE906ELNS1_3gpuE6ELNS1_3repE0EEENS1_36merge_oddeven_config_static_selectorELNS0_4arch9wavefront6targetE1EEEvSJ_
		.amdhsa_group_segment_fixed_size 0
		.amdhsa_private_segment_fixed_size 0
		.amdhsa_kernarg_size 48
		.amdhsa_user_sgpr_count 2
		.amdhsa_user_sgpr_dispatch_ptr 0
		.amdhsa_user_sgpr_queue_ptr 0
		.amdhsa_user_sgpr_kernarg_segment_ptr 1
		.amdhsa_user_sgpr_dispatch_id 0
		.amdhsa_user_sgpr_kernarg_preload_length 0
		.amdhsa_user_sgpr_kernarg_preload_offset 0
		.amdhsa_user_sgpr_private_segment_size 0
		.amdhsa_uses_dynamic_stack 0
		.amdhsa_enable_private_segment 0
		.amdhsa_system_sgpr_workgroup_id_x 1
		.amdhsa_system_sgpr_workgroup_id_y 0
		.amdhsa_system_sgpr_workgroup_id_z 0
		.amdhsa_system_sgpr_workgroup_info 0
		.amdhsa_system_vgpr_workitem_id 0
		.amdhsa_next_free_vgpr 1
		.amdhsa_next_free_sgpr 0
		.amdhsa_accum_offset 4
		.amdhsa_reserve_vcc 0
		.amdhsa_float_round_mode_32 0
		.amdhsa_float_round_mode_16_64 0
		.amdhsa_float_denorm_mode_32 3
		.amdhsa_float_denorm_mode_16_64 3
		.amdhsa_dx10_clamp 1
		.amdhsa_ieee_mode 1
		.amdhsa_fp16_overflow 0
		.amdhsa_tg_split 0
		.amdhsa_exception_fp_ieee_invalid_op 0
		.amdhsa_exception_fp_denorm_src 0
		.amdhsa_exception_fp_ieee_div_zero 0
		.amdhsa_exception_fp_ieee_overflow 0
		.amdhsa_exception_fp_ieee_underflow 0
		.amdhsa_exception_fp_ieee_inexact 0
		.amdhsa_exception_int_div_zero 0
	.end_amdhsa_kernel
	.section	.text._ZN7rocprim17ROCPRIM_400000_NS6detail17trampoline_kernelINS0_14default_configENS1_38merge_sort_block_merge_config_selectorIssEEZZNS1_27merge_sort_block_merge_implIS3_N6thrust23THRUST_200600_302600_NS6detail15normal_iteratorINS8_10device_ptrIsEEEESD_jNS1_19radix_merge_compareILb0ELb0EsNS0_19identity_decomposerEEEEE10hipError_tT0_T1_T2_jT3_P12ihipStream_tbPNSt15iterator_traitsISI_E10value_typeEPNSO_ISJ_E10value_typeEPSK_NS1_7vsmem_tEENKUlT_SI_SJ_SK_E_clISD_PsSD_S10_EESH_SX_SI_SJ_SK_EUlSX_E1_NS1_11comp_targetILNS1_3genE2ELNS1_11target_archE906ELNS1_3gpuE6ELNS1_3repE0EEENS1_36merge_oddeven_config_static_selectorELNS0_4arch9wavefront6targetE1EEEvSJ_,"axG",@progbits,_ZN7rocprim17ROCPRIM_400000_NS6detail17trampoline_kernelINS0_14default_configENS1_38merge_sort_block_merge_config_selectorIssEEZZNS1_27merge_sort_block_merge_implIS3_N6thrust23THRUST_200600_302600_NS6detail15normal_iteratorINS8_10device_ptrIsEEEESD_jNS1_19radix_merge_compareILb0ELb0EsNS0_19identity_decomposerEEEEE10hipError_tT0_T1_T2_jT3_P12ihipStream_tbPNSt15iterator_traitsISI_E10value_typeEPNSO_ISJ_E10value_typeEPSK_NS1_7vsmem_tEENKUlT_SI_SJ_SK_E_clISD_PsSD_S10_EESH_SX_SI_SJ_SK_EUlSX_E1_NS1_11comp_targetILNS1_3genE2ELNS1_11target_archE906ELNS1_3gpuE6ELNS1_3repE0EEENS1_36merge_oddeven_config_static_selectorELNS0_4arch9wavefront6targetE1EEEvSJ_,comdat
.Lfunc_end1555:
	.size	_ZN7rocprim17ROCPRIM_400000_NS6detail17trampoline_kernelINS0_14default_configENS1_38merge_sort_block_merge_config_selectorIssEEZZNS1_27merge_sort_block_merge_implIS3_N6thrust23THRUST_200600_302600_NS6detail15normal_iteratorINS8_10device_ptrIsEEEESD_jNS1_19radix_merge_compareILb0ELb0EsNS0_19identity_decomposerEEEEE10hipError_tT0_T1_T2_jT3_P12ihipStream_tbPNSt15iterator_traitsISI_E10value_typeEPNSO_ISJ_E10value_typeEPSK_NS1_7vsmem_tEENKUlT_SI_SJ_SK_E_clISD_PsSD_S10_EESH_SX_SI_SJ_SK_EUlSX_E1_NS1_11comp_targetILNS1_3genE2ELNS1_11target_archE906ELNS1_3gpuE6ELNS1_3repE0EEENS1_36merge_oddeven_config_static_selectorELNS0_4arch9wavefront6targetE1EEEvSJ_, .Lfunc_end1555-_ZN7rocprim17ROCPRIM_400000_NS6detail17trampoline_kernelINS0_14default_configENS1_38merge_sort_block_merge_config_selectorIssEEZZNS1_27merge_sort_block_merge_implIS3_N6thrust23THRUST_200600_302600_NS6detail15normal_iteratorINS8_10device_ptrIsEEEESD_jNS1_19radix_merge_compareILb0ELb0EsNS0_19identity_decomposerEEEEE10hipError_tT0_T1_T2_jT3_P12ihipStream_tbPNSt15iterator_traitsISI_E10value_typeEPNSO_ISJ_E10value_typeEPSK_NS1_7vsmem_tEENKUlT_SI_SJ_SK_E_clISD_PsSD_S10_EESH_SX_SI_SJ_SK_EUlSX_E1_NS1_11comp_targetILNS1_3genE2ELNS1_11target_archE906ELNS1_3gpuE6ELNS1_3repE0EEENS1_36merge_oddeven_config_static_selectorELNS0_4arch9wavefront6targetE1EEEvSJ_
                                        ; -- End function
	.set _ZN7rocprim17ROCPRIM_400000_NS6detail17trampoline_kernelINS0_14default_configENS1_38merge_sort_block_merge_config_selectorIssEEZZNS1_27merge_sort_block_merge_implIS3_N6thrust23THRUST_200600_302600_NS6detail15normal_iteratorINS8_10device_ptrIsEEEESD_jNS1_19radix_merge_compareILb0ELb0EsNS0_19identity_decomposerEEEEE10hipError_tT0_T1_T2_jT3_P12ihipStream_tbPNSt15iterator_traitsISI_E10value_typeEPNSO_ISJ_E10value_typeEPSK_NS1_7vsmem_tEENKUlT_SI_SJ_SK_E_clISD_PsSD_S10_EESH_SX_SI_SJ_SK_EUlSX_E1_NS1_11comp_targetILNS1_3genE2ELNS1_11target_archE906ELNS1_3gpuE6ELNS1_3repE0EEENS1_36merge_oddeven_config_static_selectorELNS0_4arch9wavefront6targetE1EEEvSJ_.num_vgpr, 0
	.set _ZN7rocprim17ROCPRIM_400000_NS6detail17trampoline_kernelINS0_14default_configENS1_38merge_sort_block_merge_config_selectorIssEEZZNS1_27merge_sort_block_merge_implIS3_N6thrust23THRUST_200600_302600_NS6detail15normal_iteratorINS8_10device_ptrIsEEEESD_jNS1_19radix_merge_compareILb0ELb0EsNS0_19identity_decomposerEEEEE10hipError_tT0_T1_T2_jT3_P12ihipStream_tbPNSt15iterator_traitsISI_E10value_typeEPNSO_ISJ_E10value_typeEPSK_NS1_7vsmem_tEENKUlT_SI_SJ_SK_E_clISD_PsSD_S10_EESH_SX_SI_SJ_SK_EUlSX_E1_NS1_11comp_targetILNS1_3genE2ELNS1_11target_archE906ELNS1_3gpuE6ELNS1_3repE0EEENS1_36merge_oddeven_config_static_selectorELNS0_4arch9wavefront6targetE1EEEvSJ_.num_agpr, 0
	.set _ZN7rocprim17ROCPRIM_400000_NS6detail17trampoline_kernelINS0_14default_configENS1_38merge_sort_block_merge_config_selectorIssEEZZNS1_27merge_sort_block_merge_implIS3_N6thrust23THRUST_200600_302600_NS6detail15normal_iteratorINS8_10device_ptrIsEEEESD_jNS1_19radix_merge_compareILb0ELb0EsNS0_19identity_decomposerEEEEE10hipError_tT0_T1_T2_jT3_P12ihipStream_tbPNSt15iterator_traitsISI_E10value_typeEPNSO_ISJ_E10value_typeEPSK_NS1_7vsmem_tEENKUlT_SI_SJ_SK_E_clISD_PsSD_S10_EESH_SX_SI_SJ_SK_EUlSX_E1_NS1_11comp_targetILNS1_3genE2ELNS1_11target_archE906ELNS1_3gpuE6ELNS1_3repE0EEENS1_36merge_oddeven_config_static_selectorELNS0_4arch9wavefront6targetE1EEEvSJ_.numbered_sgpr, 0
	.set _ZN7rocprim17ROCPRIM_400000_NS6detail17trampoline_kernelINS0_14default_configENS1_38merge_sort_block_merge_config_selectorIssEEZZNS1_27merge_sort_block_merge_implIS3_N6thrust23THRUST_200600_302600_NS6detail15normal_iteratorINS8_10device_ptrIsEEEESD_jNS1_19radix_merge_compareILb0ELb0EsNS0_19identity_decomposerEEEEE10hipError_tT0_T1_T2_jT3_P12ihipStream_tbPNSt15iterator_traitsISI_E10value_typeEPNSO_ISJ_E10value_typeEPSK_NS1_7vsmem_tEENKUlT_SI_SJ_SK_E_clISD_PsSD_S10_EESH_SX_SI_SJ_SK_EUlSX_E1_NS1_11comp_targetILNS1_3genE2ELNS1_11target_archE906ELNS1_3gpuE6ELNS1_3repE0EEENS1_36merge_oddeven_config_static_selectorELNS0_4arch9wavefront6targetE1EEEvSJ_.num_named_barrier, 0
	.set _ZN7rocprim17ROCPRIM_400000_NS6detail17trampoline_kernelINS0_14default_configENS1_38merge_sort_block_merge_config_selectorIssEEZZNS1_27merge_sort_block_merge_implIS3_N6thrust23THRUST_200600_302600_NS6detail15normal_iteratorINS8_10device_ptrIsEEEESD_jNS1_19radix_merge_compareILb0ELb0EsNS0_19identity_decomposerEEEEE10hipError_tT0_T1_T2_jT3_P12ihipStream_tbPNSt15iterator_traitsISI_E10value_typeEPNSO_ISJ_E10value_typeEPSK_NS1_7vsmem_tEENKUlT_SI_SJ_SK_E_clISD_PsSD_S10_EESH_SX_SI_SJ_SK_EUlSX_E1_NS1_11comp_targetILNS1_3genE2ELNS1_11target_archE906ELNS1_3gpuE6ELNS1_3repE0EEENS1_36merge_oddeven_config_static_selectorELNS0_4arch9wavefront6targetE1EEEvSJ_.private_seg_size, 0
	.set _ZN7rocprim17ROCPRIM_400000_NS6detail17trampoline_kernelINS0_14default_configENS1_38merge_sort_block_merge_config_selectorIssEEZZNS1_27merge_sort_block_merge_implIS3_N6thrust23THRUST_200600_302600_NS6detail15normal_iteratorINS8_10device_ptrIsEEEESD_jNS1_19radix_merge_compareILb0ELb0EsNS0_19identity_decomposerEEEEE10hipError_tT0_T1_T2_jT3_P12ihipStream_tbPNSt15iterator_traitsISI_E10value_typeEPNSO_ISJ_E10value_typeEPSK_NS1_7vsmem_tEENKUlT_SI_SJ_SK_E_clISD_PsSD_S10_EESH_SX_SI_SJ_SK_EUlSX_E1_NS1_11comp_targetILNS1_3genE2ELNS1_11target_archE906ELNS1_3gpuE6ELNS1_3repE0EEENS1_36merge_oddeven_config_static_selectorELNS0_4arch9wavefront6targetE1EEEvSJ_.uses_vcc, 0
	.set _ZN7rocprim17ROCPRIM_400000_NS6detail17trampoline_kernelINS0_14default_configENS1_38merge_sort_block_merge_config_selectorIssEEZZNS1_27merge_sort_block_merge_implIS3_N6thrust23THRUST_200600_302600_NS6detail15normal_iteratorINS8_10device_ptrIsEEEESD_jNS1_19radix_merge_compareILb0ELb0EsNS0_19identity_decomposerEEEEE10hipError_tT0_T1_T2_jT3_P12ihipStream_tbPNSt15iterator_traitsISI_E10value_typeEPNSO_ISJ_E10value_typeEPSK_NS1_7vsmem_tEENKUlT_SI_SJ_SK_E_clISD_PsSD_S10_EESH_SX_SI_SJ_SK_EUlSX_E1_NS1_11comp_targetILNS1_3genE2ELNS1_11target_archE906ELNS1_3gpuE6ELNS1_3repE0EEENS1_36merge_oddeven_config_static_selectorELNS0_4arch9wavefront6targetE1EEEvSJ_.uses_flat_scratch, 0
	.set _ZN7rocprim17ROCPRIM_400000_NS6detail17trampoline_kernelINS0_14default_configENS1_38merge_sort_block_merge_config_selectorIssEEZZNS1_27merge_sort_block_merge_implIS3_N6thrust23THRUST_200600_302600_NS6detail15normal_iteratorINS8_10device_ptrIsEEEESD_jNS1_19radix_merge_compareILb0ELb0EsNS0_19identity_decomposerEEEEE10hipError_tT0_T1_T2_jT3_P12ihipStream_tbPNSt15iterator_traitsISI_E10value_typeEPNSO_ISJ_E10value_typeEPSK_NS1_7vsmem_tEENKUlT_SI_SJ_SK_E_clISD_PsSD_S10_EESH_SX_SI_SJ_SK_EUlSX_E1_NS1_11comp_targetILNS1_3genE2ELNS1_11target_archE906ELNS1_3gpuE6ELNS1_3repE0EEENS1_36merge_oddeven_config_static_selectorELNS0_4arch9wavefront6targetE1EEEvSJ_.has_dyn_sized_stack, 0
	.set _ZN7rocprim17ROCPRIM_400000_NS6detail17trampoline_kernelINS0_14default_configENS1_38merge_sort_block_merge_config_selectorIssEEZZNS1_27merge_sort_block_merge_implIS3_N6thrust23THRUST_200600_302600_NS6detail15normal_iteratorINS8_10device_ptrIsEEEESD_jNS1_19radix_merge_compareILb0ELb0EsNS0_19identity_decomposerEEEEE10hipError_tT0_T1_T2_jT3_P12ihipStream_tbPNSt15iterator_traitsISI_E10value_typeEPNSO_ISJ_E10value_typeEPSK_NS1_7vsmem_tEENKUlT_SI_SJ_SK_E_clISD_PsSD_S10_EESH_SX_SI_SJ_SK_EUlSX_E1_NS1_11comp_targetILNS1_3genE2ELNS1_11target_archE906ELNS1_3gpuE6ELNS1_3repE0EEENS1_36merge_oddeven_config_static_selectorELNS0_4arch9wavefront6targetE1EEEvSJ_.has_recursion, 0
	.set _ZN7rocprim17ROCPRIM_400000_NS6detail17trampoline_kernelINS0_14default_configENS1_38merge_sort_block_merge_config_selectorIssEEZZNS1_27merge_sort_block_merge_implIS3_N6thrust23THRUST_200600_302600_NS6detail15normal_iteratorINS8_10device_ptrIsEEEESD_jNS1_19radix_merge_compareILb0ELb0EsNS0_19identity_decomposerEEEEE10hipError_tT0_T1_T2_jT3_P12ihipStream_tbPNSt15iterator_traitsISI_E10value_typeEPNSO_ISJ_E10value_typeEPSK_NS1_7vsmem_tEENKUlT_SI_SJ_SK_E_clISD_PsSD_S10_EESH_SX_SI_SJ_SK_EUlSX_E1_NS1_11comp_targetILNS1_3genE2ELNS1_11target_archE906ELNS1_3gpuE6ELNS1_3repE0EEENS1_36merge_oddeven_config_static_selectorELNS0_4arch9wavefront6targetE1EEEvSJ_.has_indirect_call, 0
	.section	.AMDGPU.csdata,"",@progbits
; Kernel info:
; codeLenInByte = 0
; TotalNumSgprs: 6
; NumVgprs: 0
; NumAgprs: 0
; TotalNumVgprs: 0
; ScratchSize: 0
; MemoryBound: 0
; FloatMode: 240
; IeeeMode: 1
; LDSByteSize: 0 bytes/workgroup (compile time only)
; SGPRBlocks: 0
; VGPRBlocks: 0
; NumSGPRsForWavesPerEU: 6
; NumVGPRsForWavesPerEU: 1
; AccumOffset: 4
; Occupancy: 8
; WaveLimiterHint : 0
; COMPUTE_PGM_RSRC2:SCRATCH_EN: 0
; COMPUTE_PGM_RSRC2:USER_SGPR: 2
; COMPUTE_PGM_RSRC2:TRAP_HANDLER: 0
; COMPUTE_PGM_RSRC2:TGID_X_EN: 1
; COMPUTE_PGM_RSRC2:TGID_Y_EN: 0
; COMPUTE_PGM_RSRC2:TGID_Z_EN: 0
; COMPUTE_PGM_RSRC2:TIDIG_COMP_CNT: 0
; COMPUTE_PGM_RSRC3_GFX90A:ACCUM_OFFSET: 0
; COMPUTE_PGM_RSRC3_GFX90A:TG_SPLIT: 0
	.section	.text._ZN7rocprim17ROCPRIM_400000_NS6detail17trampoline_kernelINS0_14default_configENS1_38merge_sort_block_merge_config_selectorIssEEZZNS1_27merge_sort_block_merge_implIS3_N6thrust23THRUST_200600_302600_NS6detail15normal_iteratorINS8_10device_ptrIsEEEESD_jNS1_19radix_merge_compareILb0ELb0EsNS0_19identity_decomposerEEEEE10hipError_tT0_T1_T2_jT3_P12ihipStream_tbPNSt15iterator_traitsISI_E10value_typeEPNSO_ISJ_E10value_typeEPSK_NS1_7vsmem_tEENKUlT_SI_SJ_SK_E_clISD_PsSD_S10_EESH_SX_SI_SJ_SK_EUlSX_E1_NS1_11comp_targetILNS1_3genE9ELNS1_11target_archE1100ELNS1_3gpuE3ELNS1_3repE0EEENS1_36merge_oddeven_config_static_selectorELNS0_4arch9wavefront6targetE1EEEvSJ_,"axG",@progbits,_ZN7rocprim17ROCPRIM_400000_NS6detail17trampoline_kernelINS0_14default_configENS1_38merge_sort_block_merge_config_selectorIssEEZZNS1_27merge_sort_block_merge_implIS3_N6thrust23THRUST_200600_302600_NS6detail15normal_iteratorINS8_10device_ptrIsEEEESD_jNS1_19radix_merge_compareILb0ELb0EsNS0_19identity_decomposerEEEEE10hipError_tT0_T1_T2_jT3_P12ihipStream_tbPNSt15iterator_traitsISI_E10value_typeEPNSO_ISJ_E10value_typeEPSK_NS1_7vsmem_tEENKUlT_SI_SJ_SK_E_clISD_PsSD_S10_EESH_SX_SI_SJ_SK_EUlSX_E1_NS1_11comp_targetILNS1_3genE9ELNS1_11target_archE1100ELNS1_3gpuE3ELNS1_3repE0EEENS1_36merge_oddeven_config_static_selectorELNS0_4arch9wavefront6targetE1EEEvSJ_,comdat
	.protected	_ZN7rocprim17ROCPRIM_400000_NS6detail17trampoline_kernelINS0_14default_configENS1_38merge_sort_block_merge_config_selectorIssEEZZNS1_27merge_sort_block_merge_implIS3_N6thrust23THRUST_200600_302600_NS6detail15normal_iteratorINS8_10device_ptrIsEEEESD_jNS1_19radix_merge_compareILb0ELb0EsNS0_19identity_decomposerEEEEE10hipError_tT0_T1_T2_jT3_P12ihipStream_tbPNSt15iterator_traitsISI_E10value_typeEPNSO_ISJ_E10value_typeEPSK_NS1_7vsmem_tEENKUlT_SI_SJ_SK_E_clISD_PsSD_S10_EESH_SX_SI_SJ_SK_EUlSX_E1_NS1_11comp_targetILNS1_3genE9ELNS1_11target_archE1100ELNS1_3gpuE3ELNS1_3repE0EEENS1_36merge_oddeven_config_static_selectorELNS0_4arch9wavefront6targetE1EEEvSJ_ ; -- Begin function _ZN7rocprim17ROCPRIM_400000_NS6detail17trampoline_kernelINS0_14default_configENS1_38merge_sort_block_merge_config_selectorIssEEZZNS1_27merge_sort_block_merge_implIS3_N6thrust23THRUST_200600_302600_NS6detail15normal_iteratorINS8_10device_ptrIsEEEESD_jNS1_19radix_merge_compareILb0ELb0EsNS0_19identity_decomposerEEEEE10hipError_tT0_T1_T2_jT3_P12ihipStream_tbPNSt15iterator_traitsISI_E10value_typeEPNSO_ISJ_E10value_typeEPSK_NS1_7vsmem_tEENKUlT_SI_SJ_SK_E_clISD_PsSD_S10_EESH_SX_SI_SJ_SK_EUlSX_E1_NS1_11comp_targetILNS1_3genE9ELNS1_11target_archE1100ELNS1_3gpuE3ELNS1_3repE0EEENS1_36merge_oddeven_config_static_selectorELNS0_4arch9wavefront6targetE1EEEvSJ_
	.globl	_ZN7rocprim17ROCPRIM_400000_NS6detail17trampoline_kernelINS0_14default_configENS1_38merge_sort_block_merge_config_selectorIssEEZZNS1_27merge_sort_block_merge_implIS3_N6thrust23THRUST_200600_302600_NS6detail15normal_iteratorINS8_10device_ptrIsEEEESD_jNS1_19radix_merge_compareILb0ELb0EsNS0_19identity_decomposerEEEEE10hipError_tT0_T1_T2_jT3_P12ihipStream_tbPNSt15iterator_traitsISI_E10value_typeEPNSO_ISJ_E10value_typeEPSK_NS1_7vsmem_tEENKUlT_SI_SJ_SK_E_clISD_PsSD_S10_EESH_SX_SI_SJ_SK_EUlSX_E1_NS1_11comp_targetILNS1_3genE9ELNS1_11target_archE1100ELNS1_3gpuE3ELNS1_3repE0EEENS1_36merge_oddeven_config_static_selectorELNS0_4arch9wavefront6targetE1EEEvSJ_
	.p2align	8
	.type	_ZN7rocprim17ROCPRIM_400000_NS6detail17trampoline_kernelINS0_14default_configENS1_38merge_sort_block_merge_config_selectorIssEEZZNS1_27merge_sort_block_merge_implIS3_N6thrust23THRUST_200600_302600_NS6detail15normal_iteratorINS8_10device_ptrIsEEEESD_jNS1_19radix_merge_compareILb0ELb0EsNS0_19identity_decomposerEEEEE10hipError_tT0_T1_T2_jT3_P12ihipStream_tbPNSt15iterator_traitsISI_E10value_typeEPNSO_ISJ_E10value_typeEPSK_NS1_7vsmem_tEENKUlT_SI_SJ_SK_E_clISD_PsSD_S10_EESH_SX_SI_SJ_SK_EUlSX_E1_NS1_11comp_targetILNS1_3genE9ELNS1_11target_archE1100ELNS1_3gpuE3ELNS1_3repE0EEENS1_36merge_oddeven_config_static_selectorELNS0_4arch9wavefront6targetE1EEEvSJ_,@function
_ZN7rocprim17ROCPRIM_400000_NS6detail17trampoline_kernelINS0_14default_configENS1_38merge_sort_block_merge_config_selectorIssEEZZNS1_27merge_sort_block_merge_implIS3_N6thrust23THRUST_200600_302600_NS6detail15normal_iteratorINS8_10device_ptrIsEEEESD_jNS1_19radix_merge_compareILb0ELb0EsNS0_19identity_decomposerEEEEE10hipError_tT0_T1_T2_jT3_P12ihipStream_tbPNSt15iterator_traitsISI_E10value_typeEPNSO_ISJ_E10value_typeEPSK_NS1_7vsmem_tEENKUlT_SI_SJ_SK_E_clISD_PsSD_S10_EESH_SX_SI_SJ_SK_EUlSX_E1_NS1_11comp_targetILNS1_3genE9ELNS1_11target_archE1100ELNS1_3gpuE3ELNS1_3repE0EEENS1_36merge_oddeven_config_static_selectorELNS0_4arch9wavefront6targetE1EEEvSJ_: ; @_ZN7rocprim17ROCPRIM_400000_NS6detail17trampoline_kernelINS0_14default_configENS1_38merge_sort_block_merge_config_selectorIssEEZZNS1_27merge_sort_block_merge_implIS3_N6thrust23THRUST_200600_302600_NS6detail15normal_iteratorINS8_10device_ptrIsEEEESD_jNS1_19radix_merge_compareILb0ELb0EsNS0_19identity_decomposerEEEEE10hipError_tT0_T1_T2_jT3_P12ihipStream_tbPNSt15iterator_traitsISI_E10value_typeEPNSO_ISJ_E10value_typeEPSK_NS1_7vsmem_tEENKUlT_SI_SJ_SK_E_clISD_PsSD_S10_EESH_SX_SI_SJ_SK_EUlSX_E1_NS1_11comp_targetILNS1_3genE9ELNS1_11target_archE1100ELNS1_3gpuE3ELNS1_3repE0EEENS1_36merge_oddeven_config_static_selectorELNS0_4arch9wavefront6targetE1EEEvSJ_
; %bb.0:
	.section	.rodata,"a",@progbits
	.p2align	6, 0x0
	.amdhsa_kernel _ZN7rocprim17ROCPRIM_400000_NS6detail17trampoline_kernelINS0_14default_configENS1_38merge_sort_block_merge_config_selectorIssEEZZNS1_27merge_sort_block_merge_implIS3_N6thrust23THRUST_200600_302600_NS6detail15normal_iteratorINS8_10device_ptrIsEEEESD_jNS1_19radix_merge_compareILb0ELb0EsNS0_19identity_decomposerEEEEE10hipError_tT0_T1_T2_jT3_P12ihipStream_tbPNSt15iterator_traitsISI_E10value_typeEPNSO_ISJ_E10value_typeEPSK_NS1_7vsmem_tEENKUlT_SI_SJ_SK_E_clISD_PsSD_S10_EESH_SX_SI_SJ_SK_EUlSX_E1_NS1_11comp_targetILNS1_3genE9ELNS1_11target_archE1100ELNS1_3gpuE3ELNS1_3repE0EEENS1_36merge_oddeven_config_static_selectorELNS0_4arch9wavefront6targetE1EEEvSJ_
		.amdhsa_group_segment_fixed_size 0
		.amdhsa_private_segment_fixed_size 0
		.amdhsa_kernarg_size 48
		.amdhsa_user_sgpr_count 2
		.amdhsa_user_sgpr_dispatch_ptr 0
		.amdhsa_user_sgpr_queue_ptr 0
		.amdhsa_user_sgpr_kernarg_segment_ptr 1
		.amdhsa_user_sgpr_dispatch_id 0
		.amdhsa_user_sgpr_kernarg_preload_length 0
		.amdhsa_user_sgpr_kernarg_preload_offset 0
		.amdhsa_user_sgpr_private_segment_size 0
		.amdhsa_uses_dynamic_stack 0
		.amdhsa_enable_private_segment 0
		.amdhsa_system_sgpr_workgroup_id_x 1
		.amdhsa_system_sgpr_workgroup_id_y 0
		.amdhsa_system_sgpr_workgroup_id_z 0
		.amdhsa_system_sgpr_workgroup_info 0
		.amdhsa_system_vgpr_workitem_id 0
		.amdhsa_next_free_vgpr 1
		.amdhsa_next_free_sgpr 0
		.amdhsa_accum_offset 4
		.amdhsa_reserve_vcc 0
		.amdhsa_float_round_mode_32 0
		.amdhsa_float_round_mode_16_64 0
		.amdhsa_float_denorm_mode_32 3
		.amdhsa_float_denorm_mode_16_64 3
		.amdhsa_dx10_clamp 1
		.amdhsa_ieee_mode 1
		.amdhsa_fp16_overflow 0
		.amdhsa_tg_split 0
		.amdhsa_exception_fp_ieee_invalid_op 0
		.amdhsa_exception_fp_denorm_src 0
		.amdhsa_exception_fp_ieee_div_zero 0
		.amdhsa_exception_fp_ieee_overflow 0
		.amdhsa_exception_fp_ieee_underflow 0
		.amdhsa_exception_fp_ieee_inexact 0
		.amdhsa_exception_int_div_zero 0
	.end_amdhsa_kernel
	.section	.text._ZN7rocprim17ROCPRIM_400000_NS6detail17trampoline_kernelINS0_14default_configENS1_38merge_sort_block_merge_config_selectorIssEEZZNS1_27merge_sort_block_merge_implIS3_N6thrust23THRUST_200600_302600_NS6detail15normal_iteratorINS8_10device_ptrIsEEEESD_jNS1_19radix_merge_compareILb0ELb0EsNS0_19identity_decomposerEEEEE10hipError_tT0_T1_T2_jT3_P12ihipStream_tbPNSt15iterator_traitsISI_E10value_typeEPNSO_ISJ_E10value_typeEPSK_NS1_7vsmem_tEENKUlT_SI_SJ_SK_E_clISD_PsSD_S10_EESH_SX_SI_SJ_SK_EUlSX_E1_NS1_11comp_targetILNS1_3genE9ELNS1_11target_archE1100ELNS1_3gpuE3ELNS1_3repE0EEENS1_36merge_oddeven_config_static_selectorELNS0_4arch9wavefront6targetE1EEEvSJ_,"axG",@progbits,_ZN7rocprim17ROCPRIM_400000_NS6detail17trampoline_kernelINS0_14default_configENS1_38merge_sort_block_merge_config_selectorIssEEZZNS1_27merge_sort_block_merge_implIS3_N6thrust23THRUST_200600_302600_NS6detail15normal_iteratorINS8_10device_ptrIsEEEESD_jNS1_19radix_merge_compareILb0ELb0EsNS0_19identity_decomposerEEEEE10hipError_tT0_T1_T2_jT3_P12ihipStream_tbPNSt15iterator_traitsISI_E10value_typeEPNSO_ISJ_E10value_typeEPSK_NS1_7vsmem_tEENKUlT_SI_SJ_SK_E_clISD_PsSD_S10_EESH_SX_SI_SJ_SK_EUlSX_E1_NS1_11comp_targetILNS1_3genE9ELNS1_11target_archE1100ELNS1_3gpuE3ELNS1_3repE0EEENS1_36merge_oddeven_config_static_selectorELNS0_4arch9wavefront6targetE1EEEvSJ_,comdat
.Lfunc_end1556:
	.size	_ZN7rocprim17ROCPRIM_400000_NS6detail17trampoline_kernelINS0_14default_configENS1_38merge_sort_block_merge_config_selectorIssEEZZNS1_27merge_sort_block_merge_implIS3_N6thrust23THRUST_200600_302600_NS6detail15normal_iteratorINS8_10device_ptrIsEEEESD_jNS1_19radix_merge_compareILb0ELb0EsNS0_19identity_decomposerEEEEE10hipError_tT0_T1_T2_jT3_P12ihipStream_tbPNSt15iterator_traitsISI_E10value_typeEPNSO_ISJ_E10value_typeEPSK_NS1_7vsmem_tEENKUlT_SI_SJ_SK_E_clISD_PsSD_S10_EESH_SX_SI_SJ_SK_EUlSX_E1_NS1_11comp_targetILNS1_3genE9ELNS1_11target_archE1100ELNS1_3gpuE3ELNS1_3repE0EEENS1_36merge_oddeven_config_static_selectorELNS0_4arch9wavefront6targetE1EEEvSJ_, .Lfunc_end1556-_ZN7rocprim17ROCPRIM_400000_NS6detail17trampoline_kernelINS0_14default_configENS1_38merge_sort_block_merge_config_selectorIssEEZZNS1_27merge_sort_block_merge_implIS3_N6thrust23THRUST_200600_302600_NS6detail15normal_iteratorINS8_10device_ptrIsEEEESD_jNS1_19radix_merge_compareILb0ELb0EsNS0_19identity_decomposerEEEEE10hipError_tT0_T1_T2_jT3_P12ihipStream_tbPNSt15iterator_traitsISI_E10value_typeEPNSO_ISJ_E10value_typeEPSK_NS1_7vsmem_tEENKUlT_SI_SJ_SK_E_clISD_PsSD_S10_EESH_SX_SI_SJ_SK_EUlSX_E1_NS1_11comp_targetILNS1_3genE9ELNS1_11target_archE1100ELNS1_3gpuE3ELNS1_3repE0EEENS1_36merge_oddeven_config_static_selectorELNS0_4arch9wavefront6targetE1EEEvSJ_
                                        ; -- End function
	.set _ZN7rocprim17ROCPRIM_400000_NS6detail17trampoline_kernelINS0_14default_configENS1_38merge_sort_block_merge_config_selectorIssEEZZNS1_27merge_sort_block_merge_implIS3_N6thrust23THRUST_200600_302600_NS6detail15normal_iteratorINS8_10device_ptrIsEEEESD_jNS1_19radix_merge_compareILb0ELb0EsNS0_19identity_decomposerEEEEE10hipError_tT0_T1_T2_jT3_P12ihipStream_tbPNSt15iterator_traitsISI_E10value_typeEPNSO_ISJ_E10value_typeEPSK_NS1_7vsmem_tEENKUlT_SI_SJ_SK_E_clISD_PsSD_S10_EESH_SX_SI_SJ_SK_EUlSX_E1_NS1_11comp_targetILNS1_3genE9ELNS1_11target_archE1100ELNS1_3gpuE3ELNS1_3repE0EEENS1_36merge_oddeven_config_static_selectorELNS0_4arch9wavefront6targetE1EEEvSJ_.num_vgpr, 0
	.set _ZN7rocprim17ROCPRIM_400000_NS6detail17trampoline_kernelINS0_14default_configENS1_38merge_sort_block_merge_config_selectorIssEEZZNS1_27merge_sort_block_merge_implIS3_N6thrust23THRUST_200600_302600_NS6detail15normal_iteratorINS8_10device_ptrIsEEEESD_jNS1_19radix_merge_compareILb0ELb0EsNS0_19identity_decomposerEEEEE10hipError_tT0_T1_T2_jT3_P12ihipStream_tbPNSt15iterator_traitsISI_E10value_typeEPNSO_ISJ_E10value_typeEPSK_NS1_7vsmem_tEENKUlT_SI_SJ_SK_E_clISD_PsSD_S10_EESH_SX_SI_SJ_SK_EUlSX_E1_NS1_11comp_targetILNS1_3genE9ELNS1_11target_archE1100ELNS1_3gpuE3ELNS1_3repE0EEENS1_36merge_oddeven_config_static_selectorELNS0_4arch9wavefront6targetE1EEEvSJ_.num_agpr, 0
	.set _ZN7rocprim17ROCPRIM_400000_NS6detail17trampoline_kernelINS0_14default_configENS1_38merge_sort_block_merge_config_selectorIssEEZZNS1_27merge_sort_block_merge_implIS3_N6thrust23THRUST_200600_302600_NS6detail15normal_iteratorINS8_10device_ptrIsEEEESD_jNS1_19radix_merge_compareILb0ELb0EsNS0_19identity_decomposerEEEEE10hipError_tT0_T1_T2_jT3_P12ihipStream_tbPNSt15iterator_traitsISI_E10value_typeEPNSO_ISJ_E10value_typeEPSK_NS1_7vsmem_tEENKUlT_SI_SJ_SK_E_clISD_PsSD_S10_EESH_SX_SI_SJ_SK_EUlSX_E1_NS1_11comp_targetILNS1_3genE9ELNS1_11target_archE1100ELNS1_3gpuE3ELNS1_3repE0EEENS1_36merge_oddeven_config_static_selectorELNS0_4arch9wavefront6targetE1EEEvSJ_.numbered_sgpr, 0
	.set _ZN7rocprim17ROCPRIM_400000_NS6detail17trampoline_kernelINS0_14default_configENS1_38merge_sort_block_merge_config_selectorIssEEZZNS1_27merge_sort_block_merge_implIS3_N6thrust23THRUST_200600_302600_NS6detail15normal_iteratorINS8_10device_ptrIsEEEESD_jNS1_19radix_merge_compareILb0ELb0EsNS0_19identity_decomposerEEEEE10hipError_tT0_T1_T2_jT3_P12ihipStream_tbPNSt15iterator_traitsISI_E10value_typeEPNSO_ISJ_E10value_typeEPSK_NS1_7vsmem_tEENKUlT_SI_SJ_SK_E_clISD_PsSD_S10_EESH_SX_SI_SJ_SK_EUlSX_E1_NS1_11comp_targetILNS1_3genE9ELNS1_11target_archE1100ELNS1_3gpuE3ELNS1_3repE0EEENS1_36merge_oddeven_config_static_selectorELNS0_4arch9wavefront6targetE1EEEvSJ_.num_named_barrier, 0
	.set _ZN7rocprim17ROCPRIM_400000_NS6detail17trampoline_kernelINS0_14default_configENS1_38merge_sort_block_merge_config_selectorIssEEZZNS1_27merge_sort_block_merge_implIS3_N6thrust23THRUST_200600_302600_NS6detail15normal_iteratorINS8_10device_ptrIsEEEESD_jNS1_19radix_merge_compareILb0ELb0EsNS0_19identity_decomposerEEEEE10hipError_tT0_T1_T2_jT3_P12ihipStream_tbPNSt15iterator_traitsISI_E10value_typeEPNSO_ISJ_E10value_typeEPSK_NS1_7vsmem_tEENKUlT_SI_SJ_SK_E_clISD_PsSD_S10_EESH_SX_SI_SJ_SK_EUlSX_E1_NS1_11comp_targetILNS1_3genE9ELNS1_11target_archE1100ELNS1_3gpuE3ELNS1_3repE0EEENS1_36merge_oddeven_config_static_selectorELNS0_4arch9wavefront6targetE1EEEvSJ_.private_seg_size, 0
	.set _ZN7rocprim17ROCPRIM_400000_NS6detail17trampoline_kernelINS0_14default_configENS1_38merge_sort_block_merge_config_selectorIssEEZZNS1_27merge_sort_block_merge_implIS3_N6thrust23THRUST_200600_302600_NS6detail15normal_iteratorINS8_10device_ptrIsEEEESD_jNS1_19radix_merge_compareILb0ELb0EsNS0_19identity_decomposerEEEEE10hipError_tT0_T1_T2_jT3_P12ihipStream_tbPNSt15iterator_traitsISI_E10value_typeEPNSO_ISJ_E10value_typeEPSK_NS1_7vsmem_tEENKUlT_SI_SJ_SK_E_clISD_PsSD_S10_EESH_SX_SI_SJ_SK_EUlSX_E1_NS1_11comp_targetILNS1_3genE9ELNS1_11target_archE1100ELNS1_3gpuE3ELNS1_3repE0EEENS1_36merge_oddeven_config_static_selectorELNS0_4arch9wavefront6targetE1EEEvSJ_.uses_vcc, 0
	.set _ZN7rocprim17ROCPRIM_400000_NS6detail17trampoline_kernelINS0_14default_configENS1_38merge_sort_block_merge_config_selectorIssEEZZNS1_27merge_sort_block_merge_implIS3_N6thrust23THRUST_200600_302600_NS6detail15normal_iteratorINS8_10device_ptrIsEEEESD_jNS1_19radix_merge_compareILb0ELb0EsNS0_19identity_decomposerEEEEE10hipError_tT0_T1_T2_jT3_P12ihipStream_tbPNSt15iterator_traitsISI_E10value_typeEPNSO_ISJ_E10value_typeEPSK_NS1_7vsmem_tEENKUlT_SI_SJ_SK_E_clISD_PsSD_S10_EESH_SX_SI_SJ_SK_EUlSX_E1_NS1_11comp_targetILNS1_3genE9ELNS1_11target_archE1100ELNS1_3gpuE3ELNS1_3repE0EEENS1_36merge_oddeven_config_static_selectorELNS0_4arch9wavefront6targetE1EEEvSJ_.uses_flat_scratch, 0
	.set _ZN7rocprim17ROCPRIM_400000_NS6detail17trampoline_kernelINS0_14default_configENS1_38merge_sort_block_merge_config_selectorIssEEZZNS1_27merge_sort_block_merge_implIS3_N6thrust23THRUST_200600_302600_NS6detail15normal_iteratorINS8_10device_ptrIsEEEESD_jNS1_19radix_merge_compareILb0ELb0EsNS0_19identity_decomposerEEEEE10hipError_tT0_T1_T2_jT3_P12ihipStream_tbPNSt15iterator_traitsISI_E10value_typeEPNSO_ISJ_E10value_typeEPSK_NS1_7vsmem_tEENKUlT_SI_SJ_SK_E_clISD_PsSD_S10_EESH_SX_SI_SJ_SK_EUlSX_E1_NS1_11comp_targetILNS1_3genE9ELNS1_11target_archE1100ELNS1_3gpuE3ELNS1_3repE0EEENS1_36merge_oddeven_config_static_selectorELNS0_4arch9wavefront6targetE1EEEvSJ_.has_dyn_sized_stack, 0
	.set _ZN7rocprim17ROCPRIM_400000_NS6detail17trampoline_kernelINS0_14default_configENS1_38merge_sort_block_merge_config_selectorIssEEZZNS1_27merge_sort_block_merge_implIS3_N6thrust23THRUST_200600_302600_NS6detail15normal_iteratorINS8_10device_ptrIsEEEESD_jNS1_19radix_merge_compareILb0ELb0EsNS0_19identity_decomposerEEEEE10hipError_tT0_T1_T2_jT3_P12ihipStream_tbPNSt15iterator_traitsISI_E10value_typeEPNSO_ISJ_E10value_typeEPSK_NS1_7vsmem_tEENKUlT_SI_SJ_SK_E_clISD_PsSD_S10_EESH_SX_SI_SJ_SK_EUlSX_E1_NS1_11comp_targetILNS1_3genE9ELNS1_11target_archE1100ELNS1_3gpuE3ELNS1_3repE0EEENS1_36merge_oddeven_config_static_selectorELNS0_4arch9wavefront6targetE1EEEvSJ_.has_recursion, 0
	.set _ZN7rocprim17ROCPRIM_400000_NS6detail17trampoline_kernelINS0_14default_configENS1_38merge_sort_block_merge_config_selectorIssEEZZNS1_27merge_sort_block_merge_implIS3_N6thrust23THRUST_200600_302600_NS6detail15normal_iteratorINS8_10device_ptrIsEEEESD_jNS1_19radix_merge_compareILb0ELb0EsNS0_19identity_decomposerEEEEE10hipError_tT0_T1_T2_jT3_P12ihipStream_tbPNSt15iterator_traitsISI_E10value_typeEPNSO_ISJ_E10value_typeEPSK_NS1_7vsmem_tEENKUlT_SI_SJ_SK_E_clISD_PsSD_S10_EESH_SX_SI_SJ_SK_EUlSX_E1_NS1_11comp_targetILNS1_3genE9ELNS1_11target_archE1100ELNS1_3gpuE3ELNS1_3repE0EEENS1_36merge_oddeven_config_static_selectorELNS0_4arch9wavefront6targetE1EEEvSJ_.has_indirect_call, 0
	.section	.AMDGPU.csdata,"",@progbits
; Kernel info:
; codeLenInByte = 0
; TotalNumSgprs: 6
; NumVgprs: 0
; NumAgprs: 0
; TotalNumVgprs: 0
; ScratchSize: 0
; MemoryBound: 0
; FloatMode: 240
; IeeeMode: 1
; LDSByteSize: 0 bytes/workgroup (compile time only)
; SGPRBlocks: 0
; VGPRBlocks: 0
; NumSGPRsForWavesPerEU: 6
; NumVGPRsForWavesPerEU: 1
; AccumOffset: 4
; Occupancy: 8
; WaveLimiterHint : 0
; COMPUTE_PGM_RSRC2:SCRATCH_EN: 0
; COMPUTE_PGM_RSRC2:USER_SGPR: 2
; COMPUTE_PGM_RSRC2:TRAP_HANDLER: 0
; COMPUTE_PGM_RSRC2:TGID_X_EN: 1
; COMPUTE_PGM_RSRC2:TGID_Y_EN: 0
; COMPUTE_PGM_RSRC2:TGID_Z_EN: 0
; COMPUTE_PGM_RSRC2:TIDIG_COMP_CNT: 0
; COMPUTE_PGM_RSRC3_GFX90A:ACCUM_OFFSET: 0
; COMPUTE_PGM_RSRC3_GFX90A:TG_SPLIT: 0
	.section	.text._ZN7rocprim17ROCPRIM_400000_NS6detail17trampoline_kernelINS0_14default_configENS1_38merge_sort_block_merge_config_selectorIssEEZZNS1_27merge_sort_block_merge_implIS3_N6thrust23THRUST_200600_302600_NS6detail15normal_iteratorINS8_10device_ptrIsEEEESD_jNS1_19radix_merge_compareILb0ELb0EsNS0_19identity_decomposerEEEEE10hipError_tT0_T1_T2_jT3_P12ihipStream_tbPNSt15iterator_traitsISI_E10value_typeEPNSO_ISJ_E10value_typeEPSK_NS1_7vsmem_tEENKUlT_SI_SJ_SK_E_clISD_PsSD_S10_EESH_SX_SI_SJ_SK_EUlSX_E1_NS1_11comp_targetILNS1_3genE8ELNS1_11target_archE1030ELNS1_3gpuE2ELNS1_3repE0EEENS1_36merge_oddeven_config_static_selectorELNS0_4arch9wavefront6targetE1EEEvSJ_,"axG",@progbits,_ZN7rocprim17ROCPRIM_400000_NS6detail17trampoline_kernelINS0_14default_configENS1_38merge_sort_block_merge_config_selectorIssEEZZNS1_27merge_sort_block_merge_implIS3_N6thrust23THRUST_200600_302600_NS6detail15normal_iteratorINS8_10device_ptrIsEEEESD_jNS1_19radix_merge_compareILb0ELb0EsNS0_19identity_decomposerEEEEE10hipError_tT0_T1_T2_jT3_P12ihipStream_tbPNSt15iterator_traitsISI_E10value_typeEPNSO_ISJ_E10value_typeEPSK_NS1_7vsmem_tEENKUlT_SI_SJ_SK_E_clISD_PsSD_S10_EESH_SX_SI_SJ_SK_EUlSX_E1_NS1_11comp_targetILNS1_3genE8ELNS1_11target_archE1030ELNS1_3gpuE2ELNS1_3repE0EEENS1_36merge_oddeven_config_static_selectorELNS0_4arch9wavefront6targetE1EEEvSJ_,comdat
	.protected	_ZN7rocprim17ROCPRIM_400000_NS6detail17trampoline_kernelINS0_14default_configENS1_38merge_sort_block_merge_config_selectorIssEEZZNS1_27merge_sort_block_merge_implIS3_N6thrust23THRUST_200600_302600_NS6detail15normal_iteratorINS8_10device_ptrIsEEEESD_jNS1_19radix_merge_compareILb0ELb0EsNS0_19identity_decomposerEEEEE10hipError_tT0_T1_T2_jT3_P12ihipStream_tbPNSt15iterator_traitsISI_E10value_typeEPNSO_ISJ_E10value_typeEPSK_NS1_7vsmem_tEENKUlT_SI_SJ_SK_E_clISD_PsSD_S10_EESH_SX_SI_SJ_SK_EUlSX_E1_NS1_11comp_targetILNS1_3genE8ELNS1_11target_archE1030ELNS1_3gpuE2ELNS1_3repE0EEENS1_36merge_oddeven_config_static_selectorELNS0_4arch9wavefront6targetE1EEEvSJ_ ; -- Begin function _ZN7rocprim17ROCPRIM_400000_NS6detail17trampoline_kernelINS0_14default_configENS1_38merge_sort_block_merge_config_selectorIssEEZZNS1_27merge_sort_block_merge_implIS3_N6thrust23THRUST_200600_302600_NS6detail15normal_iteratorINS8_10device_ptrIsEEEESD_jNS1_19radix_merge_compareILb0ELb0EsNS0_19identity_decomposerEEEEE10hipError_tT0_T1_T2_jT3_P12ihipStream_tbPNSt15iterator_traitsISI_E10value_typeEPNSO_ISJ_E10value_typeEPSK_NS1_7vsmem_tEENKUlT_SI_SJ_SK_E_clISD_PsSD_S10_EESH_SX_SI_SJ_SK_EUlSX_E1_NS1_11comp_targetILNS1_3genE8ELNS1_11target_archE1030ELNS1_3gpuE2ELNS1_3repE0EEENS1_36merge_oddeven_config_static_selectorELNS0_4arch9wavefront6targetE1EEEvSJ_
	.globl	_ZN7rocprim17ROCPRIM_400000_NS6detail17trampoline_kernelINS0_14default_configENS1_38merge_sort_block_merge_config_selectorIssEEZZNS1_27merge_sort_block_merge_implIS3_N6thrust23THRUST_200600_302600_NS6detail15normal_iteratorINS8_10device_ptrIsEEEESD_jNS1_19radix_merge_compareILb0ELb0EsNS0_19identity_decomposerEEEEE10hipError_tT0_T1_T2_jT3_P12ihipStream_tbPNSt15iterator_traitsISI_E10value_typeEPNSO_ISJ_E10value_typeEPSK_NS1_7vsmem_tEENKUlT_SI_SJ_SK_E_clISD_PsSD_S10_EESH_SX_SI_SJ_SK_EUlSX_E1_NS1_11comp_targetILNS1_3genE8ELNS1_11target_archE1030ELNS1_3gpuE2ELNS1_3repE0EEENS1_36merge_oddeven_config_static_selectorELNS0_4arch9wavefront6targetE1EEEvSJ_
	.p2align	8
	.type	_ZN7rocprim17ROCPRIM_400000_NS6detail17trampoline_kernelINS0_14default_configENS1_38merge_sort_block_merge_config_selectorIssEEZZNS1_27merge_sort_block_merge_implIS3_N6thrust23THRUST_200600_302600_NS6detail15normal_iteratorINS8_10device_ptrIsEEEESD_jNS1_19radix_merge_compareILb0ELb0EsNS0_19identity_decomposerEEEEE10hipError_tT0_T1_T2_jT3_P12ihipStream_tbPNSt15iterator_traitsISI_E10value_typeEPNSO_ISJ_E10value_typeEPSK_NS1_7vsmem_tEENKUlT_SI_SJ_SK_E_clISD_PsSD_S10_EESH_SX_SI_SJ_SK_EUlSX_E1_NS1_11comp_targetILNS1_3genE8ELNS1_11target_archE1030ELNS1_3gpuE2ELNS1_3repE0EEENS1_36merge_oddeven_config_static_selectorELNS0_4arch9wavefront6targetE1EEEvSJ_,@function
_ZN7rocprim17ROCPRIM_400000_NS6detail17trampoline_kernelINS0_14default_configENS1_38merge_sort_block_merge_config_selectorIssEEZZNS1_27merge_sort_block_merge_implIS3_N6thrust23THRUST_200600_302600_NS6detail15normal_iteratorINS8_10device_ptrIsEEEESD_jNS1_19radix_merge_compareILb0ELb0EsNS0_19identity_decomposerEEEEE10hipError_tT0_T1_T2_jT3_P12ihipStream_tbPNSt15iterator_traitsISI_E10value_typeEPNSO_ISJ_E10value_typeEPSK_NS1_7vsmem_tEENKUlT_SI_SJ_SK_E_clISD_PsSD_S10_EESH_SX_SI_SJ_SK_EUlSX_E1_NS1_11comp_targetILNS1_3genE8ELNS1_11target_archE1030ELNS1_3gpuE2ELNS1_3repE0EEENS1_36merge_oddeven_config_static_selectorELNS0_4arch9wavefront6targetE1EEEvSJ_: ; @_ZN7rocprim17ROCPRIM_400000_NS6detail17trampoline_kernelINS0_14default_configENS1_38merge_sort_block_merge_config_selectorIssEEZZNS1_27merge_sort_block_merge_implIS3_N6thrust23THRUST_200600_302600_NS6detail15normal_iteratorINS8_10device_ptrIsEEEESD_jNS1_19radix_merge_compareILb0ELb0EsNS0_19identity_decomposerEEEEE10hipError_tT0_T1_T2_jT3_P12ihipStream_tbPNSt15iterator_traitsISI_E10value_typeEPNSO_ISJ_E10value_typeEPSK_NS1_7vsmem_tEENKUlT_SI_SJ_SK_E_clISD_PsSD_S10_EESH_SX_SI_SJ_SK_EUlSX_E1_NS1_11comp_targetILNS1_3genE8ELNS1_11target_archE1030ELNS1_3gpuE2ELNS1_3repE0EEENS1_36merge_oddeven_config_static_selectorELNS0_4arch9wavefront6targetE1EEEvSJ_
; %bb.0:
	.section	.rodata,"a",@progbits
	.p2align	6, 0x0
	.amdhsa_kernel _ZN7rocprim17ROCPRIM_400000_NS6detail17trampoline_kernelINS0_14default_configENS1_38merge_sort_block_merge_config_selectorIssEEZZNS1_27merge_sort_block_merge_implIS3_N6thrust23THRUST_200600_302600_NS6detail15normal_iteratorINS8_10device_ptrIsEEEESD_jNS1_19radix_merge_compareILb0ELb0EsNS0_19identity_decomposerEEEEE10hipError_tT0_T1_T2_jT3_P12ihipStream_tbPNSt15iterator_traitsISI_E10value_typeEPNSO_ISJ_E10value_typeEPSK_NS1_7vsmem_tEENKUlT_SI_SJ_SK_E_clISD_PsSD_S10_EESH_SX_SI_SJ_SK_EUlSX_E1_NS1_11comp_targetILNS1_3genE8ELNS1_11target_archE1030ELNS1_3gpuE2ELNS1_3repE0EEENS1_36merge_oddeven_config_static_selectorELNS0_4arch9wavefront6targetE1EEEvSJ_
		.amdhsa_group_segment_fixed_size 0
		.amdhsa_private_segment_fixed_size 0
		.amdhsa_kernarg_size 48
		.amdhsa_user_sgpr_count 2
		.amdhsa_user_sgpr_dispatch_ptr 0
		.amdhsa_user_sgpr_queue_ptr 0
		.amdhsa_user_sgpr_kernarg_segment_ptr 1
		.amdhsa_user_sgpr_dispatch_id 0
		.amdhsa_user_sgpr_kernarg_preload_length 0
		.amdhsa_user_sgpr_kernarg_preload_offset 0
		.amdhsa_user_sgpr_private_segment_size 0
		.amdhsa_uses_dynamic_stack 0
		.amdhsa_enable_private_segment 0
		.amdhsa_system_sgpr_workgroup_id_x 1
		.amdhsa_system_sgpr_workgroup_id_y 0
		.amdhsa_system_sgpr_workgroup_id_z 0
		.amdhsa_system_sgpr_workgroup_info 0
		.amdhsa_system_vgpr_workitem_id 0
		.amdhsa_next_free_vgpr 1
		.amdhsa_next_free_sgpr 0
		.amdhsa_accum_offset 4
		.amdhsa_reserve_vcc 0
		.amdhsa_float_round_mode_32 0
		.amdhsa_float_round_mode_16_64 0
		.amdhsa_float_denorm_mode_32 3
		.amdhsa_float_denorm_mode_16_64 3
		.amdhsa_dx10_clamp 1
		.amdhsa_ieee_mode 1
		.amdhsa_fp16_overflow 0
		.amdhsa_tg_split 0
		.amdhsa_exception_fp_ieee_invalid_op 0
		.amdhsa_exception_fp_denorm_src 0
		.amdhsa_exception_fp_ieee_div_zero 0
		.amdhsa_exception_fp_ieee_overflow 0
		.amdhsa_exception_fp_ieee_underflow 0
		.amdhsa_exception_fp_ieee_inexact 0
		.amdhsa_exception_int_div_zero 0
	.end_amdhsa_kernel
	.section	.text._ZN7rocprim17ROCPRIM_400000_NS6detail17trampoline_kernelINS0_14default_configENS1_38merge_sort_block_merge_config_selectorIssEEZZNS1_27merge_sort_block_merge_implIS3_N6thrust23THRUST_200600_302600_NS6detail15normal_iteratorINS8_10device_ptrIsEEEESD_jNS1_19radix_merge_compareILb0ELb0EsNS0_19identity_decomposerEEEEE10hipError_tT0_T1_T2_jT3_P12ihipStream_tbPNSt15iterator_traitsISI_E10value_typeEPNSO_ISJ_E10value_typeEPSK_NS1_7vsmem_tEENKUlT_SI_SJ_SK_E_clISD_PsSD_S10_EESH_SX_SI_SJ_SK_EUlSX_E1_NS1_11comp_targetILNS1_3genE8ELNS1_11target_archE1030ELNS1_3gpuE2ELNS1_3repE0EEENS1_36merge_oddeven_config_static_selectorELNS0_4arch9wavefront6targetE1EEEvSJ_,"axG",@progbits,_ZN7rocprim17ROCPRIM_400000_NS6detail17trampoline_kernelINS0_14default_configENS1_38merge_sort_block_merge_config_selectorIssEEZZNS1_27merge_sort_block_merge_implIS3_N6thrust23THRUST_200600_302600_NS6detail15normal_iteratorINS8_10device_ptrIsEEEESD_jNS1_19radix_merge_compareILb0ELb0EsNS0_19identity_decomposerEEEEE10hipError_tT0_T1_T2_jT3_P12ihipStream_tbPNSt15iterator_traitsISI_E10value_typeEPNSO_ISJ_E10value_typeEPSK_NS1_7vsmem_tEENKUlT_SI_SJ_SK_E_clISD_PsSD_S10_EESH_SX_SI_SJ_SK_EUlSX_E1_NS1_11comp_targetILNS1_3genE8ELNS1_11target_archE1030ELNS1_3gpuE2ELNS1_3repE0EEENS1_36merge_oddeven_config_static_selectorELNS0_4arch9wavefront6targetE1EEEvSJ_,comdat
.Lfunc_end1557:
	.size	_ZN7rocprim17ROCPRIM_400000_NS6detail17trampoline_kernelINS0_14default_configENS1_38merge_sort_block_merge_config_selectorIssEEZZNS1_27merge_sort_block_merge_implIS3_N6thrust23THRUST_200600_302600_NS6detail15normal_iteratorINS8_10device_ptrIsEEEESD_jNS1_19radix_merge_compareILb0ELb0EsNS0_19identity_decomposerEEEEE10hipError_tT0_T1_T2_jT3_P12ihipStream_tbPNSt15iterator_traitsISI_E10value_typeEPNSO_ISJ_E10value_typeEPSK_NS1_7vsmem_tEENKUlT_SI_SJ_SK_E_clISD_PsSD_S10_EESH_SX_SI_SJ_SK_EUlSX_E1_NS1_11comp_targetILNS1_3genE8ELNS1_11target_archE1030ELNS1_3gpuE2ELNS1_3repE0EEENS1_36merge_oddeven_config_static_selectorELNS0_4arch9wavefront6targetE1EEEvSJ_, .Lfunc_end1557-_ZN7rocprim17ROCPRIM_400000_NS6detail17trampoline_kernelINS0_14default_configENS1_38merge_sort_block_merge_config_selectorIssEEZZNS1_27merge_sort_block_merge_implIS3_N6thrust23THRUST_200600_302600_NS6detail15normal_iteratorINS8_10device_ptrIsEEEESD_jNS1_19radix_merge_compareILb0ELb0EsNS0_19identity_decomposerEEEEE10hipError_tT0_T1_T2_jT3_P12ihipStream_tbPNSt15iterator_traitsISI_E10value_typeEPNSO_ISJ_E10value_typeEPSK_NS1_7vsmem_tEENKUlT_SI_SJ_SK_E_clISD_PsSD_S10_EESH_SX_SI_SJ_SK_EUlSX_E1_NS1_11comp_targetILNS1_3genE8ELNS1_11target_archE1030ELNS1_3gpuE2ELNS1_3repE0EEENS1_36merge_oddeven_config_static_selectorELNS0_4arch9wavefront6targetE1EEEvSJ_
                                        ; -- End function
	.set _ZN7rocprim17ROCPRIM_400000_NS6detail17trampoline_kernelINS0_14default_configENS1_38merge_sort_block_merge_config_selectorIssEEZZNS1_27merge_sort_block_merge_implIS3_N6thrust23THRUST_200600_302600_NS6detail15normal_iteratorINS8_10device_ptrIsEEEESD_jNS1_19radix_merge_compareILb0ELb0EsNS0_19identity_decomposerEEEEE10hipError_tT0_T1_T2_jT3_P12ihipStream_tbPNSt15iterator_traitsISI_E10value_typeEPNSO_ISJ_E10value_typeEPSK_NS1_7vsmem_tEENKUlT_SI_SJ_SK_E_clISD_PsSD_S10_EESH_SX_SI_SJ_SK_EUlSX_E1_NS1_11comp_targetILNS1_3genE8ELNS1_11target_archE1030ELNS1_3gpuE2ELNS1_3repE0EEENS1_36merge_oddeven_config_static_selectorELNS0_4arch9wavefront6targetE1EEEvSJ_.num_vgpr, 0
	.set _ZN7rocprim17ROCPRIM_400000_NS6detail17trampoline_kernelINS0_14default_configENS1_38merge_sort_block_merge_config_selectorIssEEZZNS1_27merge_sort_block_merge_implIS3_N6thrust23THRUST_200600_302600_NS6detail15normal_iteratorINS8_10device_ptrIsEEEESD_jNS1_19radix_merge_compareILb0ELb0EsNS0_19identity_decomposerEEEEE10hipError_tT0_T1_T2_jT3_P12ihipStream_tbPNSt15iterator_traitsISI_E10value_typeEPNSO_ISJ_E10value_typeEPSK_NS1_7vsmem_tEENKUlT_SI_SJ_SK_E_clISD_PsSD_S10_EESH_SX_SI_SJ_SK_EUlSX_E1_NS1_11comp_targetILNS1_3genE8ELNS1_11target_archE1030ELNS1_3gpuE2ELNS1_3repE0EEENS1_36merge_oddeven_config_static_selectorELNS0_4arch9wavefront6targetE1EEEvSJ_.num_agpr, 0
	.set _ZN7rocprim17ROCPRIM_400000_NS6detail17trampoline_kernelINS0_14default_configENS1_38merge_sort_block_merge_config_selectorIssEEZZNS1_27merge_sort_block_merge_implIS3_N6thrust23THRUST_200600_302600_NS6detail15normal_iteratorINS8_10device_ptrIsEEEESD_jNS1_19radix_merge_compareILb0ELb0EsNS0_19identity_decomposerEEEEE10hipError_tT0_T1_T2_jT3_P12ihipStream_tbPNSt15iterator_traitsISI_E10value_typeEPNSO_ISJ_E10value_typeEPSK_NS1_7vsmem_tEENKUlT_SI_SJ_SK_E_clISD_PsSD_S10_EESH_SX_SI_SJ_SK_EUlSX_E1_NS1_11comp_targetILNS1_3genE8ELNS1_11target_archE1030ELNS1_3gpuE2ELNS1_3repE0EEENS1_36merge_oddeven_config_static_selectorELNS0_4arch9wavefront6targetE1EEEvSJ_.numbered_sgpr, 0
	.set _ZN7rocprim17ROCPRIM_400000_NS6detail17trampoline_kernelINS0_14default_configENS1_38merge_sort_block_merge_config_selectorIssEEZZNS1_27merge_sort_block_merge_implIS3_N6thrust23THRUST_200600_302600_NS6detail15normal_iteratorINS8_10device_ptrIsEEEESD_jNS1_19radix_merge_compareILb0ELb0EsNS0_19identity_decomposerEEEEE10hipError_tT0_T1_T2_jT3_P12ihipStream_tbPNSt15iterator_traitsISI_E10value_typeEPNSO_ISJ_E10value_typeEPSK_NS1_7vsmem_tEENKUlT_SI_SJ_SK_E_clISD_PsSD_S10_EESH_SX_SI_SJ_SK_EUlSX_E1_NS1_11comp_targetILNS1_3genE8ELNS1_11target_archE1030ELNS1_3gpuE2ELNS1_3repE0EEENS1_36merge_oddeven_config_static_selectorELNS0_4arch9wavefront6targetE1EEEvSJ_.num_named_barrier, 0
	.set _ZN7rocprim17ROCPRIM_400000_NS6detail17trampoline_kernelINS0_14default_configENS1_38merge_sort_block_merge_config_selectorIssEEZZNS1_27merge_sort_block_merge_implIS3_N6thrust23THRUST_200600_302600_NS6detail15normal_iteratorINS8_10device_ptrIsEEEESD_jNS1_19radix_merge_compareILb0ELb0EsNS0_19identity_decomposerEEEEE10hipError_tT0_T1_T2_jT3_P12ihipStream_tbPNSt15iterator_traitsISI_E10value_typeEPNSO_ISJ_E10value_typeEPSK_NS1_7vsmem_tEENKUlT_SI_SJ_SK_E_clISD_PsSD_S10_EESH_SX_SI_SJ_SK_EUlSX_E1_NS1_11comp_targetILNS1_3genE8ELNS1_11target_archE1030ELNS1_3gpuE2ELNS1_3repE0EEENS1_36merge_oddeven_config_static_selectorELNS0_4arch9wavefront6targetE1EEEvSJ_.private_seg_size, 0
	.set _ZN7rocprim17ROCPRIM_400000_NS6detail17trampoline_kernelINS0_14default_configENS1_38merge_sort_block_merge_config_selectorIssEEZZNS1_27merge_sort_block_merge_implIS3_N6thrust23THRUST_200600_302600_NS6detail15normal_iteratorINS8_10device_ptrIsEEEESD_jNS1_19radix_merge_compareILb0ELb0EsNS0_19identity_decomposerEEEEE10hipError_tT0_T1_T2_jT3_P12ihipStream_tbPNSt15iterator_traitsISI_E10value_typeEPNSO_ISJ_E10value_typeEPSK_NS1_7vsmem_tEENKUlT_SI_SJ_SK_E_clISD_PsSD_S10_EESH_SX_SI_SJ_SK_EUlSX_E1_NS1_11comp_targetILNS1_3genE8ELNS1_11target_archE1030ELNS1_3gpuE2ELNS1_3repE0EEENS1_36merge_oddeven_config_static_selectorELNS0_4arch9wavefront6targetE1EEEvSJ_.uses_vcc, 0
	.set _ZN7rocprim17ROCPRIM_400000_NS6detail17trampoline_kernelINS0_14default_configENS1_38merge_sort_block_merge_config_selectorIssEEZZNS1_27merge_sort_block_merge_implIS3_N6thrust23THRUST_200600_302600_NS6detail15normal_iteratorINS8_10device_ptrIsEEEESD_jNS1_19radix_merge_compareILb0ELb0EsNS0_19identity_decomposerEEEEE10hipError_tT0_T1_T2_jT3_P12ihipStream_tbPNSt15iterator_traitsISI_E10value_typeEPNSO_ISJ_E10value_typeEPSK_NS1_7vsmem_tEENKUlT_SI_SJ_SK_E_clISD_PsSD_S10_EESH_SX_SI_SJ_SK_EUlSX_E1_NS1_11comp_targetILNS1_3genE8ELNS1_11target_archE1030ELNS1_3gpuE2ELNS1_3repE0EEENS1_36merge_oddeven_config_static_selectorELNS0_4arch9wavefront6targetE1EEEvSJ_.uses_flat_scratch, 0
	.set _ZN7rocprim17ROCPRIM_400000_NS6detail17trampoline_kernelINS0_14default_configENS1_38merge_sort_block_merge_config_selectorIssEEZZNS1_27merge_sort_block_merge_implIS3_N6thrust23THRUST_200600_302600_NS6detail15normal_iteratorINS8_10device_ptrIsEEEESD_jNS1_19radix_merge_compareILb0ELb0EsNS0_19identity_decomposerEEEEE10hipError_tT0_T1_T2_jT3_P12ihipStream_tbPNSt15iterator_traitsISI_E10value_typeEPNSO_ISJ_E10value_typeEPSK_NS1_7vsmem_tEENKUlT_SI_SJ_SK_E_clISD_PsSD_S10_EESH_SX_SI_SJ_SK_EUlSX_E1_NS1_11comp_targetILNS1_3genE8ELNS1_11target_archE1030ELNS1_3gpuE2ELNS1_3repE0EEENS1_36merge_oddeven_config_static_selectorELNS0_4arch9wavefront6targetE1EEEvSJ_.has_dyn_sized_stack, 0
	.set _ZN7rocprim17ROCPRIM_400000_NS6detail17trampoline_kernelINS0_14default_configENS1_38merge_sort_block_merge_config_selectorIssEEZZNS1_27merge_sort_block_merge_implIS3_N6thrust23THRUST_200600_302600_NS6detail15normal_iteratorINS8_10device_ptrIsEEEESD_jNS1_19radix_merge_compareILb0ELb0EsNS0_19identity_decomposerEEEEE10hipError_tT0_T1_T2_jT3_P12ihipStream_tbPNSt15iterator_traitsISI_E10value_typeEPNSO_ISJ_E10value_typeEPSK_NS1_7vsmem_tEENKUlT_SI_SJ_SK_E_clISD_PsSD_S10_EESH_SX_SI_SJ_SK_EUlSX_E1_NS1_11comp_targetILNS1_3genE8ELNS1_11target_archE1030ELNS1_3gpuE2ELNS1_3repE0EEENS1_36merge_oddeven_config_static_selectorELNS0_4arch9wavefront6targetE1EEEvSJ_.has_recursion, 0
	.set _ZN7rocprim17ROCPRIM_400000_NS6detail17trampoline_kernelINS0_14default_configENS1_38merge_sort_block_merge_config_selectorIssEEZZNS1_27merge_sort_block_merge_implIS3_N6thrust23THRUST_200600_302600_NS6detail15normal_iteratorINS8_10device_ptrIsEEEESD_jNS1_19radix_merge_compareILb0ELb0EsNS0_19identity_decomposerEEEEE10hipError_tT0_T1_T2_jT3_P12ihipStream_tbPNSt15iterator_traitsISI_E10value_typeEPNSO_ISJ_E10value_typeEPSK_NS1_7vsmem_tEENKUlT_SI_SJ_SK_E_clISD_PsSD_S10_EESH_SX_SI_SJ_SK_EUlSX_E1_NS1_11comp_targetILNS1_3genE8ELNS1_11target_archE1030ELNS1_3gpuE2ELNS1_3repE0EEENS1_36merge_oddeven_config_static_selectorELNS0_4arch9wavefront6targetE1EEEvSJ_.has_indirect_call, 0
	.section	.AMDGPU.csdata,"",@progbits
; Kernel info:
; codeLenInByte = 0
; TotalNumSgprs: 6
; NumVgprs: 0
; NumAgprs: 0
; TotalNumVgprs: 0
; ScratchSize: 0
; MemoryBound: 0
; FloatMode: 240
; IeeeMode: 1
; LDSByteSize: 0 bytes/workgroup (compile time only)
; SGPRBlocks: 0
; VGPRBlocks: 0
; NumSGPRsForWavesPerEU: 6
; NumVGPRsForWavesPerEU: 1
; AccumOffset: 4
; Occupancy: 8
; WaveLimiterHint : 0
; COMPUTE_PGM_RSRC2:SCRATCH_EN: 0
; COMPUTE_PGM_RSRC2:USER_SGPR: 2
; COMPUTE_PGM_RSRC2:TRAP_HANDLER: 0
; COMPUTE_PGM_RSRC2:TGID_X_EN: 1
; COMPUTE_PGM_RSRC2:TGID_Y_EN: 0
; COMPUTE_PGM_RSRC2:TGID_Z_EN: 0
; COMPUTE_PGM_RSRC2:TIDIG_COMP_CNT: 0
; COMPUTE_PGM_RSRC3_GFX90A:ACCUM_OFFSET: 0
; COMPUTE_PGM_RSRC3_GFX90A:TG_SPLIT: 0
	.section	.text._ZN7rocprim17ROCPRIM_400000_NS6detail17trampoline_kernelINS0_14default_configENS1_25transform_config_selectorIsLb0EEEZNS1_14transform_implILb0ES3_S5_PsN6thrust23THRUST_200600_302600_NS6detail15normal_iteratorINS9_10device_ptrIsEEEENS0_8identityIsEEEE10hipError_tT2_T3_mT4_P12ihipStream_tbEUlT_E_NS1_11comp_targetILNS1_3genE0ELNS1_11target_archE4294967295ELNS1_3gpuE0ELNS1_3repE0EEENS1_30default_config_static_selectorELNS0_4arch9wavefront6targetE1EEEvT1_,"axG",@progbits,_ZN7rocprim17ROCPRIM_400000_NS6detail17trampoline_kernelINS0_14default_configENS1_25transform_config_selectorIsLb0EEEZNS1_14transform_implILb0ES3_S5_PsN6thrust23THRUST_200600_302600_NS6detail15normal_iteratorINS9_10device_ptrIsEEEENS0_8identityIsEEEE10hipError_tT2_T3_mT4_P12ihipStream_tbEUlT_E_NS1_11comp_targetILNS1_3genE0ELNS1_11target_archE4294967295ELNS1_3gpuE0ELNS1_3repE0EEENS1_30default_config_static_selectorELNS0_4arch9wavefront6targetE1EEEvT1_,comdat
	.protected	_ZN7rocprim17ROCPRIM_400000_NS6detail17trampoline_kernelINS0_14default_configENS1_25transform_config_selectorIsLb0EEEZNS1_14transform_implILb0ES3_S5_PsN6thrust23THRUST_200600_302600_NS6detail15normal_iteratorINS9_10device_ptrIsEEEENS0_8identityIsEEEE10hipError_tT2_T3_mT4_P12ihipStream_tbEUlT_E_NS1_11comp_targetILNS1_3genE0ELNS1_11target_archE4294967295ELNS1_3gpuE0ELNS1_3repE0EEENS1_30default_config_static_selectorELNS0_4arch9wavefront6targetE1EEEvT1_ ; -- Begin function _ZN7rocprim17ROCPRIM_400000_NS6detail17trampoline_kernelINS0_14default_configENS1_25transform_config_selectorIsLb0EEEZNS1_14transform_implILb0ES3_S5_PsN6thrust23THRUST_200600_302600_NS6detail15normal_iteratorINS9_10device_ptrIsEEEENS0_8identityIsEEEE10hipError_tT2_T3_mT4_P12ihipStream_tbEUlT_E_NS1_11comp_targetILNS1_3genE0ELNS1_11target_archE4294967295ELNS1_3gpuE0ELNS1_3repE0EEENS1_30default_config_static_selectorELNS0_4arch9wavefront6targetE1EEEvT1_
	.globl	_ZN7rocprim17ROCPRIM_400000_NS6detail17trampoline_kernelINS0_14default_configENS1_25transform_config_selectorIsLb0EEEZNS1_14transform_implILb0ES3_S5_PsN6thrust23THRUST_200600_302600_NS6detail15normal_iteratorINS9_10device_ptrIsEEEENS0_8identityIsEEEE10hipError_tT2_T3_mT4_P12ihipStream_tbEUlT_E_NS1_11comp_targetILNS1_3genE0ELNS1_11target_archE4294967295ELNS1_3gpuE0ELNS1_3repE0EEENS1_30default_config_static_selectorELNS0_4arch9wavefront6targetE1EEEvT1_
	.p2align	8
	.type	_ZN7rocprim17ROCPRIM_400000_NS6detail17trampoline_kernelINS0_14default_configENS1_25transform_config_selectorIsLb0EEEZNS1_14transform_implILb0ES3_S5_PsN6thrust23THRUST_200600_302600_NS6detail15normal_iteratorINS9_10device_ptrIsEEEENS0_8identityIsEEEE10hipError_tT2_T3_mT4_P12ihipStream_tbEUlT_E_NS1_11comp_targetILNS1_3genE0ELNS1_11target_archE4294967295ELNS1_3gpuE0ELNS1_3repE0EEENS1_30default_config_static_selectorELNS0_4arch9wavefront6targetE1EEEvT1_,@function
_ZN7rocprim17ROCPRIM_400000_NS6detail17trampoline_kernelINS0_14default_configENS1_25transform_config_selectorIsLb0EEEZNS1_14transform_implILb0ES3_S5_PsN6thrust23THRUST_200600_302600_NS6detail15normal_iteratorINS9_10device_ptrIsEEEENS0_8identityIsEEEE10hipError_tT2_T3_mT4_P12ihipStream_tbEUlT_E_NS1_11comp_targetILNS1_3genE0ELNS1_11target_archE4294967295ELNS1_3gpuE0ELNS1_3repE0EEENS1_30default_config_static_selectorELNS0_4arch9wavefront6targetE1EEEvT1_: ; @_ZN7rocprim17ROCPRIM_400000_NS6detail17trampoline_kernelINS0_14default_configENS1_25transform_config_selectorIsLb0EEEZNS1_14transform_implILb0ES3_S5_PsN6thrust23THRUST_200600_302600_NS6detail15normal_iteratorINS9_10device_ptrIsEEEENS0_8identityIsEEEE10hipError_tT2_T3_mT4_P12ihipStream_tbEUlT_E_NS1_11comp_targetILNS1_3genE0ELNS1_11target_archE4294967295ELNS1_3gpuE0ELNS1_3repE0EEENS1_30default_config_static_selectorELNS0_4arch9wavefront6targetE1EEEvT1_
; %bb.0:
	s_load_dwordx8 s[4:11], s[0:1], 0x0
	s_load_dword s3, s[0:1], 0x28
	v_lshlrev_b32_e32 v4, 1, v0
	s_waitcnt lgkmcnt(0)
	s_lshl_b64 s[0:1], s[6:7], 1
	s_add_u32 s4, s4, s0
	s_addc_u32 s5, s5, s1
	s_add_u32 s9, s10, s0
	s_addc_u32 s16, s11, s1
	s_lshl_b32 s0, s2, 9
	s_mov_b32 s1, 0
	s_add_i32 s3, s3, -1
	s_lshl_b64 s[12:13], s[0:1], 1
	s_add_u32 s14, s4, s12
	s_addc_u32 s15, s5, s13
	s_cmp_lg_u32 s2, s3
	s_cbranch_scc0 .LBB1558_2
; %bb.1:
	global_load_ushort v2, v4, s[14:15]
	global_load_ushort v3, v4, s[14:15] offset:256
	global_load_ushort v8, v4, s[14:15] offset:512
	;; [unrolled: 1-line block ×3, first 2 shown]
	s_add_u32 s4, s9, s12
	v_mov_b32_e32 v5, 0
	s_addc_u32 s5, s16, s13
	v_lshl_add_u64 v[6:7], s[4:5], 0, v[4:5]
	s_mov_b64 s[10:11], -1
	s_waitcnt vmcnt(3)
	flat_store_short v[6:7], v2
	s_waitcnt vmcnt(0)
	flat_store_short v[6:7], v3 offset:256
	flat_store_short v[6:7], v8 offset:512
	s_cbranch_execz .LBB1558_3
	s_branch .LBB1558_17
.LBB1558_2:
	s_mov_b64 s[10:11], 0
                                        ; implicit-def: $vgpr1
                                        ; implicit-def: $vgpr6_vgpr7
.LBB1558_3:
	s_sub_i32 s6, s8, s0
	v_mov_b32_e32 v2, 0
	v_cmp_gt_u32_e32 vcc, s6, v0
	v_mov_b32_e32 v3, v2
	s_and_saveexec_b64 s[0:1], vcc
	s_cbranch_execz .LBB1558_5
; %bb.4:
	global_load_ushort v1, v4, s[14:15]
	v_mov_b32_e32 v7, v2
	s_waitcnt vmcnt(0)
	v_and_b32_e32 v6, 0xffff, v1
	v_mov_b64_e32 v[2:3], v[6:7]
.LBB1558_5:
	s_or_b64 exec, exec, s[0:1]
	v_or_b32_e32 v1, 0x80, v0
	v_cmp_gt_u32_e64 s[0:1], s6, v1
	s_and_saveexec_b64 s[2:3], s[0:1]
	s_cbranch_execz .LBB1558_7
; %bb.6:
	global_load_ushort v1, v4, s[14:15] offset:256
	s_mov_b32 s4, 0x5040100
	s_waitcnt vmcnt(0)
	v_perm_b32 v2, v1, v2, s4
.LBB1558_7:
	s_or_b64 exec, exec, s[2:3]
	v_or_b32_e32 v1, 0x100, v0
	v_cmp_gt_u32_e64 s[2:3], s6, v1
	s_and_saveexec_b64 s[4:5], s[2:3]
	s_cbranch_execz .LBB1558_9
; %bb.8:
	global_load_ushort v1, v4, s[14:15] offset:512
	s_mov_b32 s7, 0xffff
	s_waitcnt vmcnt(0)
	v_bfi_b32 v3, s7, v1, v3
.LBB1558_9:
	s_or_b64 exec, exec, s[4:5]
	v_or_b32_e32 v1, 0x180, v0
	v_cmp_gt_u32_e64 s[4:5], s6, v1
	v_cmp_le_u32_e64 s[6:7], s6, v1
	s_and_saveexec_b64 s[18:19], s[6:7]
	s_xor_b64 s[6:7], exec, s[18:19]
	s_andn2_saveexec_b64 s[6:7], s[6:7]
	s_cbranch_execz .LBB1558_11
; %bb.10:
	v_lshlrev_b32_e32 v1, 1, v0
	global_load_ushort v1, v1, s[14:15] offset:768
	s_mov_b32 s8, 0x5040100
	s_waitcnt vmcnt(0)
	v_perm_b32 v3, v1, v3, s8
.LBB1558_11:
	s_or_b64 exec, exec, s[6:7]
	s_add_u32 s6, s9, s12
	v_mov_b32_e32 v5, 0
	s_addc_u32 s7, s16, s13
	v_lshlrev_b32_e32 v4, 1, v0
	v_cndmask_b32_sdwa v1, v5, v2, vcc dst_sel:DWORD dst_unused:UNUSED_PAD src0_sel:DWORD src1_sel:WORD_0
	v_lshl_add_u64 v[6:7], s[6:7], 0, v[4:5]
	s_and_saveexec_b64 s[6:7], vcc
	s_cbranch_execnz .LBB1558_20
; %bb.12:
	s_or_b64 exec, exec, s[6:7]
	v_cndmask_b32_e64 v0, v1, v2, s[0:1]
	s_and_saveexec_b64 s[6:7], s[0:1]
	s_cbranch_execnz .LBB1558_21
.LBB1558_13:
	s_or_b64 exec, exec, s[6:7]
	s_and_saveexec_b64 s[0:1], s[2:3]
	s_cbranch_execnz .LBB1558_22
.LBB1558_14:
	s_or_b64 exec, exec, s[0:1]
                                        ; implicit-def: $vgpr1
	s_and_saveexec_b64 s[0:1], s[4:5]
.LBB1558_15:
	v_cndmask_b32_e64 v0, 0, v3, s[4:5]
	v_lshrrev_b32_e32 v1, 16, v0
	s_or_b64 s[10:11], s[10:11], exec
.LBB1558_16:
	s_or_b64 exec, exec, s[0:1]
.LBB1558_17:
	s_and_saveexec_b64 s[0:1], s[10:11]
	s_cbranch_execnz .LBB1558_19
; %bb.18:
	s_endpgm
.LBB1558_19:
	flat_store_short v[6:7], v1 offset:768
	s_endpgm
.LBB1558_20:
	flat_store_short v[6:7], v1
	s_or_b64 exec, exec, s[6:7]
	v_cndmask_b32_e64 v0, v1, v2, s[0:1]
	s_and_saveexec_b64 s[6:7], s[0:1]
	s_cbranch_execz .LBB1558_13
.LBB1558_21:
	flat_store_short_d16_hi v[6:7], v0 offset:256
	s_or_b64 exec, exec, s[6:7]
	s_and_saveexec_b64 s[0:1], s[2:3]
	s_cbranch_execz .LBB1558_14
.LBB1558_22:
	v_cndmask_b32_e64 v0, 0, v3, s[2:3]
	flat_store_short v[6:7], v0 offset:512
	s_or_b64 exec, exec, s[0:1]
                                        ; implicit-def: $vgpr1
	s_and_saveexec_b64 s[0:1], s[4:5]
	s_cbranch_execnz .LBB1558_15
	s_branch .LBB1558_16
	.section	.rodata,"a",@progbits
	.p2align	6, 0x0
	.amdhsa_kernel _ZN7rocprim17ROCPRIM_400000_NS6detail17trampoline_kernelINS0_14default_configENS1_25transform_config_selectorIsLb0EEEZNS1_14transform_implILb0ES3_S5_PsN6thrust23THRUST_200600_302600_NS6detail15normal_iteratorINS9_10device_ptrIsEEEENS0_8identityIsEEEE10hipError_tT2_T3_mT4_P12ihipStream_tbEUlT_E_NS1_11comp_targetILNS1_3genE0ELNS1_11target_archE4294967295ELNS1_3gpuE0ELNS1_3repE0EEENS1_30default_config_static_selectorELNS0_4arch9wavefront6targetE1EEEvT1_
		.amdhsa_group_segment_fixed_size 0
		.amdhsa_private_segment_fixed_size 0
		.amdhsa_kernarg_size 296
		.amdhsa_user_sgpr_count 2
		.amdhsa_user_sgpr_dispatch_ptr 0
		.amdhsa_user_sgpr_queue_ptr 0
		.amdhsa_user_sgpr_kernarg_segment_ptr 1
		.amdhsa_user_sgpr_dispatch_id 0
		.amdhsa_user_sgpr_kernarg_preload_length 0
		.amdhsa_user_sgpr_kernarg_preload_offset 0
		.amdhsa_user_sgpr_private_segment_size 0
		.amdhsa_uses_dynamic_stack 0
		.amdhsa_enable_private_segment 0
		.amdhsa_system_sgpr_workgroup_id_x 1
		.amdhsa_system_sgpr_workgroup_id_y 0
		.amdhsa_system_sgpr_workgroup_id_z 0
		.amdhsa_system_sgpr_workgroup_info 0
		.amdhsa_system_vgpr_workitem_id 0
		.amdhsa_next_free_vgpr 9
		.amdhsa_next_free_sgpr 20
		.amdhsa_accum_offset 12
		.amdhsa_reserve_vcc 1
		.amdhsa_float_round_mode_32 0
		.amdhsa_float_round_mode_16_64 0
		.amdhsa_float_denorm_mode_32 3
		.amdhsa_float_denorm_mode_16_64 3
		.amdhsa_dx10_clamp 1
		.amdhsa_ieee_mode 1
		.amdhsa_fp16_overflow 0
		.amdhsa_tg_split 0
		.amdhsa_exception_fp_ieee_invalid_op 0
		.amdhsa_exception_fp_denorm_src 0
		.amdhsa_exception_fp_ieee_div_zero 0
		.amdhsa_exception_fp_ieee_overflow 0
		.amdhsa_exception_fp_ieee_underflow 0
		.amdhsa_exception_fp_ieee_inexact 0
		.amdhsa_exception_int_div_zero 0
	.end_amdhsa_kernel
	.section	.text._ZN7rocprim17ROCPRIM_400000_NS6detail17trampoline_kernelINS0_14default_configENS1_25transform_config_selectorIsLb0EEEZNS1_14transform_implILb0ES3_S5_PsN6thrust23THRUST_200600_302600_NS6detail15normal_iteratorINS9_10device_ptrIsEEEENS0_8identityIsEEEE10hipError_tT2_T3_mT4_P12ihipStream_tbEUlT_E_NS1_11comp_targetILNS1_3genE0ELNS1_11target_archE4294967295ELNS1_3gpuE0ELNS1_3repE0EEENS1_30default_config_static_selectorELNS0_4arch9wavefront6targetE1EEEvT1_,"axG",@progbits,_ZN7rocprim17ROCPRIM_400000_NS6detail17trampoline_kernelINS0_14default_configENS1_25transform_config_selectorIsLb0EEEZNS1_14transform_implILb0ES3_S5_PsN6thrust23THRUST_200600_302600_NS6detail15normal_iteratorINS9_10device_ptrIsEEEENS0_8identityIsEEEE10hipError_tT2_T3_mT4_P12ihipStream_tbEUlT_E_NS1_11comp_targetILNS1_3genE0ELNS1_11target_archE4294967295ELNS1_3gpuE0ELNS1_3repE0EEENS1_30default_config_static_selectorELNS0_4arch9wavefront6targetE1EEEvT1_,comdat
.Lfunc_end1558:
	.size	_ZN7rocprim17ROCPRIM_400000_NS6detail17trampoline_kernelINS0_14default_configENS1_25transform_config_selectorIsLb0EEEZNS1_14transform_implILb0ES3_S5_PsN6thrust23THRUST_200600_302600_NS6detail15normal_iteratorINS9_10device_ptrIsEEEENS0_8identityIsEEEE10hipError_tT2_T3_mT4_P12ihipStream_tbEUlT_E_NS1_11comp_targetILNS1_3genE0ELNS1_11target_archE4294967295ELNS1_3gpuE0ELNS1_3repE0EEENS1_30default_config_static_selectorELNS0_4arch9wavefront6targetE1EEEvT1_, .Lfunc_end1558-_ZN7rocprim17ROCPRIM_400000_NS6detail17trampoline_kernelINS0_14default_configENS1_25transform_config_selectorIsLb0EEEZNS1_14transform_implILb0ES3_S5_PsN6thrust23THRUST_200600_302600_NS6detail15normal_iteratorINS9_10device_ptrIsEEEENS0_8identityIsEEEE10hipError_tT2_T3_mT4_P12ihipStream_tbEUlT_E_NS1_11comp_targetILNS1_3genE0ELNS1_11target_archE4294967295ELNS1_3gpuE0ELNS1_3repE0EEENS1_30default_config_static_selectorELNS0_4arch9wavefront6targetE1EEEvT1_
                                        ; -- End function
	.set _ZN7rocprim17ROCPRIM_400000_NS6detail17trampoline_kernelINS0_14default_configENS1_25transform_config_selectorIsLb0EEEZNS1_14transform_implILb0ES3_S5_PsN6thrust23THRUST_200600_302600_NS6detail15normal_iteratorINS9_10device_ptrIsEEEENS0_8identityIsEEEE10hipError_tT2_T3_mT4_P12ihipStream_tbEUlT_E_NS1_11comp_targetILNS1_3genE0ELNS1_11target_archE4294967295ELNS1_3gpuE0ELNS1_3repE0EEENS1_30default_config_static_selectorELNS0_4arch9wavefront6targetE1EEEvT1_.num_vgpr, 9
	.set _ZN7rocprim17ROCPRIM_400000_NS6detail17trampoline_kernelINS0_14default_configENS1_25transform_config_selectorIsLb0EEEZNS1_14transform_implILb0ES3_S5_PsN6thrust23THRUST_200600_302600_NS6detail15normal_iteratorINS9_10device_ptrIsEEEENS0_8identityIsEEEE10hipError_tT2_T3_mT4_P12ihipStream_tbEUlT_E_NS1_11comp_targetILNS1_3genE0ELNS1_11target_archE4294967295ELNS1_3gpuE0ELNS1_3repE0EEENS1_30default_config_static_selectorELNS0_4arch9wavefront6targetE1EEEvT1_.num_agpr, 0
	.set _ZN7rocprim17ROCPRIM_400000_NS6detail17trampoline_kernelINS0_14default_configENS1_25transform_config_selectorIsLb0EEEZNS1_14transform_implILb0ES3_S5_PsN6thrust23THRUST_200600_302600_NS6detail15normal_iteratorINS9_10device_ptrIsEEEENS0_8identityIsEEEE10hipError_tT2_T3_mT4_P12ihipStream_tbEUlT_E_NS1_11comp_targetILNS1_3genE0ELNS1_11target_archE4294967295ELNS1_3gpuE0ELNS1_3repE0EEENS1_30default_config_static_selectorELNS0_4arch9wavefront6targetE1EEEvT1_.numbered_sgpr, 20
	.set _ZN7rocprim17ROCPRIM_400000_NS6detail17trampoline_kernelINS0_14default_configENS1_25transform_config_selectorIsLb0EEEZNS1_14transform_implILb0ES3_S5_PsN6thrust23THRUST_200600_302600_NS6detail15normal_iteratorINS9_10device_ptrIsEEEENS0_8identityIsEEEE10hipError_tT2_T3_mT4_P12ihipStream_tbEUlT_E_NS1_11comp_targetILNS1_3genE0ELNS1_11target_archE4294967295ELNS1_3gpuE0ELNS1_3repE0EEENS1_30default_config_static_selectorELNS0_4arch9wavefront6targetE1EEEvT1_.num_named_barrier, 0
	.set _ZN7rocprim17ROCPRIM_400000_NS6detail17trampoline_kernelINS0_14default_configENS1_25transform_config_selectorIsLb0EEEZNS1_14transform_implILb0ES3_S5_PsN6thrust23THRUST_200600_302600_NS6detail15normal_iteratorINS9_10device_ptrIsEEEENS0_8identityIsEEEE10hipError_tT2_T3_mT4_P12ihipStream_tbEUlT_E_NS1_11comp_targetILNS1_3genE0ELNS1_11target_archE4294967295ELNS1_3gpuE0ELNS1_3repE0EEENS1_30default_config_static_selectorELNS0_4arch9wavefront6targetE1EEEvT1_.private_seg_size, 0
	.set _ZN7rocprim17ROCPRIM_400000_NS6detail17trampoline_kernelINS0_14default_configENS1_25transform_config_selectorIsLb0EEEZNS1_14transform_implILb0ES3_S5_PsN6thrust23THRUST_200600_302600_NS6detail15normal_iteratorINS9_10device_ptrIsEEEENS0_8identityIsEEEE10hipError_tT2_T3_mT4_P12ihipStream_tbEUlT_E_NS1_11comp_targetILNS1_3genE0ELNS1_11target_archE4294967295ELNS1_3gpuE0ELNS1_3repE0EEENS1_30default_config_static_selectorELNS0_4arch9wavefront6targetE1EEEvT1_.uses_vcc, 1
	.set _ZN7rocprim17ROCPRIM_400000_NS6detail17trampoline_kernelINS0_14default_configENS1_25transform_config_selectorIsLb0EEEZNS1_14transform_implILb0ES3_S5_PsN6thrust23THRUST_200600_302600_NS6detail15normal_iteratorINS9_10device_ptrIsEEEENS0_8identityIsEEEE10hipError_tT2_T3_mT4_P12ihipStream_tbEUlT_E_NS1_11comp_targetILNS1_3genE0ELNS1_11target_archE4294967295ELNS1_3gpuE0ELNS1_3repE0EEENS1_30default_config_static_selectorELNS0_4arch9wavefront6targetE1EEEvT1_.uses_flat_scratch, 0
	.set _ZN7rocprim17ROCPRIM_400000_NS6detail17trampoline_kernelINS0_14default_configENS1_25transform_config_selectorIsLb0EEEZNS1_14transform_implILb0ES3_S5_PsN6thrust23THRUST_200600_302600_NS6detail15normal_iteratorINS9_10device_ptrIsEEEENS0_8identityIsEEEE10hipError_tT2_T3_mT4_P12ihipStream_tbEUlT_E_NS1_11comp_targetILNS1_3genE0ELNS1_11target_archE4294967295ELNS1_3gpuE0ELNS1_3repE0EEENS1_30default_config_static_selectorELNS0_4arch9wavefront6targetE1EEEvT1_.has_dyn_sized_stack, 0
	.set _ZN7rocprim17ROCPRIM_400000_NS6detail17trampoline_kernelINS0_14default_configENS1_25transform_config_selectorIsLb0EEEZNS1_14transform_implILb0ES3_S5_PsN6thrust23THRUST_200600_302600_NS6detail15normal_iteratorINS9_10device_ptrIsEEEENS0_8identityIsEEEE10hipError_tT2_T3_mT4_P12ihipStream_tbEUlT_E_NS1_11comp_targetILNS1_3genE0ELNS1_11target_archE4294967295ELNS1_3gpuE0ELNS1_3repE0EEENS1_30default_config_static_selectorELNS0_4arch9wavefront6targetE1EEEvT1_.has_recursion, 0
	.set _ZN7rocprim17ROCPRIM_400000_NS6detail17trampoline_kernelINS0_14default_configENS1_25transform_config_selectorIsLb0EEEZNS1_14transform_implILb0ES3_S5_PsN6thrust23THRUST_200600_302600_NS6detail15normal_iteratorINS9_10device_ptrIsEEEENS0_8identityIsEEEE10hipError_tT2_T3_mT4_P12ihipStream_tbEUlT_E_NS1_11comp_targetILNS1_3genE0ELNS1_11target_archE4294967295ELNS1_3gpuE0ELNS1_3repE0EEENS1_30default_config_static_selectorELNS0_4arch9wavefront6targetE1EEEvT1_.has_indirect_call, 0
	.section	.AMDGPU.csdata,"",@progbits
; Kernel info:
; codeLenInByte = 624
; TotalNumSgprs: 26
; NumVgprs: 9
; NumAgprs: 0
; TotalNumVgprs: 9
; ScratchSize: 0
; MemoryBound: 0
; FloatMode: 240
; IeeeMode: 1
; LDSByteSize: 0 bytes/workgroup (compile time only)
; SGPRBlocks: 3
; VGPRBlocks: 1
; NumSGPRsForWavesPerEU: 26
; NumVGPRsForWavesPerEU: 9
; AccumOffset: 12
; Occupancy: 8
; WaveLimiterHint : 1
; COMPUTE_PGM_RSRC2:SCRATCH_EN: 0
; COMPUTE_PGM_RSRC2:USER_SGPR: 2
; COMPUTE_PGM_RSRC2:TRAP_HANDLER: 0
; COMPUTE_PGM_RSRC2:TGID_X_EN: 1
; COMPUTE_PGM_RSRC2:TGID_Y_EN: 0
; COMPUTE_PGM_RSRC2:TGID_Z_EN: 0
; COMPUTE_PGM_RSRC2:TIDIG_COMP_CNT: 0
; COMPUTE_PGM_RSRC3_GFX90A:ACCUM_OFFSET: 2
; COMPUTE_PGM_RSRC3_GFX90A:TG_SPLIT: 0
	.section	.text._ZN7rocprim17ROCPRIM_400000_NS6detail17trampoline_kernelINS0_14default_configENS1_25transform_config_selectorIsLb0EEEZNS1_14transform_implILb0ES3_S5_PsN6thrust23THRUST_200600_302600_NS6detail15normal_iteratorINS9_10device_ptrIsEEEENS0_8identityIsEEEE10hipError_tT2_T3_mT4_P12ihipStream_tbEUlT_E_NS1_11comp_targetILNS1_3genE5ELNS1_11target_archE942ELNS1_3gpuE9ELNS1_3repE0EEENS1_30default_config_static_selectorELNS0_4arch9wavefront6targetE1EEEvT1_,"axG",@progbits,_ZN7rocprim17ROCPRIM_400000_NS6detail17trampoline_kernelINS0_14default_configENS1_25transform_config_selectorIsLb0EEEZNS1_14transform_implILb0ES3_S5_PsN6thrust23THRUST_200600_302600_NS6detail15normal_iteratorINS9_10device_ptrIsEEEENS0_8identityIsEEEE10hipError_tT2_T3_mT4_P12ihipStream_tbEUlT_E_NS1_11comp_targetILNS1_3genE5ELNS1_11target_archE942ELNS1_3gpuE9ELNS1_3repE0EEENS1_30default_config_static_selectorELNS0_4arch9wavefront6targetE1EEEvT1_,comdat
	.protected	_ZN7rocprim17ROCPRIM_400000_NS6detail17trampoline_kernelINS0_14default_configENS1_25transform_config_selectorIsLb0EEEZNS1_14transform_implILb0ES3_S5_PsN6thrust23THRUST_200600_302600_NS6detail15normal_iteratorINS9_10device_ptrIsEEEENS0_8identityIsEEEE10hipError_tT2_T3_mT4_P12ihipStream_tbEUlT_E_NS1_11comp_targetILNS1_3genE5ELNS1_11target_archE942ELNS1_3gpuE9ELNS1_3repE0EEENS1_30default_config_static_selectorELNS0_4arch9wavefront6targetE1EEEvT1_ ; -- Begin function _ZN7rocprim17ROCPRIM_400000_NS6detail17trampoline_kernelINS0_14default_configENS1_25transform_config_selectorIsLb0EEEZNS1_14transform_implILb0ES3_S5_PsN6thrust23THRUST_200600_302600_NS6detail15normal_iteratorINS9_10device_ptrIsEEEENS0_8identityIsEEEE10hipError_tT2_T3_mT4_P12ihipStream_tbEUlT_E_NS1_11comp_targetILNS1_3genE5ELNS1_11target_archE942ELNS1_3gpuE9ELNS1_3repE0EEENS1_30default_config_static_selectorELNS0_4arch9wavefront6targetE1EEEvT1_
	.globl	_ZN7rocprim17ROCPRIM_400000_NS6detail17trampoline_kernelINS0_14default_configENS1_25transform_config_selectorIsLb0EEEZNS1_14transform_implILb0ES3_S5_PsN6thrust23THRUST_200600_302600_NS6detail15normal_iteratorINS9_10device_ptrIsEEEENS0_8identityIsEEEE10hipError_tT2_T3_mT4_P12ihipStream_tbEUlT_E_NS1_11comp_targetILNS1_3genE5ELNS1_11target_archE942ELNS1_3gpuE9ELNS1_3repE0EEENS1_30default_config_static_selectorELNS0_4arch9wavefront6targetE1EEEvT1_
	.p2align	8
	.type	_ZN7rocprim17ROCPRIM_400000_NS6detail17trampoline_kernelINS0_14default_configENS1_25transform_config_selectorIsLb0EEEZNS1_14transform_implILb0ES3_S5_PsN6thrust23THRUST_200600_302600_NS6detail15normal_iteratorINS9_10device_ptrIsEEEENS0_8identityIsEEEE10hipError_tT2_T3_mT4_P12ihipStream_tbEUlT_E_NS1_11comp_targetILNS1_3genE5ELNS1_11target_archE942ELNS1_3gpuE9ELNS1_3repE0EEENS1_30default_config_static_selectorELNS0_4arch9wavefront6targetE1EEEvT1_,@function
_ZN7rocprim17ROCPRIM_400000_NS6detail17trampoline_kernelINS0_14default_configENS1_25transform_config_selectorIsLb0EEEZNS1_14transform_implILb0ES3_S5_PsN6thrust23THRUST_200600_302600_NS6detail15normal_iteratorINS9_10device_ptrIsEEEENS0_8identityIsEEEE10hipError_tT2_T3_mT4_P12ihipStream_tbEUlT_E_NS1_11comp_targetILNS1_3genE5ELNS1_11target_archE942ELNS1_3gpuE9ELNS1_3repE0EEENS1_30default_config_static_selectorELNS0_4arch9wavefront6targetE1EEEvT1_: ; @_ZN7rocprim17ROCPRIM_400000_NS6detail17trampoline_kernelINS0_14default_configENS1_25transform_config_selectorIsLb0EEEZNS1_14transform_implILb0ES3_S5_PsN6thrust23THRUST_200600_302600_NS6detail15normal_iteratorINS9_10device_ptrIsEEEENS0_8identityIsEEEE10hipError_tT2_T3_mT4_P12ihipStream_tbEUlT_E_NS1_11comp_targetILNS1_3genE5ELNS1_11target_archE942ELNS1_3gpuE9ELNS1_3repE0EEENS1_30default_config_static_selectorELNS0_4arch9wavefront6targetE1EEEvT1_
; %bb.0:
	.section	.rodata,"a",@progbits
	.p2align	6, 0x0
	.amdhsa_kernel _ZN7rocprim17ROCPRIM_400000_NS6detail17trampoline_kernelINS0_14default_configENS1_25transform_config_selectorIsLb0EEEZNS1_14transform_implILb0ES3_S5_PsN6thrust23THRUST_200600_302600_NS6detail15normal_iteratorINS9_10device_ptrIsEEEENS0_8identityIsEEEE10hipError_tT2_T3_mT4_P12ihipStream_tbEUlT_E_NS1_11comp_targetILNS1_3genE5ELNS1_11target_archE942ELNS1_3gpuE9ELNS1_3repE0EEENS1_30default_config_static_selectorELNS0_4arch9wavefront6targetE1EEEvT1_
		.amdhsa_group_segment_fixed_size 0
		.amdhsa_private_segment_fixed_size 0
		.amdhsa_kernarg_size 40
		.amdhsa_user_sgpr_count 2
		.amdhsa_user_sgpr_dispatch_ptr 0
		.amdhsa_user_sgpr_queue_ptr 0
		.amdhsa_user_sgpr_kernarg_segment_ptr 1
		.amdhsa_user_sgpr_dispatch_id 0
		.amdhsa_user_sgpr_kernarg_preload_length 0
		.amdhsa_user_sgpr_kernarg_preload_offset 0
		.amdhsa_user_sgpr_private_segment_size 0
		.amdhsa_uses_dynamic_stack 0
		.amdhsa_enable_private_segment 0
		.amdhsa_system_sgpr_workgroup_id_x 1
		.amdhsa_system_sgpr_workgroup_id_y 0
		.amdhsa_system_sgpr_workgroup_id_z 0
		.amdhsa_system_sgpr_workgroup_info 0
		.amdhsa_system_vgpr_workitem_id 0
		.amdhsa_next_free_vgpr 1
		.amdhsa_next_free_sgpr 0
		.amdhsa_accum_offset 4
		.amdhsa_reserve_vcc 0
		.amdhsa_float_round_mode_32 0
		.amdhsa_float_round_mode_16_64 0
		.amdhsa_float_denorm_mode_32 3
		.amdhsa_float_denorm_mode_16_64 3
		.amdhsa_dx10_clamp 1
		.amdhsa_ieee_mode 1
		.amdhsa_fp16_overflow 0
		.amdhsa_tg_split 0
		.amdhsa_exception_fp_ieee_invalid_op 0
		.amdhsa_exception_fp_denorm_src 0
		.amdhsa_exception_fp_ieee_div_zero 0
		.amdhsa_exception_fp_ieee_overflow 0
		.amdhsa_exception_fp_ieee_underflow 0
		.amdhsa_exception_fp_ieee_inexact 0
		.amdhsa_exception_int_div_zero 0
	.end_amdhsa_kernel
	.section	.text._ZN7rocprim17ROCPRIM_400000_NS6detail17trampoline_kernelINS0_14default_configENS1_25transform_config_selectorIsLb0EEEZNS1_14transform_implILb0ES3_S5_PsN6thrust23THRUST_200600_302600_NS6detail15normal_iteratorINS9_10device_ptrIsEEEENS0_8identityIsEEEE10hipError_tT2_T3_mT4_P12ihipStream_tbEUlT_E_NS1_11comp_targetILNS1_3genE5ELNS1_11target_archE942ELNS1_3gpuE9ELNS1_3repE0EEENS1_30default_config_static_selectorELNS0_4arch9wavefront6targetE1EEEvT1_,"axG",@progbits,_ZN7rocprim17ROCPRIM_400000_NS6detail17trampoline_kernelINS0_14default_configENS1_25transform_config_selectorIsLb0EEEZNS1_14transform_implILb0ES3_S5_PsN6thrust23THRUST_200600_302600_NS6detail15normal_iteratorINS9_10device_ptrIsEEEENS0_8identityIsEEEE10hipError_tT2_T3_mT4_P12ihipStream_tbEUlT_E_NS1_11comp_targetILNS1_3genE5ELNS1_11target_archE942ELNS1_3gpuE9ELNS1_3repE0EEENS1_30default_config_static_selectorELNS0_4arch9wavefront6targetE1EEEvT1_,comdat
.Lfunc_end1559:
	.size	_ZN7rocprim17ROCPRIM_400000_NS6detail17trampoline_kernelINS0_14default_configENS1_25transform_config_selectorIsLb0EEEZNS1_14transform_implILb0ES3_S5_PsN6thrust23THRUST_200600_302600_NS6detail15normal_iteratorINS9_10device_ptrIsEEEENS0_8identityIsEEEE10hipError_tT2_T3_mT4_P12ihipStream_tbEUlT_E_NS1_11comp_targetILNS1_3genE5ELNS1_11target_archE942ELNS1_3gpuE9ELNS1_3repE0EEENS1_30default_config_static_selectorELNS0_4arch9wavefront6targetE1EEEvT1_, .Lfunc_end1559-_ZN7rocprim17ROCPRIM_400000_NS6detail17trampoline_kernelINS0_14default_configENS1_25transform_config_selectorIsLb0EEEZNS1_14transform_implILb0ES3_S5_PsN6thrust23THRUST_200600_302600_NS6detail15normal_iteratorINS9_10device_ptrIsEEEENS0_8identityIsEEEE10hipError_tT2_T3_mT4_P12ihipStream_tbEUlT_E_NS1_11comp_targetILNS1_3genE5ELNS1_11target_archE942ELNS1_3gpuE9ELNS1_3repE0EEENS1_30default_config_static_selectorELNS0_4arch9wavefront6targetE1EEEvT1_
                                        ; -- End function
	.set _ZN7rocprim17ROCPRIM_400000_NS6detail17trampoline_kernelINS0_14default_configENS1_25transform_config_selectorIsLb0EEEZNS1_14transform_implILb0ES3_S5_PsN6thrust23THRUST_200600_302600_NS6detail15normal_iteratorINS9_10device_ptrIsEEEENS0_8identityIsEEEE10hipError_tT2_T3_mT4_P12ihipStream_tbEUlT_E_NS1_11comp_targetILNS1_3genE5ELNS1_11target_archE942ELNS1_3gpuE9ELNS1_3repE0EEENS1_30default_config_static_selectorELNS0_4arch9wavefront6targetE1EEEvT1_.num_vgpr, 0
	.set _ZN7rocprim17ROCPRIM_400000_NS6detail17trampoline_kernelINS0_14default_configENS1_25transform_config_selectorIsLb0EEEZNS1_14transform_implILb0ES3_S5_PsN6thrust23THRUST_200600_302600_NS6detail15normal_iteratorINS9_10device_ptrIsEEEENS0_8identityIsEEEE10hipError_tT2_T3_mT4_P12ihipStream_tbEUlT_E_NS1_11comp_targetILNS1_3genE5ELNS1_11target_archE942ELNS1_3gpuE9ELNS1_3repE0EEENS1_30default_config_static_selectorELNS0_4arch9wavefront6targetE1EEEvT1_.num_agpr, 0
	.set _ZN7rocprim17ROCPRIM_400000_NS6detail17trampoline_kernelINS0_14default_configENS1_25transform_config_selectorIsLb0EEEZNS1_14transform_implILb0ES3_S5_PsN6thrust23THRUST_200600_302600_NS6detail15normal_iteratorINS9_10device_ptrIsEEEENS0_8identityIsEEEE10hipError_tT2_T3_mT4_P12ihipStream_tbEUlT_E_NS1_11comp_targetILNS1_3genE5ELNS1_11target_archE942ELNS1_3gpuE9ELNS1_3repE0EEENS1_30default_config_static_selectorELNS0_4arch9wavefront6targetE1EEEvT1_.numbered_sgpr, 0
	.set _ZN7rocprim17ROCPRIM_400000_NS6detail17trampoline_kernelINS0_14default_configENS1_25transform_config_selectorIsLb0EEEZNS1_14transform_implILb0ES3_S5_PsN6thrust23THRUST_200600_302600_NS6detail15normal_iteratorINS9_10device_ptrIsEEEENS0_8identityIsEEEE10hipError_tT2_T3_mT4_P12ihipStream_tbEUlT_E_NS1_11comp_targetILNS1_3genE5ELNS1_11target_archE942ELNS1_3gpuE9ELNS1_3repE0EEENS1_30default_config_static_selectorELNS0_4arch9wavefront6targetE1EEEvT1_.num_named_barrier, 0
	.set _ZN7rocprim17ROCPRIM_400000_NS6detail17trampoline_kernelINS0_14default_configENS1_25transform_config_selectorIsLb0EEEZNS1_14transform_implILb0ES3_S5_PsN6thrust23THRUST_200600_302600_NS6detail15normal_iteratorINS9_10device_ptrIsEEEENS0_8identityIsEEEE10hipError_tT2_T3_mT4_P12ihipStream_tbEUlT_E_NS1_11comp_targetILNS1_3genE5ELNS1_11target_archE942ELNS1_3gpuE9ELNS1_3repE0EEENS1_30default_config_static_selectorELNS0_4arch9wavefront6targetE1EEEvT1_.private_seg_size, 0
	.set _ZN7rocprim17ROCPRIM_400000_NS6detail17trampoline_kernelINS0_14default_configENS1_25transform_config_selectorIsLb0EEEZNS1_14transform_implILb0ES3_S5_PsN6thrust23THRUST_200600_302600_NS6detail15normal_iteratorINS9_10device_ptrIsEEEENS0_8identityIsEEEE10hipError_tT2_T3_mT4_P12ihipStream_tbEUlT_E_NS1_11comp_targetILNS1_3genE5ELNS1_11target_archE942ELNS1_3gpuE9ELNS1_3repE0EEENS1_30default_config_static_selectorELNS0_4arch9wavefront6targetE1EEEvT1_.uses_vcc, 0
	.set _ZN7rocprim17ROCPRIM_400000_NS6detail17trampoline_kernelINS0_14default_configENS1_25transform_config_selectorIsLb0EEEZNS1_14transform_implILb0ES3_S5_PsN6thrust23THRUST_200600_302600_NS6detail15normal_iteratorINS9_10device_ptrIsEEEENS0_8identityIsEEEE10hipError_tT2_T3_mT4_P12ihipStream_tbEUlT_E_NS1_11comp_targetILNS1_3genE5ELNS1_11target_archE942ELNS1_3gpuE9ELNS1_3repE0EEENS1_30default_config_static_selectorELNS0_4arch9wavefront6targetE1EEEvT1_.uses_flat_scratch, 0
	.set _ZN7rocprim17ROCPRIM_400000_NS6detail17trampoline_kernelINS0_14default_configENS1_25transform_config_selectorIsLb0EEEZNS1_14transform_implILb0ES3_S5_PsN6thrust23THRUST_200600_302600_NS6detail15normal_iteratorINS9_10device_ptrIsEEEENS0_8identityIsEEEE10hipError_tT2_T3_mT4_P12ihipStream_tbEUlT_E_NS1_11comp_targetILNS1_3genE5ELNS1_11target_archE942ELNS1_3gpuE9ELNS1_3repE0EEENS1_30default_config_static_selectorELNS0_4arch9wavefront6targetE1EEEvT1_.has_dyn_sized_stack, 0
	.set _ZN7rocprim17ROCPRIM_400000_NS6detail17trampoline_kernelINS0_14default_configENS1_25transform_config_selectorIsLb0EEEZNS1_14transform_implILb0ES3_S5_PsN6thrust23THRUST_200600_302600_NS6detail15normal_iteratorINS9_10device_ptrIsEEEENS0_8identityIsEEEE10hipError_tT2_T3_mT4_P12ihipStream_tbEUlT_E_NS1_11comp_targetILNS1_3genE5ELNS1_11target_archE942ELNS1_3gpuE9ELNS1_3repE0EEENS1_30default_config_static_selectorELNS0_4arch9wavefront6targetE1EEEvT1_.has_recursion, 0
	.set _ZN7rocprim17ROCPRIM_400000_NS6detail17trampoline_kernelINS0_14default_configENS1_25transform_config_selectorIsLb0EEEZNS1_14transform_implILb0ES3_S5_PsN6thrust23THRUST_200600_302600_NS6detail15normal_iteratorINS9_10device_ptrIsEEEENS0_8identityIsEEEE10hipError_tT2_T3_mT4_P12ihipStream_tbEUlT_E_NS1_11comp_targetILNS1_3genE5ELNS1_11target_archE942ELNS1_3gpuE9ELNS1_3repE0EEENS1_30default_config_static_selectorELNS0_4arch9wavefront6targetE1EEEvT1_.has_indirect_call, 0
	.section	.AMDGPU.csdata,"",@progbits
; Kernel info:
; codeLenInByte = 0
; TotalNumSgprs: 6
; NumVgprs: 0
; NumAgprs: 0
; TotalNumVgprs: 0
; ScratchSize: 0
; MemoryBound: 0
; FloatMode: 240
; IeeeMode: 1
; LDSByteSize: 0 bytes/workgroup (compile time only)
; SGPRBlocks: 0
; VGPRBlocks: 0
; NumSGPRsForWavesPerEU: 6
; NumVGPRsForWavesPerEU: 1
; AccumOffset: 4
; Occupancy: 8
; WaveLimiterHint : 0
; COMPUTE_PGM_RSRC2:SCRATCH_EN: 0
; COMPUTE_PGM_RSRC2:USER_SGPR: 2
; COMPUTE_PGM_RSRC2:TRAP_HANDLER: 0
; COMPUTE_PGM_RSRC2:TGID_X_EN: 1
; COMPUTE_PGM_RSRC2:TGID_Y_EN: 0
; COMPUTE_PGM_RSRC2:TGID_Z_EN: 0
; COMPUTE_PGM_RSRC2:TIDIG_COMP_CNT: 0
; COMPUTE_PGM_RSRC3_GFX90A:ACCUM_OFFSET: 0
; COMPUTE_PGM_RSRC3_GFX90A:TG_SPLIT: 0
	.section	.text._ZN7rocprim17ROCPRIM_400000_NS6detail17trampoline_kernelINS0_14default_configENS1_25transform_config_selectorIsLb0EEEZNS1_14transform_implILb0ES3_S5_PsN6thrust23THRUST_200600_302600_NS6detail15normal_iteratorINS9_10device_ptrIsEEEENS0_8identityIsEEEE10hipError_tT2_T3_mT4_P12ihipStream_tbEUlT_E_NS1_11comp_targetILNS1_3genE4ELNS1_11target_archE910ELNS1_3gpuE8ELNS1_3repE0EEENS1_30default_config_static_selectorELNS0_4arch9wavefront6targetE1EEEvT1_,"axG",@progbits,_ZN7rocprim17ROCPRIM_400000_NS6detail17trampoline_kernelINS0_14default_configENS1_25transform_config_selectorIsLb0EEEZNS1_14transform_implILb0ES3_S5_PsN6thrust23THRUST_200600_302600_NS6detail15normal_iteratorINS9_10device_ptrIsEEEENS0_8identityIsEEEE10hipError_tT2_T3_mT4_P12ihipStream_tbEUlT_E_NS1_11comp_targetILNS1_3genE4ELNS1_11target_archE910ELNS1_3gpuE8ELNS1_3repE0EEENS1_30default_config_static_selectorELNS0_4arch9wavefront6targetE1EEEvT1_,comdat
	.protected	_ZN7rocprim17ROCPRIM_400000_NS6detail17trampoline_kernelINS0_14default_configENS1_25transform_config_selectorIsLb0EEEZNS1_14transform_implILb0ES3_S5_PsN6thrust23THRUST_200600_302600_NS6detail15normal_iteratorINS9_10device_ptrIsEEEENS0_8identityIsEEEE10hipError_tT2_T3_mT4_P12ihipStream_tbEUlT_E_NS1_11comp_targetILNS1_3genE4ELNS1_11target_archE910ELNS1_3gpuE8ELNS1_3repE0EEENS1_30default_config_static_selectorELNS0_4arch9wavefront6targetE1EEEvT1_ ; -- Begin function _ZN7rocprim17ROCPRIM_400000_NS6detail17trampoline_kernelINS0_14default_configENS1_25transform_config_selectorIsLb0EEEZNS1_14transform_implILb0ES3_S5_PsN6thrust23THRUST_200600_302600_NS6detail15normal_iteratorINS9_10device_ptrIsEEEENS0_8identityIsEEEE10hipError_tT2_T3_mT4_P12ihipStream_tbEUlT_E_NS1_11comp_targetILNS1_3genE4ELNS1_11target_archE910ELNS1_3gpuE8ELNS1_3repE0EEENS1_30default_config_static_selectorELNS0_4arch9wavefront6targetE1EEEvT1_
	.globl	_ZN7rocprim17ROCPRIM_400000_NS6detail17trampoline_kernelINS0_14default_configENS1_25transform_config_selectorIsLb0EEEZNS1_14transform_implILb0ES3_S5_PsN6thrust23THRUST_200600_302600_NS6detail15normal_iteratorINS9_10device_ptrIsEEEENS0_8identityIsEEEE10hipError_tT2_T3_mT4_P12ihipStream_tbEUlT_E_NS1_11comp_targetILNS1_3genE4ELNS1_11target_archE910ELNS1_3gpuE8ELNS1_3repE0EEENS1_30default_config_static_selectorELNS0_4arch9wavefront6targetE1EEEvT1_
	.p2align	8
	.type	_ZN7rocprim17ROCPRIM_400000_NS6detail17trampoline_kernelINS0_14default_configENS1_25transform_config_selectorIsLb0EEEZNS1_14transform_implILb0ES3_S5_PsN6thrust23THRUST_200600_302600_NS6detail15normal_iteratorINS9_10device_ptrIsEEEENS0_8identityIsEEEE10hipError_tT2_T3_mT4_P12ihipStream_tbEUlT_E_NS1_11comp_targetILNS1_3genE4ELNS1_11target_archE910ELNS1_3gpuE8ELNS1_3repE0EEENS1_30default_config_static_selectorELNS0_4arch9wavefront6targetE1EEEvT1_,@function
_ZN7rocprim17ROCPRIM_400000_NS6detail17trampoline_kernelINS0_14default_configENS1_25transform_config_selectorIsLb0EEEZNS1_14transform_implILb0ES3_S5_PsN6thrust23THRUST_200600_302600_NS6detail15normal_iteratorINS9_10device_ptrIsEEEENS0_8identityIsEEEE10hipError_tT2_T3_mT4_P12ihipStream_tbEUlT_E_NS1_11comp_targetILNS1_3genE4ELNS1_11target_archE910ELNS1_3gpuE8ELNS1_3repE0EEENS1_30default_config_static_selectorELNS0_4arch9wavefront6targetE1EEEvT1_: ; @_ZN7rocprim17ROCPRIM_400000_NS6detail17trampoline_kernelINS0_14default_configENS1_25transform_config_selectorIsLb0EEEZNS1_14transform_implILb0ES3_S5_PsN6thrust23THRUST_200600_302600_NS6detail15normal_iteratorINS9_10device_ptrIsEEEENS0_8identityIsEEEE10hipError_tT2_T3_mT4_P12ihipStream_tbEUlT_E_NS1_11comp_targetILNS1_3genE4ELNS1_11target_archE910ELNS1_3gpuE8ELNS1_3repE0EEENS1_30default_config_static_selectorELNS0_4arch9wavefront6targetE1EEEvT1_
; %bb.0:
	.section	.rodata,"a",@progbits
	.p2align	6, 0x0
	.amdhsa_kernel _ZN7rocprim17ROCPRIM_400000_NS6detail17trampoline_kernelINS0_14default_configENS1_25transform_config_selectorIsLb0EEEZNS1_14transform_implILb0ES3_S5_PsN6thrust23THRUST_200600_302600_NS6detail15normal_iteratorINS9_10device_ptrIsEEEENS0_8identityIsEEEE10hipError_tT2_T3_mT4_P12ihipStream_tbEUlT_E_NS1_11comp_targetILNS1_3genE4ELNS1_11target_archE910ELNS1_3gpuE8ELNS1_3repE0EEENS1_30default_config_static_selectorELNS0_4arch9wavefront6targetE1EEEvT1_
		.amdhsa_group_segment_fixed_size 0
		.amdhsa_private_segment_fixed_size 0
		.amdhsa_kernarg_size 40
		.amdhsa_user_sgpr_count 2
		.amdhsa_user_sgpr_dispatch_ptr 0
		.amdhsa_user_sgpr_queue_ptr 0
		.amdhsa_user_sgpr_kernarg_segment_ptr 1
		.amdhsa_user_sgpr_dispatch_id 0
		.amdhsa_user_sgpr_kernarg_preload_length 0
		.amdhsa_user_sgpr_kernarg_preload_offset 0
		.amdhsa_user_sgpr_private_segment_size 0
		.amdhsa_uses_dynamic_stack 0
		.amdhsa_enable_private_segment 0
		.amdhsa_system_sgpr_workgroup_id_x 1
		.amdhsa_system_sgpr_workgroup_id_y 0
		.amdhsa_system_sgpr_workgroup_id_z 0
		.amdhsa_system_sgpr_workgroup_info 0
		.amdhsa_system_vgpr_workitem_id 0
		.amdhsa_next_free_vgpr 1
		.amdhsa_next_free_sgpr 0
		.amdhsa_accum_offset 4
		.amdhsa_reserve_vcc 0
		.amdhsa_float_round_mode_32 0
		.amdhsa_float_round_mode_16_64 0
		.amdhsa_float_denorm_mode_32 3
		.amdhsa_float_denorm_mode_16_64 3
		.amdhsa_dx10_clamp 1
		.amdhsa_ieee_mode 1
		.amdhsa_fp16_overflow 0
		.amdhsa_tg_split 0
		.amdhsa_exception_fp_ieee_invalid_op 0
		.amdhsa_exception_fp_denorm_src 0
		.amdhsa_exception_fp_ieee_div_zero 0
		.amdhsa_exception_fp_ieee_overflow 0
		.amdhsa_exception_fp_ieee_underflow 0
		.amdhsa_exception_fp_ieee_inexact 0
		.amdhsa_exception_int_div_zero 0
	.end_amdhsa_kernel
	.section	.text._ZN7rocprim17ROCPRIM_400000_NS6detail17trampoline_kernelINS0_14default_configENS1_25transform_config_selectorIsLb0EEEZNS1_14transform_implILb0ES3_S5_PsN6thrust23THRUST_200600_302600_NS6detail15normal_iteratorINS9_10device_ptrIsEEEENS0_8identityIsEEEE10hipError_tT2_T3_mT4_P12ihipStream_tbEUlT_E_NS1_11comp_targetILNS1_3genE4ELNS1_11target_archE910ELNS1_3gpuE8ELNS1_3repE0EEENS1_30default_config_static_selectorELNS0_4arch9wavefront6targetE1EEEvT1_,"axG",@progbits,_ZN7rocprim17ROCPRIM_400000_NS6detail17trampoline_kernelINS0_14default_configENS1_25transform_config_selectorIsLb0EEEZNS1_14transform_implILb0ES3_S5_PsN6thrust23THRUST_200600_302600_NS6detail15normal_iteratorINS9_10device_ptrIsEEEENS0_8identityIsEEEE10hipError_tT2_T3_mT4_P12ihipStream_tbEUlT_E_NS1_11comp_targetILNS1_3genE4ELNS1_11target_archE910ELNS1_3gpuE8ELNS1_3repE0EEENS1_30default_config_static_selectorELNS0_4arch9wavefront6targetE1EEEvT1_,comdat
.Lfunc_end1560:
	.size	_ZN7rocprim17ROCPRIM_400000_NS6detail17trampoline_kernelINS0_14default_configENS1_25transform_config_selectorIsLb0EEEZNS1_14transform_implILb0ES3_S5_PsN6thrust23THRUST_200600_302600_NS6detail15normal_iteratorINS9_10device_ptrIsEEEENS0_8identityIsEEEE10hipError_tT2_T3_mT4_P12ihipStream_tbEUlT_E_NS1_11comp_targetILNS1_3genE4ELNS1_11target_archE910ELNS1_3gpuE8ELNS1_3repE0EEENS1_30default_config_static_selectorELNS0_4arch9wavefront6targetE1EEEvT1_, .Lfunc_end1560-_ZN7rocprim17ROCPRIM_400000_NS6detail17trampoline_kernelINS0_14default_configENS1_25transform_config_selectorIsLb0EEEZNS1_14transform_implILb0ES3_S5_PsN6thrust23THRUST_200600_302600_NS6detail15normal_iteratorINS9_10device_ptrIsEEEENS0_8identityIsEEEE10hipError_tT2_T3_mT4_P12ihipStream_tbEUlT_E_NS1_11comp_targetILNS1_3genE4ELNS1_11target_archE910ELNS1_3gpuE8ELNS1_3repE0EEENS1_30default_config_static_selectorELNS0_4arch9wavefront6targetE1EEEvT1_
                                        ; -- End function
	.set _ZN7rocprim17ROCPRIM_400000_NS6detail17trampoline_kernelINS0_14default_configENS1_25transform_config_selectorIsLb0EEEZNS1_14transform_implILb0ES3_S5_PsN6thrust23THRUST_200600_302600_NS6detail15normal_iteratorINS9_10device_ptrIsEEEENS0_8identityIsEEEE10hipError_tT2_T3_mT4_P12ihipStream_tbEUlT_E_NS1_11comp_targetILNS1_3genE4ELNS1_11target_archE910ELNS1_3gpuE8ELNS1_3repE0EEENS1_30default_config_static_selectorELNS0_4arch9wavefront6targetE1EEEvT1_.num_vgpr, 0
	.set _ZN7rocprim17ROCPRIM_400000_NS6detail17trampoline_kernelINS0_14default_configENS1_25transform_config_selectorIsLb0EEEZNS1_14transform_implILb0ES3_S5_PsN6thrust23THRUST_200600_302600_NS6detail15normal_iteratorINS9_10device_ptrIsEEEENS0_8identityIsEEEE10hipError_tT2_T3_mT4_P12ihipStream_tbEUlT_E_NS1_11comp_targetILNS1_3genE4ELNS1_11target_archE910ELNS1_3gpuE8ELNS1_3repE0EEENS1_30default_config_static_selectorELNS0_4arch9wavefront6targetE1EEEvT1_.num_agpr, 0
	.set _ZN7rocprim17ROCPRIM_400000_NS6detail17trampoline_kernelINS0_14default_configENS1_25transform_config_selectorIsLb0EEEZNS1_14transform_implILb0ES3_S5_PsN6thrust23THRUST_200600_302600_NS6detail15normal_iteratorINS9_10device_ptrIsEEEENS0_8identityIsEEEE10hipError_tT2_T3_mT4_P12ihipStream_tbEUlT_E_NS1_11comp_targetILNS1_3genE4ELNS1_11target_archE910ELNS1_3gpuE8ELNS1_3repE0EEENS1_30default_config_static_selectorELNS0_4arch9wavefront6targetE1EEEvT1_.numbered_sgpr, 0
	.set _ZN7rocprim17ROCPRIM_400000_NS6detail17trampoline_kernelINS0_14default_configENS1_25transform_config_selectorIsLb0EEEZNS1_14transform_implILb0ES3_S5_PsN6thrust23THRUST_200600_302600_NS6detail15normal_iteratorINS9_10device_ptrIsEEEENS0_8identityIsEEEE10hipError_tT2_T3_mT4_P12ihipStream_tbEUlT_E_NS1_11comp_targetILNS1_3genE4ELNS1_11target_archE910ELNS1_3gpuE8ELNS1_3repE0EEENS1_30default_config_static_selectorELNS0_4arch9wavefront6targetE1EEEvT1_.num_named_barrier, 0
	.set _ZN7rocprim17ROCPRIM_400000_NS6detail17trampoline_kernelINS0_14default_configENS1_25transform_config_selectorIsLb0EEEZNS1_14transform_implILb0ES3_S5_PsN6thrust23THRUST_200600_302600_NS6detail15normal_iteratorINS9_10device_ptrIsEEEENS0_8identityIsEEEE10hipError_tT2_T3_mT4_P12ihipStream_tbEUlT_E_NS1_11comp_targetILNS1_3genE4ELNS1_11target_archE910ELNS1_3gpuE8ELNS1_3repE0EEENS1_30default_config_static_selectorELNS0_4arch9wavefront6targetE1EEEvT1_.private_seg_size, 0
	.set _ZN7rocprim17ROCPRIM_400000_NS6detail17trampoline_kernelINS0_14default_configENS1_25transform_config_selectorIsLb0EEEZNS1_14transform_implILb0ES3_S5_PsN6thrust23THRUST_200600_302600_NS6detail15normal_iteratorINS9_10device_ptrIsEEEENS0_8identityIsEEEE10hipError_tT2_T3_mT4_P12ihipStream_tbEUlT_E_NS1_11comp_targetILNS1_3genE4ELNS1_11target_archE910ELNS1_3gpuE8ELNS1_3repE0EEENS1_30default_config_static_selectorELNS0_4arch9wavefront6targetE1EEEvT1_.uses_vcc, 0
	.set _ZN7rocprim17ROCPRIM_400000_NS6detail17trampoline_kernelINS0_14default_configENS1_25transform_config_selectorIsLb0EEEZNS1_14transform_implILb0ES3_S5_PsN6thrust23THRUST_200600_302600_NS6detail15normal_iteratorINS9_10device_ptrIsEEEENS0_8identityIsEEEE10hipError_tT2_T3_mT4_P12ihipStream_tbEUlT_E_NS1_11comp_targetILNS1_3genE4ELNS1_11target_archE910ELNS1_3gpuE8ELNS1_3repE0EEENS1_30default_config_static_selectorELNS0_4arch9wavefront6targetE1EEEvT1_.uses_flat_scratch, 0
	.set _ZN7rocprim17ROCPRIM_400000_NS6detail17trampoline_kernelINS0_14default_configENS1_25transform_config_selectorIsLb0EEEZNS1_14transform_implILb0ES3_S5_PsN6thrust23THRUST_200600_302600_NS6detail15normal_iteratorINS9_10device_ptrIsEEEENS0_8identityIsEEEE10hipError_tT2_T3_mT4_P12ihipStream_tbEUlT_E_NS1_11comp_targetILNS1_3genE4ELNS1_11target_archE910ELNS1_3gpuE8ELNS1_3repE0EEENS1_30default_config_static_selectorELNS0_4arch9wavefront6targetE1EEEvT1_.has_dyn_sized_stack, 0
	.set _ZN7rocprim17ROCPRIM_400000_NS6detail17trampoline_kernelINS0_14default_configENS1_25transform_config_selectorIsLb0EEEZNS1_14transform_implILb0ES3_S5_PsN6thrust23THRUST_200600_302600_NS6detail15normal_iteratorINS9_10device_ptrIsEEEENS0_8identityIsEEEE10hipError_tT2_T3_mT4_P12ihipStream_tbEUlT_E_NS1_11comp_targetILNS1_3genE4ELNS1_11target_archE910ELNS1_3gpuE8ELNS1_3repE0EEENS1_30default_config_static_selectorELNS0_4arch9wavefront6targetE1EEEvT1_.has_recursion, 0
	.set _ZN7rocprim17ROCPRIM_400000_NS6detail17trampoline_kernelINS0_14default_configENS1_25transform_config_selectorIsLb0EEEZNS1_14transform_implILb0ES3_S5_PsN6thrust23THRUST_200600_302600_NS6detail15normal_iteratorINS9_10device_ptrIsEEEENS0_8identityIsEEEE10hipError_tT2_T3_mT4_P12ihipStream_tbEUlT_E_NS1_11comp_targetILNS1_3genE4ELNS1_11target_archE910ELNS1_3gpuE8ELNS1_3repE0EEENS1_30default_config_static_selectorELNS0_4arch9wavefront6targetE1EEEvT1_.has_indirect_call, 0
	.section	.AMDGPU.csdata,"",@progbits
; Kernel info:
; codeLenInByte = 0
; TotalNumSgprs: 6
; NumVgprs: 0
; NumAgprs: 0
; TotalNumVgprs: 0
; ScratchSize: 0
; MemoryBound: 0
; FloatMode: 240
; IeeeMode: 1
; LDSByteSize: 0 bytes/workgroup (compile time only)
; SGPRBlocks: 0
; VGPRBlocks: 0
; NumSGPRsForWavesPerEU: 6
; NumVGPRsForWavesPerEU: 1
; AccumOffset: 4
; Occupancy: 8
; WaveLimiterHint : 0
; COMPUTE_PGM_RSRC2:SCRATCH_EN: 0
; COMPUTE_PGM_RSRC2:USER_SGPR: 2
; COMPUTE_PGM_RSRC2:TRAP_HANDLER: 0
; COMPUTE_PGM_RSRC2:TGID_X_EN: 1
; COMPUTE_PGM_RSRC2:TGID_Y_EN: 0
; COMPUTE_PGM_RSRC2:TGID_Z_EN: 0
; COMPUTE_PGM_RSRC2:TIDIG_COMP_CNT: 0
; COMPUTE_PGM_RSRC3_GFX90A:ACCUM_OFFSET: 0
; COMPUTE_PGM_RSRC3_GFX90A:TG_SPLIT: 0
	.section	.text._ZN7rocprim17ROCPRIM_400000_NS6detail17trampoline_kernelINS0_14default_configENS1_25transform_config_selectorIsLb0EEEZNS1_14transform_implILb0ES3_S5_PsN6thrust23THRUST_200600_302600_NS6detail15normal_iteratorINS9_10device_ptrIsEEEENS0_8identityIsEEEE10hipError_tT2_T3_mT4_P12ihipStream_tbEUlT_E_NS1_11comp_targetILNS1_3genE3ELNS1_11target_archE908ELNS1_3gpuE7ELNS1_3repE0EEENS1_30default_config_static_selectorELNS0_4arch9wavefront6targetE1EEEvT1_,"axG",@progbits,_ZN7rocprim17ROCPRIM_400000_NS6detail17trampoline_kernelINS0_14default_configENS1_25transform_config_selectorIsLb0EEEZNS1_14transform_implILb0ES3_S5_PsN6thrust23THRUST_200600_302600_NS6detail15normal_iteratorINS9_10device_ptrIsEEEENS0_8identityIsEEEE10hipError_tT2_T3_mT4_P12ihipStream_tbEUlT_E_NS1_11comp_targetILNS1_3genE3ELNS1_11target_archE908ELNS1_3gpuE7ELNS1_3repE0EEENS1_30default_config_static_selectorELNS0_4arch9wavefront6targetE1EEEvT1_,comdat
	.protected	_ZN7rocprim17ROCPRIM_400000_NS6detail17trampoline_kernelINS0_14default_configENS1_25transform_config_selectorIsLb0EEEZNS1_14transform_implILb0ES3_S5_PsN6thrust23THRUST_200600_302600_NS6detail15normal_iteratorINS9_10device_ptrIsEEEENS0_8identityIsEEEE10hipError_tT2_T3_mT4_P12ihipStream_tbEUlT_E_NS1_11comp_targetILNS1_3genE3ELNS1_11target_archE908ELNS1_3gpuE7ELNS1_3repE0EEENS1_30default_config_static_selectorELNS0_4arch9wavefront6targetE1EEEvT1_ ; -- Begin function _ZN7rocprim17ROCPRIM_400000_NS6detail17trampoline_kernelINS0_14default_configENS1_25transform_config_selectorIsLb0EEEZNS1_14transform_implILb0ES3_S5_PsN6thrust23THRUST_200600_302600_NS6detail15normal_iteratorINS9_10device_ptrIsEEEENS0_8identityIsEEEE10hipError_tT2_T3_mT4_P12ihipStream_tbEUlT_E_NS1_11comp_targetILNS1_3genE3ELNS1_11target_archE908ELNS1_3gpuE7ELNS1_3repE0EEENS1_30default_config_static_selectorELNS0_4arch9wavefront6targetE1EEEvT1_
	.globl	_ZN7rocprim17ROCPRIM_400000_NS6detail17trampoline_kernelINS0_14default_configENS1_25transform_config_selectorIsLb0EEEZNS1_14transform_implILb0ES3_S5_PsN6thrust23THRUST_200600_302600_NS6detail15normal_iteratorINS9_10device_ptrIsEEEENS0_8identityIsEEEE10hipError_tT2_T3_mT4_P12ihipStream_tbEUlT_E_NS1_11comp_targetILNS1_3genE3ELNS1_11target_archE908ELNS1_3gpuE7ELNS1_3repE0EEENS1_30default_config_static_selectorELNS0_4arch9wavefront6targetE1EEEvT1_
	.p2align	8
	.type	_ZN7rocprim17ROCPRIM_400000_NS6detail17trampoline_kernelINS0_14default_configENS1_25transform_config_selectorIsLb0EEEZNS1_14transform_implILb0ES3_S5_PsN6thrust23THRUST_200600_302600_NS6detail15normal_iteratorINS9_10device_ptrIsEEEENS0_8identityIsEEEE10hipError_tT2_T3_mT4_P12ihipStream_tbEUlT_E_NS1_11comp_targetILNS1_3genE3ELNS1_11target_archE908ELNS1_3gpuE7ELNS1_3repE0EEENS1_30default_config_static_selectorELNS0_4arch9wavefront6targetE1EEEvT1_,@function
_ZN7rocprim17ROCPRIM_400000_NS6detail17trampoline_kernelINS0_14default_configENS1_25transform_config_selectorIsLb0EEEZNS1_14transform_implILb0ES3_S5_PsN6thrust23THRUST_200600_302600_NS6detail15normal_iteratorINS9_10device_ptrIsEEEENS0_8identityIsEEEE10hipError_tT2_T3_mT4_P12ihipStream_tbEUlT_E_NS1_11comp_targetILNS1_3genE3ELNS1_11target_archE908ELNS1_3gpuE7ELNS1_3repE0EEENS1_30default_config_static_selectorELNS0_4arch9wavefront6targetE1EEEvT1_: ; @_ZN7rocprim17ROCPRIM_400000_NS6detail17trampoline_kernelINS0_14default_configENS1_25transform_config_selectorIsLb0EEEZNS1_14transform_implILb0ES3_S5_PsN6thrust23THRUST_200600_302600_NS6detail15normal_iteratorINS9_10device_ptrIsEEEENS0_8identityIsEEEE10hipError_tT2_T3_mT4_P12ihipStream_tbEUlT_E_NS1_11comp_targetILNS1_3genE3ELNS1_11target_archE908ELNS1_3gpuE7ELNS1_3repE0EEENS1_30default_config_static_selectorELNS0_4arch9wavefront6targetE1EEEvT1_
; %bb.0:
	.section	.rodata,"a",@progbits
	.p2align	6, 0x0
	.amdhsa_kernel _ZN7rocprim17ROCPRIM_400000_NS6detail17trampoline_kernelINS0_14default_configENS1_25transform_config_selectorIsLb0EEEZNS1_14transform_implILb0ES3_S5_PsN6thrust23THRUST_200600_302600_NS6detail15normal_iteratorINS9_10device_ptrIsEEEENS0_8identityIsEEEE10hipError_tT2_T3_mT4_P12ihipStream_tbEUlT_E_NS1_11comp_targetILNS1_3genE3ELNS1_11target_archE908ELNS1_3gpuE7ELNS1_3repE0EEENS1_30default_config_static_selectorELNS0_4arch9wavefront6targetE1EEEvT1_
		.amdhsa_group_segment_fixed_size 0
		.amdhsa_private_segment_fixed_size 0
		.amdhsa_kernarg_size 40
		.amdhsa_user_sgpr_count 2
		.amdhsa_user_sgpr_dispatch_ptr 0
		.amdhsa_user_sgpr_queue_ptr 0
		.amdhsa_user_sgpr_kernarg_segment_ptr 1
		.amdhsa_user_sgpr_dispatch_id 0
		.amdhsa_user_sgpr_kernarg_preload_length 0
		.amdhsa_user_sgpr_kernarg_preload_offset 0
		.amdhsa_user_sgpr_private_segment_size 0
		.amdhsa_uses_dynamic_stack 0
		.amdhsa_enable_private_segment 0
		.amdhsa_system_sgpr_workgroup_id_x 1
		.amdhsa_system_sgpr_workgroup_id_y 0
		.amdhsa_system_sgpr_workgroup_id_z 0
		.amdhsa_system_sgpr_workgroup_info 0
		.amdhsa_system_vgpr_workitem_id 0
		.amdhsa_next_free_vgpr 1
		.amdhsa_next_free_sgpr 0
		.amdhsa_accum_offset 4
		.amdhsa_reserve_vcc 0
		.amdhsa_float_round_mode_32 0
		.amdhsa_float_round_mode_16_64 0
		.amdhsa_float_denorm_mode_32 3
		.amdhsa_float_denorm_mode_16_64 3
		.amdhsa_dx10_clamp 1
		.amdhsa_ieee_mode 1
		.amdhsa_fp16_overflow 0
		.amdhsa_tg_split 0
		.amdhsa_exception_fp_ieee_invalid_op 0
		.amdhsa_exception_fp_denorm_src 0
		.amdhsa_exception_fp_ieee_div_zero 0
		.amdhsa_exception_fp_ieee_overflow 0
		.amdhsa_exception_fp_ieee_underflow 0
		.amdhsa_exception_fp_ieee_inexact 0
		.amdhsa_exception_int_div_zero 0
	.end_amdhsa_kernel
	.section	.text._ZN7rocprim17ROCPRIM_400000_NS6detail17trampoline_kernelINS0_14default_configENS1_25transform_config_selectorIsLb0EEEZNS1_14transform_implILb0ES3_S5_PsN6thrust23THRUST_200600_302600_NS6detail15normal_iteratorINS9_10device_ptrIsEEEENS0_8identityIsEEEE10hipError_tT2_T3_mT4_P12ihipStream_tbEUlT_E_NS1_11comp_targetILNS1_3genE3ELNS1_11target_archE908ELNS1_3gpuE7ELNS1_3repE0EEENS1_30default_config_static_selectorELNS0_4arch9wavefront6targetE1EEEvT1_,"axG",@progbits,_ZN7rocprim17ROCPRIM_400000_NS6detail17trampoline_kernelINS0_14default_configENS1_25transform_config_selectorIsLb0EEEZNS1_14transform_implILb0ES3_S5_PsN6thrust23THRUST_200600_302600_NS6detail15normal_iteratorINS9_10device_ptrIsEEEENS0_8identityIsEEEE10hipError_tT2_T3_mT4_P12ihipStream_tbEUlT_E_NS1_11comp_targetILNS1_3genE3ELNS1_11target_archE908ELNS1_3gpuE7ELNS1_3repE0EEENS1_30default_config_static_selectorELNS0_4arch9wavefront6targetE1EEEvT1_,comdat
.Lfunc_end1561:
	.size	_ZN7rocprim17ROCPRIM_400000_NS6detail17trampoline_kernelINS0_14default_configENS1_25transform_config_selectorIsLb0EEEZNS1_14transform_implILb0ES3_S5_PsN6thrust23THRUST_200600_302600_NS6detail15normal_iteratorINS9_10device_ptrIsEEEENS0_8identityIsEEEE10hipError_tT2_T3_mT4_P12ihipStream_tbEUlT_E_NS1_11comp_targetILNS1_3genE3ELNS1_11target_archE908ELNS1_3gpuE7ELNS1_3repE0EEENS1_30default_config_static_selectorELNS0_4arch9wavefront6targetE1EEEvT1_, .Lfunc_end1561-_ZN7rocprim17ROCPRIM_400000_NS6detail17trampoline_kernelINS0_14default_configENS1_25transform_config_selectorIsLb0EEEZNS1_14transform_implILb0ES3_S5_PsN6thrust23THRUST_200600_302600_NS6detail15normal_iteratorINS9_10device_ptrIsEEEENS0_8identityIsEEEE10hipError_tT2_T3_mT4_P12ihipStream_tbEUlT_E_NS1_11comp_targetILNS1_3genE3ELNS1_11target_archE908ELNS1_3gpuE7ELNS1_3repE0EEENS1_30default_config_static_selectorELNS0_4arch9wavefront6targetE1EEEvT1_
                                        ; -- End function
	.set _ZN7rocprim17ROCPRIM_400000_NS6detail17trampoline_kernelINS0_14default_configENS1_25transform_config_selectorIsLb0EEEZNS1_14transform_implILb0ES3_S5_PsN6thrust23THRUST_200600_302600_NS6detail15normal_iteratorINS9_10device_ptrIsEEEENS0_8identityIsEEEE10hipError_tT2_T3_mT4_P12ihipStream_tbEUlT_E_NS1_11comp_targetILNS1_3genE3ELNS1_11target_archE908ELNS1_3gpuE7ELNS1_3repE0EEENS1_30default_config_static_selectorELNS0_4arch9wavefront6targetE1EEEvT1_.num_vgpr, 0
	.set _ZN7rocprim17ROCPRIM_400000_NS6detail17trampoline_kernelINS0_14default_configENS1_25transform_config_selectorIsLb0EEEZNS1_14transform_implILb0ES3_S5_PsN6thrust23THRUST_200600_302600_NS6detail15normal_iteratorINS9_10device_ptrIsEEEENS0_8identityIsEEEE10hipError_tT2_T3_mT4_P12ihipStream_tbEUlT_E_NS1_11comp_targetILNS1_3genE3ELNS1_11target_archE908ELNS1_3gpuE7ELNS1_3repE0EEENS1_30default_config_static_selectorELNS0_4arch9wavefront6targetE1EEEvT1_.num_agpr, 0
	.set _ZN7rocprim17ROCPRIM_400000_NS6detail17trampoline_kernelINS0_14default_configENS1_25transform_config_selectorIsLb0EEEZNS1_14transform_implILb0ES3_S5_PsN6thrust23THRUST_200600_302600_NS6detail15normal_iteratorINS9_10device_ptrIsEEEENS0_8identityIsEEEE10hipError_tT2_T3_mT4_P12ihipStream_tbEUlT_E_NS1_11comp_targetILNS1_3genE3ELNS1_11target_archE908ELNS1_3gpuE7ELNS1_3repE0EEENS1_30default_config_static_selectorELNS0_4arch9wavefront6targetE1EEEvT1_.numbered_sgpr, 0
	.set _ZN7rocprim17ROCPRIM_400000_NS6detail17trampoline_kernelINS0_14default_configENS1_25transform_config_selectorIsLb0EEEZNS1_14transform_implILb0ES3_S5_PsN6thrust23THRUST_200600_302600_NS6detail15normal_iteratorINS9_10device_ptrIsEEEENS0_8identityIsEEEE10hipError_tT2_T3_mT4_P12ihipStream_tbEUlT_E_NS1_11comp_targetILNS1_3genE3ELNS1_11target_archE908ELNS1_3gpuE7ELNS1_3repE0EEENS1_30default_config_static_selectorELNS0_4arch9wavefront6targetE1EEEvT1_.num_named_barrier, 0
	.set _ZN7rocprim17ROCPRIM_400000_NS6detail17trampoline_kernelINS0_14default_configENS1_25transform_config_selectorIsLb0EEEZNS1_14transform_implILb0ES3_S5_PsN6thrust23THRUST_200600_302600_NS6detail15normal_iteratorINS9_10device_ptrIsEEEENS0_8identityIsEEEE10hipError_tT2_T3_mT4_P12ihipStream_tbEUlT_E_NS1_11comp_targetILNS1_3genE3ELNS1_11target_archE908ELNS1_3gpuE7ELNS1_3repE0EEENS1_30default_config_static_selectorELNS0_4arch9wavefront6targetE1EEEvT1_.private_seg_size, 0
	.set _ZN7rocprim17ROCPRIM_400000_NS6detail17trampoline_kernelINS0_14default_configENS1_25transform_config_selectorIsLb0EEEZNS1_14transform_implILb0ES3_S5_PsN6thrust23THRUST_200600_302600_NS6detail15normal_iteratorINS9_10device_ptrIsEEEENS0_8identityIsEEEE10hipError_tT2_T3_mT4_P12ihipStream_tbEUlT_E_NS1_11comp_targetILNS1_3genE3ELNS1_11target_archE908ELNS1_3gpuE7ELNS1_3repE0EEENS1_30default_config_static_selectorELNS0_4arch9wavefront6targetE1EEEvT1_.uses_vcc, 0
	.set _ZN7rocprim17ROCPRIM_400000_NS6detail17trampoline_kernelINS0_14default_configENS1_25transform_config_selectorIsLb0EEEZNS1_14transform_implILb0ES3_S5_PsN6thrust23THRUST_200600_302600_NS6detail15normal_iteratorINS9_10device_ptrIsEEEENS0_8identityIsEEEE10hipError_tT2_T3_mT4_P12ihipStream_tbEUlT_E_NS1_11comp_targetILNS1_3genE3ELNS1_11target_archE908ELNS1_3gpuE7ELNS1_3repE0EEENS1_30default_config_static_selectorELNS0_4arch9wavefront6targetE1EEEvT1_.uses_flat_scratch, 0
	.set _ZN7rocprim17ROCPRIM_400000_NS6detail17trampoline_kernelINS0_14default_configENS1_25transform_config_selectorIsLb0EEEZNS1_14transform_implILb0ES3_S5_PsN6thrust23THRUST_200600_302600_NS6detail15normal_iteratorINS9_10device_ptrIsEEEENS0_8identityIsEEEE10hipError_tT2_T3_mT4_P12ihipStream_tbEUlT_E_NS1_11comp_targetILNS1_3genE3ELNS1_11target_archE908ELNS1_3gpuE7ELNS1_3repE0EEENS1_30default_config_static_selectorELNS0_4arch9wavefront6targetE1EEEvT1_.has_dyn_sized_stack, 0
	.set _ZN7rocprim17ROCPRIM_400000_NS6detail17trampoline_kernelINS0_14default_configENS1_25transform_config_selectorIsLb0EEEZNS1_14transform_implILb0ES3_S5_PsN6thrust23THRUST_200600_302600_NS6detail15normal_iteratorINS9_10device_ptrIsEEEENS0_8identityIsEEEE10hipError_tT2_T3_mT4_P12ihipStream_tbEUlT_E_NS1_11comp_targetILNS1_3genE3ELNS1_11target_archE908ELNS1_3gpuE7ELNS1_3repE0EEENS1_30default_config_static_selectorELNS0_4arch9wavefront6targetE1EEEvT1_.has_recursion, 0
	.set _ZN7rocprim17ROCPRIM_400000_NS6detail17trampoline_kernelINS0_14default_configENS1_25transform_config_selectorIsLb0EEEZNS1_14transform_implILb0ES3_S5_PsN6thrust23THRUST_200600_302600_NS6detail15normal_iteratorINS9_10device_ptrIsEEEENS0_8identityIsEEEE10hipError_tT2_T3_mT4_P12ihipStream_tbEUlT_E_NS1_11comp_targetILNS1_3genE3ELNS1_11target_archE908ELNS1_3gpuE7ELNS1_3repE0EEENS1_30default_config_static_selectorELNS0_4arch9wavefront6targetE1EEEvT1_.has_indirect_call, 0
	.section	.AMDGPU.csdata,"",@progbits
; Kernel info:
; codeLenInByte = 0
; TotalNumSgprs: 6
; NumVgprs: 0
; NumAgprs: 0
; TotalNumVgprs: 0
; ScratchSize: 0
; MemoryBound: 0
; FloatMode: 240
; IeeeMode: 1
; LDSByteSize: 0 bytes/workgroup (compile time only)
; SGPRBlocks: 0
; VGPRBlocks: 0
; NumSGPRsForWavesPerEU: 6
; NumVGPRsForWavesPerEU: 1
; AccumOffset: 4
; Occupancy: 8
; WaveLimiterHint : 0
; COMPUTE_PGM_RSRC2:SCRATCH_EN: 0
; COMPUTE_PGM_RSRC2:USER_SGPR: 2
; COMPUTE_PGM_RSRC2:TRAP_HANDLER: 0
; COMPUTE_PGM_RSRC2:TGID_X_EN: 1
; COMPUTE_PGM_RSRC2:TGID_Y_EN: 0
; COMPUTE_PGM_RSRC2:TGID_Z_EN: 0
; COMPUTE_PGM_RSRC2:TIDIG_COMP_CNT: 0
; COMPUTE_PGM_RSRC3_GFX90A:ACCUM_OFFSET: 0
; COMPUTE_PGM_RSRC3_GFX90A:TG_SPLIT: 0
	.section	.text._ZN7rocprim17ROCPRIM_400000_NS6detail17trampoline_kernelINS0_14default_configENS1_25transform_config_selectorIsLb0EEEZNS1_14transform_implILb0ES3_S5_PsN6thrust23THRUST_200600_302600_NS6detail15normal_iteratorINS9_10device_ptrIsEEEENS0_8identityIsEEEE10hipError_tT2_T3_mT4_P12ihipStream_tbEUlT_E_NS1_11comp_targetILNS1_3genE2ELNS1_11target_archE906ELNS1_3gpuE6ELNS1_3repE0EEENS1_30default_config_static_selectorELNS0_4arch9wavefront6targetE1EEEvT1_,"axG",@progbits,_ZN7rocprim17ROCPRIM_400000_NS6detail17trampoline_kernelINS0_14default_configENS1_25transform_config_selectorIsLb0EEEZNS1_14transform_implILb0ES3_S5_PsN6thrust23THRUST_200600_302600_NS6detail15normal_iteratorINS9_10device_ptrIsEEEENS0_8identityIsEEEE10hipError_tT2_T3_mT4_P12ihipStream_tbEUlT_E_NS1_11comp_targetILNS1_3genE2ELNS1_11target_archE906ELNS1_3gpuE6ELNS1_3repE0EEENS1_30default_config_static_selectorELNS0_4arch9wavefront6targetE1EEEvT1_,comdat
	.protected	_ZN7rocprim17ROCPRIM_400000_NS6detail17trampoline_kernelINS0_14default_configENS1_25transform_config_selectorIsLb0EEEZNS1_14transform_implILb0ES3_S5_PsN6thrust23THRUST_200600_302600_NS6detail15normal_iteratorINS9_10device_ptrIsEEEENS0_8identityIsEEEE10hipError_tT2_T3_mT4_P12ihipStream_tbEUlT_E_NS1_11comp_targetILNS1_3genE2ELNS1_11target_archE906ELNS1_3gpuE6ELNS1_3repE0EEENS1_30default_config_static_selectorELNS0_4arch9wavefront6targetE1EEEvT1_ ; -- Begin function _ZN7rocprim17ROCPRIM_400000_NS6detail17trampoline_kernelINS0_14default_configENS1_25transform_config_selectorIsLb0EEEZNS1_14transform_implILb0ES3_S5_PsN6thrust23THRUST_200600_302600_NS6detail15normal_iteratorINS9_10device_ptrIsEEEENS0_8identityIsEEEE10hipError_tT2_T3_mT4_P12ihipStream_tbEUlT_E_NS1_11comp_targetILNS1_3genE2ELNS1_11target_archE906ELNS1_3gpuE6ELNS1_3repE0EEENS1_30default_config_static_selectorELNS0_4arch9wavefront6targetE1EEEvT1_
	.globl	_ZN7rocprim17ROCPRIM_400000_NS6detail17trampoline_kernelINS0_14default_configENS1_25transform_config_selectorIsLb0EEEZNS1_14transform_implILb0ES3_S5_PsN6thrust23THRUST_200600_302600_NS6detail15normal_iteratorINS9_10device_ptrIsEEEENS0_8identityIsEEEE10hipError_tT2_T3_mT4_P12ihipStream_tbEUlT_E_NS1_11comp_targetILNS1_3genE2ELNS1_11target_archE906ELNS1_3gpuE6ELNS1_3repE0EEENS1_30default_config_static_selectorELNS0_4arch9wavefront6targetE1EEEvT1_
	.p2align	8
	.type	_ZN7rocprim17ROCPRIM_400000_NS6detail17trampoline_kernelINS0_14default_configENS1_25transform_config_selectorIsLb0EEEZNS1_14transform_implILb0ES3_S5_PsN6thrust23THRUST_200600_302600_NS6detail15normal_iteratorINS9_10device_ptrIsEEEENS0_8identityIsEEEE10hipError_tT2_T3_mT4_P12ihipStream_tbEUlT_E_NS1_11comp_targetILNS1_3genE2ELNS1_11target_archE906ELNS1_3gpuE6ELNS1_3repE0EEENS1_30default_config_static_selectorELNS0_4arch9wavefront6targetE1EEEvT1_,@function
_ZN7rocprim17ROCPRIM_400000_NS6detail17trampoline_kernelINS0_14default_configENS1_25transform_config_selectorIsLb0EEEZNS1_14transform_implILb0ES3_S5_PsN6thrust23THRUST_200600_302600_NS6detail15normal_iteratorINS9_10device_ptrIsEEEENS0_8identityIsEEEE10hipError_tT2_T3_mT4_P12ihipStream_tbEUlT_E_NS1_11comp_targetILNS1_3genE2ELNS1_11target_archE906ELNS1_3gpuE6ELNS1_3repE0EEENS1_30default_config_static_selectorELNS0_4arch9wavefront6targetE1EEEvT1_: ; @_ZN7rocprim17ROCPRIM_400000_NS6detail17trampoline_kernelINS0_14default_configENS1_25transform_config_selectorIsLb0EEEZNS1_14transform_implILb0ES3_S5_PsN6thrust23THRUST_200600_302600_NS6detail15normal_iteratorINS9_10device_ptrIsEEEENS0_8identityIsEEEE10hipError_tT2_T3_mT4_P12ihipStream_tbEUlT_E_NS1_11comp_targetILNS1_3genE2ELNS1_11target_archE906ELNS1_3gpuE6ELNS1_3repE0EEENS1_30default_config_static_selectorELNS0_4arch9wavefront6targetE1EEEvT1_
; %bb.0:
	.section	.rodata,"a",@progbits
	.p2align	6, 0x0
	.amdhsa_kernel _ZN7rocprim17ROCPRIM_400000_NS6detail17trampoline_kernelINS0_14default_configENS1_25transform_config_selectorIsLb0EEEZNS1_14transform_implILb0ES3_S5_PsN6thrust23THRUST_200600_302600_NS6detail15normal_iteratorINS9_10device_ptrIsEEEENS0_8identityIsEEEE10hipError_tT2_T3_mT4_P12ihipStream_tbEUlT_E_NS1_11comp_targetILNS1_3genE2ELNS1_11target_archE906ELNS1_3gpuE6ELNS1_3repE0EEENS1_30default_config_static_selectorELNS0_4arch9wavefront6targetE1EEEvT1_
		.amdhsa_group_segment_fixed_size 0
		.amdhsa_private_segment_fixed_size 0
		.amdhsa_kernarg_size 40
		.amdhsa_user_sgpr_count 2
		.amdhsa_user_sgpr_dispatch_ptr 0
		.amdhsa_user_sgpr_queue_ptr 0
		.amdhsa_user_sgpr_kernarg_segment_ptr 1
		.amdhsa_user_sgpr_dispatch_id 0
		.amdhsa_user_sgpr_kernarg_preload_length 0
		.amdhsa_user_sgpr_kernarg_preload_offset 0
		.amdhsa_user_sgpr_private_segment_size 0
		.amdhsa_uses_dynamic_stack 0
		.amdhsa_enable_private_segment 0
		.amdhsa_system_sgpr_workgroup_id_x 1
		.amdhsa_system_sgpr_workgroup_id_y 0
		.amdhsa_system_sgpr_workgroup_id_z 0
		.amdhsa_system_sgpr_workgroup_info 0
		.amdhsa_system_vgpr_workitem_id 0
		.amdhsa_next_free_vgpr 1
		.amdhsa_next_free_sgpr 0
		.amdhsa_accum_offset 4
		.amdhsa_reserve_vcc 0
		.amdhsa_float_round_mode_32 0
		.amdhsa_float_round_mode_16_64 0
		.amdhsa_float_denorm_mode_32 3
		.amdhsa_float_denorm_mode_16_64 3
		.amdhsa_dx10_clamp 1
		.amdhsa_ieee_mode 1
		.amdhsa_fp16_overflow 0
		.amdhsa_tg_split 0
		.amdhsa_exception_fp_ieee_invalid_op 0
		.amdhsa_exception_fp_denorm_src 0
		.amdhsa_exception_fp_ieee_div_zero 0
		.amdhsa_exception_fp_ieee_overflow 0
		.amdhsa_exception_fp_ieee_underflow 0
		.amdhsa_exception_fp_ieee_inexact 0
		.amdhsa_exception_int_div_zero 0
	.end_amdhsa_kernel
	.section	.text._ZN7rocprim17ROCPRIM_400000_NS6detail17trampoline_kernelINS0_14default_configENS1_25transform_config_selectorIsLb0EEEZNS1_14transform_implILb0ES3_S5_PsN6thrust23THRUST_200600_302600_NS6detail15normal_iteratorINS9_10device_ptrIsEEEENS0_8identityIsEEEE10hipError_tT2_T3_mT4_P12ihipStream_tbEUlT_E_NS1_11comp_targetILNS1_3genE2ELNS1_11target_archE906ELNS1_3gpuE6ELNS1_3repE0EEENS1_30default_config_static_selectorELNS0_4arch9wavefront6targetE1EEEvT1_,"axG",@progbits,_ZN7rocprim17ROCPRIM_400000_NS6detail17trampoline_kernelINS0_14default_configENS1_25transform_config_selectorIsLb0EEEZNS1_14transform_implILb0ES3_S5_PsN6thrust23THRUST_200600_302600_NS6detail15normal_iteratorINS9_10device_ptrIsEEEENS0_8identityIsEEEE10hipError_tT2_T3_mT4_P12ihipStream_tbEUlT_E_NS1_11comp_targetILNS1_3genE2ELNS1_11target_archE906ELNS1_3gpuE6ELNS1_3repE0EEENS1_30default_config_static_selectorELNS0_4arch9wavefront6targetE1EEEvT1_,comdat
.Lfunc_end1562:
	.size	_ZN7rocprim17ROCPRIM_400000_NS6detail17trampoline_kernelINS0_14default_configENS1_25transform_config_selectorIsLb0EEEZNS1_14transform_implILb0ES3_S5_PsN6thrust23THRUST_200600_302600_NS6detail15normal_iteratorINS9_10device_ptrIsEEEENS0_8identityIsEEEE10hipError_tT2_T3_mT4_P12ihipStream_tbEUlT_E_NS1_11comp_targetILNS1_3genE2ELNS1_11target_archE906ELNS1_3gpuE6ELNS1_3repE0EEENS1_30default_config_static_selectorELNS0_4arch9wavefront6targetE1EEEvT1_, .Lfunc_end1562-_ZN7rocprim17ROCPRIM_400000_NS6detail17trampoline_kernelINS0_14default_configENS1_25transform_config_selectorIsLb0EEEZNS1_14transform_implILb0ES3_S5_PsN6thrust23THRUST_200600_302600_NS6detail15normal_iteratorINS9_10device_ptrIsEEEENS0_8identityIsEEEE10hipError_tT2_T3_mT4_P12ihipStream_tbEUlT_E_NS1_11comp_targetILNS1_3genE2ELNS1_11target_archE906ELNS1_3gpuE6ELNS1_3repE0EEENS1_30default_config_static_selectorELNS0_4arch9wavefront6targetE1EEEvT1_
                                        ; -- End function
	.set _ZN7rocprim17ROCPRIM_400000_NS6detail17trampoline_kernelINS0_14default_configENS1_25transform_config_selectorIsLb0EEEZNS1_14transform_implILb0ES3_S5_PsN6thrust23THRUST_200600_302600_NS6detail15normal_iteratorINS9_10device_ptrIsEEEENS0_8identityIsEEEE10hipError_tT2_T3_mT4_P12ihipStream_tbEUlT_E_NS1_11comp_targetILNS1_3genE2ELNS1_11target_archE906ELNS1_3gpuE6ELNS1_3repE0EEENS1_30default_config_static_selectorELNS0_4arch9wavefront6targetE1EEEvT1_.num_vgpr, 0
	.set _ZN7rocprim17ROCPRIM_400000_NS6detail17trampoline_kernelINS0_14default_configENS1_25transform_config_selectorIsLb0EEEZNS1_14transform_implILb0ES3_S5_PsN6thrust23THRUST_200600_302600_NS6detail15normal_iteratorINS9_10device_ptrIsEEEENS0_8identityIsEEEE10hipError_tT2_T3_mT4_P12ihipStream_tbEUlT_E_NS1_11comp_targetILNS1_3genE2ELNS1_11target_archE906ELNS1_3gpuE6ELNS1_3repE0EEENS1_30default_config_static_selectorELNS0_4arch9wavefront6targetE1EEEvT1_.num_agpr, 0
	.set _ZN7rocprim17ROCPRIM_400000_NS6detail17trampoline_kernelINS0_14default_configENS1_25transform_config_selectorIsLb0EEEZNS1_14transform_implILb0ES3_S5_PsN6thrust23THRUST_200600_302600_NS6detail15normal_iteratorINS9_10device_ptrIsEEEENS0_8identityIsEEEE10hipError_tT2_T3_mT4_P12ihipStream_tbEUlT_E_NS1_11comp_targetILNS1_3genE2ELNS1_11target_archE906ELNS1_3gpuE6ELNS1_3repE0EEENS1_30default_config_static_selectorELNS0_4arch9wavefront6targetE1EEEvT1_.numbered_sgpr, 0
	.set _ZN7rocprim17ROCPRIM_400000_NS6detail17trampoline_kernelINS0_14default_configENS1_25transform_config_selectorIsLb0EEEZNS1_14transform_implILb0ES3_S5_PsN6thrust23THRUST_200600_302600_NS6detail15normal_iteratorINS9_10device_ptrIsEEEENS0_8identityIsEEEE10hipError_tT2_T3_mT4_P12ihipStream_tbEUlT_E_NS1_11comp_targetILNS1_3genE2ELNS1_11target_archE906ELNS1_3gpuE6ELNS1_3repE0EEENS1_30default_config_static_selectorELNS0_4arch9wavefront6targetE1EEEvT1_.num_named_barrier, 0
	.set _ZN7rocprim17ROCPRIM_400000_NS6detail17trampoline_kernelINS0_14default_configENS1_25transform_config_selectorIsLb0EEEZNS1_14transform_implILb0ES3_S5_PsN6thrust23THRUST_200600_302600_NS6detail15normal_iteratorINS9_10device_ptrIsEEEENS0_8identityIsEEEE10hipError_tT2_T3_mT4_P12ihipStream_tbEUlT_E_NS1_11comp_targetILNS1_3genE2ELNS1_11target_archE906ELNS1_3gpuE6ELNS1_3repE0EEENS1_30default_config_static_selectorELNS0_4arch9wavefront6targetE1EEEvT1_.private_seg_size, 0
	.set _ZN7rocprim17ROCPRIM_400000_NS6detail17trampoline_kernelINS0_14default_configENS1_25transform_config_selectorIsLb0EEEZNS1_14transform_implILb0ES3_S5_PsN6thrust23THRUST_200600_302600_NS6detail15normal_iteratorINS9_10device_ptrIsEEEENS0_8identityIsEEEE10hipError_tT2_T3_mT4_P12ihipStream_tbEUlT_E_NS1_11comp_targetILNS1_3genE2ELNS1_11target_archE906ELNS1_3gpuE6ELNS1_3repE0EEENS1_30default_config_static_selectorELNS0_4arch9wavefront6targetE1EEEvT1_.uses_vcc, 0
	.set _ZN7rocprim17ROCPRIM_400000_NS6detail17trampoline_kernelINS0_14default_configENS1_25transform_config_selectorIsLb0EEEZNS1_14transform_implILb0ES3_S5_PsN6thrust23THRUST_200600_302600_NS6detail15normal_iteratorINS9_10device_ptrIsEEEENS0_8identityIsEEEE10hipError_tT2_T3_mT4_P12ihipStream_tbEUlT_E_NS1_11comp_targetILNS1_3genE2ELNS1_11target_archE906ELNS1_3gpuE6ELNS1_3repE0EEENS1_30default_config_static_selectorELNS0_4arch9wavefront6targetE1EEEvT1_.uses_flat_scratch, 0
	.set _ZN7rocprim17ROCPRIM_400000_NS6detail17trampoline_kernelINS0_14default_configENS1_25transform_config_selectorIsLb0EEEZNS1_14transform_implILb0ES3_S5_PsN6thrust23THRUST_200600_302600_NS6detail15normal_iteratorINS9_10device_ptrIsEEEENS0_8identityIsEEEE10hipError_tT2_T3_mT4_P12ihipStream_tbEUlT_E_NS1_11comp_targetILNS1_3genE2ELNS1_11target_archE906ELNS1_3gpuE6ELNS1_3repE0EEENS1_30default_config_static_selectorELNS0_4arch9wavefront6targetE1EEEvT1_.has_dyn_sized_stack, 0
	.set _ZN7rocprim17ROCPRIM_400000_NS6detail17trampoline_kernelINS0_14default_configENS1_25transform_config_selectorIsLb0EEEZNS1_14transform_implILb0ES3_S5_PsN6thrust23THRUST_200600_302600_NS6detail15normal_iteratorINS9_10device_ptrIsEEEENS0_8identityIsEEEE10hipError_tT2_T3_mT4_P12ihipStream_tbEUlT_E_NS1_11comp_targetILNS1_3genE2ELNS1_11target_archE906ELNS1_3gpuE6ELNS1_3repE0EEENS1_30default_config_static_selectorELNS0_4arch9wavefront6targetE1EEEvT1_.has_recursion, 0
	.set _ZN7rocprim17ROCPRIM_400000_NS6detail17trampoline_kernelINS0_14default_configENS1_25transform_config_selectorIsLb0EEEZNS1_14transform_implILb0ES3_S5_PsN6thrust23THRUST_200600_302600_NS6detail15normal_iteratorINS9_10device_ptrIsEEEENS0_8identityIsEEEE10hipError_tT2_T3_mT4_P12ihipStream_tbEUlT_E_NS1_11comp_targetILNS1_3genE2ELNS1_11target_archE906ELNS1_3gpuE6ELNS1_3repE0EEENS1_30default_config_static_selectorELNS0_4arch9wavefront6targetE1EEEvT1_.has_indirect_call, 0
	.section	.AMDGPU.csdata,"",@progbits
; Kernel info:
; codeLenInByte = 0
; TotalNumSgprs: 6
; NumVgprs: 0
; NumAgprs: 0
; TotalNumVgprs: 0
; ScratchSize: 0
; MemoryBound: 0
; FloatMode: 240
; IeeeMode: 1
; LDSByteSize: 0 bytes/workgroup (compile time only)
; SGPRBlocks: 0
; VGPRBlocks: 0
; NumSGPRsForWavesPerEU: 6
; NumVGPRsForWavesPerEU: 1
; AccumOffset: 4
; Occupancy: 8
; WaveLimiterHint : 0
; COMPUTE_PGM_RSRC2:SCRATCH_EN: 0
; COMPUTE_PGM_RSRC2:USER_SGPR: 2
; COMPUTE_PGM_RSRC2:TRAP_HANDLER: 0
; COMPUTE_PGM_RSRC2:TGID_X_EN: 1
; COMPUTE_PGM_RSRC2:TGID_Y_EN: 0
; COMPUTE_PGM_RSRC2:TGID_Z_EN: 0
; COMPUTE_PGM_RSRC2:TIDIG_COMP_CNT: 0
; COMPUTE_PGM_RSRC3_GFX90A:ACCUM_OFFSET: 0
; COMPUTE_PGM_RSRC3_GFX90A:TG_SPLIT: 0
	.section	.text._ZN7rocprim17ROCPRIM_400000_NS6detail17trampoline_kernelINS0_14default_configENS1_25transform_config_selectorIsLb0EEEZNS1_14transform_implILb0ES3_S5_PsN6thrust23THRUST_200600_302600_NS6detail15normal_iteratorINS9_10device_ptrIsEEEENS0_8identityIsEEEE10hipError_tT2_T3_mT4_P12ihipStream_tbEUlT_E_NS1_11comp_targetILNS1_3genE10ELNS1_11target_archE1201ELNS1_3gpuE5ELNS1_3repE0EEENS1_30default_config_static_selectorELNS0_4arch9wavefront6targetE1EEEvT1_,"axG",@progbits,_ZN7rocprim17ROCPRIM_400000_NS6detail17trampoline_kernelINS0_14default_configENS1_25transform_config_selectorIsLb0EEEZNS1_14transform_implILb0ES3_S5_PsN6thrust23THRUST_200600_302600_NS6detail15normal_iteratorINS9_10device_ptrIsEEEENS0_8identityIsEEEE10hipError_tT2_T3_mT4_P12ihipStream_tbEUlT_E_NS1_11comp_targetILNS1_3genE10ELNS1_11target_archE1201ELNS1_3gpuE5ELNS1_3repE0EEENS1_30default_config_static_selectorELNS0_4arch9wavefront6targetE1EEEvT1_,comdat
	.protected	_ZN7rocprim17ROCPRIM_400000_NS6detail17trampoline_kernelINS0_14default_configENS1_25transform_config_selectorIsLb0EEEZNS1_14transform_implILb0ES3_S5_PsN6thrust23THRUST_200600_302600_NS6detail15normal_iteratorINS9_10device_ptrIsEEEENS0_8identityIsEEEE10hipError_tT2_T3_mT4_P12ihipStream_tbEUlT_E_NS1_11comp_targetILNS1_3genE10ELNS1_11target_archE1201ELNS1_3gpuE5ELNS1_3repE0EEENS1_30default_config_static_selectorELNS0_4arch9wavefront6targetE1EEEvT1_ ; -- Begin function _ZN7rocprim17ROCPRIM_400000_NS6detail17trampoline_kernelINS0_14default_configENS1_25transform_config_selectorIsLb0EEEZNS1_14transform_implILb0ES3_S5_PsN6thrust23THRUST_200600_302600_NS6detail15normal_iteratorINS9_10device_ptrIsEEEENS0_8identityIsEEEE10hipError_tT2_T3_mT4_P12ihipStream_tbEUlT_E_NS1_11comp_targetILNS1_3genE10ELNS1_11target_archE1201ELNS1_3gpuE5ELNS1_3repE0EEENS1_30default_config_static_selectorELNS0_4arch9wavefront6targetE1EEEvT1_
	.globl	_ZN7rocprim17ROCPRIM_400000_NS6detail17trampoline_kernelINS0_14default_configENS1_25transform_config_selectorIsLb0EEEZNS1_14transform_implILb0ES3_S5_PsN6thrust23THRUST_200600_302600_NS6detail15normal_iteratorINS9_10device_ptrIsEEEENS0_8identityIsEEEE10hipError_tT2_T3_mT4_P12ihipStream_tbEUlT_E_NS1_11comp_targetILNS1_3genE10ELNS1_11target_archE1201ELNS1_3gpuE5ELNS1_3repE0EEENS1_30default_config_static_selectorELNS0_4arch9wavefront6targetE1EEEvT1_
	.p2align	8
	.type	_ZN7rocprim17ROCPRIM_400000_NS6detail17trampoline_kernelINS0_14default_configENS1_25transform_config_selectorIsLb0EEEZNS1_14transform_implILb0ES3_S5_PsN6thrust23THRUST_200600_302600_NS6detail15normal_iteratorINS9_10device_ptrIsEEEENS0_8identityIsEEEE10hipError_tT2_T3_mT4_P12ihipStream_tbEUlT_E_NS1_11comp_targetILNS1_3genE10ELNS1_11target_archE1201ELNS1_3gpuE5ELNS1_3repE0EEENS1_30default_config_static_selectorELNS0_4arch9wavefront6targetE1EEEvT1_,@function
_ZN7rocprim17ROCPRIM_400000_NS6detail17trampoline_kernelINS0_14default_configENS1_25transform_config_selectorIsLb0EEEZNS1_14transform_implILb0ES3_S5_PsN6thrust23THRUST_200600_302600_NS6detail15normal_iteratorINS9_10device_ptrIsEEEENS0_8identityIsEEEE10hipError_tT2_T3_mT4_P12ihipStream_tbEUlT_E_NS1_11comp_targetILNS1_3genE10ELNS1_11target_archE1201ELNS1_3gpuE5ELNS1_3repE0EEENS1_30default_config_static_selectorELNS0_4arch9wavefront6targetE1EEEvT1_: ; @_ZN7rocprim17ROCPRIM_400000_NS6detail17trampoline_kernelINS0_14default_configENS1_25transform_config_selectorIsLb0EEEZNS1_14transform_implILb0ES3_S5_PsN6thrust23THRUST_200600_302600_NS6detail15normal_iteratorINS9_10device_ptrIsEEEENS0_8identityIsEEEE10hipError_tT2_T3_mT4_P12ihipStream_tbEUlT_E_NS1_11comp_targetILNS1_3genE10ELNS1_11target_archE1201ELNS1_3gpuE5ELNS1_3repE0EEENS1_30default_config_static_selectorELNS0_4arch9wavefront6targetE1EEEvT1_
; %bb.0:
	.section	.rodata,"a",@progbits
	.p2align	6, 0x0
	.amdhsa_kernel _ZN7rocprim17ROCPRIM_400000_NS6detail17trampoline_kernelINS0_14default_configENS1_25transform_config_selectorIsLb0EEEZNS1_14transform_implILb0ES3_S5_PsN6thrust23THRUST_200600_302600_NS6detail15normal_iteratorINS9_10device_ptrIsEEEENS0_8identityIsEEEE10hipError_tT2_T3_mT4_P12ihipStream_tbEUlT_E_NS1_11comp_targetILNS1_3genE10ELNS1_11target_archE1201ELNS1_3gpuE5ELNS1_3repE0EEENS1_30default_config_static_selectorELNS0_4arch9wavefront6targetE1EEEvT1_
		.amdhsa_group_segment_fixed_size 0
		.amdhsa_private_segment_fixed_size 0
		.amdhsa_kernarg_size 40
		.amdhsa_user_sgpr_count 2
		.amdhsa_user_sgpr_dispatch_ptr 0
		.amdhsa_user_sgpr_queue_ptr 0
		.amdhsa_user_sgpr_kernarg_segment_ptr 1
		.amdhsa_user_sgpr_dispatch_id 0
		.amdhsa_user_sgpr_kernarg_preload_length 0
		.amdhsa_user_sgpr_kernarg_preload_offset 0
		.amdhsa_user_sgpr_private_segment_size 0
		.amdhsa_uses_dynamic_stack 0
		.amdhsa_enable_private_segment 0
		.amdhsa_system_sgpr_workgroup_id_x 1
		.amdhsa_system_sgpr_workgroup_id_y 0
		.amdhsa_system_sgpr_workgroup_id_z 0
		.amdhsa_system_sgpr_workgroup_info 0
		.amdhsa_system_vgpr_workitem_id 0
		.amdhsa_next_free_vgpr 1
		.amdhsa_next_free_sgpr 0
		.amdhsa_accum_offset 4
		.amdhsa_reserve_vcc 0
		.amdhsa_float_round_mode_32 0
		.amdhsa_float_round_mode_16_64 0
		.amdhsa_float_denorm_mode_32 3
		.amdhsa_float_denorm_mode_16_64 3
		.amdhsa_dx10_clamp 1
		.amdhsa_ieee_mode 1
		.amdhsa_fp16_overflow 0
		.amdhsa_tg_split 0
		.amdhsa_exception_fp_ieee_invalid_op 0
		.amdhsa_exception_fp_denorm_src 0
		.amdhsa_exception_fp_ieee_div_zero 0
		.amdhsa_exception_fp_ieee_overflow 0
		.amdhsa_exception_fp_ieee_underflow 0
		.amdhsa_exception_fp_ieee_inexact 0
		.amdhsa_exception_int_div_zero 0
	.end_amdhsa_kernel
	.section	.text._ZN7rocprim17ROCPRIM_400000_NS6detail17trampoline_kernelINS0_14default_configENS1_25transform_config_selectorIsLb0EEEZNS1_14transform_implILb0ES3_S5_PsN6thrust23THRUST_200600_302600_NS6detail15normal_iteratorINS9_10device_ptrIsEEEENS0_8identityIsEEEE10hipError_tT2_T3_mT4_P12ihipStream_tbEUlT_E_NS1_11comp_targetILNS1_3genE10ELNS1_11target_archE1201ELNS1_3gpuE5ELNS1_3repE0EEENS1_30default_config_static_selectorELNS0_4arch9wavefront6targetE1EEEvT1_,"axG",@progbits,_ZN7rocprim17ROCPRIM_400000_NS6detail17trampoline_kernelINS0_14default_configENS1_25transform_config_selectorIsLb0EEEZNS1_14transform_implILb0ES3_S5_PsN6thrust23THRUST_200600_302600_NS6detail15normal_iteratorINS9_10device_ptrIsEEEENS0_8identityIsEEEE10hipError_tT2_T3_mT4_P12ihipStream_tbEUlT_E_NS1_11comp_targetILNS1_3genE10ELNS1_11target_archE1201ELNS1_3gpuE5ELNS1_3repE0EEENS1_30default_config_static_selectorELNS0_4arch9wavefront6targetE1EEEvT1_,comdat
.Lfunc_end1563:
	.size	_ZN7rocprim17ROCPRIM_400000_NS6detail17trampoline_kernelINS0_14default_configENS1_25transform_config_selectorIsLb0EEEZNS1_14transform_implILb0ES3_S5_PsN6thrust23THRUST_200600_302600_NS6detail15normal_iteratorINS9_10device_ptrIsEEEENS0_8identityIsEEEE10hipError_tT2_T3_mT4_P12ihipStream_tbEUlT_E_NS1_11comp_targetILNS1_3genE10ELNS1_11target_archE1201ELNS1_3gpuE5ELNS1_3repE0EEENS1_30default_config_static_selectorELNS0_4arch9wavefront6targetE1EEEvT1_, .Lfunc_end1563-_ZN7rocprim17ROCPRIM_400000_NS6detail17trampoline_kernelINS0_14default_configENS1_25transform_config_selectorIsLb0EEEZNS1_14transform_implILb0ES3_S5_PsN6thrust23THRUST_200600_302600_NS6detail15normal_iteratorINS9_10device_ptrIsEEEENS0_8identityIsEEEE10hipError_tT2_T3_mT4_P12ihipStream_tbEUlT_E_NS1_11comp_targetILNS1_3genE10ELNS1_11target_archE1201ELNS1_3gpuE5ELNS1_3repE0EEENS1_30default_config_static_selectorELNS0_4arch9wavefront6targetE1EEEvT1_
                                        ; -- End function
	.set _ZN7rocprim17ROCPRIM_400000_NS6detail17trampoline_kernelINS0_14default_configENS1_25transform_config_selectorIsLb0EEEZNS1_14transform_implILb0ES3_S5_PsN6thrust23THRUST_200600_302600_NS6detail15normal_iteratorINS9_10device_ptrIsEEEENS0_8identityIsEEEE10hipError_tT2_T3_mT4_P12ihipStream_tbEUlT_E_NS1_11comp_targetILNS1_3genE10ELNS1_11target_archE1201ELNS1_3gpuE5ELNS1_3repE0EEENS1_30default_config_static_selectorELNS0_4arch9wavefront6targetE1EEEvT1_.num_vgpr, 0
	.set _ZN7rocprim17ROCPRIM_400000_NS6detail17trampoline_kernelINS0_14default_configENS1_25transform_config_selectorIsLb0EEEZNS1_14transform_implILb0ES3_S5_PsN6thrust23THRUST_200600_302600_NS6detail15normal_iteratorINS9_10device_ptrIsEEEENS0_8identityIsEEEE10hipError_tT2_T3_mT4_P12ihipStream_tbEUlT_E_NS1_11comp_targetILNS1_3genE10ELNS1_11target_archE1201ELNS1_3gpuE5ELNS1_3repE0EEENS1_30default_config_static_selectorELNS0_4arch9wavefront6targetE1EEEvT1_.num_agpr, 0
	.set _ZN7rocprim17ROCPRIM_400000_NS6detail17trampoline_kernelINS0_14default_configENS1_25transform_config_selectorIsLb0EEEZNS1_14transform_implILb0ES3_S5_PsN6thrust23THRUST_200600_302600_NS6detail15normal_iteratorINS9_10device_ptrIsEEEENS0_8identityIsEEEE10hipError_tT2_T3_mT4_P12ihipStream_tbEUlT_E_NS1_11comp_targetILNS1_3genE10ELNS1_11target_archE1201ELNS1_3gpuE5ELNS1_3repE0EEENS1_30default_config_static_selectorELNS0_4arch9wavefront6targetE1EEEvT1_.numbered_sgpr, 0
	.set _ZN7rocprim17ROCPRIM_400000_NS6detail17trampoline_kernelINS0_14default_configENS1_25transform_config_selectorIsLb0EEEZNS1_14transform_implILb0ES3_S5_PsN6thrust23THRUST_200600_302600_NS6detail15normal_iteratorINS9_10device_ptrIsEEEENS0_8identityIsEEEE10hipError_tT2_T3_mT4_P12ihipStream_tbEUlT_E_NS1_11comp_targetILNS1_3genE10ELNS1_11target_archE1201ELNS1_3gpuE5ELNS1_3repE0EEENS1_30default_config_static_selectorELNS0_4arch9wavefront6targetE1EEEvT1_.num_named_barrier, 0
	.set _ZN7rocprim17ROCPRIM_400000_NS6detail17trampoline_kernelINS0_14default_configENS1_25transform_config_selectorIsLb0EEEZNS1_14transform_implILb0ES3_S5_PsN6thrust23THRUST_200600_302600_NS6detail15normal_iteratorINS9_10device_ptrIsEEEENS0_8identityIsEEEE10hipError_tT2_T3_mT4_P12ihipStream_tbEUlT_E_NS1_11comp_targetILNS1_3genE10ELNS1_11target_archE1201ELNS1_3gpuE5ELNS1_3repE0EEENS1_30default_config_static_selectorELNS0_4arch9wavefront6targetE1EEEvT1_.private_seg_size, 0
	.set _ZN7rocprim17ROCPRIM_400000_NS6detail17trampoline_kernelINS0_14default_configENS1_25transform_config_selectorIsLb0EEEZNS1_14transform_implILb0ES3_S5_PsN6thrust23THRUST_200600_302600_NS6detail15normal_iteratorINS9_10device_ptrIsEEEENS0_8identityIsEEEE10hipError_tT2_T3_mT4_P12ihipStream_tbEUlT_E_NS1_11comp_targetILNS1_3genE10ELNS1_11target_archE1201ELNS1_3gpuE5ELNS1_3repE0EEENS1_30default_config_static_selectorELNS0_4arch9wavefront6targetE1EEEvT1_.uses_vcc, 0
	.set _ZN7rocprim17ROCPRIM_400000_NS6detail17trampoline_kernelINS0_14default_configENS1_25transform_config_selectorIsLb0EEEZNS1_14transform_implILb0ES3_S5_PsN6thrust23THRUST_200600_302600_NS6detail15normal_iteratorINS9_10device_ptrIsEEEENS0_8identityIsEEEE10hipError_tT2_T3_mT4_P12ihipStream_tbEUlT_E_NS1_11comp_targetILNS1_3genE10ELNS1_11target_archE1201ELNS1_3gpuE5ELNS1_3repE0EEENS1_30default_config_static_selectorELNS0_4arch9wavefront6targetE1EEEvT1_.uses_flat_scratch, 0
	.set _ZN7rocprim17ROCPRIM_400000_NS6detail17trampoline_kernelINS0_14default_configENS1_25transform_config_selectorIsLb0EEEZNS1_14transform_implILb0ES3_S5_PsN6thrust23THRUST_200600_302600_NS6detail15normal_iteratorINS9_10device_ptrIsEEEENS0_8identityIsEEEE10hipError_tT2_T3_mT4_P12ihipStream_tbEUlT_E_NS1_11comp_targetILNS1_3genE10ELNS1_11target_archE1201ELNS1_3gpuE5ELNS1_3repE0EEENS1_30default_config_static_selectorELNS0_4arch9wavefront6targetE1EEEvT1_.has_dyn_sized_stack, 0
	.set _ZN7rocprim17ROCPRIM_400000_NS6detail17trampoline_kernelINS0_14default_configENS1_25transform_config_selectorIsLb0EEEZNS1_14transform_implILb0ES3_S5_PsN6thrust23THRUST_200600_302600_NS6detail15normal_iteratorINS9_10device_ptrIsEEEENS0_8identityIsEEEE10hipError_tT2_T3_mT4_P12ihipStream_tbEUlT_E_NS1_11comp_targetILNS1_3genE10ELNS1_11target_archE1201ELNS1_3gpuE5ELNS1_3repE0EEENS1_30default_config_static_selectorELNS0_4arch9wavefront6targetE1EEEvT1_.has_recursion, 0
	.set _ZN7rocprim17ROCPRIM_400000_NS6detail17trampoline_kernelINS0_14default_configENS1_25transform_config_selectorIsLb0EEEZNS1_14transform_implILb0ES3_S5_PsN6thrust23THRUST_200600_302600_NS6detail15normal_iteratorINS9_10device_ptrIsEEEENS0_8identityIsEEEE10hipError_tT2_T3_mT4_P12ihipStream_tbEUlT_E_NS1_11comp_targetILNS1_3genE10ELNS1_11target_archE1201ELNS1_3gpuE5ELNS1_3repE0EEENS1_30default_config_static_selectorELNS0_4arch9wavefront6targetE1EEEvT1_.has_indirect_call, 0
	.section	.AMDGPU.csdata,"",@progbits
; Kernel info:
; codeLenInByte = 0
; TotalNumSgprs: 6
; NumVgprs: 0
; NumAgprs: 0
; TotalNumVgprs: 0
; ScratchSize: 0
; MemoryBound: 0
; FloatMode: 240
; IeeeMode: 1
; LDSByteSize: 0 bytes/workgroup (compile time only)
; SGPRBlocks: 0
; VGPRBlocks: 0
; NumSGPRsForWavesPerEU: 6
; NumVGPRsForWavesPerEU: 1
; AccumOffset: 4
; Occupancy: 8
; WaveLimiterHint : 0
; COMPUTE_PGM_RSRC2:SCRATCH_EN: 0
; COMPUTE_PGM_RSRC2:USER_SGPR: 2
; COMPUTE_PGM_RSRC2:TRAP_HANDLER: 0
; COMPUTE_PGM_RSRC2:TGID_X_EN: 1
; COMPUTE_PGM_RSRC2:TGID_Y_EN: 0
; COMPUTE_PGM_RSRC2:TGID_Z_EN: 0
; COMPUTE_PGM_RSRC2:TIDIG_COMP_CNT: 0
; COMPUTE_PGM_RSRC3_GFX90A:ACCUM_OFFSET: 0
; COMPUTE_PGM_RSRC3_GFX90A:TG_SPLIT: 0
	.section	.text._ZN7rocprim17ROCPRIM_400000_NS6detail17trampoline_kernelINS0_14default_configENS1_25transform_config_selectorIsLb0EEEZNS1_14transform_implILb0ES3_S5_PsN6thrust23THRUST_200600_302600_NS6detail15normal_iteratorINS9_10device_ptrIsEEEENS0_8identityIsEEEE10hipError_tT2_T3_mT4_P12ihipStream_tbEUlT_E_NS1_11comp_targetILNS1_3genE10ELNS1_11target_archE1200ELNS1_3gpuE4ELNS1_3repE0EEENS1_30default_config_static_selectorELNS0_4arch9wavefront6targetE1EEEvT1_,"axG",@progbits,_ZN7rocprim17ROCPRIM_400000_NS6detail17trampoline_kernelINS0_14default_configENS1_25transform_config_selectorIsLb0EEEZNS1_14transform_implILb0ES3_S5_PsN6thrust23THRUST_200600_302600_NS6detail15normal_iteratorINS9_10device_ptrIsEEEENS0_8identityIsEEEE10hipError_tT2_T3_mT4_P12ihipStream_tbEUlT_E_NS1_11comp_targetILNS1_3genE10ELNS1_11target_archE1200ELNS1_3gpuE4ELNS1_3repE0EEENS1_30default_config_static_selectorELNS0_4arch9wavefront6targetE1EEEvT1_,comdat
	.protected	_ZN7rocprim17ROCPRIM_400000_NS6detail17trampoline_kernelINS0_14default_configENS1_25transform_config_selectorIsLb0EEEZNS1_14transform_implILb0ES3_S5_PsN6thrust23THRUST_200600_302600_NS6detail15normal_iteratorINS9_10device_ptrIsEEEENS0_8identityIsEEEE10hipError_tT2_T3_mT4_P12ihipStream_tbEUlT_E_NS1_11comp_targetILNS1_3genE10ELNS1_11target_archE1200ELNS1_3gpuE4ELNS1_3repE0EEENS1_30default_config_static_selectorELNS0_4arch9wavefront6targetE1EEEvT1_ ; -- Begin function _ZN7rocprim17ROCPRIM_400000_NS6detail17trampoline_kernelINS0_14default_configENS1_25transform_config_selectorIsLb0EEEZNS1_14transform_implILb0ES3_S5_PsN6thrust23THRUST_200600_302600_NS6detail15normal_iteratorINS9_10device_ptrIsEEEENS0_8identityIsEEEE10hipError_tT2_T3_mT4_P12ihipStream_tbEUlT_E_NS1_11comp_targetILNS1_3genE10ELNS1_11target_archE1200ELNS1_3gpuE4ELNS1_3repE0EEENS1_30default_config_static_selectorELNS0_4arch9wavefront6targetE1EEEvT1_
	.globl	_ZN7rocprim17ROCPRIM_400000_NS6detail17trampoline_kernelINS0_14default_configENS1_25transform_config_selectorIsLb0EEEZNS1_14transform_implILb0ES3_S5_PsN6thrust23THRUST_200600_302600_NS6detail15normal_iteratorINS9_10device_ptrIsEEEENS0_8identityIsEEEE10hipError_tT2_T3_mT4_P12ihipStream_tbEUlT_E_NS1_11comp_targetILNS1_3genE10ELNS1_11target_archE1200ELNS1_3gpuE4ELNS1_3repE0EEENS1_30default_config_static_selectorELNS0_4arch9wavefront6targetE1EEEvT1_
	.p2align	8
	.type	_ZN7rocprim17ROCPRIM_400000_NS6detail17trampoline_kernelINS0_14default_configENS1_25transform_config_selectorIsLb0EEEZNS1_14transform_implILb0ES3_S5_PsN6thrust23THRUST_200600_302600_NS6detail15normal_iteratorINS9_10device_ptrIsEEEENS0_8identityIsEEEE10hipError_tT2_T3_mT4_P12ihipStream_tbEUlT_E_NS1_11comp_targetILNS1_3genE10ELNS1_11target_archE1200ELNS1_3gpuE4ELNS1_3repE0EEENS1_30default_config_static_selectorELNS0_4arch9wavefront6targetE1EEEvT1_,@function
_ZN7rocprim17ROCPRIM_400000_NS6detail17trampoline_kernelINS0_14default_configENS1_25transform_config_selectorIsLb0EEEZNS1_14transform_implILb0ES3_S5_PsN6thrust23THRUST_200600_302600_NS6detail15normal_iteratorINS9_10device_ptrIsEEEENS0_8identityIsEEEE10hipError_tT2_T3_mT4_P12ihipStream_tbEUlT_E_NS1_11comp_targetILNS1_3genE10ELNS1_11target_archE1200ELNS1_3gpuE4ELNS1_3repE0EEENS1_30default_config_static_selectorELNS0_4arch9wavefront6targetE1EEEvT1_: ; @_ZN7rocprim17ROCPRIM_400000_NS6detail17trampoline_kernelINS0_14default_configENS1_25transform_config_selectorIsLb0EEEZNS1_14transform_implILb0ES3_S5_PsN6thrust23THRUST_200600_302600_NS6detail15normal_iteratorINS9_10device_ptrIsEEEENS0_8identityIsEEEE10hipError_tT2_T3_mT4_P12ihipStream_tbEUlT_E_NS1_11comp_targetILNS1_3genE10ELNS1_11target_archE1200ELNS1_3gpuE4ELNS1_3repE0EEENS1_30default_config_static_selectorELNS0_4arch9wavefront6targetE1EEEvT1_
; %bb.0:
	.section	.rodata,"a",@progbits
	.p2align	6, 0x0
	.amdhsa_kernel _ZN7rocprim17ROCPRIM_400000_NS6detail17trampoline_kernelINS0_14default_configENS1_25transform_config_selectorIsLb0EEEZNS1_14transform_implILb0ES3_S5_PsN6thrust23THRUST_200600_302600_NS6detail15normal_iteratorINS9_10device_ptrIsEEEENS0_8identityIsEEEE10hipError_tT2_T3_mT4_P12ihipStream_tbEUlT_E_NS1_11comp_targetILNS1_3genE10ELNS1_11target_archE1200ELNS1_3gpuE4ELNS1_3repE0EEENS1_30default_config_static_selectorELNS0_4arch9wavefront6targetE1EEEvT1_
		.amdhsa_group_segment_fixed_size 0
		.amdhsa_private_segment_fixed_size 0
		.amdhsa_kernarg_size 40
		.amdhsa_user_sgpr_count 2
		.amdhsa_user_sgpr_dispatch_ptr 0
		.amdhsa_user_sgpr_queue_ptr 0
		.amdhsa_user_sgpr_kernarg_segment_ptr 1
		.amdhsa_user_sgpr_dispatch_id 0
		.amdhsa_user_sgpr_kernarg_preload_length 0
		.amdhsa_user_sgpr_kernarg_preload_offset 0
		.amdhsa_user_sgpr_private_segment_size 0
		.amdhsa_uses_dynamic_stack 0
		.amdhsa_enable_private_segment 0
		.amdhsa_system_sgpr_workgroup_id_x 1
		.amdhsa_system_sgpr_workgroup_id_y 0
		.amdhsa_system_sgpr_workgroup_id_z 0
		.amdhsa_system_sgpr_workgroup_info 0
		.amdhsa_system_vgpr_workitem_id 0
		.amdhsa_next_free_vgpr 1
		.amdhsa_next_free_sgpr 0
		.amdhsa_accum_offset 4
		.amdhsa_reserve_vcc 0
		.amdhsa_float_round_mode_32 0
		.amdhsa_float_round_mode_16_64 0
		.amdhsa_float_denorm_mode_32 3
		.amdhsa_float_denorm_mode_16_64 3
		.amdhsa_dx10_clamp 1
		.amdhsa_ieee_mode 1
		.amdhsa_fp16_overflow 0
		.amdhsa_tg_split 0
		.amdhsa_exception_fp_ieee_invalid_op 0
		.amdhsa_exception_fp_denorm_src 0
		.amdhsa_exception_fp_ieee_div_zero 0
		.amdhsa_exception_fp_ieee_overflow 0
		.amdhsa_exception_fp_ieee_underflow 0
		.amdhsa_exception_fp_ieee_inexact 0
		.amdhsa_exception_int_div_zero 0
	.end_amdhsa_kernel
	.section	.text._ZN7rocprim17ROCPRIM_400000_NS6detail17trampoline_kernelINS0_14default_configENS1_25transform_config_selectorIsLb0EEEZNS1_14transform_implILb0ES3_S5_PsN6thrust23THRUST_200600_302600_NS6detail15normal_iteratorINS9_10device_ptrIsEEEENS0_8identityIsEEEE10hipError_tT2_T3_mT4_P12ihipStream_tbEUlT_E_NS1_11comp_targetILNS1_3genE10ELNS1_11target_archE1200ELNS1_3gpuE4ELNS1_3repE0EEENS1_30default_config_static_selectorELNS0_4arch9wavefront6targetE1EEEvT1_,"axG",@progbits,_ZN7rocprim17ROCPRIM_400000_NS6detail17trampoline_kernelINS0_14default_configENS1_25transform_config_selectorIsLb0EEEZNS1_14transform_implILb0ES3_S5_PsN6thrust23THRUST_200600_302600_NS6detail15normal_iteratorINS9_10device_ptrIsEEEENS0_8identityIsEEEE10hipError_tT2_T3_mT4_P12ihipStream_tbEUlT_E_NS1_11comp_targetILNS1_3genE10ELNS1_11target_archE1200ELNS1_3gpuE4ELNS1_3repE0EEENS1_30default_config_static_selectorELNS0_4arch9wavefront6targetE1EEEvT1_,comdat
.Lfunc_end1564:
	.size	_ZN7rocprim17ROCPRIM_400000_NS6detail17trampoline_kernelINS0_14default_configENS1_25transform_config_selectorIsLb0EEEZNS1_14transform_implILb0ES3_S5_PsN6thrust23THRUST_200600_302600_NS6detail15normal_iteratorINS9_10device_ptrIsEEEENS0_8identityIsEEEE10hipError_tT2_T3_mT4_P12ihipStream_tbEUlT_E_NS1_11comp_targetILNS1_3genE10ELNS1_11target_archE1200ELNS1_3gpuE4ELNS1_3repE0EEENS1_30default_config_static_selectorELNS0_4arch9wavefront6targetE1EEEvT1_, .Lfunc_end1564-_ZN7rocprim17ROCPRIM_400000_NS6detail17trampoline_kernelINS0_14default_configENS1_25transform_config_selectorIsLb0EEEZNS1_14transform_implILb0ES3_S5_PsN6thrust23THRUST_200600_302600_NS6detail15normal_iteratorINS9_10device_ptrIsEEEENS0_8identityIsEEEE10hipError_tT2_T3_mT4_P12ihipStream_tbEUlT_E_NS1_11comp_targetILNS1_3genE10ELNS1_11target_archE1200ELNS1_3gpuE4ELNS1_3repE0EEENS1_30default_config_static_selectorELNS0_4arch9wavefront6targetE1EEEvT1_
                                        ; -- End function
	.set _ZN7rocprim17ROCPRIM_400000_NS6detail17trampoline_kernelINS0_14default_configENS1_25transform_config_selectorIsLb0EEEZNS1_14transform_implILb0ES3_S5_PsN6thrust23THRUST_200600_302600_NS6detail15normal_iteratorINS9_10device_ptrIsEEEENS0_8identityIsEEEE10hipError_tT2_T3_mT4_P12ihipStream_tbEUlT_E_NS1_11comp_targetILNS1_3genE10ELNS1_11target_archE1200ELNS1_3gpuE4ELNS1_3repE0EEENS1_30default_config_static_selectorELNS0_4arch9wavefront6targetE1EEEvT1_.num_vgpr, 0
	.set _ZN7rocprim17ROCPRIM_400000_NS6detail17trampoline_kernelINS0_14default_configENS1_25transform_config_selectorIsLb0EEEZNS1_14transform_implILb0ES3_S5_PsN6thrust23THRUST_200600_302600_NS6detail15normal_iteratorINS9_10device_ptrIsEEEENS0_8identityIsEEEE10hipError_tT2_T3_mT4_P12ihipStream_tbEUlT_E_NS1_11comp_targetILNS1_3genE10ELNS1_11target_archE1200ELNS1_3gpuE4ELNS1_3repE0EEENS1_30default_config_static_selectorELNS0_4arch9wavefront6targetE1EEEvT1_.num_agpr, 0
	.set _ZN7rocprim17ROCPRIM_400000_NS6detail17trampoline_kernelINS0_14default_configENS1_25transform_config_selectorIsLb0EEEZNS1_14transform_implILb0ES3_S5_PsN6thrust23THRUST_200600_302600_NS6detail15normal_iteratorINS9_10device_ptrIsEEEENS0_8identityIsEEEE10hipError_tT2_T3_mT4_P12ihipStream_tbEUlT_E_NS1_11comp_targetILNS1_3genE10ELNS1_11target_archE1200ELNS1_3gpuE4ELNS1_3repE0EEENS1_30default_config_static_selectorELNS0_4arch9wavefront6targetE1EEEvT1_.numbered_sgpr, 0
	.set _ZN7rocprim17ROCPRIM_400000_NS6detail17trampoline_kernelINS0_14default_configENS1_25transform_config_selectorIsLb0EEEZNS1_14transform_implILb0ES3_S5_PsN6thrust23THRUST_200600_302600_NS6detail15normal_iteratorINS9_10device_ptrIsEEEENS0_8identityIsEEEE10hipError_tT2_T3_mT4_P12ihipStream_tbEUlT_E_NS1_11comp_targetILNS1_3genE10ELNS1_11target_archE1200ELNS1_3gpuE4ELNS1_3repE0EEENS1_30default_config_static_selectorELNS0_4arch9wavefront6targetE1EEEvT1_.num_named_barrier, 0
	.set _ZN7rocprim17ROCPRIM_400000_NS6detail17trampoline_kernelINS0_14default_configENS1_25transform_config_selectorIsLb0EEEZNS1_14transform_implILb0ES3_S5_PsN6thrust23THRUST_200600_302600_NS6detail15normal_iteratorINS9_10device_ptrIsEEEENS0_8identityIsEEEE10hipError_tT2_T3_mT4_P12ihipStream_tbEUlT_E_NS1_11comp_targetILNS1_3genE10ELNS1_11target_archE1200ELNS1_3gpuE4ELNS1_3repE0EEENS1_30default_config_static_selectorELNS0_4arch9wavefront6targetE1EEEvT1_.private_seg_size, 0
	.set _ZN7rocprim17ROCPRIM_400000_NS6detail17trampoline_kernelINS0_14default_configENS1_25transform_config_selectorIsLb0EEEZNS1_14transform_implILb0ES3_S5_PsN6thrust23THRUST_200600_302600_NS6detail15normal_iteratorINS9_10device_ptrIsEEEENS0_8identityIsEEEE10hipError_tT2_T3_mT4_P12ihipStream_tbEUlT_E_NS1_11comp_targetILNS1_3genE10ELNS1_11target_archE1200ELNS1_3gpuE4ELNS1_3repE0EEENS1_30default_config_static_selectorELNS0_4arch9wavefront6targetE1EEEvT1_.uses_vcc, 0
	.set _ZN7rocprim17ROCPRIM_400000_NS6detail17trampoline_kernelINS0_14default_configENS1_25transform_config_selectorIsLb0EEEZNS1_14transform_implILb0ES3_S5_PsN6thrust23THRUST_200600_302600_NS6detail15normal_iteratorINS9_10device_ptrIsEEEENS0_8identityIsEEEE10hipError_tT2_T3_mT4_P12ihipStream_tbEUlT_E_NS1_11comp_targetILNS1_3genE10ELNS1_11target_archE1200ELNS1_3gpuE4ELNS1_3repE0EEENS1_30default_config_static_selectorELNS0_4arch9wavefront6targetE1EEEvT1_.uses_flat_scratch, 0
	.set _ZN7rocprim17ROCPRIM_400000_NS6detail17trampoline_kernelINS0_14default_configENS1_25transform_config_selectorIsLb0EEEZNS1_14transform_implILb0ES3_S5_PsN6thrust23THRUST_200600_302600_NS6detail15normal_iteratorINS9_10device_ptrIsEEEENS0_8identityIsEEEE10hipError_tT2_T3_mT4_P12ihipStream_tbEUlT_E_NS1_11comp_targetILNS1_3genE10ELNS1_11target_archE1200ELNS1_3gpuE4ELNS1_3repE0EEENS1_30default_config_static_selectorELNS0_4arch9wavefront6targetE1EEEvT1_.has_dyn_sized_stack, 0
	.set _ZN7rocprim17ROCPRIM_400000_NS6detail17trampoline_kernelINS0_14default_configENS1_25transform_config_selectorIsLb0EEEZNS1_14transform_implILb0ES3_S5_PsN6thrust23THRUST_200600_302600_NS6detail15normal_iteratorINS9_10device_ptrIsEEEENS0_8identityIsEEEE10hipError_tT2_T3_mT4_P12ihipStream_tbEUlT_E_NS1_11comp_targetILNS1_3genE10ELNS1_11target_archE1200ELNS1_3gpuE4ELNS1_3repE0EEENS1_30default_config_static_selectorELNS0_4arch9wavefront6targetE1EEEvT1_.has_recursion, 0
	.set _ZN7rocprim17ROCPRIM_400000_NS6detail17trampoline_kernelINS0_14default_configENS1_25transform_config_selectorIsLb0EEEZNS1_14transform_implILb0ES3_S5_PsN6thrust23THRUST_200600_302600_NS6detail15normal_iteratorINS9_10device_ptrIsEEEENS0_8identityIsEEEE10hipError_tT2_T3_mT4_P12ihipStream_tbEUlT_E_NS1_11comp_targetILNS1_3genE10ELNS1_11target_archE1200ELNS1_3gpuE4ELNS1_3repE0EEENS1_30default_config_static_selectorELNS0_4arch9wavefront6targetE1EEEvT1_.has_indirect_call, 0
	.section	.AMDGPU.csdata,"",@progbits
; Kernel info:
; codeLenInByte = 0
; TotalNumSgprs: 6
; NumVgprs: 0
; NumAgprs: 0
; TotalNumVgprs: 0
; ScratchSize: 0
; MemoryBound: 0
; FloatMode: 240
; IeeeMode: 1
; LDSByteSize: 0 bytes/workgroup (compile time only)
; SGPRBlocks: 0
; VGPRBlocks: 0
; NumSGPRsForWavesPerEU: 6
; NumVGPRsForWavesPerEU: 1
; AccumOffset: 4
; Occupancy: 8
; WaveLimiterHint : 0
; COMPUTE_PGM_RSRC2:SCRATCH_EN: 0
; COMPUTE_PGM_RSRC2:USER_SGPR: 2
; COMPUTE_PGM_RSRC2:TRAP_HANDLER: 0
; COMPUTE_PGM_RSRC2:TGID_X_EN: 1
; COMPUTE_PGM_RSRC2:TGID_Y_EN: 0
; COMPUTE_PGM_RSRC2:TGID_Z_EN: 0
; COMPUTE_PGM_RSRC2:TIDIG_COMP_CNT: 0
; COMPUTE_PGM_RSRC3_GFX90A:ACCUM_OFFSET: 0
; COMPUTE_PGM_RSRC3_GFX90A:TG_SPLIT: 0
	.section	.text._ZN7rocprim17ROCPRIM_400000_NS6detail17trampoline_kernelINS0_14default_configENS1_25transform_config_selectorIsLb0EEEZNS1_14transform_implILb0ES3_S5_PsN6thrust23THRUST_200600_302600_NS6detail15normal_iteratorINS9_10device_ptrIsEEEENS0_8identityIsEEEE10hipError_tT2_T3_mT4_P12ihipStream_tbEUlT_E_NS1_11comp_targetILNS1_3genE9ELNS1_11target_archE1100ELNS1_3gpuE3ELNS1_3repE0EEENS1_30default_config_static_selectorELNS0_4arch9wavefront6targetE1EEEvT1_,"axG",@progbits,_ZN7rocprim17ROCPRIM_400000_NS6detail17trampoline_kernelINS0_14default_configENS1_25transform_config_selectorIsLb0EEEZNS1_14transform_implILb0ES3_S5_PsN6thrust23THRUST_200600_302600_NS6detail15normal_iteratorINS9_10device_ptrIsEEEENS0_8identityIsEEEE10hipError_tT2_T3_mT4_P12ihipStream_tbEUlT_E_NS1_11comp_targetILNS1_3genE9ELNS1_11target_archE1100ELNS1_3gpuE3ELNS1_3repE0EEENS1_30default_config_static_selectorELNS0_4arch9wavefront6targetE1EEEvT1_,comdat
	.protected	_ZN7rocprim17ROCPRIM_400000_NS6detail17trampoline_kernelINS0_14default_configENS1_25transform_config_selectorIsLb0EEEZNS1_14transform_implILb0ES3_S5_PsN6thrust23THRUST_200600_302600_NS6detail15normal_iteratorINS9_10device_ptrIsEEEENS0_8identityIsEEEE10hipError_tT2_T3_mT4_P12ihipStream_tbEUlT_E_NS1_11comp_targetILNS1_3genE9ELNS1_11target_archE1100ELNS1_3gpuE3ELNS1_3repE0EEENS1_30default_config_static_selectorELNS0_4arch9wavefront6targetE1EEEvT1_ ; -- Begin function _ZN7rocprim17ROCPRIM_400000_NS6detail17trampoline_kernelINS0_14default_configENS1_25transform_config_selectorIsLb0EEEZNS1_14transform_implILb0ES3_S5_PsN6thrust23THRUST_200600_302600_NS6detail15normal_iteratorINS9_10device_ptrIsEEEENS0_8identityIsEEEE10hipError_tT2_T3_mT4_P12ihipStream_tbEUlT_E_NS1_11comp_targetILNS1_3genE9ELNS1_11target_archE1100ELNS1_3gpuE3ELNS1_3repE0EEENS1_30default_config_static_selectorELNS0_4arch9wavefront6targetE1EEEvT1_
	.globl	_ZN7rocprim17ROCPRIM_400000_NS6detail17trampoline_kernelINS0_14default_configENS1_25transform_config_selectorIsLb0EEEZNS1_14transform_implILb0ES3_S5_PsN6thrust23THRUST_200600_302600_NS6detail15normal_iteratorINS9_10device_ptrIsEEEENS0_8identityIsEEEE10hipError_tT2_T3_mT4_P12ihipStream_tbEUlT_E_NS1_11comp_targetILNS1_3genE9ELNS1_11target_archE1100ELNS1_3gpuE3ELNS1_3repE0EEENS1_30default_config_static_selectorELNS0_4arch9wavefront6targetE1EEEvT1_
	.p2align	8
	.type	_ZN7rocprim17ROCPRIM_400000_NS6detail17trampoline_kernelINS0_14default_configENS1_25transform_config_selectorIsLb0EEEZNS1_14transform_implILb0ES3_S5_PsN6thrust23THRUST_200600_302600_NS6detail15normal_iteratorINS9_10device_ptrIsEEEENS0_8identityIsEEEE10hipError_tT2_T3_mT4_P12ihipStream_tbEUlT_E_NS1_11comp_targetILNS1_3genE9ELNS1_11target_archE1100ELNS1_3gpuE3ELNS1_3repE0EEENS1_30default_config_static_selectorELNS0_4arch9wavefront6targetE1EEEvT1_,@function
_ZN7rocprim17ROCPRIM_400000_NS6detail17trampoline_kernelINS0_14default_configENS1_25transform_config_selectorIsLb0EEEZNS1_14transform_implILb0ES3_S5_PsN6thrust23THRUST_200600_302600_NS6detail15normal_iteratorINS9_10device_ptrIsEEEENS0_8identityIsEEEE10hipError_tT2_T3_mT4_P12ihipStream_tbEUlT_E_NS1_11comp_targetILNS1_3genE9ELNS1_11target_archE1100ELNS1_3gpuE3ELNS1_3repE0EEENS1_30default_config_static_selectorELNS0_4arch9wavefront6targetE1EEEvT1_: ; @_ZN7rocprim17ROCPRIM_400000_NS6detail17trampoline_kernelINS0_14default_configENS1_25transform_config_selectorIsLb0EEEZNS1_14transform_implILb0ES3_S5_PsN6thrust23THRUST_200600_302600_NS6detail15normal_iteratorINS9_10device_ptrIsEEEENS0_8identityIsEEEE10hipError_tT2_T3_mT4_P12ihipStream_tbEUlT_E_NS1_11comp_targetILNS1_3genE9ELNS1_11target_archE1100ELNS1_3gpuE3ELNS1_3repE0EEENS1_30default_config_static_selectorELNS0_4arch9wavefront6targetE1EEEvT1_
; %bb.0:
	.section	.rodata,"a",@progbits
	.p2align	6, 0x0
	.amdhsa_kernel _ZN7rocprim17ROCPRIM_400000_NS6detail17trampoline_kernelINS0_14default_configENS1_25transform_config_selectorIsLb0EEEZNS1_14transform_implILb0ES3_S5_PsN6thrust23THRUST_200600_302600_NS6detail15normal_iteratorINS9_10device_ptrIsEEEENS0_8identityIsEEEE10hipError_tT2_T3_mT4_P12ihipStream_tbEUlT_E_NS1_11comp_targetILNS1_3genE9ELNS1_11target_archE1100ELNS1_3gpuE3ELNS1_3repE0EEENS1_30default_config_static_selectorELNS0_4arch9wavefront6targetE1EEEvT1_
		.amdhsa_group_segment_fixed_size 0
		.amdhsa_private_segment_fixed_size 0
		.amdhsa_kernarg_size 40
		.amdhsa_user_sgpr_count 2
		.amdhsa_user_sgpr_dispatch_ptr 0
		.amdhsa_user_sgpr_queue_ptr 0
		.amdhsa_user_sgpr_kernarg_segment_ptr 1
		.amdhsa_user_sgpr_dispatch_id 0
		.amdhsa_user_sgpr_kernarg_preload_length 0
		.amdhsa_user_sgpr_kernarg_preload_offset 0
		.amdhsa_user_sgpr_private_segment_size 0
		.amdhsa_uses_dynamic_stack 0
		.amdhsa_enable_private_segment 0
		.amdhsa_system_sgpr_workgroup_id_x 1
		.amdhsa_system_sgpr_workgroup_id_y 0
		.amdhsa_system_sgpr_workgroup_id_z 0
		.amdhsa_system_sgpr_workgroup_info 0
		.amdhsa_system_vgpr_workitem_id 0
		.amdhsa_next_free_vgpr 1
		.amdhsa_next_free_sgpr 0
		.amdhsa_accum_offset 4
		.amdhsa_reserve_vcc 0
		.amdhsa_float_round_mode_32 0
		.amdhsa_float_round_mode_16_64 0
		.amdhsa_float_denorm_mode_32 3
		.amdhsa_float_denorm_mode_16_64 3
		.amdhsa_dx10_clamp 1
		.amdhsa_ieee_mode 1
		.amdhsa_fp16_overflow 0
		.amdhsa_tg_split 0
		.amdhsa_exception_fp_ieee_invalid_op 0
		.amdhsa_exception_fp_denorm_src 0
		.amdhsa_exception_fp_ieee_div_zero 0
		.amdhsa_exception_fp_ieee_overflow 0
		.amdhsa_exception_fp_ieee_underflow 0
		.amdhsa_exception_fp_ieee_inexact 0
		.amdhsa_exception_int_div_zero 0
	.end_amdhsa_kernel
	.section	.text._ZN7rocprim17ROCPRIM_400000_NS6detail17trampoline_kernelINS0_14default_configENS1_25transform_config_selectorIsLb0EEEZNS1_14transform_implILb0ES3_S5_PsN6thrust23THRUST_200600_302600_NS6detail15normal_iteratorINS9_10device_ptrIsEEEENS0_8identityIsEEEE10hipError_tT2_T3_mT4_P12ihipStream_tbEUlT_E_NS1_11comp_targetILNS1_3genE9ELNS1_11target_archE1100ELNS1_3gpuE3ELNS1_3repE0EEENS1_30default_config_static_selectorELNS0_4arch9wavefront6targetE1EEEvT1_,"axG",@progbits,_ZN7rocprim17ROCPRIM_400000_NS6detail17trampoline_kernelINS0_14default_configENS1_25transform_config_selectorIsLb0EEEZNS1_14transform_implILb0ES3_S5_PsN6thrust23THRUST_200600_302600_NS6detail15normal_iteratorINS9_10device_ptrIsEEEENS0_8identityIsEEEE10hipError_tT2_T3_mT4_P12ihipStream_tbEUlT_E_NS1_11comp_targetILNS1_3genE9ELNS1_11target_archE1100ELNS1_3gpuE3ELNS1_3repE0EEENS1_30default_config_static_selectorELNS0_4arch9wavefront6targetE1EEEvT1_,comdat
.Lfunc_end1565:
	.size	_ZN7rocprim17ROCPRIM_400000_NS6detail17trampoline_kernelINS0_14default_configENS1_25transform_config_selectorIsLb0EEEZNS1_14transform_implILb0ES3_S5_PsN6thrust23THRUST_200600_302600_NS6detail15normal_iteratorINS9_10device_ptrIsEEEENS0_8identityIsEEEE10hipError_tT2_T3_mT4_P12ihipStream_tbEUlT_E_NS1_11comp_targetILNS1_3genE9ELNS1_11target_archE1100ELNS1_3gpuE3ELNS1_3repE0EEENS1_30default_config_static_selectorELNS0_4arch9wavefront6targetE1EEEvT1_, .Lfunc_end1565-_ZN7rocprim17ROCPRIM_400000_NS6detail17trampoline_kernelINS0_14default_configENS1_25transform_config_selectorIsLb0EEEZNS1_14transform_implILb0ES3_S5_PsN6thrust23THRUST_200600_302600_NS6detail15normal_iteratorINS9_10device_ptrIsEEEENS0_8identityIsEEEE10hipError_tT2_T3_mT4_P12ihipStream_tbEUlT_E_NS1_11comp_targetILNS1_3genE9ELNS1_11target_archE1100ELNS1_3gpuE3ELNS1_3repE0EEENS1_30default_config_static_selectorELNS0_4arch9wavefront6targetE1EEEvT1_
                                        ; -- End function
	.set _ZN7rocprim17ROCPRIM_400000_NS6detail17trampoline_kernelINS0_14default_configENS1_25transform_config_selectorIsLb0EEEZNS1_14transform_implILb0ES3_S5_PsN6thrust23THRUST_200600_302600_NS6detail15normal_iteratorINS9_10device_ptrIsEEEENS0_8identityIsEEEE10hipError_tT2_T3_mT4_P12ihipStream_tbEUlT_E_NS1_11comp_targetILNS1_3genE9ELNS1_11target_archE1100ELNS1_3gpuE3ELNS1_3repE0EEENS1_30default_config_static_selectorELNS0_4arch9wavefront6targetE1EEEvT1_.num_vgpr, 0
	.set _ZN7rocprim17ROCPRIM_400000_NS6detail17trampoline_kernelINS0_14default_configENS1_25transform_config_selectorIsLb0EEEZNS1_14transform_implILb0ES3_S5_PsN6thrust23THRUST_200600_302600_NS6detail15normal_iteratorINS9_10device_ptrIsEEEENS0_8identityIsEEEE10hipError_tT2_T3_mT4_P12ihipStream_tbEUlT_E_NS1_11comp_targetILNS1_3genE9ELNS1_11target_archE1100ELNS1_3gpuE3ELNS1_3repE0EEENS1_30default_config_static_selectorELNS0_4arch9wavefront6targetE1EEEvT1_.num_agpr, 0
	.set _ZN7rocprim17ROCPRIM_400000_NS6detail17trampoline_kernelINS0_14default_configENS1_25transform_config_selectorIsLb0EEEZNS1_14transform_implILb0ES3_S5_PsN6thrust23THRUST_200600_302600_NS6detail15normal_iteratorINS9_10device_ptrIsEEEENS0_8identityIsEEEE10hipError_tT2_T3_mT4_P12ihipStream_tbEUlT_E_NS1_11comp_targetILNS1_3genE9ELNS1_11target_archE1100ELNS1_3gpuE3ELNS1_3repE0EEENS1_30default_config_static_selectorELNS0_4arch9wavefront6targetE1EEEvT1_.numbered_sgpr, 0
	.set _ZN7rocprim17ROCPRIM_400000_NS6detail17trampoline_kernelINS0_14default_configENS1_25transform_config_selectorIsLb0EEEZNS1_14transform_implILb0ES3_S5_PsN6thrust23THRUST_200600_302600_NS6detail15normal_iteratorINS9_10device_ptrIsEEEENS0_8identityIsEEEE10hipError_tT2_T3_mT4_P12ihipStream_tbEUlT_E_NS1_11comp_targetILNS1_3genE9ELNS1_11target_archE1100ELNS1_3gpuE3ELNS1_3repE0EEENS1_30default_config_static_selectorELNS0_4arch9wavefront6targetE1EEEvT1_.num_named_barrier, 0
	.set _ZN7rocprim17ROCPRIM_400000_NS6detail17trampoline_kernelINS0_14default_configENS1_25transform_config_selectorIsLb0EEEZNS1_14transform_implILb0ES3_S5_PsN6thrust23THRUST_200600_302600_NS6detail15normal_iteratorINS9_10device_ptrIsEEEENS0_8identityIsEEEE10hipError_tT2_T3_mT4_P12ihipStream_tbEUlT_E_NS1_11comp_targetILNS1_3genE9ELNS1_11target_archE1100ELNS1_3gpuE3ELNS1_3repE0EEENS1_30default_config_static_selectorELNS0_4arch9wavefront6targetE1EEEvT1_.private_seg_size, 0
	.set _ZN7rocprim17ROCPRIM_400000_NS6detail17trampoline_kernelINS0_14default_configENS1_25transform_config_selectorIsLb0EEEZNS1_14transform_implILb0ES3_S5_PsN6thrust23THRUST_200600_302600_NS6detail15normal_iteratorINS9_10device_ptrIsEEEENS0_8identityIsEEEE10hipError_tT2_T3_mT4_P12ihipStream_tbEUlT_E_NS1_11comp_targetILNS1_3genE9ELNS1_11target_archE1100ELNS1_3gpuE3ELNS1_3repE0EEENS1_30default_config_static_selectorELNS0_4arch9wavefront6targetE1EEEvT1_.uses_vcc, 0
	.set _ZN7rocprim17ROCPRIM_400000_NS6detail17trampoline_kernelINS0_14default_configENS1_25transform_config_selectorIsLb0EEEZNS1_14transform_implILb0ES3_S5_PsN6thrust23THRUST_200600_302600_NS6detail15normal_iteratorINS9_10device_ptrIsEEEENS0_8identityIsEEEE10hipError_tT2_T3_mT4_P12ihipStream_tbEUlT_E_NS1_11comp_targetILNS1_3genE9ELNS1_11target_archE1100ELNS1_3gpuE3ELNS1_3repE0EEENS1_30default_config_static_selectorELNS0_4arch9wavefront6targetE1EEEvT1_.uses_flat_scratch, 0
	.set _ZN7rocprim17ROCPRIM_400000_NS6detail17trampoline_kernelINS0_14default_configENS1_25transform_config_selectorIsLb0EEEZNS1_14transform_implILb0ES3_S5_PsN6thrust23THRUST_200600_302600_NS6detail15normal_iteratorINS9_10device_ptrIsEEEENS0_8identityIsEEEE10hipError_tT2_T3_mT4_P12ihipStream_tbEUlT_E_NS1_11comp_targetILNS1_3genE9ELNS1_11target_archE1100ELNS1_3gpuE3ELNS1_3repE0EEENS1_30default_config_static_selectorELNS0_4arch9wavefront6targetE1EEEvT1_.has_dyn_sized_stack, 0
	.set _ZN7rocprim17ROCPRIM_400000_NS6detail17trampoline_kernelINS0_14default_configENS1_25transform_config_selectorIsLb0EEEZNS1_14transform_implILb0ES3_S5_PsN6thrust23THRUST_200600_302600_NS6detail15normal_iteratorINS9_10device_ptrIsEEEENS0_8identityIsEEEE10hipError_tT2_T3_mT4_P12ihipStream_tbEUlT_E_NS1_11comp_targetILNS1_3genE9ELNS1_11target_archE1100ELNS1_3gpuE3ELNS1_3repE0EEENS1_30default_config_static_selectorELNS0_4arch9wavefront6targetE1EEEvT1_.has_recursion, 0
	.set _ZN7rocprim17ROCPRIM_400000_NS6detail17trampoline_kernelINS0_14default_configENS1_25transform_config_selectorIsLb0EEEZNS1_14transform_implILb0ES3_S5_PsN6thrust23THRUST_200600_302600_NS6detail15normal_iteratorINS9_10device_ptrIsEEEENS0_8identityIsEEEE10hipError_tT2_T3_mT4_P12ihipStream_tbEUlT_E_NS1_11comp_targetILNS1_3genE9ELNS1_11target_archE1100ELNS1_3gpuE3ELNS1_3repE0EEENS1_30default_config_static_selectorELNS0_4arch9wavefront6targetE1EEEvT1_.has_indirect_call, 0
	.section	.AMDGPU.csdata,"",@progbits
; Kernel info:
; codeLenInByte = 0
; TotalNumSgprs: 6
; NumVgprs: 0
; NumAgprs: 0
; TotalNumVgprs: 0
; ScratchSize: 0
; MemoryBound: 0
; FloatMode: 240
; IeeeMode: 1
; LDSByteSize: 0 bytes/workgroup (compile time only)
; SGPRBlocks: 0
; VGPRBlocks: 0
; NumSGPRsForWavesPerEU: 6
; NumVGPRsForWavesPerEU: 1
; AccumOffset: 4
; Occupancy: 8
; WaveLimiterHint : 0
; COMPUTE_PGM_RSRC2:SCRATCH_EN: 0
; COMPUTE_PGM_RSRC2:USER_SGPR: 2
; COMPUTE_PGM_RSRC2:TRAP_HANDLER: 0
; COMPUTE_PGM_RSRC2:TGID_X_EN: 1
; COMPUTE_PGM_RSRC2:TGID_Y_EN: 0
; COMPUTE_PGM_RSRC2:TGID_Z_EN: 0
; COMPUTE_PGM_RSRC2:TIDIG_COMP_CNT: 0
; COMPUTE_PGM_RSRC3_GFX90A:ACCUM_OFFSET: 0
; COMPUTE_PGM_RSRC3_GFX90A:TG_SPLIT: 0
	.section	.text._ZN7rocprim17ROCPRIM_400000_NS6detail17trampoline_kernelINS0_14default_configENS1_25transform_config_selectorIsLb0EEEZNS1_14transform_implILb0ES3_S5_PsN6thrust23THRUST_200600_302600_NS6detail15normal_iteratorINS9_10device_ptrIsEEEENS0_8identityIsEEEE10hipError_tT2_T3_mT4_P12ihipStream_tbEUlT_E_NS1_11comp_targetILNS1_3genE8ELNS1_11target_archE1030ELNS1_3gpuE2ELNS1_3repE0EEENS1_30default_config_static_selectorELNS0_4arch9wavefront6targetE1EEEvT1_,"axG",@progbits,_ZN7rocprim17ROCPRIM_400000_NS6detail17trampoline_kernelINS0_14default_configENS1_25transform_config_selectorIsLb0EEEZNS1_14transform_implILb0ES3_S5_PsN6thrust23THRUST_200600_302600_NS6detail15normal_iteratorINS9_10device_ptrIsEEEENS0_8identityIsEEEE10hipError_tT2_T3_mT4_P12ihipStream_tbEUlT_E_NS1_11comp_targetILNS1_3genE8ELNS1_11target_archE1030ELNS1_3gpuE2ELNS1_3repE0EEENS1_30default_config_static_selectorELNS0_4arch9wavefront6targetE1EEEvT1_,comdat
	.protected	_ZN7rocprim17ROCPRIM_400000_NS6detail17trampoline_kernelINS0_14default_configENS1_25transform_config_selectorIsLb0EEEZNS1_14transform_implILb0ES3_S5_PsN6thrust23THRUST_200600_302600_NS6detail15normal_iteratorINS9_10device_ptrIsEEEENS0_8identityIsEEEE10hipError_tT2_T3_mT4_P12ihipStream_tbEUlT_E_NS1_11comp_targetILNS1_3genE8ELNS1_11target_archE1030ELNS1_3gpuE2ELNS1_3repE0EEENS1_30default_config_static_selectorELNS0_4arch9wavefront6targetE1EEEvT1_ ; -- Begin function _ZN7rocprim17ROCPRIM_400000_NS6detail17trampoline_kernelINS0_14default_configENS1_25transform_config_selectorIsLb0EEEZNS1_14transform_implILb0ES3_S5_PsN6thrust23THRUST_200600_302600_NS6detail15normal_iteratorINS9_10device_ptrIsEEEENS0_8identityIsEEEE10hipError_tT2_T3_mT4_P12ihipStream_tbEUlT_E_NS1_11comp_targetILNS1_3genE8ELNS1_11target_archE1030ELNS1_3gpuE2ELNS1_3repE0EEENS1_30default_config_static_selectorELNS0_4arch9wavefront6targetE1EEEvT1_
	.globl	_ZN7rocprim17ROCPRIM_400000_NS6detail17trampoline_kernelINS0_14default_configENS1_25transform_config_selectorIsLb0EEEZNS1_14transform_implILb0ES3_S5_PsN6thrust23THRUST_200600_302600_NS6detail15normal_iteratorINS9_10device_ptrIsEEEENS0_8identityIsEEEE10hipError_tT2_T3_mT4_P12ihipStream_tbEUlT_E_NS1_11comp_targetILNS1_3genE8ELNS1_11target_archE1030ELNS1_3gpuE2ELNS1_3repE0EEENS1_30default_config_static_selectorELNS0_4arch9wavefront6targetE1EEEvT1_
	.p2align	8
	.type	_ZN7rocprim17ROCPRIM_400000_NS6detail17trampoline_kernelINS0_14default_configENS1_25transform_config_selectorIsLb0EEEZNS1_14transform_implILb0ES3_S5_PsN6thrust23THRUST_200600_302600_NS6detail15normal_iteratorINS9_10device_ptrIsEEEENS0_8identityIsEEEE10hipError_tT2_T3_mT4_P12ihipStream_tbEUlT_E_NS1_11comp_targetILNS1_3genE8ELNS1_11target_archE1030ELNS1_3gpuE2ELNS1_3repE0EEENS1_30default_config_static_selectorELNS0_4arch9wavefront6targetE1EEEvT1_,@function
_ZN7rocprim17ROCPRIM_400000_NS6detail17trampoline_kernelINS0_14default_configENS1_25transform_config_selectorIsLb0EEEZNS1_14transform_implILb0ES3_S5_PsN6thrust23THRUST_200600_302600_NS6detail15normal_iteratorINS9_10device_ptrIsEEEENS0_8identityIsEEEE10hipError_tT2_T3_mT4_P12ihipStream_tbEUlT_E_NS1_11comp_targetILNS1_3genE8ELNS1_11target_archE1030ELNS1_3gpuE2ELNS1_3repE0EEENS1_30default_config_static_selectorELNS0_4arch9wavefront6targetE1EEEvT1_: ; @_ZN7rocprim17ROCPRIM_400000_NS6detail17trampoline_kernelINS0_14default_configENS1_25transform_config_selectorIsLb0EEEZNS1_14transform_implILb0ES3_S5_PsN6thrust23THRUST_200600_302600_NS6detail15normal_iteratorINS9_10device_ptrIsEEEENS0_8identityIsEEEE10hipError_tT2_T3_mT4_P12ihipStream_tbEUlT_E_NS1_11comp_targetILNS1_3genE8ELNS1_11target_archE1030ELNS1_3gpuE2ELNS1_3repE0EEENS1_30default_config_static_selectorELNS0_4arch9wavefront6targetE1EEEvT1_
; %bb.0:
	.section	.rodata,"a",@progbits
	.p2align	6, 0x0
	.amdhsa_kernel _ZN7rocprim17ROCPRIM_400000_NS6detail17trampoline_kernelINS0_14default_configENS1_25transform_config_selectorIsLb0EEEZNS1_14transform_implILb0ES3_S5_PsN6thrust23THRUST_200600_302600_NS6detail15normal_iteratorINS9_10device_ptrIsEEEENS0_8identityIsEEEE10hipError_tT2_T3_mT4_P12ihipStream_tbEUlT_E_NS1_11comp_targetILNS1_3genE8ELNS1_11target_archE1030ELNS1_3gpuE2ELNS1_3repE0EEENS1_30default_config_static_selectorELNS0_4arch9wavefront6targetE1EEEvT1_
		.amdhsa_group_segment_fixed_size 0
		.amdhsa_private_segment_fixed_size 0
		.amdhsa_kernarg_size 40
		.amdhsa_user_sgpr_count 2
		.amdhsa_user_sgpr_dispatch_ptr 0
		.amdhsa_user_sgpr_queue_ptr 0
		.amdhsa_user_sgpr_kernarg_segment_ptr 1
		.amdhsa_user_sgpr_dispatch_id 0
		.amdhsa_user_sgpr_kernarg_preload_length 0
		.amdhsa_user_sgpr_kernarg_preload_offset 0
		.amdhsa_user_sgpr_private_segment_size 0
		.amdhsa_uses_dynamic_stack 0
		.amdhsa_enable_private_segment 0
		.amdhsa_system_sgpr_workgroup_id_x 1
		.amdhsa_system_sgpr_workgroup_id_y 0
		.amdhsa_system_sgpr_workgroup_id_z 0
		.amdhsa_system_sgpr_workgroup_info 0
		.amdhsa_system_vgpr_workitem_id 0
		.amdhsa_next_free_vgpr 1
		.amdhsa_next_free_sgpr 0
		.amdhsa_accum_offset 4
		.amdhsa_reserve_vcc 0
		.amdhsa_float_round_mode_32 0
		.amdhsa_float_round_mode_16_64 0
		.amdhsa_float_denorm_mode_32 3
		.amdhsa_float_denorm_mode_16_64 3
		.amdhsa_dx10_clamp 1
		.amdhsa_ieee_mode 1
		.amdhsa_fp16_overflow 0
		.amdhsa_tg_split 0
		.amdhsa_exception_fp_ieee_invalid_op 0
		.amdhsa_exception_fp_denorm_src 0
		.amdhsa_exception_fp_ieee_div_zero 0
		.amdhsa_exception_fp_ieee_overflow 0
		.amdhsa_exception_fp_ieee_underflow 0
		.amdhsa_exception_fp_ieee_inexact 0
		.amdhsa_exception_int_div_zero 0
	.end_amdhsa_kernel
	.section	.text._ZN7rocprim17ROCPRIM_400000_NS6detail17trampoline_kernelINS0_14default_configENS1_25transform_config_selectorIsLb0EEEZNS1_14transform_implILb0ES3_S5_PsN6thrust23THRUST_200600_302600_NS6detail15normal_iteratorINS9_10device_ptrIsEEEENS0_8identityIsEEEE10hipError_tT2_T3_mT4_P12ihipStream_tbEUlT_E_NS1_11comp_targetILNS1_3genE8ELNS1_11target_archE1030ELNS1_3gpuE2ELNS1_3repE0EEENS1_30default_config_static_selectorELNS0_4arch9wavefront6targetE1EEEvT1_,"axG",@progbits,_ZN7rocprim17ROCPRIM_400000_NS6detail17trampoline_kernelINS0_14default_configENS1_25transform_config_selectorIsLb0EEEZNS1_14transform_implILb0ES3_S5_PsN6thrust23THRUST_200600_302600_NS6detail15normal_iteratorINS9_10device_ptrIsEEEENS0_8identityIsEEEE10hipError_tT2_T3_mT4_P12ihipStream_tbEUlT_E_NS1_11comp_targetILNS1_3genE8ELNS1_11target_archE1030ELNS1_3gpuE2ELNS1_3repE0EEENS1_30default_config_static_selectorELNS0_4arch9wavefront6targetE1EEEvT1_,comdat
.Lfunc_end1566:
	.size	_ZN7rocprim17ROCPRIM_400000_NS6detail17trampoline_kernelINS0_14default_configENS1_25transform_config_selectorIsLb0EEEZNS1_14transform_implILb0ES3_S5_PsN6thrust23THRUST_200600_302600_NS6detail15normal_iteratorINS9_10device_ptrIsEEEENS0_8identityIsEEEE10hipError_tT2_T3_mT4_P12ihipStream_tbEUlT_E_NS1_11comp_targetILNS1_3genE8ELNS1_11target_archE1030ELNS1_3gpuE2ELNS1_3repE0EEENS1_30default_config_static_selectorELNS0_4arch9wavefront6targetE1EEEvT1_, .Lfunc_end1566-_ZN7rocprim17ROCPRIM_400000_NS6detail17trampoline_kernelINS0_14default_configENS1_25transform_config_selectorIsLb0EEEZNS1_14transform_implILb0ES3_S5_PsN6thrust23THRUST_200600_302600_NS6detail15normal_iteratorINS9_10device_ptrIsEEEENS0_8identityIsEEEE10hipError_tT2_T3_mT4_P12ihipStream_tbEUlT_E_NS1_11comp_targetILNS1_3genE8ELNS1_11target_archE1030ELNS1_3gpuE2ELNS1_3repE0EEENS1_30default_config_static_selectorELNS0_4arch9wavefront6targetE1EEEvT1_
                                        ; -- End function
	.set _ZN7rocprim17ROCPRIM_400000_NS6detail17trampoline_kernelINS0_14default_configENS1_25transform_config_selectorIsLb0EEEZNS1_14transform_implILb0ES3_S5_PsN6thrust23THRUST_200600_302600_NS6detail15normal_iteratorINS9_10device_ptrIsEEEENS0_8identityIsEEEE10hipError_tT2_T3_mT4_P12ihipStream_tbEUlT_E_NS1_11comp_targetILNS1_3genE8ELNS1_11target_archE1030ELNS1_3gpuE2ELNS1_3repE0EEENS1_30default_config_static_selectorELNS0_4arch9wavefront6targetE1EEEvT1_.num_vgpr, 0
	.set _ZN7rocprim17ROCPRIM_400000_NS6detail17trampoline_kernelINS0_14default_configENS1_25transform_config_selectorIsLb0EEEZNS1_14transform_implILb0ES3_S5_PsN6thrust23THRUST_200600_302600_NS6detail15normal_iteratorINS9_10device_ptrIsEEEENS0_8identityIsEEEE10hipError_tT2_T3_mT4_P12ihipStream_tbEUlT_E_NS1_11comp_targetILNS1_3genE8ELNS1_11target_archE1030ELNS1_3gpuE2ELNS1_3repE0EEENS1_30default_config_static_selectorELNS0_4arch9wavefront6targetE1EEEvT1_.num_agpr, 0
	.set _ZN7rocprim17ROCPRIM_400000_NS6detail17trampoline_kernelINS0_14default_configENS1_25transform_config_selectorIsLb0EEEZNS1_14transform_implILb0ES3_S5_PsN6thrust23THRUST_200600_302600_NS6detail15normal_iteratorINS9_10device_ptrIsEEEENS0_8identityIsEEEE10hipError_tT2_T3_mT4_P12ihipStream_tbEUlT_E_NS1_11comp_targetILNS1_3genE8ELNS1_11target_archE1030ELNS1_3gpuE2ELNS1_3repE0EEENS1_30default_config_static_selectorELNS0_4arch9wavefront6targetE1EEEvT1_.numbered_sgpr, 0
	.set _ZN7rocprim17ROCPRIM_400000_NS6detail17trampoline_kernelINS0_14default_configENS1_25transform_config_selectorIsLb0EEEZNS1_14transform_implILb0ES3_S5_PsN6thrust23THRUST_200600_302600_NS6detail15normal_iteratorINS9_10device_ptrIsEEEENS0_8identityIsEEEE10hipError_tT2_T3_mT4_P12ihipStream_tbEUlT_E_NS1_11comp_targetILNS1_3genE8ELNS1_11target_archE1030ELNS1_3gpuE2ELNS1_3repE0EEENS1_30default_config_static_selectorELNS0_4arch9wavefront6targetE1EEEvT1_.num_named_barrier, 0
	.set _ZN7rocprim17ROCPRIM_400000_NS6detail17trampoline_kernelINS0_14default_configENS1_25transform_config_selectorIsLb0EEEZNS1_14transform_implILb0ES3_S5_PsN6thrust23THRUST_200600_302600_NS6detail15normal_iteratorINS9_10device_ptrIsEEEENS0_8identityIsEEEE10hipError_tT2_T3_mT4_P12ihipStream_tbEUlT_E_NS1_11comp_targetILNS1_3genE8ELNS1_11target_archE1030ELNS1_3gpuE2ELNS1_3repE0EEENS1_30default_config_static_selectorELNS0_4arch9wavefront6targetE1EEEvT1_.private_seg_size, 0
	.set _ZN7rocprim17ROCPRIM_400000_NS6detail17trampoline_kernelINS0_14default_configENS1_25transform_config_selectorIsLb0EEEZNS1_14transform_implILb0ES3_S5_PsN6thrust23THRUST_200600_302600_NS6detail15normal_iteratorINS9_10device_ptrIsEEEENS0_8identityIsEEEE10hipError_tT2_T3_mT4_P12ihipStream_tbEUlT_E_NS1_11comp_targetILNS1_3genE8ELNS1_11target_archE1030ELNS1_3gpuE2ELNS1_3repE0EEENS1_30default_config_static_selectorELNS0_4arch9wavefront6targetE1EEEvT1_.uses_vcc, 0
	.set _ZN7rocprim17ROCPRIM_400000_NS6detail17trampoline_kernelINS0_14default_configENS1_25transform_config_selectorIsLb0EEEZNS1_14transform_implILb0ES3_S5_PsN6thrust23THRUST_200600_302600_NS6detail15normal_iteratorINS9_10device_ptrIsEEEENS0_8identityIsEEEE10hipError_tT2_T3_mT4_P12ihipStream_tbEUlT_E_NS1_11comp_targetILNS1_3genE8ELNS1_11target_archE1030ELNS1_3gpuE2ELNS1_3repE0EEENS1_30default_config_static_selectorELNS0_4arch9wavefront6targetE1EEEvT1_.uses_flat_scratch, 0
	.set _ZN7rocprim17ROCPRIM_400000_NS6detail17trampoline_kernelINS0_14default_configENS1_25transform_config_selectorIsLb0EEEZNS1_14transform_implILb0ES3_S5_PsN6thrust23THRUST_200600_302600_NS6detail15normal_iteratorINS9_10device_ptrIsEEEENS0_8identityIsEEEE10hipError_tT2_T3_mT4_P12ihipStream_tbEUlT_E_NS1_11comp_targetILNS1_3genE8ELNS1_11target_archE1030ELNS1_3gpuE2ELNS1_3repE0EEENS1_30default_config_static_selectorELNS0_4arch9wavefront6targetE1EEEvT1_.has_dyn_sized_stack, 0
	.set _ZN7rocprim17ROCPRIM_400000_NS6detail17trampoline_kernelINS0_14default_configENS1_25transform_config_selectorIsLb0EEEZNS1_14transform_implILb0ES3_S5_PsN6thrust23THRUST_200600_302600_NS6detail15normal_iteratorINS9_10device_ptrIsEEEENS0_8identityIsEEEE10hipError_tT2_T3_mT4_P12ihipStream_tbEUlT_E_NS1_11comp_targetILNS1_3genE8ELNS1_11target_archE1030ELNS1_3gpuE2ELNS1_3repE0EEENS1_30default_config_static_selectorELNS0_4arch9wavefront6targetE1EEEvT1_.has_recursion, 0
	.set _ZN7rocprim17ROCPRIM_400000_NS6detail17trampoline_kernelINS0_14default_configENS1_25transform_config_selectorIsLb0EEEZNS1_14transform_implILb0ES3_S5_PsN6thrust23THRUST_200600_302600_NS6detail15normal_iteratorINS9_10device_ptrIsEEEENS0_8identityIsEEEE10hipError_tT2_T3_mT4_P12ihipStream_tbEUlT_E_NS1_11comp_targetILNS1_3genE8ELNS1_11target_archE1030ELNS1_3gpuE2ELNS1_3repE0EEENS1_30default_config_static_selectorELNS0_4arch9wavefront6targetE1EEEvT1_.has_indirect_call, 0
	.section	.AMDGPU.csdata,"",@progbits
; Kernel info:
; codeLenInByte = 0
; TotalNumSgprs: 6
; NumVgprs: 0
; NumAgprs: 0
; TotalNumVgprs: 0
; ScratchSize: 0
; MemoryBound: 0
; FloatMode: 240
; IeeeMode: 1
; LDSByteSize: 0 bytes/workgroup (compile time only)
; SGPRBlocks: 0
; VGPRBlocks: 0
; NumSGPRsForWavesPerEU: 6
; NumVGPRsForWavesPerEU: 1
; AccumOffset: 4
; Occupancy: 8
; WaveLimiterHint : 0
; COMPUTE_PGM_RSRC2:SCRATCH_EN: 0
; COMPUTE_PGM_RSRC2:USER_SGPR: 2
; COMPUTE_PGM_RSRC2:TRAP_HANDLER: 0
; COMPUTE_PGM_RSRC2:TGID_X_EN: 1
; COMPUTE_PGM_RSRC2:TGID_Y_EN: 0
; COMPUTE_PGM_RSRC2:TGID_Z_EN: 0
; COMPUTE_PGM_RSRC2:TIDIG_COMP_CNT: 0
; COMPUTE_PGM_RSRC3_GFX90A:ACCUM_OFFSET: 0
; COMPUTE_PGM_RSRC3_GFX90A:TG_SPLIT: 0
	.section	.text._ZN7rocprim17ROCPRIM_400000_NS6detail17trampoline_kernelINS0_14default_configENS1_38merge_sort_block_merge_config_selectorIssEEZZNS1_27merge_sort_block_merge_implIS3_N6thrust23THRUST_200600_302600_NS6detail15normal_iteratorINS8_10device_ptrIsEEEESD_jNS1_19radix_merge_compareILb0ELb1EsNS0_19identity_decomposerEEEEE10hipError_tT0_T1_T2_jT3_P12ihipStream_tbPNSt15iterator_traitsISI_E10value_typeEPNSO_ISJ_E10value_typeEPSK_NS1_7vsmem_tEENKUlT_SI_SJ_SK_E_clIPsSD_S10_SD_EESH_SX_SI_SJ_SK_EUlSX_E_NS1_11comp_targetILNS1_3genE0ELNS1_11target_archE4294967295ELNS1_3gpuE0ELNS1_3repE0EEENS1_48merge_mergepath_partition_config_static_selectorELNS0_4arch9wavefront6targetE1EEEvSJ_,"axG",@progbits,_ZN7rocprim17ROCPRIM_400000_NS6detail17trampoline_kernelINS0_14default_configENS1_38merge_sort_block_merge_config_selectorIssEEZZNS1_27merge_sort_block_merge_implIS3_N6thrust23THRUST_200600_302600_NS6detail15normal_iteratorINS8_10device_ptrIsEEEESD_jNS1_19radix_merge_compareILb0ELb1EsNS0_19identity_decomposerEEEEE10hipError_tT0_T1_T2_jT3_P12ihipStream_tbPNSt15iterator_traitsISI_E10value_typeEPNSO_ISJ_E10value_typeEPSK_NS1_7vsmem_tEENKUlT_SI_SJ_SK_E_clIPsSD_S10_SD_EESH_SX_SI_SJ_SK_EUlSX_E_NS1_11comp_targetILNS1_3genE0ELNS1_11target_archE4294967295ELNS1_3gpuE0ELNS1_3repE0EEENS1_48merge_mergepath_partition_config_static_selectorELNS0_4arch9wavefront6targetE1EEEvSJ_,comdat
	.protected	_ZN7rocprim17ROCPRIM_400000_NS6detail17trampoline_kernelINS0_14default_configENS1_38merge_sort_block_merge_config_selectorIssEEZZNS1_27merge_sort_block_merge_implIS3_N6thrust23THRUST_200600_302600_NS6detail15normal_iteratorINS8_10device_ptrIsEEEESD_jNS1_19radix_merge_compareILb0ELb1EsNS0_19identity_decomposerEEEEE10hipError_tT0_T1_T2_jT3_P12ihipStream_tbPNSt15iterator_traitsISI_E10value_typeEPNSO_ISJ_E10value_typeEPSK_NS1_7vsmem_tEENKUlT_SI_SJ_SK_E_clIPsSD_S10_SD_EESH_SX_SI_SJ_SK_EUlSX_E_NS1_11comp_targetILNS1_3genE0ELNS1_11target_archE4294967295ELNS1_3gpuE0ELNS1_3repE0EEENS1_48merge_mergepath_partition_config_static_selectorELNS0_4arch9wavefront6targetE1EEEvSJ_ ; -- Begin function _ZN7rocprim17ROCPRIM_400000_NS6detail17trampoline_kernelINS0_14default_configENS1_38merge_sort_block_merge_config_selectorIssEEZZNS1_27merge_sort_block_merge_implIS3_N6thrust23THRUST_200600_302600_NS6detail15normal_iteratorINS8_10device_ptrIsEEEESD_jNS1_19radix_merge_compareILb0ELb1EsNS0_19identity_decomposerEEEEE10hipError_tT0_T1_T2_jT3_P12ihipStream_tbPNSt15iterator_traitsISI_E10value_typeEPNSO_ISJ_E10value_typeEPSK_NS1_7vsmem_tEENKUlT_SI_SJ_SK_E_clIPsSD_S10_SD_EESH_SX_SI_SJ_SK_EUlSX_E_NS1_11comp_targetILNS1_3genE0ELNS1_11target_archE4294967295ELNS1_3gpuE0ELNS1_3repE0EEENS1_48merge_mergepath_partition_config_static_selectorELNS0_4arch9wavefront6targetE1EEEvSJ_
	.globl	_ZN7rocprim17ROCPRIM_400000_NS6detail17trampoline_kernelINS0_14default_configENS1_38merge_sort_block_merge_config_selectorIssEEZZNS1_27merge_sort_block_merge_implIS3_N6thrust23THRUST_200600_302600_NS6detail15normal_iteratorINS8_10device_ptrIsEEEESD_jNS1_19radix_merge_compareILb0ELb1EsNS0_19identity_decomposerEEEEE10hipError_tT0_T1_T2_jT3_P12ihipStream_tbPNSt15iterator_traitsISI_E10value_typeEPNSO_ISJ_E10value_typeEPSK_NS1_7vsmem_tEENKUlT_SI_SJ_SK_E_clIPsSD_S10_SD_EESH_SX_SI_SJ_SK_EUlSX_E_NS1_11comp_targetILNS1_3genE0ELNS1_11target_archE4294967295ELNS1_3gpuE0ELNS1_3repE0EEENS1_48merge_mergepath_partition_config_static_selectorELNS0_4arch9wavefront6targetE1EEEvSJ_
	.p2align	8
	.type	_ZN7rocprim17ROCPRIM_400000_NS6detail17trampoline_kernelINS0_14default_configENS1_38merge_sort_block_merge_config_selectorIssEEZZNS1_27merge_sort_block_merge_implIS3_N6thrust23THRUST_200600_302600_NS6detail15normal_iteratorINS8_10device_ptrIsEEEESD_jNS1_19radix_merge_compareILb0ELb1EsNS0_19identity_decomposerEEEEE10hipError_tT0_T1_T2_jT3_P12ihipStream_tbPNSt15iterator_traitsISI_E10value_typeEPNSO_ISJ_E10value_typeEPSK_NS1_7vsmem_tEENKUlT_SI_SJ_SK_E_clIPsSD_S10_SD_EESH_SX_SI_SJ_SK_EUlSX_E_NS1_11comp_targetILNS1_3genE0ELNS1_11target_archE4294967295ELNS1_3gpuE0ELNS1_3repE0EEENS1_48merge_mergepath_partition_config_static_selectorELNS0_4arch9wavefront6targetE1EEEvSJ_,@function
_ZN7rocprim17ROCPRIM_400000_NS6detail17trampoline_kernelINS0_14default_configENS1_38merge_sort_block_merge_config_selectorIssEEZZNS1_27merge_sort_block_merge_implIS3_N6thrust23THRUST_200600_302600_NS6detail15normal_iteratorINS8_10device_ptrIsEEEESD_jNS1_19radix_merge_compareILb0ELb1EsNS0_19identity_decomposerEEEEE10hipError_tT0_T1_T2_jT3_P12ihipStream_tbPNSt15iterator_traitsISI_E10value_typeEPNSO_ISJ_E10value_typeEPSK_NS1_7vsmem_tEENKUlT_SI_SJ_SK_E_clIPsSD_S10_SD_EESH_SX_SI_SJ_SK_EUlSX_E_NS1_11comp_targetILNS1_3genE0ELNS1_11target_archE4294967295ELNS1_3gpuE0ELNS1_3repE0EEENS1_48merge_mergepath_partition_config_static_selectorELNS0_4arch9wavefront6targetE1EEEvSJ_: ; @_ZN7rocprim17ROCPRIM_400000_NS6detail17trampoline_kernelINS0_14default_configENS1_38merge_sort_block_merge_config_selectorIssEEZZNS1_27merge_sort_block_merge_implIS3_N6thrust23THRUST_200600_302600_NS6detail15normal_iteratorINS8_10device_ptrIsEEEESD_jNS1_19radix_merge_compareILb0ELb1EsNS0_19identity_decomposerEEEEE10hipError_tT0_T1_T2_jT3_P12ihipStream_tbPNSt15iterator_traitsISI_E10value_typeEPNSO_ISJ_E10value_typeEPSK_NS1_7vsmem_tEENKUlT_SI_SJ_SK_E_clIPsSD_S10_SD_EESH_SX_SI_SJ_SK_EUlSX_E_NS1_11comp_targetILNS1_3genE0ELNS1_11target_archE4294967295ELNS1_3gpuE0ELNS1_3repE0EEENS1_48merge_mergepath_partition_config_static_selectorELNS0_4arch9wavefront6targetE1EEEvSJ_
; %bb.0:
	s_load_dword s3, s[0:1], 0x0
	v_lshl_or_b32 v0, s2, 7, v0
	s_waitcnt lgkmcnt(0)
	v_cmp_gt_u32_e32 vcc, s3, v0
	s_and_saveexec_b64 s[2:3], vcc
	s_cbranch_execz .LBB1567_6
; %bb.1:
	s_load_dwordx2 s[4:5], s[0:1], 0x4
	s_load_dwordx2 s[2:3], s[0:1], 0x20
	s_waitcnt lgkmcnt(0)
	s_lshr_b32 s6, s4, 9
	s_and_b32 s6, s6, 0x7ffffe
	s_add_i32 s7, s6, -1
	s_sub_i32 s6, 0, s6
	v_and_b32_e32 v1, s6, v0
	v_lshlrev_b32_e32 v1, 10, v1
	v_min_u32_e32 v2, s5, v1
	v_add_u32_e32 v1, s4, v1
	v_min_u32_e32 v4, s5, v1
	v_add_u32_e32 v1, s4, v4
	v_and_b32_e32 v3, s7, v0
	v_min_u32_e32 v1, s5, v1
	v_sub_u32_e32 v5, v1, v2
	v_lshlrev_b32_e32 v3, 10, v3
	v_min_u32_e32 v10, v5, v3
	v_sub_u32_e32 v3, v4, v2
	v_sub_u32_e32 v1, v1, v4
	v_sub_u32_e64 v1, v10, v1 clamp
	v_min_u32_e32 v11, v10, v3
	v_cmp_lt_u32_e32 vcc, v1, v11
	s_and_saveexec_b64 s[4:5], vcc
	s_cbranch_execz .LBB1567_5
; %bb.2:
	s_load_dwordx2 s[8:9], s[0:1], 0x10
	s_load_dword s6, s[0:1], 0x18
	v_mov_b32_e32 v5, 0
	v_mov_b32_e32 v3, v5
	s_mov_b64 s[0:1], 0
	s_waitcnt lgkmcnt(0)
	v_lshl_add_u64 v[6:7], v[2:3], 1, s[8:9]
	v_lshl_add_u64 v[8:9], v[4:5], 1, s[8:9]
.LBB1567_3:                             ; =>This Inner Loop Header: Depth=1
	v_add_u32_e32 v3, v11, v1
	v_lshrrev_b32_e32 v16, 1, v3
	v_and_b32_e32 v4, -2, v3
	v_mov_b32_e32 v13, v5
	v_xad_u32 v12, v16, -1, v10
	v_lshl_add_u64 v[14:15], v[6:7], 0, v[4:5]
	v_lshl_add_u64 v[12:13], v[12:13], 1, v[8:9]
	global_load_ushort v3, v[14:15], off
	global_load_ushort v4, v[12:13], off
	v_add_u32_e32 v12, 1, v16
	s_waitcnt vmcnt(1)
	v_and_b32_e32 v3, s6, v3
	s_waitcnt vmcnt(0)
	v_and_b32_e32 v4, s6, v4
	v_cmp_gt_i16_e32 vcc, v3, v4
	s_nop 1
	v_cndmask_b32_e32 v11, v11, v16, vcc
	v_cndmask_b32_e32 v1, v12, v1, vcc
	v_cmp_ge_u32_e32 vcc, v1, v11
	s_or_b64 s[0:1], vcc, s[0:1]
	s_andn2_b64 exec, exec, s[0:1]
	s_cbranch_execnz .LBB1567_3
; %bb.4:
	s_or_b64 exec, exec, s[0:1]
.LBB1567_5:
	s_or_b64 exec, exec, s[4:5]
	v_add_u32_e32 v2, v1, v2
	v_mov_b32_e32 v1, 0
	v_lshl_add_u64 v[0:1], v[0:1], 2, s[2:3]
	global_store_dword v[0:1], v2, off
.LBB1567_6:
	s_endpgm
	.section	.rodata,"a",@progbits
	.p2align	6, 0x0
	.amdhsa_kernel _ZN7rocprim17ROCPRIM_400000_NS6detail17trampoline_kernelINS0_14default_configENS1_38merge_sort_block_merge_config_selectorIssEEZZNS1_27merge_sort_block_merge_implIS3_N6thrust23THRUST_200600_302600_NS6detail15normal_iteratorINS8_10device_ptrIsEEEESD_jNS1_19radix_merge_compareILb0ELb1EsNS0_19identity_decomposerEEEEE10hipError_tT0_T1_T2_jT3_P12ihipStream_tbPNSt15iterator_traitsISI_E10value_typeEPNSO_ISJ_E10value_typeEPSK_NS1_7vsmem_tEENKUlT_SI_SJ_SK_E_clIPsSD_S10_SD_EESH_SX_SI_SJ_SK_EUlSX_E_NS1_11comp_targetILNS1_3genE0ELNS1_11target_archE4294967295ELNS1_3gpuE0ELNS1_3repE0EEENS1_48merge_mergepath_partition_config_static_selectorELNS0_4arch9wavefront6targetE1EEEvSJ_
		.amdhsa_group_segment_fixed_size 0
		.amdhsa_private_segment_fixed_size 0
		.amdhsa_kernarg_size 40
		.amdhsa_user_sgpr_count 2
		.amdhsa_user_sgpr_dispatch_ptr 0
		.amdhsa_user_sgpr_queue_ptr 0
		.amdhsa_user_sgpr_kernarg_segment_ptr 1
		.amdhsa_user_sgpr_dispatch_id 0
		.amdhsa_user_sgpr_kernarg_preload_length 0
		.amdhsa_user_sgpr_kernarg_preload_offset 0
		.amdhsa_user_sgpr_private_segment_size 0
		.amdhsa_uses_dynamic_stack 0
		.amdhsa_enable_private_segment 0
		.amdhsa_system_sgpr_workgroup_id_x 1
		.amdhsa_system_sgpr_workgroup_id_y 0
		.amdhsa_system_sgpr_workgroup_id_z 0
		.amdhsa_system_sgpr_workgroup_info 0
		.amdhsa_system_vgpr_workitem_id 0
		.amdhsa_next_free_vgpr 17
		.amdhsa_next_free_sgpr 10
		.amdhsa_accum_offset 20
		.amdhsa_reserve_vcc 1
		.amdhsa_float_round_mode_32 0
		.amdhsa_float_round_mode_16_64 0
		.amdhsa_float_denorm_mode_32 3
		.amdhsa_float_denorm_mode_16_64 3
		.amdhsa_dx10_clamp 1
		.amdhsa_ieee_mode 1
		.amdhsa_fp16_overflow 0
		.amdhsa_tg_split 0
		.amdhsa_exception_fp_ieee_invalid_op 0
		.amdhsa_exception_fp_denorm_src 0
		.amdhsa_exception_fp_ieee_div_zero 0
		.amdhsa_exception_fp_ieee_overflow 0
		.amdhsa_exception_fp_ieee_underflow 0
		.amdhsa_exception_fp_ieee_inexact 0
		.amdhsa_exception_int_div_zero 0
	.end_amdhsa_kernel
	.section	.text._ZN7rocprim17ROCPRIM_400000_NS6detail17trampoline_kernelINS0_14default_configENS1_38merge_sort_block_merge_config_selectorIssEEZZNS1_27merge_sort_block_merge_implIS3_N6thrust23THRUST_200600_302600_NS6detail15normal_iteratorINS8_10device_ptrIsEEEESD_jNS1_19radix_merge_compareILb0ELb1EsNS0_19identity_decomposerEEEEE10hipError_tT0_T1_T2_jT3_P12ihipStream_tbPNSt15iterator_traitsISI_E10value_typeEPNSO_ISJ_E10value_typeEPSK_NS1_7vsmem_tEENKUlT_SI_SJ_SK_E_clIPsSD_S10_SD_EESH_SX_SI_SJ_SK_EUlSX_E_NS1_11comp_targetILNS1_3genE0ELNS1_11target_archE4294967295ELNS1_3gpuE0ELNS1_3repE0EEENS1_48merge_mergepath_partition_config_static_selectorELNS0_4arch9wavefront6targetE1EEEvSJ_,"axG",@progbits,_ZN7rocprim17ROCPRIM_400000_NS6detail17trampoline_kernelINS0_14default_configENS1_38merge_sort_block_merge_config_selectorIssEEZZNS1_27merge_sort_block_merge_implIS3_N6thrust23THRUST_200600_302600_NS6detail15normal_iteratorINS8_10device_ptrIsEEEESD_jNS1_19radix_merge_compareILb0ELb1EsNS0_19identity_decomposerEEEEE10hipError_tT0_T1_T2_jT3_P12ihipStream_tbPNSt15iterator_traitsISI_E10value_typeEPNSO_ISJ_E10value_typeEPSK_NS1_7vsmem_tEENKUlT_SI_SJ_SK_E_clIPsSD_S10_SD_EESH_SX_SI_SJ_SK_EUlSX_E_NS1_11comp_targetILNS1_3genE0ELNS1_11target_archE4294967295ELNS1_3gpuE0ELNS1_3repE0EEENS1_48merge_mergepath_partition_config_static_selectorELNS0_4arch9wavefront6targetE1EEEvSJ_,comdat
.Lfunc_end1567:
	.size	_ZN7rocprim17ROCPRIM_400000_NS6detail17trampoline_kernelINS0_14default_configENS1_38merge_sort_block_merge_config_selectorIssEEZZNS1_27merge_sort_block_merge_implIS3_N6thrust23THRUST_200600_302600_NS6detail15normal_iteratorINS8_10device_ptrIsEEEESD_jNS1_19radix_merge_compareILb0ELb1EsNS0_19identity_decomposerEEEEE10hipError_tT0_T1_T2_jT3_P12ihipStream_tbPNSt15iterator_traitsISI_E10value_typeEPNSO_ISJ_E10value_typeEPSK_NS1_7vsmem_tEENKUlT_SI_SJ_SK_E_clIPsSD_S10_SD_EESH_SX_SI_SJ_SK_EUlSX_E_NS1_11comp_targetILNS1_3genE0ELNS1_11target_archE4294967295ELNS1_3gpuE0ELNS1_3repE0EEENS1_48merge_mergepath_partition_config_static_selectorELNS0_4arch9wavefront6targetE1EEEvSJ_, .Lfunc_end1567-_ZN7rocprim17ROCPRIM_400000_NS6detail17trampoline_kernelINS0_14default_configENS1_38merge_sort_block_merge_config_selectorIssEEZZNS1_27merge_sort_block_merge_implIS3_N6thrust23THRUST_200600_302600_NS6detail15normal_iteratorINS8_10device_ptrIsEEEESD_jNS1_19radix_merge_compareILb0ELb1EsNS0_19identity_decomposerEEEEE10hipError_tT0_T1_T2_jT3_P12ihipStream_tbPNSt15iterator_traitsISI_E10value_typeEPNSO_ISJ_E10value_typeEPSK_NS1_7vsmem_tEENKUlT_SI_SJ_SK_E_clIPsSD_S10_SD_EESH_SX_SI_SJ_SK_EUlSX_E_NS1_11comp_targetILNS1_3genE0ELNS1_11target_archE4294967295ELNS1_3gpuE0ELNS1_3repE0EEENS1_48merge_mergepath_partition_config_static_selectorELNS0_4arch9wavefront6targetE1EEEvSJ_
                                        ; -- End function
	.set _ZN7rocprim17ROCPRIM_400000_NS6detail17trampoline_kernelINS0_14default_configENS1_38merge_sort_block_merge_config_selectorIssEEZZNS1_27merge_sort_block_merge_implIS3_N6thrust23THRUST_200600_302600_NS6detail15normal_iteratorINS8_10device_ptrIsEEEESD_jNS1_19radix_merge_compareILb0ELb1EsNS0_19identity_decomposerEEEEE10hipError_tT0_T1_T2_jT3_P12ihipStream_tbPNSt15iterator_traitsISI_E10value_typeEPNSO_ISJ_E10value_typeEPSK_NS1_7vsmem_tEENKUlT_SI_SJ_SK_E_clIPsSD_S10_SD_EESH_SX_SI_SJ_SK_EUlSX_E_NS1_11comp_targetILNS1_3genE0ELNS1_11target_archE4294967295ELNS1_3gpuE0ELNS1_3repE0EEENS1_48merge_mergepath_partition_config_static_selectorELNS0_4arch9wavefront6targetE1EEEvSJ_.num_vgpr, 17
	.set _ZN7rocprim17ROCPRIM_400000_NS6detail17trampoline_kernelINS0_14default_configENS1_38merge_sort_block_merge_config_selectorIssEEZZNS1_27merge_sort_block_merge_implIS3_N6thrust23THRUST_200600_302600_NS6detail15normal_iteratorINS8_10device_ptrIsEEEESD_jNS1_19radix_merge_compareILb0ELb1EsNS0_19identity_decomposerEEEEE10hipError_tT0_T1_T2_jT3_P12ihipStream_tbPNSt15iterator_traitsISI_E10value_typeEPNSO_ISJ_E10value_typeEPSK_NS1_7vsmem_tEENKUlT_SI_SJ_SK_E_clIPsSD_S10_SD_EESH_SX_SI_SJ_SK_EUlSX_E_NS1_11comp_targetILNS1_3genE0ELNS1_11target_archE4294967295ELNS1_3gpuE0ELNS1_3repE0EEENS1_48merge_mergepath_partition_config_static_selectorELNS0_4arch9wavefront6targetE1EEEvSJ_.num_agpr, 0
	.set _ZN7rocprim17ROCPRIM_400000_NS6detail17trampoline_kernelINS0_14default_configENS1_38merge_sort_block_merge_config_selectorIssEEZZNS1_27merge_sort_block_merge_implIS3_N6thrust23THRUST_200600_302600_NS6detail15normal_iteratorINS8_10device_ptrIsEEEESD_jNS1_19radix_merge_compareILb0ELb1EsNS0_19identity_decomposerEEEEE10hipError_tT0_T1_T2_jT3_P12ihipStream_tbPNSt15iterator_traitsISI_E10value_typeEPNSO_ISJ_E10value_typeEPSK_NS1_7vsmem_tEENKUlT_SI_SJ_SK_E_clIPsSD_S10_SD_EESH_SX_SI_SJ_SK_EUlSX_E_NS1_11comp_targetILNS1_3genE0ELNS1_11target_archE4294967295ELNS1_3gpuE0ELNS1_3repE0EEENS1_48merge_mergepath_partition_config_static_selectorELNS0_4arch9wavefront6targetE1EEEvSJ_.numbered_sgpr, 10
	.set _ZN7rocprim17ROCPRIM_400000_NS6detail17trampoline_kernelINS0_14default_configENS1_38merge_sort_block_merge_config_selectorIssEEZZNS1_27merge_sort_block_merge_implIS3_N6thrust23THRUST_200600_302600_NS6detail15normal_iteratorINS8_10device_ptrIsEEEESD_jNS1_19radix_merge_compareILb0ELb1EsNS0_19identity_decomposerEEEEE10hipError_tT0_T1_T2_jT3_P12ihipStream_tbPNSt15iterator_traitsISI_E10value_typeEPNSO_ISJ_E10value_typeEPSK_NS1_7vsmem_tEENKUlT_SI_SJ_SK_E_clIPsSD_S10_SD_EESH_SX_SI_SJ_SK_EUlSX_E_NS1_11comp_targetILNS1_3genE0ELNS1_11target_archE4294967295ELNS1_3gpuE0ELNS1_3repE0EEENS1_48merge_mergepath_partition_config_static_selectorELNS0_4arch9wavefront6targetE1EEEvSJ_.num_named_barrier, 0
	.set _ZN7rocprim17ROCPRIM_400000_NS6detail17trampoline_kernelINS0_14default_configENS1_38merge_sort_block_merge_config_selectorIssEEZZNS1_27merge_sort_block_merge_implIS3_N6thrust23THRUST_200600_302600_NS6detail15normal_iteratorINS8_10device_ptrIsEEEESD_jNS1_19radix_merge_compareILb0ELb1EsNS0_19identity_decomposerEEEEE10hipError_tT0_T1_T2_jT3_P12ihipStream_tbPNSt15iterator_traitsISI_E10value_typeEPNSO_ISJ_E10value_typeEPSK_NS1_7vsmem_tEENKUlT_SI_SJ_SK_E_clIPsSD_S10_SD_EESH_SX_SI_SJ_SK_EUlSX_E_NS1_11comp_targetILNS1_3genE0ELNS1_11target_archE4294967295ELNS1_3gpuE0ELNS1_3repE0EEENS1_48merge_mergepath_partition_config_static_selectorELNS0_4arch9wavefront6targetE1EEEvSJ_.private_seg_size, 0
	.set _ZN7rocprim17ROCPRIM_400000_NS6detail17trampoline_kernelINS0_14default_configENS1_38merge_sort_block_merge_config_selectorIssEEZZNS1_27merge_sort_block_merge_implIS3_N6thrust23THRUST_200600_302600_NS6detail15normal_iteratorINS8_10device_ptrIsEEEESD_jNS1_19radix_merge_compareILb0ELb1EsNS0_19identity_decomposerEEEEE10hipError_tT0_T1_T2_jT3_P12ihipStream_tbPNSt15iterator_traitsISI_E10value_typeEPNSO_ISJ_E10value_typeEPSK_NS1_7vsmem_tEENKUlT_SI_SJ_SK_E_clIPsSD_S10_SD_EESH_SX_SI_SJ_SK_EUlSX_E_NS1_11comp_targetILNS1_3genE0ELNS1_11target_archE4294967295ELNS1_3gpuE0ELNS1_3repE0EEENS1_48merge_mergepath_partition_config_static_selectorELNS0_4arch9wavefront6targetE1EEEvSJ_.uses_vcc, 1
	.set _ZN7rocprim17ROCPRIM_400000_NS6detail17trampoline_kernelINS0_14default_configENS1_38merge_sort_block_merge_config_selectorIssEEZZNS1_27merge_sort_block_merge_implIS3_N6thrust23THRUST_200600_302600_NS6detail15normal_iteratorINS8_10device_ptrIsEEEESD_jNS1_19radix_merge_compareILb0ELb1EsNS0_19identity_decomposerEEEEE10hipError_tT0_T1_T2_jT3_P12ihipStream_tbPNSt15iterator_traitsISI_E10value_typeEPNSO_ISJ_E10value_typeEPSK_NS1_7vsmem_tEENKUlT_SI_SJ_SK_E_clIPsSD_S10_SD_EESH_SX_SI_SJ_SK_EUlSX_E_NS1_11comp_targetILNS1_3genE0ELNS1_11target_archE4294967295ELNS1_3gpuE0ELNS1_3repE0EEENS1_48merge_mergepath_partition_config_static_selectorELNS0_4arch9wavefront6targetE1EEEvSJ_.uses_flat_scratch, 0
	.set _ZN7rocprim17ROCPRIM_400000_NS6detail17trampoline_kernelINS0_14default_configENS1_38merge_sort_block_merge_config_selectorIssEEZZNS1_27merge_sort_block_merge_implIS3_N6thrust23THRUST_200600_302600_NS6detail15normal_iteratorINS8_10device_ptrIsEEEESD_jNS1_19radix_merge_compareILb0ELb1EsNS0_19identity_decomposerEEEEE10hipError_tT0_T1_T2_jT3_P12ihipStream_tbPNSt15iterator_traitsISI_E10value_typeEPNSO_ISJ_E10value_typeEPSK_NS1_7vsmem_tEENKUlT_SI_SJ_SK_E_clIPsSD_S10_SD_EESH_SX_SI_SJ_SK_EUlSX_E_NS1_11comp_targetILNS1_3genE0ELNS1_11target_archE4294967295ELNS1_3gpuE0ELNS1_3repE0EEENS1_48merge_mergepath_partition_config_static_selectorELNS0_4arch9wavefront6targetE1EEEvSJ_.has_dyn_sized_stack, 0
	.set _ZN7rocprim17ROCPRIM_400000_NS6detail17trampoline_kernelINS0_14default_configENS1_38merge_sort_block_merge_config_selectorIssEEZZNS1_27merge_sort_block_merge_implIS3_N6thrust23THRUST_200600_302600_NS6detail15normal_iteratorINS8_10device_ptrIsEEEESD_jNS1_19radix_merge_compareILb0ELb1EsNS0_19identity_decomposerEEEEE10hipError_tT0_T1_T2_jT3_P12ihipStream_tbPNSt15iterator_traitsISI_E10value_typeEPNSO_ISJ_E10value_typeEPSK_NS1_7vsmem_tEENKUlT_SI_SJ_SK_E_clIPsSD_S10_SD_EESH_SX_SI_SJ_SK_EUlSX_E_NS1_11comp_targetILNS1_3genE0ELNS1_11target_archE4294967295ELNS1_3gpuE0ELNS1_3repE0EEENS1_48merge_mergepath_partition_config_static_selectorELNS0_4arch9wavefront6targetE1EEEvSJ_.has_recursion, 0
	.set _ZN7rocprim17ROCPRIM_400000_NS6detail17trampoline_kernelINS0_14default_configENS1_38merge_sort_block_merge_config_selectorIssEEZZNS1_27merge_sort_block_merge_implIS3_N6thrust23THRUST_200600_302600_NS6detail15normal_iteratorINS8_10device_ptrIsEEEESD_jNS1_19radix_merge_compareILb0ELb1EsNS0_19identity_decomposerEEEEE10hipError_tT0_T1_T2_jT3_P12ihipStream_tbPNSt15iterator_traitsISI_E10value_typeEPNSO_ISJ_E10value_typeEPSK_NS1_7vsmem_tEENKUlT_SI_SJ_SK_E_clIPsSD_S10_SD_EESH_SX_SI_SJ_SK_EUlSX_E_NS1_11comp_targetILNS1_3genE0ELNS1_11target_archE4294967295ELNS1_3gpuE0ELNS1_3repE0EEENS1_48merge_mergepath_partition_config_static_selectorELNS0_4arch9wavefront6targetE1EEEvSJ_.has_indirect_call, 0
	.section	.AMDGPU.csdata,"",@progbits
; Kernel info:
; codeLenInByte = 340
; TotalNumSgprs: 16
; NumVgprs: 17
; NumAgprs: 0
; TotalNumVgprs: 17
; ScratchSize: 0
; MemoryBound: 0
; FloatMode: 240
; IeeeMode: 1
; LDSByteSize: 0 bytes/workgroup (compile time only)
; SGPRBlocks: 1
; VGPRBlocks: 2
; NumSGPRsForWavesPerEU: 16
; NumVGPRsForWavesPerEU: 17
; AccumOffset: 20
; Occupancy: 8
; WaveLimiterHint : 0
; COMPUTE_PGM_RSRC2:SCRATCH_EN: 0
; COMPUTE_PGM_RSRC2:USER_SGPR: 2
; COMPUTE_PGM_RSRC2:TRAP_HANDLER: 0
; COMPUTE_PGM_RSRC2:TGID_X_EN: 1
; COMPUTE_PGM_RSRC2:TGID_Y_EN: 0
; COMPUTE_PGM_RSRC2:TGID_Z_EN: 0
; COMPUTE_PGM_RSRC2:TIDIG_COMP_CNT: 0
; COMPUTE_PGM_RSRC3_GFX90A:ACCUM_OFFSET: 4
; COMPUTE_PGM_RSRC3_GFX90A:TG_SPLIT: 0
	.section	.text._ZN7rocprim17ROCPRIM_400000_NS6detail17trampoline_kernelINS0_14default_configENS1_38merge_sort_block_merge_config_selectorIssEEZZNS1_27merge_sort_block_merge_implIS3_N6thrust23THRUST_200600_302600_NS6detail15normal_iteratorINS8_10device_ptrIsEEEESD_jNS1_19radix_merge_compareILb0ELb1EsNS0_19identity_decomposerEEEEE10hipError_tT0_T1_T2_jT3_P12ihipStream_tbPNSt15iterator_traitsISI_E10value_typeEPNSO_ISJ_E10value_typeEPSK_NS1_7vsmem_tEENKUlT_SI_SJ_SK_E_clIPsSD_S10_SD_EESH_SX_SI_SJ_SK_EUlSX_E_NS1_11comp_targetILNS1_3genE10ELNS1_11target_archE1201ELNS1_3gpuE5ELNS1_3repE0EEENS1_48merge_mergepath_partition_config_static_selectorELNS0_4arch9wavefront6targetE1EEEvSJ_,"axG",@progbits,_ZN7rocprim17ROCPRIM_400000_NS6detail17trampoline_kernelINS0_14default_configENS1_38merge_sort_block_merge_config_selectorIssEEZZNS1_27merge_sort_block_merge_implIS3_N6thrust23THRUST_200600_302600_NS6detail15normal_iteratorINS8_10device_ptrIsEEEESD_jNS1_19radix_merge_compareILb0ELb1EsNS0_19identity_decomposerEEEEE10hipError_tT0_T1_T2_jT3_P12ihipStream_tbPNSt15iterator_traitsISI_E10value_typeEPNSO_ISJ_E10value_typeEPSK_NS1_7vsmem_tEENKUlT_SI_SJ_SK_E_clIPsSD_S10_SD_EESH_SX_SI_SJ_SK_EUlSX_E_NS1_11comp_targetILNS1_3genE10ELNS1_11target_archE1201ELNS1_3gpuE5ELNS1_3repE0EEENS1_48merge_mergepath_partition_config_static_selectorELNS0_4arch9wavefront6targetE1EEEvSJ_,comdat
	.protected	_ZN7rocprim17ROCPRIM_400000_NS6detail17trampoline_kernelINS0_14default_configENS1_38merge_sort_block_merge_config_selectorIssEEZZNS1_27merge_sort_block_merge_implIS3_N6thrust23THRUST_200600_302600_NS6detail15normal_iteratorINS8_10device_ptrIsEEEESD_jNS1_19radix_merge_compareILb0ELb1EsNS0_19identity_decomposerEEEEE10hipError_tT0_T1_T2_jT3_P12ihipStream_tbPNSt15iterator_traitsISI_E10value_typeEPNSO_ISJ_E10value_typeEPSK_NS1_7vsmem_tEENKUlT_SI_SJ_SK_E_clIPsSD_S10_SD_EESH_SX_SI_SJ_SK_EUlSX_E_NS1_11comp_targetILNS1_3genE10ELNS1_11target_archE1201ELNS1_3gpuE5ELNS1_3repE0EEENS1_48merge_mergepath_partition_config_static_selectorELNS0_4arch9wavefront6targetE1EEEvSJ_ ; -- Begin function _ZN7rocprim17ROCPRIM_400000_NS6detail17trampoline_kernelINS0_14default_configENS1_38merge_sort_block_merge_config_selectorIssEEZZNS1_27merge_sort_block_merge_implIS3_N6thrust23THRUST_200600_302600_NS6detail15normal_iteratorINS8_10device_ptrIsEEEESD_jNS1_19radix_merge_compareILb0ELb1EsNS0_19identity_decomposerEEEEE10hipError_tT0_T1_T2_jT3_P12ihipStream_tbPNSt15iterator_traitsISI_E10value_typeEPNSO_ISJ_E10value_typeEPSK_NS1_7vsmem_tEENKUlT_SI_SJ_SK_E_clIPsSD_S10_SD_EESH_SX_SI_SJ_SK_EUlSX_E_NS1_11comp_targetILNS1_3genE10ELNS1_11target_archE1201ELNS1_3gpuE5ELNS1_3repE0EEENS1_48merge_mergepath_partition_config_static_selectorELNS0_4arch9wavefront6targetE1EEEvSJ_
	.globl	_ZN7rocprim17ROCPRIM_400000_NS6detail17trampoline_kernelINS0_14default_configENS1_38merge_sort_block_merge_config_selectorIssEEZZNS1_27merge_sort_block_merge_implIS3_N6thrust23THRUST_200600_302600_NS6detail15normal_iteratorINS8_10device_ptrIsEEEESD_jNS1_19radix_merge_compareILb0ELb1EsNS0_19identity_decomposerEEEEE10hipError_tT0_T1_T2_jT3_P12ihipStream_tbPNSt15iterator_traitsISI_E10value_typeEPNSO_ISJ_E10value_typeEPSK_NS1_7vsmem_tEENKUlT_SI_SJ_SK_E_clIPsSD_S10_SD_EESH_SX_SI_SJ_SK_EUlSX_E_NS1_11comp_targetILNS1_3genE10ELNS1_11target_archE1201ELNS1_3gpuE5ELNS1_3repE0EEENS1_48merge_mergepath_partition_config_static_selectorELNS0_4arch9wavefront6targetE1EEEvSJ_
	.p2align	8
	.type	_ZN7rocprim17ROCPRIM_400000_NS6detail17trampoline_kernelINS0_14default_configENS1_38merge_sort_block_merge_config_selectorIssEEZZNS1_27merge_sort_block_merge_implIS3_N6thrust23THRUST_200600_302600_NS6detail15normal_iteratorINS8_10device_ptrIsEEEESD_jNS1_19radix_merge_compareILb0ELb1EsNS0_19identity_decomposerEEEEE10hipError_tT0_T1_T2_jT3_P12ihipStream_tbPNSt15iterator_traitsISI_E10value_typeEPNSO_ISJ_E10value_typeEPSK_NS1_7vsmem_tEENKUlT_SI_SJ_SK_E_clIPsSD_S10_SD_EESH_SX_SI_SJ_SK_EUlSX_E_NS1_11comp_targetILNS1_3genE10ELNS1_11target_archE1201ELNS1_3gpuE5ELNS1_3repE0EEENS1_48merge_mergepath_partition_config_static_selectorELNS0_4arch9wavefront6targetE1EEEvSJ_,@function
_ZN7rocprim17ROCPRIM_400000_NS6detail17trampoline_kernelINS0_14default_configENS1_38merge_sort_block_merge_config_selectorIssEEZZNS1_27merge_sort_block_merge_implIS3_N6thrust23THRUST_200600_302600_NS6detail15normal_iteratorINS8_10device_ptrIsEEEESD_jNS1_19radix_merge_compareILb0ELb1EsNS0_19identity_decomposerEEEEE10hipError_tT0_T1_T2_jT3_P12ihipStream_tbPNSt15iterator_traitsISI_E10value_typeEPNSO_ISJ_E10value_typeEPSK_NS1_7vsmem_tEENKUlT_SI_SJ_SK_E_clIPsSD_S10_SD_EESH_SX_SI_SJ_SK_EUlSX_E_NS1_11comp_targetILNS1_3genE10ELNS1_11target_archE1201ELNS1_3gpuE5ELNS1_3repE0EEENS1_48merge_mergepath_partition_config_static_selectorELNS0_4arch9wavefront6targetE1EEEvSJ_: ; @_ZN7rocprim17ROCPRIM_400000_NS6detail17trampoline_kernelINS0_14default_configENS1_38merge_sort_block_merge_config_selectorIssEEZZNS1_27merge_sort_block_merge_implIS3_N6thrust23THRUST_200600_302600_NS6detail15normal_iteratorINS8_10device_ptrIsEEEESD_jNS1_19radix_merge_compareILb0ELb1EsNS0_19identity_decomposerEEEEE10hipError_tT0_T1_T2_jT3_P12ihipStream_tbPNSt15iterator_traitsISI_E10value_typeEPNSO_ISJ_E10value_typeEPSK_NS1_7vsmem_tEENKUlT_SI_SJ_SK_E_clIPsSD_S10_SD_EESH_SX_SI_SJ_SK_EUlSX_E_NS1_11comp_targetILNS1_3genE10ELNS1_11target_archE1201ELNS1_3gpuE5ELNS1_3repE0EEENS1_48merge_mergepath_partition_config_static_selectorELNS0_4arch9wavefront6targetE1EEEvSJ_
; %bb.0:
	.section	.rodata,"a",@progbits
	.p2align	6, 0x0
	.amdhsa_kernel _ZN7rocprim17ROCPRIM_400000_NS6detail17trampoline_kernelINS0_14default_configENS1_38merge_sort_block_merge_config_selectorIssEEZZNS1_27merge_sort_block_merge_implIS3_N6thrust23THRUST_200600_302600_NS6detail15normal_iteratorINS8_10device_ptrIsEEEESD_jNS1_19radix_merge_compareILb0ELb1EsNS0_19identity_decomposerEEEEE10hipError_tT0_T1_T2_jT3_P12ihipStream_tbPNSt15iterator_traitsISI_E10value_typeEPNSO_ISJ_E10value_typeEPSK_NS1_7vsmem_tEENKUlT_SI_SJ_SK_E_clIPsSD_S10_SD_EESH_SX_SI_SJ_SK_EUlSX_E_NS1_11comp_targetILNS1_3genE10ELNS1_11target_archE1201ELNS1_3gpuE5ELNS1_3repE0EEENS1_48merge_mergepath_partition_config_static_selectorELNS0_4arch9wavefront6targetE1EEEvSJ_
		.amdhsa_group_segment_fixed_size 0
		.amdhsa_private_segment_fixed_size 0
		.amdhsa_kernarg_size 40
		.amdhsa_user_sgpr_count 2
		.amdhsa_user_sgpr_dispatch_ptr 0
		.amdhsa_user_sgpr_queue_ptr 0
		.amdhsa_user_sgpr_kernarg_segment_ptr 1
		.amdhsa_user_sgpr_dispatch_id 0
		.amdhsa_user_sgpr_kernarg_preload_length 0
		.amdhsa_user_sgpr_kernarg_preload_offset 0
		.amdhsa_user_sgpr_private_segment_size 0
		.amdhsa_uses_dynamic_stack 0
		.amdhsa_enable_private_segment 0
		.amdhsa_system_sgpr_workgroup_id_x 1
		.amdhsa_system_sgpr_workgroup_id_y 0
		.amdhsa_system_sgpr_workgroup_id_z 0
		.amdhsa_system_sgpr_workgroup_info 0
		.amdhsa_system_vgpr_workitem_id 0
		.amdhsa_next_free_vgpr 1
		.amdhsa_next_free_sgpr 0
		.amdhsa_accum_offset 4
		.amdhsa_reserve_vcc 0
		.amdhsa_float_round_mode_32 0
		.amdhsa_float_round_mode_16_64 0
		.amdhsa_float_denorm_mode_32 3
		.amdhsa_float_denorm_mode_16_64 3
		.amdhsa_dx10_clamp 1
		.amdhsa_ieee_mode 1
		.amdhsa_fp16_overflow 0
		.amdhsa_tg_split 0
		.amdhsa_exception_fp_ieee_invalid_op 0
		.amdhsa_exception_fp_denorm_src 0
		.amdhsa_exception_fp_ieee_div_zero 0
		.amdhsa_exception_fp_ieee_overflow 0
		.amdhsa_exception_fp_ieee_underflow 0
		.amdhsa_exception_fp_ieee_inexact 0
		.amdhsa_exception_int_div_zero 0
	.end_amdhsa_kernel
	.section	.text._ZN7rocprim17ROCPRIM_400000_NS6detail17trampoline_kernelINS0_14default_configENS1_38merge_sort_block_merge_config_selectorIssEEZZNS1_27merge_sort_block_merge_implIS3_N6thrust23THRUST_200600_302600_NS6detail15normal_iteratorINS8_10device_ptrIsEEEESD_jNS1_19radix_merge_compareILb0ELb1EsNS0_19identity_decomposerEEEEE10hipError_tT0_T1_T2_jT3_P12ihipStream_tbPNSt15iterator_traitsISI_E10value_typeEPNSO_ISJ_E10value_typeEPSK_NS1_7vsmem_tEENKUlT_SI_SJ_SK_E_clIPsSD_S10_SD_EESH_SX_SI_SJ_SK_EUlSX_E_NS1_11comp_targetILNS1_3genE10ELNS1_11target_archE1201ELNS1_3gpuE5ELNS1_3repE0EEENS1_48merge_mergepath_partition_config_static_selectorELNS0_4arch9wavefront6targetE1EEEvSJ_,"axG",@progbits,_ZN7rocprim17ROCPRIM_400000_NS6detail17trampoline_kernelINS0_14default_configENS1_38merge_sort_block_merge_config_selectorIssEEZZNS1_27merge_sort_block_merge_implIS3_N6thrust23THRUST_200600_302600_NS6detail15normal_iteratorINS8_10device_ptrIsEEEESD_jNS1_19radix_merge_compareILb0ELb1EsNS0_19identity_decomposerEEEEE10hipError_tT0_T1_T2_jT3_P12ihipStream_tbPNSt15iterator_traitsISI_E10value_typeEPNSO_ISJ_E10value_typeEPSK_NS1_7vsmem_tEENKUlT_SI_SJ_SK_E_clIPsSD_S10_SD_EESH_SX_SI_SJ_SK_EUlSX_E_NS1_11comp_targetILNS1_3genE10ELNS1_11target_archE1201ELNS1_3gpuE5ELNS1_3repE0EEENS1_48merge_mergepath_partition_config_static_selectorELNS0_4arch9wavefront6targetE1EEEvSJ_,comdat
.Lfunc_end1568:
	.size	_ZN7rocprim17ROCPRIM_400000_NS6detail17trampoline_kernelINS0_14default_configENS1_38merge_sort_block_merge_config_selectorIssEEZZNS1_27merge_sort_block_merge_implIS3_N6thrust23THRUST_200600_302600_NS6detail15normal_iteratorINS8_10device_ptrIsEEEESD_jNS1_19radix_merge_compareILb0ELb1EsNS0_19identity_decomposerEEEEE10hipError_tT0_T1_T2_jT3_P12ihipStream_tbPNSt15iterator_traitsISI_E10value_typeEPNSO_ISJ_E10value_typeEPSK_NS1_7vsmem_tEENKUlT_SI_SJ_SK_E_clIPsSD_S10_SD_EESH_SX_SI_SJ_SK_EUlSX_E_NS1_11comp_targetILNS1_3genE10ELNS1_11target_archE1201ELNS1_3gpuE5ELNS1_3repE0EEENS1_48merge_mergepath_partition_config_static_selectorELNS0_4arch9wavefront6targetE1EEEvSJ_, .Lfunc_end1568-_ZN7rocprim17ROCPRIM_400000_NS6detail17trampoline_kernelINS0_14default_configENS1_38merge_sort_block_merge_config_selectorIssEEZZNS1_27merge_sort_block_merge_implIS3_N6thrust23THRUST_200600_302600_NS6detail15normal_iteratorINS8_10device_ptrIsEEEESD_jNS1_19radix_merge_compareILb0ELb1EsNS0_19identity_decomposerEEEEE10hipError_tT0_T1_T2_jT3_P12ihipStream_tbPNSt15iterator_traitsISI_E10value_typeEPNSO_ISJ_E10value_typeEPSK_NS1_7vsmem_tEENKUlT_SI_SJ_SK_E_clIPsSD_S10_SD_EESH_SX_SI_SJ_SK_EUlSX_E_NS1_11comp_targetILNS1_3genE10ELNS1_11target_archE1201ELNS1_3gpuE5ELNS1_3repE0EEENS1_48merge_mergepath_partition_config_static_selectorELNS0_4arch9wavefront6targetE1EEEvSJ_
                                        ; -- End function
	.set _ZN7rocprim17ROCPRIM_400000_NS6detail17trampoline_kernelINS0_14default_configENS1_38merge_sort_block_merge_config_selectorIssEEZZNS1_27merge_sort_block_merge_implIS3_N6thrust23THRUST_200600_302600_NS6detail15normal_iteratorINS8_10device_ptrIsEEEESD_jNS1_19radix_merge_compareILb0ELb1EsNS0_19identity_decomposerEEEEE10hipError_tT0_T1_T2_jT3_P12ihipStream_tbPNSt15iterator_traitsISI_E10value_typeEPNSO_ISJ_E10value_typeEPSK_NS1_7vsmem_tEENKUlT_SI_SJ_SK_E_clIPsSD_S10_SD_EESH_SX_SI_SJ_SK_EUlSX_E_NS1_11comp_targetILNS1_3genE10ELNS1_11target_archE1201ELNS1_3gpuE5ELNS1_3repE0EEENS1_48merge_mergepath_partition_config_static_selectorELNS0_4arch9wavefront6targetE1EEEvSJ_.num_vgpr, 0
	.set _ZN7rocprim17ROCPRIM_400000_NS6detail17trampoline_kernelINS0_14default_configENS1_38merge_sort_block_merge_config_selectorIssEEZZNS1_27merge_sort_block_merge_implIS3_N6thrust23THRUST_200600_302600_NS6detail15normal_iteratorINS8_10device_ptrIsEEEESD_jNS1_19radix_merge_compareILb0ELb1EsNS0_19identity_decomposerEEEEE10hipError_tT0_T1_T2_jT3_P12ihipStream_tbPNSt15iterator_traitsISI_E10value_typeEPNSO_ISJ_E10value_typeEPSK_NS1_7vsmem_tEENKUlT_SI_SJ_SK_E_clIPsSD_S10_SD_EESH_SX_SI_SJ_SK_EUlSX_E_NS1_11comp_targetILNS1_3genE10ELNS1_11target_archE1201ELNS1_3gpuE5ELNS1_3repE0EEENS1_48merge_mergepath_partition_config_static_selectorELNS0_4arch9wavefront6targetE1EEEvSJ_.num_agpr, 0
	.set _ZN7rocprim17ROCPRIM_400000_NS6detail17trampoline_kernelINS0_14default_configENS1_38merge_sort_block_merge_config_selectorIssEEZZNS1_27merge_sort_block_merge_implIS3_N6thrust23THRUST_200600_302600_NS6detail15normal_iteratorINS8_10device_ptrIsEEEESD_jNS1_19radix_merge_compareILb0ELb1EsNS0_19identity_decomposerEEEEE10hipError_tT0_T1_T2_jT3_P12ihipStream_tbPNSt15iterator_traitsISI_E10value_typeEPNSO_ISJ_E10value_typeEPSK_NS1_7vsmem_tEENKUlT_SI_SJ_SK_E_clIPsSD_S10_SD_EESH_SX_SI_SJ_SK_EUlSX_E_NS1_11comp_targetILNS1_3genE10ELNS1_11target_archE1201ELNS1_3gpuE5ELNS1_3repE0EEENS1_48merge_mergepath_partition_config_static_selectorELNS0_4arch9wavefront6targetE1EEEvSJ_.numbered_sgpr, 0
	.set _ZN7rocprim17ROCPRIM_400000_NS6detail17trampoline_kernelINS0_14default_configENS1_38merge_sort_block_merge_config_selectorIssEEZZNS1_27merge_sort_block_merge_implIS3_N6thrust23THRUST_200600_302600_NS6detail15normal_iteratorINS8_10device_ptrIsEEEESD_jNS1_19radix_merge_compareILb0ELb1EsNS0_19identity_decomposerEEEEE10hipError_tT0_T1_T2_jT3_P12ihipStream_tbPNSt15iterator_traitsISI_E10value_typeEPNSO_ISJ_E10value_typeEPSK_NS1_7vsmem_tEENKUlT_SI_SJ_SK_E_clIPsSD_S10_SD_EESH_SX_SI_SJ_SK_EUlSX_E_NS1_11comp_targetILNS1_3genE10ELNS1_11target_archE1201ELNS1_3gpuE5ELNS1_3repE0EEENS1_48merge_mergepath_partition_config_static_selectorELNS0_4arch9wavefront6targetE1EEEvSJ_.num_named_barrier, 0
	.set _ZN7rocprim17ROCPRIM_400000_NS6detail17trampoline_kernelINS0_14default_configENS1_38merge_sort_block_merge_config_selectorIssEEZZNS1_27merge_sort_block_merge_implIS3_N6thrust23THRUST_200600_302600_NS6detail15normal_iteratorINS8_10device_ptrIsEEEESD_jNS1_19radix_merge_compareILb0ELb1EsNS0_19identity_decomposerEEEEE10hipError_tT0_T1_T2_jT3_P12ihipStream_tbPNSt15iterator_traitsISI_E10value_typeEPNSO_ISJ_E10value_typeEPSK_NS1_7vsmem_tEENKUlT_SI_SJ_SK_E_clIPsSD_S10_SD_EESH_SX_SI_SJ_SK_EUlSX_E_NS1_11comp_targetILNS1_3genE10ELNS1_11target_archE1201ELNS1_3gpuE5ELNS1_3repE0EEENS1_48merge_mergepath_partition_config_static_selectorELNS0_4arch9wavefront6targetE1EEEvSJ_.private_seg_size, 0
	.set _ZN7rocprim17ROCPRIM_400000_NS6detail17trampoline_kernelINS0_14default_configENS1_38merge_sort_block_merge_config_selectorIssEEZZNS1_27merge_sort_block_merge_implIS3_N6thrust23THRUST_200600_302600_NS6detail15normal_iteratorINS8_10device_ptrIsEEEESD_jNS1_19radix_merge_compareILb0ELb1EsNS0_19identity_decomposerEEEEE10hipError_tT0_T1_T2_jT3_P12ihipStream_tbPNSt15iterator_traitsISI_E10value_typeEPNSO_ISJ_E10value_typeEPSK_NS1_7vsmem_tEENKUlT_SI_SJ_SK_E_clIPsSD_S10_SD_EESH_SX_SI_SJ_SK_EUlSX_E_NS1_11comp_targetILNS1_3genE10ELNS1_11target_archE1201ELNS1_3gpuE5ELNS1_3repE0EEENS1_48merge_mergepath_partition_config_static_selectorELNS0_4arch9wavefront6targetE1EEEvSJ_.uses_vcc, 0
	.set _ZN7rocprim17ROCPRIM_400000_NS6detail17trampoline_kernelINS0_14default_configENS1_38merge_sort_block_merge_config_selectorIssEEZZNS1_27merge_sort_block_merge_implIS3_N6thrust23THRUST_200600_302600_NS6detail15normal_iteratorINS8_10device_ptrIsEEEESD_jNS1_19radix_merge_compareILb0ELb1EsNS0_19identity_decomposerEEEEE10hipError_tT0_T1_T2_jT3_P12ihipStream_tbPNSt15iterator_traitsISI_E10value_typeEPNSO_ISJ_E10value_typeEPSK_NS1_7vsmem_tEENKUlT_SI_SJ_SK_E_clIPsSD_S10_SD_EESH_SX_SI_SJ_SK_EUlSX_E_NS1_11comp_targetILNS1_3genE10ELNS1_11target_archE1201ELNS1_3gpuE5ELNS1_3repE0EEENS1_48merge_mergepath_partition_config_static_selectorELNS0_4arch9wavefront6targetE1EEEvSJ_.uses_flat_scratch, 0
	.set _ZN7rocprim17ROCPRIM_400000_NS6detail17trampoline_kernelINS0_14default_configENS1_38merge_sort_block_merge_config_selectorIssEEZZNS1_27merge_sort_block_merge_implIS3_N6thrust23THRUST_200600_302600_NS6detail15normal_iteratorINS8_10device_ptrIsEEEESD_jNS1_19radix_merge_compareILb0ELb1EsNS0_19identity_decomposerEEEEE10hipError_tT0_T1_T2_jT3_P12ihipStream_tbPNSt15iterator_traitsISI_E10value_typeEPNSO_ISJ_E10value_typeEPSK_NS1_7vsmem_tEENKUlT_SI_SJ_SK_E_clIPsSD_S10_SD_EESH_SX_SI_SJ_SK_EUlSX_E_NS1_11comp_targetILNS1_3genE10ELNS1_11target_archE1201ELNS1_3gpuE5ELNS1_3repE0EEENS1_48merge_mergepath_partition_config_static_selectorELNS0_4arch9wavefront6targetE1EEEvSJ_.has_dyn_sized_stack, 0
	.set _ZN7rocprim17ROCPRIM_400000_NS6detail17trampoline_kernelINS0_14default_configENS1_38merge_sort_block_merge_config_selectorIssEEZZNS1_27merge_sort_block_merge_implIS3_N6thrust23THRUST_200600_302600_NS6detail15normal_iteratorINS8_10device_ptrIsEEEESD_jNS1_19radix_merge_compareILb0ELb1EsNS0_19identity_decomposerEEEEE10hipError_tT0_T1_T2_jT3_P12ihipStream_tbPNSt15iterator_traitsISI_E10value_typeEPNSO_ISJ_E10value_typeEPSK_NS1_7vsmem_tEENKUlT_SI_SJ_SK_E_clIPsSD_S10_SD_EESH_SX_SI_SJ_SK_EUlSX_E_NS1_11comp_targetILNS1_3genE10ELNS1_11target_archE1201ELNS1_3gpuE5ELNS1_3repE0EEENS1_48merge_mergepath_partition_config_static_selectorELNS0_4arch9wavefront6targetE1EEEvSJ_.has_recursion, 0
	.set _ZN7rocprim17ROCPRIM_400000_NS6detail17trampoline_kernelINS0_14default_configENS1_38merge_sort_block_merge_config_selectorIssEEZZNS1_27merge_sort_block_merge_implIS3_N6thrust23THRUST_200600_302600_NS6detail15normal_iteratorINS8_10device_ptrIsEEEESD_jNS1_19radix_merge_compareILb0ELb1EsNS0_19identity_decomposerEEEEE10hipError_tT0_T1_T2_jT3_P12ihipStream_tbPNSt15iterator_traitsISI_E10value_typeEPNSO_ISJ_E10value_typeEPSK_NS1_7vsmem_tEENKUlT_SI_SJ_SK_E_clIPsSD_S10_SD_EESH_SX_SI_SJ_SK_EUlSX_E_NS1_11comp_targetILNS1_3genE10ELNS1_11target_archE1201ELNS1_3gpuE5ELNS1_3repE0EEENS1_48merge_mergepath_partition_config_static_selectorELNS0_4arch9wavefront6targetE1EEEvSJ_.has_indirect_call, 0
	.section	.AMDGPU.csdata,"",@progbits
; Kernel info:
; codeLenInByte = 0
; TotalNumSgprs: 6
; NumVgprs: 0
; NumAgprs: 0
; TotalNumVgprs: 0
; ScratchSize: 0
; MemoryBound: 0
; FloatMode: 240
; IeeeMode: 1
; LDSByteSize: 0 bytes/workgroup (compile time only)
; SGPRBlocks: 0
; VGPRBlocks: 0
; NumSGPRsForWavesPerEU: 6
; NumVGPRsForWavesPerEU: 1
; AccumOffset: 4
; Occupancy: 8
; WaveLimiterHint : 0
; COMPUTE_PGM_RSRC2:SCRATCH_EN: 0
; COMPUTE_PGM_RSRC2:USER_SGPR: 2
; COMPUTE_PGM_RSRC2:TRAP_HANDLER: 0
; COMPUTE_PGM_RSRC2:TGID_X_EN: 1
; COMPUTE_PGM_RSRC2:TGID_Y_EN: 0
; COMPUTE_PGM_RSRC2:TGID_Z_EN: 0
; COMPUTE_PGM_RSRC2:TIDIG_COMP_CNT: 0
; COMPUTE_PGM_RSRC3_GFX90A:ACCUM_OFFSET: 0
; COMPUTE_PGM_RSRC3_GFX90A:TG_SPLIT: 0
	.section	.text._ZN7rocprim17ROCPRIM_400000_NS6detail17trampoline_kernelINS0_14default_configENS1_38merge_sort_block_merge_config_selectorIssEEZZNS1_27merge_sort_block_merge_implIS3_N6thrust23THRUST_200600_302600_NS6detail15normal_iteratorINS8_10device_ptrIsEEEESD_jNS1_19radix_merge_compareILb0ELb1EsNS0_19identity_decomposerEEEEE10hipError_tT0_T1_T2_jT3_P12ihipStream_tbPNSt15iterator_traitsISI_E10value_typeEPNSO_ISJ_E10value_typeEPSK_NS1_7vsmem_tEENKUlT_SI_SJ_SK_E_clIPsSD_S10_SD_EESH_SX_SI_SJ_SK_EUlSX_E_NS1_11comp_targetILNS1_3genE5ELNS1_11target_archE942ELNS1_3gpuE9ELNS1_3repE0EEENS1_48merge_mergepath_partition_config_static_selectorELNS0_4arch9wavefront6targetE1EEEvSJ_,"axG",@progbits,_ZN7rocprim17ROCPRIM_400000_NS6detail17trampoline_kernelINS0_14default_configENS1_38merge_sort_block_merge_config_selectorIssEEZZNS1_27merge_sort_block_merge_implIS3_N6thrust23THRUST_200600_302600_NS6detail15normal_iteratorINS8_10device_ptrIsEEEESD_jNS1_19radix_merge_compareILb0ELb1EsNS0_19identity_decomposerEEEEE10hipError_tT0_T1_T2_jT3_P12ihipStream_tbPNSt15iterator_traitsISI_E10value_typeEPNSO_ISJ_E10value_typeEPSK_NS1_7vsmem_tEENKUlT_SI_SJ_SK_E_clIPsSD_S10_SD_EESH_SX_SI_SJ_SK_EUlSX_E_NS1_11comp_targetILNS1_3genE5ELNS1_11target_archE942ELNS1_3gpuE9ELNS1_3repE0EEENS1_48merge_mergepath_partition_config_static_selectorELNS0_4arch9wavefront6targetE1EEEvSJ_,comdat
	.protected	_ZN7rocprim17ROCPRIM_400000_NS6detail17trampoline_kernelINS0_14default_configENS1_38merge_sort_block_merge_config_selectorIssEEZZNS1_27merge_sort_block_merge_implIS3_N6thrust23THRUST_200600_302600_NS6detail15normal_iteratorINS8_10device_ptrIsEEEESD_jNS1_19radix_merge_compareILb0ELb1EsNS0_19identity_decomposerEEEEE10hipError_tT0_T1_T2_jT3_P12ihipStream_tbPNSt15iterator_traitsISI_E10value_typeEPNSO_ISJ_E10value_typeEPSK_NS1_7vsmem_tEENKUlT_SI_SJ_SK_E_clIPsSD_S10_SD_EESH_SX_SI_SJ_SK_EUlSX_E_NS1_11comp_targetILNS1_3genE5ELNS1_11target_archE942ELNS1_3gpuE9ELNS1_3repE0EEENS1_48merge_mergepath_partition_config_static_selectorELNS0_4arch9wavefront6targetE1EEEvSJ_ ; -- Begin function _ZN7rocprim17ROCPRIM_400000_NS6detail17trampoline_kernelINS0_14default_configENS1_38merge_sort_block_merge_config_selectorIssEEZZNS1_27merge_sort_block_merge_implIS3_N6thrust23THRUST_200600_302600_NS6detail15normal_iteratorINS8_10device_ptrIsEEEESD_jNS1_19radix_merge_compareILb0ELb1EsNS0_19identity_decomposerEEEEE10hipError_tT0_T1_T2_jT3_P12ihipStream_tbPNSt15iterator_traitsISI_E10value_typeEPNSO_ISJ_E10value_typeEPSK_NS1_7vsmem_tEENKUlT_SI_SJ_SK_E_clIPsSD_S10_SD_EESH_SX_SI_SJ_SK_EUlSX_E_NS1_11comp_targetILNS1_3genE5ELNS1_11target_archE942ELNS1_3gpuE9ELNS1_3repE0EEENS1_48merge_mergepath_partition_config_static_selectorELNS0_4arch9wavefront6targetE1EEEvSJ_
	.globl	_ZN7rocprim17ROCPRIM_400000_NS6detail17trampoline_kernelINS0_14default_configENS1_38merge_sort_block_merge_config_selectorIssEEZZNS1_27merge_sort_block_merge_implIS3_N6thrust23THRUST_200600_302600_NS6detail15normal_iteratorINS8_10device_ptrIsEEEESD_jNS1_19radix_merge_compareILb0ELb1EsNS0_19identity_decomposerEEEEE10hipError_tT0_T1_T2_jT3_P12ihipStream_tbPNSt15iterator_traitsISI_E10value_typeEPNSO_ISJ_E10value_typeEPSK_NS1_7vsmem_tEENKUlT_SI_SJ_SK_E_clIPsSD_S10_SD_EESH_SX_SI_SJ_SK_EUlSX_E_NS1_11comp_targetILNS1_3genE5ELNS1_11target_archE942ELNS1_3gpuE9ELNS1_3repE0EEENS1_48merge_mergepath_partition_config_static_selectorELNS0_4arch9wavefront6targetE1EEEvSJ_
	.p2align	8
	.type	_ZN7rocprim17ROCPRIM_400000_NS6detail17trampoline_kernelINS0_14default_configENS1_38merge_sort_block_merge_config_selectorIssEEZZNS1_27merge_sort_block_merge_implIS3_N6thrust23THRUST_200600_302600_NS6detail15normal_iteratorINS8_10device_ptrIsEEEESD_jNS1_19radix_merge_compareILb0ELb1EsNS0_19identity_decomposerEEEEE10hipError_tT0_T1_T2_jT3_P12ihipStream_tbPNSt15iterator_traitsISI_E10value_typeEPNSO_ISJ_E10value_typeEPSK_NS1_7vsmem_tEENKUlT_SI_SJ_SK_E_clIPsSD_S10_SD_EESH_SX_SI_SJ_SK_EUlSX_E_NS1_11comp_targetILNS1_3genE5ELNS1_11target_archE942ELNS1_3gpuE9ELNS1_3repE0EEENS1_48merge_mergepath_partition_config_static_selectorELNS0_4arch9wavefront6targetE1EEEvSJ_,@function
_ZN7rocprim17ROCPRIM_400000_NS6detail17trampoline_kernelINS0_14default_configENS1_38merge_sort_block_merge_config_selectorIssEEZZNS1_27merge_sort_block_merge_implIS3_N6thrust23THRUST_200600_302600_NS6detail15normal_iteratorINS8_10device_ptrIsEEEESD_jNS1_19radix_merge_compareILb0ELb1EsNS0_19identity_decomposerEEEEE10hipError_tT0_T1_T2_jT3_P12ihipStream_tbPNSt15iterator_traitsISI_E10value_typeEPNSO_ISJ_E10value_typeEPSK_NS1_7vsmem_tEENKUlT_SI_SJ_SK_E_clIPsSD_S10_SD_EESH_SX_SI_SJ_SK_EUlSX_E_NS1_11comp_targetILNS1_3genE5ELNS1_11target_archE942ELNS1_3gpuE9ELNS1_3repE0EEENS1_48merge_mergepath_partition_config_static_selectorELNS0_4arch9wavefront6targetE1EEEvSJ_: ; @_ZN7rocprim17ROCPRIM_400000_NS6detail17trampoline_kernelINS0_14default_configENS1_38merge_sort_block_merge_config_selectorIssEEZZNS1_27merge_sort_block_merge_implIS3_N6thrust23THRUST_200600_302600_NS6detail15normal_iteratorINS8_10device_ptrIsEEEESD_jNS1_19radix_merge_compareILb0ELb1EsNS0_19identity_decomposerEEEEE10hipError_tT0_T1_T2_jT3_P12ihipStream_tbPNSt15iterator_traitsISI_E10value_typeEPNSO_ISJ_E10value_typeEPSK_NS1_7vsmem_tEENKUlT_SI_SJ_SK_E_clIPsSD_S10_SD_EESH_SX_SI_SJ_SK_EUlSX_E_NS1_11comp_targetILNS1_3genE5ELNS1_11target_archE942ELNS1_3gpuE9ELNS1_3repE0EEENS1_48merge_mergepath_partition_config_static_selectorELNS0_4arch9wavefront6targetE1EEEvSJ_
; %bb.0:
	.section	.rodata,"a",@progbits
	.p2align	6, 0x0
	.amdhsa_kernel _ZN7rocprim17ROCPRIM_400000_NS6detail17trampoline_kernelINS0_14default_configENS1_38merge_sort_block_merge_config_selectorIssEEZZNS1_27merge_sort_block_merge_implIS3_N6thrust23THRUST_200600_302600_NS6detail15normal_iteratorINS8_10device_ptrIsEEEESD_jNS1_19radix_merge_compareILb0ELb1EsNS0_19identity_decomposerEEEEE10hipError_tT0_T1_T2_jT3_P12ihipStream_tbPNSt15iterator_traitsISI_E10value_typeEPNSO_ISJ_E10value_typeEPSK_NS1_7vsmem_tEENKUlT_SI_SJ_SK_E_clIPsSD_S10_SD_EESH_SX_SI_SJ_SK_EUlSX_E_NS1_11comp_targetILNS1_3genE5ELNS1_11target_archE942ELNS1_3gpuE9ELNS1_3repE0EEENS1_48merge_mergepath_partition_config_static_selectorELNS0_4arch9wavefront6targetE1EEEvSJ_
		.amdhsa_group_segment_fixed_size 0
		.amdhsa_private_segment_fixed_size 0
		.amdhsa_kernarg_size 40
		.amdhsa_user_sgpr_count 2
		.amdhsa_user_sgpr_dispatch_ptr 0
		.amdhsa_user_sgpr_queue_ptr 0
		.amdhsa_user_sgpr_kernarg_segment_ptr 1
		.amdhsa_user_sgpr_dispatch_id 0
		.amdhsa_user_sgpr_kernarg_preload_length 0
		.amdhsa_user_sgpr_kernarg_preload_offset 0
		.amdhsa_user_sgpr_private_segment_size 0
		.amdhsa_uses_dynamic_stack 0
		.amdhsa_enable_private_segment 0
		.amdhsa_system_sgpr_workgroup_id_x 1
		.amdhsa_system_sgpr_workgroup_id_y 0
		.amdhsa_system_sgpr_workgroup_id_z 0
		.amdhsa_system_sgpr_workgroup_info 0
		.amdhsa_system_vgpr_workitem_id 0
		.amdhsa_next_free_vgpr 1
		.amdhsa_next_free_sgpr 0
		.amdhsa_accum_offset 4
		.amdhsa_reserve_vcc 0
		.amdhsa_float_round_mode_32 0
		.amdhsa_float_round_mode_16_64 0
		.amdhsa_float_denorm_mode_32 3
		.amdhsa_float_denorm_mode_16_64 3
		.amdhsa_dx10_clamp 1
		.amdhsa_ieee_mode 1
		.amdhsa_fp16_overflow 0
		.amdhsa_tg_split 0
		.amdhsa_exception_fp_ieee_invalid_op 0
		.amdhsa_exception_fp_denorm_src 0
		.amdhsa_exception_fp_ieee_div_zero 0
		.amdhsa_exception_fp_ieee_overflow 0
		.amdhsa_exception_fp_ieee_underflow 0
		.amdhsa_exception_fp_ieee_inexact 0
		.amdhsa_exception_int_div_zero 0
	.end_amdhsa_kernel
	.section	.text._ZN7rocprim17ROCPRIM_400000_NS6detail17trampoline_kernelINS0_14default_configENS1_38merge_sort_block_merge_config_selectorIssEEZZNS1_27merge_sort_block_merge_implIS3_N6thrust23THRUST_200600_302600_NS6detail15normal_iteratorINS8_10device_ptrIsEEEESD_jNS1_19radix_merge_compareILb0ELb1EsNS0_19identity_decomposerEEEEE10hipError_tT0_T1_T2_jT3_P12ihipStream_tbPNSt15iterator_traitsISI_E10value_typeEPNSO_ISJ_E10value_typeEPSK_NS1_7vsmem_tEENKUlT_SI_SJ_SK_E_clIPsSD_S10_SD_EESH_SX_SI_SJ_SK_EUlSX_E_NS1_11comp_targetILNS1_3genE5ELNS1_11target_archE942ELNS1_3gpuE9ELNS1_3repE0EEENS1_48merge_mergepath_partition_config_static_selectorELNS0_4arch9wavefront6targetE1EEEvSJ_,"axG",@progbits,_ZN7rocprim17ROCPRIM_400000_NS6detail17trampoline_kernelINS0_14default_configENS1_38merge_sort_block_merge_config_selectorIssEEZZNS1_27merge_sort_block_merge_implIS3_N6thrust23THRUST_200600_302600_NS6detail15normal_iteratorINS8_10device_ptrIsEEEESD_jNS1_19radix_merge_compareILb0ELb1EsNS0_19identity_decomposerEEEEE10hipError_tT0_T1_T2_jT3_P12ihipStream_tbPNSt15iterator_traitsISI_E10value_typeEPNSO_ISJ_E10value_typeEPSK_NS1_7vsmem_tEENKUlT_SI_SJ_SK_E_clIPsSD_S10_SD_EESH_SX_SI_SJ_SK_EUlSX_E_NS1_11comp_targetILNS1_3genE5ELNS1_11target_archE942ELNS1_3gpuE9ELNS1_3repE0EEENS1_48merge_mergepath_partition_config_static_selectorELNS0_4arch9wavefront6targetE1EEEvSJ_,comdat
.Lfunc_end1569:
	.size	_ZN7rocprim17ROCPRIM_400000_NS6detail17trampoline_kernelINS0_14default_configENS1_38merge_sort_block_merge_config_selectorIssEEZZNS1_27merge_sort_block_merge_implIS3_N6thrust23THRUST_200600_302600_NS6detail15normal_iteratorINS8_10device_ptrIsEEEESD_jNS1_19radix_merge_compareILb0ELb1EsNS0_19identity_decomposerEEEEE10hipError_tT0_T1_T2_jT3_P12ihipStream_tbPNSt15iterator_traitsISI_E10value_typeEPNSO_ISJ_E10value_typeEPSK_NS1_7vsmem_tEENKUlT_SI_SJ_SK_E_clIPsSD_S10_SD_EESH_SX_SI_SJ_SK_EUlSX_E_NS1_11comp_targetILNS1_3genE5ELNS1_11target_archE942ELNS1_3gpuE9ELNS1_3repE0EEENS1_48merge_mergepath_partition_config_static_selectorELNS0_4arch9wavefront6targetE1EEEvSJ_, .Lfunc_end1569-_ZN7rocprim17ROCPRIM_400000_NS6detail17trampoline_kernelINS0_14default_configENS1_38merge_sort_block_merge_config_selectorIssEEZZNS1_27merge_sort_block_merge_implIS3_N6thrust23THRUST_200600_302600_NS6detail15normal_iteratorINS8_10device_ptrIsEEEESD_jNS1_19radix_merge_compareILb0ELb1EsNS0_19identity_decomposerEEEEE10hipError_tT0_T1_T2_jT3_P12ihipStream_tbPNSt15iterator_traitsISI_E10value_typeEPNSO_ISJ_E10value_typeEPSK_NS1_7vsmem_tEENKUlT_SI_SJ_SK_E_clIPsSD_S10_SD_EESH_SX_SI_SJ_SK_EUlSX_E_NS1_11comp_targetILNS1_3genE5ELNS1_11target_archE942ELNS1_3gpuE9ELNS1_3repE0EEENS1_48merge_mergepath_partition_config_static_selectorELNS0_4arch9wavefront6targetE1EEEvSJ_
                                        ; -- End function
	.set _ZN7rocprim17ROCPRIM_400000_NS6detail17trampoline_kernelINS0_14default_configENS1_38merge_sort_block_merge_config_selectorIssEEZZNS1_27merge_sort_block_merge_implIS3_N6thrust23THRUST_200600_302600_NS6detail15normal_iteratorINS8_10device_ptrIsEEEESD_jNS1_19radix_merge_compareILb0ELb1EsNS0_19identity_decomposerEEEEE10hipError_tT0_T1_T2_jT3_P12ihipStream_tbPNSt15iterator_traitsISI_E10value_typeEPNSO_ISJ_E10value_typeEPSK_NS1_7vsmem_tEENKUlT_SI_SJ_SK_E_clIPsSD_S10_SD_EESH_SX_SI_SJ_SK_EUlSX_E_NS1_11comp_targetILNS1_3genE5ELNS1_11target_archE942ELNS1_3gpuE9ELNS1_3repE0EEENS1_48merge_mergepath_partition_config_static_selectorELNS0_4arch9wavefront6targetE1EEEvSJ_.num_vgpr, 0
	.set _ZN7rocprim17ROCPRIM_400000_NS6detail17trampoline_kernelINS0_14default_configENS1_38merge_sort_block_merge_config_selectorIssEEZZNS1_27merge_sort_block_merge_implIS3_N6thrust23THRUST_200600_302600_NS6detail15normal_iteratorINS8_10device_ptrIsEEEESD_jNS1_19radix_merge_compareILb0ELb1EsNS0_19identity_decomposerEEEEE10hipError_tT0_T1_T2_jT3_P12ihipStream_tbPNSt15iterator_traitsISI_E10value_typeEPNSO_ISJ_E10value_typeEPSK_NS1_7vsmem_tEENKUlT_SI_SJ_SK_E_clIPsSD_S10_SD_EESH_SX_SI_SJ_SK_EUlSX_E_NS1_11comp_targetILNS1_3genE5ELNS1_11target_archE942ELNS1_3gpuE9ELNS1_3repE0EEENS1_48merge_mergepath_partition_config_static_selectorELNS0_4arch9wavefront6targetE1EEEvSJ_.num_agpr, 0
	.set _ZN7rocprim17ROCPRIM_400000_NS6detail17trampoline_kernelINS0_14default_configENS1_38merge_sort_block_merge_config_selectorIssEEZZNS1_27merge_sort_block_merge_implIS3_N6thrust23THRUST_200600_302600_NS6detail15normal_iteratorINS8_10device_ptrIsEEEESD_jNS1_19radix_merge_compareILb0ELb1EsNS0_19identity_decomposerEEEEE10hipError_tT0_T1_T2_jT3_P12ihipStream_tbPNSt15iterator_traitsISI_E10value_typeEPNSO_ISJ_E10value_typeEPSK_NS1_7vsmem_tEENKUlT_SI_SJ_SK_E_clIPsSD_S10_SD_EESH_SX_SI_SJ_SK_EUlSX_E_NS1_11comp_targetILNS1_3genE5ELNS1_11target_archE942ELNS1_3gpuE9ELNS1_3repE0EEENS1_48merge_mergepath_partition_config_static_selectorELNS0_4arch9wavefront6targetE1EEEvSJ_.numbered_sgpr, 0
	.set _ZN7rocprim17ROCPRIM_400000_NS6detail17trampoline_kernelINS0_14default_configENS1_38merge_sort_block_merge_config_selectorIssEEZZNS1_27merge_sort_block_merge_implIS3_N6thrust23THRUST_200600_302600_NS6detail15normal_iteratorINS8_10device_ptrIsEEEESD_jNS1_19radix_merge_compareILb0ELb1EsNS0_19identity_decomposerEEEEE10hipError_tT0_T1_T2_jT3_P12ihipStream_tbPNSt15iterator_traitsISI_E10value_typeEPNSO_ISJ_E10value_typeEPSK_NS1_7vsmem_tEENKUlT_SI_SJ_SK_E_clIPsSD_S10_SD_EESH_SX_SI_SJ_SK_EUlSX_E_NS1_11comp_targetILNS1_3genE5ELNS1_11target_archE942ELNS1_3gpuE9ELNS1_3repE0EEENS1_48merge_mergepath_partition_config_static_selectorELNS0_4arch9wavefront6targetE1EEEvSJ_.num_named_barrier, 0
	.set _ZN7rocprim17ROCPRIM_400000_NS6detail17trampoline_kernelINS0_14default_configENS1_38merge_sort_block_merge_config_selectorIssEEZZNS1_27merge_sort_block_merge_implIS3_N6thrust23THRUST_200600_302600_NS6detail15normal_iteratorINS8_10device_ptrIsEEEESD_jNS1_19radix_merge_compareILb0ELb1EsNS0_19identity_decomposerEEEEE10hipError_tT0_T1_T2_jT3_P12ihipStream_tbPNSt15iterator_traitsISI_E10value_typeEPNSO_ISJ_E10value_typeEPSK_NS1_7vsmem_tEENKUlT_SI_SJ_SK_E_clIPsSD_S10_SD_EESH_SX_SI_SJ_SK_EUlSX_E_NS1_11comp_targetILNS1_3genE5ELNS1_11target_archE942ELNS1_3gpuE9ELNS1_3repE0EEENS1_48merge_mergepath_partition_config_static_selectorELNS0_4arch9wavefront6targetE1EEEvSJ_.private_seg_size, 0
	.set _ZN7rocprim17ROCPRIM_400000_NS6detail17trampoline_kernelINS0_14default_configENS1_38merge_sort_block_merge_config_selectorIssEEZZNS1_27merge_sort_block_merge_implIS3_N6thrust23THRUST_200600_302600_NS6detail15normal_iteratorINS8_10device_ptrIsEEEESD_jNS1_19radix_merge_compareILb0ELb1EsNS0_19identity_decomposerEEEEE10hipError_tT0_T1_T2_jT3_P12ihipStream_tbPNSt15iterator_traitsISI_E10value_typeEPNSO_ISJ_E10value_typeEPSK_NS1_7vsmem_tEENKUlT_SI_SJ_SK_E_clIPsSD_S10_SD_EESH_SX_SI_SJ_SK_EUlSX_E_NS1_11comp_targetILNS1_3genE5ELNS1_11target_archE942ELNS1_3gpuE9ELNS1_3repE0EEENS1_48merge_mergepath_partition_config_static_selectorELNS0_4arch9wavefront6targetE1EEEvSJ_.uses_vcc, 0
	.set _ZN7rocprim17ROCPRIM_400000_NS6detail17trampoline_kernelINS0_14default_configENS1_38merge_sort_block_merge_config_selectorIssEEZZNS1_27merge_sort_block_merge_implIS3_N6thrust23THRUST_200600_302600_NS6detail15normal_iteratorINS8_10device_ptrIsEEEESD_jNS1_19radix_merge_compareILb0ELb1EsNS0_19identity_decomposerEEEEE10hipError_tT0_T1_T2_jT3_P12ihipStream_tbPNSt15iterator_traitsISI_E10value_typeEPNSO_ISJ_E10value_typeEPSK_NS1_7vsmem_tEENKUlT_SI_SJ_SK_E_clIPsSD_S10_SD_EESH_SX_SI_SJ_SK_EUlSX_E_NS1_11comp_targetILNS1_3genE5ELNS1_11target_archE942ELNS1_3gpuE9ELNS1_3repE0EEENS1_48merge_mergepath_partition_config_static_selectorELNS0_4arch9wavefront6targetE1EEEvSJ_.uses_flat_scratch, 0
	.set _ZN7rocprim17ROCPRIM_400000_NS6detail17trampoline_kernelINS0_14default_configENS1_38merge_sort_block_merge_config_selectorIssEEZZNS1_27merge_sort_block_merge_implIS3_N6thrust23THRUST_200600_302600_NS6detail15normal_iteratorINS8_10device_ptrIsEEEESD_jNS1_19radix_merge_compareILb0ELb1EsNS0_19identity_decomposerEEEEE10hipError_tT0_T1_T2_jT3_P12ihipStream_tbPNSt15iterator_traitsISI_E10value_typeEPNSO_ISJ_E10value_typeEPSK_NS1_7vsmem_tEENKUlT_SI_SJ_SK_E_clIPsSD_S10_SD_EESH_SX_SI_SJ_SK_EUlSX_E_NS1_11comp_targetILNS1_3genE5ELNS1_11target_archE942ELNS1_3gpuE9ELNS1_3repE0EEENS1_48merge_mergepath_partition_config_static_selectorELNS0_4arch9wavefront6targetE1EEEvSJ_.has_dyn_sized_stack, 0
	.set _ZN7rocprim17ROCPRIM_400000_NS6detail17trampoline_kernelINS0_14default_configENS1_38merge_sort_block_merge_config_selectorIssEEZZNS1_27merge_sort_block_merge_implIS3_N6thrust23THRUST_200600_302600_NS6detail15normal_iteratorINS8_10device_ptrIsEEEESD_jNS1_19radix_merge_compareILb0ELb1EsNS0_19identity_decomposerEEEEE10hipError_tT0_T1_T2_jT3_P12ihipStream_tbPNSt15iterator_traitsISI_E10value_typeEPNSO_ISJ_E10value_typeEPSK_NS1_7vsmem_tEENKUlT_SI_SJ_SK_E_clIPsSD_S10_SD_EESH_SX_SI_SJ_SK_EUlSX_E_NS1_11comp_targetILNS1_3genE5ELNS1_11target_archE942ELNS1_3gpuE9ELNS1_3repE0EEENS1_48merge_mergepath_partition_config_static_selectorELNS0_4arch9wavefront6targetE1EEEvSJ_.has_recursion, 0
	.set _ZN7rocprim17ROCPRIM_400000_NS6detail17trampoline_kernelINS0_14default_configENS1_38merge_sort_block_merge_config_selectorIssEEZZNS1_27merge_sort_block_merge_implIS3_N6thrust23THRUST_200600_302600_NS6detail15normal_iteratorINS8_10device_ptrIsEEEESD_jNS1_19radix_merge_compareILb0ELb1EsNS0_19identity_decomposerEEEEE10hipError_tT0_T1_T2_jT3_P12ihipStream_tbPNSt15iterator_traitsISI_E10value_typeEPNSO_ISJ_E10value_typeEPSK_NS1_7vsmem_tEENKUlT_SI_SJ_SK_E_clIPsSD_S10_SD_EESH_SX_SI_SJ_SK_EUlSX_E_NS1_11comp_targetILNS1_3genE5ELNS1_11target_archE942ELNS1_3gpuE9ELNS1_3repE0EEENS1_48merge_mergepath_partition_config_static_selectorELNS0_4arch9wavefront6targetE1EEEvSJ_.has_indirect_call, 0
	.section	.AMDGPU.csdata,"",@progbits
; Kernel info:
; codeLenInByte = 0
; TotalNumSgprs: 6
; NumVgprs: 0
; NumAgprs: 0
; TotalNumVgprs: 0
; ScratchSize: 0
; MemoryBound: 0
; FloatMode: 240
; IeeeMode: 1
; LDSByteSize: 0 bytes/workgroup (compile time only)
; SGPRBlocks: 0
; VGPRBlocks: 0
; NumSGPRsForWavesPerEU: 6
; NumVGPRsForWavesPerEU: 1
; AccumOffset: 4
; Occupancy: 8
; WaveLimiterHint : 0
; COMPUTE_PGM_RSRC2:SCRATCH_EN: 0
; COMPUTE_PGM_RSRC2:USER_SGPR: 2
; COMPUTE_PGM_RSRC2:TRAP_HANDLER: 0
; COMPUTE_PGM_RSRC2:TGID_X_EN: 1
; COMPUTE_PGM_RSRC2:TGID_Y_EN: 0
; COMPUTE_PGM_RSRC2:TGID_Z_EN: 0
; COMPUTE_PGM_RSRC2:TIDIG_COMP_CNT: 0
; COMPUTE_PGM_RSRC3_GFX90A:ACCUM_OFFSET: 0
; COMPUTE_PGM_RSRC3_GFX90A:TG_SPLIT: 0
	.section	.text._ZN7rocprim17ROCPRIM_400000_NS6detail17trampoline_kernelINS0_14default_configENS1_38merge_sort_block_merge_config_selectorIssEEZZNS1_27merge_sort_block_merge_implIS3_N6thrust23THRUST_200600_302600_NS6detail15normal_iteratorINS8_10device_ptrIsEEEESD_jNS1_19radix_merge_compareILb0ELb1EsNS0_19identity_decomposerEEEEE10hipError_tT0_T1_T2_jT3_P12ihipStream_tbPNSt15iterator_traitsISI_E10value_typeEPNSO_ISJ_E10value_typeEPSK_NS1_7vsmem_tEENKUlT_SI_SJ_SK_E_clIPsSD_S10_SD_EESH_SX_SI_SJ_SK_EUlSX_E_NS1_11comp_targetILNS1_3genE4ELNS1_11target_archE910ELNS1_3gpuE8ELNS1_3repE0EEENS1_48merge_mergepath_partition_config_static_selectorELNS0_4arch9wavefront6targetE1EEEvSJ_,"axG",@progbits,_ZN7rocprim17ROCPRIM_400000_NS6detail17trampoline_kernelINS0_14default_configENS1_38merge_sort_block_merge_config_selectorIssEEZZNS1_27merge_sort_block_merge_implIS3_N6thrust23THRUST_200600_302600_NS6detail15normal_iteratorINS8_10device_ptrIsEEEESD_jNS1_19radix_merge_compareILb0ELb1EsNS0_19identity_decomposerEEEEE10hipError_tT0_T1_T2_jT3_P12ihipStream_tbPNSt15iterator_traitsISI_E10value_typeEPNSO_ISJ_E10value_typeEPSK_NS1_7vsmem_tEENKUlT_SI_SJ_SK_E_clIPsSD_S10_SD_EESH_SX_SI_SJ_SK_EUlSX_E_NS1_11comp_targetILNS1_3genE4ELNS1_11target_archE910ELNS1_3gpuE8ELNS1_3repE0EEENS1_48merge_mergepath_partition_config_static_selectorELNS0_4arch9wavefront6targetE1EEEvSJ_,comdat
	.protected	_ZN7rocprim17ROCPRIM_400000_NS6detail17trampoline_kernelINS0_14default_configENS1_38merge_sort_block_merge_config_selectorIssEEZZNS1_27merge_sort_block_merge_implIS3_N6thrust23THRUST_200600_302600_NS6detail15normal_iteratorINS8_10device_ptrIsEEEESD_jNS1_19radix_merge_compareILb0ELb1EsNS0_19identity_decomposerEEEEE10hipError_tT0_T1_T2_jT3_P12ihipStream_tbPNSt15iterator_traitsISI_E10value_typeEPNSO_ISJ_E10value_typeEPSK_NS1_7vsmem_tEENKUlT_SI_SJ_SK_E_clIPsSD_S10_SD_EESH_SX_SI_SJ_SK_EUlSX_E_NS1_11comp_targetILNS1_3genE4ELNS1_11target_archE910ELNS1_3gpuE8ELNS1_3repE0EEENS1_48merge_mergepath_partition_config_static_selectorELNS0_4arch9wavefront6targetE1EEEvSJ_ ; -- Begin function _ZN7rocprim17ROCPRIM_400000_NS6detail17trampoline_kernelINS0_14default_configENS1_38merge_sort_block_merge_config_selectorIssEEZZNS1_27merge_sort_block_merge_implIS3_N6thrust23THRUST_200600_302600_NS6detail15normal_iteratorINS8_10device_ptrIsEEEESD_jNS1_19radix_merge_compareILb0ELb1EsNS0_19identity_decomposerEEEEE10hipError_tT0_T1_T2_jT3_P12ihipStream_tbPNSt15iterator_traitsISI_E10value_typeEPNSO_ISJ_E10value_typeEPSK_NS1_7vsmem_tEENKUlT_SI_SJ_SK_E_clIPsSD_S10_SD_EESH_SX_SI_SJ_SK_EUlSX_E_NS1_11comp_targetILNS1_3genE4ELNS1_11target_archE910ELNS1_3gpuE8ELNS1_3repE0EEENS1_48merge_mergepath_partition_config_static_selectorELNS0_4arch9wavefront6targetE1EEEvSJ_
	.globl	_ZN7rocprim17ROCPRIM_400000_NS6detail17trampoline_kernelINS0_14default_configENS1_38merge_sort_block_merge_config_selectorIssEEZZNS1_27merge_sort_block_merge_implIS3_N6thrust23THRUST_200600_302600_NS6detail15normal_iteratorINS8_10device_ptrIsEEEESD_jNS1_19radix_merge_compareILb0ELb1EsNS0_19identity_decomposerEEEEE10hipError_tT0_T1_T2_jT3_P12ihipStream_tbPNSt15iterator_traitsISI_E10value_typeEPNSO_ISJ_E10value_typeEPSK_NS1_7vsmem_tEENKUlT_SI_SJ_SK_E_clIPsSD_S10_SD_EESH_SX_SI_SJ_SK_EUlSX_E_NS1_11comp_targetILNS1_3genE4ELNS1_11target_archE910ELNS1_3gpuE8ELNS1_3repE0EEENS1_48merge_mergepath_partition_config_static_selectorELNS0_4arch9wavefront6targetE1EEEvSJ_
	.p2align	8
	.type	_ZN7rocprim17ROCPRIM_400000_NS6detail17trampoline_kernelINS0_14default_configENS1_38merge_sort_block_merge_config_selectorIssEEZZNS1_27merge_sort_block_merge_implIS3_N6thrust23THRUST_200600_302600_NS6detail15normal_iteratorINS8_10device_ptrIsEEEESD_jNS1_19radix_merge_compareILb0ELb1EsNS0_19identity_decomposerEEEEE10hipError_tT0_T1_T2_jT3_P12ihipStream_tbPNSt15iterator_traitsISI_E10value_typeEPNSO_ISJ_E10value_typeEPSK_NS1_7vsmem_tEENKUlT_SI_SJ_SK_E_clIPsSD_S10_SD_EESH_SX_SI_SJ_SK_EUlSX_E_NS1_11comp_targetILNS1_3genE4ELNS1_11target_archE910ELNS1_3gpuE8ELNS1_3repE0EEENS1_48merge_mergepath_partition_config_static_selectorELNS0_4arch9wavefront6targetE1EEEvSJ_,@function
_ZN7rocprim17ROCPRIM_400000_NS6detail17trampoline_kernelINS0_14default_configENS1_38merge_sort_block_merge_config_selectorIssEEZZNS1_27merge_sort_block_merge_implIS3_N6thrust23THRUST_200600_302600_NS6detail15normal_iteratorINS8_10device_ptrIsEEEESD_jNS1_19radix_merge_compareILb0ELb1EsNS0_19identity_decomposerEEEEE10hipError_tT0_T1_T2_jT3_P12ihipStream_tbPNSt15iterator_traitsISI_E10value_typeEPNSO_ISJ_E10value_typeEPSK_NS1_7vsmem_tEENKUlT_SI_SJ_SK_E_clIPsSD_S10_SD_EESH_SX_SI_SJ_SK_EUlSX_E_NS1_11comp_targetILNS1_3genE4ELNS1_11target_archE910ELNS1_3gpuE8ELNS1_3repE0EEENS1_48merge_mergepath_partition_config_static_selectorELNS0_4arch9wavefront6targetE1EEEvSJ_: ; @_ZN7rocprim17ROCPRIM_400000_NS6detail17trampoline_kernelINS0_14default_configENS1_38merge_sort_block_merge_config_selectorIssEEZZNS1_27merge_sort_block_merge_implIS3_N6thrust23THRUST_200600_302600_NS6detail15normal_iteratorINS8_10device_ptrIsEEEESD_jNS1_19radix_merge_compareILb0ELb1EsNS0_19identity_decomposerEEEEE10hipError_tT0_T1_T2_jT3_P12ihipStream_tbPNSt15iterator_traitsISI_E10value_typeEPNSO_ISJ_E10value_typeEPSK_NS1_7vsmem_tEENKUlT_SI_SJ_SK_E_clIPsSD_S10_SD_EESH_SX_SI_SJ_SK_EUlSX_E_NS1_11comp_targetILNS1_3genE4ELNS1_11target_archE910ELNS1_3gpuE8ELNS1_3repE0EEENS1_48merge_mergepath_partition_config_static_selectorELNS0_4arch9wavefront6targetE1EEEvSJ_
; %bb.0:
	.section	.rodata,"a",@progbits
	.p2align	6, 0x0
	.amdhsa_kernel _ZN7rocprim17ROCPRIM_400000_NS6detail17trampoline_kernelINS0_14default_configENS1_38merge_sort_block_merge_config_selectorIssEEZZNS1_27merge_sort_block_merge_implIS3_N6thrust23THRUST_200600_302600_NS6detail15normal_iteratorINS8_10device_ptrIsEEEESD_jNS1_19radix_merge_compareILb0ELb1EsNS0_19identity_decomposerEEEEE10hipError_tT0_T1_T2_jT3_P12ihipStream_tbPNSt15iterator_traitsISI_E10value_typeEPNSO_ISJ_E10value_typeEPSK_NS1_7vsmem_tEENKUlT_SI_SJ_SK_E_clIPsSD_S10_SD_EESH_SX_SI_SJ_SK_EUlSX_E_NS1_11comp_targetILNS1_3genE4ELNS1_11target_archE910ELNS1_3gpuE8ELNS1_3repE0EEENS1_48merge_mergepath_partition_config_static_selectorELNS0_4arch9wavefront6targetE1EEEvSJ_
		.amdhsa_group_segment_fixed_size 0
		.amdhsa_private_segment_fixed_size 0
		.amdhsa_kernarg_size 40
		.amdhsa_user_sgpr_count 2
		.amdhsa_user_sgpr_dispatch_ptr 0
		.amdhsa_user_sgpr_queue_ptr 0
		.amdhsa_user_sgpr_kernarg_segment_ptr 1
		.amdhsa_user_sgpr_dispatch_id 0
		.amdhsa_user_sgpr_kernarg_preload_length 0
		.amdhsa_user_sgpr_kernarg_preload_offset 0
		.amdhsa_user_sgpr_private_segment_size 0
		.amdhsa_uses_dynamic_stack 0
		.amdhsa_enable_private_segment 0
		.amdhsa_system_sgpr_workgroup_id_x 1
		.amdhsa_system_sgpr_workgroup_id_y 0
		.amdhsa_system_sgpr_workgroup_id_z 0
		.amdhsa_system_sgpr_workgroup_info 0
		.amdhsa_system_vgpr_workitem_id 0
		.amdhsa_next_free_vgpr 1
		.amdhsa_next_free_sgpr 0
		.amdhsa_accum_offset 4
		.amdhsa_reserve_vcc 0
		.amdhsa_float_round_mode_32 0
		.amdhsa_float_round_mode_16_64 0
		.amdhsa_float_denorm_mode_32 3
		.amdhsa_float_denorm_mode_16_64 3
		.amdhsa_dx10_clamp 1
		.amdhsa_ieee_mode 1
		.amdhsa_fp16_overflow 0
		.amdhsa_tg_split 0
		.amdhsa_exception_fp_ieee_invalid_op 0
		.amdhsa_exception_fp_denorm_src 0
		.amdhsa_exception_fp_ieee_div_zero 0
		.amdhsa_exception_fp_ieee_overflow 0
		.amdhsa_exception_fp_ieee_underflow 0
		.amdhsa_exception_fp_ieee_inexact 0
		.amdhsa_exception_int_div_zero 0
	.end_amdhsa_kernel
	.section	.text._ZN7rocprim17ROCPRIM_400000_NS6detail17trampoline_kernelINS0_14default_configENS1_38merge_sort_block_merge_config_selectorIssEEZZNS1_27merge_sort_block_merge_implIS3_N6thrust23THRUST_200600_302600_NS6detail15normal_iteratorINS8_10device_ptrIsEEEESD_jNS1_19radix_merge_compareILb0ELb1EsNS0_19identity_decomposerEEEEE10hipError_tT0_T1_T2_jT3_P12ihipStream_tbPNSt15iterator_traitsISI_E10value_typeEPNSO_ISJ_E10value_typeEPSK_NS1_7vsmem_tEENKUlT_SI_SJ_SK_E_clIPsSD_S10_SD_EESH_SX_SI_SJ_SK_EUlSX_E_NS1_11comp_targetILNS1_3genE4ELNS1_11target_archE910ELNS1_3gpuE8ELNS1_3repE0EEENS1_48merge_mergepath_partition_config_static_selectorELNS0_4arch9wavefront6targetE1EEEvSJ_,"axG",@progbits,_ZN7rocprim17ROCPRIM_400000_NS6detail17trampoline_kernelINS0_14default_configENS1_38merge_sort_block_merge_config_selectorIssEEZZNS1_27merge_sort_block_merge_implIS3_N6thrust23THRUST_200600_302600_NS6detail15normal_iteratorINS8_10device_ptrIsEEEESD_jNS1_19radix_merge_compareILb0ELb1EsNS0_19identity_decomposerEEEEE10hipError_tT0_T1_T2_jT3_P12ihipStream_tbPNSt15iterator_traitsISI_E10value_typeEPNSO_ISJ_E10value_typeEPSK_NS1_7vsmem_tEENKUlT_SI_SJ_SK_E_clIPsSD_S10_SD_EESH_SX_SI_SJ_SK_EUlSX_E_NS1_11comp_targetILNS1_3genE4ELNS1_11target_archE910ELNS1_3gpuE8ELNS1_3repE0EEENS1_48merge_mergepath_partition_config_static_selectorELNS0_4arch9wavefront6targetE1EEEvSJ_,comdat
.Lfunc_end1570:
	.size	_ZN7rocprim17ROCPRIM_400000_NS6detail17trampoline_kernelINS0_14default_configENS1_38merge_sort_block_merge_config_selectorIssEEZZNS1_27merge_sort_block_merge_implIS3_N6thrust23THRUST_200600_302600_NS6detail15normal_iteratorINS8_10device_ptrIsEEEESD_jNS1_19radix_merge_compareILb0ELb1EsNS0_19identity_decomposerEEEEE10hipError_tT0_T1_T2_jT3_P12ihipStream_tbPNSt15iterator_traitsISI_E10value_typeEPNSO_ISJ_E10value_typeEPSK_NS1_7vsmem_tEENKUlT_SI_SJ_SK_E_clIPsSD_S10_SD_EESH_SX_SI_SJ_SK_EUlSX_E_NS1_11comp_targetILNS1_3genE4ELNS1_11target_archE910ELNS1_3gpuE8ELNS1_3repE0EEENS1_48merge_mergepath_partition_config_static_selectorELNS0_4arch9wavefront6targetE1EEEvSJ_, .Lfunc_end1570-_ZN7rocprim17ROCPRIM_400000_NS6detail17trampoline_kernelINS0_14default_configENS1_38merge_sort_block_merge_config_selectorIssEEZZNS1_27merge_sort_block_merge_implIS3_N6thrust23THRUST_200600_302600_NS6detail15normal_iteratorINS8_10device_ptrIsEEEESD_jNS1_19radix_merge_compareILb0ELb1EsNS0_19identity_decomposerEEEEE10hipError_tT0_T1_T2_jT3_P12ihipStream_tbPNSt15iterator_traitsISI_E10value_typeEPNSO_ISJ_E10value_typeEPSK_NS1_7vsmem_tEENKUlT_SI_SJ_SK_E_clIPsSD_S10_SD_EESH_SX_SI_SJ_SK_EUlSX_E_NS1_11comp_targetILNS1_3genE4ELNS1_11target_archE910ELNS1_3gpuE8ELNS1_3repE0EEENS1_48merge_mergepath_partition_config_static_selectorELNS0_4arch9wavefront6targetE1EEEvSJ_
                                        ; -- End function
	.set _ZN7rocprim17ROCPRIM_400000_NS6detail17trampoline_kernelINS0_14default_configENS1_38merge_sort_block_merge_config_selectorIssEEZZNS1_27merge_sort_block_merge_implIS3_N6thrust23THRUST_200600_302600_NS6detail15normal_iteratorINS8_10device_ptrIsEEEESD_jNS1_19radix_merge_compareILb0ELb1EsNS0_19identity_decomposerEEEEE10hipError_tT0_T1_T2_jT3_P12ihipStream_tbPNSt15iterator_traitsISI_E10value_typeEPNSO_ISJ_E10value_typeEPSK_NS1_7vsmem_tEENKUlT_SI_SJ_SK_E_clIPsSD_S10_SD_EESH_SX_SI_SJ_SK_EUlSX_E_NS1_11comp_targetILNS1_3genE4ELNS1_11target_archE910ELNS1_3gpuE8ELNS1_3repE0EEENS1_48merge_mergepath_partition_config_static_selectorELNS0_4arch9wavefront6targetE1EEEvSJ_.num_vgpr, 0
	.set _ZN7rocprim17ROCPRIM_400000_NS6detail17trampoline_kernelINS0_14default_configENS1_38merge_sort_block_merge_config_selectorIssEEZZNS1_27merge_sort_block_merge_implIS3_N6thrust23THRUST_200600_302600_NS6detail15normal_iteratorINS8_10device_ptrIsEEEESD_jNS1_19radix_merge_compareILb0ELb1EsNS0_19identity_decomposerEEEEE10hipError_tT0_T1_T2_jT3_P12ihipStream_tbPNSt15iterator_traitsISI_E10value_typeEPNSO_ISJ_E10value_typeEPSK_NS1_7vsmem_tEENKUlT_SI_SJ_SK_E_clIPsSD_S10_SD_EESH_SX_SI_SJ_SK_EUlSX_E_NS1_11comp_targetILNS1_3genE4ELNS1_11target_archE910ELNS1_3gpuE8ELNS1_3repE0EEENS1_48merge_mergepath_partition_config_static_selectorELNS0_4arch9wavefront6targetE1EEEvSJ_.num_agpr, 0
	.set _ZN7rocprim17ROCPRIM_400000_NS6detail17trampoline_kernelINS0_14default_configENS1_38merge_sort_block_merge_config_selectorIssEEZZNS1_27merge_sort_block_merge_implIS3_N6thrust23THRUST_200600_302600_NS6detail15normal_iteratorINS8_10device_ptrIsEEEESD_jNS1_19radix_merge_compareILb0ELb1EsNS0_19identity_decomposerEEEEE10hipError_tT0_T1_T2_jT3_P12ihipStream_tbPNSt15iterator_traitsISI_E10value_typeEPNSO_ISJ_E10value_typeEPSK_NS1_7vsmem_tEENKUlT_SI_SJ_SK_E_clIPsSD_S10_SD_EESH_SX_SI_SJ_SK_EUlSX_E_NS1_11comp_targetILNS1_3genE4ELNS1_11target_archE910ELNS1_3gpuE8ELNS1_3repE0EEENS1_48merge_mergepath_partition_config_static_selectorELNS0_4arch9wavefront6targetE1EEEvSJ_.numbered_sgpr, 0
	.set _ZN7rocprim17ROCPRIM_400000_NS6detail17trampoline_kernelINS0_14default_configENS1_38merge_sort_block_merge_config_selectorIssEEZZNS1_27merge_sort_block_merge_implIS3_N6thrust23THRUST_200600_302600_NS6detail15normal_iteratorINS8_10device_ptrIsEEEESD_jNS1_19radix_merge_compareILb0ELb1EsNS0_19identity_decomposerEEEEE10hipError_tT0_T1_T2_jT3_P12ihipStream_tbPNSt15iterator_traitsISI_E10value_typeEPNSO_ISJ_E10value_typeEPSK_NS1_7vsmem_tEENKUlT_SI_SJ_SK_E_clIPsSD_S10_SD_EESH_SX_SI_SJ_SK_EUlSX_E_NS1_11comp_targetILNS1_3genE4ELNS1_11target_archE910ELNS1_3gpuE8ELNS1_3repE0EEENS1_48merge_mergepath_partition_config_static_selectorELNS0_4arch9wavefront6targetE1EEEvSJ_.num_named_barrier, 0
	.set _ZN7rocprim17ROCPRIM_400000_NS6detail17trampoline_kernelINS0_14default_configENS1_38merge_sort_block_merge_config_selectorIssEEZZNS1_27merge_sort_block_merge_implIS3_N6thrust23THRUST_200600_302600_NS6detail15normal_iteratorINS8_10device_ptrIsEEEESD_jNS1_19radix_merge_compareILb0ELb1EsNS0_19identity_decomposerEEEEE10hipError_tT0_T1_T2_jT3_P12ihipStream_tbPNSt15iterator_traitsISI_E10value_typeEPNSO_ISJ_E10value_typeEPSK_NS1_7vsmem_tEENKUlT_SI_SJ_SK_E_clIPsSD_S10_SD_EESH_SX_SI_SJ_SK_EUlSX_E_NS1_11comp_targetILNS1_3genE4ELNS1_11target_archE910ELNS1_3gpuE8ELNS1_3repE0EEENS1_48merge_mergepath_partition_config_static_selectorELNS0_4arch9wavefront6targetE1EEEvSJ_.private_seg_size, 0
	.set _ZN7rocprim17ROCPRIM_400000_NS6detail17trampoline_kernelINS0_14default_configENS1_38merge_sort_block_merge_config_selectorIssEEZZNS1_27merge_sort_block_merge_implIS3_N6thrust23THRUST_200600_302600_NS6detail15normal_iteratorINS8_10device_ptrIsEEEESD_jNS1_19radix_merge_compareILb0ELb1EsNS0_19identity_decomposerEEEEE10hipError_tT0_T1_T2_jT3_P12ihipStream_tbPNSt15iterator_traitsISI_E10value_typeEPNSO_ISJ_E10value_typeEPSK_NS1_7vsmem_tEENKUlT_SI_SJ_SK_E_clIPsSD_S10_SD_EESH_SX_SI_SJ_SK_EUlSX_E_NS1_11comp_targetILNS1_3genE4ELNS1_11target_archE910ELNS1_3gpuE8ELNS1_3repE0EEENS1_48merge_mergepath_partition_config_static_selectorELNS0_4arch9wavefront6targetE1EEEvSJ_.uses_vcc, 0
	.set _ZN7rocprim17ROCPRIM_400000_NS6detail17trampoline_kernelINS0_14default_configENS1_38merge_sort_block_merge_config_selectorIssEEZZNS1_27merge_sort_block_merge_implIS3_N6thrust23THRUST_200600_302600_NS6detail15normal_iteratorINS8_10device_ptrIsEEEESD_jNS1_19radix_merge_compareILb0ELb1EsNS0_19identity_decomposerEEEEE10hipError_tT0_T1_T2_jT3_P12ihipStream_tbPNSt15iterator_traitsISI_E10value_typeEPNSO_ISJ_E10value_typeEPSK_NS1_7vsmem_tEENKUlT_SI_SJ_SK_E_clIPsSD_S10_SD_EESH_SX_SI_SJ_SK_EUlSX_E_NS1_11comp_targetILNS1_3genE4ELNS1_11target_archE910ELNS1_3gpuE8ELNS1_3repE0EEENS1_48merge_mergepath_partition_config_static_selectorELNS0_4arch9wavefront6targetE1EEEvSJ_.uses_flat_scratch, 0
	.set _ZN7rocprim17ROCPRIM_400000_NS6detail17trampoline_kernelINS0_14default_configENS1_38merge_sort_block_merge_config_selectorIssEEZZNS1_27merge_sort_block_merge_implIS3_N6thrust23THRUST_200600_302600_NS6detail15normal_iteratorINS8_10device_ptrIsEEEESD_jNS1_19radix_merge_compareILb0ELb1EsNS0_19identity_decomposerEEEEE10hipError_tT0_T1_T2_jT3_P12ihipStream_tbPNSt15iterator_traitsISI_E10value_typeEPNSO_ISJ_E10value_typeEPSK_NS1_7vsmem_tEENKUlT_SI_SJ_SK_E_clIPsSD_S10_SD_EESH_SX_SI_SJ_SK_EUlSX_E_NS1_11comp_targetILNS1_3genE4ELNS1_11target_archE910ELNS1_3gpuE8ELNS1_3repE0EEENS1_48merge_mergepath_partition_config_static_selectorELNS0_4arch9wavefront6targetE1EEEvSJ_.has_dyn_sized_stack, 0
	.set _ZN7rocprim17ROCPRIM_400000_NS6detail17trampoline_kernelINS0_14default_configENS1_38merge_sort_block_merge_config_selectorIssEEZZNS1_27merge_sort_block_merge_implIS3_N6thrust23THRUST_200600_302600_NS6detail15normal_iteratorINS8_10device_ptrIsEEEESD_jNS1_19radix_merge_compareILb0ELb1EsNS0_19identity_decomposerEEEEE10hipError_tT0_T1_T2_jT3_P12ihipStream_tbPNSt15iterator_traitsISI_E10value_typeEPNSO_ISJ_E10value_typeEPSK_NS1_7vsmem_tEENKUlT_SI_SJ_SK_E_clIPsSD_S10_SD_EESH_SX_SI_SJ_SK_EUlSX_E_NS1_11comp_targetILNS1_3genE4ELNS1_11target_archE910ELNS1_3gpuE8ELNS1_3repE0EEENS1_48merge_mergepath_partition_config_static_selectorELNS0_4arch9wavefront6targetE1EEEvSJ_.has_recursion, 0
	.set _ZN7rocprim17ROCPRIM_400000_NS6detail17trampoline_kernelINS0_14default_configENS1_38merge_sort_block_merge_config_selectorIssEEZZNS1_27merge_sort_block_merge_implIS3_N6thrust23THRUST_200600_302600_NS6detail15normal_iteratorINS8_10device_ptrIsEEEESD_jNS1_19radix_merge_compareILb0ELb1EsNS0_19identity_decomposerEEEEE10hipError_tT0_T1_T2_jT3_P12ihipStream_tbPNSt15iterator_traitsISI_E10value_typeEPNSO_ISJ_E10value_typeEPSK_NS1_7vsmem_tEENKUlT_SI_SJ_SK_E_clIPsSD_S10_SD_EESH_SX_SI_SJ_SK_EUlSX_E_NS1_11comp_targetILNS1_3genE4ELNS1_11target_archE910ELNS1_3gpuE8ELNS1_3repE0EEENS1_48merge_mergepath_partition_config_static_selectorELNS0_4arch9wavefront6targetE1EEEvSJ_.has_indirect_call, 0
	.section	.AMDGPU.csdata,"",@progbits
; Kernel info:
; codeLenInByte = 0
; TotalNumSgprs: 6
; NumVgprs: 0
; NumAgprs: 0
; TotalNumVgprs: 0
; ScratchSize: 0
; MemoryBound: 0
; FloatMode: 240
; IeeeMode: 1
; LDSByteSize: 0 bytes/workgroup (compile time only)
; SGPRBlocks: 0
; VGPRBlocks: 0
; NumSGPRsForWavesPerEU: 6
; NumVGPRsForWavesPerEU: 1
; AccumOffset: 4
; Occupancy: 8
; WaveLimiterHint : 0
; COMPUTE_PGM_RSRC2:SCRATCH_EN: 0
; COMPUTE_PGM_RSRC2:USER_SGPR: 2
; COMPUTE_PGM_RSRC2:TRAP_HANDLER: 0
; COMPUTE_PGM_RSRC2:TGID_X_EN: 1
; COMPUTE_PGM_RSRC2:TGID_Y_EN: 0
; COMPUTE_PGM_RSRC2:TGID_Z_EN: 0
; COMPUTE_PGM_RSRC2:TIDIG_COMP_CNT: 0
; COMPUTE_PGM_RSRC3_GFX90A:ACCUM_OFFSET: 0
; COMPUTE_PGM_RSRC3_GFX90A:TG_SPLIT: 0
	.section	.text._ZN7rocprim17ROCPRIM_400000_NS6detail17trampoline_kernelINS0_14default_configENS1_38merge_sort_block_merge_config_selectorIssEEZZNS1_27merge_sort_block_merge_implIS3_N6thrust23THRUST_200600_302600_NS6detail15normal_iteratorINS8_10device_ptrIsEEEESD_jNS1_19radix_merge_compareILb0ELb1EsNS0_19identity_decomposerEEEEE10hipError_tT0_T1_T2_jT3_P12ihipStream_tbPNSt15iterator_traitsISI_E10value_typeEPNSO_ISJ_E10value_typeEPSK_NS1_7vsmem_tEENKUlT_SI_SJ_SK_E_clIPsSD_S10_SD_EESH_SX_SI_SJ_SK_EUlSX_E_NS1_11comp_targetILNS1_3genE3ELNS1_11target_archE908ELNS1_3gpuE7ELNS1_3repE0EEENS1_48merge_mergepath_partition_config_static_selectorELNS0_4arch9wavefront6targetE1EEEvSJ_,"axG",@progbits,_ZN7rocprim17ROCPRIM_400000_NS6detail17trampoline_kernelINS0_14default_configENS1_38merge_sort_block_merge_config_selectorIssEEZZNS1_27merge_sort_block_merge_implIS3_N6thrust23THRUST_200600_302600_NS6detail15normal_iteratorINS8_10device_ptrIsEEEESD_jNS1_19radix_merge_compareILb0ELb1EsNS0_19identity_decomposerEEEEE10hipError_tT0_T1_T2_jT3_P12ihipStream_tbPNSt15iterator_traitsISI_E10value_typeEPNSO_ISJ_E10value_typeEPSK_NS1_7vsmem_tEENKUlT_SI_SJ_SK_E_clIPsSD_S10_SD_EESH_SX_SI_SJ_SK_EUlSX_E_NS1_11comp_targetILNS1_3genE3ELNS1_11target_archE908ELNS1_3gpuE7ELNS1_3repE0EEENS1_48merge_mergepath_partition_config_static_selectorELNS0_4arch9wavefront6targetE1EEEvSJ_,comdat
	.protected	_ZN7rocprim17ROCPRIM_400000_NS6detail17trampoline_kernelINS0_14default_configENS1_38merge_sort_block_merge_config_selectorIssEEZZNS1_27merge_sort_block_merge_implIS3_N6thrust23THRUST_200600_302600_NS6detail15normal_iteratorINS8_10device_ptrIsEEEESD_jNS1_19radix_merge_compareILb0ELb1EsNS0_19identity_decomposerEEEEE10hipError_tT0_T1_T2_jT3_P12ihipStream_tbPNSt15iterator_traitsISI_E10value_typeEPNSO_ISJ_E10value_typeEPSK_NS1_7vsmem_tEENKUlT_SI_SJ_SK_E_clIPsSD_S10_SD_EESH_SX_SI_SJ_SK_EUlSX_E_NS1_11comp_targetILNS1_3genE3ELNS1_11target_archE908ELNS1_3gpuE7ELNS1_3repE0EEENS1_48merge_mergepath_partition_config_static_selectorELNS0_4arch9wavefront6targetE1EEEvSJ_ ; -- Begin function _ZN7rocprim17ROCPRIM_400000_NS6detail17trampoline_kernelINS0_14default_configENS1_38merge_sort_block_merge_config_selectorIssEEZZNS1_27merge_sort_block_merge_implIS3_N6thrust23THRUST_200600_302600_NS6detail15normal_iteratorINS8_10device_ptrIsEEEESD_jNS1_19radix_merge_compareILb0ELb1EsNS0_19identity_decomposerEEEEE10hipError_tT0_T1_T2_jT3_P12ihipStream_tbPNSt15iterator_traitsISI_E10value_typeEPNSO_ISJ_E10value_typeEPSK_NS1_7vsmem_tEENKUlT_SI_SJ_SK_E_clIPsSD_S10_SD_EESH_SX_SI_SJ_SK_EUlSX_E_NS1_11comp_targetILNS1_3genE3ELNS1_11target_archE908ELNS1_3gpuE7ELNS1_3repE0EEENS1_48merge_mergepath_partition_config_static_selectorELNS0_4arch9wavefront6targetE1EEEvSJ_
	.globl	_ZN7rocprim17ROCPRIM_400000_NS6detail17trampoline_kernelINS0_14default_configENS1_38merge_sort_block_merge_config_selectorIssEEZZNS1_27merge_sort_block_merge_implIS3_N6thrust23THRUST_200600_302600_NS6detail15normal_iteratorINS8_10device_ptrIsEEEESD_jNS1_19radix_merge_compareILb0ELb1EsNS0_19identity_decomposerEEEEE10hipError_tT0_T1_T2_jT3_P12ihipStream_tbPNSt15iterator_traitsISI_E10value_typeEPNSO_ISJ_E10value_typeEPSK_NS1_7vsmem_tEENKUlT_SI_SJ_SK_E_clIPsSD_S10_SD_EESH_SX_SI_SJ_SK_EUlSX_E_NS1_11comp_targetILNS1_3genE3ELNS1_11target_archE908ELNS1_3gpuE7ELNS1_3repE0EEENS1_48merge_mergepath_partition_config_static_selectorELNS0_4arch9wavefront6targetE1EEEvSJ_
	.p2align	8
	.type	_ZN7rocprim17ROCPRIM_400000_NS6detail17trampoline_kernelINS0_14default_configENS1_38merge_sort_block_merge_config_selectorIssEEZZNS1_27merge_sort_block_merge_implIS3_N6thrust23THRUST_200600_302600_NS6detail15normal_iteratorINS8_10device_ptrIsEEEESD_jNS1_19radix_merge_compareILb0ELb1EsNS0_19identity_decomposerEEEEE10hipError_tT0_T1_T2_jT3_P12ihipStream_tbPNSt15iterator_traitsISI_E10value_typeEPNSO_ISJ_E10value_typeEPSK_NS1_7vsmem_tEENKUlT_SI_SJ_SK_E_clIPsSD_S10_SD_EESH_SX_SI_SJ_SK_EUlSX_E_NS1_11comp_targetILNS1_3genE3ELNS1_11target_archE908ELNS1_3gpuE7ELNS1_3repE0EEENS1_48merge_mergepath_partition_config_static_selectorELNS0_4arch9wavefront6targetE1EEEvSJ_,@function
_ZN7rocprim17ROCPRIM_400000_NS6detail17trampoline_kernelINS0_14default_configENS1_38merge_sort_block_merge_config_selectorIssEEZZNS1_27merge_sort_block_merge_implIS3_N6thrust23THRUST_200600_302600_NS6detail15normal_iteratorINS8_10device_ptrIsEEEESD_jNS1_19radix_merge_compareILb0ELb1EsNS0_19identity_decomposerEEEEE10hipError_tT0_T1_T2_jT3_P12ihipStream_tbPNSt15iterator_traitsISI_E10value_typeEPNSO_ISJ_E10value_typeEPSK_NS1_7vsmem_tEENKUlT_SI_SJ_SK_E_clIPsSD_S10_SD_EESH_SX_SI_SJ_SK_EUlSX_E_NS1_11comp_targetILNS1_3genE3ELNS1_11target_archE908ELNS1_3gpuE7ELNS1_3repE0EEENS1_48merge_mergepath_partition_config_static_selectorELNS0_4arch9wavefront6targetE1EEEvSJ_: ; @_ZN7rocprim17ROCPRIM_400000_NS6detail17trampoline_kernelINS0_14default_configENS1_38merge_sort_block_merge_config_selectorIssEEZZNS1_27merge_sort_block_merge_implIS3_N6thrust23THRUST_200600_302600_NS6detail15normal_iteratorINS8_10device_ptrIsEEEESD_jNS1_19radix_merge_compareILb0ELb1EsNS0_19identity_decomposerEEEEE10hipError_tT0_T1_T2_jT3_P12ihipStream_tbPNSt15iterator_traitsISI_E10value_typeEPNSO_ISJ_E10value_typeEPSK_NS1_7vsmem_tEENKUlT_SI_SJ_SK_E_clIPsSD_S10_SD_EESH_SX_SI_SJ_SK_EUlSX_E_NS1_11comp_targetILNS1_3genE3ELNS1_11target_archE908ELNS1_3gpuE7ELNS1_3repE0EEENS1_48merge_mergepath_partition_config_static_selectorELNS0_4arch9wavefront6targetE1EEEvSJ_
; %bb.0:
	.section	.rodata,"a",@progbits
	.p2align	6, 0x0
	.amdhsa_kernel _ZN7rocprim17ROCPRIM_400000_NS6detail17trampoline_kernelINS0_14default_configENS1_38merge_sort_block_merge_config_selectorIssEEZZNS1_27merge_sort_block_merge_implIS3_N6thrust23THRUST_200600_302600_NS6detail15normal_iteratorINS8_10device_ptrIsEEEESD_jNS1_19radix_merge_compareILb0ELb1EsNS0_19identity_decomposerEEEEE10hipError_tT0_T1_T2_jT3_P12ihipStream_tbPNSt15iterator_traitsISI_E10value_typeEPNSO_ISJ_E10value_typeEPSK_NS1_7vsmem_tEENKUlT_SI_SJ_SK_E_clIPsSD_S10_SD_EESH_SX_SI_SJ_SK_EUlSX_E_NS1_11comp_targetILNS1_3genE3ELNS1_11target_archE908ELNS1_3gpuE7ELNS1_3repE0EEENS1_48merge_mergepath_partition_config_static_selectorELNS0_4arch9wavefront6targetE1EEEvSJ_
		.amdhsa_group_segment_fixed_size 0
		.amdhsa_private_segment_fixed_size 0
		.amdhsa_kernarg_size 40
		.amdhsa_user_sgpr_count 2
		.amdhsa_user_sgpr_dispatch_ptr 0
		.amdhsa_user_sgpr_queue_ptr 0
		.amdhsa_user_sgpr_kernarg_segment_ptr 1
		.amdhsa_user_sgpr_dispatch_id 0
		.amdhsa_user_sgpr_kernarg_preload_length 0
		.amdhsa_user_sgpr_kernarg_preload_offset 0
		.amdhsa_user_sgpr_private_segment_size 0
		.amdhsa_uses_dynamic_stack 0
		.amdhsa_enable_private_segment 0
		.amdhsa_system_sgpr_workgroup_id_x 1
		.amdhsa_system_sgpr_workgroup_id_y 0
		.amdhsa_system_sgpr_workgroup_id_z 0
		.amdhsa_system_sgpr_workgroup_info 0
		.amdhsa_system_vgpr_workitem_id 0
		.amdhsa_next_free_vgpr 1
		.amdhsa_next_free_sgpr 0
		.amdhsa_accum_offset 4
		.amdhsa_reserve_vcc 0
		.amdhsa_float_round_mode_32 0
		.amdhsa_float_round_mode_16_64 0
		.amdhsa_float_denorm_mode_32 3
		.amdhsa_float_denorm_mode_16_64 3
		.amdhsa_dx10_clamp 1
		.amdhsa_ieee_mode 1
		.amdhsa_fp16_overflow 0
		.amdhsa_tg_split 0
		.amdhsa_exception_fp_ieee_invalid_op 0
		.amdhsa_exception_fp_denorm_src 0
		.amdhsa_exception_fp_ieee_div_zero 0
		.amdhsa_exception_fp_ieee_overflow 0
		.amdhsa_exception_fp_ieee_underflow 0
		.amdhsa_exception_fp_ieee_inexact 0
		.amdhsa_exception_int_div_zero 0
	.end_amdhsa_kernel
	.section	.text._ZN7rocprim17ROCPRIM_400000_NS6detail17trampoline_kernelINS0_14default_configENS1_38merge_sort_block_merge_config_selectorIssEEZZNS1_27merge_sort_block_merge_implIS3_N6thrust23THRUST_200600_302600_NS6detail15normal_iteratorINS8_10device_ptrIsEEEESD_jNS1_19radix_merge_compareILb0ELb1EsNS0_19identity_decomposerEEEEE10hipError_tT0_T1_T2_jT3_P12ihipStream_tbPNSt15iterator_traitsISI_E10value_typeEPNSO_ISJ_E10value_typeEPSK_NS1_7vsmem_tEENKUlT_SI_SJ_SK_E_clIPsSD_S10_SD_EESH_SX_SI_SJ_SK_EUlSX_E_NS1_11comp_targetILNS1_3genE3ELNS1_11target_archE908ELNS1_3gpuE7ELNS1_3repE0EEENS1_48merge_mergepath_partition_config_static_selectorELNS0_4arch9wavefront6targetE1EEEvSJ_,"axG",@progbits,_ZN7rocprim17ROCPRIM_400000_NS6detail17trampoline_kernelINS0_14default_configENS1_38merge_sort_block_merge_config_selectorIssEEZZNS1_27merge_sort_block_merge_implIS3_N6thrust23THRUST_200600_302600_NS6detail15normal_iteratorINS8_10device_ptrIsEEEESD_jNS1_19radix_merge_compareILb0ELb1EsNS0_19identity_decomposerEEEEE10hipError_tT0_T1_T2_jT3_P12ihipStream_tbPNSt15iterator_traitsISI_E10value_typeEPNSO_ISJ_E10value_typeEPSK_NS1_7vsmem_tEENKUlT_SI_SJ_SK_E_clIPsSD_S10_SD_EESH_SX_SI_SJ_SK_EUlSX_E_NS1_11comp_targetILNS1_3genE3ELNS1_11target_archE908ELNS1_3gpuE7ELNS1_3repE0EEENS1_48merge_mergepath_partition_config_static_selectorELNS0_4arch9wavefront6targetE1EEEvSJ_,comdat
.Lfunc_end1571:
	.size	_ZN7rocprim17ROCPRIM_400000_NS6detail17trampoline_kernelINS0_14default_configENS1_38merge_sort_block_merge_config_selectorIssEEZZNS1_27merge_sort_block_merge_implIS3_N6thrust23THRUST_200600_302600_NS6detail15normal_iteratorINS8_10device_ptrIsEEEESD_jNS1_19radix_merge_compareILb0ELb1EsNS0_19identity_decomposerEEEEE10hipError_tT0_T1_T2_jT3_P12ihipStream_tbPNSt15iterator_traitsISI_E10value_typeEPNSO_ISJ_E10value_typeEPSK_NS1_7vsmem_tEENKUlT_SI_SJ_SK_E_clIPsSD_S10_SD_EESH_SX_SI_SJ_SK_EUlSX_E_NS1_11comp_targetILNS1_3genE3ELNS1_11target_archE908ELNS1_3gpuE7ELNS1_3repE0EEENS1_48merge_mergepath_partition_config_static_selectorELNS0_4arch9wavefront6targetE1EEEvSJ_, .Lfunc_end1571-_ZN7rocprim17ROCPRIM_400000_NS6detail17trampoline_kernelINS0_14default_configENS1_38merge_sort_block_merge_config_selectorIssEEZZNS1_27merge_sort_block_merge_implIS3_N6thrust23THRUST_200600_302600_NS6detail15normal_iteratorINS8_10device_ptrIsEEEESD_jNS1_19radix_merge_compareILb0ELb1EsNS0_19identity_decomposerEEEEE10hipError_tT0_T1_T2_jT3_P12ihipStream_tbPNSt15iterator_traitsISI_E10value_typeEPNSO_ISJ_E10value_typeEPSK_NS1_7vsmem_tEENKUlT_SI_SJ_SK_E_clIPsSD_S10_SD_EESH_SX_SI_SJ_SK_EUlSX_E_NS1_11comp_targetILNS1_3genE3ELNS1_11target_archE908ELNS1_3gpuE7ELNS1_3repE0EEENS1_48merge_mergepath_partition_config_static_selectorELNS0_4arch9wavefront6targetE1EEEvSJ_
                                        ; -- End function
	.set _ZN7rocprim17ROCPRIM_400000_NS6detail17trampoline_kernelINS0_14default_configENS1_38merge_sort_block_merge_config_selectorIssEEZZNS1_27merge_sort_block_merge_implIS3_N6thrust23THRUST_200600_302600_NS6detail15normal_iteratorINS8_10device_ptrIsEEEESD_jNS1_19radix_merge_compareILb0ELb1EsNS0_19identity_decomposerEEEEE10hipError_tT0_T1_T2_jT3_P12ihipStream_tbPNSt15iterator_traitsISI_E10value_typeEPNSO_ISJ_E10value_typeEPSK_NS1_7vsmem_tEENKUlT_SI_SJ_SK_E_clIPsSD_S10_SD_EESH_SX_SI_SJ_SK_EUlSX_E_NS1_11comp_targetILNS1_3genE3ELNS1_11target_archE908ELNS1_3gpuE7ELNS1_3repE0EEENS1_48merge_mergepath_partition_config_static_selectorELNS0_4arch9wavefront6targetE1EEEvSJ_.num_vgpr, 0
	.set _ZN7rocprim17ROCPRIM_400000_NS6detail17trampoline_kernelINS0_14default_configENS1_38merge_sort_block_merge_config_selectorIssEEZZNS1_27merge_sort_block_merge_implIS3_N6thrust23THRUST_200600_302600_NS6detail15normal_iteratorINS8_10device_ptrIsEEEESD_jNS1_19radix_merge_compareILb0ELb1EsNS0_19identity_decomposerEEEEE10hipError_tT0_T1_T2_jT3_P12ihipStream_tbPNSt15iterator_traitsISI_E10value_typeEPNSO_ISJ_E10value_typeEPSK_NS1_7vsmem_tEENKUlT_SI_SJ_SK_E_clIPsSD_S10_SD_EESH_SX_SI_SJ_SK_EUlSX_E_NS1_11comp_targetILNS1_3genE3ELNS1_11target_archE908ELNS1_3gpuE7ELNS1_3repE0EEENS1_48merge_mergepath_partition_config_static_selectorELNS0_4arch9wavefront6targetE1EEEvSJ_.num_agpr, 0
	.set _ZN7rocprim17ROCPRIM_400000_NS6detail17trampoline_kernelINS0_14default_configENS1_38merge_sort_block_merge_config_selectorIssEEZZNS1_27merge_sort_block_merge_implIS3_N6thrust23THRUST_200600_302600_NS6detail15normal_iteratorINS8_10device_ptrIsEEEESD_jNS1_19radix_merge_compareILb0ELb1EsNS0_19identity_decomposerEEEEE10hipError_tT0_T1_T2_jT3_P12ihipStream_tbPNSt15iterator_traitsISI_E10value_typeEPNSO_ISJ_E10value_typeEPSK_NS1_7vsmem_tEENKUlT_SI_SJ_SK_E_clIPsSD_S10_SD_EESH_SX_SI_SJ_SK_EUlSX_E_NS1_11comp_targetILNS1_3genE3ELNS1_11target_archE908ELNS1_3gpuE7ELNS1_3repE0EEENS1_48merge_mergepath_partition_config_static_selectorELNS0_4arch9wavefront6targetE1EEEvSJ_.numbered_sgpr, 0
	.set _ZN7rocprim17ROCPRIM_400000_NS6detail17trampoline_kernelINS0_14default_configENS1_38merge_sort_block_merge_config_selectorIssEEZZNS1_27merge_sort_block_merge_implIS3_N6thrust23THRUST_200600_302600_NS6detail15normal_iteratorINS8_10device_ptrIsEEEESD_jNS1_19radix_merge_compareILb0ELb1EsNS0_19identity_decomposerEEEEE10hipError_tT0_T1_T2_jT3_P12ihipStream_tbPNSt15iterator_traitsISI_E10value_typeEPNSO_ISJ_E10value_typeEPSK_NS1_7vsmem_tEENKUlT_SI_SJ_SK_E_clIPsSD_S10_SD_EESH_SX_SI_SJ_SK_EUlSX_E_NS1_11comp_targetILNS1_3genE3ELNS1_11target_archE908ELNS1_3gpuE7ELNS1_3repE0EEENS1_48merge_mergepath_partition_config_static_selectorELNS0_4arch9wavefront6targetE1EEEvSJ_.num_named_barrier, 0
	.set _ZN7rocprim17ROCPRIM_400000_NS6detail17trampoline_kernelINS0_14default_configENS1_38merge_sort_block_merge_config_selectorIssEEZZNS1_27merge_sort_block_merge_implIS3_N6thrust23THRUST_200600_302600_NS6detail15normal_iteratorINS8_10device_ptrIsEEEESD_jNS1_19radix_merge_compareILb0ELb1EsNS0_19identity_decomposerEEEEE10hipError_tT0_T1_T2_jT3_P12ihipStream_tbPNSt15iterator_traitsISI_E10value_typeEPNSO_ISJ_E10value_typeEPSK_NS1_7vsmem_tEENKUlT_SI_SJ_SK_E_clIPsSD_S10_SD_EESH_SX_SI_SJ_SK_EUlSX_E_NS1_11comp_targetILNS1_3genE3ELNS1_11target_archE908ELNS1_3gpuE7ELNS1_3repE0EEENS1_48merge_mergepath_partition_config_static_selectorELNS0_4arch9wavefront6targetE1EEEvSJ_.private_seg_size, 0
	.set _ZN7rocprim17ROCPRIM_400000_NS6detail17trampoline_kernelINS0_14default_configENS1_38merge_sort_block_merge_config_selectorIssEEZZNS1_27merge_sort_block_merge_implIS3_N6thrust23THRUST_200600_302600_NS6detail15normal_iteratorINS8_10device_ptrIsEEEESD_jNS1_19radix_merge_compareILb0ELb1EsNS0_19identity_decomposerEEEEE10hipError_tT0_T1_T2_jT3_P12ihipStream_tbPNSt15iterator_traitsISI_E10value_typeEPNSO_ISJ_E10value_typeEPSK_NS1_7vsmem_tEENKUlT_SI_SJ_SK_E_clIPsSD_S10_SD_EESH_SX_SI_SJ_SK_EUlSX_E_NS1_11comp_targetILNS1_3genE3ELNS1_11target_archE908ELNS1_3gpuE7ELNS1_3repE0EEENS1_48merge_mergepath_partition_config_static_selectorELNS0_4arch9wavefront6targetE1EEEvSJ_.uses_vcc, 0
	.set _ZN7rocprim17ROCPRIM_400000_NS6detail17trampoline_kernelINS0_14default_configENS1_38merge_sort_block_merge_config_selectorIssEEZZNS1_27merge_sort_block_merge_implIS3_N6thrust23THRUST_200600_302600_NS6detail15normal_iteratorINS8_10device_ptrIsEEEESD_jNS1_19radix_merge_compareILb0ELb1EsNS0_19identity_decomposerEEEEE10hipError_tT0_T1_T2_jT3_P12ihipStream_tbPNSt15iterator_traitsISI_E10value_typeEPNSO_ISJ_E10value_typeEPSK_NS1_7vsmem_tEENKUlT_SI_SJ_SK_E_clIPsSD_S10_SD_EESH_SX_SI_SJ_SK_EUlSX_E_NS1_11comp_targetILNS1_3genE3ELNS1_11target_archE908ELNS1_3gpuE7ELNS1_3repE0EEENS1_48merge_mergepath_partition_config_static_selectorELNS0_4arch9wavefront6targetE1EEEvSJ_.uses_flat_scratch, 0
	.set _ZN7rocprim17ROCPRIM_400000_NS6detail17trampoline_kernelINS0_14default_configENS1_38merge_sort_block_merge_config_selectorIssEEZZNS1_27merge_sort_block_merge_implIS3_N6thrust23THRUST_200600_302600_NS6detail15normal_iteratorINS8_10device_ptrIsEEEESD_jNS1_19radix_merge_compareILb0ELb1EsNS0_19identity_decomposerEEEEE10hipError_tT0_T1_T2_jT3_P12ihipStream_tbPNSt15iterator_traitsISI_E10value_typeEPNSO_ISJ_E10value_typeEPSK_NS1_7vsmem_tEENKUlT_SI_SJ_SK_E_clIPsSD_S10_SD_EESH_SX_SI_SJ_SK_EUlSX_E_NS1_11comp_targetILNS1_3genE3ELNS1_11target_archE908ELNS1_3gpuE7ELNS1_3repE0EEENS1_48merge_mergepath_partition_config_static_selectorELNS0_4arch9wavefront6targetE1EEEvSJ_.has_dyn_sized_stack, 0
	.set _ZN7rocprim17ROCPRIM_400000_NS6detail17trampoline_kernelINS0_14default_configENS1_38merge_sort_block_merge_config_selectorIssEEZZNS1_27merge_sort_block_merge_implIS3_N6thrust23THRUST_200600_302600_NS6detail15normal_iteratorINS8_10device_ptrIsEEEESD_jNS1_19radix_merge_compareILb0ELb1EsNS0_19identity_decomposerEEEEE10hipError_tT0_T1_T2_jT3_P12ihipStream_tbPNSt15iterator_traitsISI_E10value_typeEPNSO_ISJ_E10value_typeEPSK_NS1_7vsmem_tEENKUlT_SI_SJ_SK_E_clIPsSD_S10_SD_EESH_SX_SI_SJ_SK_EUlSX_E_NS1_11comp_targetILNS1_3genE3ELNS1_11target_archE908ELNS1_3gpuE7ELNS1_3repE0EEENS1_48merge_mergepath_partition_config_static_selectorELNS0_4arch9wavefront6targetE1EEEvSJ_.has_recursion, 0
	.set _ZN7rocprim17ROCPRIM_400000_NS6detail17trampoline_kernelINS0_14default_configENS1_38merge_sort_block_merge_config_selectorIssEEZZNS1_27merge_sort_block_merge_implIS3_N6thrust23THRUST_200600_302600_NS6detail15normal_iteratorINS8_10device_ptrIsEEEESD_jNS1_19radix_merge_compareILb0ELb1EsNS0_19identity_decomposerEEEEE10hipError_tT0_T1_T2_jT3_P12ihipStream_tbPNSt15iterator_traitsISI_E10value_typeEPNSO_ISJ_E10value_typeEPSK_NS1_7vsmem_tEENKUlT_SI_SJ_SK_E_clIPsSD_S10_SD_EESH_SX_SI_SJ_SK_EUlSX_E_NS1_11comp_targetILNS1_3genE3ELNS1_11target_archE908ELNS1_3gpuE7ELNS1_3repE0EEENS1_48merge_mergepath_partition_config_static_selectorELNS0_4arch9wavefront6targetE1EEEvSJ_.has_indirect_call, 0
	.section	.AMDGPU.csdata,"",@progbits
; Kernel info:
; codeLenInByte = 0
; TotalNumSgprs: 6
; NumVgprs: 0
; NumAgprs: 0
; TotalNumVgprs: 0
; ScratchSize: 0
; MemoryBound: 0
; FloatMode: 240
; IeeeMode: 1
; LDSByteSize: 0 bytes/workgroup (compile time only)
; SGPRBlocks: 0
; VGPRBlocks: 0
; NumSGPRsForWavesPerEU: 6
; NumVGPRsForWavesPerEU: 1
; AccumOffset: 4
; Occupancy: 8
; WaveLimiterHint : 0
; COMPUTE_PGM_RSRC2:SCRATCH_EN: 0
; COMPUTE_PGM_RSRC2:USER_SGPR: 2
; COMPUTE_PGM_RSRC2:TRAP_HANDLER: 0
; COMPUTE_PGM_RSRC2:TGID_X_EN: 1
; COMPUTE_PGM_RSRC2:TGID_Y_EN: 0
; COMPUTE_PGM_RSRC2:TGID_Z_EN: 0
; COMPUTE_PGM_RSRC2:TIDIG_COMP_CNT: 0
; COMPUTE_PGM_RSRC3_GFX90A:ACCUM_OFFSET: 0
; COMPUTE_PGM_RSRC3_GFX90A:TG_SPLIT: 0
	.section	.text._ZN7rocprim17ROCPRIM_400000_NS6detail17trampoline_kernelINS0_14default_configENS1_38merge_sort_block_merge_config_selectorIssEEZZNS1_27merge_sort_block_merge_implIS3_N6thrust23THRUST_200600_302600_NS6detail15normal_iteratorINS8_10device_ptrIsEEEESD_jNS1_19radix_merge_compareILb0ELb1EsNS0_19identity_decomposerEEEEE10hipError_tT0_T1_T2_jT3_P12ihipStream_tbPNSt15iterator_traitsISI_E10value_typeEPNSO_ISJ_E10value_typeEPSK_NS1_7vsmem_tEENKUlT_SI_SJ_SK_E_clIPsSD_S10_SD_EESH_SX_SI_SJ_SK_EUlSX_E_NS1_11comp_targetILNS1_3genE2ELNS1_11target_archE906ELNS1_3gpuE6ELNS1_3repE0EEENS1_48merge_mergepath_partition_config_static_selectorELNS0_4arch9wavefront6targetE1EEEvSJ_,"axG",@progbits,_ZN7rocprim17ROCPRIM_400000_NS6detail17trampoline_kernelINS0_14default_configENS1_38merge_sort_block_merge_config_selectorIssEEZZNS1_27merge_sort_block_merge_implIS3_N6thrust23THRUST_200600_302600_NS6detail15normal_iteratorINS8_10device_ptrIsEEEESD_jNS1_19radix_merge_compareILb0ELb1EsNS0_19identity_decomposerEEEEE10hipError_tT0_T1_T2_jT3_P12ihipStream_tbPNSt15iterator_traitsISI_E10value_typeEPNSO_ISJ_E10value_typeEPSK_NS1_7vsmem_tEENKUlT_SI_SJ_SK_E_clIPsSD_S10_SD_EESH_SX_SI_SJ_SK_EUlSX_E_NS1_11comp_targetILNS1_3genE2ELNS1_11target_archE906ELNS1_3gpuE6ELNS1_3repE0EEENS1_48merge_mergepath_partition_config_static_selectorELNS0_4arch9wavefront6targetE1EEEvSJ_,comdat
	.protected	_ZN7rocprim17ROCPRIM_400000_NS6detail17trampoline_kernelINS0_14default_configENS1_38merge_sort_block_merge_config_selectorIssEEZZNS1_27merge_sort_block_merge_implIS3_N6thrust23THRUST_200600_302600_NS6detail15normal_iteratorINS8_10device_ptrIsEEEESD_jNS1_19radix_merge_compareILb0ELb1EsNS0_19identity_decomposerEEEEE10hipError_tT0_T1_T2_jT3_P12ihipStream_tbPNSt15iterator_traitsISI_E10value_typeEPNSO_ISJ_E10value_typeEPSK_NS1_7vsmem_tEENKUlT_SI_SJ_SK_E_clIPsSD_S10_SD_EESH_SX_SI_SJ_SK_EUlSX_E_NS1_11comp_targetILNS1_3genE2ELNS1_11target_archE906ELNS1_3gpuE6ELNS1_3repE0EEENS1_48merge_mergepath_partition_config_static_selectorELNS0_4arch9wavefront6targetE1EEEvSJ_ ; -- Begin function _ZN7rocprim17ROCPRIM_400000_NS6detail17trampoline_kernelINS0_14default_configENS1_38merge_sort_block_merge_config_selectorIssEEZZNS1_27merge_sort_block_merge_implIS3_N6thrust23THRUST_200600_302600_NS6detail15normal_iteratorINS8_10device_ptrIsEEEESD_jNS1_19radix_merge_compareILb0ELb1EsNS0_19identity_decomposerEEEEE10hipError_tT0_T1_T2_jT3_P12ihipStream_tbPNSt15iterator_traitsISI_E10value_typeEPNSO_ISJ_E10value_typeEPSK_NS1_7vsmem_tEENKUlT_SI_SJ_SK_E_clIPsSD_S10_SD_EESH_SX_SI_SJ_SK_EUlSX_E_NS1_11comp_targetILNS1_3genE2ELNS1_11target_archE906ELNS1_3gpuE6ELNS1_3repE0EEENS1_48merge_mergepath_partition_config_static_selectorELNS0_4arch9wavefront6targetE1EEEvSJ_
	.globl	_ZN7rocprim17ROCPRIM_400000_NS6detail17trampoline_kernelINS0_14default_configENS1_38merge_sort_block_merge_config_selectorIssEEZZNS1_27merge_sort_block_merge_implIS3_N6thrust23THRUST_200600_302600_NS6detail15normal_iteratorINS8_10device_ptrIsEEEESD_jNS1_19radix_merge_compareILb0ELb1EsNS0_19identity_decomposerEEEEE10hipError_tT0_T1_T2_jT3_P12ihipStream_tbPNSt15iterator_traitsISI_E10value_typeEPNSO_ISJ_E10value_typeEPSK_NS1_7vsmem_tEENKUlT_SI_SJ_SK_E_clIPsSD_S10_SD_EESH_SX_SI_SJ_SK_EUlSX_E_NS1_11comp_targetILNS1_3genE2ELNS1_11target_archE906ELNS1_3gpuE6ELNS1_3repE0EEENS1_48merge_mergepath_partition_config_static_selectorELNS0_4arch9wavefront6targetE1EEEvSJ_
	.p2align	8
	.type	_ZN7rocprim17ROCPRIM_400000_NS6detail17trampoline_kernelINS0_14default_configENS1_38merge_sort_block_merge_config_selectorIssEEZZNS1_27merge_sort_block_merge_implIS3_N6thrust23THRUST_200600_302600_NS6detail15normal_iteratorINS8_10device_ptrIsEEEESD_jNS1_19radix_merge_compareILb0ELb1EsNS0_19identity_decomposerEEEEE10hipError_tT0_T1_T2_jT3_P12ihipStream_tbPNSt15iterator_traitsISI_E10value_typeEPNSO_ISJ_E10value_typeEPSK_NS1_7vsmem_tEENKUlT_SI_SJ_SK_E_clIPsSD_S10_SD_EESH_SX_SI_SJ_SK_EUlSX_E_NS1_11comp_targetILNS1_3genE2ELNS1_11target_archE906ELNS1_3gpuE6ELNS1_3repE0EEENS1_48merge_mergepath_partition_config_static_selectorELNS0_4arch9wavefront6targetE1EEEvSJ_,@function
_ZN7rocprim17ROCPRIM_400000_NS6detail17trampoline_kernelINS0_14default_configENS1_38merge_sort_block_merge_config_selectorIssEEZZNS1_27merge_sort_block_merge_implIS3_N6thrust23THRUST_200600_302600_NS6detail15normal_iteratorINS8_10device_ptrIsEEEESD_jNS1_19radix_merge_compareILb0ELb1EsNS0_19identity_decomposerEEEEE10hipError_tT0_T1_T2_jT3_P12ihipStream_tbPNSt15iterator_traitsISI_E10value_typeEPNSO_ISJ_E10value_typeEPSK_NS1_7vsmem_tEENKUlT_SI_SJ_SK_E_clIPsSD_S10_SD_EESH_SX_SI_SJ_SK_EUlSX_E_NS1_11comp_targetILNS1_3genE2ELNS1_11target_archE906ELNS1_3gpuE6ELNS1_3repE0EEENS1_48merge_mergepath_partition_config_static_selectorELNS0_4arch9wavefront6targetE1EEEvSJ_: ; @_ZN7rocprim17ROCPRIM_400000_NS6detail17trampoline_kernelINS0_14default_configENS1_38merge_sort_block_merge_config_selectorIssEEZZNS1_27merge_sort_block_merge_implIS3_N6thrust23THRUST_200600_302600_NS6detail15normal_iteratorINS8_10device_ptrIsEEEESD_jNS1_19radix_merge_compareILb0ELb1EsNS0_19identity_decomposerEEEEE10hipError_tT0_T1_T2_jT3_P12ihipStream_tbPNSt15iterator_traitsISI_E10value_typeEPNSO_ISJ_E10value_typeEPSK_NS1_7vsmem_tEENKUlT_SI_SJ_SK_E_clIPsSD_S10_SD_EESH_SX_SI_SJ_SK_EUlSX_E_NS1_11comp_targetILNS1_3genE2ELNS1_11target_archE906ELNS1_3gpuE6ELNS1_3repE0EEENS1_48merge_mergepath_partition_config_static_selectorELNS0_4arch9wavefront6targetE1EEEvSJ_
; %bb.0:
	.section	.rodata,"a",@progbits
	.p2align	6, 0x0
	.amdhsa_kernel _ZN7rocprim17ROCPRIM_400000_NS6detail17trampoline_kernelINS0_14default_configENS1_38merge_sort_block_merge_config_selectorIssEEZZNS1_27merge_sort_block_merge_implIS3_N6thrust23THRUST_200600_302600_NS6detail15normal_iteratorINS8_10device_ptrIsEEEESD_jNS1_19radix_merge_compareILb0ELb1EsNS0_19identity_decomposerEEEEE10hipError_tT0_T1_T2_jT3_P12ihipStream_tbPNSt15iterator_traitsISI_E10value_typeEPNSO_ISJ_E10value_typeEPSK_NS1_7vsmem_tEENKUlT_SI_SJ_SK_E_clIPsSD_S10_SD_EESH_SX_SI_SJ_SK_EUlSX_E_NS1_11comp_targetILNS1_3genE2ELNS1_11target_archE906ELNS1_3gpuE6ELNS1_3repE0EEENS1_48merge_mergepath_partition_config_static_selectorELNS0_4arch9wavefront6targetE1EEEvSJ_
		.amdhsa_group_segment_fixed_size 0
		.amdhsa_private_segment_fixed_size 0
		.amdhsa_kernarg_size 40
		.amdhsa_user_sgpr_count 2
		.amdhsa_user_sgpr_dispatch_ptr 0
		.amdhsa_user_sgpr_queue_ptr 0
		.amdhsa_user_sgpr_kernarg_segment_ptr 1
		.amdhsa_user_sgpr_dispatch_id 0
		.amdhsa_user_sgpr_kernarg_preload_length 0
		.amdhsa_user_sgpr_kernarg_preload_offset 0
		.amdhsa_user_sgpr_private_segment_size 0
		.amdhsa_uses_dynamic_stack 0
		.amdhsa_enable_private_segment 0
		.amdhsa_system_sgpr_workgroup_id_x 1
		.amdhsa_system_sgpr_workgroup_id_y 0
		.amdhsa_system_sgpr_workgroup_id_z 0
		.amdhsa_system_sgpr_workgroup_info 0
		.amdhsa_system_vgpr_workitem_id 0
		.amdhsa_next_free_vgpr 1
		.amdhsa_next_free_sgpr 0
		.amdhsa_accum_offset 4
		.amdhsa_reserve_vcc 0
		.amdhsa_float_round_mode_32 0
		.amdhsa_float_round_mode_16_64 0
		.amdhsa_float_denorm_mode_32 3
		.amdhsa_float_denorm_mode_16_64 3
		.amdhsa_dx10_clamp 1
		.amdhsa_ieee_mode 1
		.amdhsa_fp16_overflow 0
		.amdhsa_tg_split 0
		.amdhsa_exception_fp_ieee_invalid_op 0
		.amdhsa_exception_fp_denorm_src 0
		.amdhsa_exception_fp_ieee_div_zero 0
		.amdhsa_exception_fp_ieee_overflow 0
		.amdhsa_exception_fp_ieee_underflow 0
		.amdhsa_exception_fp_ieee_inexact 0
		.amdhsa_exception_int_div_zero 0
	.end_amdhsa_kernel
	.section	.text._ZN7rocprim17ROCPRIM_400000_NS6detail17trampoline_kernelINS0_14default_configENS1_38merge_sort_block_merge_config_selectorIssEEZZNS1_27merge_sort_block_merge_implIS3_N6thrust23THRUST_200600_302600_NS6detail15normal_iteratorINS8_10device_ptrIsEEEESD_jNS1_19radix_merge_compareILb0ELb1EsNS0_19identity_decomposerEEEEE10hipError_tT0_T1_T2_jT3_P12ihipStream_tbPNSt15iterator_traitsISI_E10value_typeEPNSO_ISJ_E10value_typeEPSK_NS1_7vsmem_tEENKUlT_SI_SJ_SK_E_clIPsSD_S10_SD_EESH_SX_SI_SJ_SK_EUlSX_E_NS1_11comp_targetILNS1_3genE2ELNS1_11target_archE906ELNS1_3gpuE6ELNS1_3repE0EEENS1_48merge_mergepath_partition_config_static_selectorELNS0_4arch9wavefront6targetE1EEEvSJ_,"axG",@progbits,_ZN7rocprim17ROCPRIM_400000_NS6detail17trampoline_kernelINS0_14default_configENS1_38merge_sort_block_merge_config_selectorIssEEZZNS1_27merge_sort_block_merge_implIS3_N6thrust23THRUST_200600_302600_NS6detail15normal_iteratorINS8_10device_ptrIsEEEESD_jNS1_19radix_merge_compareILb0ELb1EsNS0_19identity_decomposerEEEEE10hipError_tT0_T1_T2_jT3_P12ihipStream_tbPNSt15iterator_traitsISI_E10value_typeEPNSO_ISJ_E10value_typeEPSK_NS1_7vsmem_tEENKUlT_SI_SJ_SK_E_clIPsSD_S10_SD_EESH_SX_SI_SJ_SK_EUlSX_E_NS1_11comp_targetILNS1_3genE2ELNS1_11target_archE906ELNS1_3gpuE6ELNS1_3repE0EEENS1_48merge_mergepath_partition_config_static_selectorELNS0_4arch9wavefront6targetE1EEEvSJ_,comdat
.Lfunc_end1572:
	.size	_ZN7rocprim17ROCPRIM_400000_NS6detail17trampoline_kernelINS0_14default_configENS1_38merge_sort_block_merge_config_selectorIssEEZZNS1_27merge_sort_block_merge_implIS3_N6thrust23THRUST_200600_302600_NS6detail15normal_iteratorINS8_10device_ptrIsEEEESD_jNS1_19radix_merge_compareILb0ELb1EsNS0_19identity_decomposerEEEEE10hipError_tT0_T1_T2_jT3_P12ihipStream_tbPNSt15iterator_traitsISI_E10value_typeEPNSO_ISJ_E10value_typeEPSK_NS1_7vsmem_tEENKUlT_SI_SJ_SK_E_clIPsSD_S10_SD_EESH_SX_SI_SJ_SK_EUlSX_E_NS1_11comp_targetILNS1_3genE2ELNS1_11target_archE906ELNS1_3gpuE6ELNS1_3repE0EEENS1_48merge_mergepath_partition_config_static_selectorELNS0_4arch9wavefront6targetE1EEEvSJ_, .Lfunc_end1572-_ZN7rocprim17ROCPRIM_400000_NS6detail17trampoline_kernelINS0_14default_configENS1_38merge_sort_block_merge_config_selectorIssEEZZNS1_27merge_sort_block_merge_implIS3_N6thrust23THRUST_200600_302600_NS6detail15normal_iteratorINS8_10device_ptrIsEEEESD_jNS1_19radix_merge_compareILb0ELb1EsNS0_19identity_decomposerEEEEE10hipError_tT0_T1_T2_jT3_P12ihipStream_tbPNSt15iterator_traitsISI_E10value_typeEPNSO_ISJ_E10value_typeEPSK_NS1_7vsmem_tEENKUlT_SI_SJ_SK_E_clIPsSD_S10_SD_EESH_SX_SI_SJ_SK_EUlSX_E_NS1_11comp_targetILNS1_3genE2ELNS1_11target_archE906ELNS1_3gpuE6ELNS1_3repE0EEENS1_48merge_mergepath_partition_config_static_selectorELNS0_4arch9wavefront6targetE1EEEvSJ_
                                        ; -- End function
	.set _ZN7rocprim17ROCPRIM_400000_NS6detail17trampoline_kernelINS0_14default_configENS1_38merge_sort_block_merge_config_selectorIssEEZZNS1_27merge_sort_block_merge_implIS3_N6thrust23THRUST_200600_302600_NS6detail15normal_iteratorINS8_10device_ptrIsEEEESD_jNS1_19radix_merge_compareILb0ELb1EsNS0_19identity_decomposerEEEEE10hipError_tT0_T1_T2_jT3_P12ihipStream_tbPNSt15iterator_traitsISI_E10value_typeEPNSO_ISJ_E10value_typeEPSK_NS1_7vsmem_tEENKUlT_SI_SJ_SK_E_clIPsSD_S10_SD_EESH_SX_SI_SJ_SK_EUlSX_E_NS1_11comp_targetILNS1_3genE2ELNS1_11target_archE906ELNS1_3gpuE6ELNS1_3repE0EEENS1_48merge_mergepath_partition_config_static_selectorELNS0_4arch9wavefront6targetE1EEEvSJ_.num_vgpr, 0
	.set _ZN7rocprim17ROCPRIM_400000_NS6detail17trampoline_kernelINS0_14default_configENS1_38merge_sort_block_merge_config_selectorIssEEZZNS1_27merge_sort_block_merge_implIS3_N6thrust23THRUST_200600_302600_NS6detail15normal_iteratorINS8_10device_ptrIsEEEESD_jNS1_19radix_merge_compareILb0ELb1EsNS0_19identity_decomposerEEEEE10hipError_tT0_T1_T2_jT3_P12ihipStream_tbPNSt15iterator_traitsISI_E10value_typeEPNSO_ISJ_E10value_typeEPSK_NS1_7vsmem_tEENKUlT_SI_SJ_SK_E_clIPsSD_S10_SD_EESH_SX_SI_SJ_SK_EUlSX_E_NS1_11comp_targetILNS1_3genE2ELNS1_11target_archE906ELNS1_3gpuE6ELNS1_3repE0EEENS1_48merge_mergepath_partition_config_static_selectorELNS0_4arch9wavefront6targetE1EEEvSJ_.num_agpr, 0
	.set _ZN7rocprim17ROCPRIM_400000_NS6detail17trampoline_kernelINS0_14default_configENS1_38merge_sort_block_merge_config_selectorIssEEZZNS1_27merge_sort_block_merge_implIS3_N6thrust23THRUST_200600_302600_NS6detail15normal_iteratorINS8_10device_ptrIsEEEESD_jNS1_19radix_merge_compareILb0ELb1EsNS0_19identity_decomposerEEEEE10hipError_tT0_T1_T2_jT3_P12ihipStream_tbPNSt15iterator_traitsISI_E10value_typeEPNSO_ISJ_E10value_typeEPSK_NS1_7vsmem_tEENKUlT_SI_SJ_SK_E_clIPsSD_S10_SD_EESH_SX_SI_SJ_SK_EUlSX_E_NS1_11comp_targetILNS1_3genE2ELNS1_11target_archE906ELNS1_3gpuE6ELNS1_3repE0EEENS1_48merge_mergepath_partition_config_static_selectorELNS0_4arch9wavefront6targetE1EEEvSJ_.numbered_sgpr, 0
	.set _ZN7rocprim17ROCPRIM_400000_NS6detail17trampoline_kernelINS0_14default_configENS1_38merge_sort_block_merge_config_selectorIssEEZZNS1_27merge_sort_block_merge_implIS3_N6thrust23THRUST_200600_302600_NS6detail15normal_iteratorINS8_10device_ptrIsEEEESD_jNS1_19radix_merge_compareILb0ELb1EsNS0_19identity_decomposerEEEEE10hipError_tT0_T1_T2_jT3_P12ihipStream_tbPNSt15iterator_traitsISI_E10value_typeEPNSO_ISJ_E10value_typeEPSK_NS1_7vsmem_tEENKUlT_SI_SJ_SK_E_clIPsSD_S10_SD_EESH_SX_SI_SJ_SK_EUlSX_E_NS1_11comp_targetILNS1_3genE2ELNS1_11target_archE906ELNS1_3gpuE6ELNS1_3repE0EEENS1_48merge_mergepath_partition_config_static_selectorELNS0_4arch9wavefront6targetE1EEEvSJ_.num_named_barrier, 0
	.set _ZN7rocprim17ROCPRIM_400000_NS6detail17trampoline_kernelINS0_14default_configENS1_38merge_sort_block_merge_config_selectorIssEEZZNS1_27merge_sort_block_merge_implIS3_N6thrust23THRUST_200600_302600_NS6detail15normal_iteratorINS8_10device_ptrIsEEEESD_jNS1_19radix_merge_compareILb0ELb1EsNS0_19identity_decomposerEEEEE10hipError_tT0_T1_T2_jT3_P12ihipStream_tbPNSt15iterator_traitsISI_E10value_typeEPNSO_ISJ_E10value_typeEPSK_NS1_7vsmem_tEENKUlT_SI_SJ_SK_E_clIPsSD_S10_SD_EESH_SX_SI_SJ_SK_EUlSX_E_NS1_11comp_targetILNS1_3genE2ELNS1_11target_archE906ELNS1_3gpuE6ELNS1_3repE0EEENS1_48merge_mergepath_partition_config_static_selectorELNS0_4arch9wavefront6targetE1EEEvSJ_.private_seg_size, 0
	.set _ZN7rocprim17ROCPRIM_400000_NS6detail17trampoline_kernelINS0_14default_configENS1_38merge_sort_block_merge_config_selectorIssEEZZNS1_27merge_sort_block_merge_implIS3_N6thrust23THRUST_200600_302600_NS6detail15normal_iteratorINS8_10device_ptrIsEEEESD_jNS1_19radix_merge_compareILb0ELb1EsNS0_19identity_decomposerEEEEE10hipError_tT0_T1_T2_jT3_P12ihipStream_tbPNSt15iterator_traitsISI_E10value_typeEPNSO_ISJ_E10value_typeEPSK_NS1_7vsmem_tEENKUlT_SI_SJ_SK_E_clIPsSD_S10_SD_EESH_SX_SI_SJ_SK_EUlSX_E_NS1_11comp_targetILNS1_3genE2ELNS1_11target_archE906ELNS1_3gpuE6ELNS1_3repE0EEENS1_48merge_mergepath_partition_config_static_selectorELNS0_4arch9wavefront6targetE1EEEvSJ_.uses_vcc, 0
	.set _ZN7rocprim17ROCPRIM_400000_NS6detail17trampoline_kernelINS0_14default_configENS1_38merge_sort_block_merge_config_selectorIssEEZZNS1_27merge_sort_block_merge_implIS3_N6thrust23THRUST_200600_302600_NS6detail15normal_iteratorINS8_10device_ptrIsEEEESD_jNS1_19radix_merge_compareILb0ELb1EsNS0_19identity_decomposerEEEEE10hipError_tT0_T1_T2_jT3_P12ihipStream_tbPNSt15iterator_traitsISI_E10value_typeEPNSO_ISJ_E10value_typeEPSK_NS1_7vsmem_tEENKUlT_SI_SJ_SK_E_clIPsSD_S10_SD_EESH_SX_SI_SJ_SK_EUlSX_E_NS1_11comp_targetILNS1_3genE2ELNS1_11target_archE906ELNS1_3gpuE6ELNS1_3repE0EEENS1_48merge_mergepath_partition_config_static_selectorELNS0_4arch9wavefront6targetE1EEEvSJ_.uses_flat_scratch, 0
	.set _ZN7rocprim17ROCPRIM_400000_NS6detail17trampoline_kernelINS0_14default_configENS1_38merge_sort_block_merge_config_selectorIssEEZZNS1_27merge_sort_block_merge_implIS3_N6thrust23THRUST_200600_302600_NS6detail15normal_iteratorINS8_10device_ptrIsEEEESD_jNS1_19radix_merge_compareILb0ELb1EsNS0_19identity_decomposerEEEEE10hipError_tT0_T1_T2_jT3_P12ihipStream_tbPNSt15iterator_traitsISI_E10value_typeEPNSO_ISJ_E10value_typeEPSK_NS1_7vsmem_tEENKUlT_SI_SJ_SK_E_clIPsSD_S10_SD_EESH_SX_SI_SJ_SK_EUlSX_E_NS1_11comp_targetILNS1_3genE2ELNS1_11target_archE906ELNS1_3gpuE6ELNS1_3repE0EEENS1_48merge_mergepath_partition_config_static_selectorELNS0_4arch9wavefront6targetE1EEEvSJ_.has_dyn_sized_stack, 0
	.set _ZN7rocprim17ROCPRIM_400000_NS6detail17trampoline_kernelINS0_14default_configENS1_38merge_sort_block_merge_config_selectorIssEEZZNS1_27merge_sort_block_merge_implIS3_N6thrust23THRUST_200600_302600_NS6detail15normal_iteratorINS8_10device_ptrIsEEEESD_jNS1_19radix_merge_compareILb0ELb1EsNS0_19identity_decomposerEEEEE10hipError_tT0_T1_T2_jT3_P12ihipStream_tbPNSt15iterator_traitsISI_E10value_typeEPNSO_ISJ_E10value_typeEPSK_NS1_7vsmem_tEENKUlT_SI_SJ_SK_E_clIPsSD_S10_SD_EESH_SX_SI_SJ_SK_EUlSX_E_NS1_11comp_targetILNS1_3genE2ELNS1_11target_archE906ELNS1_3gpuE6ELNS1_3repE0EEENS1_48merge_mergepath_partition_config_static_selectorELNS0_4arch9wavefront6targetE1EEEvSJ_.has_recursion, 0
	.set _ZN7rocprim17ROCPRIM_400000_NS6detail17trampoline_kernelINS0_14default_configENS1_38merge_sort_block_merge_config_selectorIssEEZZNS1_27merge_sort_block_merge_implIS3_N6thrust23THRUST_200600_302600_NS6detail15normal_iteratorINS8_10device_ptrIsEEEESD_jNS1_19radix_merge_compareILb0ELb1EsNS0_19identity_decomposerEEEEE10hipError_tT0_T1_T2_jT3_P12ihipStream_tbPNSt15iterator_traitsISI_E10value_typeEPNSO_ISJ_E10value_typeEPSK_NS1_7vsmem_tEENKUlT_SI_SJ_SK_E_clIPsSD_S10_SD_EESH_SX_SI_SJ_SK_EUlSX_E_NS1_11comp_targetILNS1_3genE2ELNS1_11target_archE906ELNS1_3gpuE6ELNS1_3repE0EEENS1_48merge_mergepath_partition_config_static_selectorELNS0_4arch9wavefront6targetE1EEEvSJ_.has_indirect_call, 0
	.section	.AMDGPU.csdata,"",@progbits
; Kernel info:
; codeLenInByte = 0
; TotalNumSgprs: 6
; NumVgprs: 0
; NumAgprs: 0
; TotalNumVgprs: 0
; ScratchSize: 0
; MemoryBound: 0
; FloatMode: 240
; IeeeMode: 1
; LDSByteSize: 0 bytes/workgroup (compile time only)
; SGPRBlocks: 0
; VGPRBlocks: 0
; NumSGPRsForWavesPerEU: 6
; NumVGPRsForWavesPerEU: 1
; AccumOffset: 4
; Occupancy: 8
; WaveLimiterHint : 0
; COMPUTE_PGM_RSRC2:SCRATCH_EN: 0
; COMPUTE_PGM_RSRC2:USER_SGPR: 2
; COMPUTE_PGM_RSRC2:TRAP_HANDLER: 0
; COMPUTE_PGM_RSRC2:TGID_X_EN: 1
; COMPUTE_PGM_RSRC2:TGID_Y_EN: 0
; COMPUTE_PGM_RSRC2:TGID_Z_EN: 0
; COMPUTE_PGM_RSRC2:TIDIG_COMP_CNT: 0
; COMPUTE_PGM_RSRC3_GFX90A:ACCUM_OFFSET: 0
; COMPUTE_PGM_RSRC3_GFX90A:TG_SPLIT: 0
	.section	.text._ZN7rocprim17ROCPRIM_400000_NS6detail17trampoline_kernelINS0_14default_configENS1_38merge_sort_block_merge_config_selectorIssEEZZNS1_27merge_sort_block_merge_implIS3_N6thrust23THRUST_200600_302600_NS6detail15normal_iteratorINS8_10device_ptrIsEEEESD_jNS1_19radix_merge_compareILb0ELb1EsNS0_19identity_decomposerEEEEE10hipError_tT0_T1_T2_jT3_P12ihipStream_tbPNSt15iterator_traitsISI_E10value_typeEPNSO_ISJ_E10value_typeEPSK_NS1_7vsmem_tEENKUlT_SI_SJ_SK_E_clIPsSD_S10_SD_EESH_SX_SI_SJ_SK_EUlSX_E_NS1_11comp_targetILNS1_3genE9ELNS1_11target_archE1100ELNS1_3gpuE3ELNS1_3repE0EEENS1_48merge_mergepath_partition_config_static_selectorELNS0_4arch9wavefront6targetE1EEEvSJ_,"axG",@progbits,_ZN7rocprim17ROCPRIM_400000_NS6detail17trampoline_kernelINS0_14default_configENS1_38merge_sort_block_merge_config_selectorIssEEZZNS1_27merge_sort_block_merge_implIS3_N6thrust23THRUST_200600_302600_NS6detail15normal_iteratorINS8_10device_ptrIsEEEESD_jNS1_19radix_merge_compareILb0ELb1EsNS0_19identity_decomposerEEEEE10hipError_tT0_T1_T2_jT3_P12ihipStream_tbPNSt15iterator_traitsISI_E10value_typeEPNSO_ISJ_E10value_typeEPSK_NS1_7vsmem_tEENKUlT_SI_SJ_SK_E_clIPsSD_S10_SD_EESH_SX_SI_SJ_SK_EUlSX_E_NS1_11comp_targetILNS1_3genE9ELNS1_11target_archE1100ELNS1_3gpuE3ELNS1_3repE0EEENS1_48merge_mergepath_partition_config_static_selectorELNS0_4arch9wavefront6targetE1EEEvSJ_,comdat
	.protected	_ZN7rocprim17ROCPRIM_400000_NS6detail17trampoline_kernelINS0_14default_configENS1_38merge_sort_block_merge_config_selectorIssEEZZNS1_27merge_sort_block_merge_implIS3_N6thrust23THRUST_200600_302600_NS6detail15normal_iteratorINS8_10device_ptrIsEEEESD_jNS1_19radix_merge_compareILb0ELb1EsNS0_19identity_decomposerEEEEE10hipError_tT0_T1_T2_jT3_P12ihipStream_tbPNSt15iterator_traitsISI_E10value_typeEPNSO_ISJ_E10value_typeEPSK_NS1_7vsmem_tEENKUlT_SI_SJ_SK_E_clIPsSD_S10_SD_EESH_SX_SI_SJ_SK_EUlSX_E_NS1_11comp_targetILNS1_3genE9ELNS1_11target_archE1100ELNS1_3gpuE3ELNS1_3repE0EEENS1_48merge_mergepath_partition_config_static_selectorELNS0_4arch9wavefront6targetE1EEEvSJ_ ; -- Begin function _ZN7rocprim17ROCPRIM_400000_NS6detail17trampoline_kernelINS0_14default_configENS1_38merge_sort_block_merge_config_selectorIssEEZZNS1_27merge_sort_block_merge_implIS3_N6thrust23THRUST_200600_302600_NS6detail15normal_iteratorINS8_10device_ptrIsEEEESD_jNS1_19radix_merge_compareILb0ELb1EsNS0_19identity_decomposerEEEEE10hipError_tT0_T1_T2_jT3_P12ihipStream_tbPNSt15iterator_traitsISI_E10value_typeEPNSO_ISJ_E10value_typeEPSK_NS1_7vsmem_tEENKUlT_SI_SJ_SK_E_clIPsSD_S10_SD_EESH_SX_SI_SJ_SK_EUlSX_E_NS1_11comp_targetILNS1_3genE9ELNS1_11target_archE1100ELNS1_3gpuE3ELNS1_3repE0EEENS1_48merge_mergepath_partition_config_static_selectorELNS0_4arch9wavefront6targetE1EEEvSJ_
	.globl	_ZN7rocprim17ROCPRIM_400000_NS6detail17trampoline_kernelINS0_14default_configENS1_38merge_sort_block_merge_config_selectorIssEEZZNS1_27merge_sort_block_merge_implIS3_N6thrust23THRUST_200600_302600_NS6detail15normal_iteratorINS8_10device_ptrIsEEEESD_jNS1_19radix_merge_compareILb0ELb1EsNS0_19identity_decomposerEEEEE10hipError_tT0_T1_T2_jT3_P12ihipStream_tbPNSt15iterator_traitsISI_E10value_typeEPNSO_ISJ_E10value_typeEPSK_NS1_7vsmem_tEENKUlT_SI_SJ_SK_E_clIPsSD_S10_SD_EESH_SX_SI_SJ_SK_EUlSX_E_NS1_11comp_targetILNS1_3genE9ELNS1_11target_archE1100ELNS1_3gpuE3ELNS1_3repE0EEENS1_48merge_mergepath_partition_config_static_selectorELNS0_4arch9wavefront6targetE1EEEvSJ_
	.p2align	8
	.type	_ZN7rocprim17ROCPRIM_400000_NS6detail17trampoline_kernelINS0_14default_configENS1_38merge_sort_block_merge_config_selectorIssEEZZNS1_27merge_sort_block_merge_implIS3_N6thrust23THRUST_200600_302600_NS6detail15normal_iteratorINS8_10device_ptrIsEEEESD_jNS1_19radix_merge_compareILb0ELb1EsNS0_19identity_decomposerEEEEE10hipError_tT0_T1_T2_jT3_P12ihipStream_tbPNSt15iterator_traitsISI_E10value_typeEPNSO_ISJ_E10value_typeEPSK_NS1_7vsmem_tEENKUlT_SI_SJ_SK_E_clIPsSD_S10_SD_EESH_SX_SI_SJ_SK_EUlSX_E_NS1_11comp_targetILNS1_3genE9ELNS1_11target_archE1100ELNS1_3gpuE3ELNS1_3repE0EEENS1_48merge_mergepath_partition_config_static_selectorELNS0_4arch9wavefront6targetE1EEEvSJ_,@function
_ZN7rocprim17ROCPRIM_400000_NS6detail17trampoline_kernelINS0_14default_configENS1_38merge_sort_block_merge_config_selectorIssEEZZNS1_27merge_sort_block_merge_implIS3_N6thrust23THRUST_200600_302600_NS6detail15normal_iteratorINS8_10device_ptrIsEEEESD_jNS1_19radix_merge_compareILb0ELb1EsNS0_19identity_decomposerEEEEE10hipError_tT0_T1_T2_jT3_P12ihipStream_tbPNSt15iterator_traitsISI_E10value_typeEPNSO_ISJ_E10value_typeEPSK_NS1_7vsmem_tEENKUlT_SI_SJ_SK_E_clIPsSD_S10_SD_EESH_SX_SI_SJ_SK_EUlSX_E_NS1_11comp_targetILNS1_3genE9ELNS1_11target_archE1100ELNS1_3gpuE3ELNS1_3repE0EEENS1_48merge_mergepath_partition_config_static_selectorELNS0_4arch9wavefront6targetE1EEEvSJ_: ; @_ZN7rocprim17ROCPRIM_400000_NS6detail17trampoline_kernelINS0_14default_configENS1_38merge_sort_block_merge_config_selectorIssEEZZNS1_27merge_sort_block_merge_implIS3_N6thrust23THRUST_200600_302600_NS6detail15normal_iteratorINS8_10device_ptrIsEEEESD_jNS1_19radix_merge_compareILb0ELb1EsNS0_19identity_decomposerEEEEE10hipError_tT0_T1_T2_jT3_P12ihipStream_tbPNSt15iterator_traitsISI_E10value_typeEPNSO_ISJ_E10value_typeEPSK_NS1_7vsmem_tEENKUlT_SI_SJ_SK_E_clIPsSD_S10_SD_EESH_SX_SI_SJ_SK_EUlSX_E_NS1_11comp_targetILNS1_3genE9ELNS1_11target_archE1100ELNS1_3gpuE3ELNS1_3repE0EEENS1_48merge_mergepath_partition_config_static_selectorELNS0_4arch9wavefront6targetE1EEEvSJ_
; %bb.0:
	.section	.rodata,"a",@progbits
	.p2align	6, 0x0
	.amdhsa_kernel _ZN7rocprim17ROCPRIM_400000_NS6detail17trampoline_kernelINS0_14default_configENS1_38merge_sort_block_merge_config_selectorIssEEZZNS1_27merge_sort_block_merge_implIS3_N6thrust23THRUST_200600_302600_NS6detail15normal_iteratorINS8_10device_ptrIsEEEESD_jNS1_19radix_merge_compareILb0ELb1EsNS0_19identity_decomposerEEEEE10hipError_tT0_T1_T2_jT3_P12ihipStream_tbPNSt15iterator_traitsISI_E10value_typeEPNSO_ISJ_E10value_typeEPSK_NS1_7vsmem_tEENKUlT_SI_SJ_SK_E_clIPsSD_S10_SD_EESH_SX_SI_SJ_SK_EUlSX_E_NS1_11comp_targetILNS1_3genE9ELNS1_11target_archE1100ELNS1_3gpuE3ELNS1_3repE0EEENS1_48merge_mergepath_partition_config_static_selectorELNS0_4arch9wavefront6targetE1EEEvSJ_
		.amdhsa_group_segment_fixed_size 0
		.amdhsa_private_segment_fixed_size 0
		.amdhsa_kernarg_size 40
		.amdhsa_user_sgpr_count 2
		.amdhsa_user_sgpr_dispatch_ptr 0
		.amdhsa_user_sgpr_queue_ptr 0
		.amdhsa_user_sgpr_kernarg_segment_ptr 1
		.amdhsa_user_sgpr_dispatch_id 0
		.amdhsa_user_sgpr_kernarg_preload_length 0
		.amdhsa_user_sgpr_kernarg_preload_offset 0
		.amdhsa_user_sgpr_private_segment_size 0
		.amdhsa_uses_dynamic_stack 0
		.amdhsa_enable_private_segment 0
		.amdhsa_system_sgpr_workgroup_id_x 1
		.amdhsa_system_sgpr_workgroup_id_y 0
		.amdhsa_system_sgpr_workgroup_id_z 0
		.amdhsa_system_sgpr_workgroup_info 0
		.amdhsa_system_vgpr_workitem_id 0
		.amdhsa_next_free_vgpr 1
		.amdhsa_next_free_sgpr 0
		.amdhsa_accum_offset 4
		.amdhsa_reserve_vcc 0
		.amdhsa_float_round_mode_32 0
		.amdhsa_float_round_mode_16_64 0
		.amdhsa_float_denorm_mode_32 3
		.amdhsa_float_denorm_mode_16_64 3
		.amdhsa_dx10_clamp 1
		.amdhsa_ieee_mode 1
		.amdhsa_fp16_overflow 0
		.amdhsa_tg_split 0
		.amdhsa_exception_fp_ieee_invalid_op 0
		.amdhsa_exception_fp_denorm_src 0
		.amdhsa_exception_fp_ieee_div_zero 0
		.amdhsa_exception_fp_ieee_overflow 0
		.amdhsa_exception_fp_ieee_underflow 0
		.amdhsa_exception_fp_ieee_inexact 0
		.amdhsa_exception_int_div_zero 0
	.end_amdhsa_kernel
	.section	.text._ZN7rocprim17ROCPRIM_400000_NS6detail17trampoline_kernelINS0_14default_configENS1_38merge_sort_block_merge_config_selectorIssEEZZNS1_27merge_sort_block_merge_implIS3_N6thrust23THRUST_200600_302600_NS6detail15normal_iteratorINS8_10device_ptrIsEEEESD_jNS1_19radix_merge_compareILb0ELb1EsNS0_19identity_decomposerEEEEE10hipError_tT0_T1_T2_jT3_P12ihipStream_tbPNSt15iterator_traitsISI_E10value_typeEPNSO_ISJ_E10value_typeEPSK_NS1_7vsmem_tEENKUlT_SI_SJ_SK_E_clIPsSD_S10_SD_EESH_SX_SI_SJ_SK_EUlSX_E_NS1_11comp_targetILNS1_3genE9ELNS1_11target_archE1100ELNS1_3gpuE3ELNS1_3repE0EEENS1_48merge_mergepath_partition_config_static_selectorELNS0_4arch9wavefront6targetE1EEEvSJ_,"axG",@progbits,_ZN7rocprim17ROCPRIM_400000_NS6detail17trampoline_kernelINS0_14default_configENS1_38merge_sort_block_merge_config_selectorIssEEZZNS1_27merge_sort_block_merge_implIS3_N6thrust23THRUST_200600_302600_NS6detail15normal_iteratorINS8_10device_ptrIsEEEESD_jNS1_19radix_merge_compareILb0ELb1EsNS0_19identity_decomposerEEEEE10hipError_tT0_T1_T2_jT3_P12ihipStream_tbPNSt15iterator_traitsISI_E10value_typeEPNSO_ISJ_E10value_typeEPSK_NS1_7vsmem_tEENKUlT_SI_SJ_SK_E_clIPsSD_S10_SD_EESH_SX_SI_SJ_SK_EUlSX_E_NS1_11comp_targetILNS1_3genE9ELNS1_11target_archE1100ELNS1_3gpuE3ELNS1_3repE0EEENS1_48merge_mergepath_partition_config_static_selectorELNS0_4arch9wavefront6targetE1EEEvSJ_,comdat
.Lfunc_end1573:
	.size	_ZN7rocprim17ROCPRIM_400000_NS6detail17trampoline_kernelINS0_14default_configENS1_38merge_sort_block_merge_config_selectorIssEEZZNS1_27merge_sort_block_merge_implIS3_N6thrust23THRUST_200600_302600_NS6detail15normal_iteratorINS8_10device_ptrIsEEEESD_jNS1_19radix_merge_compareILb0ELb1EsNS0_19identity_decomposerEEEEE10hipError_tT0_T1_T2_jT3_P12ihipStream_tbPNSt15iterator_traitsISI_E10value_typeEPNSO_ISJ_E10value_typeEPSK_NS1_7vsmem_tEENKUlT_SI_SJ_SK_E_clIPsSD_S10_SD_EESH_SX_SI_SJ_SK_EUlSX_E_NS1_11comp_targetILNS1_3genE9ELNS1_11target_archE1100ELNS1_3gpuE3ELNS1_3repE0EEENS1_48merge_mergepath_partition_config_static_selectorELNS0_4arch9wavefront6targetE1EEEvSJ_, .Lfunc_end1573-_ZN7rocprim17ROCPRIM_400000_NS6detail17trampoline_kernelINS0_14default_configENS1_38merge_sort_block_merge_config_selectorIssEEZZNS1_27merge_sort_block_merge_implIS3_N6thrust23THRUST_200600_302600_NS6detail15normal_iteratorINS8_10device_ptrIsEEEESD_jNS1_19radix_merge_compareILb0ELb1EsNS0_19identity_decomposerEEEEE10hipError_tT0_T1_T2_jT3_P12ihipStream_tbPNSt15iterator_traitsISI_E10value_typeEPNSO_ISJ_E10value_typeEPSK_NS1_7vsmem_tEENKUlT_SI_SJ_SK_E_clIPsSD_S10_SD_EESH_SX_SI_SJ_SK_EUlSX_E_NS1_11comp_targetILNS1_3genE9ELNS1_11target_archE1100ELNS1_3gpuE3ELNS1_3repE0EEENS1_48merge_mergepath_partition_config_static_selectorELNS0_4arch9wavefront6targetE1EEEvSJ_
                                        ; -- End function
	.set _ZN7rocprim17ROCPRIM_400000_NS6detail17trampoline_kernelINS0_14default_configENS1_38merge_sort_block_merge_config_selectorIssEEZZNS1_27merge_sort_block_merge_implIS3_N6thrust23THRUST_200600_302600_NS6detail15normal_iteratorINS8_10device_ptrIsEEEESD_jNS1_19radix_merge_compareILb0ELb1EsNS0_19identity_decomposerEEEEE10hipError_tT0_T1_T2_jT3_P12ihipStream_tbPNSt15iterator_traitsISI_E10value_typeEPNSO_ISJ_E10value_typeEPSK_NS1_7vsmem_tEENKUlT_SI_SJ_SK_E_clIPsSD_S10_SD_EESH_SX_SI_SJ_SK_EUlSX_E_NS1_11comp_targetILNS1_3genE9ELNS1_11target_archE1100ELNS1_3gpuE3ELNS1_3repE0EEENS1_48merge_mergepath_partition_config_static_selectorELNS0_4arch9wavefront6targetE1EEEvSJ_.num_vgpr, 0
	.set _ZN7rocprim17ROCPRIM_400000_NS6detail17trampoline_kernelINS0_14default_configENS1_38merge_sort_block_merge_config_selectorIssEEZZNS1_27merge_sort_block_merge_implIS3_N6thrust23THRUST_200600_302600_NS6detail15normal_iteratorINS8_10device_ptrIsEEEESD_jNS1_19radix_merge_compareILb0ELb1EsNS0_19identity_decomposerEEEEE10hipError_tT0_T1_T2_jT3_P12ihipStream_tbPNSt15iterator_traitsISI_E10value_typeEPNSO_ISJ_E10value_typeEPSK_NS1_7vsmem_tEENKUlT_SI_SJ_SK_E_clIPsSD_S10_SD_EESH_SX_SI_SJ_SK_EUlSX_E_NS1_11comp_targetILNS1_3genE9ELNS1_11target_archE1100ELNS1_3gpuE3ELNS1_3repE0EEENS1_48merge_mergepath_partition_config_static_selectorELNS0_4arch9wavefront6targetE1EEEvSJ_.num_agpr, 0
	.set _ZN7rocprim17ROCPRIM_400000_NS6detail17trampoline_kernelINS0_14default_configENS1_38merge_sort_block_merge_config_selectorIssEEZZNS1_27merge_sort_block_merge_implIS3_N6thrust23THRUST_200600_302600_NS6detail15normal_iteratorINS8_10device_ptrIsEEEESD_jNS1_19radix_merge_compareILb0ELb1EsNS0_19identity_decomposerEEEEE10hipError_tT0_T1_T2_jT3_P12ihipStream_tbPNSt15iterator_traitsISI_E10value_typeEPNSO_ISJ_E10value_typeEPSK_NS1_7vsmem_tEENKUlT_SI_SJ_SK_E_clIPsSD_S10_SD_EESH_SX_SI_SJ_SK_EUlSX_E_NS1_11comp_targetILNS1_3genE9ELNS1_11target_archE1100ELNS1_3gpuE3ELNS1_3repE0EEENS1_48merge_mergepath_partition_config_static_selectorELNS0_4arch9wavefront6targetE1EEEvSJ_.numbered_sgpr, 0
	.set _ZN7rocprim17ROCPRIM_400000_NS6detail17trampoline_kernelINS0_14default_configENS1_38merge_sort_block_merge_config_selectorIssEEZZNS1_27merge_sort_block_merge_implIS3_N6thrust23THRUST_200600_302600_NS6detail15normal_iteratorINS8_10device_ptrIsEEEESD_jNS1_19radix_merge_compareILb0ELb1EsNS0_19identity_decomposerEEEEE10hipError_tT0_T1_T2_jT3_P12ihipStream_tbPNSt15iterator_traitsISI_E10value_typeEPNSO_ISJ_E10value_typeEPSK_NS1_7vsmem_tEENKUlT_SI_SJ_SK_E_clIPsSD_S10_SD_EESH_SX_SI_SJ_SK_EUlSX_E_NS1_11comp_targetILNS1_3genE9ELNS1_11target_archE1100ELNS1_3gpuE3ELNS1_3repE0EEENS1_48merge_mergepath_partition_config_static_selectorELNS0_4arch9wavefront6targetE1EEEvSJ_.num_named_barrier, 0
	.set _ZN7rocprim17ROCPRIM_400000_NS6detail17trampoline_kernelINS0_14default_configENS1_38merge_sort_block_merge_config_selectorIssEEZZNS1_27merge_sort_block_merge_implIS3_N6thrust23THRUST_200600_302600_NS6detail15normal_iteratorINS8_10device_ptrIsEEEESD_jNS1_19radix_merge_compareILb0ELb1EsNS0_19identity_decomposerEEEEE10hipError_tT0_T1_T2_jT3_P12ihipStream_tbPNSt15iterator_traitsISI_E10value_typeEPNSO_ISJ_E10value_typeEPSK_NS1_7vsmem_tEENKUlT_SI_SJ_SK_E_clIPsSD_S10_SD_EESH_SX_SI_SJ_SK_EUlSX_E_NS1_11comp_targetILNS1_3genE9ELNS1_11target_archE1100ELNS1_3gpuE3ELNS1_3repE0EEENS1_48merge_mergepath_partition_config_static_selectorELNS0_4arch9wavefront6targetE1EEEvSJ_.private_seg_size, 0
	.set _ZN7rocprim17ROCPRIM_400000_NS6detail17trampoline_kernelINS0_14default_configENS1_38merge_sort_block_merge_config_selectorIssEEZZNS1_27merge_sort_block_merge_implIS3_N6thrust23THRUST_200600_302600_NS6detail15normal_iteratorINS8_10device_ptrIsEEEESD_jNS1_19radix_merge_compareILb0ELb1EsNS0_19identity_decomposerEEEEE10hipError_tT0_T1_T2_jT3_P12ihipStream_tbPNSt15iterator_traitsISI_E10value_typeEPNSO_ISJ_E10value_typeEPSK_NS1_7vsmem_tEENKUlT_SI_SJ_SK_E_clIPsSD_S10_SD_EESH_SX_SI_SJ_SK_EUlSX_E_NS1_11comp_targetILNS1_3genE9ELNS1_11target_archE1100ELNS1_3gpuE3ELNS1_3repE0EEENS1_48merge_mergepath_partition_config_static_selectorELNS0_4arch9wavefront6targetE1EEEvSJ_.uses_vcc, 0
	.set _ZN7rocprim17ROCPRIM_400000_NS6detail17trampoline_kernelINS0_14default_configENS1_38merge_sort_block_merge_config_selectorIssEEZZNS1_27merge_sort_block_merge_implIS3_N6thrust23THRUST_200600_302600_NS6detail15normal_iteratorINS8_10device_ptrIsEEEESD_jNS1_19radix_merge_compareILb0ELb1EsNS0_19identity_decomposerEEEEE10hipError_tT0_T1_T2_jT3_P12ihipStream_tbPNSt15iterator_traitsISI_E10value_typeEPNSO_ISJ_E10value_typeEPSK_NS1_7vsmem_tEENKUlT_SI_SJ_SK_E_clIPsSD_S10_SD_EESH_SX_SI_SJ_SK_EUlSX_E_NS1_11comp_targetILNS1_3genE9ELNS1_11target_archE1100ELNS1_3gpuE3ELNS1_3repE0EEENS1_48merge_mergepath_partition_config_static_selectorELNS0_4arch9wavefront6targetE1EEEvSJ_.uses_flat_scratch, 0
	.set _ZN7rocprim17ROCPRIM_400000_NS6detail17trampoline_kernelINS0_14default_configENS1_38merge_sort_block_merge_config_selectorIssEEZZNS1_27merge_sort_block_merge_implIS3_N6thrust23THRUST_200600_302600_NS6detail15normal_iteratorINS8_10device_ptrIsEEEESD_jNS1_19radix_merge_compareILb0ELb1EsNS0_19identity_decomposerEEEEE10hipError_tT0_T1_T2_jT3_P12ihipStream_tbPNSt15iterator_traitsISI_E10value_typeEPNSO_ISJ_E10value_typeEPSK_NS1_7vsmem_tEENKUlT_SI_SJ_SK_E_clIPsSD_S10_SD_EESH_SX_SI_SJ_SK_EUlSX_E_NS1_11comp_targetILNS1_3genE9ELNS1_11target_archE1100ELNS1_3gpuE3ELNS1_3repE0EEENS1_48merge_mergepath_partition_config_static_selectorELNS0_4arch9wavefront6targetE1EEEvSJ_.has_dyn_sized_stack, 0
	.set _ZN7rocprim17ROCPRIM_400000_NS6detail17trampoline_kernelINS0_14default_configENS1_38merge_sort_block_merge_config_selectorIssEEZZNS1_27merge_sort_block_merge_implIS3_N6thrust23THRUST_200600_302600_NS6detail15normal_iteratorINS8_10device_ptrIsEEEESD_jNS1_19radix_merge_compareILb0ELb1EsNS0_19identity_decomposerEEEEE10hipError_tT0_T1_T2_jT3_P12ihipStream_tbPNSt15iterator_traitsISI_E10value_typeEPNSO_ISJ_E10value_typeEPSK_NS1_7vsmem_tEENKUlT_SI_SJ_SK_E_clIPsSD_S10_SD_EESH_SX_SI_SJ_SK_EUlSX_E_NS1_11comp_targetILNS1_3genE9ELNS1_11target_archE1100ELNS1_3gpuE3ELNS1_3repE0EEENS1_48merge_mergepath_partition_config_static_selectorELNS0_4arch9wavefront6targetE1EEEvSJ_.has_recursion, 0
	.set _ZN7rocprim17ROCPRIM_400000_NS6detail17trampoline_kernelINS0_14default_configENS1_38merge_sort_block_merge_config_selectorIssEEZZNS1_27merge_sort_block_merge_implIS3_N6thrust23THRUST_200600_302600_NS6detail15normal_iteratorINS8_10device_ptrIsEEEESD_jNS1_19radix_merge_compareILb0ELb1EsNS0_19identity_decomposerEEEEE10hipError_tT0_T1_T2_jT3_P12ihipStream_tbPNSt15iterator_traitsISI_E10value_typeEPNSO_ISJ_E10value_typeEPSK_NS1_7vsmem_tEENKUlT_SI_SJ_SK_E_clIPsSD_S10_SD_EESH_SX_SI_SJ_SK_EUlSX_E_NS1_11comp_targetILNS1_3genE9ELNS1_11target_archE1100ELNS1_3gpuE3ELNS1_3repE0EEENS1_48merge_mergepath_partition_config_static_selectorELNS0_4arch9wavefront6targetE1EEEvSJ_.has_indirect_call, 0
	.section	.AMDGPU.csdata,"",@progbits
; Kernel info:
; codeLenInByte = 0
; TotalNumSgprs: 6
; NumVgprs: 0
; NumAgprs: 0
; TotalNumVgprs: 0
; ScratchSize: 0
; MemoryBound: 0
; FloatMode: 240
; IeeeMode: 1
; LDSByteSize: 0 bytes/workgroup (compile time only)
; SGPRBlocks: 0
; VGPRBlocks: 0
; NumSGPRsForWavesPerEU: 6
; NumVGPRsForWavesPerEU: 1
; AccumOffset: 4
; Occupancy: 8
; WaveLimiterHint : 0
; COMPUTE_PGM_RSRC2:SCRATCH_EN: 0
; COMPUTE_PGM_RSRC2:USER_SGPR: 2
; COMPUTE_PGM_RSRC2:TRAP_HANDLER: 0
; COMPUTE_PGM_RSRC2:TGID_X_EN: 1
; COMPUTE_PGM_RSRC2:TGID_Y_EN: 0
; COMPUTE_PGM_RSRC2:TGID_Z_EN: 0
; COMPUTE_PGM_RSRC2:TIDIG_COMP_CNT: 0
; COMPUTE_PGM_RSRC3_GFX90A:ACCUM_OFFSET: 0
; COMPUTE_PGM_RSRC3_GFX90A:TG_SPLIT: 0
	.section	.text._ZN7rocprim17ROCPRIM_400000_NS6detail17trampoline_kernelINS0_14default_configENS1_38merge_sort_block_merge_config_selectorIssEEZZNS1_27merge_sort_block_merge_implIS3_N6thrust23THRUST_200600_302600_NS6detail15normal_iteratorINS8_10device_ptrIsEEEESD_jNS1_19radix_merge_compareILb0ELb1EsNS0_19identity_decomposerEEEEE10hipError_tT0_T1_T2_jT3_P12ihipStream_tbPNSt15iterator_traitsISI_E10value_typeEPNSO_ISJ_E10value_typeEPSK_NS1_7vsmem_tEENKUlT_SI_SJ_SK_E_clIPsSD_S10_SD_EESH_SX_SI_SJ_SK_EUlSX_E_NS1_11comp_targetILNS1_3genE8ELNS1_11target_archE1030ELNS1_3gpuE2ELNS1_3repE0EEENS1_48merge_mergepath_partition_config_static_selectorELNS0_4arch9wavefront6targetE1EEEvSJ_,"axG",@progbits,_ZN7rocprim17ROCPRIM_400000_NS6detail17trampoline_kernelINS0_14default_configENS1_38merge_sort_block_merge_config_selectorIssEEZZNS1_27merge_sort_block_merge_implIS3_N6thrust23THRUST_200600_302600_NS6detail15normal_iteratorINS8_10device_ptrIsEEEESD_jNS1_19radix_merge_compareILb0ELb1EsNS0_19identity_decomposerEEEEE10hipError_tT0_T1_T2_jT3_P12ihipStream_tbPNSt15iterator_traitsISI_E10value_typeEPNSO_ISJ_E10value_typeEPSK_NS1_7vsmem_tEENKUlT_SI_SJ_SK_E_clIPsSD_S10_SD_EESH_SX_SI_SJ_SK_EUlSX_E_NS1_11comp_targetILNS1_3genE8ELNS1_11target_archE1030ELNS1_3gpuE2ELNS1_3repE0EEENS1_48merge_mergepath_partition_config_static_selectorELNS0_4arch9wavefront6targetE1EEEvSJ_,comdat
	.protected	_ZN7rocprim17ROCPRIM_400000_NS6detail17trampoline_kernelINS0_14default_configENS1_38merge_sort_block_merge_config_selectorIssEEZZNS1_27merge_sort_block_merge_implIS3_N6thrust23THRUST_200600_302600_NS6detail15normal_iteratorINS8_10device_ptrIsEEEESD_jNS1_19radix_merge_compareILb0ELb1EsNS0_19identity_decomposerEEEEE10hipError_tT0_T1_T2_jT3_P12ihipStream_tbPNSt15iterator_traitsISI_E10value_typeEPNSO_ISJ_E10value_typeEPSK_NS1_7vsmem_tEENKUlT_SI_SJ_SK_E_clIPsSD_S10_SD_EESH_SX_SI_SJ_SK_EUlSX_E_NS1_11comp_targetILNS1_3genE8ELNS1_11target_archE1030ELNS1_3gpuE2ELNS1_3repE0EEENS1_48merge_mergepath_partition_config_static_selectorELNS0_4arch9wavefront6targetE1EEEvSJ_ ; -- Begin function _ZN7rocprim17ROCPRIM_400000_NS6detail17trampoline_kernelINS0_14default_configENS1_38merge_sort_block_merge_config_selectorIssEEZZNS1_27merge_sort_block_merge_implIS3_N6thrust23THRUST_200600_302600_NS6detail15normal_iteratorINS8_10device_ptrIsEEEESD_jNS1_19radix_merge_compareILb0ELb1EsNS0_19identity_decomposerEEEEE10hipError_tT0_T1_T2_jT3_P12ihipStream_tbPNSt15iterator_traitsISI_E10value_typeEPNSO_ISJ_E10value_typeEPSK_NS1_7vsmem_tEENKUlT_SI_SJ_SK_E_clIPsSD_S10_SD_EESH_SX_SI_SJ_SK_EUlSX_E_NS1_11comp_targetILNS1_3genE8ELNS1_11target_archE1030ELNS1_3gpuE2ELNS1_3repE0EEENS1_48merge_mergepath_partition_config_static_selectorELNS0_4arch9wavefront6targetE1EEEvSJ_
	.globl	_ZN7rocprim17ROCPRIM_400000_NS6detail17trampoline_kernelINS0_14default_configENS1_38merge_sort_block_merge_config_selectorIssEEZZNS1_27merge_sort_block_merge_implIS3_N6thrust23THRUST_200600_302600_NS6detail15normal_iteratorINS8_10device_ptrIsEEEESD_jNS1_19radix_merge_compareILb0ELb1EsNS0_19identity_decomposerEEEEE10hipError_tT0_T1_T2_jT3_P12ihipStream_tbPNSt15iterator_traitsISI_E10value_typeEPNSO_ISJ_E10value_typeEPSK_NS1_7vsmem_tEENKUlT_SI_SJ_SK_E_clIPsSD_S10_SD_EESH_SX_SI_SJ_SK_EUlSX_E_NS1_11comp_targetILNS1_3genE8ELNS1_11target_archE1030ELNS1_3gpuE2ELNS1_3repE0EEENS1_48merge_mergepath_partition_config_static_selectorELNS0_4arch9wavefront6targetE1EEEvSJ_
	.p2align	8
	.type	_ZN7rocprim17ROCPRIM_400000_NS6detail17trampoline_kernelINS0_14default_configENS1_38merge_sort_block_merge_config_selectorIssEEZZNS1_27merge_sort_block_merge_implIS3_N6thrust23THRUST_200600_302600_NS6detail15normal_iteratorINS8_10device_ptrIsEEEESD_jNS1_19radix_merge_compareILb0ELb1EsNS0_19identity_decomposerEEEEE10hipError_tT0_T1_T2_jT3_P12ihipStream_tbPNSt15iterator_traitsISI_E10value_typeEPNSO_ISJ_E10value_typeEPSK_NS1_7vsmem_tEENKUlT_SI_SJ_SK_E_clIPsSD_S10_SD_EESH_SX_SI_SJ_SK_EUlSX_E_NS1_11comp_targetILNS1_3genE8ELNS1_11target_archE1030ELNS1_3gpuE2ELNS1_3repE0EEENS1_48merge_mergepath_partition_config_static_selectorELNS0_4arch9wavefront6targetE1EEEvSJ_,@function
_ZN7rocprim17ROCPRIM_400000_NS6detail17trampoline_kernelINS0_14default_configENS1_38merge_sort_block_merge_config_selectorIssEEZZNS1_27merge_sort_block_merge_implIS3_N6thrust23THRUST_200600_302600_NS6detail15normal_iteratorINS8_10device_ptrIsEEEESD_jNS1_19radix_merge_compareILb0ELb1EsNS0_19identity_decomposerEEEEE10hipError_tT0_T1_T2_jT3_P12ihipStream_tbPNSt15iterator_traitsISI_E10value_typeEPNSO_ISJ_E10value_typeEPSK_NS1_7vsmem_tEENKUlT_SI_SJ_SK_E_clIPsSD_S10_SD_EESH_SX_SI_SJ_SK_EUlSX_E_NS1_11comp_targetILNS1_3genE8ELNS1_11target_archE1030ELNS1_3gpuE2ELNS1_3repE0EEENS1_48merge_mergepath_partition_config_static_selectorELNS0_4arch9wavefront6targetE1EEEvSJ_: ; @_ZN7rocprim17ROCPRIM_400000_NS6detail17trampoline_kernelINS0_14default_configENS1_38merge_sort_block_merge_config_selectorIssEEZZNS1_27merge_sort_block_merge_implIS3_N6thrust23THRUST_200600_302600_NS6detail15normal_iteratorINS8_10device_ptrIsEEEESD_jNS1_19radix_merge_compareILb0ELb1EsNS0_19identity_decomposerEEEEE10hipError_tT0_T1_T2_jT3_P12ihipStream_tbPNSt15iterator_traitsISI_E10value_typeEPNSO_ISJ_E10value_typeEPSK_NS1_7vsmem_tEENKUlT_SI_SJ_SK_E_clIPsSD_S10_SD_EESH_SX_SI_SJ_SK_EUlSX_E_NS1_11comp_targetILNS1_3genE8ELNS1_11target_archE1030ELNS1_3gpuE2ELNS1_3repE0EEENS1_48merge_mergepath_partition_config_static_selectorELNS0_4arch9wavefront6targetE1EEEvSJ_
; %bb.0:
	.section	.rodata,"a",@progbits
	.p2align	6, 0x0
	.amdhsa_kernel _ZN7rocprim17ROCPRIM_400000_NS6detail17trampoline_kernelINS0_14default_configENS1_38merge_sort_block_merge_config_selectorIssEEZZNS1_27merge_sort_block_merge_implIS3_N6thrust23THRUST_200600_302600_NS6detail15normal_iteratorINS8_10device_ptrIsEEEESD_jNS1_19radix_merge_compareILb0ELb1EsNS0_19identity_decomposerEEEEE10hipError_tT0_T1_T2_jT3_P12ihipStream_tbPNSt15iterator_traitsISI_E10value_typeEPNSO_ISJ_E10value_typeEPSK_NS1_7vsmem_tEENKUlT_SI_SJ_SK_E_clIPsSD_S10_SD_EESH_SX_SI_SJ_SK_EUlSX_E_NS1_11comp_targetILNS1_3genE8ELNS1_11target_archE1030ELNS1_3gpuE2ELNS1_3repE0EEENS1_48merge_mergepath_partition_config_static_selectorELNS0_4arch9wavefront6targetE1EEEvSJ_
		.amdhsa_group_segment_fixed_size 0
		.amdhsa_private_segment_fixed_size 0
		.amdhsa_kernarg_size 40
		.amdhsa_user_sgpr_count 2
		.amdhsa_user_sgpr_dispatch_ptr 0
		.amdhsa_user_sgpr_queue_ptr 0
		.amdhsa_user_sgpr_kernarg_segment_ptr 1
		.amdhsa_user_sgpr_dispatch_id 0
		.amdhsa_user_sgpr_kernarg_preload_length 0
		.amdhsa_user_sgpr_kernarg_preload_offset 0
		.amdhsa_user_sgpr_private_segment_size 0
		.amdhsa_uses_dynamic_stack 0
		.amdhsa_enable_private_segment 0
		.amdhsa_system_sgpr_workgroup_id_x 1
		.amdhsa_system_sgpr_workgroup_id_y 0
		.amdhsa_system_sgpr_workgroup_id_z 0
		.amdhsa_system_sgpr_workgroup_info 0
		.amdhsa_system_vgpr_workitem_id 0
		.amdhsa_next_free_vgpr 1
		.amdhsa_next_free_sgpr 0
		.amdhsa_accum_offset 4
		.amdhsa_reserve_vcc 0
		.amdhsa_float_round_mode_32 0
		.amdhsa_float_round_mode_16_64 0
		.amdhsa_float_denorm_mode_32 3
		.amdhsa_float_denorm_mode_16_64 3
		.amdhsa_dx10_clamp 1
		.amdhsa_ieee_mode 1
		.amdhsa_fp16_overflow 0
		.amdhsa_tg_split 0
		.amdhsa_exception_fp_ieee_invalid_op 0
		.amdhsa_exception_fp_denorm_src 0
		.amdhsa_exception_fp_ieee_div_zero 0
		.amdhsa_exception_fp_ieee_overflow 0
		.amdhsa_exception_fp_ieee_underflow 0
		.amdhsa_exception_fp_ieee_inexact 0
		.amdhsa_exception_int_div_zero 0
	.end_amdhsa_kernel
	.section	.text._ZN7rocprim17ROCPRIM_400000_NS6detail17trampoline_kernelINS0_14default_configENS1_38merge_sort_block_merge_config_selectorIssEEZZNS1_27merge_sort_block_merge_implIS3_N6thrust23THRUST_200600_302600_NS6detail15normal_iteratorINS8_10device_ptrIsEEEESD_jNS1_19radix_merge_compareILb0ELb1EsNS0_19identity_decomposerEEEEE10hipError_tT0_T1_T2_jT3_P12ihipStream_tbPNSt15iterator_traitsISI_E10value_typeEPNSO_ISJ_E10value_typeEPSK_NS1_7vsmem_tEENKUlT_SI_SJ_SK_E_clIPsSD_S10_SD_EESH_SX_SI_SJ_SK_EUlSX_E_NS1_11comp_targetILNS1_3genE8ELNS1_11target_archE1030ELNS1_3gpuE2ELNS1_3repE0EEENS1_48merge_mergepath_partition_config_static_selectorELNS0_4arch9wavefront6targetE1EEEvSJ_,"axG",@progbits,_ZN7rocprim17ROCPRIM_400000_NS6detail17trampoline_kernelINS0_14default_configENS1_38merge_sort_block_merge_config_selectorIssEEZZNS1_27merge_sort_block_merge_implIS3_N6thrust23THRUST_200600_302600_NS6detail15normal_iteratorINS8_10device_ptrIsEEEESD_jNS1_19radix_merge_compareILb0ELb1EsNS0_19identity_decomposerEEEEE10hipError_tT0_T1_T2_jT3_P12ihipStream_tbPNSt15iterator_traitsISI_E10value_typeEPNSO_ISJ_E10value_typeEPSK_NS1_7vsmem_tEENKUlT_SI_SJ_SK_E_clIPsSD_S10_SD_EESH_SX_SI_SJ_SK_EUlSX_E_NS1_11comp_targetILNS1_3genE8ELNS1_11target_archE1030ELNS1_3gpuE2ELNS1_3repE0EEENS1_48merge_mergepath_partition_config_static_selectorELNS0_4arch9wavefront6targetE1EEEvSJ_,comdat
.Lfunc_end1574:
	.size	_ZN7rocprim17ROCPRIM_400000_NS6detail17trampoline_kernelINS0_14default_configENS1_38merge_sort_block_merge_config_selectorIssEEZZNS1_27merge_sort_block_merge_implIS3_N6thrust23THRUST_200600_302600_NS6detail15normal_iteratorINS8_10device_ptrIsEEEESD_jNS1_19radix_merge_compareILb0ELb1EsNS0_19identity_decomposerEEEEE10hipError_tT0_T1_T2_jT3_P12ihipStream_tbPNSt15iterator_traitsISI_E10value_typeEPNSO_ISJ_E10value_typeEPSK_NS1_7vsmem_tEENKUlT_SI_SJ_SK_E_clIPsSD_S10_SD_EESH_SX_SI_SJ_SK_EUlSX_E_NS1_11comp_targetILNS1_3genE8ELNS1_11target_archE1030ELNS1_3gpuE2ELNS1_3repE0EEENS1_48merge_mergepath_partition_config_static_selectorELNS0_4arch9wavefront6targetE1EEEvSJ_, .Lfunc_end1574-_ZN7rocprim17ROCPRIM_400000_NS6detail17trampoline_kernelINS0_14default_configENS1_38merge_sort_block_merge_config_selectorIssEEZZNS1_27merge_sort_block_merge_implIS3_N6thrust23THRUST_200600_302600_NS6detail15normal_iteratorINS8_10device_ptrIsEEEESD_jNS1_19radix_merge_compareILb0ELb1EsNS0_19identity_decomposerEEEEE10hipError_tT0_T1_T2_jT3_P12ihipStream_tbPNSt15iterator_traitsISI_E10value_typeEPNSO_ISJ_E10value_typeEPSK_NS1_7vsmem_tEENKUlT_SI_SJ_SK_E_clIPsSD_S10_SD_EESH_SX_SI_SJ_SK_EUlSX_E_NS1_11comp_targetILNS1_3genE8ELNS1_11target_archE1030ELNS1_3gpuE2ELNS1_3repE0EEENS1_48merge_mergepath_partition_config_static_selectorELNS0_4arch9wavefront6targetE1EEEvSJ_
                                        ; -- End function
	.set _ZN7rocprim17ROCPRIM_400000_NS6detail17trampoline_kernelINS0_14default_configENS1_38merge_sort_block_merge_config_selectorIssEEZZNS1_27merge_sort_block_merge_implIS3_N6thrust23THRUST_200600_302600_NS6detail15normal_iteratorINS8_10device_ptrIsEEEESD_jNS1_19radix_merge_compareILb0ELb1EsNS0_19identity_decomposerEEEEE10hipError_tT0_T1_T2_jT3_P12ihipStream_tbPNSt15iterator_traitsISI_E10value_typeEPNSO_ISJ_E10value_typeEPSK_NS1_7vsmem_tEENKUlT_SI_SJ_SK_E_clIPsSD_S10_SD_EESH_SX_SI_SJ_SK_EUlSX_E_NS1_11comp_targetILNS1_3genE8ELNS1_11target_archE1030ELNS1_3gpuE2ELNS1_3repE0EEENS1_48merge_mergepath_partition_config_static_selectorELNS0_4arch9wavefront6targetE1EEEvSJ_.num_vgpr, 0
	.set _ZN7rocprim17ROCPRIM_400000_NS6detail17trampoline_kernelINS0_14default_configENS1_38merge_sort_block_merge_config_selectorIssEEZZNS1_27merge_sort_block_merge_implIS3_N6thrust23THRUST_200600_302600_NS6detail15normal_iteratorINS8_10device_ptrIsEEEESD_jNS1_19radix_merge_compareILb0ELb1EsNS0_19identity_decomposerEEEEE10hipError_tT0_T1_T2_jT3_P12ihipStream_tbPNSt15iterator_traitsISI_E10value_typeEPNSO_ISJ_E10value_typeEPSK_NS1_7vsmem_tEENKUlT_SI_SJ_SK_E_clIPsSD_S10_SD_EESH_SX_SI_SJ_SK_EUlSX_E_NS1_11comp_targetILNS1_3genE8ELNS1_11target_archE1030ELNS1_3gpuE2ELNS1_3repE0EEENS1_48merge_mergepath_partition_config_static_selectorELNS0_4arch9wavefront6targetE1EEEvSJ_.num_agpr, 0
	.set _ZN7rocprim17ROCPRIM_400000_NS6detail17trampoline_kernelINS0_14default_configENS1_38merge_sort_block_merge_config_selectorIssEEZZNS1_27merge_sort_block_merge_implIS3_N6thrust23THRUST_200600_302600_NS6detail15normal_iteratorINS8_10device_ptrIsEEEESD_jNS1_19radix_merge_compareILb0ELb1EsNS0_19identity_decomposerEEEEE10hipError_tT0_T1_T2_jT3_P12ihipStream_tbPNSt15iterator_traitsISI_E10value_typeEPNSO_ISJ_E10value_typeEPSK_NS1_7vsmem_tEENKUlT_SI_SJ_SK_E_clIPsSD_S10_SD_EESH_SX_SI_SJ_SK_EUlSX_E_NS1_11comp_targetILNS1_3genE8ELNS1_11target_archE1030ELNS1_3gpuE2ELNS1_3repE0EEENS1_48merge_mergepath_partition_config_static_selectorELNS0_4arch9wavefront6targetE1EEEvSJ_.numbered_sgpr, 0
	.set _ZN7rocprim17ROCPRIM_400000_NS6detail17trampoline_kernelINS0_14default_configENS1_38merge_sort_block_merge_config_selectorIssEEZZNS1_27merge_sort_block_merge_implIS3_N6thrust23THRUST_200600_302600_NS6detail15normal_iteratorINS8_10device_ptrIsEEEESD_jNS1_19radix_merge_compareILb0ELb1EsNS0_19identity_decomposerEEEEE10hipError_tT0_T1_T2_jT3_P12ihipStream_tbPNSt15iterator_traitsISI_E10value_typeEPNSO_ISJ_E10value_typeEPSK_NS1_7vsmem_tEENKUlT_SI_SJ_SK_E_clIPsSD_S10_SD_EESH_SX_SI_SJ_SK_EUlSX_E_NS1_11comp_targetILNS1_3genE8ELNS1_11target_archE1030ELNS1_3gpuE2ELNS1_3repE0EEENS1_48merge_mergepath_partition_config_static_selectorELNS0_4arch9wavefront6targetE1EEEvSJ_.num_named_barrier, 0
	.set _ZN7rocprim17ROCPRIM_400000_NS6detail17trampoline_kernelINS0_14default_configENS1_38merge_sort_block_merge_config_selectorIssEEZZNS1_27merge_sort_block_merge_implIS3_N6thrust23THRUST_200600_302600_NS6detail15normal_iteratorINS8_10device_ptrIsEEEESD_jNS1_19radix_merge_compareILb0ELb1EsNS0_19identity_decomposerEEEEE10hipError_tT0_T1_T2_jT3_P12ihipStream_tbPNSt15iterator_traitsISI_E10value_typeEPNSO_ISJ_E10value_typeEPSK_NS1_7vsmem_tEENKUlT_SI_SJ_SK_E_clIPsSD_S10_SD_EESH_SX_SI_SJ_SK_EUlSX_E_NS1_11comp_targetILNS1_3genE8ELNS1_11target_archE1030ELNS1_3gpuE2ELNS1_3repE0EEENS1_48merge_mergepath_partition_config_static_selectorELNS0_4arch9wavefront6targetE1EEEvSJ_.private_seg_size, 0
	.set _ZN7rocprim17ROCPRIM_400000_NS6detail17trampoline_kernelINS0_14default_configENS1_38merge_sort_block_merge_config_selectorIssEEZZNS1_27merge_sort_block_merge_implIS3_N6thrust23THRUST_200600_302600_NS6detail15normal_iteratorINS8_10device_ptrIsEEEESD_jNS1_19radix_merge_compareILb0ELb1EsNS0_19identity_decomposerEEEEE10hipError_tT0_T1_T2_jT3_P12ihipStream_tbPNSt15iterator_traitsISI_E10value_typeEPNSO_ISJ_E10value_typeEPSK_NS1_7vsmem_tEENKUlT_SI_SJ_SK_E_clIPsSD_S10_SD_EESH_SX_SI_SJ_SK_EUlSX_E_NS1_11comp_targetILNS1_3genE8ELNS1_11target_archE1030ELNS1_3gpuE2ELNS1_3repE0EEENS1_48merge_mergepath_partition_config_static_selectorELNS0_4arch9wavefront6targetE1EEEvSJ_.uses_vcc, 0
	.set _ZN7rocprim17ROCPRIM_400000_NS6detail17trampoline_kernelINS0_14default_configENS1_38merge_sort_block_merge_config_selectorIssEEZZNS1_27merge_sort_block_merge_implIS3_N6thrust23THRUST_200600_302600_NS6detail15normal_iteratorINS8_10device_ptrIsEEEESD_jNS1_19radix_merge_compareILb0ELb1EsNS0_19identity_decomposerEEEEE10hipError_tT0_T1_T2_jT3_P12ihipStream_tbPNSt15iterator_traitsISI_E10value_typeEPNSO_ISJ_E10value_typeEPSK_NS1_7vsmem_tEENKUlT_SI_SJ_SK_E_clIPsSD_S10_SD_EESH_SX_SI_SJ_SK_EUlSX_E_NS1_11comp_targetILNS1_3genE8ELNS1_11target_archE1030ELNS1_3gpuE2ELNS1_3repE0EEENS1_48merge_mergepath_partition_config_static_selectorELNS0_4arch9wavefront6targetE1EEEvSJ_.uses_flat_scratch, 0
	.set _ZN7rocprim17ROCPRIM_400000_NS6detail17trampoline_kernelINS0_14default_configENS1_38merge_sort_block_merge_config_selectorIssEEZZNS1_27merge_sort_block_merge_implIS3_N6thrust23THRUST_200600_302600_NS6detail15normal_iteratorINS8_10device_ptrIsEEEESD_jNS1_19radix_merge_compareILb0ELb1EsNS0_19identity_decomposerEEEEE10hipError_tT0_T1_T2_jT3_P12ihipStream_tbPNSt15iterator_traitsISI_E10value_typeEPNSO_ISJ_E10value_typeEPSK_NS1_7vsmem_tEENKUlT_SI_SJ_SK_E_clIPsSD_S10_SD_EESH_SX_SI_SJ_SK_EUlSX_E_NS1_11comp_targetILNS1_3genE8ELNS1_11target_archE1030ELNS1_3gpuE2ELNS1_3repE0EEENS1_48merge_mergepath_partition_config_static_selectorELNS0_4arch9wavefront6targetE1EEEvSJ_.has_dyn_sized_stack, 0
	.set _ZN7rocprim17ROCPRIM_400000_NS6detail17trampoline_kernelINS0_14default_configENS1_38merge_sort_block_merge_config_selectorIssEEZZNS1_27merge_sort_block_merge_implIS3_N6thrust23THRUST_200600_302600_NS6detail15normal_iteratorINS8_10device_ptrIsEEEESD_jNS1_19radix_merge_compareILb0ELb1EsNS0_19identity_decomposerEEEEE10hipError_tT0_T1_T2_jT3_P12ihipStream_tbPNSt15iterator_traitsISI_E10value_typeEPNSO_ISJ_E10value_typeEPSK_NS1_7vsmem_tEENKUlT_SI_SJ_SK_E_clIPsSD_S10_SD_EESH_SX_SI_SJ_SK_EUlSX_E_NS1_11comp_targetILNS1_3genE8ELNS1_11target_archE1030ELNS1_3gpuE2ELNS1_3repE0EEENS1_48merge_mergepath_partition_config_static_selectorELNS0_4arch9wavefront6targetE1EEEvSJ_.has_recursion, 0
	.set _ZN7rocprim17ROCPRIM_400000_NS6detail17trampoline_kernelINS0_14default_configENS1_38merge_sort_block_merge_config_selectorIssEEZZNS1_27merge_sort_block_merge_implIS3_N6thrust23THRUST_200600_302600_NS6detail15normal_iteratorINS8_10device_ptrIsEEEESD_jNS1_19radix_merge_compareILb0ELb1EsNS0_19identity_decomposerEEEEE10hipError_tT0_T1_T2_jT3_P12ihipStream_tbPNSt15iterator_traitsISI_E10value_typeEPNSO_ISJ_E10value_typeEPSK_NS1_7vsmem_tEENKUlT_SI_SJ_SK_E_clIPsSD_S10_SD_EESH_SX_SI_SJ_SK_EUlSX_E_NS1_11comp_targetILNS1_3genE8ELNS1_11target_archE1030ELNS1_3gpuE2ELNS1_3repE0EEENS1_48merge_mergepath_partition_config_static_selectorELNS0_4arch9wavefront6targetE1EEEvSJ_.has_indirect_call, 0
	.section	.AMDGPU.csdata,"",@progbits
; Kernel info:
; codeLenInByte = 0
; TotalNumSgprs: 6
; NumVgprs: 0
; NumAgprs: 0
; TotalNumVgprs: 0
; ScratchSize: 0
; MemoryBound: 0
; FloatMode: 240
; IeeeMode: 1
; LDSByteSize: 0 bytes/workgroup (compile time only)
; SGPRBlocks: 0
; VGPRBlocks: 0
; NumSGPRsForWavesPerEU: 6
; NumVGPRsForWavesPerEU: 1
; AccumOffset: 4
; Occupancy: 8
; WaveLimiterHint : 0
; COMPUTE_PGM_RSRC2:SCRATCH_EN: 0
; COMPUTE_PGM_RSRC2:USER_SGPR: 2
; COMPUTE_PGM_RSRC2:TRAP_HANDLER: 0
; COMPUTE_PGM_RSRC2:TGID_X_EN: 1
; COMPUTE_PGM_RSRC2:TGID_Y_EN: 0
; COMPUTE_PGM_RSRC2:TGID_Z_EN: 0
; COMPUTE_PGM_RSRC2:TIDIG_COMP_CNT: 0
; COMPUTE_PGM_RSRC3_GFX90A:ACCUM_OFFSET: 0
; COMPUTE_PGM_RSRC3_GFX90A:TG_SPLIT: 0
	.section	.text._ZN7rocprim17ROCPRIM_400000_NS6detail17trampoline_kernelINS0_14default_configENS1_38merge_sort_block_merge_config_selectorIssEEZZNS1_27merge_sort_block_merge_implIS3_N6thrust23THRUST_200600_302600_NS6detail15normal_iteratorINS8_10device_ptrIsEEEESD_jNS1_19radix_merge_compareILb0ELb1EsNS0_19identity_decomposerEEEEE10hipError_tT0_T1_T2_jT3_P12ihipStream_tbPNSt15iterator_traitsISI_E10value_typeEPNSO_ISJ_E10value_typeEPSK_NS1_7vsmem_tEENKUlT_SI_SJ_SK_E_clIPsSD_S10_SD_EESH_SX_SI_SJ_SK_EUlSX_E0_NS1_11comp_targetILNS1_3genE0ELNS1_11target_archE4294967295ELNS1_3gpuE0ELNS1_3repE0EEENS1_38merge_mergepath_config_static_selectorELNS0_4arch9wavefront6targetE1EEEvSJ_,"axG",@progbits,_ZN7rocprim17ROCPRIM_400000_NS6detail17trampoline_kernelINS0_14default_configENS1_38merge_sort_block_merge_config_selectorIssEEZZNS1_27merge_sort_block_merge_implIS3_N6thrust23THRUST_200600_302600_NS6detail15normal_iteratorINS8_10device_ptrIsEEEESD_jNS1_19radix_merge_compareILb0ELb1EsNS0_19identity_decomposerEEEEE10hipError_tT0_T1_T2_jT3_P12ihipStream_tbPNSt15iterator_traitsISI_E10value_typeEPNSO_ISJ_E10value_typeEPSK_NS1_7vsmem_tEENKUlT_SI_SJ_SK_E_clIPsSD_S10_SD_EESH_SX_SI_SJ_SK_EUlSX_E0_NS1_11comp_targetILNS1_3genE0ELNS1_11target_archE4294967295ELNS1_3gpuE0ELNS1_3repE0EEENS1_38merge_mergepath_config_static_selectorELNS0_4arch9wavefront6targetE1EEEvSJ_,comdat
	.protected	_ZN7rocprim17ROCPRIM_400000_NS6detail17trampoline_kernelINS0_14default_configENS1_38merge_sort_block_merge_config_selectorIssEEZZNS1_27merge_sort_block_merge_implIS3_N6thrust23THRUST_200600_302600_NS6detail15normal_iteratorINS8_10device_ptrIsEEEESD_jNS1_19radix_merge_compareILb0ELb1EsNS0_19identity_decomposerEEEEE10hipError_tT0_T1_T2_jT3_P12ihipStream_tbPNSt15iterator_traitsISI_E10value_typeEPNSO_ISJ_E10value_typeEPSK_NS1_7vsmem_tEENKUlT_SI_SJ_SK_E_clIPsSD_S10_SD_EESH_SX_SI_SJ_SK_EUlSX_E0_NS1_11comp_targetILNS1_3genE0ELNS1_11target_archE4294967295ELNS1_3gpuE0ELNS1_3repE0EEENS1_38merge_mergepath_config_static_selectorELNS0_4arch9wavefront6targetE1EEEvSJ_ ; -- Begin function _ZN7rocprim17ROCPRIM_400000_NS6detail17trampoline_kernelINS0_14default_configENS1_38merge_sort_block_merge_config_selectorIssEEZZNS1_27merge_sort_block_merge_implIS3_N6thrust23THRUST_200600_302600_NS6detail15normal_iteratorINS8_10device_ptrIsEEEESD_jNS1_19radix_merge_compareILb0ELb1EsNS0_19identity_decomposerEEEEE10hipError_tT0_T1_T2_jT3_P12ihipStream_tbPNSt15iterator_traitsISI_E10value_typeEPNSO_ISJ_E10value_typeEPSK_NS1_7vsmem_tEENKUlT_SI_SJ_SK_E_clIPsSD_S10_SD_EESH_SX_SI_SJ_SK_EUlSX_E0_NS1_11comp_targetILNS1_3genE0ELNS1_11target_archE4294967295ELNS1_3gpuE0ELNS1_3repE0EEENS1_38merge_mergepath_config_static_selectorELNS0_4arch9wavefront6targetE1EEEvSJ_
	.globl	_ZN7rocprim17ROCPRIM_400000_NS6detail17trampoline_kernelINS0_14default_configENS1_38merge_sort_block_merge_config_selectorIssEEZZNS1_27merge_sort_block_merge_implIS3_N6thrust23THRUST_200600_302600_NS6detail15normal_iteratorINS8_10device_ptrIsEEEESD_jNS1_19radix_merge_compareILb0ELb1EsNS0_19identity_decomposerEEEEE10hipError_tT0_T1_T2_jT3_P12ihipStream_tbPNSt15iterator_traitsISI_E10value_typeEPNSO_ISJ_E10value_typeEPSK_NS1_7vsmem_tEENKUlT_SI_SJ_SK_E_clIPsSD_S10_SD_EESH_SX_SI_SJ_SK_EUlSX_E0_NS1_11comp_targetILNS1_3genE0ELNS1_11target_archE4294967295ELNS1_3gpuE0ELNS1_3repE0EEENS1_38merge_mergepath_config_static_selectorELNS0_4arch9wavefront6targetE1EEEvSJ_
	.p2align	8
	.type	_ZN7rocprim17ROCPRIM_400000_NS6detail17trampoline_kernelINS0_14default_configENS1_38merge_sort_block_merge_config_selectorIssEEZZNS1_27merge_sort_block_merge_implIS3_N6thrust23THRUST_200600_302600_NS6detail15normal_iteratorINS8_10device_ptrIsEEEESD_jNS1_19radix_merge_compareILb0ELb1EsNS0_19identity_decomposerEEEEE10hipError_tT0_T1_T2_jT3_P12ihipStream_tbPNSt15iterator_traitsISI_E10value_typeEPNSO_ISJ_E10value_typeEPSK_NS1_7vsmem_tEENKUlT_SI_SJ_SK_E_clIPsSD_S10_SD_EESH_SX_SI_SJ_SK_EUlSX_E0_NS1_11comp_targetILNS1_3genE0ELNS1_11target_archE4294967295ELNS1_3gpuE0ELNS1_3repE0EEENS1_38merge_mergepath_config_static_selectorELNS0_4arch9wavefront6targetE1EEEvSJ_,@function
_ZN7rocprim17ROCPRIM_400000_NS6detail17trampoline_kernelINS0_14default_configENS1_38merge_sort_block_merge_config_selectorIssEEZZNS1_27merge_sort_block_merge_implIS3_N6thrust23THRUST_200600_302600_NS6detail15normal_iteratorINS8_10device_ptrIsEEEESD_jNS1_19radix_merge_compareILb0ELb1EsNS0_19identity_decomposerEEEEE10hipError_tT0_T1_T2_jT3_P12ihipStream_tbPNSt15iterator_traitsISI_E10value_typeEPNSO_ISJ_E10value_typeEPSK_NS1_7vsmem_tEENKUlT_SI_SJ_SK_E_clIPsSD_S10_SD_EESH_SX_SI_SJ_SK_EUlSX_E0_NS1_11comp_targetILNS1_3genE0ELNS1_11target_archE4294967295ELNS1_3gpuE0ELNS1_3repE0EEENS1_38merge_mergepath_config_static_selectorELNS0_4arch9wavefront6targetE1EEEvSJ_: ; @_ZN7rocprim17ROCPRIM_400000_NS6detail17trampoline_kernelINS0_14default_configENS1_38merge_sort_block_merge_config_selectorIssEEZZNS1_27merge_sort_block_merge_implIS3_N6thrust23THRUST_200600_302600_NS6detail15normal_iteratorINS8_10device_ptrIsEEEESD_jNS1_19radix_merge_compareILb0ELb1EsNS0_19identity_decomposerEEEEE10hipError_tT0_T1_T2_jT3_P12ihipStream_tbPNSt15iterator_traitsISI_E10value_typeEPNSO_ISJ_E10value_typeEPSK_NS1_7vsmem_tEENKUlT_SI_SJ_SK_E_clIPsSD_S10_SD_EESH_SX_SI_SJ_SK_EUlSX_E0_NS1_11comp_targetILNS1_3genE0ELNS1_11target_archE4294967295ELNS1_3gpuE0ELNS1_3repE0EEENS1_38merge_mergepath_config_static_selectorELNS0_4arch9wavefront6targetE1EEEvSJ_
; %bb.0:
	s_load_dwordx2 s[30:31], s[0:1], 0x40
	s_load_dword s5, s[0:1], 0x30
	s_add_u32 s26, s0, 64
	s_addc_u32 s27, s1, 0
	s_waitcnt lgkmcnt(0)
	s_mul_i32 s4, s31, s4
	s_add_i32 s3, s4, s3
	s_mul_i32 s3, s3, s30
	s_add_i32 s28, s3, s2
	s_cmp_ge_u32 s28, s5
	s_cbranch_scc1 .LBB1575_70
; %bb.1:
	s_load_dwordx8 s[16:23], s[0:1], 0x10
	s_load_dwordx2 s[10:11], s[0:1], 0x8
	s_load_dwordx2 s[4:5], s[0:1], 0x38
	s_mov_b32 s29, 0
	s_mov_b32 s13, s29
	s_waitcnt lgkmcnt(0)
	s_lshr_b32 s31, s22, 10
	s_cmp_lg_u32 s28, s31
	s_cselect_b64 s[24:25], -1, 0
	s_lshl_b64 s[6:7], s[28:29], 2
	s_add_u32 s4, s4, s6
	s_addc_u32 s5, s5, s7
	s_lshr_b32 s3, s23, 9
	s_and_b32 s3, s3, 0x7ffffe
	s_load_dwordx2 s[6:7], s[4:5], 0x0
	s_sub_i32 s3, 0, s3
	s_and_b32 s4, s28, s3
	s_lshl_b32 s5, s4, 10
	s_lshl_b32 s14, s28, 10
	s_lshl_b32 s4, s4, 11
	s_sub_i32 s8, s14, s5
	s_add_i32 s4, s4, s23
	s_add_i32 s8, s4, s8
	s_waitcnt lgkmcnt(0)
	s_sub_i32 s9, s8, s6
	s_sub_i32 s8, s8, s7
	;; [unrolled: 1-line block ×3, first 2 shown]
	s_min_u32 s12, s22, s9
	s_addk_i32 s8, 0x400
	s_or_b32 s3, s28, s3
	s_min_u32 s5, s22, s4
	s_add_i32 s4, s4, s23
	s_cmp_eq_u32 s3, -1
	s_cselect_b32 s3, s4, s8
	s_cselect_b32 s4, s5, s7
	s_mov_b32 s7, s29
	s_min_u32 s23, s3, s22
	s_sub_i32 s15, s4, s6
	s_lshl_b64 s[4:5], s[6:7], 1
	s_add_u32 s8, s10, s4
	s_addc_u32 s9, s11, s5
	s_lshl_b64 s[6:7], s[12:13], 1
	s_add_u32 s10, s10, s6
	s_addc_u32 s11, s11, s7
	s_cmp_lt_u32 s2, s30
	v_mov_b32_e32 v11, 0
	s_cselect_b32 s2, 12, 18
	global_load_dword v1, v11, s[26:27] offset:14
	s_add_u32 s2, s26, s2
	s_addc_u32 s3, s27, 0
	global_load_ushort v2, v11, s[2:3]
	s_cmp_eq_u32 s28, s31
	v_lshlrev_b32_e32 v10, 1, v0
	s_waitcnt vmcnt(1)
	v_lshrrev_b32_e32 v3, 16, v1
	v_and_b32_e32 v1, 0xffff, v1
	v_mul_lo_u32 v1, v1, v3
	s_waitcnt vmcnt(0)
	v_mul_lo_u32 v1, v1, v2
	v_add_u32_e32 v14, v1, v0
	v_add_u32_e32 v12, v14, v1
	s_cbranch_scc1 .LBB1575_3
; %bb.2:
	v_subrev_co_u32_e32 v4, vcc, s15, v0
	v_mov_b32_e32 v5, v11
	v_lshl_add_u64 v[2:3], s[8:9], 0, v[10:11]
	v_lshl_add_u64 v[4:5], v[4:5], 1, s[10:11]
	v_cndmask_b32_e32 v3, v5, v3, vcc
	v_cndmask_b32_e32 v2, v4, v2, vcc
	v_mov_b32_e32 v15, v11
	v_subrev_co_u32_e32 v4, vcc, s15, v14
	v_mov_b32_e32 v5, v11
	global_load_ushort v8, v[2:3], off
	v_lshl_add_u64 v[2:3], v[14:15], 1, s[8:9]
	v_lshl_add_u64 v[4:5], v[4:5], 1, s[10:11]
	v_cndmask_b32_e32 v3, v5, v3, vcc
	v_cndmask_b32_e32 v2, v4, v2, vcc
	v_mov_b32_e32 v13, v11
	v_subrev_co_u32_e32 v4, vcc, s15, v12
	v_mov_b32_e32 v5, v11
	global_load_ushort v9, v[2:3], off
	v_lshl_add_u64 v[2:3], v[12:13], 1, s[8:9]
	v_lshl_add_u64 v[4:5], v[4:5], 1, s[10:11]
	v_cndmask_b32_e32 v3, v5, v3, vcc
	v_cndmask_b32_e32 v2, v4, v2, vcc
	global_load_ushort v13, v[2:3], off
	v_add_u32_e32 v2, v12, v1
	v_mov_b32_e32 v3, v11
	v_subrev_co_u32_e32 v6, vcc, s15, v2
	v_mov_b32_e32 v7, v11
	v_lshl_add_u64 v[4:5], v[2:3], 1, s[8:9]
	v_lshl_add_u64 v[6:7], v[6:7], 1, s[10:11]
	v_add_u32_e32 v2, v2, v1
	v_cndmask_b32_e32 v5, v7, v5, vcc
	v_cndmask_b32_e32 v4, v6, v4, vcc
	v_subrev_co_u32_e32 v6, vcc, s15, v2
	v_mov_b32_e32 v7, v11
	global_load_ushort v15, v[4:5], off
	v_lshl_add_u64 v[4:5], v[2:3], 1, s[8:9]
	v_lshl_add_u64 v[6:7], v[6:7], 1, s[10:11]
	v_add_u32_e32 v2, v2, v1
	v_cndmask_b32_e32 v5, v7, v5, vcc
	v_cndmask_b32_e32 v4, v6, v4, vcc
	v_subrev_co_u32_e32 v6, vcc, s15, v2
	v_mov_b32_e32 v7, v11
	global_load_ushort v16, v[4:5], off
	;; [unrolled: 8-line block ×3, first 2 shown]
	v_lshl_add_u64 v[4:5], v[2:3], 1, s[8:9]
	v_lshl_add_u64 v[6:7], v[6:7], 1, s[10:11]
	v_cndmask_b32_e32 v5, v7, v5, vcc
	v_cndmask_b32_e32 v4, v6, v4, vcc
	global_load_ushort v5, v[4:5], off
	s_mov_b32 s2, 0x5040100
	v_add_u32_e32 v6, v2, v1
	s_waitcnt vmcnt(5)
	v_perm_b32 v2, v9, v8, s2
	s_waitcnt vmcnt(3)
	v_perm_b32 v3, v15, v13, s2
	;; [unrolled: 2-line block ×3, first 2 shown]
	s_mov_b64 s[2:3], -1
	s_sub_i32 s23, s23, s12
	s_cbranch_execz .LBB1575_4
	s_branch .LBB1575_17
.LBB1575_3:
	s_mov_b64 s[2:3], 0
                                        ; implicit-def: $vgpr6
                                        ; implicit-def: $vgpr2_vgpr3_vgpr4_vgpr5
	s_sub_i32 s23, s23, s12
.LBB1575_4:
	s_add_i32 s12, s23, s15
	v_mov_b32_e32 v2, 0
	v_cmp_gt_u32_e32 vcc, s12, v0
	v_mov_b32_e32 v3, v2
	v_mov_b32_e32 v4, v2
	s_waitcnt vmcnt(0)
	v_mov_b32_e32 v5, v2
	s_and_saveexec_b64 s[2:3], vcc
	s_cbranch_execnz .LBB1575_71
; %bb.5:
	s_or_b64 exec, exec, s[2:3]
	v_cmp_gt_u32_e32 vcc, s12, v14
	s_and_saveexec_b64 s[2:3], vcc
	s_cbranch_execnz .LBB1575_72
.LBB1575_6:
	s_or_b64 exec, exec, s[2:3]
	v_cmp_gt_u32_e32 vcc, s12, v12
	s_and_saveexec_b64 s[2:3], vcc
	s_cbranch_execz .LBB1575_8
.LBB1575_7:
	v_mov_b32_e32 v13, 0
	v_subrev_co_u32_e32 v8, vcc, s15, v12
	v_mov_b32_e32 v9, v13
	v_lshl_add_u64 v[6:7], v[12:13], 1, s[8:9]
	v_lshl_add_u64 v[8:9], v[8:9], 1, s[10:11]
	v_cndmask_b32_e32 v7, v9, v7, vcc
	v_cndmask_b32_e32 v6, v8, v6, vcc
	global_load_ushort v6, v[6:7], off
	s_mov_b32 s13, 0xffff
	s_waitcnt vmcnt(0)
	v_bfi_b32 v3, s13, v6, v3
.LBB1575_8:
	s_or_b64 exec, exec, s[2:3]
	v_add_u32_e32 v6, v12, v1
	v_cmp_gt_u32_e32 vcc, s12, v6
	s_and_saveexec_b64 s[2:3], vcc
	s_cbranch_execz .LBB1575_10
; %bb.9:
	v_mov_b32_e32 v7, 0
	v_subrev_co_u32_e32 v16, vcc, s15, v6
	v_mov_b32_e32 v17, v7
	v_lshl_add_u64 v[8:9], v[6:7], 1, s[8:9]
	v_lshl_add_u64 v[16:17], v[16:17], 1, s[10:11]
	v_cndmask_b32_e32 v9, v17, v9, vcc
	v_cndmask_b32_e32 v8, v16, v8, vcc
	global_load_ushort v7, v[8:9], off
	s_mov_b32 s13, 0x5040100
	s_waitcnt vmcnt(0)
	v_perm_b32 v3, v7, v3, s13
.LBB1575_10:
	s_or_b64 exec, exec, s[2:3]
	v_add_u32_e32 v6, v6, v1
	v_cmp_gt_u32_e32 vcc, s12, v6
	s_and_saveexec_b64 s[2:3], vcc
	s_cbranch_execz .LBB1575_12
; %bb.11:
	v_mov_b32_e32 v7, 0
	v_subrev_co_u32_e32 v16, vcc, s15, v6
	v_mov_b32_e32 v17, v7
	v_lshl_add_u64 v[8:9], v[6:7], 1, s[8:9]
	v_lshl_add_u64 v[16:17], v[16:17], 1, s[10:11]
	v_cndmask_b32_e32 v9, v17, v9, vcc
	v_cndmask_b32_e32 v8, v16, v8, vcc
	global_load_ushort v7, v[8:9], off
	s_mov_b32 s13, 0xffff
	s_waitcnt vmcnt(0)
	v_bfi_b32 v4, s13, v7, v4
.LBB1575_12:
	s_or_b64 exec, exec, s[2:3]
	v_add_u32_e32 v6, v6, v1
	v_cmp_gt_u32_e32 vcc, s12, v6
	s_and_saveexec_b64 s[2:3], vcc
	s_cbranch_execz .LBB1575_14
; %bb.13:
	v_mov_b32_e32 v7, 0
	v_subrev_co_u32_e32 v16, vcc, s15, v6
	v_mov_b32_e32 v17, v7
	v_lshl_add_u64 v[8:9], v[6:7], 1, s[8:9]
	v_lshl_add_u64 v[16:17], v[16:17], 1, s[10:11]
	v_cndmask_b32_e32 v9, v17, v9, vcc
	v_cndmask_b32_e32 v8, v16, v8, vcc
	global_load_ushort v7, v[8:9], off
	s_mov_b32 s13, 0x5040100
	s_waitcnt vmcnt(0)
	v_perm_b32 v4, v7, v4, s13
.LBB1575_14:
	s_or_b64 exec, exec, s[2:3]
	v_add_u32_e32 v6, v6, v1
	v_cmp_gt_u32_e32 vcc, s12, v6
	s_and_saveexec_b64 s[2:3], vcc
	s_cbranch_execz .LBB1575_16
; %bb.15:
	v_mov_b32_e32 v7, 0
	v_subrev_co_u32_e32 v16, vcc, s15, v6
	v_mov_b32_e32 v17, v7
	v_lshl_add_u64 v[8:9], v[6:7], 1, s[8:9]
	v_lshl_add_u64 v[16:17], v[16:17], 1, s[10:11]
	v_cndmask_b32_e32 v9, v17, v9, vcc
	v_cndmask_b32_e32 v8, v16, v8, vcc
	global_load_ushort v7, v[8:9], off
	s_mov_b32 s13, 0xffff
	s_waitcnt vmcnt(0)
	v_bfi_b32 v5, s13, v7, v5
.LBB1575_16:
	s_or_b64 exec, exec, s[2:3]
	v_add_u32_e32 v6, v6, v1
	v_cmp_gt_u32_e64 s[2:3], s12, v6
.LBB1575_17:
	s_and_saveexec_b64 s[12:13], s[2:3]
	s_cbranch_execz .LBB1575_19
; %bb.18:
	v_mov_b32_e32 v7, 0
	v_lshl_add_u64 v[8:9], v[6:7], 1, s[8:9]
	v_subrev_co_u32_e32 v6, vcc, s15, v6
	v_lshl_add_u64 v[6:7], v[6:7], 1, s[10:11]
	s_nop 0
	v_cndmask_b32_e32 v7, v7, v9, vcc
	v_cndmask_b32_e32 v6, v6, v8, vcc
	global_load_ushort v6, v[6:7], off
	s_mov_b32 s2, 0x5040100
	s_waitcnt vmcnt(0)
	v_perm_b32 v5, v6, v5, s2
.LBB1575_19:
	s_or_b64 exec, exec, s[12:13]
	s_add_u32 s2, s18, s4
	s_addc_u32 s3, s19, s5
	s_add_u32 s4, s18, s6
	v_mov_b32_e32 v11, 0
	v_lshrrev_b32_e32 v16, 16, v2
	v_lshrrev_b32_e32 v17, 16, v3
	;; [unrolled: 1-line block ×3, first 2 shown]
	s_waitcnt vmcnt(0)
	v_lshrrev_b32_e32 v19, 16, v5
	s_addc_u32 s5, s19, s7
	s_andn2_b64 vcc, exec, s[24:25]
	ds_write_b16 v10, v2
	ds_write_b16 v10, v16 offset:256
	ds_write_b16 v10, v3 offset:512
	;; [unrolled: 1-line block ×7, first 2 shown]
	s_cbranch_vccnz .LBB1575_21
; %bb.20:
	v_subrev_co_u32_e32 v8, vcc, s15, v0
	v_mov_b32_e32 v9, v11
	v_lshl_add_u64 v[6:7], s[2:3], 0, v[10:11]
	v_lshl_add_u64 v[8:9], v[8:9], 1, s[4:5]
	v_cndmask_b32_e32 v7, v9, v7, vcc
	v_cndmask_b32_e32 v6, v8, v6, vcc
	v_mov_b32_e32 v15, v11
	v_subrev_co_u32_e32 v8, vcc, s15, v14
	v_mov_b32_e32 v9, v11
	global_load_ushort v22, v[6:7], off
	v_lshl_add_u64 v[6:7], v[14:15], 1, s[2:3]
	v_lshl_add_u64 v[8:9], v[8:9], 1, s[4:5]
	v_cndmask_b32_e32 v7, v9, v7, vcc
	v_cndmask_b32_e32 v6, v8, v6, vcc
	v_mov_b32_e32 v13, v11
	v_subrev_co_u32_e32 v8, vcc, s15, v12
	v_mov_b32_e32 v9, v11
	global_load_ushort v15, v[6:7], off
	v_lshl_add_u64 v[6:7], v[12:13], 1, s[2:3]
	v_lshl_add_u64 v[8:9], v[8:9], 1, s[4:5]
	v_cndmask_b32_e32 v7, v9, v7, vcc
	v_cndmask_b32_e32 v6, v8, v6, vcc
	global_load_ushort v13, v[6:7], off
	v_add_u32_e32 v6, v12, v1
	v_mov_b32_e32 v7, v11
	v_subrev_co_u32_e32 v20, vcc, s15, v6
	v_mov_b32_e32 v21, v11
	v_lshl_add_u64 v[8:9], v[6:7], 1, s[2:3]
	v_lshl_add_u64 v[20:21], v[20:21], 1, s[4:5]
	v_add_u32_e32 v6, v6, v1
	v_cndmask_b32_e32 v9, v21, v9, vcc
	v_cndmask_b32_e32 v8, v20, v8, vcc
	v_subrev_co_u32_e32 v20, vcc, s15, v6
	v_mov_b32_e32 v21, v11
	global_load_ushort v23, v[8:9], off
	v_lshl_add_u64 v[8:9], v[6:7], 1, s[2:3]
	v_lshl_add_u64 v[20:21], v[20:21], 1, s[4:5]
	v_add_u32_e32 v6, v6, v1
	v_cndmask_b32_e32 v9, v21, v9, vcc
	v_cndmask_b32_e32 v8, v20, v8, vcc
	v_subrev_co_u32_e32 v20, vcc, s15, v6
	v_mov_b32_e32 v21, v11
	global_load_ushort v24, v[8:9], off
	;; [unrolled: 8-line block ×3, first 2 shown]
	v_lshl_add_u64 v[8:9], v[6:7], 1, s[2:3]
	v_lshl_add_u64 v[20:21], v[20:21], 1, s[4:5]
	v_cndmask_b32_e32 v9, v21, v9, vcc
	v_cndmask_b32_e32 v8, v20, v8, vcc
	v_add_u32_e32 v6, v6, v1
	global_load_ushort v20, v[8:9], off
	v_lshl_add_u64 v[8:9], v[6:7], 1, s[2:3]
	v_subrev_co_u32_e32 v6, vcc, s15, v6
	v_lshl_add_u64 v[6:7], v[6:7], 1, s[4:5]
	s_nop 0
	v_cndmask_b32_e32 v7, v7, v9, vcc
	v_cndmask_b32_e32 v6, v6, v8, vcc
	global_load_ushort v9, v[6:7], off
	s_mov_b32 s6, 0x5040100
	s_add_i32 s26, s23, s15
	s_waitcnt vmcnt(6)
	v_perm_b32 v6, v15, v22, s6
	s_waitcnt vmcnt(4)
	v_perm_b32 v7, v23, v13, s6
	;; [unrolled: 2-line block ×4, first 2 shown]
	s_cbranch_execz .LBB1575_22
	s_branch .LBB1575_37
.LBB1575_21:
                                        ; implicit-def: $vgpr6_vgpr7_vgpr8_vgpr9
                                        ; implicit-def: $sgpr26
.LBB1575_22:
	s_add_i32 s26, s23, s15
	v_mov_b32_e32 v6, 0
	v_cmp_gt_u32_e32 vcc, s26, v0
	v_mov_b32_e32 v7, v6
	v_mov_b32_e32 v8, v6
	;; [unrolled: 1-line block ×3, first 2 shown]
	s_and_saveexec_b64 s[6:7], vcc
	s_cbranch_execnz .LBB1575_73
; %bb.23:
	s_or_b64 exec, exec, s[6:7]
	v_cmp_gt_u32_e32 vcc, s26, v14
	s_and_saveexec_b64 s[6:7], vcc
	s_cbranch_execnz .LBB1575_74
.LBB1575_24:
	s_or_b64 exec, exec, s[6:7]
	v_cmp_gt_u32_e32 vcc, s26, v12
	s_and_saveexec_b64 s[6:7], vcc
	s_cbranch_execz .LBB1575_26
.LBB1575_25:
	v_mov_b32_e32 v13, 0
	v_subrev_co_u32_e32 v20, vcc, s15, v12
	v_mov_b32_e32 v21, v13
	v_lshl_add_u64 v[14:15], v[12:13], 1, s[2:3]
	v_lshl_add_u64 v[20:21], v[20:21], 1, s[4:5]
	v_cndmask_b32_e32 v15, v21, v15, vcc
	v_cndmask_b32_e32 v14, v20, v14, vcc
	global_load_ushort v11, v[14:15], off
	s_mov_b32 s8, 0xffff
	s_waitcnt vmcnt(0)
	v_bfi_b32 v7, s8, v11, v7
.LBB1575_26:
	s_or_b64 exec, exec, s[6:7]
	v_add_u32_e32 v12, v12, v1
	v_cmp_gt_u32_e32 vcc, s26, v12
	s_and_saveexec_b64 s[6:7], vcc
	s_cbranch_execz .LBB1575_28
; %bb.27:
	v_mov_b32_e32 v13, 0
	v_subrev_co_u32_e32 v20, vcc, s15, v12
	v_mov_b32_e32 v21, v13
	v_lshl_add_u64 v[14:15], v[12:13], 1, s[2:3]
	v_lshl_add_u64 v[20:21], v[20:21], 1, s[4:5]
	v_cndmask_b32_e32 v15, v21, v15, vcc
	v_cndmask_b32_e32 v14, v20, v14, vcc
	global_load_ushort v11, v[14:15], off
	s_mov_b32 s8, 0x5040100
	s_waitcnt vmcnt(0)
	v_perm_b32 v7, v11, v7, s8
.LBB1575_28:
	s_or_b64 exec, exec, s[6:7]
	v_add_u32_e32 v12, v12, v1
	v_cmp_gt_u32_e32 vcc, s26, v12
	s_and_saveexec_b64 s[6:7], vcc
	s_cbranch_execz .LBB1575_30
; %bb.29:
	v_mov_b32_e32 v13, 0
	v_subrev_co_u32_e32 v20, vcc, s15, v12
	v_mov_b32_e32 v21, v13
	v_lshl_add_u64 v[14:15], v[12:13], 1, s[2:3]
	v_lshl_add_u64 v[20:21], v[20:21], 1, s[4:5]
	v_cndmask_b32_e32 v15, v21, v15, vcc
	v_cndmask_b32_e32 v14, v20, v14, vcc
	global_load_ushort v11, v[14:15], off
	s_mov_b32 s8, 0xffff
	s_waitcnt vmcnt(0)
	v_bfi_b32 v8, s8, v11, v8
.LBB1575_30:
	s_or_b64 exec, exec, s[6:7]
	v_add_u32_e32 v12, v12, v1
	v_cmp_gt_u32_e32 vcc, s26, v12
	s_and_saveexec_b64 s[6:7], vcc
	s_cbranch_execz .LBB1575_32
; %bb.31:
	v_mov_b32_e32 v13, 0
	v_subrev_co_u32_e32 v20, vcc, s15, v12
	v_mov_b32_e32 v21, v13
	v_lshl_add_u64 v[14:15], v[12:13], 1, s[2:3]
	v_lshl_add_u64 v[20:21], v[20:21], 1, s[4:5]
	v_cndmask_b32_e32 v15, v21, v15, vcc
	v_cndmask_b32_e32 v14, v20, v14, vcc
	global_load_ushort v11, v[14:15], off
	s_mov_b32 s8, 0x5040100
	s_waitcnt vmcnt(0)
	v_perm_b32 v8, v11, v8, s8
.LBB1575_32:
	s_or_b64 exec, exec, s[6:7]
	v_add_u32_e32 v12, v12, v1
	v_cmp_gt_u32_e32 vcc, s26, v12
	s_and_saveexec_b64 s[6:7], vcc
	s_cbranch_execz .LBB1575_34
; %bb.33:
	v_mov_b32_e32 v13, 0
	v_subrev_co_u32_e32 v20, vcc, s15, v12
	v_mov_b32_e32 v21, v13
	v_lshl_add_u64 v[14:15], v[12:13], 1, s[2:3]
	v_lshl_add_u64 v[20:21], v[20:21], 1, s[4:5]
	v_cndmask_b32_e32 v15, v21, v15, vcc
	v_cndmask_b32_e32 v14, v20, v14, vcc
	global_load_ushort v11, v[14:15], off
	s_mov_b32 s8, 0xffff
	s_waitcnt vmcnt(0)
	v_bfi_b32 v9, s8, v11, v9
.LBB1575_34:
	s_or_b64 exec, exec, s[6:7]
	v_add_u32_e32 v12, v12, v1
	v_cmp_gt_u32_e32 vcc, s26, v12
	s_and_saveexec_b64 s[6:7], vcc
	s_cbranch_execz .LBB1575_36
; %bb.35:
	v_mov_b32_e32 v13, 0
	v_lshl_add_u64 v[14:15], v[12:13], 1, s[2:3]
	v_subrev_co_u32_e32 v12, vcc, s15, v12
	v_lshl_add_u64 v[12:13], v[12:13], 1, s[4:5]
	s_nop 0
	v_cndmask_b32_e32 v13, v13, v15, vcc
	v_cndmask_b32_e32 v12, v12, v14, vcc
	global_load_ushort v1, v[12:13], off
	s_mov_b32 s2, 0x5040100
	s_waitcnt vmcnt(0)
	v_perm_b32 v9, v1, v9, s2
.LBB1575_36:
	s_or_b64 exec, exec, s[6:7]
.LBB1575_37:
	s_load_dword s27, s[0:1], 0x34
	v_lshlrev_b32_e32 v1, 3, v0
	v_min_u32_e32 v11, s26, v1
	v_sub_u32_e64 v20, v11, s23 clamp
	v_min_u32_e32 v12, s15, v11
	v_cmp_lt_u32_e32 vcc, v20, v12
	s_waitcnt lgkmcnt(0)
	s_barrier
	s_and_saveexec_b64 s[0:1], vcc
	s_cbranch_execz .LBB1575_41
; %bb.38:
	v_lshlrev_b32_e32 v13, 1, v11
	v_lshl_add_u32 v13, s15, 1, v13
	s_mov_b64 s[2:3], 0
.LBB1575_39:                            ; =>This Inner Loop Header: Depth=1
	v_add_u32_e32 v14, v12, v20
	v_lshrrev_b32_e32 v15, 1, v14
	v_not_b32_e32 v21, v15
	v_and_b32_e32 v14, -2, v14
	v_lshl_add_u32 v21, v21, 1, v13
	ds_read_u16 v14, v14
	ds_read_u16 v21, v21
	v_add_u32_e32 v22, 1, v15
	s_waitcnt lgkmcnt(1)
	v_and_b32_e32 v14, s27, v14
	s_waitcnt lgkmcnt(0)
	v_and_b32_e32 v21, s27, v21
	v_cmp_gt_i16_e32 vcc, v14, v21
	s_nop 1
	v_cndmask_b32_e32 v12, v12, v15, vcc
	v_cndmask_b32_e32 v20, v22, v20, vcc
	v_cmp_ge_u32_e32 vcc, v20, v12
	s_or_b64 s[2:3], vcc, s[2:3]
	s_andn2_b64 exec, exec, s[2:3]
	s_cbranch_execnz .LBB1575_39
; %bb.40:
	s_or_b64 exec, exec, s[2:3]
.LBB1575_41:
	s_or_b64 exec, exec, s[0:1]
	v_sub_u32_e32 v11, v11, v20
	v_add_u32_e32 v24, s15, v11
	v_cmp_ge_u32_e32 vcc, s15, v20
	v_cmp_ge_u32_e64 s[0:1], s26, v24
	s_or_b64 s[0:1], vcc, s[0:1]
	v_mov_b32_e32 v23, 0
	v_mov_b32_e32 v22, 0
	;; [unrolled: 1-line block ×8, first 2 shown]
	s_and_saveexec_b64 s[18:19], s[0:1]
	s_cbranch_execz .LBB1575_47
; %bb.42:
	v_cmp_gt_u32_e32 vcc, s15, v20
                                        ; implicit-def: $vgpr2
	s_and_saveexec_b64 s[0:1], vcc
; %bb.43:
	v_lshlrev_b32_e32 v2, 1, v20
	ds_read_u16 v2, v2
; %bb.44:
	s_or_b64 exec, exec, s[0:1]
	v_cmp_le_u32_e64 s[0:1], s26, v24
	v_cmp_gt_u32_e64 s[2:3], s26, v24
                                        ; implicit-def: $vgpr3
	s_and_saveexec_b64 s[4:5], s[2:3]
; %bb.45:
	v_lshlrev_b32_e32 v3, 1, v24
	ds_read_u16 v3, v3
; %bb.46:
	s_or_b64 exec, exec, s[4:5]
	s_waitcnt lgkmcnt(0)
	v_and_b32_e32 v4, s27, v3
	v_and_b32_e32 v5, s27, v2
	v_cmp_le_i16_e64 s[2:3], v5, v4
	s_and_b64 s[2:3], vcc, s[2:3]
	s_or_b64 vcc, s[0:1], s[2:3]
	v_mov_b32_e32 v4, s26
	v_mov_b32_e32 v5, s15
	v_cndmask_b32_e32 v11, v24, v20, vcc
	v_cndmask_b32_e32 v12, v4, v5, vcc
	v_add_u32_e32 v13, 1, v11
	v_add_u32_e32 v12, -1, v12
	v_min_u32_e32 v12, v13, v12
	v_lshlrev_b32_e32 v12, 1, v12
	ds_read_u16 v12, v12
	v_cndmask_b32_e32 v14, v13, v24, vcc
	v_cndmask_b32_e32 v13, v20, v13, vcc
	v_cmp_gt_u32_e64 s[2:3], s15, v13
	v_cmp_le_u32_e64 s[0:1], s26, v14
	s_waitcnt lgkmcnt(0)
	v_cndmask_b32_e32 v16, v12, v3, vcc
	v_cndmask_b32_e32 v17, v2, v12, vcc
	v_and_b32_e32 v12, s27, v16
	v_and_b32_e32 v15, s27, v17
	v_cmp_le_i16_e64 s[4:5], v15, v12
	s_and_b64 s[2:3], s[2:3], s[4:5]
	s_or_b64 s[0:1], s[0:1], s[2:3]
	v_cndmask_b32_e64 v12, v14, v13, s[0:1]
	v_cndmask_b32_e64 v15, v4, v5, s[0:1]
	v_add_u32_e32 v18, 1, v12
	v_add_u32_e32 v15, -1, v15
	v_min_u32_e32 v15, v18, v15
	v_lshlrev_b32_e32 v15, 1, v15
	ds_read_u16 v15, v15
	v_cndmask_b32_e64 v14, v18, v14, s[0:1]
	v_cmp_le_u32_e64 s[2:3], s26, v14
	v_cndmask_b32_e32 v2, v3, v2, vcc
	s_waitcnt lgkmcnt(0)
	v_cndmask_b32_e64 v19, v15, v16, s[0:1]
	v_cndmask_b32_e64 v20, v17, v15, s[0:1]
	;; [unrolled: 1-line block ×3, first 2 shown]
	v_and_b32_e32 v13, s27, v19
	v_and_b32_e32 v18, s27, v20
	v_cmp_gt_u32_e64 s[4:5], s15, v15
	v_cmp_le_i16_e64 s[6:7], v18, v13
	s_and_b64 s[4:5], s[4:5], s[6:7]
	s_or_b64 s[2:3], s[2:3], s[4:5]
	v_cndmask_b32_e64 v13, v14, v15, s[2:3]
	v_cndmask_b32_e64 v18, v4, v5, s[2:3]
	v_add_u32_e32 v21, 1, v13
	v_add_u32_e32 v18, -1, v18
	v_min_u32_e32 v18, v21, v18
	v_lshlrev_b32_e32 v18, 1, v18
	ds_read_u16 v18, v18
	v_cndmask_b32_e64 v22, v21, v14, s[2:3]
	v_cndmask_b32_e64 v15, v15, v21, s[2:3]
	v_cmp_gt_u32_e64 s[6:7], s15, v15
	v_cmp_le_u32_e64 s[4:5], s26, v22
	s_waitcnt lgkmcnt(0)
	v_cndmask_b32_e64 v23, v18, v19, s[2:3]
	v_cndmask_b32_e64 v18, v20, v18, s[2:3]
	v_and_b32_e32 v14, s27, v23
	v_and_b32_e32 v21, s27, v18
	v_cmp_le_i16_e64 s[8:9], v21, v14
	s_and_b64 s[6:7], s[6:7], s[8:9]
	s_or_b64 s[4:5], s[4:5], s[6:7]
	v_cndmask_b32_e64 v14, v22, v15, s[4:5]
	v_cndmask_b32_e64 v21, v4, v5, s[4:5]
	v_add_u32_e32 v24, 1, v14
	v_add_u32_e32 v21, -1, v21
	v_min_u32_e32 v21, v24, v21
	v_lshlrev_b32_e32 v21, 1, v21
	ds_read_u16 v21, v21
	v_cndmask_b32_e64 v3, v19, v20, s[2:3]
	v_cndmask_b32_e64 v16, v16, v17, s[0:1]
	s_waitcnt lgkmcnt(0)
	v_cndmask_b32_e64 v25, v21, v23, s[4:5]
	v_cndmask_b32_e64 v26, v18, v21, s[4:5]
	;; [unrolled: 1-line block ×4, first 2 shown]
	v_and_b32_e32 v15, s27, v25
	v_and_b32_e32 v24, s27, v26
	v_cmp_gt_u32_e64 s[8:9], s15, v22
	v_cmp_le_i16_e64 s[10:11], v24, v15
	v_cmp_le_u32_e64 s[6:7], s26, v21
	s_and_b64 s[8:9], s[8:9], s[10:11]
	s_or_b64 s[6:7], s[6:7], s[8:9]
	v_cndmask_b32_e64 v15, v21, v22, s[6:7]
	v_cndmask_b32_e64 v24, v4, v5, s[6:7]
	v_add_u32_e32 v27, 1, v15
	v_add_u32_e32 v24, -1, v24
	v_min_u32_e32 v24, v27, v24
	v_lshlrev_b32_e32 v24, 1, v24
	ds_read_u16 v24, v24
	v_cndmask_b32_e64 v29, v27, v21, s[6:7]
	v_cndmask_b32_e64 v22, v22, v27, s[6:7]
	v_cmp_gt_u32_e64 s[10:11], s15, v22
	v_cmp_le_u32_e64 s[8:9], s26, v29
	s_waitcnt lgkmcnt(0)
	v_cndmask_b32_e64 v28, v24, v25, s[6:7]
	v_cndmask_b32_e64 v24, v26, v24, s[6:7]
	v_and_b32_e32 v21, s27, v28
	v_and_b32_e32 v27, s27, v24
	v_cmp_le_i16_e64 s[12:13], v27, v21
	s_and_b64 s[10:11], s[10:11], s[12:13]
	s_or_b64 s[8:9], s[8:9], s[10:11]
	v_cndmask_b32_e64 v21, v29, v22, s[8:9]
	v_cndmask_b32_e64 v27, v4, v5, s[8:9]
	v_add_u32_e32 v30, 1, v21
	v_add_u32_e32 v27, -1, v27
	v_min_u32_e32 v27, v30, v27
	v_lshlrev_b32_e32 v27, 1, v27
	ds_read_u16 v27, v27
	s_waitcnt lgkmcnt(0)
	v_cndmask_b32_e64 v19, v27, v28, s[8:9]
	v_cndmask_b32_e64 v20, v24, v27, s[8:9]
	;; [unrolled: 1-line block ×4, first 2 shown]
	v_and_b32_e32 v17, s27, v19
	v_and_b32_e32 v22, s27, v20
	v_cmp_gt_u32_e64 s[0:1], s15, v29
	v_cmp_le_i16_e64 s[2:3], v22, v17
	v_cmp_le_u32_e32 vcc, s26, v27
	s_and_b64 s[0:1], s[0:1], s[2:3]
	s_or_b64 vcc, vcc, s[0:1]
	v_cndmask_b32_e32 v22, v27, v29, vcc
	v_cndmask_b32_e32 v4, v4, v5, vcc
	v_add_u32_e32 v30, 1, v22
	v_add_u32_e32 v4, -1, v4
	v_min_u32_e32 v4, v30, v4
	v_lshlrev_b32_e32 v4, 1, v4
	ds_read_u16 v31, v4
	v_cndmask_b32_e32 v5, v19, v20, vcc
	v_cndmask_b32_e64 v17, v23, v18, s[4:5]
	v_cndmask_b32_e64 v4, v25, v26, s[6:7]
	;; [unrolled: 1-line block ×3, first 2 shown]
	s_waitcnt lgkmcnt(0)
	v_cndmask_b32_e32 v19, v31, v19, vcc
	v_cndmask_b32_e32 v20, v20, v31, vcc
	;; [unrolled: 1-line block ×3, first 2 shown]
	v_and_b32_e32 v25, s27, v19
	v_and_b32_e32 v26, s27, v20
	v_cndmask_b32_e32 v23, v30, v27, vcc
	v_cmp_gt_u32_e64 s[0:1], s15, v24
	v_cmp_le_i16_e64 s[2:3], v26, v25
	v_cmp_le_u32_e32 vcc, s26, v23
	s_and_b64 s[0:1], s[0:1], s[2:3]
	s_or_b64 vcc, vcc, s[0:1]
	v_cndmask_b32_e32 v23, v23, v24, vcc
	v_cndmask_b32_e32 v19, v19, v20, vcc
.LBB1575_47:
	s_or_b64 exec, exec, s[18:19]
	s_barrier
	ds_write_b16 v10, v6
	ds_write_b16_d16_hi v10, v6 offset:256
	ds_write_b16 v10, v7 offset:512
	ds_write_b16_d16_hi v10, v7 offset:768
	ds_write_b16 v10, v8 offset:1024
	;; [unrolled: 2-line block ×3, first 2 shown]
	ds_write_b16_d16_hi v10, v9 offset:1792
	v_lshlrev_b32_e32 v6, 1, v11
	v_lshlrev_b32_e32 v7, 1, v12
	;; [unrolled: 1-line block ×7, first 2 shown]
	s_waitcnt lgkmcnt(0)
	s_barrier
	v_lshlrev_b32_e32 v20, 1, v23
	ds_read_u16 v6, v6
	ds_read_u16 v7, v7
	ds_read_u16 v12, v8
	ds_read_u16 v13, v9
	ds_read_u16 v8, v11
	ds_read_u16 v9, v14
	ds_read_u16 v14, v15
	ds_read_u16 v15, v20
	v_lshrrev_b32_e32 v11, 1, v0
	v_and_b32_e32 v11, 60, v11
	s_mov_b32 s0, 0x5040100
	v_lshl_add_u32 v1, v1, 1, v11
	v_perm_b32 v3, v17, v3, s0
	v_perm_b32 v2, v16, v2, s0
	s_waitcnt lgkmcnt(0)
	s_barrier
	s_barrier
	ds_write2_b32 v1, v2, v3 offset1:1
	v_perm_b32 v2, v19, v5, s0
	v_perm_b32 v3, v18, v4, s0
	ds_write2_b32 v1, v3, v2 offset0:2 offset1:3
	v_lshrrev_b32_e32 v2, 4, v0
	v_and_b32_e32 v2, 4, v2
	v_or_b32_e32 v28, 0x80, v0
	v_add_u32_e32 v4, v2, v10
	v_lshrrev_b32_e32 v2, 4, v28
	v_and_b32_e32 v2, 12, v2
	v_or_b32_e32 v27, 0x100, v0
	v_add_u32_e32 v5, v2, v10
	;; [unrolled: 4-line block ×5, first 2 shown]
	v_lshrrev_b32_e32 v2, 4, v24
	v_and_b32_e32 v2, 44, v2
	v_or_b32_e32 v23, 0x300, v0
	s_mov_b32 s15, 0
	v_add_u32_e32 v19, v2, v10
	v_lshrrev_b32_e32 v2, 4, v23
	s_lshl_b64 s[12:13], s[14:15], 1
	v_and_b32_e32 v2, 52, v2
	v_or_b32_e32 v22, 0x380, v0
	s_add_u32 s2, s16, s12
	v_add_u32_e32 v20, v2, v10
	v_lshrrev_b32_e32 v2, 4, v22
	s_addc_u32 s3, s17, s13
	v_and_b32_e32 v2, 60, v2
	v_mov_b32_e32 v11, 0
	v_add_u32_e32 v21, v2, v10
	v_lshl_add_u64 v[2:3], s[2:3], 0, v[10:11]
	s_and_b64 vcc, exec, s[24:25]
	s_waitcnt lgkmcnt(0)
	s_cbranch_vccz .LBB1575_49
; %bb.48:
	s_barrier
	ds_read_u16 v11, v4
	ds_read_u16 v29, v5 offset:256
	ds_read_u16 v30, v16 offset:512
	;; [unrolled: 1-line block ×7, first 2 shown]
	s_add_u32 s2, s20, s12
	s_addc_u32 s3, s21, s13
	s_waitcnt lgkmcnt(7)
	global_store_short v[2:3], v11, off
	s_waitcnt lgkmcnt(6)
	global_store_short v[2:3], v29, off offset:256
	s_waitcnt lgkmcnt(5)
	global_store_short v[2:3], v30, off offset:512
	;; [unrolled: 2-line block ×7, first 2 shown]
	v_perm_b32 v11, v13, v12, s0
	v_perm_b32 v29, v7, v6, s0
	s_barrier
	ds_write2_b32 v1, v29, v11 offset1:1
	v_perm_b32 v11, v15, v14, s0
	v_perm_b32 v29, v9, v8, s0
	ds_write2_b32 v1, v29, v11 offset0:2 offset1:3
	s_waitcnt lgkmcnt(0)
	s_barrier
	ds_read_u16 v11, v4
	ds_read_u16 v30, v5 offset:256
	ds_read_u16 v31, v16 offset:512
	;; [unrolled: 1-line block ×7, first 2 shown]
	s_waitcnt lgkmcnt(7)
	global_store_short v10, v11, s[2:3]
	s_waitcnt lgkmcnt(6)
	global_store_short v10, v30, s[2:3] offset:256
	s_waitcnt lgkmcnt(5)
	global_store_short v10, v31, s[2:3] offset:512
	;; [unrolled: 2-line block ×6, first 2 shown]
	s_mov_b64 s[16:17], -1
	s_cbranch_execz .LBB1575_50
	s_branch .LBB1575_68
.LBB1575_49:
	s_mov_b64 s[16:17], 0
                                        ; implicit-def: $vgpr29
.LBB1575_50:
	s_barrier
	s_waitcnt lgkmcnt(0)
	ds_read_u16 v34, v5 offset:256
	ds_read_u16 v33, v16 offset:512
	ds_read_u16 v32, v17 offset:768
	ds_read_u16 v31, v18 offset:1024
	ds_read_u16 v30, v19 offset:1280
	ds_read_u16 v29, v20 offset:1536
	ds_read_u16 v11, v21 offset:1792
	s_sub_i32 s16, s22, s14
	v_cmp_gt_u32_e32 vcc, s16, v0
	s_and_saveexec_b64 s[0:1], vcc
	s_cbranch_execnz .LBB1575_75
; %bb.51:
	s_or_b64 exec, exec, s[0:1]
	v_cmp_gt_u32_e64 s[0:1], s16, v28
	s_and_saveexec_b64 s[2:3], s[0:1]
	s_cbranch_execnz .LBB1575_76
.LBB1575_52:
	s_or_b64 exec, exec, s[2:3]
	v_cmp_gt_u32_e64 s[2:3], s16, v27
	s_and_saveexec_b64 s[4:5], s[2:3]
	s_cbranch_execnz .LBB1575_77
.LBB1575_53:
	s_or_b64 exec, exec, s[4:5]
	v_cmp_gt_u32_e64 s[4:5], s16, v26
	s_and_saveexec_b64 s[6:7], s[4:5]
	s_cbranch_execnz .LBB1575_78
.LBB1575_54:
	s_or_b64 exec, exec, s[6:7]
	v_cmp_gt_u32_e64 s[6:7], s16, v25
	s_and_saveexec_b64 s[8:9], s[6:7]
	s_cbranch_execnz .LBB1575_79
.LBB1575_55:
	s_or_b64 exec, exec, s[8:9]
	v_cmp_gt_u32_e64 s[8:9], s16, v24
	s_and_saveexec_b64 s[10:11], s[8:9]
	s_cbranch_execnz .LBB1575_80
.LBB1575_56:
	s_or_b64 exec, exec, s[10:11]
	v_cmp_gt_u32_e64 s[10:11], s16, v23
	s_and_saveexec_b64 s[14:15], s[10:11]
	s_cbranch_execnz .LBB1575_81
.LBB1575_57:
	s_or_b64 exec, exec, s[14:15]
	v_cmp_gt_u32_e64 s[16:17], s16, v22
	s_and_saveexec_b64 s[14:15], s[16:17]
	s_cbranch_execz .LBB1575_59
.LBB1575_58:
	s_waitcnt lgkmcnt(0)
	global_store_short v[2:3], v11, off offset:1792
.LBB1575_59:
	s_or_b64 exec, exec, s[14:15]
	s_mov_b32 s14, 0x5040100
	v_perm_b32 v0, v13, v12, s14
	v_perm_b32 v2, v7, v6, s14
	s_waitcnt lgkmcnt(0)
	s_barrier
	ds_write2_b32 v1, v2, v0 offset1:1
	v_perm_b32 v0, v15, v14, s14
	v_perm_b32 v2, v9, v8, s14
	ds_write2_b32 v1, v2, v0 offset0:2 offset1:3
	s_waitcnt lgkmcnt(0)
	s_barrier
	ds_read_u16 v8, v5 offset:256
	ds_read_u16 v7, v16 offset:512
	;; [unrolled: 1-line block ×7, first 2 shown]
	s_add_u32 s14, s20, s12
	s_addc_u32 s15, s21, s13
	v_mov_b32_e32 v11, 0
	v_lshl_add_u64 v[0:1], s[14:15], 0, v[10:11]
	s_and_saveexec_b64 s[14:15], vcc
	s_cbranch_execnz .LBB1575_82
; %bb.60:
	s_or_b64 exec, exec, s[14:15]
	s_and_saveexec_b64 s[14:15], s[0:1]
	s_cbranch_execnz .LBB1575_83
.LBB1575_61:
	s_or_b64 exec, exec, s[14:15]
	s_and_saveexec_b64 s[0:1], s[2:3]
	s_cbranch_execnz .LBB1575_84
.LBB1575_62:
	s_or_b64 exec, exec, s[0:1]
	s_and_saveexec_b64 s[0:1], s[4:5]
	s_cbranch_execnz .LBB1575_85
.LBB1575_63:
	s_or_b64 exec, exec, s[0:1]
	s_and_saveexec_b64 s[0:1], s[6:7]
	s_cbranch_execnz .LBB1575_86
.LBB1575_64:
	s_or_b64 exec, exec, s[0:1]
	s_and_saveexec_b64 s[0:1], s[8:9]
	s_cbranch_execnz .LBB1575_87
.LBB1575_65:
	s_or_b64 exec, exec, s[0:1]
	s_and_saveexec_b64 s[0:1], s[10:11]
	s_cbranch_execz .LBB1575_67
.LBB1575_66:
	s_waitcnt lgkmcnt(1)
	global_store_short v[0:1], v2, off offset:1536
.LBB1575_67:
	s_or_b64 exec, exec, s[0:1]
.LBB1575_68:
	s_and_saveexec_b64 s[0:1], s[16:17]
	s_cbranch_execz .LBB1575_70
; %bb.69:
	s_add_u32 s0, s20, s12
	s_addc_u32 s1, s21, s13
	s_waitcnt lgkmcnt(0)
	global_store_short v10, v29, s[0:1] offset:1792
.LBB1575_70:
	s_endpgm
.LBB1575_71:
	v_mov_b32_e32 v11, v2
	v_subrev_co_u32_e32 v6, vcc, s15, v0
	v_mov_b32_e32 v7, v2
	v_lshl_add_u64 v[4:5], s[8:9], 0, v[10:11]
	v_lshl_add_u64 v[6:7], v[6:7], 1, s[10:11]
	v_cndmask_b32_e32 v5, v7, v5, vcc
	v_cndmask_b32_e32 v4, v6, v4, vcc
	global_load_ushort v3, v[4:5], off
	v_mov_b32_e32 v5, v2
	v_mov_b32_e32 v6, v2
	v_mov_b32_e32 v7, v2
	s_waitcnt vmcnt(0)
	v_and_b32_e32 v4, 0xffff, v3
	v_mov_b64_e32 v[2:3], v[4:5]
	v_mov_b64_e32 v[4:5], v[6:7]
	s_or_b64 exec, exec, s[2:3]
	v_cmp_gt_u32_e32 vcc, s12, v14
	s_and_saveexec_b64 s[2:3], vcc
	s_cbranch_execz .LBB1575_6
.LBB1575_72:
	v_mov_b32_e32 v15, 0
	v_subrev_co_u32_e32 v8, vcc, s15, v14
	v_mov_b32_e32 v9, v15
	v_lshl_add_u64 v[6:7], v[14:15], 1, s[8:9]
	v_lshl_add_u64 v[8:9], v[8:9], 1, s[10:11]
	v_cndmask_b32_e32 v7, v9, v7, vcc
	v_cndmask_b32_e32 v6, v8, v6, vcc
	global_load_ushort v6, v[6:7], off
	s_mov_b32 s13, 0x5040100
	s_waitcnt vmcnt(0)
	v_perm_b32 v2, v6, v2, s13
	s_or_b64 exec, exec, s[2:3]
	v_cmp_gt_u32_e32 vcc, s12, v12
	s_and_saveexec_b64 s[2:3], vcc
	s_cbranch_execnz .LBB1575_7
	s_branch .LBB1575_8
.LBB1575_73:
	v_mov_b32_e32 v11, v6
	v_subrev_co_u32_e32 v20, vcc, s15, v0
	v_mov_b32_e32 v21, v6
	v_lshl_add_u64 v[8:9], s[2:3], 0, v[10:11]
	v_lshl_add_u64 v[20:21], v[20:21], 1, s[4:5]
	v_cndmask_b32_e32 v9, v21, v9, vcc
	v_cndmask_b32_e32 v8, v20, v8, vcc
	global_load_ushort v7, v[8:9], off
	v_mov_b32_e32 v21, v6
	v_mov_b32_e32 v22, v6
	;; [unrolled: 1-line block ×3, first 2 shown]
	s_waitcnt vmcnt(0)
	v_and_b32_e32 v20, 0xffff, v7
	v_mov_b64_e32 v[6:7], v[20:21]
	v_mov_b64_e32 v[8:9], v[22:23]
	s_or_b64 exec, exec, s[6:7]
	v_cmp_gt_u32_e32 vcc, s26, v14
	s_and_saveexec_b64 s[6:7], vcc
	s_cbranch_execz .LBB1575_24
.LBB1575_74:
	v_mov_b32_e32 v15, 0
	v_lshl_add_u64 v[20:21], v[14:15], 1, s[2:3]
	v_subrev_co_u32_e32 v14, vcc, s15, v14
	v_lshl_add_u64 v[14:15], v[14:15], 1, s[4:5]
	s_nop 0
	v_cndmask_b32_e32 v15, v15, v21, vcc
	v_cndmask_b32_e32 v14, v14, v20, vcc
	global_load_ushort v11, v[14:15], off
	s_mov_b32 s8, 0x5040100
	s_waitcnt vmcnt(0)
	v_perm_b32 v6, v11, v6, s8
	s_or_b64 exec, exec, s[6:7]
	v_cmp_gt_u32_e32 vcc, s26, v12
	s_and_saveexec_b64 s[6:7], vcc
	s_cbranch_execnz .LBB1575_25
	s_branch .LBB1575_26
.LBB1575_75:
	ds_read_u16 v0, v4
	s_waitcnt lgkmcnt(0)
	global_store_short v[2:3], v0, off
	s_or_b64 exec, exec, s[0:1]
	v_cmp_gt_u32_e64 s[0:1], s16, v28
	s_and_saveexec_b64 s[2:3], s[0:1]
	s_cbranch_execz .LBB1575_52
.LBB1575_76:
	s_waitcnt lgkmcnt(6)
	global_store_short v[2:3], v34, off offset:256
	s_or_b64 exec, exec, s[2:3]
	v_cmp_gt_u32_e64 s[2:3], s16, v27
	s_and_saveexec_b64 s[4:5], s[2:3]
	s_cbranch_execz .LBB1575_53
.LBB1575_77:
	s_waitcnt lgkmcnt(5)
	global_store_short v[2:3], v33, off offset:512
	s_or_b64 exec, exec, s[4:5]
	v_cmp_gt_u32_e64 s[4:5], s16, v26
	s_and_saveexec_b64 s[6:7], s[4:5]
	s_cbranch_execz .LBB1575_54
.LBB1575_78:
	s_waitcnt lgkmcnt(4)
	global_store_short v[2:3], v32, off offset:768
	s_or_b64 exec, exec, s[6:7]
	v_cmp_gt_u32_e64 s[6:7], s16, v25
	s_and_saveexec_b64 s[8:9], s[6:7]
	s_cbranch_execz .LBB1575_55
.LBB1575_79:
	s_waitcnt lgkmcnt(3)
	global_store_short v[2:3], v31, off offset:1024
	s_or_b64 exec, exec, s[8:9]
	v_cmp_gt_u32_e64 s[8:9], s16, v24
	s_and_saveexec_b64 s[10:11], s[8:9]
	s_cbranch_execz .LBB1575_56
.LBB1575_80:
	s_waitcnt lgkmcnt(2)
	global_store_short v[2:3], v30, off offset:1280
	s_or_b64 exec, exec, s[10:11]
	v_cmp_gt_u32_e64 s[10:11], s16, v23
	s_and_saveexec_b64 s[14:15], s[10:11]
	s_cbranch_execz .LBB1575_57
.LBB1575_81:
	s_waitcnt lgkmcnt(1)
	global_store_short v[2:3], v29, off offset:1536
	s_or_b64 exec, exec, s[14:15]
	v_cmp_gt_u32_e64 s[16:17], s16, v22
	s_and_saveexec_b64 s[14:15], s[16:17]
	s_cbranch_execnz .LBB1575_58
	s_branch .LBB1575_59
.LBB1575_82:
	ds_read_u16 v4, v4
	s_waitcnt lgkmcnt(0)
	global_store_short v[0:1], v4, off
	s_or_b64 exec, exec, s[14:15]
	s_and_saveexec_b64 s[14:15], s[0:1]
	s_cbranch_execz .LBB1575_61
.LBB1575_83:
	s_waitcnt lgkmcnt(6)
	global_store_short v[0:1], v8, off offset:256
	s_or_b64 exec, exec, s[14:15]
	s_and_saveexec_b64 s[0:1], s[2:3]
	s_cbranch_execz .LBB1575_62
.LBB1575_84:
	s_waitcnt lgkmcnt(5)
	global_store_short v[0:1], v7, off offset:512
	s_or_b64 exec, exec, s[0:1]
	s_and_saveexec_b64 s[0:1], s[4:5]
	s_cbranch_execz .LBB1575_63
.LBB1575_85:
	s_waitcnt lgkmcnt(4)
	global_store_short v[0:1], v6, off offset:768
	s_or_b64 exec, exec, s[0:1]
	s_and_saveexec_b64 s[0:1], s[6:7]
	s_cbranch_execz .LBB1575_64
.LBB1575_86:
	s_waitcnt lgkmcnt(3)
	global_store_short v[0:1], v5, off offset:1024
	s_or_b64 exec, exec, s[0:1]
	s_and_saveexec_b64 s[0:1], s[8:9]
	s_cbranch_execz .LBB1575_65
.LBB1575_87:
	s_waitcnt lgkmcnt(2)
	global_store_short v[0:1], v3, off offset:1280
	s_or_b64 exec, exec, s[0:1]
	s_and_saveexec_b64 s[0:1], s[10:11]
	s_cbranch_execnz .LBB1575_66
	s_branch .LBB1575_67
	.section	.rodata,"a",@progbits
	.p2align	6, 0x0
	.amdhsa_kernel _ZN7rocprim17ROCPRIM_400000_NS6detail17trampoline_kernelINS0_14default_configENS1_38merge_sort_block_merge_config_selectorIssEEZZNS1_27merge_sort_block_merge_implIS3_N6thrust23THRUST_200600_302600_NS6detail15normal_iteratorINS8_10device_ptrIsEEEESD_jNS1_19radix_merge_compareILb0ELb1EsNS0_19identity_decomposerEEEEE10hipError_tT0_T1_T2_jT3_P12ihipStream_tbPNSt15iterator_traitsISI_E10value_typeEPNSO_ISJ_E10value_typeEPSK_NS1_7vsmem_tEENKUlT_SI_SJ_SK_E_clIPsSD_S10_SD_EESH_SX_SI_SJ_SK_EUlSX_E0_NS1_11comp_targetILNS1_3genE0ELNS1_11target_archE4294967295ELNS1_3gpuE0ELNS1_3repE0EEENS1_38merge_mergepath_config_static_selectorELNS0_4arch9wavefront6targetE1EEEvSJ_
		.amdhsa_group_segment_fixed_size 2112
		.amdhsa_private_segment_fixed_size 0
		.amdhsa_kernarg_size 320
		.amdhsa_user_sgpr_count 2
		.amdhsa_user_sgpr_dispatch_ptr 0
		.amdhsa_user_sgpr_queue_ptr 0
		.amdhsa_user_sgpr_kernarg_segment_ptr 1
		.amdhsa_user_sgpr_dispatch_id 0
		.amdhsa_user_sgpr_kernarg_preload_length 0
		.amdhsa_user_sgpr_kernarg_preload_offset 0
		.amdhsa_user_sgpr_private_segment_size 0
		.amdhsa_uses_dynamic_stack 0
		.amdhsa_enable_private_segment 0
		.amdhsa_system_sgpr_workgroup_id_x 1
		.amdhsa_system_sgpr_workgroup_id_y 1
		.amdhsa_system_sgpr_workgroup_id_z 1
		.amdhsa_system_sgpr_workgroup_info 0
		.amdhsa_system_vgpr_workitem_id 0
		.amdhsa_next_free_vgpr 36
		.amdhsa_next_free_sgpr 32
		.amdhsa_accum_offset 36
		.amdhsa_reserve_vcc 1
		.amdhsa_float_round_mode_32 0
		.amdhsa_float_round_mode_16_64 0
		.amdhsa_float_denorm_mode_32 3
		.amdhsa_float_denorm_mode_16_64 3
		.amdhsa_dx10_clamp 1
		.amdhsa_ieee_mode 1
		.amdhsa_fp16_overflow 0
		.amdhsa_tg_split 0
		.amdhsa_exception_fp_ieee_invalid_op 0
		.amdhsa_exception_fp_denorm_src 0
		.amdhsa_exception_fp_ieee_div_zero 0
		.amdhsa_exception_fp_ieee_overflow 0
		.amdhsa_exception_fp_ieee_underflow 0
		.amdhsa_exception_fp_ieee_inexact 0
		.amdhsa_exception_int_div_zero 0
	.end_amdhsa_kernel
	.section	.text._ZN7rocprim17ROCPRIM_400000_NS6detail17trampoline_kernelINS0_14default_configENS1_38merge_sort_block_merge_config_selectorIssEEZZNS1_27merge_sort_block_merge_implIS3_N6thrust23THRUST_200600_302600_NS6detail15normal_iteratorINS8_10device_ptrIsEEEESD_jNS1_19radix_merge_compareILb0ELb1EsNS0_19identity_decomposerEEEEE10hipError_tT0_T1_T2_jT3_P12ihipStream_tbPNSt15iterator_traitsISI_E10value_typeEPNSO_ISJ_E10value_typeEPSK_NS1_7vsmem_tEENKUlT_SI_SJ_SK_E_clIPsSD_S10_SD_EESH_SX_SI_SJ_SK_EUlSX_E0_NS1_11comp_targetILNS1_3genE0ELNS1_11target_archE4294967295ELNS1_3gpuE0ELNS1_3repE0EEENS1_38merge_mergepath_config_static_selectorELNS0_4arch9wavefront6targetE1EEEvSJ_,"axG",@progbits,_ZN7rocprim17ROCPRIM_400000_NS6detail17trampoline_kernelINS0_14default_configENS1_38merge_sort_block_merge_config_selectorIssEEZZNS1_27merge_sort_block_merge_implIS3_N6thrust23THRUST_200600_302600_NS6detail15normal_iteratorINS8_10device_ptrIsEEEESD_jNS1_19radix_merge_compareILb0ELb1EsNS0_19identity_decomposerEEEEE10hipError_tT0_T1_T2_jT3_P12ihipStream_tbPNSt15iterator_traitsISI_E10value_typeEPNSO_ISJ_E10value_typeEPSK_NS1_7vsmem_tEENKUlT_SI_SJ_SK_E_clIPsSD_S10_SD_EESH_SX_SI_SJ_SK_EUlSX_E0_NS1_11comp_targetILNS1_3genE0ELNS1_11target_archE4294967295ELNS1_3gpuE0ELNS1_3repE0EEENS1_38merge_mergepath_config_static_selectorELNS0_4arch9wavefront6targetE1EEEvSJ_,comdat
.Lfunc_end1575:
	.size	_ZN7rocprim17ROCPRIM_400000_NS6detail17trampoline_kernelINS0_14default_configENS1_38merge_sort_block_merge_config_selectorIssEEZZNS1_27merge_sort_block_merge_implIS3_N6thrust23THRUST_200600_302600_NS6detail15normal_iteratorINS8_10device_ptrIsEEEESD_jNS1_19radix_merge_compareILb0ELb1EsNS0_19identity_decomposerEEEEE10hipError_tT0_T1_T2_jT3_P12ihipStream_tbPNSt15iterator_traitsISI_E10value_typeEPNSO_ISJ_E10value_typeEPSK_NS1_7vsmem_tEENKUlT_SI_SJ_SK_E_clIPsSD_S10_SD_EESH_SX_SI_SJ_SK_EUlSX_E0_NS1_11comp_targetILNS1_3genE0ELNS1_11target_archE4294967295ELNS1_3gpuE0ELNS1_3repE0EEENS1_38merge_mergepath_config_static_selectorELNS0_4arch9wavefront6targetE1EEEvSJ_, .Lfunc_end1575-_ZN7rocprim17ROCPRIM_400000_NS6detail17trampoline_kernelINS0_14default_configENS1_38merge_sort_block_merge_config_selectorIssEEZZNS1_27merge_sort_block_merge_implIS3_N6thrust23THRUST_200600_302600_NS6detail15normal_iteratorINS8_10device_ptrIsEEEESD_jNS1_19radix_merge_compareILb0ELb1EsNS0_19identity_decomposerEEEEE10hipError_tT0_T1_T2_jT3_P12ihipStream_tbPNSt15iterator_traitsISI_E10value_typeEPNSO_ISJ_E10value_typeEPSK_NS1_7vsmem_tEENKUlT_SI_SJ_SK_E_clIPsSD_S10_SD_EESH_SX_SI_SJ_SK_EUlSX_E0_NS1_11comp_targetILNS1_3genE0ELNS1_11target_archE4294967295ELNS1_3gpuE0ELNS1_3repE0EEENS1_38merge_mergepath_config_static_selectorELNS0_4arch9wavefront6targetE1EEEvSJ_
                                        ; -- End function
	.set _ZN7rocprim17ROCPRIM_400000_NS6detail17trampoline_kernelINS0_14default_configENS1_38merge_sort_block_merge_config_selectorIssEEZZNS1_27merge_sort_block_merge_implIS3_N6thrust23THRUST_200600_302600_NS6detail15normal_iteratorINS8_10device_ptrIsEEEESD_jNS1_19radix_merge_compareILb0ELb1EsNS0_19identity_decomposerEEEEE10hipError_tT0_T1_T2_jT3_P12ihipStream_tbPNSt15iterator_traitsISI_E10value_typeEPNSO_ISJ_E10value_typeEPSK_NS1_7vsmem_tEENKUlT_SI_SJ_SK_E_clIPsSD_S10_SD_EESH_SX_SI_SJ_SK_EUlSX_E0_NS1_11comp_targetILNS1_3genE0ELNS1_11target_archE4294967295ELNS1_3gpuE0ELNS1_3repE0EEENS1_38merge_mergepath_config_static_selectorELNS0_4arch9wavefront6targetE1EEEvSJ_.num_vgpr, 36
	.set _ZN7rocprim17ROCPRIM_400000_NS6detail17trampoline_kernelINS0_14default_configENS1_38merge_sort_block_merge_config_selectorIssEEZZNS1_27merge_sort_block_merge_implIS3_N6thrust23THRUST_200600_302600_NS6detail15normal_iteratorINS8_10device_ptrIsEEEESD_jNS1_19radix_merge_compareILb0ELb1EsNS0_19identity_decomposerEEEEE10hipError_tT0_T1_T2_jT3_P12ihipStream_tbPNSt15iterator_traitsISI_E10value_typeEPNSO_ISJ_E10value_typeEPSK_NS1_7vsmem_tEENKUlT_SI_SJ_SK_E_clIPsSD_S10_SD_EESH_SX_SI_SJ_SK_EUlSX_E0_NS1_11comp_targetILNS1_3genE0ELNS1_11target_archE4294967295ELNS1_3gpuE0ELNS1_3repE0EEENS1_38merge_mergepath_config_static_selectorELNS0_4arch9wavefront6targetE1EEEvSJ_.num_agpr, 0
	.set _ZN7rocprim17ROCPRIM_400000_NS6detail17trampoline_kernelINS0_14default_configENS1_38merge_sort_block_merge_config_selectorIssEEZZNS1_27merge_sort_block_merge_implIS3_N6thrust23THRUST_200600_302600_NS6detail15normal_iteratorINS8_10device_ptrIsEEEESD_jNS1_19radix_merge_compareILb0ELb1EsNS0_19identity_decomposerEEEEE10hipError_tT0_T1_T2_jT3_P12ihipStream_tbPNSt15iterator_traitsISI_E10value_typeEPNSO_ISJ_E10value_typeEPSK_NS1_7vsmem_tEENKUlT_SI_SJ_SK_E_clIPsSD_S10_SD_EESH_SX_SI_SJ_SK_EUlSX_E0_NS1_11comp_targetILNS1_3genE0ELNS1_11target_archE4294967295ELNS1_3gpuE0ELNS1_3repE0EEENS1_38merge_mergepath_config_static_selectorELNS0_4arch9wavefront6targetE1EEEvSJ_.numbered_sgpr, 32
	.set _ZN7rocprim17ROCPRIM_400000_NS6detail17trampoline_kernelINS0_14default_configENS1_38merge_sort_block_merge_config_selectorIssEEZZNS1_27merge_sort_block_merge_implIS3_N6thrust23THRUST_200600_302600_NS6detail15normal_iteratorINS8_10device_ptrIsEEEESD_jNS1_19radix_merge_compareILb0ELb1EsNS0_19identity_decomposerEEEEE10hipError_tT0_T1_T2_jT3_P12ihipStream_tbPNSt15iterator_traitsISI_E10value_typeEPNSO_ISJ_E10value_typeEPSK_NS1_7vsmem_tEENKUlT_SI_SJ_SK_E_clIPsSD_S10_SD_EESH_SX_SI_SJ_SK_EUlSX_E0_NS1_11comp_targetILNS1_3genE0ELNS1_11target_archE4294967295ELNS1_3gpuE0ELNS1_3repE0EEENS1_38merge_mergepath_config_static_selectorELNS0_4arch9wavefront6targetE1EEEvSJ_.num_named_barrier, 0
	.set _ZN7rocprim17ROCPRIM_400000_NS6detail17trampoline_kernelINS0_14default_configENS1_38merge_sort_block_merge_config_selectorIssEEZZNS1_27merge_sort_block_merge_implIS3_N6thrust23THRUST_200600_302600_NS6detail15normal_iteratorINS8_10device_ptrIsEEEESD_jNS1_19radix_merge_compareILb0ELb1EsNS0_19identity_decomposerEEEEE10hipError_tT0_T1_T2_jT3_P12ihipStream_tbPNSt15iterator_traitsISI_E10value_typeEPNSO_ISJ_E10value_typeEPSK_NS1_7vsmem_tEENKUlT_SI_SJ_SK_E_clIPsSD_S10_SD_EESH_SX_SI_SJ_SK_EUlSX_E0_NS1_11comp_targetILNS1_3genE0ELNS1_11target_archE4294967295ELNS1_3gpuE0ELNS1_3repE0EEENS1_38merge_mergepath_config_static_selectorELNS0_4arch9wavefront6targetE1EEEvSJ_.private_seg_size, 0
	.set _ZN7rocprim17ROCPRIM_400000_NS6detail17trampoline_kernelINS0_14default_configENS1_38merge_sort_block_merge_config_selectorIssEEZZNS1_27merge_sort_block_merge_implIS3_N6thrust23THRUST_200600_302600_NS6detail15normal_iteratorINS8_10device_ptrIsEEEESD_jNS1_19radix_merge_compareILb0ELb1EsNS0_19identity_decomposerEEEEE10hipError_tT0_T1_T2_jT3_P12ihipStream_tbPNSt15iterator_traitsISI_E10value_typeEPNSO_ISJ_E10value_typeEPSK_NS1_7vsmem_tEENKUlT_SI_SJ_SK_E_clIPsSD_S10_SD_EESH_SX_SI_SJ_SK_EUlSX_E0_NS1_11comp_targetILNS1_3genE0ELNS1_11target_archE4294967295ELNS1_3gpuE0ELNS1_3repE0EEENS1_38merge_mergepath_config_static_selectorELNS0_4arch9wavefront6targetE1EEEvSJ_.uses_vcc, 1
	.set _ZN7rocprim17ROCPRIM_400000_NS6detail17trampoline_kernelINS0_14default_configENS1_38merge_sort_block_merge_config_selectorIssEEZZNS1_27merge_sort_block_merge_implIS3_N6thrust23THRUST_200600_302600_NS6detail15normal_iteratorINS8_10device_ptrIsEEEESD_jNS1_19radix_merge_compareILb0ELb1EsNS0_19identity_decomposerEEEEE10hipError_tT0_T1_T2_jT3_P12ihipStream_tbPNSt15iterator_traitsISI_E10value_typeEPNSO_ISJ_E10value_typeEPSK_NS1_7vsmem_tEENKUlT_SI_SJ_SK_E_clIPsSD_S10_SD_EESH_SX_SI_SJ_SK_EUlSX_E0_NS1_11comp_targetILNS1_3genE0ELNS1_11target_archE4294967295ELNS1_3gpuE0ELNS1_3repE0EEENS1_38merge_mergepath_config_static_selectorELNS0_4arch9wavefront6targetE1EEEvSJ_.uses_flat_scratch, 0
	.set _ZN7rocprim17ROCPRIM_400000_NS6detail17trampoline_kernelINS0_14default_configENS1_38merge_sort_block_merge_config_selectorIssEEZZNS1_27merge_sort_block_merge_implIS3_N6thrust23THRUST_200600_302600_NS6detail15normal_iteratorINS8_10device_ptrIsEEEESD_jNS1_19radix_merge_compareILb0ELb1EsNS0_19identity_decomposerEEEEE10hipError_tT0_T1_T2_jT3_P12ihipStream_tbPNSt15iterator_traitsISI_E10value_typeEPNSO_ISJ_E10value_typeEPSK_NS1_7vsmem_tEENKUlT_SI_SJ_SK_E_clIPsSD_S10_SD_EESH_SX_SI_SJ_SK_EUlSX_E0_NS1_11comp_targetILNS1_3genE0ELNS1_11target_archE4294967295ELNS1_3gpuE0ELNS1_3repE0EEENS1_38merge_mergepath_config_static_selectorELNS0_4arch9wavefront6targetE1EEEvSJ_.has_dyn_sized_stack, 0
	.set _ZN7rocprim17ROCPRIM_400000_NS6detail17trampoline_kernelINS0_14default_configENS1_38merge_sort_block_merge_config_selectorIssEEZZNS1_27merge_sort_block_merge_implIS3_N6thrust23THRUST_200600_302600_NS6detail15normal_iteratorINS8_10device_ptrIsEEEESD_jNS1_19radix_merge_compareILb0ELb1EsNS0_19identity_decomposerEEEEE10hipError_tT0_T1_T2_jT3_P12ihipStream_tbPNSt15iterator_traitsISI_E10value_typeEPNSO_ISJ_E10value_typeEPSK_NS1_7vsmem_tEENKUlT_SI_SJ_SK_E_clIPsSD_S10_SD_EESH_SX_SI_SJ_SK_EUlSX_E0_NS1_11comp_targetILNS1_3genE0ELNS1_11target_archE4294967295ELNS1_3gpuE0ELNS1_3repE0EEENS1_38merge_mergepath_config_static_selectorELNS0_4arch9wavefront6targetE1EEEvSJ_.has_recursion, 0
	.set _ZN7rocprim17ROCPRIM_400000_NS6detail17trampoline_kernelINS0_14default_configENS1_38merge_sort_block_merge_config_selectorIssEEZZNS1_27merge_sort_block_merge_implIS3_N6thrust23THRUST_200600_302600_NS6detail15normal_iteratorINS8_10device_ptrIsEEEESD_jNS1_19radix_merge_compareILb0ELb1EsNS0_19identity_decomposerEEEEE10hipError_tT0_T1_T2_jT3_P12ihipStream_tbPNSt15iterator_traitsISI_E10value_typeEPNSO_ISJ_E10value_typeEPSK_NS1_7vsmem_tEENKUlT_SI_SJ_SK_E_clIPsSD_S10_SD_EESH_SX_SI_SJ_SK_EUlSX_E0_NS1_11comp_targetILNS1_3genE0ELNS1_11target_archE4294967295ELNS1_3gpuE0ELNS1_3repE0EEENS1_38merge_mergepath_config_static_selectorELNS0_4arch9wavefront6targetE1EEEvSJ_.has_indirect_call, 0
	.section	.AMDGPU.csdata,"",@progbits
; Kernel info:
; codeLenInByte = 5604
; TotalNumSgprs: 38
; NumVgprs: 36
; NumAgprs: 0
; TotalNumVgprs: 36
; ScratchSize: 0
; MemoryBound: 0
; FloatMode: 240
; IeeeMode: 1
; LDSByteSize: 2112 bytes/workgroup (compile time only)
; SGPRBlocks: 4
; VGPRBlocks: 4
; NumSGPRsForWavesPerEU: 38
; NumVGPRsForWavesPerEU: 36
; AccumOffset: 36
; Occupancy: 8
; WaveLimiterHint : 1
; COMPUTE_PGM_RSRC2:SCRATCH_EN: 0
; COMPUTE_PGM_RSRC2:USER_SGPR: 2
; COMPUTE_PGM_RSRC2:TRAP_HANDLER: 0
; COMPUTE_PGM_RSRC2:TGID_X_EN: 1
; COMPUTE_PGM_RSRC2:TGID_Y_EN: 1
; COMPUTE_PGM_RSRC2:TGID_Z_EN: 1
; COMPUTE_PGM_RSRC2:TIDIG_COMP_CNT: 0
; COMPUTE_PGM_RSRC3_GFX90A:ACCUM_OFFSET: 8
; COMPUTE_PGM_RSRC3_GFX90A:TG_SPLIT: 0
	.section	.text._ZN7rocprim17ROCPRIM_400000_NS6detail17trampoline_kernelINS0_14default_configENS1_38merge_sort_block_merge_config_selectorIssEEZZNS1_27merge_sort_block_merge_implIS3_N6thrust23THRUST_200600_302600_NS6detail15normal_iteratorINS8_10device_ptrIsEEEESD_jNS1_19radix_merge_compareILb0ELb1EsNS0_19identity_decomposerEEEEE10hipError_tT0_T1_T2_jT3_P12ihipStream_tbPNSt15iterator_traitsISI_E10value_typeEPNSO_ISJ_E10value_typeEPSK_NS1_7vsmem_tEENKUlT_SI_SJ_SK_E_clIPsSD_S10_SD_EESH_SX_SI_SJ_SK_EUlSX_E0_NS1_11comp_targetILNS1_3genE10ELNS1_11target_archE1201ELNS1_3gpuE5ELNS1_3repE0EEENS1_38merge_mergepath_config_static_selectorELNS0_4arch9wavefront6targetE1EEEvSJ_,"axG",@progbits,_ZN7rocprim17ROCPRIM_400000_NS6detail17trampoline_kernelINS0_14default_configENS1_38merge_sort_block_merge_config_selectorIssEEZZNS1_27merge_sort_block_merge_implIS3_N6thrust23THRUST_200600_302600_NS6detail15normal_iteratorINS8_10device_ptrIsEEEESD_jNS1_19radix_merge_compareILb0ELb1EsNS0_19identity_decomposerEEEEE10hipError_tT0_T1_T2_jT3_P12ihipStream_tbPNSt15iterator_traitsISI_E10value_typeEPNSO_ISJ_E10value_typeEPSK_NS1_7vsmem_tEENKUlT_SI_SJ_SK_E_clIPsSD_S10_SD_EESH_SX_SI_SJ_SK_EUlSX_E0_NS1_11comp_targetILNS1_3genE10ELNS1_11target_archE1201ELNS1_3gpuE5ELNS1_3repE0EEENS1_38merge_mergepath_config_static_selectorELNS0_4arch9wavefront6targetE1EEEvSJ_,comdat
	.protected	_ZN7rocprim17ROCPRIM_400000_NS6detail17trampoline_kernelINS0_14default_configENS1_38merge_sort_block_merge_config_selectorIssEEZZNS1_27merge_sort_block_merge_implIS3_N6thrust23THRUST_200600_302600_NS6detail15normal_iteratorINS8_10device_ptrIsEEEESD_jNS1_19radix_merge_compareILb0ELb1EsNS0_19identity_decomposerEEEEE10hipError_tT0_T1_T2_jT3_P12ihipStream_tbPNSt15iterator_traitsISI_E10value_typeEPNSO_ISJ_E10value_typeEPSK_NS1_7vsmem_tEENKUlT_SI_SJ_SK_E_clIPsSD_S10_SD_EESH_SX_SI_SJ_SK_EUlSX_E0_NS1_11comp_targetILNS1_3genE10ELNS1_11target_archE1201ELNS1_3gpuE5ELNS1_3repE0EEENS1_38merge_mergepath_config_static_selectorELNS0_4arch9wavefront6targetE1EEEvSJ_ ; -- Begin function _ZN7rocprim17ROCPRIM_400000_NS6detail17trampoline_kernelINS0_14default_configENS1_38merge_sort_block_merge_config_selectorIssEEZZNS1_27merge_sort_block_merge_implIS3_N6thrust23THRUST_200600_302600_NS6detail15normal_iteratorINS8_10device_ptrIsEEEESD_jNS1_19radix_merge_compareILb0ELb1EsNS0_19identity_decomposerEEEEE10hipError_tT0_T1_T2_jT3_P12ihipStream_tbPNSt15iterator_traitsISI_E10value_typeEPNSO_ISJ_E10value_typeEPSK_NS1_7vsmem_tEENKUlT_SI_SJ_SK_E_clIPsSD_S10_SD_EESH_SX_SI_SJ_SK_EUlSX_E0_NS1_11comp_targetILNS1_3genE10ELNS1_11target_archE1201ELNS1_3gpuE5ELNS1_3repE0EEENS1_38merge_mergepath_config_static_selectorELNS0_4arch9wavefront6targetE1EEEvSJ_
	.globl	_ZN7rocprim17ROCPRIM_400000_NS6detail17trampoline_kernelINS0_14default_configENS1_38merge_sort_block_merge_config_selectorIssEEZZNS1_27merge_sort_block_merge_implIS3_N6thrust23THRUST_200600_302600_NS6detail15normal_iteratorINS8_10device_ptrIsEEEESD_jNS1_19radix_merge_compareILb0ELb1EsNS0_19identity_decomposerEEEEE10hipError_tT0_T1_T2_jT3_P12ihipStream_tbPNSt15iterator_traitsISI_E10value_typeEPNSO_ISJ_E10value_typeEPSK_NS1_7vsmem_tEENKUlT_SI_SJ_SK_E_clIPsSD_S10_SD_EESH_SX_SI_SJ_SK_EUlSX_E0_NS1_11comp_targetILNS1_3genE10ELNS1_11target_archE1201ELNS1_3gpuE5ELNS1_3repE0EEENS1_38merge_mergepath_config_static_selectorELNS0_4arch9wavefront6targetE1EEEvSJ_
	.p2align	8
	.type	_ZN7rocprim17ROCPRIM_400000_NS6detail17trampoline_kernelINS0_14default_configENS1_38merge_sort_block_merge_config_selectorIssEEZZNS1_27merge_sort_block_merge_implIS3_N6thrust23THRUST_200600_302600_NS6detail15normal_iteratorINS8_10device_ptrIsEEEESD_jNS1_19radix_merge_compareILb0ELb1EsNS0_19identity_decomposerEEEEE10hipError_tT0_T1_T2_jT3_P12ihipStream_tbPNSt15iterator_traitsISI_E10value_typeEPNSO_ISJ_E10value_typeEPSK_NS1_7vsmem_tEENKUlT_SI_SJ_SK_E_clIPsSD_S10_SD_EESH_SX_SI_SJ_SK_EUlSX_E0_NS1_11comp_targetILNS1_3genE10ELNS1_11target_archE1201ELNS1_3gpuE5ELNS1_3repE0EEENS1_38merge_mergepath_config_static_selectorELNS0_4arch9wavefront6targetE1EEEvSJ_,@function
_ZN7rocprim17ROCPRIM_400000_NS6detail17trampoline_kernelINS0_14default_configENS1_38merge_sort_block_merge_config_selectorIssEEZZNS1_27merge_sort_block_merge_implIS3_N6thrust23THRUST_200600_302600_NS6detail15normal_iteratorINS8_10device_ptrIsEEEESD_jNS1_19radix_merge_compareILb0ELb1EsNS0_19identity_decomposerEEEEE10hipError_tT0_T1_T2_jT3_P12ihipStream_tbPNSt15iterator_traitsISI_E10value_typeEPNSO_ISJ_E10value_typeEPSK_NS1_7vsmem_tEENKUlT_SI_SJ_SK_E_clIPsSD_S10_SD_EESH_SX_SI_SJ_SK_EUlSX_E0_NS1_11comp_targetILNS1_3genE10ELNS1_11target_archE1201ELNS1_3gpuE5ELNS1_3repE0EEENS1_38merge_mergepath_config_static_selectorELNS0_4arch9wavefront6targetE1EEEvSJ_: ; @_ZN7rocprim17ROCPRIM_400000_NS6detail17trampoline_kernelINS0_14default_configENS1_38merge_sort_block_merge_config_selectorIssEEZZNS1_27merge_sort_block_merge_implIS3_N6thrust23THRUST_200600_302600_NS6detail15normal_iteratorINS8_10device_ptrIsEEEESD_jNS1_19radix_merge_compareILb0ELb1EsNS0_19identity_decomposerEEEEE10hipError_tT0_T1_T2_jT3_P12ihipStream_tbPNSt15iterator_traitsISI_E10value_typeEPNSO_ISJ_E10value_typeEPSK_NS1_7vsmem_tEENKUlT_SI_SJ_SK_E_clIPsSD_S10_SD_EESH_SX_SI_SJ_SK_EUlSX_E0_NS1_11comp_targetILNS1_3genE10ELNS1_11target_archE1201ELNS1_3gpuE5ELNS1_3repE0EEENS1_38merge_mergepath_config_static_selectorELNS0_4arch9wavefront6targetE1EEEvSJ_
; %bb.0:
	.section	.rodata,"a",@progbits
	.p2align	6, 0x0
	.amdhsa_kernel _ZN7rocprim17ROCPRIM_400000_NS6detail17trampoline_kernelINS0_14default_configENS1_38merge_sort_block_merge_config_selectorIssEEZZNS1_27merge_sort_block_merge_implIS3_N6thrust23THRUST_200600_302600_NS6detail15normal_iteratorINS8_10device_ptrIsEEEESD_jNS1_19radix_merge_compareILb0ELb1EsNS0_19identity_decomposerEEEEE10hipError_tT0_T1_T2_jT3_P12ihipStream_tbPNSt15iterator_traitsISI_E10value_typeEPNSO_ISJ_E10value_typeEPSK_NS1_7vsmem_tEENKUlT_SI_SJ_SK_E_clIPsSD_S10_SD_EESH_SX_SI_SJ_SK_EUlSX_E0_NS1_11comp_targetILNS1_3genE10ELNS1_11target_archE1201ELNS1_3gpuE5ELNS1_3repE0EEENS1_38merge_mergepath_config_static_selectorELNS0_4arch9wavefront6targetE1EEEvSJ_
		.amdhsa_group_segment_fixed_size 0
		.amdhsa_private_segment_fixed_size 0
		.amdhsa_kernarg_size 64
		.amdhsa_user_sgpr_count 2
		.amdhsa_user_sgpr_dispatch_ptr 0
		.amdhsa_user_sgpr_queue_ptr 0
		.amdhsa_user_sgpr_kernarg_segment_ptr 1
		.amdhsa_user_sgpr_dispatch_id 0
		.amdhsa_user_sgpr_kernarg_preload_length 0
		.amdhsa_user_sgpr_kernarg_preload_offset 0
		.amdhsa_user_sgpr_private_segment_size 0
		.amdhsa_uses_dynamic_stack 0
		.amdhsa_enable_private_segment 0
		.amdhsa_system_sgpr_workgroup_id_x 1
		.amdhsa_system_sgpr_workgroup_id_y 0
		.amdhsa_system_sgpr_workgroup_id_z 0
		.amdhsa_system_sgpr_workgroup_info 0
		.amdhsa_system_vgpr_workitem_id 0
		.amdhsa_next_free_vgpr 1
		.amdhsa_next_free_sgpr 0
		.amdhsa_accum_offset 4
		.amdhsa_reserve_vcc 0
		.amdhsa_float_round_mode_32 0
		.amdhsa_float_round_mode_16_64 0
		.amdhsa_float_denorm_mode_32 3
		.amdhsa_float_denorm_mode_16_64 3
		.amdhsa_dx10_clamp 1
		.amdhsa_ieee_mode 1
		.amdhsa_fp16_overflow 0
		.amdhsa_tg_split 0
		.amdhsa_exception_fp_ieee_invalid_op 0
		.amdhsa_exception_fp_denorm_src 0
		.amdhsa_exception_fp_ieee_div_zero 0
		.amdhsa_exception_fp_ieee_overflow 0
		.amdhsa_exception_fp_ieee_underflow 0
		.amdhsa_exception_fp_ieee_inexact 0
		.amdhsa_exception_int_div_zero 0
	.end_amdhsa_kernel
	.section	.text._ZN7rocprim17ROCPRIM_400000_NS6detail17trampoline_kernelINS0_14default_configENS1_38merge_sort_block_merge_config_selectorIssEEZZNS1_27merge_sort_block_merge_implIS3_N6thrust23THRUST_200600_302600_NS6detail15normal_iteratorINS8_10device_ptrIsEEEESD_jNS1_19radix_merge_compareILb0ELb1EsNS0_19identity_decomposerEEEEE10hipError_tT0_T1_T2_jT3_P12ihipStream_tbPNSt15iterator_traitsISI_E10value_typeEPNSO_ISJ_E10value_typeEPSK_NS1_7vsmem_tEENKUlT_SI_SJ_SK_E_clIPsSD_S10_SD_EESH_SX_SI_SJ_SK_EUlSX_E0_NS1_11comp_targetILNS1_3genE10ELNS1_11target_archE1201ELNS1_3gpuE5ELNS1_3repE0EEENS1_38merge_mergepath_config_static_selectorELNS0_4arch9wavefront6targetE1EEEvSJ_,"axG",@progbits,_ZN7rocprim17ROCPRIM_400000_NS6detail17trampoline_kernelINS0_14default_configENS1_38merge_sort_block_merge_config_selectorIssEEZZNS1_27merge_sort_block_merge_implIS3_N6thrust23THRUST_200600_302600_NS6detail15normal_iteratorINS8_10device_ptrIsEEEESD_jNS1_19radix_merge_compareILb0ELb1EsNS0_19identity_decomposerEEEEE10hipError_tT0_T1_T2_jT3_P12ihipStream_tbPNSt15iterator_traitsISI_E10value_typeEPNSO_ISJ_E10value_typeEPSK_NS1_7vsmem_tEENKUlT_SI_SJ_SK_E_clIPsSD_S10_SD_EESH_SX_SI_SJ_SK_EUlSX_E0_NS1_11comp_targetILNS1_3genE10ELNS1_11target_archE1201ELNS1_3gpuE5ELNS1_3repE0EEENS1_38merge_mergepath_config_static_selectorELNS0_4arch9wavefront6targetE1EEEvSJ_,comdat
.Lfunc_end1576:
	.size	_ZN7rocprim17ROCPRIM_400000_NS6detail17trampoline_kernelINS0_14default_configENS1_38merge_sort_block_merge_config_selectorIssEEZZNS1_27merge_sort_block_merge_implIS3_N6thrust23THRUST_200600_302600_NS6detail15normal_iteratorINS8_10device_ptrIsEEEESD_jNS1_19radix_merge_compareILb0ELb1EsNS0_19identity_decomposerEEEEE10hipError_tT0_T1_T2_jT3_P12ihipStream_tbPNSt15iterator_traitsISI_E10value_typeEPNSO_ISJ_E10value_typeEPSK_NS1_7vsmem_tEENKUlT_SI_SJ_SK_E_clIPsSD_S10_SD_EESH_SX_SI_SJ_SK_EUlSX_E0_NS1_11comp_targetILNS1_3genE10ELNS1_11target_archE1201ELNS1_3gpuE5ELNS1_3repE0EEENS1_38merge_mergepath_config_static_selectorELNS0_4arch9wavefront6targetE1EEEvSJ_, .Lfunc_end1576-_ZN7rocprim17ROCPRIM_400000_NS6detail17trampoline_kernelINS0_14default_configENS1_38merge_sort_block_merge_config_selectorIssEEZZNS1_27merge_sort_block_merge_implIS3_N6thrust23THRUST_200600_302600_NS6detail15normal_iteratorINS8_10device_ptrIsEEEESD_jNS1_19radix_merge_compareILb0ELb1EsNS0_19identity_decomposerEEEEE10hipError_tT0_T1_T2_jT3_P12ihipStream_tbPNSt15iterator_traitsISI_E10value_typeEPNSO_ISJ_E10value_typeEPSK_NS1_7vsmem_tEENKUlT_SI_SJ_SK_E_clIPsSD_S10_SD_EESH_SX_SI_SJ_SK_EUlSX_E0_NS1_11comp_targetILNS1_3genE10ELNS1_11target_archE1201ELNS1_3gpuE5ELNS1_3repE0EEENS1_38merge_mergepath_config_static_selectorELNS0_4arch9wavefront6targetE1EEEvSJ_
                                        ; -- End function
	.set _ZN7rocprim17ROCPRIM_400000_NS6detail17trampoline_kernelINS0_14default_configENS1_38merge_sort_block_merge_config_selectorIssEEZZNS1_27merge_sort_block_merge_implIS3_N6thrust23THRUST_200600_302600_NS6detail15normal_iteratorINS8_10device_ptrIsEEEESD_jNS1_19radix_merge_compareILb0ELb1EsNS0_19identity_decomposerEEEEE10hipError_tT0_T1_T2_jT3_P12ihipStream_tbPNSt15iterator_traitsISI_E10value_typeEPNSO_ISJ_E10value_typeEPSK_NS1_7vsmem_tEENKUlT_SI_SJ_SK_E_clIPsSD_S10_SD_EESH_SX_SI_SJ_SK_EUlSX_E0_NS1_11comp_targetILNS1_3genE10ELNS1_11target_archE1201ELNS1_3gpuE5ELNS1_3repE0EEENS1_38merge_mergepath_config_static_selectorELNS0_4arch9wavefront6targetE1EEEvSJ_.num_vgpr, 0
	.set _ZN7rocprim17ROCPRIM_400000_NS6detail17trampoline_kernelINS0_14default_configENS1_38merge_sort_block_merge_config_selectorIssEEZZNS1_27merge_sort_block_merge_implIS3_N6thrust23THRUST_200600_302600_NS6detail15normal_iteratorINS8_10device_ptrIsEEEESD_jNS1_19radix_merge_compareILb0ELb1EsNS0_19identity_decomposerEEEEE10hipError_tT0_T1_T2_jT3_P12ihipStream_tbPNSt15iterator_traitsISI_E10value_typeEPNSO_ISJ_E10value_typeEPSK_NS1_7vsmem_tEENKUlT_SI_SJ_SK_E_clIPsSD_S10_SD_EESH_SX_SI_SJ_SK_EUlSX_E0_NS1_11comp_targetILNS1_3genE10ELNS1_11target_archE1201ELNS1_3gpuE5ELNS1_3repE0EEENS1_38merge_mergepath_config_static_selectorELNS0_4arch9wavefront6targetE1EEEvSJ_.num_agpr, 0
	.set _ZN7rocprim17ROCPRIM_400000_NS6detail17trampoline_kernelINS0_14default_configENS1_38merge_sort_block_merge_config_selectorIssEEZZNS1_27merge_sort_block_merge_implIS3_N6thrust23THRUST_200600_302600_NS6detail15normal_iteratorINS8_10device_ptrIsEEEESD_jNS1_19radix_merge_compareILb0ELb1EsNS0_19identity_decomposerEEEEE10hipError_tT0_T1_T2_jT3_P12ihipStream_tbPNSt15iterator_traitsISI_E10value_typeEPNSO_ISJ_E10value_typeEPSK_NS1_7vsmem_tEENKUlT_SI_SJ_SK_E_clIPsSD_S10_SD_EESH_SX_SI_SJ_SK_EUlSX_E0_NS1_11comp_targetILNS1_3genE10ELNS1_11target_archE1201ELNS1_3gpuE5ELNS1_3repE0EEENS1_38merge_mergepath_config_static_selectorELNS0_4arch9wavefront6targetE1EEEvSJ_.numbered_sgpr, 0
	.set _ZN7rocprim17ROCPRIM_400000_NS6detail17trampoline_kernelINS0_14default_configENS1_38merge_sort_block_merge_config_selectorIssEEZZNS1_27merge_sort_block_merge_implIS3_N6thrust23THRUST_200600_302600_NS6detail15normal_iteratorINS8_10device_ptrIsEEEESD_jNS1_19radix_merge_compareILb0ELb1EsNS0_19identity_decomposerEEEEE10hipError_tT0_T1_T2_jT3_P12ihipStream_tbPNSt15iterator_traitsISI_E10value_typeEPNSO_ISJ_E10value_typeEPSK_NS1_7vsmem_tEENKUlT_SI_SJ_SK_E_clIPsSD_S10_SD_EESH_SX_SI_SJ_SK_EUlSX_E0_NS1_11comp_targetILNS1_3genE10ELNS1_11target_archE1201ELNS1_3gpuE5ELNS1_3repE0EEENS1_38merge_mergepath_config_static_selectorELNS0_4arch9wavefront6targetE1EEEvSJ_.num_named_barrier, 0
	.set _ZN7rocprim17ROCPRIM_400000_NS6detail17trampoline_kernelINS0_14default_configENS1_38merge_sort_block_merge_config_selectorIssEEZZNS1_27merge_sort_block_merge_implIS3_N6thrust23THRUST_200600_302600_NS6detail15normal_iteratorINS8_10device_ptrIsEEEESD_jNS1_19radix_merge_compareILb0ELb1EsNS0_19identity_decomposerEEEEE10hipError_tT0_T1_T2_jT3_P12ihipStream_tbPNSt15iterator_traitsISI_E10value_typeEPNSO_ISJ_E10value_typeEPSK_NS1_7vsmem_tEENKUlT_SI_SJ_SK_E_clIPsSD_S10_SD_EESH_SX_SI_SJ_SK_EUlSX_E0_NS1_11comp_targetILNS1_3genE10ELNS1_11target_archE1201ELNS1_3gpuE5ELNS1_3repE0EEENS1_38merge_mergepath_config_static_selectorELNS0_4arch9wavefront6targetE1EEEvSJ_.private_seg_size, 0
	.set _ZN7rocprim17ROCPRIM_400000_NS6detail17trampoline_kernelINS0_14default_configENS1_38merge_sort_block_merge_config_selectorIssEEZZNS1_27merge_sort_block_merge_implIS3_N6thrust23THRUST_200600_302600_NS6detail15normal_iteratorINS8_10device_ptrIsEEEESD_jNS1_19radix_merge_compareILb0ELb1EsNS0_19identity_decomposerEEEEE10hipError_tT0_T1_T2_jT3_P12ihipStream_tbPNSt15iterator_traitsISI_E10value_typeEPNSO_ISJ_E10value_typeEPSK_NS1_7vsmem_tEENKUlT_SI_SJ_SK_E_clIPsSD_S10_SD_EESH_SX_SI_SJ_SK_EUlSX_E0_NS1_11comp_targetILNS1_3genE10ELNS1_11target_archE1201ELNS1_3gpuE5ELNS1_3repE0EEENS1_38merge_mergepath_config_static_selectorELNS0_4arch9wavefront6targetE1EEEvSJ_.uses_vcc, 0
	.set _ZN7rocprim17ROCPRIM_400000_NS6detail17trampoline_kernelINS0_14default_configENS1_38merge_sort_block_merge_config_selectorIssEEZZNS1_27merge_sort_block_merge_implIS3_N6thrust23THRUST_200600_302600_NS6detail15normal_iteratorINS8_10device_ptrIsEEEESD_jNS1_19radix_merge_compareILb0ELb1EsNS0_19identity_decomposerEEEEE10hipError_tT0_T1_T2_jT3_P12ihipStream_tbPNSt15iterator_traitsISI_E10value_typeEPNSO_ISJ_E10value_typeEPSK_NS1_7vsmem_tEENKUlT_SI_SJ_SK_E_clIPsSD_S10_SD_EESH_SX_SI_SJ_SK_EUlSX_E0_NS1_11comp_targetILNS1_3genE10ELNS1_11target_archE1201ELNS1_3gpuE5ELNS1_3repE0EEENS1_38merge_mergepath_config_static_selectorELNS0_4arch9wavefront6targetE1EEEvSJ_.uses_flat_scratch, 0
	.set _ZN7rocprim17ROCPRIM_400000_NS6detail17trampoline_kernelINS0_14default_configENS1_38merge_sort_block_merge_config_selectorIssEEZZNS1_27merge_sort_block_merge_implIS3_N6thrust23THRUST_200600_302600_NS6detail15normal_iteratorINS8_10device_ptrIsEEEESD_jNS1_19radix_merge_compareILb0ELb1EsNS0_19identity_decomposerEEEEE10hipError_tT0_T1_T2_jT3_P12ihipStream_tbPNSt15iterator_traitsISI_E10value_typeEPNSO_ISJ_E10value_typeEPSK_NS1_7vsmem_tEENKUlT_SI_SJ_SK_E_clIPsSD_S10_SD_EESH_SX_SI_SJ_SK_EUlSX_E0_NS1_11comp_targetILNS1_3genE10ELNS1_11target_archE1201ELNS1_3gpuE5ELNS1_3repE0EEENS1_38merge_mergepath_config_static_selectorELNS0_4arch9wavefront6targetE1EEEvSJ_.has_dyn_sized_stack, 0
	.set _ZN7rocprim17ROCPRIM_400000_NS6detail17trampoline_kernelINS0_14default_configENS1_38merge_sort_block_merge_config_selectorIssEEZZNS1_27merge_sort_block_merge_implIS3_N6thrust23THRUST_200600_302600_NS6detail15normal_iteratorINS8_10device_ptrIsEEEESD_jNS1_19radix_merge_compareILb0ELb1EsNS0_19identity_decomposerEEEEE10hipError_tT0_T1_T2_jT3_P12ihipStream_tbPNSt15iterator_traitsISI_E10value_typeEPNSO_ISJ_E10value_typeEPSK_NS1_7vsmem_tEENKUlT_SI_SJ_SK_E_clIPsSD_S10_SD_EESH_SX_SI_SJ_SK_EUlSX_E0_NS1_11comp_targetILNS1_3genE10ELNS1_11target_archE1201ELNS1_3gpuE5ELNS1_3repE0EEENS1_38merge_mergepath_config_static_selectorELNS0_4arch9wavefront6targetE1EEEvSJ_.has_recursion, 0
	.set _ZN7rocprim17ROCPRIM_400000_NS6detail17trampoline_kernelINS0_14default_configENS1_38merge_sort_block_merge_config_selectorIssEEZZNS1_27merge_sort_block_merge_implIS3_N6thrust23THRUST_200600_302600_NS6detail15normal_iteratorINS8_10device_ptrIsEEEESD_jNS1_19radix_merge_compareILb0ELb1EsNS0_19identity_decomposerEEEEE10hipError_tT0_T1_T2_jT3_P12ihipStream_tbPNSt15iterator_traitsISI_E10value_typeEPNSO_ISJ_E10value_typeEPSK_NS1_7vsmem_tEENKUlT_SI_SJ_SK_E_clIPsSD_S10_SD_EESH_SX_SI_SJ_SK_EUlSX_E0_NS1_11comp_targetILNS1_3genE10ELNS1_11target_archE1201ELNS1_3gpuE5ELNS1_3repE0EEENS1_38merge_mergepath_config_static_selectorELNS0_4arch9wavefront6targetE1EEEvSJ_.has_indirect_call, 0
	.section	.AMDGPU.csdata,"",@progbits
; Kernel info:
; codeLenInByte = 0
; TotalNumSgprs: 6
; NumVgprs: 0
; NumAgprs: 0
; TotalNumVgprs: 0
; ScratchSize: 0
; MemoryBound: 0
; FloatMode: 240
; IeeeMode: 1
; LDSByteSize: 0 bytes/workgroup (compile time only)
; SGPRBlocks: 0
; VGPRBlocks: 0
; NumSGPRsForWavesPerEU: 6
; NumVGPRsForWavesPerEU: 1
; AccumOffset: 4
; Occupancy: 8
; WaveLimiterHint : 0
; COMPUTE_PGM_RSRC2:SCRATCH_EN: 0
; COMPUTE_PGM_RSRC2:USER_SGPR: 2
; COMPUTE_PGM_RSRC2:TRAP_HANDLER: 0
; COMPUTE_PGM_RSRC2:TGID_X_EN: 1
; COMPUTE_PGM_RSRC2:TGID_Y_EN: 0
; COMPUTE_PGM_RSRC2:TGID_Z_EN: 0
; COMPUTE_PGM_RSRC2:TIDIG_COMP_CNT: 0
; COMPUTE_PGM_RSRC3_GFX90A:ACCUM_OFFSET: 0
; COMPUTE_PGM_RSRC3_GFX90A:TG_SPLIT: 0
	.section	.text._ZN7rocprim17ROCPRIM_400000_NS6detail17trampoline_kernelINS0_14default_configENS1_38merge_sort_block_merge_config_selectorIssEEZZNS1_27merge_sort_block_merge_implIS3_N6thrust23THRUST_200600_302600_NS6detail15normal_iteratorINS8_10device_ptrIsEEEESD_jNS1_19radix_merge_compareILb0ELb1EsNS0_19identity_decomposerEEEEE10hipError_tT0_T1_T2_jT3_P12ihipStream_tbPNSt15iterator_traitsISI_E10value_typeEPNSO_ISJ_E10value_typeEPSK_NS1_7vsmem_tEENKUlT_SI_SJ_SK_E_clIPsSD_S10_SD_EESH_SX_SI_SJ_SK_EUlSX_E0_NS1_11comp_targetILNS1_3genE5ELNS1_11target_archE942ELNS1_3gpuE9ELNS1_3repE0EEENS1_38merge_mergepath_config_static_selectorELNS0_4arch9wavefront6targetE1EEEvSJ_,"axG",@progbits,_ZN7rocprim17ROCPRIM_400000_NS6detail17trampoline_kernelINS0_14default_configENS1_38merge_sort_block_merge_config_selectorIssEEZZNS1_27merge_sort_block_merge_implIS3_N6thrust23THRUST_200600_302600_NS6detail15normal_iteratorINS8_10device_ptrIsEEEESD_jNS1_19radix_merge_compareILb0ELb1EsNS0_19identity_decomposerEEEEE10hipError_tT0_T1_T2_jT3_P12ihipStream_tbPNSt15iterator_traitsISI_E10value_typeEPNSO_ISJ_E10value_typeEPSK_NS1_7vsmem_tEENKUlT_SI_SJ_SK_E_clIPsSD_S10_SD_EESH_SX_SI_SJ_SK_EUlSX_E0_NS1_11comp_targetILNS1_3genE5ELNS1_11target_archE942ELNS1_3gpuE9ELNS1_3repE0EEENS1_38merge_mergepath_config_static_selectorELNS0_4arch9wavefront6targetE1EEEvSJ_,comdat
	.protected	_ZN7rocprim17ROCPRIM_400000_NS6detail17trampoline_kernelINS0_14default_configENS1_38merge_sort_block_merge_config_selectorIssEEZZNS1_27merge_sort_block_merge_implIS3_N6thrust23THRUST_200600_302600_NS6detail15normal_iteratorINS8_10device_ptrIsEEEESD_jNS1_19radix_merge_compareILb0ELb1EsNS0_19identity_decomposerEEEEE10hipError_tT0_T1_T2_jT3_P12ihipStream_tbPNSt15iterator_traitsISI_E10value_typeEPNSO_ISJ_E10value_typeEPSK_NS1_7vsmem_tEENKUlT_SI_SJ_SK_E_clIPsSD_S10_SD_EESH_SX_SI_SJ_SK_EUlSX_E0_NS1_11comp_targetILNS1_3genE5ELNS1_11target_archE942ELNS1_3gpuE9ELNS1_3repE0EEENS1_38merge_mergepath_config_static_selectorELNS0_4arch9wavefront6targetE1EEEvSJ_ ; -- Begin function _ZN7rocprim17ROCPRIM_400000_NS6detail17trampoline_kernelINS0_14default_configENS1_38merge_sort_block_merge_config_selectorIssEEZZNS1_27merge_sort_block_merge_implIS3_N6thrust23THRUST_200600_302600_NS6detail15normal_iteratorINS8_10device_ptrIsEEEESD_jNS1_19radix_merge_compareILb0ELb1EsNS0_19identity_decomposerEEEEE10hipError_tT0_T1_T2_jT3_P12ihipStream_tbPNSt15iterator_traitsISI_E10value_typeEPNSO_ISJ_E10value_typeEPSK_NS1_7vsmem_tEENKUlT_SI_SJ_SK_E_clIPsSD_S10_SD_EESH_SX_SI_SJ_SK_EUlSX_E0_NS1_11comp_targetILNS1_3genE5ELNS1_11target_archE942ELNS1_3gpuE9ELNS1_3repE0EEENS1_38merge_mergepath_config_static_selectorELNS0_4arch9wavefront6targetE1EEEvSJ_
	.globl	_ZN7rocprim17ROCPRIM_400000_NS6detail17trampoline_kernelINS0_14default_configENS1_38merge_sort_block_merge_config_selectorIssEEZZNS1_27merge_sort_block_merge_implIS3_N6thrust23THRUST_200600_302600_NS6detail15normal_iteratorINS8_10device_ptrIsEEEESD_jNS1_19radix_merge_compareILb0ELb1EsNS0_19identity_decomposerEEEEE10hipError_tT0_T1_T2_jT3_P12ihipStream_tbPNSt15iterator_traitsISI_E10value_typeEPNSO_ISJ_E10value_typeEPSK_NS1_7vsmem_tEENKUlT_SI_SJ_SK_E_clIPsSD_S10_SD_EESH_SX_SI_SJ_SK_EUlSX_E0_NS1_11comp_targetILNS1_3genE5ELNS1_11target_archE942ELNS1_3gpuE9ELNS1_3repE0EEENS1_38merge_mergepath_config_static_selectorELNS0_4arch9wavefront6targetE1EEEvSJ_
	.p2align	8
	.type	_ZN7rocprim17ROCPRIM_400000_NS6detail17trampoline_kernelINS0_14default_configENS1_38merge_sort_block_merge_config_selectorIssEEZZNS1_27merge_sort_block_merge_implIS3_N6thrust23THRUST_200600_302600_NS6detail15normal_iteratorINS8_10device_ptrIsEEEESD_jNS1_19radix_merge_compareILb0ELb1EsNS0_19identity_decomposerEEEEE10hipError_tT0_T1_T2_jT3_P12ihipStream_tbPNSt15iterator_traitsISI_E10value_typeEPNSO_ISJ_E10value_typeEPSK_NS1_7vsmem_tEENKUlT_SI_SJ_SK_E_clIPsSD_S10_SD_EESH_SX_SI_SJ_SK_EUlSX_E0_NS1_11comp_targetILNS1_3genE5ELNS1_11target_archE942ELNS1_3gpuE9ELNS1_3repE0EEENS1_38merge_mergepath_config_static_selectorELNS0_4arch9wavefront6targetE1EEEvSJ_,@function
_ZN7rocprim17ROCPRIM_400000_NS6detail17trampoline_kernelINS0_14default_configENS1_38merge_sort_block_merge_config_selectorIssEEZZNS1_27merge_sort_block_merge_implIS3_N6thrust23THRUST_200600_302600_NS6detail15normal_iteratorINS8_10device_ptrIsEEEESD_jNS1_19radix_merge_compareILb0ELb1EsNS0_19identity_decomposerEEEEE10hipError_tT0_T1_T2_jT3_P12ihipStream_tbPNSt15iterator_traitsISI_E10value_typeEPNSO_ISJ_E10value_typeEPSK_NS1_7vsmem_tEENKUlT_SI_SJ_SK_E_clIPsSD_S10_SD_EESH_SX_SI_SJ_SK_EUlSX_E0_NS1_11comp_targetILNS1_3genE5ELNS1_11target_archE942ELNS1_3gpuE9ELNS1_3repE0EEENS1_38merge_mergepath_config_static_selectorELNS0_4arch9wavefront6targetE1EEEvSJ_: ; @_ZN7rocprim17ROCPRIM_400000_NS6detail17trampoline_kernelINS0_14default_configENS1_38merge_sort_block_merge_config_selectorIssEEZZNS1_27merge_sort_block_merge_implIS3_N6thrust23THRUST_200600_302600_NS6detail15normal_iteratorINS8_10device_ptrIsEEEESD_jNS1_19radix_merge_compareILb0ELb1EsNS0_19identity_decomposerEEEEE10hipError_tT0_T1_T2_jT3_P12ihipStream_tbPNSt15iterator_traitsISI_E10value_typeEPNSO_ISJ_E10value_typeEPSK_NS1_7vsmem_tEENKUlT_SI_SJ_SK_E_clIPsSD_S10_SD_EESH_SX_SI_SJ_SK_EUlSX_E0_NS1_11comp_targetILNS1_3genE5ELNS1_11target_archE942ELNS1_3gpuE9ELNS1_3repE0EEENS1_38merge_mergepath_config_static_selectorELNS0_4arch9wavefront6targetE1EEEvSJ_
; %bb.0:
	.section	.rodata,"a",@progbits
	.p2align	6, 0x0
	.amdhsa_kernel _ZN7rocprim17ROCPRIM_400000_NS6detail17trampoline_kernelINS0_14default_configENS1_38merge_sort_block_merge_config_selectorIssEEZZNS1_27merge_sort_block_merge_implIS3_N6thrust23THRUST_200600_302600_NS6detail15normal_iteratorINS8_10device_ptrIsEEEESD_jNS1_19radix_merge_compareILb0ELb1EsNS0_19identity_decomposerEEEEE10hipError_tT0_T1_T2_jT3_P12ihipStream_tbPNSt15iterator_traitsISI_E10value_typeEPNSO_ISJ_E10value_typeEPSK_NS1_7vsmem_tEENKUlT_SI_SJ_SK_E_clIPsSD_S10_SD_EESH_SX_SI_SJ_SK_EUlSX_E0_NS1_11comp_targetILNS1_3genE5ELNS1_11target_archE942ELNS1_3gpuE9ELNS1_3repE0EEENS1_38merge_mergepath_config_static_selectorELNS0_4arch9wavefront6targetE1EEEvSJ_
		.amdhsa_group_segment_fixed_size 0
		.amdhsa_private_segment_fixed_size 0
		.amdhsa_kernarg_size 64
		.amdhsa_user_sgpr_count 2
		.amdhsa_user_sgpr_dispatch_ptr 0
		.amdhsa_user_sgpr_queue_ptr 0
		.amdhsa_user_sgpr_kernarg_segment_ptr 1
		.amdhsa_user_sgpr_dispatch_id 0
		.amdhsa_user_sgpr_kernarg_preload_length 0
		.amdhsa_user_sgpr_kernarg_preload_offset 0
		.amdhsa_user_sgpr_private_segment_size 0
		.amdhsa_uses_dynamic_stack 0
		.amdhsa_enable_private_segment 0
		.amdhsa_system_sgpr_workgroup_id_x 1
		.amdhsa_system_sgpr_workgroup_id_y 0
		.amdhsa_system_sgpr_workgroup_id_z 0
		.amdhsa_system_sgpr_workgroup_info 0
		.amdhsa_system_vgpr_workitem_id 0
		.amdhsa_next_free_vgpr 1
		.amdhsa_next_free_sgpr 0
		.amdhsa_accum_offset 4
		.amdhsa_reserve_vcc 0
		.amdhsa_float_round_mode_32 0
		.amdhsa_float_round_mode_16_64 0
		.amdhsa_float_denorm_mode_32 3
		.amdhsa_float_denorm_mode_16_64 3
		.amdhsa_dx10_clamp 1
		.amdhsa_ieee_mode 1
		.amdhsa_fp16_overflow 0
		.amdhsa_tg_split 0
		.amdhsa_exception_fp_ieee_invalid_op 0
		.amdhsa_exception_fp_denorm_src 0
		.amdhsa_exception_fp_ieee_div_zero 0
		.amdhsa_exception_fp_ieee_overflow 0
		.amdhsa_exception_fp_ieee_underflow 0
		.amdhsa_exception_fp_ieee_inexact 0
		.amdhsa_exception_int_div_zero 0
	.end_amdhsa_kernel
	.section	.text._ZN7rocprim17ROCPRIM_400000_NS6detail17trampoline_kernelINS0_14default_configENS1_38merge_sort_block_merge_config_selectorIssEEZZNS1_27merge_sort_block_merge_implIS3_N6thrust23THRUST_200600_302600_NS6detail15normal_iteratorINS8_10device_ptrIsEEEESD_jNS1_19radix_merge_compareILb0ELb1EsNS0_19identity_decomposerEEEEE10hipError_tT0_T1_T2_jT3_P12ihipStream_tbPNSt15iterator_traitsISI_E10value_typeEPNSO_ISJ_E10value_typeEPSK_NS1_7vsmem_tEENKUlT_SI_SJ_SK_E_clIPsSD_S10_SD_EESH_SX_SI_SJ_SK_EUlSX_E0_NS1_11comp_targetILNS1_3genE5ELNS1_11target_archE942ELNS1_3gpuE9ELNS1_3repE0EEENS1_38merge_mergepath_config_static_selectorELNS0_4arch9wavefront6targetE1EEEvSJ_,"axG",@progbits,_ZN7rocprim17ROCPRIM_400000_NS6detail17trampoline_kernelINS0_14default_configENS1_38merge_sort_block_merge_config_selectorIssEEZZNS1_27merge_sort_block_merge_implIS3_N6thrust23THRUST_200600_302600_NS6detail15normal_iteratorINS8_10device_ptrIsEEEESD_jNS1_19radix_merge_compareILb0ELb1EsNS0_19identity_decomposerEEEEE10hipError_tT0_T1_T2_jT3_P12ihipStream_tbPNSt15iterator_traitsISI_E10value_typeEPNSO_ISJ_E10value_typeEPSK_NS1_7vsmem_tEENKUlT_SI_SJ_SK_E_clIPsSD_S10_SD_EESH_SX_SI_SJ_SK_EUlSX_E0_NS1_11comp_targetILNS1_3genE5ELNS1_11target_archE942ELNS1_3gpuE9ELNS1_3repE0EEENS1_38merge_mergepath_config_static_selectorELNS0_4arch9wavefront6targetE1EEEvSJ_,comdat
.Lfunc_end1577:
	.size	_ZN7rocprim17ROCPRIM_400000_NS6detail17trampoline_kernelINS0_14default_configENS1_38merge_sort_block_merge_config_selectorIssEEZZNS1_27merge_sort_block_merge_implIS3_N6thrust23THRUST_200600_302600_NS6detail15normal_iteratorINS8_10device_ptrIsEEEESD_jNS1_19radix_merge_compareILb0ELb1EsNS0_19identity_decomposerEEEEE10hipError_tT0_T1_T2_jT3_P12ihipStream_tbPNSt15iterator_traitsISI_E10value_typeEPNSO_ISJ_E10value_typeEPSK_NS1_7vsmem_tEENKUlT_SI_SJ_SK_E_clIPsSD_S10_SD_EESH_SX_SI_SJ_SK_EUlSX_E0_NS1_11comp_targetILNS1_3genE5ELNS1_11target_archE942ELNS1_3gpuE9ELNS1_3repE0EEENS1_38merge_mergepath_config_static_selectorELNS0_4arch9wavefront6targetE1EEEvSJ_, .Lfunc_end1577-_ZN7rocprim17ROCPRIM_400000_NS6detail17trampoline_kernelINS0_14default_configENS1_38merge_sort_block_merge_config_selectorIssEEZZNS1_27merge_sort_block_merge_implIS3_N6thrust23THRUST_200600_302600_NS6detail15normal_iteratorINS8_10device_ptrIsEEEESD_jNS1_19radix_merge_compareILb0ELb1EsNS0_19identity_decomposerEEEEE10hipError_tT0_T1_T2_jT3_P12ihipStream_tbPNSt15iterator_traitsISI_E10value_typeEPNSO_ISJ_E10value_typeEPSK_NS1_7vsmem_tEENKUlT_SI_SJ_SK_E_clIPsSD_S10_SD_EESH_SX_SI_SJ_SK_EUlSX_E0_NS1_11comp_targetILNS1_3genE5ELNS1_11target_archE942ELNS1_3gpuE9ELNS1_3repE0EEENS1_38merge_mergepath_config_static_selectorELNS0_4arch9wavefront6targetE1EEEvSJ_
                                        ; -- End function
	.set _ZN7rocprim17ROCPRIM_400000_NS6detail17trampoline_kernelINS0_14default_configENS1_38merge_sort_block_merge_config_selectorIssEEZZNS1_27merge_sort_block_merge_implIS3_N6thrust23THRUST_200600_302600_NS6detail15normal_iteratorINS8_10device_ptrIsEEEESD_jNS1_19radix_merge_compareILb0ELb1EsNS0_19identity_decomposerEEEEE10hipError_tT0_T1_T2_jT3_P12ihipStream_tbPNSt15iterator_traitsISI_E10value_typeEPNSO_ISJ_E10value_typeEPSK_NS1_7vsmem_tEENKUlT_SI_SJ_SK_E_clIPsSD_S10_SD_EESH_SX_SI_SJ_SK_EUlSX_E0_NS1_11comp_targetILNS1_3genE5ELNS1_11target_archE942ELNS1_3gpuE9ELNS1_3repE0EEENS1_38merge_mergepath_config_static_selectorELNS0_4arch9wavefront6targetE1EEEvSJ_.num_vgpr, 0
	.set _ZN7rocprim17ROCPRIM_400000_NS6detail17trampoline_kernelINS0_14default_configENS1_38merge_sort_block_merge_config_selectorIssEEZZNS1_27merge_sort_block_merge_implIS3_N6thrust23THRUST_200600_302600_NS6detail15normal_iteratorINS8_10device_ptrIsEEEESD_jNS1_19radix_merge_compareILb0ELb1EsNS0_19identity_decomposerEEEEE10hipError_tT0_T1_T2_jT3_P12ihipStream_tbPNSt15iterator_traitsISI_E10value_typeEPNSO_ISJ_E10value_typeEPSK_NS1_7vsmem_tEENKUlT_SI_SJ_SK_E_clIPsSD_S10_SD_EESH_SX_SI_SJ_SK_EUlSX_E0_NS1_11comp_targetILNS1_3genE5ELNS1_11target_archE942ELNS1_3gpuE9ELNS1_3repE0EEENS1_38merge_mergepath_config_static_selectorELNS0_4arch9wavefront6targetE1EEEvSJ_.num_agpr, 0
	.set _ZN7rocprim17ROCPRIM_400000_NS6detail17trampoline_kernelINS0_14default_configENS1_38merge_sort_block_merge_config_selectorIssEEZZNS1_27merge_sort_block_merge_implIS3_N6thrust23THRUST_200600_302600_NS6detail15normal_iteratorINS8_10device_ptrIsEEEESD_jNS1_19radix_merge_compareILb0ELb1EsNS0_19identity_decomposerEEEEE10hipError_tT0_T1_T2_jT3_P12ihipStream_tbPNSt15iterator_traitsISI_E10value_typeEPNSO_ISJ_E10value_typeEPSK_NS1_7vsmem_tEENKUlT_SI_SJ_SK_E_clIPsSD_S10_SD_EESH_SX_SI_SJ_SK_EUlSX_E0_NS1_11comp_targetILNS1_3genE5ELNS1_11target_archE942ELNS1_3gpuE9ELNS1_3repE0EEENS1_38merge_mergepath_config_static_selectorELNS0_4arch9wavefront6targetE1EEEvSJ_.numbered_sgpr, 0
	.set _ZN7rocprim17ROCPRIM_400000_NS6detail17trampoline_kernelINS0_14default_configENS1_38merge_sort_block_merge_config_selectorIssEEZZNS1_27merge_sort_block_merge_implIS3_N6thrust23THRUST_200600_302600_NS6detail15normal_iteratorINS8_10device_ptrIsEEEESD_jNS1_19radix_merge_compareILb0ELb1EsNS0_19identity_decomposerEEEEE10hipError_tT0_T1_T2_jT3_P12ihipStream_tbPNSt15iterator_traitsISI_E10value_typeEPNSO_ISJ_E10value_typeEPSK_NS1_7vsmem_tEENKUlT_SI_SJ_SK_E_clIPsSD_S10_SD_EESH_SX_SI_SJ_SK_EUlSX_E0_NS1_11comp_targetILNS1_3genE5ELNS1_11target_archE942ELNS1_3gpuE9ELNS1_3repE0EEENS1_38merge_mergepath_config_static_selectorELNS0_4arch9wavefront6targetE1EEEvSJ_.num_named_barrier, 0
	.set _ZN7rocprim17ROCPRIM_400000_NS6detail17trampoline_kernelINS0_14default_configENS1_38merge_sort_block_merge_config_selectorIssEEZZNS1_27merge_sort_block_merge_implIS3_N6thrust23THRUST_200600_302600_NS6detail15normal_iteratorINS8_10device_ptrIsEEEESD_jNS1_19radix_merge_compareILb0ELb1EsNS0_19identity_decomposerEEEEE10hipError_tT0_T1_T2_jT3_P12ihipStream_tbPNSt15iterator_traitsISI_E10value_typeEPNSO_ISJ_E10value_typeEPSK_NS1_7vsmem_tEENKUlT_SI_SJ_SK_E_clIPsSD_S10_SD_EESH_SX_SI_SJ_SK_EUlSX_E0_NS1_11comp_targetILNS1_3genE5ELNS1_11target_archE942ELNS1_3gpuE9ELNS1_3repE0EEENS1_38merge_mergepath_config_static_selectorELNS0_4arch9wavefront6targetE1EEEvSJ_.private_seg_size, 0
	.set _ZN7rocprim17ROCPRIM_400000_NS6detail17trampoline_kernelINS0_14default_configENS1_38merge_sort_block_merge_config_selectorIssEEZZNS1_27merge_sort_block_merge_implIS3_N6thrust23THRUST_200600_302600_NS6detail15normal_iteratorINS8_10device_ptrIsEEEESD_jNS1_19radix_merge_compareILb0ELb1EsNS0_19identity_decomposerEEEEE10hipError_tT0_T1_T2_jT3_P12ihipStream_tbPNSt15iterator_traitsISI_E10value_typeEPNSO_ISJ_E10value_typeEPSK_NS1_7vsmem_tEENKUlT_SI_SJ_SK_E_clIPsSD_S10_SD_EESH_SX_SI_SJ_SK_EUlSX_E0_NS1_11comp_targetILNS1_3genE5ELNS1_11target_archE942ELNS1_3gpuE9ELNS1_3repE0EEENS1_38merge_mergepath_config_static_selectorELNS0_4arch9wavefront6targetE1EEEvSJ_.uses_vcc, 0
	.set _ZN7rocprim17ROCPRIM_400000_NS6detail17trampoline_kernelINS0_14default_configENS1_38merge_sort_block_merge_config_selectorIssEEZZNS1_27merge_sort_block_merge_implIS3_N6thrust23THRUST_200600_302600_NS6detail15normal_iteratorINS8_10device_ptrIsEEEESD_jNS1_19radix_merge_compareILb0ELb1EsNS0_19identity_decomposerEEEEE10hipError_tT0_T1_T2_jT3_P12ihipStream_tbPNSt15iterator_traitsISI_E10value_typeEPNSO_ISJ_E10value_typeEPSK_NS1_7vsmem_tEENKUlT_SI_SJ_SK_E_clIPsSD_S10_SD_EESH_SX_SI_SJ_SK_EUlSX_E0_NS1_11comp_targetILNS1_3genE5ELNS1_11target_archE942ELNS1_3gpuE9ELNS1_3repE0EEENS1_38merge_mergepath_config_static_selectorELNS0_4arch9wavefront6targetE1EEEvSJ_.uses_flat_scratch, 0
	.set _ZN7rocprim17ROCPRIM_400000_NS6detail17trampoline_kernelINS0_14default_configENS1_38merge_sort_block_merge_config_selectorIssEEZZNS1_27merge_sort_block_merge_implIS3_N6thrust23THRUST_200600_302600_NS6detail15normal_iteratorINS8_10device_ptrIsEEEESD_jNS1_19radix_merge_compareILb0ELb1EsNS0_19identity_decomposerEEEEE10hipError_tT0_T1_T2_jT3_P12ihipStream_tbPNSt15iterator_traitsISI_E10value_typeEPNSO_ISJ_E10value_typeEPSK_NS1_7vsmem_tEENKUlT_SI_SJ_SK_E_clIPsSD_S10_SD_EESH_SX_SI_SJ_SK_EUlSX_E0_NS1_11comp_targetILNS1_3genE5ELNS1_11target_archE942ELNS1_3gpuE9ELNS1_3repE0EEENS1_38merge_mergepath_config_static_selectorELNS0_4arch9wavefront6targetE1EEEvSJ_.has_dyn_sized_stack, 0
	.set _ZN7rocprim17ROCPRIM_400000_NS6detail17trampoline_kernelINS0_14default_configENS1_38merge_sort_block_merge_config_selectorIssEEZZNS1_27merge_sort_block_merge_implIS3_N6thrust23THRUST_200600_302600_NS6detail15normal_iteratorINS8_10device_ptrIsEEEESD_jNS1_19radix_merge_compareILb0ELb1EsNS0_19identity_decomposerEEEEE10hipError_tT0_T1_T2_jT3_P12ihipStream_tbPNSt15iterator_traitsISI_E10value_typeEPNSO_ISJ_E10value_typeEPSK_NS1_7vsmem_tEENKUlT_SI_SJ_SK_E_clIPsSD_S10_SD_EESH_SX_SI_SJ_SK_EUlSX_E0_NS1_11comp_targetILNS1_3genE5ELNS1_11target_archE942ELNS1_3gpuE9ELNS1_3repE0EEENS1_38merge_mergepath_config_static_selectorELNS0_4arch9wavefront6targetE1EEEvSJ_.has_recursion, 0
	.set _ZN7rocprim17ROCPRIM_400000_NS6detail17trampoline_kernelINS0_14default_configENS1_38merge_sort_block_merge_config_selectorIssEEZZNS1_27merge_sort_block_merge_implIS3_N6thrust23THRUST_200600_302600_NS6detail15normal_iteratorINS8_10device_ptrIsEEEESD_jNS1_19radix_merge_compareILb0ELb1EsNS0_19identity_decomposerEEEEE10hipError_tT0_T1_T2_jT3_P12ihipStream_tbPNSt15iterator_traitsISI_E10value_typeEPNSO_ISJ_E10value_typeEPSK_NS1_7vsmem_tEENKUlT_SI_SJ_SK_E_clIPsSD_S10_SD_EESH_SX_SI_SJ_SK_EUlSX_E0_NS1_11comp_targetILNS1_3genE5ELNS1_11target_archE942ELNS1_3gpuE9ELNS1_3repE0EEENS1_38merge_mergepath_config_static_selectorELNS0_4arch9wavefront6targetE1EEEvSJ_.has_indirect_call, 0
	.section	.AMDGPU.csdata,"",@progbits
; Kernel info:
; codeLenInByte = 0
; TotalNumSgprs: 6
; NumVgprs: 0
; NumAgprs: 0
; TotalNumVgprs: 0
; ScratchSize: 0
; MemoryBound: 0
; FloatMode: 240
; IeeeMode: 1
; LDSByteSize: 0 bytes/workgroup (compile time only)
; SGPRBlocks: 0
; VGPRBlocks: 0
; NumSGPRsForWavesPerEU: 6
; NumVGPRsForWavesPerEU: 1
; AccumOffset: 4
; Occupancy: 8
; WaveLimiterHint : 0
; COMPUTE_PGM_RSRC2:SCRATCH_EN: 0
; COMPUTE_PGM_RSRC2:USER_SGPR: 2
; COMPUTE_PGM_RSRC2:TRAP_HANDLER: 0
; COMPUTE_PGM_RSRC2:TGID_X_EN: 1
; COMPUTE_PGM_RSRC2:TGID_Y_EN: 0
; COMPUTE_PGM_RSRC2:TGID_Z_EN: 0
; COMPUTE_PGM_RSRC2:TIDIG_COMP_CNT: 0
; COMPUTE_PGM_RSRC3_GFX90A:ACCUM_OFFSET: 0
; COMPUTE_PGM_RSRC3_GFX90A:TG_SPLIT: 0
	.section	.text._ZN7rocprim17ROCPRIM_400000_NS6detail17trampoline_kernelINS0_14default_configENS1_38merge_sort_block_merge_config_selectorIssEEZZNS1_27merge_sort_block_merge_implIS3_N6thrust23THRUST_200600_302600_NS6detail15normal_iteratorINS8_10device_ptrIsEEEESD_jNS1_19radix_merge_compareILb0ELb1EsNS0_19identity_decomposerEEEEE10hipError_tT0_T1_T2_jT3_P12ihipStream_tbPNSt15iterator_traitsISI_E10value_typeEPNSO_ISJ_E10value_typeEPSK_NS1_7vsmem_tEENKUlT_SI_SJ_SK_E_clIPsSD_S10_SD_EESH_SX_SI_SJ_SK_EUlSX_E0_NS1_11comp_targetILNS1_3genE4ELNS1_11target_archE910ELNS1_3gpuE8ELNS1_3repE0EEENS1_38merge_mergepath_config_static_selectorELNS0_4arch9wavefront6targetE1EEEvSJ_,"axG",@progbits,_ZN7rocprim17ROCPRIM_400000_NS6detail17trampoline_kernelINS0_14default_configENS1_38merge_sort_block_merge_config_selectorIssEEZZNS1_27merge_sort_block_merge_implIS3_N6thrust23THRUST_200600_302600_NS6detail15normal_iteratorINS8_10device_ptrIsEEEESD_jNS1_19radix_merge_compareILb0ELb1EsNS0_19identity_decomposerEEEEE10hipError_tT0_T1_T2_jT3_P12ihipStream_tbPNSt15iterator_traitsISI_E10value_typeEPNSO_ISJ_E10value_typeEPSK_NS1_7vsmem_tEENKUlT_SI_SJ_SK_E_clIPsSD_S10_SD_EESH_SX_SI_SJ_SK_EUlSX_E0_NS1_11comp_targetILNS1_3genE4ELNS1_11target_archE910ELNS1_3gpuE8ELNS1_3repE0EEENS1_38merge_mergepath_config_static_selectorELNS0_4arch9wavefront6targetE1EEEvSJ_,comdat
	.protected	_ZN7rocprim17ROCPRIM_400000_NS6detail17trampoline_kernelINS0_14default_configENS1_38merge_sort_block_merge_config_selectorIssEEZZNS1_27merge_sort_block_merge_implIS3_N6thrust23THRUST_200600_302600_NS6detail15normal_iteratorINS8_10device_ptrIsEEEESD_jNS1_19radix_merge_compareILb0ELb1EsNS0_19identity_decomposerEEEEE10hipError_tT0_T1_T2_jT3_P12ihipStream_tbPNSt15iterator_traitsISI_E10value_typeEPNSO_ISJ_E10value_typeEPSK_NS1_7vsmem_tEENKUlT_SI_SJ_SK_E_clIPsSD_S10_SD_EESH_SX_SI_SJ_SK_EUlSX_E0_NS1_11comp_targetILNS1_3genE4ELNS1_11target_archE910ELNS1_3gpuE8ELNS1_3repE0EEENS1_38merge_mergepath_config_static_selectorELNS0_4arch9wavefront6targetE1EEEvSJ_ ; -- Begin function _ZN7rocprim17ROCPRIM_400000_NS6detail17trampoline_kernelINS0_14default_configENS1_38merge_sort_block_merge_config_selectorIssEEZZNS1_27merge_sort_block_merge_implIS3_N6thrust23THRUST_200600_302600_NS6detail15normal_iteratorINS8_10device_ptrIsEEEESD_jNS1_19radix_merge_compareILb0ELb1EsNS0_19identity_decomposerEEEEE10hipError_tT0_T1_T2_jT3_P12ihipStream_tbPNSt15iterator_traitsISI_E10value_typeEPNSO_ISJ_E10value_typeEPSK_NS1_7vsmem_tEENKUlT_SI_SJ_SK_E_clIPsSD_S10_SD_EESH_SX_SI_SJ_SK_EUlSX_E0_NS1_11comp_targetILNS1_3genE4ELNS1_11target_archE910ELNS1_3gpuE8ELNS1_3repE0EEENS1_38merge_mergepath_config_static_selectorELNS0_4arch9wavefront6targetE1EEEvSJ_
	.globl	_ZN7rocprim17ROCPRIM_400000_NS6detail17trampoline_kernelINS0_14default_configENS1_38merge_sort_block_merge_config_selectorIssEEZZNS1_27merge_sort_block_merge_implIS3_N6thrust23THRUST_200600_302600_NS6detail15normal_iteratorINS8_10device_ptrIsEEEESD_jNS1_19radix_merge_compareILb0ELb1EsNS0_19identity_decomposerEEEEE10hipError_tT0_T1_T2_jT3_P12ihipStream_tbPNSt15iterator_traitsISI_E10value_typeEPNSO_ISJ_E10value_typeEPSK_NS1_7vsmem_tEENKUlT_SI_SJ_SK_E_clIPsSD_S10_SD_EESH_SX_SI_SJ_SK_EUlSX_E0_NS1_11comp_targetILNS1_3genE4ELNS1_11target_archE910ELNS1_3gpuE8ELNS1_3repE0EEENS1_38merge_mergepath_config_static_selectorELNS0_4arch9wavefront6targetE1EEEvSJ_
	.p2align	8
	.type	_ZN7rocprim17ROCPRIM_400000_NS6detail17trampoline_kernelINS0_14default_configENS1_38merge_sort_block_merge_config_selectorIssEEZZNS1_27merge_sort_block_merge_implIS3_N6thrust23THRUST_200600_302600_NS6detail15normal_iteratorINS8_10device_ptrIsEEEESD_jNS1_19radix_merge_compareILb0ELb1EsNS0_19identity_decomposerEEEEE10hipError_tT0_T1_T2_jT3_P12ihipStream_tbPNSt15iterator_traitsISI_E10value_typeEPNSO_ISJ_E10value_typeEPSK_NS1_7vsmem_tEENKUlT_SI_SJ_SK_E_clIPsSD_S10_SD_EESH_SX_SI_SJ_SK_EUlSX_E0_NS1_11comp_targetILNS1_3genE4ELNS1_11target_archE910ELNS1_3gpuE8ELNS1_3repE0EEENS1_38merge_mergepath_config_static_selectorELNS0_4arch9wavefront6targetE1EEEvSJ_,@function
_ZN7rocprim17ROCPRIM_400000_NS6detail17trampoline_kernelINS0_14default_configENS1_38merge_sort_block_merge_config_selectorIssEEZZNS1_27merge_sort_block_merge_implIS3_N6thrust23THRUST_200600_302600_NS6detail15normal_iteratorINS8_10device_ptrIsEEEESD_jNS1_19radix_merge_compareILb0ELb1EsNS0_19identity_decomposerEEEEE10hipError_tT0_T1_T2_jT3_P12ihipStream_tbPNSt15iterator_traitsISI_E10value_typeEPNSO_ISJ_E10value_typeEPSK_NS1_7vsmem_tEENKUlT_SI_SJ_SK_E_clIPsSD_S10_SD_EESH_SX_SI_SJ_SK_EUlSX_E0_NS1_11comp_targetILNS1_3genE4ELNS1_11target_archE910ELNS1_3gpuE8ELNS1_3repE0EEENS1_38merge_mergepath_config_static_selectorELNS0_4arch9wavefront6targetE1EEEvSJ_: ; @_ZN7rocprim17ROCPRIM_400000_NS6detail17trampoline_kernelINS0_14default_configENS1_38merge_sort_block_merge_config_selectorIssEEZZNS1_27merge_sort_block_merge_implIS3_N6thrust23THRUST_200600_302600_NS6detail15normal_iteratorINS8_10device_ptrIsEEEESD_jNS1_19radix_merge_compareILb0ELb1EsNS0_19identity_decomposerEEEEE10hipError_tT0_T1_T2_jT3_P12ihipStream_tbPNSt15iterator_traitsISI_E10value_typeEPNSO_ISJ_E10value_typeEPSK_NS1_7vsmem_tEENKUlT_SI_SJ_SK_E_clIPsSD_S10_SD_EESH_SX_SI_SJ_SK_EUlSX_E0_NS1_11comp_targetILNS1_3genE4ELNS1_11target_archE910ELNS1_3gpuE8ELNS1_3repE0EEENS1_38merge_mergepath_config_static_selectorELNS0_4arch9wavefront6targetE1EEEvSJ_
; %bb.0:
	.section	.rodata,"a",@progbits
	.p2align	6, 0x0
	.amdhsa_kernel _ZN7rocprim17ROCPRIM_400000_NS6detail17trampoline_kernelINS0_14default_configENS1_38merge_sort_block_merge_config_selectorIssEEZZNS1_27merge_sort_block_merge_implIS3_N6thrust23THRUST_200600_302600_NS6detail15normal_iteratorINS8_10device_ptrIsEEEESD_jNS1_19radix_merge_compareILb0ELb1EsNS0_19identity_decomposerEEEEE10hipError_tT0_T1_T2_jT3_P12ihipStream_tbPNSt15iterator_traitsISI_E10value_typeEPNSO_ISJ_E10value_typeEPSK_NS1_7vsmem_tEENKUlT_SI_SJ_SK_E_clIPsSD_S10_SD_EESH_SX_SI_SJ_SK_EUlSX_E0_NS1_11comp_targetILNS1_3genE4ELNS1_11target_archE910ELNS1_3gpuE8ELNS1_3repE0EEENS1_38merge_mergepath_config_static_selectorELNS0_4arch9wavefront6targetE1EEEvSJ_
		.amdhsa_group_segment_fixed_size 0
		.amdhsa_private_segment_fixed_size 0
		.amdhsa_kernarg_size 64
		.amdhsa_user_sgpr_count 2
		.amdhsa_user_sgpr_dispatch_ptr 0
		.amdhsa_user_sgpr_queue_ptr 0
		.amdhsa_user_sgpr_kernarg_segment_ptr 1
		.amdhsa_user_sgpr_dispatch_id 0
		.amdhsa_user_sgpr_kernarg_preload_length 0
		.amdhsa_user_sgpr_kernarg_preload_offset 0
		.amdhsa_user_sgpr_private_segment_size 0
		.amdhsa_uses_dynamic_stack 0
		.amdhsa_enable_private_segment 0
		.amdhsa_system_sgpr_workgroup_id_x 1
		.amdhsa_system_sgpr_workgroup_id_y 0
		.amdhsa_system_sgpr_workgroup_id_z 0
		.amdhsa_system_sgpr_workgroup_info 0
		.amdhsa_system_vgpr_workitem_id 0
		.amdhsa_next_free_vgpr 1
		.amdhsa_next_free_sgpr 0
		.amdhsa_accum_offset 4
		.amdhsa_reserve_vcc 0
		.amdhsa_float_round_mode_32 0
		.amdhsa_float_round_mode_16_64 0
		.amdhsa_float_denorm_mode_32 3
		.amdhsa_float_denorm_mode_16_64 3
		.amdhsa_dx10_clamp 1
		.amdhsa_ieee_mode 1
		.amdhsa_fp16_overflow 0
		.amdhsa_tg_split 0
		.amdhsa_exception_fp_ieee_invalid_op 0
		.amdhsa_exception_fp_denorm_src 0
		.amdhsa_exception_fp_ieee_div_zero 0
		.amdhsa_exception_fp_ieee_overflow 0
		.amdhsa_exception_fp_ieee_underflow 0
		.amdhsa_exception_fp_ieee_inexact 0
		.amdhsa_exception_int_div_zero 0
	.end_amdhsa_kernel
	.section	.text._ZN7rocprim17ROCPRIM_400000_NS6detail17trampoline_kernelINS0_14default_configENS1_38merge_sort_block_merge_config_selectorIssEEZZNS1_27merge_sort_block_merge_implIS3_N6thrust23THRUST_200600_302600_NS6detail15normal_iteratorINS8_10device_ptrIsEEEESD_jNS1_19radix_merge_compareILb0ELb1EsNS0_19identity_decomposerEEEEE10hipError_tT0_T1_T2_jT3_P12ihipStream_tbPNSt15iterator_traitsISI_E10value_typeEPNSO_ISJ_E10value_typeEPSK_NS1_7vsmem_tEENKUlT_SI_SJ_SK_E_clIPsSD_S10_SD_EESH_SX_SI_SJ_SK_EUlSX_E0_NS1_11comp_targetILNS1_3genE4ELNS1_11target_archE910ELNS1_3gpuE8ELNS1_3repE0EEENS1_38merge_mergepath_config_static_selectorELNS0_4arch9wavefront6targetE1EEEvSJ_,"axG",@progbits,_ZN7rocprim17ROCPRIM_400000_NS6detail17trampoline_kernelINS0_14default_configENS1_38merge_sort_block_merge_config_selectorIssEEZZNS1_27merge_sort_block_merge_implIS3_N6thrust23THRUST_200600_302600_NS6detail15normal_iteratorINS8_10device_ptrIsEEEESD_jNS1_19radix_merge_compareILb0ELb1EsNS0_19identity_decomposerEEEEE10hipError_tT0_T1_T2_jT3_P12ihipStream_tbPNSt15iterator_traitsISI_E10value_typeEPNSO_ISJ_E10value_typeEPSK_NS1_7vsmem_tEENKUlT_SI_SJ_SK_E_clIPsSD_S10_SD_EESH_SX_SI_SJ_SK_EUlSX_E0_NS1_11comp_targetILNS1_3genE4ELNS1_11target_archE910ELNS1_3gpuE8ELNS1_3repE0EEENS1_38merge_mergepath_config_static_selectorELNS0_4arch9wavefront6targetE1EEEvSJ_,comdat
.Lfunc_end1578:
	.size	_ZN7rocprim17ROCPRIM_400000_NS6detail17trampoline_kernelINS0_14default_configENS1_38merge_sort_block_merge_config_selectorIssEEZZNS1_27merge_sort_block_merge_implIS3_N6thrust23THRUST_200600_302600_NS6detail15normal_iteratorINS8_10device_ptrIsEEEESD_jNS1_19radix_merge_compareILb0ELb1EsNS0_19identity_decomposerEEEEE10hipError_tT0_T1_T2_jT3_P12ihipStream_tbPNSt15iterator_traitsISI_E10value_typeEPNSO_ISJ_E10value_typeEPSK_NS1_7vsmem_tEENKUlT_SI_SJ_SK_E_clIPsSD_S10_SD_EESH_SX_SI_SJ_SK_EUlSX_E0_NS1_11comp_targetILNS1_3genE4ELNS1_11target_archE910ELNS1_3gpuE8ELNS1_3repE0EEENS1_38merge_mergepath_config_static_selectorELNS0_4arch9wavefront6targetE1EEEvSJ_, .Lfunc_end1578-_ZN7rocprim17ROCPRIM_400000_NS6detail17trampoline_kernelINS0_14default_configENS1_38merge_sort_block_merge_config_selectorIssEEZZNS1_27merge_sort_block_merge_implIS3_N6thrust23THRUST_200600_302600_NS6detail15normal_iteratorINS8_10device_ptrIsEEEESD_jNS1_19radix_merge_compareILb0ELb1EsNS0_19identity_decomposerEEEEE10hipError_tT0_T1_T2_jT3_P12ihipStream_tbPNSt15iterator_traitsISI_E10value_typeEPNSO_ISJ_E10value_typeEPSK_NS1_7vsmem_tEENKUlT_SI_SJ_SK_E_clIPsSD_S10_SD_EESH_SX_SI_SJ_SK_EUlSX_E0_NS1_11comp_targetILNS1_3genE4ELNS1_11target_archE910ELNS1_3gpuE8ELNS1_3repE0EEENS1_38merge_mergepath_config_static_selectorELNS0_4arch9wavefront6targetE1EEEvSJ_
                                        ; -- End function
	.set _ZN7rocprim17ROCPRIM_400000_NS6detail17trampoline_kernelINS0_14default_configENS1_38merge_sort_block_merge_config_selectorIssEEZZNS1_27merge_sort_block_merge_implIS3_N6thrust23THRUST_200600_302600_NS6detail15normal_iteratorINS8_10device_ptrIsEEEESD_jNS1_19radix_merge_compareILb0ELb1EsNS0_19identity_decomposerEEEEE10hipError_tT0_T1_T2_jT3_P12ihipStream_tbPNSt15iterator_traitsISI_E10value_typeEPNSO_ISJ_E10value_typeEPSK_NS1_7vsmem_tEENKUlT_SI_SJ_SK_E_clIPsSD_S10_SD_EESH_SX_SI_SJ_SK_EUlSX_E0_NS1_11comp_targetILNS1_3genE4ELNS1_11target_archE910ELNS1_3gpuE8ELNS1_3repE0EEENS1_38merge_mergepath_config_static_selectorELNS0_4arch9wavefront6targetE1EEEvSJ_.num_vgpr, 0
	.set _ZN7rocprim17ROCPRIM_400000_NS6detail17trampoline_kernelINS0_14default_configENS1_38merge_sort_block_merge_config_selectorIssEEZZNS1_27merge_sort_block_merge_implIS3_N6thrust23THRUST_200600_302600_NS6detail15normal_iteratorINS8_10device_ptrIsEEEESD_jNS1_19radix_merge_compareILb0ELb1EsNS0_19identity_decomposerEEEEE10hipError_tT0_T1_T2_jT3_P12ihipStream_tbPNSt15iterator_traitsISI_E10value_typeEPNSO_ISJ_E10value_typeEPSK_NS1_7vsmem_tEENKUlT_SI_SJ_SK_E_clIPsSD_S10_SD_EESH_SX_SI_SJ_SK_EUlSX_E0_NS1_11comp_targetILNS1_3genE4ELNS1_11target_archE910ELNS1_3gpuE8ELNS1_3repE0EEENS1_38merge_mergepath_config_static_selectorELNS0_4arch9wavefront6targetE1EEEvSJ_.num_agpr, 0
	.set _ZN7rocprim17ROCPRIM_400000_NS6detail17trampoline_kernelINS0_14default_configENS1_38merge_sort_block_merge_config_selectorIssEEZZNS1_27merge_sort_block_merge_implIS3_N6thrust23THRUST_200600_302600_NS6detail15normal_iteratorINS8_10device_ptrIsEEEESD_jNS1_19radix_merge_compareILb0ELb1EsNS0_19identity_decomposerEEEEE10hipError_tT0_T1_T2_jT3_P12ihipStream_tbPNSt15iterator_traitsISI_E10value_typeEPNSO_ISJ_E10value_typeEPSK_NS1_7vsmem_tEENKUlT_SI_SJ_SK_E_clIPsSD_S10_SD_EESH_SX_SI_SJ_SK_EUlSX_E0_NS1_11comp_targetILNS1_3genE4ELNS1_11target_archE910ELNS1_3gpuE8ELNS1_3repE0EEENS1_38merge_mergepath_config_static_selectorELNS0_4arch9wavefront6targetE1EEEvSJ_.numbered_sgpr, 0
	.set _ZN7rocprim17ROCPRIM_400000_NS6detail17trampoline_kernelINS0_14default_configENS1_38merge_sort_block_merge_config_selectorIssEEZZNS1_27merge_sort_block_merge_implIS3_N6thrust23THRUST_200600_302600_NS6detail15normal_iteratorINS8_10device_ptrIsEEEESD_jNS1_19radix_merge_compareILb0ELb1EsNS0_19identity_decomposerEEEEE10hipError_tT0_T1_T2_jT3_P12ihipStream_tbPNSt15iterator_traitsISI_E10value_typeEPNSO_ISJ_E10value_typeEPSK_NS1_7vsmem_tEENKUlT_SI_SJ_SK_E_clIPsSD_S10_SD_EESH_SX_SI_SJ_SK_EUlSX_E0_NS1_11comp_targetILNS1_3genE4ELNS1_11target_archE910ELNS1_3gpuE8ELNS1_3repE0EEENS1_38merge_mergepath_config_static_selectorELNS0_4arch9wavefront6targetE1EEEvSJ_.num_named_barrier, 0
	.set _ZN7rocprim17ROCPRIM_400000_NS6detail17trampoline_kernelINS0_14default_configENS1_38merge_sort_block_merge_config_selectorIssEEZZNS1_27merge_sort_block_merge_implIS3_N6thrust23THRUST_200600_302600_NS6detail15normal_iteratorINS8_10device_ptrIsEEEESD_jNS1_19radix_merge_compareILb0ELb1EsNS0_19identity_decomposerEEEEE10hipError_tT0_T1_T2_jT3_P12ihipStream_tbPNSt15iterator_traitsISI_E10value_typeEPNSO_ISJ_E10value_typeEPSK_NS1_7vsmem_tEENKUlT_SI_SJ_SK_E_clIPsSD_S10_SD_EESH_SX_SI_SJ_SK_EUlSX_E0_NS1_11comp_targetILNS1_3genE4ELNS1_11target_archE910ELNS1_3gpuE8ELNS1_3repE0EEENS1_38merge_mergepath_config_static_selectorELNS0_4arch9wavefront6targetE1EEEvSJ_.private_seg_size, 0
	.set _ZN7rocprim17ROCPRIM_400000_NS6detail17trampoline_kernelINS0_14default_configENS1_38merge_sort_block_merge_config_selectorIssEEZZNS1_27merge_sort_block_merge_implIS3_N6thrust23THRUST_200600_302600_NS6detail15normal_iteratorINS8_10device_ptrIsEEEESD_jNS1_19radix_merge_compareILb0ELb1EsNS0_19identity_decomposerEEEEE10hipError_tT0_T1_T2_jT3_P12ihipStream_tbPNSt15iterator_traitsISI_E10value_typeEPNSO_ISJ_E10value_typeEPSK_NS1_7vsmem_tEENKUlT_SI_SJ_SK_E_clIPsSD_S10_SD_EESH_SX_SI_SJ_SK_EUlSX_E0_NS1_11comp_targetILNS1_3genE4ELNS1_11target_archE910ELNS1_3gpuE8ELNS1_3repE0EEENS1_38merge_mergepath_config_static_selectorELNS0_4arch9wavefront6targetE1EEEvSJ_.uses_vcc, 0
	.set _ZN7rocprim17ROCPRIM_400000_NS6detail17trampoline_kernelINS0_14default_configENS1_38merge_sort_block_merge_config_selectorIssEEZZNS1_27merge_sort_block_merge_implIS3_N6thrust23THRUST_200600_302600_NS6detail15normal_iteratorINS8_10device_ptrIsEEEESD_jNS1_19radix_merge_compareILb0ELb1EsNS0_19identity_decomposerEEEEE10hipError_tT0_T1_T2_jT3_P12ihipStream_tbPNSt15iterator_traitsISI_E10value_typeEPNSO_ISJ_E10value_typeEPSK_NS1_7vsmem_tEENKUlT_SI_SJ_SK_E_clIPsSD_S10_SD_EESH_SX_SI_SJ_SK_EUlSX_E0_NS1_11comp_targetILNS1_3genE4ELNS1_11target_archE910ELNS1_3gpuE8ELNS1_3repE0EEENS1_38merge_mergepath_config_static_selectorELNS0_4arch9wavefront6targetE1EEEvSJ_.uses_flat_scratch, 0
	.set _ZN7rocprim17ROCPRIM_400000_NS6detail17trampoline_kernelINS0_14default_configENS1_38merge_sort_block_merge_config_selectorIssEEZZNS1_27merge_sort_block_merge_implIS3_N6thrust23THRUST_200600_302600_NS6detail15normal_iteratorINS8_10device_ptrIsEEEESD_jNS1_19radix_merge_compareILb0ELb1EsNS0_19identity_decomposerEEEEE10hipError_tT0_T1_T2_jT3_P12ihipStream_tbPNSt15iterator_traitsISI_E10value_typeEPNSO_ISJ_E10value_typeEPSK_NS1_7vsmem_tEENKUlT_SI_SJ_SK_E_clIPsSD_S10_SD_EESH_SX_SI_SJ_SK_EUlSX_E0_NS1_11comp_targetILNS1_3genE4ELNS1_11target_archE910ELNS1_3gpuE8ELNS1_3repE0EEENS1_38merge_mergepath_config_static_selectorELNS0_4arch9wavefront6targetE1EEEvSJ_.has_dyn_sized_stack, 0
	.set _ZN7rocprim17ROCPRIM_400000_NS6detail17trampoline_kernelINS0_14default_configENS1_38merge_sort_block_merge_config_selectorIssEEZZNS1_27merge_sort_block_merge_implIS3_N6thrust23THRUST_200600_302600_NS6detail15normal_iteratorINS8_10device_ptrIsEEEESD_jNS1_19radix_merge_compareILb0ELb1EsNS0_19identity_decomposerEEEEE10hipError_tT0_T1_T2_jT3_P12ihipStream_tbPNSt15iterator_traitsISI_E10value_typeEPNSO_ISJ_E10value_typeEPSK_NS1_7vsmem_tEENKUlT_SI_SJ_SK_E_clIPsSD_S10_SD_EESH_SX_SI_SJ_SK_EUlSX_E0_NS1_11comp_targetILNS1_3genE4ELNS1_11target_archE910ELNS1_3gpuE8ELNS1_3repE0EEENS1_38merge_mergepath_config_static_selectorELNS0_4arch9wavefront6targetE1EEEvSJ_.has_recursion, 0
	.set _ZN7rocprim17ROCPRIM_400000_NS6detail17trampoline_kernelINS0_14default_configENS1_38merge_sort_block_merge_config_selectorIssEEZZNS1_27merge_sort_block_merge_implIS3_N6thrust23THRUST_200600_302600_NS6detail15normal_iteratorINS8_10device_ptrIsEEEESD_jNS1_19radix_merge_compareILb0ELb1EsNS0_19identity_decomposerEEEEE10hipError_tT0_T1_T2_jT3_P12ihipStream_tbPNSt15iterator_traitsISI_E10value_typeEPNSO_ISJ_E10value_typeEPSK_NS1_7vsmem_tEENKUlT_SI_SJ_SK_E_clIPsSD_S10_SD_EESH_SX_SI_SJ_SK_EUlSX_E0_NS1_11comp_targetILNS1_3genE4ELNS1_11target_archE910ELNS1_3gpuE8ELNS1_3repE0EEENS1_38merge_mergepath_config_static_selectorELNS0_4arch9wavefront6targetE1EEEvSJ_.has_indirect_call, 0
	.section	.AMDGPU.csdata,"",@progbits
; Kernel info:
; codeLenInByte = 0
; TotalNumSgprs: 6
; NumVgprs: 0
; NumAgprs: 0
; TotalNumVgprs: 0
; ScratchSize: 0
; MemoryBound: 0
; FloatMode: 240
; IeeeMode: 1
; LDSByteSize: 0 bytes/workgroup (compile time only)
; SGPRBlocks: 0
; VGPRBlocks: 0
; NumSGPRsForWavesPerEU: 6
; NumVGPRsForWavesPerEU: 1
; AccumOffset: 4
; Occupancy: 8
; WaveLimiterHint : 0
; COMPUTE_PGM_RSRC2:SCRATCH_EN: 0
; COMPUTE_PGM_RSRC2:USER_SGPR: 2
; COMPUTE_PGM_RSRC2:TRAP_HANDLER: 0
; COMPUTE_PGM_RSRC2:TGID_X_EN: 1
; COMPUTE_PGM_RSRC2:TGID_Y_EN: 0
; COMPUTE_PGM_RSRC2:TGID_Z_EN: 0
; COMPUTE_PGM_RSRC2:TIDIG_COMP_CNT: 0
; COMPUTE_PGM_RSRC3_GFX90A:ACCUM_OFFSET: 0
; COMPUTE_PGM_RSRC3_GFX90A:TG_SPLIT: 0
	.section	.text._ZN7rocprim17ROCPRIM_400000_NS6detail17trampoline_kernelINS0_14default_configENS1_38merge_sort_block_merge_config_selectorIssEEZZNS1_27merge_sort_block_merge_implIS3_N6thrust23THRUST_200600_302600_NS6detail15normal_iteratorINS8_10device_ptrIsEEEESD_jNS1_19radix_merge_compareILb0ELb1EsNS0_19identity_decomposerEEEEE10hipError_tT0_T1_T2_jT3_P12ihipStream_tbPNSt15iterator_traitsISI_E10value_typeEPNSO_ISJ_E10value_typeEPSK_NS1_7vsmem_tEENKUlT_SI_SJ_SK_E_clIPsSD_S10_SD_EESH_SX_SI_SJ_SK_EUlSX_E0_NS1_11comp_targetILNS1_3genE3ELNS1_11target_archE908ELNS1_3gpuE7ELNS1_3repE0EEENS1_38merge_mergepath_config_static_selectorELNS0_4arch9wavefront6targetE1EEEvSJ_,"axG",@progbits,_ZN7rocprim17ROCPRIM_400000_NS6detail17trampoline_kernelINS0_14default_configENS1_38merge_sort_block_merge_config_selectorIssEEZZNS1_27merge_sort_block_merge_implIS3_N6thrust23THRUST_200600_302600_NS6detail15normal_iteratorINS8_10device_ptrIsEEEESD_jNS1_19radix_merge_compareILb0ELb1EsNS0_19identity_decomposerEEEEE10hipError_tT0_T1_T2_jT3_P12ihipStream_tbPNSt15iterator_traitsISI_E10value_typeEPNSO_ISJ_E10value_typeEPSK_NS1_7vsmem_tEENKUlT_SI_SJ_SK_E_clIPsSD_S10_SD_EESH_SX_SI_SJ_SK_EUlSX_E0_NS1_11comp_targetILNS1_3genE3ELNS1_11target_archE908ELNS1_3gpuE7ELNS1_3repE0EEENS1_38merge_mergepath_config_static_selectorELNS0_4arch9wavefront6targetE1EEEvSJ_,comdat
	.protected	_ZN7rocprim17ROCPRIM_400000_NS6detail17trampoline_kernelINS0_14default_configENS1_38merge_sort_block_merge_config_selectorIssEEZZNS1_27merge_sort_block_merge_implIS3_N6thrust23THRUST_200600_302600_NS6detail15normal_iteratorINS8_10device_ptrIsEEEESD_jNS1_19radix_merge_compareILb0ELb1EsNS0_19identity_decomposerEEEEE10hipError_tT0_T1_T2_jT3_P12ihipStream_tbPNSt15iterator_traitsISI_E10value_typeEPNSO_ISJ_E10value_typeEPSK_NS1_7vsmem_tEENKUlT_SI_SJ_SK_E_clIPsSD_S10_SD_EESH_SX_SI_SJ_SK_EUlSX_E0_NS1_11comp_targetILNS1_3genE3ELNS1_11target_archE908ELNS1_3gpuE7ELNS1_3repE0EEENS1_38merge_mergepath_config_static_selectorELNS0_4arch9wavefront6targetE1EEEvSJ_ ; -- Begin function _ZN7rocprim17ROCPRIM_400000_NS6detail17trampoline_kernelINS0_14default_configENS1_38merge_sort_block_merge_config_selectorIssEEZZNS1_27merge_sort_block_merge_implIS3_N6thrust23THRUST_200600_302600_NS6detail15normal_iteratorINS8_10device_ptrIsEEEESD_jNS1_19radix_merge_compareILb0ELb1EsNS0_19identity_decomposerEEEEE10hipError_tT0_T1_T2_jT3_P12ihipStream_tbPNSt15iterator_traitsISI_E10value_typeEPNSO_ISJ_E10value_typeEPSK_NS1_7vsmem_tEENKUlT_SI_SJ_SK_E_clIPsSD_S10_SD_EESH_SX_SI_SJ_SK_EUlSX_E0_NS1_11comp_targetILNS1_3genE3ELNS1_11target_archE908ELNS1_3gpuE7ELNS1_3repE0EEENS1_38merge_mergepath_config_static_selectorELNS0_4arch9wavefront6targetE1EEEvSJ_
	.globl	_ZN7rocprim17ROCPRIM_400000_NS6detail17trampoline_kernelINS0_14default_configENS1_38merge_sort_block_merge_config_selectorIssEEZZNS1_27merge_sort_block_merge_implIS3_N6thrust23THRUST_200600_302600_NS6detail15normal_iteratorINS8_10device_ptrIsEEEESD_jNS1_19radix_merge_compareILb0ELb1EsNS0_19identity_decomposerEEEEE10hipError_tT0_T1_T2_jT3_P12ihipStream_tbPNSt15iterator_traitsISI_E10value_typeEPNSO_ISJ_E10value_typeEPSK_NS1_7vsmem_tEENKUlT_SI_SJ_SK_E_clIPsSD_S10_SD_EESH_SX_SI_SJ_SK_EUlSX_E0_NS1_11comp_targetILNS1_3genE3ELNS1_11target_archE908ELNS1_3gpuE7ELNS1_3repE0EEENS1_38merge_mergepath_config_static_selectorELNS0_4arch9wavefront6targetE1EEEvSJ_
	.p2align	8
	.type	_ZN7rocprim17ROCPRIM_400000_NS6detail17trampoline_kernelINS0_14default_configENS1_38merge_sort_block_merge_config_selectorIssEEZZNS1_27merge_sort_block_merge_implIS3_N6thrust23THRUST_200600_302600_NS6detail15normal_iteratorINS8_10device_ptrIsEEEESD_jNS1_19radix_merge_compareILb0ELb1EsNS0_19identity_decomposerEEEEE10hipError_tT0_T1_T2_jT3_P12ihipStream_tbPNSt15iterator_traitsISI_E10value_typeEPNSO_ISJ_E10value_typeEPSK_NS1_7vsmem_tEENKUlT_SI_SJ_SK_E_clIPsSD_S10_SD_EESH_SX_SI_SJ_SK_EUlSX_E0_NS1_11comp_targetILNS1_3genE3ELNS1_11target_archE908ELNS1_3gpuE7ELNS1_3repE0EEENS1_38merge_mergepath_config_static_selectorELNS0_4arch9wavefront6targetE1EEEvSJ_,@function
_ZN7rocprim17ROCPRIM_400000_NS6detail17trampoline_kernelINS0_14default_configENS1_38merge_sort_block_merge_config_selectorIssEEZZNS1_27merge_sort_block_merge_implIS3_N6thrust23THRUST_200600_302600_NS6detail15normal_iteratorINS8_10device_ptrIsEEEESD_jNS1_19radix_merge_compareILb0ELb1EsNS0_19identity_decomposerEEEEE10hipError_tT0_T1_T2_jT3_P12ihipStream_tbPNSt15iterator_traitsISI_E10value_typeEPNSO_ISJ_E10value_typeEPSK_NS1_7vsmem_tEENKUlT_SI_SJ_SK_E_clIPsSD_S10_SD_EESH_SX_SI_SJ_SK_EUlSX_E0_NS1_11comp_targetILNS1_3genE3ELNS1_11target_archE908ELNS1_3gpuE7ELNS1_3repE0EEENS1_38merge_mergepath_config_static_selectorELNS0_4arch9wavefront6targetE1EEEvSJ_: ; @_ZN7rocprim17ROCPRIM_400000_NS6detail17trampoline_kernelINS0_14default_configENS1_38merge_sort_block_merge_config_selectorIssEEZZNS1_27merge_sort_block_merge_implIS3_N6thrust23THRUST_200600_302600_NS6detail15normal_iteratorINS8_10device_ptrIsEEEESD_jNS1_19radix_merge_compareILb0ELb1EsNS0_19identity_decomposerEEEEE10hipError_tT0_T1_T2_jT3_P12ihipStream_tbPNSt15iterator_traitsISI_E10value_typeEPNSO_ISJ_E10value_typeEPSK_NS1_7vsmem_tEENKUlT_SI_SJ_SK_E_clIPsSD_S10_SD_EESH_SX_SI_SJ_SK_EUlSX_E0_NS1_11comp_targetILNS1_3genE3ELNS1_11target_archE908ELNS1_3gpuE7ELNS1_3repE0EEENS1_38merge_mergepath_config_static_selectorELNS0_4arch9wavefront6targetE1EEEvSJ_
; %bb.0:
	.section	.rodata,"a",@progbits
	.p2align	6, 0x0
	.amdhsa_kernel _ZN7rocprim17ROCPRIM_400000_NS6detail17trampoline_kernelINS0_14default_configENS1_38merge_sort_block_merge_config_selectorIssEEZZNS1_27merge_sort_block_merge_implIS3_N6thrust23THRUST_200600_302600_NS6detail15normal_iteratorINS8_10device_ptrIsEEEESD_jNS1_19radix_merge_compareILb0ELb1EsNS0_19identity_decomposerEEEEE10hipError_tT0_T1_T2_jT3_P12ihipStream_tbPNSt15iterator_traitsISI_E10value_typeEPNSO_ISJ_E10value_typeEPSK_NS1_7vsmem_tEENKUlT_SI_SJ_SK_E_clIPsSD_S10_SD_EESH_SX_SI_SJ_SK_EUlSX_E0_NS1_11comp_targetILNS1_3genE3ELNS1_11target_archE908ELNS1_3gpuE7ELNS1_3repE0EEENS1_38merge_mergepath_config_static_selectorELNS0_4arch9wavefront6targetE1EEEvSJ_
		.amdhsa_group_segment_fixed_size 0
		.amdhsa_private_segment_fixed_size 0
		.amdhsa_kernarg_size 64
		.amdhsa_user_sgpr_count 2
		.amdhsa_user_sgpr_dispatch_ptr 0
		.amdhsa_user_sgpr_queue_ptr 0
		.amdhsa_user_sgpr_kernarg_segment_ptr 1
		.amdhsa_user_sgpr_dispatch_id 0
		.amdhsa_user_sgpr_kernarg_preload_length 0
		.amdhsa_user_sgpr_kernarg_preload_offset 0
		.amdhsa_user_sgpr_private_segment_size 0
		.amdhsa_uses_dynamic_stack 0
		.amdhsa_enable_private_segment 0
		.amdhsa_system_sgpr_workgroup_id_x 1
		.amdhsa_system_sgpr_workgroup_id_y 0
		.amdhsa_system_sgpr_workgroup_id_z 0
		.amdhsa_system_sgpr_workgroup_info 0
		.amdhsa_system_vgpr_workitem_id 0
		.amdhsa_next_free_vgpr 1
		.amdhsa_next_free_sgpr 0
		.amdhsa_accum_offset 4
		.amdhsa_reserve_vcc 0
		.amdhsa_float_round_mode_32 0
		.amdhsa_float_round_mode_16_64 0
		.amdhsa_float_denorm_mode_32 3
		.amdhsa_float_denorm_mode_16_64 3
		.amdhsa_dx10_clamp 1
		.amdhsa_ieee_mode 1
		.amdhsa_fp16_overflow 0
		.amdhsa_tg_split 0
		.amdhsa_exception_fp_ieee_invalid_op 0
		.amdhsa_exception_fp_denorm_src 0
		.amdhsa_exception_fp_ieee_div_zero 0
		.amdhsa_exception_fp_ieee_overflow 0
		.amdhsa_exception_fp_ieee_underflow 0
		.amdhsa_exception_fp_ieee_inexact 0
		.amdhsa_exception_int_div_zero 0
	.end_amdhsa_kernel
	.section	.text._ZN7rocprim17ROCPRIM_400000_NS6detail17trampoline_kernelINS0_14default_configENS1_38merge_sort_block_merge_config_selectorIssEEZZNS1_27merge_sort_block_merge_implIS3_N6thrust23THRUST_200600_302600_NS6detail15normal_iteratorINS8_10device_ptrIsEEEESD_jNS1_19radix_merge_compareILb0ELb1EsNS0_19identity_decomposerEEEEE10hipError_tT0_T1_T2_jT3_P12ihipStream_tbPNSt15iterator_traitsISI_E10value_typeEPNSO_ISJ_E10value_typeEPSK_NS1_7vsmem_tEENKUlT_SI_SJ_SK_E_clIPsSD_S10_SD_EESH_SX_SI_SJ_SK_EUlSX_E0_NS1_11comp_targetILNS1_3genE3ELNS1_11target_archE908ELNS1_3gpuE7ELNS1_3repE0EEENS1_38merge_mergepath_config_static_selectorELNS0_4arch9wavefront6targetE1EEEvSJ_,"axG",@progbits,_ZN7rocprim17ROCPRIM_400000_NS6detail17trampoline_kernelINS0_14default_configENS1_38merge_sort_block_merge_config_selectorIssEEZZNS1_27merge_sort_block_merge_implIS3_N6thrust23THRUST_200600_302600_NS6detail15normal_iteratorINS8_10device_ptrIsEEEESD_jNS1_19radix_merge_compareILb0ELb1EsNS0_19identity_decomposerEEEEE10hipError_tT0_T1_T2_jT3_P12ihipStream_tbPNSt15iterator_traitsISI_E10value_typeEPNSO_ISJ_E10value_typeEPSK_NS1_7vsmem_tEENKUlT_SI_SJ_SK_E_clIPsSD_S10_SD_EESH_SX_SI_SJ_SK_EUlSX_E0_NS1_11comp_targetILNS1_3genE3ELNS1_11target_archE908ELNS1_3gpuE7ELNS1_3repE0EEENS1_38merge_mergepath_config_static_selectorELNS0_4arch9wavefront6targetE1EEEvSJ_,comdat
.Lfunc_end1579:
	.size	_ZN7rocprim17ROCPRIM_400000_NS6detail17trampoline_kernelINS0_14default_configENS1_38merge_sort_block_merge_config_selectorIssEEZZNS1_27merge_sort_block_merge_implIS3_N6thrust23THRUST_200600_302600_NS6detail15normal_iteratorINS8_10device_ptrIsEEEESD_jNS1_19radix_merge_compareILb0ELb1EsNS0_19identity_decomposerEEEEE10hipError_tT0_T1_T2_jT3_P12ihipStream_tbPNSt15iterator_traitsISI_E10value_typeEPNSO_ISJ_E10value_typeEPSK_NS1_7vsmem_tEENKUlT_SI_SJ_SK_E_clIPsSD_S10_SD_EESH_SX_SI_SJ_SK_EUlSX_E0_NS1_11comp_targetILNS1_3genE3ELNS1_11target_archE908ELNS1_3gpuE7ELNS1_3repE0EEENS1_38merge_mergepath_config_static_selectorELNS0_4arch9wavefront6targetE1EEEvSJ_, .Lfunc_end1579-_ZN7rocprim17ROCPRIM_400000_NS6detail17trampoline_kernelINS0_14default_configENS1_38merge_sort_block_merge_config_selectorIssEEZZNS1_27merge_sort_block_merge_implIS3_N6thrust23THRUST_200600_302600_NS6detail15normal_iteratorINS8_10device_ptrIsEEEESD_jNS1_19radix_merge_compareILb0ELb1EsNS0_19identity_decomposerEEEEE10hipError_tT0_T1_T2_jT3_P12ihipStream_tbPNSt15iterator_traitsISI_E10value_typeEPNSO_ISJ_E10value_typeEPSK_NS1_7vsmem_tEENKUlT_SI_SJ_SK_E_clIPsSD_S10_SD_EESH_SX_SI_SJ_SK_EUlSX_E0_NS1_11comp_targetILNS1_3genE3ELNS1_11target_archE908ELNS1_3gpuE7ELNS1_3repE0EEENS1_38merge_mergepath_config_static_selectorELNS0_4arch9wavefront6targetE1EEEvSJ_
                                        ; -- End function
	.set _ZN7rocprim17ROCPRIM_400000_NS6detail17trampoline_kernelINS0_14default_configENS1_38merge_sort_block_merge_config_selectorIssEEZZNS1_27merge_sort_block_merge_implIS3_N6thrust23THRUST_200600_302600_NS6detail15normal_iteratorINS8_10device_ptrIsEEEESD_jNS1_19radix_merge_compareILb0ELb1EsNS0_19identity_decomposerEEEEE10hipError_tT0_T1_T2_jT3_P12ihipStream_tbPNSt15iterator_traitsISI_E10value_typeEPNSO_ISJ_E10value_typeEPSK_NS1_7vsmem_tEENKUlT_SI_SJ_SK_E_clIPsSD_S10_SD_EESH_SX_SI_SJ_SK_EUlSX_E0_NS1_11comp_targetILNS1_3genE3ELNS1_11target_archE908ELNS1_3gpuE7ELNS1_3repE0EEENS1_38merge_mergepath_config_static_selectorELNS0_4arch9wavefront6targetE1EEEvSJ_.num_vgpr, 0
	.set _ZN7rocprim17ROCPRIM_400000_NS6detail17trampoline_kernelINS0_14default_configENS1_38merge_sort_block_merge_config_selectorIssEEZZNS1_27merge_sort_block_merge_implIS3_N6thrust23THRUST_200600_302600_NS6detail15normal_iteratorINS8_10device_ptrIsEEEESD_jNS1_19radix_merge_compareILb0ELb1EsNS0_19identity_decomposerEEEEE10hipError_tT0_T1_T2_jT3_P12ihipStream_tbPNSt15iterator_traitsISI_E10value_typeEPNSO_ISJ_E10value_typeEPSK_NS1_7vsmem_tEENKUlT_SI_SJ_SK_E_clIPsSD_S10_SD_EESH_SX_SI_SJ_SK_EUlSX_E0_NS1_11comp_targetILNS1_3genE3ELNS1_11target_archE908ELNS1_3gpuE7ELNS1_3repE0EEENS1_38merge_mergepath_config_static_selectorELNS0_4arch9wavefront6targetE1EEEvSJ_.num_agpr, 0
	.set _ZN7rocprim17ROCPRIM_400000_NS6detail17trampoline_kernelINS0_14default_configENS1_38merge_sort_block_merge_config_selectorIssEEZZNS1_27merge_sort_block_merge_implIS3_N6thrust23THRUST_200600_302600_NS6detail15normal_iteratorINS8_10device_ptrIsEEEESD_jNS1_19radix_merge_compareILb0ELb1EsNS0_19identity_decomposerEEEEE10hipError_tT0_T1_T2_jT3_P12ihipStream_tbPNSt15iterator_traitsISI_E10value_typeEPNSO_ISJ_E10value_typeEPSK_NS1_7vsmem_tEENKUlT_SI_SJ_SK_E_clIPsSD_S10_SD_EESH_SX_SI_SJ_SK_EUlSX_E0_NS1_11comp_targetILNS1_3genE3ELNS1_11target_archE908ELNS1_3gpuE7ELNS1_3repE0EEENS1_38merge_mergepath_config_static_selectorELNS0_4arch9wavefront6targetE1EEEvSJ_.numbered_sgpr, 0
	.set _ZN7rocprim17ROCPRIM_400000_NS6detail17trampoline_kernelINS0_14default_configENS1_38merge_sort_block_merge_config_selectorIssEEZZNS1_27merge_sort_block_merge_implIS3_N6thrust23THRUST_200600_302600_NS6detail15normal_iteratorINS8_10device_ptrIsEEEESD_jNS1_19radix_merge_compareILb0ELb1EsNS0_19identity_decomposerEEEEE10hipError_tT0_T1_T2_jT3_P12ihipStream_tbPNSt15iterator_traitsISI_E10value_typeEPNSO_ISJ_E10value_typeEPSK_NS1_7vsmem_tEENKUlT_SI_SJ_SK_E_clIPsSD_S10_SD_EESH_SX_SI_SJ_SK_EUlSX_E0_NS1_11comp_targetILNS1_3genE3ELNS1_11target_archE908ELNS1_3gpuE7ELNS1_3repE0EEENS1_38merge_mergepath_config_static_selectorELNS0_4arch9wavefront6targetE1EEEvSJ_.num_named_barrier, 0
	.set _ZN7rocprim17ROCPRIM_400000_NS6detail17trampoline_kernelINS0_14default_configENS1_38merge_sort_block_merge_config_selectorIssEEZZNS1_27merge_sort_block_merge_implIS3_N6thrust23THRUST_200600_302600_NS6detail15normal_iteratorINS8_10device_ptrIsEEEESD_jNS1_19radix_merge_compareILb0ELb1EsNS0_19identity_decomposerEEEEE10hipError_tT0_T1_T2_jT3_P12ihipStream_tbPNSt15iterator_traitsISI_E10value_typeEPNSO_ISJ_E10value_typeEPSK_NS1_7vsmem_tEENKUlT_SI_SJ_SK_E_clIPsSD_S10_SD_EESH_SX_SI_SJ_SK_EUlSX_E0_NS1_11comp_targetILNS1_3genE3ELNS1_11target_archE908ELNS1_3gpuE7ELNS1_3repE0EEENS1_38merge_mergepath_config_static_selectorELNS0_4arch9wavefront6targetE1EEEvSJ_.private_seg_size, 0
	.set _ZN7rocprim17ROCPRIM_400000_NS6detail17trampoline_kernelINS0_14default_configENS1_38merge_sort_block_merge_config_selectorIssEEZZNS1_27merge_sort_block_merge_implIS3_N6thrust23THRUST_200600_302600_NS6detail15normal_iteratorINS8_10device_ptrIsEEEESD_jNS1_19radix_merge_compareILb0ELb1EsNS0_19identity_decomposerEEEEE10hipError_tT0_T1_T2_jT3_P12ihipStream_tbPNSt15iterator_traitsISI_E10value_typeEPNSO_ISJ_E10value_typeEPSK_NS1_7vsmem_tEENKUlT_SI_SJ_SK_E_clIPsSD_S10_SD_EESH_SX_SI_SJ_SK_EUlSX_E0_NS1_11comp_targetILNS1_3genE3ELNS1_11target_archE908ELNS1_3gpuE7ELNS1_3repE0EEENS1_38merge_mergepath_config_static_selectorELNS0_4arch9wavefront6targetE1EEEvSJ_.uses_vcc, 0
	.set _ZN7rocprim17ROCPRIM_400000_NS6detail17trampoline_kernelINS0_14default_configENS1_38merge_sort_block_merge_config_selectorIssEEZZNS1_27merge_sort_block_merge_implIS3_N6thrust23THRUST_200600_302600_NS6detail15normal_iteratorINS8_10device_ptrIsEEEESD_jNS1_19radix_merge_compareILb0ELb1EsNS0_19identity_decomposerEEEEE10hipError_tT0_T1_T2_jT3_P12ihipStream_tbPNSt15iterator_traitsISI_E10value_typeEPNSO_ISJ_E10value_typeEPSK_NS1_7vsmem_tEENKUlT_SI_SJ_SK_E_clIPsSD_S10_SD_EESH_SX_SI_SJ_SK_EUlSX_E0_NS1_11comp_targetILNS1_3genE3ELNS1_11target_archE908ELNS1_3gpuE7ELNS1_3repE0EEENS1_38merge_mergepath_config_static_selectorELNS0_4arch9wavefront6targetE1EEEvSJ_.uses_flat_scratch, 0
	.set _ZN7rocprim17ROCPRIM_400000_NS6detail17trampoline_kernelINS0_14default_configENS1_38merge_sort_block_merge_config_selectorIssEEZZNS1_27merge_sort_block_merge_implIS3_N6thrust23THRUST_200600_302600_NS6detail15normal_iteratorINS8_10device_ptrIsEEEESD_jNS1_19radix_merge_compareILb0ELb1EsNS0_19identity_decomposerEEEEE10hipError_tT0_T1_T2_jT3_P12ihipStream_tbPNSt15iterator_traitsISI_E10value_typeEPNSO_ISJ_E10value_typeEPSK_NS1_7vsmem_tEENKUlT_SI_SJ_SK_E_clIPsSD_S10_SD_EESH_SX_SI_SJ_SK_EUlSX_E0_NS1_11comp_targetILNS1_3genE3ELNS1_11target_archE908ELNS1_3gpuE7ELNS1_3repE0EEENS1_38merge_mergepath_config_static_selectorELNS0_4arch9wavefront6targetE1EEEvSJ_.has_dyn_sized_stack, 0
	.set _ZN7rocprim17ROCPRIM_400000_NS6detail17trampoline_kernelINS0_14default_configENS1_38merge_sort_block_merge_config_selectorIssEEZZNS1_27merge_sort_block_merge_implIS3_N6thrust23THRUST_200600_302600_NS6detail15normal_iteratorINS8_10device_ptrIsEEEESD_jNS1_19radix_merge_compareILb0ELb1EsNS0_19identity_decomposerEEEEE10hipError_tT0_T1_T2_jT3_P12ihipStream_tbPNSt15iterator_traitsISI_E10value_typeEPNSO_ISJ_E10value_typeEPSK_NS1_7vsmem_tEENKUlT_SI_SJ_SK_E_clIPsSD_S10_SD_EESH_SX_SI_SJ_SK_EUlSX_E0_NS1_11comp_targetILNS1_3genE3ELNS1_11target_archE908ELNS1_3gpuE7ELNS1_3repE0EEENS1_38merge_mergepath_config_static_selectorELNS0_4arch9wavefront6targetE1EEEvSJ_.has_recursion, 0
	.set _ZN7rocprim17ROCPRIM_400000_NS6detail17trampoline_kernelINS0_14default_configENS1_38merge_sort_block_merge_config_selectorIssEEZZNS1_27merge_sort_block_merge_implIS3_N6thrust23THRUST_200600_302600_NS6detail15normal_iteratorINS8_10device_ptrIsEEEESD_jNS1_19radix_merge_compareILb0ELb1EsNS0_19identity_decomposerEEEEE10hipError_tT0_T1_T2_jT3_P12ihipStream_tbPNSt15iterator_traitsISI_E10value_typeEPNSO_ISJ_E10value_typeEPSK_NS1_7vsmem_tEENKUlT_SI_SJ_SK_E_clIPsSD_S10_SD_EESH_SX_SI_SJ_SK_EUlSX_E0_NS1_11comp_targetILNS1_3genE3ELNS1_11target_archE908ELNS1_3gpuE7ELNS1_3repE0EEENS1_38merge_mergepath_config_static_selectorELNS0_4arch9wavefront6targetE1EEEvSJ_.has_indirect_call, 0
	.section	.AMDGPU.csdata,"",@progbits
; Kernel info:
; codeLenInByte = 0
; TotalNumSgprs: 6
; NumVgprs: 0
; NumAgprs: 0
; TotalNumVgprs: 0
; ScratchSize: 0
; MemoryBound: 0
; FloatMode: 240
; IeeeMode: 1
; LDSByteSize: 0 bytes/workgroup (compile time only)
; SGPRBlocks: 0
; VGPRBlocks: 0
; NumSGPRsForWavesPerEU: 6
; NumVGPRsForWavesPerEU: 1
; AccumOffset: 4
; Occupancy: 8
; WaveLimiterHint : 0
; COMPUTE_PGM_RSRC2:SCRATCH_EN: 0
; COMPUTE_PGM_RSRC2:USER_SGPR: 2
; COMPUTE_PGM_RSRC2:TRAP_HANDLER: 0
; COMPUTE_PGM_RSRC2:TGID_X_EN: 1
; COMPUTE_PGM_RSRC2:TGID_Y_EN: 0
; COMPUTE_PGM_RSRC2:TGID_Z_EN: 0
; COMPUTE_PGM_RSRC2:TIDIG_COMP_CNT: 0
; COMPUTE_PGM_RSRC3_GFX90A:ACCUM_OFFSET: 0
; COMPUTE_PGM_RSRC3_GFX90A:TG_SPLIT: 0
	.section	.text._ZN7rocprim17ROCPRIM_400000_NS6detail17trampoline_kernelINS0_14default_configENS1_38merge_sort_block_merge_config_selectorIssEEZZNS1_27merge_sort_block_merge_implIS3_N6thrust23THRUST_200600_302600_NS6detail15normal_iteratorINS8_10device_ptrIsEEEESD_jNS1_19radix_merge_compareILb0ELb1EsNS0_19identity_decomposerEEEEE10hipError_tT0_T1_T2_jT3_P12ihipStream_tbPNSt15iterator_traitsISI_E10value_typeEPNSO_ISJ_E10value_typeEPSK_NS1_7vsmem_tEENKUlT_SI_SJ_SK_E_clIPsSD_S10_SD_EESH_SX_SI_SJ_SK_EUlSX_E0_NS1_11comp_targetILNS1_3genE2ELNS1_11target_archE906ELNS1_3gpuE6ELNS1_3repE0EEENS1_38merge_mergepath_config_static_selectorELNS0_4arch9wavefront6targetE1EEEvSJ_,"axG",@progbits,_ZN7rocprim17ROCPRIM_400000_NS6detail17trampoline_kernelINS0_14default_configENS1_38merge_sort_block_merge_config_selectorIssEEZZNS1_27merge_sort_block_merge_implIS3_N6thrust23THRUST_200600_302600_NS6detail15normal_iteratorINS8_10device_ptrIsEEEESD_jNS1_19radix_merge_compareILb0ELb1EsNS0_19identity_decomposerEEEEE10hipError_tT0_T1_T2_jT3_P12ihipStream_tbPNSt15iterator_traitsISI_E10value_typeEPNSO_ISJ_E10value_typeEPSK_NS1_7vsmem_tEENKUlT_SI_SJ_SK_E_clIPsSD_S10_SD_EESH_SX_SI_SJ_SK_EUlSX_E0_NS1_11comp_targetILNS1_3genE2ELNS1_11target_archE906ELNS1_3gpuE6ELNS1_3repE0EEENS1_38merge_mergepath_config_static_selectorELNS0_4arch9wavefront6targetE1EEEvSJ_,comdat
	.protected	_ZN7rocprim17ROCPRIM_400000_NS6detail17trampoline_kernelINS0_14default_configENS1_38merge_sort_block_merge_config_selectorIssEEZZNS1_27merge_sort_block_merge_implIS3_N6thrust23THRUST_200600_302600_NS6detail15normal_iteratorINS8_10device_ptrIsEEEESD_jNS1_19radix_merge_compareILb0ELb1EsNS0_19identity_decomposerEEEEE10hipError_tT0_T1_T2_jT3_P12ihipStream_tbPNSt15iterator_traitsISI_E10value_typeEPNSO_ISJ_E10value_typeEPSK_NS1_7vsmem_tEENKUlT_SI_SJ_SK_E_clIPsSD_S10_SD_EESH_SX_SI_SJ_SK_EUlSX_E0_NS1_11comp_targetILNS1_3genE2ELNS1_11target_archE906ELNS1_3gpuE6ELNS1_3repE0EEENS1_38merge_mergepath_config_static_selectorELNS0_4arch9wavefront6targetE1EEEvSJ_ ; -- Begin function _ZN7rocprim17ROCPRIM_400000_NS6detail17trampoline_kernelINS0_14default_configENS1_38merge_sort_block_merge_config_selectorIssEEZZNS1_27merge_sort_block_merge_implIS3_N6thrust23THRUST_200600_302600_NS6detail15normal_iteratorINS8_10device_ptrIsEEEESD_jNS1_19radix_merge_compareILb0ELb1EsNS0_19identity_decomposerEEEEE10hipError_tT0_T1_T2_jT3_P12ihipStream_tbPNSt15iterator_traitsISI_E10value_typeEPNSO_ISJ_E10value_typeEPSK_NS1_7vsmem_tEENKUlT_SI_SJ_SK_E_clIPsSD_S10_SD_EESH_SX_SI_SJ_SK_EUlSX_E0_NS1_11comp_targetILNS1_3genE2ELNS1_11target_archE906ELNS1_3gpuE6ELNS1_3repE0EEENS1_38merge_mergepath_config_static_selectorELNS0_4arch9wavefront6targetE1EEEvSJ_
	.globl	_ZN7rocprim17ROCPRIM_400000_NS6detail17trampoline_kernelINS0_14default_configENS1_38merge_sort_block_merge_config_selectorIssEEZZNS1_27merge_sort_block_merge_implIS3_N6thrust23THRUST_200600_302600_NS6detail15normal_iteratorINS8_10device_ptrIsEEEESD_jNS1_19radix_merge_compareILb0ELb1EsNS0_19identity_decomposerEEEEE10hipError_tT0_T1_T2_jT3_P12ihipStream_tbPNSt15iterator_traitsISI_E10value_typeEPNSO_ISJ_E10value_typeEPSK_NS1_7vsmem_tEENKUlT_SI_SJ_SK_E_clIPsSD_S10_SD_EESH_SX_SI_SJ_SK_EUlSX_E0_NS1_11comp_targetILNS1_3genE2ELNS1_11target_archE906ELNS1_3gpuE6ELNS1_3repE0EEENS1_38merge_mergepath_config_static_selectorELNS0_4arch9wavefront6targetE1EEEvSJ_
	.p2align	8
	.type	_ZN7rocprim17ROCPRIM_400000_NS6detail17trampoline_kernelINS0_14default_configENS1_38merge_sort_block_merge_config_selectorIssEEZZNS1_27merge_sort_block_merge_implIS3_N6thrust23THRUST_200600_302600_NS6detail15normal_iteratorINS8_10device_ptrIsEEEESD_jNS1_19radix_merge_compareILb0ELb1EsNS0_19identity_decomposerEEEEE10hipError_tT0_T1_T2_jT3_P12ihipStream_tbPNSt15iterator_traitsISI_E10value_typeEPNSO_ISJ_E10value_typeEPSK_NS1_7vsmem_tEENKUlT_SI_SJ_SK_E_clIPsSD_S10_SD_EESH_SX_SI_SJ_SK_EUlSX_E0_NS1_11comp_targetILNS1_3genE2ELNS1_11target_archE906ELNS1_3gpuE6ELNS1_3repE0EEENS1_38merge_mergepath_config_static_selectorELNS0_4arch9wavefront6targetE1EEEvSJ_,@function
_ZN7rocprim17ROCPRIM_400000_NS6detail17trampoline_kernelINS0_14default_configENS1_38merge_sort_block_merge_config_selectorIssEEZZNS1_27merge_sort_block_merge_implIS3_N6thrust23THRUST_200600_302600_NS6detail15normal_iteratorINS8_10device_ptrIsEEEESD_jNS1_19radix_merge_compareILb0ELb1EsNS0_19identity_decomposerEEEEE10hipError_tT0_T1_T2_jT3_P12ihipStream_tbPNSt15iterator_traitsISI_E10value_typeEPNSO_ISJ_E10value_typeEPSK_NS1_7vsmem_tEENKUlT_SI_SJ_SK_E_clIPsSD_S10_SD_EESH_SX_SI_SJ_SK_EUlSX_E0_NS1_11comp_targetILNS1_3genE2ELNS1_11target_archE906ELNS1_3gpuE6ELNS1_3repE0EEENS1_38merge_mergepath_config_static_selectorELNS0_4arch9wavefront6targetE1EEEvSJ_: ; @_ZN7rocprim17ROCPRIM_400000_NS6detail17trampoline_kernelINS0_14default_configENS1_38merge_sort_block_merge_config_selectorIssEEZZNS1_27merge_sort_block_merge_implIS3_N6thrust23THRUST_200600_302600_NS6detail15normal_iteratorINS8_10device_ptrIsEEEESD_jNS1_19radix_merge_compareILb0ELb1EsNS0_19identity_decomposerEEEEE10hipError_tT0_T1_T2_jT3_P12ihipStream_tbPNSt15iterator_traitsISI_E10value_typeEPNSO_ISJ_E10value_typeEPSK_NS1_7vsmem_tEENKUlT_SI_SJ_SK_E_clIPsSD_S10_SD_EESH_SX_SI_SJ_SK_EUlSX_E0_NS1_11comp_targetILNS1_3genE2ELNS1_11target_archE906ELNS1_3gpuE6ELNS1_3repE0EEENS1_38merge_mergepath_config_static_selectorELNS0_4arch9wavefront6targetE1EEEvSJ_
; %bb.0:
	.section	.rodata,"a",@progbits
	.p2align	6, 0x0
	.amdhsa_kernel _ZN7rocprim17ROCPRIM_400000_NS6detail17trampoline_kernelINS0_14default_configENS1_38merge_sort_block_merge_config_selectorIssEEZZNS1_27merge_sort_block_merge_implIS3_N6thrust23THRUST_200600_302600_NS6detail15normal_iteratorINS8_10device_ptrIsEEEESD_jNS1_19radix_merge_compareILb0ELb1EsNS0_19identity_decomposerEEEEE10hipError_tT0_T1_T2_jT3_P12ihipStream_tbPNSt15iterator_traitsISI_E10value_typeEPNSO_ISJ_E10value_typeEPSK_NS1_7vsmem_tEENKUlT_SI_SJ_SK_E_clIPsSD_S10_SD_EESH_SX_SI_SJ_SK_EUlSX_E0_NS1_11comp_targetILNS1_3genE2ELNS1_11target_archE906ELNS1_3gpuE6ELNS1_3repE0EEENS1_38merge_mergepath_config_static_selectorELNS0_4arch9wavefront6targetE1EEEvSJ_
		.amdhsa_group_segment_fixed_size 0
		.amdhsa_private_segment_fixed_size 0
		.amdhsa_kernarg_size 64
		.amdhsa_user_sgpr_count 2
		.amdhsa_user_sgpr_dispatch_ptr 0
		.amdhsa_user_sgpr_queue_ptr 0
		.amdhsa_user_sgpr_kernarg_segment_ptr 1
		.amdhsa_user_sgpr_dispatch_id 0
		.amdhsa_user_sgpr_kernarg_preload_length 0
		.amdhsa_user_sgpr_kernarg_preload_offset 0
		.amdhsa_user_sgpr_private_segment_size 0
		.amdhsa_uses_dynamic_stack 0
		.amdhsa_enable_private_segment 0
		.amdhsa_system_sgpr_workgroup_id_x 1
		.amdhsa_system_sgpr_workgroup_id_y 0
		.amdhsa_system_sgpr_workgroup_id_z 0
		.amdhsa_system_sgpr_workgroup_info 0
		.amdhsa_system_vgpr_workitem_id 0
		.amdhsa_next_free_vgpr 1
		.amdhsa_next_free_sgpr 0
		.amdhsa_accum_offset 4
		.amdhsa_reserve_vcc 0
		.amdhsa_float_round_mode_32 0
		.amdhsa_float_round_mode_16_64 0
		.amdhsa_float_denorm_mode_32 3
		.amdhsa_float_denorm_mode_16_64 3
		.amdhsa_dx10_clamp 1
		.amdhsa_ieee_mode 1
		.amdhsa_fp16_overflow 0
		.amdhsa_tg_split 0
		.amdhsa_exception_fp_ieee_invalid_op 0
		.amdhsa_exception_fp_denorm_src 0
		.amdhsa_exception_fp_ieee_div_zero 0
		.amdhsa_exception_fp_ieee_overflow 0
		.amdhsa_exception_fp_ieee_underflow 0
		.amdhsa_exception_fp_ieee_inexact 0
		.amdhsa_exception_int_div_zero 0
	.end_amdhsa_kernel
	.section	.text._ZN7rocprim17ROCPRIM_400000_NS6detail17trampoline_kernelINS0_14default_configENS1_38merge_sort_block_merge_config_selectorIssEEZZNS1_27merge_sort_block_merge_implIS3_N6thrust23THRUST_200600_302600_NS6detail15normal_iteratorINS8_10device_ptrIsEEEESD_jNS1_19radix_merge_compareILb0ELb1EsNS0_19identity_decomposerEEEEE10hipError_tT0_T1_T2_jT3_P12ihipStream_tbPNSt15iterator_traitsISI_E10value_typeEPNSO_ISJ_E10value_typeEPSK_NS1_7vsmem_tEENKUlT_SI_SJ_SK_E_clIPsSD_S10_SD_EESH_SX_SI_SJ_SK_EUlSX_E0_NS1_11comp_targetILNS1_3genE2ELNS1_11target_archE906ELNS1_3gpuE6ELNS1_3repE0EEENS1_38merge_mergepath_config_static_selectorELNS0_4arch9wavefront6targetE1EEEvSJ_,"axG",@progbits,_ZN7rocprim17ROCPRIM_400000_NS6detail17trampoline_kernelINS0_14default_configENS1_38merge_sort_block_merge_config_selectorIssEEZZNS1_27merge_sort_block_merge_implIS3_N6thrust23THRUST_200600_302600_NS6detail15normal_iteratorINS8_10device_ptrIsEEEESD_jNS1_19radix_merge_compareILb0ELb1EsNS0_19identity_decomposerEEEEE10hipError_tT0_T1_T2_jT3_P12ihipStream_tbPNSt15iterator_traitsISI_E10value_typeEPNSO_ISJ_E10value_typeEPSK_NS1_7vsmem_tEENKUlT_SI_SJ_SK_E_clIPsSD_S10_SD_EESH_SX_SI_SJ_SK_EUlSX_E0_NS1_11comp_targetILNS1_3genE2ELNS1_11target_archE906ELNS1_3gpuE6ELNS1_3repE0EEENS1_38merge_mergepath_config_static_selectorELNS0_4arch9wavefront6targetE1EEEvSJ_,comdat
.Lfunc_end1580:
	.size	_ZN7rocprim17ROCPRIM_400000_NS6detail17trampoline_kernelINS0_14default_configENS1_38merge_sort_block_merge_config_selectorIssEEZZNS1_27merge_sort_block_merge_implIS3_N6thrust23THRUST_200600_302600_NS6detail15normal_iteratorINS8_10device_ptrIsEEEESD_jNS1_19radix_merge_compareILb0ELb1EsNS0_19identity_decomposerEEEEE10hipError_tT0_T1_T2_jT3_P12ihipStream_tbPNSt15iterator_traitsISI_E10value_typeEPNSO_ISJ_E10value_typeEPSK_NS1_7vsmem_tEENKUlT_SI_SJ_SK_E_clIPsSD_S10_SD_EESH_SX_SI_SJ_SK_EUlSX_E0_NS1_11comp_targetILNS1_3genE2ELNS1_11target_archE906ELNS1_3gpuE6ELNS1_3repE0EEENS1_38merge_mergepath_config_static_selectorELNS0_4arch9wavefront6targetE1EEEvSJ_, .Lfunc_end1580-_ZN7rocprim17ROCPRIM_400000_NS6detail17trampoline_kernelINS0_14default_configENS1_38merge_sort_block_merge_config_selectorIssEEZZNS1_27merge_sort_block_merge_implIS3_N6thrust23THRUST_200600_302600_NS6detail15normal_iteratorINS8_10device_ptrIsEEEESD_jNS1_19radix_merge_compareILb0ELb1EsNS0_19identity_decomposerEEEEE10hipError_tT0_T1_T2_jT3_P12ihipStream_tbPNSt15iterator_traitsISI_E10value_typeEPNSO_ISJ_E10value_typeEPSK_NS1_7vsmem_tEENKUlT_SI_SJ_SK_E_clIPsSD_S10_SD_EESH_SX_SI_SJ_SK_EUlSX_E0_NS1_11comp_targetILNS1_3genE2ELNS1_11target_archE906ELNS1_3gpuE6ELNS1_3repE0EEENS1_38merge_mergepath_config_static_selectorELNS0_4arch9wavefront6targetE1EEEvSJ_
                                        ; -- End function
	.set _ZN7rocprim17ROCPRIM_400000_NS6detail17trampoline_kernelINS0_14default_configENS1_38merge_sort_block_merge_config_selectorIssEEZZNS1_27merge_sort_block_merge_implIS3_N6thrust23THRUST_200600_302600_NS6detail15normal_iteratorINS8_10device_ptrIsEEEESD_jNS1_19radix_merge_compareILb0ELb1EsNS0_19identity_decomposerEEEEE10hipError_tT0_T1_T2_jT3_P12ihipStream_tbPNSt15iterator_traitsISI_E10value_typeEPNSO_ISJ_E10value_typeEPSK_NS1_7vsmem_tEENKUlT_SI_SJ_SK_E_clIPsSD_S10_SD_EESH_SX_SI_SJ_SK_EUlSX_E0_NS1_11comp_targetILNS1_3genE2ELNS1_11target_archE906ELNS1_3gpuE6ELNS1_3repE0EEENS1_38merge_mergepath_config_static_selectorELNS0_4arch9wavefront6targetE1EEEvSJ_.num_vgpr, 0
	.set _ZN7rocprim17ROCPRIM_400000_NS6detail17trampoline_kernelINS0_14default_configENS1_38merge_sort_block_merge_config_selectorIssEEZZNS1_27merge_sort_block_merge_implIS3_N6thrust23THRUST_200600_302600_NS6detail15normal_iteratorINS8_10device_ptrIsEEEESD_jNS1_19radix_merge_compareILb0ELb1EsNS0_19identity_decomposerEEEEE10hipError_tT0_T1_T2_jT3_P12ihipStream_tbPNSt15iterator_traitsISI_E10value_typeEPNSO_ISJ_E10value_typeEPSK_NS1_7vsmem_tEENKUlT_SI_SJ_SK_E_clIPsSD_S10_SD_EESH_SX_SI_SJ_SK_EUlSX_E0_NS1_11comp_targetILNS1_3genE2ELNS1_11target_archE906ELNS1_3gpuE6ELNS1_3repE0EEENS1_38merge_mergepath_config_static_selectorELNS0_4arch9wavefront6targetE1EEEvSJ_.num_agpr, 0
	.set _ZN7rocprim17ROCPRIM_400000_NS6detail17trampoline_kernelINS0_14default_configENS1_38merge_sort_block_merge_config_selectorIssEEZZNS1_27merge_sort_block_merge_implIS3_N6thrust23THRUST_200600_302600_NS6detail15normal_iteratorINS8_10device_ptrIsEEEESD_jNS1_19radix_merge_compareILb0ELb1EsNS0_19identity_decomposerEEEEE10hipError_tT0_T1_T2_jT3_P12ihipStream_tbPNSt15iterator_traitsISI_E10value_typeEPNSO_ISJ_E10value_typeEPSK_NS1_7vsmem_tEENKUlT_SI_SJ_SK_E_clIPsSD_S10_SD_EESH_SX_SI_SJ_SK_EUlSX_E0_NS1_11comp_targetILNS1_3genE2ELNS1_11target_archE906ELNS1_3gpuE6ELNS1_3repE0EEENS1_38merge_mergepath_config_static_selectorELNS0_4arch9wavefront6targetE1EEEvSJ_.numbered_sgpr, 0
	.set _ZN7rocprim17ROCPRIM_400000_NS6detail17trampoline_kernelINS0_14default_configENS1_38merge_sort_block_merge_config_selectorIssEEZZNS1_27merge_sort_block_merge_implIS3_N6thrust23THRUST_200600_302600_NS6detail15normal_iteratorINS8_10device_ptrIsEEEESD_jNS1_19radix_merge_compareILb0ELb1EsNS0_19identity_decomposerEEEEE10hipError_tT0_T1_T2_jT3_P12ihipStream_tbPNSt15iterator_traitsISI_E10value_typeEPNSO_ISJ_E10value_typeEPSK_NS1_7vsmem_tEENKUlT_SI_SJ_SK_E_clIPsSD_S10_SD_EESH_SX_SI_SJ_SK_EUlSX_E0_NS1_11comp_targetILNS1_3genE2ELNS1_11target_archE906ELNS1_3gpuE6ELNS1_3repE0EEENS1_38merge_mergepath_config_static_selectorELNS0_4arch9wavefront6targetE1EEEvSJ_.num_named_barrier, 0
	.set _ZN7rocprim17ROCPRIM_400000_NS6detail17trampoline_kernelINS0_14default_configENS1_38merge_sort_block_merge_config_selectorIssEEZZNS1_27merge_sort_block_merge_implIS3_N6thrust23THRUST_200600_302600_NS6detail15normal_iteratorINS8_10device_ptrIsEEEESD_jNS1_19radix_merge_compareILb0ELb1EsNS0_19identity_decomposerEEEEE10hipError_tT0_T1_T2_jT3_P12ihipStream_tbPNSt15iterator_traitsISI_E10value_typeEPNSO_ISJ_E10value_typeEPSK_NS1_7vsmem_tEENKUlT_SI_SJ_SK_E_clIPsSD_S10_SD_EESH_SX_SI_SJ_SK_EUlSX_E0_NS1_11comp_targetILNS1_3genE2ELNS1_11target_archE906ELNS1_3gpuE6ELNS1_3repE0EEENS1_38merge_mergepath_config_static_selectorELNS0_4arch9wavefront6targetE1EEEvSJ_.private_seg_size, 0
	.set _ZN7rocprim17ROCPRIM_400000_NS6detail17trampoline_kernelINS0_14default_configENS1_38merge_sort_block_merge_config_selectorIssEEZZNS1_27merge_sort_block_merge_implIS3_N6thrust23THRUST_200600_302600_NS6detail15normal_iteratorINS8_10device_ptrIsEEEESD_jNS1_19radix_merge_compareILb0ELb1EsNS0_19identity_decomposerEEEEE10hipError_tT0_T1_T2_jT3_P12ihipStream_tbPNSt15iterator_traitsISI_E10value_typeEPNSO_ISJ_E10value_typeEPSK_NS1_7vsmem_tEENKUlT_SI_SJ_SK_E_clIPsSD_S10_SD_EESH_SX_SI_SJ_SK_EUlSX_E0_NS1_11comp_targetILNS1_3genE2ELNS1_11target_archE906ELNS1_3gpuE6ELNS1_3repE0EEENS1_38merge_mergepath_config_static_selectorELNS0_4arch9wavefront6targetE1EEEvSJ_.uses_vcc, 0
	.set _ZN7rocprim17ROCPRIM_400000_NS6detail17trampoline_kernelINS0_14default_configENS1_38merge_sort_block_merge_config_selectorIssEEZZNS1_27merge_sort_block_merge_implIS3_N6thrust23THRUST_200600_302600_NS6detail15normal_iteratorINS8_10device_ptrIsEEEESD_jNS1_19radix_merge_compareILb0ELb1EsNS0_19identity_decomposerEEEEE10hipError_tT0_T1_T2_jT3_P12ihipStream_tbPNSt15iterator_traitsISI_E10value_typeEPNSO_ISJ_E10value_typeEPSK_NS1_7vsmem_tEENKUlT_SI_SJ_SK_E_clIPsSD_S10_SD_EESH_SX_SI_SJ_SK_EUlSX_E0_NS1_11comp_targetILNS1_3genE2ELNS1_11target_archE906ELNS1_3gpuE6ELNS1_3repE0EEENS1_38merge_mergepath_config_static_selectorELNS0_4arch9wavefront6targetE1EEEvSJ_.uses_flat_scratch, 0
	.set _ZN7rocprim17ROCPRIM_400000_NS6detail17trampoline_kernelINS0_14default_configENS1_38merge_sort_block_merge_config_selectorIssEEZZNS1_27merge_sort_block_merge_implIS3_N6thrust23THRUST_200600_302600_NS6detail15normal_iteratorINS8_10device_ptrIsEEEESD_jNS1_19radix_merge_compareILb0ELb1EsNS0_19identity_decomposerEEEEE10hipError_tT0_T1_T2_jT3_P12ihipStream_tbPNSt15iterator_traitsISI_E10value_typeEPNSO_ISJ_E10value_typeEPSK_NS1_7vsmem_tEENKUlT_SI_SJ_SK_E_clIPsSD_S10_SD_EESH_SX_SI_SJ_SK_EUlSX_E0_NS1_11comp_targetILNS1_3genE2ELNS1_11target_archE906ELNS1_3gpuE6ELNS1_3repE0EEENS1_38merge_mergepath_config_static_selectorELNS0_4arch9wavefront6targetE1EEEvSJ_.has_dyn_sized_stack, 0
	.set _ZN7rocprim17ROCPRIM_400000_NS6detail17trampoline_kernelINS0_14default_configENS1_38merge_sort_block_merge_config_selectorIssEEZZNS1_27merge_sort_block_merge_implIS3_N6thrust23THRUST_200600_302600_NS6detail15normal_iteratorINS8_10device_ptrIsEEEESD_jNS1_19radix_merge_compareILb0ELb1EsNS0_19identity_decomposerEEEEE10hipError_tT0_T1_T2_jT3_P12ihipStream_tbPNSt15iterator_traitsISI_E10value_typeEPNSO_ISJ_E10value_typeEPSK_NS1_7vsmem_tEENKUlT_SI_SJ_SK_E_clIPsSD_S10_SD_EESH_SX_SI_SJ_SK_EUlSX_E0_NS1_11comp_targetILNS1_3genE2ELNS1_11target_archE906ELNS1_3gpuE6ELNS1_3repE0EEENS1_38merge_mergepath_config_static_selectorELNS0_4arch9wavefront6targetE1EEEvSJ_.has_recursion, 0
	.set _ZN7rocprim17ROCPRIM_400000_NS6detail17trampoline_kernelINS0_14default_configENS1_38merge_sort_block_merge_config_selectorIssEEZZNS1_27merge_sort_block_merge_implIS3_N6thrust23THRUST_200600_302600_NS6detail15normal_iteratorINS8_10device_ptrIsEEEESD_jNS1_19radix_merge_compareILb0ELb1EsNS0_19identity_decomposerEEEEE10hipError_tT0_T1_T2_jT3_P12ihipStream_tbPNSt15iterator_traitsISI_E10value_typeEPNSO_ISJ_E10value_typeEPSK_NS1_7vsmem_tEENKUlT_SI_SJ_SK_E_clIPsSD_S10_SD_EESH_SX_SI_SJ_SK_EUlSX_E0_NS1_11comp_targetILNS1_3genE2ELNS1_11target_archE906ELNS1_3gpuE6ELNS1_3repE0EEENS1_38merge_mergepath_config_static_selectorELNS0_4arch9wavefront6targetE1EEEvSJ_.has_indirect_call, 0
	.section	.AMDGPU.csdata,"",@progbits
; Kernel info:
; codeLenInByte = 0
; TotalNumSgprs: 6
; NumVgprs: 0
; NumAgprs: 0
; TotalNumVgprs: 0
; ScratchSize: 0
; MemoryBound: 0
; FloatMode: 240
; IeeeMode: 1
; LDSByteSize: 0 bytes/workgroup (compile time only)
; SGPRBlocks: 0
; VGPRBlocks: 0
; NumSGPRsForWavesPerEU: 6
; NumVGPRsForWavesPerEU: 1
; AccumOffset: 4
; Occupancy: 8
; WaveLimiterHint : 0
; COMPUTE_PGM_RSRC2:SCRATCH_EN: 0
; COMPUTE_PGM_RSRC2:USER_SGPR: 2
; COMPUTE_PGM_RSRC2:TRAP_HANDLER: 0
; COMPUTE_PGM_RSRC2:TGID_X_EN: 1
; COMPUTE_PGM_RSRC2:TGID_Y_EN: 0
; COMPUTE_PGM_RSRC2:TGID_Z_EN: 0
; COMPUTE_PGM_RSRC2:TIDIG_COMP_CNT: 0
; COMPUTE_PGM_RSRC3_GFX90A:ACCUM_OFFSET: 0
; COMPUTE_PGM_RSRC3_GFX90A:TG_SPLIT: 0
	.section	.text._ZN7rocprim17ROCPRIM_400000_NS6detail17trampoline_kernelINS0_14default_configENS1_38merge_sort_block_merge_config_selectorIssEEZZNS1_27merge_sort_block_merge_implIS3_N6thrust23THRUST_200600_302600_NS6detail15normal_iteratorINS8_10device_ptrIsEEEESD_jNS1_19radix_merge_compareILb0ELb1EsNS0_19identity_decomposerEEEEE10hipError_tT0_T1_T2_jT3_P12ihipStream_tbPNSt15iterator_traitsISI_E10value_typeEPNSO_ISJ_E10value_typeEPSK_NS1_7vsmem_tEENKUlT_SI_SJ_SK_E_clIPsSD_S10_SD_EESH_SX_SI_SJ_SK_EUlSX_E0_NS1_11comp_targetILNS1_3genE9ELNS1_11target_archE1100ELNS1_3gpuE3ELNS1_3repE0EEENS1_38merge_mergepath_config_static_selectorELNS0_4arch9wavefront6targetE1EEEvSJ_,"axG",@progbits,_ZN7rocprim17ROCPRIM_400000_NS6detail17trampoline_kernelINS0_14default_configENS1_38merge_sort_block_merge_config_selectorIssEEZZNS1_27merge_sort_block_merge_implIS3_N6thrust23THRUST_200600_302600_NS6detail15normal_iteratorINS8_10device_ptrIsEEEESD_jNS1_19radix_merge_compareILb0ELb1EsNS0_19identity_decomposerEEEEE10hipError_tT0_T1_T2_jT3_P12ihipStream_tbPNSt15iterator_traitsISI_E10value_typeEPNSO_ISJ_E10value_typeEPSK_NS1_7vsmem_tEENKUlT_SI_SJ_SK_E_clIPsSD_S10_SD_EESH_SX_SI_SJ_SK_EUlSX_E0_NS1_11comp_targetILNS1_3genE9ELNS1_11target_archE1100ELNS1_3gpuE3ELNS1_3repE0EEENS1_38merge_mergepath_config_static_selectorELNS0_4arch9wavefront6targetE1EEEvSJ_,comdat
	.protected	_ZN7rocprim17ROCPRIM_400000_NS6detail17trampoline_kernelINS0_14default_configENS1_38merge_sort_block_merge_config_selectorIssEEZZNS1_27merge_sort_block_merge_implIS3_N6thrust23THRUST_200600_302600_NS6detail15normal_iteratorINS8_10device_ptrIsEEEESD_jNS1_19radix_merge_compareILb0ELb1EsNS0_19identity_decomposerEEEEE10hipError_tT0_T1_T2_jT3_P12ihipStream_tbPNSt15iterator_traitsISI_E10value_typeEPNSO_ISJ_E10value_typeEPSK_NS1_7vsmem_tEENKUlT_SI_SJ_SK_E_clIPsSD_S10_SD_EESH_SX_SI_SJ_SK_EUlSX_E0_NS1_11comp_targetILNS1_3genE9ELNS1_11target_archE1100ELNS1_3gpuE3ELNS1_3repE0EEENS1_38merge_mergepath_config_static_selectorELNS0_4arch9wavefront6targetE1EEEvSJ_ ; -- Begin function _ZN7rocprim17ROCPRIM_400000_NS6detail17trampoline_kernelINS0_14default_configENS1_38merge_sort_block_merge_config_selectorIssEEZZNS1_27merge_sort_block_merge_implIS3_N6thrust23THRUST_200600_302600_NS6detail15normal_iteratorINS8_10device_ptrIsEEEESD_jNS1_19radix_merge_compareILb0ELb1EsNS0_19identity_decomposerEEEEE10hipError_tT0_T1_T2_jT3_P12ihipStream_tbPNSt15iterator_traitsISI_E10value_typeEPNSO_ISJ_E10value_typeEPSK_NS1_7vsmem_tEENKUlT_SI_SJ_SK_E_clIPsSD_S10_SD_EESH_SX_SI_SJ_SK_EUlSX_E0_NS1_11comp_targetILNS1_3genE9ELNS1_11target_archE1100ELNS1_3gpuE3ELNS1_3repE0EEENS1_38merge_mergepath_config_static_selectorELNS0_4arch9wavefront6targetE1EEEvSJ_
	.globl	_ZN7rocprim17ROCPRIM_400000_NS6detail17trampoline_kernelINS0_14default_configENS1_38merge_sort_block_merge_config_selectorIssEEZZNS1_27merge_sort_block_merge_implIS3_N6thrust23THRUST_200600_302600_NS6detail15normal_iteratorINS8_10device_ptrIsEEEESD_jNS1_19radix_merge_compareILb0ELb1EsNS0_19identity_decomposerEEEEE10hipError_tT0_T1_T2_jT3_P12ihipStream_tbPNSt15iterator_traitsISI_E10value_typeEPNSO_ISJ_E10value_typeEPSK_NS1_7vsmem_tEENKUlT_SI_SJ_SK_E_clIPsSD_S10_SD_EESH_SX_SI_SJ_SK_EUlSX_E0_NS1_11comp_targetILNS1_3genE9ELNS1_11target_archE1100ELNS1_3gpuE3ELNS1_3repE0EEENS1_38merge_mergepath_config_static_selectorELNS0_4arch9wavefront6targetE1EEEvSJ_
	.p2align	8
	.type	_ZN7rocprim17ROCPRIM_400000_NS6detail17trampoline_kernelINS0_14default_configENS1_38merge_sort_block_merge_config_selectorIssEEZZNS1_27merge_sort_block_merge_implIS3_N6thrust23THRUST_200600_302600_NS6detail15normal_iteratorINS8_10device_ptrIsEEEESD_jNS1_19radix_merge_compareILb0ELb1EsNS0_19identity_decomposerEEEEE10hipError_tT0_T1_T2_jT3_P12ihipStream_tbPNSt15iterator_traitsISI_E10value_typeEPNSO_ISJ_E10value_typeEPSK_NS1_7vsmem_tEENKUlT_SI_SJ_SK_E_clIPsSD_S10_SD_EESH_SX_SI_SJ_SK_EUlSX_E0_NS1_11comp_targetILNS1_3genE9ELNS1_11target_archE1100ELNS1_3gpuE3ELNS1_3repE0EEENS1_38merge_mergepath_config_static_selectorELNS0_4arch9wavefront6targetE1EEEvSJ_,@function
_ZN7rocprim17ROCPRIM_400000_NS6detail17trampoline_kernelINS0_14default_configENS1_38merge_sort_block_merge_config_selectorIssEEZZNS1_27merge_sort_block_merge_implIS3_N6thrust23THRUST_200600_302600_NS6detail15normal_iteratorINS8_10device_ptrIsEEEESD_jNS1_19radix_merge_compareILb0ELb1EsNS0_19identity_decomposerEEEEE10hipError_tT0_T1_T2_jT3_P12ihipStream_tbPNSt15iterator_traitsISI_E10value_typeEPNSO_ISJ_E10value_typeEPSK_NS1_7vsmem_tEENKUlT_SI_SJ_SK_E_clIPsSD_S10_SD_EESH_SX_SI_SJ_SK_EUlSX_E0_NS1_11comp_targetILNS1_3genE9ELNS1_11target_archE1100ELNS1_3gpuE3ELNS1_3repE0EEENS1_38merge_mergepath_config_static_selectorELNS0_4arch9wavefront6targetE1EEEvSJ_: ; @_ZN7rocprim17ROCPRIM_400000_NS6detail17trampoline_kernelINS0_14default_configENS1_38merge_sort_block_merge_config_selectorIssEEZZNS1_27merge_sort_block_merge_implIS3_N6thrust23THRUST_200600_302600_NS6detail15normal_iteratorINS8_10device_ptrIsEEEESD_jNS1_19radix_merge_compareILb0ELb1EsNS0_19identity_decomposerEEEEE10hipError_tT0_T1_T2_jT3_P12ihipStream_tbPNSt15iterator_traitsISI_E10value_typeEPNSO_ISJ_E10value_typeEPSK_NS1_7vsmem_tEENKUlT_SI_SJ_SK_E_clIPsSD_S10_SD_EESH_SX_SI_SJ_SK_EUlSX_E0_NS1_11comp_targetILNS1_3genE9ELNS1_11target_archE1100ELNS1_3gpuE3ELNS1_3repE0EEENS1_38merge_mergepath_config_static_selectorELNS0_4arch9wavefront6targetE1EEEvSJ_
; %bb.0:
	.section	.rodata,"a",@progbits
	.p2align	6, 0x0
	.amdhsa_kernel _ZN7rocprim17ROCPRIM_400000_NS6detail17trampoline_kernelINS0_14default_configENS1_38merge_sort_block_merge_config_selectorIssEEZZNS1_27merge_sort_block_merge_implIS3_N6thrust23THRUST_200600_302600_NS6detail15normal_iteratorINS8_10device_ptrIsEEEESD_jNS1_19radix_merge_compareILb0ELb1EsNS0_19identity_decomposerEEEEE10hipError_tT0_T1_T2_jT3_P12ihipStream_tbPNSt15iterator_traitsISI_E10value_typeEPNSO_ISJ_E10value_typeEPSK_NS1_7vsmem_tEENKUlT_SI_SJ_SK_E_clIPsSD_S10_SD_EESH_SX_SI_SJ_SK_EUlSX_E0_NS1_11comp_targetILNS1_3genE9ELNS1_11target_archE1100ELNS1_3gpuE3ELNS1_3repE0EEENS1_38merge_mergepath_config_static_selectorELNS0_4arch9wavefront6targetE1EEEvSJ_
		.amdhsa_group_segment_fixed_size 0
		.amdhsa_private_segment_fixed_size 0
		.amdhsa_kernarg_size 64
		.amdhsa_user_sgpr_count 2
		.amdhsa_user_sgpr_dispatch_ptr 0
		.amdhsa_user_sgpr_queue_ptr 0
		.amdhsa_user_sgpr_kernarg_segment_ptr 1
		.amdhsa_user_sgpr_dispatch_id 0
		.amdhsa_user_sgpr_kernarg_preload_length 0
		.amdhsa_user_sgpr_kernarg_preload_offset 0
		.amdhsa_user_sgpr_private_segment_size 0
		.amdhsa_uses_dynamic_stack 0
		.amdhsa_enable_private_segment 0
		.amdhsa_system_sgpr_workgroup_id_x 1
		.amdhsa_system_sgpr_workgroup_id_y 0
		.amdhsa_system_sgpr_workgroup_id_z 0
		.amdhsa_system_sgpr_workgroup_info 0
		.amdhsa_system_vgpr_workitem_id 0
		.amdhsa_next_free_vgpr 1
		.amdhsa_next_free_sgpr 0
		.amdhsa_accum_offset 4
		.amdhsa_reserve_vcc 0
		.amdhsa_float_round_mode_32 0
		.amdhsa_float_round_mode_16_64 0
		.amdhsa_float_denorm_mode_32 3
		.amdhsa_float_denorm_mode_16_64 3
		.amdhsa_dx10_clamp 1
		.amdhsa_ieee_mode 1
		.amdhsa_fp16_overflow 0
		.amdhsa_tg_split 0
		.amdhsa_exception_fp_ieee_invalid_op 0
		.amdhsa_exception_fp_denorm_src 0
		.amdhsa_exception_fp_ieee_div_zero 0
		.amdhsa_exception_fp_ieee_overflow 0
		.amdhsa_exception_fp_ieee_underflow 0
		.amdhsa_exception_fp_ieee_inexact 0
		.amdhsa_exception_int_div_zero 0
	.end_amdhsa_kernel
	.section	.text._ZN7rocprim17ROCPRIM_400000_NS6detail17trampoline_kernelINS0_14default_configENS1_38merge_sort_block_merge_config_selectorIssEEZZNS1_27merge_sort_block_merge_implIS3_N6thrust23THRUST_200600_302600_NS6detail15normal_iteratorINS8_10device_ptrIsEEEESD_jNS1_19radix_merge_compareILb0ELb1EsNS0_19identity_decomposerEEEEE10hipError_tT0_T1_T2_jT3_P12ihipStream_tbPNSt15iterator_traitsISI_E10value_typeEPNSO_ISJ_E10value_typeEPSK_NS1_7vsmem_tEENKUlT_SI_SJ_SK_E_clIPsSD_S10_SD_EESH_SX_SI_SJ_SK_EUlSX_E0_NS1_11comp_targetILNS1_3genE9ELNS1_11target_archE1100ELNS1_3gpuE3ELNS1_3repE0EEENS1_38merge_mergepath_config_static_selectorELNS0_4arch9wavefront6targetE1EEEvSJ_,"axG",@progbits,_ZN7rocprim17ROCPRIM_400000_NS6detail17trampoline_kernelINS0_14default_configENS1_38merge_sort_block_merge_config_selectorIssEEZZNS1_27merge_sort_block_merge_implIS3_N6thrust23THRUST_200600_302600_NS6detail15normal_iteratorINS8_10device_ptrIsEEEESD_jNS1_19radix_merge_compareILb0ELb1EsNS0_19identity_decomposerEEEEE10hipError_tT0_T1_T2_jT3_P12ihipStream_tbPNSt15iterator_traitsISI_E10value_typeEPNSO_ISJ_E10value_typeEPSK_NS1_7vsmem_tEENKUlT_SI_SJ_SK_E_clIPsSD_S10_SD_EESH_SX_SI_SJ_SK_EUlSX_E0_NS1_11comp_targetILNS1_3genE9ELNS1_11target_archE1100ELNS1_3gpuE3ELNS1_3repE0EEENS1_38merge_mergepath_config_static_selectorELNS0_4arch9wavefront6targetE1EEEvSJ_,comdat
.Lfunc_end1581:
	.size	_ZN7rocprim17ROCPRIM_400000_NS6detail17trampoline_kernelINS0_14default_configENS1_38merge_sort_block_merge_config_selectorIssEEZZNS1_27merge_sort_block_merge_implIS3_N6thrust23THRUST_200600_302600_NS6detail15normal_iteratorINS8_10device_ptrIsEEEESD_jNS1_19radix_merge_compareILb0ELb1EsNS0_19identity_decomposerEEEEE10hipError_tT0_T1_T2_jT3_P12ihipStream_tbPNSt15iterator_traitsISI_E10value_typeEPNSO_ISJ_E10value_typeEPSK_NS1_7vsmem_tEENKUlT_SI_SJ_SK_E_clIPsSD_S10_SD_EESH_SX_SI_SJ_SK_EUlSX_E0_NS1_11comp_targetILNS1_3genE9ELNS1_11target_archE1100ELNS1_3gpuE3ELNS1_3repE0EEENS1_38merge_mergepath_config_static_selectorELNS0_4arch9wavefront6targetE1EEEvSJ_, .Lfunc_end1581-_ZN7rocprim17ROCPRIM_400000_NS6detail17trampoline_kernelINS0_14default_configENS1_38merge_sort_block_merge_config_selectorIssEEZZNS1_27merge_sort_block_merge_implIS3_N6thrust23THRUST_200600_302600_NS6detail15normal_iteratorINS8_10device_ptrIsEEEESD_jNS1_19radix_merge_compareILb0ELb1EsNS0_19identity_decomposerEEEEE10hipError_tT0_T1_T2_jT3_P12ihipStream_tbPNSt15iterator_traitsISI_E10value_typeEPNSO_ISJ_E10value_typeEPSK_NS1_7vsmem_tEENKUlT_SI_SJ_SK_E_clIPsSD_S10_SD_EESH_SX_SI_SJ_SK_EUlSX_E0_NS1_11comp_targetILNS1_3genE9ELNS1_11target_archE1100ELNS1_3gpuE3ELNS1_3repE0EEENS1_38merge_mergepath_config_static_selectorELNS0_4arch9wavefront6targetE1EEEvSJ_
                                        ; -- End function
	.set _ZN7rocprim17ROCPRIM_400000_NS6detail17trampoline_kernelINS0_14default_configENS1_38merge_sort_block_merge_config_selectorIssEEZZNS1_27merge_sort_block_merge_implIS3_N6thrust23THRUST_200600_302600_NS6detail15normal_iteratorINS8_10device_ptrIsEEEESD_jNS1_19radix_merge_compareILb0ELb1EsNS0_19identity_decomposerEEEEE10hipError_tT0_T1_T2_jT3_P12ihipStream_tbPNSt15iterator_traitsISI_E10value_typeEPNSO_ISJ_E10value_typeEPSK_NS1_7vsmem_tEENKUlT_SI_SJ_SK_E_clIPsSD_S10_SD_EESH_SX_SI_SJ_SK_EUlSX_E0_NS1_11comp_targetILNS1_3genE9ELNS1_11target_archE1100ELNS1_3gpuE3ELNS1_3repE0EEENS1_38merge_mergepath_config_static_selectorELNS0_4arch9wavefront6targetE1EEEvSJ_.num_vgpr, 0
	.set _ZN7rocprim17ROCPRIM_400000_NS6detail17trampoline_kernelINS0_14default_configENS1_38merge_sort_block_merge_config_selectorIssEEZZNS1_27merge_sort_block_merge_implIS3_N6thrust23THRUST_200600_302600_NS6detail15normal_iteratorINS8_10device_ptrIsEEEESD_jNS1_19radix_merge_compareILb0ELb1EsNS0_19identity_decomposerEEEEE10hipError_tT0_T1_T2_jT3_P12ihipStream_tbPNSt15iterator_traitsISI_E10value_typeEPNSO_ISJ_E10value_typeEPSK_NS1_7vsmem_tEENKUlT_SI_SJ_SK_E_clIPsSD_S10_SD_EESH_SX_SI_SJ_SK_EUlSX_E0_NS1_11comp_targetILNS1_3genE9ELNS1_11target_archE1100ELNS1_3gpuE3ELNS1_3repE0EEENS1_38merge_mergepath_config_static_selectorELNS0_4arch9wavefront6targetE1EEEvSJ_.num_agpr, 0
	.set _ZN7rocprim17ROCPRIM_400000_NS6detail17trampoline_kernelINS0_14default_configENS1_38merge_sort_block_merge_config_selectorIssEEZZNS1_27merge_sort_block_merge_implIS3_N6thrust23THRUST_200600_302600_NS6detail15normal_iteratorINS8_10device_ptrIsEEEESD_jNS1_19radix_merge_compareILb0ELb1EsNS0_19identity_decomposerEEEEE10hipError_tT0_T1_T2_jT3_P12ihipStream_tbPNSt15iterator_traitsISI_E10value_typeEPNSO_ISJ_E10value_typeEPSK_NS1_7vsmem_tEENKUlT_SI_SJ_SK_E_clIPsSD_S10_SD_EESH_SX_SI_SJ_SK_EUlSX_E0_NS1_11comp_targetILNS1_3genE9ELNS1_11target_archE1100ELNS1_3gpuE3ELNS1_3repE0EEENS1_38merge_mergepath_config_static_selectorELNS0_4arch9wavefront6targetE1EEEvSJ_.numbered_sgpr, 0
	.set _ZN7rocprim17ROCPRIM_400000_NS6detail17trampoline_kernelINS0_14default_configENS1_38merge_sort_block_merge_config_selectorIssEEZZNS1_27merge_sort_block_merge_implIS3_N6thrust23THRUST_200600_302600_NS6detail15normal_iteratorINS8_10device_ptrIsEEEESD_jNS1_19radix_merge_compareILb0ELb1EsNS0_19identity_decomposerEEEEE10hipError_tT0_T1_T2_jT3_P12ihipStream_tbPNSt15iterator_traitsISI_E10value_typeEPNSO_ISJ_E10value_typeEPSK_NS1_7vsmem_tEENKUlT_SI_SJ_SK_E_clIPsSD_S10_SD_EESH_SX_SI_SJ_SK_EUlSX_E0_NS1_11comp_targetILNS1_3genE9ELNS1_11target_archE1100ELNS1_3gpuE3ELNS1_3repE0EEENS1_38merge_mergepath_config_static_selectorELNS0_4arch9wavefront6targetE1EEEvSJ_.num_named_barrier, 0
	.set _ZN7rocprim17ROCPRIM_400000_NS6detail17trampoline_kernelINS0_14default_configENS1_38merge_sort_block_merge_config_selectorIssEEZZNS1_27merge_sort_block_merge_implIS3_N6thrust23THRUST_200600_302600_NS6detail15normal_iteratorINS8_10device_ptrIsEEEESD_jNS1_19radix_merge_compareILb0ELb1EsNS0_19identity_decomposerEEEEE10hipError_tT0_T1_T2_jT3_P12ihipStream_tbPNSt15iterator_traitsISI_E10value_typeEPNSO_ISJ_E10value_typeEPSK_NS1_7vsmem_tEENKUlT_SI_SJ_SK_E_clIPsSD_S10_SD_EESH_SX_SI_SJ_SK_EUlSX_E0_NS1_11comp_targetILNS1_3genE9ELNS1_11target_archE1100ELNS1_3gpuE3ELNS1_3repE0EEENS1_38merge_mergepath_config_static_selectorELNS0_4arch9wavefront6targetE1EEEvSJ_.private_seg_size, 0
	.set _ZN7rocprim17ROCPRIM_400000_NS6detail17trampoline_kernelINS0_14default_configENS1_38merge_sort_block_merge_config_selectorIssEEZZNS1_27merge_sort_block_merge_implIS3_N6thrust23THRUST_200600_302600_NS6detail15normal_iteratorINS8_10device_ptrIsEEEESD_jNS1_19radix_merge_compareILb0ELb1EsNS0_19identity_decomposerEEEEE10hipError_tT0_T1_T2_jT3_P12ihipStream_tbPNSt15iterator_traitsISI_E10value_typeEPNSO_ISJ_E10value_typeEPSK_NS1_7vsmem_tEENKUlT_SI_SJ_SK_E_clIPsSD_S10_SD_EESH_SX_SI_SJ_SK_EUlSX_E0_NS1_11comp_targetILNS1_3genE9ELNS1_11target_archE1100ELNS1_3gpuE3ELNS1_3repE0EEENS1_38merge_mergepath_config_static_selectorELNS0_4arch9wavefront6targetE1EEEvSJ_.uses_vcc, 0
	.set _ZN7rocprim17ROCPRIM_400000_NS6detail17trampoline_kernelINS0_14default_configENS1_38merge_sort_block_merge_config_selectorIssEEZZNS1_27merge_sort_block_merge_implIS3_N6thrust23THRUST_200600_302600_NS6detail15normal_iteratorINS8_10device_ptrIsEEEESD_jNS1_19radix_merge_compareILb0ELb1EsNS0_19identity_decomposerEEEEE10hipError_tT0_T1_T2_jT3_P12ihipStream_tbPNSt15iterator_traitsISI_E10value_typeEPNSO_ISJ_E10value_typeEPSK_NS1_7vsmem_tEENKUlT_SI_SJ_SK_E_clIPsSD_S10_SD_EESH_SX_SI_SJ_SK_EUlSX_E0_NS1_11comp_targetILNS1_3genE9ELNS1_11target_archE1100ELNS1_3gpuE3ELNS1_3repE0EEENS1_38merge_mergepath_config_static_selectorELNS0_4arch9wavefront6targetE1EEEvSJ_.uses_flat_scratch, 0
	.set _ZN7rocprim17ROCPRIM_400000_NS6detail17trampoline_kernelINS0_14default_configENS1_38merge_sort_block_merge_config_selectorIssEEZZNS1_27merge_sort_block_merge_implIS3_N6thrust23THRUST_200600_302600_NS6detail15normal_iteratorINS8_10device_ptrIsEEEESD_jNS1_19radix_merge_compareILb0ELb1EsNS0_19identity_decomposerEEEEE10hipError_tT0_T1_T2_jT3_P12ihipStream_tbPNSt15iterator_traitsISI_E10value_typeEPNSO_ISJ_E10value_typeEPSK_NS1_7vsmem_tEENKUlT_SI_SJ_SK_E_clIPsSD_S10_SD_EESH_SX_SI_SJ_SK_EUlSX_E0_NS1_11comp_targetILNS1_3genE9ELNS1_11target_archE1100ELNS1_3gpuE3ELNS1_3repE0EEENS1_38merge_mergepath_config_static_selectorELNS0_4arch9wavefront6targetE1EEEvSJ_.has_dyn_sized_stack, 0
	.set _ZN7rocprim17ROCPRIM_400000_NS6detail17trampoline_kernelINS0_14default_configENS1_38merge_sort_block_merge_config_selectorIssEEZZNS1_27merge_sort_block_merge_implIS3_N6thrust23THRUST_200600_302600_NS6detail15normal_iteratorINS8_10device_ptrIsEEEESD_jNS1_19radix_merge_compareILb0ELb1EsNS0_19identity_decomposerEEEEE10hipError_tT0_T1_T2_jT3_P12ihipStream_tbPNSt15iterator_traitsISI_E10value_typeEPNSO_ISJ_E10value_typeEPSK_NS1_7vsmem_tEENKUlT_SI_SJ_SK_E_clIPsSD_S10_SD_EESH_SX_SI_SJ_SK_EUlSX_E0_NS1_11comp_targetILNS1_3genE9ELNS1_11target_archE1100ELNS1_3gpuE3ELNS1_3repE0EEENS1_38merge_mergepath_config_static_selectorELNS0_4arch9wavefront6targetE1EEEvSJ_.has_recursion, 0
	.set _ZN7rocprim17ROCPRIM_400000_NS6detail17trampoline_kernelINS0_14default_configENS1_38merge_sort_block_merge_config_selectorIssEEZZNS1_27merge_sort_block_merge_implIS3_N6thrust23THRUST_200600_302600_NS6detail15normal_iteratorINS8_10device_ptrIsEEEESD_jNS1_19radix_merge_compareILb0ELb1EsNS0_19identity_decomposerEEEEE10hipError_tT0_T1_T2_jT3_P12ihipStream_tbPNSt15iterator_traitsISI_E10value_typeEPNSO_ISJ_E10value_typeEPSK_NS1_7vsmem_tEENKUlT_SI_SJ_SK_E_clIPsSD_S10_SD_EESH_SX_SI_SJ_SK_EUlSX_E0_NS1_11comp_targetILNS1_3genE9ELNS1_11target_archE1100ELNS1_3gpuE3ELNS1_3repE0EEENS1_38merge_mergepath_config_static_selectorELNS0_4arch9wavefront6targetE1EEEvSJ_.has_indirect_call, 0
	.section	.AMDGPU.csdata,"",@progbits
; Kernel info:
; codeLenInByte = 0
; TotalNumSgprs: 6
; NumVgprs: 0
; NumAgprs: 0
; TotalNumVgprs: 0
; ScratchSize: 0
; MemoryBound: 0
; FloatMode: 240
; IeeeMode: 1
; LDSByteSize: 0 bytes/workgroup (compile time only)
; SGPRBlocks: 0
; VGPRBlocks: 0
; NumSGPRsForWavesPerEU: 6
; NumVGPRsForWavesPerEU: 1
; AccumOffset: 4
; Occupancy: 8
; WaveLimiterHint : 0
; COMPUTE_PGM_RSRC2:SCRATCH_EN: 0
; COMPUTE_PGM_RSRC2:USER_SGPR: 2
; COMPUTE_PGM_RSRC2:TRAP_HANDLER: 0
; COMPUTE_PGM_RSRC2:TGID_X_EN: 1
; COMPUTE_PGM_RSRC2:TGID_Y_EN: 0
; COMPUTE_PGM_RSRC2:TGID_Z_EN: 0
; COMPUTE_PGM_RSRC2:TIDIG_COMP_CNT: 0
; COMPUTE_PGM_RSRC3_GFX90A:ACCUM_OFFSET: 0
; COMPUTE_PGM_RSRC3_GFX90A:TG_SPLIT: 0
	.section	.text._ZN7rocprim17ROCPRIM_400000_NS6detail17trampoline_kernelINS0_14default_configENS1_38merge_sort_block_merge_config_selectorIssEEZZNS1_27merge_sort_block_merge_implIS3_N6thrust23THRUST_200600_302600_NS6detail15normal_iteratorINS8_10device_ptrIsEEEESD_jNS1_19radix_merge_compareILb0ELb1EsNS0_19identity_decomposerEEEEE10hipError_tT0_T1_T2_jT3_P12ihipStream_tbPNSt15iterator_traitsISI_E10value_typeEPNSO_ISJ_E10value_typeEPSK_NS1_7vsmem_tEENKUlT_SI_SJ_SK_E_clIPsSD_S10_SD_EESH_SX_SI_SJ_SK_EUlSX_E0_NS1_11comp_targetILNS1_3genE8ELNS1_11target_archE1030ELNS1_3gpuE2ELNS1_3repE0EEENS1_38merge_mergepath_config_static_selectorELNS0_4arch9wavefront6targetE1EEEvSJ_,"axG",@progbits,_ZN7rocprim17ROCPRIM_400000_NS6detail17trampoline_kernelINS0_14default_configENS1_38merge_sort_block_merge_config_selectorIssEEZZNS1_27merge_sort_block_merge_implIS3_N6thrust23THRUST_200600_302600_NS6detail15normal_iteratorINS8_10device_ptrIsEEEESD_jNS1_19radix_merge_compareILb0ELb1EsNS0_19identity_decomposerEEEEE10hipError_tT0_T1_T2_jT3_P12ihipStream_tbPNSt15iterator_traitsISI_E10value_typeEPNSO_ISJ_E10value_typeEPSK_NS1_7vsmem_tEENKUlT_SI_SJ_SK_E_clIPsSD_S10_SD_EESH_SX_SI_SJ_SK_EUlSX_E0_NS1_11comp_targetILNS1_3genE8ELNS1_11target_archE1030ELNS1_3gpuE2ELNS1_3repE0EEENS1_38merge_mergepath_config_static_selectorELNS0_4arch9wavefront6targetE1EEEvSJ_,comdat
	.protected	_ZN7rocprim17ROCPRIM_400000_NS6detail17trampoline_kernelINS0_14default_configENS1_38merge_sort_block_merge_config_selectorIssEEZZNS1_27merge_sort_block_merge_implIS3_N6thrust23THRUST_200600_302600_NS6detail15normal_iteratorINS8_10device_ptrIsEEEESD_jNS1_19radix_merge_compareILb0ELb1EsNS0_19identity_decomposerEEEEE10hipError_tT0_T1_T2_jT3_P12ihipStream_tbPNSt15iterator_traitsISI_E10value_typeEPNSO_ISJ_E10value_typeEPSK_NS1_7vsmem_tEENKUlT_SI_SJ_SK_E_clIPsSD_S10_SD_EESH_SX_SI_SJ_SK_EUlSX_E0_NS1_11comp_targetILNS1_3genE8ELNS1_11target_archE1030ELNS1_3gpuE2ELNS1_3repE0EEENS1_38merge_mergepath_config_static_selectorELNS0_4arch9wavefront6targetE1EEEvSJ_ ; -- Begin function _ZN7rocprim17ROCPRIM_400000_NS6detail17trampoline_kernelINS0_14default_configENS1_38merge_sort_block_merge_config_selectorIssEEZZNS1_27merge_sort_block_merge_implIS3_N6thrust23THRUST_200600_302600_NS6detail15normal_iteratorINS8_10device_ptrIsEEEESD_jNS1_19radix_merge_compareILb0ELb1EsNS0_19identity_decomposerEEEEE10hipError_tT0_T1_T2_jT3_P12ihipStream_tbPNSt15iterator_traitsISI_E10value_typeEPNSO_ISJ_E10value_typeEPSK_NS1_7vsmem_tEENKUlT_SI_SJ_SK_E_clIPsSD_S10_SD_EESH_SX_SI_SJ_SK_EUlSX_E0_NS1_11comp_targetILNS1_3genE8ELNS1_11target_archE1030ELNS1_3gpuE2ELNS1_3repE0EEENS1_38merge_mergepath_config_static_selectorELNS0_4arch9wavefront6targetE1EEEvSJ_
	.globl	_ZN7rocprim17ROCPRIM_400000_NS6detail17trampoline_kernelINS0_14default_configENS1_38merge_sort_block_merge_config_selectorIssEEZZNS1_27merge_sort_block_merge_implIS3_N6thrust23THRUST_200600_302600_NS6detail15normal_iteratorINS8_10device_ptrIsEEEESD_jNS1_19radix_merge_compareILb0ELb1EsNS0_19identity_decomposerEEEEE10hipError_tT0_T1_T2_jT3_P12ihipStream_tbPNSt15iterator_traitsISI_E10value_typeEPNSO_ISJ_E10value_typeEPSK_NS1_7vsmem_tEENKUlT_SI_SJ_SK_E_clIPsSD_S10_SD_EESH_SX_SI_SJ_SK_EUlSX_E0_NS1_11comp_targetILNS1_3genE8ELNS1_11target_archE1030ELNS1_3gpuE2ELNS1_3repE0EEENS1_38merge_mergepath_config_static_selectorELNS0_4arch9wavefront6targetE1EEEvSJ_
	.p2align	8
	.type	_ZN7rocprim17ROCPRIM_400000_NS6detail17trampoline_kernelINS0_14default_configENS1_38merge_sort_block_merge_config_selectorIssEEZZNS1_27merge_sort_block_merge_implIS3_N6thrust23THRUST_200600_302600_NS6detail15normal_iteratorINS8_10device_ptrIsEEEESD_jNS1_19radix_merge_compareILb0ELb1EsNS0_19identity_decomposerEEEEE10hipError_tT0_T1_T2_jT3_P12ihipStream_tbPNSt15iterator_traitsISI_E10value_typeEPNSO_ISJ_E10value_typeEPSK_NS1_7vsmem_tEENKUlT_SI_SJ_SK_E_clIPsSD_S10_SD_EESH_SX_SI_SJ_SK_EUlSX_E0_NS1_11comp_targetILNS1_3genE8ELNS1_11target_archE1030ELNS1_3gpuE2ELNS1_3repE0EEENS1_38merge_mergepath_config_static_selectorELNS0_4arch9wavefront6targetE1EEEvSJ_,@function
_ZN7rocprim17ROCPRIM_400000_NS6detail17trampoline_kernelINS0_14default_configENS1_38merge_sort_block_merge_config_selectorIssEEZZNS1_27merge_sort_block_merge_implIS3_N6thrust23THRUST_200600_302600_NS6detail15normal_iteratorINS8_10device_ptrIsEEEESD_jNS1_19radix_merge_compareILb0ELb1EsNS0_19identity_decomposerEEEEE10hipError_tT0_T1_T2_jT3_P12ihipStream_tbPNSt15iterator_traitsISI_E10value_typeEPNSO_ISJ_E10value_typeEPSK_NS1_7vsmem_tEENKUlT_SI_SJ_SK_E_clIPsSD_S10_SD_EESH_SX_SI_SJ_SK_EUlSX_E0_NS1_11comp_targetILNS1_3genE8ELNS1_11target_archE1030ELNS1_3gpuE2ELNS1_3repE0EEENS1_38merge_mergepath_config_static_selectorELNS0_4arch9wavefront6targetE1EEEvSJ_: ; @_ZN7rocprim17ROCPRIM_400000_NS6detail17trampoline_kernelINS0_14default_configENS1_38merge_sort_block_merge_config_selectorIssEEZZNS1_27merge_sort_block_merge_implIS3_N6thrust23THRUST_200600_302600_NS6detail15normal_iteratorINS8_10device_ptrIsEEEESD_jNS1_19radix_merge_compareILb0ELb1EsNS0_19identity_decomposerEEEEE10hipError_tT0_T1_T2_jT3_P12ihipStream_tbPNSt15iterator_traitsISI_E10value_typeEPNSO_ISJ_E10value_typeEPSK_NS1_7vsmem_tEENKUlT_SI_SJ_SK_E_clIPsSD_S10_SD_EESH_SX_SI_SJ_SK_EUlSX_E0_NS1_11comp_targetILNS1_3genE8ELNS1_11target_archE1030ELNS1_3gpuE2ELNS1_3repE0EEENS1_38merge_mergepath_config_static_selectorELNS0_4arch9wavefront6targetE1EEEvSJ_
; %bb.0:
	.section	.rodata,"a",@progbits
	.p2align	6, 0x0
	.amdhsa_kernel _ZN7rocprim17ROCPRIM_400000_NS6detail17trampoline_kernelINS0_14default_configENS1_38merge_sort_block_merge_config_selectorIssEEZZNS1_27merge_sort_block_merge_implIS3_N6thrust23THRUST_200600_302600_NS6detail15normal_iteratorINS8_10device_ptrIsEEEESD_jNS1_19radix_merge_compareILb0ELb1EsNS0_19identity_decomposerEEEEE10hipError_tT0_T1_T2_jT3_P12ihipStream_tbPNSt15iterator_traitsISI_E10value_typeEPNSO_ISJ_E10value_typeEPSK_NS1_7vsmem_tEENKUlT_SI_SJ_SK_E_clIPsSD_S10_SD_EESH_SX_SI_SJ_SK_EUlSX_E0_NS1_11comp_targetILNS1_3genE8ELNS1_11target_archE1030ELNS1_3gpuE2ELNS1_3repE0EEENS1_38merge_mergepath_config_static_selectorELNS0_4arch9wavefront6targetE1EEEvSJ_
		.amdhsa_group_segment_fixed_size 0
		.amdhsa_private_segment_fixed_size 0
		.amdhsa_kernarg_size 64
		.amdhsa_user_sgpr_count 2
		.amdhsa_user_sgpr_dispatch_ptr 0
		.amdhsa_user_sgpr_queue_ptr 0
		.amdhsa_user_sgpr_kernarg_segment_ptr 1
		.amdhsa_user_sgpr_dispatch_id 0
		.amdhsa_user_sgpr_kernarg_preload_length 0
		.amdhsa_user_sgpr_kernarg_preload_offset 0
		.amdhsa_user_sgpr_private_segment_size 0
		.amdhsa_uses_dynamic_stack 0
		.amdhsa_enable_private_segment 0
		.amdhsa_system_sgpr_workgroup_id_x 1
		.amdhsa_system_sgpr_workgroup_id_y 0
		.amdhsa_system_sgpr_workgroup_id_z 0
		.amdhsa_system_sgpr_workgroup_info 0
		.amdhsa_system_vgpr_workitem_id 0
		.amdhsa_next_free_vgpr 1
		.amdhsa_next_free_sgpr 0
		.amdhsa_accum_offset 4
		.amdhsa_reserve_vcc 0
		.amdhsa_float_round_mode_32 0
		.amdhsa_float_round_mode_16_64 0
		.amdhsa_float_denorm_mode_32 3
		.amdhsa_float_denorm_mode_16_64 3
		.amdhsa_dx10_clamp 1
		.amdhsa_ieee_mode 1
		.amdhsa_fp16_overflow 0
		.amdhsa_tg_split 0
		.amdhsa_exception_fp_ieee_invalid_op 0
		.amdhsa_exception_fp_denorm_src 0
		.amdhsa_exception_fp_ieee_div_zero 0
		.amdhsa_exception_fp_ieee_overflow 0
		.amdhsa_exception_fp_ieee_underflow 0
		.amdhsa_exception_fp_ieee_inexact 0
		.amdhsa_exception_int_div_zero 0
	.end_amdhsa_kernel
	.section	.text._ZN7rocprim17ROCPRIM_400000_NS6detail17trampoline_kernelINS0_14default_configENS1_38merge_sort_block_merge_config_selectorIssEEZZNS1_27merge_sort_block_merge_implIS3_N6thrust23THRUST_200600_302600_NS6detail15normal_iteratorINS8_10device_ptrIsEEEESD_jNS1_19radix_merge_compareILb0ELb1EsNS0_19identity_decomposerEEEEE10hipError_tT0_T1_T2_jT3_P12ihipStream_tbPNSt15iterator_traitsISI_E10value_typeEPNSO_ISJ_E10value_typeEPSK_NS1_7vsmem_tEENKUlT_SI_SJ_SK_E_clIPsSD_S10_SD_EESH_SX_SI_SJ_SK_EUlSX_E0_NS1_11comp_targetILNS1_3genE8ELNS1_11target_archE1030ELNS1_3gpuE2ELNS1_3repE0EEENS1_38merge_mergepath_config_static_selectorELNS0_4arch9wavefront6targetE1EEEvSJ_,"axG",@progbits,_ZN7rocprim17ROCPRIM_400000_NS6detail17trampoline_kernelINS0_14default_configENS1_38merge_sort_block_merge_config_selectorIssEEZZNS1_27merge_sort_block_merge_implIS3_N6thrust23THRUST_200600_302600_NS6detail15normal_iteratorINS8_10device_ptrIsEEEESD_jNS1_19radix_merge_compareILb0ELb1EsNS0_19identity_decomposerEEEEE10hipError_tT0_T1_T2_jT3_P12ihipStream_tbPNSt15iterator_traitsISI_E10value_typeEPNSO_ISJ_E10value_typeEPSK_NS1_7vsmem_tEENKUlT_SI_SJ_SK_E_clIPsSD_S10_SD_EESH_SX_SI_SJ_SK_EUlSX_E0_NS1_11comp_targetILNS1_3genE8ELNS1_11target_archE1030ELNS1_3gpuE2ELNS1_3repE0EEENS1_38merge_mergepath_config_static_selectorELNS0_4arch9wavefront6targetE1EEEvSJ_,comdat
.Lfunc_end1582:
	.size	_ZN7rocprim17ROCPRIM_400000_NS6detail17trampoline_kernelINS0_14default_configENS1_38merge_sort_block_merge_config_selectorIssEEZZNS1_27merge_sort_block_merge_implIS3_N6thrust23THRUST_200600_302600_NS6detail15normal_iteratorINS8_10device_ptrIsEEEESD_jNS1_19radix_merge_compareILb0ELb1EsNS0_19identity_decomposerEEEEE10hipError_tT0_T1_T2_jT3_P12ihipStream_tbPNSt15iterator_traitsISI_E10value_typeEPNSO_ISJ_E10value_typeEPSK_NS1_7vsmem_tEENKUlT_SI_SJ_SK_E_clIPsSD_S10_SD_EESH_SX_SI_SJ_SK_EUlSX_E0_NS1_11comp_targetILNS1_3genE8ELNS1_11target_archE1030ELNS1_3gpuE2ELNS1_3repE0EEENS1_38merge_mergepath_config_static_selectorELNS0_4arch9wavefront6targetE1EEEvSJ_, .Lfunc_end1582-_ZN7rocprim17ROCPRIM_400000_NS6detail17trampoline_kernelINS0_14default_configENS1_38merge_sort_block_merge_config_selectorIssEEZZNS1_27merge_sort_block_merge_implIS3_N6thrust23THRUST_200600_302600_NS6detail15normal_iteratorINS8_10device_ptrIsEEEESD_jNS1_19radix_merge_compareILb0ELb1EsNS0_19identity_decomposerEEEEE10hipError_tT0_T1_T2_jT3_P12ihipStream_tbPNSt15iterator_traitsISI_E10value_typeEPNSO_ISJ_E10value_typeEPSK_NS1_7vsmem_tEENKUlT_SI_SJ_SK_E_clIPsSD_S10_SD_EESH_SX_SI_SJ_SK_EUlSX_E0_NS1_11comp_targetILNS1_3genE8ELNS1_11target_archE1030ELNS1_3gpuE2ELNS1_3repE0EEENS1_38merge_mergepath_config_static_selectorELNS0_4arch9wavefront6targetE1EEEvSJ_
                                        ; -- End function
	.set _ZN7rocprim17ROCPRIM_400000_NS6detail17trampoline_kernelINS0_14default_configENS1_38merge_sort_block_merge_config_selectorIssEEZZNS1_27merge_sort_block_merge_implIS3_N6thrust23THRUST_200600_302600_NS6detail15normal_iteratorINS8_10device_ptrIsEEEESD_jNS1_19radix_merge_compareILb0ELb1EsNS0_19identity_decomposerEEEEE10hipError_tT0_T1_T2_jT3_P12ihipStream_tbPNSt15iterator_traitsISI_E10value_typeEPNSO_ISJ_E10value_typeEPSK_NS1_7vsmem_tEENKUlT_SI_SJ_SK_E_clIPsSD_S10_SD_EESH_SX_SI_SJ_SK_EUlSX_E0_NS1_11comp_targetILNS1_3genE8ELNS1_11target_archE1030ELNS1_3gpuE2ELNS1_3repE0EEENS1_38merge_mergepath_config_static_selectorELNS0_4arch9wavefront6targetE1EEEvSJ_.num_vgpr, 0
	.set _ZN7rocprim17ROCPRIM_400000_NS6detail17trampoline_kernelINS0_14default_configENS1_38merge_sort_block_merge_config_selectorIssEEZZNS1_27merge_sort_block_merge_implIS3_N6thrust23THRUST_200600_302600_NS6detail15normal_iteratorINS8_10device_ptrIsEEEESD_jNS1_19radix_merge_compareILb0ELb1EsNS0_19identity_decomposerEEEEE10hipError_tT0_T1_T2_jT3_P12ihipStream_tbPNSt15iterator_traitsISI_E10value_typeEPNSO_ISJ_E10value_typeEPSK_NS1_7vsmem_tEENKUlT_SI_SJ_SK_E_clIPsSD_S10_SD_EESH_SX_SI_SJ_SK_EUlSX_E0_NS1_11comp_targetILNS1_3genE8ELNS1_11target_archE1030ELNS1_3gpuE2ELNS1_3repE0EEENS1_38merge_mergepath_config_static_selectorELNS0_4arch9wavefront6targetE1EEEvSJ_.num_agpr, 0
	.set _ZN7rocprim17ROCPRIM_400000_NS6detail17trampoline_kernelINS0_14default_configENS1_38merge_sort_block_merge_config_selectorIssEEZZNS1_27merge_sort_block_merge_implIS3_N6thrust23THRUST_200600_302600_NS6detail15normal_iteratorINS8_10device_ptrIsEEEESD_jNS1_19radix_merge_compareILb0ELb1EsNS0_19identity_decomposerEEEEE10hipError_tT0_T1_T2_jT3_P12ihipStream_tbPNSt15iterator_traitsISI_E10value_typeEPNSO_ISJ_E10value_typeEPSK_NS1_7vsmem_tEENKUlT_SI_SJ_SK_E_clIPsSD_S10_SD_EESH_SX_SI_SJ_SK_EUlSX_E0_NS1_11comp_targetILNS1_3genE8ELNS1_11target_archE1030ELNS1_3gpuE2ELNS1_3repE0EEENS1_38merge_mergepath_config_static_selectorELNS0_4arch9wavefront6targetE1EEEvSJ_.numbered_sgpr, 0
	.set _ZN7rocprim17ROCPRIM_400000_NS6detail17trampoline_kernelINS0_14default_configENS1_38merge_sort_block_merge_config_selectorIssEEZZNS1_27merge_sort_block_merge_implIS3_N6thrust23THRUST_200600_302600_NS6detail15normal_iteratorINS8_10device_ptrIsEEEESD_jNS1_19radix_merge_compareILb0ELb1EsNS0_19identity_decomposerEEEEE10hipError_tT0_T1_T2_jT3_P12ihipStream_tbPNSt15iterator_traitsISI_E10value_typeEPNSO_ISJ_E10value_typeEPSK_NS1_7vsmem_tEENKUlT_SI_SJ_SK_E_clIPsSD_S10_SD_EESH_SX_SI_SJ_SK_EUlSX_E0_NS1_11comp_targetILNS1_3genE8ELNS1_11target_archE1030ELNS1_3gpuE2ELNS1_3repE0EEENS1_38merge_mergepath_config_static_selectorELNS0_4arch9wavefront6targetE1EEEvSJ_.num_named_barrier, 0
	.set _ZN7rocprim17ROCPRIM_400000_NS6detail17trampoline_kernelINS0_14default_configENS1_38merge_sort_block_merge_config_selectorIssEEZZNS1_27merge_sort_block_merge_implIS3_N6thrust23THRUST_200600_302600_NS6detail15normal_iteratorINS8_10device_ptrIsEEEESD_jNS1_19radix_merge_compareILb0ELb1EsNS0_19identity_decomposerEEEEE10hipError_tT0_T1_T2_jT3_P12ihipStream_tbPNSt15iterator_traitsISI_E10value_typeEPNSO_ISJ_E10value_typeEPSK_NS1_7vsmem_tEENKUlT_SI_SJ_SK_E_clIPsSD_S10_SD_EESH_SX_SI_SJ_SK_EUlSX_E0_NS1_11comp_targetILNS1_3genE8ELNS1_11target_archE1030ELNS1_3gpuE2ELNS1_3repE0EEENS1_38merge_mergepath_config_static_selectorELNS0_4arch9wavefront6targetE1EEEvSJ_.private_seg_size, 0
	.set _ZN7rocprim17ROCPRIM_400000_NS6detail17trampoline_kernelINS0_14default_configENS1_38merge_sort_block_merge_config_selectorIssEEZZNS1_27merge_sort_block_merge_implIS3_N6thrust23THRUST_200600_302600_NS6detail15normal_iteratorINS8_10device_ptrIsEEEESD_jNS1_19radix_merge_compareILb0ELb1EsNS0_19identity_decomposerEEEEE10hipError_tT0_T1_T2_jT3_P12ihipStream_tbPNSt15iterator_traitsISI_E10value_typeEPNSO_ISJ_E10value_typeEPSK_NS1_7vsmem_tEENKUlT_SI_SJ_SK_E_clIPsSD_S10_SD_EESH_SX_SI_SJ_SK_EUlSX_E0_NS1_11comp_targetILNS1_3genE8ELNS1_11target_archE1030ELNS1_3gpuE2ELNS1_3repE0EEENS1_38merge_mergepath_config_static_selectorELNS0_4arch9wavefront6targetE1EEEvSJ_.uses_vcc, 0
	.set _ZN7rocprim17ROCPRIM_400000_NS6detail17trampoline_kernelINS0_14default_configENS1_38merge_sort_block_merge_config_selectorIssEEZZNS1_27merge_sort_block_merge_implIS3_N6thrust23THRUST_200600_302600_NS6detail15normal_iteratorINS8_10device_ptrIsEEEESD_jNS1_19radix_merge_compareILb0ELb1EsNS0_19identity_decomposerEEEEE10hipError_tT0_T1_T2_jT3_P12ihipStream_tbPNSt15iterator_traitsISI_E10value_typeEPNSO_ISJ_E10value_typeEPSK_NS1_7vsmem_tEENKUlT_SI_SJ_SK_E_clIPsSD_S10_SD_EESH_SX_SI_SJ_SK_EUlSX_E0_NS1_11comp_targetILNS1_3genE8ELNS1_11target_archE1030ELNS1_3gpuE2ELNS1_3repE0EEENS1_38merge_mergepath_config_static_selectorELNS0_4arch9wavefront6targetE1EEEvSJ_.uses_flat_scratch, 0
	.set _ZN7rocprim17ROCPRIM_400000_NS6detail17trampoline_kernelINS0_14default_configENS1_38merge_sort_block_merge_config_selectorIssEEZZNS1_27merge_sort_block_merge_implIS3_N6thrust23THRUST_200600_302600_NS6detail15normal_iteratorINS8_10device_ptrIsEEEESD_jNS1_19radix_merge_compareILb0ELb1EsNS0_19identity_decomposerEEEEE10hipError_tT0_T1_T2_jT3_P12ihipStream_tbPNSt15iterator_traitsISI_E10value_typeEPNSO_ISJ_E10value_typeEPSK_NS1_7vsmem_tEENKUlT_SI_SJ_SK_E_clIPsSD_S10_SD_EESH_SX_SI_SJ_SK_EUlSX_E0_NS1_11comp_targetILNS1_3genE8ELNS1_11target_archE1030ELNS1_3gpuE2ELNS1_3repE0EEENS1_38merge_mergepath_config_static_selectorELNS0_4arch9wavefront6targetE1EEEvSJ_.has_dyn_sized_stack, 0
	.set _ZN7rocprim17ROCPRIM_400000_NS6detail17trampoline_kernelINS0_14default_configENS1_38merge_sort_block_merge_config_selectorIssEEZZNS1_27merge_sort_block_merge_implIS3_N6thrust23THRUST_200600_302600_NS6detail15normal_iteratorINS8_10device_ptrIsEEEESD_jNS1_19radix_merge_compareILb0ELb1EsNS0_19identity_decomposerEEEEE10hipError_tT0_T1_T2_jT3_P12ihipStream_tbPNSt15iterator_traitsISI_E10value_typeEPNSO_ISJ_E10value_typeEPSK_NS1_7vsmem_tEENKUlT_SI_SJ_SK_E_clIPsSD_S10_SD_EESH_SX_SI_SJ_SK_EUlSX_E0_NS1_11comp_targetILNS1_3genE8ELNS1_11target_archE1030ELNS1_3gpuE2ELNS1_3repE0EEENS1_38merge_mergepath_config_static_selectorELNS0_4arch9wavefront6targetE1EEEvSJ_.has_recursion, 0
	.set _ZN7rocprim17ROCPRIM_400000_NS6detail17trampoline_kernelINS0_14default_configENS1_38merge_sort_block_merge_config_selectorIssEEZZNS1_27merge_sort_block_merge_implIS3_N6thrust23THRUST_200600_302600_NS6detail15normal_iteratorINS8_10device_ptrIsEEEESD_jNS1_19radix_merge_compareILb0ELb1EsNS0_19identity_decomposerEEEEE10hipError_tT0_T1_T2_jT3_P12ihipStream_tbPNSt15iterator_traitsISI_E10value_typeEPNSO_ISJ_E10value_typeEPSK_NS1_7vsmem_tEENKUlT_SI_SJ_SK_E_clIPsSD_S10_SD_EESH_SX_SI_SJ_SK_EUlSX_E0_NS1_11comp_targetILNS1_3genE8ELNS1_11target_archE1030ELNS1_3gpuE2ELNS1_3repE0EEENS1_38merge_mergepath_config_static_selectorELNS0_4arch9wavefront6targetE1EEEvSJ_.has_indirect_call, 0
	.section	.AMDGPU.csdata,"",@progbits
; Kernel info:
; codeLenInByte = 0
; TotalNumSgprs: 6
; NumVgprs: 0
; NumAgprs: 0
; TotalNumVgprs: 0
; ScratchSize: 0
; MemoryBound: 0
; FloatMode: 240
; IeeeMode: 1
; LDSByteSize: 0 bytes/workgroup (compile time only)
; SGPRBlocks: 0
; VGPRBlocks: 0
; NumSGPRsForWavesPerEU: 6
; NumVGPRsForWavesPerEU: 1
; AccumOffset: 4
; Occupancy: 8
; WaveLimiterHint : 0
; COMPUTE_PGM_RSRC2:SCRATCH_EN: 0
; COMPUTE_PGM_RSRC2:USER_SGPR: 2
; COMPUTE_PGM_RSRC2:TRAP_HANDLER: 0
; COMPUTE_PGM_RSRC2:TGID_X_EN: 1
; COMPUTE_PGM_RSRC2:TGID_Y_EN: 0
; COMPUTE_PGM_RSRC2:TGID_Z_EN: 0
; COMPUTE_PGM_RSRC2:TIDIG_COMP_CNT: 0
; COMPUTE_PGM_RSRC3_GFX90A:ACCUM_OFFSET: 0
; COMPUTE_PGM_RSRC3_GFX90A:TG_SPLIT: 0
	.section	.text._ZN7rocprim17ROCPRIM_400000_NS6detail17trampoline_kernelINS0_14default_configENS1_38merge_sort_block_merge_config_selectorIssEEZZNS1_27merge_sort_block_merge_implIS3_N6thrust23THRUST_200600_302600_NS6detail15normal_iteratorINS8_10device_ptrIsEEEESD_jNS1_19radix_merge_compareILb0ELb1EsNS0_19identity_decomposerEEEEE10hipError_tT0_T1_T2_jT3_P12ihipStream_tbPNSt15iterator_traitsISI_E10value_typeEPNSO_ISJ_E10value_typeEPSK_NS1_7vsmem_tEENKUlT_SI_SJ_SK_E_clIPsSD_S10_SD_EESH_SX_SI_SJ_SK_EUlSX_E1_NS1_11comp_targetILNS1_3genE0ELNS1_11target_archE4294967295ELNS1_3gpuE0ELNS1_3repE0EEENS1_36merge_oddeven_config_static_selectorELNS0_4arch9wavefront6targetE1EEEvSJ_,"axG",@progbits,_ZN7rocprim17ROCPRIM_400000_NS6detail17trampoline_kernelINS0_14default_configENS1_38merge_sort_block_merge_config_selectorIssEEZZNS1_27merge_sort_block_merge_implIS3_N6thrust23THRUST_200600_302600_NS6detail15normal_iteratorINS8_10device_ptrIsEEEESD_jNS1_19radix_merge_compareILb0ELb1EsNS0_19identity_decomposerEEEEE10hipError_tT0_T1_T2_jT3_P12ihipStream_tbPNSt15iterator_traitsISI_E10value_typeEPNSO_ISJ_E10value_typeEPSK_NS1_7vsmem_tEENKUlT_SI_SJ_SK_E_clIPsSD_S10_SD_EESH_SX_SI_SJ_SK_EUlSX_E1_NS1_11comp_targetILNS1_3genE0ELNS1_11target_archE4294967295ELNS1_3gpuE0ELNS1_3repE0EEENS1_36merge_oddeven_config_static_selectorELNS0_4arch9wavefront6targetE1EEEvSJ_,comdat
	.protected	_ZN7rocprim17ROCPRIM_400000_NS6detail17trampoline_kernelINS0_14default_configENS1_38merge_sort_block_merge_config_selectorIssEEZZNS1_27merge_sort_block_merge_implIS3_N6thrust23THRUST_200600_302600_NS6detail15normal_iteratorINS8_10device_ptrIsEEEESD_jNS1_19radix_merge_compareILb0ELb1EsNS0_19identity_decomposerEEEEE10hipError_tT0_T1_T2_jT3_P12ihipStream_tbPNSt15iterator_traitsISI_E10value_typeEPNSO_ISJ_E10value_typeEPSK_NS1_7vsmem_tEENKUlT_SI_SJ_SK_E_clIPsSD_S10_SD_EESH_SX_SI_SJ_SK_EUlSX_E1_NS1_11comp_targetILNS1_3genE0ELNS1_11target_archE4294967295ELNS1_3gpuE0ELNS1_3repE0EEENS1_36merge_oddeven_config_static_selectorELNS0_4arch9wavefront6targetE1EEEvSJ_ ; -- Begin function _ZN7rocprim17ROCPRIM_400000_NS6detail17trampoline_kernelINS0_14default_configENS1_38merge_sort_block_merge_config_selectorIssEEZZNS1_27merge_sort_block_merge_implIS3_N6thrust23THRUST_200600_302600_NS6detail15normal_iteratorINS8_10device_ptrIsEEEESD_jNS1_19radix_merge_compareILb0ELb1EsNS0_19identity_decomposerEEEEE10hipError_tT0_T1_T2_jT3_P12ihipStream_tbPNSt15iterator_traitsISI_E10value_typeEPNSO_ISJ_E10value_typeEPSK_NS1_7vsmem_tEENKUlT_SI_SJ_SK_E_clIPsSD_S10_SD_EESH_SX_SI_SJ_SK_EUlSX_E1_NS1_11comp_targetILNS1_3genE0ELNS1_11target_archE4294967295ELNS1_3gpuE0ELNS1_3repE0EEENS1_36merge_oddeven_config_static_selectorELNS0_4arch9wavefront6targetE1EEEvSJ_
	.globl	_ZN7rocprim17ROCPRIM_400000_NS6detail17trampoline_kernelINS0_14default_configENS1_38merge_sort_block_merge_config_selectorIssEEZZNS1_27merge_sort_block_merge_implIS3_N6thrust23THRUST_200600_302600_NS6detail15normal_iteratorINS8_10device_ptrIsEEEESD_jNS1_19radix_merge_compareILb0ELb1EsNS0_19identity_decomposerEEEEE10hipError_tT0_T1_T2_jT3_P12ihipStream_tbPNSt15iterator_traitsISI_E10value_typeEPNSO_ISJ_E10value_typeEPSK_NS1_7vsmem_tEENKUlT_SI_SJ_SK_E_clIPsSD_S10_SD_EESH_SX_SI_SJ_SK_EUlSX_E1_NS1_11comp_targetILNS1_3genE0ELNS1_11target_archE4294967295ELNS1_3gpuE0ELNS1_3repE0EEENS1_36merge_oddeven_config_static_selectorELNS0_4arch9wavefront6targetE1EEEvSJ_
	.p2align	8
	.type	_ZN7rocprim17ROCPRIM_400000_NS6detail17trampoline_kernelINS0_14default_configENS1_38merge_sort_block_merge_config_selectorIssEEZZNS1_27merge_sort_block_merge_implIS3_N6thrust23THRUST_200600_302600_NS6detail15normal_iteratorINS8_10device_ptrIsEEEESD_jNS1_19radix_merge_compareILb0ELb1EsNS0_19identity_decomposerEEEEE10hipError_tT0_T1_T2_jT3_P12ihipStream_tbPNSt15iterator_traitsISI_E10value_typeEPNSO_ISJ_E10value_typeEPSK_NS1_7vsmem_tEENKUlT_SI_SJ_SK_E_clIPsSD_S10_SD_EESH_SX_SI_SJ_SK_EUlSX_E1_NS1_11comp_targetILNS1_3genE0ELNS1_11target_archE4294967295ELNS1_3gpuE0ELNS1_3repE0EEENS1_36merge_oddeven_config_static_selectorELNS0_4arch9wavefront6targetE1EEEvSJ_,@function
_ZN7rocprim17ROCPRIM_400000_NS6detail17trampoline_kernelINS0_14default_configENS1_38merge_sort_block_merge_config_selectorIssEEZZNS1_27merge_sort_block_merge_implIS3_N6thrust23THRUST_200600_302600_NS6detail15normal_iteratorINS8_10device_ptrIsEEEESD_jNS1_19radix_merge_compareILb0ELb1EsNS0_19identity_decomposerEEEEE10hipError_tT0_T1_T2_jT3_P12ihipStream_tbPNSt15iterator_traitsISI_E10value_typeEPNSO_ISJ_E10value_typeEPSK_NS1_7vsmem_tEENKUlT_SI_SJ_SK_E_clIPsSD_S10_SD_EESH_SX_SI_SJ_SK_EUlSX_E1_NS1_11comp_targetILNS1_3genE0ELNS1_11target_archE4294967295ELNS1_3gpuE0ELNS1_3repE0EEENS1_36merge_oddeven_config_static_selectorELNS0_4arch9wavefront6targetE1EEEvSJ_: ; @_ZN7rocprim17ROCPRIM_400000_NS6detail17trampoline_kernelINS0_14default_configENS1_38merge_sort_block_merge_config_selectorIssEEZZNS1_27merge_sort_block_merge_implIS3_N6thrust23THRUST_200600_302600_NS6detail15normal_iteratorINS8_10device_ptrIsEEEESD_jNS1_19radix_merge_compareILb0ELb1EsNS0_19identity_decomposerEEEEE10hipError_tT0_T1_T2_jT3_P12ihipStream_tbPNSt15iterator_traitsISI_E10value_typeEPNSO_ISJ_E10value_typeEPSK_NS1_7vsmem_tEENKUlT_SI_SJ_SK_E_clIPsSD_S10_SD_EESH_SX_SI_SJ_SK_EUlSX_E1_NS1_11comp_targetILNS1_3genE0ELNS1_11target_archE4294967295ELNS1_3gpuE0ELNS1_3repE0EEENS1_36merge_oddeven_config_static_selectorELNS0_4arch9wavefront6targetE1EEEvSJ_
; %bb.0:
	s_load_dword s20, s[0:1], 0x20
	s_waitcnt lgkmcnt(0)
	s_lshr_b32 s3, s20, 8
	s_cmp_eq_u32 s2, s3
	s_cselect_b64 s[16:17], -1, 0
	s_cmp_lg_u32 s2, s3
	s_cselect_b64 s[4:5], -1, 0
	s_lshl_b32 s18, s2, 8
	s_sub_i32 s3, s20, s18
	v_cmp_gt_u32_e64 s[6:7], s3, v0
	s_or_b64 s[4:5], s[4:5], s[6:7]
	s_and_saveexec_b64 s[8:9], s[4:5]
	s_cbranch_execz .LBB1583_24
; %bb.1:
	s_load_dwordx8 s[8:15], s[0:1], 0x0
	s_mov_b32 s19, 0
	s_lshl_b64 s[4:5], s[18:19], 1
	v_lshlrev_b32_e32 v1, 1, v0
	s_load_dword s19, s[0:1], 0x24
	s_waitcnt lgkmcnt(0)
	s_add_u32 s22, s8, s4
	s_addc_u32 s23, s9, s5
	s_add_u32 s4, s12, s4
	s_addc_u32 s5, s13, s5
	global_load_ushort v2, v1, s[4:5]
	global_load_ushort v3, v1, s[22:23]
	s_lshr_b32 s3, s19, 8
	s_sub_i32 s4, 0, s3
	s_and_b32 s2, s2, s4
	s_and_b32 s3, s2, s3
	s_lshl_b32 s21, s2, 8
	s_sub_i32 s12, 0, s19
	s_cmp_eq_u32 s3, 0
	s_cselect_b64 s[4:5], -1, 0
	s_and_b64 s[2:3], s[4:5], exec
	s_cselect_b32 s12, s19, s12
	s_add_i32 s12, s12, s21
	s_mov_b64 s[2:3], -1
	s_cmp_gt_u32 s20, s12
	v_add_u32_e32 v0, s18, v0
	s_cbranch_scc1 .LBB1583_9
; %bb.2:
	s_and_b64 vcc, exec, s[16:17]
	s_cbranch_vccz .LBB1583_6
; %bb.3:
	v_cmp_gt_u32_e32 vcc, s20, v0
	s_and_saveexec_b64 s[2:3], vcc
	s_cbranch_execz .LBB1583_5
; %bb.4:
	v_mov_b32_e32 v1, 0
	v_lshlrev_b64 v[4:5], 1, v[0:1]
	v_lshl_add_u64 v[6:7], s[10:11], 0, v[4:5]
	v_lshl_add_u64 v[4:5], s[14:15], 0, v[4:5]
	s_waitcnt vmcnt(0)
	global_store_short v[6:7], v3, off
	global_store_short v[4:5], v2, off
.LBB1583_5:
	s_or_b64 exec, exec, s[2:3]
	s_mov_b64 s[2:3], 0
.LBB1583_6:
	s_andn2_b64 vcc, exec, s[2:3]
	s_cbranch_vccnz .LBB1583_8
; %bb.7:
	v_mov_b32_e32 v1, 0
	v_lshlrev_b64 v[4:5], 1, v[0:1]
	v_lshl_add_u64 v[6:7], s[10:11], 0, v[4:5]
	v_lshl_add_u64 v[4:5], s[14:15], 0, v[4:5]
	s_waitcnt vmcnt(0)
	global_store_short v[6:7], v3, off
	global_store_short v[4:5], v2, off
.LBB1583_8:
	s_mov_b64 s[2:3], 0
.LBB1583_9:
	s_andn2_b64 vcc, exec, s[2:3]
	s_cbranch_vccnz .LBB1583_24
; %bb.10:
	s_load_dword s13, s[0:1], 0x28
	s_min_u32 s18, s12, s20
	s_add_i32 s0, s18, s19
	s_min_u32 s19, s0, s20
	s_min_u32 s0, s21, s18
	s_add_i32 s21, s21, s18
	v_subrev_u32_e32 v0, s21, v0
	v_add_u32_e32 v0, s0, v0
	s_waitcnt vmcnt(0) lgkmcnt(0)
	v_and_b32_e32 v1, s13, v3
	s_mov_b64 s[0:1], -1
	s_and_b64 vcc, exec, s[16:17]
	s_cbranch_vccz .LBB1583_18
; %bb.11:
	s_and_saveexec_b64 s[0:1], s[6:7]
	s_cbranch_execz .LBB1583_17
; %bb.12:
	s_cmp_ge_u32 s12, s19
	v_mov_b32_e32 v4, s18
	s_cbranch_scc1 .LBB1583_16
; %bb.13:
	s_mov_b64 s[2:3], 0
	v_mov_b32_e32 v5, s19
	v_mov_b32_e32 v4, s18
.LBB1583_14:                            ; =>This Inner Loop Header: Depth=1
	v_add_u32_e32 v6, v4, v5
	v_and_b32_e32 v7, -2, v6
	global_load_ushort v7, v7, s[8:9]
	v_lshrrev_b32_e32 v6, 1, v6
	v_add_u32_e32 v8, 1, v6
	s_waitcnt vmcnt(0)
	v_and_b32_e32 v7, s13, v7
	v_cmp_gt_i16_e32 vcc, v1, v7
	s_nop 1
	v_cndmask_b32_e64 v9, 0, 1, vcc
	v_cmp_le_i16_e32 vcc, v7, v1
	s_nop 1
	v_cndmask_b32_e64 v7, 0, 1, vcc
	v_cndmask_b32_e64 v7, v7, v9, s[4:5]
	v_and_b32_e32 v7, 1, v7
	v_cmp_eq_u32_e32 vcc, 1, v7
	s_nop 1
	v_cndmask_b32_e32 v5, v6, v5, vcc
	v_cndmask_b32_e32 v4, v4, v8, vcc
	v_cmp_ge_u32_e32 vcc, v4, v5
	s_or_b64 s[2:3], vcc, s[2:3]
	s_andn2_b64 exec, exec, s[2:3]
	s_cbranch_execnz .LBB1583_14
; %bb.15:
	s_or_b64 exec, exec, s[2:3]
.LBB1583_16:
	v_add_u32_e32 v4, v4, v0
	v_mov_b32_e32 v5, 0
	v_lshlrev_b64 v[4:5], 1, v[4:5]
	v_lshl_add_u64 v[6:7], s[10:11], 0, v[4:5]
	v_lshl_add_u64 v[4:5], s[14:15], 0, v[4:5]
	global_store_short v[6:7], v3, off
	global_store_short v[4:5], v2, off
.LBB1583_17:
	s_or_b64 exec, exec, s[0:1]
	s_mov_b64 s[0:1], 0
.LBB1583_18:
	s_andn2_b64 vcc, exec, s[0:1]
	s_cbranch_vccnz .LBB1583_24
; %bb.19:
	s_cmp_ge_u32 s12, s19
	v_mov_b32_e32 v4, s18
	s_cbranch_scc1 .LBB1583_23
; %bb.20:
	s_mov_b64 s[0:1], 0
	v_mov_b32_e32 v5, s19
	v_mov_b32_e32 v4, s18
.LBB1583_21:                            ; =>This Inner Loop Header: Depth=1
	v_add_u32_e32 v6, v4, v5
	v_and_b32_e32 v7, -2, v6
	global_load_ushort v7, v7, s[8:9]
	v_lshrrev_b32_e32 v6, 1, v6
	v_add_u32_e32 v8, 1, v6
	s_waitcnt vmcnt(0)
	v_and_b32_e32 v7, s13, v7
	v_cmp_gt_i16_e32 vcc, v1, v7
	s_nop 1
	v_cndmask_b32_e64 v9, 0, 1, vcc
	v_cmp_le_i16_e32 vcc, v7, v1
	s_nop 1
	v_cndmask_b32_e64 v7, 0, 1, vcc
	v_cndmask_b32_e64 v7, v7, v9, s[4:5]
	v_and_b32_e32 v7, 1, v7
	v_cmp_eq_u32_e32 vcc, 1, v7
	s_nop 1
	v_cndmask_b32_e32 v5, v6, v5, vcc
	v_cndmask_b32_e32 v4, v4, v8, vcc
	v_cmp_ge_u32_e32 vcc, v4, v5
	s_or_b64 s[0:1], vcc, s[0:1]
	s_andn2_b64 exec, exec, s[0:1]
	s_cbranch_execnz .LBB1583_21
; %bb.22:
	s_or_b64 exec, exec, s[0:1]
.LBB1583_23:
	v_add_u32_e32 v0, v4, v0
	v_mov_b32_e32 v1, 0
	v_lshlrev_b64 v[0:1], 1, v[0:1]
	v_lshl_add_u64 v[4:5], s[10:11], 0, v[0:1]
	v_lshl_add_u64 v[0:1], s[14:15], 0, v[0:1]
	global_store_short v[4:5], v3, off
	global_store_short v[0:1], v2, off
.LBB1583_24:
	s_endpgm
	.section	.rodata,"a",@progbits
	.p2align	6, 0x0
	.amdhsa_kernel _ZN7rocprim17ROCPRIM_400000_NS6detail17trampoline_kernelINS0_14default_configENS1_38merge_sort_block_merge_config_selectorIssEEZZNS1_27merge_sort_block_merge_implIS3_N6thrust23THRUST_200600_302600_NS6detail15normal_iteratorINS8_10device_ptrIsEEEESD_jNS1_19radix_merge_compareILb0ELb1EsNS0_19identity_decomposerEEEEE10hipError_tT0_T1_T2_jT3_P12ihipStream_tbPNSt15iterator_traitsISI_E10value_typeEPNSO_ISJ_E10value_typeEPSK_NS1_7vsmem_tEENKUlT_SI_SJ_SK_E_clIPsSD_S10_SD_EESH_SX_SI_SJ_SK_EUlSX_E1_NS1_11comp_targetILNS1_3genE0ELNS1_11target_archE4294967295ELNS1_3gpuE0ELNS1_3repE0EEENS1_36merge_oddeven_config_static_selectorELNS0_4arch9wavefront6targetE1EEEvSJ_
		.amdhsa_group_segment_fixed_size 0
		.amdhsa_private_segment_fixed_size 0
		.amdhsa_kernarg_size 48
		.amdhsa_user_sgpr_count 2
		.amdhsa_user_sgpr_dispatch_ptr 0
		.amdhsa_user_sgpr_queue_ptr 0
		.amdhsa_user_sgpr_kernarg_segment_ptr 1
		.amdhsa_user_sgpr_dispatch_id 0
		.amdhsa_user_sgpr_kernarg_preload_length 0
		.amdhsa_user_sgpr_kernarg_preload_offset 0
		.amdhsa_user_sgpr_private_segment_size 0
		.amdhsa_uses_dynamic_stack 0
		.amdhsa_enable_private_segment 0
		.amdhsa_system_sgpr_workgroup_id_x 1
		.amdhsa_system_sgpr_workgroup_id_y 0
		.amdhsa_system_sgpr_workgroup_id_z 0
		.amdhsa_system_sgpr_workgroup_info 0
		.amdhsa_system_vgpr_workitem_id 0
		.amdhsa_next_free_vgpr 10
		.amdhsa_next_free_sgpr 24
		.amdhsa_accum_offset 12
		.amdhsa_reserve_vcc 1
		.amdhsa_float_round_mode_32 0
		.amdhsa_float_round_mode_16_64 0
		.amdhsa_float_denorm_mode_32 3
		.amdhsa_float_denorm_mode_16_64 3
		.amdhsa_dx10_clamp 1
		.amdhsa_ieee_mode 1
		.amdhsa_fp16_overflow 0
		.amdhsa_tg_split 0
		.amdhsa_exception_fp_ieee_invalid_op 0
		.amdhsa_exception_fp_denorm_src 0
		.amdhsa_exception_fp_ieee_div_zero 0
		.amdhsa_exception_fp_ieee_overflow 0
		.amdhsa_exception_fp_ieee_underflow 0
		.amdhsa_exception_fp_ieee_inexact 0
		.amdhsa_exception_int_div_zero 0
	.end_amdhsa_kernel
	.section	.text._ZN7rocprim17ROCPRIM_400000_NS6detail17trampoline_kernelINS0_14default_configENS1_38merge_sort_block_merge_config_selectorIssEEZZNS1_27merge_sort_block_merge_implIS3_N6thrust23THRUST_200600_302600_NS6detail15normal_iteratorINS8_10device_ptrIsEEEESD_jNS1_19radix_merge_compareILb0ELb1EsNS0_19identity_decomposerEEEEE10hipError_tT0_T1_T2_jT3_P12ihipStream_tbPNSt15iterator_traitsISI_E10value_typeEPNSO_ISJ_E10value_typeEPSK_NS1_7vsmem_tEENKUlT_SI_SJ_SK_E_clIPsSD_S10_SD_EESH_SX_SI_SJ_SK_EUlSX_E1_NS1_11comp_targetILNS1_3genE0ELNS1_11target_archE4294967295ELNS1_3gpuE0ELNS1_3repE0EEENS1_36merge_oddeven_config_static_selectorELNS0_4arch9wavefront6targetE1EEEvSJ_,"axG",@progbits,_ZN7rocprim17ROCPRIM_400000_NS6detail17trampoline_kernelINS0_14default_configENS1_38merge_sort_block_merge_config_selectorIssEEZZNS1_27merge_sort_block_merge_implIS3_N6thrust23THRUST_200600_302600_NS6detail15normal_iteratorINS8_10device_ptrIsEEEESD_jNS1_19radix_merge_compareILb0ELb1EsNS0_19identity_decomposerEEEEE10hipError_tT0_T1_T2_jT3_P12ihipStream_tbPNSt15iterator_traitsISI_E10value_typeEPNSO_ISJ_E10value_typeEPSK_NS1_7vsmem_tEENKUlT_SI_SJ_SK_E_clIPsSD_S10_SD_EESH_SX_SI_SJ_SK_EUlSX_E1_NS1_11comp_targetILNS1_3genE0ELNS1_11target_archE4294967295ELNS1_3gpuE0ELNS1_3repE0EEENS1_36merge_oddeven_config_static_selectorELNS0_4arch9wavefront6targetE1EEEvSJ_,comdat
.Lfunc_end1583:
	.size	_ZN7rocprim17ROCPRIM_400000_NS6detail17trampoline_kernelINS0_14default_configENS1_38merge_sort_block_merge_config_selectorIssEEZZNS1_27merge_sort_block_merge_implIS3_N6thrust23THRUST_200600_302600_NS6detail15normal_iteratorINS8_10device_ptrIsEEEESD_jNS1_19radix_merge_compareILb0ELb1EsNS0_19identity_decomposerEEEEE10hipError_tT0_T1_T2_jT3_P12ihipStream_tbPNSt15iterator_traitsISI_E10value_typeEPNSO_ISJ_E10value_typeEPSK_NS1_7vsmem_tEENKUlT_SI_SJ_SK_E_clIPsSD_S10_SD_EESH_SX_SI_SJ_SK_EUlSX_E1_NS1_11comp_targetILNS1_3genE0ELNS1_11target_archE4294967295ELNS1_3gpuE0ELNS1_3repE0EEENS1_36merge_oddeven_config_static_selectorELNS0_4arch9wavefront6targetE1EEEvSJ_, .Lfunc_end1583-_ZN7rocprim17ROCPRIM_400000_NS6detail17trampoline_kernelINS0_14default_configENS1_38merge_sort_block_merge_config_selectorIssEEZZNS1_27merge_sort_block_merge_implIS3_N6thrust23THRUST_200600_302600_NS6detail15normal_iteratorINS8_10device_ptrIsEEEESD_jNS1_19radix_merge_compareILb0ELb1EsNS0_19identity_decomposerEEEEE10hipError_tT0_T1_T2_jT3_P12ihipStream_tbPNSt15iterator_traitsISI_E10value_typeEPNSO_ISJ_E10value_typeEPSK_NS1_7vsmem_tEENKUlT_SI_SJ_SK_E_clIPsSD_S10_SD_EESH_SX_SI_SJ_SK_EUlSX_E1_NS1_11comp_targetILNS1_3genE0ELNS1_11target_archE4294967295ELNS1_3gpuE0ELNS1_3repE0EEENS1_36merge_oddeven_config_static_selectorELNS0_4arch9wavefront6targetE1EEEvSJ_
                                        ; -- End function
	.set _ZN7rocprim17ROCPRIM_400000_NS6detail17trampoline_kernelINS0_14default_configENS1_38merge_sort_block_merge_config_selectorIssEEZZNS1_27merge_sort_block_merge_implIS3_N6thrust23THRUST_200600_302600_NS6detail15normal_iteratorINS8_10device_ptrIsEEEESD_jNS1_19radix_merge_compareILb0ELb1EsNS0_19identity_decomposerEEEEE10hipError_tT0_T1_T2_jT3_P12ihipStream_tbPNSt15iterator_traitsISI_E10value_typeEPNSO_ISJ_E10value_typeEPSK_NS1_7vsmem_tEENKUlT_SI_SJ_SK_E_clIPsSD_S10_SD_EESH_SX_SI_SJ_SK_EUlSX_E1_NS1_11comp_targetILNS1_3genE0ELNS1_11target_archE4294967295ELNS1_3gpuE0ELNS1_3repE0EEENS1_36merge_oddeven_config_static_selectorELNS0_4arch9wavefront6targetE1EEEvSJ_.num_vgpr, 10
	.set _ZN7rocprim17ROCPRIM_400000_NS6detail17trampoline_kernelINS0_14default_configENS1_38merge_sort_block_merge_config_selectorIssEEZZNS1_27merge_sort_block_merge_implIS3_N6thrust23THRUST_200600_302600_NS6detail15normal_iteratorINS8_10device_ptrIsEEEESD_jNS1_19radix_merge_compareILb0ELb1EsNS0_19identity_decomposerEEEEE10hipError_tT0_T1_T2_jT3_P12ihipStream_tbPNSt15iterator_traitsISI_E10value_typeEPNSO_ISJ_E10value_typeEPSK_NS1_7vsmem_tEENKUlT_SI_SJ_SK_E_clIPsSD_S10_SD_EESH_SX_SI_SJ_SK_EUlSX_E1_NS1_11comp_targetILNS1_3genE0ELNS1_11target_archE4294967295ELNS1_3gpuE0ELNS1_3repE0EEENS1_36merge_oddeven_config_static_selectorELNS0_4arch9wavefront6targetE1EEEvSJ_.num_agpr, 0
	.set _ZN7rocprim17ROCPRIM_400000_NS6detail17trampoline_kernelINS0_14default_configENS1_38merge_sort_block_merge_config_selectorIssEEZZNS1_27merge_sort_block_merge_implIS3_N6thrust23THRUST_200600_302600_NS6detail15normal_iteratorINS8_10device_ptrIsEEEESD_jNS1_19radix_merge_compareILb0ELb1EsNS0_19identity_decomposerEEEEE10hipError_tT0_T1_T2_jT3_P12ihipStream_tbPNSt15iterator_traitsISI_E10value_typeEPNSO_ISJ_E10value_typeEPSK_NS1_7vsmem_tEENKUlT_SI_SJ_SK_E_clIPsSD_S10_SD_EESH_SX_SI_SJ_SK_EUlSX_E1_NS1_11comp_targetILNS1_3genE0ELNS1_11target_archE4294967295ELNS1_3gpuE0ELNS1_3repE0EEENS1_36merge_oddeven_config_static_selectorELNS0_4arch9wavefront6targetE1EEEvSJ_.numbered_sgpr, 24
	.set _ZN7rocprim17ROCPRIM_400000_NS6detail17trampoline_kernelINS0_14default_configENS1_38merge_sort_block_merge_config_selectorIssEEZZNS1_27merge_sort_block_merge_implIS3_N6thrust23THRUST_200600_302600_NS6detail15normal_iteratorINS8_10device_ptrIsEEEESD_jNS1_19radix_merge_compareILb0ELb1EsNS0_19identity_decomposerEEEEE10hipError_tT0_T1_T2_jT3_P12ihipStream_tbPNSt15iterator_traitsISI_E10value_typeEPNSO_ISJ_E10value_typeEPSK_NS1_7vsmem_tEENKUlT_SI_SJ_SK_E_clIPsSD_S10_SD_EESH_SX_SI_SJ_SK_EUlSX_E1_NS1_11comp_targetILNS1_3genE0ELNS1_11target_archE4294967295ELNS1_3gpuE0ELNS1_3repE0EEENS1_36merge_oddeven_config_static_selectorELNS0_4arch9wavefront6targetE1EEEvSJ_.num_named_barrier, 0
	.set _ZN7rocprim17ROCPRIM_400000_NS6detail17trampoline_kernelINS0_14default_configENS1_38merge_sort_block_merge_config_selectorIssEEZZNS1_27merge_sort_block_merge_implIS3_N6thrust23THRUST_200600_302600_NS6detail15normal_iteratorINS8_10device_ptrIsEEEESD_jNS1_19radix_merge_compareILb0ELb1EsNS0_19identity_decomposerEEEEE10hipError_tT0_T1_T2_jT3_P12ihipStream_tbPNSt15iterator_traitsISI_E10value_typeEPNSO_ISJ_E10value_typeEPSK_NS1_7vsmem_tEENKUlT_SI_SJ_SK_E_clIPsSD_S10_SD_EESH_SX_SI_SJ_SK_EUlSX_E1_NS1_11comp_targetILNS1_3genE0ELNS1_11target_archE4294967295ELNS1_3gpuE0ELNS1_3repE0EEENS1_36merge_oddeven_config_static_selectorELNS0_4arch9wavefront6targetE1EEEvSJ_.private_seg_size, 0
	.set _ZN7rocprim17ROCPRIM_400000_NS6detail17trampoline_kernelINS0_14default_configENS1_38merge_sort_block_merge_config_selectorIssEEZZNS1_27merge_sort_block_merge_implIS3_N6thrust23THRUST_200600_302600_NS6detail15normal_iteratorINS8_10device_ptrIsEEEESD_jNS1_19radix_merge_compareILb0ELb1EsNS0_19identity_decomposerEEEEE10hipError_tT0_T1_T2_jT3_P12ihipStream_tbPNSt15iterator_traitsISI_E10value_typeEPNSO_ISJ_E10value_typeEPSK_NS1_7vsmem_tEENKUlT_SI_SJ_SK_E_clIPsSD_S10_SD_EESH_SX_SI_SJ_SK_EUlSX_E1_NS1_11comp_targetILNS1_3genE0ELNS1_11target_archE4294967295ELNS1_3gpuE0ELNS1_3repE0EEENS1_36merge_oddeven_config_static_selectorELNS0_4arch9wavefront6targetE1EEEvSJ_.uses_vcc, 1
	.set _ZN7rocprim17ROCPRIM_400000_NS6detail17trampoline_kernelINS0_14default_configENS1_38merge_sort_block_merge_config_selectorIssEEZZNS1_27merge_sort_block_merge_implIS3_N6thrust23THRUST_200600_302600_NS6detail15normal_iteratorINS8_10device_ptrIsEEEESD_jNS1_19radix_merge_compareILb0ELb1EsNS0_19identity_decomposerEEEEE10hipError_tT0_T1_T2_jT3_P12ihipStream_tbPNSt15iterator_traitsISI_E10value_typeEPNSO_ISJ_E10value_typeEPSK_NS1_7vsmem_tEENKUlT_SI_SJ_SK_E_clIPsSD_S10_SD_EESH_SX_SI_SJ_SK_EUlSX_E1_NS1_11comp_targetILNS1_3genE0ELNS1_11target_archE4294967295ELNS1_3gpuE0ELNS1_3repE0EEENS1_36merge_oddeven_config_static_selectorELNS0_4arch9wavefront6targetE1EEEvSJ_.uses_flat_scratch, 0
	.set _ZN7rocprim17ROCPRIM_400000_NS6detail17trampoline_kernelINS0_14default_configENS1_38merge_sort_block_merge_config_selectorIssEEZZNS1_27merge_sort_block_merge_implIS3_N6thrust23THRUST_200600_302600_NS6detail15normal_iteratorINS8_10device_ptrIsEEEESD_jNS1_19radix_merge_compareILb0ELb1EsNS0_19identity_decomposerEEEEE10hipError_tT0_T1_T2_jT3_P12ihipStream_tbPNSt15iterator_traitsISI_E10value_typeEPNSO_ISJ_E10value_typeEPSK_NS1_7vsmem_tEENKUlT_SI_SJ_SK_E_clIPsSD_S10_SD_EESH_SX_SI_SJ_SK_EUlSX_E1_NS1_11comp_targetILNS1_3genE0ELNS1_11target_archE4294967295ELNS1_3gpuE0ELNS1_3repE0EEENS1_36merge_oddeven_config_static_selectorELNS0_4arch9wavefront6targetE1EEEvSJ_.has_dyn_sized_stack, 0
	.set _ZN7rocprim17ROCPRIM_400000_NS6detail17trampoline_kernelINS0_14default_configENS1_38merge_sort_block_merge_config_selectorIssEEZZNS1_27merge_sort_block_merge_implIS3_N6thrust23THRUST_200600_302600_NS6detail15normal_iteratorINS8_10device_ptrIsEEEESD_jNS1_19radix_merge_compareILb0ELb1EsNS0_19identity_decomposerEEEEE10hipError_tT0_T1_T2_jT3_P12ihipStream_tbPNSt15iterator_traitsISI_E10value_typeEPNSO_ISJ_E10value_typeEPSK_NS1_7vsmem_tEENKUlT_SI_SJ_SK_E_clIPsSD_S10_SD_EESH_SX_SI_SJ_SK_EUlSX_E1_NS1_11comp_targetILNS1_3genE0ELNS1_11target_archE4294967295ELNS1_3gpuE0ELNS1_3repE0EEENS1_36merge_oddeven_config_static_selectorELNS0_4arch9wavefront6targetE1EEEvSJ_.has_recursion, 0
	.set _ZN7rocprim17ROCPRIM_400000_NS6detail17trampoline_kernelINS0_14default_configENS1_38merge_sort_block_merge_config_selectorIssEEZZNS1_27merge_sort_block_merge_implIS3_N6thrust23THRUST_200600_302600_NS6detail15normal_iteratorINS8_10device_ptrIsEEEESD_jNS1_19radix_merge_compareILb0ELb1EsNS0_19identity_decomposerEEEEE10hipError_tT0_T1_T2_jT3_P12ihipStream_tbPNSt15iterator_traitsISI_E10value_typeEPNSO_ISJ_E10value_typeEPSK_NS1_7vsmem_tEENKUlT_SI_SJ_SK_E_clIPsSD_S10_SD_EESH_SX_SI_SJ_SK_EUlSX_E1_NS1_11comp_targetILNS1_3genE0ELNS1_11target_archE4294967295ELNS1_3gpuE0ELNS1_3repE0EEENS1_36merge_oddeven_config_static_selectorELNS0_4arch9wavefront6targetE1EEEvSJ_.has_indirect_call, 0
	.section	.AMDGPU.csdata,"",@progbits
; Kernel info:
; codeLenInByte = 780
; TotalNumSgprs: 30
; NumVgprs: 10
; NumAgprs: 0
; TotalNumVgprs: 10
; ScratchSize: 0
; MemoryBound: 0
; FloatMode: 240
; IeeeMode: 1
; LDSByteSize: 0 bytes/workgroup (compile time only)
; SGPRBlocks: 3
; VGPRBlocks: 1
; NumSGPRsForWavesPerEU: 30
; NumVGPRsForWavesPerEU: 10
; AccumOffset: 12
; Occupancy: 8
; WaveLimiterHint : 0
; COMPUTE_PGM_RSRC2:SCRATCH_EN: 0
; COMPUTE_PGM_RSRC2:USER_SGPR: 2
; COMPUTE_PGM_RSRC2:TRAP_HANDLER: 0
; COMPUTE_PGM_RSRC2:TGID_X_EN: 1
; COMPUTE_PGM_RSRC2:TGID_Y_EN: 0
; COMPUTE_PGM_RSRC2:TGID_Z_EN: 0
; COMPUTE_PGM_RSRC2:TIDIG_COMP_CNT: 0
; COMPUTE_PGM_RSRC3_GFX90A:ACCUM_OFFSET: 2
; COMPUTE_PGM_RSRC3_GFX90A:TG_SPLIT: 0
	.section	.text._ZN7rocprim17ROCPRIM_400000_NS6detail17trampoline_kernelINS0_14default_configENS1_38merge_sort_block_merge_config_selectorIssEEZZNS1_27merge_sort_block_merge_implIS3_N6thrust23THRUST_200600_302600_NS6detail15normal_iteratorINS8_10device_ptrIsEEEESD_jNS1_19radix_merge_compareILb0ELb1EsNS0_19identity_decomposerEEEEE10hipError_tT0_T1_T2_jT3_P12ihipStream_tbPNSt15iterator_traitsISI_E10value_typeEPNSO_ISJ_E10value_typeEPSK_NS1_7vsmem_tEENKUlT_SI_SJ_SK_E_clIPsSD_S10_SD_EESH_SX_SI_SJ_SK_EUlSX_E1_NS1_11comp_targetILNS1_3genE10ELNS1_11target_archE1201ELNS1_3gpuE5ELNS1_3repE0EEENS1_36merge_oddeven_config_static_selectorELNS0_4arch9wavefront6targetE1EEEvSJ_,"axG",@progbits,_ZN7rocprim17ROCPRIM_400000_NS6detail17trampoline_kernelINS0_14default_configENS1_38merge_sort_block_merge_config_selectorIssEEZZNS1_27merge_sort_block_merge_implIS3_N6thrust23THRUST_200600_302600_NS6detail15normal_iteratorINS8_10device_ptrIsEEEESD_jNS1_19radix_merge_compareILb0ELb1EsNS0_19identity_decomposerEEEEE10hipError_tT0_T1_T2_jT3_P12ihipStream_tbPNSt15iterator_traitsISI_E10value_typeEPNSO_ISJ_E10value_typeEPSK_NS1_7vsmem_tEENKUlT_SI_SJ_SK_E_clIPsSD_S10_SD_EESH_SX_SI_SJ_SK_EUlSX_E1_NS1_11comp_targetILNS1_3genE10ELNS1_11target_archE1201ELNS1_3gpuE5ELNS1_3repE0EEENS1_36merge_oddeven_config_static_selectorELNS0_4arch9wavefront6targetE1EEEvSJ_,comdat
	.protected	_ZN7rocprim17ROCPRIM_400000_NS6detail17trampoline_kernelINS0_14default_configENS1_38merge_sort_block_merge_config_selectorIssEEZZNS1_27merge_sort_block_merge_implIS3_N6thrust23THRUST_200600_302600_NS6detail15normal_iteratorINS8_10device_ptrIsEEEESD_jNS1_19radix_merge_compareILb0ELb1EsNS0_19identity_decomposerEEEEE10hipError_tT0_T1_T2_jT3_P12ihipStream_tbPNSt15iterator_traitsISI_E10value_typeEPNSO_ISJ_E10value_typeEPSK_NS1_7vsmem_tEENKUlT_SI_SJ_SK_E_clIPsSD_S10_SD_EESH_SX_SI_SJ_SK_EUlSX_E1_NS1_11comp_targetILNS1_3genE10ELNS1_11target_archE1201ELNS1_3gpuE5ELNS1_3repE0EEENS1_36merge_oddeven_config_static_selectorELNS0_4arch9wavefront6targetE1EEEvSJ_ ; -- Begin function _ZN7rocprim17ROCPRIM_400000_NS6detail17trampoline_kernelINS0_14default_configENS1_38merge_sort_block_merge_config_selectorIssEEZZNS1_27merge_sort_block_merge_implIS3_N6thrust23THRUST_200600_302600_NS6detail15normal_iteratorINS8_10device_ptrIsEEEESD_jNS1_19radix_merge_compareILb0ELb1EsNS0_19identity_decomposerEEEEE10hipError_tT0_T1_T2_jT3_P12ihipStream_tbPNSt15iterator_traitsISI_E10value_typeEPNSO_ISJ_E10value_typeEPSK_NS1_7vsmem_tEENKUlT_SI_SJ_SK_E_clIPsSD_S10_SD_EESH_SX_SI_SJ_SK_EUlSX_E1_NS1_11comp_targetILNS1_3genE10ELNS1_11target_archE1201ELNS1_3gpuE5ELNS1_3repE0EEENS1_36merge_oddeven_config_static_selectorELNS0_4arch9wavefront6targetE1EEEvSJ_
	.globl	_ZN7rocprim17ROCPRIM_400000_NS6detail17trampoline_kernelINS0_14default_configENS1_38merge_sort_block_merge_config_selectorIssEEZZNS1_27merge_sort_block_merge_implIS3_N6thrust23THRUST_200600_302600_NS6detail15normal_iteratorINS8_10device_ptrIsEEEESD_jNS1_19radix_merge_compareILb0ELb1EsNS0_19identity_decomposerEEEEE10hipError_tT0_T1_T2_jT3_P12ihipStream_tbPNSt15iterator_traitsISI_E10value_typeEPNSO_ISJ_E10value_typeEPSK_NS1_7vsmem_tEENKUlT_SI_SJ_SK_E_clIPsSD_S10_SD_EESH_SX_SI_SJ_SK_EUlSX_E1_NS1_11comp_targetILNS1_3genE10ELNS1_11target_archE1201ELNS1_3gpuE5ELNS1_3repE0EEENS1_36merge_oddeven_config_static_selectorELNS0_4arch9wavefront6targetE1EEEvSJ_
	.p2align	8
	.type	_ZN7rocprim17ROCPRIM_400000_NS6detail17trampoline_kernelINS0_14default_configENS1_38merge_sort_block_merge_config_selectorIssEEZZNS1_27merge_sort_block_merge_implIS3_N6thrust23THRUST_200600_302600_NS6detail15normal_iteratorINS8_10device_ptrIsEEEESD_jNS1_19radix_merge_compareILb0ELb1EsNS0_19identity_decomposerEEEEE10hipError_tT0_T1_T2_jT3_P12ihipStream_tbPNSt15iterator_traitsISI_E10value_typeEPNSO_ISJ_E10value_typeEPSK_NS1_7vsmem_tEENKUlT_SI_SJ_SK_E_clIPsSD_S10_SD_EESH_SX_SI_SJ_SK_EUlSX_E1_NS1_11comp_targetILNS1_3genE10ELNS1_11target_archE1201ELNS1_3gpuE5ELNS1_3repE0EEENS1_36merge_oddeven_config_static_selectorELNS0_4arch9wavefront6targetE1EEEvSJ_,@function
_ZN7rocprim17ROCPRIM_400000_NS6detail17trampoline_kernelINS0_14default_configENS1_38merge_sort_block_merge_config_selectorIssEEZZNS1_27merge_sort_block_merge_implIS3_N6thrust23THRUST_200600_302600_NS6detail15normal_iteratorINS8_10device_ptrIsEEEESD_jNS1_19radix_merge_compareILb0ELb1EsNS0_19identity_decomposerEEEEE10hipError_tT0_T1_T2_jT3_P12ihipStream_tbPNSt15iterator_traitsISI_E10value_typeEPNSO_ISJ_E10value_typeEPSK_NS1_7vsmem_tEENKUlT_SI_SJ_SK_E_clIPsSD_S10_SD_EESH_SX_SI_SJ_SK_EUlSX_E1_NS1_11comp_targetILNS1_3genE10ELNS1_11target_archE1201ELNS1_3gpuE5ELNS1_3repE0EEENS1_36merge_oddeven_config_static_selectorELNS0_4arch9wavefront6targetE1EEEvSJ_: ; @_ZN7rocprim17ROCPRIM_400000_NS6detail17trampoline_kernelINS0_14default_configENS1_38merge_sort_block_merge_config_selectorIssEEZZNS1_27merge_sort_block_merge_implIS3_N6thrust23THRUST_200600_302600_NS6detail15normal_iteratorINS8_10device_ptrIsEEEESD_jNS1_19radix_merge_compareILb0ELb1EsNS0_19identity_decomposerEEEEE10hipError_tT0_T1_T2_jT3_P12ihipStream_tbPNSt15iterator_traitsISI_E10value_typeEPNSO_ISJ_E10value_typeEPSK_NS1_7vsmem_tEENKUlT_SI_SJ_SK_E_clIPsSD_S10_SD_EESH_SX_SI_SJ_SK_EUlSX_E1_NS1_11comp_targetILNS1_3genE10ELNS1_11target_archE1201ELNS1_3gpuE5ELNS1_3repE0EEENS1_36merge_oddeven_config_static_selectorELNS0_4arch9wavefront6targetE1EEEvSJ_
; %bb.0:
	.section	.rodata,"a",@progbits
	.p2align	6, 0x0
	.amdhsa_kernel _ZN7rocprim17ROCPRIM_400000_NS6detail17trampoline_kernelINS0_14default_configENS1_38merge_sort_block_merge_config_selectorIssEEZZNS1_27merge_sort_block_merge_implIS3_N6thrust23THRUST_200600_302600_NS6detail15normal_iteratorINS8_10device_ptrIsEEEESD_jNS1_19radix_merge_compareILb0ELb1EsNS0_19identity_decomposerEEEEE10hipError_tT0_T1_T2_jT3_P12ihipStream_tbPNSt15iterator_traitsISI_E10value_typeEPNSO_ISJ_E10value_typeEPSK_NS1_7vsmem_tEENKUlT_SI_SJ_SK_E_clIPsSD_S10_SD_EESH_SX_SI_SJ_SK_EUlSX_E1_NS1_11comp_targetILNS1_3genE10ELNS1_11target_archE1201ELNS1_3gpuE5ELNS1_3repE0EEENS1_36merge_oddeven_config_static_selectorELNS0_4arch9wavefront6targetE1EEEvSJ_
		.amdhsa_group_segment_fixed_size 0
		.amdhsa_private_segment_fixed_size 0
		.amdhsa_kernarg_size 48
		.amdhsa_user_sgpr_count 2
		.amdhsa_user_sgpr_dispatch_ptr 0
		.amdhsa_user_sgpr_queue_ptr 0
		.amdhsa_user_sgpr_kernarg_segment_ptr 1
		.amdhsa_user_sgpr_dispatch_id 0
		.amdhsa_user_sgpr_kernarg_preload_length 0
		.amdhsa_user_sgpr_kernarg_preload_offset 0
		.amdhsa_user_sgpr_private_segment_size 0
		.amdhsa_uses_dynamic_stack 0
		.amdhsa_enable_private_segment 0
		.amdhsa_system_sgpr_workgroup_id_x 1
		.amdhsa_system_sgpr_workgroup_id_y 0
		.amdhsa_system_sgpr_workgroup_id_z 0
		.amdhsa_system_sgpr_workgroup_info 0
		.amdhsa_system_vgpr_workitem_id 0
		.amdhsa_next_free_vgpr 1
		.amdhsa_next_free_sgpr 0
		.amdhsa_accum_offset 4
		.amdhsa_reserve_vcc 0
		.amdhsa_float_round_mode_32 0
		.amdhsa_float_round_mode_16_64 0
		.amdhsa_float_denorm_mode_32 3
		.amdhsa_float_denorm_mode_16_64 3
		.amdhsa_dx10_clamp 1
		.amdhsa_ieee_mode 1
		.amdhsa_fp16_overflow 0
		.amdhsa_tg_split 0
		.amdhsa_exception_fp_ieee_invalid_op 0
		.amdhsa_exception_fp_denorm_src 0
		.amdhsa_exception_fp_ieee_div_zero 0
		.amdhsa_exception_fp_ieee_overflow 0
		.amdhsa_exception_fp_ieee_underflow 0
		.amdhsa_exception_fp_ieee_inexact 0
		.amdhsa_exception_int_div_zero 0
	.end_amdhsa_kernel
	.section	.text._ZN7rocprim17ROCPRIM_400000_NS6detail17trampoline_kernelINS0_14default_configENS1_38merge_sort_block_merge_config_selectorIssEEZZNS1_27merge_sort_block_merge_implIS3_N6thrust23THRUST_200600_302600_NS6detail15normal_iteratorINS8_10device_ptrIsEEEESD_jNS1_19radix_merge_compareILb0ELb1EsNS0_19identity_decomposerEEEEE10hipError_tT0_T1_T2_jT3_P12ihipStream_tbPNSt15iterator_traitsISI_E10value_typeEPNSO_ISJ_E10value_typeEPSK_NS1_7vsmem_tEENKUlT_SI_SJ_SK_E_clIPsSD_S10_SD_EESH_SX_SI_SJ_SK_EUlSX_E1_NS1_11comp_targetILNS1_3genE10ELNS1_11target_archE1201ELNS1_3gpuE5ELNS1_3repE0EEENS1_36merge_oddeven_config_static_selectorELNS0_4arch9wavefront6targetE1EEEvSJ_,"axG",@progbits,_ZN7rocprim17ROCPRIM_400000_NS6detail17trampoline_kernelINS0_14default_configENS1_38merge_sort_block_merge_config_selectorIssEEZZNS1_27merge_sort_block_merge_implIS3_N6thrust23THRUST_200600_302600_NS6detail15normal_iteratorINS8_10device_ptrIsEEEESD_jNS1_19radix_merge_compareILb0ELb1EsNS0_19identity_decomposerEEEEE10hipError_tT0_T1_T2_jT3_P12ihipStream_tbPNSt15iterator_traitsISI_E10value_typeEPNSO_ISJ_E10value_typeEPSK_NS1_7vsmem_tEENKUlT_SI_SJ_SK_E_clIPsSD_S10_SD_EESH_SX_SI_SJ_SK_EUlSX_E1_NS1_11comp_targetILNS1_3genE10ELNS1_11target_archE1201ELNS1_3gpuE5ELNS1_3repE0EEENS1_36merge_oddeven_config_static_selectorELNS0_4arch9wavefront6targetE1EEEvSJ_,comdat
.Lfunc_end1584:
	.size	_ZN7rocprim17ROCPRIM_400000_NS6detail17trampoline_kernelINS0_14default_configENS1_38merge_sort_block_merge_config_selectorIssEEZZNS1_27merge_sort_block_merge_implIS3_N6thrust23THRUST_200600_302600_NS6detail15normal_iteratorINS8_10device_ptrIsEEEESD_jNS1_19radix_merge_compareILb0ELb1EsNS0_19identity_decomposerEEEEE10hipError_tT0_T1_T2_jT3_P12ihipStream_tbPNSt15iterator_traitsISI_E10value_typeEPNSO_ISJ_E10value_typeEPSK_NS1_7vsmem_tEENKUlT_SI_SJ_SK_E_clIPsSD_S10_SD_EESH_SX_SI_SJ_SK_EUlSX_E1_NS1_11comp_targetILNS1_3genE10ELNS1_11target_archE1201ELNS1_3gpuE5ELNS1_3repE0EEENS1_36merge_oddeven_config_static_selectorELNS0_4arch9wavefront6targetE1EEEvSJ_, .Lfunc_end1584-_ZN7rocprim17ROCPRIM_400000_NS6detail17trampoline_kernelINS0_14default_configENS1_38merge_sort_block_merge_config_selectorIssEEZZNS1_27merge_sort_block_merge_implIS3_N6thrust23THRUST_200600_302600_NS6detail15normal_iteratorINS8_10device_ptrIsEEEESD_jNS1_19radix_merge_compareILb0ELb1EsNS0_19identity_decomposerEEEEE10hipError_tT0_T1_T2_jT3_P12ihipStream_tbPNSt15iterator_traitsISI_E10value_typeEPNSO_ISJ_E10value_typeEPSK_NS1_7vsmem_tEENKUlT_SI_SJ_SK_E_clIPsSD_S10_SD_EESH_SX_SI_SJ_SK_EUlSX_E1_NS1_11comp_targetILNS1_3genE10ELNS1_11target_archE1201ELNS1_3gpuE5ELNS1_3repE0EEENS1_36merge_oddeven_config_static_selectorELNS0_4arch9wavefront6targetE1EEEvSJ_
                                        ; -- End function
	.set _ZN7rocprim17ROCPRIM_400000_NS6detail17trampoline_kernelINS0_14default_configENS1_38merge_sort_block_merge_config_selectorIssEEZZNS1_27merge_sort_block_merge_implIS3_N6thrust23THRUST_200600_302600_NS6detail15normal_iteratorINS8_10device_ptrIsEEEESD_jNS1_19radix_merge_compareILb0ELb1EsNS0_19identity_decomposerEEEEE10hipError_tT0_T1_T2_jT3_P12ihipStream_tbPNSt15iterator_traitsISI_E10value_typeEPNSO_ISJ_E10value_typeEPSK_NS1_7vsmem_tEENKUlT_SI_SJ_SK_E_clIPsSD_S10_SD_EESH_SX_SI_SJ_SK_EUlSX_E1_NS1_11comp_targetILNS1_3genE10ELNS1_11target_archE1201ELNS1_3gpuE5ELNS1_3repE0EEENS1_36merge_oddeven_config_static_selectorELNS0_4arch9wavefront6targetE1EEEvSJ_.num_vgpr, 0
	.set _ZN7rocprim17ROCPRIM_400000_NS6detail17trampoline_kernelINS0_14default_configENS1_38merge_sort_block_merge_config_selectorIssEEZZNS1_27merge_sort_block_merge_implIS3_N6thrust23THRUST_200600_302600_NS6detail15normal_iteratorINS8_10device_ptrIsEEEESD_jNS1_19radix_merge_compareILb0ELb1EsNS0_19identity_decomposerEEEEE10hipError_tT0_T1_T2_jT3_P12ihipStream_tbPNSt15iterator_traitsISI_E10value_typeEPNSO_ISJ_E10value_typeEPSK_NS1_7vsmem_tEENKUlT_SI_SJ_SK_E_clIPsSD_S10_SD_EESH_SX_SI_SJ_SK_EUlSX_E1_NS1_11comp_targetILNS1_3genE10ELNS1_11target_archE1201ELNS1_3gpuE5ELNS1_3repE0EEENS1_36merge_oddeven_config_static_selectorELNS0_4arch9wavefront6targetE1EEEvSJ_.num_agpr, 0
	.set _ZN7rocprim17ROCPRIM_400000_NS6detail17trampoline_kernelINS0_14default_configENS1_38merge_sort_block_merge_config_selectorIssEEZZNS1_27merge_sort_block_merge_implIS3_N6thrust23THRUST_200600_302600_NS6detail15normal_iteratorINS8_10device_ptrIsEEEESD_jNS1_19radix_merge_compareILb0ELb1EsNS0_19identity_decomposerEEEEE10hipError_tT0_T1_T2_jT3_P12ihipStream_tbPNSt15iterator_traitsISI_E10value_typeEPNSO_ISJ_E10value_typeEPSK_NS1_7vsmem_tEENKUlT_SI_SJ_SK_E_clIPsSD_S10_SD_EESH_SX_SI_SJ_SK_EUlSX_E1_NS1_11comp_targetILNS1_3genE10ELNS1_11target_archE1201ELNS1_3gpuE5ELNS1_3repE0EEENS1_36merge_oddeven_config_static_selectorELNS0_4arch9wavefront6targetE1EEEvSJ_.numbered_sgpr, 0
	.set _ZN7rocprim17ROCPRIM_400000_NS6detail17trampoline_kernelINS0_14default_configENS1_38merge_sort_block_merge_config_selectorIssEEZZNS1_27merge_sort_block_merge_implIS3_N6thrust23THRUST_200600_302600_NS6detail15normal_iteratorINS8_10device_ptrIsEEEESD_jNS1_19radix_merge_compareILb0ELb1EsNS0_19identity_decomposerEEEEE10hipError_tT0_T1_T2_jT3_P12ihipStream_tbPNSt15iterator_traitsISI_E10value_typeEPNSO_ISJ_E10value_typeEPSK_NS1_7vsmem_tEENKUlT_SI_SJ_SK_E_clIPsSD_S10_SD_EESH_SX_SI_SJ_SK_EUlSX_E1_NS1_11comp_targetILNS1_3genE10ELNS1_11target_archE1201ELNS1_3gpuE5ELNS1_3repE0EEENS1_36merge_oddeven_config_static_selectorELNS0_4arch9wavefront6targetE1EEEvSJ_.num_named_barrier, 0
	.set _ZN7rocprim17ROCPRIM_400000_NS6detail17trampoline_kernelINS0_14default_configENS1_38merge_sort_block_merge_config_selectorIssEEZZNS1_27merge_sort_block_merge_implIS3_N6thrust23THRUST_200600_302600_NS6detail15normal_iteratorINS8_10device_ptrIsEEEESD_jNS1_19radix_merge_compareILb0ELb1EsNS0_19identity_decomposerEEEEE10hipError_tT0_T1_T2_jT3_P12ihipStream_tbPNSt15iterator_traitsISI_E10value_typeEPNSO_ISJ_E10value_typeEPSK_NS1_7vsmem_tEENKUlT_SI_SJ_SK_E_clIPsSD_S10_SD_EESH_SX_SI_SJ_SK_EUlSX_E1_NS1_11comp_targetILNS1_3genE10ELNS1_11target_archE1201ELNS1_3gpuE5ELNS1_3repE0EEENS1_36merge_oddeven_config_static_selectorELNS0_4arch9wavefront6targetE1EEEvSJ_.private_seg_size, 0
	.set _ZN7rocprim17ROCPRIM_400000_NS6detail17trampoline_kernelINS0_14default_configENS1_38merge_sort_block_merge_config_selectorIssEEZZNS1_27merge_sort_block_merge_implIS3_N6thrust23THRUST_200600_302600_NS6detail15normal_iteratorINS8_10device_ptrIsEEEESD_jNS1_19radix_merge_compareILb0ELb1EsNS0_19identity_decomposerEEEEE10hipError_tT0_T1_T2_jT3_P12ihipStream_tbPNSt15iterator_traitsISI_E10value_typeEPNSO_ISJ_E10value_typeEPSK_NS1_7vsmem_tEENKUlT_SI_SJ_SK_E_clIPsSD_S10_SD_EESH_SX_SI_SJ_SK_EUlSX_E1_NS1_11comp_targetILNS1_3genE10ELNS1_11target_archE1201ELNS1_3gpuE5ELNS1_3repE0EEENS1_36merge_oddeven_config_static_selectorELNS0_4arch9wavefront6targetE1EEEvSJ_.uses_vcc, 0
	.set _ZN7rocprim17ROCPRIM_400000_NS6detail17trampoline_kernelINS0_14default_configENS1_38merge_sort_block_merge_config_selectorIssEEZZNS1_27merge_sort_block_merge_implIS3_N6thrust23THRUST_200600_302600_NS6detail15normal_iteratorINS8_10device_ptrIsEEEESD_jNS1_19radix_merge_compareILb0ELb1EsNS0_19identity_decomposerEEEEE10hipError_tT0_T1_T2_jT3_P12ihipStream_tbPNSt15iterator_traitsISI_E10value_typeEPNSO_ISJ_E10value_typeEPSK_NS1_7vsmem_tEENKUlT_SI_SJ_SK_E_clIPsSD_S10_SD_EESH_SX_SI_SJ_SK_EUlSX_E1_NS1_11comp_targetILNS1_3genE10ELNS1_11target_archE1201ELNS1_3gpuE5ELNS1_3repE0EEENS1_36merge_oddeven_config_static_selectorELNS0_4arch9wavefront6targetE1EEEvSJ_.uses_flat_scratch, 0
	.set _ZN7rocprim17ROCPRIM_400000_NS6detail17trampoline_kernelINS0_14default_configENS1_38merge_sort_block_merge_config_selectorIssEEZZNS1_27merge_sort_block_merge_implIS3_N6thrust23THRUST_200600_302600_NS6detail15normal_iteratorINS8_10device_ptrIsEEEESD_jNS1_19radix_merge_compareILb0ELb1EsNS0_19identity_decomposerEEEEE10hipError_tT0_T1_T2_jT3_P12ihipStream_tbPNSt15iterator_traitsISI_E10value_typeEPNSO_ISJ_E10value_typeEPSK_NS1_7vsmem_tEENKUlT_SI_SJ_SK_E_clIPsSD_S10_SD_EESH_SX_SI_SJ_SK_EUlSX_E1_NS1_11comp_targetILNS1_3genE10ELNS1_11target_archE1201ELNS1_3gpuE5ELNS1_3repE0EEENS1_36merge_oddeven_config_static_selectorELNS0_4arch9wavefront6targetE1EEEvSJ_.has_dyn_sized_stack, 0
	.set _ZN7rocprim17ROCPRIM_400000_NS6detail17trampoline_kernelINS0_14default_configENS1_38merge_sort_block_merge_config_selectorIssEEZZNS1_27merge_sort_block_merge_implIS3_N6thrust23THRUST_200600_302600_NS6detail15normal_iteratorINS8_10device_ptrIsEEEESD_jNS1_19radix_merge_compareILb0ELb1EsNS0_19identity_decomposerEEEEE10hipError_tT0_T1_T2_jT3_P12ihipStream_tbPNSt15iterator_traitsISI_E10value_typeEPNSO_ISJ_E10value_typeEPSK_NS1_7vsmem_tEENKUlT_SI_SJ_SK_E_clIPsSD_S10_SD_EESH_SX_SI_SJ_SK_EUlSX_E1_NS1_11comp_targetILNS1_3genE10ELNS1_11target_archE1201ELNS1_3gpuE5ELNS1_3repE0EEENS1_36merge_oddeven_config_static_selectorELNS0_4arch9wavefront6targetE1EEEvSJ_.has_recursion, 0
	.set _ZN7rocprim17ROCPRIM_400000_NS6detail17trampoline_kernelINS0_14default_configENS1_38merge_sort_block_merge_config_selectorIssEEZZNS1_27merge_sort_block_merge_implIS3_N6thrust23THRUST_200600_302600_NS6detail15normal_iteratorINS8_10device_ptrIsEEEESD_jNS1_19radix_merge_compareILb0ELb1EsNS0_19identity_decomposerEEEEE10hipError_tT0_T1_T2_jT3_P12ihipStream_tbPNSt15iterator_traitsISI_E10value_typeEPNSO_ISJ_E10value_typeEPSK_NS1_7vsmem_tEENKUlT_SI_SJ_SK_E_clIPsSD_S10_SD_EESH_SX_SI_SJ_SK_EUlSX_E1_NS1_11comp_targetILNS1_3genE10ELNS1_11target_archE1201ELNS1_3gpuE5ELNS1_3repE0EEENS1_36merge_oddeven_config_static_selectorELNS0_4arch9wavefront6targetE1EEEvSJ_.has_indirect_call, 0
	.section	.AMDGPU.csdata,"",@progbits
; Kernel info:
; codeLenInByte = 0
; TotalNumSgprs: 6
; NumVgprs: 0
; NumAgprs: 0
; TotalNumVgprs: 0
; ScratchSize: 0
; MemoryBound: 0
; FloatMode: 240
; IeeeMode: 1
; LDSByteSize: 0 bytes/workgroup (compile time only)
; SGPRBlocks: 0
; VGPRBlocks: 0
; NumSGPRsForWavesPerEU: 6
; NumVGPRsForWavesPerEU: 1
; AccumOffset: 4
; Occupancy: 8
; WaveLimiterHint : 0
; COMPUTE_PGM_RSRC2:SCRATCH_EN: 0
; COMPUTE_PGM_RSRC2:USER_SGPR: 2
; COMPUTE_PGM_RSRC2:TRAP_HANDLER: 0
; COMPUTE_PGM_RSRC2:TGID_X_EN: 1
; COMPUTE_PGM_RSRC2:TGID_Y_EN: 0
; COMPUTE_PGM_RSRC2:TGID_Z_EN: 0
; COMPUTE_PGM_RSRC2:TIDIG_COMP_CNT: 0
; COMPUTE_PGM_RSRC3_GFX90A:ACCUM_OFFSET: 0
; COMPUTE_PGM_RSRC3_GFX90A:TG_SPLIT: 0
	.section	.text._ZN7rocprim17ROCPRIM_400000_NS6detail17trampoline_kernelINS0_14default_configENS1_38merge_sort_block_merge_config_selectorIssEEZZNS1_27merge_sort_block_merge_implIS3_N6thrust23THRUST_200600_302600_NS6detail15normal_iteratorINS8_10device_ptrIsEEEESD_jNS1_19radix_merge_compareILb0ELb1EsNS0_19identity_decomposerEEEEE10hipError_tT0_T1_T2_jT3_P12ihipStream_tbPNSt15iterator_traitsISI_E10value_typeEPNSO_ISJ_E10value_typeEPSK_NS1_7vsmem_tEENKUlT_SI_SJ_SK_E_clIPsSD_S10_SD_EESH_SX_SI_SJ_SK_EUlSX_E1_NS1_11comp_targetILNS1_3genE5ELNS1_11target_archE942ELNS1_3gpuE9ELNS1_3repE0EEENS1_36merge_oddeven_config_static_selectorELNS0_4arch9wavefront6targetE1EEEvSJ_,"axG",@progbits,_ZN7rocprim17ROCPRIM_400000_NS6detail17trampoline_kernelINS0_14default_configENS1_38merge_sort_block_merge_config_selectorIssEEZZNS1_27merge_sort_block_merge_implIS3_N6thrust23THRUST_200600_302600_NS6detail15normal_iteratorINS8_10device_ptrIsEEEESD_jNS1_19radix_merge_compareILb0ELb1EsNS0_19identity_decomposerEEEEE10hipError_tT0_T1_T2_jT3_P12ihipStream_tbPNSt15iterator_traitsISI_E10value_typeEPNSO_ISJ_E10value_typeEPSK_NS1_7vsmem_tEENKUlT_SI_SJ_SK_E_clIPsSD_S10_SD_EESH_SX_SI_SJ_SK_EUlSX_E1_NS1_11comp_targetILNS1_3genE5ELNS1_11target_archE942ELNS1_3gpuE9ELNS1_3repE0EEENS1_36merge_oddeven_config_static_selectorELNS0_4arch9wavefront6targetE1EEEvSJ_,comdat
	.protected	_ZN7rocprim17ROCPRIM_400000_NS6detail17trampoline_kernelINS0_14default_configENS1_38merge_sort_block_merge_config_selectorIssEEZZNS1_27merge_sort_block_merge_implIS3_N6thrust23THRUST_200600_302600_NS6detail15normal_iteratorINS8_10device_ptrIsEEEESD_jNS1_19radix_merge_compareILb0ELb1EsNS0_19identity_decomposerEEEEE10hipError_tT0_T1_T2_jT3_P12ihipStream_tbPNSt15iterator_traitsISI_E10value_typeEPNSO_ISJ_E10value_typeEPSK_NS1_7vsmem_tEENKUlT_SI_SJ_SK_E_clIPsSD_S10_SD_EESH_SX_SI_SJ_SK_EUlSX_E1_NS1_11comp_targetILNS1_3genE5ELNS1_11target_archE942ELNS1_3gpuE9ELNS1_3repE0EEENS1_36merge_oddeven_config_static_selectorELNS0_4arch9wavefront6targetE1EEEvSJ_ ; -- Begin function _ZN7rocprim17ROCPRIM_400000_NS6detail17trampoline_kernelINS0_14default_configENS1_38merge_sort_block_merge_config_selectorIssEEZZNS1_27merge_sort_block_merge_implIS3_N6thrust23THRUST_200600_302600_NS6detail15normal_iteratorINS8_10device_ptrIsEEEESD_jNS1_19radix_merge_compareILb0ELb1EsNS0_19identity_decomposerEEEEE10hipError_tT0_T1_T2_jT3_P12ihipStream_tbPNSt15iterator_traitsISI_E10value_typeEPNSO_ISJ_E10value_typeEPSK_NS1_7vsmem_tEENKUlT_SI_SJ_SK_E_clIPsSD_S10_SD_EESH_SX_SI_SJ_SK_EUlSX_E1_NS1_11comp_targetILNS1_3genE5ELNS1_11target_archE942ELNS1_3gpuE9ELNS1_3repE0EEENS1_36merge_oddeven_config_static_selectorELNS0_4arch9wavefront6targetE1EEEvSJ_
	.globl	_ZN7rocprim17ROCPRIM_400000_NS6detail17trampoline_kernelINS0_14default_configENS1_38merge_sort_block_merge_config_selectorIssEEZZNS1_27merge_sort_block_merge_implIS3_N6thrust23THRUST_200600_302600_NS6detail15normal_iteratorINS8_10device_ptrIsEEEESD_jNS1_19radix_merge_compareILb0ELb1EsNS0_19identity_decomposerEEEEE10hipError_tT0_T1_T2_jT3_P12ihipStream_tbPNSt15iterator_traitsISI_E10value_typeEPNSO_ISJ_E10value_typeEPSK_NS1_7vsmem_tEENKUlT_SI_SJ_SK_E_clIPsSD_S10_SD_EESH_SX_SI_SJ_SK_EUlSX_E1_NS1_11comp_targetILNS1_3genE5ELNS1_11target_archE942ELNS1_3gpuE9ELNS1_3repE0EEENS1_36merge_oddeven_config_static_selectorELNS0_4arch9wavefront6targetE1EEEvSJ_
	.p2align	8
	.type	_ZN7rocprim17ROCPRIM_400000_NS6detail17trampoline_kernelINS0_14default_configENS1_38merge_sort_block_merge_config_selectorIssEEZZNS1_27merge_sort_block_merge_implIS3_N6thrust23THRUST_200600_302600_NS6detail15normal_iteratorINS8_10device_ptrIsEEEESD_jNS1_19radix_merge_compareILb0ELb1EsNS0_19identity_decomposerEEEEE10hipError_tT0_T1_T2_jT3_P12ihipStream_tbPNSt15iterator_traitsISI_E10value_typeEPNSO_ISJ_E10value_typeEPSK_NS1_7vsmem_tEENKUlT_SI_SJ_SK_E_clIPsSD_S10_SD_EESH_SX_SI_SJ_SK_EUlSX_E1_NS1_11comp_targetILNS1_3genE5ELNS1_11target_archE942ELNS1_3gpuE9ELNS1_3repE0EEENS1_36merge_oddeven_config_static_selectorELNS0_4arch9wavefront6targetE1EEEvSJ_,@function
_ZN7rocprim17ROCPRIM_400000_NS6detail17trampoline_kernelINS0_14default_configENS1_38merge_sort_block_merge_config_selectorIssEEZZNS1_27merge_sort_block_merge_implIS3_N6thrust23THRUST_200600_302600_NS6detail15normal_iteratorINS8_10device_ptrIsEEEESD_jNS1_19radix_merge_compareILb0ELb1EsNS0_19identity_decomposerEEEEE10hipError_tT0_T1_T2_jT3_P12ihipStream_tbPNSt15iterator_traitsISI_E10value_typeEPNSO_ISJ_E10value_typeEPSK_NS1_7vsmem_tEENKUlT_SI_SJ_SK_E_clIPsSD_S10_SD_EESH_SX_SI_SJ_SK_EUlSX_E1_NS1_11comp_targetILNS1_3genE5ELNS1_11target_archE942ELNS1_3gpuE9ELNS1_3repE0EEENS1_36merge_oddeven_config_static_selectorELNS0_4arch9wavefront6targetE1EEEvSJ_: ; @_ZN7rocprim17ROCPRIM_400000_NS6detail17trampoline_kernelINS0_14default_configENS1_38merge_sort_block_merge_config_selectorIssEEZZNS1_27merge_sort_block_merge_implIS3_N6thrust23THRUST_200600_302600_NS6detail15normal_iteratorINS8_10device_ptrIsEEEESD_jNS1_19radix_merge_compareILb0ELb1EsNS0_19identity_decomposerEEEEE10hipError_tT0_T1_T2_jT3_P12ihipStream_tbPNSt15iterator_traitsISI_E10value_typeEPNSO_ISJ_E10value_typeEPSK_NS1_7vsmem_tEENKUlT_SI_SJ_SK_E_clIPsSD_S10_SD_EESH_SX_SI_SJ_SK_EUlSX_E1_NS1_11comp_targetILNS1_3genE5ELNS1_11target_archE942ELNS1_3gpuE9ELNS1_3repE0EEENS1_36merge_oddeven_config_static_selectorELNS0_4arch9wavefront6targetE1EEEvSJ_
; %bb.0:
	.section	.rodata,"a",@progbits
	.p2align	6, 0x0
	.amdhsa_kernel _ZN7rocprim17ROCPRIM_400000_NS6detail17trampoline_kernelINS0_14default_configENS1_38merge_sort_block_merge_config_selectorIssEEZZNS1_27merge_sort_block_merge_implIS3_N6thrust23THRUST_200600_302600_NS6detail15normal_iteratorINS8_10device_ptrIsEEEESD_jNS1_19radix_merge_compareILb0ELb1EsNS0_19identity_decomposerEEEEE10hipError_tT0_T1_T2_jT3_P12ihipStream_tbPNSt15iterator_traitsISI_E10value_typeEPNSO_ISJ_E10value_typeEPSK_NS1_7vsmem_tEENKUlT_SI_SJ_SK_E_clIPsSD_S10_SD_EESH_SX_SI_SJ_SK_EUlSX_E1_NS1_11comp_targetILNS1_3genE5ELNS1_11target_archE942ELNS1_3gpuE9ELNS1_3repE0EEENS1_36merge_oddeven_config_static_selectorELNS0_4arch9wavefront6targetE1EEEvSJ_
		.amdhsa_group_segment_fixed_size 0
		.amdhsa_private_segment_fixed_size 0
		.amdhsa_kernarg_size 48
		.amdhsa_user_sgpr_count 2
		.amdhsa_user_sgpr_dispatch_ptr 0
		.amdhsa_user_sgpr_queue_ptr 0
		.amdhsa_user_sgpr_kernarg_segment_ptr 1
		.amdhsa_user_sgpr_dispatch_id 0
		.amdhsa_user_sgpr_kernarg_preload_length 0
		.amdhsa_user_sgpr_kernarg_preload_offset 0
		.amdhsa_user_sgpr_private_segment_size 0
		.amdhsa_uses_dynamic_stack 0
		.amdhsa_enable_private_segment 0
		.amdhsa_system_sgpr_workgroup_id_x 1
		.amdhsa_system_sgpr_workgroup_id_y 0
		.amdhsa_system_sgpr_workgroup_id_z 0
		.amdhsa_system_sgpr_workgroup_info 0
		.amdhsa_system_vgpr_workitem_id 0
		.amdhsa_next_free_vgpr 1
		.amdhsa_next_free_sgpr 0
		.amdhsa_accum_offset 4
		.amdhsa_reserve_vcc 0
		.amdhsa_float_round_mode_32 0
		.amdhsa_float_round_mode_16_64 0
		.amdhsa_float_denorm_mode_32 3
		.amdhsa_float_denorm_mode_16_64 3
		.amdhsa_dx10_clamp 1
		.amdhsa_ieee_mode 1
		.amdhsa_fp16_overflow 0
		.amdhsa_tg_split 0
		.amdhsa_exception_fp_ieee_invalid_op 0
		.amdhsa_exception_fp_denorm_src 0
		.amdhsa_exception_fp_ieee_div_zero 0
		.amdhsa_exception_fp_ieee_overflow 0
		.amdhsa_exception_fp_ieee_underflow 0
		.amdhsa_exception_fp_ieee_inexact 0
		.amdhsa_exception_int_div_zero 0
	.end_amdhsa_kernel
	.section	.text._ZN7rocprim17ROCPRIM_400000_NS6detail17trampoline_kernelINS0_14default_configENS1_38merge_sort_block_merge_config_selectorIssEEZZNS1_27merge_sort_block_merge_implIS3_N6thrust23THRUST_200600_302600_NS6detail15normal_iteratorINS8_10device_ptrIsEEEESD_jNS1_19radix_merge_compareILb0ELb1EsNS0_19identity_decomposerEEEEE10hipError_tT0_T1_T2_jT3_P12ihipStream_tbPNSt15iterator_traitsISI_E10value_typeEPNSO_ISJ_E10value_typeEPSK_NS1_7vsmem_tEENKUlT_SI_SJ_SK_E_clIPsSD_S10_SD_EESH_SX_SI_SJ_SK_EUlSX_E1_NS1_11comp_targetILNS1_3genE5ELNS1_11target_archE942ELNS1_3gpuE9ELNS1_3repE0EEENS1_36merge_oddeven_config_static_selectorELNS0_4arch9wavefront6targetE1EEEvSJ_,"axG",@progbits,_ZN7rocprim17ROCPRIM_400000_NS6detail17trampoline_kernelINS0_14default_configENS1_38merge_sort_block_merge_config_selectorIssEEZZNS1_27merge_sort_block_merge_implIS3_N6thrust23THRUST_200600_302600_NS6detail15normal_iteratorINS8_10device_ptrIsEEEESD_jNS1_19radix_merge_compareILb0ELb1EsNS0_19identity_decomposerEEEEE10hipError_tT0_T1_T2_jT3_P12ihipStream_tbPNSt15iterator_traitsISI_E10value_typeEPNSO_ISJ_E10value_typeEPSK_NS1_7vsmem_tEENKUlT_SI_SJ_SK_E_clIPsSD_S10_SD_EESH_SX_SI_SJ_SK_EUlSX_E1_NS1_11comp_targetILNS1_3genE5ELNS1_11target_archE942ELNS1_3gpuE9ELNS1_3repE0EEENS1_36merge_oddeven_config_static_selectorELNS0_4arch9wavefront6targetE1EEEvSJ_,comdat
.Lfunc_end1585:
	.size	_ZN7rocprim17ROCPRIM_400000_NS6detail17trampoline_kernelINS0_14default_configENS1_38merge_sort_block_merge_config_selectorIssEEZZNS1_27merge_sort_block_merge_implIS3_N6thrust23THRUST_200600_302600_NS6detail15normal_iteratorINS8_10device_ptrIsEEEESD_jNS1_19radix_merge_compareILb0ELb1EsNS0_19identity_decomposerEEEEE10hipError_tT0_T1_T2_jT3_P12ihipStream_tbPNSt15iterator_traitsISI_E10value_typeEPNSO_ISJ_E10value_typeEPSK_NS1_7vsmem_tEENKUlT_SI_SJ_SK_E_clIPsSD_S10_SD_EESH_SX_SI_SJ_SK_EUlSX_E1_NS1_11comp_targetILNS1_3genE5ELNS1_11target_archE942ELNS1_3gpuE9ELNS1_3repE0EEENS1_36merge_oddeven_config_static_selectorELNS0_4arch9wavefront6targetE1EEEvSJ_, .Lfunc_end1585-_ZN7rocprim17ROCPRIM_400000_NS6detail17trampoline_kernelINS0_14default_configENS1_38merge_sort_block_merge_config_selectorIssEEZZNS1_27merge_sort_block_merge_implIS3_N6thrust23THRUST_200600_302600_NS6detail15normal_iteratorINS8_10device_ptrIsEEEESD_jNS1_19radix_merge_compareILb0ELb1EsNS0_19identity_decomposerEEEEE10hipError_tT0_T1_T2_jT3_P12ihipStream_tbPNSt15iterator_traitsISI_E10value_typeEPNSO_ISJ_E10value_typeEPSK_NS1_7vsmem_tEENKUlT_SI_SJ_SK_E_clIPsSD_S10_SD_EESH_SX_SI_SJ_SK_EUlSX_E1_NS1_11comp_targetILNS1_3genE5ELNS1_11target_archE942ELNS1_3gpuE9ELNS1_3repE0EEENS1_36merge_oddeven_config_static_selectorELNS0_4arch9wavefront6targetE1EEEvSJ_
                                        ; -- End function
	.set _ZN7rocprim17ROCPRIM_400000_NS6detail17trampoline_kernelINS0_14default_configENS1_38merge_sort_block_merge_config_selectorIssEEZZNS1_27merge_sort_block_merge_implIS3_N6thrust23THRUST_200600_302600_NS6detail15normal_iteratorINS8_10device_ptrIsEEEESD_jNS1_19radix_merge_compareILb0ELb1EsNS0_19identity_decomposerEEEEE10hipError_tT0_T1_T2_jT3_P12ihipStream_tbPNSt15iterator_traitsISI_E10value_typeEPNSO_ISJ_E10value_typeEPSK_NS1_7vsmem_tEENKUlT_SI_SJ_SK_E_clIPsSD_S10_SD_EESH_SX_SI_SJ_SK_EUlSX_E1_NS1_11comp_targetILNS1_3genE5ELNS1_11target_archE942ELNS1_3gpuE9ELNS1_3repE0EEENS1_36merge_oddeven_config_static_selectorELNS0_4arch9wavefront6targetE1EEEvSJ_.num_vgpr, 0
	.set _ZN7rocprim17ROCPRIM_400000_NS6detail17trampoline_kernelINS0_14default_configENS1_38merge_sort_block_merge_config_selectorIssEEZZNS1_27merge_sort_block_merge_implIS3_N6thrust23THRUST_200600_302600_NS6detail15normal_iteratorINS8_10device_ptrIsEEEESD_jNS1_19radix_merge_compareILb0ELb1EsNS0_19identity_decomposerEEEEE10hipError_tT0_T1_T2_jT3_P12ihipStream_tbPNSt15iterator_traitsISI_E10value_typeEPNSO_ISJ_E10value_typeEPSK_NS1_7vsmem_tEENKUlT_SI_SJ_SK_E_clIPsSD_S10_SD_EESH_SX_SI_SJ_SK_EUlSX_E1_NS1_11comp_targetILNS1_3genE5ELNS1_11target_archE942ELNS1_3gpuE9ELNS1_3repE0EEENS1_36merge_oddeven_config_static_selectorELNS0_4arch9wavefront6targetE1EEEvSJ_.num_agpr, 0
	.set _ZN7rocprim17ROCPRIM_400000_NS6detail17trampoline_kernelINS0_14default_configENS1_38merge_sort_block_merge_config_selectorIssEEZZNS1_27merge_sort_block_merge_implIS3_N6thrust23THRUST_200600_302600_NS6detail15normal_iteratorINS8_10device_ptrIsEEEESD_jNS1_19radix_merge_compareILb0ELb1EsNS0_19identity_decomposerEEEEE10hipError_tT0_T1_T2_jT3_P12ihipStream_tbPNSt15iterator_traitsISI_E10value_typeEPNSO_ISJ_E10value_typeEPSK_NS1_7vsmem_tEENKUlT_SI_SJ_SK_E_clIPsSD_S10_SD_EESH_SX_SI_SJ_SK_EUlSX_E1_NS1_11comp_targetILNS1_3genE5ELNS1_11target_archE942ELNS1_3gpuE9ELNS1_3repE0EEENS1_36merge_oddeven_config_static_selectorELNS0_4arch9wavefront6targetE1EEEvSJ_.numbered_sgpr, 0
	.set _ZN7rocprim17ROCPRIM_400000_NS6detail17trampoline_kernelINS0_14default_configENS1_38merge_sort_block_merge_config_selectorIssEEZZNS1_27merge_sort_block_merge_implIS3_N6thrust23THRUST_200600_302600_NS6detail15normal_iteratorINS8_10device_ptrIsEEEESD_jNS1_19radix_merge_compareILb0ELb1EsNS0_19identity_decomposerEEEEE10hipError_tT0_T1_T2_jT3_P12ihipStream_tbPNSt15iterator_traitsISI_E10value_typeEPNSO_ISJ_E10value_typeEPSK_NS1_7vsmem_tEENKUlT_SI_SJ_SK_E_clIPsSD_S10_SD_EESH_SX_SI_SJ_SK_EUlSX_E1_NS1_11comp_targetILNS1_3genE5ELNS1_11target_archE942ELNS1_3gpuE9ELNS1_3repE0EEENS1_36merge_oddeven_config_static_selectorELNS0_4arch9wavefront6targetE1EEEvSJ_.num_named_barrier, 0
	.set _ZN7rocprim17ROCPRIM_400000_NS6detail17trampoline_kernelINS0_14default_configENS1_38merge_sort_block_merge_config_selectorIssEEZZNS1_27merge_sort_block_merge_implIS3_N6thrust23THRUST_200600_302600_NS6detail15normal_iteratorINS8_10device_ptrIsEEEESD_jNS1_19radix_merge_compareILb0ELb1EsNS0_19identity_decomposerEEEEE10hipError_tT0_T1_T2_jT3_P12ihipStream_tbPNSt15iterator_traitsISI_E10value_typeEPNSO_ISJ_E10value_typeEPSK_NS1_7vsmem_tEENKUlT_SI_SJ_SK_E_clIPsSD_S10_SD_EESH_SX_SI_SJ_SK_EUlSX_E1_NS1_11comp_targetILNS1_3genE5ELNS1_11target_archE942ELNS1_3gpuE9ELNS1_3repE0EEENS1_36merge_oddeven_config_static_selectorELNS0_4arch9wavefront6targetE1EEEvSJ_.private_seg_size, 0
	.set _ZN7rocprim17ROCPRIM_400000_NS6detail17trampoline_kernelINS0_14default_configENS1_38merge_sort_block_merge_config_selectorIssEEZZNS1_27merge_sort_block_merge_implIS3_N6thrust23THRUST_200600_302600_NS6detail15normal_iteratorINS8_10device_ptrIsEEEESD_jNS1_19radix_merge_compareILb0ELb1EsNS0_19identity_decomposerEEEEE10hipError_tT0_T1_T2_jT3_P12ihipStream_tbPNSt15iterator_traitsISI_E10value_typeEPNSO_ISJ_E10value_typeEPSK_NS1_7vsmem_tEENKUlT_SI_SJ_SK_E_clIPsSD_S10_SD_EESH_SX_SI_SJ_SK_EUlSX_E1_NS1_11comp_targetILNS1_3genE5ELNS1_11target_archE942ELNS1_3gpuE9ELNS1_3repE0EEENS1_36merge_oddeven_config_static_selectorELNS0_4arch9wavefront6targetE1EEEvSJ_.uses_vcc, 0
	.set _ZN7rocprim17ROCPRIM_400000_NS6detail17trampoline_kernelINS0_14default_configENS1_38merge_sort_block_merge_config_selectorIssEEZZNS1_27merge_sort_block_merge_implIS3_N6thrust23THRUST_200600_302600_NS6detail15normal_iteratorINS8_10device_ptrIsEEEESD_jNS1_19radix_merge_compareILb0ELb1EsNS0_19identity_decomposerEEEEE10hipError_tT0_T1_T2_jT3_P12ihipStream_tbPNSt15iterator_traitsISI_E10value_typeEPNSO_ISJ_E10value_typeEPSK_NS1_7vsmem_tEENKUlT_SI_SJ_SK_E_clIPsSD_S10_SD_EESH_SX_SI_SJ_SK_EUlSX_E1_NS1_11comp_targetILNS1_3genE5ELNS1_11target_archE942ELNS1_3gpuE9ELNS1_3repE0EEENS1_36merge_oddeven_config_static_selectorELNS0_4arch9wavefront6targetE1EEEvSJ_.uses_flat_scratch, 0
	.set _ZN7rocprim17ROCPRIM_400000_NS6detail17trampoline_kernelINS0_14default_configENS1_38merge_sort_block_merge_config_selectorIssEEZZNS1_27merge_sort_block_merge_implIS3_N6thrust23THRUST_200600_302600_NS6detail15normal_iteratorINS8_10device_ptrIsEEEESD_jNS1_19radix_merge_compareILb0ELb1EsNS0_19identity_decomposerEEEEE10hipError_tT0_T1_T2_jT3_P12ihipStream_tbPNSt15iterator_traitsISI_E10value_typeEPNSO_ISJ_E10value_typeEPSK_NS1_7vsmem_tEENKUlT_SI_SJ_SK_E_clIPsSD_S10_SD_EESH_SX_SI_SJ_SK_EUlSX_E1_NS1_11comp_targetILNS1_3genE5ELNS1_11target_archE942ELNS1_3gpuE9ELNS1_3repE0EEENS1_36merge_oddeven_config_static_selectorELNS0_4arch9wavefront6targetE1EEEvSJ_.has_dyn_sized_stack, 0
	.set _ZN7rocprim17ROCPRIM_400000_NS6detail17trampoline_kernelINS0_14default_configENS1_38merge_sort_block_merge_config_selectorIssEEZZNS1_27merge_sort_block_merge_implIS3_N6thrust23THRUST_200600_302600_NS6detail15normal_iteratorINS8_10device_ptrIsEEEESD_jNS1_19radix_merge_compareILb0ELb1EsNS0_19identity_decomposerEEEEE10hipError_tT0_T1_T2_jT3_P12ihipStream_tbPNSt15iterator_traitsISI_E10value_typeEPNSO_ISJ_E10value_typeEPSK_NS1_7vsmem_tEENKUlT_SI_SJ_SK_E_clIPsSD_S10_SD_EESH_SX_SI_SJ_SK_EUlSX_E1_NS1_11comp_targetILNS1_3genE5ELNS1_11target_archE942ELNS1_3gpuE9ELNS1_3repE0EEENS1_36merge_oddeven_config_static_selectorELNS0_4arch9wavefront6targetE1EEEvSJ_.has_recursion, 0
	.set _ZN7rocprim17ROCPRIM_400000_NS6detail17trampoline_kernelINS0_14default_configENS1_38merge_sort_block_merge_config_selectorIssEEZZNS1_27merge_sort_block_merge_implIS3_N6thrust23THRUST_200600_302600_NS6detail15normal_iteratorINS8_10device_ptrIsEEEESD_jNS1_19radix_merge_compareILb0ELb1EsNS0_19identity_decomposerEEEEE10hipError_tT0_T1_T2_jT3_P12ihipStream_tbPNSt15iterator_traitsISI_E10value_typeEPNSO_ISJ_E10value_typeEPSK_NS1_7vsmem_tEENKUlT_SI_SJ_SK_E_clIPsSD_S10_SD_EESH_SX_SI_SJ_SK_EUlSX_E1_NS1_11comp_targetILNS1_3genE5ELNS1_11target_archE942ELNS1_3gpuE9ELNS1_3repE0EEENS1_36merge_oddeven_config_static_selectorELNS0_4arch9wavefront6targetE1EEEvSJ_.has_indirect_call, 0
	.section	.AMDGPU.csdata,"",@progbits
; Kernel info:
; codeLenInByte = 0
; TotalNumSgprs: 6
; NumVgprs: 0
; NumAgprs: 0
; TotalNumVgprs: 0
; ScratchSize: 0
; MemoryBound: 0
; FloatMode: 240
; IeeeMode: 1
; LDSByteSize: 0 bytes/workgroup (compile time only)
; SGPRBlocks: 0
; VGPRBlocks: 0
; NumSGPRsForWavesPerEU: 6
; NumVGPRsForWavesPerEU: 1
; AccumOffset: 4
; Occupancy: 8
; WaveLimiterHint : 0
; COMPUTE_PGM_RSRC2:SCRATCH_EN: 0
; COMPUTE_PGM_RSRC2:USER_SGPR: 2
; COMPUTE_PGM_RSRC2:TRAP_HANDLER: 0
; COMPUTE_PGM_RSRC2:TGID_X_EN: 1
; COMPUTE_PGM_RSRC2:TGID_Y_EN: 0
; COMPUTE_PGM_RSRC2:TGID_Z_EN: 0
; COMPUTE_PGM_RSRC2:TIDIG_COMP_CNT: 0
; COMPUTE_PGM_RSRC3_GFX90A:ACCUM_OFFSET: 0
; COMPUTE_PGM_RSRC3_GFX90A:TG_SPLIT: 0
	.section	.text._ZN7rocprim17ROCPRIM_400000_NS6detail17trampoline_kernelINS0_14default_configENS1_38merge_sort_block_merge_config_selectorIssEEZZNS1_27merge_sort_block_merge_implIS3_N6thrust23THRUST_200600_302600_NS6detail15normal_iteratorINS8_10device_ptrIsEEEESD_jNS1_19radix_merge_compareILb0ELb1EsNS0_19identity_decomposerEEEEE10hipError_tT0_T1_T2_jT3_P12ihipStream_tbPNSt15iterator_traitsISI_E10value_typeEPNSO_ISJ_E10value_typeEPSK_NS1_7vsmem_tEENKUlT_SI_SJ_SK_E_clIPsSD_S10_SD_EESH_SX_SI_SJ_SK_EUlSX_E1_NS1_11comp_targetILNS1_3genE4ELNS1_11target_archE910ELNS1_3gpuE8ELNS1_3repE0EEENS1_36merge_oddeven_config_static_selectorELNS0_4arch9wavefront6targetE1EEEvSJ_,"axG",@progbits,_ZN7rocprim17ROCPRIM_400000_NS6detail17trampoline_kernelINS0_14default_configENS1_38merge_sort_block_merge_config_selectorIssEEZZNS1_27merge_sort_block_merge_implIS3_N6thrust23THRUST_200600_302600_NS6detail15normal_iteratorINS8_10device_ptrIsEEEESD_jNS1_19radix_merge_compareILb0ELb1EsNS0_19identity_decomposerEEEEE10hipError_tT0_T1_T2_jT3_P12ihipStream_tbPNSt15iterator_traitsISI_E10value_typeEPNSO_ISJ_E10value_typeEPSK_NS1_7vsmem_tEENKUlT_SI_SJ_SK_E_clIPsSD_S10_SD_EESH_SX_SI_SJ_SK_EUlSX_E1_NS1_11comp_targetILNS1_3genE4ELNS1_11target_archE910ELNS1_3gpuE8ELNS1_3repE0EEENS1_36merge_oddeven_config_static_selectorELNS0_4arch9wavefront6targetE1EEEvSJ_,comdat
	.protected	_ZN7rocprim17ROCPRIM_400000_NS6detail17trampoline_kernelINS0_14default_configENS1_38merge_sort_block_merge_config_selectorIssEEZZNS1_27merge_sort_block_merge_implIS3_N6thrust23THRUST_200600_302600_NS6detail15normal_iteratorINS8_10device_ptrIsEEEESD_jNS1_19radix_merge_compareILb0ELb1EsNS0_19identity_decomposerEEEEE10hipError_tT0_T1_T2_jT3_P12ihipStream_tbPNSt15iterator_traitsISI_E10value_typeEPNSO_ISJ_E10value_typeEPSK_NS1_7vsmem_tEENKUlT_SI_SJ_SK_E_clIPsSD_S10_SD_EESH_SX_SI_SJ_SK_EUlSX_E1_NS1_11comp_targetILNS1_3genE4ELNS1_11target_archE910ELNS1_3gpuE8ELNS1_3repE0EEENS1_36merge_oddeven_config_static_selectorELNS0_4arch9wavefront6targetE1EEEvSJ_ ; -- Begin function _ZN7rocprim17ROCPRIM_400000_NS6detail17trampoline_kernelINS0_14default_configENS1_38merge_sort_block_merge_config_selectorIssEEZZNS1_27merge_sort_block_merge_implIS3_N6thrust23THRUST_200600_302600_NS6detail15normal_iteratorINS8_10device_ptrIsEEEESD_jNS1_19radix_merge_compareILb0ELb1EsNS0_19identity_decomposerEEEEE10hipError_tT0_T1_T2_jT3_P12ihipStream_tbPNSt15iterator_traitsISI_E10value_typeEPNSO_ISJ_E10value_typeEPSK_NS1_7vsmem_tEENKUlT_SI_SJ_SK_E_clIPsSD_S10_SD_EESH_SX_SI_SJ_SK_EUlSX_E1_NS1_11comp_targetILNS1_3genE4ELNS1_11target_archE910ELNS1_3gpuE8ELNS1_3repE0EEENS1_36merge_oddeven_config_static_selectorELNS0_4arch9wavefront6targetE1EEEvSJ_
	.globl	_ZN7rocprim17ROCPRIM_400000_NS6detail17trampoline_kernelINS0_14default_configENS1_38merge_sort_block_merge_config_selectorIssEEZZNS1_27merge_sort_block_merge_implIS3_N6thrust23THRUST_200600_302600_NS6detail15normal_iteratorINS8_10device_ptrIsEEEESD_jNS1_19radix_merge_compareILb0ELb1EsNS0_19identity_decomposerEEEEE10hipError_tT0_T1_T2_jT3_P12ihipStream_tbPNSt15iterator_traitsISI_E10value_typeEPNSO_ISJ_E10value_typeEPSK_NS1_7vsmem_tEENKUlT_SI_SJ_SK_E_clIPsSD_S10_SD_EESH_SX_SI_SJ_SK_EUlSX_E1_NS1_11comp_targetILNS1_3genE4ELNS1_11target_archE910ELNS1_3gpuE8ELNS1_3repE0EEENS1_36merge_oddeven_config_static_selectorELNS0_4arch9wavefront6targetE1EEEvSJ_
	.p2align	8
	.type	_ZN7rocprim17ROCPRIM_400000_NS6detail17trampoline_kernelINS0_14default_configENS1_38merge_sort_block_merge_config_selectorIssEEZZNS1_27merge_sort_block_merge_implIS3_N6thrust23THRUST_200600_302600_NS6detail15normal_iteratorINS8_10device_ptrIsEEEESD_jNS1_19radix_merge_compareILb0ELb1EsNS0_19identity_decomposerEEEEE10hipError_tT0_T1_T2_jT3_P12ihipStream_tbPNSt15iterator_traitsISI_E10value_typeEPNSO_ISJ_E10value_typeEPSK_NS1_7vsmem_tEENKUlT_SI_SJ_SK_E_clIPsSD_S10_SD_EESH_SX_SI_SJ_SK_EUlSX_E1_NS1_11comp_targetILNS1_3genE4ELNS1_11target_archE910ELNS1_3gpuE8ELNS1_3repE0EEENS1_36merge_oddeven_config_static_selectorELNS0_4arch9wavefront6targetE1EEEvSJ_,@function
_ZN7rocprim17ROCPRIM_400000_NS6detail17trampoline_kernelINS0_14default_configENS1_38merge_sort_block_merge_config_selectorIssEEZZNS1_27merge_sort_block_merge_implIS3_N6thrust23THRUST_200600_302600_NS6detail15normal_iteratorINS8_10device_ptrIsEEEESD_jNS1_19radix_merge_compareILb0ELb1EsNS0_19identity_decomposerEEEEE10hipError_tT0_T1_T2_jT3_P12ihipStream_tbPNSt15iterator_traitsISI_E10value_typeEPNSO_ISJ_E10value_typeEPSK_NS1_7vsmem_tEENKUlT_SI_SJ_SK_E_clIPsSD_S10_SD_EESH_SX_SI_SJ_SK_EUlSX_E1_NS1_11comp_targetILNS1_3genE4ELNS1_11target_archE910ELNS1_3gpuE8ELNS1_3repE0EEENS1_36merge_oddeven_config_static_selectorELNS0_4arch9wavefront6targetE1EEEvSJ_: ; @_ZN7rocprim17ROCPRIM_400000_NS6detail17trampoline_kernelINS0_14default_configENS1_38merge_sort_block_merge_config_selectorIssEEZZNS1_27merge_sort_block_merge_implIS3_N6thrust23THRUST_200600_302600_NS6detail15normal_iteratorINS8_10device_ptrIsEEEESD_jNS1_19radix_merge_compareILb0ELb1EsNS0_19identity_decomposerEEEEE10hipError_tT0_T1_T2_jT3_P12ihipStream_tbPNSt15iterator_traitsISI_E10value_typeEPNSO_ISJ_E10value_typeEPSK_NS1_7vsmem_tEENKUlT_SI_SJ_SK_E_clIPsSD_S10_SD_EESH_SX_SI_SJ_SK_EUlSX_E1_NS1_11comp_targetILNS1_3genE4ELNS1_11target_archE910ELNS1_3gpuE8ELNS1_3repE0EEENS1_36merge_oddeven_config_static_selectorELNS0_4arch9wavefront6targetE1EEEvSJ_
; %bb.0:
	.section	.rodata,"a",@progbits
	.p2align	6, 0x0
	.amdhsa_kernel _ZN7rocprim17ROCPRIM_400000_NS6detail17trampoline_kernelINS0_14default_configENS1_38merge_sort_block_merge_config_selectorIssEEZZNS1_27merge_sort_block_merge_implIS3_N6thrust23THRUST_200600_302600_NS6detail15normal_iteratorINS8_10device_ptrIsEEEESD_jNS1_19radix_merge_compareILb0ELb1EsNS0_19identity_decomposerEEEEE10hipError_tT0_T1_T2_jT3_P12ihipStream_tbPNSt15iterator_traitsISI_E10value_typeEPNSO_ISJ_E10value_typeEPSK_NS1_7vsmem_tEENKUlT_SI_SJ_SK_E_clIPsSD_S10_SD_EESH_SX_SI_SJ_SK_EUlSX_E1_NS1_11comp_targetILNS1_3genE4ELNS1_11target_archE910ELNS1_3gpuE8ELNS1_3repE0EEENS1_36merge_oddeven_config_static_selectorELNS0_4arch9wavefront6targetE1EEEvSJ_
		.amdhsa_group_segment_fixed_size 0
		.amdhsa_private_segment_fixed_size 0
		.amdhsa_kernarg_size 48
		.amdhsa_user_sgpr_count 2
		.amdhsa_user_sgpr_dispatch_ptr 0
		.amdhsa_user_sgpr_queue_ptr 0
		.amdhsa_user_sgpr_kernarg_segment_ptr 1
		.amdhsa_user_sgpr_dispatch_id 0
		.amdhsa_user_sgpr_kernarg_preload_length 0
		.amdhsa_user_sgpr_kernarg_preload_offset 0
		.amdhsa_user_sgpr_private_segment_size 0
		.amdhsa_uses_dynamic_stack 0
		.amdhsa_enable_private_segment 0
		.amdhsa_system_sgpr_workgroup_id_x 1
		.amdhsa_system_sgpr_workgroup_id_y 0
		.amdhsa_system_sgpr_workgroup_id_z 0
		.amdhsa_system_sgpr_workgroup_info 0
		.amdhsa_system_vgpr_workitem_id 0
		.amdhsa_next_free_vgpr 1
		.amdhsa_next_free_sgpr 0
		.amdhsa_accum_offset 4
		.amdhsa_reserve_vcc 0
		.amdhsa_float_round_mode_32 0
		.amdhsa_float_round_mode_16_64 0
		.amdhsa_float_denorm_mode_32 3
		.amdhsa_float_denorm_mode_16_64 3
		.amdhsa_dx10_clamp 1
		.amdhsa_ieee_mode 1
		.amdhsa_fp16_overflow 0
		.amdhsa_tg_split 0
		.amdhsa_exception_fp_ieee_invalid_op 0
		.amdhsa_exception_fp_denorm_src 0
		.amdhsa_exception_fp_ieee_div_zero 0
		.amdhsa_exception_fp_ieee_overflow 0
		.amdhsa_exception_fp_ieee_underflow 0
		.amdhsa_exception_fp_ieee_inexact 0
		.amdhsa_exception_int_div_zero 0
	.end_amdhsa_kernel
	.section	.text._ZN7rocprim17ROCPRIM_400000_NS6detail17trampoline_kernelINS0_14default_configENS1_38merge_sort_block_merge_config_selectorIssEEZZNS1_27merge_sort_block_merge_implIS3_N6thrust23THRUST_200600_302600_NS6detail15normal_iteratorINS8_10device_ptrIsEEEESD_jNS1_19radix_merge_compareILb0ELb1EsNS0_19identity_decomposerEEEEE10hipError_tT0_T1_T2_jT3_P12ihipStream_tbPNSt15iterator_traitsISI_E10value_typeEPNSO_ISJ_E10value_typeEPSK_NS1_7vsmem_tEENKUlT_SI_SJ_SK_E_clIPsSD_S10_SD_EESH_SX_SI_SJ_SK_EUlSX_E1_NS1_11comp_targetILNS1_3genE4ELNS1_11target_archE910ELNS1_3gpuE8ELNS1_3repE0EEENS1_36merge_oddeven_config_static_selectorELNS0_4arch9wavefront6targetE1EEEvSJ_,"axG",@progbits,_ZN7rocprim17ROCPRIM_400000_NS6detail17trampoline_kernelINS0_14default_configENS1_38merge_sort_block_merge_config_selectorIssEEZZNS1_27merge_sort_block_merge_implIS3_N6thrust23THRUST_200600_302600_NS6detail15normal_iteratorINS8_10device_ptrIsEEEESD_jNS1_19radix_merge_compareILb0ELb1EsNS0_19identity_decomposerEEEEE10hipError_tT0_T1_T2_jT3_P12ihipStream_tbPNSt15iterator_traitsISI_E10value_typeEPNSO_ISJ_E10value_typeEPSK_NS1_7vsmem_tEENKUlT_SI_SJ_SK_E_clIPsSD_S10_SD_EESH_SX_SI_SJ_SK_EUlSX_E1_NS1_11comp_targetILNS1_3genE4ELNS1_11target_archE910ELNS1_3gpuE8ELNS1_3repE0EEENS1_36merge_oddeven_config_static_selectorELNS0_4arch9wavefront6targetE1EEEvSJ_,comdat
.Lfunc_end1586:
	.size	_ZN7rocprim17ROCPRIM_400000_NS6detail17trampoline_kernelINS0_14default_configENS1_38merge_sort_block_merge_config_selectorIssEEZZNS1_27merge_sort_block_merge_implIS3_N6thrust23THRUST_200600_302600_NS6detail15normal_iteratorINS8_10device_ptrIsEEEESD_jNS1_19radix_merge_compareILb0ELb1EsNS0_19identity_decomposerEEEEE10hipError_tT0_T1_T2_jT3_P12ihipStream_tbPNSt15iterator_traitsISI_E10value_typeEPNSO_ISJ_E10value_typeEPSK_NS1_7vsmem_tEENKUlT_SI_SJ_SK_E_clIPsSD_S10_SD_EESH_SX_SI_SJ_SK_EUlSX_E1_NS1_11comp_targetILNS1_3genE4ELNS1_11target_archE910ELNS1_3gpuE8ELNS1_3repE0EEENS1_36merge_oddeven_config_static_selectorELNS0_4arch9wavefront6targetE1EEEvSJ_, .Lfunc_end1586-_ZN7rocprim17ROCPRIM_400000_NS6detail17trampoline_kernelINS0_14default_configENS1_38merge_sort_block_merge_config_selectorIssEEZZNS1_27merge_sort_block_merge_implIS3_N6thrust23THRUST_200600_302600_NS6detail15normal_iteratorINS8_10device_ptrIsEEEESD_jNS1_19radix_merge_compareILb0ELb1EsNS0_19identity_decomposerEEEEE10hipError_tT0_T1_T2_jT3_P12ihipStream_tbPNSt15iterator_traitsISI_E10value_typeEPNSO_ISJ_E10value_typeEPSK_NS1_7vsmem_tEENKUlT_SI_SJ_SK_E_clIPsSD_S10_SD_EESH_SX_SI_SJ_SK_EUlSX_E1_NS1_11comp_targetILNS1_3genE4ELNS1_11target_archE910ELNS1_3gpuE8ELNS1_3repE0EEENS1_36merge_oddeven_config_static_selectorELNS0_4arch9wavefront6targetE1EEEvSJ_
                                        ; -- End function
	.set _ZN7rocprim17ROCPRIM_400000_NS6detail17trampoline_kernelINS0_14default_configENS1_38merge_sort_block_merge_config_selectorIssEEZZNS1_27merge_sort_block_merge_implIS3_N6thrust23THRUST_200600_302600_NS6detail15normal_iteratorINS8_10device_ptrIsEEEESD_jNS1_19radix_merge_compareILb0ELb1EsNS0_19identity_decomposerEEEEE10hipError_tT0_T1_T2_jT3_P12ihipStream_tbPNSt15iterator_traitsISI_E10value_typeEPNSO_ISJ_E10value_typeEPSK_NS1_7vsmem_tEENKUlT_SI_SJ_SK_E_clIPsSD_S10_SD_EESH_SX_SI_SJ_SK_EUlSX_E1_NS1_11comp_targetILNS1_3genE4ELNS1_11target_archE910ELNS1_3gpuE8ELNS1_3repE0EEENS1_36merge_oddeven_config_static_selectorELNS0_4arch9wavefront6targetE1EEEvSJ_.num_vgpr, 0
	.set _ZN7rocprim17ROCPRIM_400000_NS6detail17trampoline_kernelINS0_14default_configENS1_38merge_sort_block_merge_config_selectorIssEEZZNS1_27merge_sort_block_merge_implIS3_N6thrust23THRUST_200600_302600_NS6detail15normal_iteratorINS8_10device_ptrIsEEEESD_jNS1_19radix_merge_compareILb0ELb1EsNS0_19identity_decomposerEEEEE10hipError_tT0_T1_T2_jT3_P12ihipStream_tbPNSt15iterator_traitsISI_E10value_typeEPNSO_ISJ_E10value_typeEPSK_NS1_7vsmem_tEENKUlT_SI_SJ_SK_E_clIPsSD_S10_SD_EESH_SX_SI_SJ_SK_EUlSX_E1_NS1_11comp_targetILNS1_3genE4ELNS1_11target_archE910ELNS1_3gpuE8ELNS1_3repE0EEENS1_36merge_oddeven_config_static_selectorELNS0_4arch9wavefront6targetE1EEEvSJ_.num_agpr, 0
	.set _ZN7rocprim17ROCPRIM_400000_NS6detail17trampoline_kernelINS0_14default_configENS1_38merge_sort_block_merge_config_selectorIssEEZZNS1_27merge_sort_block_merge_implIS3_N6thrust23THRUST_200600_302600_NS6detail15normal_iteratorINS8_10device_ptrIsEEEESD_jNS1_19radix_merge_compareILb0ELb1EsNS0_19identity_decomposerEEEEE10hipError_tT0_T1_T2_jT3_P12ihipStream_tbPNSt15iterator_traitsISI_E10value_typeEPNSO_ISJ_E10value_typeEPSK_NS1_7vsmem_tEENKUlT_SI_SJ_SK_E_clIPsSD_S10_SD_EESH_SX_SI_SJ_SK_EUlSX_E1_NS1_11comp_targetILNS1_3genE4ELNS1_11target_archE910ELNS1_3gpuE8ELNS1_3repE0EEENS1_36merge_oddeven_config_static_selectorELNS0_4arch9wavefront6targetE1EEEvSJ_.numbered_sgpr, 0
	.set _ZN7rocprim17ROCPRIM_400000_NS6detail17trampoline_kernelINS0_14default_configENS1_38merge_sort_block_merge_config_selectorIssEEZZNS1_27merge_sort_block_merge_implIS3_N6thrust23THRUST_200600_302600_NS6detail15normal_iteratorINS8_10device_ptrIsEEEESD_jNS1_19radix_merge_compareILb0ELb1EsNS0_19identity_decomposerEEEEE10hipError_tT0_T1_T2_jT3_P12ihipStream_tbPNSt15iterator_traitsISI_E10value_typeEPNSO_ISJ_E10value_typeEPSK_NS1_7vsmem_tEENKUlT_SI_SJ_SK_E_clIPsSD_S10_SD_EESH_SX_SI_SJ_SK_EUlSX_E1_NS1_11comp_targetILNS1_3genE4ELNS1_11target_archE910ELNS1_3gpuE8ELNS1_3repE0EEENS1_36merge_oddeven_config_static_selectorELNS0_4arch9wavefront6targetE1EEEvSJ_.num_named_barrier, 0
	.set _ZN7rocprim17ROCPRIM_400000_NS6detail17trampoline_kernelINS0_14default_configENS1_38merge_sort_block_merge_config_selectorIssEEZZNS1_27merge_sort_block_merge_implIS3_N6thrust23THRUST_200600_302600_NS6detail15normal_iteratorINS8_10device_ptrIsEEEESD_jNS1_19radix_merge_compareILb0ELb1EsNS0_19identity_decomposerEEEEE10hipError_tT0_T1_T2_jT3_P12ihipStream_tbPNSt15iterator_traitsISI_E10value_typeEPNSO_ISJ_E10value_typeEPSK_NS1_7vsmem_tEENKUlT_SI_SJ_SK_E_clIPsSD_S10_SD_EESH_SX_SI_SJ_SK_EUlSX_E1_NS1_11comp_targetILNS1_3genE4ELNS1_11target_archE910ELNS1_3gpuE8ELNS1_3repE0EEENS1_36merge_oddeven_config_static_selectorELNS0_4arch9wavefront6targetE1EEEvSJ_.private_seg_size, 0
	.set _ZN7rocprim17ROCPRIM_400000_NS6detail17trampoline_kernelINS0_14default_configENS1_38merge_sort_block_merge_config_selectorIssEEZZNS1_27merge_sort_block_merge_implIS3_N6thrust23THRUST_200600_302600_NS6detail15normal_iteratorINS8_10device_ptrIsEEEESD_jNS1_19radix_merge_compareILb0ELb1EsNS0_19identity_decomposerEEEEE10hipError_tT0_T1_T2_jT3_P12ihipStream_tbPNSt15iterator_traitsISI_E10value_typeEPNSO_ISJ_E10value_typeEPSK_NS1_7vsmem_tEENKUlT_SI_SJ_SK_E_clIPsSD_S10_SD_EESH_SX_SI_SJ_SK_EUlSX_E1_NS1_11comp_targetILNS1_3genE4ELNS1_11target_archE910ELNS1_3gpuE8ELNS1_3repE0EEENS1_36merge_oddeven_config_static_selectorELNS0_4arch9wavefront6targetE1EEEvSJ_.uses_vcc, 0
	.set _ZN7rocprim17ROCPRIM_400000_NS6detail17trampoline_kernelINS0_14default_configENS1_38merge_sort_block_merge_config_selectorIssEEZZNS1_27merge_sort_block_merge_implIS3_N6thrust23THRUST_200600_302600_NS6detail15normal_iteratorINS8_10device_ptrIsEEEESD_jNS1_19radix_merge_compareILb0ELb1EsNS0_19identity_decomposerEEEEE10hipError_tT0_T1_T2_jT3_P12ihipStream_tbPNSt15iterator_traitsISI_E10value_typeEPNSO_ISJ_E10value_typeEPSK_NS1_7vsmem_tEENKUlT_SI_SJ_SK_E_clIPsSD_S10_SD_EESH_SX_SI_SJ_SK_EUlSX_E1_NS1_11comp_targetILNS1_3genE4ELNS1_11target_archE910ELNS1_3gpuE8ELNS1_3repE0EEENS1_36merge_oddeven_config_static_selectorELNS0_4arch9wavefront6targetE1EEEvSJ_.uses_flat_scratch, 0
	.set _ZN7rocprim17ROCPRIM_400000_NS6detail17trampoline_kernelINS0_14default_configENS1_38merge_sort_block_merge_config_selectorIssEEZZNS1_27merge_sort_block_merge_implIS3_N6thrust23THRUST_200600_302600_NS6detail15normal_iteratorINS8_10device_ptrIsEEEESD_jNS1_19radix_merge_compareILb0ELb1EsNS0_19identity_decomposerEEEEE10hipError_tT0_T1_T2_jT3_P12ihipStream_tbPNSt15iterator_traitsISI_E10value_typeEPNSO_ISJ_E10value_typeEPSK_NS1_7vsmem_tEENKUlT_SI_SJ_SK_E_clIPsSD_S10_SD_EESH_SX_SI_SJ_SK_EUlSX_E1_NS1_11comp_targetILNS1_3genE4ELNS1_11target_archE910ELNS1_3gpuE8ELNS1_3repE0EEENS1_36merge_oddeven_config_static_selectorELNS0_4arch9wavefront6targetE1EEEvSJ_.has_dyn_sized_stack, 0
	.set _ZN7rocprim17ROCPRIM_400000_NS6detail17trampoline_kernelINS0_14default_configENS1_38merge_sort_block_merge_config_selectorIssEEZZNS1_27merge_sort_block_merge_implIS3_N6thrust23THRUST_200600_302600_NS6detail15normal_iteratorINS8_10device_ptrIsEEEESD_jNS1_19radix_merge_compareILb0ELb1EsNS0_19identity_decomposerEEEEE10hipError_tT0_T1_T2_jT3_P12ihipStream_tbPNSt15iterator_traitsISI_E10value_typeEPNSO_ISJ_E10value_typeEPSK_NS1_7vsmem_tEENKUlT_SI_SJ_SK_E_clIPsSD_S10_SD_EESH_SX_SI_SJ_SK_EUlSX_E1_NS1_11comp_targetILNS1_3genE4ELNS1_11target_archE910ELNS1_3gpuE8ELNS1_3repE0EEENS1_36merge_oddeven_config_static_selectorELNS0_4arch9wavefront6targetE1EEEvSJ_.has_recursion, 0
	.set _ZN7rocprim17ROCPRIM_400000_NS6detail17trampoline_kernelINS0_14default_configENS1_38merge_sort_block_merge_config_selectorIssEEZZNS1_27merge_sort_block_merge_implIS3_N6thrust23THRUST_200600_302600_NS6detail15normal_iteratorINS8_10device_ptrIsEEEESD_jNS1_19radix_merge_compareILb0ELb1EsNS0_19identity_decomposerEEEEE10hipError_tT0_T1_T2_jT3_P12ihipStream_tbPNSt15iterator_traitsISI_E10value_typeEPNSO_ISJ_E10value_typeEPSK_NS1_7vsmem_tEENKUlT_SI_SJ_SK_E_clIPsSD_S10_SD_EESH_SX_SI_SJ_SK_EUlSX_E1_NS1_11comp_targetILNS1_3genE4ELNS1_11target_archE910ELNS1_3gpuE8ELNS1_3repE0EEENS1_36merge_oddeven_config_static_selectorELNS0_4arch9wavefront6targetE1EEEvSJ_.has_indirect_call, 0
	.section	.AMDGPU.csdata,"",@progbits
; Kernel info:
; codeLenInByte = 0
; TotalNumSgprs: 6
; NumVgprs: 0
; NumAgprs: 0
; TotalNumVgprs: 0
; ScratchSize: 0
; MemoryBound: 0
; FloatMode: 240
; IeeeMode: 1
; LDSByteSize: 0 bytes/workgroup (compile time only)
; SGPRBlocks: 0
; VGPRBlocks: 0
; NumSGPRsForWavesPerEU: 6
; NumVGPRsForWavesPerEU: 1
; AccumOffset: 4
; Occupancy: 8
; WaveLimiterHint : 0
; COMPUTE_PGM_RSRC2:SCRATCH_EN: 0
; COMPUTE_PGM_RSRC2:USER_SGPR: 2
; COMPUTE_PGM_RSRC2:TRAP_HANDLER: 0
; COMPUTE_PGM_RSRC2:TGID_X_EN: 1
; COMPUTE_PGM_RSRC2:TGID_Y_EN: 0
; COMPUTE_PGM_RSRC2:TGID_Z_EN: 0
; COMPUTE_PGM_RSRC2:TIDIG_COMP_CNT: 0
; COMPUTE_PGM_RSRC3_GFX90A:ACCUM_OFFSET: 0
; COMPUTE_PGM_RSRC3_GFX90A:TG_SPLIT: 0
	.section	.text._ZN7rocprim17ROCPRIM_400000_NS6detail17trampoline_kernelINS0_14default_configENS1_38merge_sort_block_merge_config_selectorIssEEZZNS1_27merge_sort_block_merge_implIS3_N6thrust23THRUST_200600_302600_NS6detail15normal_iteratorINS8_10device_ptrIsEEEESD_jNS1_19radix_merge_compareILb0ELb1EsNS0_19identity_decomposerEEEEE10hipError_tT0_T1_T2_jT3_P12ihipStream_tbPNSt15iterator_traitsISI_E10value_typeEPNSO_ISJ_E10value_typeEPSK_NS1_7vsmem_tEENKUlT_SI_SJ_SK_E_clIPsSD_S10_SD_EESH_SX_SI_SJ_SK_EUlSX_E1_NS1_11comp_targetILNS1_3genE3ELNS1_11target_archE908ELNS1_3gpuE7ELNS1_3repE0EEENS1_36merge_oddeven_config_static_selectorELNS0_4arch9wavefront6targetE1EEEvSJ_,"axG",@progbits,_ZN7rocprim17ROCPRIM_400000_NS6detail17trampoline_kernelINS0_14default_configENS1_38merge_sort_block_merge_config_selectorIssEEZZNS1_27merge_sort_block_merge_implIS3_N6thrust23THRUST_200600_302600_NS6detail15normal_iteratorINS8_10device_ptrIsEEEESD_jNS1_19radix_merge_compareILb0ELb1EsNS0_19identity_decomposerEEEEE10hipError_tT0_T1_T2_jT3_P12ihipStream_tbPNSt15iterator_traitsISI_E10value_typeEPNSO_ISJ_E10value_typeEPSK_NS1_7vsmem_tEENKUlT_SI_SJ_SK_E_clIPsSD_S10_SD_EESH_SX_SI_SJ_SK_EUlSX_E1_NS1_11comp_targetILNS1_3genE3ELNS1_11target_archE908ELNS1_3gpuE7ELNS1_3repE0EEENS1_36merge_oddeven_config_static_selectorELNS0_4arch9wavefront6targetE1EEEvSJ_,comdat
	.protected	_ZN7rocprim17ROCPRIM_400000_NS6detail17trampoline_kernelINS0_14default_configENS1_38merge_sort_block_merge_config_selectorIssEEZZNS1_27merge_sort_block_merge_implIS3_N6thrust23THRUST_200600_302600_NS6detail15normal_iteratorINS8_10device_ptrIsEEEESD_jNS1_19radix_merge_compareILb0ELb1EsNS0_19identity_decomposerEEEEE10hipError_tT0_T1_T2_jT3_P12ihipStream_tbPNSt15iterator_traitsISI_E10value_typeEPNSO_ISJ_E10value_typeEPSK_NS1_7vsmem_tEENKUlT_SI_SJ_SK_E_clIPsSD_S10_SD_EESH_SX_SI_SJ_SK_EUlSX_E1_NS1_11comp_targetILNS1_3genE3ELNS1_11target_archE908ELNS1_3gpuE7ELNS1_3repE0EEENS1_36merge_oddeven_config_static_selectorELNS0_4arch9wavefront6targetE1EEEvSJ_ ; -- Begin function _ZN7rocprim17ROCPRIM_400000_NS6detail17trampoline_kernelINS0_14default_configENS1_38merge_sort_block_merge_config_selectorIssEEZZNS1_27merge_sort_block_merge_implIS3_N6thrust23THRUST_200600_302600_NS6detail15normal_iteratorINS8_10device_ptrIsEEEESD_jNS1_19radix_merge_compareILb0ELb1EsNS0_19identity_decomposerEEEEE10hipError_tT0_T1_T2_jT3_P12ihipStream_tbPNSt15iterator_traitsISI_E10value_typeEPNSO_ISJ_E10value_typeEPSK_NS1_7vsmem_tEENKUlT_SI_SJ_SK_E_clIPsSD_S10_SD_EESH_SX_SI_SJ_SK_EUlSX_E1_NS1_11comp_targetILNS1_3genE3ELNS1_11target_archE908ELNS1_3gpuE7ELNS1_3repE0EEENS1_36merge_oddeven_config_static_selectorELNS0_4arch9wavefront6targetE1EEEvSJ_
	.globl	_ZN7rocprim17ROCPRIM_400000_NS6detail17trampoline_kernelINS0_14default_configENS1_38merge_sort_block_merge_config_selectorIssEEZZNS1_27merge_sort_block_merge_implIS3_N6thrust23THRUST_200600_302600_NS6detail15normal_iteratorINS8_10device_ptrIsEEEESD_jNS1_19radix_merge_compareILb0ELb1EsNS0_19identity_decomposerEEEEE10hipError_tT0_T1_T2_jT3_P12ihipStream_tbPNSt15iterator_traitsISI_E10value_typeEPNSO_ISJ_E10value_typeEPSK_NS1_7vsmem_tEENKUlT_SI_SJ_SK_E_clIPsSD_S10_SD_EESH_SX_SI_SJ_SK_EUlSX_E1_NS1_11comp_targetILNS1_3genE3ELNS1_11target_archE908ELNS1_3gpuE7ELNS1_3repE0EEENS1_36merge_oddeven_config_static_selectorELNS0_4arch9wavefront6targetE1EEEvSJ_
	.p2align	8
	.type	_ZN7rocprim17ROCPRIM_400000_NS6detail17trampoline_kernelINS0_14default_configENS1_38merge_sort_block_merge_config_selectorIssEEZZNS1_27merge_sort_block_merge_implIS3_N6thrust23THRUST_200600_302600_NS6detail15normal_iteratorINS8_10device_ptrIsEEEESD_jNS1_19radix_merge_compareILb0ELb1EsNS0_19identity_decomposerEEEEE10hipError_tT0_T1_T2_jT3_P12ihipStream_tbPNSt15iterator_traitsISI_E10value_typeEPNSO_ISJ_E10value_typeEPSK_NS1_7vsmem_tEENKUlT_SI_SJ_SK_E_clIPsSD_S10_SD_EESH_SX_SI_SJ_SK_EUlSX_E1_NS1_11comp_targetILNS1_3genE3ELNS1_11target_archE908ELNS1_3gpuE7ELNS1_3repE0EEENS1_36merge_oddeven_config_static_selectorELNS0_4arch9wavefront6targetE1EEEvSJ_,@function
_ZN7rocprim17ROCPRIM_400000_NS6detail17trampoline_kernelINS0_14default_configENS1_38merge_sort_block_merge_config_selectorIssEEZZNS1_27merge_sort_block_merge_implIS3_N6thrust23THRUST_200600_302600_NS6detail15normal_iteratorINS8_10device_ptrIsEEEESD_jNS1_19radix_merge_compareILb0ELb1EsNS0_19identity_decomposerEEEEE10hipError_tT0_T1_T2_jT3_P12ihipStream_tbPNSt15iterator_traitsISI_E10value_typeEPNSO_ISJ_E10value_typeEPSK_NS1_7vsmem_tEENKUlT_SI_SJ_SK_E_clIPsSD_S10_SD_EESH_SX_SI_SJ_SK_EUlSX_E1_NS1_11comp_targetILNS1_3genE3ELNS1_11target_archE908ELNS1_3gpuE7ELNS1_3repE0EEENS1_36merge_oddeven_config_static_selectorELNS0_4arch9wavefront6targetE1EEEvSJ_: ; @_ZN7rocprim17ROCPRIM_400000_NS6detail17trampoline_kernelINS0_14default_configENS1_38merge_sort_block_merge_config_selectorIssEEZZNS1_27merge_sort_block_merge_implIS3_N6thrust23THRUST_200600_302600_NS6detail15normal_iteratorINS8_10device_ptrIsEEEESD_jNS1_19radix_merge_compareILb0ELb1EsNS0_19identity_decomposerEEEEE10hipError_tT0_T1_T2_jT3_P12ihipStream_tbPNSt15iterator_traitsISI_E10value_typeEPNSO_ISJ_E10value_typeEPSK_NS1_7vsmem_tEENKUlT_SI_SJ_SK_E_clIPsSD_S10_SD_EESH_SX_SI_SJ_SK_EUlSX_E1_NS1_11comp_targetILNS1_3genE3ELNS1_11target_archE908ELNS1_3gpuE7ELNS1_3repE0EEENS1_36merge_oddeven_config_static_selectorELNS0_4arch9wavefront6targetE1EEEvSJ_
; %bb.0:
	.section	.rodata,"a",@progbits
	.p2align	6, 0x0
	.amdhsa_kernel _ZN7rocprim17ROCPRIM_400000_NS6detail17trampoline_kernelINS0_14default_configENS1_38merge_sort_block_merge_config_selectorIssEEZZNS1_27merge_sort_block_merge_implIS3_N6thrust23THRUST_200600_302600_NS6detail15normal_iteratorINS8_10device_ptrIsEEEESD_jNS1_19radix_merge_compareILb0ELb1EsNS0_19identity_decomposerEEEEE10hipError_tT0_T1_T2_jT3_P12ihipStream_tbPNSt15iterator_traitsISI_E10value_typeEPNSO_ISJ_E10value_typeEPSK_NS1_7vsmem_tEENKUlT_SI_SJ_SK_E_clIPsSD_S10_SD_EESH_SX_SI_SJ_SK_EUlSX_E1_NS1_11comp_targetILNS1_3genE3ELNS1_11target_archE908ELNS1_3gpuE7ELNS1_3repE0EEENS1_36merge_oddeven_config_static_selectorELNS0_4arch9wavefront6targetE1EEEvSJ_
		.amdhsa_group_segment_fixed_size 0
		.amdhsa_private_segment_fixed_size 0
		.amdhsa_kernarg_size 48
		.amdhsa_user_sgpr_count 2
		.amdhsa_user_sgpr_dispatch_ptr 0
		.amdhsa_user_sgpr_queue_ptr 0
		.amdhsa_user_sgpr_kernarg_segment_ptr 1
		.amdhsa_user_sgpr_dispatch_id 0
		.amdhsa_user_sgpr_kernarg_preload_length 0
		.amdhsa_user_sgpr_kernarg_preload_offset 0
		.amdhsa_user_sgpr_private_segment_size 0
		.amdhsa_uses_dynamic_stack 0
		.amdhsa_enable_private_segment 0
		.amdhsa_system_sgpr_workgroup_id_x 1
		.amdhsa_system_sgpr_workgroup_id_y 0
		.amdhsa_system_sgpr_workgroup_id_z 0
		.amdhsa_system_sgpr_workgroup_info 0
		.amdhsa_system_vgpr_workitem_id 0
		.amdhsa_next_free_vgpr 1
		.amdhsa_next_free_sgpr 0
		.amdhsa_accum_offset 4
		.amdhsa_reserve_vcc 0
		.amdhsa_float_round_mode_32 0
		.amdhsa_float_round_mode_16_64 0
		.amdhsa_float_denorm_mode_32 3
		.amdhsa_float_denorm_mode_16_64 3
		.amdhsa_dx10_clamp 1
		.amdhsa_ieee_mode 1
		.amdhsa_fp16_overflow 0
		.amdhsa_tg_split 0
		.amdhsa_exception_fp_ieee_invalid_op 0
		.amdhsa_exception_fp_denorm_src 0
		.amdhsa_exception_fp_ieee_div_zero 0
		.amdhsa_exception_fp_ieee_overflow 0
		.amdhsa_exception_fp_ieee_underflow 0
		.amdhsa_exception_fp_ieee_inexact 0
		.amdhsa_exception_int_div_zero 0
	.end_amdhsa_kernel
	.section	.text._ZN7rocprim17ROCPRIM_400000_NS6detail17trampoline_kernelINS0_14default_configENS1_38merge_sort_block_merge_config_selectorIssEEZZNS1_27merge_sort_block_merge_implIS3_N6thrust23THRUST_200600_302600_NS6detail15normal_iteratorINS8_10device_ptrIsEEEESD_jNS1_19radix_merge_compareILb0ELb1EsNS0_19identity_decomposerEEEEE10hipError_tT0_T1_T2_jT3_P12ihipStream_tbPNSt15iterator_traitsISI_E10value_typeEPNSO_ISJ_E10value_typeEPSK_NS1_7vsmem_tEENKUlT_SI_SJ_SK_E_clIPsSD_S10_SD_EESH_SX_SI_SJ_SK_EUlSX_E1_NS1_11comp_targetILNS1_3genE3ELNS1_11target_archE908ELNS1_3gpuE7ELNS1_3repE0EEENS1_36merge_oddeven_config_static_selectorELNS0_4arch9wavefront6targetE1EEEvSJ_,"axG",@progbits,_ZN7rocprim17ROCPRIM_400000_NS6detail17trampoline_kernelINS0_14default_configENS1_38merge_sort_block_merge_config_selectorIssEEZZNS1_27merge_sort_block_merge_implIS3_N6thrust23THRUST_200600_302600_NS6detail15normal_iteratorINS8_10device_ptrIsEEEESD_jNS1_19radix_merge_compareILb0ELb1EsNS0_19identity_decomposerEEEEE10hipError_tT0_T1_T2_jT3_P12ihipStream_tbPNSt15iterator_traitsISI_E10value_typeEPNSO_ISJ_E10value_typeEPSK_NS1_7vsmem_tEENKUlT_SI_SJ_SK_E_clIPsSD_S10_SD_EESH_SX_SI_SJ_SK_EUlSX_E1_NS1_11comp_targetILNS1_3genE3ELNS1_11target_archE908ELNS1_3gpuE7ELNS1_3repE0EEENS1_36merge_oddeven_config_static_selectorELNS0_4arch9wavefront6targetE1EEEvSJ_,comdat
.Lfunc_end1587:
	.size	_ZN7rocprim17ROCPRIM_400000_NS6detail17trampoline_kernelINS0_14default_configENS1_38merge_sort_block_merge_config_selectorIssEEZZNS1_27merge_sort_block_merge_implIS3_N6thrust23THRUST_200600_302600_NS6detail15normal_iteratorINS8_10device_ptrIsEEEESD_jNS1_19radix_merge_compareILb0ELb1EsNS0_19identity_decomposerEEEEE10hipError_tT0_T1_T2_jT3_P12ihipStream_tbPNSt15iterator_traitsISI_E10value_typeEPNSO_ISJ_E10value_typeEPSK_NS1_7vsmem_tEENKUlT_SI_SJ_SK_E_clIPsSD_S10_SD_EESH_SX_SI_SJ_SK_EUlSX_E1_NS1_11comp_targetILNS1_3genE3ELNS1_11target_archE908ELNS1_3gpuE7ELNS1_3repE0EEENS1_36merge_oddeven_config_static_selectorELNS0_4arch9wavefront6targetE1EEEvSJ_, .Lfunc_end1587-_ZN7rocprim17ROCPRIM_400000_NS6detail17trampoline_kernelINS0_14default_configENS1_38merge_sort_block_merge_config_selectorIssEEZZNS1_27merge_sort_block_merge_implIS3_N6thrust23THRUST_200600_302600_NS6detail15normal_iteratorINS8_10device_ptrIsEEEESD_jNS1_19radix_merge_compareILb0ELb1EsNS0_19identity_decomposerEEEEE10hipError_tT0_T1_T2_jT3_P12ihipStream_tbPNSt15iterator_traitsISI_E10value_typeEPNSO_ISJ_E10value_typeEPSK_NS1_7vsmem_tEENKUlT_SI_SJ_SK_E_clIPsSD_S10_SD_EESH_SX_SI_SJ_SK_EUlSX_E1_NS1_11comp_targetILNS1_3genE3ELNS1_11target_archE908ELNS1_3gpuE7ELNS1_3repE0EEENS1_36merge_oddeven_config_static_selectorELNS0_4arch9wavefront6targetE1EEEvSJ_
                                        ; -- End function
	.set _ZN7rocprim17ROCPRIM_400000_NS6detail17trampoline_kernelINS0_14default_configENS1_38merge_sort_block_merge_config_selectorIssEEZZNS1_27merge_sort_block_merge_implIS3_N6thrust23THRUST_200600_302600_NS6detail15normal_iteratorINS8_10device_ptrIsEEEESD_jNS1_19radix_merge_compareILb0ELb1EsNS0_19identity_decomposerEEEEE10hipError_tT0_T1_T2_jT3_P12ihipStream_tbPNSt15iterator_traitsISI_E10value_typeEPNSO_ISJ_E10value_typeEPSK_NS1_7vsmem_tEENKUlT_SI_SJ_SK_E_clIPsSD_S10_SD_EESH_SX_SI_SJ_SK_EUlSX_E1_NS1_11comp_targetILNS1_3genE3ELNS1_11target_archE908ELNS1_3gpuE7ELNS1_3repE0EEENS1_36merge_oddeven_config_static_selectorELNS0_4arch9wavefront6targetE1EEEvSJ_.num_vgpr, 0
	.set _ZN7rocprim17ROCPRIM_400000_NS6detail17trampoline_kernelINS0_14default_configENS1_38merge_sort_block_merge_config_selectorIssEEZZNS1_27merge_sort_block_merge_implIS3_N6thrust23THRUST_200600_302600_NS6detail15normal_iteratorINS8_10device_ptrIsEEEESD_jNS1_19radix_merge_compareILb0ELb1EsNS0_19identity_decomposerEEEEE10hipError_tT0_T1_T2_jT3_P12ihipStream_tbPNSt15iterator_traitsISI_E10value_typeEPNSO_ISJ_E10value_typeEPSK_NS1_7vsmem_tEENKUlT_SI_SJ_SK_E_clIPsSD_S10_SD_EESH_SX_SI_SJ_SK_EUlSX_E1_NS1_11comp_targetILNS1_3genE3ELNS1_11target_archE908ELNS1_3gpuE7ELNS1_3repE0EEENS1_36merge_oddeven_config_static_selectorELNS0_4arch9wavefront6targetE1EEEvSJ_.num_agpr, 0
	.set _ZN7rocprim17ROCPRIM_400000_NS6detail17trampoline_kernelINS0_14default_configENS1_38merge_sort_block_merge_config_selectorIssEEZZNS1_27merge_sort_block_merge_implIS3_N6thrust23THRUST_200600_302600_NS6detail15normal_iteratorINS8_10device_ptrIsEEEESD_jNS1_19radix_merge_compareILb0ELb1EsNS0_19identity_decomposerEEEEE10hipError_tT0_T1_T2_jT3_P12ihipStream_tbPNSt15iterator_traitsISI_E10value_typeEPNSO_ISJ_E10value_typeEPSK_NS1_7vsmem_tEENKUlT_SI_SJ_SK_E_clIPsSD_S10_SD_EESH_SX_SI_SJ_SK_EUlSX_E1_NS1_11comp_targetILNS1_3genE3ELNS1_11target_archE908ELNS1_3gpuE7ELNS1_3repE0EEENS1_36merge_oddeven_config_static_selectorELNS0_4arch9wavefront6targetE1EEEvSJ_.numbered_sgpr, 0
	.set _ZN7rocprim17ROCPRIM_400000_NS6detail17trampoline_kernelINS0_14default_configENS1_38merge_sort_block_merge_config_selectorIssEEZZNS1_27merge_sort_block_merge_implIS3_N6thrust23THRUST_200600_302600_NS6detail15normal_iteratorINS8_10device_ptrIsEEEESD_jNS1_19radix_merge_compareILb0ELb1EsNS0_19identity_decomposerEEEEE10hipError_tT0_T1_T2_jT3_P12ihipStream_tbPNSt15iterator_traitsISI_E10value_typeEPNSO_ISJ_E10value_typeEPSK_NS1_7vsmem_tEENKUlT_SI_SJ_SK_E_clIPsSD_S10_SD_EESH_SX_SI_SJ_SK_EUlSX_E1_NS1_11comp_targetILNS1_3genE3ELNS1_11target_archE908ELNS1_3gpuE7ELNS1_3repE0EEENS1_36merge_oddeven_config_static_selectorELNS0_4arch9wavefront6targetE1EEEvSJ_.num_named_barrier, 0
	.set _ZN7rocprim17ROCPRIM_400000_NS6detail17trampoline_kernelINS0_14default_configENS1_38merge_sort_block_merge_config_selectorIssEEZZNS1_27merge_sort_block_merge_implIS3_N6thrust23THRUST_200600_302600_NS6detail15normal_iteratorINS8_10device_ptrIsEEEESD_jNS1_19radix_merge_compareILb0ELb1EsNS0_19identity_decomposerEEEEE10hipError_tT0_T1_T2_jT3_P12ihipStream_tbPNSt15iterator_traitsISI_E10value_typeEPNSO_ISJ_E10value_typeEPSK_NS1_7vsmem_tEENKUlT_SI_SJ_SK_E_clIPsSD_S10_SD_EESH_SX_SI_SJ_SK_EUlSX_E1_NS1_11comp_targetILNS1_3genE3ELNS1_11target_archE908ELNS1_3gpuE7ELNS1_3repE0EEENS1_36merge_oddeven_config_static_selectorELNS0_4arch9wavefront6targetE1EEEvSJ_.private_seg_size, 0
	.set _ZN7rocprim17ROCPRIM_400000_NS6detail17trampoline_kernelINS0_14default_configENS1_38merge_sort_block_merge_config_selectorIssEEZZNS1_27merge_sort_block_merge_implIS3_N6thrust23THRUST_200600_302600_NS6detail15normal_iteratorINS8_10device_ptrIsEEEESD_jNS1_19radix_merge_compareILb0ELb1EsNS0_19identity_decomposerEEEEE10hipError_tT0_T1_T2_jT3_P12ihipStream_tbPNSt15iterator_traitsISI_E10value_typeEPNSO_ISJ_E10value_typeEPSK_NS1_7vsmem_tEENKUlT_SI_SJ_SK_E_clIPsSD_S10_SD_EESH_SX_SI_SJ_SK_EUlSX_E1_NS1_11comp_targetILNS1_3genE3ELNS1_11target_archE908ELNS1_3gpuE7ELNS1_3repE0EEENS1_36merge_oddeven_config_static_selectorELNS0_4arch9wavefront6targetE1EEEvSJ_.uses_vcc, 0
	.set _ZN7rocprim17ROCPRIM_400000_NS6detail17trampoline_kernelINS0_14default_configENS1_38merge_sort_block_merge_config_selectorIssEEZZNS1_27merge_sort_block_merge_implIS3_N6thrust23THRUST_200600_302600_NS6detail15normal_iteratorINS8_10device_ptrIsEEEESD_jNS1_19radix_merge_compareILb0ELb1EsNS0_19identity_decomposerEEEEE10hipError_tT0_T1_T2_jT3_P12ihipStream_tbPNSt15iterator_traitsISI_E10value_typeEPNSO_ISJ_E10value_typeEPSK_NS1_7vsmem_tEENKUlT_SI_SJ_SK_E_clIPsSD_S10_SD_EESH_SX_SI_SJ_SK_EUlSX_E1_NS1_11comp_targetILNS1_3genE3ELNS1_11target_archE908ELNS1_3gpuE7ELNS1_3repE0EEENS1_36merge_oddeven_config_static_selectorELNS0_4arch9wavefront6targetE1EEEvSJ_.uses_flat_scratch, 0
	.set _ZN7rocprim17ROCPRIM_400000_NS6detail17trampoline_kernelINS0_14default_configENS1_38merge_sort_block_merge_config_selectorIssEEZZNS1_27merge_sort_block_merge_implIS3_N6thrust23THRUST_200600_302600_NS6detail15normal_iteratorINS8_10device_ptrIsEEEESD_jNS1_19radix_merge_compareILb0ELb1EsNS0_19identity_decomposerEEEEE10hipError_tT0_T1_T2_jT3_P12ihipStream_tbPNSt15iterator_traitsISI_E10value_typeEPNSO_ISJ_E10value_typeEPSK_NS1_7vsmem_tEENKUlT_SI_SJ_SK_E_clIPsSD_S10_SD_EESH_SX_SI_SJ_SK_EUlSX_E1_NS1_11comp_targetILNS1_3genE3ELNS1_11target_archE908ELNS1_3gpuE7ELNS1_3repE0EEENS1_36merge_oddeven_config_static_selectorELNS0_4arch9wavefront6targetE1EEEvSJ_.has_dyn_sized_stack, 0
	.set _ZN7rocprim17ROCPRIM_400000_NS6detail17trampoline_kernelINS0_14default_configENS1_38merge_sort_block_merge_config_selectorIssEEZZNS1_27merge_sort_block_merge_implIS3_N6thrust23THRUST_200600_302600_NS6detail15normal_iteratorINS8_10device_ptrIsEEEESD_jNS1_19radix_merge_compareILb0ELb1EsNS0_19identity_decomposerEEEEE10hipError_tT0_T1_T2_jT3_P12ihipStream_tbPNSt15iterator_traitsISI_E10value_typeEPNSO_ISJ_E10value_typeEPSK_NS1_7vsmem_tEENKUlT_SI_SJ_SK_E_clIPsSD_S10_SD_EESH_SX_SI_SJ_SK_EUlSX_E1_NS1_11comp_targetILNS1_3genE3ELNS1_11target_archE908ELNS1_3gpuE7ELNS1_3repE0EEENS1_36merge_oddeven_config_static_selectorELNS0_4arch9wavefront6targetE1EEEvSJ_.has_recursion, 0
	.set _ZN7rocprim17ROCPRIM_400000_NS6detail17trampoline_kernelINS0_14default_configENS1_38merge_sort_block_merge_config_selectorIssEEZZNS1_27merge_sort_block_merge_implIS3_N6thrust23THRUST_200600_302600_NS6detail15normal_iteratorINS8_10device_ptrIsEEEESD_jNS1_19radix_merge_compareILb0ELb1EsNS0_19identity_decomposerEEEEE10hipError_tT0_T1_T2_jT3_P12ihipStream_tbPNSt15iterator_traitsISI_E10value_typeEPNSO_ISJ_E10value_typeEPSK_NS1_7vsmem_tEENKUlT_SI_SJ_SK_E_clIPsSD_S10_SD_EESH_SX_SI_SJ_SK_EUlSX_E1_NS1_11comp_targetILNS1_3genE3ELNS1_11target_archE908ELNS1_3gpuE7ELNS1_3repE0EEENS1_36merge_oddeven_config_static_selectorELNS0_4arch9wavefront6targetE1EEEvSJ_.has_indirect_call, 0
	.section	.AMDGPU.csdata,"",@progbits
; Kernel info:
; codeLenInByte = 0
; TotalNumSgprs: 6
; NumVgprs: 0
; NumAgprs: 0
; TotalNumVgprs: 0
; ScratchSize: 0
; MemoryBound: 0
; FloatMode: 240
; IeeeMode: 1
; LDSByteSize: 0 bytes/workgroup (compile time only)
; SGPRBlocks: 0
; VGPRBlocks: 0
; NumSGPRsForWavesPerEU: 6
; NumVGPRsForWavesPerEU: 1
; AccumOffset: 4
; Occupancy: 8
; WaveLimiterHint : 0
; COMPUTE_PGM_RSRC2:SCRATCH_EN: 0
; COMPUTE_PGM_RSRC2:USER_SGPR: 2
; COMPUTE_PGM_RSRC2:TRAP_HANDLER: 0
; COMPUTE_PGM_RSRC2:TGID_X_EN: 1
; COMPUTE_PGM_RSRC2:TGID_Y_EN: 0
; COMPUTE_PGM_RSRC2:TGID_Z_EN: 0
; COMPUTE_PGM_RSRC2:TIDIG_COMP_CNT: 0
; COMPUTE_PGM_RSRC3_GFX90A:ACCUM_OFFSET: 0
; COMPUTE_PGM_RSRC3_GFX90A:TG_SPLIT: 0
	.section	.text._ZN7rocprim17ROCPRIM_400000_NS6detail17trampoline_kernelINS0_14default_configENS1_38merge_sort_block_merge_config_selectorIssEEZZNS1_27merge_sort_block_merge_implIS3_N6thrust23THRUST_200600_302600_NS6detail15normal_iteratorINS8_10device_ptrIsEEEESD_jNS1_19radix_merge_compareILb0ELb1EsNS0_19identity_decomposerEEEEE10hipError_tT0_T1_T2_jT3_P12ihipStream_tbPNSt15iterator_traitsISI_E10value_typeEPNSO_ISJ_E10value_typeEPSK_NS1_7vsmem_tEENKUlT_SI_SJ_SK_E_clIPsSD_S10_SD_EESH_SX_SI_SJ_SK_EUlSX_E1_NS1_11comp_targetILNS1_3genE2ELNS1_11target_archE906ELNS1_3gpuE6ELNS1_3repE0EEENS1_36merge_oddeven_config_static_selectorELNS0_4arch9wavefront6targetE1EEEvSJ_,"axG",@progbits,_ZN7rocprim17ROCPRIM_400000_NS6detail17trampoline_kernelINS0_14default_configENS1_38merge_sort_block_merge_config_selectorIssEEZZNS1_27merge_sort_block_merge_implIS3_N6thrust23THRUST_200600_302600_NS6detail15normal_iteratorINS8_10device_ptrIsEEEESD_jNS1_19radix_merge_compareILb0ELb1EsNS0_19identity_decomposerEEEEE10hipError_tT0_T1_T2_jT3_P12ihipStream_tbPNSt15iterator_traitsISI_E10value_typeEPNSO_ISJ_E10value_typeEPSK_NS1_7vsmem_tEENKUlT_SI_SJ_SK_E_clIPsSD_S10_SD_EESH_SX_SI_SJ_SK_EUlSX_E1_NS1_11comp_targetILNS1_3genE2ELNS1_11target_archE906ELNS1_3gpuE6ELNS1_3repE0EEENS1_36merge_oddeven_config_static_selectorELNS0_4arch9wavefront6targetE1EEEvSJ_,comdat
	.protected	_ZN7rocprim17ROCPRIM_400000_NS6detail17trampoline_kernelINS0_14default_configENS1_38merge_sort_block_merge_config_selectorIssEEZZNS1_27merge_sort_block_merge_implIS3_N6thrust23THRUST_200600_302600_NS6detail15normal_iteratorINS8_10device_ptrIsEEEESD_jNS1_19radix_merge_compareILb0ELb1EsNS0_19identity_decomposerEEEEE10hipError_tT0_T1_T2_jT3_P12ihipStream_tbPNSt15iterator_traitsISI_E10value_typeEPNSO_ISJ_E10value_typeEPSK_NS1_7vsmem_tEENKUlT_SI_SJ_SK_E_clIPsSD_S10_SD_EESH_SX_SI_SJ_SK_EUlSX_E1_NS1_11comp_targetILNS1_3genE2ELNS1_11target_archE906ELNS1_3gpuE6ELNS1_3repE0EEENS1_36merge_oddeven_config_static_selectorELNS0_4arch9wavefront6targetE1EEEvSJ_ ; -- Begin function _ZN7rocprim17ROCPRIM_400000_NS6detail17trampoline_kernelINS0_14default_configENS1_38merge_sort_block_merge_config_selectorIssEEZZNS1_27merge_sort_block_merge_implIS3_N6thrust23THRUST_200600_302600_NS6detail15normal_iteratorINS8_10device_ptrIsEEEESD_jNS1_19radix_merge_compareILb0ELb1EsNS0_19identity_decomposerEEEEE10hipError_tT0_T1_T2_jT3_P12ihipStream_tbPNSt15iterator_traitsISI_E10value_typeEPNSO_ISJ_E10value_typeEPSK_NS1_7vsmem_tEENKUlT_SI_SJ_SK_E_clIPsSD_S10_SD_EESH_SX_SI_SJ_SK_EUlSX_E1_NS1_11comp_targetILNS1_3genE2ELNS1_11target_archE906ELNS1_3gpuE6ELNS1_3repE0EEENS1_36merge_oddeven_config_static_selectorELNS0_4arch9wavefront6targetE1EEEvSJ_
	.globl	_ZN7rocprim17ROCPRIM_400000_NS6detail17trampoline_kernelINS0_14default_configENS1_38merge_sort_block_merge_config_selectorIssEEZZNS1_27merge_sort_block_merge_implIS3_N6thrust23THRUST_200600_302600_NS6detail15normal_iteratorINS8_10device_ptrIsEEEESD_jNS1_19radix_merge_compareILb0ELb1EsNS0_19identity_decomposerEEEEE10hipError_tT0_T1_T2_jT3_P12ihipStream_tbPNSt15iterator_traitsISI_E10value_typeEPNSO_ISJ_E10value_typeEPSK_NS1_7vsmem_tEENKUlT_SI_SJ_SK_E_clIPsSD_S10_SD_EESH_SX_SI_SJ_SK_EUlSX_E1_NS1_11comp_targetILNS1_3genE2ELNS1_11target_archE906ELNS1_3gpuE6ELNS1_3repE0EEENS1_36merge_oddeven_config_static_selectorELNS0_4arch9wavefront6targetE1EEEvSJ_
	.p2align	8
	.type	_ZN7rocprim17ROCPRIM_400000_NS6detail17trampoline_kernelINS0_14default_configENS1_38merge_sort_block_merge_config_selectorIssEEZZNS1_27merge_sort_block_merge_implIS3_N6thrust23THRUST_200600_302600_NS6detail15normal_iteratorINS8_10device_ptrIsEEEESD_jNS1_19radix_merge_compareILb0ELb1EsNS0_19identity_decomposerEEEEE10hipError_tT0_T1_T2_jT3_P12ihipStream_tbPNSt15iterator_traitsISI_E10value_typeEPNSO_ISJ_E10value_typeEPSK_NS1_7vsmem_tEENKUlT_SI_SJ_SK_E_clIPsSD_S10_SD_EESH_SX_SI_SJ_SK_EUlSX_E1_NS1_11comp_targetILNS1_3genE2ELNS1_11target_archE906ELNS1_3gpuE6ELNS1_3repE0EEENS1_36merge_oddeven_config_static_selectorELNS0_4arch9wavefront6targetE1EEEvSJ_,@function
_ZN7rocprim17ROCPRIM_400000_NS6detail17trampoline_kernelINS0_14default_configENS1_38merge_sort_block_merge_config_selectorIssEEZZNS1_27merge_sort_block_merge_implIS3_N6thrust23THRUST_200600_302600_NS6detail15normal_iteratorINS8_10device_ptrIsEEEESD_jNS1_19radix_merge_compareILb0ELb1EsNS0_19identity_decomposerEEEEE10hipError_tT0_T1_T2_jT3_P12ihipStream_tbPNSt15iterator_traitsISI_E10value_typeEPNSO_ISJ_E10value_typeEPSK_NS1_7vsmem_tEENKUlT_SI_SJ_SK_E_clIPsSD_S10_SD_EESH_SX_SI_SJ_SK_EUlSX_E1_NS1_11comp_targetILNS1_3genE2ELNS1_11target_archE906ELNS1_3gpuE6ELNS1_3repE0EEENS1_36merge_oddeven_config_static_selectorELNS0_4arch9wavefront6targetE1EEEvSJ_: ; @_ZN7rocprim17ROCPRIM_400000_NS6detail17trampoline_kernelINS0_14default_configENS1_38merge_sort_block_merge_config_selectorIssEEZZNS1_27merge_sort_block_merge_implIS3_N6thrust23THRUST_200600_302600_NS6detail15normal_iteratorINS8_10device_ptrIsEEEESD_jNS1_19radix_merge_compareILb0ELb1EsNS0_19identity_decomposerEEEEE10hipError_tT0_T1_T2_jT3_P12ihipStream_tbPNSt15iterator_traitsISI_E10value_typeEPNSO_ISJ_E10value_typeEPSK_NS1_7vsmem_tEENKUlT_SI_SJ_SK_E_clIPsSD_S10_SD_EESH_SX_SI_SJ_SK_EUlSX_E1_NS1_11comp_targetILNS1_3genE2ELNS1_11target_archE906ELNS1_3gpuE6ELNS1_3repE0EEENS1_36merge_oddeven_config_static_selectorELNS0_4arch9wavefront6targetE1EEEvSJ_
; %bb.0:
	.section	.rodata,"a",@progbits
	.p2align	6, 0x0
	.amdhsa_kernel _ZN7rocprim17ROCPRIM_400000_NS6detail17trampoline_kernelINS0_14default_configENS1_38merge_sort_block_merge_config_selectorIssEEZZNS1_27merge_sort_block_merge_implIS3_N6thrust23THRUST_200600_302600_NS6detail15normal_iteratorINS8_10device_ptrIsEEEESD_jNS1_19radix_merge_compareILb0ELb1EsNS0_19identity_decomposerEEEEE10hipError_tT0_T1_T2_jT3_P12ihipStream_tbPNSt15iterator_traitsISI_E10value_typeEPNSO_ISJ_E10value_typeEPSK_NS1_7vsmem_tEENKUlT_SI_SJ_SK_E_clIPsSD_S10_SD_EESH_SX_SI_SJ_SK_EUlSX_E1_NS1_11comp_targetILNS1_3genE2ELNS1_11target_archE906ELNS1_3gpuE6ELNS1_3repE0EEENS1_36merge_oddeven_config_static_selectorELNS0_4arch9wavefront6targetE1EEEvSJ_
		.amdhsa_group_segment_fixed_size 0
		.amdhsa_private_segment_fixed_size 0
		.amdhsa_kernarg_size 48
		.amdhsa_user_sgpr_count 2
		.amdhsa_user_sgpr_dispatch_ptr 0
		.amdhsa_user_sgpr_queue_ptr 0
		.amdhsa_user_sgpr_kernarg_segment_ptr 1
		.amdhsa_user_sgpr_dispatch_id 0
		.amdhsa_user_sgpr_kernarg_preload_length 0
		.amdhsa_user_sgpr_kernarg_preload_offset 0
		.amdhsa_user_sgpr_private_segment_size 0
		.amdhsa_uses_dynamic_stack 0
		.amdhsa_enable_private_segment 0
		.amdhsa_system_sgpr_workgroup_id_x 1
		.amdhsa_system_sgpr_workgroup_id_y 0
		.amdhsa_system_sgpr_workgroup_id_z 0
		.amdhsa_system_sgpr_workgroup_info 0
		.amdhsa_system_vgpr_workitem_id 0
		.amdhsa_next_free_vgpr 1
		.amdhsa_next_free_sgpr 0
		.amdhsa_accum_offset 4
		.amdhsa_reserve_vcc 0
		.amdhsa_float_round_mode_32 0
		.amdhsa_float_round_mode_16_64 0
		.amdhsa_float_denorm_mode_32 3
		.amdhsa_float_denorm_mode_16_64 3
		.amdhsa_dx10_clamp 1
		.amdhsa_ieee_mode 1
		.amdhsa_fp16_overflow 0
		.amdhsa_tg_split 0
		.amdhsa_exception_fp_ieee_invalid_op 0
		.amdhsa_exception_fp_denorm_src 0
		.amdhsa_exception_fp_ieee_div_zero 0
		.amdhsa_exception_fp_ieee_overflow 0
		.amdhsa_exception_fp_ieee_underflow 0
		.amdhsa_exception_fp_ieee_inexact 0
		.amdhsa_exception_int_div_zero 0
	.end_amdhsa_kernel
	.section	.text._ZN7rocprim17ROCPRIM_400000_NS6detail17trampoline_kernelINS0_14default_configENS1_38merge_sort_block_merge_config_selectorIssEEZZNS1_27merge_sort_block_merge_implIS3_N6thrust23THRUST_200600_302600_NS6detail15normal_iteratorINS8_10device_ptrIsEEEESD_jNS1_19radix_merge_compareILb0ELb1EsNS0_19identity_decomposerEEEEE10hipError_tT0_T1_T2_jT3_P12ihipStream_tbPNSt15iterator_traitsISI_E10value_typeEPNSO_ISJ_E10value_typeEPSK_NS1_7vsmem_tEENKUlT_SI_SJ_SK_E_clIPsSD_S10_SD_EESH_SX_SI_SJ_SK_EUlSX_E1_NS1_11comp_targetILNS1_3genE2ELNS1_11target_archE906ELNS1_3gpuE6ELNS1_3repE0EEENS1_36merge_oddeven_config_static_selectorELNS0_4arch9wavefront6targetE1EEEvSJ_,"axG",@progbits,_ZN7rocprim17ROCPRIM_400000_NS6detail17trampoline_kernelINS0_14default_configENS1_38merge_sort_block_merge_config_selectorIssEEZZNS1_27merge_sort_block_merge_implIS3_N6thrust23THRUST_200600_302600_NS6detail15normal_iteratorINS8_10device_ptrIsEEEESD_jNS1_19radix_merge_compareILb0ELb1EsNS0_19identity_decomposerEEEEE10hipError_tT0_T1_T2_jT3_P12ihipStream_tbPNSt15iterator_traitsISI_E10value_typeEPNSO_ISJ_E10value_typeEPSK_NS1_7vsmem_tEENKUlT_SI_SJ_SK_E_clIPsSD_S10_SD_EESH_SX_SI_SJ_SK_EUlSX_E1_NS1_11comp_targetILNS1_3genE2ELNS1_11target_archE906ELNS1_3gpuE6ELNS1_3repE0EEENS1_36merge_oddeven_config_static_selectorELNS0_4arch9wavefront6targetE1EEEvSJ_,comdat
.Lfunc_end1588:
	.size	_ZN7rocprim17ROCPRIM_400000_NS6detail17trampoline_kernelINS0_14default_configENS1_38merge_sort_block_merge_config_selectorIssEEZZNS1_27merge_sort_block_merge_implIS3_N6thrust23THRUST_200600_302600_NS6detail15normal_iteratorINS8_10device_ptrIsEEEESD_jNS1_19radix_merge_compareILb0ELb1EsNS0_19identity_decomposerEEEEE10hipError_tT0_T1_T2_jT3_P12ihipStream_tbPNSt15iterator_traitsISI_E10value_typeEPNSO_ISJ_E10value_typeEPSK_NS1_7vsmem_tEENKUlT_SI_SJ_SK_E_clIPsSD_S10_SD_EESH_SX_SI_SJ_SK_EUlSX_E1_NS1_11comp_targetILNS1_3genE2ELNS1_11target_archE906ELNS1_3gpuE6ELNS1_3repE0EEENS1_36merge_oddeven_config_static_selectorELNS0_4arch9wavefront6targetE1EEEvSJ_, .Lfunc_end1588-_ZN7rocprim17ROCPRIM_400000_NS6detail17trampoline_kernelINS0_14default_configENS1_38merge_sort_block_merge_config_selectorIssEEZZNS1_27merge_sort_block_merge_implIS3_N6thrust23THRUST_200600_302600_NS6detail15normal_iteratorINS8_10device_ptrIsEEEESD_jNS1_19radix_merge_compareILb0ELb1EsNS0_19identity_decomposerEEEEE10hipError_tT0_T1_T2_jT3_P12ihipStream_tbPNSt15iterator_traitsISI_E10value_typeEPNSO_ISJ_E10value_typeEPSK_NS1_7vsmem_tEENKUlT_SI_SJ_SK_E_clIPsSD_S10_SD_EESH_SX_SI_SJ_SK_EUlSX_E1_NS1_11comp_targetILNS1_3genE2ELNS1_11target_archE906ELNS1_3gpuE6ELNS1_3repE0EEENS1_36merge_oddeven_config_static_selectorELNS0_4arch9wavefront6targetE1EEEvSJ_
                                        ; -- End function
	.set _ZN7rocprim17ROCPRIM_400000_NS6detail17trampoline_kernelINS0_14default_configENS1_38merge_sort_block_merge_config_selectorIssEEZZNS1_27merge_sort_block_merge_implIS3_N6thrust23THRUST_200600_302600_NS6detail15normal_iteratorINS8_10device_ptrIsEEEESD_jNS1_19radix_merge_compareILb0ELb1EsNS0_19identity_decomposerEEEEE10hipError_tT0_T1_T2_jT3_P12ihipStream_tbPNSt15iterator_traitsISI_E10value_typeEPNSO_ISJ_E10value_typeEPSK_NS1_7vsmem_tEENKUlT_SI_SJ_SK_E_clIPsSD_S10_SD_EESH_SX_SI_SJ_SK_EUlSX_E1_NS1_11comp_targetILNS1_3genE2ELNS1_11target_archE906ELNS1_3gpuE6ELNS1_3repE0EEENS1_36merge_oddeven_config_static_selectorELNS0_4arch9wavefront6targetE1EEEvSJ_.num_vgpr, 0
	.set _ZN7rocprim17ROCPRIM_400000_NS6detail17trampoline_kernelINS0_14default_configENS1_38merge_sort_block_merge_config_selectorIssEEZZNS1_27merge_sort_block_merge_implIS3_N6thrust23THRUST_200600_302600_NS6detail15normal_iteratorINS8_10device_ptrIsEEEESD_jNS1_19radix_merge_compareILb0ELb1EsNS0_19identity_decomposerEEEEE10hipError_tT0_T1_T2_jT3_P12ihipStream_tbPNSt15iterator_traitsISI_E10value_typeEPNSO_ISJ_E10value_typeEPSK_NS1_7vsmem_tEENKUlT_SI_SJ_SK_E_clIPsSD_S10_SD_EESH_SX_SI_SJ_SK_EUlSX_E1_NS1_11comp_targetILNS1_3genE2ELNS1_11target_archE906ELNS1_3gpuE6ELNS1_3repE0EEENS1_36merge_oddeven_config_static_selectorELNS0_4arch9wavefront6targetE1EEEvSJ_.num_agpr, 0
	.set _ZN7rocprim17ROCPRIM_400000_NS6detail17trampoline_kernelINS0_14default_configENS1_38merge_sort_block_merge_config_selectorIssEEZZNS1_27merge_sort_block_merge_implIS3_N6thrust23THRUST_200600_302600_NS6detail15normal_iteratorINS8_10device_ptrIsEEEESD_jNS1_19radix_merge_compareILb0ELb1EsNS0_19identity_decomposerEEEEE10hipError_tT0_T1_T2_jT3_P12ihipStream_tbPNSt15iterator_traitsISI_E10value_typeEPNSO_ISJ_E10value_typeEPSK_NS1_7vsmem_tEENKUlT_SI_SJ_SK_E_clIPsSD_S10_SD_EESH_SX_SI_SJ_SK_EUlSX_E1_NS1_11comp_targetILNS1_3genE2ELNS1_11target_archE906ELNS1_3gpuE6ELNS1_3repE0EEENS1_36merge_oddeven_config_static_selectorELNS0_4arch9wavefront6targetE1EEEvSJ_.numbered_sgpr, 0
	.set _ZN7rocprim17ROCPRIM_400000_NS6detail17trampoline_kernelINS0_14default_configENS1_38merge_sort_block_merge_config_selectorIssEEZZNS1_27merge_sort_block_merge_implIS3_N6thrust23THRUST_200600_302600_NS6detail15normal_iteratorINS8_10device_ptrIsEEEESD_jNS1_19radix_merge_compareILb0ELb1EsNS0_19identity_decomposerEEEEE10hipError_tT0_T1_T2_jT3_P12ihipStream_tbPNSt15iterator_traitsISI_E10value_typeEPNSO_ISJ_E10value_typeEPSK_NS1_7vsmem_tEENKUlT_SI_SJ_SK_E_clIPsSD_S10_SD_EESH_SX_SI_SJ_SK_EUlSX_E1_NS1_11comp_targetILNS1_3genE2ELNS1_11target_archE906ELNS1_3gpuE6ELNS1_3repE0EEENS1_36merge_oddeven_config_static_selectorELNS0_4arch9wavefront6targetE1EEEvSJ_.num_named_barrier, 0
	.set _ZN7rocprim17ROCPRIM_400000_NS6detail17trampoline_kernelINS0_14default_configENS1_38merge_sort_block_merge_config_selectorIssEEZZNS1_27merge_sort_block_merge_implIS3_N6thrust23THRUST_200600_302600_NS6detail15normal_iteratorINS8_10device_ptrIsEEEESD_jNS1_19radix_merge_compareILb0ELb1EsNS0_19identity_decomposerEEEEE10hipError_tT0_T1_T2_jT3_P12ihipStream_tbPNSt15iterator_traitsISI_E10value_typeEPNSO_ISJ_E10value_typeEPSK_NS1_7vsmem_tEENKUlT_SI_SJ_SK_E_clIPsSD_S10_SD_EESH_SX_SI_SJ_SK_EUlSX_E1_NS1_11comp_targetILNS1_3genE2ELNS1_11target_archE906ELNS1_3gpuE6ELNS1_3repE0EEENS1_36merge_oddeven_config_static_selectorELNS0_4arch9wavefront6targetE1EEEvSJ_.private_seg_size, 0
	.set _ZN7rocprim17ROCPRIM_400000_NS6detail17trampoline_kernelINS0_14default_configENS1_38merge_sort_block_merge_config_selectorIssEEZZNS1_27merge_sort_block_merge_implIS3_N6thrust23THRUST_200600_302600_NS6detail15normal_iteratorINS8_10device_ptrIsEEEESD_jNS1_19radix_merge_compareILb0ELb1EsNS0_19identity_decomposerEEEEE10hipError_tT0_T1_T2_jT3_P12ihipStream_tbPNSt15iterator_traitsISI_E10value_typeEPNSO_ISJ_E10value_typeEPSK_NS1_7vsmem_tEENKUlT_SI_SJ_SK_E_clIPsSD_S10_SD_EESH_SX_SI_SJ_SK_EUlSX_E1_NS1_11comp_targetILNS1_3genE2ELNS1_11target_archE906ELNS1_3gpuE6ELNS1_3repE0EEENS1_36merge_oddeven_config_static_selectorELNS0_4arch9wavefront6targetE1EEEvSJ_.uses_vcc, 0
	.set _ZN7rocprim17ROCPRIM_400000_NS6detail17trampoline_kernelINS0_14default_configENS1_38merge_sort_block_merge_config_selectorIssEEZZNS1_27merge_sort_block_merge_implIS3_N6thrust23THRUST_200600_302600_NS6detail15normal_iteratorINS8_10device_ptrIsEEEESD_jNS1_19radix_merge_compareILb0ELb1EsNS0_19identity_decomposerEEEEE10hipError_tT0_T1_T2_jT3_P12ihipStream_tbPNSt15iterator_traitsISI_E10value_typeEPNSO_ISJ_E10value_typeEPSK_NS1_7vsmem_tEENKUlT_SI_SJ_SK_E_clIPsSD_S10_SD_EESH_SX_SI_SJ_SK_EUlSX_E1_NS1_11comp_targetILNS1_3genE2ELNS1_11target_archE906ELNS1_3gpuE6ELNS1_3repE0EEENS1_36merge_oddeven_config_static_selectorELNS0_4arch9wavefront6targetE1EEEvSJ_.uses_flat_scratch, 0
	.set _ZN7rocprim17ROCPRIM_400000_NS6detail17trampoline_kernelINS0_14default_configENS1_38merge_sort_block_merge_config_selectorIssEEZZNS1_27merge_sort_block_merge_implIS3_N6thrust23THRUST_200600_302600_NS6detail15normal_iteratorINS8_10device_ptrIsEEEESD_jNS1_19radix_merge_compareILb0ELb1EsNS0_19identity_decomposerEEEEE10hipError_tT0_T1_T2_jT3_P12ihipStream_tbPNSt15iterator_traitsISI_E10value_typeEPNSO_ISJ_E10value_typeEPSK_NS1_7vsmem_tEENKUlT_SI_SJ_SK_E_clIPsSD_S10_SD_EESH_SX_SI_SJ_SK_EUlSX_E1_NS1_11comp_targetILNS1_3genE2ELNS1_11target_archE906ELNS1_3gpuE6ELNS1_3repE0EEENS1_36merge_oddeven_config_static_selectorELNS0_4arch9wavefront6targetE1EEEvSJ_.has_dyn_sized_stack, 0
	.set _ZN7rocprim17ROCPRIM_400000_NS6detail17trampoline_kernelINS0_14default_configENS1_38merge_sort_block_merge_config_selectorIssEEZZNS1_27merge_sort_block_merge_implIS3_N6thrust23THRUST_200600_302600_NS6detail15normal_iteratorINS8_10device_ptrIsEEEESD_jNS1_19radix_merge_compareILb0ELb1EsNS0_19identity_decomposerEEEEE10hipError_tT0_T1_T2_jT3_P12ihipStream_tbPNSt15iterator_traitsISI_E10value_typeEPNSO_ISJ_E10value_typeEPSK_NS1_7vsmem_tEENKUlT_SI_SJ_SK_E_clIPsSD_S10_SD_EESH_SX_SI_SJ_SK_EUlSX_E1_NS1_11comp_targetILNS1_3genE2ELNS1_11target_archE906ELNS1_3gpuE6ELNS1_3repE0EEENS1_36merge_oddeven_config_static_selectorELNS0_4arch9wavefront6targetE1EEEvSJ_.has_recursion, 0
	.set _ZN7rocprim17ROCPRIM_400000_NS6detail17trampoline_kernelINS0_14default_configENS1_38merge_sort_block_merge_config_selectorIssEEZZNS1_27merge_sort_block_merge_implIS3_N6thrust23THRUST_200600_302600_NS6detail15normal_iteratorINS8_10device_ptrIsEEEESD_jNS1_19radix_merge_compareILb0ELb1EsNS0_19identity_decomposerEEEEE10hipError_tT0_T1_T2_jT3_P12ihipStream_tbPNSt15iterator_traitsISI_E10value_typeEPNSO_ISJ_E10value_typeEPSK_NS1_7vsmem_tEENKUlT_SI_SJ_SK_E_clIPsSD_S10_SD_EESH_SX_SI_SJ_SK_EUlSX_E1_NS1_11comp_targetILNS1_3genE2ELNS1_11target_archE906ELNS1_3gpuE6ELNS1_3repE0EEENS1_36merge_oddeven_config_static_selectorELNS0_4arch9wavefront6targetE1EEEvSJ_.has_indirect_call, 0
	.section	.AMDGPU.csdata,"",@progbits
; Kernel info:
; codeLenInByte = 0
; TotalNumSgprs: 6
; NumVgprs: 0
; NumAgprs: 0
; TotalNumVgprs: 0
; ScratchSize: 0
; MemoryBound: 0
; FloatMode: 240
; IeeeMode: 1
; LDSByteSize: 0 bytes/workgroup (compile time only)
; SGPRBlocks: 0
; VGPRBlocks: 0
; NumSGPRsForWavesPerEU: 6
; NumVGPRsForWavesPerEU: 1
; AccumOffset: 4
; Occupancy: 8
; WaveLimiterHint : 0
; COMPUTE_PGM_RSRC2:SCRATCH_EN: 0
; COMPUTE_PGM_RSRC2:USER_SGPR: 2
; COMPUTE_PGM_RSRC2:TRAP_HANDLER: 0
; COMPUTE_PGM_RSRC2:TGID_X_EN: 1
; COMPUTE_PGM_RSRC2:TGID_Y_EN: 0
; COMPUTE_PGM_RSRC2:TGID_Z_EN: 0
; COMPUTE_PGM_RSRC2:TIDIG_COMP_CNT: 0
; COMPUTE_PGM_RSRC3_GFX90A:ACCUM_OFFSET: 0
; COMPUTE_PGM_RSRC3_GFX90A:TG_SPLIT: 0
	.section	.text._ZN7rocprim17ROCPRIM_400000_NS6detail17trampoline_kernelINS0_14default_configENS1_38merge_sort_block_merge_config_selectorIssEEZZNS1_27merge_sort_block_merge_implIS3_N6thrust23THRUST_200600_302600_NS6detail15normal_iteratorINS8_10device_ptrIsEEEESD_jNS1_19radix_merge_compareILb0ELb1EsNS0_19identity_decomposerEEEEE10hipError_tT0_T1_T2_jT3_P12ihipStream_tbPNSt15iterator_traitsISI_E10value_typeEPNSO_ISJ_E10value_typeEPSK_NS1_7vsmem_tEENKUlT_SI_SJ_SK_E_clIPsSD_S10_SD_EESH_SX_SI_SJ_SK_EUlSX_E1_NS1_11comp_targetILNS1_3genE9ELNS1_11target_archE1100ELNS1_3gpuE3ELNS1_3repE0EEENS1_36merge_oddeven_config_static_selectorELNS0_4arch9wavefront6targetE1EEEvSJ_,"axG",@progbits,_ZN7rocprim17ROCPRIM_400000_NS6detail17trampoline_kernelINS0_14default_configENS1_38merge_sort_block_merge_config_selectorIssEEZZNS1_27merge_sort_block_merge_implIS3_N6thrust23THRUST_200600_302600_NS6detail15normal_iteratorINS8_10device_ptrIsEEEESD_jNS1_19radix_merge_compareILb0ELb1EsNS0_19identity_decomposerEEEEE10hipError_tT0_T1_T2_jT3_P12ihipStream_tbPNSt15iterator_traitsISI_E10value_typeEPNSO_ISJ_E10value_typeEPSK_NS1_7vsmem_tEENKUlT_SI_SJ_SK_E_clIPsSD_S10_SD_EESH_SX_SI_SJ_SK_EUlSX_E1_NS1_11comp_targetILNS1_3genE9ELNS1_11target_archE1100ELNS1_3gpuE3ELNS1_3repE0EEENS1_36merge_oddeven_config_static_selectorELNS0_4arch9wavefront6targetE1EEEvSJ_,comdat
	.protected	_ZN7rocprim17ROCPRIM_400000_NS6detail17trampoline_kernelINS0_14default_configENS1_38merge_sort_block_merge_config_selectorIssEEZZNS1_27merge_sort_block_merge_implIS3_N6thrust23THRUST_200600_302600_NS6detail15normal_iteratorINS8_10device_ptrIsEEEESD_jNS1_19radix_merge_compareILb0ELb1EsNS0_19identity_decomposerEEEEE10hipError_tT0_T1_T2_jT3_P12ihipStream_tbPNSt15iterator_traitsISI_E10value_typeEPNSO_ISJ_E10value_typeEPSK_NS1_7vsmem_tEENKUlT_SI_SJ_SK_E_clIPsSD_S10_SD_EESH_SX_SI_SJ_SK_EUlSX_E1_NS1_11comp_targetILNS1_3genE9ELNS1_11target_archE1100ELNS1_3gpuE3ELNS1_3repE0EEENS1_36merge_oddeven_config_static_selectorELNS0_4arch9wavefront6targetE1EEEvSJ_ ; -- Begin function _ZN7rocprim17ROCPRIM_400000_NS6detail17trampoline_kernelINS0_14default_configENS1_38merge_sort_block_merge_config_selectorIssEEZZNS1_27merge_sort_block_merge_implIS3_N6thrust23THRUST_200600_302600_NS6detail15normal_iteratorINS8_10device_ptrIsEEEESD_jNS1_19radix_merge_compareILb0ELb1EsNS0_19identity_decomposerEEEEE10hipError_tT0_T1_T2_jT3_P12ihipStream_tbPNSt15iterator_traitsISI_E10value_typeEPNSO_ISJ_E10value_typeEPSK_NS1_7vsmem_tEENKUlT_SI_SJ_SK_E_clIPsSD_S10_SD_EESH_SX_SI_SJ_SK_EUlSX_E1_NS1_11comp_targetILNS1_3genE9ELNS1_11target_archE1100ELNS1_3gpuE3ELNS1_3repE0EEENS1_36merge_oddeven_config_static_selectorELNS0_4arch9wavefront6targetE1EEEvSJ_
	.globl	_ZN7rocprim17ROCPRIM_400000_NS6detail17trampoline_kernelINS0_14default_configENS1_38merge_sort_block_merge_config_selectorIssEEZZNS1_27merge_sort_block_merge_implIS3_N6thrust23THRUST_200600_302600_NS6detail15normal_iteratorINS8_10device_ptrIsEEEESD_jNS1_19radix_merge_compareILb0ELb1EsNS0_19identity_decomposerEEEEE10hipError_tT0_T1_T2_jT3_P12ihipStream_tbPNSt15iterator_traitsISI_E10value_typeEPNSO_ISJ_E10value_typeEPSK_NS1_7vsmem_tEENKUlT_SI_SJ_SK_E_clIPsSD_S10_SD_EESH_SX_SI_SJ_SK_EUlSX_E1_NS1_11comp_targetILNS1_3genE9ELNS1_11target_archE1100ELNS1_3gpuE3ELNS1_3repE0EEENS1_36merge_oddeven_config_static_selectorELNS0_4arch9wavefront6targetE1EEEvSJ_
	.p2align	8
	.type	_ZN7rocprim17ROCPRIM_400000_NS6detail17trampoline_kernelINS0_14default_configENS1_38merge_sort_block_merge_config_selectorIssEEZZNS1_27merge_sort_block_merge_implIS3_N6thrust23THRUST_200600_302600_NS6detail15normal_iteratorINS8_10device_ptrIsEEEESD_jNS1_19radix_merge_compareILb0ELb1EsNS0_19identity_decomposerEEEEE10hipError_tT0_T1_T2_jT3_P12ihipStream_tbPNSt15iterator_traitsISI_E10value_typeEPNSO_ISJ_E10value_typeEPSK_NS1_7vsmem_tEENKUlT_SI_SJ_SK_E_clIPsSD_S10_SD_EESH_SX_SI_SJ_SK_EUlSX_E1_NS1_11comp_targetILNS1_3genE9ELNS1_11target_archE1100ELNS1_3gpuE3ELNS1_3repE0EEENS1_36merge_oddeven_config_static_selectorELNS0_4arch9wavefront6targetE1EEEvSJ_,@function
_ZN7rocprim17ROCPRIM_400000_NS6detail17trampoline_kernelINS0_14default_configENS1_38merge_sort_block_merge_config_selectorIssEEZZNS1_27merge_sort_block_merge_implIS3_N6thrust23THRUST_200600_302600_NS6detail15normal_iteratorINS8_10device_ptrIsEEEESD_jNS1_19radix_merge_compareILb0ELb1EsNS0_19identity_decomposerEEEEE10hipError_tT0_T1_T2_jT3_P12ihipStream_tbPNSt15iterator_traitsISI_E10value_typeEPNSO_ISJ_E10value_typeEPSK_NS1_7vsmem_tEENKUlT_SI_SJ_SK_E_clIPsSD_S10_SD_EESH_SX_SI_SJ_SK_EUlSX_E1_NS1_11comp_targetILNS1_3genE9ELNS1_11target_archE1100ELNS1_3gpuE3ELNS1_3repE0EEENS1_36merge_oddeven_config_static_selectorELNS0_4arch9wavefront6targetE1EEEvSJ_: ; @_ZN7rocprim17ROCPRIM_400000_NS6detail17trampoline_kernelINS0_14default_configENS1_38merge_sort_block_merge_config_selectorIssEEZZNS1_27merge_sort_block_merge_implIS3_N6thrust23THRUST_200600_302600_NS6detail15normal_iteratorINS8_10device_ptrIsEEEESD_jNS1_19radix_merge_compareILb0ELb1EsNS0_19identity_decomposerEEEEE10hipError_tT0_T1_T2_jT3_P12ihipStream_tbPNSt15iterator_traitsISI_E10value_typeEPNSO_ISJ_E10value_typeEPSK_NS1_7vsmem_tEENKUlT_SI_SJ_SK_E_clIPsSD_S10_SD_EESH_SX_SI_SJ_SK_EUlSX_E1_NS1_11comp_targetILNS1_3genE9ELNS1_11target_archE1100ELNS1_3gpuE3ELNS1_3repE0EEENS1_36merge_oddeven_config_static_selectorELNS0_4arch9wavefront6targetE1EEEvSJ_
; %bb.0:
	.section	.rodata,"a",@progbits
	.p2align	6, 0x0
	.amdhsa_kernel _ZN7rocprim17ROCPRIM_400000_NS6detail17trampoline_kernelINS0_14default_configENS1_38merge_sort_block_merge_config_selectorIssEEZZNS1_27merge_sort_block_merge_implIS3_N6thrust23THRUST_200600_302600_NS6detail15normal_iteratorINS8_10device_ptrIsEEEESD_jNS1_19radix_merge_compareILb0ELb1EsNS0_19identity_decomposerEEEEE10hipError_tT0_T1_T2_jT3_P12ihipStream_tbPNSt15iterator_traitsISI_E10value_typeEPNSO_ISJ_E10value_typeEPSK_NS1_7vsmem_tEENKUlT_SI_SJ_SK_E_clIPsSD_S10_SD_EESH_SX_SI_SJ_SK_EUlSX_E1_NS1_11comp_targetILNS1_3genE9ELNS1_11target_archE1100ELNS1_3gpuE3ELNS1_3repE0EEENS1_36merge_oddeven_config_static_selectorELNS0_4arch9wavefront6targetE1EEEvSJ_
		.amdhsa_group_segment_fixed_size 0
		.amdhsa_private_segment_fixed_size 0
		.amdhsa_kernarg_size 48
		.amdhsa_user_sgpr_count 2
		.amdhsa_user_sgpr_dispatch_ptr 0
		.amdhsa_user_sgpr_queue_ptr 0
		.amdhsa_user_sgpr_kernarg_segment_ptr 1
		.amdhsa_user_sgpr_dispatch_id 0
		.amdhsa_user_sgpr_kernarg_preload_length 0
		.amdhsa_user_sgpr_kernarg_preload_offset 0
		.amdhsa_user_sgpr_private_segment_size 0
		.amdhsa_uses_dynamic_stack 0
		.amdhsa_enable_private_segment 0
		.amdhsa_system_sgpr_workgroup_id_x 1
		.amdhsa_system_sgpr_workgroup_id_y 0
		.amdhsa_system_sgpr_workgroup_id_z 0
		.amdhsa_system_sgpr_workgroup_info 0
		.amdhsa_system_vgpr_workitem_id 0
		.amdhsa_next_free_vgpr 1
		.amdhsa_next_free_sgpr 0
		.amdhsa_accum_offset 4
		.amdhsa_reserve_vcc 0
		.amdhsa_float_round_mode_32 0
		.amdhsa_float_round_mode_16_64 0
		.amdhsa_float_denorm_mode_32 3
		.amdhsa_float_denorm_mode_16_64 3
		.amdhsa_dx10_clamp 1
		.amdhsa_ieee_mode 1
		.amdhsa_fp16_overflow 0
		.amdhsa_tg_split 0
		.amdhsa_exception_fp_ieee_invalid_op 0
		.amdhsa_exception_fp_denorm_src 0
		.amdhsa_exception_fp_ieee_div_zero 0
		.amdhsa_exception_fp_ieee_overflow 0
		.amdhsa_exception_fp_ieee_underflow 0
		.amdhsa_exception_fp_ieee_inexact 0
		.amdhsa_exception_int_div_zero 0
	.end_amdhsa_kernel
	.section	.text._ZN7rocprim17ROCPRIM_400000_NS6detail17trampoline_kernelINS0_14default_configENS1_38merge_sort_block_merge_config_selectorIssEEZZNS1_27merge_sort_block_merge_implIS3_N6thrust23THRUST_200600_302600_NS6detail15normal_iteratorINS8_10device_ptrIsEEEESD_jNS1_19radix_merge_compareILb0ELb1EsNS0_19identity_decomposerEEEEE10hipError_tT0_T1_T2_jT3_P12ihipStream_tbPNSt15iterator_traitsISI_E10value_typeEPNSO_ISJ_E10value_typeEPSK_NS1_7vsmem_tEENKUlT_SI_SJ_SK_E_clIPsSD_S10_SD_EESH_SX_SI_SJ_SK_EUlSX_E1_NS1_11comp_targetILNS1_3genE9ELNS1_11target_archE1100ELNS1_3gpuE3ELNS1_3repE0EEENS1_36merge_oddeven_config_static_selectorELNS0_4arch9wavefront6targetE1EEEvSJ_,"axG",@progbits,_ZN7rocprim17ROCPRIM_400000_NS6detail17trampoline_kernelINS0_14default_configENS1_38merge_sort_block_merge_config_selectorIssEEZZNS1_27merge_sort_block_merge_implIS3_N6thrust23THRUST_200600_302600_NS6detail15normal_iteratorINS8_10device_ptrIsEEEESD_jNS1_19radix_merge_compareILb0ELb1EsNS0_19identity_decomposerEEEEE10hipError_tT0_T1_T2_jT3_P12ihipStream_tbPNSt15iterator_traitsISI_E10value_typeEPNSO_ISJ_E10value_typeEPSK_NS1_7vsmem_tEENKUlT_SI_SJ_SK_E_clIPsSD_S10_SD_EESH_SX_SI_SJ_SK_EUlSX_E1_NS1_11comp_targetILNS1_3genE9ELNS1_11target_archE1100ELNS1_3gpuE3ELNS1_3repE0EEENS1_36merge_oddeven_config_static_selectorELNS0_4arch9wavefront6targetE1EEEvSJ_,comdat
.Lfunc_end1589:
	.size	_ZN7rocprim17ROCPRIM_400000_NS6detail17trampoline_kernelINS0_14default_configENS1_38merge_sort_block_merge_config_selectorIssEEZZNS1_27merge_sort_block_merge_implIS3_N6thrust23THRUST_200600_302600_NS6detail15normal_iteratorINS8_10device_ptrIsEEEESD_jNS1_19radix_merge_compareILb0ELb1EsNS0_19identity_decomposerEEEEE10hipError_tT0_T1_T2_jT3_P12ihipStream_tbPNSt15iterator_traitsISI_E10value_typeEPNSO_ISJ_E10value_typeEPSK_NS1_7vsmem_tEENKUlT_SI_SJ_SK_E_clIPsSD_S10_SD_EESH_SX_SI_SJ_SK_EUlSX_E1_NS1_11comp_targetILNS1_3genE9ELNS1_11target_archE1100ELNS1_3gpuE3ELNS1_3repE0EEENS1_36merge_oddeven_config_static_selectorELNS0_4arch9wavefront6targetE1EEEvSJ_, .Lfunc_end1589-_ZN7rocprim17ROCPRIM_400000_NS6detail17trampoline_kernelINS0_14default_configENS1_38merge_sort_block_merge_config_selectorIssEEZZNS1_27merge_sort_block_merge_implIS3_N6thrust23THRUST_200600_302600_NS6detail15normal_iteratorINS8_10device_ptrIsEEEESD_jNS1_19radix_merge_compareILb0ELb1EsNS0_19identity_decomposerEEEEE10hipError_tT0_T1_T2_jT3_P12ihipStream_tbPNSt15iterator_traitsISI_E10value_typeEPNSO_ISJ_E10value_typeEPSK_NS1_7vsmem_tEENKUlT_SI_SJ_SK_E_clIPsSD_S10_SD_EESH_SX_SI_SJ_SK_EUlSX_E1_NS1_11comp_targetILNS1_3genE9ELNS1_11target_archE1100ELNS1_3gpuE3ELNS1_3repE0EEENS1_36merge_oddeven_config_static_selectorELNS0_4arch9wavefront6targetE1EEEvSJ_
                                        ; -- End function
	.set _ZN7rocprim17ROCPRIM_400000_NS6detail17trampoline_kernelINS0_14default_configENS1_38merge_sort_block_merge_config_selectorIssEEZZNS1_27merge_sort_block_merge_implIS3_N6thrust23THRUST_200600_302600_NS6detail15normal_iteratorINS8_10device_ptrIsEEEESD_jNS1_19radix_merge_compareILb0ELb1EsNS0_19identity_decomposerEEEEE10hipError_tT0_T1_T2_jT3_P12ihipStream_tbPNSt15iterator_traitsISI_E10value_typeEPNSO_ISJ_E10value_typeEPSK_NS1_7vsmem_tEENKUlT_SI_SJ_SK_E_clIPsSD_S10_SD_EESH_SX_SI_SJ_SK_EUlSX_E1_NS1_11comp_targetILNS1_3genE9ELNS1_11target_archE1100ELNS1_3gpuE3ELNS1_3repE0EEENS1_36merge_oddeven_config_static_selectorELNS0_4arch9wavefront6targetE1EEEvSJ_.num_vgpr, 0
	.set _ZN7rocprim17ROCPRIM_400000_NS6detail17trampoline_kernelINS0_14default_configENS1_38merge_sort_block_merge_config_selectorIssEEZZNS1_27merge_sort_block_merge_implIS3_N6thrust23THRUST_200600_302600_NS6detail15normal_iteratorINS8_10device_ptrIsEEEESD_jNS1_19radix_merge_compareILb0ELb1EsNS0_19identity_decomposerEEEEE10hipError_tT0_T1_T2_jT3_P12ihipStream_tbPNSt15iterator_traitsISI_E10value_typeEPNSO_ISJ_E10value_typeEPSK_NS1_7vsmem_tEENKUlT_SI_SJ_SK_E_clIPsSD_S10_SD_EESH_SX_SI_SJ_SK_EUlSX_E1_NS1_11comp_targetILNS1_3genE9ELNS1_11target_archE1100ELNS1_3gpuE3ELNS1_3repE0EEENS1_36merge_oddeven_config_static_selectorELNS0_4arch9wavefront6targetE1EEEvSJ_.num_agpr, 0
	.set _ZN7rocprim17ROCPRIM_400000_NS6detail17trampoline_kernelINS0_14default_configENS1_38merge_sort_block_merge_config_selectorIssEEZZNS1_27merge_sort_block_merge_implIS3_N6thrust23THRUST_200600_302600_NS6detail15normal_iteratorINS8_10device_ptrIsEEEESD_jNS1_19radix_merge_compareILb0ELb1EsNS0_19identity_decomposerEEEEE10hipError_tT0_T1_T2_jT3_P12ihipStream_tbPNSt15iterator_traitsISI_E10value_typeEPNSO_ISJ_E10value_typeEPSK_NS1_7vsmem_tEENKUlT_SI_SJ_SK_E_clIPsSD_S10_SD_EESH_SX_SI_SJ_SK_EUlSX_E1_NS1_11comp_targetILNS1_3genE9ELNS1_11target_archE1100ELNS1_3gpuE3ELNS1_3repE0EEENS1_36merge_oddeven_config_static_selectorELNS0_4arch9wavefront6targetE1EEEvSJ_.numbered_sgpr, 0
	.set _ZN7rocprim17ROCPRIM_400000_NS6detail17trampoline_kernelINS0_14default_configENS1_38merge_sort_block_merge_config_selectorIssEEZZNS1_27merge_sort_block_merge_implIS3_N6thrust23THRUST_200600_302600_NS6detail15normal_iteratorINS8_10device_ptrIsEEEESD_jNS1_19radix_merge_compareILb0ELb1EsNS0_19identity_decomposerEEEEE10hipError_tT0_T1_T2_jT3_P12ihipStream_tbPNSt15iterator_traitsISI_E10value_typeEPNSO_ISJ_E10value_typeEPSK_NS1_7vsmem_tEENKUlT_SI_SJ_SK_E_clIPsSD_S10_SD_EESH_SX_SI_SJ_SK_EUlSX_E1_NS1_11comp_targetILNS1_3genE9ELNS1_11target_archE1100ELNS1_3gpuE3ELNS1_3repE0EEENS1_36merge_oddeven_config_static_selectorELNS0_4arch9wavefront6targetE1EEEvSJ_.num_named_barrier, 0
	.set _ZN7rocprim17ROCPRIM_400000_NS6detail17trampoline_kernelINS0_14default_configENS1_38merge_sort_block_merge_config_selectorIssEEZZNS1_27merge_sort_block_merge_implIS3_N6thrust23THRUST_200600_302600_NS6detail15normal_iteratorINS8_10device_ptrIsEEEESD_jNS1_19radix_merge_compareILb0ELb1EsNS0_19identity_decomposerEEEEE10hipError_tT0_T1_T2_jT3_P12ihipStream_tbPNSt15iterator_traitsISI_E10value_typeEPNSO_ISJ_E10value_typeEPSK_NS1_7vsmem_tEENKUlT_SI_SJ_SK_E_clIPsSD_S10_SD_EESH_SX_SI_SJ_SK_EUlSX_E1_NS1_11comp_targetILNS1_3genE9ELNS1_11target_archE1100ELNS1_3gpuE3ELNS1_3repE0EEENS1_36merge_oddeven_config_static_selectorELNS0_4arch9wavefront6targetE1EEEvSJ_.private_seg_size, 0
	.set _ZN7rocprim17ROCPRIM_400000_NS6detail17trampoline_kernelINS0_14default_configENS1_38merge_sort_block_merge_config_selectorIssEEZZNS1_27merge_sort_block_merge_implIS3_N6thrust23THRUST_200600_302600_NS6detail15normal_iteratorINS8_10device_ptrIsEEEESD_jNS1_19radix_merge_compareILb0ELb1EsNS0_19identity_decomposerEEEEE10hipError_tT0_T1_T2_jT3_P12ihipStream_tbPNSt15iterator_traitsISI_E10value_typeEPNSO_ISJ_E10value_typeEPSK_NS1_7vsmem_tEENKUlT_SI_SJ_SK_E_clIPsSD_S10_SD_EESH_SX_SI_SJ_SK_EUlSX_E1_NS1_11comp_targetILNS1_3genE9ELNS1_11target_archE1100ELNS1_3gpuE3ELNS1_3repE0EEENS1_36merge_oddeven_config_static_selectorELNS0_4arch9wavefront6targetE1EEEvSJ_.uses_vcc, 0
	.set _ZN7rocprim17ROCPRIM_400000_NS6detail17trampoline_kernelINS0_14default_configENS1_38merge_sort_block_merge_config_selectorIssEEZZNS1_27merge_sort_block_merge_implIS3_N6thrust23THRUST_200600_302600_NS6detail15normal_iteratorINS8_10device_ptrIsEEEESD_jNS1_19radix_merge_compareILb0ELb1EsNS0_19identity_decomposerEEEEE10hipError_tT0_T1_T2_jT3_P12ihipStream_tbPNSt15iterator_traitsISI_E10value_typeEPNSO_ISJ_E10value_typeEPSK_NS1_7vsmem_tEENKUlT_SI_SJ_SK_E_clIPsSD_S10_SD_EESH_SX_SI_SJ_SK_EUlSX_E1_NS1_11comp_targetILNS1_3genE9ELNS1_11target_archE1100ELNS1_3gpuE3ELNS1_3repE0EEENS1_36merge_oddeven_config_static_selectorELNS0_4arch9wavefront6targetE1EEEvSJ_.uses_flat_scratch, 0
	.set _ZN7rocprim17ROCPRIM_400000_NS6detail17trampoline_kernelINS0_14default_configENS1_38merge_sort_block_merge_config_selectorIssEEZZNS1_27merge_sort_block_merge_implIS3_N6thrust23THRUST_200600_302600_NS6detail15normal_iteratorINS8_10device_ptrIsEEEESD_jNS1_19radix_merge_compareILb0ELb1EsNS0_19identity_decomposerEEEEE10hipError_tT0_T1_T2_jT3_P12ihipStream_tbPNSt15iterator_traitsISI_E10value_typeEPNSO_ISJ_E10value_typeEPSK_NS1_7vsmem_tEENKUlT_SI_SJ_SK_E_clIPsSD_S10_SD_EESH_SX_SI_SJ_SK_EUlSX_E1_NS1_11comp_targetILNS1_3genE9ELNS1_11target_archE1100ELNS1_3gpuE3ELNS1_3repE0EEENS1_36merge_oddeven_config_static_selectorELNS0_4arch9wavefront6targetE1EEEvSJ_.has_dyn_sized_stack, 0
	.set _ZN7rocprim17ROCPRIM_400000_NS6detail17trampoline_kernelINS0_14default_configENS1_38merge_sort_block_merge_config_selectorIssEEZZNS1_27merge_sort_block_merge_implIS3_N6thrust23THRUST_200600_302600_NS6detail15normal_iteratorINS8_10device_ptrIsEEEESD_jNS1_19radix_merge_compareILb0ELb1EsNS0_19identity_decomposerEEEEE10hipError_tT0_T1_T2_jT3_P12ihipStream_tbPNSt15iterator_traitsISI_E10value_typeEPNSO_ISJ_E10value_typeEPSK_NS1_7vsmem_tEENKUlT_SI_SJ_SK_E_clIPsSD_S10_SD_EESH_SX_SI_SJ_SK_EUlSX_E1_NS1_11comp_targetILNS1_3genE9ELNS1_11target_archE1100ELNS1_3gpuE3ELNS1_3repE0EEENS1_36merge_oddeven_config_static_selectorELNS0_4arch9wavefront6targetE1EEEvSJ_.has_recursion, 0
	.set _ZN7rocprim17ROCPRIM_400000_NS6detail17trampoline_kernelINS0_14default_configENS1_38merge_sort_block_merge_config_selectorIssEEZZNS1_27merge_sort_block_merge_implIS3_N6thrust23THRUST_200600_302600_NS6detail15normal_iteratorINS8_10device_ptrIsEEEESD_jNS1_19radix_merge_compareILb0ELb1EsNS0_19identity_decomposerEEEEE10hipError_tT0_T1_T2_jT3_P12ihipStream_tbPNSt15iterator_traitsISI_E10value_typeEPNSO_ISJ_E10value_typeEPSK_NS1_7vsmem_tEENKUlT_SI_SJ_SK_E_clIPsSD_S10_SD_EESH_SX_SI_SJ_SK_EUlSX_E1_NS1_11comp_targetILNS1_3genE9ELNS1_11target_archE1100ELNS1_3gpuE3ELNS1_3repE0EEENS1_36merge_oddeven_config_static_selectorELNS0_4arch9wavefront6targetE1EEEvSJ_.has_indirect_call, 0
	.section	.AMDGPU.csdata,"",@progbits
; Kernel info:
; codeLenInByte = 0
; TotalNumSgprs: 6
; NumVgprs: 0
; NumAgprs: 0
; TotalNumVgprs: 0
; ScratchSize: 0
; MemoryBound: 0
; FloatMode: 240
; IeeeMode: 1
; LDSByteSize: 0 bytes/workgroup (compile time only)
; SGPRBlocks: 0
; VGPRBlocks: 0
; NumSGPRsForWavesPerEU: 6
; NumVGPRsForWavesPerEU: 1
; AccumOffset: 4
; Occupancy: 8
; WaveLimiterHint : 0
; COMPUTE_PGM_RSRC2:SCRATCH_EN: 0
; COMPUTE_PGM_RSRC2:USER_SGPR: 2
; COMPUTE_PGM_RSRC2:TRAP_HANDLER: 0
; COMPUTE_PGM_RSRC2:TGID_X_EN: 1
; COMPUTE_PGM_RSRC2:TGID_Y_EN: 0
; COMPUTE_PGM_RSRC2:TGID_Z_EN: 0
; COMPUTE_PGM_RSRC2:TIDIG_COMP_CNT: 0
; COMPUTE_PGM_RSRC3_GFX90A:ACCUM_OFFSET: 0
; COMPUTE_PGM_RSRC3_GFX90A:TG_SPLIT: 0
	.section	.text._ZN7rocprim17ROCPRIM_400000_NS6detail17trampoline_kernelINS0_14default_configENS1_38merge_sort_block_merge_config_selectorIssEEZZNS1_27merge_sort_block_merge_implIS3_N6thrust23THRUST_200600_302600_NS6detail15normal_iteratorINS8_10device_ptrIsEEEESD_jNS1_19radix_merge_compareILb0ELb1EsNS0_19identity_decomposerEEEEE10hipError_tT0_T1_T2_jT3_P12ihipStream_tbPNSt15iterator_traitsISI_E10value_typeEPNSO_ISJ_E10value_typeEPSK_NS1_7vsmem_tEENKUlT_SI_SJ_SK_E_clIPsSD_S10_SD_EESH_SX_SI_SJ_SK_EUlSX_E1_NS1_11comp_targetILNS1_3genE8ELNS1_11target_archE1030ELNS1_3gpuE2ELNS1_3repE0EEENS1_36merge_oddeven_config_static_selectorELNS0_4arch9wavefront6targetE1EEEvSJ_,"axG",@progbits,_ZN7rocprim17ROCPRIM_400000_NS6detail17trampoline_kernelINS0_14default_configENS1_38merge_sort_block_merge_config_selectorIssEEZZNS1_27merge_sort_block_merge_implIS3_N6thrust23THRUST_200600_302600_NS6detail15normal_iteratorINS8_10device_ptrIsEEEESD_jNS1_19radix_merge_compareILb0ELb1EsNS0_19identity_decomposerEEEEE10hipError_tT0_T1_T2_jT3_P12ihipStream_tbPNSt15iterator_traitsISI_E10value_typeEPNSO_ISJ_E10value_typeEPSK_NS1_7vsmem_tEENKUlT_SI_SJ_SK_E_clIPsSD_S10_SD_EESH_SX_SI_SJ_SK_EUlSX_E1_NS1_11comp_targetILNS1_3genE8ELNS1_11target_archE1030ELNS1_3gpuE2ELNS1_3repE0EEENS1_36merge_oddeven_config_static_selectorELNS0_4arch9wavefront6targetE1EEEvSJ_,comdat
	.protected	_ZN7rocprim17ROCPRIM_400000_NS6detail17trampoline_kernelINS0_14default_configENS1_38merge_sort_block_merge_config_selectorIssEEZZNS1_27merge_sort_block_merge_implIS3_N6thrust23THRUST_200600_302600_NS6detail15normal_iteratorINS8_10device_ptrIsEEEESD_jNS1_19radix_merge_compareILb0ELb1EsNS0_19identity_decomposerEEEEE10hipError_tT0_T1_T2_jT3_P12ihipStream_tbPNSt15iterator_traitsISI_E10value_typeEPNSO_ISJ_E10value_typeEPSK_NS1_7vsmem_tEENKUlT_SI_SJ_SK_E_clIPsSD_S10_SD_EESH_SX_SI_SJ_SK_EUlSX_E1_NS1_11comp_targetILNS1_3genE8ELNS1_11target_archE1030ELNS1_3gpuE2ELNS1_3repE0EEENS1_36merge_oddeven_config_static_selectorELNS0_4arch9wavefront6targetE1EEEvSJ_ ; -- Begin function _ZN7rocprim17ROCPRIM_400000_NS6detail17trampoline_kernelINS0_14default_configENS1_38merge_sort_block_merge_config_selectorIssEEZZNS1_27merge_sort_block_merge_implIS3_N6thrust23THRUST_200600_302600_NS6detail15normal_iteratorINS8_10device_ptrIsEEEESD_jNS1_19radix_merge_compareILb0ELb1EsNS0_19identity_decomposerEEEEE10hipError_tT0_T1_T2_jT3_P12ihipStream_tbPNSt15iterator_traitsISI_E10value_typeEPNSO_ISJ_E10value_typeEPSK_NS1_7vsmem_tEENKUlT_SI_SJ_SK_E_clIPsSD_S10_SD_EESH_SX_SI_SJ_SK_EUlSX_E1_NS1_11comp_targetILNS1_3genE8ELNS1_11target_archE1030ELNS1_3gpuE2ELNS1_3repE0EEENS1_36merge_oddeven_config_static_selectorELNS0_4arch9wavefront6targetE1EEEvSJ_
	.globl	_ZN7rocprim17ROCPRIM_400000_NS6detail17trampoline_kernelINS0_14default_configENS1_38merge_sort_block_merge_config_selectorIssEEZZNS1_27merge_sort_block_merge_implIS3_N6thrust23THRUST_200600_302600_NS6detail15normal_iteratorINS8_10device_ptrIsEEEESD_jNS1_19radix_merge_compareILb0ELb1EsNS0_19identity_decomposerEEEEE10hipError_tT0_T1_T2_jT3_P12ihipStream_tbPNSt15iterator_traitsISI_E10value_typeEPNSO_ISJ_E10value_typeEPSK_NS1_7vsmem_tEENKUlT_SI_SJ_SK_E_clIPsSD_S10_SD_EESH_SX_SI_SJ_SK_EUlSX_E1_NS1_11comp_targetILNS1_3genE8ELNS1_11target_archE1030ELNS1_3gpuE2ELNS1_3repE0EEENS1_36merge_oddeven_config_static_selectorELNS0_4arch9wavefront6targetE1EEEvSJ_
	.p2align	8
	.type	_ZN7rocprim17ROCPRIM_400000_NS6detail17trampoline_kernelINS0_14default_configENS1_38merge_sort_block_merge_config_selectorIssEEZZNS1_27merge_sort_block_merge_implIS3_N6thrust23THRUST_200600_302600_NS6detail15normal_iteratorINS8_10device_ptrIsEEEESD_jNS1_19radix_merge_compareILb0ELb1EsNS0_19identity_decomposerEEEEE10hipError_tT0_T1_T2_jT3_P12ihipStream_tbPNSt15iterator_traitsISI_E10value_typeEPNSO_ISJ_E10value_typeEPSK_NS1_7vsmem_tEENKUlT_SI_SJ_SK_E_clIPsSD_S10_SD_EESH_SX_SI_SJ_SK_EUlSX_E1_NS1_11comp_targetILNS1_3genE8ELNS1_11target_archE1030ELNS1_3gpuE2ELNS1_3repE0EEENS1_36merge_oddeven_config_static_selectorELNS0_4arch9wavefront6targetE1EEEvSJ_,@function
_ZN7rocprim17ROCPRIM_400000_NS6detail17trampoline_kernelINS0_14default_configENS1_38merge_sort_block_merge_config_selectorIssEEZZNS1_27merge_sort_block_merge_implIS3_N6thrust23THRUST_200600_302600_NS6detail15normal_iteratorINS8_10device_ptrIsEEEESD_jNS1_19radix_merge_compareILb0ELb1EsNS0_19identity_decomposerEEEEE10hipError_tT0_T1_T2_jT3_P12ihipStream_tbPNSt15iterator_traitsISI_E10value_typeEPNSO_ISJ_E10value_typeEPSK_NS1_7vsmem_tEENKUlT_SI_SJ_SK_E_clIPsSD_S10_SD_EESH_SX_SI_SJ_SK_EUlSX_E1_NS1_11comp_targetILNS1_3genE8ELNS1_11target_archE1030ELNS1_3gpuE2ELNS1_3repE0EEENS1_36merge_oddeven_config_static_selectorELNS0_4arch9wavefront6targetE1EEEvSJ_: ; @_ZN7rocprim17ROCPRIM_400000_NS6detail17trampoline_kernelINS0_14default_configENS1_38merge_sort_block_merge_config_selectorIssEEZZNS1_27merge_sort_block_merge_implIS3_N6thrust23THRUST_200600_302600_NS6detail15normal_iteratorINS8_10device_ptrIsEEEESD_jNS1_19radix_merge_compareILb0ELb1EsNS0_19identity_decomposerEEEEE10hipError_tT0_T1_T2_jT3_P12ihipStream_tbPNSt15iterator_traitsISI_E10value_typeEPNSO_ISJ_E10value_typeEPSK_NS1_7vsmem_tEENKUlT_SI_SJ_SK_E_clIPsSD_S10_SD_EESH_SX_SI_SJ_SK_EUlSX_E1_NS1_11comp_targetILNS1_3genE8ELNS1_11target_archE1030ELNS1_3gpuE2ELNS1_3repE0EEENS1_36merge_oddeven_config_static_selectorELNS0_4arch9wavefront6targetE1EEEvSJ_
; %bb.0:
	.section	.rodata,"a",@progbits
	.p2align	6, 0x0
	.amdhsa_kernel _ZN7rocprim17ROCPRIM_400000_NS6detail17trampoline_kernelINS0_14default_configENS1_38merge_sort_block_merge_config_selectorIssEEZZNS1_27merge_sort_block_merge_implIS3_N6thrust23THRUST_200600_302600_NS6detail15normal_iteratorINS8_10device_ptrIsEEEESD_jNS1_19radix_merge_compareILb0ELb1EsNS0_19identity_decomposerEEEEE10hipError_tT0_T1_T2_jT3_P12ihipStream_tbPNSt15iterator_traitsISI_E10value_typeEPNSO_ISJ_E10value_typeEPSK_NS1_7vsmem_tEENKUlT_SI_SJ_SK_E_clIPsSD_S10_SD_EESH_SX_SI_SJ_SK_EUlSX_E1_NS1_11comp_targetILNS1_3genE8ELNS1_11target_archE1030ELNS1_3gpuE2ELNS1_3repE0EEENS1_36merge_oddeven_config_static_selectorELNS0_4arch9wavefront6targetE1EEEvSJ_
		.amdhsa_group_segment_fixed_size 0
		.amdhsa_private_segment_fixed_size 0
		.amdhsa_kernarg_size 48
		.amdhsa_user_sgpr_count 2
		.amdhsa_user_sgpr_dispatch_ptr 0
		.amdhsa_user_sgpr_queue_ptr 0
		.amdhsa_user_sgpr_kernarg_segment_ptr 1
		.amdhsa_user_sgpr_dispatch_id 0
		.amdhsa_user_sgpr_kernarg_preload_length 0
		.amdhsa_user_sgpr_kernarg_preload_offset 0
		.amdhsa_user_sgpr_private_segment_size 0
		.amdhsa_uses_dynamic_stack 0
		.amdhsa_enable_private_segment 0
		.amdhsa_system_sgpr_workgroup_id_x 1
		.amdhsa_system_sgpr_workgroup_id_y 0
		.amdhsa_system_sgpr_workgroup_id_z 0
		.amdhsa_system_sgpr_workgroup_info 0
		.amdhsa_system_vgpr_workitem_id 0
		.amdhsa_next_free_vgpr 1
		.amdhsa_next_free_sgpr 0
		.amdhsa_accum_offset 4
		.amdhsa_reserve_vcc 0
		.amdhsa_float_round_mode_32 0
		.amdhsa_float_round_mode_16_64 0
		.amdhsa_float_denorm_mode_32 3
		.amdhsa_float_denorm_mode_16_64 3
		.amdhsa_dx10_clamp 1
		.amdhsa_ieee_mode 1
		.amdhsa_fp16_overflow 0
		.amdhsa_tg_split 0
		.amdhsa_exception_fp_ieee_invalid_op 0
		.amdhsa_exception_fp_denorm_src 0
		.amdhsa_exception_fp_ieee_div_zero 0
		.amdhsa_exception_fp_ieee_overflow 0
		.amdhsa_exception_fp_ieee_underflow 0
		.amdhsa_exception_fp_ieee_inexact 0
		.amdhsa_exception_int_div_zero 0
	.end_amdhsa_kernel
	.section	.text._ZN7rocprim17ROCPRIM_400000_NS6detail17trampoline_kernelINS0_14default_configENS1_38merge_sort_block_merge_config_selectorIssEEZZNS1_27merge_sort_block_merge_implIS3_N6thrust23THRUST_200600_302600_NS6detail15normal_iteratorINS8_10device_ptrIsEEEESD_jNS1_19radix_merge_compareILb0ELb1EsNS0_19identity_decomposerEEEEE10hipError_tT0_T1_T2_jT3_P12ihipStream_tbPNSt15iterator_traitsISI_E10value_typeEPNSO_ISJ_E10value_typeEPSK_NS1_7vsmem_tEENKUlT_SI_SJ_SK_E_clIPsSD_S10_SD_EESH_SX_SI_SJ_SK_EUlSX_E1_NS1_11comp_targetILNS1_3genE8ELNS1_11target_archE1030ELNS1_3gpuE2ELNS1_3repE0EEENS1_36merge_oddeven_config_static_selectorELNS0_4arch9wavefront6targetE1EEEvSJ_,"axG",@progbits,_ZN7rocprim17ROCPRIM_400000_NS6detail17trampoline_kernelINS0_14default_configENS1_38merge_sort_block_merge_config_selectorIssEEZZNS1_27merge_sort_block_merge_implIS3_N6thrust23THRUST_200600_302600_NS6detail15normal_iteratorINS8_10device_ptrIsEEEESD_jNS1_19radix_merge_compareILb0ELb1EsNS0_19identity_decomposerEEEEE10hipError_tT0_T1_T2_jT3_P12ihipStream_tbPNSt15iterator_traitsISI_E10value_typeEPNSO_ISJ_E10value_typeEPSK_NS1_7vsmem_tEENKUlT_SI_SJ_SK_E_clIPsSD_S10_SD_EESH_SX_SI_SJ_SK_EUlSX_E1_NS1_11comp_targetILNS1_3genE8ELNS1_11target_archE1030ELNS1_3gpuE2ELNS1_3repE0EEENS1_36merge_oddeven_config_static_selectorELNS0_4arch9wavefront6targetE1EEEvSJ_,comdat
.Lfunc_end1590:
	.size	_ZN7rocprim17ROCPRIM_400000_NS6detail17trampoline_kernelINS0_14default_configENS1_38merge_sort_block_merge_config_selectorIssEEZZNS1_27merge_sort_block_merge_implIS3_N6thrust23THRUST_200600_302600_NS6detail15normal_iteratorINS8_10device_ptrIsEEEESD_jNS1_19radix_merge_compareILb0ELb1EsNS0_19identity_decomposerEEEEE10hipError_tT0_T1_T2_jT3_P12ihipStream_tbPNSt15iterator_traitsISI_E10value_typeEPNSO_ISJ_E10value_typeEPSK_NS1_7vsmem_tEENKUlT_SI_SJ_SK_E_clIPsSD_S10_SD_EESH_SX_SI_SJ_SK_EUlSX_E1_NS1_11comp_targetILNS1_3genE8ELNS1_11target_archE1030ELNS1_3gpuE2ELNS1_3repE0EEENS1_36merge_oddeven_config_static_selectorELNS0_4arch9wavefront6targetE1EEEvSJ_, .Lfunc_end1590-_ZN7rocprim17ROCPRIM_400000_NS6detail17trampoline_kernelINS0_14default_configENS1_38merge_sort_block_merge_config_selectorIssEEZZNS1_27merge_sort_block_merge_implIS3_N6thrust23THRUST_200600_302600_NS6detail15normal_iteratorINS8_10device_ptrIsEEEESD_jNS1_19radix_merge_compareILb0ELb1EsNS0_19identity_decomposerEEEEE10hipError_tT0_T1_T2_jT3_P12ihipStream_tbPNSt15iterator_traitsISI_E10value_typeEPNSO_ISJ_E10value_typeEPSK_NS1_7vsmem_tEENKUlT_SI_SJ_SK_E_clIPsSD_S10_SD_EESH_SX_SI_SJ_SK_EUlSX_E1_NS1_11comp_targetILNS1_3genE8ELNS1_11target_archE1030ELNS1_3gpuE2ELNS1_3repE0EEENS1_36merge_oddeven_config_static_selectorELNS0_4arch9wavefront6targetE1EEEvSJ_
                                        ; -- End function
	.set _ZN7rocprim17ROCPRIM_400000_NS6detail17trampoline_kernelINS0_14default_configENS1_38merge_sort_block_merge_config_selectorIssEEZZNS1_27merge_sort_block_merge_implIS3_N6thrust23THRUST_200600_302600_NS6detail15normal_iteratorINS8_10device_ptrIsEEEESD_jNS1_19radix_merge_compareILb0ELb1EsNS0_19identity_decomposerEEEEE10hipError_tT0_T1_T2_jT3_P12ihipStream_tbPNSt15iterator_traitsISI_E10value_typeEPNSO_ISJ_E10value_typeEPSK_NS1_7vsmem_tEENKUlT_SI_SJ_SK_E_clIPsSD_S10_SD_EESH_SX_SI_SJ_SK_EUlSX_E1_NS1_11comp_targetILNS1_3genE8ELNS1_11target_archE1030ELNS1_3gpuE2ELNS1_3repE0EEENS1_36merge_oddeven_config_static_selectorELNS0_4arch9wavefront6targetE1EEEvSJ_.num_vgpr, 0
	.set _ZN7rocprim17ROCPRIM_400000_NS6detail17trampoline_kernelINS0_14default_configENS1_38merge_sort_block_merge_config_selectorIssEEZZNS1_27merge_sort_block_merge_implIS3_N6thrust23THRUST_200600_302600_NS6detail15normal_iteratorINS8_10device_ptrIsEEEESD_jNS1_19radix_merge_compareILb0ELb1EsNS0_19identity_decomposerEEEEE10hipError_tT0_T1_T2_jT3_P12ihipStream_tbPNSt15iterator_traitsISI_E10value_typeEPNSO_ISJ_E10value_typeEPSK_NS1_7vsmem_tEENKUlT_SI_SJ_SK_E_clIPsSD_S10_SD_EESH_SX_SI_SJ_SK_EUlSX_E1_NS1_11comp_targetILNS1_3genE8ELNS1_11target_archE1030ELNS1_3gpuE2ELNS1_3repE0EEENS1_36merge_oddeven_config_static_selectorELNS0_4arch9wavefront6targetE1EEEvSJ_.num_agpr, 0
	.set _ZN7rocprim17ROCPRIM_400000_NS6detail17trampoline_kernelINS0_14default_configENS1_38merge_sort_block_merge_config_selectorIssEEZZNS1_27merge_sort_block_merge_implIS3_N6thrust23THRUST_200600_302600_NS6detail15normal_iteratorINS8_10device_ptrIsEEEESD_jNS1_19radix_merge_compareILb0ELb1EsNS0_19identity_decomposerEEEEE10hipError_tT0_T1_T2_jT3_P12ihipStream_tbPNSt15iterator_traitsISI_E10value_typeEPNSO_ISJ_E10value_typeEPSK_NS1_7vsmem_tEENKUlT_SI_SJ_SK_E_clIPsSD_S10_SD_EESH_SX_SI_SJ_SK_EUlSX_E1_NS1_11comp_targetILNS1_3genE8ELNS1_11target_archE1030ELNS1_3gpuE2ELNS1_3repE0EEENS1_36merge_oddeven_config_static_selectorELNS0_4arch9wavefront6targetE1EEEvSJ_.numbered_sgpr, 0
	.set _ZN7rocprim17ROCPRIM_400000_NS6detail17trampoline_kernelINS0_14default_configENS1_38merge_sort_block_merge_config_selectorIssEEZZNS1_27merge_sort_block_merge_implIS3_N6thrust23THRUST_200600_302600_NS6detail15normal_iteratorINS8_10device_ptrIsEEEESD_jNS1_19radix_merge_compareILb0ELb1EsNS0_19identity_decomposerEEEEE10hipError_tT0_T1_T2_jT3_P12ihipStream_tbPNSt15iterator_traitsISI_E10value_typeEPNSO_ISJ_E10value_typeEPSK_NS1_7vsmem_tEENKUlT_SI_SJ_SK_E_clIPsSD_S10_SD_EESH_SX_SI_SJ_SK_EUlSX_E1_NS1_11comp_targetILNS1_3genE8ELNS1_11target_archE1030ELNS1_3gpuE2ELNS1_3repE0EEENS1_36merge_oddeven_config_static_selectorELNS0_4arch9wavefront6targetE1EEEvSJ_.num_named_barrier, 0
	.set _ZN7rocprim17ROCPRIM_400000_NS6detail17trampoline_kernelINS0_14default_configENS1_38merge_sort_block_merge_config_selectorIssEEZZNS1_27merge_sort_block_merge_implIS3_N6thrust23THRUST_200600_302600_NS6detail15normal_iteratorINS8_10device_ptrIsEEEESD_jNS1_19radix_merge_compareILb0ELb1EsNS0_19identity_decomposerEEEEE10hipError_tT0_T1_T2_jT3_P12ihipStream_tbPNSt15iterator_traitsISI_E10value_typeEPNSO_ISJ_E10value_typeEPSK_NS1_7vsmem_tEENKUlT_SI_SJ_SK_E_clIPsSD_S10_SD_EESH_SX_SI_SJ_SK_EUlSX_E1_NS1_11comp_targetILNS1_3genE8ELNS1_11target_archE1030ELNS1_3gpuE2ELNS1_3repE0EEENS1_36merge_oddeven_config_static_selectorELNS0_4arch9wavefront6targetE1EEEvSJ_.private_seg_size, 0
	.set _ZN7rocprim17ROCPRIM_400000_NS6detail17trampoline_kernelINS0_14default_configENS1_38merge_sort_block_merge_config_selectorIssEEZZNS1_27merge_sort_block_merge_implIS3_N6thrust23THRUST_200600_302600_NS6detail15normal_iteratorINS8_10device_ptrIsEEEESD_jNS1_19radix_merge_compareILb0ELb1EsNS0_19identity_decomposerEEEEE10hipError_tT0_T1_T2_jT3_P12ihipStream_tbPNSt15iterator_traitsISI_E10value_typeEPNSO_ISJ_E10value_typeEPSK_NS1_7vsmem_tEENKUlT_SI_SJ_SK_E_clIPsSD_S10_SD_EESH_SX_SI_SJ_SK_EUlSX_E1_NS1_11comp_targetILNS1_3genE8ELNS1_11target_archE1030ELNS1_3gpuE2ELNS1_3repE0EEENS1_36merge_oddeven_config_static_selectorELNS0_4arch9wavefront6targetE1EEEvSJ_.uses_vcc, 0
	.set _ZN7rocprim17ROCPRIM_400000_NS6detail17trampoline_kernelINS0_14default_configENS1_38merge_sort_block_merge_config_selectorIssEEZZNS1_27merge_sort_block_merge_implIS3_N6thrust23THRUST_200600_302600_NS6detail15normal_iteratorINS8_10device_ptrIsEEEESD_jNS1_19radix_merge_compareILb0ELb1EsNS0_19identity_decomposerEEEEE10hipError_tT0_T1_T2_jT3_P12ihipStream_tbPNSt15iterator_traitsISI_E10value_typeEPNSO_ISJ_E10value_typeEPSK_NS1_7vsmem_tEENKUlT_SI_SJ_SK_E_clIPsSD_S10_SD_EESH_SX_SI_SJ_SK_EUlSX_E1_NS1_11comp_targetILNS1_3genE8ELNS1_11target_archE1030ELNS1_3gpuE2ELNS1_3repE0EEENS1_36merge_oddeven_config_static_selectorELNS0_4arch9wavefront6targetE1EEEvSJ_.uses_flat_scratch, 0
	.set _ZN7rocprim17ROCPRIM_400000_NS6detail17trampoline_kernelINS0_14default_configENS1_38merge_sort_block_merge_config_selectorIssEEZZNS1_27merge_sort_block_merge_implIS3_N6thrust23THRUST_200600_302600_NS6detail15normal_iteratorINS8_10device_ptrIsEEEESD_jNS1_19radix_merge_compareILb0ELb1EsNS0_19identity_decomposerEEEEE10hipError_tT0_T1_T2_jT3_P12ihipStream_tbPNSt15iterator_traitsISI_E10value_typeEPNSO_ISJ_E10value_typeEPSK_NS1_7vsmem_tEENKUlT_SI_SJ_SK_E_clIPsSD_S10_SD_EESH_SX_SI_SJ_SK_EUlSX_E1_NS1_11comp_targetILNS1_3genE8ELNS1_11target_archE1030ELNS1_3gpuE2ELNS1_3repE0EEENS1_36merge_oddeven_config_static_selectorELNS0_4arch9wavefront6targetE1EEEvSJ_.has_dyn_sized_stack, 0
	.set _ZN7rocprim17ROCPRIM_400000_NS6detail17trampoline_kernelINS0_14default_configENS1_38merge_sort_block_merge_config_selectorIssEEZZNS1_27merge_sort_block_merge_implIS3_N6thrust23THRUST_200600_302600_NS6detail15normal_iteratorINS8_10device_ptrIsEEEESD_jNS1_19radix_merge_compareILb0ELb1EsNS0_19identity_decomposerEEEEE10hipError_tT0_T1_T2_jT3_P12ihipStream_tbPNSt15iterator_traitsISI_E10value_typeEPNSO_ISJ_E10value_typeEPSK_NS1_7vsmem_tEENKUlT_SI_SJ_SK_E_clIPsSD_S10_SD_EESH_SX_SI_SJ_SK_EUlSX_E1_NS1_11comp_targetILNS1_3genE8ELNS1_11target_archE1030ELNS1_3gpuE2ELNS1_3repE0EEENS1_36merge_oddeven_config_static_selectorELNS0_4arch9wavefront6targetE1EEEvSJ_.has_recursion, 0
	.set _ZN7rocprim17ROCPRIM_400000_NS6detail17trampoline_kernelINS0_14default_configENS1_38merge_sort_block_merge_config_selectorIssEEZZNS1_27merge_sort_block_merge_implIS3_N6thrust23THRUST_200600_302600_NS6detail15normal_iteratorINS8_10device_ptrIsEEEESD_jNS1_19radix_merge_compareILb0ELb1EsNS0_19identity_decomposerEEEEE10hipError_tT0_T1_T2_jT3_P12ihipStream_tbPNSt15iterator_traitsISI_E10value_typeEPNSO_ISJ_E10value_typeEPSK_NS1_7vsmem_tEENKUlT_SI_SJ_SK_E_clIPsSD_S10_SD_EESH_SX_SI_SJ_SK_EUlSX_E1_NS1_11comp_targetILNS1_3genE8ELNS1_11target_archE1030ELNS1_3gpuE2ELNS1_3repE0EEENS1_36merge_oddeven_config_static_selectorELNS0_4arch9wavefront6targetE1EEEvSJ_.has_indirect_call, 0
	.section	.AMDGPU.csdata,"",@progbits
; Kernel info:
; codeLenInByte = 0
; TotalNumSgprs: 6
; NumVgprs: 0
; NumAgprs: 0
; TotalNumVgprs: 0
; ScratchSize: 0
; MemoryBound: 0
; FloatMode: 240
; IeeeMode: 1
; LDSByteSize: 0 bytes/workgroup (compile time only)
; SGPRBlocks: 0
; VGPRBlocks: 0
; NumSGPRsForWavesPerEU: 6
; NumVGPRsForWavesPerEU: 1
; AccumOffset: 4
; Occupancy: 8
; WaveLimiterHint : 0
; COMPUTE_PGM_RSRC2:SCRATCH_EN: 0
; COMPUTE_PGM_RSRC2:USER_SGPR: 2
; COMPUTE_PGM_RSRC2:TRAP_HANDLER: 0
; COMPUTE_PGM_RSRC2:TGID_X_EN: 1
; COMPUTE_PGM_RSRC2:TGID_Y_EN: 0
; COMPUTE_PGM_RSRC2:TGID_Z_EN: 0
; COMPUTE_PGM_RSRC2:TIDIG_COMP_CNT: 0
; COMPUTE_PGM_RSRC3_GFX90A:ACCUM_OFFSET: 0
; COMPUTE_PGM_RSRC3_GFX90A:TG_SPLIT: 0
	.section	.text._ZN7rocprim17ROCPRIM_400000_NS6detail17trampoline_kernelINS0_14default_configENS1_38merge_sort_block_merge_config_selectorIssEEZZNS1_27merge_sort_block_merge_implIS3_N6thrust23THRUST_200600_302600_NS6detail15normal_iteratorINS8_10device_ptrIsEEEESD_jNS1_19radix_merge_compareILb0ELb1EsNS0_19identity_decomposerEEEEE10hipError_tT0_T1_T2_jT3_P12ihipStream_tbPNSt15iterator_traitsISI_E10value_typeEPNSO_ISJ_E10value_typeEPSK_NS1_7vsmem_tEENKUlT_SI_SJ_SK_E_clISD_PsSD_S10_EESH_SX_SI_SJ_SK_EUlSX_E_NS1_11comp_targetILNS1_3genE0ELNS1_11target_archE4294967295ELNS1_3gpuE0ELNS1_3repE0EEENS1_48merge_mergepath_partition_config_static_selectorELNS0_4arch9wavefront6targetE1EEEvSJ_,"axG",@progbits,_ZN7rocprim17ROCPRIM_400000_NS6detail17trampoline_kernelINS0_14default_configENS1_38merge_sort_block_merge_config_selectorIssEEZZNS1_27merge_sort_block_merge_implIS3_N6thrust23THRUST_200600_302600_NS6detail15normal_iteratorINS8_10device_ptrIsEEEESD_jNS1_19radix_merge_compareILb0ELb1EsNS0_19identity_decomposerEEEEE10hipError_tT0_T1_T2_jT3_P12ihipStream_tbPNSt15iterator_traitsISI_E10value_typeEPNSO_ISJ_E10value_typeEPSK_NS1_7vsmem_tEENKUlT_SI_SJ_SK_E_clISD_PsSD_S10_EESH_SX_SI_SJ_SK_EUlSX_E_NS1_11comp_targetILNS1_3genE0ELNS1_11target_archE4294967295ELNS1_3gpuE0ELNS1_3repE0EEENS1_48merge_mergepath_partition_config_static_selectorELNS0_4arch9wavefront6targetE1EEEvSJ_,comdat
	.protected	_ZN7rocprim17ROCPRIM_400000_NS6detail17trampoline_kernelINS0_14default_configENS1_38merge_sort_block_merge_config_selectorIssEEZZNS1_27merge_sort_block_merge_implIS3_N6thrust23THRUST_200600_302600_NS6detail15normal_iteratorINS8_10device_ptrIsEEEESD_jNS1_19radix_merge_compareILb0ELb1EsNS0_19identity_decomposerEEEEE10hipError_tT0_T1_T2_jT3_P12ihipStream_tbPNSt15iterator_traitsISI_E10value_typeEPNSO_ISJ_E10value_typeEPSK_NS1_7vsmem_tEENKUlT_SI_SJ_SK_E_clISD_PsSD_S10_EESH_SX_SI_SJ_SK_EUlSX_E_NS1_11comp_targetILNS1_3genE0ELNS1_11target_archE4294967295ELNS1_3gpuE0ELNS1_3repE0EEENS1_48merge_mergepath_partition_config_static_selectorELNS0_4arch9wavefront6targetE1EEEvSJ_ ; -- Begin function _ZN7rocprim17ROCPRIM_400000_NS6detail17trampoline_kernelINS0_14default_configENS1_38merge_sort_block_merge_config_selectorIssEEZZNS1_27merge_sort_block_merge_implIS3_N6thrust23THRUST_200600_302600_NS6detail15normal_iteratorINS8_10device_ptrIsEEEESD_jNS1_19radix_merge_compareILb0ELb1EsNS0_19identity_decomposerEEEEE10hipError_tT0_T1_T2_jT3_P12ihipStream_tbPNSt15iterator_traitsISI_E10value_typeEPNSO_ISJ_E10value_typeEPSK_NS1_7vsmem_tEENKUlT_SI_SJ_SK_E_clISD_PsSD_S10_EESH_SX_SI_SJ_SK_EUlSX_E_NS1_11comp_targetILNS1_3genE0ELNS1_11target_archE4294967295ELNS1_3gpuE0ELNS1_3repE0EEENS1_48merge_mergepath_partition_config_static_selectorELNS0_4arch9wavefront6targetE1EEEvSJ_
	.globl	_ZN7rocprim17ROCPRIM_400000_NS6detail17trampoline_kernelINS0_14default_configENS1_38merge_sort_block_merge_config_selectorIssEEZZNS1_27merge_sort_block_merge_implIS3_N6thrust23THRUST_200600_302600_NS6detail15normal_iteratorINS8_10device_ptrIsEEEESD_jNS1_19radix_merge_compareILb0ELb1EsNS0_19identity_decomposerEEEEE10hipError_tT0_T1_T2_jT3_P12ihipStream_tbPNSt15iterator_traitsISI_E10value_typeEPNSO_ISJ_E10value_typeEPSK_NS1_7vsmem_tEENKUlT_SI_SJ_SK_E_clISD_PsSD_S10_EESH_SX_SI_SJ_SK_EUlSX_E_NS1_11comp_targetILNS1_3genE0ELNS1_11target_archE4294967295ELNS1_3gpuE0ELNS1_3repE0EEENS1_48merge_mergepath_partition_config_static_selectorELNS0_4arch9wavefront6targetE1EEEvSJ_
	.p2align	8
	.type	_ZN7rocprim17ROCPRIM_400000_NS6detail17trampoline_kernelINS0_14default_configENS1_38merge_sort_block_merge_config_selectorIssEEZZNS1_27merge_sort_block_merge_implIS3_N6thrust23THRUST_200600_302600_NS6detail15normal_iteratorINS8_10device_ptrIsEEEESD_jNS1_19radix_merge_compareILb0ELb1EsNS0_19identity_decomposerEEEEE10hipError_tT0_T1_T2_jT3_P12ihipStream_tbPNSt15iterator_traitsISI_E10value_typeEPNSO_ISJ_E10value_typeEPSK_NS1_7vsmem_tEENKUlT_SI_SJ_SK_E_clISD_PsSD_S10_EESH_SX_SI_SJ_SK_EUlSX_E_NS1_11comp_targetILNS1_3genE0ELNS1_11target_archE4294967295ELNS1_3gpuE0ELNS1_3repE0EEENS1_48merge_mergepath_partition_config_static_selectorELNS0_4arch9wavefront6targetE1EEEvSJ_,@function
_ZN7rocprim17ROCPRIM_400000_NS6detail17trampoline_kernelINS0_14default_configENS1_38merge_sort_block_merge_config_selectorIssEEZZNS1_27merge_sort_block_merge_implIS3_N6thrust23THRUST_200600_302600_NS6detail15normal_iteratorINS8_10device_ptrIsEEEESD_jNS1_19radix_merge_compareILb0ELb1EsNS0_19identity_decomposerEEEEE10hipError_tT0_T1_T2_jT3_P12ihipStream_tbPNSt15iterator_traitsISI_E10value_typeEPNSO_ISJ_E10value_typeEPSK_NS1_7vsmem_tEENKUlT_SI_SJ_SK_E_clISD_PsSD_S10_EESH_SX_SI_SJ_SK_EUlSX_E_NS1_11comp_targetILNS1_3genE0ELNS1_11target_archE4294967295ELNS1_3gpuE0ELNS1_3repE0EEENS1_48merge_mergepath_partition_config_static_selectorELNS0_4arch9wavefront6targetE1EEEvSJ_: ; @_ZN7rocprim17ROCPRIM_400000_NS6detail17trampoline_kernelINS0_14default_configENS1_38merge_sort_block_merge_config_selectorIssEEZZNS1_27merge_sort_block_merge_implIS3_N6thrust23THRUST_200600_302600_NS6detail15normal_iteratorINS8_10device_ptrIsEEEESD_jNS1_19radix_merge_compareILb0ELb1EsNS0_19identity_decomposerEEEEE10hipError_tT0_T1_T2_jT3_P12ihipStream_tbPNSt15iterator_traitsISI_E10value_typeEPNSO_ISJ_E10value_typeEPSK_NS1_7vsmem_tEENKUlT_SI_SJ_SK_E_clISD_PsSD_S10_EESH_SX_SI_SJ_SK_EUlSX_E_NS1_11comp_targetILNS1_3genE0ELNS1_11target_archE4294967295ELNS1_3gpuE0ELNS1_3repE0EEENS1_48merge_mergepath_partition_config_static_selectorELNS0_4arch9wavefront6targetE1EEEvSJ_
; %bb.0:
	s_load_dword s3, s[0:1], 0x0
	v_lshl_or_b32 v0, s2, 7, v0
	s_waitcnt lgkmcnt(0)
	v_cmp_gt_u32_e32 vcc, s3, v0
	s_and_saveexec_b64 s[2:3], vcc
	s_cbranch_execz .LBB1591_6
; %bb.1:
	s_load_dwordx2 s[4:5], s[0:1], 0x4
	s_load_dwordx2 s[2:3], s[0:1], 0x20
	s_waitcnt lgkmcnt(0)
	s_lshr_b32 s6, s4, 9
	s_and_b32 s6, s6, 0x7ffffe
	s_add_i32 s7, s6, -1
	s_sub_i32 s6, 0, s6
	v_and_b32_e32 v1, s6, v0
	v_lshlrev_b32_e32 v1, 10, v1
	v_min_u32_e32 v2, s5, v1
	v_add_u32_e32 v1, s4, v1
	v_min_u32_e32 v4, s5, v1
	v_add_u32_e32 v1, s4, v4
	v_and_b32_e32 v3, s7, v0
	v_min_u32_e32 v1, s5, v1
	v_sub_u32_e32 v5, v1, v2
	v_lshlrev_b32_e32 v3, 10, v3
	v_min_u32_e32 v10, v5, v3
	v_sub_u32_e32 v3, v4, v2
	v_sub_u32_e32 v1, v1, v4
	v_sub_u32_e64 v1, v10, v1 clamp
	v_min_u32_e32 v11, v10, v3
	v_cmp_lt_u32_e32 vcc, v1, v11
	s_and_saveexec_b64 s[4:5], vcc
	s_cbranch_execz .LBB1591_5
; %bb.2:
	s_load_dwordx2 s[8:9], s[0:1], 0x10
	s_load_dword s6, s[0:1], 0x18
	v_mov_b32_e32 v5, 0
	v_mov_b32_e32 v3, v5
	s_mov_b64 s[0:1], 0
	s_waitcnt lgkmcnt(0)
	v_lshl_add_u64 v[6:7], v[2:3], 1, s[8:9]
	v_lshl_add_u64 v[8:9], v[4:5], 1, s[8:9]
.LBB1591_3:                             ; =>This Inner Loop Header: Depth=1
	v_add_u32_e32 v3, v11, v1
	v_lshrrev_b32_e32 v16, 1, v3
	v_and_b32_e32 v4, -2, v3
	v_mov_b32_e32 v13, v5
	v_xad_u32 v12, v16, -1, v10
	v_lshl_add_u64 v[14:15], v[6:7], 0, v[4:5]
	v_lshl_add_u64 v[12:13], v[12:13], 1, v[8:9]
	flat_load_ushort v3, v[14:15]
	flat_load_ushort v4, v[12:13]
	v_add_u32_e32 v12, 1, v16
	s_waitcnt vmcnt(0) lgkmcnt(0)
	v_and_b32_e32 v3, s6, v3
	v_and_b32_e32 v4, s6, v4
	v_cmp_gt_i16_e32 vcc, v3, v4
	s_nop 1
	v_cndmask_b32_e32 v11, v11, v16, vcc
	v_cndmask_b32_e32 v1, v12, v1, vcc
	v_cmp_ge_u32_e32 vcc, v1, v11
	s_or_b64 s[0:1], vcc, s[0:1]
	s_andn2_b64 exec, exec, s[0:1]
	s_cbranch_execnz .LBB1591_3
; %bb.4:
	s_or_b64 exec, exec, s[0:1]
.LBB1591_5:
	s_or_b64 exec, exec, s[4:5]
	v_add_u32_e32 v2, v1, v2
	v_mov_b32_e32 v1, 0
	v_lshl_add_u64 v[0:1], v[0:1], 2, s[2:3]
	global_store_dword v[0:1], v2, off
.LBB1591_6:
	s_endpgm
	.section	.rodata,"a",@progbits
	.p2align	6, 0x0
	.amdhsa_kernel _ZN7rocprim17ROCPRIM_400000_NS6detail17trampoline_kernelINS0_14default_configENS1_38merge_sort_block_merge_config_selectorIssEEZZNS1_27merge_sort_block_merge_implIS3_N6thrust23THRUST_200600_302600_NS6detail15normal_iteratorINS8_10device_ptrIsEEEESD_jNS1_19radix_merge_compareILb0ELb1EsNS0_19identity_decomposerEEEEE10hipError_tT0_T1_T2_jT3_P12ihipStream_tbPNSt15iterator_traitsISI_E10value_typeEPNSO_ISJ_E10value_typeEPSK_NS1_7vsmem_tEENKUlT_SI_SJ_SK_E_clISD_PsSD_S10_EESH_SX_SI_SJ_SK_EUlSX_E_NS1_11comp_targetILNS1_3genE0ELNS1_11target_archE4294967295ELNS1_3gpuE0ELNS1_3repE0EEENS1_48merge_mergepath_partition_config_static_selectorELNS0_4arch9wavefront6targetE1EEEvSJ_
		.amdhsa_group_segment_fixed_size 0
		.amdhsa_private_segment_fixed_size 0
		.amdhsa_kernarg_size 40
		.amdhsa_user_sgpr_count 2
		.amdhsa_user_sgpr_dispatch_ptr 0
		.amdhsa_user_sgpr_queue_ptr 0
		.amdhsa_user_sgpr_kernarg_segment_ptr 1
		.amdhsa_user_sgpr_dispatch_id 0
		.amdhsa_user_sgpr_kernarg_preload_length 0
		.amdhsa_user_sgpr_kernarg_preload_offset 0
		.amdhsa_user_sgpr_private_segment_size 0
		.amdhsa_uses_dynamic_stack 0
		.amdhsa_enable_private_segment 0
		.amdhsa_system_sgpr_workgroup_id_x 1
		.amdhsa_system_sgpr_workgroup_id_y 0
		.amdhsa_system_sgpr_workgroup_id_z 0
		.amdhsa_system_sgpr_workgroup_info 0
		.amdhsa_system_vgpr_workitem_id 0
		.amdhsa_next_free_vgpr 17
		.amdhsa_next_free_sgpr 10
		.amdhsa_accum_offset 20
		.amdhsa_reserve_vcc 1
		.amdhsa_float_round_mode_32 0
		.amdhsa_float_round_mode_16_64 0
		.amdhsa_float_denorm_mode_32 3
		.amdhsa_float_denorm_mode_16_64 3
		.amdhsa_dx10_clamp 1
		.amdhsa_ieee_mode 1
		.amdhsa_fp16_overflow 0
		.amdhsa_tg_split 0
		.amdhsa_exception_fp_ieee_invalid_op 0
		.amdhsa_exception_fp_denorm_src 0
		.amdhsa_exception_fp_ieee_div_zero 0
		.amdhsa_exception_fp_ieee_overflow 0
		.amdhsa_exception_fp_ieee_underflow 0
		.amdhsa_exception_fp_ieee_inexact 0
		.amdhsa_exception_int_div_zero 0
	.end_amdhsa_kernel
	.section	.text._ZN7rocprim17ROCPRIM_400000_NS6detail17trampoline_kernelINS0_14default_configENS1_38merge_sort_block_merge_config_selectorIssEEZZNS1_27merge_sort_block_merge_implIS3_N6thrust23THRUST_200600_302600_NS6detail15normal_iteratorINS8_10device_ptrIsEEEESD_jNS1_19radix_merge_compareILb0ELb1EsNS0_19identity_decomposerEEEEE10hipError_tT0_T1_T2_jT3_P12ihipStream_tbPNSt15iterator_traitsISI_E10value_typeEPNSO_ISJ_E10value_typeEPSK_NS1_7vsmem_tEENKUlT_SI_SJ_SK_E_clISD_PsSD_S10_EESH_SX_SI_SJ_SK_EUlSX_E_NS1_11comp_targetILNS1_3genE0ELNS1_11target_archE4294967295ELNS1_3gpuE0ELNS1_3repE0EEENS1_48merge_mergepath_partition_config_static_selectorELNS0_4arch9wavefront6targetE1EEEvSJ_,"axG",@progbits,_ZN7rocprim17ROCPRIM_400000_NS6detail17trampoline_kernelINS0_14default_configENS1_38merge_sort_block_merge_config_selectorIssEEZZNS1_27merge_sort_block_merge_implIS3_N6thrust23THRUST_200600_302600_NS6detail15normal_iteratorINS8_10device_ptrIsEEEESD_jNS1_19radix_merge_compareILb0ELb1EsNS0_19identity_decomposerEEEEE10hipError_tT0_T1_T2_jT3_P12ihipStream_tbPNSt15iterator_traitsISI_E10value_typeEPNSO_ISJ_E10value_typeEPSK_NS1_7vsmem_tEENKUlT_SI_SJ_SK_E_clISD_PsSD_S10_EESH_SX_SI_SJ_SK_EUlSX_E_NS1_11comp_targetILNS1_3genE0ELNS1_11target_archE4294967295ELNS1_3gpuE0ELNS1_3repE0EEENS1_48merge_mergepath_partition_config_static_selectorELNS0_4arch9wavefront6targetE1EEEvSJ_,comdat
.Lfunc_end1591:
	.size	_ZN7rocprim17ROCPRIM_400000_NS6detail17trampoline_kernelINS0_14default_configENS1_38merge_sort_block_merge_config_selectorIssEEZZNS1_27merge_sort_block_merge_implIS3_N6thrust23THRUST_200600_302600_NS6detail15normal_iteratorINS8_10device_ptrIsEEEESD_jNS1_19radix_merge_compareILb0ELb1EsNS0_19identity_decomposerEEEEE10hipError_tT0_T1_T2_jT3_P12ihipStream_tbPNSt15iterator_traitsISI_E10value_typeEPNSO_ISJ_E10value_typeEPSK_NS1_7vsmem_tEENKUlT_SI_SJ_SK_E_clISD_PsSD_S10_EESH_SX_SI_SJ_SK_EUlSX_E_NS1_11comp_targetILNS1_3genE0ELNS1_11target_archE4294967295ELNS1_3gpuE0ELNS1_3repE0EEENS1_48merge_mergepath_partition_config_static_selectorELNS0_4arch9wavefront6targetE1EEEvSJ_, .Lfunc_end1591-_ZN7rocprim17ROCPRIM_400000_NS6detail17trampoline_kernelINS0_14default_configENS1_38merge_sort_block_merge_config_selectorIssEEZZNS1_27merge_sort_block_merge_implIS3_N6thrust23THRUST_200600_302600_NS6detail15normal_iteratorINS8_10device_ptrIsEEEESD_jNS1_19radix_merge_compareILb0ELb1EsNS0_19identity_decomposerEEEEE10hipError_tT0_T1_T2_jT3_P12ihipStream_tbPNSt15iterator_traitsISI_E10value_typeEPNSO_ISJ_E10value_typeEPSK_NS1_7vsmem_tEENKUlT_SI_SJ_SK_E_clISD_PsSD_S10_EESH_SX_SI_SJ_SK_EUlSX_E_NS1_11comp_targetILNS1_3genE0ELNS1_11target_archE4294967295ELNS1_3gpuE0ELNS1_3repE0EEENS1_48merge_mergepath_partition_config_static_selectorELNS0_4arch9wavefront6targetE1EEEvSJ_
                                        ; -- End function
	.set _ZN7rocprim17ROCPRIM_400000_NS6detail17trampoline_kernelINS0_14default_configENS1_38merge_sort_block_merge_config_selectorIssEEZZNS1_27merge_sort_block_merge_implIS3_N6thrust23THRUST_200600_302600_NS6detail15normal_iteratorINS8_10device_ptrIsEEEESD_jNS1_19radix_merge_compareILb0ELb1EsNS0_19identity_decomposerEEEEE10hipError_tT0_T1_T2_jT3_P12ihipStream_tbPNSt15iterator_traitsISI_E10value_typeEPNSO_ISJ_E10value_typeEPSK_NS1_7vsmem_tEENKUlT_SI_SJ_SK_E_clISD_PsSD_S10_EESH_SX_SI_SJ_SK_EUlSX_E_NS1_11comp_targetILNS1_3genE0ELNS1_11target_archE4294967295ELNS1_3gpuE0ELNS1_3repE0EEENS1_48merge_mergepath_partition_config_static_selectorELNS0_4arch9wavefront6targetE1EEEvSJ_.num_vgpr, 17
	.set _ZN7rocprim17ROCPRIM_400000_NS6detail17trampoline_kernelINS0_14default_configENS1_38merge_sort_block_merge_config_selectorIssEEZZNS1_27merge_sort_block_merge_implIS3_N6thrust23THRUST_200600_302600_NS6detail15normal_iteratorINS8_10device_ptrIsEEEESD_jNS1_19radix_merge_compareILb0ELb1EsNS0_19identity_decomposerEEEEE10hipError_tT0_T1_T2_jT3_P12ihipStream_tbPNSt15iterator_traitsISI_E10value_typeEPNSO_ISJ_E10value_typeEPSK_NS1_7vsmem_tEENKUlT_SI_SJ_SK_E_clISD_PsSD_S10_EESH_SX_SI_SJ_SK_EUlSX_E_NS1_11comp_targetILNS1_3genE0ELNS1_11target_archE4294967295ELNS1_3gpuE0ELNS1_3repE0EEENS1_48merge_mergepath_partition_config_static_selectorELNS0_4arch9wavefront6targetE1EEEvSJ_.num_agpr, 0
	.set _ZN7rocprim17ROCPRIM_400000_NS6detail17trampoline_kernelINS0_14default_configENS1_38merge_sort_block_merge_config_selectorIssEEZZNS1_27merge_sort_block_merge_implIS3_N6thrust23THRUST_200600_302600_NS6detail15normal_iteratorINS8_10device_ptrIsEEEESD_jNS1_19radix_merge_compareILb0ELb1EsNS0_19identity_decomposerEEEEE10hipError_tT0_T1_T2_jT3_P12ihipStream_tbPNSt15iterator_traitsISI_E10value_typeEPNSO_ISJ_E10value_typeEPSK_NS1_7vsmem_tEENKUlT_SI_SJ_SK_E_clISD_PsSD_S10_EESH_SX_SI_SJ_SK_EUlSX_E_NS1_11comp_targetILNS1_3genE0ELNS1_11target_archE4294967295ELNS1_3gpuE0ELNS1_3repE0EEENS1_48merge_mergepath_partition_config_static_selectorELNS0_4arch9wavefront6targetE1EEEvSJ_.numbered_sgpr, 10
	.set _ZN7rocprim17ROCPRIM_400000_NS6detail17trampoline_kernelINS0_14default_configENS1_38merge_sort_block_merge_config_selectorIssEEZZNS1_27merge_sort_block_merge_implIS3_N6thrust23THRUST_200600_302600_NS6detail15normal_iteratorINS8_10device_ptrIsEEEESD_jNS1_19radix_merge_compareILb0ELb1EsNS0_19identity_decomposerEEEEE10hipError_tT0_T1_T2_jT3_P12ihipStream_tbPNSt15iterator_traitsISI_E10value_typeEPNSO_ISJ_E10value_typeEPSK_NS1_7vsmem_tEENKUlT_SI_SJ_SK_E_clISD_PsSD_S10_EESH_SX_SI_SJ_SK_EUlSX_E_NS1_11comp_targetILNS1_3genE0ELNS1_11target_archE4294967295ELNS1_3gpuE0ELNS1_3repE0EEENS1_48merge_mergepath_partition_config_static_selectorELNS0_4arch9wavefront6targetE1EEEvSJ_.num_named_barrier, 0
	.set _ZN7rocprim17ROCPRIM_400000_NS6detail17trampoline_kernelINS0_14default_configENS1_38merge_sort_block_merge_config_selectorIssEEZZNS1_27merge_sort_block_merge_implIS3_N6thrust23THRUST_200600_302600_NS6detail15normal_iteratorINS8_10device_ptrIsEEEESD_jNS1_19radix_merge_compareILb0ELb1EsNS0_19identity_decomposerEEEEE10hipError_tT0_T1_T2_jT3_P12ihipStream_tbPNSt15iterator_traitsISI_E10value_typeEPNSO_ISJ_E10value_typeEPSK_NS1_7vsmem_tEENKUlT_SI_SJ_SK_E_clISD_PsSD_S10_EESH_SX_SI_SJ_SK_EUlSX_E_NS1_11comp_targetILNS1_3genE0ELNS1_11target_archE4294967295ELNS1_3gpuE0ELNS1_3repE0EEENS1_48merge_mergepath_partition_config_static_selectorELNS0_4arch9wavefront6targetE1EEEvSJ_.private_seg_size, 0
	.set _ZN7rocprim17ROCPRIM_400000_NS6detail17trampoline_kernelINS0_14default_configENS1_38merge_sort_block_merge_config_selectorIssEEZZNS1_27merge_sort_block_merge_implIS3_N6thrust23THRUST_200600_302600_NS6detail15normal_iteratorINS8_10device_ptrIsEEEESD_jNS1_19radix_merge_compareILb0ELb1EsNS0_19identity_decomposerEEEEE10hipError_tT0_T1_T2_jT3_P12ihipStream_tbPNSt15iterator_traitsISI_E10value_typeEPNSO_ISJ_E10value_typeEPSK_NS1_7vsmem_tEENKUlT_SI_SJ_SK_E_clISD_PsSD_S10_EESH_SX_SI_SJ_SK_EUlSX_E_NS1_11comp_targetILNS1_3genE0ELNS1_11target_archE4294967295ELNS1_3gpuE0ELNS1_3repE0EEENS1_48merge_mergepath_partition_config_static_selectorELNS0_4arch9wavefront6targetE1EEEvSJ_.uses_vcc, 1
	.set _ZN7rocprim17ROCPRIM_400000_NS6detail17trampoline_kernelINS0_14default_configENS1_38merge_sort_block_merge_config_selectorIssEEZZNS1_27merge_sort_block_merge_implIS3_N6thrust23THRUST_200600_302600_NS6detail15normal_iteratorINS8_10device_ptrIsEEEESD_jNS1_19radix_merge_compareILb0ELb1EsNS0_19identity_decomposerEEEEE10hipError_tT0_T1_T2_jT3_P12ihipStream_tbPNSt15iterator_traitsISI_E10value_typeEPNSO_ISJ_E10value_typeEPSK_NS1_7vsmem_tEENKUlT_SI_SJ_SK_E_clISD_PsSD_S10_EESH_SX_SI_SJ_SK_EUlSX_E_NS1_11comp_targetILNS1_3genE0ELNS1_11target_archE4294967295ELNS1_3gpuE0ELNS1_3repE0EEENS1_48merge_mergepath_partition_config_static_selectorELNS0_4arch9wavefront6targetE1EEEvSJ_.uses_flat_scratch, 0
	.set _ZN7rocprim17ROCPRIM_400000_NS6detail17trampoline_kernelINS0_14default_configENS1_38merge_sort_block_merge_config_selectorIssEEZZNS1_27merge_sort_block_merge_implIS3_N6thrust23THRUST_200600_302600_NS6detail15normal_iteratorINS8_10device_ptrIsEEEESD_jNS1_19radix_merge_compareILb0ELb1EsNS0_19identity_decomposerEEEEE10hipError_tT0_T1_T2_jT3_P12ihipStream_tbPNSt15iterator_traitsISI_E10value_typeEPNSO_ISJ_E10value_typeEPSK_NS1_7vsmem_tEENKUlT_SI_SJ_SK_E_clISD_PsSD_S10_EESH_SX_SI_SJ_SK_EUlSX_E_NS1_11comp_targetILNS1_3genE0ELNS1_11target_archE4294967295ELNS1_3gpuE0ELNS1_3repE0EEENS1_48merge_mergepath_partition_config_static_selectorELNS0_4arch9wavefront6targetE1EEEvSJ_.has_dyn_sized_stack, 0
	.set _ZN7rocprim17ROCPRIM_400000_NS6detail17trampoline_kernelINS0_14default_configENS1_38merge_sort_block_merge_config_selectorIssEEZZNS1_27merge_sort_block_merge_implIS3_N6thrust23THRUST_200600_302600_NS6detail15normal_iteratorINS8_10device_ptrIsEEEESD_jNS1_19radix_merge_compareILb0ELb1EsNS0_19identity_decomposerEEEEE10hipError_tT0_T1_T2_jT3_P12ihipStream_tbPNSt15iterator_traitsISI_E10value_typeEPNSO_ISJ_E10value_typeEPSK_NS1_7vsmem_tEENKUlT_SI_SJ_SK_E_clISD_PsSD_S10_EESH_SX_SI_SJ_SK_EUlSX_E_NS1_11comp_targetILNS1_3genE0ELNS1_11target_archE4294967295ELNS1_3gpuE0ELNS1_3repE0EEENS1_48merge_mergepath_partition_config_static_selectorELNS0_4arch9wavefront6targetE1EEEvSJ_.has_recursion, 0
	.set _ZN7rocprim17ROCPRIM_400000_NS6detail17trampoline_kernelINS0_14default_configENS1_38merge_sort_block_merge_config_selectorIssEEZZNS1_27merge_sort_block_merge_implIS3_N6thrust23THRUST_200600_302600_NS6detail15normal_iteratorINS8_10device_ptrIsEEEESD_jNS1_19radix_merge_compareILb0ELb1EsNS0_19identity_decomposerEEEEE10hipError_tT0_T1_T2_jT3_P12ihipStream_tbPNSt15iterator_traitsISI_E10value_typeEPNSO_ISJ_E10value_typeEPSK_NS1_7vsmem_tEENKUlT_SI_SJ_SK_E_clISD_PsSD_S10_EESH_SX_SI_SJ_SK_EUlSX_E_NS1_11comp_targetILNS1_3genE0ELNS1_11target_archE4294967295ELNS1_3gpuE0ELNS1_3repE0EEENS1_48merge_mergepath_partition_config_static_selectorELNS0_4arch9wavefront6targetE1EEEvSJ_.has_indirect_call, 0
	.section	.AMDGPU.csdata,"",@progbits
; Kernel info:
; codeLenInByte = 336
; TotalNumSgprs: 16
; NumVgprs: 17
; NumAgprs: 0
; TotalNumVgprs: 17
; ScratchSize: 0
; MemoryBound: 0
; FloatMode: 240
; IeeeMode: 1
; LDSByteSize: 0 bytes/workgroup (compile time only)
; SGPRBlocks: 1
; VGPRBlocks: 2
; NumSGPRsForWavesPerEU: 16
; NumVGPRsForWavesPerEU: 17
; AccumOffset: 20
; Occupancy: 8
; WaveLimiterHint : 0
; COMPUTE_PGM_RSRC2:SCRATCH_EN: 0
; COMPUTE_PGM_RSRC2:USER_SGPR: 2
; COMPUTE_PGM_RSRC2:TRAP_HANDLER: 0
; COMPUTE_PGM_RSRC2:TGID_X_EN: 1
; COMPUTE_PGM_RSRC2:TGID_Y_EN: 0
; COMPUTE_PGM_RSRC2:TGID_Z_EN: 0
; COMPUTE_PGM_RSRC2:TIDIG_COMP_CNT: 0
; COMPUTE_PGM_RSRC3_GFX90A:ACCUM_OFFSET: 4
; COMPUTE_PGM_RSRC3_GFX90A:TG_SPLIT: 0
	.section	.text._ZN7rocprim17ROCPRIM_400000_NS6detail17trampoline_kernelINS0_14default_configENS1_38merge_sort_block_merge_config_selectorIssEEZZNS1_27merge_sort_block_merge_implIS3_N6thrust23THRUST_200600_302600_NS6detail15normal_iteratorINS8_10device_ptrIsEEEESD_jNS1_19radix_merge_compareILb0ELb1EsNS0_19identity_decomposerEEEEE10hipError_tT0_T1_T2_jT3_P12ihipStream_tbPNSt15iterator_traitsISI_E10value_typeEPNSO_ISJ_E10value_typeEPSK_NS1_7vsmem_tEENKUlT_SI_SJ_SK_E_clISD_PsSD_S10_EESH_SX_SI_SJ_SK_EUlSX_E_NS1_11comp_targetILNS1_3genE10ELNS1_11target_archE1201ELNS1_3gpuE5ELNS1_3repE0EEENS1_48merge_mergepath_partition_config_static_selectorELNS0_4arch9wavefront6targetE1EEEvSJ_,"axG",@progbits,_ZN7rocprim17ROCPRIM_400000_NS6detail17trampoline_kernelINS0_14default_configENS1_38merge_sort_block_merge_config_selectorIssEEZZNS1_27merge_sort_block_merge_implIS3_N6thrust23THRUST_200600_302600_NS6detail15normal_iteratorINS8_10device_ptrIsEEEESD_jNS1_19radix_merge_compareILb0ELb1EsNS0_19identity_decomposerEEEEE10hipError_tT0_T1_T2_jT3_P12ihipStream_tbPNSt15iterator_traitsISI_E10value_typeEPNSO_ISJ_E10value_typeEPSK_NS1_7vsmem_tEENKUlT_SI_SJ_SK_E_clISD_PsSD_S10_EESH_SX_SI_SJ_SK_EUlSX_E_NS1_11comp_targetILNS1_3genE10ELNS1_11target_archE1201ELNS1_3gpuE5ELNS1_3repE0EEENS1_48merge_mergepath_partition_config_static_selectorELNS0_4arch9wavefront6targetE1EEEvSJ_,comdat
	.protected	_ZN7rocprim17ROCPRIM_400000_NS6detail17trampoline_kernelINS0_14default_configENS1_38merge_sort_block_merge_config_selectorIssEEZZNS1_27merge_sort_block_merge_implIS3_N6thrust23THRUST_200600_302600_NS6detail15normal_iteratorINS8_10device_ptrIsEEEESD_jNS1_19radix_merge_compareILb0ELb1EsNS0_19identity_decomposerEEEEE10hipError_tT0_T1_T2_jT3_P12ihipStream_tbPNSt15iterator_traitsISI_E10value_typeEPNSO_ISJ_E10value_typeEPSK_NS1_7vsmem_tEENKUlT_SI_SJ_SK_E_clISD_PsSD_S10_EESH_SX_SI_SJ_SK_EUlSX_E_NS1_11comp_targetILNS1_3genE10ELNS1_11target_archE1201ELNS1_3gpuE5ELNS1_3repE0EEENS1_48merge_mergepath_partition_config_static_selectorELNS0_4arch9wavefront6targetE1EEEvSJ_ ; -- Begin function _ZN7rocprim17ROCPRIM_400000_NS6detail17trampoline_kernelINS0_14default_configENS1_38merge_sort_block_merge_config_selectorIssEEZZNS1_27merge_sort_block_merge_implIS3_N6thrust23THRUST_200600_302600_NS6detail15normal_iteratorINS8_10device_ptrIsEEEESD_jNS1_19radix_merge_compareILb0ELb1EsNS0_19identity_decomposerEEEEE10hipError_tT0_T1_T2_jT3_P12ihipStream_tbPNSt15iterator_traitsISI_E10value_typeEPNSO_ISJ_E10value_typeEPSK_NS1_7vsmem_tEENKUlT_SI_SJ_SK_E_clISD_PsSD_S10_EESH_SX_SI_SJ_SK_EUlSX_E_NS1_11comp_targetILNS1_3genE10ELNS1_11target_archE1201ELNS1_3gpuE5ELNS1_3repE0EEENS1_48merge_mergepath_partition_config_static_selectorELNS0_4arch9wavefront6targetE1EEEvSJ_
	.globl	_ZN7rocprim17ROCPRIM_400000_NS6detail17trampoline_kernelINS0_14default_configENS1_38merge_sort_block_merge_config_selectorIssEEZZNS1_27merge_sort_block_merge_implIS3_N6thrust23THRUST_200600_302600_NS6detail15normal_iteratorINS8_10device_ptrIsEEEESD_jNS1_19radix_merge_compareILb0ELb1EsNS0_19identity_decomposerEEEEE10hipError_tT0_T1_T2_jT3_P12ihipStream_tbPNSt15iterator_traitsISI_E10value_typeEPNSO_ISJ_E10value_typeEPSK_NS1_7vsmem_tEENKUlT_SI_SJ_SK_E_clISD_PsSD_S10_EESH_SX_SI_SJ_SK_EUlSX_E_NS1_11comp_targetILNS1_3genE10ELNS1_11target_archE1201ELNS1_3gpuE5ELNS1_3repE0EEENS1_48merge_mergepath_partition_config_static_selectorELNS0_4arch9wavefront6targetE1EEEvSJ_
	.p2align	8
	.type	_ZN7rocprim17ROCPRIM_400000_NS6detail17trampoline_kernelINS0_14default_configENS1_38merge_sort_block_merge_config_selectorIssEEZZNS1_27merge_sort_block_merge_implIS3_N6thrust23THRUST_200600_302600_NS6detail15normal_iteratorINS8_10device_ptrIsEEEESD_jNS1_19radix_merge_compareILb0ELb1EsNS0_19identity_decomposerEEEEE10hipError_tT0_T1_T2_jT3_P12ihipStream_tbPNSt15iterator_traitsISI_E10value_typeEPNSO_ISJ_E10value_typeEPSK_NS1_7vsmem_tEENKUlT_SI_SJ_SK_E_clISD_PsSD_S10_EESH_SX_SI_SJ_SK_EUlSX_E_NS1_11comp_targetILNS1_3genE10ELNS1_11target_archE1201ELNS1_3gpuE5ELNS1_3repE0EEENS1_48merge_mergepath_partition_config_static_selectorELNS0_4arch9wavefront6targetE1EEEvSJ_,@function
_ZN7rocprim17ROCPRIM_400000_NS6detail17trampoline_kernelINS0_14default_configENS1_38merge_sort_block_merge_config_selectorIssEEZZNS1_27merge_sort_block_merge_implIS3_N6thrust23THRUST_200600_302600_NS6detail15normal_iteratorINS8_10device_ptrIsEEEESD_jNS1_19radix_merge_compareILb0ELb1EsNS0_19identity_decomposerEEEEE10hipError_tT0_T1_T2_jT3_P12ihipStream_tbPNSt15iterator_traitsISI_E10value_typeEPNSO_ISJ_E10value_typeEPSK_NS1_7vsmem_tEENKUlT_SI_SJ_SK_E_clISD_PsSD_S10_EESH_SX_SI_SJ_SK_EUlSX_E_NS1_11comp_targetILNS1_3genE10ELNS1_11target_archE1201ELNS1_3gpuE5ELNS1_3repE0EEENS1_48merge_mergepath_partition_config_static_selectorELNS0_4arch9wavefront6targetE1EEEvSJ_: ; @_ZN7rocprim17ROCPRIM_400000_NS6detail17trampoline_kernelINS0_14default_configENS1_38merge_sort_block_merge_config_selectorIssEEZZNS1_27merge_sort_block_merge_implIS3_N6thrust23THRUST_200600_302600_NS6detail15normal_iteratorINS8_10device_ptrIsEEEESD_jNS1_19radix_merge_compareILb0ELb1EsNS0_19identity_decomposerEEEEE10hipError_tT0_T1_T2_jT3_P12ihipStream_tbPNSt15iterator_traitsISI_E10value_typeEPNSO_ISJ_E10value_typeEPSK_NS1_7vsmem_tEENKUlT_SI_SJ_SK_E_clISD_PsSD_S10_EESH_SX_SI_SJ_SK_EUlSX_E_NS1_11comp_targetILNS1_3genE10ELNS1_11target_archE1201ELNS1_3gpuE5ELNS1_3repE0EEENS1_48merge_mergepath_partition_config_static_selectorELNS0_4arch9wavefront6targetE1EEEvSJ_
; %bb.0:
	.section	.rodata,"a",@progbits
	.p2align	6, 0x0
	.amdhsa_kernel _ZN7rocprim17ROCPRIM_400000_NS6detail17trampoline_kernelINS0_14default_configENS1_38merge_sort_block_merge_config_selectorIssEEZZNS1_27merge_sort_block_merge_implIS3_N6thrust23THRUST_200600_302600_NS6detail15normal_iteratorINS8_10device_ptrIsEEEESD_jNS1_19radix_merge_compareILb0ELb1EsNS0_19identity_decomposerEEEEE10hipError_tT0_T1_T2_jT3_P12ihipStream_tbPNSt15iterator_traitsISI_E10value_typeEPNSO_ISJ_E10value_typeEPSK_NS1_7vsmem_tEENKUlT_SI_SJ_SK_E_clISD_PsSD_S10_EESH_SX_SI_SJ_SK_EUlSX_E_NS1_11comp_targetILNS1_3genE10ELNS1_11target_archE1201ELNS1_3gpuE5ELNS1_3repE0EEENS1_48merge_mergepath_partition_config_static_selectorELNS0_4arch9wavefront6targetE1EEEvSJ_
		.amdhsa_group_segment_fixed_size 0
		.amdhsa_private_segment_fixed_size 0
		.amdhsa_kernarg_size 40
		.amdhsa_user_sgpr_count 2
		.amdhsa_user_sgpr_dispatch_ptr 0
		.amdhsa_user_sgpr_queue_ptr 0
		.amdhsa_user_sgpr_kernarg_segment_ptr 1
		.amdhsa_user_sgpr_dispatch_id 0
		.amdhsa_user_sgpr_kernarg_preload_length 0
		.amdhsa_user_sgpr_kernarg_preload_offset 0
		.amdhsa_user_sgpr_private_segment_size 0
		.amdhsa_uses_dynamic_stack 0
		.amdhsa_enable_private_segment 0
		.amdhsa_system_sgpr_workgroup_id_x 1
		.amdhsa_system_sgpr_workgroup_id_y 0
		.amdhsa_system_sgpr_workgroup_id_z 0
		.amdhsa_system_sgpr_workgroup_info 0
		.amdhsa_system_vgpr_workitem_id 0
		.amdhsa_next_free_vgpr 1
		.amdhsa_next_free_sgpr 0
		.amdhsa_accum_offset 4
		.amdhsa_reserve_vcc 0
		.amdhsa_float_round_mode_32 0
		.amdhsa_float_round_mode_16_64 0
		.amdhsa_float_denorm_mode_32 3
		.amdhsa_float_denorm_mode_16_64 3
		.amdhsa_dx10_clamp 1
		.amdhsa_ieee_mode 1
		.amdhsa_fp16_overflow 0
		.amdhsa_tg_split 0
		.amdhsa_exception_fp_ieee_invalid_op 0
		.amdhsa_exception_fp_denorm_src 0
		.amdhsa_exception_fp_ieee_div_zero 0
		.amdhsa_exception_fp_ieee_overflow 0
		.amdhsa_exception_fp_ieee_underflow 0
		.amdhsa_exception_fp_ieee_inexact 0
		.amdhsa_exception_int_div_zero 0
	.end_amdhsa_kernel
	.section	.text._ZN7rocprim17ROCPRIM_400000_NS6detail17trampoline_kernelINS0_14default_configENS1_38merge_sort_block_merge_config_selectorIssEEZZNS1_27merge_sort_block_merge_implIS3_N6thrust23THRUST_200600_302600_NS6detail15normal_iteratorINS8_10device_ptrIsEEEESD_jNS1_19radix_merge_compareILb0ELb1EsNS0_19identity_decomposerEEEEE10hipError_tT0_T1_T2_jT3_P12ihipStream_tbPNSt15iterator_traitsISI_E10value_typeEPNSO_ISJ_E10value_typeEPSK_NS1_7vsmem_tEENKUlT_SI_SJ_SK_E_clISD_PsSD_S10_EESH_SX_SI_SJ_SK_EUlSX_E_NS1_11comp_targetILNS1_3genE10ELNS1_11target_archE1201ELNS1_3gpuE5ELNS1_3repE0EEENS1_48merge_mergepath_partition_config_static_selectorELNS0_4arch9wavefront6targetE1EEEvSJ_,"axG",@progbits,_ZN7rocprim17ROCPRIM_400000_NS6detail17trampoline_kernelINS0_14default_configENS1_38merge_sort_block_merge_config_selectorIssEEZZNS1_27merge_sort_block_merge_implIS3_N6thrust23THRUST_200600_302600_NS6detail15normal_iteratorINS8_10device_ptrIsEEEESD_jNS1_19radix_merge_compareILb0ELb1EsNS0_19identity_decomposerEEEEE10hipError_tT0_T1_T2_jT3_P12ihipStream_tbPNSt15iterator_traitsISI_E10value_typeEPNSO_ISJ_E10value_typeEPSK_NS1_7vsmem_tEENKUlT_SI_SJ_SK_E_clISD_PsSD_S10_EESH_SX_SI_SJ_SK_EUlSX_E_NS1_11comp_targetILNS1_3genE10ELNS1_11target_archE1201ELNS1_3gpuE5ELNS1_3repE0EEENS1_48merge_mergepath_partition_config_static_selectorELNS0_4arch9wavefront6targetE1EEEvSJ_,comdat
.Lfunc_end1592:
	.size	_ZN7rocprim17ROCPRIM_400000_NS6detail17trampoline_kernelINS0_14default_configENS1_38merge_sort_block_merge_config_selectorIssEEZZNS1_27merge_sort_block_merge_implIS3_N6thrust23THRUST_200600_302600_NS6detail15normal_iteratorINS8_10device_ptrIsEEEESD_jNS1_19radix_merge_compareILb0ELb1EsNS0_19identity_decomposerEEEEE10hipError_tT0_T1_T2_jT3_P12ihipStream_tbPNSt15iterator_traitsISI_E10value_typeEPNSO_ISJ_E10value_typeEPSK_NS1_7vsmem_tEENKUlT_SI_SJ_SK_E_clISD_PsSD_S10_EESH_SX_SI_SJ_SK_EUlSX_E_NS1_11comp_targetILNS1_3genE10ELNS1_11target_archE1201ELNS1_3gpuE5ELNS1_3repE0EEENS1_48merge_mergepath_partition_config_static_selectorELNS0_4arch9wavefront6targetE1EEEvSJ_, .Lfunc_end1592-_ZN7rocprim17ROCPRIM_400000_NS6detail17trampoline_kernelINS0_14default_configENS1_38merge_sort_block_merge_config_selectorIssEEZZNS1_27merge_sort_block_merge_implIS3_N6thrust23THRUST_200600_302600_NS6detail15normal_iteratorINS8_10device_ptrIsEEEESD_jNS1_19radix_merge_compareILb0ELb1EsNS0_19identity_decomposerEEEEE10hipError_tT0_T1_T2_jT3_P12ihipStream_tbPNSt15iterator_traitsISI_E10value_typeEPNSO_ISJ_E10value_typeEPSK_NS1_7vsmem_tEENKUlT_SI_SJ_SK_E_clISD_PsSD_S10_EESH_SX_SI_SJ_SK_EUlSX_E_NS1_11comp_targetILNS1_3genE10ELNS1_11target_archE1201ELNS1_3gpuE5ELNS1_3repE0EEENS1_48merge_mergepath_partition_config_static_selectorELNS0_4arch9wavefront6targetE1EEEvSJ_
                                        ; -- End function
	.set _ZN7rocprim17ROCPRIM_400000_NS6detail17trampoline_kernelINS0_14default_configENS1_38merge_sort_block_merge_config_selectorIssEEZZNS1_27merge_sort_block_merge_implIS3_N6thrust23THRUST_200600_302600_NS6detail15normal_iteratorINS8_10device_ptrIsEEEESD_jNS1_19radix_merge_compareILb0ELb1EsNS0_19identity_decomposerEEEEE10hipError_tT0_T1_T2_jT3_P12ihipStream_tbPNSt15iterator_traitsISI_E10value_typeEPNSO_ISJ_E10value_typeEPSK_NS1_7vsmem_tEENKUlT_SI_SJ_SK_E_clISD_PsSD_S10_EESH_SX_SI_SJ_SK_EUlSX_E_NS1_11comp_targetILNS1_3genE10ELNS1_11target_archE1201ELNS1_3gpuE5ELNS1_3repE0EEENS1_48merge_mergepath_partition_config_static_selectorELNS0_4arch9wavefront6targetE1EEEvSJ_.num_vgpr, 0
	.set _ZN7rocprim17ROCPRIM_400000_NS6detail17trampoline_kernelINS0_14default_configENS1_38merge_sort_block_merge_config_selectorIssEEZZNS1_27merge_sort_block_merge_implIS3_N6thrust23THRUST_200600_302600_NS6detail15normal_iteratorINS8_10device_ptrIsEEEESD_jNS1_19radix_merge_compareILb0ELb1EsNS0_19identity_decomposerEEEEE10hipError_tT0_T1_T2_jT3_P12ihipStream_tbPNSt15iterator_traitsISI_E10value_typeEPNSO_ISJ_E10value_typeEPSK_NS1_7vsmem_tEENKUlT_SI_SJ_SK_E_clISD_PsSD_S10_EESH_SX_SI_SJ_SK_EUlSX_E_NS1_11comp_targetILNS1_3genE10ELNS1_11target_archE1201ELNS1_3gpuE5ELNS1_3repE0EEENS1_48merge_mergepath_partition_config_static_selectorELNS0_4arch9wavefront6targetE1EEEvSJ_.num_agpr, 0
	.set _ZN7rocprim17ROCPRIM_400000_NS6detail17trampoline_kernelINS0_14default_configENS1_38merge_sort_block_merge_config_selectorIssEEZZNS1_27merge_sort_block_merge_implIS3_N6thrust23THRUST_200600_302600_NS6detail15normal_iteratorINS8_10device_ptrIsEEEESD_jNS1_19radix_merge_compareILb0ELb1EsNS0_19identity_decomposerEEEEE10hipError_tT0_T1_T2_jT3_P12ihipStream_tbPNSt15iterator_traitsISI_E10value_typeEPNSO_ISJ_E10value_typeEPSK_NS1_7vsmem_tEENKUlT_SI_SJ_SK_E_clISD_PsSD_S10_EESH_SX_SI_SJ_SK_EUlSX_E_NS1_11comp_targetILNS1_3genE10ELNS1_11target_archE1201ELNS1_3gpuE5ELNS1_3repE0EEENS1_48merge_mergepath_partition_config_static_selectorELNS0_4arch9wavefront6targetE1EEEvSJ_.numbered_sgpr, 0
	.set _ZN7rocprim17ROCPRIM_400000_NS6detail17trampoline_kernelINS0_14default_configENS1_38merge_sort_block_merge_config_selectorIssEEZZNS1_27merge_sort_block_merge_implIS3_N6thrust23THRUST_200600_302600_NS6detail15normal_iteratorINS8_10device_ptrIsEEEESD_jNS1_19radix_merge_compareILb0ELb1EsNS0_19identity_decomposerEEEEE10hipError_tT0_T1_T2_jT3_P12ihipStream_tbPNSt15iterator_traitsISI_E10value_typeEPNSO_ISJ_E10value_typeEPSK_NS1_7vsmem_tEENKUlT_SI_SJ_SK_E_clISD_PsSD_S10_EESH_SX_SI_SJ_SK_EUlSX_E_NS1_11comp_targetILNS1_3genE10ELNS1_11target_archE1201ELNS1_3gpuE5ELNS1_3repE0EEENS1_48merge_mergepath_partition_config_static_selectorELNS0_4arch9wavefront6targetE1EEEvSJ_.num_named_barrier, 0
	.set _ZN7rocprim17ROCPRIM_400000_NS6detail17trampoline_kernelINS0_14default_configENS1_38merge_sort_block_merge_config_selectorIssEEZZNS1_27merge_sort_block_merge_implIS3_N6thrust23THRUST_200600_302600_NS6detail15normal_iteratorINS8_10device_ptrIsEEEESD_jNS1_19radix_merge_compareILb0ELb1EsNS0_19identity_decomposerEEEEE10hipError_tT0_T1_T2_jT3_P12ihipStream_tbPNSt15iterator_traitsISI_E10value_typeEPNSO_ISJ_E10value_typeEPSK_NS1_7vsmem_tEENKUlT_SI_SJ_SK_E_clISD_PsSD_S10_EESH_SX_SI_SJ_SK_EUlSX_E_NS1_11comp_targetILNS1_3genE10ELNS1_11target_archE1201ELNS1_3gpuE5ELNS1_3repE0EEENS1_48merge_mergepath_partition_config_static_selectorELNS0_4arch9wavefront6targetE1EEEvSJ_.private_seg_size, 0
	.set _ZN7rocprim17ROCPRIM_400000_NS6detail17trampoline_kernelINS0_14default_configENS1_38merge_sort_block_merge_config_selectorIssEEZZNS1_27merge_sort_block_merge_implIS3_N6thrust23THRUST_200600_302600_NS6detail15normal_iteratorINS8_10device_ptrIsEEEESD_jNS1_19radix_merge_compareILb0ELb1EsNS0_19identity_decomposerEEEEE10hipError_tT0_T1_T2_jT3_P12ihipStream_tbPNSt15iterator_traitsISI_E10value_typeEPNSO_ISJ_E10value_typeEPSK_NS1_7vsmem_tEENKUlT_SI_SJ_SK_E_clISD_PsSD_S10_EESH_SX_SI_SJ_SK_EUlSX_E_NS1_11comp_targetILNS1_3genE10ELNS1_11target_archE1201ELNS1_3gpuE5ELNS1_3repE0EEENS1_48merge_mergepath_partition_config_static_selectorELNS0_4arch9wavefront6targetE1EEEvSJ_.uses_vcc, 0
	.set _ZN7rocprim17ROCPRIM_400000_NS6detail17trampoline_kernelINS0_14default_configENS1_38merge_sort_block_merge_config_selectorIssEEZZNS1_27merge_sort_block_merge_implIS3_N6thrust23THRUST_200600_302600_NS6detail15normal_iteratorINS8_10device_ptrIsEEEESD_jNS1_19radix_merge_compareILb0ELb1EsNS0_19identity_decomposerEEEEE10hipError_tT0_T1_T2_jT3_P12ihipStream_tbPNSt15iterator_traitsISI_E10value_typeEPNSO_ISJ_E10value_typeEPSK_NS1_7vsmem_tEENKUlT_SI_SJ_SK_E_clISD_PsSD_S10_EESH_SX_SI_SJ_SK_EUlSX_E_NS1_11comp_targetILNS1_3genE10ELNS1_11target_archE1201ELNS1_3gpuE5ELNS1_3repE0EEENS1_48merge_mergepath_partition_config_static_selectorELNS0_4arch9wavefront6targetE1EEEvSJ_.uses_flat_scratch, 0
	.set _ZN7rocprim17ROCPRIM_400000_NS6detail17trampoline_kernelINS0_14default_configENS1_38merge_sort_block_merge_config_selectorIssEEZZNS1_27merge_sort_block_merge_implIS3_N6thrust23THRUST_200600_302600_NS6detail15normal_iteratorINS8_10device_ptrIsEEEESD_jNS1_19radix_merge_compareILb0ELb1EsNS0_19identity_decomposerEEEEE10hipError_tT0_T1_T2_jT3_P12ihipStream_tbPNSt15iterator_traitsISI_E10value_typeEPNSO_ISJ_E10value_typeEPSK_NS1_7vsmem_tEENKUlT_SI_SJ_SK_E_clISD_PsSD_S10_EESH_SX_SI_SJ_SK_EUlSX_E_NS1_11comp_targetILNS1_3genE10ELNS1_11target_archE1201ELNS1_3gpuE5ELNS1_3repE0EEENS1_48merge_mergepath_partition_config_static_selectorELNS0_4arch9wavefront6targetE1EEEvSJ_.has_dyn_sized_stack, 0
	.set _ZN7rocprim17ROCPRIM_400000_NS6detail17trampoline_kernelINS0_14default_configENS1_38merge_sort_block_merge_config_selectorIssEEZZNS1_27merge_sort_block_merge_implIS3_N6thrust23THRUST_200600_302600_NS6detail15normal_iteratorINS8_10device_ptrIsEEEESD_jNS1_19radix_merge_compareILb0ELb1EsNS0_19identity_decomposerEEEEE10hipError_tT0_T1_T2_jT3_P12ihipStream_tbPNSt15iterator_traitsISI_E10value_typeEPNSO_ISJ_E10value_typeEPSK_NS1_7vsmem_tEENKUlT_SI_SJ_SK_E_clISD_PsSD_S10_EESH_SX_SI_SJ_SK_EUlSX_E_NS1_11comp_targetILNS1_3genE10ELNS1_11target_archE1201ELNS1_3gpuE5ELNS1_3repE0EEENS1_48merge_mergepath_partition_config_static_selectorELNS0_4arch9wavefront6targetE1EEEvSJ_.has_recursion, 0
	.set _ZN7rocprim17ROCPRIM_400000_NS6detail17trampoline_kernelINS0_14default_configENS1_38merge_sort_block_merge_config_selectorIssEEZZNS1_27merge_sort_block_merge_implIS3_N6thrust23THRUST_200600_302600_NS6detail15normal_iteratorINS8_10device_ptrIsEEEESD_jNS1_19radix_merge_compareILb0ELb1EsNS0_19identity_decomposerEEEEE10hipError_tT0_T1_T2_jT3_P12ihipStream_tbPNSt15iterator_traitsISI_E10value_typeEPNSO_ISJ_E10value_typeEPSK_NS1_7vsmem_tEENKUlT_SI_SJ_SK_E_clISD_PsSD_S10_EESH_SX_SI_SJ_SK_EUlSX_E_NS1_11comp_targetILNS1_3genE10ELNS1_11target_archE1201ELNS1_3gpuE5ELNS1_3repE0EEENS1_48merge_mergepath_partition_config_static_selectorELNS0_4arch9wavefront6targetE1EEEvSJ_.has_indirect_call, 0
	.section	.AMDGPU.csdata,"",@progbits
; Kernel info:
; codeLenInByte = 0
; TotalNumSgprs: 6
; NumVgprs: 0
; NumAgprs: 0
; TotalNumVgprs: 0
; ScratchSize: 0
; MemoryBound: 0
; FloatMode: 240
; IeeeMode: 1
; LDSByteSize: 0 bytes/workgroup (compile time only)
; SGPRBlocks: 0
; VGPRBlocks: 0
; NumSGPRsForWavesPerEU: 6
; NumVGPRsForWavesPerEU: 1
; AccumOffset: 4
; Occupancy: 8
; WaveLimiterHint : 0
; COMPUTE_PGM_RSRC2:SCRATCH_EN: 0
; COMPUTE_PGM_RSRC2:USER_SGPR: 2
; COMPUTE_PGM_RSRC2:TRAP_HANDLER: 0
; COMPUTE_PGM_RSRC2:TGID_X_EN: 1
; COMPUTE_PGM_RSRC2:TGID_Y_EN: 0
; COMPUTE_PGM_RSRC2:TGID_Z_EN: 0
; COMPUTE_PGM_RSRC2:TIDIG_COMP_CNT: 0
; COMPUTE_PGM_RSRC3_GFX90A:ACCUM_OFFSET: 0
; COMPUTE_PGM_RSRC3_GFX90A:TG_SPLIT: 0
	.section	.text._ZN7rocprim17ROCPRIM_400000_NS6detail17trampoline_kernelINS0_14default_configENS1_38merge_sort_block_merge_config_selectorIssEEZZNS1_27merge_sort_block_merge_implIS3_N6thrust23THRUST_200600_302600_NS6detail15normal_iteratorINS8_10device_ptrIsEEEESD_jNS1_19radix_merge_compareILb0ELb1EsNS0_19identity_decomposerEEEEE10hipError_tT0_T1_T2_jT3_P12ihipStream_tbPNSt15iterator_traitsISI_E10value_typeEPNSO_ISJ_E10value_typeEPSK_NS1_7vsmem_tEENKUlT_SI_SJ_SK_E_clISD_PsSD_S10_EESH_SX_SI_SJ_SK_EUlSX_E_NS1_11comp_targetILNS1_3genE5ELNS1_11target_archE942ELNS1_3gpuE9ELNS1_3repE0EEENS1_48merge_mergepath_partition_config_static_selectorELNS0_4arch9wavefront6targetE1EEEvSJ_,"axG",@progbits,_ZN7rocprim17ROCPRIM_400000_NS6detail17trampoline_kernelINS0_14default_configENS1_38merge_sort_block_merge_config_selectorIssEEZZNS1_27merge_sort_block_merge_implIS3_N6thrust23THRUST_200600_302600_NS6detail15normal_iteratorINS8_10device_ptrIsEEEESD_jNS1_19radix_merge_compareILb0ELb1EsNS0_19identity_decomposerEEEEE10hipError_tT0_T1_T2_jT3_P12ihipStream_tbPNSt15iterator_traitsISI_E10value_typeEPNSO_ISJ_E10value_typeEPSK_NS1_7vsmem_tEENKUlT_SI_SJ_SK_E_clISD_PsSD_S10_EESH_SX_SI_SJ_SK_EUlSX_E_NS1_11comp_targetILNS1_3genE5ELNS1_11target_archE942ELNS1_3gpuE9ELNS1_3repE0EEENS1_48merge_mergepath_partition_config_static_selectorELNS0_4arch9wavefront6targetE1EEEvSJ_,comdat
	.protected	_ZN7rocprim17ROCPRIM_400000_NS6detail17trampoline_kernelINS0_14default_configENS1_38merge_sort_block_merge_config_selectorIssEEZZNS1_27merge_sort_block_merge_implIS3_N6thrust23THRUST_200600_302600_NS6detail15normal_iteratorINS8_10device_ptrIsEEEESD_jNS1_19radix_merge_compareILb0ELb1EsNS0_19identity_decomposerEEEEE10hipError_tT0_T1_T2_jT3_P12ihipStream_tbPNSt15iterator_traitsISI_E10value_typeEPNSO_ISJ_E10value_typeEPSK_NS1_7vsmem_tEENKUlT_SI_SJ_SK_E_clISD_PsSD_S10_EESH_SX_SI_SJ_SK_EUlSX_E_NS1_11comp_targetILNS1_3genE5ELNS1_11target_archE942ELNS1_3gpuE9ELNS1_3repE0EEENS1_48merge_mergepath_partition_config_static_selectorELNS0_4arch9wavefront6targetE1EEEvSJ_ ; -- Begin function _ZN7rocprim17ROCPRIM_400000_NS6detail17trampoline_kernelINS0_14default_configENS1_38merge_sort_block_merge_config_selectorIssEEZZNS1_27merge_sort_block_merge_implIS3_N6thrust23THRUST_200600_302600_NS6detail15normal_iteratorINS8_10device_ptrIsEEEESD_jNS1_19radix_merge_compareILb0ELb1EsNS0_19identity_decomposerEEEEE10hipError_tT0_T1_T2_jT3_P12ihipStream_tbPNSt15iterator_traitsISI_E10value_typeEPNSO_ISJ_E10value_typeEPSK_NS1_7vsmem_tEENKUlT_SI_SJ_SK_E_clISD_PsSD_S10_EESH_SX_SI_SJ_SK_EUlSX_E_NS1_11comp_targetILNS1_3genE5ELNS1_11target_archE942ELNS1_3gpuE9ELNS1_3repE0EEENS1_48merge_mergepath_partition_config_static_selectorELNS0_4arch9wavefront6targetE1EEEvSJ_
	.globl	_ZN7rocprim17ROCPRIM_400000_NS6detail17trampoline_kernelINS0_14default_configENS1_38merge_sort_block_merge_config_selectorIssEEZZNS1_27merge_sort_block_merge_implIS3_N6thrust23THRUST_200600_302600_NS6detail15normal_iteratorINS8_10device_ptrIsEEEESD_jNS1_19radix_merge_compareILb0ELb1EsNS0_19identity_decomposerEEEEE10hipError_tT0_T1_T2_jT3_P12ihipStream_tbPNSt15iterator_traitsISI_E10value_typeEPNSO_ISJ_E10value_typeEPSK_NS1_7vsmem_tEENKUlT_SI_SJ_SK_E_clISD_PsSD_S10_EESH_SX_SI_SJ_SK_EUlSX_E_NS1_11comp_targetILNS1_3genE5ELNS1_11target_archE942ELNS1_3gpuE9ELNS1_3repE0EEENS1_48merge_mergepath_partition_config_static_selectorELNS0_4arch9wavefront6targetE1EEEvSJ_
	.p2align	8
	.type	_ZN7rocprim17ROCPRIM_400000_NS6detail17trampoline_kernelINS0_14default_configENS1_38merge_sort_block_merge_config_selectorIssEEZZNS1_27merge_sort_block_merge_implIS3_N6thrust23THRUST_200600_302600_NS6detail15normal_iteratorINS8_10device_ptrIsEEEESD_jNS1_19radix_merge_compareILb0ELb1EsNS0_19identity_decomposerEEEEE10hipError_tT0_T1_T2_jT3_P12ihipStream_tbPNSt15iterator_traitsISI_E10value_typeEPNSO_ISJ_E10value_typeEPSK_NS1_7vsmem_tEENKUlT_SI_SJ_SK_E_clISD_PsSD_S10_EESH_SX_SI_SJ_SK_EUlSX_E_NS1_11comp_targetILNS1_3genE5ELNS1_11target_archE942ELNS1_3gpuE9ELNS1_3repE0EEENS1_48merge_mergepath_partition_config_static_selectorELNS0_4arch9wavefront6targetE1EEEvSJ_,@function
_ZN7rocprim17ROCPRIM_400000_NS6detail17trampoline_kernelINS0_14default_configENS1_38merge_sort_block_merge_config_selectorIssEEZZNS1_27merge_sort_block_merge_implIS3_N6thrust23THRUST_200600_302600_NS6detail15normal_iteratorINS8_10device_ptrIsEEEESD_jNS1_19radix_merge_compareILb0ELb1EsNS0_19identity_decomposerEEEEE10hipError_tT0_T1_T2_jT3_P12ihipStream_tbPNSt15iterator_traitsISI_E10value_typeEPNSO_ISJ_E10value_typeEPSK_NS1_7vsmem_tEENKUlT_SI_SJ_SK_E_clISD_PsSD_S10_EESH_SX_SI_SJ_SK_EUlSX_E_NS1_11comp_targetILNS1_3genE5ELNS1_11target_archE942ELNS1_3gpuE9ELNS1_3repE0EEENS1_48merge_mergepath_partition_config_static_selectorELNS0_4arch9wavefront6targetE1EEEvSJ_: ; @_ZN7rocprim17ROCPRIM_400000_NS6detail17trampoline_kernelINS0_14default_configENS1_38merge_sort_block_merge_config_selectorIssEEZZNS1_27merge_sort_block_merge_implIS3_N6thrust23THRUST_200600_302600_NS6detail15normal_iteratorINS8_10device_ptrIsEEEESD_jNS1_19radix_merge_compareILb0ELb1EsNS0_19identity_decomposerEEEEE10hipError_tT0_T1_T2_jT3_P12ihipStream_tbPNSt15iterator_traitsISI_E10value_typeEPNSO_ISJ_E10value_typeEPSK_NS1_7vsmem_tEENKUlT_SI_SJ_SK_E_clISD_PsSD_S10_EESH_SX_SI_SJ_SK_EUlSX_E_NS1_11comp_targetILNS1_3genE5ELNS1_11target_archE942ELNS1_3gpuE9ELNS1_3repE0EEENS1_48merge_mergepath_partition_config_static_selectorELNS0_4arch9wavefront6targetE1EEEvSJ_
; %bb.0:
	.section	.rodata,"a",@progbits
	.p2align	6, 0x0
	.amdhsa_kernel _ZN7rocprim17ROCPRIM_400000_NS6detail17trampoline_kernelINS0_14default_configENS1_38merge_sort_block_merge_config_selectorIssEEZZNS1_27merge_sort_block_merge_implIS3_N6thrust23THRUST_200600_302600_NS6detail15normal_iteratorINS8_10device_ptrIsEEEESD_jNS1_19radix_merge_compareILb0ELb1EsNS0_19identity_decomposerEEEEE10hipError_tT0_T1_T2_jT3_P12ihipStream_tbPNSt15iterator_traitsISI_E10value_typeEPNSO_ISJ_E10value_typeEPSK_NS1_7vsmem_tEENKUlT_SI_SJ_SK_E_clISD_PsSD_S10_EESH_SX_SI_SJ_SK_EUlSX_E_NS1_11comp_targetILNS1_3genE5ELNS1_11target_archE942ELNS1_3gpuE9ELNS1_3repE0EEENS1_48merge_mergepath_partition_config_static_selectorELNS0_4arch9wavefront6targetE1EEEvSJ_
		.amdhsa_group_segment_fixed_size 0
		.amdhsa_private_segment_fixed_size 0
		.amdhsa_kernarg_size 40
		.amdhsa_user_sgpr_count 2
		.amdhsa_user_sgpr_dispatch_ptr 0
		.amdhsa_user_sgpr_queue_ptr 0
		.amdhsa_user_sgpr_kernarg_segment_ptr 1
		.amdhsa_user_sgpr_dispatch_id 0
		.amdhsa_user_sgpr_kernarg_preload_length 0
		.amdhsa_user_sgpr_kernarg_preload_offset 0
		.amdhsa_user_sgpr_private_segment_size 0
		.amdhsa_uses_dynamic_stack 0
		.amdhsa_enable_private_segment 0
		.amdhsa_system_sgpr_workgroup_id_x 1
		.amdhsa_system_sgpr_workgroup_id_y 0
		.amdhsa_system_sgpr_workgroup_id_z 0
		.amdhsa_system_sgpr_workgroup_info 0
		.amdhsa_system_vgpr_workitem_id 0
		.amdhsa_next_free_vgpr 1
		.amdhsa_next_free_sgpr 0
		.amdhsa_accum_offset 4
		.amdhsa_reserve_vcc 0
		.amdhsa_float_round_mode_32 0
		.amdhsa_float_round_mode_16_64 0
		.amdhsa_float_denorm_mode_32 3
		.amdhsa_float_denorm_mode_16_64 3
		.amdhsa_dx10_clamp 1
		.amdhsa_ieee_mode 1
		.amdhsa_fp16_overflow 0
		.amdhsa_tg_split 0
		.amdhsa_exception_fp_ieee_invalid_op 0
		.amdhsa_exception_fp_denorm_src 0
		.amdhsa_exception_fp_ieee_div_zero 0
		.amdhsa_exception_fp_ieee_overflow 0
		.amdhsa_exception_fp_ieee_underflow 0
		.amdhsa_exception_fp_ieee_inexact 0
		.amdhsa_exception_int_div_zero 0
	.end_amdhsa_kernel
	.section	.text._ZN7rocprim17ROCPRIM_400000_NS6detail17trampoline_kernelINS0_14default_configENS1_38merge_sort_block_merge_config_selectorIssEEZZNS1_27merge_sort_block_merge_implIS3_N6thrust23THRUST_200600_302600_NS6detail15normal_iteratorINS8_10device_ptrIsEEEESD_jNS1_19radix_merge_compareILb0ELb1EsNS0_19identity_decomposerEEEEE10hipError_tT0_T1_T2_jT3_P12ihipStream_tbPNSt15iterator_traitsISI_E10value_typeEPNSO_ISJ_E10value_typeEPSK_NS1_7vsmem_tEENKUlT_SI_SJ_SK_E_clISD_PsSD_S10_EESH_SX_SI_SJ_SK_EUlSX_E_NS1_11comp_targetILNS1_3genE5ELNS1_11target_archE942ELNS1_3gpuE9ELNS1_3repE0EEENS1_48merge_mergepath_partition_config_static_selectorELNS0_4arch9wavefront6targetE1EEEvSJ_,"axG",@progbits,_ZN7rocprim17ROCPRIM_400000_NS6detail17trampoline_kernelINS0_14default_configENS1_38merge_sort_block_merge_config_selectorIssEEZZNS1_27merge_sort_block_merge_implIS3_N6thrust23THRUST_200600_302600_NS6detail15normal_iteratorINS8_10device_ptrIsEEEESD_jNS1_19radix_merge_compareILb0ELb1EsNS0_19identity_decomposerEEEEE10hipError_tT0_T1_T2_jT3_P12ihipStream_tbPNSt15iterator_traitsISI_E10value_typeEPNSO_ISJ_E10value_typeEPSK_NS1_7vsmem_tEENKUlT_SI_SJ_SK_E_clISD_PsSD_S10_EESH_SX_SI_SJ_SK_EUlSX_E_NS1_11comp_targetILNS1_3genE5ELNS1_11target_archE942ELNS1_3gpuE9ELNS1_3repE0EEENS1_48merge_mergepath_partition_config_static_selectorELNS0_4arch9wavefront6targetE1EEEvSJ_,comdat
.Lfunc_end1593:
	.size	_ZN7rocprim17ROCPRIM_400000_NS6detail17trampoline_kernelINS0_14default_configENS1_38merge_sort_block_merge_config_selectorIssEEZZNS1_27merge_sort_block_merge_implIS3_N6thrust23THRUST_200600_302600_NS6detail15normal_iteratorINS8_10device_ptrIsEEEESD_jNS1_19radix_merge_compareILb0ELb1EsNS0_19identity_decomposerEEEEE10hipError_tT0_T1_T2_jT3_P12ihipStream_tbPNSt15iterator_traitsISI_E10value_typeEPNSO_ISJ_E10value_typeEPSK_NS1_7vsmem_tEENKUlT_SI_SJ_SK_E_clISD_PsSD_S10_EESH_SX_SI_SJ_SK_EUlSX_E_NS1_11comp_targetILNS1_3genE5ELNS1_11target_archE942ELNS1_3gpuE9ELNS1_3repE0EEENS1_48merge_mergepath_partition_config_static_selectorELNS0_4arch9wavefront6targetE1EEEvSJ_, .Lfunc_end1593-_ZN7rocprim17ROCPRIM_400000_NS6detail17trampoline_kernelINS0_14default_configENS1_38merge_sort_block_merge_config_selectorIssEEZZNS1_27merge_sort_block_merge_implIS3_N6thrust23THRUST_200600_302600_NS6detail15normal_iteratorINS8_10device_ptrIsEEEESD_jNS1_19radix_merge_compareILb0ELb1EsNS0_19identity_decomposerEEEEE10hipError_tT0_T1_T2_jT3_P12ihipStream_tbPNSt15iterator_traitsISI_E10value_typeEPNSO_ISJ_E10value_typeEPSK_NS1_7vsmem_tEENKUlT_SI_SJ_SK_E_clISD_PsSD_S10_EESH_SX_SI_SJ_SK_EUlSX_E_NS1_11comp_targetILNS1_3genE5ELNS1_11target_archE942ELNS1_3gpuE9ELNS1_3repE0EEENS1_48merge_mergepath_partition_config_static_selectorELNS0_4arch9wavefront6targetE1EEEvSJ_
                                        ; -- End function
	.set _ZN7rocprim17ROCPRIM_400000_NS6detail17trampoline_kernelINS0_14default_configENS1_38merge_sort_block_merge_config_selectorIssEEZZNS1_27merge_sort_block_merge_implIS3_N6thrust23THRUST_200600_302600_NS6detail15normal_iteratorINS8_10device_ptrIsEEEESD_jNS1_19radix_merge_compareILb0ELb1EsNS0_19identity_decomposerEEEEE10hipError_tT0_T1_T2_jT3_P12ihipStream_tbPNSt15iterator_traitsISI_E10value_typeEPNSO_ISJ_E10value_typeEPSK_NS1_7vsmem_tEENKUlT_SI_SJ_SK_E_clISD_PsSD_S10_EESH_SX_SI_SJ_SK_EUlSX_E_NS1_11comp_targetILNS1_3genE5ELNS1_11target_archE942ELNS1_3gpuE9ELNS1_3repE0EEENS1_48merge_mergepath_partition_config_static_selectorELNS0_4arch9wavefront6targetE1EEEvSJ_.num_vgpr, 0
	.set _ZN7rocprim17ROCPRIM_400000_NS6detail17trampoline_kernelINS0_14default_configENS1_38merge_sort_block_merge_config_selectorIssEEZZNS1_27merge_sort_block_merge_implIS3_N6thrust23THRUST_200600_302600_NS6detail15normal_iteratorINS8_10device_ptrIsEEEESD_jNS1_19radix_merge_compareILb0ELb1EsNS0_19identity_decomposerEEEEE10hipError_tT0_T1_T2_jT3_P12ihipStream_tbPNSt15iterator_traitsISI_E10value_typeEPNSO_ISJ_E10value_typeEPSK_NS1_7vsmem_tEENKUlT_SI_SJ_SK_E_clISD_PsSD_S10_EESH_SX_SI_SJ_SK_EUlSX_E_NS1_11comp_targetILNS1_3genE5ELNS1_11target_archE942ELNS1_3gpuE9ELNS1_3repE0EEENS1_48merge_mergepath_partition_config_static_selectorELNS0_4arch9wavefront6targetE1EEEvSJ_.num_agpr, 0
	.set _ZN7rocprim17ROCPRIM_400000_NS6detail17trampoline_kernelINS0_14default_configENS1_38merge_sort_block_merge_config_selectorIssEEZZNS1_27merge_sort_block_merge_implIS3_N6thrust23THRUST_200600_302600_NS6detail15normal_iteratorINS8_10device_ptrIsEEEESD_jNS1_19radix_merge_compareILb0ELb1EsNS0_19identity_decomposerEEEEE10hipError_tT0_T1_T2_jT3_P12ihipStream_tbPNSt15iterator_traitsISI_E10value_typeEPNSO_ISJ_E10value_typeEPSK_NS1_7vsmem_tEENKUlT_SI_SJ_SK_E_clISD_PsSD_S10_EESH_SX_SI_SJ_SK_EUlSX_E_NS1_11comp_targetILNS1_3genE5ELNS1_11target_archE942ELNS1_3gpuE9ELNS1_3repE0EEENS1_48merge_mergepath_partition_config_static_selectorELNS0_4arch9wavefront6targetE1EEEvSJ_.numbered_sgpr, 0
	.set _ZN7rocprim17ROCPRIM_400000_NS6detail17trampoline_kernelINS0_14default_configENS1_38merge_sort_block_merge_config_selectorIssEEZZNS1_27merge_sort_block_merge_implIS3_N6thrust23THRUST_200600_302600_NS6detail15normal_iteratorINS8_10device_ptrIsEEEESD_jNS1_19radix_merge_compareILb0ELb1EsNS0_19identity_decomposerEEEEE10hipError_tT0_T1_T2_jT3_P12ihipStream_tbPNSt15iterator_traitsISI_E10value_typeEPNSO_ISJ_E10value_typeEPSK_NS1_7vsmem_tEENKUlT_SI_SJ_SK_E_clISD_PsSD_S10_EESH_SX_SI_SJ_SK_EUlSX_E_NS1_11comp_targetILNS1_3genE5ELNS1_11target_archE942ELNS1_3gpuE9ELNS1_3repE0EEENS1_48merge_mergepath_partition_config_static_selectorELNS0_4arch9wavefront6targetE1EEEvSJ_.num_named_barrier, 0
	.set _ZN7rocprim17ROCPRIM_400000_NS6detail17trampoline_kernelINS0_14default_configENS1_38merge_sort_block_merge_config_selectorIssEEZZNS1_27merge_sort_block_merge_implIS3_N6thrust23THRUST_200600_302600_NS6detail15normal_iteratorINS8_10device_ptrIsEEEESD_jNS1_19radix_merge_compareILb0ELb1EsNS0_19identity_decomposerEEEEE10hipError_tT0_T1_T2_jT3_P12ihipStream_tbPNSt15iterator_traitsISI_E10value_typeEPNSO_ISJ_E10value_typeEPSK_NS1_7vsmem_tEENKUlT_SI_SJ_SK_E_clISD_PsSD_S10_EESH_SX_SI_SJ_SK_EUlSX_E_NS1_11comp_targetILNS1_3genE5ELNS1_11target_archE942ELNS1_3gpuE9ELNS1_3repE0EEENS1_48merge_mergepath_partition_config_static_selectorELNS0_4arch9wavefront6targetE1EEEvSJ_.private_seg_size, 0
	.set _ZN7rocprim17ROCPRIM_400000_NS6detail17trampoline_kernelINS0_14default_configENS1_38merge_sort_block_merge_config_selectorIssEEZZNS1_27merge_sort_block_merge_implIS3_N6thrust23THRUST_200600_302600_NS6detail15normal_iteratorINS8_10device_ptrIsEEEESD_jNS1_19radix_merge_compareILb0ELb1EsNS0_19identity_decomposerEEEEE10hipError_tT0_T1_T2_jT3_P12ihipStream_tbPNSt15iterator_traitsISI_E10value_typeEPNSO_ISJ_E10value_typeEPSK_NS1_7vsmem_tEENKUlT_SI_SJ_SK_E_clISD_PsSD_S10_EESH_SX_SI_SJ_SK_EUlSX_E_NS1_11comp_targetILNS1_3genE5ELNS1_11target_archE942ELNS1_3gpuE9ELNS1_3repE0EEENS1_48merge_mergepath_partition_config_static_selectorELNS0_4arch9wavefront6targetE1EEEvSJ_.uses_vcc, 0
	.set _ZN7rocprim17ROCPRIM_400000_NS6detail17trampoline_kernelINS0_14default_configENS1_38merge_sort_block_merge_config_selectorIssEEZZNS1_27merge_sort_block_merge_implIS3_N6thrust23THRUST_200600_302600_NS6detail15normal_iteratorINS8_10device_ptrIsEEEESD_jNS1_19radix_merge_compareILb0ELb1EsNS0_19identity_decomposerEEEEE10hipError_tT0_T1_T2_jT3_P12ihipStream_tbPNSt15iterator_traitsISI_E10value_typeEPNSO_ISJ_E10value_typeEPSK_NS1_7vsmem_tEENKUlT_SI_SJ_SK_E_clISD_PsSD_S10_EESH_SX_SI_SJ_SK_EUlSX_E_NS1_11comp_targetILNS1_3genE5ELNS1_11target_archE942ELNS1_3gpuE9ELNS1_3repE0EEENS1_48merge_mergepath_partition_config_static_selectorELNS0_4arch9wavefront6targetE1EEEvSJ_.uses_flat_scratch, 0
	.set _ZN7rocprim17ROCPRIM_400000_NS6detail17trampoline_kernelINS0_14default_configENS1_38merge_sort_block_merge_config_selectorIssEEZZNS1_27merge_sort_block_merge_implIS3_N6thrust23THRUST_200600_302600_NS6detail15normal_iteratorINS8_10device_ptrIsEEEESD_jNS1_19radix_merge_compareILb0ELb1EsNS0_19identity_decomposerEEEEE10hipError_tT0_T1_T2_jT3_P12ihipStream_tbPNSt15iterator_traitsISI_E10value_typeEPNSO_ISJ_E10value_typeEPSK_NS1_7vsmem_tEENKUlT_SI_SJ_SK_E_clISD_PsSD_S10_EESH_SX_SI_SJ_SK_EUlSX_E_NS1_11comp_targetILNS1_3genE5ELNS1_11target_archE942ELNS1_3gpuE9ELNS1_3repE0EEENS1_48merge_mergepath_partition_config_static_selectorELNS0_4arch9wavefront6targetE1EEEvSJ_.has_dyn_sized_stack, 0
	.set _ZN7rocprim17ROCPRIM_400000_NS6detail17trampoline_kernelINS0_14default_configENS1_38merge_sort_block_merge_config_selectorIssEEZZNS1_27merge_sort_block_merge_implIS3_N6thrust23THRUST_200600_302600_NS6detail15normal_iteratorINS8_10device_ptrIsEEEESD_jNS1_19radix_merge_compareILb0ELb1EsNS0_19identity_decomposerEEEEE10hipError_tT0_T1_T2_jT3_P12ihipStream_tbPNSt15iterator_traitsISI_E10value_typeEPNSO_ISJ_E10value_typeEPSK_NS1_7vsmem_tEENKUlT_SI_SJ_SK_E_clISD_PsSD_S10_EESH_SX_SI_SJ_SK_EUlSX_E_NS1_11comp_targetILNS1_3genE5ELNS1_11target_archE942ELNS1_3gpuE9ELNS1_3repE0EEENS1_48merge_mergepath_partition_config_static_selectorELNS0_4arch9wavefront6targetE1EEEvSJ_.has_recursion, 0
	.set _ZN7rocprim17ROCPRIM_400000_NS6detail17trampoline_kernelINS0_14default_configENS1_38merge_sort_block_merge_config_selectorIssEEZZNS1_27merge_sort_block_merge_implIS3_N6thrust23THRUST_200600_302600_NS6detail15normal_iteratorINS8_10device_ptrIsEEEESD_jNS1_19radix_merge_compareILb0ELb1EsNS0_19identity_decomposerEEEEE10hipError_tT0_T1_T2_jT3_P12ihipStream_tbPNSt15iterator_traitsISI_E10value_typeEPNSO_ISJ_E10value_typeEPSK_NS1_7vsmem_tEENKUlT_SI_SJ_SK_E_clISD_PsSD_S10_EESH_SX_SI_SJ_SK_EUlSX_E_NS1_11comp_targetILNS1_3genE5ELNS1_11target_archE942ELNS1_3gpuE9ELNS1_3repE0EEENS1_48merge_mergepath_partition_config_static_selectorELNS0_4arch9wavefront6targetE1EEEvSJ_.has_indirect_call, 0
	.section	.AMDGPU.csdata,"",@progbits
; Kernel info:
; codeLenInByte = 0
; TotalNumSgprs: 6
; NumVgprs: 0
; NumAgprs: 0
; TotalNumVgprs: 0
; ScratchSize: 0
; MemoryBound: 0
; FloatMode: 240
; IeeeMode: 1
; LDSByteSize: 0 bytes/workgroup (compile time only)
; SGPRBlocks: 0
; VGPRBlocks: 0
; NumSGPRsForWavesPerEU: 6
; NumVGPRsForWavesPerEU: 1
; AccumOffset: 4
; Occupancy: 8
; WaveLimiterHint : 0
; COMPUTE_PGM_RSRC2:SCRATCH_EN: 0
; COMPUTE_PGM_RSRC2:USER_SGPR: 2
; COMPUTE_PGM_RSRC2:TRAP_HANDLER: 0
; COMPUTE_PGM_RSRC2:TGID_X_EN: 1
; COMPUTE_PGM_RSRC2:TGID_Y_EN: 0
; COMPUTE_PGM_RSRC2:TGID_Z_EN: 0
; COMPUTE_PGM_RSRC2:TIDIG_COMP_CNT: 0
; COMPUTE_PGM_RSRC3_GFX90A:ACCUM_OFFSET: 0
; COMPUTE_PGM_RSRC3_GFX90A:TG_SPLIT: 0
	.section	.text._ZN7rocprim17ROCPRIM_400000_NS6detail17trampoline_kernelINS0_14default_configENS1_38merge_sort_block_merge_config_selectorIssEEZZNS1_27merge_sort_block_merge_implIS3_N6thrust23THRUST_200600_302600_NS6detail15normal_iteratorINS8_10device_ptrIsEEEESD_jNS1_19radix_merge_compareILb0ELb1EsNS0_19identity_decomposerEEEEE10hipError_tT0_T1_T2_jT3_P12ihipStream_tbPNSt15iterator_traitsISI_E10value_typeEPNSO_ISJ_E10value_typeEPSK_NS1_7vsmem_tEENKUlT_SI_SJ_SK_E_clISD_PsSD_S10_EESH_SX_SI_SJ_SK_EUlSX_E_NS1_11comp_targetILNS1_3genE4ELNS1_11target_archE910ELNS1_3gpuE8ELNS1_3repE0EEENS1_48merge_mergepath_partition_config_static_selectorELNS0_4arch9wavefront6targetE1EEEvSJ_,"axG",@progbits,_ZN7rocprim17ROCPRIM_400000_NS6detail17trampoline_kernelINS0_14default_configENS1_38merge_sort_block_merge_config_selectorIssEEZZNS1_27merge_sort_block_merge_implIS3_N6thrust23THRUST_200600_302600_NS6detail15normal_iteratorINS8_10device_ptrIsEEEESD_jNS1_19radix_merge_compareILb0ELb1EsNS0_19identity_decomposerEEEEE10hipError_tT0_T1_T2_jT3_P12ihipStream_tbPNSt15iterator_traitsISI_E10value_typeEPNSO_ISJ_E10value_typeEPSK_NS1_7vsmem_tEENKUlT_SI_SJ_SK_E_clISD_PsSD_S10_EESH_SX_SI_SJ_SK_EUlSX_E_NS1_11comp_targetILNS1_3genE4ELNS1_11target_archE910ELNS1_3gpuE8ELNS1_3repE0EEENS1_48merge_mergepath_partition_config_static_selectorELNS0_4arch9wavefront6targetE1EEEvSJ_,comdat
	.protected	_ZN7rocprim17ROCPRIM_400000_NS6detail17trampoline_kernelINS0_14default_configENS1_38merge_sort_block_merge_config_selectorIssEEZZNS1_27merge_sort_block_merge_implIS3_N6thrust23THRUST_200600_302600_NS6detail15normal_iteratorINS8_10device_ptrIsEEEESD_jNS1_19radix_merge_compareILb0ELb1EsNS0_19identity_decomposerEEEEE10hipError_tT0_T1_T2_jT3_P12ihipStream_tbPNSt15iterator_traitsISI_E10value_typeEPNSO_ISJ_E10value_typeEPSK_NS1_7vsmem_tEENKUlT_SI_SJ_SK_E_clISD_PsSD_S10_EESH_SX_SI_SJ_SK_EUlSX_E_NS1_11comp_targetILNS1_3genE4ELNS1_11target_archE910ELNS1_3gpuE8ELNS1_3repE0EEENS1_48merge_mergepath_partition_config_static_selectorELNS0_4arch9wavefront6targetE1EEEvSJ_ ; -- Begin function _ZN7rocprim17ROCPRIM_400000_NS6detail17trampoline_kernelINS0_14default_configENS1_38merge_sort_block_merge_config_selectorIssEEZZNS1_27merge_sort_block_merge_implIS3_N6thrust23THRUST_200600_302600_NS6detail15normal_iteratorINS8_10device_ptrIsEEEESD_jNS1_19radix_merge_compareILb0ELb1EsNS0_19identity_decomposerEEEEE10hipError_tT0_T1_T2_jT3_P12ihipStream_tbPNSt15iterator_traitsISI_E10value_typeEPNSO_ISJ_E10value_typeEPSK_NS1_7vsmem_tEENKUlT_SI_SJ_SK_E_clISD_PsSD_S10_EESH_SX_SI_SJ_SK_EUlSX_E_NS1_11comp_targetILNS1_3genE4ELNS1_11target_archE910ELNS1_3gpuE8ELNS1_3repE0EEENS1_48merge_mergepath_partition_config_static_selectorELNS0_4arch9wavefront6targetE1EEEvSJ_
	.globl	_ZN7rocprim17ROCPRIM_400000_NS6detail17trampoline_kernelINS0_14default_configENS1_38merge_sort_block_merge_config_selectorIssEEZZNS1_27merge_sort_block_merge_implIS3_N6thrust23THRUST_200600_302600_NS6detail15normal_iteratorINS8_10device_ptrIsEEEESD_jNS1_19radix_merge_compareILb0ELb1EsNS0_19identity_decomposerEEEEE10hipError_tT0_T1_T2_jT3_P12ihipStream_tbPNSt15iterator_traitsISI_E10value_typeEPNSO_ISJ_E10value_typeEPSK_NS1_7vsmem_tEENKUlT_SI_SJ_SK_E_clISD_PsSD_S10_EESH_SX_SI_SJ_SK_EUlSX_E_NS1_11comp_targetILNS1_3genE4ELNS1_11target_archE910ELNS1_3gpuE8ELNS1_3repE0EEENS1_48merge_mergepath_partition_config_static_selectorELNS0_4arch9wavefront6targetE1EEEvSJ_
	.p2align	8
	.type	_ZN7rocprim17ROCPRIM_400000_NS6detail17trampoline_kernelINS0_14default_configENS1_38merge_sort_block_merge_config_selectorIssEEZZNS1_27merge_sort_block_merge_implIS3_N6thrust23THRUST_200600_302600_NS6detail15normal_iteratorINS8_10device_ptrIsEEEESD_jNS1_19radix_merge_compareILb0ELb1EsNS0_19identity_decomposerEEEEE10hipError_tT0_T1_T2_jT3_P12ihipStream_tbPNSt15iterator_traitsISI_E10value_typeEPNSO_ISJ_E10value_typeEPSK_NS1_7vsmem_tEENKUlT_SI_SJ_SK_E_clISD_PsSD_S10_EESH_SX_SI_SJ_SK_EUlSX_E_NS1_11comp_targetILNS1_3genE4ELNS1_11target_archE910ELNS1_3gpuE8ELNS1_3repE0EEENS1_48merge_mergepath_partition_config_static_selectorELNS0_4arch9wavefront6targetE1EEEvSJ_,@function
_ZN7rocprim17ROCPRIM_400000_NS6detail17trampoline_kernelINS0_14default_configENS1_38merge_sort_block_merge_config_selectorIssEEZZNS1_27merge_sort_block_merge_implIS3_N6thrust23THRUST_200600_302600_NS6detail15normal_iteratorINS8_10device_ptrIsEEEESD_jNS1_19radix_merge_compareILb0ELb1EsNS0_19identity_decomposerEEEEE10hipError_tT0_T1_T2_jT3_P12ihipStream_tbPNSt15iterator_traitsISI_E10value_typeEPNSO_ISJ_E10value_typeEPSK_NS1_7vsmem_tEENKUlT_SI_SJ_SK_E_clISD_PsSD_S10_EESH_SX_SI_SJ_SK_EUlSX_E_NS1_11comp_targetILNS1_3genE4ELNS1_11target_archE910ELNS1_3gpuE8ELNS1_3repE0EEENS1_48merge_mergepath_partition_config_static_selectorELNS0_4arch9wavefront6targetE1EEEvSJ_: ; @_ZN7rocprim17ROCPRIM_400000_NS6detail17trampoline_kernelINS0_14default_configENS1_38merge_sort_block_merge_config_selectorIssEEZZNS1_27merge_sort_block_merge_implIS3_N6thrust23THRUST_200600_302600_NS6detail15normal_iteratorINS8_10device_ptrIsEEEESD_jNS1_19radix_merge_compareILb0ELb1EsNS0_19identity_decomposerEEEEE10hipError_tT0_T1_T2_jT3_P12ihipStream_tbPNSt15iterator_traitsISI_E10value_typeEPNSO_ISJ_E10value_typeEPSK_NS1_7vsmem_tEENKUlT_SI_SJ_SK_E_clISD_PsSD_S10_EESH_SX_SI_SJ_SK_EUlSX_E_NS1_11comp_targetILNS1_3genE4ELNS1_11target_archE910ELNS1_3gpuE8ELNS1_3repE0EEENS1_48merge_mergepath_partition_config_static_selectorELNS0_4arch9wavefront6targetE1EEEvSJ_
; %bb.0:
	.section	.rodata,"a",@progbits
	.p2align	6, 0x0
	.amdhsa_kernel _ZN7rocprim17ROCPRIM_400000_NS6detail17trampoline_kernelINS0_14default_configENS1_38merge_sort_block_merge_config_selectorIssEEZZNS1_27merge_sort_block_merge_implIS3_N6thrust23THRUST_200600_302600_NS6detail15normal_iteratorINS8_10device_ptrIsEEEESD_jNS1_19radix_merge_compareILb0ELb1EsNS0_19identity_decomposerEEEEE10hipError_tT0_T1_T2_jT3_P12ihipStream_tbPNSt15iterator_traitsISI_E10value_typeEPNSO_ISJ_E10value_typeEPSK_NS1_7vsmem_tEENKUlT_SI_SJ_SK_E_clISD_PsSD_S10_EESH_SX_SI_SJ_SK_EUlSX_E_NS1_11comp_targetILNS1_3genE4ELNS1_11target_archE910ELNS1_3gpuE8ELNS1_3repE0EEENS1_48merge_mergepath_partition_config_static_selectorELNS0_4arch9wavefront6targetE1EEEvSJ_
		.amdhsa_group_segment_fixed_size 0
		.amdhsa_private_segment_fixed_size 0
		.amdhsa_kernarg_size 40
		.amdhsa_user_sgpr_count 2
		.amdhsa_user_sgpr_dispatch_ptr 0
		.amdhsa_user_sgpr_queue_ptr 0
		.amdhsa_user_sgpr_kernarg_segment_ptr 1
		.amdhsa_user_sgpr_dispatch_id 0
		.amdhsa_user_sgpr_kernarg_preload_length 0
		.amdhsa_user_sgpr_kernarg_preload_offset 0
		.amdhsa_user_sgpr_private_segment_size 0
		.amdhsa_uses_dynamic_stack 0
		.amdhsa_enable_private_segment 0
		.amdhsa_system_sgpr_workgroup_id_x 1
		.amdhsa_system_sgpr_workgroup_id_y 0
		.amdhsa_system_sgpr_workgroup_id_z 0
		.amdhsa_system_sgpr_workgroup_info 0
		.amdhsa_system_vgpr_workitem_id 0
		.amdhsa_next_free_vgpr 1
		.amdhsa_next_free_sgpr 0
		.amdhsa_accum_offset 4
		.amdhsa_reserve_vcc 0
		.amdhsa_float_round_mode_32 0
		.amdhsa_float_round_mode_16_64 0
		.amdhsa_float_denorm_mode_32 3
		.amdhsa_float_denorm_mode_16_64 3
		.amdhsa_dx10_clamp 1
		.amdhsa_ieee_mode 1
		.amdhsa_fp16_overflow 0
		.amdhsa_tg_split 0
		.amdhsa_exception_fp_ieee_invalid_op 0
		.amdhsa_exception_fp_denorm_src 0
		.amdhsa_exception_fp_ieee_div_zero 0
		.amdhsa_exception_fp_ieee_overflow 0
		.amdhsa_exception_fp_ieee_underflow 0
		.amdhsa_exception_fp_ieee_inexact 0
		.amdhsa_exception_int_div_zero 0
	.end_amdhsa_kernel
	.section	.text._ZN7rocprim17ROCPRIM_400000_NS6detail17trampoline_kernelINS0_14default_configENS1_38merge_sort_block_merge_config_selectorIssEEZZNS1_27merge_sort_block_merge_implIS3_N6thrust23THRUST_200600_302600_NS6detail15normal_iteratorINS8_10device_ptrIsEEEESD_jNS1_19radix_merge_compareILb0ELb1EsNS0_19identity_decomposerEEEEE10hipError_tT0_T1_T2_jT3_P12ihipStream_tbPNSt15iterator_traitsISI_E10value_typeEPNSO_ISJ_E10value_typeEPSK_NS1_7vsmem_tEENKUlT_SI_SJ_SK_E_clISD_PsSD_S10_EESH_SX_SI_SJ_SK_EUlSX_E_NS1_11comp_targetILNS1_3genE4ELNS1_11target_archE910ELNS1_3gpuE8ELNS1_3repE0EEENS1_48merge_mergepath_partition_config_static_selectorELNS0_4arch9wavefront6targetE1EEEvSJ_,"axG",@progbits,_ZN7rocprim17ROCPRIM_400000_NS6detail17trampoline_kernelINS0_14default_configENS1_38merge_sort_block_merge_config_selectorIssEEZZNS1_27merge_sort_block_merge_implIS3_N6thrust23THRUST_200600_302600_NS6detail15normal_iteratorINS8_10device_ptrIsEEEESD_jNS1_19radix_merge_compareILb0ELb1EsNS0_19identity_decomposerEEEEE10hipError_tT0_T1_T2_jT3_P12ihipStream_tbPNSt15iterator_traitsISI_E10value_typeEPNSO_ISJ_E10value_typeEPSK_NS1_7vsmem_tEENKUlT_SI_SJ_SK_E_clISD_PsSD_S10_EESH_SX_SI_SJ_SK_EUlSX_E_NS1_11comp_targetILNS1_3genE4ELNS1_11target_archE910ELNS1_3gpuE8ELNS1_3repE0EEENS1_48merge_mergepath_partition_config_static_selectorELNS0_4arch9wavefront6targetE1EEEvSJ_,comdat
.Lfunc_end1594:
	.size	_ZN7rocprim17ROCPRIM_400000_NS6detail17trampoline_kernelINS0_14default_configENS1_38merge_sort_block_merge_config_selectorIssEEZZNS1_27merge_sort_block_merge_implIS3_N6thrust23THRUST_200600_302600_NS6detail15normal_iteratorINS8_10device_ptrIsEEEESD_jNS1_19radix_merge_compareILb0ELb1EsNS0_19identity_decomposerEEEEE10hipError_tT0_T1_T2_jT3_P12ihipStream_tbPNSt15iterator_traitsISI_E10value_typeEPNSO_ISJ_E10value_typeEPSK_NS1_7vsmem_tEENKUlT_SI_SJ_SK_E_clISD_PsSD_S10_EESH_SX_SI_SJ_SK_EUlSX_E_NS1_11comp_targetILNS1_3genE4ELNS1_11target_archE910ELNS1_3gpuE8ELNS1_3repE0EEENS1_48merge_mergepath_partition_config_static_selectorELNS0_4arch9wavefront6targetE1EEEvSJ_, .Lfunc_end1594-_ZN7rocprim17ROCPRIM_400000_NS6detail17trampoline_kernelINS0_14default_configENS1_38merge_sort_block_merge_config_selectorIssEEZZNS1_27merge_sort_block_merge_implIS3_N6thrust23THRUST_200600_302600_NS6detail15normal_iteratorINS8_10device_ptrIsEEEESD_jNS1_19radix_merge_compareILb0ELb1EsNS0_19identity_decomposerEEEEE10hipError_tT0_T1_T2_jT3_P12ihipStream_tbPNSt15iterator_traitsISI_E10value_typeEPNSO_ISJ_E10value_typeEPSK_NS1_7vsmem_tEENKUlT_SI_SJ_SK_E_clISD_PsSD_S10_EESH_SX_SI_SJ_SK_EUlSX_E_NS1_11comp_targetILNS1_3genE4ELNS1_11target_archE910ELNS1_3gpuE8ELNS1_3repE0EEENS1_48merge_mergepath_partition_config_static_selectorELNS0_4arch9wavefront6targetE1EEEvSJ_
                                        ; -- End function
	.set _ZN7rocprim17ROCPRIM_400000_NS6detail17trampoline_kernelINS0_14default_configENS1_38merge_sort_block_merge_config_selectorIssEEZZNS1_27merge_sort_block_merge_implIS3_N6thrust23THRUST_200600_302600_NS6detail15normal_iteratorINS8_10device_ptrIsEEEESD_jNS1_19radix_merge_compareILb0ELb1EsNS0_19identity_decomposerEEEEE10hipError_tT0_T1_T2_jT3_P12ihipStream_tbPNSt15iterator_traitsISI_E10value_typeEPNSO_ISJ_E10value_typeEPSK_NS1_7vsmem_tEENKUlT_SI_SJ_SK_E_clISD_PsSD_S10_EESH_SX_SI_SJ_SK_EUlSX_E_NS1_11comp_targetILNS1_3genE4ELNS1_11target_archE910ELNS1_3gpuE8ELNS1_3repE0EEENS1_48merge_mergepath_partition_config_static_selectorELNS0_4arch9wavefront6targetE1EEEvSJ_.num_vgpr, 0
	.set _ZN7rocprim17ROCPRIM_400000_NS6detail17trampoline_kernelINS0_14default_configENS1_38merge_sort_block_merge_config_selectorIssEEZZNS1_27merge_sort_block_merge_implIS3_N6thrust23THRUST_200600_302600_NS6detail15normal_iteratorINS8_10device_ptrIsEEEESD_jNS1_19radix_merge_compareILb0ELb1EsNS0_19identity_decomposerEEEEE10hipError_tT0_T1_T2_jT3_P12ihipStream_tbPNSt15iterator_traitsISI_E10value_typeEPNSO_ISJ_E10value_typeEPSK_NS1_7vsmem_tEENKUlT_SI_SJ_SK_E_clISD_PsSD_S10_EESH_SX_SI_SJ_SK_EUlSX_E_NS1_11comp_targetILNS1_3genE4ELNS1_11target_archE910ELNS1_3gpuE8ELNS1_3repE0EEENS1_48merge_mergepath_partition_config_static_selectorELNS0_4arch9wavefront6targetE1EEEvSJ_.num_agpr, 0
	.set _ZN7rocprim17ROCPRIM_400000_NS6detail17trampoline_kernelINS0_14default_configENS1_38merge_sort_block_merge_config_selectorIssEEZZNS1_27merge_sort_block_merge_implIS3_N6thrust23THRUST_200600_302600_NS6detail15normal_iteratorINS8_10device_ptrIsEEEESD_jNS1_19radix_merge_compareILb0ELb1EsNS0_19identity_decomposerEEEEE10hipError_tT0_T1_T2_jT3_P12ihipStream_tbPNSt15iterator_traitsISI_E10value_typeEPNSO_ISJ_E10value_typeEPSK_NS1_7vsmem_tEENKUlT_SI_SJ_SK_E_clISD_PsSD_S10_EESH_SX_SI_SJ_SK_EUlSX_E_NS1_11comp_targetILNS1_3genE4ELNS1_11target_archE910ELNS1_3gpuE8ELNS1_3repE0EEENS1_48merge_mergepath_partition_config_static_selectorELNS0_4arch9wavefront6targetE1EEEvSJ_.numbered_sgpr, 0
	.set _ZN7rocprim17ROCPRIM_400000_NS6detail17trampoline_kernelINS0_14default_configENS1_38merge_sort_block_merge_config_selectorIssEEZZNS1_27merge_sort_block_merge_implIS3_N6thrust23THRUST_200600_302600_NS6detail15normal_iteratorINS8_10device_ptrIsEEEESD_jNS1_19radix_merge_compareILb0ELb1EsNS0_19identity_decomposerEEEEE10hipError_tT0_T1_T2_jT3_P12ihipStream_tbPNSt15iterator_traitsISI_E10value_typeEPNSO_ISJ_E10value_typeEPSK_NS1_7vsmem_tEENKUlT_SI_SJ_SK_E_clISD_PsSD_S10_EESH_SX_SI_SJ_SK_EUlSX_E_NS1_11comp_targetILNS1_3genE4ELNS1_11target_archE910ELNS1_3gpuE8ELNS1_3repE0EEENS1_48merge_mergepath_partition_config_static_selectorELNS0_4arch9wavefront6targetE1EEEvSJ_.num_named_barrier, 0
	.set _ZN7rocprim17ROCPRIM_400000_NS6detail17trampoline_kernelINS0_14default_configENS1_38merge_sort_block_merge_config_selectorIssEEZZNS1_27merge_sort_block_merge_implIS3_N6thrust23THRUST_200600_302600_NS6detail15normal_iteratorINS8_10device_ptrIsEEEESD_jNS1_19radix_merge_compareILb0ELb1EsNS0_19identity_decomposerEEEEE10hipError_tT0_T1_T2_jT3_P12ihipStream_tbPNSt15iterator_traitsISI_E10value_typeEPNSO_ISJ_E10value_typeEPSK_NS1_7vsmem_tEENKUlT_SI_SJ_SK_E_clISD_PsSD_S10_EESH_SX_SI_SJ_SK_EUlSX_E_NS1_11comp_targetILNS1_3genE4ELNS1_11target_archE910ELNS1_3gpuE8ELNS1_3repE0EEENS1_48merge_mergepath_partition_config_static_selectorELNS0_4arch9wavefront6targetE1EEEvSJ_.private_seg_size, 0
	.set _ZN7rocprim17ROCPRIM_400000_NS6detail17trampoline_kernelINS0_14default_configENS1_38merge_sort_block_merge_config_selectorIssEEZZNS1_27merge_sort_block_merge_implIS3_N6thrust23THRUST_200600_302600_NS6detail15normal_iteratorINS8_10device_ptrIsEEEESD_jNS1_19radix_merge_compareILb0ELb1EsNS0_19identity_decomposerEEEEE10hipError_tT0_T1_T2_jT3_P12ihipStream_tbPNSt15iterator_traitsISI_E10value_typeEPNSO_ISJ_E10value_typeEPSK_NS1_7vsmem_tEENKUlT_SI_SJ_SK_E_clISD_PsSD_S10_EESH_SX_SI_SJ_SK_EUlSX_E_NS1_11comp_targetILNS1_3genE4ELNS1_11target_archE910ELNS1_3gpuE8ELNS1_3repE0EEENS1_48merge_mergepath_partition_config_static_selectorELNS0_4arch9wavefront6targetE1EEEvSJ_.uses_vcc, 0
	.set _ZN7rocprim17ROCPRIM_400000_NS6detail17trampoline_kernelINS0_14default_configENS1_38merge_sort_block_merge_config_selectorIssEEZZNS1_27merge_sort_block_merge_implIS3_N6thrust23THRUST_200600_302600_NS6detail15normal_iteratorINS8_10device_ptrIsEEEESD_jNS1_19radix_merge_compareILb0ELb1EsNS0_19identity_decomposerEEEEE10hipError_tT0_T1_T2_jT3_P12ihipStream_tbPNSt15iterator_traitsISI_E10value_typeEPNSO_ISJ_E10value_typeEPSK_NS1_7vsmem_tEENKUlT_SI_SJ_SK_E_clISD_PsSD_S10_EESH_SX_SI_SJ_SK_EUlSX_E_NS1_11comp_targetILNS1_3genE4ELNS1_11target_archE910ELNS1_3gpuE8ELNS1_3repE0EEENS1_48merge_mergepath_partition_config_static_selectorELNS0_4arch9wavefront6targetE1EEEvSJ_.uses_flat_scratch, 0
	.set _ZN7rocprim17ROCPRIM_400000_NS6detail17trampoline_kernelINS0_14default_configENS1_38merge_sort_block_merge_config_selectorIssEEZZNS1_27merge_sort_block_merge_implIS3_N6thrust23THRUST_200600_302600_NS6detail15normal_iteratorINS8_10device_ptrIsEEEESD_jNS1_19radix_merge_compareILb0ELb1EsNS0_19identity_decomposerEEEEE10hipError_tT0_T1_T2_jT3_P12ihipStream_tbPNSt15iterator_traitsISI_E10value_typeEPNSO_ISJ_E10value_typeEPSK_NS1_7vsmem_tEENKUlT_SI_SJ_SK_E_clISD_PsSD_S10_EESH_SX_SI_SJ_SK_EUlSX_E_NS1_11comp_targetILNS1_3genE4ELNS1_11target_archE910ELNS1_3gpuE8ELNS1_3repE0EEENS1_48merge_mergepath_partition_config_static_selectorELNS0_4arch9wavefront6targetE1EEEvSJ_.has_dyn_sized_stack, 0
	.set _ZN7rocprim17ROCPRIM_400000_NS6detail17trampoline_kernelINS0_14default_configENS1_38merge_sort_block_merge_config_selectorIssEEZZNS1_27merge_sort_block_merge_implIS3_N6thrust23THRUST_200600_302600_NS6detail15normal_iteratorINS8_10device_ptrIsEEEESD_jNS1_19radix_merge_compareILb0ELb1EsNS0_19identity_decomposerEEEEE10hipError_tT0_T1_T2_jT3_P12ihipStream_tbPNSt15iterator_traitsISI_E10value_typeEPNSO_ISJ_E10value_typeEPSK_NS1_7vsmem_tEENKUlT_SI_SJ_SK_E_clISD_PsSD_S10_EESH_SX_SI_SJ_SK_EUlSX_E_NS1_11comp_targetILNS1_3genE4ELNS1_11target_archE910ELNS1_3gpuE8ELNS1_3repE0EEENS1_48merge_mergepath_partition_config_static_selectorELNS0_4arch9wavefront6targetE1EEEvSJ_.has_recursion, 0
	.set _ZN7rocprim17ROCPRIM_400000_NS6detail17trampoline_kernelINS0_14default_configENS1_38merge_sort_block_merge_config_selectorIssEEZZNS1_27merge_sort_block_merge_implIS3_N6thrust23THRUST_200600_302600_NS6detail15normal_iteratorINS8_10device_ptrIsEEEESD_jNS1_19radix_merge_compareILb0ELb1EsNS0_19identity_decomposerEEEEE10hipError_tT0_T1_T2_jT3_P12ihipStream_tbPNSt15iterator_traitsISI_E10value_typeEPNSO_ISJ_E10value_typeEPSK_NS1_7vsmem_tEENKUlT_SI_SJ_SK_E_clISD_PsSD_S10_EESH_SX_SI_SJ_SK_EUlSX_E_NS1_11comp_targetILNS1_3genE4ELNS1_11target_archE910ELNS1_3gpuE8ELNS1_3repE0EEENS1_48merge_mergepath_partition_config_static_selectorELNS0_4arch9wavefront6targetE1EEEvSJ_.has_indirect_call, 0
	.section	.AMDGPU.csdata,"",@progbits
; Kernel info:
; codeLenInByte = 0
; TotalNumSgprs: 6
; NumVgprs: 0
; NumAgprs: 0
; TotalNumVgprs: 0
; ScratchSize: 0
; MemoryBound: 0
; FloatMode: 240
; IeeeMode: 1
; LDSByteSize: 0 bytes/workgroup (compile time only)
; SGPRBlocks: 0
; VGPRBlocks: 0
; NumSGPRsForWavesPerEU: 6
; NumVGPRsForWavesPerEU: 1
; AccumOffset: 4
; Occupancy: 8
; WaveLimiterHint : 0
; COMPUTE_PGM_RSRC2:SCRATCH_EN: 0
; COMPUTE_PGM_RSRC2:USER_SGPR: 2
; COMPUTE_PGM_RSRC2:TRAP_HANDLER: 0
; COMPUTE_PGM_RSRC2:TGID_X_EN: 1
; COMPUTE_PGM_RSRC2:TGID_Y_EN: 0
; COMPUTE_PGM_RSRC2:TGID_Z_EN: 0
; COMPUTE_PGM_RSRC2:TIDIG_COMP_CNT: 0
; COMPUTE_PGM_RSRC3_GFX90A:ACCUM_OFFSET: 0
; COMPUTE_PGM_RSRC3_GFX90A:TG_SPLIT: 0
	.section	.text._ZN7rocprim17ROCPRIM_400000_NS6detail17trampoline_kernelINS0_14default_configENS1_38merge_sort_block_merge_config_selectorIssEEZZNS1_27merge_sort_block_merge_implIS3_N6thrust23THRUST_200600_302600_NS6detail15normal_iteratorINS8_10device_ptrIsEEEESD_jNS1_19radix_merge_compareILb0ELb1EsNS0_19identity_decomposerEEEEE10hipError_tT0_T1_T2_jT3_P12ihipStream_tbPNSt15iterator_traitsISI_E10value_typeEPNSO_ISJ_E10value_typeEPSK_NS1_7vsmem_tEENKUlT_SI_SJ_SK_E_clISD_PsSD_S10_EESH_SX_SI_SJ_SK_EUlSX_E_NS1_11comp_targetILNS1_3genE3ELNS1_11target_archE908ELNS1_3gpuE7ELNS1_3repE0EEENS1_48merge_mergepath_partition_config_static_selectorELNS0_4arch9wavefront6targetE1EEEvSJ_,"axG",@progbits,_ZN7rocprim17ROCPRIM_400000_NS6detail17trampoline_kernelINS0_14default_configENS1_38merge_sort_block_merge_config_selectorIssEEZZNS1_27merge_sort_block_merge_implIS3_N6thrust23THRUST_200600_302600_NS6detail15normal_iteratorINS8_10device_ptrIsEEEESD_jNS1_19radix_merge_compareILb0ELb1EsNS0_19identity_decomposerEEEEE10hipError_tT0_T1_T2_jT3_P12ihipStream_tbPNSt15iterator_traitsISI_E10value_typeEPNSO_ISJ_E10value_typeEPSK_NS1_7vsmem_tEENKUlT_SI_SJ_SK_E_clISD_PsSD_S10_EESH_SX_SI_SJ_SK_EUlSX_E_NS1_11comp_targetILNS1_3genE3ELNS1_11target_archE908ELNS1_3gpuE7ELNS1_3repE0EEENS1_48merge_mergepath_partition_config_static_selectorELNS0_4arch9wavefront6targetE1EEEvSJ_,comdat
	.protected	_ZN7rocprim17ROCPRIM_400000_NS6detail17trampoline_kernelINS0_14default_configENS1_38merge_sort_block_merge_config_selectorIssEEZZNS1_27merge_sort_block_merge_implIS3_N6thrust23THRUST_200600_302600_NS6detail15normal_iteratorINS8_10device_ptrIsEEEESD_jNS1_19radix_merge_compareILb0ELb1EsNS0_19identity_decomposerEEEEE10hipError_tT0_T1_T2_jT3_P12ihipStream_tbPNSt15iterator_traitsISI_E10value_typeEPNSO_ISJ_E10value_typeEPSK_NS1_7vsmem_tEENKUlT_SI_SJ_SK_E_clISD_PsSD_S10_EESH_SX_SI_SJ_SK_EUlSX_E_NS1_11comp_targetILNS1_3genE3ELNS1_11target_archE908ELNS1_3gpuE7ELNS1_3repE0EEENS1_48merge_mergepath_partition_config_static_selectorELNS0_4arch9wavefront6targetE1EEEvSJ_ ; -- Begin function _ZN7rocprim17ROCPRIM_400000_NS6detail17trampoline_kernelINS0_14default_configENS1_38merge_sort_block_merge_config_selectorIssEEZZNS1_27merge_sort_block_merge_implIS3_N6thrust23THRUST_200600_302600_NS6detail15normal_iteratorINS8_10device_ptrIsEEEESD_jNS1_19radix_merge_compareILb0ELb1EsNS0_19identity_decomposerEEEEE10hipError_tT0_T1_T2_jT3_P12ihipStream_tbPNSt15iterator_traitsISI_E10value_typeEPNSO_ISJ_E10value_typeEPSK_NS1_7vsmem_tEENKUlT_SI_SJ_SK_E_clISD_PsSD_S10_EESH_SX_SI_SJ_SK_EUlSX_E_NS1_11comp_targetILNS1_3genE3ELNS1_11target_archE908ELNS1_3gpuE7ELNS1_3repE0EEENS1_48merge_mergepath_partition_config_static_selectorELNS0_4arch9wavefront6targetE1EEEvSJ_
	.globl	_ZN7rocprim17ROCPRIM_400000_NS6detail17trampoline_kernelINS0_14default_configENS1_38merge_sort_block_merge_config_selectorIssEEZZNS1_27merge_sort_block_merge_implIS3_N6thrust23THRUST_200600_302600_NS6detail15normal_iteratorINS8_10device_ptrIsEEEESD_jNS1_19radix_merge_compareILb0ELb1EsNS0_19identity_decomposerEEEEE10hipError_tT0_T1_T2_jT3_P12ihipStream_tbPNSt15iterator_traitsISI_E10value_typeEPNSO_ISJ_E10value_typeEPSK_NS1_7vsmem_tEENKUlT_SI_SJ_SK_E_clISD_PsSD_S10_EESH_SX_SI_SJ_SK_EUlSX_E_NS1_11comp_targetILNS1_3genE3ELNS1_11target_archE908ELNS1_3gpuE7ELNS1_3repE0EEENS1_48merge_mergepath_partition_config_static_selectorELNS0_4arch9wavefront6targetE1EEEvSJ_
	.p2align	8
	.type	_ZN7rocprim17ROCPRIM_400000_NS6detail17trampoline_kernelINS0_14default_configENS1_38merge_sort_block_merge_config_selectorIssEEZZNS1_27merge_sort_block_merge_implIS3_N6thrust23THRUST_200600_302600_NS6detail15normal_iteratorINS8_10device_ptrIsEEEESD_jNS1_19radix_merge_compareILb0ELb1EsNS0_19identity_decomposerEEEEE10hipError_tT0_T1_T2_jT3_P12ihipStream_tbPNSt15iterator_traitsISI_E10value_typeEPNSO_ISJ_E10value_typeEPSK_NS1_7vsmem_tEENKUlT_SI_SJ_SK_E_clISD_PsSD_S10_EESH_SX_SI_SJ_SK_EUlSX_E_NS1_11comp_targetILNS1_3genE3ELNS1_11target_archE908ELNS1_3gpuE7ELNS1_3repE0EEENS1_48merge_mergepath_partition_config_static_selectorELNS0_4arch9wavefront6targetE1EEEvSJ_,@function
_ZN7rocprim17ROCPRIM_400000_NS6detail17trampoline_kernelINS0_14default_configENS1_38merge_sort_block_merge_config_selectorIssEEZZNS1_27merge_sort_block_merge_implIS3_N6thrust23THRUST_200600_302600_NS6detail15normal_iteratorINS8_10device_ptrIsEEEESD_jNS1_19radix_merge_compareILb0ELb1EsNS0_19identity_decomposerEEEEE10hipError_tT0_T1_T2_jT3_P12ihipStream_tbPNSt15iterator_traitsISI_E10value_typeEPNSO_ISJ_E10value_typeEPSK_NS1_7vsmem_tEENKUlT_SI_SJ_SK_E_clISD_PsSD_S10_EESH_SX_SI_SJ_SK_EUlSX_E_NS1_11comp_targetILNS1_3genE3ELNS1_11target_archE908ELNS1_3gpuE7ELNS1_3repE0EEENS1_48merge_mergepath_partition_config_static_selectorELNS0_4arch9wavefront6targetE1EEEvSJ_: ; @_ZN7rocprim17ROCPRIM_400000_NS6detail17trampoline_kernelINS0_14default_configENS1_38merge_sort_block_merge_config_selectorIssEEZZNS1_27merge_sort_block_merge_implIS3_N6thrust23THRUST_200600_302600_NS6detail15normal_iteratorINS8_10device_ptrIsEEEESD_jNS1_19radix_merge_compareILb0ELb1EsNS0_19identity_decomposerEEEEE10hipError_tT0_T1_T2_jT3_P12ihipStream_tbPNSt15iterator_traitsISI_E10value_typeEPNSO_ISJ_E10value_typeEPSK_NS1_7vsmem_tEENKUlT_SI_SJ_SK_E_clISD_PsSD_S10_EESH_SX_SI_SJ_SK_EUlSX_E_NS1_11comp_targetILNS1_3genE3ELNS1_11target_archE908ELNS1_3gpuE7ELNS1_3repE0EEENS1_48merge_mergepath_partition_config_static_selectorELNS0_4arch9wavefront6targetE1EEEvSJ_
; %bb.0:
	.section	.rodata,"a",@progbits
	.p2align	6, 0x0
	.amdhsa_kernel _ZN7rocprim17ROCPRIM_400000_NS6detail17trampoline_kernelINS0_14default_configENS1_38merge_sort_block_merge_config_selectorIssEEZZNS1_27merge_sort_block_merge_implIS3_N6thrust23THRUST_200600_302600_NS6detail15normal_iteratorINS8_10device_ptrIsEEEESD_jNS1_19radix_merge_compareILb0ELb1EsNS0_19identity_decomposerEEEEE10hipError_tT0_T1_T2_jT3_P12ihipStream_tbPNSt15iterator_traitsISI_E10value_typeEPNSO_ISJ_E10value_typeEPSK_NS1_7vsmem_tEENKUlT_SI_SJ_SK_E_clISD_PsSD_S10_EESH_SX_SI_SJ_SK_EUlSX_E_NS1_11comp_targetILNS1_3genE3ELNS1_11target_archE908ELNS1_3gpuE7ELNS1_3repE0EEENS1_48merge_mergepath_partition_config_static_selectorELNS0_4arch9wavefront6targetE1EEEvSJ_
		.amdhsa_group_segment_fixed_size 0
		.amdhsa_private_segment_fixed_size 0
		.amdhsa_kernarg_size 40
		.amdhsa_user_sgpr_count 2
		.amdhsa_user_sgpr_dispatch_ptr 0
		.amdhsa_user_sgpr_queue_ptr 0
		.amdhsa_user_sgpr_kernarg_segment_ptr 1
		.amdhsa_user_sgpr_dispatch_id 0
		.amdhsa_user_sgpr_kernarg_preload_length 0
		.amdhsa_user_sgpr_kernarg_preload_offset 0
		.amdhsa_user_sgpr_private_segment_size 0
		.amdhsa_uses_dynamic_stack 0
		.amdhsa_enable_private_segment 0
		.amdhsa_system_sgpr_workgroup_id_x 1
		.amdhsa_system_sgpr_workgroup_id_y 0
		.amdhsa_system_sgpr_workgroup_id_z 0
		.amdhsa_system_sgpr_workgroup_info 0
		.amdhsa_system_vgpr_workitem_id 0
		.amdhsa_next_free_vgpr 1
		.amdhsa_next_free_sgpr 0
		.amdhsa_accum_offset 4
		.amdhsa_reserve_vcc 0
		.amdhsa_float_round_mode_32 0
		.amdhsa_float_round_mode_16_64 0
		.amdhsa_float_denorm_mode_32 3
		.amdhsa_float_denorm_mode_16_64 3
		.amdhsa_dx10_clamp 1
		.amdhsa_ieee_mode 1
		.amdhsa_fp16_overflow 0
		.amdhsa_tg_split 0
		.amdhsa_exception_fp_ieee_invalid_op 0
		.amdhsa_exception_fp_denorm_src 0
		.amdhsa_exception_fp_ieee_div_zero 0
		.amdhsa_exception_fp_ieee_overflow 0
		.amdhsa_exception_fp_ieee_underflow 0
		.amdhsa_exception_fp_ieee_inexact 0
		.amdhsa_exception_int_div_zero 0
	.end_amdhsa_kernel
	.section	.text._ZN7rocprim17ROCPRIM_400000_NS6detail17trampoline_kernelINS0_14default_configENS1_38merge_sort_block_merge_config_selectorIssEEZZNS1_27merge_sort_block_merge_implIS3_N6thrust23THRUST_200600_302600_NS6detail15normal_iteratorINS8_10device_ptrIsEEEESD_jNS1_19radix_merge_compareILb0ELb1EsNS0_19identity_decomposerEEEEE10hipError_tT0_T1_T2_jT3_P12ihipStream_tbPNSt15iterator_traitsISI_E10value_typeEPNSO_ISJ_E10value_typeEPSK_NS1_7vsmem_tEENKUlT_SI_SJ_SK_E_clISD_PsSD_S10_EESH_SX_SI_SJ_SK_EUlSX_E_NS1_11comp_targetILNS1_3genE3ELNS1_11target_archE908ELNS1_3gpuE7ELNS1_3repE0EEENS1_48merge_mergepath_partition_config_static_selectorELNS0_4arch9wavefront6targetE1EEEvSJ_,"axG",@progbits,_ZN7rocprim17ROCPRIM_400000_NS6detail17trampoline_kernelINS0_14default_configENS1_38merge_sort_block_merge_config_selectorIssEEZZNS1_27merge_sort_block_merge_implIS3_N6thrust23THRUST_200600_302600_NS6detail15normal_iteratorINS8_10device_ptrIsEEEESD_jNS1_19radix_merge_compareILb0ELb1EsNS0_19identity_decomposerEEEEE10hipError_tT0_T1_T2_jT3_P12ihipStream_tbPNSt15iterator_traitsISI_E10value_typeEPNSO_ISJ_E10value_typeEPSK_NS1_7vsmem_tEENKUlT_SI_SJ_SK_E_clISD_PsSD_S10_EESH_SX_SI_SJ_SK_EUlSX_E_NS1_11comp_targetILNS1_3genE3ELNS1_11target_archE908ELNS1_3gpuE7ELNS1_3repE0EEENS1_48merge_mergepath_partition_config_static_selectorELNS0_4arch9wavefront6targetE1EEEvSJ_,comdat
.Lfunc_end1595:
	.size	_ZN7rocprim17ROCPRIM_400000_NS6detail17trampoline_kernelINS0_14default_configENS1_38merge_sort_block_merge_config_selectorIssEEZZNS1_27merge_sort_block_merge_implIS3_N6thrust23THRUST_200600_302600_NS6detail15normal_iteratorINS8_10device_ptrIsEEEESD_jNS1_19radix_merge_compareILb0ELb1EsNS0_19identity_decomposerEEEEE10hipError_tT0_T1_T2_jT3_P12ihipStream_tbPNSt15iterator_traitsISI_E10value_typeEPNSO_ISJ_E10value_typeEPSK_NS1_7vsmem_tEENKUlT_SI_SJ_SK_E_clISD_PsSD_S10_EESH_SX_SI_SJ_SK_EUlSX_E_NS1_11comp_targetILNS1_3genE3ELNS1_11target_archE908ELNS1_3gpuE7ELNS1_3repE0EEENS1_48merge_mergepath_partition_config_static_selectorELNS0_4arch9wavefront6targetE1EEEvSJ_, .Lfunc_end1595-_ZN7rocprim17ROCPRIM_400000_NS6detail17trampoline_kernelINS0_14default_configENS1_38merge_sort_block_merge_config_selectorIssEEZZNS1_27merge_sort_block_merge_implIS3_N6thrust23THRUST_200600_302600_NS6detail15normal_iteratorINS8_10device_ptrIsEEEESD_jNS1_19radix_merge_compareILb0ELb1EsNS0_19identity_decomposerEEEEE10hipError_tT0_T1_T2_jT3_P12ihipStream_tbPNSt15iterator_traitsISI_E10value_typeEPNSO_ISJ_E10value_typeEPSK_NS1_7vsmem_tEENKUlT_SI_SJ_SK_E_clISD_PsSD_S10_EESH_SX_SI_SJ_SK_EUlSX_E_NS1_11comp_targetILNS1_3genE3ELNS1_11target_archE908ELNS1_3gpuE7ELNS1_3repE0EEENS1_48merge_mergepath_partition_config_static_selectorELNS0_4arch9wavefront6targetE1EEEvSJ_
                                        ; -- End function
	.set _ZN7rocprim17ROCPRIM_400000_NS6detail17trampoline_kernelINS0_14default_configENS1_38merge_sort_block_merge_config_selectorIssEEZZNS1_27merge_sort_block_merge_implIS3_N6thrust23THRUST_200600_302600_NS6detail15normal_iteratorINS8_10device_ptrIsEEEESD_jNS1_19radix_merge_compareILb0ELb1EsNS0_19identity_decomposerEEEEE10hipError_tT0_T1_T2_jT3_P12ihipStream_tbPNSt15iterator_traitsISI_E10value_typeEPNSO_ISJ_E10value_typeEPSK_NS1_7vsmem_tEENKUlT_SI_SJ_SK_E_clISD_PsSD_S10_EESH_SX_SI_SJ_SK_EUlSX_E_NS1_11comp_targetILNS1_3genE3ELNS1_11target_archE908ELNS1_3gpuE7ELNS1_3repE0EEENS1_48merge_mergepath_partition_config_static_selectorELNS0_4arch9wavefront6targetE1EEEvSJ_.num_vgpr, 0
	.set _ZN7rocprim17ROCPRIM_400000_NS6detail17trampoline_kernelINS0_14default_configENS1_38merge_sort_block_merge_config_selectorIssEEZZNS1_27merge_sort_block_merge_implIS3_N6thrust23THRUST_200600_302600_NS6detail15normal_iteratorINS8_10device_ptrIsEEEESD_jNS1_19radix_merge_compareILb0ELb1EsNS0_19identity_decomposerEEEEE10hipError_tT0_T1_T2_jT3_P12ihipStream_tbPNSt15iterator_traitsISI_E10value_typeEPNSO_ISJ_E10value_typeEPSK_NS1_7vsmem_tEENKUlT_SI_SJ_SK_E_clISD_PsSD_S10_EESH_SX_SI_SJ_SK_EUlSX_E_NS1_11comp_targetILNS1_3genE3ELNS1_11target_archE908ELNS1_3gpuE7ELNS1_3repE0EEENS1_48merge_mergepath_partition_config_static_selectorELNS0_4arch9wavefront6targetE1EEEvSJ_.num_agpr, 0
	.set _ZN7rocprim17ROCPRIM_400000_NS6detail17trampoline_kernelINS0_14default_configENS1_38merge_sort_block_merge_config_selectorIssEEZZNS1_27merge_sort_block_merge_implIS3_N6thrust23THRUST_200600_302600_NS6detail15normal_iteratorINS8_10device_ptrIsEEEESD_jNS1_19radix_merge_compareILb0ELb1EsNS0_19identity_decomposerEEEEE10hipError_tT0_T1_T2_jT3_P12ihipStream_tbPNSt15iterator_traitsISI_E10value_typeEPNSO_ISJ_E10value_typeEPSK_NS1_7vsmem_tEENKUlT_SI_SJ_SK_E_clISD_PsSD_S10_EESH_SX_SI_SJ_SK_EUlSX_E_NS1_11comp_targetILNS1_3genE3ELNS1_11target_archE908ELNS1_3gpuE7ELNS1_3repE0EEENS1_48merge_mergepath_partition_config_static_selectorELNS0_4arch9wavefront6targetE1EEEvSJ_.numbered_sgpr, 0
	.set _ZN7rocprim17ROCPRIM_400000_NS6detail17trampoline_kernelINS0_14default_configENS1_38merge_sort_block_merge_config_selectorIssEEZZNS1_27merge_sort_block_merge_implIS3_N6thrust23THRUST_200600_302600_NS6detail15normal_iteratorINS8_10device_ptrIsEEEESD_jNS1_19radix_merge_compareILb0ELb1EsNS0_19identity_decomposerEEEEE10hipError_tT0_T1_T2_jT3_P12ihipStream_tbPNSt15iterator_traitsISI_E10value_typeEPNSO_ISJ_E10value_typeEPSK_NS1_7vsmem_tEENKUlT_SI_SJ_SK_E_clISD_PsSD_S10_EESH_SX_SI_SJ_SK_EUlSX_E_NS1_11comp_targetILNS1_3genE3ELNS1_11target_archE908ELNS1_3gpuE7ELNS1_3repE0EEENS1_48merge_mergepath_partition_config_static_selectorELNS0_4arch9wavefront6targetE1EEEvSJ_.num_named_barrier, 0
	.set _ZN7rocprim17ROCPRIM_400000_NS6detail17trampoline_kernelINS0_14default_configENS1_38merge_sort_block_merge_config_selectorIssEEZZNS1_27merge_sort_block_merge_implIS3_N6thrust23THRUST_200600_302600_NS6detail15normal_iteratorINS8_10device_ptrIsEEEESD_jNS1_19radix_merge_compareILb0ELb1EsNS0_19identity_decomposerEEEEE10hipError_tT0_T1_T2_jT3_P12ihipStream_tbPNSt15iterator_traitsISI_E10value_typeEPNSO_ISJ_E10value_typeEPSK_NS1_7vsmem_tEENKUlT_SI_SJ_SK_E_clISD_PsSD_S10_EESH_SX_SI_SJ_SK_EUlSX_E_NS1_11comp_targetILNS1_3genE3ELNS1_11target_archE908ELNS1_3gpuE7ELNS1_3repE0EEENS1_48merge_mergepath_partition_config_static_selectorELNS0_4arch9wavefront6targetE1EEEvSJ_.private_seg_size, 0
	.set _ZN7rocprim17ROCPRIM_400000_NS6detail17trampoline_kernelINS0_14default_configENS1_38merge_sort_block_merge_config_selectorIssEEZZNS1_27merge_sort_block_merge_implIS3_N6thrust23THRUST_200600_302600_NS6detail15normal_iteratorINS8_10device_ptrIsEEEESD_jNS1_19radix_merge_compareILb0ELb1EsNS0_19identity_decomposerEEEEE10hipError_tT0_T1_T2_jT3_P12ihipStream_tbPNSt15iterator_traitsISI_E10value_typeEPNSO_ISJ_E10value_typeEPSK_NS1_7vsmem_tEENKUlT_SI_SJ_SK_E_clISD_PsSD_S10_EESH_SX_SI_SJ_SK_EUlSX_E_NS1_11comp_targetILNS1_3genE3ELNS1_11target_archE908ELNS1_3gpuE7ELNS1_3repE0EEENS1_48merge_mergepath_partition_config_static_selectorELNS0_4arch9wavefront6targetE1EEEvSJ_.uses_vcc, 0
	.set _ZN7rocprim17ROCPRIM_400000_NS6detail17trampoline_kernelINS0_14default_configENS1_38merge_sort_block_merge_config_selectorIssEEZZNS1_27merge_sort_block_merge_implIS3_N6thrust23THRUST_200600_302600_NS6detail15normal_iteratorINS8_10device_ptrIsEEEESD_jNS1_19radix_merge_compareILb0ELb1EsNS0_19identity_decomposerEEEEE10hipError_tT0_T1_T2_jT3_P12ihipStream_tbPNSt15iterator_traitsISI_E10value_typeEPNSO_ISJ_E10value_typeEPSK_NS1_7vsmem_tEENKUlT_SI_SJ_SK_E_clISD_PsSD_S10_EESH_SX_SI_SJ_SK_EUlSX_E_NS1_11comp_targetILNS1_3genE3ELNS1_11target_archE908ELNS1_3gpuE7ELNS1_3repE0EEENS1_48merge_mergepath_partition_config_static_selectorELNS0_4arch9wavefront6targetE1EEEvSJ_.uses_flat_scratch, 0
	.set _ZN7rocprim17ROCPRIM_400000_NS6detail17trampoline_kernelINS0_14default_configENS1_38merge_sort_block_merge_config_selectorIssEEZZNS1_27merge_sort_block_merge_implIS3_N6thrust23THRUST_200600_302600_NS6detail15normal_iteratorINS8_10device_ptrIsEEEESD_jNS1_19radix_merge_compareILb0ELb1EsNS0_19identity_decomposerEEEEE10hipError_tT0_T1_T2_jT3_P12ihipStream_tbPNSt15iterator_traitsISI_E10value_typeEPNSO_ISJ_E10value_typeEPSK_NS1_7vsmem_tEENKUlT_SI_SJ_SK_E_clISD_PsSD_S10_EESH_SX_SI_SJ_SK_EUlSX_E_NS1_11comp_targetILNS1_3genE3ELNS1_11target_archE908ELNS1_3gpuE7ELNS1_3repE0EEENS1_48merge_mergepath_partition_config_static_selectorELNS0_4arch9wavefront6targetE1EEEvSJ_.has_dyn_sized_stack, 0
	.set _ZN7rocprim17ROCPRIM_400000_NS6detail17trampoline_kernelINS0_14default_configENS1_38merge_sort_block_merge_config_selectorIssEEZZNS1_27merge_sort_block_merge_implIS3_N6thrust23THRUST_200600_302600_NS6detail15normal_iteratorINS8_10device_ptrIsEEEESD_jNS1_19radix_merge_compareILb0ELb1EsNS0_19identity_decomposerEEEEE10hipError_tT0_T1_T2_jT3_P12ihipStream_tbPNSt15iterator_traitsISI_E10value_typeEPNSO_ISJ_E10value_typeEPSK_NS1_7vsmem_tEENKUlT_SI_SJ_SK_E_clISD_PsSD_S10_EESH_SX_SI_SJ_SK_EUlSX_E_NS1_11comp_targetILNS1_3genE3ELNS1_11target_archE908ELNS1_3gpuE7ELNS1_3repE0EEENS1_48merge_mergepath_partition_config_static_selectorELNS0_4arch9wavefront6targetE1EEEvSJ_.has_recursion, 0
	.set _ZN7rocprim17ROCPRIM_400000_NS6detail17trampoline_kernelINS0_14default_configENS1_38merge_sort_block_merge_config_selectorIssEEZZNS1_27merge_sort_block_merge_implIS3_N6thrust23THRUST_200600_302600_NS6detail15normal_iteratorINS8_10device_ptrIsEEEESD_jNS1_19radix_merge_compareILb0ELb1EsNS0_19identity_decomposerEEEEE10hipError_tT0_T1_T2_jT3_P12ihipStream_tbPNSt15iterator_traitsISI_E10value_typeEPNSO_ISJ_E10value_typeEPSK_NS1_7vsmem_tEENKUlT_SI_SJ_SK_E_clISD_PsSD_S10_EESH_SX_SI_SJ_SK_EUlSX_E_NS1_11comp_targetILNS1_3genE3ELNS1_11target_archE908ELNS1_3gpuE7ELNS1_3repE0EEENS1_48merge_mergepath_partition_config_static_selectorELNS0_4arch9wavefront6targetE1EEEvSJ_.has_indirect_call, 0
	.section	.AMDGPU.csdata,"",@progbits
; Kernel info:
; codeLenInByte = 0
; TotalNumSgprs: 6
; NumVgprs: 0
; NumAgprs: 0
; TotalNumVgprs: 0
; ScratchSize: 0
; MemoryBound: 0
; FloatMode: 240
; IeeeMode: 1
; LDSByteSize: 0 bytes/workgroup (compile time only)
; SGPRBlocks: 0
; VGPRBlocks: 0
; NumSGPRsForWavesPerEU: 6
; NumVGPRsForWavesPerEU: 1
; AccumOffset: 4
; Occupancy: 8
; WaveLimiterHint : 0
; COMPUTE_PGM_RSRC2:SCRATCH_EN: 0
; COMPUTE_PGM_RSRC2:USER_SGPR: 2
; COMPUTE_PGM_RSRC2:TRAP_HANDLER: 0
; COMPUTE_PGM_RSRC2:TGID_X_EN: 1
; COMPUTE_PGM_RSRC2:TGID_Y_EN: 0
; COMPUTE_PGM_RSRC2:TGID_Z_EN: 0
; COMPUTE_PGM_RSRC2:TIDIG_COMP_CNT: 0
; COMPUTE_PGM_RSRC3_GFX90A:ACCUM_OFFSET: 0
; COMPUTE_PGM_RSRC3_GFX90A:TG_SPLIT: 0
	.section	.text._ZN7rocprim17ROCPRIM_400000_NS6detail17trampoline_kernelINS0_14default_configENS1_38merge_sort_block_merge_config_selectorIssEEZZNS1_27merge_sort_block_merge_implIS3_N6thrust23THRUST_200600_302600_NS6detail15normal_iteratorINS8_10device_ptrIsEEEESD_jNS1_19radix_merge_compareILb0ELb1EsNS0_19identity_decomposerEEEEE10hipError_tT0_T1_T2_jT3_P12ihipStream_tbPNSt15iterator_traitsISI_E10value_typeEPNSO_ISJ_E10value_typeEPSK_NS1_7vsmem_tEENKUlT_SI_SJ_SK_E_clISD_PsSD_S10_EESH_SX_SI_SJ_SK_EUlSX_E_NS1_11comp_targetILNS1_3genE2ELNS1_11target_archE906ELNS1_3gpuE6ELNS1_3repE0EEENS1_48merge_mergepath_partition_config_static_selectorELNS0_4arch9wavefront6targetE1EEEvSJ_,"axG",@progbits,_ZN7rocprim17ROCPRIM_400000_NS6detail17trampoline_kernelINS0_14default_configENS1_38merge_sort_block_merge_config_selectorIssEEZZNS1_27merge_sort_block_merge_implIS3_N6thrust23THRUST_200600_302600_NS6detail15normal_iteratorINS8_10device_ptrIsEEEESD_jNS1_19radix_merge_compareILb0ELb1EsNS0_19identity_decomposerEEEEE10hipError_tT0_T1_T2_jT3_P12ihipStream_tbPNSt15iterator_traitsISI_E10value_typeEPNSO_ISJ_E10value_typeEPSK_NS1_7vsmem_tEENKUlT_SI_SJ_SK_E_clISD_PsSD_S10_EESH_SX_SI_SJ_SK_EUlSX_E_NS1_11comp_targetILNS1_3genE2ELNS1_11target_archE906ELNS1_3gpuE6ELNS1_3repE0EEENS1_48merge_mergepath_partition_config_static_selectorELNS0_4arch9wavefront6targetE1EEEvSJ_,comdat
	.protected	_ZN7rocprim17ROCPRIM_400000_NS6detail17trampoline_kernelINS0_14default_configENS1_38merge_sort_block_merge_config_selectorIssEEZZNS1_27merge_sort_block_merge_implIS3_N6thrust23THRUST_200600_302600_NS6detail15normal_iteratorINS8_10device_ptrIsEEEESD_jNS1_19radix_merge_compareILb0ELb1EsNS0_19identity_decomposerEEEEE10hipError_tT0_T1_T2_jT3_P12ihipStream_tbPNSt15iterator_traitsISI_E10value_typeEPNSO_ISJ_E10value_typeEPSK_NS1_7vsmem_tEENKUlT_SI_SJ_SK_E_clISD_PsSD_S10_EESH_SX_SI_SJ_SK_EUlSX_E_NS1_11comp_targetILNS1_3genE2ELNS1_11target_archE906ELNS1_3gpuE6ELNS1_3repE0EEENS1_48merge_mergepath_partition_config_static_selectorELNS0_4arch9wavefront6targetE1EEEvSJ_ ; -- Begin function _ZN7rocprim17ROCPRIM_400000_NS6detail17trampoline_kernelINS0_14default_configENS1_38merge_sort_block_merge_config_selectorIssEEZZNS1_27merge_sort_block_merge_implIS3_N6thrust23THRUST_200600_302600_NS6detail15normal_iteratorINS8_10device_ptrIsEEEESD_jNS1_19radix_merge_compareILb0ELb1EsNS0_19identity_decomposerEEEEE10hipError_tT0_T1_T2_jT3_P12ihipStream_tbPNSt15iterator_traitsISI_E10value_typeEPNSO_ISJ_E10value_typeEPSK_NS1_7vsmem_tEENKUlT_SI_SJ_SK_E_clISD_PsSD_S10_EESH_SX_SI_SJ_SK_EUlSX_E_NS1_11comp_targetILNS1_3genE2ELNS1_11target_archE906ELNS1_3gpuE6ELNS1_3repE0EEENS1_48merge_mergepath_partition_config_static_selectorELNS0_4arch9wavefront6targetE1EEEvSJ_
	.globl	_ZN7rocprim17ROCPRIM_400000_NS6detail17trampoline_kernelINS0_14default_configENS1_38merge_sort_block_merge_config_selectorIssEEZZNS1_27merge_sort_block_merge_implIS3_N6thrust23THRUST_200600_302600_NS6detail15normal_iteratorINS8_10device_ptrIsEEEESD_jNS1_19radix_merge_compareILb0ELb1EsNS0_19identity_decomposerEEEEE10hipError_tT0_T1_T2_jT3_P12ihipStream_tbPNSt15iterator_traitsISI_E10value_typeEPNSO_ISJ_E10value_typeEPSK_NS1_7vsmem_tEENKUlT_SI_SJ_SK_E_clISD_PsSD_S10_EESH_SX_SI_SJ_SK_EUlSX_E_NS1_11comp_targetILNS1_3genE2ELNS1_11target_archE906ELNS1_3gpuE6ELNS1_3repE0EEENS1_48merge_mergepath_partition_config_static_selectorELNS0_4arch9wavefront6targetE1EEEvSJ_
	.p2align	8
	.type	_ZN7rocprim17ROCPRIM_400000_NS6detail17trampoline_kernelINS0_14default_configENS1_38merge_sort_block_merge_config_selectorIssEEZZNS1_27merge_sort_block_merge_implIS3_N6thrust23THRUST_200600_302600_NS6detail15normal_iteratorINS8_10device_ptrIsEEEESD_jNS1_19radix_merge_compareILb0ELb1EsNS0_19identity_decomposerEEEEE10hipError_tT0_T1_T2_jT3_P12ihipStream_tbPNSt15iterator_traitsISI_E10value_typeEPNSO_ISJ_E10value_typeEPSK_NS1_7vsmem_tEENKUlT_SI_SJ_SK_E_clISD_PsSD_S10_EESH_SX_SI_SJ_SK_EUlSX_E_NS1_11comp_targetILNS1_3genE2ELNS1_11target_archE906ELNS1_3gpuE6ELNS1_3repE0EEENS1_48merge_mergepath_partition_config_static_selectorELNS0_4arch9wavefront6targetE1EEEvSJ_,@function
_ZN7rocprim17ROCPRIM_400000_NS6detail17trampoline_kernelINS0_14default_configENS1_38merge_sort_block_merge_config_selectorIssEEZZNS1_27merge_sort_block_merge_implIS3_N6thrust23THRUST_200600_302600_NS6detail15normal_iteratorINS8_10device_ptrIsEEEESD_jNS1_19radix_merge_compareILb0ELb1EsNS0_19identity_decomposerEEEEE10hipError_tT0_T1_T2_jT3_P12ihipStream_tbPNSt15iterator_traitsISI_E10value_typeEPNSO_ISJ_E10value_typeEPSK_NS1_7vsmem_tEENKUlT_SI_SJ_SK_E_clISD_PsSD_S10_EESH_SX_SI_SJ_SK_EUlSX_E_NS1_11comp_targetILNS1_3genE2ELNS1_11target_archE906ELNS1_3gpuE6ELNS1_3repE0EEENS1_48merge_mergepath_partition_config_static_selectorELNS0_4arch9wavefront6targetE1EEEvSJ_: ; @_ZN7rocprim17ROCPRIM_400000_NS6detail17trampoline_kernelINS0_14default_configENS1_38merge_sort_block_merge_config_selectorIssEEZZNS1_27merge_sort_block_merge_implIS3_N6thrust23THRUST_200600_302600_NS6detail15normal_iteratorINS8_10device_ptrIsEEEESD_jNS1_19radix_merge_compareILb0ELb1EsNS0_19identity_decomposerEEEEE10hipError_tT0_T1_T2_jT3_P12ihipStream_tbPNSt15iterator_traitsISI_E10value_typeEPNSO_ISJ_E10value_typeEPSK_NS1_7vsmem_tEENKUlT_SI_SJ_SK_E_clISD_PsSD_S10_EESH_SX_SI_SJ_SK_EUlSX_E_NS1_11comp_targetILNS1_3genE2ELNS1_11target_archE906ELNS1_3gpuE6ELNS1_3repE0EEENS1_48merge_mergepath_partition_config_static_selectorELNS0_4arch9wavefront6targetE1EEEvSJ_
; %bb.0:
	.section	.rodata,"a",@progbits
	.p2align	6, 0x0
	.amdhsa_kernel _ZN7rocprim17ROCPRIM_400000_NS6detail17trampoline_kernelINS0_14default_configENS1_38merge_sort_block_merge_config_selectorIssEEZZNS1_27merge_sort_block_merge_implIS3_N6thrust23THRUST_200600_302600_NS6detail15normal_iteratorINS8_10device_ptrIsEEEESD_jNS1_19radix_merge_compareILb0ELb1EsNS0_19identity_decomposerEEEEE10hipError_tT0_T1_T2_jT3_P12ihipStream_tbPNSt15iterator_traitsISI_E10value_typeEPNSO_ISJ_E10value_typeEPSK_NS1_7vsmem_tEENKUlT_SI_SJ_SK_E_clISD_PsSD_S10_EESH_SX_SI_SJ_SK_EUlSX_E_NS1_11comp_targetILNS1_3genE2ELNS1_11target_archE906ELNS1_3gpuE6ELNS1_3repE0EEENS1_48merge_mergepath_partition_config_static_selectorELNS0_4arch9wavefront6targetE1EEEvSJ_
		.amdhsa_group_segment_fixed_size 0
		.amdhsa_private_segment_fixed_size 0
		.amdhsa_kernarg_size 40
		.amdhsa_user_sgpr_count 2
		.amdhsa_user_sgpr_dispatch_ptr 0
		.amdhsa_user_sgpr_queue_ptr 0
		.amdhsa_user_sgpr_kernarg_segment_ptr 1
		.amdhsa_user_sgpr_dispatch_id 0
		.amdhsa_user_sgpr_kernarg_preload_length 0
		.amdhsa_user_sgpr_kernarg_preload_offset 0
		.amdhsa_user_sgpr_private_segment_size 0
		.amdhsa_uses_dynamic_stack 0
		.amdhsa_enable_private_segment 0
		.amdhsa_system_sgpr_workgroup_id_x 1
		.amdhsa_system_sgpr_workgroup_id_y 0
		.amdhsa_system_sgpr_workgroup_id_z 0
		.amdhsa_system_sgpr_workgroup_info 0
		.amdhsa_system_vgpr_workitem_id 0
		.amdhsa_next_free_vgpr 1
		.amdhsa_next_free_sgpr 0
		.amdhsa_accum_offset 4
		.amdhsa_reserve_vcc 0
		.amdhsa_float_round_mode_32 0
		.amdhsa_float_round_mode_16_64 0
		.amdhsa_float_denorm_mode_32 3
		.amdhsa_float_denorm_mode_16_64 3
		.amdhsa_dx10_clamp 1
		.amdhsa_ieee_mode 1
		.amdhsa_fp16_overflow 0
		.amdhsa_tg_split 0
		.amdhsa_exception_fp_ieee_invalid_op 0
		.amdhsa_exception_fp_denorm_src 0
		.amdhsa_exception_fp_ieee_div_zero 0
		.amdhsa_exception_fp_ieee_overflow 0
		.amdhsa_exception_fp_ieee_underflow 0
		.amdhsa_exception_fp_ieee_inexact 0
		.amdhsa_exception_int_div_zero 0
	.end_amdhsa_kernel
	.section	.text._ZN7rocprim17ROCPRIM_400000_NS6detail17trampoline_kernelINS0_14default_configENS1_38merge_sort_block_merge_config_selectorIssEEZZNS1_27merge_sort_block_merge_implIS3_N6thrust23THRUST_200600_302600_NS6detail15normal_iteratorINS8_10device_ptrIsEEEESD_jNS1_19radix_merge_compareILb0ELb1EsNS0_19identity_decomposerEEEEE10hipError_tT0_T1_T2_jT3_P12ihipStream_tbPNSt15iterator_traitsISI_E10value_typeEPNSO_ISJ_E10value_typeEPSK_NS1_7vsmem_tEENKUlT_SI_SJ_SK_E_clISD_PsSD_S10_EESH_SX_SI_SJ_SK_EUlSX_E_NS1_11comp_targetILNS1_3genE2ELNS1_11target_archE906ELNS1_3gpuE6ELNS1_3repE0EEENS1_48merge_mergepath_partition_config_static_selectorELNS0_4arch9wavefront6targetE1EEEvSJ_,"axG",@progbits,_ZN7rocprim17ROCPRIM_400000_NS6detail17trampoline_kernelINS0_14default_configENS1_38merge_sort_block_merge_config_selectorIssEEZZNS1_27merge_sort_block_merge_implIS3_N6thrust23THRUST_200600_302600_NS6detail15normal_iteratorINS8_10device_ptrIsEEEESD_jNS1_19radix_merge_compareILb0ELb1EsNS0_19identity_decomposerEEEEE10hipError_tT0_T1_T2_jT3_P12ihipStream_tbPNSt15iterator_traitsISI_E10value_typeEPNSO_ISJ_E10value_typeEPSK_NS1_7vsmem_tEENKUlT_SI_SJ_SK_E_clISD_PsSD_S10_EESH_SX_SI_SJ_SK_EUlSX_E_NS1_11comp_targetILNS1_3genE2ELNS1_11target_archE906ELNS1_3gpuE6ELNS1_3repE0EEENS1_48merge_mergepath_partition_config_static_selectorELNS0_4arch9wavefront6targetE1EEEvSJ_,comdat
.Lfunc_end1596:
	.size	_ZN7rocprim17ROCPRIM_400000_NS6detail17trampoline_kernelINS0_14default_configENS1_38merge_sort_block_merge_config_selectorIssEEZZNS1_27merge_sort_block_merge_implIS3_N6thrust23THRUST_200600_302600_NS6detail15normal_iteratorINS8_10device_ptrIsEEEESD_jNS1_19radix_merge_compareILb0ELb1EsNS0_19identity_decomposerEEEEE10hipError_tT0_T1_T2_jT3_P12ihipStream_tbPNSt15iterator_traitsISI_E10value_typeEPNSO_ISJ_E10value_typeEPSK_NS1_7vsmem_tEENKUlT_SI_SJ_SK_E_clISD_PsSD_S10_EESH_SX_SI_SJ_SK_EUlSX_E_NS1_11comp_targetILNS1_3genE2ELNS1_11target_archE906ELNS1_3gpuE6ELNS1_3repE0EEENS1_48merge_mergepath_partition_config_static_selectorELNS0_4arch9wavefront6targetE1EEEvSJ_, .Lfunc_end1596-_ZN7rocprim17ROCPRIM_400000_NS6detail17trampoline_kernelINS0_14default_configENS1_38merge_sort_block_merge_config_selectorIssEEZZNS1_27merge_sort_block_merge_implIS3_N6thrust23THRUST_200600_302600_NS6detail15normal_iteratorINS8_10device_ptrIsEEEESD_jNS1_19radix_merge_compareILb0ELb1EsNS0_19identity_decomposerEEEEE10hipError_tT0_T1_T2_jT3_P12ihipStream_tbPNSt15iterator_traitsISI_E10value_typeEPNSO_ISJ_E10value_typeEPSK_NS1_7vsmem_tEENKUlT_SI_SJ_SK_E_clISD_PsSD_S10_EESH_SX_SI_SJ_SK_EUlSX_E_NS1_11comp_targetILNS1_3genE2ELNS1_11target_archE906ELNS1_3gpuE6ELNS1_3repE0EEENS1_48merge_mergepath_partition_config_static_selectorELNS0_4arch9wavefront6targetE1EEEvSJ_
                                        ; -- End function
	.set _ZN7rocprim17ROCPRIM_400000_NS6detail17trampoline_kernelINS0_14default_configENS1_38merge_sort_block_merge_config_selectorIssEEZZNS1_27merge_sort_block_merge_implIS3_N6thrust23THRUST_200600_302600_NS6detail15normal_iteratorINS8_10device_ptrIsEEEESD_jNS1_19radix_merge_compareILb0ELb1EsNS0_19identity_decomposerEEEEE10hipError_tT0_T1_T2_jT3_P12ihipStream_tbPNSt15iterator_traitsISI_E10value_typeEPNSO_ISJ_E10value_typeEPSK_NS1_7vsmem_tEENKUlT_SI_SJ_SK_E_clISD_PsSD_S10_EESH_SX_SI_SJ_SK_EUlSX_E_NS1_11comp_targetILNS1_3genE2ELNS1_11target_archE906ELNS1_3gpuE6ELNS1_3repE0EEENS1_48merge_mergepath_partition_config_static_selectorELNS0_4arch9wavefront6targetE1EEEvSJ_.num_vgpr, 0
	.set _ZN7rocprim17ROCPRIM_400000_NS6detail17trampoline_kernelINS0_14default_configENS1_38merge_sort_block_merge_config_selectorIssEEZZNS1_27merge_sort_block_merge_implIS3_N6thrust23THRUST_200600_302600_NS6detail15normal_iteratorINS8_10device_ptrIsEEEESD_jNS1_19radix_merge_compareILb0ELb1EsNS0_19identity_decomposerEEEEE10hipError_tT0_T1_T2_jT3_P12ihipStream_tbPNSt15iterator_traitsISI_E10value_typeEPNSO_ISJ_E10value_typeEPSK_NS1_7vsmem_tEENKUlT_SI_SJ_SK_E_clISD_PsSD_S10_EESH_SX_SI_SJ_SK_EUlSX_E_NS1_11comp_targetILNS1_3genE2ELNS1_11target_archE906ELNS1_3gpuE6ELNS1_3repE0EEENS1_48merge_mergepath_partition_config_static_selectorELNS0_4arch9wavefront6targetE1EEEvSJ_.num_agpr, 0
	.set _ZN7rocprim17ROCPRIM_400000_NS6detail17trampoline_kernelINS0_14default_configENS1_38merge_sort_block_merge_config_selectorIssEEZZNS1_27merge_sort_block_merge_implIS3_N6thrust23THRUST_200600_302600_NS6detail15normal_iteratorINS8_10device_ptrIsEEEESD_jNS1_19radix_merge_compareILb0ELb1EsNS0_19identity_decomposerEEEEE10hipError_tT0_T1_T2_jT3_P12ihipStream_tbPNSt15iterator_traitsISI_E10value_typeEPNSO_ISJ_E10value_typeEPSK_NS1_7vsmem_tEENKUlT_SI_SJ_SK_E_clISD_PsSD_S10_EESH_SX_SI_SJ_SK_EUlSX_E_NS1_11comp_targetILNS1_3genE2ELNS1_11target_archE906ELNS1_3gpuE6ELNS1_3repE0EEENS1_48merge_mergepath_partition_config_static_selectorELNS0_4arch9wavefront6targetE1EEEvSJ_.numbered_sgpr, 0
	.set _ZN7rocprim17ROCPRIM_400000_NS6detail17trampoline_kernelINS0_14default_configENS1_38merge_sort_block_merge_config_selectorIssEEZZNS1_27merge_sort_block_merge_implIS3_N6thrust23THRUST_200600_302600_NS6detail15normal_iteratorINS8_10device_ptrIsEEEESD_jNS1_19radix_merge_compareILb0ELb1EsNS0_19identity_decomposerEEEEE10hipError_tT0_T1_T2_jT3_P12ihipStream_tbPNSt15iterator_traitsISI_E10value_typeEPNSO_ISJ_E10value_typeEPSK_NS1_7vsmem_tEENKUlT_SI_SJ_SK_E_clISD_PsSD_S10_EESH_SX_SI_SJ_SK_EUlSX_E_NS1_11comp_targetILNS1_3genE2ELNS1_11target_archE906ELNS1_3gpuE6ELNS1_3repE0EEENS1_48merge_mergepath_partition_config_static_selectorELNS0_4arch9wavefront6targetE1EEEvSJ_.num_named_barrier, 0
	.set _ZN7rocprim17ROCPRIM_400000_NS6detail17trampoline_kernelINS0_14default_configENS1_38merge_sort_block_merge_config_selectorIssEEZZNS1_27merge_sort_block_merge_implIS3_N6thrust23THRUST_200600_302600_NS6detail15normal_iteratorINS8_10device_ptrIsEEEESD_jNS1_19radix_merge_compareILb0ELb1EsNS0_19identity_decomposerEEEEE10hipError_tT0_T1_T2_jT3_P12ihipStream_tbPNSt15iterator_traitsISI_E10value_typeEPNSO_ISJ_E10value_typeEPSK_NS1_7vsmem_tEENKUlT_SI_SJ_SK_E_clISD_PsSD_S10_EESH_SX_SI_SJ_SK_EUlSX_E_NS1_11comp_targetILNS1_3genE2ELNS1_11target_archE906ELNS1_3gpuE6ELNS1_3repE0EEENS1_48merge_mergepath_partition_config_static_selectorELNS0_4arch9wavefront6targetE1EEEvSJ_.private_seg_size, 0
	.set _ZN7rocprim17ROCPRIM_400000_NS6detail17trampoline_kernelINS0_14default_configENS1_38merge_sort_block_merge_config_selectorIssEEZZNS1_27merge_sort_block_merge_implIS3_N6thrust23THRUST_200600_302600_NS6detail15normal_iteratorINS8_10device_ptrIsEEEESD_jNS1_19radix_merge_compareILb0ELb1EsNS0_19identity_decomposerEEEEE10hipError_tT0_T1_T2_jT3_P12ihipStream_tbPNSt15iterator_traitsISI_E10value_typeEPNSO_ISJ_E10value_typeEPSK_NS1_7vsmem_tEENKUlT_SI_SJ_SK_E_clISD_PsSD_S10_EESH_SX_SI_SJ_SK_EUlSX_E_NS1_11comp_targetILNS1_3genE2ELNS1_11target_archE906ELNS1_3gpuE6ELNS1_3repE0EEENS1_48merge_mergepath_partition_config_static_selectorELNS0_4arch9wavefront6targetE1EEEvSJ_.uses_vcc, 0
	.set _ZN7rocprim17ROCPRIM_400000_NS6detail17trampoline_kernelINS0_14default_configENS1_38merge_sort_block_merge_config_selectorIssEEZZNS1_27merge_sort_block_merge_implIS3_N6thrust23THRUST_200600_302600_NS6detail15normal_iteratorINS8_10device_ptrIsEEEESD_jNS1_19radix_merge_compareILb0ELb1EsNS0_19identity_decomposerEEEEE10hipError_tT0_T1_T2_jT3_P12ihipStream_tbPNSt15iterator_traitsISI_E10value_typeEPNSO_ISJ_E10value_typeEPSK_NS1_7vsmem_tEENKUlT_SI_SJ_SK_E_clISD_PsSD_S10_EESH_SX_SI_SJ_SK_EUlSX_E_NS1_11comp_targetILNS1_3genE2ELNS1_11target_archE906ELNS1_3gpuE6ELNS1_3repE0EEENS1_48merge_mergepath_partition_config_static_selectorELNS0_4arch9wavefront6targetE1EEEvSJ_.uses_flat_scratch, 0
	.set _ZN7rocprim17ROCPRIM_400000_NS6detail17trampoline_kernelINS0_14default_configENS1_38merge_sort_block_merge_config_selectorIssEEZZNS1_27merge_sort_block_merge_implIS3_N6thrust23THRUST_200600_302600_NS6detail15normal_iteratorINS8_10device_ptrIsEEEESD_jNS1_19radix_merge_compareILb0ELb1EsNS0_19identity_decomposerEEEEE10hipError_tT0_T1_T2_jT3_P12ihipStream_tbPNSt15iterator_traitsISI_E10value_typeEPNSO_ISJ_E10value_typeEPSK_NS1_7vsmem_tEENKUlT_SI_SJ_SK_E_clISD_PsSD_S10_EESH_SX_SI_SJ_SK_EUlSX_E_NS1_11comp_targetILNS1_3genE2ELNS1_11target_archE906ELNS1_3gpuE6ELNS1_3repE0EEENS1_48merge_mergepath_partition_config_static_selectorELNS0_4arch9wavefront6targetE1EEEvSJ_.has_dyn_sized_stack, 0
	.set _ZN7rocprim17ROCPRIM_400000_NS6detail17trampoline_kernelINS0_14default_configENS1_38merge_sort_block_merge_config_selectorIssEEZZNS1_27merge_sort_block_merge_implIS3_N6thrust23THRUST_200600_302600_NS6detail15normal_iteratorINS8_10device_ptrIsEEEESD_jNS1_19radix_merge_compareILb0ELb1EsNS0_19identity_decomposerEEEEE10hipError_tT0_T1_T2_jT3_P12ihipStream_tbPNSt15iterator_traitsISI_E10value_typeEPNSO_ISJ_E10value_typeEPSK_NS1_7vsmem_tEENKUlT_SI_SJ_SK_E_clISD_PsSD_S10_EESH_SX_SI_SJ_SK_EUlSX_E_NS1_11comp_targetILNS1_3genE2ELNS1_11target_archE906ELNS1_3gpuE6ELNS1_3repE0EEENS1_48merge_mergepath_partition_config_static_selectorELNS0_4arch9wavefront6targetE1EEEvSJ_.has_recursion, 0
	.set _ZN7rocprim17ROCPRIM_400000_NS6detail17trampoline_kernelINS0_14default_configENS1_38merge_sort_block_merge_config_selectorIssEEZZNS1_27merge_sort_block_merge_implIS3_N6thrust23THRUST_200600_302600_NS6detail15normal_iteratorINS8_10device_ptrIsEEEESD_jNS1_19radix_merge_compareILb0ELb1EsNS0_19identity_decomposerEEEEE10hipError_tT0_T1_T2_jT3_P12ihipStream_tbPNSt15iterator_traitsISI_E10value_typeEPNSO_ISJ_E10value_typeEPSK_NS1_7vsmem_tEENKUlT_SI_SJ_SK_E_clISD_PsSD_S10_EESH_SX_SI_SJ_SK_EUlSX_E_NS1_11comp_targetILNS1_3genE2ELNS1_11target_archE906ELNS1_3gpuE6ELNS1_3repE0EEENS1_48merge_mergepath_partition_config_static_selectorELNS0_4arch9wavefront6targetE1EEEvSJ_.has_indirect_call, 0
	.section	.AMDGPU.csdata,"",@progbits
; Kernel info:
; codeLenInByte = 0
; TotalNumSgprs: 6
; NumVgprs: 0
; NumAgprs: 0
; TotalNumVgprs: 0
; ScratchSize: 0
; MemoryBound: 0
; FloatMode: 240
; IeeeMode: 1
; LDSByteSize: 0 bytes/workgroup (compile time only)
; SGPRBlocks: 0
; VGPRBlocks: 0
; NumSGPRsForWavesPerEU: 6
; NumVGPRsForWavesPerEU: 1
; AccumOffset: 4
; Occupancy: 8
; WaveLimiterHint : 0
; COMPUTE_PGM_RSRC2:SCRATCH_EN: 0
; COMPUTE_PGM_RSRC2:USER_SGPR: 2
; COMPUTE_PGM_RSRC2:TRAP_HANDLER: 0
; COMPUTE_PGM_RSRC2:TGID_X_EN: 1
; COMPUTE_PGM_RSRC2:TGID_Y_EN: 0
; COMPUTE_PGM_RSRC2:TGID_Z_EN: 0
; COMPUTE_PGM_RSRC2:TIDIG_COMP_CNT: 0
; COMPUTE_PGM_RSRC3_GFX90A:ACCUM_OFFSET: 0
; COMPUTE_PGM_RSRC3_GFX90A:TG_SPLIT: 0
	.section	.text._ZN7rocprim17ROCPRIM_400000_NS6detail17trampoline_kernelINS0_14default_configENS1_38merge_sort_block_merge_config_selectorIssEEZZNS1_27merge_sort_block_merge_implIS3_N6thrust23THRUST_200600_302600_NS6detail15normal_iteratorINS8_10device_ptrIsEEEESD_jNS1_19radix_merge_compareILb0ELb1EsNS0_19identity_decomposerEEEEE10hipError_tT0_T1_T2_jT3_P12ihipStream_tbPNSt15iterator_traitsISI_E10value_typeEPNSO_ISJ_E10value_typeEPSK_NS1_7vsmem_tEENKUlT_SI_SJ_SK_E_clISD_PsSD_S10_EESH_SX_SI_SJ_SK_EUlSX_E_NS1_11comp_targetILNS1_3genE9ELNS1_11target_archE1100ELNS1_3gpuE3ELNS1_3repE0EEENS1_48merge_mergepath_partition_config_static_selectorELNS0_4arch9wavefront6targetE1EEEvSJ_,"axG",@progbits,_ZN7rocprim17ROCPRIM_400000_NS6detail17trampoline_kernelINS0_14default_configENS1_38merge_sort_block_merge_config_selectorIssEEZZNS1_27merge_sort_block_merge_implIS3_N6thrust23THRUST_200600_302600_NS6detail15normal_iteratorINS8_10device_ptrIsEEEESD_jNS1_19radix_merge_compareILb0ELb1EsNS0_19identity_decomposerEEEEE10hipError_tT0_T1_T2_jT3_P12ihipStream_tbPNSt15iterator_traitsISI_E10value_typeEPNSO_ISJ_E10value_typeEPSK_NS1_7vsmem_tEENKUlT_SI_SJ_SK_E_clISD_PsSD_S10_EESH_SX_SI_SJ_SK_EUlSX_E_NS1_11comp_targetILNS1_3genE9ELNS1_11target_archE1100ELNS1_3gpuE3ELNS1_3repE0EEENS1_48merge_mergepath_partition_config_static_selectorELNS0_4arch9wavefront6targetE1EEEvSJ_,comdat
	.protected	_ZN7rocprim17ROCPRIM_400000_NS6detail17trampoline_kernelINS0_14default_configENS1_38merge_sort_block_merge_config_selectorIssEEZZNS1_27merge_sort_block_merge_implIS3_N6thrust23THRUST_200600_302600_NS6detail15normal_iteratorINS8_10device_ptrIsEEEESD_jNS1_19radix_merge_compareILb0ELb1EsNS0_19identity_decomposerEEEEE10hipError_tT0_T1_T2_jT3_P12ihipStream_tbPNSt15iterator_traitsISI_E10value_typeEPNSO_ISJ_E10value_typeEPSK_NS1_7vsmem_tEENKUlT_SI_SJ_SK_E_clISD_PsSD_S10_EESH_SX_SI_SJ_SK_EUlSX_E_NS1_11comp_targetILNS1_3genE9ELNS1_11target_archE1100ELNS1_3gpuE3ELNS1_3repE0EEENS1_48merge_mergepath_partition_config_static_selectorELNS0_4arch9wavefront6targetE1EEEvSJ_ ; -- Begin function _ZN7rocprim17ROCPRIM_400000_NS6detail17trampoline_kernelINS0_14default_configENS1_38merge_sort_block_merge_config_selectorIssEEZZNS1_27merge_sort_block_merge_implIS3_N6thrust23THRUST_200600_302600_NS6detail15normal_iteratorINS8_10device_ptrIsEEEESD_jNS1_19radix_merge_compareILb0ELb1EsNS0_19identity_decomposerEEEEE10hipError_tT0_T1_T2_jT3_P12ihipStream_tbPNSt15iterator_traitsISI_E10value_typeEPNSO_ISJ_E10value_typeEPSK_NS1_7vsmem_tEENKUlT_SI_SJ_SK_E_clISD_PsSD_S10_EESH_SX_SI_SJ_SK_EUlSX_E_NS1_11comp_targetILNS1_3genE9ELNS1_11target_archE1100ELNS1_3gpuE3ELNS1_3repE0EEENS1_48merge_mergepath_partition_config_static_selectorELNS0_4arch9wavefront6targetE1EEEvSJ_
	.globl	_ZN7rocprim17ROCPRIM_400000_NS6detail17trampoline_kernelINS0_14default_configENS1_38merge_sort_block_merge_config_selectorIssEEZZNS1_27merge_sort_block_merge_implIS3_N6thrust23THRUST_200600_302600_NS6detail15normal_iteratorINS8_10device_ptrIsEEEESD_jNS1_19radix_merge_compareILb0ELb1EsNS0_19identity_decomposerEEEEE10hipError_tT0_T1_T2_jT3_P12ihipStream_tbPNSt15iterator_traitsISI_E10value_typeEPNSO_ISJ_E10value_typeEPSK_NS1_7vsmem_tEENKUlT_SI_SJ_SK_E_clISD_PsSD_S10_EESH_SX_SI_SJ_SK_EUlSX_E_NS1_11comp_targetILNS1_3genE9ELNS1_11target_archE1100ELNS1_3gpuE3ELNS1_3repE0EEENS1_48merge_mergepath_partition_config_static_selectorELNS0_4arch9wavefront6targetE1EEEvSJ_
	.p2align	8
	.type	_ZN7rocprim17ROCPRIM_400000_NS6detail17trampoline_kernelINS0_14default_configENS1_38merge_sort_block_merge_config_selectorIssEEZZNS1_27merge_sort_block_merge_implIS3_N6thrust23THRUST_200600_302600_NS6detail15normal_iteratorINS8_10device_ptrIsEEEESD_jNS1_19radix_merge_compareILb0ELb1EsNS0_19identity_decomposerEEEEE10hipError_tT0_T1_T2_jT3_P12ihipStream_tbPNSt15iterator_traitsISI_E10value_typeEPNSO_ISJ_E10value_typeEPSK_NS1_7vsmem_tEENKUlT_SI_SJ_SK_E_clISD_PsSD_S10_EESH_SX_SI_SJ_SK_EUlSX_E_NS1_11comp_targetILNS1_3genE9ELNS1_11target_archE1100ELNS1_3gpuE3ELNS1_3repE0EEENS1_48merge_mergepath_partition_config_static_selectorELNS0_4arch9wavefront6targetE1EEEvSJ_,@function
_ZN7rocprim17ROCPRIM_400000_NS6detail17trampoline_kernelINS0_14default_configENS1_38merge_sort_block_merge_config_selectorIssEEZZNS1_27merge_sort_block_merge_implIS3_N6thrust23THRUST_200600_302600_NS6detail15normal_iteratorINS8_10device_ptrIsEEEESD_jNS1_19radix_merge_compareILb0ELb1EsNS0_19identity_decomposerEEEEE10hipError_tT0_T1_T2_jT3_P12ihipStream_tbPNSt15iterator_traitsISI_E10value_typeEPNSO_ISJ_E10value_typeEPSK_NS1_7vsmem_tEENKUlT_SI_SJ_SK_E_clISD_PsSD_S10_EESH_SX_SI_SJ_SK_EUlSX_E_NS1_11comp_targetILNS1_3genE9ELNS1_11target_archE1100ELNS1_3gpuE3ELNS1_3repE0EEENS1_48merge_mergepath_partition_config_static_selectorELNS0_4arch9wavefront6targetE1EEEvSJ_: ; @_ZN7rocprim17ROCPRIM_400000_NS6detail17trampoline_kernelINS0_14default_configENS1_38merge_sort_block_merge_config_selectorIssEEZZNS1_27merge_sort_block_merge_implIS3_N6thrust23THRUST_200600_302600_NS6detail15normal_iteratorINS8_10device_ptrIsEEEESD_jNS1_19radix_merge_compareILb0ELb1EsNS0_19identity_decomposerEEEEE10hipError_tT0_T1_T2_jT3_P12ihipStream_tbPNSt15iterator_traitsISI_E10value_typeEPNSO_ISJ_E10value_typeEPSK_NS1_7vsmem_tEENKUlT_SI_SJ_SK_E_clISD_PsSD_S10_EESH_SX_SI_SJ_SK_EUlSX_E_NS1_11comp_targetILNS1_3genE9ELNS1_11target_archE1100ELNS1_3gpuE3ELNS1_3repE0EEENS1_48merge_mergepath_partition_config_static_selectorELNS0_4arch9wavefront6targetE1EEEvSJ_
; %bb.0:
	.section	.rodata,"a",@progbits
	.p2align	6, 0x0
	.amdhsa_kernel _ZN7rocprim17ROCPRIM_400000_NS6detail17trampoline_kernelINS0_14default_configENS1_38merge_sort_block_merge_config_selectorIssEEZZNS1_27merge_sort_block_merge_implIS3_N6thrust23THRUST_200600_302600_NS6detail15normal_iteratorINS8_10device_ptrIsEEEESD_jNS1_19radix_merge_compareILb0ELb1EsNS0_19identity_decomposerEEEEE10hipError_tT0_T1_T2_jT3_P12ihipStream_tbPNSt15iterator_traitsISI_E10value_typeEPNSO_ISJ_E10value_typeEPSK_NS1_7vsmem_tEENKUlT_SI_SJ_SK_E_clISD_PsSD_S10_EESH_SX_SI_SJ_SK_EUlSX_E_NS1_11comp_targetILNS1_3genE9ELNS1_11target_archE1100ELNS1_3gpuE3ELNS1_3repE0EEENS1_48merge_mergepath_partition_config_static_selectorELNS0_4arch9wavefront6targetE1EEEvSJ_
		.amdhsa_group_segment_fixed_size 0
		.amdhsa_private_segment_fixed_size 0
		.amdhsa_kernarg_size 40
		.amdhsa_user_sgpr_count 2
		.amdhsa_user_sgpr_dispatch_ptr 0
		.amdhsa_user_sgpr_queue_ptr 0
		.amdhsa_user_sgpr_kernarg_segment_ptr 1
		.amdhsa_user_sgpr_dispatch_id 0
		.amdhsa_user_sgpr_kernarg_preload_length 0
		.amdhsa_user_sgpr_kernarg_preload_offset 0
		.amdhsa_user_sgpr_private_segment_size 0
		.amdhsa_uses_dynamic_stack 0
		.amdhsa_enable_private_segment 0
		.amdhsa_system_sgpr_workgroup_id_x 1
		.amdhsa_system_sgpr_workgroup_id_y 0
		.amdhsa_system_sgpr_workgroup_id_z 0
		.amdhsa_system_sgpr_workgroup_info 0
		.amdhsa_system_vgpr_workitem_id 0
		.amdhsa_next_free_vgpr 1
		.amdhsa_next_free_sgpr 0
		.amdhsa_accum_offset 4
		.amdhsa_reserve_vcc 0
		.amdhsa_float_round_mode_32 0
		.amdhsa_float_round_mode_16_64 0
		.amdhsa_float_denorm_mode_32 3
		.amdhsa_float_denorm_mode_16_64 3
		.amdhsa_dx10_clamp 1
		.amdhsa_ieee_mode 1
		.amdhsa_fp16_overflow 0
		.amdhsa_tg_split 0
		.amdhsa_exception_fp_ieee_invalid_op 0
		.amdhsa_exception_fp_denorm_src 0
		.amdhsa_exception_fp_ieee_div_zero 0
		.amdhsa_exception_fp_ieee_overflow 0
		.amdhsa_exception_fp_ieee_underflow 0
		.amdhsa_exception_fp_ieee_inexact 0
		.amdhsa_exception_int_div_zero 0
	.end_amdhsa_kernel
	.section	.text._ZN7rocprim17ROCPRIM_400000_NS6detail17trampoline_kernelINS0_14default_configENS1_38merge_sort_block_merge_config_selectorIssEEZZNS1_27merge_sort_block_merge_implIS3_N6thrust23THRUST_200600_302600_NS6detail15normal_iteratorINS8_10device_ptrIsEEEESD_jNS1_19radix_merge_compareILb0ELb1EsNS0_19identity_decomposerEEEEE10hipError_tT0_T1_T2_jT3_P12ihipStream_tbPNSt15iterator_traitsISI_E10value_typeEPNSO_ISJ_E10value_typeEPSK_NS1_7vsmem_tEENKUlT_SI_SJ_SK_E_clISD_PsSD_S10_EESH_SX_SI_SJ_SK_EUlSX_E_NS1_11comp_targetILNS1_3genE9ELNS1_11target_archE1100ELNS1_3gpuE3ELNS1_3repE0EEENS1_48merge_mergepath_partition_config_static_selectorELNS0_4arch9wavefront6targetE1EEEvSJ_,"axG",@progbits,_ZN7rocprim17ROCPRIM_400000_NS6detail17trampoline_kernelINS0_14default_configENS1_38merge_sort_block_merge_config_selectorIssEEZZNS1_27merge_sort_block_merge_implIS3_N6thrust23THRUST_200600_302600_NS6detail15normal_iteratorINS8_10device_ptrIsEEEESD_jNS1_19radix_merge_compareILb0ELb1EsNS0_19identity_decomposerEEEEE10hipError_tT0_T1_T2_jT3_P12ihipStream_tbPNSt15iterator_traitsISI_E10value_typeEPNSO_ISJ_E10value_typeEPSK_NS1_7vsmem_tEENKUlT_SI_SJ_SK_E_clISD_PsSD_S10_EESH_SX_SI_SJ_SK_EUlSX_E_NS1_11comp_targetILNS1_3genE9ELNS1_11target_archE1100ELNS1_3gpuE3ELNS1_3repE0EEENS1_48merge_mergepath_partition_config_static_selectorELNS0_4arch9wavefront6targetE1EEEvSJ_,comdat
.Lfunc_end1597:
	.size	_ZN7rocprim17ROCPRIM_400000_NS6detail17trampoline_kernelINS0_14default_configENS1_38merge_sort_block_merge_config_selectorIssEEZZNS1_27merge_sort_block_merge_implIS3_N6thrust23THRUST_200600_302600_NS6detail15normal_iteratorINS8_10device_ptrIsEEEESD_jNS1_19radix_merge_compareILb0ELb1EsNS0_19identity_decomposerEEEEE10hipError_tT0_T1_T2_jT3_P12ihipStream_tbPNSt15iterator_traitsISI_E10value_typeEPNSO_ISJ_E10value_typeEPSK_NS1_7vsmem_tEENKUlT_SI_SJ_SK_E_clISD_PsSD_S10_EESH_SX_SI_SJ_SK_EUlSX_E_NS1_11comp_targetILNS1_3genE9ELNS1_11target_archE1100ELNS1_3gpuE3ELNS1_3repE0EEENS1_48merge_mergepath_partition_config_static_selectorELNS0_4arch9wavefront6targetE1EEEvSJ_, .Lfunc_end1597-_ZN7rocprim17ROCPRIM_400000_NS6detail17trampoline_kernelINS0_14default_configENS1_38merge_sort_block_merge_config_selectorIssEEZZNS1_27merge_sort_block_merge_implIS3_N6thrust23THRUST_200600_302600_NS6detail15normal_iteratorINS8_10device_ptrIsEEEESD_jNS1_19radix_merge_compareILb0ELb1EsNS0_19identity_decomposerEEEEE10hipError_tT0_T1_T2_jT3_P12ihipStream_tbPNSt15iterator_traitsISI_E10value_typeEPNSO_ISJ_E10value_typeEPSK_NS1_7vsmem_tEENKUlT_SI_SJ_SK_E_clISD_PsSD_S10_EESH_SX_SI_SJ_SK_EUlSX_E_NS1_11comp_targetILNS1_3genE9ELNS1_11target_archE1100ELNS1_3gpuE3ELNS1_3repE0EEENS1_48merge_mergepath_partition_config_static_selectorELNS0_4arch9wavefront6targetE1EEEvSJ_
                                        ; -- End function
	.set _ZN7rocprim17ROCPRIM_400000_NS6detail17trampoline_kernelINS0_14default_configENS1_38merge_sort_block_merge_config_selectorIssEEZZNS1_27merge_sort_block_merge_implIS3_N6thrust23THRUST_200600_302600_NS6detail15normal_iteratorINS8_10device_ptrIsEEEESD_jNS1_19radix_merge_compareILb0ELb1EsNS0_19identity_decomposerEEEEE10hipError_tT0_T1_T2_jT3_P12ihipStream_tbPNSt15iterator_traitsISI_E10value_typeEPNSO_ISJ_E10value_typeEPSK_NS1_7vsmem_tEENKUlT_SI_SJ_SK_E_clISD_PsSD_S10_EESH_SX_SI_SJ_SK_EUlSX_E_NS1_11comp_targetILNS1_3genE9ELNS1_11target_archE1100ELNS1_3gpuE3ELNS1_3repE0EEENS1_48merge_mergepath_partition_config_static_selectorELNS0_4arch9wavefront6targetE1EEEvSJ_.num_vgpr, 0
	.set _ZN7rocprim17ROCPRIM_400000_NS6detail17trampoline_kernelINS0_14default_configENS1_38merge_sort_block_merge_config_selectorIssEEZZNS1_27merge_sort_block_merge_implIS3_N6thrust23THRUST_200600_302600_NS6detail15normal_iteratorINS8_10device_ptrIsEEEESD_jNS1_19radix_merge_compareILb0ELb1EsNS0_19identity_decomposerEEEEE10hipError_tT0_T1_T2_jT3_P12ihipStream_tbPNSt15iterator_traitsISI_E10value_typeEPNSO_ISJ_E10value_typeEPSK_NS1_7vsmem_tEENKUlT_SI_SJ_SK_E_clISD_PsSD_S10_EESH_SX_SI_SJ_SK_EUlSX_E_NS1_11comp_targetILNS1_3genE9ELNS1_11target_archE1100ELNS1_3gpuE3ELNS1_3repE0EEENS1_48merge_mergepath_partition_config_static_selectorELNS0_4arch9wavefront6targetE1EEEvSJ_.num_agpr, 0
	.set _ZN7rocprim17ROCPRIM_400000_NS6detail17trampoline_kernelINS0_14default_configENS1_38merge_sort_block_merge_config_selectorIssEEZZNS1_27merge_sort_block_merge_implIS3_N6thrust23THRUST_200600_302600_NS6detail15normal_iteratorINS8_10device_ptrIsEEEESD_jNS1_19radix_merge_compareILb0ELb1EsNS0_19identity_decomposerEEEEE10hipError_tT0_T1_T2_jT3_P12ihipStream_tbPNSt15iterator_traitsISI_E10value_typeEPNSO_ISJ_E10value_typeEPSK_NS1_7vsmem_tEENKUlT_SI_SJ_SK_E_clISD_PsSD_S10_EESH_SX_SI_SJ_SK_EUlSX_E_NS1_11comp_targetILNS1_3genE9ELNS1_11target_archE1100ELNS1_3gpuE3ELNS1_3repE0EEENS1_48merge_mergepath_partition_config_static_selectorELNS0_4arch9wavefront6targetE1EEEvSJ_.numbered_sgpr, 0
	.set _ZN7rocprim17ROCPRIM_400000_NS6detail17trampoline_kernelINS0_14default_configENS1_38merge_sort_block_merge_config_selectorIssEEZZNS1_27merge_sort_block_merge_implIS3_N6thrust23THRUST_200600_302600_NS6detail15normal_iteratorINS8_10device_ptrIsEEEESD_jNS1_19radix_merge_compareILb0ELb1EsNS0_19identity_decomposerEEEEE10hipError_tT0_T1_T2_jT3_P12ihipStream_tbPNSt15iterator_traitsISI_E10value_typeEPNSO_ISJ_E10value_typeEPSK_NS1_7vsmem_tEENKUlT_SI_SJ_SK_E_clISD_PsSD_S10_EESH_SX_SI_SJ_SK_EUlSX_E_NS1_11comp_targetILNS1_3genE9ELNS1_11target_archE1100ELNS1_3gpuE3ELNS1_3repE0EEENS1_48merge_mergepath_partition_config_static_selectorELNS0_4arch9wavefront6targetE1EEEvSJ_.num_named_barrier, 0
	.set _ZN7rocprim17ROCPRIM_400000_NS6detail17trampoline_kernelINS0_14default_configENS1_38merge_sort_block_merge_config_selectorIssEEZZNS1_27merge_sort_block_merge_implIS3_N6thrust23THRUST_200600_302600_NS6detail15normal_iteratorINS8_10device_ptrIsEEEESD_jNS1_19radix_merge_compareILb0ELb1EsNS0_19identity_decomposerEEEEE10hipError_tT0_T1_T2_jT3_P12ihipStream_tbPNSt15iterator_traitsISI_E10value_typeEPNSO_ISJ_E10value_typeEPSK_NS1_7vsmem_tEENKUlT_SI_SJ_SK_E_clISD_PsSD_S10_EESH_SX_SI_SJ_SK_EUlSX_E_NS1_11comp_targetILNS1_3genE9ELNS1_11target_archE1100ELNS1_3gpuE3ELNS1_3repE0EEENS1_48merge_mergepath_partition_config_static_selectorELNS0_4arch9wavefront6targetE1EEEvSJ_.private_seg_size, 0
	.set _ZN7rocprim17ROCPRIM_400000_NS6detail17trampoline_kernelINS0_14default_configENS1_38merge_sort_block_merge_config_selectorIssEEZZNS1_27merge_sort_block_merge_implIS3_N6thrust23THRUST_200600_302600_NS6detail15normal_iteratorINS8_10device_ptrIsEEEESD_jNS1_19radix_merge_compareILb0ELb1EsNS0_19identity_decomposerEEEEE10hipError_tT0_T1_T2_jT3_P12ihipStream_tbPNSt15iterator_traitsISI_E10value_typeEPNSO_ISJ_E10value_typeEPSK_NS1_7vsmem_tEENKUlT_SI_SJ_SK_E_clISD_PsSD_S10_EESH_SX_SI_SJ_SK_EUlSX_E_NS1_11comp_targetILNS1_3genE9ELNS1_11target_archE1100ELNS1_3gpuE3ELNS1_3repE0EEENS1_48merge_mergepath_partition_config_static_selectorELNS0_4arch9wavefront6targetE1EEEvSJ_.uses_vcc, 0
	.set _ZN7rocprim17ROCPRIM_400000_NS6detail17trampoline_kernelINS0_14default_configENS1_38merge_sort_block_merge_config_selectorIssEEZZNS1_27merge_sort_block_merge_implIS3_N6thrust23THRUST_200600_302600_NS6detail15normal_iteratorINS8_10device_ptrIsEEEESD_jNS1_19radix_merge_compareILb0ELb1EsNS0_19identity_decomposerEEEEE10hipError_tT0_T1_T2_jT3_P12ihipStream_tbPNSt15iterator_traitsISI_E10value_typeEPNSO_ISJ_E10value_typeEPSK_NS1_7vsmem_tEENKUlT_SI_SJ_SK_E_clISD_PsSD_S10_EESH_SX_SI_SJ_SK_EUlSX_E_NS1_11comp_targetILNS1_3genE9ELNS1_11target_archE1100ELNS1_3gpuE3ELNS1_3repE0EEENS1_48merge_mergepath_partition_config_static_selectorELNS0_4arch9wavefront6targetE1EEEvSJ_.uses_flat_scratch, 0
	.set _ZN7rocprim17ROCPRIM_400000_NS6detail17trampoline_kernelINS0_14default_configENS1_38merge_sort_block_merge_config_selectorIssEEZZNS1_27merge_sort_block_merge_implIS3_N6thrust23THRUST_200600_302600_NS6detail15normal_iteratorINS8_10device_ptrIsEEEESD_jNS1_19radix_merge_compareILb0ELb1EsNS0_19identity_decomposerEEEEE10hipError_tT0_T1_T2_jT3_P12ihipStream_tbPNSt15iterator_traitsISI_E10value_typeEPNSO_ISJ_E10value_typeEPSK_NS1_7vsmem_tEENKUlT_SI_SJ_SK_E_clISD_PsSD_S10_EESH_SX_SI_SJ_SK_EUlSX_E_NS1_11comp_targetILNS1_3genE9ELNS1_11target_archE1100ELNS1_3gpuE3ELNS1_3repE0EEENS1_48merge_mergepath_partition_config_static_selectorELNS0_4arch9wavefront6targetE1EEEvSJ_.has_dyn_sized_stack, 0
	.set _ZN7rocprim17ROCPRIM_400000_NS6detail17trampoline_kernelINS0_14default_configENS1_38merge_sort_block_merge_config_selectorIssEEZZNS1_27merge_sort_block_merge_implIS3_N6thrust23THRUST_200600_302600_NS6detail15normal_iteratorINS8_10device_ptrIsEEEESD_jNS1_19radix_merge_compareILb0ELb1EsNS0_19identity_decomposerEEEEE10hipError_tT0_T1_T2_jT3_P12ihipStream_tbPNSt15iterator_traitsISI_E10value_typeEPNSO_ISJ_E10value_typeEPSK_NS1_7vsmem_tEENKUlT_SI_SJ_SK_E_clISD_PsSD_S10_EESH_SX_SI_SJ_SK_EUlSX_E_NS1_11comp_targetILNS1_3genE9ELNS1_11target_archE1100ELNS1_3gpuE3ELNS1_3repE0EEENS1_48merge_mergepath_partition_config_static_selectorELNS0_4arch9wavefront6targetE1EEEvSJ_.has_recursion, 0
	.set _ZN7rocprim17ROCPRIM_400000_NS6detail17trampoline_kernelINS0_14default_configENS1_38merge_sort_block_merge_config_selectorIssEEZZNS1_27merge_sort_block_merge_implIS3_N6thrust23THRUST_200600_302600_NS6detail15normal_iteratorINS8_10device_ptrIsEEEESD_jNS1_19radix_merge_compareILb0ELb1EsNS0_19identity_decomposerEEEEE10hipError_tT0_T1_T2_jT3_P12ihipStream_tbPNSt15iterator_traitsISI_E10value_typeEPNSO_ISJ_E10value_typeEPSK_NS1_7vsmem_tEENKUlT_SI_SJ_SK_E_clISD_PsSD_S10_EESH_SX_SI_SJ_SK_EUlSX_E_NS1_11comp_targetILNS1_3genE9ELNS1_11target_archE1100ELNS1_3gpuE3ELNS1_3repE0EEENS1_48merge_mergepath_partition_config_static_selectorELNS0_4arch9wavefront6targetE1EEEvSJ_.has_indirect_call, 0
	.section	.AMDGPU.csdata,"",@progbits
; Kernel info:
; codeLenInByte = 0
; TotalNumSgprs: 6
; NumVgprs: 0
; NumAgprs: 0
; TotalNumVgprs: 0
; ScratchSize: 0
; MemoryBound: 0
; FloatMode: 240
; IeeeMode: 1
; LDSByteSize: 0 bytes/workgroup (compile time only)
; SGPRBlocks: 0
; VGPRBlocks: 0
; NumSGPRsForWavesPerEU: 6
; NumVGPRsForWavesPerEU: 1
; AccumOffset: 4
; Occupancy: 8
; WaveLimiterHint : 0
; COMPUTE_PGM_RSRC2:SCRATCH_EN: 0
; COMPUTE_PGM_RSRC2:USER_SGPR: 2
; COMPUTE_PGM_RSRC2:TRAP_HANDLER: 0
; COMPUTE_PGM_RSRC2:TGID_X_EN: 1
; COMPUTE_PGM_RSRC2:TGID_Y_EN: 0
; COMPUTE_PGM_RSRC2:TGID_Z_EN: 0
; COMPUTE_PGM_RSRC2:TIDIG_COMP_CNT: 0
; COMPUTE_PGM_RSRC3_GFX90A:ACCUM_OFFSET: 0
; COMPUTE_PGM_RSRC3_GFX90A:TG_SPLIT: 0
	.section	.text._ZN7rocprim17ROCPRIM_400000_NS6detail17trampoline_kernelINS0_14default_configENS1_38merge_sort_block_merge_config_selectorIssEEZZNS1_27merge_sort_block_merge_implIS3_N6thrust23THRUST_200600_302600_NS6detail15normal_iteratorINS8_10device_ptrIsEEEESD_jNS1_19radix_merge_compareILb0ELb1EsNS0_19identity_decomposerEEEEE10hipError_tT0_T1_T2_jT3_P12ihipStream_tbPNSt15iterator_traitsISI_E10value_typeEPNSO_ISJ_E10value_typeEPSK_NS1_7vsmem_tEENKUlT_SI_SJ_SK_E_clISD_PsSD_S10_EESH_SX_SI_SJ_SK_EUlSX_E_NS1_11comp_targetILNS1_3genE8ELNS1_11target_archE1030ELNS1_3gpuE2ELNS1_3repE0EEENS1_48merge_mergepath_partition_config_static_selectorELNS0_4arch9wavefront6targetE1EEEvSJ_,"axG",@progbits,_ZN7rocprim17ROCPRIM_400000_NS6detail17trampoline_kernelINS0_14default_configENS1_38merge_sort_block_merge_config_selectorIssEEZZNS1_27merge_sort_block_merge_implIS3_N6thrust23THRUST_200600_302600_NS6detail15normal_iteratorINS8_10device_ptrIsEEEESD_jNS1_19radix_merge_compareILb0ELb1EsNS0_19identity_decomposerEEEEE10hipError_tT0_T1_T2_jT3_P12ihipStream_tbPNSt15iterator_traitsISI_E10value_typeEPNSO_ISJ_E10value_typeEPSK_NS1_7vsmem_tEENKUlT_SI_SJ_SK_E_clISD_PsSD_S10_EESH_SX_SI_SJ_SK_EUlSX_E_NS1_11comp_targetILNS1_3genE8ELNS1_11target_archE1030ELNS1_3gpuE2ELNS1_3repE0EEENS1_48merge_mergepath_partition_config_static_selectorELNS0_4arch9wavefront6targetE1EEEvSJ_,comdat
	.protected	_ZN7rocprim17ROCPRIM_400000_NS6detail17trampoline_kernelINS0_14default_configENS1_38merge_sort_block_merge_config_selectorIssEEZZNS1_27merge_sort_block_merge_implIS3_N6thrust23THRUST_200600_302600_NS6detail15normal_iteratorINS8_10device_ptrIsEEEESD_jNS1_19radix_merge_compareILb0ELb1EsNS0_19identity_decomposerEEEEE10hipError_tT0_T1_T2_jT3_P12ihipStream_tbPNSt15iterator_traitsISI_E10value_typeEPNSO_ISJ_E10value_typeEPSK_NS1_7vsmem_tEENKUlT_SI_SJ_SK_E_clISD_PsSD_S10_EESH_SX_SI_SJ_SK_EUlSX_E_NS1_11comp_targetILNS1_3genE8ELNS1_11target_archE1030ELNS1_3gpuE2ELNS1_3repE0EEENS1_48merge_mergepath_partition_config_static_selectorELNS0_4arch9wavefront6targetE1EEEvSJ_ ; -- Begin function _ZN7rocprim17ROCPRIM_400000_NS6detail17trampoline_kernelINS0_14default_configENS1_38merge_sort_block_merge_config_selectorIssEEZZNS1_27merge_sort_block_merge_implIS3_N6thrust23THRUST_200600_302600_NS6detail15normal_iteratorINS8_10device_ptrIsEEEESD_jNS1_19radix_merge_compareILb0ELb1EsNS0_19identity_decomposerEEEEE10hipError_tT0_T1_T2_jT3_P12ihipStream_tbPNSt15iterator_traitsISI_E10value_typeEPNSO_ISJ_E10value_typeEPSK_NS1_7vsmem_tEENKUlT_SI_SJ_SK_E_clISD_PsSD_S10_EESH_SX_SI_SJ_SK_EUlSX_E_NS1_11comp_targetILNS1_3genE8ELNS1_11target_archE1030ELNS1_3gpuE2ELNS1_3repE0EEENS1_48merge_mergepath_partition_config_static_selectorELNS0_4arch9wavefront6targetE1EEEvSJ_
	.globl	_ZN7rocprim17ROCPRIM_400000_NS6detail17trampoline_kernelINS0_14default_configENS1_38merge_sort_block_merge_config_selectorIssEEZZNS1_27merge_sort_block_merge_implIS3_N6thrust23THRUST_200600_302600_NS6detail15normal_iteratorINS8_10device_ptrIsEEEESD_jNS1_19radix_merge_compareILb0ELb1EsNS0_19identity_decomposerEEEEE10hipError_tT0_T1_T2_jT3_P12ihipStream_tbPNSt15iterator_traitsISI_E10value_typeEPNSO_ISJ_E10value_typeEPSK_NS1_7vsmem_tEENKUlT_SI_SJ_SK_E_clISD_PsSD_S10_EESH_SX_SI_SJ_SK_EUlSX_E_NS1_11comp_targetILNS1_3genE8ELNS1_11target_archE1030ELNS1_3gpuE2ELNS1_3repE0EEENS1_48merge_mergepath_partition_config_static_selectorELNS0_4arch9wavefront6targetE1EEEvSJ_
	.p2align	8
	.type	_ZN7rocprim17ROCPRIM_400000_NS6detail17trampoline_kernelINS0_14default_configENS1_38merge_sort_block_merge_config_selectorIssEEZZNS1_27merge_sort_block_merge_implIS3_N6thrust23THRUST_200600_302600_NS6detail15normal_iteratorINS8_10device_ptrIsEEEESD_jNS1_19radix_merge_compareILb0ELb1EsNS0_19identity_decomposerEEEEE10hipError_tT0_T1_T2_jT3_P12ihipStream_tbPNSt15iterator_traitsISI_E10value_typeEPNSO_ISJ_E10value_typeEPSK_NS1_7vsmem_tEENKUlT_SI_SJ_SK_E_clISD_PsSD_S10_EESH_SX_SI_SJ_SK_EUlSX_E_NS1_11comp_targetILNS1_3genE8ELNS1_11target_archE1030ELNS1_3gpuE2ELNS1_3repE0EEENS1_48merge_mergepath_partition_config_static_selectorELNS0_4arch9wavefront6targetE1EEEvSJ_,@function
_ZN7rocprim17ROCPRIM_400000_NS6detail17trampoline_kernelINS0_14default_configENS1_38merge_sort_block_merge_config_selectorIssEEZZNS1_27merge_sort_block_merge_implIS3_N6thrust23THRUST_200600_302600_NS6detail15normal_iteratorINS8_10device_ptrIsEEEESD_jNS1_19radix_merge_compareILb0ELb1EsNS0_19identity_decomposerEEEEE10hipError_tT0_T1_T2_jT3_P12ihipStream_tbPNSt15iterator_traitsISI_E10value_typeEPNSO_ISJ_E10value_typeEPSK_NS1_7vsmem_tEENKUlT_SI_SJ_SK_E_clISD_PsSD_S10_EESH_SX_SI_SJ_SK_EUlSX_E_NS1_11comp_targetILNS1_3genE8ELNS1_11target_archE1030ELNS1_3gpuE2ELNS1_3repE0EEENS1_48merge_mergepath_partition_config_static_selectorELNS0_4arch9wavefront6targetE1EEEvSJ_: ; @_ZN7rocprim17ROCPRIM_400000_NS6detail17trampoline_kernelINS0_14default_configENS1_38merge_sort_block_merge_config_selectorIssEEZZNS1_27merge_sort_block_merge_implIS3_N6thrust23THRUST_200600_302600_NS6detail15normal_iteratorINS8_10device_ptrIsEEEESD_jNS1_19radix_merge_compareILb0ELb1EsNS0_19identity_decomposerEEEEE10hipError_tT0_T1_T2_jT3_P12ihipStream_tbPNSt15iterator_traitsISI_E10value_typeEPNSO_ISJ_E10value_typeEPSK_NS1_7vsmem_tEENKUlT_SI_SJ_SK_E_clISD_PsSD_S10_EESH_SX_SI_SJ_SK_EUlSX_E_NS1_11comp_targetILNS1_3genE8ELNS1_11target_archE1030ELNS1_3gpuE2ELNS1_3repE0EEENS1_48merge_mergepath_partition_config_static_selectorELNS0_4arch9wavefront6targetE1EEEvSJ_
; %bb.0:
	.section	.rodata,"a",@progbits
	.p2align	6, 0x0
	.amdhsa_kernel _ZN7rocprim17ROCPRIM_400000_NS6detail17trampoline_kernelINS0_14default_configENS1_38merge_sort_block_merge_config_selectorIssEEZZNS1_27merge_sort_block_merge_implIS3_N6thrust23THRUST_200600_302600_NS6detail15normal_iteratorINS8_10device_ptrIsEEEESD_jNS1_19radix_merge_compareILb0ELb1EsNS0_19identity_decomposerEEEEE10hipError_tT0_T1_T2_jT3_P12ihipStream_tbPNSt15iterator_traitsISI_E10value_typeEPNSO_ISJ_E10value_typeEPSK_NS1_7vsmem_tEENKUlT_SI_SJ_SK_E_clISD_PsSD_S10_EESH_SX_SI_SJ_SK_EUlSX_E_NS1_11comp_targetILNS1_3genE8ELNS1_11target_archE1030ELNS1_3gpuE2ELNS1_3repE0EEENS1_48merge_mergepath_partition_config_static_selectorELNS0_4arch9wavefront6targetE1EEEvSJ_
		.amdhsa_group_segment_fixed_size 0
		.amdhsa_private_segment_fixed_size 0
		.amdhsa_kernarg_size 40
		.amdhsa_user_sgpr_count 2
		.amdhsa_user_sgpr_dispatch_ptr 0
		.amdhsa_user_sgpr_queue_ptr 0
		.amdhsa_user_sgpr_kernarg_segment_ptr 1
		.amdhsa_user_sgpr_dispatch_id 0
		.amdhsa_user_sgpr_kernarg_preload_length 0
		.amdhsa_user_sgpr_kernarg_preload_offset 0
		.amdhsa_user_sgpr_private_segment_size 0
		.amdhsa_uses_dynamic_stack 0
		.amdhsa_enable_private_segment 0
		.amdhsa_system_sgpr_workgroup_id_x 1
		.amdhsa_system_sgpr_workgroup_id_y 0
		.amdhsa_system_sgpr_workgroup_id_z 0
		.amdhsa_system_sgpr_workgroup_info 0
		.amdhsa_system_vgpr_workitem_id 0
		.amdhsa_next_free_vgpr 1
		.amdhsa_next_free_sgpr 0
		.amdhsa_accum_offset 4
		.amdhsa_reserve_vcc 0
		.amdhsa_float_round_mode_32 0
		.amdhsa_float_round_mode_16_64 0
		.amdhsa_float_denorm_mode_32 3
		.amdhsa_float_denorm_mode_16_64 3
		.amdhsa_dx10_clamp 1
		.amdhsa_ieee_mode 1
		.amdhsa_fp16_overflow 0
		.amdhsa_tg_split 0
		.amdhsa_exception_fp_ieee_invalid_op 0
		.amdhsa_exception_fp_denorm_src 0
		.amdhsa_exception_fp_ieee_div_zero 0
		.amdhsa_exception_fp_ieee_overflow 0
		.amdhsa_exception_fp_ieee_underflow 0
		.amdhsa_exception_fp_ieee_inexact 0
		.amdhsa_exception_int_div_zero 0
	.end_amdhsa_kernel
	.section	.text._ZN7rocprim17ROCPRIM_400000_NS6detail17trampoline_kernelINS0_14default_configENS1_38merge_sort_block_merge_config_selectorIssEEZZNS1_27merge_sort_block_merge_implIS3_N6thrust23THRUST_200600_302600_NS6detail15normal_iteratorINS8_10device_ptrIsEEEESD_jNS1_19radix_merge_compareILb0ELb1EsNS0_19identity_decomposerEEEEE10hipError_tT0_T1_T2_jT3_P12ihipStream_tbPNSt15iterator_traitsISI_E10value_typeEPNSO_ISJ_E10value_typeEPSK_NS1_7vsmem_tEENKUlT_SI_SJ_SK_E_clISD_PsSD_S10_EESH_SX_SI_SJ_SK_EUlSX_E_NS1_11comp_targetILNS1_3genE8ELNS1_11target_archE1030ELNS1_3gpuE2ELNS1_3repE0EEENS1_48merge_mergepath_partition_config_static_selectorELNS0_4arch9wavefront6targetE1EEEvSJ_,"axG",@progbits,_ZN7rocprim17ROCPRIM_400000_NS6detail17trampoline_kernelINS0_14default_configENS1_38merge_sort_block_merge_config_selectorIssEEZZNS1_27merge_sort_block_merge_implIS3_N6thrust23THRUST_200600_302600_NS6detail15normal_iteratorINS8_10device_ptrIsEEEESD_jNS1_19radix_merge_compareILb0ELb1EsNS0_19identity_decomposerEEEEE10hipError_tT0_T1_T2_jT3_P12ihipStream_tbPNSt15iterator_traitsISI_E10value_typeEPNSO_ISJ_E10value_typeEPSK_NS1_7vsmem_tEENKUlT_SI_SJ_SK_E_clISD_PsSD_S10_EESH_SX_SI_SJ_SK_EUlSX_E_NS1_11comp_targetILNS1_3genE8ELNS1_11target_archE1030ELNS1_3gpuE2ELNS1_3repE0EEENS1_48merge_mergepath_partition_config_static_selectorELNS0_4arch9wavefront6targetE1EEEvSJ_,comdat
.Lfunc_end1598:
	.size	_ZN7rocprim17ROCPRIM_400000_NS6detail17trampoline_kernelINS0_14default_configENS1_38merge_sort_block_merge_config_selectorIssEEZZNS1_27merge_sort_block_merge_implIS3_N6thrust23THRUST_200600_302600_NS6detail15normal_iteratorINS8_10device_ptrIsEEEESD_jNS1_19radix_merge_compareILb0ELb1EsNS0_19identity_decomposerEEEEE10hipError_tT0_T1_T2_jT3_P12ihipStream_tbPNSt15iterator_traitsISI_E10value_typeEPNSO_ISJ_E10value_typeEPSK_NS1_7vsmem_tEENKUlT_SI_SJ_SK_E_clISD_PsSD_S10_EESH_SX_SI_SJ_SK_EUlSX_E_NS1_11comp_targetILNS1_3genE8ELNS1_11target_archE1030ELNS1_3gpuE2ELNS1_3repE0EEENS1_48merge_mergepath_partition_config_static_selectorELNS0_4arch9wavefront6targetE1EEEvSJ_, .Lfunc_end1598-_ZN7rocprim17ROCPRIM_400000_NS6detail17trampoline_kernelINS0_14default_configENS1_38merge_sort_block_merge_config_selectorIssEEZZNS1_27merge_sort_block_merge_implIS3_N6thrust23THRUST_200600_302600_NS6detail15normal_iteratorINS8_10device_ptrIsEEEESD_jNS1_19radix_merge_compareILb0ELb1EsNS0_19identity_decomposerEEEEE10hipError_tT0_T1_T2_jT3_P12ihipStream_tbPNSt15iterator_traitsISI_E10value_typeEPNSO_ISJ_E10value_typeEPSK_NS1_7vsmem_tEENKUlT_SI_SJ_SK_E_clISD_PsSD_S10_EESH_SX_SI_SJ_SK_EUlSX_E_NS1_11comp_targetILNS1_3genE8ELNS1_11target_archE1030ELNS1_3gpuE2ELNS1_3repE0EEENS1_48merge_mergepath_partition_config_static_selectorELNS0_4arch9wavefront6targetE1EEEvSJ_
                                        ; -- End function
	.set _ZN7rocprim17ROCPRIM_400000_NS6detail17trampoline_kernelINS0_14default_configENS1_38merge_sort_block_merge_config_selectorIssEEZZNS1_27merge_sort_block_merge_implIS3_N6thrust23THRUST_200600_302600_NS6detail15normal_iteratorINS8_10device_ptrIsEEEESD_jNS1_19radix_merge_compareILb0ELb1EsNS0_19identity_decomposerEEEEE10hipError_tT0_T1_T2_jT3_P12ihipStream_tbPNSt15iterator_traitsISI_E10value_typeEPNSO_ISJ_E10value_typeEPSK_NS1_7vsmem_tEENKUlT_SI_SJ_SK_E_clISD_PsSD_S10_EESH_SX_SI_SJ_SK_EUlSX_E_NS1_11comp_targetILNS1_3genE8ELNS1_11target_archE1030ELNS1_3gpuE2ELNS1_3repE0EEENS1_48merge_mergepath_partition_config_static_selectorELNS0_4arch9wavefront6targetE1EEEvSJ_.num_vgpr, 0
	.set _ZN7rocprim17ROCPRIM_400000_NS6detail17trampoline_kernelINS0_14default_configENS1_38merge_sort_block_merge_config_selectorIssEEZZNS1_27merge_sort_block_merge_implIS3_N6thrust23THRUST_200600_302600_NS6detail15normal_iteratorINS8_10device_ptrIsEEEESD_jNS1_19radix_merge_compareILb0ELb1EsNS0_19identity_decomposerEEEEE10hipError_tT0_T1_T2_jT3_P12ihipStream_tbPNSt15iterator_traitsISI_E10value_typeEPNSO_ISJ_E10value_typeEPSK_NS1_7vsmem_tEENKUlT_SI_SJ_SK_E_clISD_PsSD_S10_EESH_SX_SI_SJ_SK_EUlSX_E_NS1_11comp_targetILNS1_3genE8ELNS1_11target_archE1030ELNS1_3gpuE2ELNS1_3repE0EEENS1_48merge_mergepath_partition_config_static_selectorELNS0_4arch9wavefront6targetE1EEEvSJ_.num_agpr, 0
	.set _ZN7rocprim17ROCPRIM_400000_NS6detail17trampoline_kernelINS0_14default_configENS1_38merge_sort_block_merge_config_selectorIssEEZZNS1_27merge_sort_block_merge_implIS3_N6thrust23THRUST_200600_302600_NS6detail15normal_iteratorINS8_10device_ptrIsEEEESD_jNS1_19radix_merge_compareILb0ELb1EsNS0_19identity_decomposerEEEEE10hipError_tT0_T1_T2_jT3_P12ihipStream_tbPNSt15iterator_traitsISI_E10value_typeEPNSO_ISJ_E10value_typeEPSK_NS1_7vsmem_tEENKUlT_SI_SJ_SK_E_clISD_PsSD_S10_EESH_SX_SI_SJ_SK_EUlSX_E_NS1_11comp_targetILNS1_3genE8ELNS1_11target_archE1030ELNS1_3gpuE2ELNS1_3repE0EEENS1_48merge_mergepath_partition_config_static_selectorELNS0_4arch9wavefront6targetE1EEEvSJ_.numbered_sgpr, 0
	.set _ZN7rocprim17ROCPRIM_400000_NS6detail17trampoline_kernelINS0_14default_configENS1_38merge_sort_block_merge_config_selectorIssEEZZNS1_27merge_sort_block_merge_implIS3_N6thrust23THRUST_200600_302600_NS6detail15normal_iteratorINS8_10device_ptrIsEEEESD_jNS1_19radix_merge_compareILb0ELb1EsNS0_19identity_decomposerEEEEE10hipError_tT0_T1_T2_jT3_P12ihipStream_tbPNSt15iterator_traitsISI_E10value_typeEPNSO_ISJ_E10value_typeEPSK_NS1_7vsmem_tEENKUlT_SI_SJ_SK_E_clISD_PsSD_S10_EESH_SX_SI_SJ_SK_EUlSX_E_NS1_11comp_targetILNS1_3genE8ELNS1_11target_archE1030ELNS1_3gpuE2ELNS1_3repE0EEENS1_48merge_mergepath_partition_config_static_selectorELNS0_4arch9wavefront6targetE1EEEvSJ_.num_named_barrier, 0
	.set _ZN7rocprim17ROCPRIM_400000_NS6detail17trampoline_kernelINS0_14default_configENS1_38merge_sort_block_merge_config_selectorIssEEZZNS1_27merge_sort_block_merge_implIS3_N6thrust23THRUST_200600_302600_NS6detail15normal_iteratorINS8_10device_ptrIsEEEESD_jNS1_19radix_merge_compareILb0ELb1EsNS0_19identity_decomposerEEEEE10hipError_tT0_T1_T2_jT3_P12ihipStream_tbPNSt15iterator_traitsISI_E10value_typeEPNSO_ISJ_E10value_typeEPSK_NS1_7vsmem_tEENKUlT_SI_SJ_SK_E_clISD_PsSD_S10_EESH_SX_SI_SJ_SK_EUlSX_E_NS1_11comp_targetILNS1_3genE8ELNS1_11target_archE1030ELNS1_3gpuE2ELNS1_3repE0EEENS1_48merge_mergepath_partition_config_static_selectorELNS0_4arch9wavefront6targetE1EEEvSJ_.private_seg_size, 0
	.set _ZN7rocprim17ROCPRIM_400000_NS6detail17trampoline_kernelINS0_14default_configENS1_38merge_sort_block_merge_config_selectorIssEEZZNS1_27merge_sort_block_merge_implIS3_N6thrust23THRUST_200600_302600_NS6detail15normal_iteratorINS8_10device_ptrIsEEEESD_jNS1_19radix_merge_compareILb0ELb1EsNS0_19identity_decomposerEEEEE10hipError_tT0_T1_T2_jT3_P12ihipStream_tbPNSt15iterator_traitsISI_E10value_typeEPNSO_ISJ_E10value_typeEPSK_NS1_7vsmem_tEENKUlT_SI_SJ_SK_E_clISD_PsSD_S10_EESH_SX_SI_SJ_SK_EUlSX_E_NS1_11comp_targetILNS1_3genE8ELNS1_11target_archE1030ELNS1_3gpuE2ELNS1_3repE0EEENS1_48merge_mergepath_partition_config_static_selectorELNS0_4arch9wavefront6targetE1EEEvSJ_.uses_vcc, 0
	.set _ZN7rocprim17ROCPRIM_400000_NS6detail17trampoline_kernelINS0_14default_configENS1_38merge_sort_block_merge_config_selectorIssEEZZNS1_27merge_sort_block_merge_implIS3_N6thrust23THRUST_200600_302600_NS6detail15normal_iteratorINS8_10device_ptrIsEEEESD_jNS1_19radix_merge_compareILb0ELb1EsNS0_19identity_decomposerEEEEE10hipError_tT0_T1_T2_jT3_P12ihipStream_tbPNSt15iterator_traitsISI_E10value_typeEPNSO_ISJ_E10value_typeEPSK_NS1_7vsmem_tEENKUlT_SI_SJ_SK_E_clISD_PsSD_S10_EESH_SX_SI_SJ_SK_EUlSX_E_NS1_11comp_targetILNS1_3genE8ELNS1_11target_archE1030ELNS1_3gpuE2ELNS1_3repE0EEENS1_48merge_mergepath_partition_config_static_selectorELNS0_4arch9wavefront6targetE1EEEvSJ_.uses_flat_scratch, 0
	.set _ZN7rocprim17ROCPRIM_400000_NS6detail17trampoline_kernelINS0_14default_configENS1_38merge_sort_block_merge_config_selectorIssEEZZNS1_27merge_sort_block_merge_implIS3_N6thrust23THRUST_200600_302600_NS6detail15normal_iteratorINS8_10device_ptrIsEEEESD_jNS1_19radix_merge_compareILb0ELb1EsNS0_19identity_decomposerEEEEE10hipError_tT0_T1_T2_jT3_P12ihipStream_tbPNSt15iterator_traitsISI_E10value_typeEPNSO_ISJ_E10value_typeEPSK_NS1_7vsmem_tEENKUlT_SI_SJ_SK_E_clISD_PsSD_S10_EESH_SX_SI_SJ_SK_EUlSX_E_NS1_11comp_targetILNS1_3genE8ELNS1_11target_archE1030ELNS1_3gpuE2ELNS1_3repE0EEENS1_48merge_mergepath_partition_config_static_selectorELNS0_4arch9wavefront6targetE1EEEvSJ_.has_dyn_sized_stack, 0
	.set _ZN7rocprim17ROCPRIM_400000_NS6detail17trampoline_kernelINS0_14default_configENS1_38merge_sort_block_merge_config_selectorIssEEZZNS1_27merge_sort_block_merge_implIS3_N6thrust23THRUST_200600_302600_NS6detail15normal_iteratorINS8_10device_ptrIsEEEESD_jNS1_19radix_merge_compareILb0ELb1EsNS0_19identity_decomposerEEEEE10hipError_tT0_T1_T2_jT3_P12ihipStream_tbPNSt15iterator_traitsISI_E10value_typeEPNSO_ISJ_E10value_typeEPSK_NS1_7vsmem_tEENKUlT_SI_SJ_SK_E_clISD_PsSD_S10_EESH_SX_SI_SJ_SK_EUlSX_E_NS1_11comp_targetILNS1_3genE8ELNS1_11target_archE1030ELNS1_3gpuE2ELNS1_3repE0EEENS1_48merge_mergepath_partition_config_static_selectorELNS0_4arch9wavefront6targetE1EEEvSJ_.has_recursion, 0
	.set _ZN7rocprim17ROCPRIM_400000_NS6detail17trampoline_kernelINS0_14default_configENS1_38merge_sort_block_merge_config_selectorIssEEZZNS1_27merge_sort_block_merge_implIS3_N6thrust23THRUST_200600_302600_NS6detail15normal_iteratorINS8_10device_ptrIsEEEESD_jNS1_19radix_merge_compareILb0ELb1EsNS0_19identity_decomposerEEEEE10hipError_tT0_T1_T2_jT3_P12ihipStream_tbPNSt15iterator_traitsISI_E10value_typeEPNSO_ISJ_E10value_typeEPSK_NS1_7vsmem_tEENKUlT_SI_SJ_SK_E_clISD_PsSD_S10_EESH_SX_SI_SJ_SK_EUlSX_E_NS1_11comp_targetILNS1_3genE8ELNS1_11target_archE1030ELNS1_3gpuE2ELNS1_3repE0EEENS1_48merge_mergepath_partition_config_static_selectorELNS0_4arch9wavefront6targetE1EEEvSJ_.has_indirect_call, 0
	.section	.AMDGPU.csdata,"",@progbits
; Kernel info:
; codeLenInByte = 0
; TotalNumSgprs: 6
; NumVgprs: 0
; NumAgprs: 0
; TotalNumVgprs: 0
; ScratchSize: 0
; MemoryBound: 0
; FloatMode: 240
; IeeeMode: 1
; LDSByteSize: 0 bytes/workgroup (compile time only)
; SGPRBlocks: 0
; VGPRBlocks: 0
; NumSGPRsForWavesPerEU: 6
; NumVGPRsForWavesPerEU: 1
; AccumOffset: 4
; Occupancy: 8
; WaveLimiterHint : 0
; COMPUTE_PGM_RSRC2:SCRATCH_EN: 0
; COMPUTE_PGM_RSRC2:USER_SGPR: 2
; COMPUTE_PGM_RSRC2:TRAP_HANDLER: 0
; COMPUTE_PGM_RSRC2:TGID_X_EN: 1
; COMPUTE_PGM_RSRC2:TGID_Y_EN: 0
; COMPUTE_PGM_RSRC2:TGID_Z_EN: 0
; COMPUTE_PGM_RSRC2:TIDIG_COMP_CNT: 0
; COMPUTE_PGM_RSRC3_GFX90A:ACCUM_OFFSET: 0
; COMPUTE_PGM_RSRC3_GFX90A:TG_SPLIT: 0
	.section	.text._ZN7rocprim17ROCPRIM_400000_NS6detail17trampoline_kernelINS0_14default_configENS1_38merge_sort_block_merge_config_selectorIssEEZZNS1_27merge_sort_block_merge_implIS3_N6thrust23THRUST_200600_302600_NS6detail15normal_iteratorINS8_10device_ptrIsEEEESD_jNS1_19radix_merge_compareILb0ELb1EsNS0_19identity_decomposerEEEEE10hipError_tT0_T1_T2_jT3_P12ihipStream_tbPNSt15iterator_traitsISI_E10value_typeEPNSO_ISJ_E10value_typeEPSK_NS1_7vsmem_tEENKUlT_SI_SJ_SK_E_clISD_PsSD_S10_EESH_SX_SI_SJ_SK_EUlSX_E0_NS1_11comp_targetILNS1_3genE0ELNS1_11target_archE4294967295ELNS1_3gpuE0ELNS1_3repE0EEENS1_38merge_mergepath_config_static_selectorELNS0_4arch9wavefront6targetE1EEEvSJ_,"axG",@progbits,_ZN7rocprim17ROCPRIM_400000_NS6detail17trampoline_kernelINS0_14default_configENS1_38merge_sort_block_merge_config_selectorIssEEZZNS1_27merge_sort_block_merge_implIS3_N6thrust23THRUST_200600_302600_NS6detail15normal_iteratorINS8_10device_ptrIsEEEESD_jNS1_19radix_merge_compareILb0ELb1EsNS0_19identity_decomposerEEEEE10hipError_tT0_T1_T2_jT3_P12ihipStream_tbPNSt15iterator_traitsISI_E10value_typeEPNSO_ISJ_E10value_typeEPSK_NS1_7vsmem_tEENKUlT_SI_SJ_SK_E_clISD_PsSD_S10_EESH_SX_SI_SJ_SK_EUlSX_E0_NS1_11comp_targetILNS1_3genE0ELNS1_11target_archE4294967295ELNS1_3gpuE0ELNS1_3repE0EEENS1_38merge_mergepath_config_static_selectorELNS0_4arch9wavefront6targetE1EEEvSJ_,comdat
	.protected	_ZN7rocprim17ROCPRIM_400000_NS6detail17trampoline_kernelINS0_14default_configENS1_38merge_sort_block_merge_config_selectorIssEEZZNS1_27merge_sort_block_merge_implIS3_N6thrust23THRUST_200600_302600_NS6detail15normal_iteratorINS8_10device_ptrIsEEEESD_jNS1_19radix_merge_compareILb0ELb1EsNS0_19identity_decomposerEEEEE10hipError_tT0_T1_T2_jT3_P12ihipStream_tbPNSt15iterator_traitsISI_E10value_typeEPNSO_ISJ_E10value_typeEPSK_NS1_7vsmem_tEENKUlT_SI_SJ_SK_E_clISD_PsSD_S10_EESH_SX_SI_SJ_SK_EUlSX_E0_NS1_11comp_targetILNS1_3genE0ELNS1_11target_archE4294967295ELNS1_3gpuE0ELNS1_3repE0EEENS1_38merge_mergepath_config_static_selectorELNS0_4arch9wavefront6targetE1EEEvSJ_ ; -- Begin function _ZN7rocprim17ROCPRIM_400000_NS6detail17trampoline_kernelINS0_14default_configENS1_38merge_sort_block_merge_config_selectorIssEEZZNS1_27merge_sort_block_merge_implIS3_N6thrust23THRUST_200600_302600_NS6detail15normal_iteratorINS8_10device_ptrIsEEEESD_jNS1_19radix_merge_compareILb0ELb1EsNS0_19identity_decomposerEEEEE10hipError_tT0_T1_T2_jT3_P12ihipStream_tbPNSt15iterator_traitsISI_E10value_typeEPNSO_ISJ_E10value_typeEPSK_NS1_7vsmem_tEENKUlT_SI_SJ_SK_E_clISD_PsSD_S10_EESH_SX_SI_SJ_SK_EUlSX_E0_NS1_11comp_targetILNS1_3genE0ELNS1_11target_archE4294967295ELNS1_3gpuE0ELNS1_3repE0EEENS1_38merge_mergepath_config_static_selectorELNS0_4arch9wavefront6targetE1EEEvSJ_
	.globl	_ZN7rocprim17ROCPRIM_400000_NS6detail17trampoline_kernelINS0_14default_configENS1_38merge_sort_block_merge_config_selectorIssEEZZNS1_27merge_sort_block_merge_implIS3_N6thrust23THRUST_200600_302600_NS6detail15normal_iteratorINS8_10device_ptrIsEEEESD_jNS1_19radix_merge_compareILb0ELb1EsNS0_19identity_decomposerEEEEE10hipError_tT0_T1_T2_jT3_P12ihipStream_tbPNSt15iterator_traitsISI_E10value_typeEPNSO_ISJ_E10value_typeEPSK_NS1_7vsmem_tEENKUlT_SI_SJ_SK_E_clISD_PsSD_S10_EESH_SX_SI_SJ_SK_EUlSX_E0_NS1_11comp_targetILNS1_3genE0ELNS1_11target_archE4294967295ELNS1_3gpuE0ELNS1_3repE0EEENS1_38merge_mergepath_config_static_selectorELNS0_4arch9wavefront6targetE1EEEvSJ_
	.p2align	8
	.type	_ZN7rocprim17ROCPRIM_400000_NS6detail17trampoline_kernelINS0_14default_configENS1_38merge_sort_block_merge_config_selectorIssEEZZNS1_27merge_sort_block_merge_implIS3_N6thrust23THRUST_200600_302600_NS6detail15normal_iteratorINS8_10device_ptrIsEEEESD_jNS1_19radix_merge_compareILb0ELb1EsNS0_19identity_decomposerEEEEE10hipError_tT0_T1_T2_jT3_P12ihipStream_tbPNSt15iterator_traitsISI_E10value_typeEPNSO_ISJ_E10value_typeEPSK_NS1_7vsmem_tEENKUlT_SI_SJ_SK_E_clISD_PsSD_S10_EESH_SX_SI_SJ_SK_EUlSX_E0_NS1_11comp_targetILNS1_3genE0ELNS1_11target_archE4294967295ELNS1_3gpuE0ELNS1_3repE0EEENS1_38merge_mergepath_config_static_selectorELNS0_4arch9wavefront6targetE1EEEvSJ_,@function
_ZN7rocprim17ROCPRIM_400000_NS6detail17trampoline_kernelINS0_14default_configENS1_38merge_sort_block_merge_config_selectorIssEEZZNS1_27merge_sort_block_merge_implIS3_N6thrust23THRUST_200600_302600_NS6detail15normal_iteratorINS8_10device_ptrIsEEEESD_jNS1_19radix_merge_compareILb0ELb1EsNS0_19identity_decomposerEEEEE10hipError_tT0_T1_T2_jT3_P12ihipStream_tbPNSt15iterator_traitsISI_E10value_typeEPNSO_ISJ_E10value_typeEPSK_NS1_7vsmem_tEENKUlT_SI_SJ_SK_E_clISD_PsSD_S10_EESH_SX_SI_SJ_SK_EUlSX_E0_NS1_11comp_targetILNS1_3genE0ELNS1_11target_archE4294967295ELNS1_3gpuE0ELNS1_3repE0EEENS1_38merge_mergepath_config_static_selectorELNS0_4arch9wavefront6targetE1EEEvSJ_: ; @_ZN7rocprim17ROCPRIM_400000_NS6detail17trampoline_kernelINS0_14default_configENS1_38merge_sort_block_merge_config_selectorIssEEZZNS1_27merge_sort_block_merge_implIS3_N6thrust23THRUST_200600_302600_NS6detail15normal_iteratorINS8_10device_ptrIsEEEESD_jNS1_19radix_merge_compareILb0ELb1EsNS0_19identity_decomposerEEEEE10hipError_tT0_T1_T2_jT3_P12ihipStream_tbPNSt15iterator_traitsISI_E10value_typeEPNSO_ISJ_E10value_typeEPSK_NS1_7vsmem_tEENKUlT_SI_SJ_SK_E_clISD_PsSD_S10_EESH_SX_SI_SJ_SK_EUlSX_E0_NS1_11comp_targetILNS1_3genE0ELNS1_11target_archE4294967295ELNS1_3gpuE0ELNS1_3repE0EEENS1_38merge_mergepath_config_static_selectorELNS0_4arch9wavefront6targetE1EEEvSJ_
; %bb.0:
	s_load_dwordx2 s[30:31], s[0:1], 0x40
	s_load_dword s5, s[0:1], 0x30
	s_add_u32 s26, s0, 64
	s_addc_u32 s27, s1, 0
	s_waitcnt lgkmcnt(0)
	s_mul_i32 s4, s31, s4
	s_add_i32 s3, s4, s3
	s_mul_i32 s3, s3, s30
	s_add_i32 s28, s3, s2
	s_cmp_ge_u32 s28, s5
	s_cbranch_scc1 .LBB1599_70
; %bb.1:
	s_load_dwordx8 s[16:23], s[0:1], 0x10
	s_load_dwordx2 s[10:11], s[0:1], 0x8
	s_load_dwordx2 s[4:5], s[0:1], 0x38
	s_mov_b32 s29, 0
	s_mov_b32 s13, s29
	s_waitcnt lgkmcnt(0)
	s_lshr_b32 s31, s22, 10
	s_cmp_lg_u32 s28, s31
	s_cselect_b64 s[24:25], -1, 0
	s_lshl_b64 s[6:7], s[28:29], 2
	s_add_u32 s4, s4, s6
	s_addc_u32 s5, s5, s7
	s_lshr_b32 s3, s23, 9
	s_and_b32 s3, s3, 0x7ffffe
	s_load_dwordx2 s[6:7], s[4:5], 0x0
	s_sub_i32 s3, 0, s3
	s_and_b32 s4, s28, s3
	s_lshl_b32 s5, s4, 10
	s_lshl_b32 s14, s28, 10
	;; [unrolled: 1-line block ×3, first 2 shown]
	s_sub_i32 s8, s14, s5
	s_add_i32 s4, s4, s23
	s_add_i32 s8, s4, s8
	s_waitcnt lgkmcnt(0)
	s_sub_i32 s9, s8, s6
	s_sub_i32 s8, s8, s7
	;; [unrolled: 1-line block ×3, first 2 shown]
	s_min_u32 s12, s22, s9
	s_addk_i32 s8, 0x400
	s_or_b32 s3, s28, s3
	s_min_u32 s5, s22, s4
	s_add_i32 s4, s4, s23
	s_cmp_eq_u32 s3, -1
	s_cselect_b32 s3, s4, s8
	s_cselect_b32 s4, s5, s7
	s_mov_b32 s7, s29
	s_min_u32 s23, s3, s22
	s_sub_i32 s15, s4, s6
	s_lshl_b64 s[4:5], s[6:7], 1
	s_add_u32 s8, s10, s4
	s_addc_u32 s9, s11, s5
	s_lshl_b64 s[6:7], s[12:13], 1
	s_add_u32 s10, s10, s6
	s_addc_u32 s11, s11, s7
	s_cmp_lt_u32 s2, s30
	v_mov_b32_e32 v3, 0
	s_cselect_b32 s2, 12, 18
	global_load_dword v1, v3, s[26:27] offset:14
	s_add_u32 s2, s26, s2
	s_addc_u32 s3, s27, 0
	global_load_ushort v2, v3, s[2:3]
	s_cmp_eq_u32 s28, s31
	v_lshlrev_b32_e32 v10, 1, v0
	s_waitcnt vmcnt(1)
	v_lshrrev_b32_e32 v4, 16, v1
	v_and_b32_e32 v1, 0xffff, v1
	v_mul_lo_u32 v1, v1, v4
	s_waitcnt vmcnt(0)
	v_mul_lo_u32 v1, v1, v2
	v_add_u32_e32 v14, v1, v0
	v_add_u32_e32 v12, v14, v1
	s_cbranch_scc1 .LBB1599_3
; %bb.2:
	v_mov_b32_e32 v11, v3
	v_subrev_co_u32_e32 v2, vcc, s15, v0
	v_lshl_add_u64 v[4:5], s[8:9], 0, v[10:11]
	v_lshl_add_u64 v[6:7], v[2:3], 1, s[10:11]
	v_cndmask_b32_e32 v5, v7, v5, vcc
	v_cndmask_b32_e32 v4, v6, v4, vcc
	v_mov_b32_e32 v15, v3
	v_subrev_co_u32_e32 v2, vcc, s15, v14
	global_load_ushort v11, v[4:5], off
	v_lshl_add_u64 v[4:5], v[14:15], 1, s[8:9]
	v_lshl_add_u64 v[6:7], v[2:3], 1, s[10:11]
	v_cndmask_b32_e32 v5, v7, v5, vcc
	v_cndmask_b32_e32 v4, v6, v4, vcc
	v_mov_b32_e32 v13, v3
	v_subrev_co_u32_e32 v2, vcc, s15, v12
	global_load_ushort v15, v[4:5], off
	v_lshl_add_u64 v[4:5], v[12:13], 1, s[8:9]
	v_lshl_add_u64 v[6:7], v[2:3], 1, s[10:11]
	v_cndmask_b32_e32 v5, v7, v5, vcc
	v_cndmask_b32_e32 v4, v6, v4, vcc
	global_load_ushort v13, v[4:5], off
	v_add_u32_e32 v4, v12, v1
	v_mov_b32_e32 v5, v3
	v_subrev_co_u32_e32 v2, vcc, s15, v4
	v_lshl_add_u64 v[6:7], v[4:5], 1, s[8:9]
	v_lshl_add_u64 v[8:9], v[2:3], 1, s[10:11]
	v_add_u32_e32 v4, v4, v1
	v_cndmask_b32_e32 v7, v9, v7, vcc
	v_cndmask_b32_e32 v6, v8, v6, vcc
	v_subrev_co_u32_e32 v2, vcc, s15, v4
	global_load_ushort v16, v[6:7], off
	v_lshl_add_u64 v[6:7], v[4:5], 1, s[8:9]
	v_lshl_add_u64 v[8:9], v[2:3], 1, s[10:11]
	v_add_u32_e32 v4, v4, v1
	v_cndmask_b32_e32 v7, v9, v7, vcc
	v_cndmask_b32_e32 v6, v8, v6, vcc
	v_subrev_co_u32_e32 v2, vcc, s15, v4
	global_load_ushort v17, v[6:7], off
	v_lshl_add_u64 v[6:7], v[4:5], 1, s[8:9]
	v_lshl_add_u64 v[8:9], v[2:3], 1, s[10:11]
	v_add_u32_e32 v4, v4, v1
	v_cndmask_b32_e32 v7, v9, v7, vcc
	v_cndmask_b32_e32 v6, v8, v6, vcc
	v_subrev_co_u32_e32 v2, vcc, s15, v4
	global_load_ushort v8, v[6:7], off
	v_lshl_add_u64 v[6:7], v[4:5], 1, s[8:9]
	v_lshl_add_u64 v[2:3], v[2:3], 1, s[10:11]
	v_cndmask_b32_e32 v3, v3, v7, vcc
	v_cndmask_b32_e32 v2, v2, v6, vcc
	global_load_ushort v5, v[2:3], off
	s_mov_b32 s2, 0x5040100
	v_add_u32_e32 v6, v4, v1
	s_waitcnt vmcnt(5)
	v_perm_b32 v2, v15, v11, s2
	s_waitcnt vmcnt(3)
	v_perm_b32 v3, v16, v13, s2
	;; [unrolled: 2-line block ×3, first 2 shown]
	s_mov_b64 s[2:3], -1
	s_waitcnt vmcnt(0)
	v_and_b32_e32 v5, 0xffff, v5
	s_sub_i32 s23, s23, s12
	s_cbranch_execz .LBB1599_4
	s_branch .LBB1599_17
.LBB1599_3:
	s_mov_b64 s[2:3], 0
                                        ; implicit-def: $vgpr6
                                        ; implicit-def: $vgpr2_vgpr3_vgpr4_vgpr5
	s_sub_i32 s23, s23, s12
.LBB1599_4:
	s_add_i32 s12, s23, s15
	v_mov_b32_e32 v2, 0
	v_cmp_gt_u32_e32 vcc, s12, v0
	v_mov_b32_e32 v3, v2
	v_mov_b32_e32 v4, v2
	;; [unrolled: 1-line block ×3, first 2 shown]
	s_and_saveexec_b64 s[2:3], vcc
	s_cbranch_execnz .LBB1599_71
; %bb.5:
	s_or_b64 exec, exec, s[2:3]
	v_cmp_gt_u32_e32 vcc, s12, v14
	s_and_saveexec_b64 s[2:3], vcc
	s_cbranch_execnz .LBB1599_72
.LBB1599_6:
	s_or_b64 exec, exec, s[2:3]
	v_cmp_gt_u32_e32 vcc, s12, v12
	s_and_saveexec_b64 s[2:3], vcc
	s_cbranch_execz .LBB1599_8
.LBB1599_7:
	v_mov_b32_e32 v13, 0
	v_subrev_co_u32_e32 v8, vcc, s15, v12
	v_mov_b32_e32 v9, v13
	v_lshl_add_u64 v[6:7], v[12:13], 1, s[8:9]
	v_lshl_add_u64 v[8:9], v[8:9], 1, s[10:11]
	v_cndmask_b32_e32 v7, v9, v7, vcc
	v_cndmask_b32_e32 v6, v8, v6, vcc
	global_load_ushort v6, v[6:7], off
	s_mov_b32 s13, 0xffff
	s_waitcnt vmcnt(0)
	v_bfi_b32 v3, s13, v6, v3
.LBB1599_8:
	s_or_b64 exec, exec, s[2:3]
	v_add_u32_e32 v6, v12, v1
	v_cmp_gt_u32_e32 vcc, s12, v6
	s_and_saveexec_b64 s[2:3], vcc
	s_cbranch_execz .LBB1599_10
; %bb.9:
	v_mov_b32_e32 v7, 0
	v_subrev_co_u32_e32 v16, vcc, s15, v6
	v_mov_b32_e32 v17, v7
	v_lshl_add_u64 v[8:9], v[6:7], 1, s[8:9]
	v_lshl_add_u64 v[16:17], v[16:17], 1, s[10:11]
	v_cndmask_b32_e32 v9, v17, v9, vcc
	v_cndmask_b32_e32 v8, v16, v8, vcc
	global_load_ushort v7, v[8:9], off
	s_mov_b32 s13, 0x5040100
	s_waitcnt vmcnt(0)
	v_perm_b32 v3, v7, v3, s13
.LBB1599_10:
	s_or_b64 exec, exec, s[2:3]
	v_add_u32_e32 v6, v6, v1
	v_cmp_gt_u32_e32 vcc, s12, v6
	s_and_saveexec_b64 s[2:3], vcc
	s_cbranch_execz .LBB1599_12
; %bb.11:
	v_mov_b32_e32 v7, 0
	v_subrev_co_u32_e32 v16, vcc, s15, v6
	v_mov_b32_e32 v17, v7
	v_lshl_add_u64 v[8:9], v[6:7], 1, s[8:9]
	v_lshl_add_u64 v[16:17], v[16:17], 1, s[10:11]
	v_cndmask_b32_e32 v9, v17, v9, vcc
	v_cndmask_b32_e32 v8, v16, v8, vcc
	global_load_ushort v7, v[8:9], off
	s_mov_b32 s13, 0xffff
	s_waitcnt vmcnt(0)
	v_bfi_b32 v4, s13, v7, v4
.LBB1599_12:
	s_or_b64 exec, exec, s[2:3]
	v_add_u32_e32 v6, v6, v1
	v_cmp_gt_u32_e32 vcc, s12, v6
	s_and_saveexec_b64 s[2:3], vcc
	s_cbranch_execz .LBB1599_14
; %bb.13:
	v_mov_b32_e32 v7, 0
	v_subrev_co_u32_e32 v16, vcc, s15, v6
	v_mov_b32_e32 v17, v7
	v_lshl_add_u64 v[8:9], v[6:7], 1, s[8:9]
	v_lshl_add_u64 v[16:17], v[16:17], 1, s[10:11]
	v_cndmask_b32_e32 v9, v17, v9, vcc
	v_cndmask_b32_e32 v8, v16, v8, vcc
	global_load_ushort v7, v[8:9], off
	s_mov_b32 s13, 0x5040100
	s_waitcnt vmcnt(0)
	v_perm_b32 v4, v7, v4, s13
.LBB1599_14:
	s_or_b64 exec, exec, s[2:3]
	v_add_u32_e32 v6, v6, v1
	v_cmp_gt_u32_e32 vcc, s12, v6
	s_and_saveexec_b64 s[2:3], vcc
	s_cbranch_execz .LBB1599_16
; %bb.15:
	v_mov_b32_e32 v7, 0
	v_subrev_co_u32_e32 v16, vcc, s15, v6
	v_mov_b32_e32 v17, v7
	v_lshl_add_u64 v[8:9], v[6:7], 1, s[8:9]
	v_lshl_add_u64 v[16:17], v[16:17], 1, s[10:11]
	v_cndmask_b32_e32 v9, v17, v9, vcc
	v_cndmask_b32_e32 v8, v16, v8, vcc
	global_load_ushort v7, v[8:9], off
	s_mov_b32 s13, 0xffff
	s_waitcnt vmcnt(0)
	v_bfi_b32 v5, s13, v7, v5
.LBB1599_16:
	s_or_b64 exec, exec, s[2:3]
	v_add_u32_e32 v6, v6, v1
	v_cmp_gt_u32_e64 s[2:3], s12, v6
.LBB1599_17:
	s_and_saveexec_b64 s[12:13], s[2:3]
	s_cbranch_execz .LBB1599_19
; %bb.18:
	v_mov_b32_e32 v9, 0
	v_mov_b32_e32 v7, v9
	v_subrev_co_u32_e32 v8, vcc, s15, v6
	v_lshl_add_u64 v[16:17], v[6:7], 1, s[8:9]
	v_lshl_add_u64 v[6:7], v[8:9], 1, s[10:11]
	v_cndmask_b32_e32 v7, v7, v17, vcc
	v_cndmask_b32_e32 v6, v6, v16, vcc
	global_load_ushort v6, v[6:7], off
	s_mov_b32 s2, 0x5040100
	s_waitcnt vmcnt(0)
	v_perm_b32 v5, v6, v5, s2
.LBB1599_19:
	s_or_b64 exec, exec, s[12:13]
	s_add_u32 s2, s18, s4
	s_addc_u32 s3, s19, s5
	s_add_u32 s4, s18, s6
	v_mov_b32_e32 v7, 0
	v_lshrrev_b32_e32 v18, 16, v2
	v_lshrrev_b32_e32 v19, 16, v3
	;; [unrolled: 1-line block ×4, first 2 shown]
	s_addc_u32 s5, s19, s7
	s_andn2_b64 vcc, exec, s[24:25]
	ds_write_b16 v10, v2
	ds_write_b16 v10, v18 offset:256
	ds_write_b16 v10, v3 offset:512
	;; [unrolled: 1-line block ×7, first 2 shown]
	s_cbranch_vccnz .LBB1599_21
; %bb.20:
	v_mov_b32_e32 v11, v7
	v_subrev_co_u32_e32 v6, vcc, s15, v0
	v_lshl_add_u64 v[8:9], s[2:3], 0, v[10:11]
	v_lshl_add_u64 v[16:17], v[6:7], 1, s[4:5]
	v_cndmask_b32_e32 v9, v17, v9, vcc
	v_cndmask_b32_e32 v8, v16, v8, vcc
	v_mov_b32_e32 v15, v7
	v_subrev_co_u32_e32 v6, vcc, s15, v14
	global_load_ushort v11, v[8:9], off
	v_lshl_add_u64 v[8:9], v[14:15], 1, s[2:3]
	v_lshl_add_u64 v[16:17], v[6:7], 1, s[4:5]
	v_cndmask_b32_e32 v9, v17, v9, vcc
	v_cndmask_b32_e32 v8, v16, v8, vcc
	v_mov_b32_e32 v13, v7
	v_subrev_co_u32_e32 v6, vcc, s15, v12
	global_load_ushort v15, v[8:9], off
	v_lshl_add_u64 v[8:9], v[12:13], 1, s[2:3]
	v_lshl_add_u64 v[16:17], v[6:7], 1, s[4:5]
	v_cndmask_b32_e32 v9, v17, v9, vcc
	v_cndmask_b32_e32 v8, v16, v8, vcc
	global_load_ushort v13, v[8:9], off
	v_add_u32_e32 v8, v12, v1
	v_mov_b32_e32 v9, v7
	v_subrev_co_u32_e32 v6, vcc, s15, v8
	v_lshl_add_u64 v[16:17], v[8:9], 1, s[2:3]
	v_lshl_add_u64 v[22:23], v[6:7], 1, s[4:5]
	v_add_u32_e32 v8, v8, v1
	v_cndmask_b32_e32 v17, v23, v17, vcc
	v_cndmask_b32_e32 v16, v22, v16, vcc
	v_subrev_co_u32_e32 v6, vcc, s15, v8
	global_load_ushort v24, v[16:17], off
	v_lshl_add_u64 v[16:17], v[8:9], 1, s[2:3]
	v_lshl_add_u64 v[22:23], v[6:7], 1, s[4:5]
	v_add_u32_e32 v8, v8, v1
	v_cndmask_b32_e32 v17, v23, v17, vcc
	v_cndmask_b32_e32 v16, v22, v16, vcc
	v_subrev_co_u32_e32 v6, vcc, s15, v8
	global_load_ushort v25, v[16:17], off
	;; [unrolled: 7-line block ×3, first 2 shown]
	v_lshl_add_u64 v[16:17], v[8:9], 1, s[2:3]
	v_lshl_add_u64 v[6:7], v[6:7], 1, s[4:5]
	v_cndmask_b32_e32 v7, v7, v17, vcc
	v_cndmask_b32_e32 v6, v6, v16, vcc
	global_load_ushort v9, v[6:7], off
	s_mov_b32 s10, 0x5040100
	s_add_i32 s11, s23, s15
	s_mov_b64 s[6:7], -1
	v_add_u32_e32 v16, v8, v1
	s_waitcnt vmcnt(5)
	v_perm_b32 v6, v15, v11, s10
	v_mov_b32_e32 v11, s11
	s_waitcnt vmcnt(3)
	v_perm_b32 v7, v24, v13, s10
	s_waitcnt vmcnt(1)
	v_perm_b32 v8, v22, v25, s10
	s_waitcnt vmcnt(0)
	v_and_b32_e32 v9, 0xffff, v9
	s_cbranch_execz .LBB1599_22
	s_branch .LBB1599_35
.LBB1599_21:
	s_mov_b64 s[6:7], 0
                                        ; implicit-def: $vgpr16
                                        ; implicit-def: $vgpr6_vgpr7_vgpr8_vgpr9
                                        ; implicit-def: $vgpr11
.LBB1599_22:
	s_add_i32 s8, s23, s15
	v_mov_b32_e32 v6, 0
	v_cmp_gt_u32_e32 vcc, s8, v0
	v_mov_b32_e32 v7, v6
	v_mov_b32_e32 v8, v6
	;; [unrolled: 1-line block ×3, first 2 shown]
	s_and_saveexec_b64 s[6:7], vcc
	s_cbranch_execnz .LBB1599_73
; %bb.23:
	s_or_b64 exec, exec, s[6:7]
	v_cmp_gt_u32_e32 vcc, s8, v14
	s_and_saveexec_b64 s[6:7], vcc
	s_cbranch_execnz .LBB1599_74
.LBB1599_24:
	s_or_b64 exec, exec, s[6:7]
	v_cmp_gt_u32_e32 vcc, s8, v12
	s_and_saveexec_b64 s[6:7], vcc
	s_cbranch_execz .LBB1599_26
.LBB1599_25:
	v_mov_b32_e32 v13, 0
	v_subrev_co_u32_e32 v16, vcc, s15, v12
	v_mov_b32_e32 v17, v13
	v_lshl_add_u64 v[14:15], v[12:13], 1, s[2:3]
	v_lshl_add_u64 v[16:17], v[16:17], 1, s[4:5]
	v_cndmask_b32_e32 v15, v17, v15, vcc
	v_cndmask_b32_e32 v14, v16, v14, vcc
	global_load_ushort v11, v[14:15], off
	s_mov_b32 s9, 0xffff
	s_waitcnt vmcnt(0)
	v_bfi_b32 v7, s9, v11, v7
.LBB1599_26:
	s_or_b64 exec, exec, s[6:7]
	v_add_u32_e32 v12, v12, v1
	v_cmp_gt_u32_e32 vcc, s8, v12
	s_and_saveexec_b64 s[6:7], vcc
	s_cbranch_execz .LBB1599_28
; %bb.27:
	v_mov_b32_e32 v13, 0
	v_subrev_co_u32_e32 v16, vcc, s15, v12
	v_mov_b32_e32 v17, v13
	v_lshl_add_u64 v[14:15], v[12:13], 1, s[2:3]
	v_lshl_add_u64 v[16:17], v[16:17], 1, s[4:5]
	v_cndmask_b32_e32 v15, v17, v15, vcc
	v_cndmask_b32_e32 v14, v16, v14, vcc
	global_load_ushort v11, v[14:15], off
	s_mov_b32 s9, 0x5040100
	s_waitcnt vmcnt(0)
	v_perm_b32 v7, v11, v7, s9
.LBB1599_28:
	s_or_b64 exec, exec, s[6:7]
	v_add_u32_e32 v12, v12, v1
	v_cmp_gt_u32_e32 vcc, s8, v12
	s_and_saveexec_b64 s[6:7], vcc
	s_cbranch_execz .LBB1599_30
; %bb.29:
	v_mov_b32_e32 v13, 0
	v_subrev_co_u32_e32 v16, vcc, s15, v12
	v_mov_b32_e32 v17, v13
	v_lshl_add_u64 v[14:15], v[12:13], 1, s[2:3]
	v_lshl_add_u64 v[16:17], v[16:17], 1, s[4:5]
	v_cndmask_b32_e32 v15, v17, v15, vcc
	v_cndmask_b32_e32 v14, v16, v14, vcc
	global_load_ushort v11, v[14:15], off
	s_mov_b32 s9, 0xffff
	s_waitcnt vmcnt(0)
	v_bfi_b32 v8, s9, v11, v8
.LBB1599_30:
	s_or_b64 exec, exec, s[6:7]
	v_add_u32_e32 v12, v12, v1
	v_cmp_gt_u32_e32 vcc, s8, v12
	s_and_saveexec_b64 s[6:7], vcc
	s_cbranch_execz .LBB1599_32
; %bb.31:
	v_mov_b32_e32 v13, 0
	v_subrev_co_u32_e32 v16, vcc, s15, v12
	v_mov_b32_e32 v17, v13
	v_lshl_add_u64 v[14:15], v[12:13], 1, s[2:3]
	v_lshl_add_u64 v[16:17], v[16:17], 1, s[4:5]
	v_cndmask_b32_e32 v15, v17, v15, vcc
	v_cndmask_b32_e32 v14, v16, v14, vcc
	global_load_ushort v11, v[14:15], off
	s_mov_b32 s9, 0x5040100
	s_waitcnt vmcnt(0)
	v_perm_b32 v8, v11, v8, s9
.LBB1599_32:
	s_or_b64 exec, exec, s[6:7]
	v_add_u32_e32 v12, v12, v1
	v_cmp_gt_u32_e32 vcc, s8, v12
	s_and_saveexec_b64 s[6:7], vcc
	s_cbranch_execz .LBB1599_34
; %bb.33:
	v_mov_b32_e32 v13, 0
	v_subrev_co_u32_e32 v16, vcc, s15, v12
	v_mov_b32_e32 v17, v13
	v_lshl_add_u64 v[14:15], v[12:13], 1, s[2:3]
	v_lshl_add_u64 v[16:17], v[16:17], 1, s[4:5]
	v_cndmask_b32_e32 v15, v17, v15, vcc
	v_cndmask_b32_e32 v14, v16, v14, vcc
	global_load_ushort v11, v[14:15], off
	s_mov_b32 s9, 0xffff
	s_waitcnt vmcnt(0)
	v_bfi_b32 v9, s9, v11, v9
.LBB1599_34:
	s_or_b64 exec, exec, s[6:7]
	v_add_u32_e32 v16, v12, v1
	v_cmp_gt_u32_e64 s[6:7], s8, v16
	v_mov_b32_e32 v11, s8
.LBB1599_35:
	s_and_saveexec_b64 s[8:9], s[6:7]
	s_cbranch_execz .LBB1599_37
; %bb.36:
	v_mov_b32_e32 v13, 0
	v_mov_b32_e32 v17, v13
	v_subrev_co_u32_e32 v12, vcc, s15, v16
	v_lshl_add_u64 v[14:15], v[16:17], 1, s[2:3]
	v_lshl_add_u64 v[12:13], v[12:13], 1, s[4:5]
	v_cndmask_b32_e32 v13, v13, v15, vcc
	v_cndmask_b32_e32 v12, v12, v14, vcc
	global_load_ushort v1, v[12:13], off
	s_mov_b32 s2, 0x5040100
	s_waitcnt vmcnt(0)
	v_perm_b32 v9, v1, v9, s2
.LBB1599_37:
	s_or_b64 exec, exec, s[8:9]
	s_load_dword s26, s[0:1], 0x34
	v_lshlrev_b32_e32 v1, 3, v0
	v_min_u32_e32 v12, v11, v1
	v_sub_u32_e64 v17, v12, s23 clamp
	v_min_u32_e32 v13, s15, v12
	v_cmp_lt_u32_e32 vcc, v17, v13
	s_waitcnt lgkmcnt(0)
	s_barrier
	s_and_saveexec_b64 s[0:1], vcc
	s_cbranch_execz .LBB1599_41
; %bb.38:
	v_lshlrev_b32_e32 v14, 1, v12
	v_lshl_add_u32 v14, s15, 1, v14
	s_mov_b64 s[2:3], 0
.LBB1599_39:                            ; =>This Inner Loop Header: Depth=1
	v_add_u32_e32 v15, v13, v17
	v_lshrrev_b32_e32 v16, 1, v15
	v_not_b32_e32 v22, v16
	v_and_b32_e32 v15, -2, v15
	v_lshl_add_u32 v22, v22, 1, v14
	ds_read_u16 v15, v15
	ds_read_u16 v22, v22
	v_add_u32_e32 v23, 1, v16
	s_waitcnt lgkmcnt(1)
	v_and_b32_e32 v15, s26, v15
	s_waitcnt lgkmcnt(0)
	v_and_b32_e32 v22, s26, v22
	v_cmp_gt_i16_e32 vcc, v15, v22
	s_nop 1
	v_cndmask_b32_e32 v13, v13, v16, vcc
	v_cndmask_b32_e32 v17, v23, v17, vcc
	v_cmp_ge_u32_e32 vcc, v17, v13
	s_or_b64 s[2:3], vcc, s[2:3]
	s_andn2_b64 exec, exec, s[2:3]
	s_cbranch_execnz .LBB1599_39
; %bb.40:
	s_or_b64 exec, exec, s[2:3]
.LBB1599_41:
	s_or_b64 exec, exec, s[0:1]
	v_sub_u32_e32 v12, v12, v17
	v_add_u32_e32 v25, s15, v12
	v_cmp_ge_u32_e32 vcc, s15, v17
	v_cmp_le_u32_e64 s[0:1], v25, v11
	s_or_b64 s[0:1], vcc, s[0:1]
	v_mov_b32_e32 v24, 0
	v_mov_b32_e32 v23, 0
	;; [unrolled: 1-line block ×8, first 2 shown]
	s_and_saveexec_b64 s[18:19], s[0:1]
	s_cbranch_execz .LBB1599_47
; %bb.42:
	v_cmp_gt_u32_e32 vcc, s15, v17
                                        ; implicit-def: $vgpr2
	s_and_saveexec_b64 s[0:1], vcc
; %bb.43:
	v_lshlrev_b32_e32 v2, 1, v17
	ds_read_u16 v2, v2
; %bb.44:
	s_or_b64 exec, exec, s[0:1]
	v_cmp_ge_u32_e64 s[0:1], v25, v11
	v_cmp_lt_u32_e64 s[2:3], v25, v11
                                        ; implicit-def: $vgpr3
	s_and_saveexec_b64 s[4:5], s[2:3]
; %bb.45:
	v_lshlrev_b32_e32 v3, 1, v25
	ds_read_u16 v3, v3
; %bb.46:
	s_or_b64 exec, exec, s[4:5]
	s_waitcnt lgkmcnt(0)
	v_and_b32_e32 v4, s26, v3
	v_and_b32_e32 v5, s26, v2
	v_cmp_le_i16_e64 s[2:3], v5, v4
	s_and_b64 s[2:3], vcc, s[2:3]
	s_or_b64 vcc, s[0:1], s[2:3]
	v_mov_b32_e32 v4, s15
	v_cndmask_b32_e32 v12, v25, v17, vcc
	v_cndmask_b32_e32 v5, v11, v4, vcc
	v_add_u32_e32 v13, 1, v12
	v_add_u32_e32 v5, -1, v5
	v_min_u32_e32 v5, v13, v5
	v_lshlrev_b32_e32 v5, 1, v5
	ds_read_u16 v5, v5
	v_cndmask_b32_e32 v14, v13, v25, vcc
	v_cndmask_b32_e32 v15, v17, v13, vcc
	v_cmp_gt_u32_e64 s[2:3], s15, v15
	v_cmp_ge_u32_e64 s[0:1], v14, v11
	s_waitcnt lgkmcnt(0)
	v_cndmask_b32_e32 v18, v5, v3, vcc
	v_cndmask_b32_e32 v5, v2, v5, vcc
	v_and_b32_e32 v13, s26, v18
	v_and_b32_e32 v16, s26, v5
	v_cmp_le_i16_e64 s[4:5], v16, v13
	s_and_b64 s[2:3], s[2:3], s[4:5]
	s_or_b64 s[0:1], s[0:1], s[2:3]
	v_cndmask_b32_e64 v13, v14, v15, s[0:1]
	v_cndmask_b32_e64 v16, v11, v4, s[0:1]
	v_add_u32_e32 v17, 1, v13
	v_add_u32_e32 v16, -1, v16
	v_min_u32_e32 v16, v17, v16
	v_lshlrev_b32_e32 v16, 1, v16
	ds_read_u16 v16, v16
	v_cndmask_b32_e64 v15, v15, v17, s[0:1]
	v_cmp_gt_u32_e64 s[4:5], s15, v15
	v_cndmask_b32_e32 v2, v3, v2, vcc
	s_waitcnt lgkmcnt(0)
	v_cndmask_b32_e64 v19, v16, v18, s[0:1]
	v_cndmask_b32_e64 v20, v5, v16, s[0:1]
	;; [unrolled: 1-line block ×3, first 2 shown]
	v_and_b32_e32 v14, s26, v19
	v_and_b32_e32 v17, s26, v20
	v_cmp_le_i16_e64 s[6:7], v17, v14
	v_cmp_ge_u32_e64 s[2:3], v16, v11
	s_and_b64 s[4:5], s[4:5], s[6:7]
	s_or_b64 s[2:3], s[2:3], s[4:5]
	v_cndmask_b32_e64 v14, v16, v15, s[2:3]
	v_cndmask_b32_e64 v17, v11, v4, s[2:3]
	v_add_u32_e32 v21, 1, v14
	v_add_u32_e32 v17, -1, v17
	v_min_u32_e32 v17, v21, v17
	v_lshlrev_b32_e32 v17, 1, v17
	ds_read_u16 v17, v17
	v_cndmask_b32_e64 v16, v21, v16, s[2:3]
	v_cndmask_b32_e64 v21, v15, v21, s[2:3]
	v_cmp_gt_u32_e64 s[6:7], s15, v21
	v_cmp_ge_u32_e64 s[4:5], v16, v11
	s_waitcnt lgkmcnt(0)
	v_cndmask_b32_e64 v24, v17, v19, s[2:3]
	v_cndmask_b32_e64 v17, v20, v17, s[2:3]
	v_and_b32_e32 v15, s26, v24
	v_and_b32_e32 v22, s26, v17
	v_cmp_le_i16_e64 s[8:9], v22, v15
	s_and_b64 s[6:7], s[6:7], s[8:9]
	s_or_b64 s[4:5], s[4:5], s[6:7]
	v_cndmask_b32_e64 v15, v16, v21, s[4:5]
	v_cndmask_b32_e64 v22, v11, v4, s[4:5]
	v_add_u32_e32 v23, 1, v15
	v_add_u32_e32 v22, -1, v22
	v_min_u32_e32 v22, v23, v22
	v_lshlrev_b32_e32 v22, 1, v22
	ds_read_u16 v22, v22
	v_cndmask_b32_e64 v21, v21, v23, s[4:5]
	v_cmp_gt_u32_e64 s[8:9], s15, v21
	v_cndmask_b32_e64 v18, v18, v5, s[0:1]
	v_cndmask_b32_e64 v3, v19, v20, s[2:3]
	s_waitcnt lgkmcnt(0)
	v_cndmask_b32_e64 v25, v22, v24, s[4:5]
	v_cndmask_b32_e64 v26, v17, v22, s[4:5]
	;; [unrolled: 1-line block ×3, first 2 shown]
	v_and_b32_e32 v16, s26, v25
	v_and_b32_e32 v23, s26, v26
	v_cmp_le_i16_e64 s[10:11], v23, v16
	v_cmp_ge_u32_e64 s[6:7], v22, v11
	s_and_b64 s[8:9], s[8:9], s[10:11]
	s_or_b64 s[6:7], s[6:7], s[8:9]
	v_cndmask_b32_e64 v16, v22, v21, s[6:7]
	v_cndmask_b32_e64 v23, v11, v4, s[6:7]
	v_add_u32_e32 v27, 1, v16
	v_add_u32_e32 v23, -1, v23
	v_min_u32_e32 v23, v27, v23
	v_lshlrev_b32_e32 v23, 1, v23
	ds_read_u16 v23, v23
	v_cndmask_b32_e64 v21, v21, v27, s[6:7]
	v_cmp_gt_u32_e64 s[10:11], s15, v21
	s_waitcnt lgkmcnt(0)
	v_cndmask_b32_e64 v28, v23, v25, s[6:7]
	v_cndmask_b32_e64 v29, v26, v23, s[6:7]
	;; [unrolled: 1-line block ×3, first 2 shown]
	v_and_b32_e32 v22, s26, v28
	v_and_b32_e32 v27, s26, v29
	v_cmp_le_i16_e64 s[12:13], v27, v22
	v_cmp_ge_u32_e64 s[8:9], v23, v11
	s_and_b64 s[10:11], s[10:11], s[12:13]
	s_or_b64 s[8:9], s[8:9], s[10:11]
	v_cndmask_b32_e64 v22, v23, v21, s[8:9]
	v_cndmask_b32_e64 v27, v11, v4, s[8:9]
	v_add_u32_e32 v30, 1, v22
	v_add_u32_e32 v27, -1, v27
	v_min_u32_e32 v27, v30, v27
	v_lshlrev_b32_e32 v27, 1, v27
	ds_read_u16 v27, v27
	v_cndmask_b32_e64 v21, v21, v30, s[8:9]
	v_cndmask_b32_e64 v32, v30, v23, s[8:9]
	v_cmp_gt_u32_e64 s[0:1], s15, v21
	v_cmp_ge_u32_e32 vcc, v32, v11
	s_waitcnt lgkmcnt(0)
	v_cndmask_b32_e64 v31, v27, v28, s[8:9]
	v_cndmask_b32_e64 v27, v29, v27, s[8:9]
	v_and_b32_e32 v5, s26, v31
	v_and_b32_e32 v19, s26, v27
	v_cmp_le_i16_e64 s[2:3], v19, v5
	s_and_b64 s[0:1], s[0:1], s[2:3]
	s_or_b64 vcc, vcc, s[0:1]
	v_cndmask_b32_e32 v23, v32, v21, vcc
	v_cndmask_b32_e32 v4, v11, v4, vcc
	v_add_u32_e32 v30, 1, v23
	v_add_u32_e32 v4, -1, v4
	v_min_u32_e32 v4, v30, v4
	v_lshlrev_b32_e32 v4, 1, v4
	ds_read_u16 v33, v4
	v_cndmask_b32_e64 v19, v24, v17, s[4:5]
	v_cndmask_b32_e64 v4, v25, v26, s[6:7]
	v_cndmask_b32_e32 v24, v30, v32, vcc
	v_cndmask_b32_e32 v5, v31, v27, vcc
	s_waitcnt lgkmcnt(0)
	v_cndmask_b32_e32 v17, v33, v31, vcc
	v_cndmask_b32_e32 v25, v27, v33, vcc
	;; [unrolled: 1-line block ×3, first 2 shown]
	v_cmp_ge_u32_e32 vcc, v24, v11
	v_and_b32_e32 v11, s26, v17
	v_and_b32_e32 v26, s26, v25
	v_cmp_gt_u32_e64 s[0:1], s15, v21
	v_cmp_le_i16_e64 s[2:3], v26, v11
	s_and_b64 s[0:1], s[0:1], s[2:3]
	s_or_b64 vcc, vcc, s[0:1]
	v_cndmask_b32_e64 v20, v28, v29, s[8:9]
	v_cndmask_b32_e32 v24, v24, v21, vcc
	v_cndmask_b32_e32 v21, v17, v25, vcc
.LBB1599_47:
	s_or_b64 exec, exec, s[18:19]
	s_barrier
	ds_write_b16 v10, v6
	ds_write_b16_d16_hi v10, v6 offset:256
	ds_write_b16 v10, v7 offset:512
	ds_write_b16_d16_hi v10, v7 offset:768
	ds_write_b16 v10, v8 offset:1024
	;; [unrolled: 2-line block ×3, first 2 shown]
	ds_write_b16_d16_hi v10, v9 offset:1792
	v_lshlrev_b32_e32 v6, 1, v12
	v_lshlrev_b32_e32 v7, 1, v13
	;; [unrolled: 1-line block ×7, first 2 shown]
	s_waitcnt lgkmcnt(0)
	s_barrier
	v_lshlrev_b32_e32 v16, 1, v24
	ds_read_u16 v6, v6
	ds_read_u16 v7, v7
	;; [unrolled: 1-line block ×8, first 2 shown]
	v_lshrrev_b32_e32 v11, 1, v0
	v_and_b32_e32 v11, 60, v11
	s_mov_b32 s0, 0x5040100
	v_lshl_add_u32 v1, v1, 1, v11
	v_perm_b32 v3, v19, v3, s0
	v_perm_b32 v2, v18, v2, s0
	s_waitcnt lgkmcnt(0)
	s_barrier
	s_barrier
	ds_write2_b32 v1, v2, v3 offset1:1
	v_perm_b32 v2, v21, v5, s0
	v_perm_b32 v3, v20, v4, s0
	ds_write2_b32 v1, v3, v2 offset0:2 offset1:3
	v_lshrrev_b32_e32 v2, 4, v0
	v_and_b32_e32 v2, 4, v2
	v_or_b32_e32 v28, 0x80, v0
	v_add_u32_e32 v4, v2, v10
	v_lshrrev_b32_e32 v2, 4, v28
	v_and_b32_e32 v2, 12, v2
	v_or_b32_e32 v27, 0x100, v0
	v_add_u32_e32 v5, v2, v10
	;; [unrolled: 4-line block ×5, first 2 shown]
	v_lshrrev_b32_e32 v2, 4, v24
	v_and_b32_e32 v2, 44, v2
	v_or_b32_e32 v23, 0x300, v0
	s_mov_b32 s15, 0
	v_add_u32_e32 v19, v2, v10
	v_lshrrev_b32_e32 v2, 4, v23
	s_lshl_b64 s[12:13], s[14:15], 1
	v_and_b32_e32 v2, 52, v2
	v_or_b32_e32 v22, 0x380, v0
	s_add_u32 s2, s16, s12
	v_add_u32_e32 v20, v2, v10
	v_lshrrev_b32_e32 v2, 4, v22
	s_addc_u32 s3, s17, s13
	v_and_b32_e32 v2, 60, v2
	v_mov_b32_e32 v11, 0
	v_add_u32_e32 v21, v2, v10
	v_lshl_add_u64 v[2:3], s[2:3], 0, v[10:11]
	s_and_b64 vcc, exec, s[24:25]
	s_waitcnt lgkmcnt(0)
	s_cbranch_vccz .LBB1599_49
; %bb.48:
	s_barrier
	ds_read_u16 v11, v4
	ds_read_u16 v29, v5 offset:256
	ds_read_u16 v30, v16 offset:512
	;; [unrolled: 1-line block ×7, first 2 shown]
	s_add_u32 s2, s20, s12
	s_addc_u32 s3, s21, s13
	s_waitcnt lgkmcnt(7)
	global_store_short v[2:3], v11, off
	s_waitcnt lgkmcnt(6)
	global_store_short v[2:3], v29, off offset:256
	s_waitcnt lgkmcnt(5)
	global_store_short v[2:3], v30, off offset:512
	;; [unrolled: 2-line block ×7, first 2 shown]
	v_perm_b32 v11, v13, v12, s0
	v_perm_b32 v29, v7, v6, s0
	s_barrier
	ds_write2_b32 v1, v29, v11 offset1:1
	v_perm_b32 v11, v15, v14, s0
	v_perm_b32 v29, v9, v8, s0
	ds_write2_b32 v1, v29, v11 offset0:2 offset1:3
	s_waitcnt lgkmcnt(0)
	s_barrier
	ds_read_u16 v11, v4
	ds_read_u16 v30, v5 offset:256
	ds_read_u16 v31, v16 offset:512
	;; [unrolled: 1-line block ×7, first 2 shown]
	s_waitcnt lgkmcnt(7)
	global_store_short v10, v11, s[2:3]
	s_waitcnt lgkmcnt(6)
	global_store_short v10, v30, s[2:3] offset:256
	s_waitcnt lgkmcnt(5)
	global_store_short v10, v31, s[2:3] offset:512
	;; [unrolled: 2-line block ×6, first 2 shown]
	s_mov_b64 s[16:17], -1
	s_cbranch_execz .LBB1599_50
	s_branch .LBB1599_68
.LBB1599_49:
	s_mov_b64 s[16:17], 0
                                        ; implicit-def: $vgpr29
.LBB1599_50:
	s_barrier
	s_waitcnt lgkmcnt(0)
	ds_read_u16 v34, v5 offset:256
	ds_read_u16 v33, v16 offset:512
	;; [unrolled: 1-line block ×7, first 2 shown]
	s_sub_i32 s16, s22, s14
	v_cmp_gt_u32_e32 vcc, s16, v0
	s_and_saveexec_b64 s[0:1], vcc
	s_cbranch_execnz .LBB1599_75
; %bb.51:
	s_or_b64 exec, exec, s[0:1]
	v_cmp_gt_u32_e64 s[0:1], s16, v28
	s_and_saveexec_b64 s[2:3], s[0:1]
	s_cbranch_execnz .LBB1599_76
.LBB1599_52:
	s_or_b64 exec, exec, s[2:3]
	v_cmp_gt_u32_e64 s[2:3], s16, v27
	s_and_saveexec_b64 s[4:5], s[2:3]
	s_cbranch_execnz .LBB1599_77
.LBB1599_53:
	s_or_b64 exec, exec, s[4:5]
	v_cmp_gt_u32_e64 s[4:5], s16, v26
	s_and_saveexec_b64 s[6:7], s[4:5]
	s_cbranch_execnz .LBB1599_78
.LBB1599_54:
	s_or_b64 exec, exec, s[6:7]
	v_cmp_gt_u32_e64 s[6:7], s16, v25
	s_and_saveexec_b64 s[8:9], s[6:7]
	s_cbranch_execnz .LBB1599_79
.LBB1599_55:
	s_or_b64 exec, exec, s[8:9]
	v_cmp_gt_u32_e64 s[8:9], s16, v24
	s_and_saveexec_b64 s[10:11], s[8:9]
	s_cbranch_execnz .LBB1599_80
.LBB1599_56:
	s_or_b64 exec, exec, s[10:11]
	v_cmp_gt_u32_e64 s[10:11], s16, v23
	s_and_saveexec_b64 s[14:15], s[10:11]
	s_cbranch_execnz .LBB1599_81
.LBB1599_57:
	s_or_b64 exec, exec, s[14:15]
	v_cmp_gt_u32_e64 s[16:17], s16, v22
	s_and_saveexec_b64 s[14:15], s[16:17]
	s_cbranch_execz .LBB1599_59
.LBB1599_58:
	s_waitcnt lgkmcnt(0)
	global_store_short v[2:3], v11, off offset:1792
.LBB1599_59:
	s_or_b64 exec, exec, s[14:15]
	s_mov_b32 s14, 0x5040100
	v_perm_b32 v0, v13, v12, s14
	v_perm_b32 v2, v7, v6, s14
	s_waitcnt lgkmcnt(0)
	s_barrier
	ds_write2_b32 v1, v2, v0 offset1:1
	v_perm_b32 v0, v15, v14, s14
	v_perm_b32 v2, v9, v8, s14
	ds_write2_b32 v1, v2, v0 offset0:2 offset1:3
	s_waitcnt lgkmcnt(0)
	s_barrier
	ds_read_u16 v8, v5 offset:256
	ds_read_u16 v7, v16 offset:512
	;; [unrolled: 1-line block ×7, first 2 shown]
	s_add_u32 s14, s20, s12
	s_addc_u32 s15, s21, s13
	v_mov_b32_e32 v11, 0
	v_lshl_add_u64 v[0:1], s[14:15], 0, v[10:11]
	s_and_saveexec_b64 s[14:15], vcc
	s_cbranch_execnz .LBB1599_82
; %bb.60:
	s_or_b64 exec, exec, s[14:15]
	s_and_saveexec_b64 s[14:15], s[0:1]
	s_cbranch_execnz .LBB1599_83
.LBB1599_61:
	s_or_b64 exec, exec, s[14:15]
	s_and_saveexec_b64 s[0:1], s[2:3]
	s_cbranch_execnz .LBB1599_84
.LBB1599_62:
	s_or_b64 exec, exec, s[0:1]
	s_and_saveexec_b64 s[0:1], s[4:5]
	s_cbranch_execnz .LBB1599_85
.LBB1599_63:
	s_or_b64 exec, exec, s[0:1]
	s_and_saveexec_b64 s[0:1], s[6:7]
	s_cbranch_execnz .LBB1599_86
.LBB1599_64:
	s_or_b64 exec, exec, s[0:1]
	s_and_saveexec_b64 s[0:1], s[8:9]
	s_cbranch_execnz .LBB1599_87
.LBB1599_65:
	s_or_b64 exec, exec, s[0:1]
	s_and_saveexec_b64 s[0:1], s[10:11]
	s_cbranch_execz .LBB1599_67
.LBB1599_66:
	s_waitcnt lgkmcnt(1)
	global_store_short v[0:1], v2, off offset:1536
.LBB1599_67:
	s_or_b64 exec, exec, s[0:1]
.LBB1599_68:
	s_and_saveexec_b64 s[0:1], s[16:17]
	s_cbranch_execz .LBB1599_70
; %bb.69:
	s_add_u32 s0, s20, s12
	s_addc_u32 s1, s21, s13
	s_waitcnt lgkmcnt(0)
	global_store_short v10, v29, s[0:1] offset:1792
.LBB1599_70:
	s_endpgm
.LBB1599_71:
	v_mov_b32_e32 v11, v2
	v_subrev_co_u32_e32 v6, vcc, s15, v0
	v_mov_b32_e32 v7, v2
	v_lshl_add_u64 v[4:5], s[8:9], 0, v[10:11]
	v_lshl_add_u64 v[6:7], v[6:7], 1, s[10:11]
	v_cndmask_b32_e32 v5, v7, v5, vcc
	v_cndmask_b32_e32 v4, v6, v4, vcc
	global_load_ushort v3, v[4:5], off
	v_mov_b32_e32 v5, v2
	v_mov_b32_e32 v6, v2
	;; [unrolled: 1-line block ×3, first 2 shown]
	s_waitcnt vmcnt(0)
	v_and_b32_e32 v4, 0xffff, v3
	v_mov_b64_e32 v[2:3], v[4:5]
	v_mov_b64_e32 v[4:5], v[6:7]
	s_or_b64 exec, exec, s[2:3]
	v_cmp_gt_u32_e32 vcc, s12, v14
	s_and_saveexec_b64 s[2:3], vcc
	s_cbranch_execz .LBB1599_6
.LBB1599_72:
	v_mov_b32_e32 v15, 0
	v_subrev_co_u32_e32 v8, vcc, s15, v14
	v_mov_b32_e32 v9, v15
	v_lshl_add_u64 v[6:7], v[14:15], 1, s[8:9]
	v_lshl_add_u64 v[8:9], v[8:9], 1, s[10:11]
	v_cndmask_b32_e32 v7, v9, v7, vcc
	v_cndmask_b32_e32 v6, v8, v6, vcc
	global_load_ushort v6, v[6:7], off
	s_mov_b32 s13, 0x5040100
	s_waitcnt vmcnt(0)
	v_perm_b32 v2, v6, v2, s13
	s_or_b64 exec, exec, s[2:3]
	v_cmp_gt_u32_e32 vcc, s12, v12
	s_and_saveexec_b64 s[2:3], vcc
	s_cbranch_execnz .LBB1599_7
	s_branch .LBB1599_8
.LBB1599_73:
	v_mov_b32_e32 v11, v6
	v_subrev_co_u32_e32 v16, vcc, s15, v0
	v_mov_b32_e32 v17, v6
	v_lshl_add_u64 v[8:9], s[2:3], 0, v[10:11]
	v_lshl_add_u64 v[16:17], v[16:17], 1, s[4:5]
	v_cndmask_b32_e32 v9, v17, v9, vcc
	v_cndmask_b32_e32 v8, v16, v8, vcc
	global_load_ushort v7, v[8:9], off
	v_mov_b32_e32 v23, v6
	v_mov_b32_e32 v24, v6
	;; [unrolled: 1-line block ×3, first 2 shown]
	s_waitcnt vmcnt(0)
	v_and_b32_e32 v22, 0xffff, v7
	v_mov_b64_e32 v[6:7], v[22:23]
	v_mov_b64_e32 v[8:9], v[24:25]
	s_or_b64 exec, exec, s[6:7]
	v_cmp_gt_u32_e32 vcc, s8, v14
	s_and_saveexec_b64 s[6:7], vcc
	s_cbranch_execz .LBB1599_24
.LBB1599_74:
	v_mov_b32_e32 v15, 0
	v_lshl_add_u64 v[16:17], v[14:15], 1, s[2:3]
	v_subrev_co_u32_e32 v14, vcc, s15, v14
	v_lshl_add_u64 v[14:15], v[14:15], 1, s[4:5]
	s_nop 0
	v_cndmask_b32_e32 v15, v15, v17, vcc
	v_cndmask_b32_e32 v14, v14, v16, vcc
	global_load_ushort v11, v[14:15], off
	s_mov_b32 s9, 0x5040100
	s_waitcnt vmcnt(0)
	v_perm_b32 v6, v11, v6, s9
	s_or_b64 exec, exec, s[6:7]
	v_cmp_gt_u32_e32 vcc, s8, v12
	s_and_saveexec_b64 s[6:7], vcc
	s_cbranch_execnz .LBB1599_25
	s_branch .LBB1599_26
.LBB1599_75:
	ds_read_u16 v0, v4
	s_waitcnt lgkmcnt(0)
	global_store_short v[2:3], v0, off
	s_or_b64 exec, exec, s[0:1]
	v_cmp_gt_u32_e64 s[0:1], s16, v28
	s_and_saveexec_b64 s[2:3], s[0:1]
	s_cbranch_execz .LBB1599_52
.LBB1599_76:
	s_waitcnt lgkmcnt(6)
	global_store_short v[2:3], v34, off offset:256
	s_or_b64 exec, exec, s[2:3]
	v_cmp_gt_u32_e64 s[2:3], s16, v27
	s_and_saveexec_b64 s[4:5], s[2:3]
	s_cbranch_execz .LBB1599_53
.LBB1599_77:
	s_waitcnt lgkmcnt(5)
	global_store_short v[2:3], v33, off offset:512
	s_or_b64 exec, exec, s[4:5]
	v_cmp_gt_u32_e64 s[4:5], s16, v26
	s_and_saveexec_b64 s[6:7], s[4:5]
	s_cbranch_execz .LBB1599_54
.LBB1599_78:
	s_waitcnt lgkmcnt(4)
	global_store_short v[2:3], v32, off offset:768
	s_or_b64 exec, exec, s[6:7]
	v_cmp_gt_u32_e64 s[6:7], s16, v25
	s_and_saveexec_b64 s[8:9], s[6:7]
	s_cbranch_execz .LBB1599_55
.LBB1599_79:
	s_waitcnt lgkmcnt(3)
	global_store_short v[2:3], v31, off offset:1024
	s_or_b64 exec, exec, s[8:9]
	v_cmp_gt_u32_e64 s[8:9], s16, v24
	s_and_saveexec_b64 s[10:11], s[8:9]
	s_cbranch_execz .LBB1599_56
.LBB1599_80:
	s_waitcnt lgkmcnt(2)
	global_store_short v[2:3], v30, off offset:1280
	s_or_b64 exec, exec, s[10:11]
	v_cmp_gt_u32_e64 s[10:11], s16, v23
	s_and_saveexec_b64 s[14:15], s[10:11]
	s_cbranch_execz .LBB1599_57
.LBB1599_81:
	s_waitcnt lgkmcnt(1)
	global_store_short v[2:3], v29, off offset:1536
	s_or_b64 exec, exec, s[14:15]
	v_cmp_gt_u32_e64 s[16:17], s16, v22
	s_and_saveexec_b64 s[14:15], s[16:17]
	s_cbranch_execnz .LBB1599_58
	s_branch .LBB1599_59
.LBB1599_82:
	ds_read_u16 v4, v4
	s_waitcnt lgkmcnt(0)
	global_store_short v[0:1], v4, off
	s_or_b64 exec, exec, s[14:15]
	s_and_saveexec_b64 s[14:15], s[0:1]
	s_cbranch_execz .LBB1599_61
.LBB1599_83:
	s_waitcnt lgkmcnt(6)
	global_store_short v[0:1], v8, off offset:256
	s_or_b64 exec, exec, s[14:15]
	s_and_saveexec_b64 s[0:1], s[2:3]
	s_cbranch_execz .LBB1599_62
.LBB1599_84:
	s_waitcnt lgkmcnt(5)
	global_store_short v[0:1], v7, off offset:512
	s_or_b64 exec, exec, s[0:1]
	s_and_saveexec_b64 s[0:1], s[4:5]
	s_cbranch_execz .LBB1599_63
.LBB1599_85:
	s_waitcnt lgkmcnt(4)
	global_store_short v[0:1], v6, off offset:768
	s_or_b64 exec, exec, s[0:1]
	s_and_saveexec_b64 s[0:1], s[6:7]
	s_cbranch_execz .LBB1599_64
.LBB1599_86:
	s_waitcnt lgkmcnt(3)
	global_store_short v[0:1], v5, off offset:1024
	s_or_b64 exec, exec, s[0:1]
	s_and_saveexec_b64 s[0:1], s[8:9]
	s_cbranch_execz .LBB1599_65
.LBB1599_87:
	s_waitcnt lgkmcnt(2)
	global_store_short v[0:1], v3, off offset:1280
	s_or_b64 exec, exec, s[0:1]
	s_and_saveexec_b64 s[0:1], s[10:11]
	s_cbranch_execnz .LBB1599_66
	s_branch .LBB1599_67
	.section	.rodata,"a",@progbits
	.p2align	6, 0x0
	.amdhsa_kernel _ZN7rocprim17ROCPRIM_400000_NS6detail17trampoline_kernelINS0_14default_configENS1_38merge_sort_block_merge_config_selectorIssEEZZNS1_27merge_sort_block_merge_implIS3_N6thrust23THRUST_200600_302600_NS6detail15normal_iteratorINS8_10device_ptrIsEEEESD_jNS1_19radix_merge_compareILb0ELb1EsNS0_19identity_decomposerEEEEE10hipError_tT0_T1_T2_jT3_P12ihipStream_tbPNSt15iterator_traitsISI_E10value_typeEPNSO_ISJ_E10value_typeEPSK_NS1_7vsmem_tEENKUlT_SI_SJ_SK_E_clISD_PsSD_S10_EESH_SX_SI_SJ_SK_EUlSX_E0_NS1_11comp_targetILNS1_3genE0ELNS1_11target_archE4294967295ELNS1_3gpuE0ELNS1_3repE0EEENS1_38merge_mergepath_config_static_selectorELNS0_4arch9wavefront6targetE1EEEvSJ_
		.amdhsa_group_segment_fixed_size 2112
		.amdhsa_private_segment_fixed_size 0
		.amdhsa_kernarg_size 320
		.amdhsa_user_sgpr_count 2
		.amdhsa_user_sgpr_dispatch_ptr 0
		.amdhsa_user_sgpr_queue_ptr 0
		.amdhsa_user_sgpr_kernarg_segment_ptr 1
		.amdhsa_user_sgpr_dispatch_id 0
		.amdhsa_user_sgpr_kernarg_preload_length 0
		.amdhsa_user_sgpr_kernarg_preload_offset 0
		.amdhsa_user_sgpr_private_segment_size 0
		.amdhsa_uses_dynamic_stack 0
		.amdhsa_enable_private_segment 0
		.amdhsa_system_sgpr_workgroup_id_x 1
		.amdhsa_system_sgpr_workgroup_id_y 1
		.amdhsa_system_sgpr_workgroup_id_z 1
		.amdhsa_system_sgpr_workgroup_info 0
		.amdhsa_system_vgpr_workitem_id 0
		.amdhsa_next_free_vgpr 36
		.amdhsa_next_free_sgpr 32
		.amdhsa_accum_offset 36
		.amdhsa_reserve_vcc 1
		.amdhsa_float_round_mode_32 0
		.amdhsa_float_round_mode_16_64 0
		.amdhsa_float_denorm_mode_32 3
		.amdhsa_float_denorm_mode_16_64 3
		.amdhsa_dx10_clamp 1
		.amdhsa_ieee_mode 1
		.amdhsa_fp16_overflow 0
		.amdhsa_tg_split 0
		.amdhsa_exception_fp_ieee_invalid_op 0
		.amdhsa_exception_fp_denorm_src 0
		.amdhsa_exception_fp_ieee_div_zero 0
		.amdhsa_exception_fp_ieee_overflow 0
		.amdhsa_exception_fp_ieee_underflow 0
		.amdhsa_exception_fp_ieee_inexact 0
		.amdhsa_exception_int_div_zero 0
	.end_amdhsa_kernel
	.section	.text._ZN7rocprim17ROCPRIM_400000_NS6detail17trampoline_kernelINS0_14default_configENS1_38merge_sort_block_merge_config_selectorIssEEZZNS1_27merge_sort_block_merge_implIS3_N6thrust23THRUST_200600_302600_NS6detail15normal_iteratorINS8_10device_ptrIsEEEESD_jNS1_19radix_merge_compareILb0ELb1EsNS0_19identity_decomposerEEEEE10hipError_tT0_T1_T2_jT3_P12ihipStream_tbPNSt15iterator_traitsISI_E10value_typeEPNSO_ISJ_E10value_typeEPSK_NS1_7vsmem_tEENKUlT_SI_SJ_SK_E_clISD_PsSD_S10_EESH_SX_SI_SJ_SK_EUlSX_E0_NS1_11comp_targetILNS1_3genE0ELNS1_11target_archE4294967295ELNS1_3gpuE0ELNS1_3repE0EEENS1_38merge_mergepath_config_static_selectorELNS0_4arch9wavefront6targetE1EEEvSJ_,"axG",@progbits,_ZN7rocprim17ROCPRIM_400000_NS6detail17trampoline_kernelINS0_14default_configENS1_38merge_sort_block_merge_config_selectorIssEEZZNS1_27merge_sort_block_merge_implIS3_N6thrust23THRUST_200600_302600_NS6detail15normal_iteratorINS8_10device_ptrIsEEEESD_jNS1_19radix_merge_compareILb0ELb1EsNS0_19identity_decomposerEEEEE10hipError_tT0_T1_T2_jT3_P12ihipStream_tbPNSt15iterator_traitsISI_E10value_typeEPNSO_ISJ_E10value_typeEPSK_NS1_7vsmem_tEENKUlT_SI_SJ_SK_E_clISD_PsSD_S10_EESH_SX_SI_SJ_SK_EUlSX_E0_NS1_11comp_targetILNS1_3genE0ELNS1_11target_archE4294967295ELNS1_3gpuE0ELNS1_3repE0EEENS1_38merge_mergepath_config_static_selectorELNS0_4arch9wavefront6targetE1EEEvSJ_,comdat
.Lfunc_end1599:
	.size	_ZN7rocprim17ROCPRIM_400000_NS6detail17trampoline_kernelINS0_14default_configENS1_38merge_sort_block_merge_config_selectorIssEEZZNS1_27merge_sort_block_merge_implIS3_N6thrust23THRUST_200600_302600_NS6detail15normal_iteratorINS8_10device_ptrIsEEEESD_jNS1_19radix_merge_compareILb0ELb1EsNS0_19identity_decomposerEEEEE10hipError_tT0_T1_T2_jT3_P12ihipStream_tbPNSt15iterator_traitsISI_E10value_typeEPNSO_ISJ_E10value_typeEPSK_NS1_7vsmem_tEENKUlT_SI_SJ_SK_E_clISD_PsSD_S10_EESH_SX_SI_SJ_SK_EUlSX_E0_NS1_11comp_targetILNS1_3genE0ELNS1_11target_archE4294967295ELNS1_3gpuE0ELNS1_3repE0EEENS1_38merge_mergepath_config_static_selectorELNS0_4arch9wavefront6targetE1EEEvSJ_, .Lfunc_end1599-_ZN7rocprim17ROCPRIM_400000_NS6detail17trampoline_kernelINS0_14default_configENS1_38merge_sort_block_merge_config_selectorIssEEZZNS1_27merge_sort_block_merge_implIS3_N6thrust23THRUST_200600_302600_NS6detail15normal_iteratorINS8_10device_ptrIsEEEESD_jNS1_19radix_merge_compareILb0ELb1EsNS0_19identity_decomposerEEEEE10hipError_tT0_T1_T2_jT3_P12ihipStream_tbPNSt15iterator_traitsISI_E10value_typeEPNSO_ISJ_E10value_typeEPSK_NS1_7vsmem_tEENKUlT_SI_SJ_SK_E_clISD_PsSD_S10_EESH_SX_SI_SJ_SK_EUlSX_E0_NS1_11comp_targetILNS1_3genE0ELNS1_11target_archE4294967295ELNS1_3gpuE0ELNS1_3repE0EEENS1_38merge_mergepath_config_static_selectorELNS0_4arch9wavefront6targetE1EEEvSJ_
                                        ; -- End function
	.set _ZN7rocprim17ROCPRIM_400000_NS6detail17trampoline_kernelINS0_14default_configENS1_38merge_sort_block_merge_config_selectorIssEEZZNS1_27merge_sort_block_merge_implIS3_N6thrust23THRUST_200600_302600_NS6detail15normal_iteratorINS8_10device_ptrIsEEEESD_jNS1_19radix_merge_compareILb0ELb1EsNS0_19identity_decomposerEEEEE10hipError_tT0_T1_T2_jT3_P12ihipStream_tbPNSt15iterator_traitsISI_E10value_typeEPNSO_ISJ_E10value_typeEPSK_NS1_7vsmem_tEENKUlT_SI_SJ_SK_E_clISD_PsSD_S10_EESH_SX_SI_SJ_SK_EUlSX_E0_NS1_11comp_targetILNS1_3genE0ELNS1_11target_archE4294967295ELNS1_3gpuE0ELNS1_3repE0EEENS1_38merge_mergepath_config_static_selectorELNS0_4arch9wavefront6targetE1EEEvSJ_.num_vgpr, 36
	.set _ZN7rocprim17ROCPRIM_400000_NS6detail17trampoline_kernelINS0_14default_configENS1_38merge_sort_block_merge_config_selectorIssEEZZNS1_27merge_sort_block_merge_implIS3_N6thrust23THRUST_200600_302600_NS6detail15normal_iteratorINS8_10device_ptrIsEEEESD_jNS1_19radix_merge_compareILb0ELb1EsNS0_19identity_decomposerEEEEE10hipError_tT0_T1_T2_jT3_P12ihipStream_tbPNSt15iterator_traitsISI_E10value_typeEPNSO_ISJ_E10value_typeEPSK_NS1_7vsmem_tEENKUlT_SI_SJ_SK_E_clISD_PsSD_S10_EESH_SX_SI_SJ_SK_EUlSX_E0_NS1_11comp_targetILNS1_3genE0ELNS1_11target_archE4294967295ELNS1_3gpuE0ELNS1_3repE0EEENS1_38merge_mergepath_config_static_selectorELNS0_4arch9wavefront6targetE1EEEvSJ_.num_agpr, 0
	.set _ZN7rocprim17ROCPRIM_400000_NS6detail17trampoline_kernelINS0_14default_configENS1_38merge_sort_block_merge_config_selectorIssEEZZNS1_27merge_sort_block_merge_implIS3_N6thrust23THRUST_200600_302600_NS6detail15normal_iteratorINS8_10device_ptrIsEEEESD_jNS1_19radix_merge_compareILb0ELb1EsNS0_19identity_decomposerEEEEE10hipError_tT0_T1_T2_jT3_P12ihipStream_tbPNSt15iterator_traitsISI_E10value_typeEPNSO_ISJ_E10value_typeEPSK_NS1_7vsmem_tEENKUlT_SI_SJ_SK_E_clISD_PsSD_S10_EESH_SX_SI_SJ_SK_EUlSX_E0_NS1_11comp_targetILNS1_3genE0ELNS1_11target_archE4294967295ELNS1_3gpuE0ELNS1_3repE0EEENS1_38merge_mergepath_config_static_selectorELNS0_4arch9wavefront6targetE1EEEvSJ_.numbered_sgpr, 32
	.set _ZN7rocprim17ROCPRIM_400000_NS6detail17trampoline_kernelINS0_14default_configENS1_38merge_sort_block_merge_config_selectorIssEEZZNS1_27merge_sort_block_merge_implIS3_N6thrust23THRUST_200600_302600_NS6detail15normal_iteratorINS8_10device_ptrIsEEEESD_jNS1_19radix_merge_compareILb0ELb1EsNS0_19identity_decomposerEEEEE10hipError_tT0_T1_T2_jT3_P12ihipStream_tbPNSt15iterator_traitsISI_E10value_typeEPNSO_ISJ_E10value_typeEPSK_NS1_7vsmem_tEENKUlT_SI_SJ_SK_E_clISD_PsSD_S10_EESH_SX_SI_SJ_SK_EUlSX_E0_NS1_11comp_targetILNS1_3genE0ELNS1_11target_archE4294967295ELNS1_3gpuE0ELNS1_3repE0EEENS1_38merge_mergepath_config_static_selectorELNS0_4arch9wavefront6targetE1EEEvSJ_.num_named_barrier, 0
	.set _ZN7rocprim17ROCPRIM_400000_NS6detail17trampoline_kernelINS0_14default_configENS1_38merge_sort_block_merge_config_selectorIssEEZZNS1_27merge_sort_block_merge_implIS3_N6thrust23THRUST_200600_302600_NS6detail15normal_iteratorINS8_10device_ptrIsEEEESD_jNS1_19radix_merge_compareILb0ELb1EsNS0_19identity_decomposerEEEEE10hipError_tT0_T1_T2_jT3_P12ihipStream_tbPNSt15iterator_traitsISI_E10value_typeEPNSO_ISJ_E10value_typeEPSK_NS1_7vsmem_tEENKUlT_SI_SJ_SK_E_clISD_PsSD_S10_EESH_SX_SI_SJ_SK_EUlSX_E0_NS1_11comp_targetILNS1_3genE0ELNS1_11target_archE4294967295ELNS1_3gpuE0ELNS1_3repE0EEENS1_38merge_mergepath_config_static_selectorELNS0_4arch9wavefront6targetE1EEEvSJ_.private_seg_size, 0
	.set _ZN7rocprim17ROCPRIM_400000_NS6detail17trampoline_kernelINS0_14default_configENS1_38merge_sort_block_merge_config_selectorIssEEZZNS1_27merge_sort_block_merge_implIS3_N6thrust23THRUST_200600_302600_NS6detail15normal_iteratorINS8_10device_ptrIsEEEESD_jNS1_19radix_merge_compareILb0ELb1EsNS0_19identity_decomposerEEEEE10hipError_tT0_T1_T2_jT3_P12ihipStream_tbPNSt15iterator_traitsISI_E10value_typeEPNSO_ISJ_E10value_typeEPSK_NS1_7vsmem_tEENKUlT_SI_SJ_SK_E_clISD_PsSD_S10_EESH_SX_SI_SJ_SK_EUlSX_E0_NS1_11comp_targetILNS1_3genE0ELNS1_11target_archE4294967295ELNS1_3gpuE0ELNS1_3repE0EEENS1_38merge_mergepath_config_static_selectorELNS0_4arch9wavefront6targetE1EEEvSJ_.uses_vcc, 1
	.set _ZN7rocprim17ROCPRIM_400000_NS6detail17trampoline_kernelINS0_14default_configENS1_38merge_sort_block_merge_config_selectorIssEEZZNS1_27merge_sort_block_merge_implIS3_N6thrust23THRUST_200600_302600_NS6detail15normal_iteratorINS8_10device_ptrIsEEEESD_jNS1_19radix_merge_compareILb0ELb1EsNS0_19identity_decomposerEEEEE10hipError_tT0_T1_T2_jT3_P12ihipStream_tbPNSt15iterator_traitsISI_E10value_typeEPNSO_ISJ_E10value_typeEPSK_NS1_7vsmem_tEENKUlT_SI_SJ_SK_E_clISD_PsSD_S10_EESH_SX_SI_SJ_SK_EUlSX_E0_NS1_11comp_targetILNS1_3genE0ELNS1_11target_archE4294967295ELNS1_3gpuE0ELNS1_3repE0EEENS1_38merge_mergepath_config_static_selectorELNS0_4arch9wavefront6targetE1EEEvSJ_.uses_flat_scratch, 0
	.set _ZN7rocprim17ROCPRIM_400000_NS6detail17trampoline_kernelINS0_14default_configENS1_38merge_sort_block_merge_config_selectorIssEEZZNS1_27merge_sort_block_merge_implIS3_N6thrust23THRUST_200600_302600_NS6detail15normal_iteratorINS8_10device_ptrIsEEEESD_jNS1_19radix_merge_compareILb0ELb1EsNS0_19identity_decomposerEEEEE10hipError_tT0_T1_T2_jT3_P12ihipStream_tbPNSt15iterator_traitsISI_E10value_typeEPNSO_ISJ_E10value_typeEPSK_NS1_7vsmem_tEENKUlT_SI_SJ_SK_E_clISD_PsSD_S10_EESH_SX_SI_SJ_SK_EUlSX_E0_NS1_11comp_targetILNS1_3genE0ELNS1_11target_archE4294967295ELNS1_3gpuE0ELNS1_3repE0EEENS1_38merge_mergepath_config_static_selectorELNS0_4arch9wavefront6targetE1EEEvSJ_.has_dyn_sized_stack, 0
	.set _ZN7rocprim17ROCPRIM_400000_NS6detail17trampoline_kernelINS0_14default_configENS1_38merge_sort_block_merge_config_selectorIssEEZZNS1_27merge_sort_block_merge_implIS3_N6thrust23THRUST_200600_302600_NS6detail15normal_iteratorINS8_10device_ptrIsEEEESD_jNS1_19radix_merge_compareILb0ELb1EsNS0_19identity_decomposerEEEEE10hipError_tT0_T1_T2_jT3_P12ihipStream_tbPNSt15iterator_traitsISI_E10value_typeEPNSO_ISJ_E10value_typeEPSK_NS1_7vsmem_tEENKUlT_SI_SJ_SK_E_clISD_PsSD_S10_EESH_SX_SI_SJ_SK_EUlSX_E0_NS1_11comp_targetILNS1_3genE0ELNS1_11target_archE4294967295ELNS1_3gpuE0ELNS1_3repE0EEENS1_38merge_mergepath_config_static_selectorELNS0_4arch9wavefront6targetE1EEEvSJ_.has_recursion, 0
	.set _ZN7rocprim17ROCPRIM_400000_NS6detail17trampoline_kernelINS0_14default_configENS1_38merge_sort_block_merge_config_selectorIssEEZZNS1_27merge_sort_block_merge_implIS3_N6thrust23THRUST_200600_302600_NS6detail15normal_iteratorINS8_10device_ptrIsEEEESD_jNS1_19radix_merge_compareILb0ELb1EsNS0_19identity_decomposerEEEEE10hipError_tT0_T1_T2_jT3_P12ihipStream_tbPNSt15iterator_traitsISI_E10value_typeEPNSO_ISJ_E10value_typeEPSK_NS1_7vsmem_tEENKUlT_SI_SJ_SK_E_clISD_PsSD_S10_EESH_SX_SI_SJ_SK_EUlSX_E0_NS1_11comp_targetILNS1_3genE0ELNS1_11target_archE4294967295ELNS1_3gpuE0ELNS1_3repE0EEENS1_38merge_mergepath_config_static_selectorELNS0_4arch9wavefront6targetE1EEEvSJ_.has_indirect_call, 0
	.section	.AMDGPU.csdata,"",@progbits
; Kernel info:
; codeLenInByte = 5536
; TotalNumSgprs: 38
; NumVgprs: 36
; NumAgprs: 0
; TotalNumVgprs: 36
; ScratchSize: 0
; MemoryBound: 0
; FloatMode: 240
; IeeeMode: 1
; LDSByteSize: 2112 bytes/workgroup (compile time only)
; SGPRBlocks: 4
; VGPRBlocks: 4
; NumSGPRsForWavesPerEU: 38
; NumVGPRsForWavesPerEU: 36
; AccumOffset: 36
; Occupancy: 8
; WaveLimiterHint : 1
; COMPUTE_PGM_RSRC2:SCRATCH_EN: 0
; COMPUTE_PGM_RSRC2:USER_SGPR: 2
; COMPUTE_PGM_RSRC2:TRAP_HANDLER: 0
; COMPUTE_PGM_RSRC2:TGID_X_EN: 1
; COMPUTE_PGM_RSRC2:TGID_Y_EN: 1
; COMPUTE_PGM_RSRC2:TGID_Z_EN: 1
; COMPUTE_PGM_RSRC2:TIDIG_COMP_CNT: 0
; COMPUTE_PGM_RSRC3_GFX90A:ACCUM_OFFSET: 8
; COMPUTE_PGM_RSRC3_GFX90A:TG_SPLIT: 0
	.section	.text._ZN7rocprim17ROCPRIM_400000_NS6detail17trampoline_kernelINS0_14default_configENS1_38merge_sort_block_merge_config_selectorIssEEZZNS1_27merge_sort_block_merge_implIS3_N6thrust23THRUST_200600_302600_NS6detail15normal_iteratorINS8_10device_ptrIsEEEESD_jNS1_19radix_merge_compareILb0ELb1EsNS0_19identity_decomposerEEEEE10hipError_tT0_T1_T2_jT3_P12ihipStream_tbPNSt15iterator_traitsISI_E10value_typeEPNSO_ISJ_E10value_typeEPSK_NS1_7vsmem_tEENKUlT_SI_SJ_SK_E_clISD_PsSD_S10_EESH_SX_SI_SJ_SK_EUlSX_E0_NS1_11comp_targetILNS1_3genE10ELNS1_11target_archE1201ELNS1_3gpuE5ELNS1_3repE0EEENS1_38merge_mergepath_config_static_selectorELNS0_4arch9wavefront6targetE1EEEvSJ_,"axG",@progbits,_ZN7rocprim17ROCPRIM_400000_NS6detail17trampoline_kernelINS0_14default_configENS1_38merge_sort_block_merge_config_selectorIssEEZZNS1_27merge_sort_block_merge_implIS3_N6thrust23THRUST_200600_302600_NS6detail15normal_iteratorINS8_10device_ptrIsEEEESD_jNS1_19radix_merge_compareILb0ELb1EsNS0_19identity_decomposerEEEEE10hipError_tT0_T1_T2_jT3_P12ihipStream_tbPNSt15iterator_traitsISI_E10value_typeEPNSO_ISJ_E10value_typeEPSK_NS1_7vsmem_tEENKUlT_SI_SJ_SK_E_clISD_PsSD_S10_EESH_SX_SI_SJ_SK_EUlSX_E0_NS1_11comp_targetILNS1_3genE10ELNS1_11target_archE1201ELNS1_3gpuE5ELNS1_3repE0EEENS1_38merge_mergepath_config_static_selectorELNS0_4arch9wavefront6targetE1EEEvSJ_,comdat
	.protected	_ZN7rocprim17ROCPRIM_400000_NS6detail17trampoline_kernelINS0_14default_configENS1_38merge_sort_block_merge_config_selectorIssEEZZNS1_27merge_sort_block_merge_implIS3_N6thrust23THRUST_200600_302600_NS6detail15normal_iteratorINS8_10device_ptrIsEEEESD_jNS1_19radix_merge_compareILb0ELb1EsNS0_19identity_decomposerEEEEE10hipError_tT0_T1_T2_jT3_P12ihipStream_tbPNSt15iterator_traitsISI_E10value_typeEPNSO_ISJ_E10value_typeEPSK_NS1_7vsmem_tEENKUlT_SI_SJ_SK_E_clISD_PsSD_S10_EESH_SX_SI_SJ_SK_EUlSX_E0_NS1_11comp_targetILNS1_3genE10ELNS1_11target_archE1201ELNS1_3gpuE5ELNS1_3repE0EEENS1_38merge_mergepath_config_static_selectorELNS0_4arch9wavefront6targetE1EEEvSJ_ ; -- Begin function _ZN7rocprim17ROCPRIM_400000_NS6detail17trampoline_kernelINS0_14default_configENS1_38merge_sort_block_merge_config_selectorIssEEZZNS1_27merge_sort_block_merge_implIS3_N6thrust23THRUST_200600_302600_NS6detail15normal_iteratorINS8_10device_ptrIsEEEESD_jNS1_19radix_merge_compareILb0ELb1EsNS0_19identity_decomposerEEEEE10hipError_tT0_T1_T2_jT3_P12ihipStream_tbPNSt15iterator_traitsISI_E10value_typeEPNSO_ISJ_E10value_typeEPSK_NS1_7vsmem_tEENKUlT_SI_SJ_SK_E_clISD_PsSD_S10_EESH_SX_SI_SJ_SK_EUlSX_E0_NS1_11comp_targetILNS1_3genE10ELNS1_11target_archE1201ELNS1_3gpuE5ELNS1_3repE0EEENS1_38merge_mergepath_config_static_selectorELNS0_4arch9wavefront6targetE1EEEvSJ_
	.globl	_ZN7rocprim17ROCPRIM_400000_NS6detail17trampoline_kernelINS0_14default_configENS1_38merge_sort_block_merge_config_selectorIssEEZZNS1_27merge_sort_block_merge_implIS3_N6thrust23THRUST_200600_302600_NS6detail15normal_iteratorINS8_10device_ptrIsEEEESD_jNS1_19radix_merge_compareILb0ELb1EsNS0_19identity_decomposerEEEEE10hipError_tT0_T1_T2_jT3_P12ihipStream_tbPNSt15iterator_traitsISI_E10value_typeEPNSO_ISJ_E10value_typeEPSK_NS1_7vsmem_tEENKUlT_SI_SJ_SK_E_clISD_PsSD_S10_EESH_SX_SI_SJ_SK_EUlSX_E0_NS1_11comp_targetILNS1_3genE10ELNS1_11target_archE1201ELNS1_3gpuE5ELNS1_3repE0EEENS1_38merge_mergepath_config_static_selectorELNS0_4arch9wavefront6targetE1EEEvSJ_
	.p2align	8
	.type	_ZN7rocprim17ROCPRIM_400000_NS6detail17trampoline_kernelINS0_14default_configENS1_38merge_sort_block_merge_config_selectorIssEEZZNS1_27merge_sort_block_merge_implIS3_N6thrust23THRUST_200600_302600_NS6detail15normal_iteratorINS8_10device_ptrIsEEEESD_jNS1_19radix_merge_compareILb0ELb1EsNS0_19identity_decomposerEEEEE10hipError_tT0_T1_T2_jT3_P12ihipStream_tbPNSt15iterator_traitsISI_E10value_typeEPNSO_ISJ_E10value_typeEPSK_NS1_7vsmem_tEENKUlT_SI_SJ_SK_E_clISD_PsSD_S10_EESH_SX_SI_SJ_SK_EUlSX_E0_NS1_11comp_targetILNS1_3genE10ELNS1_11target_archE1201ELNS1_3gpuE5ELNS1_3repE0EEENS1_38merge_mergepath_config_static_selectorELNS0_4arch9wavefront6targetE1EEEvSJ_,@function
_ZN7rocprim17ROCPRIM_400000_NS6detail17trampoline_kernelINS0_14default_configENS1_38merge_sort_block_merge_config_selectorIssEEZZNS1_27merge_sort_block_merge_implIS3_N6thrust23THRUST_200600_302600_NS6detail15normal_iteratorINS8_10device_ptrIsEEEESD_jNS1_19radix_merge_compareILb0ELb1EsNS0_19identity_decomposerEEEEE10hipError_tT0_T1_T2_jT3_P12ihipStream_tbPNSt15iterator_traitsISI_E10value_typeEPNSO_ISJ_E10value_typeEPSK_NS1_7vsmem_tEENKUlT_SI_SJ_SK_E_clISD_PsSD_S10_EESH_SX_SI_SJ_SK_EUlSX_E0_NS1_11comp_targetILNS1_3genE10ELNS1_11target_archE1201ELNS1_3gpuE5ELNS1_3repE0EEENS1_38merge_mergepath_config_static_selectorELNS0_4arch9wavefront6targetE1EEEvSJ_: ; @_ZN7rocprim17ROCPRIM_400000_NS6detail17trampoline_kernelINS0_14default_configENS1_38merge_sort_block_merge_config_selectorIssEEZZNS1_27merge_sort_block_merge_implIS3_N6thrust23THRUST_200600_302600_NS6detail15normal_iteratorINS8_10device_ptrIsEEEESD_jNS1_19radix_merge_compareILb0ELb1EsNS0_19identity_decomposerEEEEE10hipError_tT0_T1_T2_jT3_P12ihipStream_tbPNSt15iterator_traitsISI_E10value_typeEPNSO_ISJ_E10value_typeEPSK_NS1_7vsmem_tEENKUlT_SI_SJ_SK_E_clISD_PsSD_S10_EESH_SX_SI_SJ_SK_EUlSX_E0_NS1_11comp_targetILNS1_3genE10ELNS1_11target_archE1201ELNS1_3gpuE5ELNS1_3repE0EEENS1_38merge_mergepath_config_static_selectorELNS0_4arch9wavefront6targetE1EEEvSJ_
; %bb.0:
	.section	.rodata,"a",@progbits
	.p2align	6, 0x0
	.amdhsa_kernel _ZN7rocprim17ROCPRIM_400000_NS6detail17trampoline_kernelINS0_14default_configENS1_38merge_sort_block_merge_config_selectorIssEEZZNS1_27merge_sort_block_merge_implIS3_N6thrust23THRUST_200600_302600_NS6detail15normal_iteratorINS8_10device_ptrIsEEEESD_jNS1_19radix_merge_compareILb0ELb1EsNS0_19identity_decomposerEEEEE10hipError_tT0_T1_T2_jT3_P12ihipStream_tbPNSt15iterator_traitsISI_E10value_typeEPNSO_ISJ_E10value_typeEPSK_NS1_7vsmem_tEENKUlT_SI_SJ_SK_E_clISD_PsSD_S10_EESH_SX_SI_SJ_SK_EUlSX_E0_NS1_11comp_targetILNS1_3genE10ELNS1_11target_archE1201ELNS1_3gpuE5ELNS1_3repE0EEENS1_38merge_mergepath_config_static_selectorELNS0_4arch9wavefront6targetE1EEEvSJ_
		.amdhsa_group_segment_fixed_size 0
		.amdhsa_private_segment_fixed_size 0
		.amdhsa_kernarg_size 64
		.amdhsa_user_sgpr_count 2
		.amdhsa_user_sgpr_dispatch_ptr 0
		.amdhsa_user_sgpr_queue_ptr 0
		.amdhsa_user_sgpr_kernarg_segment_ptr 1
		.amdhsa_user_sgpr_dispatch_id 0
		.amdhsa_user_sgpr_kernarg_preload_length 0
		.amdhsa_user_sgpr_kernarg_preload_offset 0
		.amdhsa_user_sgpr_private_segment_size 0
		.amdhsa_uses_dynamic_stack 0
		.amdhsa_enable_private_segment 0
		.amdhsa_system_sgpr_workgroup_id_x 1
		.amdhsa_system_sgpr_workgroup_id_y 0
		.amdhsa_system_sgpr_workgroup_id_z 0
		.amdhsa_system_sgpr_workgroup_info 0
		.amdhsa_system_vgpr_workitem_id 0
		.amdhsa_next_free_vgpr 1
		.amdhsa_next_free_sgpr 0
		.amdhsa_accum_offset 4
		.amdhsa_reserve_vcc 0
		.amdhsa_float_round_mode_32 0
		.amdhsa_float_round_mode_16_64 0
		.amdhsa_float_denorm_mode_32 3
		.amdhsa_float_denorm_mode_16_64 3
		.amdhsa_dx10_clamp 1
		.amdhsa_ieee_mode 1
		.amdhsa_fp16_overflow 0
		.amdhsa_tg_split 0
		.amdhsa_exception_fp_ieee_invalid_op 0
		.amdhsa_exception_fp_denorm_src 0
		.amdhsa_exception_fp_ieee_div_zero 0
		.amdhsa_exception_fp_ieee_overflow 0
		.amdhsa_exception_fp_ieee_underflow 0
		.amdhsa_exception_fp_ieee_inexact 0
		.amdhsa_exception_int_div_zero 0
	.end_amdhsa_kernel
	.section	.text._ZN7rocprim17ROCPRIM_400000_NS6detail17trampoline_kernelINS0_14default_configENS1_38merge_sort_block_merge_config_selectorIssEEZZNS1_27merge_sort_block_merge_implIS3_N6thrust23THRUST_200600_302600_NS6detail15normal_iteratorINS8_10device_ptrIsEEEESD_jNS1_19radix_merge_compareILb0ELb1EsNS0_19identity_decomposerEEEEE10hipError_tT0_T1_T2_jT3_P12ihipStream_tbPNSt15iterator_traitsISI_E10value_typeEPNSO_ISJ_E10value_typeEPSK_NS1_7vsmem_tEENKUlT_SI_SJ_SK_E_clISD_PsSD_S10_EESH_SX_SI_SJ_SK_EUlSX_E0_NS1_11comp_targetILNS1_3genE10ELNS1_11target_archE1201ELNS1_3gpuE5ELNS1_3repE0EEENS1_38merge_mergepath_config_static_selectorELNS0_4arch9wavefront6targetE1EEEvSJ_,"axG",@progbits,_ZN7rocprim17ROCPRIM_400000_NS6detail17trampoline_kernelINS0_14default_configENS1_38merge_sort_block_merge_config_selectorIssEEZZNS1_27merge_sort_block_merge_implIS3_N6thrust23THRUST_200600_302600_NS6detail15normal_iteratorINS8_10device_ptrIsEEEESD_jNS1_19radix_merge_compareILb0ELb1EsNS0_19identity_decomposerEEEEE10hipError_tT0_T1_T2_jT3_P12ihipStream_tbPNSt15iterator_traitsISI_E10value_typeEPNSO_ISJ_E10value_typeEPSK_NS1_7vsmem_tEENKUlT_SI_SJ_SK_E_clISD_PsSD_S10_EESH_SX_SI_SJ_SK_EUlSX_E0_NS1_11comp_targetILNS1_3genE10ELNS1_11target_archE1201ELNS1_3gpuE5ELNS1_3repE0EEENS1_38merge_mergepath_config_static_selectorELNS0_4arch9wavefront6targetE1EEEvSJ_,comdat
.Lfunc_end1600:
	.size	_ZN7rocprim17ROCPRIM_400000_NS6detail17trampoline_kernelINS0_14default_configENS1_38merge_sort_block_merge_config_selectorIssEEZZNS1_27merge_sort_block_merge_implIS3_N6thrust23THRUST_200600_302600_NS6detail15normal_iteratorINS8_10device_ptrIsEEEESD_jNS1_19radix_merge_compareILb0ELb1EsNS0_19identity_decomposerEEEEE10hipError_tT0_T1_T2_jT3_P12ihipStream_tbPNSt15iterator_traitsISI_E10value_typeEPNSO_ISJ_E10value_typeEPSK_NS1_7vsmem_tEENKUlT_SI_SJ_SK_E_clISD_PsSD_S10_EESH_SX_SI_SJ_SK_EUlSX_E0_NS1_11comp_targetILNS1_3genE10ELNS1_11target_archE1201ELNS1_3gpuE5ELNS1_3repE0EEENS1_38merge_mergepath_config_static_selectorELNS0_4arch9wavefront6targetE1EEEvSJ_, .Lfunc_end1600-_ZN7rocprim17ROCPRIM_400000_NS6detail17trampoline_kernelINS0_14default_configENS1_38merge_sort_block_merge_config_selectorIssEEZZNS1_27merge_sort_block_merge_implIS3_N6thrust23THRUST_200600_302600_NS6detail15normal_iteratorINS8_10device_ptrIsEEEESD_jNS1_19radix_merge_compareILb0ELb1EsNS0_19identity_decomposerEEEEE10hipError_tT0_T1_T2_jT3_P12ihipStream_tbPNSt15iterator_traitsISI_E10value_typeEPNSO_ISJ_E10value_typeEPSK_NS1_7vsmem_tEENKUlT_SI_SJ_SK_E_clISD_PsSD_S10_EESH_SX_SI_SJ_SK_EUlSX_E0_NS1_11comp_targetILNS1_3genE10ELNS1_11target_archE1201ELNS1_3gpuE5ELNS1_3repE0EEENS1_38merge_mergepath_config_static_selectorELNS0_4arch9wavefront6targetE1EEEvSJ_
                                        ; -- End function
	.set _ZN7rocprim17ROCPRIM_400000_NS6detail17trampoline_kernelINS0_14default_configENS1_38merge_sort_block_merge_config_selectorIssEEZZNS1_27merge_sort_block_merge_implIS3_N6thrust23THRUST_200600_302600_NS6detail15normal_iteratorINS8_10device_ptrIsEEEESD_jNS1_19radix_merge_compareILb0ELb1EsNS0_19identity_decomposerEEEEE10hipError_tT0_T1_T2_jT3_P12ihipStream_tbPNSt15iterator_traitsISI_E10value_typeEPNSO_ISJ_E10value_typeEPSK_NS1_7vsmem_tEENKUlT_SI_SJ_SK_E_clISD_PsSD_S10_EESH_SX_SI_SJ_SK_EUlSX_E0_NS1_11comp_targetILNS1_3genE10ELNS1_11target_archE1201ELNS1_3gpuE5ELNS1_3repE0EEENS1_38merge_mergepath_config_static_selectorELNS0_4arch9wavefront6targetE1EEEvSJ_.num_vgpr, 0
	.set _ZN7rocprim17ROCPRIM_400000_NS6detail17trampoline_kernelINS0_14default_configENS1_38merge_sort_block_merge_config_selectorIssEEZZNS1_27merge_sort_block_merge_implIS3_N6thrust23THRUST_200600_302600_NS6detail15normal_iteratorINS8_10device_ptrIsEEEESD_jNS1_19radix_merge_compareILb0ELb1EsNS0_19identity_decomposerEEEEE10hipError_tT0_T1_T2_jT3_P12ihipStream_tbPNSt15iterator_traitsISI_E10value_typeEPNSO_ISJ_E10value_typeEPSK_NS1_7vsmem_tEENKUlT_SI_SJ_SK_E_clISD_PsSD_S10_EESH_SX_SI_SJ_SK_EUlSX_E0_NS1_11comp_targetILNS1_3genE10ELNS1_11target_archE1201ELNS1_3gpuE5ELNS1_3repE0EEENS1_38merge_mergepath_config_static_selectorELNS0_4arch9wavefront6targetE1EEEvSJ_.num_agpr, 0
	.set _ZN7rocprim17ROCPRIM_400000_NS6detail17trampoline_kernelINS0_14default_configENS1_38merge_sort_block_merge_config_selectorIssEEZZNS1_27merge_sort_block_merge_implIS3_N6thrust23THRUST_200600_302600_NS6detail15normal_iteratorINS8_10device_ptrIsEEEESD_jNS1_19radix_merge_compareILb0ELb1EsNS0_19identity_decomposerEEEEE10hipError_tT0_T1_T2_jT3_P12ihipStream_tbPNSt15iterator_traitsISI_E10value_typeEPNSO_ISJ_E10value_typeEPSK_NS1_7vsmem_tEENKUlT_SI_SJ_SK_E_clISD_PsSD_S10_EESH_SX_SI_SJ_SK_EUlSX_E0_NS1_11comp_targetILNS1_3genE10ELNS1_11target_archE1201ELNS1_3gpuE5ELNS1_3repE0EEENS1_38merge_mergepath_config_static_selectorELNS0_4arch9wavefront6targetE1EEEvSJ_.numbered_sgpr, 0
	.set _ZN7rocprim17ROCPRIM_400000_NS6detail17trampoline_kernelINS0_14default_configENS1_38merge_sort_block_merge_config_selectorIssEEZZNS1_27merge_sort_block_merge_implIS3_N6thrust23THRUST_200600_302600_NS6detail15normal_iteratorINS8_10device_ptrIsEEEESD_jNS1_19radix_merge_compareILb0ELb1EsNS0_19identity_decomposerEEEEE10hipError_tT0_T1_T2_jT3_P12ihipStream_tbPNSt15iterator_traitsISI_E10value_typeEPNSO_ISJ_E10value_typeEPSK_NS1_7vsmem_tEENKUlT_SI_SJ_SK_E_clISD_PsSD_S10_EESH_SX_SI_SJ_SK_EUlSX_E0_NS1_11comp_targetILNS1_3genE10ELNS1_11target_archE1201ELNS1_3gpuE5ELNS1_3repE0EEENS1_38merge_mergepath_config_static_selectorELNS0_4arch9wavefront6targetE1EEEvSJ_.num_named_barrier, 0
	.set _ZN7rocprim17ROCPRIM_400000_NS6detail17trampoline_kernelINS0_14default_configENS1_38merge_sort_block_merge_config_selectorIssEEZZNS1_27merge_sort_block_merge_implIS3_N6thrust23THRUST_200600_302600_NS6detail15normal_iteratorINS8_10device_ptrIsEEEESD_jNS1_19radix_merge_compareILb0ELb1EsNS0_19identity_decomposerEEEEE10hipError_tT0_T1_T2_jT3_P12ihipStream_tbPNSt15iterator_traitsISI_E10value_typeEPNSO_ISJ_E10value_typeEPSK_NS1_7vsmem_tEENKUlT_SI_SJ_SK_E_clISD_PsSD_S10_EESH_SX_SI_SJ_SK_EUlSX_E0_NS1_11comp_targetILNS1_3genE10ELNS1_11target_archE1201ELNS1_3gpuE5ELNS1_3repE0EEENS1_38merge_mergepath_config_static_selectorELNS0_4arch9wavefront6targetE1EEEvSJ_.private_seg_size, 0
	.set _ZN7rocprim17ROCPRIM_400000_NS6detail17trampoline_kernelINS0_14default_configENS1_38merge_sort_block_merge_config_selectorIssEEZZNS1_27merge_sort_block_merge_implIS3_N6thrust23THRUST_200600_302600_NS6detail15normal_iteratorINS8_10device_ptrIsEEEESD_jNS1_19radix_merge_compareILb0ELb1EsNS0_19identity_decomposerEEEEE10hipError_tT0_T1_T2_jT3_P12ihipStream_tbPNSt15iterator_traitsISI_E10value_typeEPNSO_ISJ_E10value_typeEPSK_NS1_7vsmem_tEENKUlT_SI_SJ_SK_E_clISD_PsSD_S10_EESH_SX_SI_SJ_SK_EUlSX_E0_NS1_11comp_targetILNS1_3genE10ELNS1_11target_archE1201ELNS1_3gpuE5ELNS1_3repE0EEENS1_38merge_mergepath_config_static_selectorELNS0_4arch9wavefront6targetE1EEEvSJ_.uses_vcc, 0
	.set _ZN7rocprim17ROCPRIM_400000_NS6detail17trampoline_kernelINS0_14default_configENS1_38merge_sort_block_merge_config_selectorIssEEZZNS1_27merge_sort_block_merge_implIS3_N6thrust23THRUST_200600_302600_NS6detail15normal_iteratorINS8_10device_ptrIsEEEESD_jNS1_19radix_merge_compareILb0ELb1EsNS0_19identity_decomposerEEEEE10hipError_tT0_T1_T2_jT3_P12ihipStream_tbPNSt15iterator_traitsISI_E10value_typeEPNSO_ISJ_E10value_typeEPSK_NS1_7vsmem_tEENKUlT_SI_SJ_SK_E_clISD_PsSD_S10_EESH_SX_SI_SJ_SK_EUlSX_E0_NS1_11comp_targetILNS1_3genE10ELNS1_11target_archE1201ELNS1_3gpuE5ELNS1_3repE0EEENS1_38merge_mergepath_config_static_selectorELNS0_4arch9wavefront6targetE1EEEvSJ_.uses_flat_scratch, 0
	.set _ZN7rocprim17ROCPRIM_400000_NS6detail17trampoline_kernelINS0_14default_configENS1_38merge_sort_block_merge_config_selectorIssEEZZNS1_27merge_sort_block_merge_implIS3_N6thrust23THRUST_200600_302600_NS6detail15normal_iteratorINS8_10device_ptrIsEEEESD_jNS1_19radix_merge_compareILb0ELb1EsNS0_19identity_decomposerEEEEE10hipError_tT0_T1_T2_jT3_P12ihipStream_tbPNSt15iterator_traitsISI_E10value_typeEPNSO_ISJ_E10value_typeEPSK_NS1_7vsmem_tEENKUlT_SI_SJ_SK_E_clISD_PsSD_S10_EESH_SX_SI_SJ_SK_EUlSX_E0_NS1_11comp_targetILNS1_3genE10ELNS1_11target_archE1201ELNS1_3gpuE5ELNS1_3repE0EEENS1_38merge_mergepath_config_static_selectorELNS0_4arch9wavefront6targetE1EEEvSJ_.has_dyn_sized_stack, 0
	.set _ZN7rocprim17ROCPRIM_400000_NS6detail17trampoline_kernelINS0_14default_configENS1_38merge_sort_block_merge_config_selectorIssEEZZNS1_27merge_sort_block_merge_implIS3_N6thrust23THRUST_200600_302600_NS6detail15normal_iteratorINS8_10device_ptrIsEEEESD_jNS1_19radix_merge_compareILb0ELb1EsNS0_19identity_decomposerEEEEE10hipError_tT0_T1_T2_jT3_P12ihipStream_tbPNSt15iterator_traitsISI_E10value_typeEPNSO_ISJ_E10value_typeEPSK_NS1_7vsmem_tEENKUlT_SI_SJ_SK_E_clISD_PsSD_S10_EESH_SX_SI_SJ_SK_EUlSX_E0_NS1_11comp_targetILNS1_3genE10ELNS1_11target_archE1201ELNS1_3gpuE5ELNS1_3repE0EEENS1_38merge_mergepath_config_static_selectorELNS0_4arch9wavefront6targetE1EEEvSJ_.has_recursion, 0
	.set _ZN7rocprim17ROCPRIM_400000_NS6detail17trampoline_kernelINS0_14default_configENS1_38merge_sort_block_merge_config_selectorIssEEZZNS1_27merge_sort_block_merge_implIS3_N6thrust23THRUST_200600_302600_NS6detail15normal_iteratorINS8_10device_ptrIsEEEESD_jNS1_19radix_merge_compareILb0ELb1EsNS0_19identity_decomposerEEEEE10hipError_tT0_T1_T2_jT3_P12ihipStream_tbPNSt15iterator_traitsISI_E10value_typeEPNSO_ISJ_E10value_typeEPSK_NS1_7vsmem_tEENKUlT_SI_SJ_SK_E_clISD_PsSD_S10_EESH_SX_SI_SJ_SK_EUlSX_E0_NS1_11comp_targetILNS1_3genE10ELNS1_11target_archE1201ELNS1_3gpuE5ELNS1_3repE0EEENS1_38merge_mergepath_config_static_selectorELNS0_4arch9wavefront6targetE1EEEvSJ_.has_indirect_call, 0
	.section	.AMDGPU.csdata,"",@progbits
; Kernel info:
; codeLenInByte = 0
; TotalNumSgprs: 6
; NumVgprs: 0
; NumAgprs: 0
; TotalNumVgprs: 0
; ScratchSize: 0
; MemoryBound: 0
; FloatMode: 240
; IeeeMode: 1
; LDSByteSize: 0 bytes/workgroup (compile time only)
; SGPRBlocks: 0
; VGPRBlocks: 0
; NumSGPRsForWavesPerEU: 6
; NumVGPRsForWavesPerEU: 1
; AccumOffset: 4
; Occupancy: 8
; WaveLimiterHint : 0
; COMPUTE_PGM_RSRC2:SCRATCH_EN: 0
; COMPUTE_PGM_RSRC2:USER_SGPR: 2
; COMPUTE_PGM_RSRC2:TRAP_HANDLER: 0
; COMPUTE_PGM_RSRC2:TGID_X_EN: 1
; COMPUTE_PGM_RSRC2:TGID_Y_EN: 0
; COMPUTE_PGM_RSRC2:TGID_Z_EN: 0
; COMPUTE_PGM_RSRC2:TIDIG_COMP_CNT: 0
; COMPUTE_PGM_RSRC3_GFX90A:ACCUM_OFFSET: 0
; COMPUTE_PGM_RSRC3_GFX90A:TG_SPLIT: 0
	.section	.text._ZN7rocprim17ROCPRIM_400000_NS6detail17trampoline_kernelINS0_14default_configENS1_38merge_sort_block_merge_config_selectorIssEEZZNS1_27merge_sort_block_merge_implIS3_N6thrust23THRUST_200600_302600_NS6detail15normal_iteratorINS8_10device_ptrIsEEEESD_jNS1_19radix_merge_compareILb0ELb1EsNS0_19identity_decomposerEEEEE10hipError_tT0_T1_T2_jT3_P12ihipStream_tbPNSt15iterator_traitsISI_E10value_typeEPNSO_ISJ_E10value_typeEPSK_NS1_7vsmem_tEENKUlT_SI_SJ_SK_E_clISD_PsSD_S10_EESH_SX_SI_SJ_SK_EUlSX_E0_NS1_11comp_targetILNS1_3genE5ELNS1_11target_archE942ELNS1_3gpuE9ELNS1_3repE0EEENS1_38merge_mergepath_config_static_selectorELNS0_4arch9wavefront6targetE1EEEvSJ_,"axG",@progbits,_ZN7rocprim17ROCPRIM_400000_NS6detail17trampoline_kernelINS0_14default_configENS1_38merge_sort_block_merge_config_selectorIssEEZZNS1_27merge_sort_block_merge_implIS3_N6thrust23THRUST_200600_302600_NS6detail15normal_iteratorINS8_10device_ptrIsEEEESD_jNS1_19radix_merge_compareILb0ELb1EsNS0_19identity_decomposerEEEEE10hipError_tT0_T1_T2_jT3_P12ihipStream_tbPNSt15iterator_traitsISI_E10value_typeEPNSO_ISJ_E10value_typeEPSK_NS1_7vsmem_tEENKUlT_SI_SJ_SK_E_clISD_PsSD_S10_EESH_SX_SI_SJ_SK_EUlSX_E0_NS1_11comp_targetILNS1_3genE5ELNS1_11target_archE942ELNS1_3gpuE9ELNS1_3repE0EEENS1_38merge_mergepath_config_static_selectorELNS0_4arch9wavefront6targetE1EEEvSJ_,comdat
	.protected	_ZN7rocprim17ROCPRIM_400000_NS6detail17trampoline_kernelINS0_14default_configENS1_38merge_sort_block_merge_config_selectorIssEEZZNS1_27merge_sort_block_merge_implIS3_N6thrust23THRUST_200600_302600_NS6detail15normal_iteratorINS8_10device_ptrIsEEEESD_jNS1_19radix_merge_compareILb0ELb1EsNS0_19identity_decomposerEEEEE10hipError_tT0_T1_T2_jT3_P12ihipStream_tbPNSt15iterator_traitsISI_E10value_typeEPNSO_ISJ_E10value_typeEPSK_NS1_7vsmem_tEENKUlT_SI_SJ_SK_E_clISD_PsSD_S10_EESH_SX_SI_SJ_SK_EUlSX_E0_NS1_11comp_targetILNS1_3genE5ELNS1_11target_archE942ELNS1_3gpuE9ELNS1_3repE0EEENS1_38merge_mergepath_config_static_selectorELNS0_4arch9wavefront6targetE1EEEvSJ_ ; -- Begin function _ZN7rocprim17ROCPRIM_400000_NS6detail17trampoline_kernelINS0_14default_configENS1_38merge_sort_block_merge_config_selectorIssEEZZNS1_27merge_sort_block_merge_implIS3_N6thrust23THRUST_200600_302600_NS6detail15normal_iteratorINS8_10device_ptrIsEEEESD_jNS1_19radix_merge_compareILb0ELb1EsNS0_19identity_decomposerEEEEE10hipError_tT0_T1_T2_jT3_P12ihipStream_tbPNSt15iterator_traitsISI_E10value_typeEPNSO_ISJ_E10value_typeEPSK_NS1_7vsmem_tEENKUlT_SI_SJ_SK_E_clISD_PsSD_S10_EESH_SX_SI_SJ_SK_EUlSX_E0_NS1_11comp_targetILNS1_3genE5ELNS1_11target_archE942ELNS1_3gpuE9ELNS1_3repE0EEENS1_38merge_mergepath_config_static_selectorELNS0_4arch9wavefront6targetE1EEEvSJ_
	.globl	_ZN7rocprim17ROCPRIM_400000_NS6detail17trampoline_kernelINS0_14default_configENS1_38merge_sort_block_merge_config_selectorIssEEZZNS1_27merge_sort_block_merge_implIS3_N6thrust23THRUST_200600_302600_NS6detail15normal_iteratorINS8_10device_ptrIsEEEESD_jNS1_19radix_merge_compareILb0ELb1EsNS0_19identity_decomposerEEEEE10hipError_tT0_T1_T2_jT3_P12ihipStream_tbPNSt15iterator_traitsISI_E10value_typeEPNSO_ISJ_E10value_typeEPSK_NS1_7vsmem_tEENKUlT_SI_SJ_SK_E_clISD_PsSD_S10_EESH_SX_SI_SJ_SK_EUlSX_E0_NS1_11comp_targetILNS1_3genE5ELNS1_11target_archE942ELNS1_3gpuE9ELNS1_3repE0EEENS1_38merge_mergepath_config_static_selectorELNS0_4arch9wavefront6targetE1EEEvSJ_
	.p2align	8
	.type	_ZN7rocprim17ROCPRIM_400000_NS6detail17trampoline_kernelINS0_14default_configENS1_38merge_sort_block_merge_config_selectorIssEEZZNS1_27merge_sort_block_merge_implIS3_N6thrust23THRUST_200600_302600_NS6detail15normal_iteratorINS8_10device_ptrIsEEEESD_jNS1_19radix_merge_compareILb0ELb1EsNS0_19identity_decomposerEEEEE10hipError_tT0_T1_T2_jT3_P12ihipStream_tbPNSt15iterator_traitsISI_E10value_typeEPNSO_ISJ_E10value_typeEPSK_NS1_7vsmem_tEENKUlT_SI_SJ_SK_E_clISD_PsSD_S10_EESH_SX_SI_SJ_SK_EUlSX_E0_NS1_11comp_targetILNS1_3genE5ELNS1_11target_archE942ELNS1_3gpuE9ELNS1_3repE0EEENS1_38merge_mergepath_config_static_selectorELNS0_4arch9wavefront6targetE1EEEvSJ_,@function
_ZN7rocprim17ROCPRIM_400000_NS6detail17trampoline_kernelINS0_14default_configENS1_38merge_sort_block_merge_config_selectorIssEEZZNS1_27merge_sort_block_merge_implIS3_N6thrust23THRUST_200600_302600_NS6detail15normal_iteratorINS8_10device_ptrIsEEEESD_jNS1_19radix_merge_compareILb0ELb1EsNS0_19identity_decomposerEEEEE10hipError_tT0_T1_T2_jT3_P12ihipStream_tbPNSt15iterator_traitsISI_E10value_typeEPNSO_ISJ_E10value_typeEPSK_NS1_7vsmem_tEENKUlT_SI_SJ_SK_E_clISD_PsSD_S10_EESH_SX_SI_SJ_SK_EUlSX_E0_NS1_11comp_targetILNS1_3genE5ELNS1_11target_archE942ELNS1_3gpuE9ELNS1_3repE0EEENS1_38merge_mergepath_config_static_selectorELNS0_4arch9wavefront6targetE1EEEvSJ_: ; @_ZN7rocprim17ROCPRIM_400000_NS6detail17trampoline_kernelINS0_14default_configENS1_38merge_sort_block_merge_config_selectorIssEEZZNS1_27merge_sort_block_merge_implIS3_N6thrust23THRUST_200600_302600_NS6detail15normal_iteratorINS8_10device_ptrIsEEEESD_jNS1_19radix_merge_compareILb0ELb1EsNS0_19identity_decomposerEEEEE10hipError_tT0_T1_T2_jT3_P12ihipStream_tbPNSt15iterator_traitsISI_E10value_typeEPNSO_ISJ_E10value_typeEPSK_NS1_7vsmem_tEENKUlT_SI_SJ_SK_E_clISD_PsSD_S10_EESH_SX_SI_SJ_SK_EUlSX_E0_NS1_11comp_targetILNS1_3genE5ELNS1_11target_archE942ELNS1_3gpuE9ELNS1_3repE0EEENS1_38merge_mergepath_config_static_selectorELNS0_4arch9wavefront6targetE1EEEvSJ_
; %bb.0:
	.section	.rodata,"a",@progbits
	.p2align	6, 0x0
	.amdhsa_kernel _ZN7rocprim17ROCPRIM_400000_NS6detail17trampoline_kernelINS0_14default_configENS1_38merge_sort_block_merge_config_selectorIssEEZZNS1_27merge_sort_block_merge_implIS3_N6thrust23THRUST_200600_302600_NS6detail15normal_iteratorINS8_10device_ptrIsEEEESD_jNS1_19radix_merge_compareILb0ELb1EsNS0_19identity_decomposerEEEEE10hipError_tT0_T1_T2_jT3_P12ihipStream_tbPNSt15iterator_traitsISI_E10value_typeEPNSO_ISJ_E10value_typeEPSK_NS1_7vsmem_tEENKUlT_SI_SJ_SK_E_clISD_PsSD_S10_EESH_SX_SI_SJ_SK_EUlSX_E0_NS1_11comp_targetILNS1_3genE5ELNS1_11target_archE942ELNS1_3gpuE9ELNS1_3repE0EEENS1_38merge_mergepath_config_static_selectorELNS0_4arch9wavefront6targetE1EEEvSJ_
		.amdhsa_group_segment_fixed_size 0
		.amdhsa_private_segment_fixed_size 0
		.amdhsa_kernarg_size 64
		.amdhsa_user_sgpr_count 2
		.amdhsa_user_sgpr_dispatch_ptr 0
		.amdhsa_user_sgpr_queue_ptr 0
		.amdhsa_user_sgpr_kernarg_segment_ptr 1
		.amdhsa_user_sgpr_dispatch_id 0
		.amdhsa_user_sgpr_kernarg_preload_length 0
		.amdhsa_user_sgpr_kernarg_preload_offset 0
		.amdhsa_user_sgpr_private_segment_size 0
		.amdhsa_uses_dynamic_stack 0
		.amdhsa_enable_private_segment 0
		.amdhsa_system_sgpr_workgroup_id_x 1
		.amdhsa_system_sgpr_workgroup_id_y 0
		.amdhsa_system_sgpr_workgroup_id_z 0
		.amdhsa_system_sgpr_workgroup_info 0
		.amdhsa_system_vgpr_workitem_id 0
		.amdhsa_next_free_vgpr 1
		.amdhsa_next_free_sgpr 0
		.amdhsa_accum_offset 4
		.amdhsa_reserve_vcc 0
		.amdhsa_float_round_mode_32 0
		.amdhsa_float_round_mode_16_64 0
		.amdhsa_float_denorm_mode_32 3
		.amdhsa_float_denorm_mode_16_64 3
		.amdhsa_dx10_clamp 1
		.amdhsa_ieee_mode 1
		.amdhsa_fp16_overflow 0
		.amdhsa_tg_split 0
		.amdhsa_exception_fp_ieee_invalid_op 0
		.amdhsa_exception_fp_denorm_src 0
		.amdhsa_exception_fp_ieee_div_zero 0
		.amdhsa_exception_fp_ieee_overflow 0
		.amdhsa_exception_fp_ieee_underflow 0
		.amdhsa_exception_fp_ieee_inexact 0
		.amdhsa_exception_int_div_zero 0
	.end_amdhsa_kernel
	.section	.text._ZN7rocprim17ROCPRIM_400000_NS6detail17trampoline_kernelINS0_14default_configENS1_38merge_sort_block_merge_config_selectorIssEEZZNS1_27merge_sort_block_merge_implIS3_N6thrust23THRUST_200600_302600_NS6detail15normal_iteratorINS8_10device_ptrIsEEEESD_jNS1_19radix_merge_compareILb0ELb1EsNS0_19identity_decomposerEEEEE10hipError_tT0_T1_T2_jT3_P12ihipStream_tbPNSt15iterator_traitsISI_E10value_typeEPNSO_ISJ_E10value_typeEPSK_NS1_7vsmem_tEENKUlT_SI_SJ_SK_E_clISD_PsSD_S10_EESH_SX_SI_SJ_SK_EUlSX_E0_NS1_11comp_targetILNS1_3genE5ELNS1_11target_archE942ELNS1_3gpuE9ELNS1_3repE0EEENS1_38merge_mergepath_config_static_selectorELNS0_4arch9wavefront6targetE1EEEvSJ_,"axG",@progbits,_ZN7rocprim17ROCPRIM_400000_NS6detail17trampoline_kernelINS0_14default_configENS1_38merge_sort_block_merge_config_selectorIssEEZZNS1_27merge_sort_block_merge_implIS3_N6thrust23THRUST_200600_302600_NS6detail15normal_iteratorINS8_10device_ptrIsEEEESD_jNS1_19radix_merge_compareILb0ELb1EsNS0_19identity_decomposerEEEEE10hipError_tT0_T1_T2_jT3_P12ihipStream_tbPNSt15iterator_traitsISI_E10value_typeEPNSO_ISJ_E10value_typeEPSK_NS1_7vsmem_tEENKUlT_SI_SJ_SK_E_clISD_PsSD_S10_EESH_SX_SI_SJ_SK_EUlSX_E0_NS1_11comp_targetILNS1_3genE5ELNS1_11target_archE942ELNS1_3gpuE9ELNS1_3repE0EEENS1_38merge_mergepath_config_static_selectorELNS0_4arch9wavefront6targetE1EEEvSJ_,comdat
.Lfunc_end1601:
	.size	_ZN7rocprim17ROCPRIM_400000_NS6detail17trampoline_kernelINS0_14default_configENS1_38merge_sort_block_merge_config_selectorIssEEZZNS1_27merge_sort_block_merge_implIS3_N6thrust23THRUST_200600_302600_NS6detail15normal_iteratorINS8_10device_ptrIsEEEESD_jNS1_19radix_merge_compareILb0ELb1EsNS0_19identity_decomposerEEEEE10hipError_tT0_T1_T2_jT3_P12ihipStream_tbPNSt15iterator_traitsISI_E10value_typeEPNSO_ISJ_E10value_typeEPSK_NS1_7vsmem_tEENKUlT_SI_SJ_SK_E_clISD_PsSD_S10_EESH_SX_SI_SJ_SK_EUlSX_E0_NS1_11comp_targetILNS1_3genE5ELNS1_11target_archE942ELNS1_3gpuE9ELNS1_3repE0EEENS1_38merge_mergepath_config_static_selectorELNS0_4arch9wavefront6targetE1EEEvSJ_, .Lfunc_end1601-_ZN7rocprim17ROCPRIM_400000_NS6detail17trampoline_kernelINS0_14default_configENS1_38merge_sort_block_merge_config_selectorIssEEZZNS1_27merge_sort_block_merge_implIS3_N6thrust23THRUST_200600_302600_NS6detail15normal_iteratorINS8_10device_ptrIsEEEESD_jNS1_19radix_merge_compareILb0ELb1EsNS0_19identity_decomposerEEEEE10hipError_tT0_T1_T2_jT3_P12ihipStream_tbPNSt15iterator_traitsISI_E10value_typeEPNSO_ISJ_E10value_typeEPSK_NS1_7vsmem_tEENKUlT_SI_SJ_SK_E_clISD_PsSD_S10_EESH_SX_SI_SJ_SK_EUlSX_E0_NS1_11comp_targetILNS1_3genE5ELNS1_11target_archE942ELNS1_3gpuE9ELNS1_3repE0EEENS1_38merge_mergepath_config_static_selectorELNS0_4arch9wavefront6targetE1EEEvSJ_
                                        ; -- End function
	.set _ZN7rocprim17ROCPRIM_400000_NS6detail17trampoline_kernelINS0_14default_configENS1_38merge_sort_block_merge_config_selectorIssEEZZNS1_27merge_sort_block_merge_implIS3_N6thrust23THRUST_200600_302600_NS6detail15normal_iteratorINS8_10device_ptrIsEEEESD_jNS1_19radix_merge_compareILb0ELb1EsNS0_19identity_decomposerEEEEE10hipError_tT0_T1_T2_jT3_P12ihipStream_tbPNSt15iterator_traitsISI_E10value_typeEPNSO_ISJ_E10value_typeEPSK_NS1_7vsmem_tEENKUlT_SI_SJ_SK_E_clISD_PsSD_S10_EESH_SX_SI_SJ_SK_EUlSX_E0_NS1_11comp_targetILNS1_3genE5ELNS1_11target_archE942ELNS1_3gpuE9ELNS1_3repE0EEENS1_38merge_mergepath_config_static_selectorELNS0_4arch9wavefront6targetE1EEEvSJ_.num_vgpr, 0
	.set _ZN7rocprim17ROCPRIM_400000_NS6detail17trampoline_kernelINS0_14default_configENS1_38merge_sort_block_merge_config_selectorIssEEZZNS1_27merge_sort_block_merge_implIS3_N6thrust23THRUST_200600_302600_NS6detail15normal_iteratorINS8_10device_ptrIsEEEESD_jNS1_19radix_merge_compareILb0ELb1EsNS0_19identity_decomposerEEEEE10hipError_tT0_T1_T2_jT3_P12ihipStream_tbPNSt15iterator_traitsISI_E10value_typeEPNSO_ISJ_E10value_typeEPSK_NS1_7vsmem_tEENKUlT_SI_SJ_SK_E_clISD_PsSD_S10_EESH_SX_SI_SJ_SK_EUlSX_E0_NS1_11comp_targetILNS1_3genE5ELNS1_11target_archE942ELNS1_3gpuE9ELNS1_3repE0EEENS1_38merge_mergepath_config_static_selectorELNS0_4arch9wavefront6targetE1EEEvSJ_.num_agpr, 0
	.set _ZN7rocprim17ROCPRIM_400000_NS6detail17trampoline_kernelINS0_14default_configENS1_38merge_sort_block_merge_config_selectorIssEEZZNS1_27merge_sort_block_merge_implIS3_N6thrust23THRUST_200600_302600_NS6detail15normal_iteratorINS8_10device_ptrIsEEEESD_jNS1_19radix_merge_compareILb0ELb1EsNS0_19identity_decomposerEEEEE10hipError_tT0_T1_T2_jT3_P12ihipStream_tbPNSt15iterator_traitsISI_E10value_typeEPNSO_ISJ_E10value_typeEPSK_NS1_7vsmem_tEENKUlT_SI_SJ_SK_E_clISD_PsSD_S10_EESH_SX_SI_SJ_SK_EUlSX_E0_NS1_11comp_targetILNS1_3genE5ELNS1_11target_archE942ELNS1_3gpuE9ELNS1_3repE0EEENS1_38merge_mergepath_config_static_selectorELNS0_4arch9wavefront6targetE1EEEvSJ_.numbered_sgpr, 0
	.set _ZN7rocprim17ROCPRIM_400000_NS6detail17trampoline_kernelINS0_14default_configENS1_38merge_sort_block_merge_config_selectorIssEEZZNS1_27merge_sort_block_merge_implIS3_N6thrust23THRUST_200600_302600_NS6detail15normal_iteratorINS8_10device_ptrIsEEEESD_jNS1_19radix_merge_compareILb0ELb1EsNS0_19identity_decomposerEEEEE10hipError_tT0_T1_T2_jT3_P12ihipStream_tbPNSt15iterator_traitsISI_E10value_typeEPNSO_ISJ_E10value_typeEPSK_NS1_7vsmem_tEENKUlT_SI_SJ_SK_E_clISD_PsSD_S10_EESH_SX_SI_SJ_SK_EUlSX_E0_NS1_11comp_targetILNS1_3genE5ELNS1_11target_archE942ELNS1_3gpuE9ELNS1_3repE0EEENS1_38merge_mergepath_config_static_selectorELNS0_4arch9wavefront6targetE1EEEvSJ_.num_named_barrier, 0
	.set _ZN7rocprim17ROCPRIM_400000_NS6detail17trampoline_kernelINS0_14default_configENS1_38merge_sort_block_merge_config_selectorIssEEZZNS1_27merge_sort_block_merge_implIS3_N6thrust23THRUST_200600_302600_NS6detail15normal_iteratorINS8_10device_ptrIsEEEESD_jNS1_19radix_merge_compareILb0ELb1EsNS0_19identity_decomposerEEEEE10hipError_tT0_T1_T2_jT3_P12ihipStream_tbPNSt15iterator_traitsISI_E10value_typeEPNSO_ISJ_E10value_typeEPSK_NS1_7vsmem_tEENKUlT_SI_SJ_SK_E_clISD_PsSD_S10_EESH_SX_SI_SJ_SK_EUlSX_E0_NS1_11comp_targetILNS1_3genE5ELNS1_11target_archE942ELNS1_3gpuE9ELNS1_3repE0EEENS1_38merge_mergepath_config_static_selectorELNS0_4arch9wavefront6targetE1EEEvSJ_.private_seg_size, 0
	.set _ZN7rocprim17ROCPRIM_400000_NS6detail17trampoline_kernelINS0_14default_configENS1_38merge_sort_block_merge_config_selectorIssEEZZNS1_27merge_sort_block_merge_implIS3_N6thrust23THRUST_200600_302600_NS6detail15normal_iteratorINS8_10device_ptrIsEEEESD_jNS1_19radix_merge_compareILb0ELb1EsNS0_19identity_decomposerEEEEE10hipError_tT0_T1_T2_jT3_P12ihipStream_tbPNSt15iterator_traitsISI_E10value_typeEPNSO_ISJ_E10value_typeEPSK_NS1_7vsmem_tEENKUlT_SI_SJ_SK_E_clISD_PsSD_S10_EESH_SX_SI_SJ_SK_EUlSX_E0_NS1_11comp_targetILNS1_3genE5ELNS1_11target_archE942ELNS1_3gpuE9ELNS1_3repE0EEENS1_38merge_mergepath_config_static_selectorELNS0_4arch9wavefront6targetE1EEEvSJ_.uses_vcc, 0
	.set _ZN7rocprim17ROCPRIM_400000_NS6detail17trampoline_kernelINS0_14default_configENS1_38merge_sort_block_merge_config_selectorIssEEZZNS1_27merge_sort_block_merge_implIS3_N6thrust23THRUST_200600_302600_NS6detail15normal_iteratorINS8_10device_ptrIsEEEESD_jNS1_19radix_merge_compareILb0ELb1EsNS0_19identity_decomposerEEEEE10hipError_tT0_T1_T2_jT3_P12ihipStream_tbPNSt15iterator_traitsISI_E10value_typeEPNSO_ISJ_E10value_typeEPSK_NS1_7vsmem_tEENKUlT_SI_SJ_SK_E_clISD_PsSD_S10_EESH_SX_SI_SJ_SK_EUlSX_E0_NS1_11comp_targetILNS1_3genE5ELNS1_11target_archE942ELNS1_3gpuE9ELNS1_3repE0EEENS1_38merge_mergepath_config_static_selectorELNS0_4arch9wavefront6targetE1EEEvSJ_.uses_flat_scratch, 0
	.set _ZN7rocprim17ROCPRIM_400000_NS6detail17trampoline_kernelINS0_14default_configENS1_38merge_sort_block_merge_config_selectorIssEEZZNS1_27merge_sort_block_merge_implIS3_N6thrust23THRUST_200600_302600_NS6detail15normal_iteratorINS8_10device_ptrIsEEEESD_jNS1_19radix_merge_compareILb0ELb1EsNS0_19identity_decomposerEEEEE10hipError_tT0_T1_T2_jT3_P12ihipStream_tbPNSt15iterator_traitsISI_E10value_typeEPNSO_ISJ_E10value_typeEPSK_NS1_7vsmem_tEENKUlT_SI_SJ_SK_E_clISD_PsSD_S10_EESH_SX_SI_SJ_SK_EUlSX_E0_NS1_11comp_targetILNS1_3genE5ELNS1_11target_archE942ELNS1_3gpuE9ELNS1_3repE0EEENS1_38merge_mergepath_config_static_selectorELNS0_4arch9wavefront6targetE1EEEvSJ_.has_dyn_sized_stack, 0
	.set _ZN7rocprim17ROCPRIM_400000_NS6detail17trampoline_kernelINS0_14default_configENS1_38merge_sort_block_merge_config_selectorIssEEZZNS1_27merge_sort_block_merge_implIS3_N6thrust23THRUST_200600_302600_NS6detail15normal_iteratorINS8_10device_ptrIsEEEESD_jNS1_19radix_merge_compareILb0ELb1EsNS0_19identity_decomposerEEEEE10hipError_tT0_T1_T2_jT3_P12ihipStream_tbPNSt15iterator_traitsISI_E10value_typeEPNSO_ISJ_E10value_typeEPSK_NS1_7vsmem_tEENKUlT_SI_SJ_SK_E_clISD_PsSD_S10_EESH_SX_SI_SJ_SK_EUlSX_E0_NS1_11comp_targetILNS1_3genE5ELNS1_11target_archE942ELNS1_3gpuE9ELNS1_3repE0EEENS1_38merge_mergepath_config_static_selectorELNS0_4arch9wavefront6targetE1EEEvSJ_.has_recursion, 0
	.set _ZN7rocprim17ROCPRIM_400000_NS6detail17trampoline_kernelINS0_14default_configENS1_38merge_sort_block_merge_config_selectorIssEEZZNS1_27merge_sort_block_merge_implIS3_N6thrust23THRUST_200600_302600_NS6detail15normal_iteratorINS8_10device_ptrIsEEEESD_jNS1_19radix_merge_compareILb0ELb1EsNS0_19identity_decomposerEEEEE10hipError_tT0_T1_T2_jT3_P12ihipStream_tbPNSt15iterator_traitsISI_E10value_typeEPNSO_ISJ_E10value_typeEPSK_NS1_7vsmem_tEENKUlT_SI_SJ_SK_E_clISD_PsSD_S10_EESH_SX_SI_SJ_SK_EUlSX_E0_NS1_11comp_targetILNS1_3genE5ELNS1_11target_archE942ELNS1_3gpuE9ELNS1_3repE0EEENS1_38merge_mergepath_config_static_selectorELNS0_4arch9wavefront6targetE1EEEvSJ_.has_indirect_call, 0
	.section	.AMDGPU.csdata,"",@progbits
; Kernel info:
; codeLenInByte = 0
; TotalNumSgprs: 6
; NumVgprs: 0
; NumAgprs: 0
; TotalNumVgprs: 0
; ScratchSize: 0
; MemoryBound: 0
; FloatMode: 240
; IeeeMode: 1
; LDSByteSize: 0 bytes/workgroup (compile time only)
; SGPRBlocks: 0
; VGPRBlocks: 0
; NumSGPRsForWavesPerEU: 6
; NumVGPRsForWavesPerEU: 1
; AccumOffset: 4
; Occupancy: 8
; WaveLimiterHint : 0
; COMPUTE_PGM_RSRC2:SCRATCH_EN: 0
; COMPUTE_PGM_RSRC2:USER_SGPR: 2
; COMPUTE_PGM_RSRC2:TRAP_HANDLER: 0
; COMPUTE_PGM_RSRC2:TGID_X_EN: 1
; COMPUTE_PGM_RSRC2:TGID_Y_EN: 0
; COMPUTE_PGM_RSRC2:TGID_Z_EN: 0
; COMPUTE_PGM_RSRC2:TIDIG_COMP_CNT: 0
; COMPUTE_PGM_RSRC3_GFX90A:ACCUM_OFFSET: 0
; COMPUTE_PGM_RSRC3_GFX90A:TG_SPLIT: 0
	.section	.text._ZN7rocprim17ROCPRIM_400000_NS6detail17trampoline_kernelINS0_14default_configENS1_38merge_sort_block_merge_config_selectorIssEEZZNS1_27merge_sort_block_merge_implIS3_N6thrust23THRUST_200600_302600_NS6detail15normal_iteratorINS8_10device_ptrIsEEEESD_jNS1_19radix_merge_compareILb0ELb1EsNS0_19identity_decomposerEEEEE10hipError_tT0_T1_T2_jT3_P12ihipStream_tbPNSt15iterator_traitsISI_E10value_typeEPNSO_ISJ_E10value_typeEPSK_NS1_7vsmem_tEENKUlT_SI_SJ_SK_E_clISD_PsSD_S10_EESH_SX_SI_SJ_SK_EUlSX_E0_NS1_11comp_targetILNS1_3genE4ELNS1_11target_archE910ELNS1_3gpuE8ELNS1_3repE0EEENS1_38merge_mergepath_config_static_selectorELNS0_4arch9wavefront6targetE1EEEvSJ_,"axG",@progbits,_ZN7rocprim17ROCPRIM_400000_NS6detail17trampoline_kernelINS0_14default_configENS1_38merge_sort_block_merge_config_selectorIssEEZZNS1_27merge_sort_block_merge_implIS3_N6thrust23THRUST_200600_302600_NS6detail15normal_iteratorINS8_10device_ptrIsEEEESD_jNS1_19radix_merge_compareILb0ELb1EsNS0_19identity_decomposerEEEEE10hipError_tT0_T1_T2_jT3_P12ihipStream_tbPNSt15iterator_traitsISI_E10value_typeEPNSO_ISJ_E10value_typeEPSK_NS1_7vsmem_tEENKUlT_SI_SJ_SK_E_clISD_PsSD_S10_EESH_SX_SI_SJ_SK_EUlSX_E0_NS1_11comp_targetILNS1_3genE4ELNS1_11target_archE910ELNS1_3gpuE8ELNS1_3repE0EEENS1_38merge_mergepath_config_static_selectorELNS0_4arch9wavefront6targetE1EEEvSJ_,comdat
	.protected	_ZN7rocprim17ROCPRIM_400000_NS6detail17trampoline_kernelINS0_14default_configENS1_38merge_sort_block_merge_config_selectorIssEEZZNS1_27merge_sort_block_merge_implIS3_N6thrust23THRUST_200600_302600_NS6detail15normal_iteratorINS8_10device_ptrIsEEEESD_jNS1_19radix_merge_compareILb0ELb1EsNS0_19identity_decomposerEEEEE10hipError_tT0_T1_T2_jT3_P12ihipStream_tbPNSt15iterator_traitsISI_E10value_typeEPNSO_ISJ_E10value_typeEPSK_NS1_7vsmem_tEENKUlT_SI_SJ_SK_E_clISD_PsSD_S10_EESH_SX_SI_SJ_SK_EUlSX_E0_NS1_11comp_targetILNS1_3genE4ELNS1_11target_archE910ELNS1_3gpuE8ELNS1_3repE0EEENS1_38merge_mergepath_config_static_selectorELNS0_4arch9wavefront6targetE1EEEvSJ_ ; -- Begin function _ZN7rocprim17ROCPRIM_400000_NS6detail17trampoline_kernelINS0_14default_configENS1_38merge_sort_block_merge_config_selectorIssEEZZNS1_27merge_sort_block_merge_implIS3_N6thrust23THRUST_200600_302600_NS6detail15normal_iteratorINS8_10device_ptrIsEEEESD_jNS1_19radix_merge_compareILb0ELb1EsNS0_19identity_decomposerEEEEE10hipError_tT0_T1_T2_jT3_P12ihipStream_tbPNSt15iterator_traitsISI_E10value_typeEPNSO_ISJ_E10value_typeEPSK_NS1_7vsmem_tEENKUlT_SI_SJ_SK_E_clISD_PsSD_S10_EESH_SX_SI_SJ_SK_EUlSX_E0_NS1_11comp_targetILNS1_3genE4ELNS1_11target_archE910ELNS1_3gpuE8ELNS1_3repE0EEENS1_38merge_mergepath_config_static_selectorELNS0_4arch9wavefront6targetE1EEEvSJ_
	.globl	_ZN7rocprim17ROCPRIM_400000_NS6detail17trampoline_kernelINS0_14default_configENS1_38merge_sort_block_merge_config_selectorIssEEZZNS1_27merge_sort_block_merge_implIS3_N6thrust23THRUST_200600_302600_NS6detail15normal_iteratorINS8_10device_ptrIsEEEESD_jNS1_19radix_merge_compareILb0ELb1EsNS0_19identity_decomposerEEEEE10hipError_tT0_T1_T2_jT3_P12ihipStream_tbPNSt15iterator_traitsISI_E10value_typeEPNSO_ISJ_E10value_typeEPSK_NS1_7vsmem_tEENKUlT_SI_SJ_SK_E_clISD_PsSD_S10_EESH_SX_SI_SJ_SK_EUlSX_E0_NS1_11comp_targetILNS1_3genE4ELNS1_11target_archE910ELNS1_3gpuE8ELNS1_3repE0EEENS1_38merge_mergepath_config_static_selectorELNS0_4arch9wavefront6targetE1EEEvSJ_
	.p2align	8
	.type	_ZN7rocprim17ROCPRIM_400000_NS6detail17trampoline_kernelINS0_14default_configENS1_38merge_sort_block_merge_config_selectorIssEEZZNS1_27merge_sort_block_merge_implIS3_N6thrust23THRUST_200600_302600_NS6detail15normal_iteratorINS8_10device_ptrIsEEEESD_jNS1_19radix_merge_compareILb0ELb1EsNS0_19identity_decomposerEEEEE10hipError_tT0_T1_T2_jT3_P12ihipStream_tbPNSt15iterator_traitsISI_E10value_typeEPNSO_ISJ_E10value_typeEPSK_NS1_7vsmem_tEENKUlT_SI_SJ_SK_E_clISD_PsSD_S10_EESH_SX_SI_SJ_SK_EUlSX_E0_NS1_11comp_targetILNS1_3genE4ELNS1_11target_archE910ELNS1_3gpuE8ELNS1_3repE0EEENS1_38merge_mergepath_config_static_selectorELNS0_4arch9wavefront6targetE1EEEvSJ_,@function
_ZN7rocprim17ROCPRIM_400000_NS6detail17trampoline_kernelINS0_14default_configENS1_38merge_sort_block_merge_config_selectorIssEEZZNS1_27merge_sort_block_merge_implIS3_N6thrust23THRUST_200600_302600_NS6detail15normal_iteratorINS8_10device_ptrIsEEEESD_jNS1_19radix_merge_compareILb0ELb1EsNS0_19identity_decomposerEEEEE10hipError_tT0_T1_T2_jT3_P12ihipStream_tbPNSt15iterator_traitsISI_E10value_typeEPNSO_ISJ_E10value_typeEPSK_NS1_7vsmem_tEENKUlT_SI_SJ_SK_E_clISD_PsSD_S10_EESH_SX_SI_SJ_SK_EUlSX_E0_NS1_11comp_targetILNS1_3genE4ELNS1_11target_archE910ELNS1_3gpuE8ELNS1_3repE0EEENS1_38merge_mergepath_config_static_selectorELNS0_4arch9wavefront6targetE1EEEvSJ_: ; @_ZN7rocprim17ROCPRIM_400000_NS6detail17trampoline_kernelINS0_14default_configENS1_38merge_sort_block_merge_config_selectorIssEEZZNS1_27merge_sort_block_merge_implIS3_N6thrust23THRUST_200600_302600_NS6detail15normal_iteratorINS8_10device_ptrIsEEEESD_jNS1_19radix_merge_compareILb0ELb1EsNS0_19identity_decomposerEEEEE10hipError_tT0_T1_T2_jT3_P12ihipStream_tbPNSt15iterator_traitsISI_E10value_typeEPNSO_ISJ_E10value_typeEPSK_NS1_7vsmem_tEENKUlT_SI_SJ_SK_E_clISD_PsSD_S10_EESH_SX_SI_SJ_SK_EUlSX_E0_NS1_11comp_targetILNS1_3genE4ELNS1_11target_archE910ELNS1_3gpuE8ELNS1_3repE0EEENS1_38merge_mergepath_config_static_selectorELNS0_4arch9wavefront6targetE1EEEvSJ_
; %bb.0:
	.section	.rodata,"a",@progbits
	.p2align	6, 0x0
	.amdhsa_kernel _ZN7rocprim17ROCPRIM_400000_NS6detail17trampoline_kernelINS0_14default_configENS1_38merge_sort_block_merge_config_selectorIssEEZZNS1_27merge_sort_block_merge_implIS3_N6thrust23THRUST_200600_302600_NS6detail15normal_iteratorINS8_10device_ptrIsEEEESD_jNS1_19radix_merge_compareILb0ELb1EsNS0_19identity_decomposerEEEEE10hipError_tT0_T1_T2_jT3_P12ihipStream_tbPNSt15iterator_traitsISI_E10value_typeEPNSO_ISJ_E10value_typeEPSK_NS1_7vsmem_tEENKUlT_SI_SJ_SK_E_clISD_PsSD_S10_EESH_SX_SI_SJ_SK_EUlSX_E0_NS1_11comp_targetILNS1_3genE4ELNS1_11target_archE910ELNS1_3gpuE8ELNS1_3repE0EEENS1_38merge_mergepath_config_static_selectorELNS0_4arch9wavefront6targetE1EEEvSJ_
		.amdhsa_group_segment_fixed_size 0
		.amdhsa_private_segment_fixed_size 0
		.amdhsa_kernarg_size 64
		.amdhsa_user_sgpr_count 2
		.amdhsa_user_sgpr_dispatch_ptr 0
		.amdhsa_user_sgpr_queue_ptr 0
		.amdhsa_user_sgpr_kernarg_segment_ptr 1
		.amdhsa_user_sgpr_dispatch_id 0
		.amdhsa_user_sgpr_kernarg_preload_length 0
		.amdhsa_user_sgpr_kernarg_preload_offset 0
		.amdhsa_user_sgpr_private_segment_size 0
		.amdhsa_uses_dynamic_stack 0
		.amdhsa_enable_private_segment 0
		.amdhsa_system_sgpr_workgroup_id_x 1
		.amdhsa_system_sgpr_workgroup_id_y 0
		.amdhsa_system_sgpr_workgroup_id_z 0
		.amdhsa_system_sgpr_workgroup_info 0
		.amdhsa_system_vgpr_workitem_id 0
		.amdhsa_next_free_vgpr 1
		.amdhsa_next_free_sgpr 0
		.amdhsa_accum_offset 4
		.amdhsa_reserve_vcc 0
		.amdhsa_float_round_mode_32 0
		.amdhsa_float_round_mode_16_64 0
		.amdhsa_float_denorm_mode_32 3
		.amdhsa_float_denorm_mode_16_64 3
		.amdhsa_dx10_clamp 1
		.amdhsa_ieee_mode 1
		.amdhsa_fp16_overflow 0
		.amdhsa_tg_split 0
		.amdhsa_exception_fp_ieee_invalid_op 0
		.amdhsa_exception_fp_denorm_src 0
		.amdhsa_exception_fp_ieee_div_zero 0
		.amdhsa_exception_fp_ieee_overflow 0
		.amdhsa_exception_fp_ieee_underflow 0
		.amdhsa_exception_fp_ieee_inexact 0
		.amdhsa_exception_int_div_zero 0
	.end_amdhsa_kernel
	.section	.text._ZN7rocprim17ROCPRIM_400000_NS6detail17trampoline_kernelINS0_14default_configENS1_38merge_sort_block_merge_config_selectorIssEEZZNS1_27merge_sort_block_merge_implIS3_N6thrust23THRUST_200600_302600_NS6detail15normal_iteratorINS8_10device_ptrIsEEEESD_jNS1_19radix_merge_compareILb0ELb1EsNS0_19identity_decomposerEEEEE10hipError_tT0_T1_T2_jT3_P12ihipStream_tbPNSt15iterator_traitsISI_E10value_typeEPNSO_ISJ_E10value_typeEPSK_NS1_7vsmem_tEENKUlT_SI_SJ_SK_E_clISD_PsSD_S10_EESH_SX_SI_SJ_SK_EUlSX_E0_NS1_11comp_targetILNS1_3genE4ELNS1_11target_archE910ELNS1_3gpuE8ELNS1_3repE0EEENS1_38merge_mergepath_config_static_selectorELNS0_4arch9wavefront6targetE1EEEvSJ_,"axG",@progbits,_ZN7rocprim17ROCPRIM_400000_NS6detail17trampoline_kernelINS0_14default_configENS1_38merge_sort_block_merge_config_selectorIssEEZZNS1_27merge_sort_block_merge_implIS3_N6thrust23THRUST_200600_302600_NS6detail15normal_iteratorINS8_10device_ptrIsEEEESD_jNS1_19radix_merge_compareILb0ELb1EsNS0_19identity_decomposerEEEEE10hipError_tT0_T1_T2_jT3_P12ihipStream_tbPNSt15iterator_traitsISI_E10value_typeEPNSO_ISJ_E10value_typeEPSK_NS1_7vsmem_tEENKUlT_SI_SJ_SK_E_clISD_PsSD_S10_EESH_SX_SI_SJ_SK_EUlSX_E0_NS1_11comp_targetILNS1_3genE4ELNS1_11target_archE910ELNS1_3gpuE8ELNS1_3repE0EEENS1_38merge_mergepath_config_static_selectorELNS0_4arch9wavefront6targetE1EEEvSJ_,comdat
.Lfunc_end1602:
	.size	_ZN7rocprim17ROCPRIM_400000_NS6detail17trampoline_kernelINS0_14default_configENS1_38merge_sort_block_merge_config_selectorIssEEZZNS1_27merge_sort_block_merge_implIS3_N6thrust23THRUST_200600_302600_NS6detail15normal_iteratorINS8_10device_ptrIsEEEESD_jNS1_19radix_merge_compareILb0ELb1EsNS0_19identity_decomposerEEEEE10hipError_tT0_T1_T2_jT3_P12ihipStream_tbPNSt15iterator_traitsISI_E10value_typeEPNSO_ISJ_E10value_typeEPSK_NS1_7vsmem_tEENKUlT_SI_SJ_SK_E_clISD_PsSD_S10_EESH_SX_SI_SJ_SK_EUlSX_E0_NS1_11comp_targetILNS1_3genE4ELNS1_11target_archE910ELNS1_3gpuE8ELNS1_3repE0EEENS1_38merge_mergepath_config_static_selectorELNS0_4arch9wavefront6targetE1EEEvSJ_, .Lfunc_end1602-_ZN7rocprim17ROCPRIM_400000_NS6detail17trampoline_kernelINS0_14default_configENS1_38merge_sort_block_merge_config_selectorIssEEZZNS1_27merge_sort_block_merge_implIS3_N6thrust23THRUST_200600_302600_NS6detail15normal_iteratorINS8_10device_ptrIsEEEESD_jNS1_19radix_merge_compareILb0ELb1EsNS0_19identity_decomposerEEEEE10hipError_tT0_T1_T2_jT3_P12ihipStream_tbPNSt15iterator_traitsISI_E10value_typeEPNSO_ISJ_E10value_typeEPSK_NS1_7vsmem_tEENKUlT_SI_SJ_SK_E_clISD_PsSD_S10_EESH_SX_SI_SJ_SK_EUlSX_E0_NS1_11comp_targetILNS1_3genE4ELNS1_11target_archE910ELNS1_3gpuE8ELNS1_3repE0EEENS1_38merge_mergepath_config_static_selectorELNS0_4arch9wavefront6targetE1EEEvSJ_
                                        ; -- End function
	.set _ZN7rocprim17ROCPRIM_400000_NS6detail17trampoline_kernelINS0_14default_configENS1_38merge_sort_block_merge_config_selectorIssEEZZNS1_27merge_sort_block_merge_implIS3_N6thrust23THRUST_200600_302600_NS6detail15normal_iteratorINS8_10device_ptrIsEEEESD_jNS1_19radix_merge_compareILb0ELb1EsNS0_19identity_decomposerEEEEE10hipError_tT0_T1_T2_jT3_P12ihipStream_tbPNSt15iterator_traitsISI_E10value_typeEPNSO_ISJ_E10value_typeEPSK_NS1_7vsmem_tEENKUlT_SI_SJ_SK_E_clISD_PsSD_S10_EESH_SX_SI_SJ_SK_EUlSX_E0_NS1_11comp_targetILNS1_3genE4ELNS1_11target_archE910ELNS1_3gpuE8ELNS1_3repE0EEENS1_38merge_mergepath_config_static_selectorELNS0_4arch9wavefront6targetE1EEEvSJ_.num_vgpr, 0
	.set _ZN7rocprim17ROCPRIM_400000_NS6detail17trampoline_kernelINS0_14default_configENS1_38merge_sort_block_merge_config_selectorIssEEZZNS1_27merge_sort_block_merge_implIS3_N6thrust23THRUST_200600_302600_NS6detail15normal_iteratorINS8_10device_ptrIsEEEESD_jNS1_19radix_merge_compareILb0ELb1EsNS0_19identity_decomposerEEEEE10hipError_tT0_T1_T2_jT3_P12ihipStream_tbPNSt15iterator_traitsISI_E10value_typeEPNSO_ISJ_E10value_typeEPSK_NS1_7vsmem_tEENKUlT_SI_SJ_SK_E_clISD_PsSD_S10_EESH_SX_SI_SJ_SK_EUlSX_E0_NS1_11comp_targetILNS1_3genE4ELNS1_11target_archE910ELNS1_3gpuE8ELNS1_3repE0EEENS1_38merge_mergepath_config_static_selectorELNS0_4arch9wavefront6targetE1EEEvSJ_.num_agpr, 0
	.set _ZN7rocprim17ROCPRIM_400000_NS6detail17trampoline_kernelINS0_14default_configENS1_38merge_sort_block_merge_config_selectorIssEEZZNS1_27merge_sort_block_merge_implIS3_N6thrust23THRUST_200600_302600_NS6detail15normal_iteratorINS8_10device_ptrIsEEEESD_jNS1_19radix_merge_compareILb0ELb1EsNS0_19identity_decomposerEEEEE10hipError_tT0_T1_T2_jT3_P12ihipStream_tbPNSt15iterator_traitsISI_E10value_typeEPNSO_ISJ_E10value_typeEPSK_NS1_7vsmem_tEENKUlT_SI_SJ_SK_E_clISD_PsSD_S10_EESH_SX_SI_SJ_SK_EUlSX_E0_NS1_11comp_targetILNS1_3genE4ELNS1_11target_archE910ELNS1_3gpuE8ELNS1_3repE0EEENS1_38merge_mergepath_config_static_selectorELNS0_4arch9wavefront6targetE1EEEvSJ_.numbered_sgpr, 0
	.set _ZN7rocprim17ROCPRIM_400000_NS6detail17trampoline_kernelINS0_14default_configENS1_38merge_sort_block_merge_config_selectorIssEEZZNS1_27merge_sort_block_merge_implIS3_N6thrust23THRUST_200600_302600_NS6detail15normal_iteratorINS8_10device_ptrIsEEEESD_jNS1_19radix_merge_compareILb0ELb1EsNS0_19identity_decomposerEEEEE10hipError_tT0_T1_T2_jT3_P12ihipStream_tbPNSt15iterator_traitsISI_E10value_typeEPNSO_ISJ_E10value_typeEPSK_NS1_7vsmem_tEENKUlT_SI_SJ_SK_E_clISD_PsSD_S10_EESH_SX_SI_SJ_SK_EUlSX_E0_NS1_11comp_targetILNS1_3genE4ELNS1_11target_archE910ELNS1_3gpuE8ELNS1_3repE0EEENS1_38merge_mergepath_config_static_selectorELNS0_4arch9wavefront6targetE1EEEvSJ_.num_named_barrier, 0
	.set _ZN7rocprim17ROCPRIM_400000_NS6detail17trampoline_kernelINS0_14default_configENS1_38merge_sort_block_merge_config_selectorIssEEZZNS1_27merge_sort_block_merge_implIS3_N6thrust23THRUST_200600_302600_NS6detail15normal_iteratorINS8_10device_ptrIsEEEESD_jNS1_19radix_merge_compareILb0ELb1EsNS0_19identity_decomposerEEEEE10hipError_tT0_T1_T2_jT3_P12ihipStream_tbPNSt15iterator_traitsISI_E10value_typeEPNSO_ISJ_E10value_typeEPSK_NS1_7vsmem_tEENKUlT_SI_SJ_SK_E_clISD_PsSD_S10_EESH_SX_SI_SJ_SK_EUlSX_E0_NS1_11comp_targetILNS1_3genE4ELNS1_11target_archE910ELNS1_3gpuE8ELNS1_3repE0EEENS1_38merge_mergepath_config_static_selectorELNS0_4arch9wavefront6targetE1EEEvSJ_.private_seg_size, 0
	.set _ZN7rocprim17ROCPRIM_400000_NS6detail17trampoline_kernelINS0_14default_configENS1_38merge_sort_block_merge_config_selectorIssEEZZNS1_27merge_sort_block_merge_implIS3_N6thrust23THRUST_200600_302600_NS6detail15normal_iteratorINS8_10device_ptrIsEEEESD_jNS1_19radix_merge_compareILb0ELb1EsNS0_19identity_decomposerEEEEE10hipError_tT0_T1_T2_jT3_P12ihipStream_tbPNSt15iterator_traitsISI_E10value_typeEPNSO_ISJ_E10value_typeEPSK_NS1_7vsmem_tEENKUlT_SI_SJ_SK_E_clISD_PsSD_S10_EESH_SX_SI_SJ_SK_EUlSX_E0_NS1_11comp_targetILNS1_3genE4ELNS1_11target_archE910ELNS1_3gpuE8ELNS1_3repE0EEENS1_38merge_mergepath_config_static_selectorELNS0_4arch9wavefront6targetE1EEEvSJ_.uses_vcc, 0
	.set _ZN7rocprim17ROCPRIM_400000_NS6detail17trampoline_kernelINS0_14default_configENS1_38merge_sort_block_merge_config_selectorIssEEZZNS1_27merge_sort_block_merge_implIS3_N6thrust23THRUST_200600_302600_NS6detail15normal_iteratorINS8_10device_ptrIsEEEESD_jNS1_19radix_merge_compareILb0ELb1EsNS0_19identity_decomposerEEEEE10hipError_tT0_T1_T2_jT3_P12ihipStream_tbPNSt15iterator_traitsISI_E10value_typeEPNSO_ISJ_E10value_typeEPSK_NS1_7vsmem_tEENKUlT_SI_SJ_SK_E_clISD_PsSD_S10_EESH_SX_SI_SJ_SK_EUlSX_E0_NS1_11comp_targetILNS1_3genE4ELNS1_11target_archE910ELNS1_3gpuE8ELNS1_3repE0EEENS1_38merge_mergepath_config_static_selectorELNS0_4arch9wavefront6targetE1EEEvSJ_.uses_flat_scratch, 0
	.set _ZN7rocprim17ROCPRIM_400000_NS6detail17trampoline_kernelINS0_14default_configENS1_38merge_sort_block_merge_config_selectorIssEEZZNS1_27merge_sort_block_merge_implIS3_N6thrust23THRUST_200600_302600_NS6detail15normal_iteratorINS8_10device_ptrIsEEEESD_jNS1_19radix_merge_compareILb0ELb1EsNS0_19identity_decomposerEEEEE10hipError_tT0_T1_T2_jT3_P12ihipStream_tbPNSt15iterator_traitsISI_E10value_typeEPNSO_ISJ_E10value_typeEPSK_NS1_7vsmem_tEENKUlT_SI_SJ_SK_E_clISD_PsSD_S10_EESH_SX_SI_SJ_SK_EUlSX_E0_NS1_11comp_targetILNS1_3genE4ELNS1_11target_archE910ELNS1_3gpuE8ELNS1_3repE0EEENS1_38merge_mergepath_config_static_selectorELNS0_4arch9wavefront6targetE1EEEvSJ_.has_dyn_sized_stack, 0
	.set _ZN7rocprim17ROCPRIM_400000_NS6detail17trampoline_kernelINS0_14default_configENS1_38merge_sort_block_merge_config_selectorIssEEZZNS1_27merge_sort_block_merge_implIS3_N6thrust23THRUST_200600_302600_NS6detail15normal_iteratorINS8_10device_ptrIsEEEESD_jNS1_19radix_merge_compareILb0ELb1EsNS0_19identity_decomposerEEEEE10hipError_tT0_T1_T2_jT3_P12ihipStream_tbPNSt15iterator_traitsISI_E10value_typeEPNSO_ISJ_E10value_typeEPSK_NS1_7vsmem_tEENKUlT_SI_SJ_SK_E_clISD_PsSD_S10_EESH_SX_SI_SJ_SK_EUlSX_E0_NS1_11comp_targetILNS1_3genE4ELNS1_11target_archE910ELNS1_3gpuE8ELNS1_3repE0EEENS1_38merge_mergepath_config_static_selectorELNS0_4arch9wavefront6targetE1EEEvSJ_.has_recursion, 0
	.set _ZN7rocprim17ROCPRIM_400000_NS6detail17trampoline_kernelINS0_14default_configENS1_38merge_sort_block_merge_config_selectorIssEEZZNS1_27merge_sort_block_merge_implIS3_N6thrust23THRUST_200600_302600_NS6detail15normal_iteratorINS8_10device_ptrIsEEEESD_jNS1_19radix_merge_compareILb0ELb1EsNS0_19identity_decomposerEEEEE10hipError_tT0_T1_T2_jT3_P12ihipStream_tbPNSt15iterator_traitsISI_E10value_typeEPNSO_ISJ_E10value_typeEPSK_NS1_7vsmem_tEENKUlT_SI_SJ_SK_E_clISD_PsSD_S10_EESH_SX_SI_SJ_SK_EUlSX_E0_NS1_11comp_targetILNS1_3genE4ELNS1_11target_archE910ELNS1_3gpuE8ELNS1_3repE0EEENS1_38merge_mergepath_config_static_selectorELNS0_4arch9wavefront6targetE1EEEvSJ_.has_indirect_call, 0
	.section	.AMDGPU.csdata,"",@progbits
; Kernel info:
; codeLenInByte = 0
; TotalNumSgprs: 6
; NumVgprs: 0
; NumAgprs: 0
; TotalNumVgprs: 0
; ScratchSize: 0
; MemoryBound: 0
; FloatMode: 240
; IeeeMode: 1
; LDSByteSize: 0 bytes/workgroup (compile time only)
; SGPRBlocks: 0
; VGPRBlocks: 0
; NumSGPRsForWavesPerEU: 6
; NumVGPRsForWavesPerEU: 1
; AccumOffset: 4
; Occupancy: 8
; WaveLimiterHint : 0
; COMPUTE_PGM_RSRC2:SCRATCH_EN: 0
; COMPUTE_PGM_RSRC2:USER_SGPR: 2
; COMPUTE_PGM_RSRC2:TRAP_HANDLER: 0
; COMPUTE_PGM_RSRC2:TGID_X_EN: 1
; COMPUTE_PGM_RSRC2:TGID_Y_EN: 0
; COMPUTE_PGM_RSRC2:TGID_Z_EN: 0
; COMPUTE_PGM_RSRC2:TIDIG_COMP_CNT: 0
; COMPUTE_PGM_RSRC3_GFX90A:ACCUM_OFFSET: 0
; COMPUTE_PGM_RSRC3_GFX90A:TG_SPLIT: 0
	.section	.text._ZN7rocprim17ROCPRIM_400000_NS6detail17trampoline_kernelINS0_14default_configENS1_38merge_sort_block_merge_config_selectorIssEEZZNS1_27merge_sort_block_merge_implIS3_N6thrust23THRUST_200600_302600_NS6detail15normal_iteratorINS8_10device_ptrIsEEEESD_jNS1_19radix_merge_compareILb0ELb1EsNS0_19identity_decomposerEEEEE10hipError_tT0_T1_T2_jT3_P12ihipStream_tbPNSt15iterator_traitsISI_E10value_typeEPNSO_ISJ_E10value_typeEPSK_NS1_7vsmem_tEENKUlT_SI_SJ_SK_E_clISD_PsSD_S10_EESH_SX_SI_SJ_SK_EUlSX_E0_NS1_11comp_targetILNS1_3genE3ELNS1_11target_archE908ELNS1_3gpuE7ELNS1_3repE0EEENS1_38merge_mergepath_config_static_selectorELNS0_4arch9wavefront6targetE1EEEvSJ_,"axG",@progbits,_ZN7rocprim17ROCPRIM_400000_NS6detail17trampoline_kernelINS0_14default_configENS1_38merge_sort_block_merge_config_selectorIssEEZZNS1_27merge_sort_block_merge_implIS3_N6thrust23THRUST_200600_302600_NS6detail15normal_iteratorINS8_10device_ptrIsEEEESD_jNS1_19radix_merge_compareILb0ELb1EsNS0_19identity_decomposerEEEEE10hipError_tT0_T1_T2_jT3_P12ihipStream_tbPNSt15iterator_traitsISI_E10value_typeEPNSO_ISJ_E10value_typeEPSK_NS1_7vsmem_tEENKUlT_SI_SJ_SK_E_clISD_PsSD_S10_EESH_SX_SI_SJ_SK_EUlSX_E0_NS1_11comp_targetILNS1_3genE3ELNS1_11target_archE908ELNS1_3gpuE7ELNS1_3repE0EEENS1_38merge_mergepath_config_static_selectorELNS0_4arch9wavefront6targetE1EEEvSJ_,comdat
	.protected	_ZN7rocprim17ROCPRIM_400000_NS6detail17trampoline_kernelINS0_14default_configENS1_38merge_sort_block_merge_config_selectorIssEEZZNS1_27merge_sort_block_merge_implIS3_N6thrust23THRUST_200600_302600_NS6detail15normal_iteratorINS8_10device_ptrIsEEEESD_jNS1_19radix_merge_compareILb0ELb1EsNS0_19identity_decomposerEEEEE10hipError_tT0_T1_T2_jT3_P12ihipStream_tbPNSt15iterator_traitsISI_E10value_typeEPNSO_ISJ_E10value_typeEPSK_NS1_7vsmem_tEENKUlT_SI_SJ_SK_E_clISD_PsSD_S10_EESH_SX_SI_SJ_SK_EUlSX_E0_NS1_11comp_targetILNS1_3genE3ELNS1_11target_archE908ELNS1_3gpuE7ELNS1_3repE0EEENS1_38merge_mergepath_config_static_selectorELNS0_4arch9wavefront6targetE1EEEvSJ_ ; -- Begin function _ZN7rocprim17ROCPRIM_400000_NS6detail17trampoline_kernelINS0_14default_configENS1_38merge_sort_block_merge_config_selectorIssEEZZNS1_27merge_sort_block_merge_implIS3_N6thrust23THRUST_200600_302600_NS6detail15normal_iteratorINS8_10device_ptrIsEEEESD_jNS1_19radix_merge_compareILb0ELb1EsNS0_19identity_decomposerEEEEE10hipError_tT0_T1_T2_jT3_P12ihipStream_tbPNSt15iterator_traitsISI_E10value_typeEPNSO_ISJ_E10value_typeEPSK_NS1_7vsmem_tEENKUlT_SI_SJ_SK_E_clISD_PsSD_S10_EESH_SX_SI_SJ_SK_EUlSX_E0_NS1_11comp_targetILNS1_3genE3ELNS1_11target_archE908ELNS1_3gpuE7ELNS1_3repE0EEENS1_38merge_mergepath_config_static_selectorELNS0_4arch9wavefront6targetE1EEEvSJ_
	.globl	_ZN7rocprim17ROCPRIM_400000_NS6detail17trampoline_kernelINS0_14default_configENS1_38merge_sort_block_merge_config_selectorIssEEZZNS1_27merge_sort_block_merge_implIS3_N6thrust23THRUST_200600_302600_NS6detail15normal_iteratorINS8_10device_ptrIsEEEESD_jNS1_19radix_merge_compareILb0ELb1EsNS0_19identity_decomposerEEEEE10hipError_tT0_T1_T2_jT3_P12ihipStream_tbPNSt15iterator_traitsISI_E10value_typeEPNSO_ISJ_E10value_typeEPSK_NS1_7vsmem_tEENKUlT_SI_SJ_SK_E_clISD_PsSD_S10_EESH_SX_SI_SJ_SK_EUlSX_E0_NS1_11comp_targetILNS1_3genE3ELNS1_11target_archE908ELNS1_3gpuE7ELNS1_3repE0EEENS1_38merge_mergepath_config_static_selectorELNS0_4arch9wavefront6targetE1EEEvSJ_
	.p2align	8
	.type	_ZN7rocprim17ROCPRIM_400000_NS6detail17trampoline_kernelINS0_14default_configENS1_38merge_sort_block_merge_config_selectorIssEEZZNS1_27merge_sort_block_merge_implIS3_N6thrust23THRUST_200600_302600_NS6detail15normal_iteratorINS8_10device_ptrIsEEEESD_jNS1_19radix_merge_compareILb0ELb1EsNS0_19identity_decomposerEEEEE10hipError_tT0_T1_T2_jT3_P12ihipStream_tbPNSt15iterator_traitsISI_E10value_typeEPNSO_ISJ_E10value_typeEPSK_NS1_7vsmem_tEENKUlT_SI_SJ_SK_E_clISD_PsSD_S10_EESH_SX_SI_SJ_SK_EUlSX_E0_NS1_11comp_targetILNS1_3genE3ELNS1_11target_archE908ELNS1_3gpuE7ELNS1_3repE0EEENS1_38merge_mergepath_config_static_selectorELNS0_4arch9wavefront6targetE1EEEvSJ_,@function
_ZN7rocprim17ROCPRIM_400000_NS6detail17trampoline_kernelINS0_14default_configENS1_38merge_sort_block_merge_config_selectorIssEEZZNS1_27merge_sort_block_merge_implIS3_N6thrust23THRUST_200600_302600_NS6detail15normal_iteratorINS8_10device_ptrIsEEEESD_jNS1_19radix_merge_compareILb0ELb1EsNS0_19identity_decomposerEEEEE10hipError_tT0_T1_T2_jT3_P12ihipStream_tbPNSt15iterator_traitsISI_E10value_typeEPNSO_ISJ_E10value_typeEPSK_NS1_7vsmem_tEENKUlT_SI_SJ_SK_E_clISD_PsSD_S10_EESH_SX_SI_SJ_SK_EUlSX_E0_NS1_11comp_targetILNS1_3genE3ELNS1_11target_archE908ELNS1_3gpuE7ELNS1_3repE0EEENS1_38merge_mergepath_config_static_selectorELNS0_4arch9wavefront6targetE1EEEvSJ_: ; @_ZN7rocprim17ROCPRIM_400000_NS6detail17trampoline_kernelINS0_14default_configENS1_38merge_sort_block_merge_config_selectorIssEEZZNS1_27merge_sort_block_merge_implIS3_N6thrust23THRUST_200600_302600_NS6detail15normal_iteratorINS8_10device_ptrIsEEEESD_jNS1_19radix_merge_compareILb0ELb1EsNS0_19identity_decomposerEEEEE10hipError_tT0_T1_T2_jT3_P12ihipStream_tbPNSt15iterator_traitsISI_E10value_typeEPNSO_ISJ_E10value_typeEPSK_NS1_7vsmem_tEENKUlT_SI_SJ_SK_E_clISD_PsSD_S10_EESH_SX_SI_SJ_SK_EUlSX_E0_NS1_11comp_targetILNS1_3genE3ELNS1_11target_archE908ELNS1_3gpuE7ELNS1_3repE0EEENS1_38merge_mergepath_config_static_selectorELNS0_4arch9wavefront6targetE1EEEvSJ_
; %bb.0:
	.section	.rodata,"a",@progbits
	.p2align	6, 0x0
	.amdhsa_kernel _ZN7rocprim17ROCPRIM_400000_NS6detail17trampoline_kernelINS0_14default_configENS1_38merge_sort_block_merge_config_selectorIssEEZZNS1_27merge_sort_block_merge_implIS3_N6thrust23THRUST_200600_302600_NS6detail15normal_iteratorINS8_10device_ptrIsEEEESD_jNS1_19radix_merge_compareILb0ELb1EsNS0_19identity_decomposerEEEEE10hipError_tT0_T1_T2_jT3_P12ihipStream_tbPNSt15iterator_traitsISI_E10value_typeEPNSO_ISJ_E10value_typeEPSK_NS1_7vsmem_tEENKUlT_SI_SJ_SK_E_clISD_PsSD_S10_EESH_SX_SI_SJ_SK_EUlSX_E0_NS1_11comp_targetILNS1_3genE3ELNS1_11target_archE908ELNS1_3gpuE7ELNS1_3repE0EEENS1_38merge_mergepath_config_static_selectorELNS0_4arch9wavefront6targetE1EEEvSJ_
		.amdhsa_group_segment_fixed_size 0
		.amdhsa_private_segment_fixed_size 0
		.amdhsa_kernarg_size 64
		.amdhsa_user_sgpr_count 2
		.amdhsa_user_sgpr_dispatch_ptr 0
		.amdhsa_user_sgpr_queue_ptr 0
		.amdhsa_user_sgpr_kernarg_segment_ptr 1
		.amdhsa_user_sgpr_dispatch_id 0
		.amdhsa_user_sgpr_kernarg_preload_length 0
		.amdhsa_user_sgpr_kernarg_preload_offset 0
		.amdhsa_user_sgpr_private_segment_size 0
		.amdhsa_uses_dynamic_stack 0
		.amdhsa_enable_private_segment 0
		.amdhsa_system_sgpr_workgroup_id_x 1
		.amdhsa_system_sgpr_workgroup_id_y 0
		.amdhsa_system_sgpr_workgroup_id_z 0
		.amdhsa_system_sgpr_workgroup_info 0
		.amdhsa_system_vgpr_workitem_id 0
		.amdhsa_next_free_vgpr 1
		.amdhsa_next_free_sgpr 0
		.amdhsa_accum_offset 4
		.amdhsa_reserve_vcc 0
		.amdhsa_float_round_mode_32 0
		.amdhsa_float_round_mode_16_64 0
		.amdhsa_float_denorm_mode_32 3
		.amdhsa_float_denorm_mode_16_64 3
		.amdhsa_dx10_clamp 1
		.amdhsa_ieee_mode 1
		.amdhsa_fp16_overflow 0
		.amdhsa_tg_split 0
		.amdhsa_exception_fp_ieee_invalid_op 0
		.amdhsa_exception_fp_denorm_src 0
		.amdhsa_exception_fp_ieee_div_zero 0
		.amdhsa_exception_fp_ieee_overflow 0
		.amdhsa_exception_fp_ieee_underflow 0
		.amdhsa_exception_fp_ieee_inexact 0
		.amdhsa_exception_int_div_zero 0
	.end_amdhsa_kernel
	.section	.text._ZN7rocprim17ROCPRIM_400000_NS6detail17trampoline_kernelINS0_14default_configENS1_38merge_sort_block_merge_config_selectorIssEEZZNS1_27merge_sort_block_merge_implIS3_N6thrust23THRUST_200600_302600_NS6detail15normal_iteratorINS8_10device_ptrIsEEEESD_jNS1_19radix_merge_compareILb0ELb1EsNS0_19identity_decomposerEEEEE10hipError_tT0_T1_T2_jT3_P12ihipStream_tbPNSt15iterator_traitsISI_E10value_typeEPNSO_ISJ_E10value_typeEPSK_NS1_7vsmem_tEENKUlT_SI_SJ_SK_E_clISD_PsSD_S10_EESH_SX_SI_SJ_SK_EUlSX_E0_NS1_11comp_targetILNS1_3genE3ELNS1_11target_archE908ELNS1_3gpuE7ELNS1_3repE0EEENS1_38merge_mergepath_config_static_selectorELNS0_4arch9wavefront6targetE1EEEvSJ_,"axG",@progbits,_ZN7rocprim17ROCPRIM_400000_NS6detail17trampoline_kernelINS0_14default_configENS1_38merge_sort_block_merge_config_selectorIssEEZZNS1_27merge_sort_block_merge_implIS3_N6thrust23THRUST_200600_302600_NS6detail15normal_iteratorINS8_10device_ptrIsEEEESD_jNS1_19radix_merge_compareILb0ELb1EsNS0_19identity_decomposerEEEEE10hipError_tT0_T1_T2_jT3_P12ihipStream_tbPNSt15iterator_traitsISI_E10value_typeEPNSO_ISJ_E10value_typeEPSK_NS1_7vsmem_tEENKUlT_SI_SJ_SK_E_clISD_PsSD_S10_EESH_SX_SI_SJ_SK_EUlSX_E0_NS1_11comp_targetILNS1_3genE3ELNS1_11target_archE908ELNS1_3gpuE7ELNS1_3repE0EEENS1_38merge_mergepath_config_static_selectorELNS0_4arch9wavefront6targetE1EEEvSJ_,comdat
.Lfunc_end1603:
	.size	_ZN7rocprim17ROCPRIM_400000_NS6detail17trampoline_kernelINS0_14default_configENS1_38merge_sort_block_merge_config_selectorIssEEZZNS1_27merge_sort_block_merge_implIS3_N6thrust23THRUST_200600_302600_NS6detail15normal_iteratorINS8_10device_ptrIsEEEESD_jNS1_19radix_merge_compareILb0ELb1EsNS0_19identity_decomposerEEEEE10hipError_tT0_T1_T2_jT3_P12ihipStream_tbPNSt15iterator_traitsISI_E10value_typeEPNSO_ISJ_E10value_typeEPSK_NS1_7vsmem_tEENKUlT_SI_SJ_SK_E_clISD_PsSD_S10_EESH_SX_SI_SJ_SK_EUlSX_E0_NS1_11comp_targetILNS1_3genE3ELNS1_11target_archE908ELNS1_3gpuE7ELNS1_3repE0EEENS1_38merge_mergepath_config_static_selectorELNS0_4arch9wavefront6targetE1EEEvSJ_, .Lfunc_end1603-_ZN7rocprim17ROCPRIM_400000_NS6detail17trampoline_kernelINS0_14default_configENS1_38merge_sort_block_merge_config_selectorIssEEZZNS1_27merge_sort_block_merge_implIS3_N6thrust23THRUST_200600_302600_NS6detail15normal_iteratorINS8_10device_ptrIsEEEESD_jNS1_19radix_merge_compareILb0ELb1EsNS0_19identity_decomposerEEEEE10hipError_tT0_T1_T2_jT3_P12ihipStream_tbPNSt15iterator_traitsISI_E10value_typeEPNSO_ISJ_E10value_typeEPSK_NS1_7vsmem_tEENKUlT_SI_SJ_SK_E_clISD_PsSD_S10_EESH_SX_SI_SJ_SK_EUlSX_E0_NS1_11comp_targetILNS1_3genE3ELNS1_11target_archE908ELNS1_3gpuE7ELNS1_3repE0EEENS1_38merge_mergepath_config_static_selectorELNS0_4arch9wavefront6targetE1EEEvSJ_
                                        ; -- End function
	.set _ZN7rocprim17ROCPRIM_400000_NS6detail17trampoline_kernelINS0_14default_configENS1_38merge_sort_block_merge_config_selectorIssEEZZNS1_27merge_sort_block_merge_implIS3_N6thrust23THRUST_200600_302600_NS6detail15normal_iteratorINS8_10device_ptrIsEEEESD_jNS1_19radix_merge_compareILb0ELb1EsNS0_19identity_decomposerEEEEE10hipError_tT0_T1_T2_jT3_P12ihipStream_tbPNSt15iterator_traitsISI_E10value_typeEPNSO_ISJ_E10value_typeEPSK_NS1_7vsmem_tEENKUlT_SI_SJ_SK_E_clISD_PsSD_S10_EESH_SX_SI_SJ_SK_EUlSX_E0_NS1_11comp_targetILNS1_3genE3ELNS1_11target_archE908ELNS1_3gpuE7ELNS1_3repE0EEENS1_38merge_mergepath_config_static_selectorELNS0_4arch9wavefront6targetE1EEEvSJ_.num_vgpr, 0
	.set _ZN7rocprim17ROCPRIM_400000_NS6detail17trampoline_kernelINS0_14default_configENS1_38merge_sort_block_merge_config_selectorIssEEZZNS1_27merge_sort_block_merge_implIS3_N6thrust23THRUST_200600_302600_NS6detail15normal_iteratorINS8_10device_ptrIsEEEESD_jNS1_19radix_merge_compareILb0ELb1EsNS0_19identity_decomposerEEEEE10hipError_tT0_T1_T2_jT3_P12ihipStream_tbPNSt15iterator_traitsISI_E10value_typeEPNSO_ISJ_E10value_typeEPSK_NS1_7vsmem_tEENKUlT_SI_SJ_SK_E_clISD_PsSD_S10_EESH_SX_SI_SJ_SK_EUlSX_E0_NS1_11comp_targetILNS1_3genE3ELNS1_11target_archE908ELNS1_3gpuE7ELNS1_3repE0EEENS1_38merge_mergepath_config_static_selectorELNS0_4arch9wavefront6targetE1EEEvSJ_.num_agpr, 0
	.set _ZN7rocprim17ROCPRIM_400000_NS6detail17trampoline_kernelINS0_14default_configENS1_38merge_sort_block_merge_config_selectorIssEEZZNS1_27merge_sort_block_merge_implIS3_N6thrust23THRUST_200600_302600_NS6detail15normal_iteratorINS8_10device_ptrIsEEEESD_jNS1_19radix_merge_compareILb0ELb1EsNS0_19identity_decomposerEEEEE10hipError_tT0_T1_T2_jT3_P12ihipStream_tbPNSt15iterator_traitsISI_E10value_typeEPNSO_ISJ_E10value_typeEPSK_NS1_7vsmem_tEENKUlT_SI_SJ_SK_E_clISD_PsSD_S10_EESH_SX_SI_SJ_SK_EUlSX_E0_NS1_11comp_targetILNS1_3genE3ELNS1_11target_archE908ELNS1_3gpuE7ELNS1_3repE0EEENS1_38merge_mergepath_config_static_selectorELNS0_4arch9wavefront6targetE1EEEvSJ_.numbered_sgpr, 0
	.set _ZN7rocprim17ROCPRIM_400000_NS6detail17trampoline_kernelINS0_14default_configENS1_38merge_sort_block_merge_config_selectorIssEEZZNS1_27merge_sort_block_merge_implIS3_N6thrust23THRUST_200600_302600_NS6detail15normal_iteratorINS8_10device_ptrIsEEEESD_jNS1_19radix_merge_compareILb0ELb1EsNS0_19identity_decomposerEEEEE10hipError_tT0_T1_T2_jT3_P12ihipStream_tbPNSt15iterator_traitsISI_E10value_typeEPNSO_ISJ_E10value_typeEPSK_NS1_7vsmem_tEENKUlT_SI_SJ_SK_E_clISD_PsSD_S10_EESH_SX_SI_SJ_SK_EUlSX_E0_NS1_11comp_targetILNS1_3genE3ELNS1_11target_archE908ELNS1_3gpuE7ELNS1_3repE0EEENS1_38merge_mergepath_config_static_selectorELNS0_4arch9wavefront6targetE1EEEvSJ_.num_named_barrier, 0
	.set _ZN7rocprim17ROCPRIM_400000_NS6detail17trampoline_kernelINS0_14default_configENS1_38merge_sort_block_merge_config_selectorIssEEZZNS1_27merge_sort_block_merge_implIS3_N6thrust23THRUST_200600_302600_NS6detail15normal_iteratorINS8_10device_ptrIsEEEESD_jNS1_19radix_merge_compareILb0ELb1EsNS0_19identity_decomposerEEEEE10hipError_tT0_T1_T2_jT3_P12ihipStream_tbPNSt15iterator_traitsISI_E10value_typeEPNSO_ISJ_E10value_typeEPSK_NS1_7vsmem_tEENKUlT_SI_SJ_SK_E_clISD_PsSD_S10_EESH_SX_SI_SJ_SK_EUlSX_E0_NS1_11comp_targetILNS1_3genE3ELNS1_11target_archE908ELNS1_3gpuE7ELNS1_3repE0EEENS1_38merge_mergepath_config_static_selectorELNS0_4arch9wavefront6targetE1EEEvSJ_.private_seg_size, 0
	.set _ZN7rocprim17ROCPRIM_400000_NS6detail17trampoline_kernelINS0_14default_configENS1_38merge_sort_block_merge_config_selectorIssEEZZNS1_27merge_sort_block_merge_implIS3_N6thrust23THRUST_200600_302600_NS6detail15normal_iteratorINS8_10device_ptrIsEEEESD_jNS1_19radix_merge_compareILb0ELb1EsNS0_19identity_decomposerEEEEE10hipError_tT0_T1_T2_jT3_P12ihipStream_tbPNSt15iterator_traitsISI_E10value_typeEPNSO_ISJ_E10value_typeEPSK_NS1_7vsmem_tEENKUlT_SI_SJ_SK_E_clISD_PsSD_S10_EESH_SX_SI_SJ_SK_EUlSX_E0_NS1_11comp_targetILNS1_3genE3ELNS1_11target_archE908ELNS1_3gpuE7ELNS1_3repE0EEENS1_38merge_mergepath_config_static_selectorELNS0_4arch9wavefront6targetE1EEEvSJ_.uses_vcc, 0
	.set _ZN7rocprim17ROCPRIM_400000_NS6detail17trampoline_kernelINS0_14default_configENS1_38merge_sort_block_merge_config_selectorIssEEZZNS1_27merge_sort_block_merge_implIS3_N6thrust23THRUST_200600_302600_NS6detail15normal_iteratorINS8_10device_ptrIsEEEESD_jNS1_19radix_merge_compareILb0ELb1EsNS0_19identity_decomposerEEEEE10hipError_tT0_T1_T2_jT3_P12ihipStream_tbPNSt15iterator_traitsISI_E10value_typeEPNSO_ISJ_E10value_typeEPSK_NS1_7vsmem_tEENKUlT_SI_SJ_SK_E_clISD_PsSD_S10_EESH_SX_SI_SJ_SK_EUlSX_E0_NS1_11comp_targetILNS1_3genE3ELNS1_11target_archE908ELNS1_3gpuE7ELNS1_3repE0EEENS1_38merge_mergepath_config_static_selectorELNS0_4arch9wavefront6targetE1EEEvSJ_.uses_flat_scratch, 0
	.set _ZN7rocprim17ROCPRIM_400000_NS6detail17trampoline_kernelINS0_14default_configENS1_38merge_sort_block_merge_config_selectorIssEEZZNS1_27merge_sort_block_merge_implIS3_N6thrust23THRUST_200600_302600_NS6detail15normal_iteratorINS8_10device_ptrIsEEEESD_jNS1_19radix_merge_compareILb0ELb1EsNS0_19identity_decomposerEEEEE10hipError_tT0_T1_T2_jT3_P12ihipStream_tbPNSt15iterator_traitsISI_E10value_typeEPNSO_ISJ_E10value_typeEPSK_NS1_7vsmem_tEENKUlT_SI_SJ_SK_E_clISD_PsSD_S10_EESH_SX_SI_SJ_SK_EUlSX_E0_NS1_11comp_targetILNS1_3genE3ELNS1_11target_archE908ELNS1_3gpuE7ELNS1_3repE0EEENS1_38merge_mergepath_config_static_selectorELNS0_4arch9wavefront6targetE1EEEvSJ_.has_dyn_sized_stack, 0
	.set _ZN7rocprim17ROCPRIM_400000_NS6detail17trampoline_kernelINS0_14default_configENS1_38merge_sort_block_merge_config_selectorIssEEZZNS1_27merge_sort_block_merge_implIS3_N6thrust23THRUST_200600_302600_NS6detail15normal_iteratorINS8_10device_ptrIsEEEESD_jNS1_19radix_merge_compareILb0ELb1EsNS0_19identity_decomposerEEEEE10hipError_tT0_T1_T2_jT3_P12ihipStream_tbPNSt15iterator_traitsISI_E10value_typeEPNSO_ISJ_E10value_typeEPSK_NS1_7vsmem_tEENKUlT_SI_SJ_SK_E_clISD_PsSD_S10_EESH_SX_SI_SJ_SK_EUlSX_E0_NS1_11comp_targetILNS1_3genE3ELNS1_11target_archE908ELNS1_3gpuE7ELNS1_3repE0EEENS1_38merge_mergepath_config_static_selectorELNS0_4arch9wavefront6targetE1EEEvSJ_.has_recursion, 0
	.set _ZN7rocprim17ROCPRIM_400000_NS6detail17trampoline_kernelINS0_14default_configENS1_38merge_sort_block_merge_config_selectorIssEEZZNS1_27merge_sort_block_merge_implIS3_N6thrust23THRUST_200600_302600_NS6detail15normal_iteratorINS8_10device_ptrIsEEEESD_jNS1_19radix_merge_compareILb0ELb1EsNS0_19identity_decomposerEEEEE10hipError_tT0_T1_T2_jT3_P12ihipStream_tbPNSt15iterator_traitsISI_E10value_typeEPNSO_ISJ_E10value_typeEPSK_NS1_7vsmem_tEENKUlT_SI_SJ_SK_E_clISD_PsSD_S10_EESH_SX_SI_SJ_SK_EUlSX_E0_NS1_11comp_targetILNS1_3genE3ELNS1_11target_archE908ELNS1_3gpuE7ELNS1_3repE0EEENS1_38merge_mergepath_config_static_selectorELNS0_4arch9wavefront6targetE1EEEvSJ_.has_indirect_call, 0
	.section	.AMDGPU.csdata,"",@progbits
; Kernel info:
; codeLenInByte = 0
; TotalNumSgprs: 6
; NumVgprs: 0
; NumAgprs: 0
; TotalNumVgprs: 0
; ScratchSize: 0
; MemoryBound: 0
; FloatMode: 240
; IeeeMode: 1
; LDSByteSize: 0 bytes/workgroup (compile time only)
; SGPRBlocks: 0
; VGPRBlocks: 0
; NumSGPRsForWavesPerEU: 6
; NumVGPRsForWavesPerEU: 1
; AccumOffset: 4
; Occupancy: 8
; WaveLimiterHint : 0
; COMPUTE_PGM_RSRC2:SCRATCH_EN: 0
; COMPUTE_PGM_RSRC2:USER_SGPR: 2
; COMPUTE_PGM_RSRC2:TRAP_HANDLER: 0
; COMPUTE_PGM_RSRC2:TGID_X_EN: 1
; COMPUTE_PGM_RSRC2:TGID_Y_EN: 0
; COMPUTE_PGM_RSRC2:TGID_Z_EN: 0
; COMPUTE_PGM_RSRC2:TIDIG_COMP_CNT: 0
; COMPUTE_PGM_RSRC3_GFX90A:ACCUM_OFFSET: 0
; COMPUTE_PGM_RSRC3_GFX90A:TG_SPLIT: 0
	.section	.text._ZN7rocprim17ROCPRIM_400000_NS6detail17trampoline_kernelINS0_14default_configENS1_38merge_sort_block_merge_config_selectorIssEEZZNS1_27merge_sort_block_merge_implIS3_N6thrust23THRUST_200600_302600_NS6detail15normal_iteratorINS8_10device_ptrIsEEEESD_jNS1_19radix_merge_compareILb0ELb1EsNS0_19identity_decomposerEEEEE10hipError_tT0_T1_T2_jT3_P12ihipStream_tbPNSt15iterator_traitsISI_E10value_typeEPNSO_ISJ_E10value_typeEPSK_NS1_7vsmem_tEENKUlT_SI_SJ_SK_E_clISD_PsSD_S10_EESH_SX_SI_SJ_SK_EUlSX_E0_NS1_11comp_targetILNS1_3genE2ELNS1_11target_archE906ELNS1_3gpuE6ELNS1_3repE0EEENS1_38merge_mergepath_config_static_selectorELNS0_4arch9wavefront6targetE1EEEvSJ_,"axG",@progbits,_ZN7rocprim17ROCPRIM_400000_NS6detail17trampoline_kernelINS0_14default_configENS1_38merge_sort_block_merge_config_selectorIssEEZZNS1_27merge_sort_block_merge_implIS3_N6thrust23THRUST_200600_302600_NS6detail15normal_iteratorINS8_10device_ptrIsEEEESD_jNS1_19radix_merge_compareILb0ELb1EsNS0_19identity_decomposerEEEEE10hipError_tT0_T1_T2_jT3_P12ihipStream_tbPNSt15iterator_traitsISI_E10value_typeEPNSO_ISJ_E10value_typeEPSK_NS1_7vsmem_tEENKUlT_SI_SJ_SK_E_clISD_PsSD_S10_EESH_SX_SI_SJ_SK_EUlSX_E0_NS1_11comp_targetILNS1_3genE2ELNS1_11target_archE906ELNS1_3gpuE6ELNS1_3repE0EEENS1_38merge_mergepath_config_static_selectorELNS0_4arch9wavefront6targetE1EEEvSJ_,comdat
	.protected	_ZN7rocprim17ROCPRIM_400000_NS6detail17trampoline_kernelINS0_14default_configENS1_38merge_sort_block_merge_config_selectorIssEEZZNS1_27merge_sort_block_merge_implIS3_N6thrust23THRUST_200600_302600_NS6detail15normal_iteratorINS8_10device_ptrIsEEEESD_jNS1_19radix_merge_compareILb0ELb1EsNS0_19identity_decomposerEEEEE10hipError_tT0_T1_T2_jT3_P12ihipStream_tbPNSt15iterator_traitsISI_E10value_typeEPNSO_ISJ_E10value_typeEPSK_NS1_7vsmem_tEENKUlT_SI_SJ_SK_E_clISD_PsSD_S10_EESH_SX_SI_SJ_SK_EUlSX_E0_NS1_11comp_targetILNS1_3genE2ELNS1_11target_archE906ELNS1_3gpuE6ELNS1_3repE0EEENS1_38merge_mergepath_config_static_selectorELNS0_4arch9wavefront6targetE1EEEvSJ_ ; -- Begin function _ZN7rocprim17ROCPRIM_400000_NS6detail17trampoline_kernelINS0_14default_configENS1_38merge_sort_block_merge_config_selectorIssEEZZNS1_27merge_sort_block_merge_implIS3_N6thrust23THRUST_200600_302600_NS6detail15normal_iteratorINS8_10device_ptrIsEEEESD_jNS1_19radix_merge_compareILb0ELb1EsNS0_19identity_decomposerEEEEE10hipError_tT0_T1_T2_jT3_P12ihipStream_tbPNSt15iterator_traitsISI_E10value_typeEPNSO_ISJ_E10value_typeEPSK_NS1_7vsmem_tEENKUlT_SI_SJ_SK_E_clISD_PsSD_S10_EESH_SX_SI_SJ_SK_EUlSX_E0_NS1_11comp_targetILNS1_3genE2ELNS1_11target_archE906ELNS1_3gpuE6ELNS1_3repE0EEENS1_38merge_mergepath_config_static_selectorELNS0_4arch9wavefront6targetE1EEEvSJ_
	.globl	_ZN7rocprim17ROCPRIM_400000_NS6detail17trampoline_kernelINS0_14default_configENS1_38merge_sort_block_merge_config_selectorIssEEZZNS1_27merge_sort_block_merge_implIS3_N6thrust23THRUST_200600_302600_NS6detail15normal_iteratorINS8_10device_ptrIsEEEESD_jNS1_19radix_merge_compareILb0ELb1EsNS0_19identity_decomposerEEEEE10hipError_tT0_T1_T2_jT3_P12ihipStream_tbPNSt15iterator_traitsISI_E10value_typeEPNSO_ISJ_E10value_typeEPSK_NS1_7vsmem_tEENKUlT_SI_SJ_SK_E_clISD_PsSD_S10_EESH_SX_SI_SJ_SK_EUlSX_E0_NS1_11comp_targetILNS1_3genE2ELNS1_11target_archE906ELNS1_3gpuE6ELNS1_3repE0EEENS1_38merge_mergepath_config_static_selectorELNS0_4arch9wavefront6targetE1EEEvSJ_
	.p2align	8
	.type	_ZN7rocprim17ROCPRIM_400000_NS6detail17trampoline_kernelINS0_14default_configENS1_38merge_sort_block_merge_config_selectorIssEEZZNS1_27merge_sort_block_merge_implIS3_N6thrust23THRUST_200600_302600_NS6detail15normal_iteratorINS8_10device_ptrIsEEEESD_jNS1_19radix_merge_compareILb0ELb1EsNS0_19identity_decomposerEEEEE10hipError_tT0_T1_T2_jT3_P12ihipStream_tbPNSt15iterator_traitsISI_E10value_typeEPNSO_ISJ_E10value_typeEPSK_NS1_7vsmem_tEENKUlT_SI_SJ_SK_E_clISD_PsSD_S10_EESH_SX_SI_SJ_SK_EUlSX_E0_NS1_11comp_targetILNS1_3genE2ELNS1_11target_archE906ELNS1_3gpuE6ELNS1_3repE0EEENS1_38merge_mergepath_config_static_selectorELNS0_4arch9wavefront6targetE1EEEvSJ_,@function
_ZN7rocprim17ROCPRIM_400000_NS6detail17trampoline_kernelINS0_14default_configENS1_38merge_sort_block_merge_config_selectorIssEEZZNS1_27merge_sort_block_merge_implIS3_N6thrust23THRUST_200600_302600_NS6detail15normal_iteratorINS8_10device_ptrIsEEEESD_jNS1_19radix_merge_compareILb0ELb1EsNS0_19identity_decomposerEEEEE10hipError_tT0_T1_T2_jT3_P12ihipStream_tbPNSt15iterator_traitsISI_E10value_typeEPNSO_ISJ_E10value_typeEPSK_NS1_7vsmem_tEENKUlT_SI_SJ_SK_E_clISD_PsSD_S10_EESH_SX_SI_SJ_SK_EUlSX_E0_NS1_11comp_targetILNS1_3genE2ELNS1_11target_archE906ELNS1_3gpuE6ELNS1_3repE0EEENS1_38merge_mergepath_config_static_selectorELNS0_4arch9wavefront6targetE1EEEvSJ_: ; @_ZN7rocprim17ROCPRIM_400000_NS6detail17trampoline_kernelINS0_14default_configENS1_38merge_sort_block_merge_config_selectorIssEEZZNS1_27merge_sort_block_merge_implIS3_N6thrust23THRUST_200600_302600_NS6detail15normal_iteratorINS8_10device_ptrIsEEEESD_jNS1_19radix_merge_compareILb0ELb1EsNS0_19identity_decomposerEEEEE10hipError_tT0_T1_T2_jT3_P12ihipStream_tbPNSt15iterator_traitsISI_E10value_typeEPNSO_ISJ_E10value_typeEPSK_NS1_7vsmem_tEENKUlT_SI_SJ_SK_E_clISD_PsSD_S10_EESH_SX_SI_SJ_SK_EUlSX_E0_NS1_11comp_targetILNS1_3genE2ELNS1_11target_archE906ELNS1_3gpuE6ELNS1_3repE0EEENS1_38merge_mergepath_config_static_selectorELNS0_4arch9wavefront6targetE1EEEvSJ_
; %bb.0:
	.section	.rodata,"a",@progbits
	.p2align	6, 0x0
	.amdhsa_kernel _ZN7rocprim17ROCPRIM_400000_NS6detail17trampoline_kernelINS0_14default_configENS1_38merge_sort_block_merge_config_selectorIssEEZZNS1_27merge_sort_block_merge_implIS3_N6thrust23THRUST_200600_302600_NS6detail15normal_iteratorINS8_10device_ptrIsEEEESD_jNS1_19radix_merge_compareILb0ELb1EsNS0_19identity_decomposerEEEEE10hipError_tT0_T1_T2_jT3_P12ihipStream_tbPNSt15iterator_traitsISI_E10value_typeEPNSO_ISJ_E10value_typeEPSK_NS1_7vsmem_tEENKUlT_SI_SJ_SK_E_clISD_PsSD_S10_EESH_SX_SI_SJ_SK_EUlSX_E0_NS1_11comp_targetILNS1_3genE2ELNS1_11target_archE906ELNS1_3gpuE6ELNS1_3repE0EEENS1_38merge_mergepath_config_static_selectorELNS0_4arch9wavefront6targetE1EEEvSJ_
		.amdhsa_group_segment_fixed_size 0
		.amdhsa_private_segment_fixed_size 0
		.amdhsa_kernarg_size 64
		.amdhsa_user_sgpr_count 2
		.amdhsa_user_sgpr_dispatch_ptr 0
		.amdhsa_user_sgpr_queue_ptr 0
		.amdhsa_user_sgpr_kernarg_segment_ptr 1
		.amdhsa_user_sgpr_dispatch_id 0
		.amdhsa_user_sgpr_kernarg_preload_length 0
		.amdhsa_user_sgpr_kernarg_preload_offset 0
		.amdhsa_user_sgpr_private_segment_size 0
		.amdhsa_uses_dynamic_stack 0
		.amdhsa_enable_private_segment 0
		.amdhsa_system_sgpr_workgroup_id_x 1
		.amdhsa_system_sgpr_workgroup_id_y 0
		.amdhsa_system_sgpr_workgroup_id_z 0
		.amdhsa_system_sgpr_workgroup_info 0
		.amdhsa_system_vgpr_workitem_id 0
		.amdhsa_next_free_vgpr 1
		.amdhsa_next_free_sgpr 0
		.amdhsa_accum_offset 4
		.amdhsa_reserve_vcc 0
		.amdhsa_float_round_mode_32 0
		.amdhsa_float_round_mode_16_64 0
		.amdhsa_float_denorm_mode_32 3
		.amdhsa_float_denorm_mode_16_64 3
		.amdhsa_dx10_clamp 1
		.amdhsa_ieee_mode 1
		.amdhsa_fp16_overflow 0
		.amdhsa_tg_split 0
		.amdhsa_exception_fp_ieee_invalid_op 0
		.amdhsa_exception_fp_denorm_src 0
		.amdhsa_exception_fp_ieee_div_zero 0
		.amdhsa_exception_fp_ieee_overflow 0
		.amdhsa_exception_fp_ieee_underflow 0
		.amdhsa_exception_fp_ieee_inexact 0
		.amdhsa_exception_int_div_zero 0
	.end_amdhsa_kernel
	.section	.text._ZN7rocprim17ROCPRIM_400000_NS6detail17trampoline_kernelINS0_14default_configENS1_38merge_sort_block_merge_config_selectorIssEEZZNS1_27merge_sort_block_merge_implIS3_N6thrust23THRUST_200600_302600_NS6detail15normal_iteratorINS8_10device_ptrIsEEEESD_jNS1_19radix_merge_compareILb0ELb1EsNS0_19identity_decomposerEEEEE10hipError_tT0_T1_T2_jT3_P12ihipStream_tbPNSt15iterator_traitsISI_E10value_typeEPNSO_ISJ_E10value_typeEPSK_NS1_7vsmem_tEENKUlT_SI_SJ_SK_E_clISD_PsSD_S10_EESH_SX_SI_SJ_SK_EUlSX_E0_NS1_11comp_targetILNS1_3genE2ELNS1_11target_archE906ELNS1_3gpuE6ELNS1_3repE0EEENS1_38merge_mergepath_config_static_selectorELNS0_4arch9wavefront6targetE1EEEvSJ_,"axG",@progbits,_ZN7rocprim17ROCPRIM_400000_NS6detail17trampoline_kernelINS0_14default_configENS1_38merge_sort_block_merge_config_selectorIssEEZZNS1_27merge_sort_block_merge_implIS3_N6thrust23THRUST_200600_302600_NS6detail15normal_iteratorINS8_10device_ptrIsEEEESD_jNS1_19radix_merge_compareILb0ELb1EsNS0_19identity_decomposerEEEEE10hipError_tT0_T1_T2_jT3_P12ihipStream_tbPNSt15iterator_traitsISI_E10value_typeEPNSO_ISJ_E10value_typeEPSK_NS1_7vsmem_tEENKUlT_SI_SJ_SK_E_clISD_PsSD_S10_EESH_SX_SI_SJ_SK_EUlSX_E0_NS1_11comp_targetILNS1_3genE2ELNS1_11target_archE906ELNS1_3gpuE6ELNS1_3repE0EEENS1_38merge_mergepath_config_static_selectorELNS0_4arch9wavefront6targetE1EEEvSJ_,comdat
.Lfunc_end1604:
	.size	_ZN7rocprim17ROCPRIM_400000_NS6detail17trampoline_kernelINS0_14default_configENS1_38merge_sort_block_merge_config_selectorIssEEZZNS1_27merge_sort_block_merge_implIS3_N6thrust23THRUST_200600_302600_NS6detail15normal_iteratorINS8_10device_ptrIsEEEESD_jNS1_19radix_merge_compareILb0ELb1EsNS0_19identity_decomposerEEEEE10hipError_tT0_T1_T2_jT3_P12ihipStream_tbPNSt15iterator_traitsISI_E10value_typeEPNSO_ISJ_E10value_typeEPSK_NS1_7vsmem_tEENKUlT_SI_SJ_SK_E_clISD_PsSD_S10_EESH_SX_SI_SJ_SK_EUlSX_E0_NS1_11comp_targetILNS1_3genE2ELNS1_11target_archE906ELNS1_3gpuE6ELNS1_3repE0EEENS1_38merge_mergepath_config_static_selectorELNS0_4arch9wavefront6targetE1EEEvSJ_, .Lfunc_end1604-_ZN7rocprim17ROCPRIM_400000_NS6detail17trampoline_kernelINS0_14default_configENS1_38merge_sort_block_merge_config_selectorIssEEZZNS1_27merge_sort_block_merge_implIS3_N6thrust23THRUST_200600_302600_NS6detail15normal_iteratorINS8_10device_ptrIsEEEESD_jNS1_19radix_merge_compareILb0ELb1EsNS0_19identity_decomposerEEEEE10hipError_tT0_T1_T2_jT3_P12ihipStream_tbPNSt15iterator_traitsISI_E10value_typeEPNSO_ISJ_E10value_typeEPSK_NS1_7vsmem_tEENKUlT_SI_SJ_SK_E_clISD_PsSD_S10_EESH_SX_SI_SJ_SK_EUlSX_E0_NS1_11comp_targetILNS1_3genE2ELNS1_11target_archE906ELNS1_3gpuE6ELNS1_3repE0EEENS1_38merge_mergepath_config_static_selectorELNS0_4arch9wavefront6targetE1EEEvSJ_
                                        ; -- End function
	.set _ZN7rocprim17ROCPRIM_400000_NS6detail17trampoline_kernelINS0_14default_configENS1_38merge_sort_block_merge_config_selectorIssEEZZNS1_27merge_sort_block_merge_implIS3_N6thrust23THRUST_200600_302600_NS6detail15normal_iteratorINS8_10device_ptrIsEEEESD_jNS1_19radix_merge_compareILb0ELb1EsNS0_19identity_decomposerEEEEE10hipError_tT0_T1_T2_jT3_P12ihipStream_tbPNSt15iterator_traitsISI_E10value_typeEPNSO_ISJ_E10value_typeEPSK_NS1_7vsmem_tEENKUlT_SI_SJ_SK_E_clISD_PsSD_S10_EESH_SX_SI_SJ_SK_EUlSX_E0_NS1_11comp_targetILNS1_3genE2ELNS1_11target_archE906ELNS1_3gpuE6ELNS1_3repE0EEENS1_38merge_mergepath_config_static_selectorELNS0_4arch9wavefront6targetE1EEEvSJ_.num_vgpr, 0
	.set _ZN7rocprim17ROCPRIM_400000_NS6detail17trampoline_kernelINS0_14default_configENS1_38merge_sort_block_merge_config_selectorIssEEZZNS1_27merge_sort_block_merge_implIS3_N6thrust23THRUST_200600_302600_NS6detail15normal_iteratorINS8_10device_ptrIsEEEESD_jNS1_19radix_merge_compareILb0ELb1EsNS0_19identity_decomposerEEEEE10hipError_tT0_T1_T2_jT3_P12ihipStream_tbPNSt15iterator_traitsISI_E10value_typeEPNSO_ISJ_E10value_typeEPSK_NS1_7vsmem_tEENKUlT_SI_SJ_SK_E_clISD_PsSD_S10_EESH_SX_SI_SJ_SK_EUlSX_E0_NS1_11comp_targetILNS1_3genE2ELNS1_11target_archE906ELNS1_3gpuE6ELNS1_3repE0EEENS1_38merge_mergepath_config_static_selectorELNS0_4arch9wavefront6targetE1EEEvSJ_.num_agpr, 0
	.set _ZN7rocprim17ROCPRIM_400000_NS6detail17trampoline_kernelINS0_14default_configENS1_38merge_sort_block_merge_config_selectorIssEEZZNS1_27merge_sort_block_merge_implIS3_N6thrust23THRUST_200600_302600_NS6detail15normal_iteratorINS8_10device_ptrIsEEEESD_jNS1_19radix_merge_compareILb0ELb1EsNS0_19identity_decomposerEEEEE10hipError_tT0_T1_T2_jT3_P12ihipStream_tbPNSt15iterator_traitsISI_E10value_typeEPNSO_ISJ_E10value_typeEPSK_NS1_7vsmem_tEENKUlT_SI_SJ_SK_E_clISD_PsSD_S10_EESH_SX_SI_SJ_SK_EUlSX_E0_NS1_11comp_targetILNS1_3genE2ELNS1_11target_archE906ELNS1_3gpuE6ELNS1_3repE0EEENS1_38merge_mergepath_config_static_selectorELNS0_4arch9wavefront6targetE1EEEvSJ_.numbered_sgpr, 0
	.set _ZN7rocprim17ROCPRIM_400000_NS6detail17trampoline_kernelINS0_14default_configENS1_38merge_sort_block_merge_config_selectorIssEEZZNS1_27merge_sort_block_merge_implIS3_N6thrust23THRUST_200600_302600_NS6detail15normal_iteratorINS8_10device_ptrIsEEEESD_jNS1_19radix_merge_compareILb0ELb1EsNS0_19identity_decomposerEEEEE10hipError_tT0_T1_T2_jT3_P12ihipStream_tbPNSt15iterator_traitsISI_E10value_typeEPNSO_ISJ_E10value_typeEPSK_NS1_7vsmem_tEENKUlT_SI_SJ_SK_E_clISD_PsSD_S10_EESH_SX_SI_SJ_SK_EUlSX_E0_NS1_11comp_targetILNS1_3genE2ELNS1_11target_archE906ELNS1_3gpuE6ELNS1_3repE0EEENS1_38merge_mergepath_config_static_selectorELNS0_4arch9wavefront6targetE1EEEvSJ_.num_named_barrier, 0
	.set _ZN7rocprim17ROCPRIM_400000_NS6detail17trampoline_kernelINS0_14default_configENS1_38merge_sort_block_merge_config_selectorIssEEZZNS1_27merge_sort_block_merge_implIS3_N6thrust23THRUST_200600_302600_NS6detail15normal_iteratorINS8_10device_ptrIsEEEESD_jNS1_19radix_merge_compareILb0ELb1EsNS0_19identity_decomposerEEEEE10hipError_tT0_T1_T2_jT3_P12ihipStream_tbPNSt15iterator_traitsISI_E10value_typeEPNSO_ISJ_E10value_typeEPSK_NS1_7vsmem_tEENKUlT_SI_SJ_SK_E_clISD_PsSD_S10_EESH_SX_SI_SJ_SK_EUlSX_E0_NS1_11comp_targetILNS1_3genE2ELNS1_11target_archE906ELNS1_3gpuE6ELNS1_3repE0EEENS1_38merge_mergepath_config_static_selectorELNS0_4arch9wavefront6targetE1EEEvSJ_.private_seg_size, 0
	.set _ZN7rocprim17ROCPRIM_400000_NS6detail17trampoline_kernelINS0_14default_configENS1_38merge_sort_block_merge_config_selectorIssEEZZNS1_27merge_sort_block_merge_implIS3_N6thrust23THRUST_200600_302600_NS6detail15normal_iteratorINS8_10device_ptrIsEEEESD_jNS1_19radix_merge_compareILb0ELb1EsNS0_19identity_decomposerEEEEE10hipError_tT0_T1_T2_jT3_P12ihipStream_tbPNSt15iterator_traitsISI_E10value_typeEPNSO_ISJ_E10value_typeEPSK_NS1_7vsmem_tEENKUlT_SI_SJ_SK_E_clISD_PsSD_S10_EESH_SX_SI_SJ_SK_EUlSX_E0_NS1_11comp_targetILNS1_3genE2ELNS1_11target_archE906ELNS1_3gpuE6ELNS1_3repE0EEENS1_38merge_mergepath_config_static_selectorELNS0_4arch9wavefront6targetE1EEEvSJ_.uses_vcc, 0
	.set _ZN7rocprim17ROCPRIM_400000_NS6detail17trampoline_kernelINS0_14default_configENS1_38merge_sort_block_merge_config_selectorIssEEZZNS1_27merge_sort_block_merge_implIS3_N6thrust23THRUST_200600_302600_NS6detail15normal_iteratorINS8_10device_ptrIsEEEESD_jNS1_19radix_merge_compareILb0ELb1EsNS0_19identity_decomposerEEEEE10hipError_tT0_T1_T2_jT3_P12ihipStream_tbPNSt15iterator_traitsISI_E10value_typeEPNSO_ISJ_E10value_typeEPSK_NS1_7vsmem_tEENKUlT_SI_SJ_SK_E_clISD_PsSD_S10_EESH_SX_SI_SJ_SK_EUlSX_E0_NS1_11comp_targetILNS1_3genE2ELNS1_11target_archE906ELNS1_3gpuE6ELNS1_3repE0EEENS1_38merge_mergepath_config_static_selectorELNS0_4arch9wavefront6targetE1EEEvSJ_.uses_flat_scratch, 0
	.set _ZN7rocprim17ROCPRIM_400000_NS6detail17trampoline_kernelINS0_14default_configENS1_38merge_sort_block_merge_config_selectorIssEEZZNS1_27merge_sort_block_merge_implIS3_N6thrust23THRUST_200600_302600_NS6detail15normal_iteratorINS8_10device_ptrIsEEEESD_jNS1_19radix_merge_compareILb0ELb1EsNS0_19identity_decomposerEEEEE10hipError_tT0_T1_T2_jT3_P12ihipStream_tbPNSt15iterator_traitsISI_E10value_typeEPNSO_ISJ_E10value_typeEPSK_NS1_7vsmem_tEENKUlT_SI_SJ_SK_E_clISD_PsSD_S10_EESH_SX_SI_SJ_SK_EUlSX_E0_NS1_11comp_targetILNS1_3genE2ELNS1_11target_archE906ELNS1_3gpuE6ELNS1_3repE0EEENS1_38merge_mergepath_config_static_selectorELNS0_4arch9wavefront6targetE1EEEvSJ_.has_dyn_sized_stack, 0
	.set _ZN7rocprim17ROCPRIM_400000_NS6detail17trampoline_kernelINS0_14default_configENS1_38merge_sort_block_merge_config_selectorIssEEZZNS1_27merge_sort_block_merge_implIS3_N6thrust23THRUST_200600_302600_NS6detail15normal_iteratorINS8_10device_ptrIsEEEESD_jNS1_19radix_merge_compareILb0ELb1EsNS0_19identity_decomposerEEEEE10hipError_tT0_T1_T2_jT3_P12ihipStream_tbPNSt15iterator_traitsISI_E10value_typeEPNSO_ISJ_E10value_typeEPSK_NS1_7vsmem_tEENKUlT_SI_SJ_SK_E_clISD_PsSD_S10_EESH_SX_SI_SJ_SK_EUlSX_E0_NS1_11comp_targetILNS1_3genE2ELNS1_11target_archE906ELNS1_3gpuE6ELNS1_3repE0EEENS1_38merge_mergepath_config_static_selectorELNS0_4arch9wavefront6targetE1EEEvSJ_.has_recursion, 0
	.set _ZN7rocprim17ROCPRIM_400000_NS6detail17trampoline_kernelINS0_14default_configENS1_38merge_sort_block_merge_config_selectorIssEEZZNS1_27merge_sort_block_merge_implIS3_N6thrust23THRUST_200600_302600_NS6detail15normal_iteratorINS8_10device_ptrIsEEEESD_jNS1_19radix_merge_compareILb0ELb1EsNS0_19identity_decomposerEEEEE10hipError_tT0_T1_T2_jT3_P12ihipStream_tbPNSt15iterator_traitsISI_E10value_typeEPNSO_ISJ_E10value_typeEPSK_NS1_7vsmem_tEENKUlT_SI_SJ_SK_E_clISD_PsSD_S10_EESH_SX_SI_SJ_SK_EUlSX_E0_NS1_11comp_targetILNS1_3genE2ELNS1_11target_archE906ELNS1_3gpuE6ELNS1_3repE0EEENS1_38merge_mergepath_config_static_selectorELNS0_4arch9wavefront6targetE1EEEvSJ_.has_indirect_call, 0
	.section	.AMDGPU.csdata,"",@progbits
; Kernel info:
; codeLenInByte = 0
; TotalNumSgprs: 6
; NumVgprs: 0
; NumAgprs: 0
; TotalNumVgprs: 0
; ScratchSize: 0
; MemoryBound: 0
; FloatMode: 240
; IeeeMode: 1
; LDSByteSize: 0 bytes/workgroup (compile time only)
; SGPRBlocks: 0
; VGPRBlocks: 0
; NumSGPRsForWavesPerEU: 6
; NumVGPRsForWavesPerEU: 1
; AccumOffset: 4
; Occupancy: 8
; WaveLimiterHint : 0
; COMPUTE_PGM_RSRC2:SCRATCH_EN: 0
; COMPUTE_PGM_RSRC2:USER_SGPR: 2
; COMPUTE_PGM_RSRC2:TRAP_HANDLER: 0
; COMPUTE_PGM_RSRC2:TGID_X_EN: 1
; COMPUTE_PGM_RSRC2:TGID_Y_EN: 0
; COMPUTE_PGM_RSRC2:TGID_Z_EN: 0
; COMPUTE_PGM_RSRC2:TIDIG_COMP_CNT: 0
; COMPUTE_PGM_RSRC3_GFX90A:ACCUM_OFFSET: 0
; COMPUTE_PGM_RSRC3_GFX90A:TG_SPLIT: 0
	.section	.text._ZN7rocprim17ROCPRIM_400000_NS6detail17trampoline_kernelINS0_14default_configENS1_38merge_sort_block_merge_config_selectorIssEEZZNS1_27merge_sort_block_merge_implIS3_N6thrust23THRUST_200600_302600_NS6detail15normal_iteratorINS8_10device_ptrIsEEEESD_jNS1_19radix_merge_compareILb0ELb1EsNS0_19identity_decomposerEEEEE10hipError_tT0_T1_T2_jT3_P12ihipStream_tbPNSt15iterator_traitsISI_E10value_typeEPNSO_ISJ_E10value_typeEPSK_NS1_7vsmem_tEENKUlT_SI_SJ_SK_E_clISD_PsSD_S10_EESH_SX_SI_SJ_SK_EUlSX_E0_NS1_11comp_targetILNS1_3genE9ELNS1_11target_archE1100ELNS1_3gpuE3ELNS1_3repE0EEENS1_38merge_mergepath_config_static_selectorELNS0_4arch9wavefront6targetE1EEEvSJ_,"axG",@progbits,_ZN7rocprim17ROCPRIM_400000_NS6detail17trampoline_kernelINS0_14default_configENS1_38merge_sort_block_merge_config_selectorIssEEZZNS1_27merge_sort_block_merge_implIS3_N6thrust23THRUST_200600_302600_NS6detail15normal_iteratorINS8_10device_ptrIsEEEESD_jNS1_19radix_merge_compareILb0ELb1EsNS0_19identity_decomposerEEEEE10hipError_tT0_T1_T2_jT3_P12ihipStream_tbPNSt15iterator_traitsISI_E10value_typeEPNSO_ISJ_E10value_typeEPSK_NS1_7vsmem_tEENKUlT_SI_SJ_SK_E_clISD_PsSD_S10_EESH_SX_SI_SJ_SK_EUlSX_E0_NS1_11comp_targetILNS1_3genE9ELNS1_11target_archE1100ELNS1_3gpuE3ELNS1_3repE0EEENS1_38merge_mergepath_config_static_selectorELNS0_4arch9wavefront6targetE1EEEvSJ_,comdat
	.protected	_ZN7rocprim17ROCPRIM_400000_NS6detail17trampoline_kernelINS0_14default_configENS1_38merge_sort_block_merge_config_selectorIssEEZZNS1_27merge_sort_block_merge_implIS3_N6thrust23THRUST_200600_302600_NS6detail15normal_iteratorINS8_10device_ptrIsEEEESD_jNS1_19radix_merge_compareILb0ELb1EsNS0_19identity_decomposerEEEEE10hipError_tT0_T1_T2_jT3_P12ihipStream_tbPNSt15iterator_traitsISI_E10value_typeEPNSO_ISJ_E10value_typeEPSK_NS1_7vsmem_tEENKUlT_SI_SJ_SK_E_clISD_PsSD_S10_EESH_SX_SI_SJ_SK_EUlSX_E0_NS1_11comp_targetILNS1_3genE9ELNS1_11target_archE1100ELNS1_3gpuE3ELNS1_3repE0EEENS1_38merge_mergepath_config_static_selectorELNS0_4arch9wavefront6targetE1EEEvSJ_ ; -- Begin function _ZN7rocprim17ROCPRIM_400000_NS6detail17trampoline_kernelINS0_14default_configENS1_38merge_sort_block_merge_config_selectorIssEEZZNS1_27merge_sort_block_merge_implIS3_N6thrust23THRUST_200600_302600_NS6detail15normal_iteratorINS8_10device_ptrIsEEEESD_jNS1_19radix_merge_compareILb0ELb1EsNS0_19identity_decomposerEEEEE10hipError_tT0_T1_T2_jT3_P12ihipStream_tbPNSt15iterator_traitsISI_E10value_typeEPNSO_ISJ_E10value_typeEPSK_NS1_7vsmem_tEENKUlT_SI_SJ_SK_E_clISD_PsSD_S10_EESH_SX_SI_SJ_SK_EUlSX_E0_NS1_11comp_targetILNS1_3genE9ELNS1_11target_archE1100ELNS1_3gpuE3ELNS1_3repE0EEENS1_38merge_mergepath_config_static_selectorELNS0_4arch9wavefront6targetE1EEEvSJ_
	.globl	_ZN7rocprim17ROCPRIM_400000_NS6detail17trampoline_kernelINS0_14default_configENS1_38merge_sort_block_merge_config_selectorIssEEZZNS1_27merge_sort_block_merge_implIS3_N6thrust23THRUST_200600_302600_NS6detail15normal_iteratorINS8_10device_ptrIsEEEESD_jNS1_19radix_merge_compareILb0ELb1EsNS0_19identity_decomposerEEEEE10hipError_tT0_T1_T2_jT3_P12ihipStream_tbPNSt15iterator_traitsISI_E10value_typeEPNSO_ISJ_E10value_typeEPSK_NS1_7vsmem_tEENKUlT_SI_SJ_SK_E_clISD_PsSD_S10_EESH_SX_SI_SJ_SK_EUlSX_E0_NS1_11comp_targetILNS1_3genE9ELNS1_11target_archE1100ELNS1_3gpuE3ELNS1_3repE0EEENS1_38merge_mergepath_config_static_selectorELNS0_4arch9wavefront6targetE1EEEvSJ_
	.p2align	8
	.type	_ZN7rocprim17ROCPRIM_400000_NS6detail17trampoline_kernelINS0_14default_configENS1_38merge_sort_block_merge_config_selectorIssEEZZNS1_27merge_sort_block_merge_implIS3_N6thrust23THRUST_200600_302600_NS6detail15normal_iteratorINS8_10device_ptrIsEEEESD_jNS1_19radix_merge_compareILb0ELb1EsNS0_19identity_decomposerEEEEE10hipError_tT0_T1_T2_jT3_P12ihipStream_tbPNSt15iterator_traitsISI_E10value_typeEPNSO_ISJ_E10value_typeEPSK_NS1_7vsmem_tEENKUlT_SI_SJ_SK_E_clISD_PsSD_S10_EESH_SX_SI_SJ_SK_EUlSX_E0_NS1_11comp_targetILNS1_3genE9ELNS1_11target_archE1100ELNS1_3gpuE3ELNS1_3repE0EEENS1_38merge_mergepath_config_static_selectorELNS0_4arch9wavefront6targetE1EEEvSJ_,@function
_ZN7rocprim17ROCPRIM_400000_NS6detail17trampoline_kernelINS0_14default_configENS1_38merge_sort_block_merge_config_selectorIssEEZZNS1_27merge_sort_block_merge_implIS3_N6thrust23THRUST_200600_302600_NS6detail15normal_iteratorINS8_10device_ptrIsEEEESD_jNS1_19radix_merge_compareILb0ELb1EsNS0_19identity_decomposerEEEEE10hipError_tT0_T1_T2_jT3_P12ihipStream_tbPNSt15iterator_traitsISI_E10value_typeEPNSO_ISJ_E10value_typeEPSK_NS1_7vsmem_tEENKUlT_SI_SJ_SK_E_clISD_PsSD_S10_EESH_SX_SI_SJ_SK_EUlSX_E0_NS1_11comp_targetILNS1_3genE9ELNS1_11target_archE1100ELNS1_3gpuE3ELNS1_3repE0EEENS1_38merge_mergepath_config_static_selectorELNS0_4arch9wavefront6targetE1EEEvSJ_: ; @_ZN7rocprim17ROCPRIM_400000_NS6detail17trampoline_kernelINS0_14default_configENS1_38merge_sort_block_merge_config_selectorIssEEZZNS1_27merge_sort_block_merge_implIS3_N6thrust23THRUST_200600_302600_NS6detail15normal_iteratorINS8_10device_ptrIsEEEESD_jNS1_19radix_merge_compareILb0ELb1EsNS0_19identity_decomposerEEEEE10hipError_tT0_T1_T2_jT3_P12ihipStream_tbPNSt15iterator_traitsISI_E10value_typeEPNSO_ISJ_E10value_typeEPSK_NS1_7vsmem_tEENKUlT_SI_SJ_SK_E_clISD_PsSD_S10_EESH_SX_SI_SJ_SK_EUlSX_E0_NS1_11comp_targetILNS1_3genE9ELNS1_11target_archE1100ELNS1_3gpuE3ELNS1_3repE0EEENS1_38merge_mergepath_config_static_selectorELNS0_4arch9wavefront6targetE1EEEvSJ_
; %bb.0:
	.section	.rodata,"a",@progbits
	.p2align	6, 0x0
	.amdhsa_kernel _ZN7rocprim17ROCPRIM_400000_NS6detail17trampoline_kernelINS0_14default_configENS1_38merge_sort_block_merge_config_selectorIssEEZZNS1_27merge_sort_block_merge_implIS3_N6thrust23THRUST_200600_302600_NS6detail15normal_iteratorINS8_10device_ptrIsEEEESD_jNS1_19radix_merge_compareILb0ELb1EsNS0_19identity_decomposerEEEEE10hipError_tT0_T1_T2_jT3_P12ihipStream_tbPNSt15iterator_traitsISI_E10value_typeEPNSO_ISJ_E10value_typeEPSK_NS1_7vsmem_tEENKUlT_SI_SJ_SK_E_clISD_PsSD_S10_EESH_SX_SI_SJ_SK_EUlSX_E0_NS1_11comp_targetILNS1_3genE9ELNS1_11target_archE1100ELNS1_3gpuE3ELNS1_3repE0EEENS1_38merge_mergepath_config_static_selectorELNS0_4arch9wavefront6targetE1EEEvSJ_
		.amdhsa_group_segment_fixed_size 0
		.amdhsa_private_segment_fixed_size 0
		.amdhsa_kernarg_size 64
		.amdhsa_user_sgpr_count 2
		.amdhsa_user_sgpr_dispatch_ptr 0
		.amdhsa_user_sgpr_queue_ptr 0
		.amdhsa_user_sgpr_kernarg_segment_ptr 1
		.amdhsa_user_sgpr_dispatch_id 0
		.amdhsa_user_sgpr_kernarg_preload_length 0
		.amdhsa_user_sgpr_kernarg_preload_offset 0
		.amdhsa_user_sgpr_private_segment_size 0
		.amdhsa_uses_dynamic_stack 0
		.amdhsa_enable_private_segment 0
		.amdhsa_system_sgpr_workgroup_id_x 1
		.amdhsa_system_sgpr_workgroup_id_y 0
		.amdhsa_system_sgpr_workgroup_id_z 0
		.amdhsa_system_sgpr_workgroup_info 0
		.amdhsa_system_vgpr_workitem_id 0
		.amdhsa_next_free_vgpr 1
		.amdhsa_next_free_sgpr 0
		.amdhsa_accum_offset 4
		.amdhsa_reserve_vcc 0
		.amdhsa_float_round_mode_32 0
		.amdhsa_float_round_mode_16_64 0
		.amdhsa_float_denorm_mode_32 3
		.amdhsa_float_denorm_mode_16_64 3
		.amdhsa_dx10_clamp 1
		.amdhsa_ieee_mode 1
		.amdhsa_fp16_overflow 0
		.amdhsa_tg_split 0
		.amdhsa_exception_fp_ieee_invalid_op 0
		.amdhsa_exception_fp_denorm_src 0
		.amdhsa_exception_fp_ieee_div_zero 0
		.amdhsa_exception_fp_ieee_overflow 0
		.amdhsa_exception_fp_ieee_underflow 0
		.amdhsa_exception_fp_ieee_inexact 0
		.amdhsa_exception_int_div_zero 0
	.end_amdhsa_kernel
	.section	.text._ZN7rocprim17ROCPRIM_400000_NS6detail17trampoline_kernelINS0_14default_configENS1_38merge_sort_block_merge_config_selectorIssEEZZNS1_27merge_sort_block_merge_implIS3_N6thrust23THRUST_200600_302600_NS6detail15normal_iteratorINS8_10device_ptrIsEEEESD_jNS1_19radix_merge_compareILb0ELb1EsNS0_19identity_decomposerEEEEE10hipError_tT0_T1_T2_jT3_P12ihipStream_tbPNSt15iterator_traitsISI_E10value_typeEPNSO_ISJ_E10value_typeEPSK_NS1_7vsmem_tEENKUlT_SI_SJ_SK_E_clISD_PsSD_S10_EESH_SX_SI_SJ_SK_EUlSX_E0_NS1_11comp_targetILNS1_3genE9ELNS1_11target_archE1100ELNS1_3gpuE3ELNS1_3repE0EEENS1_38merge_mergepath_config_static_selectorELNS0_4arch9wavefront6targetE1EEEvSJ_,"axG",@progbits,_ZN7rocprim17ROCPRIM_400000_NS6detail17trampoline_kernelINS0_14default_configENS1_38merge_sort_block_merge_config_selectorIssEEZZNS1_27merge_sort_block_merge_implIS3_N6thrust23THRUST_200600_302600_NS6detail15normal_iteratorINS8_10device_ptrIsEEEESD_jNS1_19radix_merge_compareILb0ELb1EsNS0_19identity_decomposerEEEEE10hipError_tT0_T1_T2_jT3_P12ihipStream_tbPNSt15iterator_traitsISI_E10value_typeEPNSO_ISJ_E10value_typeEPSK_NS1_7vsmem_tEENKUlT_SI_SJ_SK_E_clISD_PsSD_S10_EESH_SX_SI_SJ_SK_EUlSX_E0_NS1_11comp_targetILNS1_3genE9ELNS1_11target_archE1100ELNS1_3gpuE3ELNS1_3repE0EEENS1_38merge_mergepath_config_static_selectorELNS0_4arch9wavefront6targetE1EEEvSJ_,comdat
.Lfunc_end1605:
	.size	_ZN7rocprim17ROCPRIM_400000_NS6detail17trampoline_kernelINS0_14default_configENS1_38merge_sort_block_merge_config_selectorIssEEZZNS1_27merge_sort_block_merge_implIS3_N6thrust23THRUST_200600_302600_NS6detail15normal_iteratorINS8_10device_ptrIsEEEESD_jNS1_19radix_merge_compareILb0ELb1EsNS0_19identity_decomposerEEEEE10hipError_tT0_T1_T2_jT3_P12ihipStream_tbPNSt15iterator_traitsISI_E10value_typeEPNSO_ISJ_E10value_typeEPSK_NS1_7vsmem_tEENKUlT_SI_SJ_SK_E_clISD_PsSD_S10_EESH_SX_SI_SJ_SK_EUlSX_E0_NS1_11comp_targetILNS1_3genE9ELNS1_11target_archE1100ELNS1_3gpuE3ELNS1_3repE0EEENS1_38merge_mergepath_config_static_selectorELNS0_4arch9wavefront6targetE1EEEvSJ_, .Lfunc_end1605-_ZN7rocprim17ROCPRIM_400000_NS6detail17trampoline_kernelINS0_14default_configENS1_38merge_sort_block_merge_config_selectorIssEEZZNS1_27merge_sort_block_merge_implIS3_N6thrust23THRUST_200600_302600_NS6detail15normal_iteratorINS8_10device_ptrIsEEEESD_jNS1_19radix_merge_compareILb0ELb1EsNS0_19identity_decomposerEEEEE10hipError_tT0_T1_T2_jT3_P12ihipStream_tbPNSt15iterator_traitsISI_E10value_typeEPNSO_ISJ_E10value_typeEPSK_NS1_7vsmem_tEENKUlT_SI_SJ_SK_E_clISD_PsSD_S10_EESH_SX_SI_SJ_SK_EUlSX_E0_NS1_11comp_targetILNS1_3genE9ELNS1_11target_archE1100ELNS1_3gpuE3ELNS1_3repE0EEENS1_38merge_mergepath_config_static_selectorELNS0_4arch9wavefront6targetE1EEEvSJ_
                                        ; -- End function
	.set _ZN7rocprim17ROCPRIM_400000_NS6detail17trampoline_kernelINS0_14default_configENS1_38merge_sort_block_merge_config_selectorIssEEZZNS1_27merge_sort_block_merge_implIS3_N6thrust23THRUST_200600_302600_NS6detail15normal_iteratorINS8_10device_ptrIsEEEESD_jNS1_19radix_merge_compareILb0ELb1EsNS0_19identity_decomposerEEEEE10hipError_tT0_T1_T2_jT3_P12ihipStream_tbPNSt15iterator_traitsISI_E10value_typeEPNSO_ISJ_E10value_typeEPSK_NS1_7vsmem_tEENKUlT_SI_SJ_SK_E_clISD_PsSD_S10_EESH_SX_SI_SJ_SK_EUlSX_E0_NS1_11comp_targetILNS1_3genE9ELNS1_11target_archE1100ELNS1_3gpuE3ELNS1_3repE0EEENS1_38merge_mergepath_config_static_selectorELNS0_4arch9wavefront6targetE1EEEvSJ_.num_vgpr, 0
	.set _ZN7rocprim17ROCPRIM_400000_NS6detail17trampoline_kernelINS0_14default_configENS1_38merge_sort_block_merge_config_selectorIssEEZZNS1_27merge_sort_block_merge_implIS3_N6thrust23THRUST_200600_302600_NS6detail15normal_iteratorINS8_10device_ptrIsEEEESD_jNS1_19radix_merge_compareILb0ELb1EsNS0_19identity_decomposerEEEEE10hipError_tT0_T1_T2_jT3_P12ihipStream_tbPNSt15iterator_traitsISI_E10value_typeEPNSO_ISJ_E10value_typeEPSK_NS1_7vsmem_tEENKUlT_SI_SJ_SK_E_clISD_PsSD_S10_EESH_SX_SI_SJ_SK_EUlSX_E0_NS1_11comp_targetILNS1_3genE9ELNS1_11target_archE1100ELNS1_3gpuE3ELNS1_3repE0EEENS1_38merge_mergepath_config_static_selectorELNS0_4arch9wavefront6targetE1EEEvSJ_.num_agpr, 0
	.set _ZN7rocprim17ROCPRIM_400000_NS6detail17trampoline_kernelINS0_14default_configENS1_38merge_sort_block_merge_config_selectorIssEEZZNS1_27merge_sort_block_merge_implIS3_N6thrust23THRUST_200600_302600_NS6detail15normal_iteratorINS8_10device_ptrIsEEEESD_jNS1_19radix_merge_compareILb0ELb1EsNS0_19identity_decomposerEEEEE10hipError_tT0_T1_T2_jT3_P12ihipStream_tbPNSt15iterator_traitsISI_E10value_typeEPNSO_ISJ_E10value_typeEPSK_NS1_7vsmem_tEENKUlT_SI_SJ_SK_E_clISD_PsSD_S10_EESH_SX_SI_SJ_SK_EUlSX_E0_NS1_11comp_targetILNS1_3genE9ELNS1_11target_archE1100ELNS1_3gpuE3ELNS1_3repE0EEENS1_38merge_mergepath_config_static_selectorELNS0_4arch9wavefront6targetE1EEEvSJ_.numbered_sgpr, 0
	.set _ZN7rocprim17ROCPRIM_400000_NS6detail17trampoline_kernelINS0_14default_configENS1_38merge_sort_block_merge_config_selectorIssEEZZNS1_27merge_sort_block_merge_implIS3_N6thrust23THRUST_200600_302600_NS6detail15normal_iteratorINS8_10device_ptrIsEEEESD_jNS1_19radix_merge_compareILb0ELb1EsNS0_19identity_decomposerEEEEE10hipError_tT0_T1_T2_jT3_P12ihipStream_tbPNSt15iterator_traitsISI_E10value_typeEPNSO_ISJ_E10value_typeEPSK_NS1_7vsmem_tEENKUlT_SI_SJ_SK_E_clISD_PsSD_S10_EESH_SX_SI_SJ_SK_EUlSX_E0_NS1_11comp_targetILNS1_3genE9ELNS1_11target_archE1100ELNS1_3gpuE3ELNS1_3repE0EEENS1_38merge_mergepath_config_static_selectorELNS0_4arch9wavefront6targetE1EEEvSJ_.num_named_barrier, 0
	.set _ZN7rocprim17ROCPRIM_400000_NS6detail17trampoline_kernelINS0_14default_configENS1_38merge_sort_block_merge_config_selectorIssEEZZNS1_27merge_sort_block_merge_implIS3_N6thrust23THRUST_200600_302600_NS6detail15normal_iteratorINS8_10device_ptrIsEEEESD_jNS1_19radix_merge_compareILb0ELb1EsNS0_19identity_decomposerEEEEE10hipError_tT0_T1_T2_jT3_P12ihipStream_tbPNSt15iterator_traitsISI_E10value_typeEPNSO_ISJ_E10value_typeEPSK_NS1_7vsmem_tEENKUlT_SI_SJ_SK_E_clISD_PsSD_S10_EESH_SX_SI_SJ_SK_EUlSX_E0_NS1_11comp_targetILNS1_3genE9ELNS1_11target_archE1100ELNS1_3gpuE3ELNS1_3repE0EEENS1_38merge_mergepath_config_static_selectorELNS0_4arch9wavefront6targetE1EEEvSJ_.private_seg_size, 0
	.set _ZN7rocprim17ROCPRIM_400000_NS6detail17trampoline_kernelINS0_14default_configENS1_38merge_sort_block_merge_config_selectorIssEEZZNS1_27merge_sort_block_merge_implIS3_N6thrust23THRUST_200600_302600_NS6detail15normal_iteratorINS8_10device_ptrIsEEEESD_jNS1_19radix_merge_compareILb0ELb1EsNS0_19identity_decomposerEEEEE10hipError_tT0_T1_T2_jT3_P12ihipStream_tbPNSt15iterator_traitsISI_E10value_typeEPNSO_ISJ_E10value_typeEPSK_NS1_7vsmem_tEENKUlT_SI_SJ_SK_E_clISD_PsSD_S10_EESH_SX_SI_SJ_SK_EUlSX_E0_NS1_11comp_targetILNS1_3genE9ELNS1_11target_archE1100ELNS1_3gpuE3ELNS1_3repE0EEENS1_38merge_mergepath_config_static_selectorELNS0_4arch9wavefront6targetE1EEEvSJ_.uses_vcc, 0
	.set _ZN7rocprim17ROCPRIM_400000_NS6detail17trampoline_kernelINS0_14default_configENS1_38merge_sort_block_merge_config_selectorIssEEZZNS1_27merge_sort_block_merge_implIS3_N6thrust23THRUST_200600_302600_NS6detail15normal_iteratorINS8_10device_ptrIsEEEESD_jNS1_19radix_merge_compareILb0ELb1EsNS0_19identity_decomposerEEEEE10hipError_tT0_T1_T2_jT3_P12ihipStream_tbPNSt15iterator_traitsISI_E10value_typeEPNSO_ISJ_E10value_typeEPSK_NS1_7vsmem_tEENKUlT_SI_SJ_SK_E_clISD_PsSD_S10_EESH_SX_SI_SJ_SK_EUlSX_E0_NS1_11comp_targetILNS1_3genE9ELNS1_11target_archE1100ELNS1_3gpuE3ELNS1_3repE0EEENS1_38merge_mergepath_config_static_selectorELNS0_4arch9wavefront6targetE1EEEvSJ_.uses_flat_scratch, 0
	.set _ZN7rocprim17ROCPRIM_400000_NS6detail17trampoline_kernelINS0_14default_configENS1_38merge_sort_block_merge_config_selectorIssEEZZNS1_27merge_sort_block_merge_implIS3_N6thrust23THRUST_200600_302600_NS6detail15normal_iteratorINS8_10device_ptrIsEEEESD_jNS1_19radix_merge_compareILb0ELb1EsNS0_19identity_decomposerEEEEE10hipError_tT0_T1_T2_jT3_P12ihipStream_tbPNSt15iterator_traitsISI_E10value_typeEPNSO_ISJ_E10value_typeEPSK_NS1_7vsmem_tEENKUlT_SI_SJ_SK_E_clISD_PsSD_S10_EESH_SX_SI_SJ_SK_EUlSX_E0_NS1_11comp_targetILNS1_3genE9ELNS1_11target_archE1100ELNS1_3gpuE3ELNS1_3repE0EEENS1_38merge_mergepath_config_static_selectorELNS0_4arch9wavefront6targetE1EEEvSJ_.has_dyn_sized_stack, 0
	.set _ZN7rocprim17ROCPRIM_400000_NS6detail17trampoline_kernelINS0_14default_configENS1_38merge_sort_block_merge_config_selectorIssEEZZNS1_27merge_sort_block_merge_implIS3_N6thrust23THRUST_200600_302600_NS6detail15normal_iteratorINS8_10device_ptrIsEEEESD_jNS1_19radix_merge_compareILb0ELb1EsNS0_19identity_decomposerEEEEE10hipError_tT0_T1_T2_jT3_P12ihipStream_tbPNSt15iterator_traitsISI_E10value_typeEPNSO_ISJ_E10value_typeEPSK_NS1_7vsmem_tEENKUlT_SI_SJ_SK_E_clISD_PsSD_S10_EESH_SX_SI_SJ_SK_EUlSX_E0_NS1_11comp_targetILNS1_3genE9ELNS1_11target_archE1100ELNS1_3gpuE3ELNS1_3repE0EEENS1_38merge_mergepath_config_static_selectorELNS0_4arch9wavefront6targetE1EEEvSJ_.has_recursion, 0
	.set _ZN7rocprim17ROCPRIM_400000_NS6detail17trampoline_kernelINS0_14default_configENS1_38merge_sort_block_merge_config_selectorIssEEZZNS1_27merge_sort_block_merge_implIS3_N6thrust23THRUST_200600_302600_NS6detail15normal_iteratorINS8_10device_ptrIsEEEESD_jNS1_19radix_merge_compareILb0ELb1EsNS0_19identity_decomposerEEEEE10hipError_tT0_T1_T2_jT3_P12ihipStream_tbPNSt15iterator_traitsISI_E10value_typeEPNSO_ISJ_E10value_typeEPSK_NS1_7vsmem_tEENKUlT_SI_SJ_SK_E_clISD_PsSD_S10_EESH_SX_SI_SJ_SK_EUlSX_E0_NS1_11comp_targetILNS1_3genE9ELNS1_11target_archE1100ELNS1_3gpuE3ELNS1_3repE0EEENS1_38merge_mergepath_config_static_selectorELNS0_4arch9wavefront6targetE1EEEvSJ_.has_indirect_call, 0
	.section	.AMDGPU.csdata,"",@progbits
; Kernel info:
; codeLenInByte = 0
; TotalNumSgprs: 6
; NumVgprs: 0
; NumAgprs: 0
; TotalNumVgprs: 0
; ScratchSize: 0
; MemoryBound: 0
; FloatMode: 240
; IeeeMode: 1
; LDSByteSize: 0 bytes/workgroup (compile time only)
; SGPRBlocks: 0
; VGPRBlocks: 0
; NumSGPRsForWavesPerEU: 6
; NumVGPRsForWavesPerEU: 1
; AccumOffset: 4
; Occupancy: 8
; WaveLimiterHint : 0
; COMPUTE_PGM_RSRC2:SCRATCH_EN: 0
; COMPUTE_PGM_RSRC2:USER_SGPR: 2
; COMPUTE_PGM_RSRC2:TRAP_HANDLER: 0
; COMPUTE_PGM_RSRC2:TGID_X_EN: 1
; COMPUTE_PGM_RSRC2:TGID_Y_EN: 0
; COMPUTE_PGM_RSRC2:TGID_Z_EN: 0
; COMPUTE_PGM_RSRC2:TIDIG_COMP_CNT: 0
; COMPUTE_PGM_RSRC3_GFX90A:ACCUM_OFFSET: 0
; COMPUTE_PGM_RSRC3_GFX90A:TG_SPLIT: 0
	.section	.text._ZN7rocprim17ROCPRIM_400000_NS6detail17trampoline_kernelINS0_14default_configENS1_38merge_sort_block_merge_config_selectorIssEEZZNS1_27merge_sort_block_merge_implIS3_N6thrust23THRUST_200600_302600_NS6detail15normal_iteratorINS8_10device_ptrIsEEEESD_jNS1_19radix_merge_compareILb0ELb1EsNS0_19identity_decomposerEEEEE10hipError_tT0_T1_T2_jT3_P12ihipStream_tbPNSt15iterator_traitsISI_E10value_typeEPNSO_ISJ_E10value_typeEPSK_NS1_7vsmem_tEENKUlT_SI_SJ_SK_E_clISD_PsSD_S10_EESH_SX_SI_SJ_SK_EUlSX_E0_NS1_11comp_targetILNS1_3genE8ELNS1_11target_archE1030ELNS1_3gpuE2ELNS1_3repE0EEENS1_38merge_mergepath_config_static_selectorELNS0_4arch9wavefront6targetE1EEEvSJ_,"axG",@progbits,_ZN7rocprim17ROCPRIM_400000_NS6detail17trampoline_kernelINS0_14default_configENS1_38merge_sort_block_merge_config_selectorIssEEZZNS1_27merge_sort_block_merge_implIS3_N6thrust23THRUST_200600_302600_NS6detail15normal_iteratorINS8_10device_ptrIsEEEESD_jNS1_19radix_merge_compareILb0ELb1EsNS0_19identity_decomposerEEEEE10hipError_tT0_T1_T2_jT3_P12ihipStream_tbPNSt15iterator_traitsISI_E10value_typeEPNSO_ISJ_E10value_typeEPSK_NS1_7vsmem_tEENKUlT_SI_SJ_SK_E_clISD_PsSD_S10_EESH_SX_SI_SJ_SK_EUlSX_E0_NS1_11comp_targetILNS1_3genE8ELNS1_11target_archE1030ELNS1_3gpuE2ELNS1_3repE0EEENS1_38merge_mergepath_config_static_selectorELNS0_4arch9wavefront6targetE1EEEvSJ_,comdat
	.protected	_ZN7rocprim17ROCPRIM_400000_NS6detail17trampoline_kernelINS0_14default_configENS1_38merge_sort_block_merge_config_selectorIssEEZZNS1_27merge_sort_block_merge_implIS3_N6thrust23THRUST_200600_302600_NS6detail15normal_iteratorINS8_10device_ptrIsEEEESD_jNS1_19radix_merge_compareILb0ELb1EsNS0_19identity_decomposerEEEEE10hipError_tT0_T1_T2_jT3_P12ihipStream_tbPNSt15iterator_traitsISI_E10value_typeEPNSO_ISJ_E10value_typeEPSK_NS1_7vsmem_tEENKUlT_SI_SJ_SK_E_clISD_PsSD_S10_EESH_SX_SI_SJ_SK_EUlSX_E0_NS1_11comp_targetILNS1_3genE8ELNS1_11target_archE1030ELNS1_3gpuE2ELNS1_3repE0EEENS1_38merge_mergepath_config_static_selectorELNS0_4arch9wavefront6targetE1EEEvSJ_ ; -- Begin function _ZN7rocprim17ROCPRIM_400000_NS6detail17trampoline_kernelINS0_14default_configENS1_38merge_sort_block_merge_config_selectorIssEEZZNS1_27merge_sort_block_merge_implIS3_N6thrust23THRUST_200600_302600_NS6detail15normal_iteratorINS8_10device_ptrIsEEEESD_jNS1_19radix_merge_compareILb0ELb1EsNS0_19identity_decomposerEEEEE10hipError_tT0_T1_T2_jT3_P12ihipStream_tbPNSt15iterator_traitsISI_E10value_typeEPNSO_ISJ_E10value_typeEPSK_NS1_7vsmem_tEENKUlT_SI_SJ_SK_E_clISD_PsSD_S10_EESH_SX_SI_SJ_SK_EUlSX_E0_NS1_11comp_targetILNS1_3genE8ELNS1_11target_archE1030ELNS1_3gpuE2ELNS1_3repE0EEENS1_38merge_mergepath_config_static_selectorELNS0_4arch9wavefront6targetE1EEEvSJ_
	.globl	_ZN7rocprim17ROCPRIM_400000_NS6detail17trampoline_kernelINS0_14default_configENS1_38merge_sort_block_merge_config_selectorIssEEZZNS1_27merge_sort_block_merge_implIS3_N6thrust23THRUST_200600_302600_NS6detail15normal_iteratorINS8_10device_ptrIsEEEESD_jNS1_19radix_merge_compareILb0ELb1EsNS0_19identity_decomposerEEEEE10hipError_tT0_T1_T2_jT3_P12ihipStream_tbPNSt15iterator_traitsISI_E10value_typeEPNSO_ISJ_E10value_typeEPSK_NS1_7vsmem_tEENKUlT_SI_SJ_SK_E_clISD_PsSD_S10_EESH_SX_SI_SJ_SK_EUlSX_E0_NS1_11comp_targetILNS1_3genE8ELNS1_11target_archE1030ELNS1_3gpuE2ELNS1_3repE0EEENS1_38merge_mergepath_config_static_selectorELNS0_4arch9wavefront6targetE1EEEvSJ_
	.p2align	8
	.type	_ZN7rocprim17ROCPRIM_400000_NS6detail17trampoline_kernelINS0_14default_configENS1_38merge_sort_block_merge_config_selectorIssEEZZNS1_27merge_sort_block_merge_implIS3_N6thrust23THRUST_200600_302600_NS6detail15normal_iteratorINS8_10device_ptrIsEEEESD_jNS1_19radix_merge_compareILb0ELb1EsNS0_19identity_decomposerEEEEE10hipError_tT0_T1_T2_jT3_P12ihipStream_tbPNSt15iterator_traitsISI_E10value_typeEPNSO_ISJ_E10value_typeEPSK_NS1_7vsmem_tEENKUlT_SI_SJ_SK_E_clISD_PsSD_S10_EESH_SX_SI_SJ_SK_EUlSX_E0_NS1_11comp_targetILNS1_3genE8ELNS1_11target_archE1030ELNS1_3gpuE2ELNS1_3repE0EEENS1_38merge_mergepath_config_static_selectorELNS0_4arch9wavefront6targetE1EEEvSJ_,@function
_ZN7rocprim17ROCPRIM_400000_NS6detail17trampoline_kernelINS0_14default_configENS1_38merge_sort_block_merge_config_selectorIssEEZZNS1_27merge_sort_block_merge_implIS3_N6thrust23THRUST_200600_302600_NS6detail15normal_iteratorINS8_10device_ptrIsEEEESD_jNS1_19radix_merge_compareILb0ELb1EsNS0_19identity_decomposerEEEEE10hipError_tT0_T1_T2_jT3_P12ihipStream_tbPNSt15iterator_traitsISI_E10value_typeEPNSO_ISJ_E10value_typeEPSK_NS1_7vsmem_tEENKUlT_SI_SJ_SK_E_clISD_PsSD_S10_EESH_SX_SI_SJ_SK_EUlSX_E0_NS1_11comp_targetILNS1_3genE8ELNS1_11target_archE1030ELNS1_3gpuE2ELNS1_3repE0EEENS1_38merge_mergepath_config_static_selectorELNS0_4arch9wavefront6targetE1EEEvSJ_: ; @_ZN7rocprim17ROCPRIM_400000_NS6detail17trampoline_kernelINS0_14default_configENS1_38merge_sort_block_merge_config_selectorIssEEZZNS1_27merge_sort_block_merge_implIS3_N6thrust23THRUST_200600_302600_NS6detail15normal_iteratorINS8_10device_ptrIsEEEESD_jNS1_19radix_merge_compareILb0ELb1EsNS0_19identity_decomposerEEEEE10hipError_tT0_T1_T2_jT3_P12ihipStream_tbPNSt15iterator_traitsISI_E10value_typeEPNSO_ISJ_E10value_typeEPSK_NS1_7vsmem_tEENKUlT_SI_SJ_SK_E_clISD_PsSD_S10_EESH_SX_SI_SJ_SK_EUlSX_E0_NS1_11comp_targetILNS1_3genE8ELNS1_11target_archE1030ELNS1_3gpuE2ELNS1_3repE0EEENS1_38merge_mergepath_config_static_selectorELNS0_4arch9wavefront6targetE1EEEvSJ_
; %bb.0:
	.section	.rodata,"a",@progbits
	.p2align	6, 0x0
	.amdhsa_kernel _ZN7rocprim17ROCPRIM_400000_NS6detail17trampoline_kernelINS0_14default_configENS1_38merge_sort_block_merge_config_selectorIssEEZZNS1_27merge_sort_block_merge_implIS3_N6thrust23THRUST_200600_302600_NS6detail15normal_iteratorINS8_10device_ptrIsEEEESD_jNS1_19radix_merge_compareILb0ELb1EsNS0_19identity_decomposerEEEEE10hipError_tT0_T1_T2_jT3_P12ihipStream_tbPNSt15iterator_traitsISI_E10value_typeEPNSO_ISJ_E10value_typeEPSK_NS1_7vsmem_tEENKUlT_SI_SJ_SK_E_clISD_PsSD_S10_EESH_SX_SI_SJ_SK_EUlSX_E0_NS1_11comp_targetILNS1_3genE8ELNS1_11target_archE1030ELNS1_3gpuE2ELNS1_3repE0EEENS1_38merge_mergepath_config_static_selectorELNS0_4arch9wavefront6targetE1EEEvSJ_
		.amdhsa_group_segment_fixed_size 0
		.amdhsa_private_segment_fixed_size 0
		.amdhsa_kernarg_size 64
		.amdhsa_user_sgpr_count 2
		.amdhsa_user_sgpr_dispatch_ptr 0
		.amdhsa_user_sgpr_queue_ptr 0
		.amdhsa_user_sgpr_kernarg_segment_ptr 1
		.amdhsa_user_sgpr_dispatch_id 0
		.amdhsa_user_sgpr_kernarg_preload_length 0
		.amdhsa_user_sgpr_kernarg_preload_offset 0
		.amdhsa_user_sgpr_private_segment_size 0
		.amdhsa_uses_dynamic_stack 0
		.amdhsa_enable_private_segment 0
		.amdhsa_system_sgpr_workgroup_id_x 1
		.amdhsa_system_sgpr_workgroup_id_y 0
		.amdhsa_system_sgpr_workgroup_id_z 0
		.amdhsa_system_sgpr_workgroup_info 0
		.amdhsa_system_vgpr_workitem_id 0
		.amdhsa_next_free_vgpr 1
		.amdhsa_next_free_sgpr 0
		.amdhsa_accum_offset 4
		.amdhsa_reserve_vcc 0
		.amdhsa_float_round_mode_32 0
		.amdhsa_float_round_mode_16_64 0
		.amdhsa_float_denorm_mode_32 3
		.amdhsa_float_denorm_mode_16_64 3
		.amdhsa_dx10_clamp 1
		.amdhsa_ieee_mode 1
		.amdhsa_fp16_overflow 0
		.amdhsa_tg_split 0
		.amdhsa_exception_fp_ieee_invalid_op 0
		.amdhsa_exception_fp_denorm_src 0
		.amdhsa_exception_fp_ieee_div_zero 0
		.amdhsa_exception_fp_ieee_overflow 0
		.amdhsa_exception_fp_ieee_underflow 0
		.amdhsa_exception_fp_ieee_inexact 0
		.amdhsa_exception_int_div_zero 0
	.end_amdhsa_kernel
	.section	.text._ZN7rocprim17ROCPRIM_400000_NS6detail17trampoline_kernelINS0_14default_configENS1_38merge_sort_block_merge_config_selectorIssEEZZNS1_27merge_sort_block_merge_implIS3_N6thrust23THRUST_200600_302600_NS6detail15normal_iteratorINS8_10device_ptrIsEEEESD_jNS1_19radix_merge_compareILb0ELb1EsNS0_19identity_decomposerEEEEE10hipError_tT0_T1_T2_jT3_P12ihipStream_tbPNSt15iterator_traitsISI_E10value_typeEPNSO_ISJ_E10value_typeEPSK_NS1_7vsmem_tEENKUlT_SI_SJ_SK_E_clISD_PsSD_S10_EESH_SX_SI_SJ_SK_EUlSX_E0_NS1_11comp_targetILNS1_3genE8ELNS1_11target_archE1030ELNS1_3gpuE2ELNS1_3repE0EEENS1_38merge_mergepath_config_static_selectorELNS0_4arch9wavefront6targetE1EEEvSJ_,"axG",@progbits,_ZN7rocprim17ROCPRIM_400000_NS6detail17trampoline_kernelINS0_14default_configENS1_38merge_sort_block_merge_config_selectorIssEEZZNS1_27merge_sort_block_merge_implIS3_N6thrust23THRUST_200600_302600_NS6detail15normal_iteratorINS8_10device_ptrIsEEEESD_jNS1_19radix_merge_compareILb0ELb1EsNS0_19identity_decomposerEEEEE10hipError_tT0_T1_T2_jT3_P12ihipStream_tbPNSt15iterator_traitsISI_E10value_typeEPNSO_ISJ_E10value_typeEPSK_NS1_7vsmem_tEENKUlT_SI_SJ_SK_E_clISD_PsSD_S10_EESH_SX_SI_SJ_SK_EUlSX_E0_NS1_11comp_targetILNS1_3genE8ELNS1_11target_archE1030ELNS1_3gpuE2ELNS1_3repE0EEENS1_38merge_mergepath_config_static_selectorELNS0_4arch9wavefront6targetE1EEEvSJ_,comdat
.Lfunc_end1606:
	.size	_ZN7rocprim17ROCPRIM_400000_NS6detail17trampoline_kernelINS0_14default_configENS1_38merge_sort_block_merge_config_selectorIssEEZZNS1_27merge_sort_block_merge_implIS3_N6thrust23THRUST_200600_302600_NS6detail15normal_iteratorINS8_10device_ptrIsEEEESD_jNS1_19radix_merge_compareILb0ELb1EsNS0_19identity_decomposerEEEEE10hipError_tT0_T1_T2_jT3_P12ihipStream_tbPNSt15iterator_traitsISI_E10value_typeEPNSO_ISJ_E10value_typeEPSK_NS1_7vsmem_tEENKUlT_SI_SJ_SK_E_clISD_PsSD_S10_EESH_SX_SI_SJ_SK_EUlSX_E0_NS1_11comp_targetILNS1_3genE8ELNS1_11target_archE1030ELNS1_3gpuE2ELNS1_3repE0EEENS1_38merge_mergepath_config_static_selectorELNS0_4arch9wavefront6targetE1EEEvSJ_, .Lfunc_end1606-_ZN7rocprim17ROCPRIM_400000_NS6detail17trampoline_kernelINS0_14default_configENS1_38merge_sort_block_merge_config_selectorIssEEZZNS1_27merge_sort_block_merge_implIS3_N6thrust23THRUST_200600_302600_NS6detail15normal_iteratorINS8_10device_ptrIsEEEESD_jNS1_19radix_merge_compareILb0ELb1EsNS0_19identity_decomposerEEEEE10hipError_tT0_T1_T2_jT3_P12ihipStream_tbPNSt15iterator_traitsISI_E10value_typeEPNSO_ISJ_E10value_typeEPSK_NS1_7vsmem_tEENKUlT_SI_SJ_SK_E_clISD_PsSD_S10_EESH_SX_SI_SJ_SK_EUlSX_E0_NS1_11comp_targetILNS1_3genE8ELNS1_11target_archE1030ELNS1_3gpuE2ELNS1_3repE0EEENS1_38merge_mergepath_config_static_selectorELNS0_4arch9wavefront6targetE1EEEvSJ_
                                        ; -- End function
	.set _ZN7rocprim17ROCPRIM_400000_NS6detail17trampoline_kernelINS0_14default_configENS1_38merge_sort_block_merge_config_selectorIssEEZZNS1_27merge_sort_block_merge_implIS3_N6thrust23THRUST_200600_302600_NS6detail15normal_iteratorINS8_10device_ptrIsEEEESD_jNS1_19radix_merge_compareILb0ELb1EsNS0_19identity_decomposerEEEEE10hipError_tT0_T1_T2_jT3_P12ihipStream_tbPNSt15iterator_traitsISI_E10value_typeEPNSO_ISJ_E10value_typeEPSK_NS1_7vsmem_tEENKUlT_SI_SJ_SK_E_clISD_PsSD_S10_EESH_SX_SI_SJ_SK_EUlSX_E0_NS1_11comp_targetILNS1_3genE8ELNS1_11target_archE1030ELNS1_3gpuE2ELNS1_3repE0EEENS1_38merge_mergepath_config_static_selectorELNS0_4arch9wavefront6targetE1EEEvSJ_.num_vgpr, 0
	.set _ZN7rocprim17ROCPRIM_400000_NS6detail17trampoline_kernelINS0_14default_configENS1_38merge_sort_block_merge_config_selectorIssEEZZNS1_27merge_sort_block_merge_implIS3_N6thrust23THRUST_200600_302600_NS6detail15normal_iteratorINS8_10device_ptrIsEEEESD_jNS1_19radix_merge_compareILb0ELb1EsNS0_19identity_decomposerEEEEE10hipError_tT0_T1_T2_jT3_P12ihipStream_tbPNSt15iterator_traitsISI_E10value_typeEPNSO_ISJ_E10value_typeEPSK_NS1_7vsmem_tEENKUlT_SI_SJ_SK_E_clISD_PsSD_S10_EESH_SX_SI_SJ_SK_EUlSX_E0_NS1_11comp_targetILNS1_3genE8ELNS1_11target_archE1030ELNS1_3gpuE2ELNS1_3repE0EEENS1_38merge_mergepath_config_static_selectorELNS0_4arch9wavefront6targetE1EEEvSJ_.num_agpr, 0
	.set _ZN7rocprim17ROCPRIM_400000_NS6detail17trampoline_kernelINS0_14default_configENS1_38merge_sort_block_merge_config_selectorIssEEZZNS1_27merge_sort_block_merge_implIS3_N6thrust23THRUST_200600_302600_NS6detail15normal_iteratorINS8_10device_ptrIsEEEESD_jNS1_19radix_merge_compareILb0ELb1EsNS0_19identity_decomposerEEEEE10hipError_tT0_T1_T2_jT3_P12ihipStream_tbPNSt15iterator_traitsISI_E10value_typeEPNSO_ISJ_E10value_typeEPSK_NS1_7vsmem_tEENKUlT_SI_SJ_SK_E_clISD_PsSD_S10_EESH_SX_SI_SJ_SK_EUlSX_E0_NS1_11comp_targetILNS1_3genE8ELNS1_11target_archE1030ELNS1_3gpuE2ELNS1_3repE0EEENS1_38merge_mergepath_config_static_selectorELNS0_4arch9wavefront6targetE1EEEvSJ_.numbered_sgpr, 0
	.set _ZN7rocprim17ROCPRIM_400000_NS6detail17trampoline_kernelINS0_14default_configENS1_38merge_sort_block_merge_config_selectorIssEEZZNS1_27merge_sort_block_merge_implIS3_N6thrust23THRUST_200600_302600_NS6detail15normal_iteratorINS8_10device_ptrIsEEEESD_jNS1_19radix_merge_compareILb0ELb1EsNS0_19identity_decomposerEEEEE10hipError_tT0_T1_T2_jT3_P12ihipStream_tbPNSt15iterator_traitsISI_E10value_typeEPNSO_ISJ_E10value_typeEPSK_NS1_7vsmem_tEENKUlT_SI_SJ_SK_E_clISD_PsSD_S10_EESH_SX_SI_SJ_SK_EUlSX_E0_NS1_11comp_targetILNS1_3genE8ELNS1_11target_archE1030ELNS1_3gpuE2ELNS1_3repE0EEENS1_38merge_mergepath_config_static_selectorELNS0_4arch9wavefront6targetE1EEEvSJ_.num_named_barrier, 0
	.set _ZN7rocprim17ROCPRIM_400000_NS6detail17trampoline_kernelINS0_14default_configENS1_38merge_sort_block_merge_config_selectorIssEEZZNS1_27merge_sort_block_merge_implIS3_N6thrust23THRUST_200600_302600_NS6detail15normal_iteratorINS8_10device_ptrIsEEEESD_jNS1_19radix_merge_compareILb0ELb1EsNS0_19identity_decomposerEEEEE10hipError_tT0_T1_T2_jT3_P12ihipStream_tbPNSt15iterator_traitsISI_E10value_typeEPNSO_ISJ_E10value_typeEPSK_NS1_7vsmem_tEENKUlT_SI_SJ_SK_E_clISD_PsSD_S10_EESH_SX_SI_SJ_SK_EUlSX_E0_NS1_11comp_targetILNS1_3genE8ELNS1_11target_archE1030ELNS1_3gpuE2ELNS1_3repE0EEENS1_38merge_mergepath_config_static_selectorELNS0_4arch9wavefront6targetE1EEEvSJ_.private_seg_size, 0
	.set _ZN7rocprim17ROCPRIM_400000_NS6detail17trampoline_kernelINS0_14default_configENS1_38merge_sort_block_merge_config_selectorIssEEZZNS1_27merge_sort_block_merge_implIS3_N6thrust23THRUST_200600_302600_NS6detail15normal_iteratorINS8_10device_ptrIsEEEESD_jNS1_19radix_merge_compareILb0ELb1EsNS0_19identity_decomposerEEEEE10hipError_tT0_T1_T2_jT3_P12ihipStream_tbPNSt15iterator_traitsISI_E10value_typeEPNSO_ISJ_E10value_typeEPSK_NS1_7vsmem_tEENKUlT_SI_SJ_SK_E_clISD_PsSD_S10_EESH_SX_SI_SJ_SK_EUlSX_E0_NS1_11comp_targetILNS1_3genE8ELNS1_11target_archE1030ELNS1_3gpuE2ELNS1_3repE0EEENS1_38merge_mergepath_config_static_selectorELNS0_4arch9wavefront6targetE1EEEvSJ_.uses_vcc, 0
	.set _ZN7rocprim17ROCPRIM_400000_NS6detail17trampoline_kernelINS0_14default_configENS1_38merge_sort_block_merge_config_selectorIssEEZZNS1_27merge_sort_block_merge_implIS3_N6thrust23THRUST_200600_302600_NS6detail15normal_iteratorINS8_10device_ptrIsEEEESD_jNS1_19radix_merge_compareILb0ELb1EsNS0_19identity_decomposerEEEEE10hipError_tT0_T1_T2_jT3_P12ihipStream_tbPNSt15iterator_traitsISI_E10value_typeEPNSO_ISJ_E10value_typeEPSK_NS1_7vsmem_tEENKUlT_SI_SJ_SK_E_clISD_PsSD_S10_EESH_SX_SI_SJ_SK_EUlSX_E0_NS1_11comp_targetILNS1_3genE8ELNS1_11target_archE1030ELNS1_3gpuE2ELNS1_3repE0EEENS1_38merge_mergepath_config_static_selectorELNS0_4arch9wavefront6targetE1EEEvSJ_.uses_flat_scratch, 0
	.set _ZN7rocprim17ROCPRIM_400000_NS6detail17trampoline_kernelINS0_14default_configENS1_38merge_sort_block_merge_config_selectorIssEEZZNS1_27merge_sort_block_merge_implIS3_N6thrust23THRUST_200600_302600_NS6detail15normal_iteratorINS8_10device_ptrIsEEEESD_jNS1_19radix_merge_compareILb0ELb1EsNS0_19identity_decomposerEEEEE10hipError_tT0_T1_T2_jT3_P12ihipStream_tbPNSt15iterator_traitsISI_E10value_typeEPNSO_ISJ_E10value_typeEPSK_NS1_7vsmem_tEENKUlT_SI_SJ_SK_E_clISD_PsSD_S10_EESH_SX_SI_SJ_SK_EUlSX_E0_NS1_11comp_targetILNS1_3genE8ELNS1_11target_archE1030ELNS1_3gpuE2ELNS1_3repE0EEENS1_38merge_mergepath_config_static_selectorELNS0_4arch9wavefront6targetE1EEEvSJ_.has_dyn_sized_stack, 0
	.set _ZN7rocprim17ROCPRIM_400000_NS6detail17trampoline_kernelINS0_14default_configENS1_38merge_sort_block_merge_config_selectorIssEEZZNS1_27merge_sort_block_merge_implIS3_N6thrust23THRUST_200600_302600_NS6detail15normal_iteratorINS8_10device_ptrIsEEEESD_jNS1_19radix_merge_compareILb0ELb1EsNS0_19identity_decomposerEEEEE10hipError_tT0_T1_T2_jT3_P12ihipStream_tbPNSt15iterator_traitsISI_E10value_typeEPNSO_ISJ_E10value_typeEPSK_NS1_7vsmem_tEENKUlT_SI_SJ_SK_E_clISD_PsSD_S10_EESH_SX_SI_SJ_SK_EUlSX_E0_NS1_11comp_targetILNS1_3genE8ELNS1_11target_archE1030ELNS1_3gpuE2ELNS1_3repE0EEENS1_38merge_mergepath_config_static_selectorELNS0_4arch9wavefront6targetE1EEEvSJ_.has_recursion, 0
	.set _ZN7rocprim17ROCPRIM_400000_NS6detail17trampoline_kernelINS0_14default_configENS1_38merge_sort_block_merge_config_selectorIssEEZZNS1_27merge_sort_block_merge_implIS3_N6thrust23THRUST_200600_302600_NS6detail15normal_iteratorINS8_10device_ptrIsEEEESD_jNS1_19radix_merge_compareILb0ELb1EsNS0_19identity_decomposerEEEEE10hipError_tT0_T1_T2_jT3_P12ihipStream_tbPNSt15iterator_traitsISI_E10value_typeEPNSO_ISJ_E10value_typeEPSK_NS1_7vsmem_tEENKUlT_SI_SJ_SK_E_clISD_PsSD_S10_EESH_SX_SI_SJ_SK_EUlSX_E0_NS1_11comp_targetILNS1_3genE8ELNS1_11target_archE1030ELNS1_3gpuE2ELNS1_3repE0EEENS1_38merge_mergepath_config_static_selectorELNS0_4arch9wavefront6targetE1EEEvSJ_.has_indirect_call, 0
	.section	.AMDGPU.csdata,"",@progbits
; Kernel info:
; codeLenInByte = 0
; TotalNumSgprs: 6
; NumVgprs: 0
; NumAgprs: 0
; TotalNumVgprs: 0
; ScratchSize: 0
; MemoryBound: 0
; FloatMode: 240
; IeeeMode: 1
; LDSByteSize: 0 bytes/workgroup (compile time only)
; SGPRBlocks: 0
; VGPRBlocks: 0
; NumSGPRsForWavesPerEU: 6
; NumVGPRsForWavesPerEU: 1
; AccumOffset: 4
; Occupancy: 8
; WaveLimiterHint : 0
; COMPUTE_PGM_RSRC2:SCRATCH_EN: 0
; COMPUTE_PGM_RSRC2:USER_SGPR: 2
; COMPUTE_PGM_RSRC2:TRAP_HANDLER: 0
; COMPUTE_PGM_RSRC2:TGID_X_EN: 1
; COMPUTE_PGM_RSRC2:TGID_Y_EN: 0
; COMPUTE_PGM_RSRC2:TGID_Z_EN: 0
; COMPUTE_PGM_RSRC2:TIDIG_COMP_CNT: 0
; COMPUTE_PGM_RSRC3_GFX90A:ACCUM_OFFSET: 0
; COMPUTE_PGM_RSRC3_GFX90A:TG_SPLIT: 0
	.section	.text._ZN7rocprim17ROCPRIM_400000_NS6detail17trampoline_kernelINS0_14default_configENS1_38merge_sort_block_merge_config_selectorIssEEZZNS1_27merge_sort_block_merge_implIS3_N6thrust23THRUST_200600_302600_NS6detail15normal_iteratorINS8_10device_ptrIsEEEESD_jNS1_19radix_merge_compareILb0ELb1EsNS0_19identity_decomposerEEEEE10hipError_tT0_T1_T2_jT3_P12ihipStream_tbPNSt15iterator_traitsISI_E10value_typeEPNSO_ISJ_E10value_typeEPSK_NS1_7vsmem_tEENKUlT_SI_SJ_SK_E_clISD_PsSD_S10_EESH_SX_SI_SJ_SK_EUlSX_E1_NS1_11comp_targetILNS1_3genE0ELNS1_11target_archE4294967295ELNS1_3gpuE0ELNS1_3repE0EEENS1_36merge_oddeven_config_static_selectorELNS0_4arch9wavefront6targetE1EEEvSJ_,"axG",@progbits,_ZN7rocprim17ROCPRIM_400000_NS6detail17trampoline_kernelINS0_14default_configENS1_38merge_sort_block_merge_config_selectorIssEEZZNS1_27merge_sort_block_merge_implIS3_N6thrust23THRUST_200600_302600_NS6detail15normal_iteratorINS8_10device_ptrIsEEEESD_jNS1_19radix_merge_compareILb0ELb1EsNS0_19identity_decomposerEEEEE10hipError_tT0_T1_T2_jT3_P12ihipStream_tbPNSt15iterator_traitsISI_E10value_typeEPNSO_ISJ_E10value_typeEPSK_NS1_7vsmem_tEENKUlT_SI_SJ_SK_E_clISD_PsSD_S10_EESH_SX_SI_SJ_SK_EUlSX_E1_NS1_11comp_targetILNS1_3genE0ELNS1_11target_archE4294967295ELNS1_3gpuE0ELNS1_3repE0EEENS1_36merge_oddeven_config_static_selectorELNS0_4arch9wavefront6targetE1EEEvSJ_,comdat
	.protected	_ZN7rocprim17ROCPRIM_400000_NS6detail17trampoline_kernelINS0_14default_configENS1_38merge_sort_block_merge_config_selectorIssEEZZNS1_27merge_sort_block_merge_implIS3_N6thrust23THRUST_200600_302600_NS6detail15normal_iteratorINS8_10device_ptrIsEEEESD_jNS1_19radix_merge_compareILb0ELb1EsNS0_19identity_decomposerEEEEE10hipError_tT0_T1_T2_jT3_P12ihipStream_tbPNSt15iterator_traitsISI_E10value_typeEPNSO_ISJ_E10value_typeEPSK_NS1_7vsmem_tEENKUlT_SI_SJ_SK_E_clISD_PsSD_S10_EESH_SX_SI_SJ_SK_EUlSX_E1_NS1_11comp_targetILNS1_3genE0ELNS1_11target_archE4294967295ELNS1_3gpuE0ELNS1_3repE0EEENS1_36merge_oddeven_config_static_selectorELNS0_4arch9wavefront6targetE1EEEvSJ_ ; -- Begin function _ZN7rocprim17ROCPRIM_400000_NS6detail17trampoline_kernelINS0_14default_configENS1_38merge_sort_block_merge_config_selectorIssEEZZNS1_27merge_sort_block_merge_implIS3_N6thrust23THRUST_200600_302600_NS6detail15normal_iteratorINS8_10device_ptrIsEEEESD_jNS1_19radix_merge_compareILb0ELb1EsNS0_19identity_decomposerEEEEE10hipError_tT0_T1_T2_jT3_P12ihipStream_tbPNSt15iterator_traitsISI_E10value_typeEPNSO_ISJ_E10value_typeEPSK_NS1_7vsmem_tEENKUlT_SI_SJ_SK_E_clISD_PsSD_S10_EESH_SX_SI_SJ_SK_EUlSX_E1_NS1_11comp_targetILNS1_3genE0ELNS1_11target_archE4294967295ELNS1_3gpuE0ELNS1_3repE0EEENS1_36merge_oddeven_config_static_selectorELNS0_4arch9wavefront6targetE1EEEvSJ_
	.globl	_ZN7rocprim17ROCPRIM_400000_NS6detail17trampoline_kernelINS0_14default_configENS1_38merge_sort_block_merge_config_selectorIssEEZZNS1_27merge_sort_block_merge_implIS3_N6thrust23THRUST_200600_302600_NS6detail15normal_iteratorINS8_10device_ptrIsEEEESD_jNS1_19radix_merge_compareILb0ELb1EsNS0_19identity_decomposerEEEEE10hipError_tT0_T1_T2_jT3_P12ihipStream_tbPNSt15iterator_traitsISI_E10value_typeEPNSO_ISJ_E10value_typeEPSK_NS1_7vsmem_tEENKUlT_SI_SJ_SK_E_clISD_PsSD_S10_EESH_SX_SI_SJ_SK_EUlSX_E1_NS1_11comp_targetILNS1_3genE0ELNS1_11target_archE4294967295ELNS1_3gpuE0ELNS1_3repE0EEENS1_36merge_oddeven_config_static_selectorELNS0_4arch9wavefront6targetE1EEEvSJ_
	.p2align	8
	.type	_ZN7rocprim17ROCPRIM_400000_NS6detail17trampoline_kernelINS0_14default_configENS1_38merge_sort_block_merge_config_selectorIssEEZZNS1_27merge_sort_block_merge_implIS3_N6thrust23THRUST_200600_302600_NS6detail15normal_iteratorINS8_10device_ptrIsEEEESD_jNS1_19radix_merge_compareILb0ELb1EsNS0_19identity_decomposerEEEEE10hipError_tT0_T1_T2_jT3_P12ihipStream_tbPNSt15iterator_traitsISI_E10value_typeEPNSO_ISJ_E10value_typeEPSK_NS1_7vsmem_tEENKUlT_SI_SJ_SK_E_clISD_PsSD_S10_EESH_SX_SI_SJ_SK_EUlSX_E1_NS1_11comp_targetILNS1_3genE0ELNS1_11target_archE4294967295ELNS1_3gpuE0ELNS1_3repE0EEENS1_36merge_oddeven_config_static_selectorELNS0_4arch9wavefront6targetE1EEEvSJ_,@function
_ZN7rocprim17ROCPRIM_400000_NS6detail17trampoline_kernelINS0_14default_configENS1_38merge_sort_block_merge_config_selectorIssEEZZNS1_27merge_sort_block_merge_implIS3_N6thrust23THRUST_200600_302600_NS6detail15normal_iteratorINS8_10device_ptrIsEEEESD_jNS1_19radix_merge_compareILb0ELb1EsNS0_19identity_decomposerEEEEE10hipError_tT0_T1_T2_jT3_P12ihipStream_tbPNSt15iterator_traitsISI_E10value_typeEPNSO_ISJ_E10value_typeEPSK_NS1_7vsmem_tEENKUlT_SI_SJ_SK_E_clISD_PsSD_S10_EESH_SX_SI_SJ_SK_EUlSX_E1_NS1_11comp_targetILNS1_3genE0ELNS1_11target_archE4294967295ELNS1_3gpuE0ELNS1_3repE0EEENS1_36merge_oddeven_config_static_selectorELNS0_4arch9wavefront6targetE1EEEvSJ_: ; @_ZN7rocprim17ROCPRIM_400000_NS6detail17trampoline_kernelINS0_14default_configENS1_38merge_sort_block_merge_config_selectorIssEEZZNS1_27merge_sort_block_merge_implIS3_N6thrust23THRUST_200600_302600_NS6detail15normal_iteratorINS8_10device_ptrIsEEEESD_jNS1_19radix_merge_compareILb0ELb1EsNS0_19identity_decomposerEEEEE10hipError_tT0_T1_T2_jT3_P12ihipStream_tbPNSt15iterator_traitsISI_E10value_typeEPNSO_ISJ_E10value_typeEPSK_NS1_7vsmem_tEENKUlT_SI_SJ_SK_E_clISD_PsSD_S10_EESH_SX_SI_SJ_SK_EUlSX_E1_NS1_11comp_targetILNS1_3genE0ELNS1_11target_archE4294967295ELNS1_3gpuE0ELNS1_3repE0EEENS1_36merge_oddeven_config_static_selectorELNS0_4arch9wavefront6targetE1EEEvSJ_
; %bb.0:
	s_load_dword s20, s[0:1], 0x20
	s_waitcnt lgkmcnt(0)
	s_lshr_b32 s3, s20, 8
	s_cmp_eq_u32 s2, s3
	s_cselect_b64 s[16:17], -1, 0
	s_cmp_lg_u32 s2, s3
	s_cselect_b64 s[4:5], -1, 0
	s_lshl_b32 s18, s2, 8
	s_sub_i32 s3, s20, s18
	v_cmp_gt_u32_e64 s[6:7], s3, v0
	s_or_b64 s[4:5], s[4:5], s[6:7]
	s_and_saveexec_b64 s[8:9], s[4:5]
	s_cbranch_execz .LBB1607_24
; %bb.1:
	s_load_dwordx8 s[8:15], s[0:1], 0x0
	s_mov_b32 s19, 0
	s_lshl_b64 s[4:5], s[18:19], 1
	v_lshlrev_b32_e32 v1, 1, v0
	s_load_dword s19, s[0:1], 0x24
	s_waitcnt lgkmcnt(0)
	s_add_u32 s22, s8, s4
	s_addc_u32 s23, s9, s5
	s_add_u32 s4, s12, s4
	s_addc_u32 s5, s13, s5
	global_load_ushort v2, v1, s[4:5]
	global_load_ushort v3, v1, s[22:23]
	s_lshr_b32 s3, s19, 8
	s_sub_i32 s4, 0, s3
	s_and_b32 s2, s2, s4
	s_and_b32 s3, s2, s3
	s_lshl_b32 s21, s2, 8
	s_sub_i32 s12, 0, s19
	s_cmp_eq_u32 s3, 0
	s_cselect_b64 s[4:5], -1, 0
	s_and_b64 s[2:3], s[4:5], exec
	s_cselect_b32 s12, s19, s12
	s_add_i32 s12, s12, s21
	s_mov_b64 s[2:3], -1
	s_cmp_gt_u32 s20, s12
	v_add_u32_e32 v0, s18, v0
	s_cbranch_scc1 .LBB1607_9
; %bb.2:
	s_and_b64 vcc, exec, s[16:17]
	s_cbranch_vccz .LBB1607_6
; %bb.3:
	v_cmp_gt_u32_e32 vcc, s20, v0
	s_and_saveexec_b64 s[2:3], vcc
	s_cbranch_execz .LBB1607_5
; %bb.4:
	v_mov_b32_e32 v1, 0
	v_lshlrev_b64 v[4:5], 1, v[0:1]
	v_lshl_add_u64 v[6:7], s[10:11], 0, v[4:5]
	v_lshl_add_u64 v[4:5], s[14:15], 0, v[4:5]
	s_waitcnt vmcnt(0)
	global_store_short v[6:7], v3, off
	global_store_short v[4:5], v2, off
.LBB1607_5:
	s_or_b64 exec, exec, s[2:3]
	s_mov_b64 s[2:3], 0
.LBB1607_6:
	s_andn2_b64 vcc, exec, s[2:3]
	s_cbranch_vccnz .LBB1607_8
; %bb.7:
	v_mov_b32_e32 v1, 0
	v_lshlrev_b64 v[4:5], 1, v[0:1]
	v_lshl_add_u64 v[6:7], s[10:11], 0, v[4:5]
	v_lshl_add_u64 v[4:5], s[14:15], 0, v[4:5]
	s_waitcnt vmcnt(0)
	global_store_short v[6:7], v3, off
	global_store_short v[4:5], v2, off
.LBB1607_8:
	s_mov_b64 s[2:3], 0
.LBB1607_9:
	s_andn2_b64 vcc, exec, s[2:3]
	s_cbranch_vccnz .LBB1607_24
; %bb.10:
	s_load_dword s13, s[0:1], 0x28
	s_min_u32 s18, s12, s20
	s_add_i32 s0, s18, s19
	s_min_u32 s19, s0, s20
	s_min_u32 s0, s21, s18
	s_add_i32 s21, s21, s18
	v_subrev_u32_e32 v0, s21, v0
	v_add_u32_e32 v0, s0, v0
	s_waitcnt vmcnt(0) lgkmcnt(0)
	v_and_b32_e32 v1, s13, v3
	s_mov_b64 s[0:1], -1
	s_and_b64 vcc, exec, s[16:17]
	s_cbranch_vccz .LBB1607_18
; %bb.11:
	s_and_saveexec_b64 s[0:1], s[6:7]
	s_cbranch_execz .LBB1607_17
; %bb.12:
	s_cmp_ge_u32 s12, s19
	v_mov_b32_e32 v4, s18
	s_cbranch_scc1 .LBB1607_16
; %bb.13:
	s_mov_b64 s[2:3], 0
	v_mov_b32_e32 v5, s19
	v_mov_b32_e32 v4, s18
.LBB1607_14:                            ; =>This Inner Loop Header: Depth=1
	v_add_u32_e32 v6, v4, v5
	v_and_b32_e32 v7, -2, v6
	global_load_ushort v7, v7, s[8:9]
	v_lshrrev_b32_e32 v6, 1, v6
	v_add_u32_e32 v8, 1, v6
	s_waitcnt vmcnt(0)
	v_and_b32_e32 v7, s13, v7
	v_cmp_gt_i16_e32 vcc, v1, v7
	s_nop 1
	v_cndmask_b32_e64 v9, 0, 1, vcc
	v_cmp_le_i16_e32 vcc, v7, v1
	s_nop 1
	v_cndmask_b32_e64 v7, 0, 1, vcc
	v_cndmask_b32_e64 v7, v7, v9, s[4:5]
	v_and_b32_e32 v7, 1, v7
	v_cmp_eq_u32_e32 vcc, 1, v7
	s_nop 1
	v_cndmask_b32_e32 v5, v6, v5, vcc
	v_cndmask_b32_e32 v4, v4, v8, vcc
	v_cmp_ge_u32_e32 vcc, v4, v5
	s_or_b64 s[2:3], vcc, s[2:3]
	s_andn2_b64 exec, exec, s[2:3]
	s_cbranch_execnz .LBB1607_14
; %bb.15:
	s_or_b64 exec, exec, s[2:3]
.LBB1607_16:
	v_add_u32_e32 v4, v4, v0
	v_mov_b32_e32 v5, 0
	v_lshlrev_b64 v[4:5], 1, v[4:5]
	v_lshl_add_u64 v[6:7], s[10:11], 0, v[4:5]
	v_lshl_add_u64 v[4:5], s[14:15], 0, v[4:5]
	global_store_short v[6:7], v3, off
	global_store_short v[4:5], v2, off
.LBB1607_17:
	s_or_b64 exec, exec, s[0:1]
	s_mov_b64 s[0:1], 0
.LBB1607_18:
	s_andn2_b64 vcc, exec, s[0:1]
	s_cbranch_vccnz .LBB1607_24
; %bb.19:
	s_cmp_ge_u32 s12, s19
	v_mov_b32_e32 v4, s18
	s_cbranch_scc1 .LBB1607_23
; %bb.20:
	s_mov_b64 s[0:1], 0
	v_mov_b32_e32 v5, s19
	v_mov_b32_e32 v4, s18
.LBB1607_21:                            ; =>This Inner Loop Header: Depth=1
	v_add_u32_e32 v6, v4, v5
	v_and_b32_e32 v7, -2, v6
	global_load_ushort v7, v7, s[8:9]
	v_lshrrev_b32_e32 v6, 1, v6
	v_add_u32_e32 v8, 1, v6
	s_waitcnt vmcnt(0)
	v_and_b32_e32 v7, s13, v7
	v_cmp_gt_i16_e32 vcc, v1, v7
	s_nop 1
	v_cndmask_b32_e64 v9, 0, 1, vcc
	v_cmp_le_i16_e32 vcc, v7, v1
	s_nop 1
	v_cndmask_b32_e64 v7, 0, 1, vcc
	v_cndmask_b32_e64 v7, v7, v9, s[4:5]
	v_and_b32_e32 v7, 1, v7
	v_cmp_eq_u32_e32 vcc, 1, v7
	s_nop 1
	v_cndmask_b32_e32 v5, v6, v5, vcc
	v_cndmask_b32_e32 v4, v4, v8, vcc
	v_cmp_ge_u32_e32 vcc, v4, v5
	s_or_b64 s[0:1], vcc, s[0:1]
	s_andn2_b64 exec, exec, s[0:1]
	s_cbranch_execnz .LBB1607_21
; %bb.22:
	s_or_b64 exec, exec, s[0:1]
.LBB1607_23:
	v_add_u32_e32 v0, v4, v0
	v_mov_b32_e32 v1, 0
	v_lshlrev_b64 v[0:1], 1, v[0:1]
	v_lshl_add_u64 v[4:5], s[10:11], 0, v[0:1]
	v_lshl_add_u64 v[0:1], s[14:15], 0, v[0:1]
	global_store_short v[4:5], v3, off
	global_store_short v[0:1], v2, off
.LBB1607_24:
	s_endpgm
	.section	.rodata,"a",@progbits
	.p2align	6, 0x0
	.amdhsa_kernel _ZN7rocprim17ROCPRIM_400000_NS6detail17trampoline_kernelINS0_14default_configENS1_38merge_sort_block_merge_config_selectorIssEEZZNS1_27merge_sort_block_merge_implIS3_N6thrust23THRUST_200600_302600_NS6detail15normal_iteratorINS8_10device_ptrIsEEEESD_jNS1_19radix_merge_compareILb0ELb1EsNS0_19identity_decomposerEEEEE10hipError_tT0_T1_T2_jT3_P12ihipStream_tbPNSt15iterator_traitsISI_E10value_typeEPNSO_ISJ_E10value_typeEPSK_NS1_7vsmem_tEENKUlT_SI_SJ_SK_E_clISD_PsSD_S10_EESH_SX_SI_SJ_SK_EUlSX_E1_NS1_11comp_targetILNS1_3genE0ELNS1_11target_archE4294967295ELNS1_3gpuE0ELNS1_3repE0EEENS1_36merge_oddeven_config_static_selectorELNS0_4arch9wavefront6targetE1EEEvSJ_
		.amdhsa_group_segment_fixed_size 0
		.amdhsa_private_segment_fixed_size 0
		.amdhsa_kernarg_size 48
		.amdhsa_user_sgpr_count 2
		.amdhsa_user_sgpr_dispatch_ptr 0
		.amdhsa_user_sgpr_queue_ptr 0
		.amdhsa_user_sgpr_kernarg_segment_ptr 1
		.amdhsa_user_sgpr_dispatch_id 0
		.amdhsa_user_sgpr_kernarg_preload_length 0
		.amdhsa_user_sgpr_kernarg_preload_offset 0
		.amdhsa_user_sgpr_private_segment_size 0
		.amdhsa_uses_dynamic_stack 0
		.amdhsa_enable_private_segment 0
		.amdhsa_system_sgpr_workgroup_id_x 1
		.amdhsa_system_sgpr_workgroup_id_y 0
		.amdhsa_system_sgpr_workgroup_id_z 0
		.amdhsa_system_sgpr_workgroup_info 0
		.amdhsa_system_vgpr_workitem_id 0
		.amdhsa_next_free_vgpr 10
		.amdhsa_next_free_sgpr 24
		.amdhsa_accum_offset 12
		.amdhsa_reserve_vcc 1
		.amdhsa_float_round_mode_32 0
		.amdhsa_float_round_mode_16_64 0
		.amdhsa_float_denorm_mode_32 3
		.amdhsa_float_denorm_mode_16_64 3
		.amdhsa_dx10_clamp 1
		.amdhsa_ieee_mode 1
		.amdhsa_fp16_overflow 0
		.amdhsa_tg_split 0
		.amdhsa_exception_fp_ieee_invalid_op 0
		.amdhsa_exception_fp_denorm_src 0
		.amdhsa_exception_fp_ieee_div_zero 0
		.amdhsa_exception_fp_ieee_overflow 0
		.amdhsa_exception_fp_ieee_underflow 0
		.amdhsa_exception_fp_ieee_inexact 0
		.amdhsa_exception_int_div_zero 0
	.end_amdhsa_kernel
	.section	.text._ZN7rocprim17ROCPRIM_400000_NS6detail17trampoline_kernelINS0_14default_configENS1_38merge_sort_block_merge_config_selectorIssEEZZNS1_27merge_sort_block_merge_implIS3_N6thrust23THRUST_200600_302600_NS6detail15normal_iteratorINS8_10device_ptrIsEEEESD_jNS1_19radix_merge_compareILb0ELb1EsNS0_19identity_decomposerEEEEE10hipError_tT0_T1_T2_jT3_P12ihipStream_tbPNSt15iterator_traitsISI_E10value_typeEPNSO_ISJ_E10value_typeEPSK_NS1_7vsmem_tEENKUlT_SI_SJ_SK_E_clISD_PsSD_S10_EESH_SX_SI_SJ_SK_EUlSX_E1_NS1_11comp_targetILNS1_3genE0ELNS1_11target_archE4294967295ELNS1_3gpuE0ELNS1_3repE0EEENS1_36merge_oddeven_config_static_selectorELNS0_4arch9wavefront6targetE1EEEvSJ_,"axG",@progbits,_ZN7rocprim17ROCPRIM_400000_NS6detail17trampoline_kernelINS0_14default_configENS1_38merge_sort_block_merge_config_selectorIssEEZZNS1_27merge_sort_block_merge_implIS3_N6thrust23THRUST_200600_302600_NS6detail15normal_iteratorINS8_10device_ptrIsEEEESD_jNS1_19radix_merge_compareILb0ELb1EsNS0_19identity_decomposerEEEEE10hipError_tT0_T1_T2_jT3_P12ihipStream_tbPNSt15iterator_traitsISI_E10value_typeEPNSO_ISJ_E10value_typeEPSK_NS1_7vsmem_tEENKUlT_SI_SJ_SK_E_clISD_PsSD_S10_EESH_SX_SI_SJ_SK_EUlSX_E1_NS1_11comp_targetILNS1_3genE0ELNS1_11target_archE4294967295ELNS1_3gpuE0ELNS1_3repE0EEENS1_36merge_oddeven_config_static_selectorELNS0_4arch9wavefront6targetE1EEEvSJ_,comdat
.Lfunc_end1607:
	.size	_ZN7rocprim17ROCPRIM_400000_NS6detail17trampoline_kernelINS0_14default_configENS1_38merge_sort_block_merge_config_selectorIssEEZZNS1_27merge_sort_block_merge_implIS3_N6thrust23THRUST_200600_302600_NS6detail15normal_iteratorINS8_10device_ptrIsEEEESD_jNS1_19radix_merge_compareILb0ELb1EsNS0_19identity_decomposerEEEEE10hipError_tT0_T1_T2_jT3_P12ihipStream_tbPNSt15iterator_traitsISI_E10value_typeEPNSO_ISJ_E10value_typeEPSK_NS1_7vsmem_tEENKUlT_SI_SJ_SK_E_clISD_PsSD_S10_EESH_SX_SI_SJ_SK_EUlSX_E1_NS1_11comp_targetILNS1_3genE0ELNS1_11target_archE4294967295ELNS1_3gpuE0ELNS1_3repE0EEENS1_36merge_oddeven_config_static_selectorELNS0_4arch9wavefront6targetE1EEEvSJ_, .Lfunc_end1607-_ZN7rocprim17ROCPRIM_400000_NS6detail17trampoline_kernelINS0_14default_configENS1_38merge_sort_block_merge_config_selectorIssEEZZNS1_27merge_sort_block_merge_implIS3_N6thrust23THRUST_200600_302600_NS6detail15normal_iteratorINS8_10device_ptrIsEEEESD_jNS1_19radix_merge_compareILb0ELb1EsNS0_19identity_decomposerEEEEE10hipError_tT0_T1_T2_jT3_P12ihipStream_tbPNSt15iterator_traitsISI_E10value_typeEPNSO_ISJ_E10value_typeEPSK_NS1_7vsmem_tEENKUlT_SI_SJ_SK_E_clISD_PsSD_S10_EESH_SX_SI_SJ_SK_EUlSX_E1_NS1_11comp_targetILNS1_3genE0ELNS1_11target_archE4294967295ELNS1_3gpuE0ELNS1_3repE0EEENS1_36merge_oddeven_config_static_selectorELNS0_4arch9wavefront6targetE1EEEvSJ_
                                        ; -- End function
	.set _ZN7rocprim17ROCPRIM_400000_NS6detail17trampoline_kernelINS0_14default_configENS1_38merge_sort_block_merge_config_selectorIssEEZZNS1_27merge_sort_block_merge_implIS3_N6thrust23THRUST_200600_302600_NS6detail15normal_iteratorINS8_10device_ptrIsEEEESD_jNS1_19radix_merge_compareILb0ELb1EsNS0_19identity_decomposerEEEEE10hipError_tT0_T1_T2_jT3_P12ihipStream_tbPNSt15iterator_traitsISI_E10value_typeEPNSO_ISJ_E10value_typeEPSK_NS1_7vsmem_tEENKUlT_SI_SJ_SK_E_clISD_PsSD_S10_EESH_SX_SI_SJ_SK_EUlSX_E1_NS1_11comp_targetILNS1_3genE0ELNS1_11target_archE4294967295ELNS1_3gpuE0ELNS1_3repE0EEENS1_36merge_oddeven_config_static_selectorELNS0_4arch9wavefront6targetE1EEEvSJ_.num_vgpr, 10
	.set _ZN7rocprim17ROCPRIM_400000_NS6detail17trampoline_kernelINS0_14default_configENS1_38merge_sort_block_merge_config_selectorIssEEZZNS1_27merge_sort_block_merge_implIS3_N6thrust23THRUST_200600_302600_NS6detail15normal_iteratorINS8_10device_ptrIsEEEESD_jNS1_19radix_merge_compareILb0ELb1EsNS0_19identity_decomposerEEEEE10hipError_tT0_T1_T2_jT3_P12ihipStream_tbPNSt15iterator_traitsISI_E10value_typeEPNSO_ISJ_E10value_typeEPSK_NS1_7vsmem_tEENKUlT_SI_SJ_SK_E_clISD_PsSD_S10_EESH_SX_SI_SJ_SK_EUlSX_E1_NS1_11comp_targetILNS1_3genE0ELNS1_11target_archE4294967295ELNS1_3gpuE0ELNS1_3repE0EEENS1_36merge_oddeven_config_static_selectorELNS0_4arch9wavefront6targetE1EEEvSJ_.num_agpr, 0
	.set _ZN7rocprim17ROCPRIM_400000_NS6detail17trampoline_kernelINS0_14default_configENS1_38merge_sort_block_merge_config_selectorIssEEZZNS1_27merge_sort_block_merge_implIS3_N6thrust23THRUST_200600_302600_NS6detail15normal_iteratorINS8_10device_ptrIsEEEESD_jNS1_19radix_merge_compareILb0ELb1EsNS0_19identity_decomposerEEEEE10hipError_tT0_T1_T2_jT3_P12ihipStream_tbPNSt15iterator_traitsISI_E10value_typeEPNSO_ISJ_E10value_typeEPSK_NS1_7vsmem_tEENKUlT_SI_SJ_SK_E_clISD_PsSD_S10_EESH_SX_SI_SJ_SK_EUlSX_E1_NS1_11comp_targetILNS1_3genE0ELNS1_11target_archE4294967295ELNS1_3gpuE0ELNS1_3repE0EEENS1_36merge_oddeven_config_static_selectorELNS0_4arch9wavefront6targetE1EEEvSJ_.numbered_sgpr, 24
	.set _ZN7rocprim17ROCPRIM_400000_NS6detail17trampoline_kernelINS0_14default_configENS1_38merge_sort_block_merge_config_selectorIssEEZZNS1_27merge_sort_block_merge_implIS3_N6thrust23THRUST_200600_302600_NS6detail15normal_iteratorINS8_10device_ptrIsEEEESD_jNS1_19radix_merge_compareILb0ELb1EsNS0_19identity_decomposerEEEEE10hipError_tT0_T1_T2_jT3_P12ihipStream_tbPNSt15iterator_traitsISI_E10value_typeEPNSO_ISJ_E10value_typeEPSK_NS1_7vsmem_tEENKUlT_SI_SJ_SK_E_clISD_PsSD_S10_EESH_SX_SI_SJ_SK_EUlSX_E1_NS1_11comp_targetILNS1_3genE0ELNS1_11target_archE4294967295ELNS1_3gpuE0ELNS1_3repE0EEENS1_36merge_oddeven_config_static_selectorELNS0_4arch9wavefront6targetE1EEEvSJ_.num_named_barrier, 0
	.set _ZN7rocprim17ROCPRIM_400000_NS6detail17trampoline_kernelINS0_14default_configENS1_38merge_sort_block_merge_config_selectorIssEEZZNS1_27merge_sort_block_merge_implIS3_N6thrust23THRUST_200600_302600_NS6detail15normal_iteratorINS8_10device_ptrIsEEEESD_jNS1_19radix_merge_compareILb0ELb1EsNS0_19identity_decomposerEEEEE10hipError_tT0_T1_T2_jT3_P12ihipStream_tbPNSt15iterator_traitsISI_E10value_typeEPNSO_ISJ_E10value_typeEPSK_NS1_7vsmem_tEENKUlT_SI_SJ_SK_E_clISD_PsSD_S10_EESH_SX_SI_SJ_SK_EUlSX_E1_NS1_11comp_targetILNS1_3genE0ELNS1_11target_archE4294967295ELNS1_3gpuE0ELNS1_3repE0EEENS1_36merge_oddeven_config_static_selectorELNS0_4arch9wavefront6targetE1EEEvSJ_.private_seg_size, 0
	.set _ZN7rocprim17ROCPRIM_400000_NS6detail17trampoline_kernelINS0_14default_configENS1_38merge_sort_block_merge_config_selectorIssEEZZNS1_27merge_sort_block_merge_implIS3_N6thrust23THRUST_200600_302600_NS6detail15normal_iteratorINS8_10device_ptrIsEEEESD_jNS1_19radix_merge_compareILb0ELb1EsNS0_19identity_decomposerEEEEE10hipError_tT0_T1_T2_jT3_P12ihipStream_tbPNSt15iterator_traitsISI_E10value_typeEPNSO_ISJ_E10value_typeEPSK_NS1_7vsmem_tEENKUlT_SI_SJ_SK_E_clISD_PsSD_S10_EESH_SX_SI_SJ_SK_EUlSX_E1_NS1_11comp_targetILNS1_3genE0ELNS1_11target_archE4294967295ELNS1_3gpuE0ELNS1_3repE0EEENS1_36merge_oddeven_config_static_selectorELNS0_4arch9wavefront6targetE1EEEvSJ_.uses_vcc, 1
	.set _ZN7rocprim17ROCPRIM_400000_NS6detail17trampoline_kernelINS0_14default_configENS1_38merge_sort_block_merge_config_selectorIssEEZZNS1_27merge_sort_block_merge_implIS3_N6thrust23THRUST_200600_302600_NS6detail15normal_iteratorINS8_10device_ptrIsEEEESD_jNS1_19radix_merge_compareILb0ELb1EsNS0_19identity_decomposerEEEEE10hipError_tT0_T1_T2_jT3_P12ihipStream_tbPNSt15iterator_traitsISI_E10value_typeEPNSO_ISJ_E10value_typeEPSK_NS1_7vsmem_tEENKUlT_SI_SJ_SK_E_clISD_PsSD_S10_EESH_SX_SI_SJ_SK_EUlSX_E1_NS1_11comp_targetILNS1_3genE0ELNS1_11target_archE4294967295ELNS1_3gpuE0ELNS1_3repE0EEENS1_36merge_oddeven_config_static_selectorELNS0_4arch9wavefront6targetE1EEEvSJ_.uses_flat_scratch, 0
	.set _ZN7rocprim17ROCPRIM_400000_NS6detail17trampoline_kernelINS0_14default_configENS1_38merge_sort_block_merge_config_selectorIssEEZZNS1_27merge_sort_block_merge_implIS3_N6thrust23THRUST_200600_302600_NS6detail15normal_iteratorINS8_10device_ptrIsEEEESD_jNS1_19radix_merge_compareILb0ELb1EsNS0_19identity_decomposerEEEEE10hipError_tT0_T1_T2_jT3_P12ihipStream_tbPNSt15iterator_traitsISI_E10value_typeEPNSO_ISJ_E10value_typeEPSK_NS1_7vsmem_tEENKUlT_SI_SJ_SK_E_clISD_PsSD_S10_EESH_SX_SI_SJ_SK_EUlSX_E1_NS1_11comp_targetILNS1_3genE0ELNS1_11target_archE4294967295ELNS1_3gpuE0ELNS1_3repE0EEENS1_36merge_oddeven_config_static_selectorELNS0_4arch9wavefront6targetE1EEEvSJ_.has_dyn_sized_stack, 0
	.set _ZN7rocprim17ROCPRIM_400000_NS6detail17trampoline_kernelINS0_14default_configENS1_38merge_sort_block_merge_config_selectorIssEEZZNS1_27merge_sort_block_merge_implIS3_N6thrust23THRUST_200600_302600_NS6detail15normal_iteratorINS8_10device_ptrIsEEEESD_jNS1_19radix_merge_compareILb0ELb1EsNS0_19identity_decomposerEEEEE10hipError_tT0_T1_T2_jT3_P12ihipStream_tbPNSt15iterator_traitsISI_E10value_typeEPNSO_ISJ_E10value_typeEPSK_NS1_7vsmem_tEENKUlT_SI_SJ_SK_E_clISD_PsSD_S10_EESH_SX_SI_SJ_SK_EUlSX_E1_NS1_11comp_targetILNS1_3genE0ELNS1_11target_archE4294967295ELNS1_3gpuE0ELNS1_3repE0EEENS1_36merge_oddeven_config_static_selectorELNS0_4arch9wavefront6targetE1EEEvSJ_.has_recursion, 0
	.set _ZN7rocprim17ROCPRIM_400000_NS6detail17trampoline_kernelINS0_14default_configENS1_38merge_sort_block_merge_config_selectorIssEEZZNS1_27merge_sort_block_merge_implIS3_N6thrust23THRUST_200600_302600_NS6detail15normal_iteratorINS8_10device_ptrIsEEEESD_jNS1_19radix_merge_compareILb0ELb1EsNS0_19identity_decomposerEEEEE10hipError_tT0_T1_T2_jT3_P12ihipStream_tbPNSt15iterator_traitsISI_E10value_typeEPNSO_ISJ_E10value_typeEPSK_NS1_7vsmem_tEENKUlT_SI_SJ_SK_E_clISD_PsSD_S10_EESH_SX_SI_SJ_SK_EUlSX_E1_NS1_11comp_targetILNS1_3genE0ELNS1_11target_archE4294967295ELNS1_3gpuE0ELNS1_3repE0EEENS1_36merge_oddeven_config_static_selectorELNS0_4arch9wavefront6targetE1EEEvSJ_.has_indirect_call, 0
	.section	.AMDGPU.csdata,"",@progbits
; Kernel info:
; codeLenInByte = 780
; TotalNumSgprs: 30
; NumVgprs: 10
; NumAgprs: 0
; TotalNumVgprs: 10
; ScratchSize: 0
; MemoryBound: 0
; FloatMode: 240
; IeeeMode: 1
; LDSByteSize: 0 bytes/workgroup (compile time only)
; SGPRBlocks: 3
; VGPRBlocks: 1
; NumSGPRsForWavesPerEU: 30
; NumVGPRsForWavesPerEU: 10
; AccumOffset: 12
; Occupancy: 8
; WaveLimiterHint : 0
; COMPUTE_PGM_RSRC2:SCRATCH_EN: 0
; COMPUTE_PGM_RSRC2:USER_SGPR: 2
; COMPUTE_PGM_RSRC2:TRAP_HANDLER: 0
; COMPUTE_PGM_RSRC2:TGID_X_EN: 1
; COMPUTE_PGM_RSRC2:TGID_Y_EN: 0
; COMPUTE_PGM_RSRC2:TGID_Z_EN: 0
; COMPUTE_PGM_RSRC2:TIDIG_COMP_CNT: 0
; COMPUTE_PGM_RSRC3_GFX90A:ACCUM_OFFSET: 2
; COMPUTE_PGM_RSRC3_GFX90A:TG_SPLIT: 0
	.section	.text._ZN7rocprim17ROCPRIM_400000_NS6detail17trampoline_kernelINS0_14default_configENS1_38merge_sort_block_merge_config_selectorIssEEZZNS1_27merge_sort_block_merge_implIS3_N6thrust23THRUST_200600_302600_NS6detail15normal_iteratorINS8_10device_ptrIsEEEESD_jNS1_19radix_merge_compareILb0ELb1EsNS0_19identity_decomposerEEEEE10hipError_tT0_T1_T2_jT3_P12ihipStream_tbPNSt15iterator_traitsISI_E10value_typeEPNSO_ISJ_E10value_typeEPSK_NS1_7vsmem_tEENKUlT_SI_SJ_SK_E_clISD_PsSD_S10_EESH_SX_SI_SJ_SK_EUlSX_E1_NS1_11comp_targetILNS1_3genE10ELNS1_11target_archE1201ELNS1_3gpuE5ELNS1_3repE0EEENS1_36merge_oddeven_config_static_selectorELNS0_4arch9wavefront6targetE1EEEvSJ_,"axG",@progbits,_ZN7rocprim17ROCPRIM_400000_NS6detail17trampoline_kernelINS0_14default_configENS1_38merge_sort_block_merge_config_selectorIssEEZZNS1_27merge_sort_block_merge_implIS3_N6thrust23THRUST_200600_302600_NS6detail15normal_iteratorINS8_10device_ptrIsEEEESD_jNS1_19radix_merge_compareILb0ELb1EsNS0_19identity_decomposerEEEEE10hipError_tT0_T1_T2_jT3_P12ihipStream_tbPNSt15iterator_traitsISI_E10value_typeEPNSO_ISJ_E10value_typeEPSK_NS1_7vsmem_tEENKUlT_SI_SJ_SK_E_clISD_PsSD_S10_EESH_SX_SI_SJ_SK_EUlSX_E1_NS1_11comp_targetILNS1_3genE10ELNS1_11target_archE1201ELNS1_3gpuE5ELNS1_3repE0EEENS1_36merge_oddeven_config_static_selectorELNS0_4arch9wavefront6targetE1EEEvSJ_,comdat
	.protected	_ZN7rocprim17ROCPRIM_400000_NS6detail17trampoline_kernelINS0_14default_configENS1_38merge_sort_block_merge_config_selectorIssEEZZNS1_27merge_sort_block_merge_implIS3_N6thrust23THRUST_200600_302600_NS6detail15normal_iteratorINS8_10device_ptrIsEEEESD_jNS1_19radix_merge_compareILb0ELb1EsNS0_19identity_decomposerEEEEE10hipError_tT0_T1_T2_jT3_P12ihipStream_tbPNSt15iterator_traitsISI_E10value_typeEPNSO_ISJ_E10value_typeEPSK_NS1_7vsmem_tEENKUlT_SI_SJ_SK_E_clISD_PsSD_S10_EESH_SX_SI_SJ_SK_EUlSX_E1_NS1_11comp_targetILNS1_3genE10ELNS1_11target_archE1201ELNS1_3gpuE5ELNS1_3repE0EEENS1_36merge_oddeven_config_static_selectorELNS0_4arch9wavefront6targetE1EEEvSJ_ ; -- Begin function _ZN7rocprim17ROCPRIM_400000_NS6detail17trampoline_kernelINS0_14default_configENS1_38merge_sort_block_merge_config_selectorIssEEZZNS1_27merge_sort_block_merge_implIS3_N6thrust23THRUST_200600_302600_NS6detail15normal_iteratorINS8_10device_ptrIsEEEESD_jNS1_19radix_merge_compareILb0ELb1EsNS0_19identity_decomposerEEEEE10hipError_tT0_T1_T2_jT3_P12ihipStream_tbPNSt15iterator_traitsISI_E10value_typeEPNSO_ISJ_E10value_typeEPSK_NS1_7vsmem_tEENKUlT_SI_SJ_SK_E_clISD_PsSD_S10_EESH_SX_SI_SJ_SK_EUlSX_E1_NS1_11comp_targetILNS1_3genE10ELNS1_11target_archE1201ELNS1_3gpuE5ELNS1_3repE0EEENS1_36merge_oddeven_config_static_selectorELNS0_4arch9wavefront6targetE1EEEvSJ_
	.globl	_ZN7rocprim17ROCPRIM_400000_NS6detail17trampoline_kernelINS0_14default_configENS1_38merge_sort_block_merge_config_selectorIssEEZZNS1_27merge_sort_block_merge_implIS3_N6thrust23THRUST_200600_302600_NS6detail15normal_iteratorINS8_10device_ptrIsEEEESD_jNS1_19radix_merge_compareILb0ELb1EsNS0_19identity_decomposerEEEEE10hipError_tT0_T1_T2_jT3_P12ihipStream_tbPNSt15iterator_traitsISI_E10value_typeEPNSO_ISJ_E10value_typeEPSK_NS1_7vsmem_tEENKUlT_SI_SJ_SK_E_clISD_PsSD_S10_EESH_SX_SI_SJ_SK_EUlSX_E1_NS1_11comp_targetILNS1_3genE10ELNS1_11target_archE1201ELNS1_3gpuE5ELNS1_3repE0EEENS1_36merge_oddeven_config_static_selectorELNS0_4arch9wavefront6targetE1EEEvSJ_
	.p2align	8
	.type	_ZN7rocprim17ROCPRIM_400000_NS6detail17trampoline_kernelINS0_14default_configENS1_38merge_sort_block_merge_config_selectorIssEEZZNS1_27merge_sort_block_merge_implIS3_N6thrust23THRUST_200600_302600_NS6detail15normal_iteratorINS8_10device_ptrIsEEEESD_jNS1_19radix_merge_compareILb0ELb1EsNS0_19identity_decomposerEEEEE10hipError_tT0_T1_T2_jT3_P12ihipStream_tbPNSt15iterator_traitsISI_E10value_typeEPNSO_ISJ_E10value_typeEPSK_NS1_7vsmem_tEENKUlT_SI_SJ_SK_E_clISD_PsSD_S10_EESH_SX_SI_SJ_SK_EUlSX_E1_NS1_11comp_targetILNS1_3genE10ELNS1_11target_archE1201ELNS1_3gpuE5ELNS1_3repE0EEENS1_36merge_oddeven_config_static_selectorELNS0_4arch9wavefront6targetE1EEEvSJ_,@function
_ZN7rocprim17ROCPRIM_400000_NS6detail17trampoline_kernelINS0_14default_configENS1_38merge_sort_block_merge_config_selectorIssEEZZNS1_27merge_sort_block_merge_implIS3_N6thrust23THRUST_200600_302600_NS6detail15normal_iteratorINS8_10device_ptrIsEEEESD_jNS1_19radix_merge_compareILb0ELb1EsNS0_19identity_decomposerEEEEE10hipError_tT0_T1_T2_jT3_P12ihipStream_tbPNSt15iterator_traitsISI_E10value_typeEPNSO_ISJ_E10value_typeEPSK_NS1_7vsmem_tEENKUlT_SI_SJ_SK_E_clISD_PsSD_S10_EESH_SX_SI_SJ_SK_EUlSX_E1_NS1_11comp_targetILNS1_3genE10ELNS1_11target_archE1201ELNS1_3gpuE5ELNS1_3repE0EEENS1_36merge_oddeven_config_static_selectorELNS0_4arch9wavefront6targetE1EEEvSJ_: ; @_ZN7rocprim17ROCPRIM_400000_NS6detail17trampoline_kernelINS0_14default_configENS1_38merge_sort_block_merge_config_selectorIssEEZZNS1_27merge_sort_block_merge_implIS3_N6thrust23THRUST_200600_302600_NS6detail15normal_iteratorINS8_10device_ptrIsEEEESD_jNS1_19radix_merge_compareILb0ELb1EsNS0_19identity_decomposerEEEEE10hipError_tT0_T1_T2_jT3_P12ihipStream_tbPNSt15iterator_traitsISI_E10value_typeEPNSO_ISJ_E10value_typeEPSK_NS1_7vsmem_tEENKUlT_SI_SJ_SK_E_clISD_PsSD_S10_EESH_SX_SI_SJ_SK_EUlSX_E1_NS1_11comp_targetILNS1_3genE10ELNS1_11target_archE1201ELNS1_3gpuE5ELNS1_3repE0EEENS1_36merge_oddeven_config_static_selectorELNS0_4arch9wavefront6targetE1EEEvSJ_
; %bb.0:
	.section	.rodata,"a",@progbits
	.p2align	6, 0x0
	.amdhsa_kernel _ZN7rocprim17ROCPRIM_400000_NS6detail17trampoline_kernelINS0_14default_configENS1_38merge_sort_block_merge_config_selectorIssEEZZNS1_27merge_sort_block_merge_implIS3_N6thrust23THRUST_200600_302600_NS6detail15normal_iteratorINS8_10device_ptrIsEEEESD_jNS1_19radix_merge_compareILb0ELb1EsNS0_19identity_decomposerEEEEE10hipError_tT0_T1_T2_jT3_P12ihipStream_tbPNSt15iterator_traitsISI_E10value_typeEPNSO_ISJ_E10value_typeEPSK_NS1_7vsmem_tEENKUlT_SI_SJ_SK_E_clISD_PsSD_S10_EESH_SX_SI_SJ_SK_EUlSX_E1_NS1_11comp_targetILNS1_3genE10ELNS1_11target_archE1201ELNS1_3gpuE5ELNS1_3repE0EEENS1_36merge_oddeven_config_static_selectorELNS0_4arch9wavefront6targetE1EEEvSJ_
		.amdhsa_group_segment_fixed_size 0
		.amdhsa_private_segment_fixed_size 0
		.amdhsa_kernarg_size 48
		.amdhsa_user_sgpr_count 2
		.amdhsa_user_sgpr_dispatch_ptr 0
		.amdhsa_user_sgpr_queue_ptr 0
		.amdhsa_user_sgpr_kernarg_segment_ptr 1
		.amdhsa_user_sgpr_dispatch_id 0
		.amdhsa_user_sgpr_kernarg_preload_length 0
		.amdhsa_user_sgpr_kernarg_preload_offset 0
		.amdhsa_user_sgpr_private_segment_size 0
		.amdhsa_uses_dynamic_stack 0
		.amdhsa_enable_private_segment 0
		.amdhsa_system_sgpr_workgroup_id_x 1
		.amdhsa_system_sgpr_workgroup_id_y 0
		.amdhsa_system_sgpr_workgroup_id_z 0
		.amdhsa_system_sgpr_workgroup_info 0
		.amdhsa_system_vgpr_workitem_id 0
		.amdhsa_next_free_vgpr 1
		.amdhsa_next_free_sgpr 0
		.amdhsa_accum_offset 4
		.amdhsa_reserve_vcc 0
		.amdhsa_float_round_mode_32 0
		.amdhsa_float_round_mode_16_64 0
		.amdhsa_float_denorm_mode_32 3
		.amdhsa_float_denorm_mode_16_64 3
		.amdhsa_dx10_clamp 1
		.amdhsa_ieee_mode 1
		.amdhsa_fp16_overflow 0
		.amdhsa_tg_split 0
		.amdhsa_exception_fp_ieee_invalid_op 0
		.amdhsa_exception_fp_denorm_src 0
		.amdhsa_exception_fp_ieee_div_zero 0
		.amdhsa_exception_fp_ieee_overflow 0
		.amdhsa_exception_fp_ieee_underflow 0
		.amdhsa_exception_fp_ieee_inexact 0
		.amdhsa_exception_int_div_zero 0
	.end_amdhsa_kernel
	.section	.text._ZN7rocprim17ROCPRIM_400000_NS6detail17trampoline_kernelINS0_14default_configENS1_38merge_sort_block_merge_config_selectorIssEEZZNS1_27merge_sort_block_merge_implIS3_N6thrust23THRUST_200600_302600_NS6detail15normal_iteratorINS8_10device_ptrIsEEEESD_jNS1_19radix_merge_compareILb0ELb1EsNS0_19identity_decomposerEEEEE10hipError_tT0_T1_T2_jT3_P12ihipStream_tbPNSt15iterator_traitsISI_E10value_typeEPNSO_ISJ_E10value_typeEPSK_NS1_7vsmem_tEENKUlT_SI_SJ_SK_E_clISD_PsSD_S10_EESH_SX_SI_SJ_SK_EUlSX_E1_NS1_11comp_targetILNS1_3genE10ELNS1_11target_archE1201ELNS1_3gpuE5ELNS1_3repE0EEENS1_36merge_oddeven_config_static_selectorELNS0_4arch9wavefront6targetE1EEEvSJ_,"axG",@progbits,_ZN7rocprim17ROCPRIM_400000_NS6detail17trampoline_kernelINS0_14default_configENS1_38merge_sort_block_merge_config_selectorIssEEZZNS1_27merge_sort_block_merge_implIS3_N6thrust23THRUST_200600_302600_NS6detail15normal_iteratorINS8_10device_ptrIsEEEESD_jNS1_19radix_merge_compareILb0ELb1EsNS0_19identity_decomposerEEEEE10hipError_tT0_T1_T2_jT3_P12ihipStream_tbPNSt15iterator_traitsISI_E10value_typeEPNSO_ISJ_E10value_typeEPSK_NS1_7vsmem_tEENKUlT_SI_SJ_SK_E_clISD_PsSD_S10_EESH_SX_SI_SJ_SK_EUlSX_E1_NS1_11comp_targetILNS1_3genE10ELNS1_11target_archE1201ELNS1_3gpuE5ELNS1_3repE0EEENS1_36merge_oddeven_config_static_selectorELNS0_4arch9wavefront6targetE1EEEvSJ_,comdat
.Lfunc_end1608:
	.size	_ZN7rocprim17ROCPRIM_400000_NS6detail17trampoline_kernelINS0_14default_configENS1_38merge_sort_block_merge_config_selectorIssEEZZNS1_27merge_sort_block_merge_implIS3_N6thrust23THRUST_200600_302600_NS6detail15normal_iteratorINS8_10device_ptrIsEEEESD_jNS1_19radix_merge_compareILb0ELb1EsNS0_19identity_decomposerEEEEE10hipError_tT0_T1_T2_jT3_P12ihipStream_tbPNSt15iterator_traitsISI_E10value_typeEPNSO_ISJ_E10value_typeEPSK_NS1_7vsmem_tEENKUlT_SI_SJ_SK_E_clISD_PsSD_S10_EESH_SX_SI_SJ_SK_EUlSX_E1_NS1_11comp_targetILNS1_3genE10ELNS1_11target_archE1201ELNS1_3gpuE5ELNS1_3repE0EEENS1_36merge_oddeven_config_static_selectorELNS0_4arch9wavefront6targetE1EEEvSJ_, .Lfunc_end1608-_ZN7rocprim17ROCPRIM_400000_NS6detail17trampoline_kernelINS0_14default_configENS1_38merge_sort_block_merge_config_selectorIssEEZZNS1_27merge_sort_block_merge_implIS3_N6thrust23THRUST_200600_302600_NS6detail15normal_iteratorINS8_10device_ptrIsEEEESD_jNS1_19radix_merge_compareILb0ELb1EsNS0_19identity_decomposerEEEEE10hipError_tT0_T1_T2_jT3_P12ihipStream_tbPNSt15iterator_traitsISI_E10value_typeEPNSO_ISJ_E10value_typeEPSK_NS1_7vsmem_tEENKUlT_SI_SJ_SK_E_clISD_PsSD_S10_EESH_SX_SI_SJ_SK_EUlSX_E1_NS1_11comp_targetILNS1_3genE10ELNS1_11target_archE1201ELNS1_3gpuE5ELNS1_3repE0EEENS1_36merge_oddeven_config_static_selectorELNS0_4arch9wavefront6targetE1EEEvSJ_
                                        ; -- End function
	.set _ZN7rocprim17ROCPRIM_400000_NS6detail17trampoline_kernelINS0_14default_configENS1_38merge_sort_block_merge_config_selectorIssEEZZNS1_27merge_sort_block_merge_implIS3_N6thrust23THRUST_200600_302600_NS6detail15normal_iteratorINS8_10device_ptrIsEEEESD_jNS1_19radix_merge_compareILb0ELb1EsNS0_19identity_decomposerEEEEE10hipError_tT0_T1_T2_jT3_P12ihipStream_tbPNSt15iterator_traitsISI_E10value_typeEPNSO_ISJ_E10value_typeEPSK_NS1_7vsmem_tEENKUlT_SI_SJ_SK_E_clISD_PsSD_S10_EESH_SX_SI_SJ_SK_EUlSX_E1_NS1_11comp_targetILNS1_3genE10ELNS1_11target_archE1201ELNS1_3gpuE5ELNS1_3repE0EEENS1_36merge_oddeven_config_static_selectorELNS0_4arch9wavefront6targetE1EEEvSJ_.num_vgpr, 0
	.set _ZN7rocprim17ROCPRIM_400000_NS6detail17trampoline_kernelINS0_14default_configENS1_38merge_sort_block_merge_config_selectorIssEEZZNS1_27merge_sort_block_merge_implIS3_N6thrust23THRUST_200600_302600_NS6detail15normal_iteratorINS8_10device_ptrIsEEEESD_jNS1_19radix_merge_compareILb0ELb1EsNS0_19identity_decomposerEEEEE10hipError_tT0_T1_T2_jT3_P12ihipStream_tbPNSt15iterator_traitsISI_E10value_typeEPNSO_ISJ_E10value_typeEPSK_NS1_7vsmem_tEENKUlT_SI_SJ_SK_E_clISD_PsSD_S10_EESH_SX_SI_SJ_SK_EUlSX_E1_NS1_11comp_targetILNS1_3genE10ELNS1_11target_archE1201ELNS1_3gpuE5ELNS1_3repE0EEENS1_36merge_oddeven_config_static_selectorELNS0_4arch9wavefront6targetE1EEEvSJ_.num_agpr, 0
	.set _ZN7rocprim17ROCPRIM_400000_NS6detail17trampoline_kernelINS0_14default_configENS1_38merge_sort_block_merge_config_selectorIssEEZZNS1_27merge_sort_block_merge_implIS3_N6thrust23THRUST_200600_302600_NS6detail15normal_iteratorINS8_10device_ptrIsEEEESD_jNS1_19radix_merge_compareILb0ELb1EsNS0_19identity_decomposerEEEEE10hipError_tT0_T1_T2_jT3_P12ihipStream_tbPNSt15iterator_traitsISI_E10value_typeEPNSO_ISJ_E10value_typeEPSK_NS1_7vsmem_tEENKUlT_SI_SJ_SK_E_clISD_PsSD_S10_EESH_SX_SI_SJ_SK_EUlSX_E1_NS1_11comp_targetILNS1_3genE10ELNS1_11target_archE1201ELNS1_3gpuE5ELNS1_3repE0EEENS1_36merge_oddeven_config_static_selectorELNS0_4arch9wavefront6targetE1EEEvSJ_.numbered_sgpr, 0
	.set _ZN7rocprim17ROCPRIM_400000_NS6detail17trampoline_kernelINS0_14default_configENS1_38merge_sort_block_merge_config_selectorIssEEZZNS1_27merge_sort_block_merge_implIS3_N6thrust23THRUST_200600_302600_NS6detail15normal_iteratorINS8_10device_ptrIsEEEESD_jNS1_19radix_merge_compareILb0ELb1EsNS0_19identity_decomposerEEEEE10hipError_tT0_T1_T2_jT3_P12ihipStream_tbPNSt15iterator_traitsISI_E10value_typeEPNSO_ISJ_E10value_typeEPSK_NS1_7vsmem_tEENKUlT_SI_SJ_SK_E_clISD_PsSD_S10_EESH_SX_SI_SJ_SK_EUlSX_E1_NS1_11comp_targetILNS1_3genE10ELNS1_11target_archE1201ELNS1_3gpuE5ELNS1_3repE0EEENS1_36merge_oddeven_config_static_selectorELNS0_4arch9wavefront6targetE1EEEvSJ_.num_named_barrier, 0
	.set _ZN7rocprim17ROCPRIM_400000_NS6detail17trampoline_kernelINS0_14default_configENS1_38merge_sort_block_merge_config_selectorIssEEZZNS1_27merge_sort_block_merge_implIS3_N6thrust23THRUST_200600_302600_NS6detail15normal_iteratorINS8_10device_ptrIsEEEESD_jNS1_19radix_merge_compareILb0ELb1EsNS0_19identity_decomposerEEEEE10hipError_tT0_T1_T2_jT3_P12ihipStream_tbPNSt15iterator_traitsISI_E10value_typeEPNSO_ISJ_E10value_typeEPSK_NS1_7vsmem_tEENKUlT_SI_SJ_SK_E_clISD_PsSD_S10_EESH_SX_SI_SJ_SK_EUlSX_E1_NS1_11comp_targetILNS1_3genE10ELNS1_11target_archE1201ELNS1_3gpuE5ELNS1_3repE0EEENS1_36merge_oddeven_config_static_selectorELNS0_4arch9wavefront6targetE1EEEvSJ_.private_seg_size, 0
	.set _ZN7rocprim17ROCPRIM_400000_NS6detail17trampoline_kernelINS0_14default_configENS1_38merge_sort_block_merge_config_selectorIssEEZZNS1_27merge_sort_block_merge_implIS3_N6thrust23THRUST_200600_302600_NS6detail15normal_iteratorINS8_10device_ptrIsEEEESD_jNS1_19radix_merge_compareILb0ELb1EsNS0_19identity_decomposerEEEEE10hipError_tT0_T1_T2_jT3_P12ihipStream_tbPNSt15iterator_traitsISI_E10value_typeEPNSO_ISJ_E10value_typeEPSK_NS1_7vsmem_tEENKUlT_SI_SJ_SK_E_clISD_PsSD_S10_EESH_SX_SI_SJ_SK_EUlSX_E1_NS1_11comp_targetILNS1_3genE10ELNS1_11target_archE1201ELNS1_3gpuE5ELNS1_3repE0EEENS1_36merge_oddeven_config_static_selectorELNS0_4arch9wavefront6targetE1EEEvSJ_.uses_vcc, 0
	.set _ZN7rocprim17ROCPRIM_400000_NS6detail17trampoline_kernelINS0_14default_configENS1_38merge_sort_block_merge_config_selectorIssEEZZNS1_27merge_sort_block_merge_implIS3_N6thrust23THRUST_200600_302600_NS6detail15normal_iteratorINS8_10device_ptrIsEEEESD_jNS1_19radix_merge_compareILb0ELb1EsNS0_19identity_decomposerEEEEE10hipError_tT0_T1_T2_jT3_P12ihipStream_tbPNSt15iterator_traitsISI_E10value_typeEPNSO_ISJ_E10value_typeEPSK_NS1_7vsmem_tEENKUlT_SI_SJ_SK_E_clISD_PsSD_S10_EESH_SX_SI_SJ_SK_EUlSX_E1_NS1_11comp_targetILNS1_3genE10ELNS1_11target_archE1201ELNS1_3gpuE5ELNS1_3repE0EEENS1_36merge_oddeven_config_static_selectorELNS0_4arch9wavefront6targetE1EEEvSJ_.uses_flat_scratch, 0
	.set _ZN7rocprim17ROCPRIM_400000_NS6detail17trampoline_kernelINS0_14default_configENS1_38merge_sort_block_merge_config_selectorIssEEZZNS1_27merge_sort_block_merge_implIS3_N6thrust23THRUST_200600_302600_NS6detail15normal_iteratorINS8_10device_ptrIsEEEESD_jNS1_19radix_merge_compareILb0ELb1EsNS0_19identity_decomposerEEEEE10hipError_tT0_T1_T2_jT3_P12ihipStream_tbPNSt15iterator_traitsISI_E10value_typeEPNSO_ISJ_E10value_typeEPSK_NS1_7vsmem_tEENKUlT_SI_SJ_SK_E_clISD_PsSD_S10_EESH_SX_SI_SJ_SK_EUlSX_E1_NS1_11comp_targetILNS1_3genE10ELNS1_11target_archE1201ELNS1_3gpuE5ELNS1_3repE0EEENS1_36merge_oddeven_config_static_selectorELNS0_4arch9wavefront6targetE1EEEvSJ_.has_dyn_sized_stack, 0
	.set _ZN7rocprim17ROCPRIM_400000_NS6detail17trampoline_kernelINS0_14default_configENS1_38merge_sort_block_merge_config_selectorIssEEZZNS1_27merge_sort_block_merge_implIS3_N6thrust23THRUST_200600_302600_NS6detail15normal_iteratorINS8_10device_ptrIsEEEESD_jNS1_19radix_merge_compareILb0ELb1EsNS0_19identity_decomposerEEEEE10hipError_tT0_T1_T2_jT3_P12ihipStream_tbPNSt15iterator_traitsISI_E10value_typeEPNSO_ISJ_E10value_typeEPSK_NS1_7vsmem_tEENKUlT_SI_SJ_SK_E_clISD_PsSD_S10_EESH_SX_SI_SJ_SK_EUlSX_E1_NS1_11comp_targetILNS1_3genE10ELNS1_11target_archE1201ELNS1_3gpuE5ELNS1_3repE0EEENS1_36merge_oddeven_config_static_selectorELNS0_4arch9wavefront6targetE1EEEvSJ_.has_recursion, 0
	.set _ZN7rocprim17ROCPRIM_400000_NS6detail17trampoline_kernelINS0_14default_configENS1_38merge_sort_block_merge_config_selectorIssEEZZNS1_27merge_sort_block_merge_implIS3_N6thrust23THRUST_200600_302600_NS6detail15normal_iteratorINS8_10device_ptrIsEEEESD_jNS1_19radix_merge_compareILb0ELb1EsNS0_19identity_decomposerEEEEE10hipError_tT0_T1_T2_jT3_P12ihipStream_tbPNSt15iterator_traitsISI_E10value_typeEPNSO_ISJ_E10value_typeEPSK_NS1_7vsmem_tEENKUlT_SI_SJ_SK_E_clISD_PsSD_S10_EESH_SX_SI_SJ_SK_EUlSX_E1_NS1_11comp_targetILNS1_3genE10ELNS1_11target_archE1201ELNS1_3gpuE5ELNS1_3repE0EEENS1_36merge_oddeven_config_static_selectorELNS0_4arch9wavefront6targetE1EEEvSJ_.has_indirect_call, 0
	.section	.AMDGPU.csdata,"",@progbits
; Kernel info:
; codeLenInByte = 0
; TotalNumSgprs: 6
; NumVgprs: 0
; NumAgprs: 0
; TotalNumVgprs: 0
; ScratchSize: 0
; MemoryBound: 0
; FloatMode: 240
; IeeeMode: 1
; LDSByteSize: 0 bytes/workgroup (compile time only)
; SGPRBlocks: 0
; VGPRBlocks: 0
; NumSGPRsForWavesPerEU: 6
; NumVGPRsForWavesPerEU: 1
; AccumOffset: 4
; Occupancy: 8
; WaveLimiterHint : 0
; COMPUTE_PGM_RSRC2:SCRATCH_EN: 0
; COMPUTE_PGM_RSRC2:USER_SGPR: 2
; COMPUTE_PGM_RSRC2:TRAP_HANDLER: 0
; COMPUTE_PGM_RSRC2:TGID_X_EN: 1
; COMPUTE_PGM_RSRC2:TGID_Y_EN: 0
; COMPUTE_PGM_RSRC2:TGID_Z_EN: 0
; COMPUTE_PGM_RSRC2:TIDIG_COMP_CNT: 0
; COMPUTE_PGM_RSRC3_GFX90A:ACCUM_OFFSET: 0
; COMPUTE_PGM_RSRC3_GFX90A:TG_SPLIT: 0
	.section	.text._ZN7rocprim17ROCPRIM_400000_NS6detail17trampoline_kernelINS0_14default_configENS1_38merge_sort_block_merge_config_selectorIssEEZZNS1_27merge_sort_block_merge_implIS3_N6thrust23THRUST_200600_302600_NS6detail15normal_iteratorINS8_10device_ptrIsEEEESD_jNS1_19radix_merge_compareILb0ELb1EsNS0_19identity_decomposerEEEEE10hipError_tT0_T1_T2_jT3_P12ihipStream_tbPNSt15iterator_traitsISI_E10value_typeEPNSO_ISJ_E10value_typeEPSK_NS1_7vsmem_tEENKUlT_SI_SJ_SK_E_clISD_PsSD_S10_EESH_SX_SI_SJ_SK_EUlSX_E1_NS1_11comp_targetILNS1_3genE5ELNS1_11target_archE942ELNS1_3gpuE9ELNS1_3repE0EEENS1_36merge_oddeven_config_static_selectorELNS0_4arch9wavefront6targetE1EEEvSJ_,"axG",@progbits,_ZN7rocprim17ROCPRIM_400000_NS6detail17trampoline_kernelINS0_14default_configENS1_38merge_sort_block_merge_config_selectorIssEEZZNS1_27merge_sort_block_merge_implIS3_N6thrust23THRUST_200600_302600_NS6detail15normal_iteratorINS8_10device_ptrIsEEEESD_jNS1_19radix_merge_compareILb0ELb1EsNS0_19identity_decomposerEEEEE10hipError_tT0_T1_T2_jT3_P12ihipStream_tbPNSt15iterator_traitsISI_E10value_typeEPNSO_ISJ_E10value_typeEPSK_NS1_7vsmem_tEENKUlT_SI_SJ_SK_E_clISD_PsSD_S10_EESH_SX_SI_SJ_SK_EUlSX_E1_NS1_11comp_targetILNS1_3genE5ELNS1_11target_archE942ELNS1_3gpuE9ELNS1_3repE0EEENS1_36merge_oddeven_config_static_selectorELNS0_4arch9wavefront6targetE1EEEvSJ_,comdat
	.protected	_ZN7rocprim17ROCPRIM_400000_NS6detail17trampoline_kernelINS0_14default_configENS1_38merge_sort_block_merge_config_selectorIssEEZZNS1_27merge_sort_block_merge_implIS3_N6thrust23THRUST_200600_302600_NS6detail15normal_iteratorINS8_10device_ptrIsEEEESD_jNS1_19radix_merge_compareILb0ELb1EsNS0_19identity_decomposerEEEEE10hipError_tT0_T1_T2_jT3_P12ihipStream_tbPNSt15iterator_traitsISI_E10value_typeEPNSO_ISJ_E10value_typeEPSK_NS1_7vsmem_tEENKUlT_SI_SJ_SK_E_clISD_PsSD_S10_EESH_SX_SI_SJ_SK_EUlSX_E1_NS1_11comp_targetILNS1_3genE5ELNS1_11target_archE942ELNS1_3gpuE9ELNS1_3repE0EEENS1_36merge_oddeven_config_static_selectorELNS0_4arch9wavefront6targetE1EEEvSJ_ ; -- Begin function _ZN7rocprim17ROCPRIM_400000_NS6detail17trampoline_kernelINS0_14default_configENS1_38merge_sort_block_merge_config_selectorIssEEZZNS1_27merge_sort_block_merge_implIS3_N6thrust23THRUST_200600_302600_NS6detail15normal_iteratorINS8_10device_ptrIsEEEESD_jNS1_19radix_merge_compareILb0ELb1EsNS0_19identity_decomposerEEEEE10hipError_tT0_T1_T2_jT3_P12ihipStream_tbPNSt15iterator_traitsISI_E10value_typeEPNSO_ISJ_E10value_typeEPSK_NS1_7vsmem_tEENKUlT_SI_SJ_SK_E_clISD_PsSD_S10_EESH_SX_SI_SJ_SK_EUlSX_E1_NS1_11comp_targetILNS1_3genE5ELNS1_11target_archE942ELNS1_3gpuE9ELNS1_3repE0EEENS1_36merge_oddeven_config_static_selectorELNS0_4arch9wavefront6targetE1EEEvSJ_
	.globl	_ZN7rocprim17ROCPRIM_400000_NS6detail17trampoline_kernelINS0_14default_configENS1_38merge_sort_block_merge_config_selectorIssEEZZNS1_27merge_sort_block_merge_implIS3_N6thrust23THRUST_200600_302600_NS6detail15normal_iteratorINS8_10device_ptrIsEEEESD_jNS1_19radix_merge_compareILb0ELb1EsNS0_19identity_decomposerEEEEE10hipError_tT0_T1_T2_jT3_P12ihipStream_tbPNSt15iterator_traitsISI_E10value_typeEPNSO_ISJ_E10value_typeEPSK_NS1_7vsmem_tEENKUlT_SI_SJ_SK_E_clISD_PsSD_S10_EESH_SX_SI_SJ_SK_EUlSX_E1_NS1_11comp_targetILNS1_3genE5ELNS1_11target_archE942ELNS1_3gpuE9ELNS1_3repE0EEENS1_36merge_oddeven_config_static_selectorELNS0_4arch9wavefront6targetE1EEEvSJ_
	.p2align	8
	.type	_ZN7rocprim17ROCPRIM_400000_NS6detail17trampoline_kernelINS0_14default_configENS1_38merge_sort_block_merge_config_selectorIssEEZZNS1_27merge_sort_block_merge_implIS3_N6thrust23THRUST_200600_302600_NS6detail15normal_iteratorINS8_10device_ptrIsEEEESD_jNS1_19radix_merge_compareILb0ELb1EsNS0_19identity_decomposerEEEEE10hipError_tT0_T1_T2_jT3_P12ihipStream_tbPNSt15iterator_traitsISI_E10value_typeEPNSO_ISJ_E10value_typeEPSK_NS1_7vsmem_tEENKUlT_SI_SJ_SK_E_clISD_PsSD_S10_EESH_SX_SI_SJ_SK_EUlSX_E1_NS1_11comp_targetILNS1_3genE5ELNS1_11target_archE942ELNS1_3gpuE9ELNS1_3repE0EEENS1_36merge_oddeven_config_static_selectorELNS0_4arch9wavefront6targetE1EEEvSJ_,@function
_ZN7rocprim17ROCPRIM_400000_NS6detail17trampoline_kernelINS0_14default_configENS1_38merge_sort_block_merge_config_selectorIssEEZZNS1_27merge_sort_block_merge_implIS3_N6thrust23THRUST_200600_302600_NS6detail15normal_iteratorINS8_10device_ptrIsEEEESD_jNS1_19radix_merge_compareILb0ELb1EsNS0_19identity_decomposerEEEEE10hipError_tT0_T1_T2_jT3_P12ihipStream_tbPNSt15iterator_traitsISI_E10value_typeEPNSO_ISJ_E10value_typeEPSK_NS1_7vsmem_tEENKUlT_SI_SJ_SK_E_clISD_PsSD_S10_EESH_SX_SI_SJ_SK_EUlSX_E1_NS1_11comp_targetILNS1_3genE5ELNS1_11target_archE942ELNS1_3gpuE9ELNS1_3repE0EEENS1_36merge_oddeven_config_static_selectorELNS0_4arch9wavefront6targetE1EEEvSJ_: ; @_ZN7rocprim17ROCPRIM_400000_NS6detail17trampoline_kernelINS0_14default_configENS1_38merge_sort_block_merge_config_selectorIssEEZZNS1_27merge_sort_block_merge_implIS3_N6thrust23THRUST_200600_302600_NS6detail15normal_iteratorINS8_10device_ptrIsEEEESD_jNS1_19radix_merge_compareILb0ELb1EsNS0_19identity_decomposerEEEEE10hipError_tT0_T1_T2_jT3_P12ihipStream_tbPNSt15iterator_traitsISI_E10value_typeEPNSO_ISJ_E10value_typeEPSK_NS1_7vsmem_tEENKUlT_SI_SJ_SK_E_clISD_PsSD_S10_EESH_SX_SI_SJ_SK_EUlSX_E1_NS1_11comp_targetILNS1_3genE5ELNS1_11target_archE942ELNS1_3gpuE9ELNS1_3repE0EEENS1_36merge_oddeven_config_static_selectorELNS0_4arch9wavefront6targetE1EEEvSJ_
; %bb.0:
	.section	.rodata,"a",@progbits
	.p2align	6, 0x0
	.amdhsa_kernel _ZN7rocprim17ROCPRIM_400000_NS6detail17trampoline_kernelINS0_14default_configENS1_38merge_sort_block_merge_config_selectorIssEEZZNS1_27merge_sort_block_merge_implIS3_N6thrust23THRUST_200600_302600_NS6detail15normal_iteratorINS8_10device_ptrIsEEEESD_jNS1_19radix_merge_compareILb0ELb1EsNS0_19identity_decomposerEEEEE10hipError_tT0_T1_T2_jT3_P12ihipStream_tbPNSt15iterator_traitsISI_E10value_typeEPNSO_ISJ_E10value_typeEPSK_NS1_7vsmem_tEENKUlT_SI_SJ_SK_E_clISD_PsSD_S10_EESH_SX_SI_SJ_SK_EUlSX_E1_NS1_11comp_targetILNS1_3genE5ELNS1_11target_archE942ELNS1_3gpuE9ELNS1_3repE0EEENS1_36merge_oddeven_config_static_selectorELNS0_4arch9wavefront6targetE1EEEvSJ_
		.amdhsa_group_segment_fixed_size 0
		.amdhsa_private_segment_fixed_size 0
		.amdhsa_kernarg_size 48
		.amdhsa_user_sgpr_count 2
		.amdhsa_user_sgpr_dispatch_ptr 0
		.amdhsa_user_sgpr_queue_ptr 0
		.amdhsa_user_sgpr_kernarg_segment_ptr 1
		.amdhsa_user_sgpr_dispatch_id 0
		.amdhsa_user_sgpr_kernarg_preload_length 0
		.amdhsa_user_sgpr_kernarg_preload_offset 0
		.amdhsa_user_sgpr_private_segment_size 0
		.amdhsa_uses_dynamic_stack 0
		.amdhsa_enable_private_segment 0
		.amdhsa_system_sgpr_workgroup_id_x 1
		.amdhsa_system_sgpr_workgroup_id_y 0
		.amdhsa_system_sgpr_workgroup_id_z 0
		.amdhsa_system_sgpr_workgroup_info 0
		.amdhsa_system_vgpr_workitem_id 0
		.amdhsa_next_free_vgpr 1
		.amdhsa_next_free_sgpr 0
		.amdhsa_accum_offset 4
		.amdhsa_reserve_vcc 0
		.amdhsa_float_round_mode_32 0
		.amdhsa_float_round_mode_16_64 0
		.amdhsa_float_denorm_mode_32 3
		.amdhsa_float_denorm_mode_16_64 3
		.amdhsa_dx10_clamp 1
		.amdhsa_ieee_mode 1
		.amdhsa_fp16_overflow 0
		.amdhsa_tg_split 0
		.amdhsa_exception_fp_ieee_invalid_op 0
		.amdhsa_exception_fp_denorm_src 0
		.amdhsa_exception_fp_ieee_div_zero 0
		.amdhsa_exception_fp_ieee_overflow 0
		.amdhsa_exception_fp_ieee_underflow 0
		.amdhsa_exception_fp_ieee_inexact 0
		.amdhsa_exception_int_div_zero 0
	.end_amdhsa_kernel
	.section	.text._ZN7rocprim17ROCPRIM_400000_NS6detail17trampoline_kernelINS0_14default_configENS1_38merge_sort_block_merge_config_selectorIssEEZZNS1_27merge_sort_block_merge_implIS3_N6thrust23THRUST_200600_302600_NS6detail15normal_iteratorINS8_10device_ptrIsEEEESD_jNS1_19radix_merge_compareILb0ELb1EsNS0_19identity_decomposerEEEEE10hipError_tT0_T1_T2_jT3_P12ihipStream_tbPNSt15iterator_traitsISI_E10value_typeEPNSO_ISJ_E10value_typeEPSK_NS1_7vsmem_tEENKUlT_SI_SJ_SK_E_clISD_PsSD_S10_EESH_SX_SI_SJ_SK_EUlSX_E1_NS1_11comp_targetILNS1_3genE5ELNS1_11target_archE942ELNS1_3gpuE9ELNS1_3repE0EEENS1_36merge_oddeven_config_static_selectorELNS0_4arch9wavefront6targetE1EEEvSJ_,"axG",@progbits,_ZN7rocprim17ROCPRIM_400000_NS6detail17trampoline_kernelINS0_14default_configENS1_38merge_sort_block_merge_config_selectorIssEEZZNS1_27merge_sort_block_merge_implIS3_N6thrust23THRUST_200600_302600_NS6detail15normal_iteratorINS8_10device_ptrIsEEEESD_jNS1_19radix_merge_compareILb0ELb1EsNS0_19identity_decomposerEEEEE10hipError_tT0_T1_T2_jT3_P12ihipStream_tbPNSt15iterator_traitsISI_E10value_typeEPNSO_ISJ_E10value_typeEPSK_NS1_7vsmem_tEENKUlT_SI_SJ_SK_E_clISD_PsSD_S10_EESH_SX_SI_SJ_SK_EUlSX_E1_NS1_11comp_targetILNS1_3genE5ELNS1_11target_archE942ELNS1_3gpuE9ELNS1_3repE0EEENS1_36merge_oddeven_config_static_selectorELNS0_4arch9wavefront6targetE1EEEvSJ_,comdat
.Lfunc_end1609:
	.size	_ZN7rocprim17ROCPRIM_400000_NS6detail17trampoline_kernelINS0_14default_configENS1_38merge_sort_block_merge_config_selectorIssEEZZNS1_27merge_sort_block_merge_implIS3_N6thrust23THRUST_200600_302600_NS6detail15normal_iteratorINS8_10device_ptrIsEEEESD_jNS1_19radix_merge_compareILb0ELb1EsNS0_19identity_decomposerEEEEE10hipError_tT0_T1_T2_jT3_P12ihipStream_tbPNSt15iterator_traitsISI_E10value_typeEPNSO_ISJ_E10value_typeEPSK_NS1_7vsmem_tEENKUlT_SI_SJ_SK_E_clISD_PsSD_S10_EESH_SX_SI_SJ_SK_EUlSX_E1_NS1_11comp_targetILNS1_3genE5ELNS1_11target_archE942ELNS1_3gpuE9ELNS1_3repE0EEENS1_36merge_oddeven_config_static_selectorELNS0_4arch9wavefront6targetE1EEEvSJ_, .Lfunc_end1609-_ZN7rocprim17ROCPRIM_400000_NS6detail17trampoline_kernelINS0_14default_configENS1_38merge_sort_block_merge_config_selectorIssEEZZNS1_27merge_sort_block_merge_implIS3_N6thrust23THRUST_200600_302600_NS6detail15normal_iteratorINS8_10device_ptrIsEEEESD_jNS1_19radix_merge_compareILb0ELb1EsNS0_19identity_decomposerEEEEE10hipError_tT0_T1_T2_jT3_P12ihipStream_tbPNSt15iterator_traitsISI_E10value_typeEPNSO_ISJ_E10value_typeEPSK_NS1_7vsmem_tEENKUlT_SI_SJ_SK_E_clISD_PsSD_S10_EESH_SX_SI_SJ_SK_EUlSX_E1_NS1_11comp_targetILNS1_3genE5ELNS1_11target_archE942ELNS1_3gpuE9ELNS1_3repE0EEENS1_36merge_oddeven_config_static_selectorELNS0_4arch9wavefront6targetE1EEEvSJ_
                                        ; -- End function
	.set _ZN7rocprim17ROCPRIM_400000_NS6detail17trampoline_kernelINS0_14default_configENS1_38merge_sort_block_merge_config_selectorIssEEZZNS1_27merge_sort_block_merge_implIS3_N6thrust23THRUST_200600_302600_NS6detail15normal_iteratorINS8_10device_ptrIsEEEESD_jNS1_19radix_merge_compareILb0ELb1EsNS0_19identity_decomposerEEEEE10hipError_tT0_T1_T2_jT3_P12ihipStream_tbPNSt15iterator_traitsISI_E10value_typeEPNSO_ISJ_E10value_typeEPSK_NS1_7vsmem_tEENKUlT_SI_SJ_SK_E_clISD_PsSD_S10_EESH_SX_SI_SJ_SK_EUlSX_E1_NS1_11comp_targetILNS1_3genE5ELNS1_11target_archE942ELNS1_3gpuE9ELNS1_3repE0EEENS1_36merge_oddeven_config_static_selectorELNS0_4arch9wavefront6targetE1EEEvSJ_.num_vgpr, 0
	.set _ZN7rocprim17ROCPRIM_400000_NS6detail17trampoline_kernelINS0_14default_configENS1_38merge_sort_block_merge_config_selectorIssEEZZNS1_27merge_sort_block_merge_implIS3_N6thrust23THRUST_200600_302600_NS6detail15normal_iteratorINS8_10device_ptrIsEEEESD_jNS1_19radix_merge_compareILb0ELb1EsNS0_19identity_decomposerEEEEE10hipError_tT0_T1_T2_jT3_P12ihipStream_tbPNSt15iterator_traitsISI_E10value_typeEPNSO_ISJ_E10value_typeEPSK_NS1_7vsmem_tEENKUlT_SI_SJ_SK_E_clISD_PsSD_S10_EESH_SX_SI_SJ_SK_EUlSX_E1_NS1_11comp_targetILNS1_3genE5ELNS1_11target_archE942ELNS1_3gpuE9ELNS1_3repE0EEENS1_36merge_oddeven_config_static_selectorELNS0_4arch9wavefront6targetE1EEEvSJ_.num_agpr, 0
	.set _ZN7rocprim17ROCPRIM_400000_NS6detail17trampoline_kernelINS0_14default_configENS1_38merge_sort_block_merge_config_selectorIssEEZZNS1_27merge_sort_block_merge_implIS3_N6thrust23THRUST_200600_302600_NS6detail15normal_iteratorINS8_10device_ptrIsEEEESD_jNS1_19radix_merge_compareILb0ELb1EsNS0_19identity_decomposerEEEEE10hipError_tT0_T1_T2_jT3_P12ihipStream_tbPNSt15iterator_traitsISI_E10value_typeEPNSO_ISJ_E10value_typeEPSK_NS1_7vsmem_tEENKUlT_SI_SJ_SK_E_clISD_PsSD_S10_EESH_SX_SI_SJ_SK_EUlSX_E1_NS1_11comp_targetILNS1_3genE5ELNS1_11target_archE942ELNS1_3gpuE9ELNS1_3repE0EEENS1_36merge_oddeven_config_static_selectorELNS0_4arch9wavefront6targetE1EEEvSJ_.numbered_sgpr, 0
	.set _ZN7rocprim17ROCPRIM_400000_NS6detail17trampoline_kernelINS0_14default_configENS1_38merge_sort_block_merge_config_selectorIssEEZZNS1_27merge_sort_block_merge_implIS3_N6thrust23THRUST_200600_302600_NS6detail15normal_iteratorINS8_10device_ptrIsEEEESD_jNS1_19radix_merge_compareILb0ELb1EsNS0_19identity_decomposerEEEEE10hipError_tT0_T1_T2_jT3_P12ihipStream_tbPNSt15iterator_traitsISI_E10value_typeEPNSO_ISJ_E10value_typeEPSK_NS1_7vsmem_tEENKUlT_SI_SJ_SK_E_clISD_PsSD_S10_EESH_SX_SI_SJ_SK_EUlSX_E1_NS1_11comp_targetILNS1_3genE5ELNS1_11target_archE942ELNS1_3gpuE9ELNS1_3repE0EEENS1_36merge_oddeven_config_static_selectorELNS0_4arch9wavefront6targetE1EEEvSJ_.num_named_barrier, 0
	.set _ZN7rocprim17ROCPRIM_400000_NS6detail17trampoline_kernelINS0_14default_configENS1_38merge_sort_block_merge_config_selectorIssEEZZNS1_27merge_sort_block_merge_implIS3_N6thrust23THRUST_200600_302600_NS6detail15normal_iteratorINS8_10device_ptrIsEEEESD_jNS1_19radix_merge_compareILb0ELb1EsNS0_19identity_decomposerEEEEE10hipError_tT0_T1_T2_jT3_P12ihipStream_tbPNSt15iterator_traitsISI_E10value_typeEPNSO_ISJ_E10value_typeEPSK_NS1_7vsmem_tEENKUlT_SI_SJ_SK_E_clISD_PsSD_S10_EESH_SX_SI_SJ_SK_EUlSX_E1_NS1_11comp_targetILNS1_3genE5ELNS1_11target_archE942ELNS1_3gpuE9ELNS1_3repE0EEENS1_36merge_oddeven_config_static_selectorELNS0_4arch9wavefront6targetE1EEEvSJ_.private_seg_size, 0
	.set _ZN7rocprim17ROCPRIM_400000_NS6detail17trampoline_kernelINS0_14default_configENS1_38merge_sort_block_merge_config_selectorIssEEZZNS1_27merge_sort_block_merge_implIS3_N6thrust23THRUST_200600_302600_NS6detail15normal_iteratorINS8_10device_ptrIsEEEESD_jNS1_19radix_merge_compareILb0ELb1EsNS0_19identity_decomposerEEEEE10hipError_tT0_T1_T2_jT3_P12ihipStream_tbPNSt15iterator_traitsISI_E10value_typeEPNSO_ISJ_E10value_typeEPSK_NS1_7vsmem_tEENKUlT_SI_SJ_SK_E_clISD_PsSD_S10_EESH_SX_SI_SJ_SK_EUlSX_E1_NS1_11comp_targetILNS1_3genE5ELNS1_11target_archE942ELNS1_3gpuE9ELNS1_3repE0EEENS1_36merge_oddeven_config_static_selectorELNS0_4arch9wavefront6targetE1EEEvSJ_.uses_vcc, 0
	.set _ZN7rocprim17ROCPRIM_400000_NS6detail17trampoline_kernelINS0_14default_configENS1_38merge_sort_block_merge_config_selectorIssEEZZNS1_27merge_sort_block_merge_implIS3_N6thrust23THRUST_200600_302600_NS6detail15normal_iteratorINS8_10device_ptrIsEEEESD_jNS1_19radix_merge_compareILb0ELb1EsNS0_19identity_decomposerEEEEE10hipError_tT0_T1_T2_jT3_P12ihipStream_tbPNSt15iterator_traitsISI_E10value_typeEPNSO_ISJ_E10value_typeEPSK_NS1_7vsmem_tEENKUlT_SI_SJ_SK_E_clISD_PsSD_S10_EESH_SX_SI_SJ_SK_EUlSX_E1_NS1_11comp_targetILNS1_3genE5ELNS1_11target_archE942ELNS1_3gpuE9ELNS1_3repE0EEENS1_36merge_oddeven_config_static_selectorELNS0_4arch9wavefront6targetE1EEEvSJ_.uses_flat_scratch, 0
	.set _ZN7rocprim17ROCPRIM_400000_NS6detail17trampoline_kernelINS0_14default_configENS1_38merge_sort_block_merge_config_selectorIssEEZZNS1_27merge_sort_block_merge_implIS3_N6thrust23THRUST_200600_302600_NS6detail15normal_iteratorINS8_10device_ptrIsEEEESD_jNS1_19radix_merge_compareILb0ELb1EsNS0_19identity_decomposerEEEEE10hipError_tT0_T1_T2_jT3_P12ihipStream_tbPNSt15iterator_traitsISI_E10value_typeEPNSO_ISJ_E10value_typeEPSK_NS1_7vsmem_tEENKUlT_SI_SJ_SK_E_clISD_PsSD_S10_EESH_SX_SI_SJ_SK_EUlSX_E1_NS1_11comp_targetILNS1_3genE5ELNS1_11target_archE942ELNS1_3gpuE9ELNS1_3repE0EEENS1_36merge_oddeven_config_static_selectorELNS0_4arch9wavefront6targetE1EEEvSJ_.has_dyn_sized_stack, 0
	.set _ZN7rocprim17ROCPRIM_400000_NS6detail17trampoline_kernelINS0_14default_configENS1_38merge_sort_block_merge_config_selectorIssEEZZNS1_27merge_sort_block_merge_implIS3_N6thrust23THRUST_200600_302600_NS6detail15normal_iteratorINS8_10device_ptrIsEEEESD_jNS1_19radix_merge_compareILb0ELb1EsNS0_19identity_decomposerEEEEE10hipError_tT0_T1_T2_jT3_P12ihipStream_tbPNSt15iterator_traitsISI_E10value_typeEPNSO_ISJ_E10value_typeEPSK_NS1_7vsmem_tEENKUlT_SI_SJ_SK_E_clISD_PsSD_S10_EESH_SX_SI_SJ_SK_EUlSX_E1_NS1_11comp_targetILNS1_3genE5ELNS1_11target_archE942ELNS1_3gpuE9ELNS1_3repE0EEENS1_36merge_oddeven_config_static_selectorELNS0_4arch9wavefront6targetE1EEEvSJ_.has_recursion, 0
	.set _ZN7rocprim17ROCPRIM_400000_NS6detail17trampoline_kernelINS0_14default_configENS1_38merge_sort_block_merge_config_selectorIssEEZZNS1_27merge_sort_block_merge_implIS3_N6thrust23THRUST_200600_302600_NS6detail15normal_iteratorINS8_10device_ptrIsEEEESD_jNS1_19radix_merge_compareILb0ELb1EsNS0_19identity_decomposerEEEEE10hipError_tT0_T1_T2_jT3_P12ihipStream_tbPNSt15iterator_traitsISI_E10value_typeEPNSO_ISJ_E10value_typeEPSK_NS1_7vsmem_tEENKUlT_SI_SJ_SK_E_clISD_PsSD_S10_EESH_SX_SI_SJ_SK_EUlSX_E1_NS1_11comp_targetILNS1_3genE5ELNS1_11target_archE942ELNS1_3gpuE9ELNS1_3repE0EEENS1_36merge_oddeven_config_static_selectorELNS0_4arch9wavefront6targetE1EEEvSJ_.has_indirect_call, 0
	.section	.AMDGPU.csdata,"",@progbits
; Kernel info:
; codeLenInByte = 0
; TotalNumSgprs: 6
; NumVgprs: 0
; NumAgprs: 0
; TotalNumVgprs: 0
; ScratchSize: 0
; MemoryBound: 0
; FloatMode: 240
; IeeeMode: 1
; LDSByteSize: 0 bytes/workgroup (compile time only)
; SGPRBlocks: 0
; VGPRBlocks: 0
; NumSGPRsForWavesPerEU: 6
; NumVGPRsForWavesPerEU: 1
; AccumOffset: 4
; Occupancy: 8
; WaveLimiterHint : 0
; COMPUTE_PGM_RSRC2:SCRATCH_EN: 0
; COMPUTE_PGM_RSRC2:USER_SGPR: 2
; COMPUTE_PGM_RSRC2:TRAP_HANDLER: 0
; COMPUTE_PGM_RSRC2:TGID_X_EN: 1
; COMPUTE_PGM_RSRC2:TGID_Y_EN: 0
; COMPUTE_PGM_RSRC2:TGID_Z_EN: 0
; COMPUTE_PGM_RSRC2:TIDIG_COMP_CNT: 0
; COMPUTE_PGM_RSRC3_GFX90A:ACCUM_OFFSET: 0
; COMPUTE_PGM_RSRC3_GFX90A:TG_SPLIT: 0
	.section	.text._ZN7rocprim17ROCPRIM_400000_NS6detail17trampoline_kernelINS0_14default_configENS1_38merge_sort_block_merge_config_selectorIssEEZZNS1_27merge_sort_block_merge_implIS3_N6thrust23THRUST_200600_302600_NS6detail15normal_iteratorINS8_10device_ptrIsEEEESD_jNS1_19radix_merge_compareILb0ELb1EsNS0_19identity_decomposerEEEEE10hipError_tT0_T1_T2_jT3_P12ihipStream_tbPNSt15iterator_traitsISI_E10value_typeEPNSO_ISJ_E10value_typeEPSK_NS1_7vsmem_tEENKUlT_SI_SJ_SK_E_clISD_PsSD_S10_EESH_SX_SI_SJ_SK_EUlSX_E1_NS1_11comp_targetILNS1_3genE4ELNS1_11target_archE910ELNS1_3gpuE8ELNS1_3repE0EEENS1_36merge_oddeven_config_static_selectorELNS0_4arch9wavefront6targetE1EEEvSJ_,"axG",@progbits,_ZN7rocprim17ROCPRIM_400000_NS6detail17trampoline_kernelINS0_14default_configENS1_38merge_sort_block_merge_config_selectorIssEEZZNS1_27merge_sort_block_merge_implIS3_N6thrust23THRUST_200600_302600_NS6detail15normal_iteratorINS8_10device_ptrIsEEEESD_jNS1_19radix_merge_compareILb0ELb1EsNS0_19identity_decomposerEEEEE10hipError_tT0_T1_T2_jT3_P12ihipStream_tbPNSt15iterator_traitsISI_E10value_typeEPNSO_ISJ_E10value_typeEPSK_NS1_7vsmem_tEENKUlT_SI_SJ_SK_E_clISD_PsSD_S10_EESH_SX_SI_SJ_SK_EUlSX_E1_NS1_11comp_targetILNS1_3genE4ELNS1_11target_archE910ELNS1_3gpuE8ELNS1_3repE0EEENS1_36merge_oddeven_config_static_selectorELNS0_4arch9wavefront6targetE1EEEvSJ_,comdat
	.protected	_ZN7rocprim17ROCPRIM_400000_NS6detail17trampoline_kernelINS0_14default_configENS1_38merge_sort_block_merge_config_selectorIssEEZZNS1_27merge_sort_block_merge_implIS3_N6thrust23THRUST_200600_302600_NS6detail15normal_iteratorINS8_10device_ptrIsEEEESD_jNS1_19radix_merge_compareILb0ELb1EsNS0_19identity_decomposerEEEEE10hipError_tT0_T1_T2_jT3_P12ihipStream_tbPNSt15iterator_traitsISI_E10value_typeEPNSO_ISJ_E10value_typeEPSK_NS1_7vsmem_tEENKUlT_SI_SJ_SK_E_clISD_PsSD_S10_EESH_SX_SI_SJ_SK_EUlSX_E1_NS1_11comp_targetILNS1_3genE4ELNS1_11target_archE910ELNS1_3gpuE8ELNS1_3repE0EEENS1_36merge_oddeven_config_static_selectorELNS0_4arch9wavefront6targetE1EEEvSJ_ ; -- Begin function _ZN7rocprim17ROCPRIM_400000_NS6detail17trampoline_kernelINS0_14default_configENS1_38merge_sort_block_merge_config_selectorIssEEZZNS1_27merge_sort_block_merge_implIS3_N6thrust23THRUST_200600_302600_NS6detail15normal_iteratorINS8_10device_ptrIsEEEESD_jNS1_19radix_merge_compareILb0ELb1EsNS0_19identity_decomposerEEEEE10hipError_tT0_T1_T2_jT3_P12ihipStream_tbPNSt15iterator_traitsISI_E10value_typeEPNSO_ISJ_E10value_typeEPSK_NS1_7vsmem_tEENKUlT_SI_SJ_SK_E_clISD_PsSD_S10_EESH_SX_SI_SJ_SK_EUlSX_E1_NS1_11comp_targetILNS1_3genE4ELNS1_11target_archE910ELNS1_3gpuE8ELNS1_3repE0EEENS1_36merge_oddeven_config_static_selectorELNS0_4arch9wavefront6targetE1EEEvSJ_
	.globl	_ZN7rocprim17ROCPRIM_400000_NS6detail17trampoline_kernelINS0_14default_configENS1_38merge_sort_block_merge_config_selectorIssEEZZNS1_27merge_sort_block_merge_implIS3_N6thrust23THRUST_200600_302600_NS6detail15normal_iteratorINS8_10device_ptrIsEEEESD_jNS1_19radix_merge_compareILb0ELb1EsNS0_19identity_decomposerEEEEE10hipError_tT0_T1_T2_jT3_P12ihipStream_tbPNSt15iterator_traitsISI_E10value_typeEPNSO_ISJ_E10value_typeEPSK_NS1_7vsmem_tEENKUlT_SI_SJ_SK_E_clISD_PsSD_S10_EESH_SX_SI_SJ_SK_EUlSX_E1_NS1_11comp_targetILNS1_3genE4ELNS1_11target_archE910ELNS1_3gpuE8ELNS1_3repE0EEENS1_36merge_oddeven_config_static_selectorELNS0_4arch9wavefront6targetE1EEEvSJ_
	.p2align	8
	.type	_ZN7rocprim17ROCPRIM_400000_NS6detail17trampoline_kernelINS0_14default_configENS1_38merge_sort_block_merge_config_selectorIssEEZZNS1_27merge_sort_block_merge_implIS3_N6thrust23THRUST_200600_302600_NS6detail15normal_iteratorINS8_10device_ptrIsEEEESD_jNS1_19radix_merge_compareILb0ELb1EsNS0_19identity_decomposerEEEEE10hipError_tT0_T1_T2_jT3_P12ihipStream_tbPNSt15iterator_traitsISI_E10value_typeEPNSO_ISJ_E10value_typeEPSK_NS1_7vsmem_tEENKUlT_SI_SJ_SK_E_clISD_PsSD_S10_EESH_SX_SI_SJ_SK_EUlSX_E1_NS1_11comp_targetILNS1_3genE4ELNS1_11target_archE910ELNS1_3gpuE8ELNS1_3repE0EEENS1_36merge_oddeven_config_static_selectorELNS0_4arch9wavefront6targetE1EEEvSJ_,@function
_ZN7rocprim17ROCPRIM_400000_NS6detail17trampoline_kernelINS0_14default_configENS1_38merge_sort_block_merge_config_selectorIssEEZZNS1_27merge_sort_block_merge_implIS3_N6thrust23THRUST_200600_302600_NS6detail15normal_iteratorINS8_10device_ptrIsEEEESD_jNS1_19radix_merge_compareILb0ELb1EsNS0_19identity_decomposerEEEEE10hipError_tT0_T1_T2_jT3_P12ihipStream_tbPNSt15iterator_traitsISI_E10value_typeEPNSO_ISJ_E10value_typeEPSK_NS1_7vsmem_tEENKUlT_SI_SJ_SK_E_clISD_PsSD_S10_EESH_SX_SI_SJ_SK_EUlSX_E1_NS1_11comp_targetILNS1_3genE4ELNS1_11target_archE910ELNS1_3gpuE8ELNS1_3repE0EEENS1_36merge_oddeven_config_static_selectorELNS0_4arch9wavefront6targetE1EEEvSJ_: ; @_ZN7rocprim17ROCPRIM_400000_NS6detail17trampoline_kernelINS0_14default_configENS1_38merge_sort_block_merge_config_selectorIssEEZZNS1_27merge_sort_block_merge_implIS3_N6thrust23THRUST_200600_302600_NS6detail15normal_iteratorINS8_10device_ptrIsEEEESD_jNS1_19radix_merge_compareILb0ELb1EsNS0_19identity_decomposerEEEEE10hipError_tT0_T1_T2_jT3_P12ihipStream_tbPNSt15iterator_traitsISI_E10value_typeEPNSO_ISJ_E10value_typeEPSK_NS1_7vsmem_tEENKUlT_SI_SJ_SK_E_clISD_PsSD_S10_EESH_SX_SI_SJ_SK_EUlSX_E1_NS1_11comp_targetILNS1_3genE4ELNS1_11target_archE910ELNS1_3gpuE8ELNS1_3repE0EEENS1_36merge_oddeven_config_static_selectorELNS0_4arch9wavefront6targetE1EEEvSJ_
; %bb.0:
	.section	.rodata,"a",@progbits
	.p2align	6, 0x0
	.amdhsa_kernel _ZN7rocprim17ROCPRIM_400000_NS6detail17trampoline_kernelINS0_14default_configENS1_38merge_sort_block_merge_config_selectorIssEEZZNS1_27merge_sort_block_merge_implIS3_N6thrust23THRUST_200600_302600_NS6detail15normal_iteratorINS8_10device_ptrIsEEEESD_jNS1_19radix_merge_compareILb0ELb1EsNS0_19identity_decomposerEEEEE10hipError_tT0_T1_T2_jT3_P12ihipStream_tbPNSt15iterator_traitsISI_E10value_typeEPNSO_ISJ_E10value_typeEPSK_NS1_7vsmem_tEENKUlT_SI_SJ_SK_E_clISD_PsSD_S10_EESH_SX_SI_SJ_SK_EUlSX_E1_NS1_11comp_targetILNS1_3genE4ELNS1_11target_archE910ELNS1_3gpuE8ELNS1_3repE0EEENS1_36merge_oddeven_config_static_selectorELNS0_4arch9wavefront6targetE1EEEvSJ_
		.amdhsa_group_segment_fixed_size 0
		.amdhsa_private_segment_fixed_size 0
		.amdhsa_kernarg_size 48
		.amdhsa_user_sgpr_count 2
		.amdhsa_user_sgpr_dispatch_ptr 0
		.amdhsa_user_sgpr_queue_ptr 0
		.amdhsa_user_sgpr_kernarg_segment_ptr 1
		.amdhsa_user_sgpr_dispatch_id 0
		.amdhsa_user_sgpr_kernarg_preload_length 0
		.amdhsa_user_sgpr_kernarg_preload_offset 0
		.amdhsa_user_sgpr_private_segment_size 0
		.amdhsa_uses_dynamic_stack 0
		.amdhsa_enable_private_segment 0
		.amdhsa_system_sgpr_workgroup_id_x 1
		.amdhsa_system_sgpr_workgroup_id_y 0
		.amdhsa_system_sgpr_workgroup_id_z 0
		.amdhsa_system_sgpr_workgroup_info 0
		.amdhsa_system_vgpr_workitem_id 0
		.amdhsa_next_free_vgpr 1
		.amdhsa_next_free_sgpr 0
		.amdhsa_accum_offset 4
		.amdhsa_reserve_vcc 0
		.amdhsa_float_round_mode_32 0
		.amdhsa_float_round_mode_16_64 0
		.amdhsa_float_denorm_mode_32 3
		.amdhsa_float_denorm_mode_16_64 3
		.amdhsa_dx10_clamp 1
		.amdhsa_ieee_mode 1
		.amdhsa_fp16_overflow 0
		.amdhsa_tg_split 0
		.amdhsa_exception_fp_ieee_invalid_op 0
		.amdhsa_exception_fp_denorm_src 0
		.amdhsa_exception_fp_ieee_div_zero 0
		.amdhsa_exception_fp_ieee_overflow 0
		.amdhsa_exception_fp_ieee_underflow 0
		.amdhsa_exception_fp_ieee_inexact 0
		.amdhsa_exception_int_div_zero 0
	.end_amdhsa_kernel
	.section	.text._ZN7rocprim17ROCPRIM_400000_NS6detail17trampoline_kernelINS0_14default_configENS1_38merge_sort_block_merge_config_selectorIssEEZZNS1_27merge_sort_block_merge_implIS3_N6thrust23THRUST_200600_302600_NS6detail15normal_iteratorINS8_10device_ptrIsEEEESD_jNS1_19radix_merge_compareILb0ELb1EsNS0_19identity_decomposerEEEEE10hipError_tT0_T1_T2_jT3_P12ihipStream_tbPNSt15iterator_traitsISI_E10value_typeEPNSO_ISJ_E10value_typeEPSK_NS1_7vsmem_tEENKUlT_SI_SJ_SK_E_clISD_PsSD_S10_EESH_SX_SI_SJ_SK_EUlSX_E1_NS1_11comp_targetILNS1_3genE4ELNS1_11target_archE910ELNS1_3gpuE8ELNS1_3repE0EEENS1_36merge_oddeven_config_static_selectorELNS0_4arch9wavefront6targetE1EEEvSJ_,"axG",@progbits,_ZN7rocprim17ROCPRIM_400000_NS6detail17trampoline_kernelINS0_14default_configENS1_38merge_sort_block_merge_config_selectorIssEEZZNS1_27merge_sort_block_merge_implIS3_N6thrust23THRUST_200600_302600_NS6detail15normal_iteratorINS8_10device_ptrIsEEEESD_jNS1_19radix_merge_compareILb0ELb1EsNS0_19identity_decomposerEEEEE10hipError_tT0_T1_T2_jT3_P12ihipStream_tbPNSt15iterator_traitsISI_E10value_typeEPNSO_ISJ_E10value_typeEPSK_NS1_7vsmem_tEENKUlT_SI_SJ_SK_E_clISD_PsSD_S10_EESH_SX_SI_SJ_SK_EUlSX_E1_NS1_11comp_targetILNS1_3genE4ELNS1_11target_archE910ELNS1_3gpuE8ELNS1_3repE0EEENS1_36merge_oddeven_config_static_selectorELNS0_4arch9wavefront6targetE1EEEvSJ_,comdat
.Lfunc_end1610:
	.size	_ZN7rocprim17ROCPRIM_400000_NS6detail17trampoline_kernelINS0_14default_configENS1_38merge_sort_block_merge_config_selectorIssEEZZNS1_27merge_sort_block_merge_implIS3_N6thrust23THRUST_200600_302600_NS6detail15normal_iteratorINS8_10device_ptrIsEEEESD_jNS1_19radix_merge_compareILb0ELb1EsNS0_19identity_decomposerEEEEE10hipError_tT0_T1_T2_jT3_P12ihipStream_tbPNSt15iterator_traitsISI_E10value_typeEPNSO_ISJ_E10value_typeEPSK_NS1_7vsmem_tEENKUlT_SI_SJ_SK_E_clISD_PsSD_S10_EESH_SX_SI_SJ_SK_EUlSX_E1_NS1_11comp_targetILNS1_3genE4ELNS1_11target_archE910ELNS1_3gpuE8ELNS1_3repE0EEENS1_36merge_oddeven_config_static_selectorELNS0_4arch9wavefront6targetE1EEEvSJ_, .Lfunc_end1610-_ZN7rocprim17ROCPRIM_400000_NS6detail17trampoline_kernelINS0_14default_configENS1_38merge_sort_block_merge_config_selectorIssEEZZNS1_27merge_sort_block_merge_implIS3_N6thrust23THRUST_200600_302600_NS6detail15normal_iteratorINS8_10device_ptrIsEEEESD_jNS1_19radix_merge_compareILb0ELb1EsNS0_19identity_decomposerEEEEE10hipError_tT0_T1_T2_jT3_P12ihipStream_tbPNSt15iterator_traitsISI_E10value_typeEPNSO_ISJ_E10value_typeEPSK_NS1_7vsmem_tEENKUlT_SI_SJ_SK_E_clISD_PsSD_S10_EESH_SX_SI_SJ_SK_EUlSX_E1_NS1_11comp_targetILNS1_3genE4ELNS1_11target_archE910ELNS1_3gpuE8ELNS1_3repE0EEENS1_36merge_oddeven_config_static_selectorELNS0_4arch9wavefront6targetE1EEEvSJ_
                                        ; -- End function
	.set _ZN7rocprim17ROCPRIM_400000_NS6detail17trampoline_kernelINS0_14default_configENS1_38merge_sort_block_merge_config_selectorIssEEZZNS1_27merge_sort_block_merge_implIS3_N6thrust23THRUST_200600_302600_NS6detail15normal_iteratorINS8_10device_ptrIsEEEESD_jNS1_19radix_merge_compareILb0ELb1EsNS0_19identity_decomposerEEEEE10hipError_tT0_T1_T2_jT3_P12ihipStream_tbPNSt15iterator_traitsISI_E10value_typeEPNSO_ISJ_E10value_typeEPSK_NS1_7vsmem_tEENKUlT_SI_SJ_SK_E_clISD_PsSD_S10_EESH_SX_SI_SJ_SK_EUlSX_E1_NS1_11comp_targetILNS1_3genE4ELNS1_11target_archE910ELNS1_3gpuE8ELNS1_3repE0EEENS1_36merge_oddeven_config_static_selectorELNS0_4arch9wavefront6targetE1EEEvSJ_.num_vgpr, 0
	.set _ZN7rocprim17ROCPRIM_400000_NS6detail17trampoline_kernelINS0_14default_configENS1_38merge_sort_block_merge_config_selectorIssEEZZNS1_27merge_sort_block_merge_implIS3_N6thrust23THRUST_200600_302600_NS6detail15normal_iteratorINS8_10device_ptrIsEEEESD_jNS1_19radix_merge_compareILb0ELb1EsNS0_19identity_decomposerEEEEE10hipError_tT0_T1_T2_jT3_P12ihipStream_tbPNSt15iterator_traitsISI_E10value_typeEPNSO_ISJ_E10value_typeEPSK_NS1_7vsmem_tEENKUlT_SI_SJ_SK_E_clISD_PsSD_S10_EESH_SX_SI_SJ_SK_EUlSX_E1_NS1_11comp_targetILNS1_3genE4ELNS1_11target_archE910ELNS1_3gpuE8ELNS1_3repE0EEENS1_36merge_oddeven_config_static_selectorELNS0_4arch9wavefront6targetE1EEEvSJ_.num_agpr, 0
	.set _ZN7rocprim17ROCPRIM_400000_NS6detail17trampoline_kernelINS0_14default_configENS1_38merge_sort_block_merge_config_selectorIssEEZZNS1_27merge_sort_block_merge_implIS3_N6thrust23THRUST_200600_302600_NS6detail15normal_iteratorINS8_10device_ptrIsEEEESD_jNS1_19radix_merge_compareILb0ELb1EsNS0_19identity_decomposerEEEEE10hipError_tT0_T1_T2_jT3_P12ihipStream_tbPNSt15iterator_traitsISI_E10value_typeEPNSO_ISJ_E10value_typeEPSK_NS1_7vsmem_tEENKUlT_SI_SJ_SK_E_clISD_PsSD_S10_EESH_SX_SI_SJ_SK_EUlSX_E1_NS1_11comp_targetILNS1_3genE4ELNS1_11target_archE910ELNS1_3gpuE8ELNS1_3repE0EEENS1_36merge_oddeven_config_static_selectorELNS0_4arch9wavefront6targetE1EEEvSJ_.numbered_sgpr, 0
	.set _ZN7rocprim17ROCPRIM_400000_NS6detail17trampoline_kernelINS0_14default_configENS1_38merge_sort_block_merge_config_selectorIssEEZZNS1_27merge_sort_block_merge_implIS3_N6thrust23THRUST_200600_302600_NS6detail15normal_iteratorINS8_10device_ptrIsEEEESD_jNS1_19radix_merge_compareILb0ELb1EsNS0_19identity_decomposerEEEEE10hipError_tT0_T1_T2_jT3_P12ihipStream_tbPNSt15iterator_traitsISI_E10value_typeEPNSO_ISJ_E10value_typeEPSK_NS1_7vsmem_tEENKUlT_SI_SJ_SK_E_clISD_PsSD_S10_EESH_SX_SI_SJ_SK_EUlSX_E1_NS1_11comp_targetILNS1_3genE4ELNS1_11target_archE910ELNS1_3gpuE8ELNS1_3repE0EEENS1_36merge_oddeven_config_static_selectorELNS0_4arch9wavefront6targetE1EEEvSJ_.num_named_barrier, 0
	.set _ZN7rocprim17ROCPRIM_400000_NS6detail17trampoline_kernelINS0_14default_configENS1_38merge_sort_block_merge_config_selectorIssEEZZNS1_27merge_sort_block_merge_implIS3_N6thrust23THRUST_200600_302600_NS6detail15normal_iteratorINS8_10device_ptrIsEEEESD_jNS1_19radix_merge_compareILb0ELb1EsNS0_19identity_decomposerEEEEE10hipError_tT0_T1_T2_jT3_P12ihipStream_tbPNSt15iterator_traitsISI_E10value_typeEPNSO_ISJ_E10value_typeEPSK_NS1_7vsmem_tEENKUlT_SI_SJ_SK_E_clISD_PsSD_S10_EESH_SX_SI_SJ_SK_EUlSX_E1_NS1_11comp_targetILNS1_3genE4ELNS1_11target_archE910ELNS1_3gpuE8ELNS1_3repE0EEENS1_36merge_oddeven_config_static_selectorELNS0_4arch9wavefront6targetE1EEEvSJ_.private_seg_size, 0
	.set _ZN7rocprim17ROCPRIM_400000_NS6detail17trampoline_kernelINS0_14default_configENS1_38merge_sort_block_merge_config_selectorIssEEZZNS1_27merge_sort_block_merge_implIS3_N6thrust23THRUST_200600_302600_NS6detail15normal_iteratorINS8_10device_ptrIsEEEESD_jNS1_19radix_merge_compareILb0ELb1EsNS0_19identity_decomposerEEEEE10hipError_tT0_T1_T2_jT3_P12ihipStream_tbPNSt15iterator_traitsISI_E10value_typeEPNSO_ISJ_E10value_typeEPSK_NS1_7vsmem_tEENKUlT_SI_SJ_SK_E_clISD_PsSD_S10_EESH_SX_SI_SJ_SK_EUlSX_E1_NS1_11comp_targetILNS1_3genE4ELNS1_11target_archE910ELNS1_3gpuE8ELNS1_3repE0EEENS1_36merge_oddeven_config_static_selectorELNS0_4arch9wavefront6targetE1EEEvSJ_.uses_vcc, 0
	.set _ZN7rocprim17ROCPRIM_400000_NS6detail17trampoline_kernelINS0_14default_configENS1_38merge_sort_block_merge_config_selectorIssEEZZNS1_27merge_sort_block_merge_implIS3_N6thrust23THRUST_200600_302600_NS6detail15normal_iteratorINS8_10device_ptrIsEEEESD_jNS1_19radix_merge_compareILb0ELb1EsNS0_19identity_decomposerEEEEE10hipError_tT0_T1_T2_jT3_P12ihipStream_tbPNSt15iterator_traitsISI_E10value_typeEPNSO_ISJ_E10value_typeEPSK_NS1_7vsmem_tEENKUlT_SI_SJ_SK_E_clISD_PsSD_S10_EESH_SX_SI_SJ_SK_EUlSX_E1_NS1_11comp_targetILNS1_3genE4ELNS1_11target_archE910ELNS1_3gpuE8ELNS1_3repE0EEENS1_36merge_oddeven_config_static_selectorELNS0_4arch9wavefront6targetE1EEEvSJ_.uses_flat_scratch, 0
	.set _ZN7rocprim17ROCPRIM_400000_NS6detail17trampoline_kernelINS0_14default_configENS1_38merge_sort_block_merge_config_selectorIssEEZZNS1_27merge_sort_block_merge_implIS3_N6thrust23THRUST_200600_302600_NS6detail15normal_iteratorINS8_10device_ptrIsEEEESD_jNS1_19radix_merge_compareILb0ELb1EsNS0_19identity_decomposerEEEEE10hipError_tT0_T1_T2_jT3_P12ihipStream_tbPNSt15iterator_traitsISI_E10value_typeEPNSO_ISJ_E10value_typeEPSK_NS1_7vsmem_tEENKUlT_SI_SJ_SK_E_clISD_PsSD_S10_EESH_SX_SI_SJ_SK_EUlSX_E1_NS1_11comp_targetILNS1_3genE4ELNS1_11target_archE910ELNS1_3gpuE8ELNS1_3repE0EEENS1_36merge_oddeven_config_static_selectorELNS0_4arch9wavefront6targetE1EEEvSJ_.has_dyn_sized_stack, 0
	.set _ZN7rocprim17ROCPRIM_400000_NS6detail17trampoline_kernelINS0_14default_configENS1_38merge_sort_block_merge_config_selectorIssEEZZNS1_27merge_sort_block_merge_implIS3_N6thrust23THRUST_200600_302600_NS6detail15normal_iteratorINS8_10device_ptrIsEEEESD_jNS1_19radix_merge_compareILb0ELb1EsNS0_19identity_decomposerEEEEE10hipError_tT0_T1_T2_jT3_P12ihipStream_tbPNSt15iterator_traitsISI_E10value_typeEPNSO_ISJ_E10value_typeEPSK_NS1_7vsmem_tEENKUlT_SI_SJ_SK_E_clISD_PsSD_S10_EESH_SX_SI_SJ_SK_EUlSX_E1_NS1_11comp_targetILNS1_3genE4ELNS1_11target_archE910ELNS1_3gpuE8ELNS1_3repE0EEENS1_36merge_oddeven_config_static_selectorELNS0_4arch9wavefront6targetE1EEEvSJ_.has_recursion, 0
	.set _ZN7rocprim17ROCPRIM_400000_NS6detail17trampoline_kernelINS0_14default_configENS1_38merge_sort_block_merge_config_selectorIssEEZZNS1_27merge_sort_block_merge_implIS3_N6thrust23THRUST_200600_302600_NS6detail15normal_iteratorINS8_10device_ptrIsEEEESD_jNS1_19radix_merge_compareILb0ELb1EsNS0_19identity_decomposerEEEEE10hipError_tT0_T1_T2_jT3_P12ihipStream_tbPNSt15iterator_traitsISI_E10value_typeEPNSO_ISJ_E10value_typeEPSK_NS1_7vsmem_tEENKUlT_SI_SJ_SK_E_clISD_PsSD_S10_EESH_SX_SI_SJ_SK_EUlSX_E1_NS1_11comp_targetILNS1_3genE4ELNS1_11target_archE910ELNS1_3gpuE8ELNS1_3repE0EEENS1_36merge_oddeven_config_static_selectorELNS0_4arch9wavefront6targetE1EEEvSJ_.has_indirect_call, 0
	.section	.AMDGPU.csdata,"",@progbits
; Kernel info:
; codeLenInByte = 0
; TotalNumSgprs: 6
; NumVgprs: 0
; NumAgprs: 0
; TotalNumVgprs: 0
; ScratchSize: 0
; MemoryBound: 0
; FloatMode: 240
; IeeeMode: 1
; LDSByteSize: 0 bytes/workgroup (compile time only)
; SGPRBlocks: 0
; VGPRBlocks: 0
; NumSGPRsForWavesPerEU: 6
; NumVGPRsForWavesPerEU: 1
; AccumOffset: 4
; Occupancy: 8
; WaveLimiterHint : 0
; COMPUTE_PGM_RSRC2:SCRATCH_EN: 0
; COMPUTE_PGM_RSRC2:USER_SGPR: 2
; COMPUTE_PGM_RSRC2:TRAP_HANDLER: 0
; COMPUTE_PGM_RSRC2:TGID_X_EN: 1
; COMPUTE_PGM_RSRC2:TGID_Y_EN: 0
; COMPUTE_PGM_RSRC2:TGID_Z_EN: 0
; COMPUTE_PGM_RSRC2:TIDIG_COMP_CNT: 0
; COMPUTE_PGM_RSRC3_GFX90A:ACCUM_OFFSET: 0
; COMPUTE_PGM_RSRC3_GFX90A:TG_SPLIT: 0
	.section	.text._ZN7rocprim17ROCPRIM_400000_NS6detail17trampoline_kernelINS0_14default_configENS1_38merge_sort_block_merge_config_selectorIssEEZZNS1_27merge_sort_block_merge_implIS3_N6thrust23THRUST_200600_302600_NS6detail15normal_iteratorINS8_10device_ptrIsEEEESD_jNS1_19radix_merge_compareILb0ELb1EsNS0_19identity_decomposerEEEEE10hipError_tT0_T1_T2_jT3_P12ihipStream_tbPNSt15iterator_traitsISI_E10value_typeEPNSO_ISJ_E10value_typeEPSK_NS1_7vsmem_tEENKUlT_SI_SJ_SK_E_clISD_PsSD_S10_EESH_SX_SI_SJ_SK_EUlSX_E1_NS1_11comp_targetILNS1_3genE3ELNS1_11target_archE908ELNS1_3gpuE7ELNS1_3repE0EEENS1_36merge_oddeven_config_static_selectorELNS0_4arch9wavefront6targetE1EEEvSJ_,"axG",@progbits,_ZN7rocprim17ROCPRIM_400000_NS6detail17trampoline_kernelINS0_14default_configENS1_38merge_sort_block_merge_config_selectorIssEEZZNS1_27merge_sort_block_merge_implIS3_N6thrust23THRUST_200600_302600_NS6detail15normal_iteratorINS8_10device_ptrIsEEEESD_jNS1_19radix_merge_compareILb0ELb1EsNS0_19identity_decomposerEEEEE10hipError_tT0_T1_T2_jT3_P12ihipStream_tbPNSt15iterator_traitsISI_E10value_typeEPNSO_ISJ_E10value_typeEPSK_NS1_7vsmem_tEENKUlT_SI_SJ_SK_E_clISD_PsSD_S10_EESH_SX_SI_SJ_SK_EUlSX_E1_NS1_11comp_targetILNS1_3genE3ELNS1_11target_archE908ELNS1_3gpuE7ELNS1_3repE0EEENS1_36merge_oddeven_config_static_selectorELNS0_4arch9wavefront6targetE1EEEvSJ_,comdat
	.protected	_ZN7rocprim17ROCPRIM_400000_NS6detail17trampoline_kernelINS0_14default_configENS1_38merge_sort_block_merge_config_selectorIssEEZZNS1_27merge_sort_block_merge_implIS3_N6thrust23THRUST_200600_302600_NS6detail15normal_iteratorINS8_10device_ptrIsEEEESD_jNS1_19radix_merge_compareILb0ELb1EsNS0_19identity_decomposerEEEEE10hipError_tT0_T1_T2_jT3_P12ihipStream_tbPNSt15iterator_traitsISI_E10value_typeEPNSO_ISJ_E10value_typeEPSK_NS1_7vsmem_tEENKUlT_SI_SJ_SK_E_clISD_PsSD_S10_EESH_SX_SI_SJ_SK_EUlSX_E1_NS1_11comp_targetILNS1_3genE3ELNS1_11target_archE908ELNS1_3gpuE7ELNS1_3repE0EEENS1_36merge_oddeven_config_static_selectorELNS0_4arch9wavefront6targetE1EEEvSJ_ ; -- Begin function _ZN7rocprim17ROCPRIM_400000_NS6detail17trampoline_kernelINS0_14default_configENS1_38merge_sort_block_merge_config_selectorIssEEZZNS1_27merge_sort_block_merge_implIS3_N6thrust23THRUST_200600_302600_NS6detail15normal_iteratorINS8_10device_ptrIsEEEESD_jNS1_19radix_merge_compareILb0ELb1EsNS0_19identity_decomposerEEEEE10hipError_tT0_T1_T2_jT3_P12ihipStream_tbPNSt15iterator_traitsISI_E10value_typeEPNSO_ISJ_E10value_typeEPSK_NS1_7vsmem_tEENKUlT_SI_SJ_SK_E_clISD_PsSD_S10_EESH_SX_SI_SJ_SK_EUlSX_E1_NS1_11comp_targetILNS1_3genE3ELNS1_11target_archE908ELNS1_3gpuE7ELNS1_3repE0EEENS1_36merge_oddeven_config_static_selectorELNS0_4arch9wavefront6targetE1EEEvSJ_
	.globl	_ZN7rocprim17ROCPRIM_400000_NS6detail17trampoline_kernelINS0_14default_configENS1_38merge_sort_block_merge_config_selectorIssEEZZNS1_27merge_sort_block_merge_implIS3_N6thrust23THRUST_200600_302600_NS6detail15normal_iteratorINS8_10device_ptrIsEEEESD_jNS1_19radix_merge_compareILb0ELb1EsNS0_19identity_decomposerEEEEE10hipError_tT0_T1_T2_jT3_P12ihipStream_tbPNSt15iterator_traitsISI_E10value_typeEPNSO_ISJ_E10value_typeEPSK_NS1_7vsmem_tEENKUlT_SI_SJ_SK_E_clISD_PsSD_S10_EESH_SX_SI_SJ_SK_EUlSX_E1_NS1_11comp_targetILNS1_3genE3ELNS1_11target_archE908ELNS1_3gpuE7ELNS1_3repE0EEENS1_36merge_oddeven_config_static_selectorELNS0_4arch9wavefront6targetE1EEEvSJ_
	.p2align	8
	.type	_ZN7rocprim17ROCPRIM_400000_NS6detail17trampoline_kernelINS0_14default_configENS1_38merge_sort_block_merge_config_selectorIssEEZZNS1_27merge_sort_block_merge_implIS3_N6thrust23THRUST_200600_302600_NS6detail15normal_iteratorINS8_10device_ptrIsEEEESD_jNS1_19radix_merge_compareILb0ELb1EsNS0_19identity_decomposerEEEEE10hipError_tT0_T1_T2_jT3_P12ihipStream_tbPNSt15iterator_traitsISI_E10value_typeEPNSO_ISJ_E10value_typeEPSK_NS1_7vsmem_tEENKUlT_SI_SJ_SK_E_clISD_PsSD_S10_EESH_SX_SI_SJ_SK_EUlSX_E1_NS1_11comp_targetILNS1_3genE3ELNS1_11target_archE908ELNS1_3gpuE7ELNS1_3repE0EEENS1_36merge_oddeven_config_static_selectorELNS0_4arch9wavefront6targetE1EEEvSJ_,@function
_ZN7rocprim17ROCPRIM_400000_NS6detail17trampoline_kernelINS0_14default_configENS1_38merge_sort_block_merge_config_selectorIssEEZZNS1_27merge_sort_block_merge_implIS3_N6thrust23THRUST_200600_302600_NS6detail15normal_iteratorINS8_10device_ptrIsEEEESD_jNS1_19radix_merge_compareILb0ELb1EsNS0_19identity_decomposerEEEEE10hipError_tT0_T1_T2_jT3_P12ihipStream_tbPNSt15iterator_traitsISI_E10value_typeEPNSO_ISJ_E10value_typeEPSK_NS1_7vsmem_tEENKUlT_SI_SJ_SK_E_clISD_PsSD_S10_EESH_SX_SI_SJ_SK_EUlSX_E1_NS1_11comp_targetILNS1_3genE3ELNS1_11target_archE908ELNS1_3gpuE7ELNS1_3repE0EEENS1_36merge_oddeven_config_static_selectorELNS0_4arch9wavefront6targetE1EEEvSJ_: ; @_ZN7rocprim17ROCPRIM_400000_NS6detail17trampoline_kernelINS0_14default_configENS1_38merge_sort_block_merge_config_selectorIssEEZZNS1_27merge_sort_block_merge_implIS3_N6thrust23THRUST_200600_302600_NS6detail15normal_iteratorINS8_10device_ptrIsEEEESD_jNS1_19radix_merge_compareILb0ELb1EsNS0_19identity_decomposerEEEEE10hipError_tT0_T1_T2_jT3_P12ihipStream_tbPNSt15iterator_traitsISI_E10value_typeEPNSO_ISJ_E10value_typeEPSK_NS1_7vsmem_tEENKUlT_SI_SJ_SK_E_clISD_PsSD_S10_EESH_SX_SI_SJ_SK_EUlSX_E1_NS1_11comp_targetILNS1_3genE3ELNS1_11target_archE908ELNS1_3gpuE7ELNS1_3repE0EEENS1_36merge_oddeven_config_static_selectorELNS0_4arch9wavefront6targetE1EEEvSJ_
; %bb.0:
	.section	.rodata,"a",@progbits
	.p2align	6, 0x0
	.amdhsa_kernel _ZN7rocprim17ROCPRIM_400000_NS6detail17trampoline_kernelINS0_14default_configENS1_38merge_sort_block_merge_config_selectorIssEEZZNS1_27merge_sort_block_merge_implIS3_N6thrust23THRUST_200600_302600_NS6detail15normal_iteratorINS8_10device_ptrIsEEEESD_jNS1_19radix_merge_compareILb0ELb1EsNS0_19identity_decomposerEEEEE10hipError_tT0_T1_T2_jT3_P12ihipStream_tbPNSt15iterator_traitsISI_E10value_typeEPNSO_ISJ_E10value_typeEPSK_NS1_7vsmem_tEENKUlT_SI_SJ_SK_E_clISD_PsSD_S10_EESH_SX_SI_SJ_SK_EUlSX_E1_NS1_11comp_targetILNS1_3genE3ELNS1_11target_archE908ELNS1_3gpuE7ELNS1_3repE0EEENS1_36merge_oddeven_config_static_selectorELNS0_4arch9wavefront6targetE1EEEvSJ_
		.amdhsa_group_segment_fixed_size 0
		.amdhsa_private_segment_fixed_size 0
		.amdhsa_kernarg_size 48
		.amdhsa_user_sgpr_count 2
		.amdhsa_user_sgpr_dispatch_ptr 0
		.amdhsa_user_sgpr_queue_ptr 0
		.amdhsa_user_sgpr_kernarg_segment_ptr 1
		.amdhsa_user_sgpr_dispatch_id 0
		.amdhsa_user_sgpr_kernarg_preload_length 0
		.amdhsa_user_sgpr_kernarg_preload_offset 0
		.amdhsa_user_sgpr_private_segment_size 0
		.amdhsa_uses_dynamic_stack 0
		.amdhsa_enable_private_segment 0
		.amdhsa_system_sgpr_workgroup_id_x 1
		.amdhsa_system_sgpr_workgroup_id_y 0
		.amdhsa_system_sgpr_workgroup_id_z 0
		.amdhsa_system_sgpr_workgroup_info 0
		.amdhsa_system_vgpr_workitem_id 0
		.amdhsa_next_free_vgpr 1
		.amdhsa_next_free_sgpr 0
		.amdhsa_accum_offset 4
		.amdhsa_reserve_vcc 0
		.amdhsa_float_round_mode_32 0
		.amdhsa_float_round_mode_16_64 0
		.amdhsa_float_denorm_mode_32 3
		.amdhsa_float_denorm_mode_16_64 3
		.amdhsa_dx10_clamp 1
		.amdhsa_ieee_mode 1
		.amdhsa_fp16_overflow 0
		.amdhsa_tg_split 0
		.amdhsa_exception_fp_ieee_invalid_op 0
		.amdhsa_exception_fp_denorm_src 0
		.amdhsa_exception_fp_ieee_div_zero 0
		.amdhsa_exception_fp_ieee_overflow 0
		.amdhsa_exception_fp_ieee_underflow 0
		.amdhsa_exception_fp_ieee_inexact 0
		.amdhsa_exception_int_div_zero 0
	.end_amdhsa_kernel
	.section	.text._ZN7rocprim17ROCPRIM_400000_NS6detail17trampoline_kernelINS0_14default_configENS1_38merge_sort_block_merge_config_selectorIssEEZZNS1_27merge_sort_block_merge_implIS3_N6thrust23THRUST_200600_302600_NS6detail15normal_iteratorINS8_10device_ptrIsEEEESD_jNS1_19radix_merge_compareILb0ELb1EsNS0_19identity_decomposerEEEEE10hipError_tT0_T1_T2_jT3_P12ihipStream_tbPNSt15iterator_traitsISI_E10value_typeEPNSO_ISJ_E10value_typeEPSK_NS1_7vsmem_tEENKUlT_SI_SJ_SK_E_clISD_PsSD_S10_EESH_SX_SI_SJ_SK_EUlSX_E1_NS1_11comp_targetILNS1_3genE3ELNS1_11target_archE908ELNS1_3gpuE7ELNS1_3repE0EEENS1_36merge_oddeven_config_static_selectorELNS0_4arch9wavefront6targetE1EEEvSJ_,"axG",@progbits,_ZN7rocprim17ROCPRIM_400000_NS6detail17trampoline_kernelINS0_14default_configENS1_38merge_sort_block_merge_config_selectorIssEEZZNS1_27merge_sort_block_merge_implIS3_N6thrust23THRUST_200600_302600_NS6detail15normal_iteratorINS8_10device_ptrIsEEEESD_jNS1_19radix_merge_compareILb0ELb1EsNS0_19identity_decomposerEEEEE10hipError_tT0_T1_T2_jT3_P12ihipStream_tbPNSt15iterator_traitsISI_E10value_typeEPNSO_ISJ_E10value_typeEPSK_NS1_7vsmem_tEENKUlT_SI_SJ_SK_E_clISD_PsSD_S10_EESH_SX_SI_SJ_SK_EUlSX_E1_NS1_11comp_targetILNS1_3genE3ELNS1_11target_archE908ELNS1_3gpuE7ELNS1_3repE0EEENS1_36merge_oddeven_config_static_selectorELNS0_4arch9wavefront6targetE1EEEvSJ_,comdat
.Lfunc_end1611:
	.size	_ZN7rocprim17ROCPRIM_400000_NS6detail17trampoline_kernelINS0_14default_configENS1_38merge_sort_block_merge_config_selectorIssEEZZNS1_27merge_sort_block_merge_implIS3_N6thrust23THRUST_200600_302600_NS6detail15normal_iteratorINS8_10device_ptrIsEEEESD_jNS1_19radix_merge_compareILb0ELb1EsNS0_19identity_decomposerEEEEE10hipError_tT0_T1_T2_jT3_P12ihipStream_tbPNSt15iterator_traitsISI_E10value_typeEPNSO_ISJ_E10value_typeEPSK_NS1_7vsmem_tEENKUlT_SI_SJ_SK_E_clISD_PsSD_S10_EESH_SX_SI_SJ_SK_EUlSX_E1_NS1_11comp_targetILNS1_3genE3ELNS1_11target_archE908ELNS1_3gpuE7ELNS1_3repE0EEENS1_36merge_oddeven_config_static_selectorELNS0_4arch9wavefront6targetE1EEEvSJ_, .Lfunc_end1611-_ZN7rocprim17ROCPRIM_400000_NS6detail17trampoline_kernelINS0_14default_configENS1_38merge_sort_block_merge_config_selectorIssEEZZNS1_27merge_sort_block_merge_implIS3_N6thrust23THRUST_200600_302600_NS6detail15normal_iteratorINS8_10device_ptrIsEEEESD_jNS1_19radix_merge_compareILb0ELb1EsNS0_19identity_decomposerEEEEE10hipError_tT0_T1_T2_jT3_P12ihipStream_tbPNSt15iterator_traitsISI_E10value_typeEPNSO_ISJ_E10value_typeEPSK_NS1_7vsmem_tEENKUlT_SI_SJ_SK_E_clISD_PsSD_S10_EESH_SX_SI_SJ_SK_EUlSX_E1_NS1_11comp_targetILNS1_3genE3ELNS1_11target_archE908ELNS1_3gpuE7ELNS1_3repE0EEENS1_36merge_oddeven_config_static_selectorELNS0_4arch9wavefront6targetE1EEEvSJ_
                                        ; -- End function
	.set _ZN7rocprim17ROCPRIM_400000_NS6detail17trampoline_kernelINS0_14default_configENS1_38merge_sort_block_merge_config_selectorIssEEZZNS1_27merge_sort_block_merge_implIS3_N6thrust23THRUST_200600_302600_NS6detail15normal_iteratorINS8_10device_ptrIsEEEESD_jNS1_19radix_merge_compareILb0ELb1EsNS0_19identity_decomposerEEEEE10hipError_tT0_T1_T2_jT3_P12ihipStream_tbPNSt15iterator_traitsISI_E10value_typeEPNSO_ISJ_E10value_typeEPSK_NS1_7vsmem_tEENKUlT_SI_SJ_SK_E_clISD_PsSD_S10_EESH_SX_SI_SJ_SK_EUlSX_E1_NS1_11comp_targetILNS1_3genE3ELNS1_11target_archE908ELNS1_3gpuE7ELNS1_3repE0EEENS1_36merge_oddeven_config_static_selectorELNS0_4arch9wavefront6targetE1EEEvSJ_.num_vgpr, 0
	.set _ZN7rocprim17ROCPRIM_400000_NS6detail17trampoline_kernelINS0_14default_configENS1_38merge_sort_block_merge_config_selectorIssEEZZNS1_27merge_sort_block_merge_implIS3_N6thrust23THRUST_200600_302600_NS6detail15normal_iteratorINS8_10device_ptrIsEEEESD_jNS1_19radix_merge_compareILb0ELb1EsNS0_19identity_decomposerEEEEE10hipError_tT0_T1_T2_jT3_P12ihipStream_tbPNSt15iterator_traitsISI_E10value_typeEPNSO_ISJ_E10value_typeEPSK_NS1_7vsmem_tEENKUlT_SI_SJ_SK_E_clISD_PsSD_S10_EESH_SX_SI_SJ_SK_EUlSX_E1_NS1_11comp_targetILNS1_3genE3ELNS1_11target_archE908ELNS1_3gpuE7ELNS1_3repE0EEENS1_36merge_oddeven_config_static_selectorELNS0_4arch9wavefront6targetE1EEEvSJ_.num_agpr, 0
	.set _ZN7rocprim17ROCPRIM_400000_NS6detail17trampoline_kernelINS0_14default_configENS1_38merge_sort_block_merge_config_selectorIssEEZZNS1_27merge_sort_block_merge_implIS3_N6thrust23THRUST_200600_302600_NS6detail15normal_iteratorINS8_10device_ptrIsEEEESD_jNS1_19radix_merge_compareILb0ELb1EsNS0_19identity_decomposerEEEEE10hipError_tT0_T1_T2_jT3_P12ihipStream_tbPNSt15iterator_traitsISI_E10value_typeEPNSO_ISJ_E10value_typeEPSK_NS1_7vsmem_tEENKUlT_SI_SJ_SK_E_clISD_PsSD_S10_EESH_SX_SI_SJ_SK_EUlSX_E1_NS1_11comp_targetILNS1_3genE3ELNS1_11target_archE908ELNS1_3gpuE7ELNS1_3repE0EEENS1_36merge_oddeven_config_static_selectorELNS0_4arch9wavefront6targetE1EEEvSJ_.numbered_sgpr, 0
	.set _ZN7rocprim17ROCPRIM_400000_NS6detail17trampoline_kernelINS0_14default_configENS1_38merge_sort_block_merge_config_selectorIssEEZZNS1_27merge_sort_block_merge_implIS3_N6thrust23THRUST_200600_302600_NS6detail15normal_iteratorINS8_10device_ptrIsEEEESD_jNS1_19radix_merge_compareILb0ELb1EsNS0_19identity_decomposerEEEEE10hipError_tT0_T1_T2_jT3_P12ihipStream_tbPNSt15iterator_traitsISI_E10value_typeEPNSO_ISJ_E10value_typeEPSK_NS1_7vsmem_tEENKUlT_SI_SJ_SK_E_clISD_PsSD_S10_EESH_SX_SI_SJ_SK_EUlSX_E1_NS1_11comp_targetILNS1_3genE3ELNS1_11target_archE908ELNS1_3gpuE7ELNS1_3repE0EEENS1_36merge_oddeven_config_static_selectorELNS0_4arch9wavefront6targetE1EEEvSJ_.num_named_barrier, 0
	.set _ZN7rocprim17ROCPRIM_400000_NS6detail17trampoline_kernelINS0_14default_configENS1_38merge_sort_block_merge_config_selectorIssEEZZNS1_27merge_sort_block_merge_implIS3_N6thrust23THRUST_200600_302600_NS6detail15normal_iteratorINS8_10device_ptrIsEEEESD_jNS1_19radix_merge_compareILb0ELb1EsNS0_19identity_decomposerEEEEE10hipError_tT0_T1_T2_jT3_P12ihipStream_tbPNSt15iterator_traitsISI_E10value_typeEPNSO_ISJ_E10value_typeEPSK_NS1_7vsmem_tEENKUlT_SI_SJ_SK_E_clISD_PsSD_S10_EESH_SX_SI_SJ_SK_EUlSX_E1_NS1_11comp_targetILNS1_3genE3ELNS1_11target_archE908ELNS1_3gpuE7ELNS1_3repE0EEENS1_36merge_oddeven_config_static_selectorELNS0_4arch9wavefront6targetE1EEEvSJ_.private_seg_size, 0
	.set _ZN7rocprim17ROCPRIM_400000_NS6detail17trampoline_kernelINS0_14default_configENS1_38merge_sort_block_merge_config_selectorIssEEZZNS1_27merge_sort_block_merge_implIS3_N6thrust23THRUST_200600_302600_NS6detail15normal_iteratorINS8_10device_ptrIsEEEESD_jNS1_19radix_merge_compareILb0ELb1EsNS0_19identity_decomposerEEEEE10hipError_tT0_T1_T2_jT3_P12ihipStream_tbPNSt15iterator_traitsISI_E10value_typeEPNSO_ISJ_E10value_typeEPSK_NS1_7vsmem_tEENKUlT_SI_SJ_SK_E_clISD_PsSD_S10_EESH_SX_SI_SJ_SK_EUlSX_E1_NS1_11comp_targetILNS1_3genE3ELNS1_11target_archE908ELNS1_3gpuE7ELNS1_3repE0EEENS1_36merge_oddeven_config_static_selectorELNS0_4arch9wavefront6targetE1EEEvSJ_.uses_vcc, 0
	.set _ZN7rocprim17ROCPRIM_400000_NS6detail17trampoline_kernelINS0_14default_configENS1_38merge_sort_block_merge_config_selectorIssEEZZNS1_27merge_sort_block_merge_implIS3_N6thrust23THRUST_200600_302600_NS6detail15normal_iteratorINS8_10device_ptrIsEEEESD_jNS1_19radix_merge_compareILb0ELb1EsNS0_19identity_decomposerEEEEE10hipError_tT0_T1_T2_jT3_P12ihipStream_tbPNSt15iterator_traitsISI_E10value_typeEPNSO_ISJ_E10value_typeEPSK_NS1_7vsmem_tEENKUlT_SI_SJ_SK_E_clISD_PsSD_S10_EESH_SX_SI_SJ_SK_EUlSX_E1_NS1_11comp_targetILNS1_3genE3ELNS1_11target_archE908ELNS1_3gpuE7ELNS1_3repE0EEENS1_36merge_oddeven_config_static_selectorELNS0_4arch9wavefront6targetE1EEEvSJ_.uses_flat_scratch, 0
	.set _ZN7rocprim17ROCPRIM_400000_NS6detail17trampoline_kernelINS0_14default_configENS1_38merge_sort_block_merge_config_selectorIssEEZZNS1_27merge_sort_block_merge_implIS3_N6thrust23THRUST_200600_302600_NS6detail15normal_iteratorINS8_10device_ptrIsEEEESD_jNS1_19radix_merge_compareILb0ELb1EsNS0_19identity_decomposerEEEEE10hipError_tT0_T1_T2_jT3_P12ihipStream_tbPNSt15iterator_traitsISI_E10value_typeEPNSO_ISJ_E10value_typeEPSK_NS1_7vsmem_tEENKUlT_SI_SJ_SK_E_clISD_PsSD_S10_EESH_SX_SI_SJ_SK_EUlSX_E1_NS1_11comp_targetILNS1_3genE3ELNS1_11target_archE908ELNS1_3gpuE7ELNS1_3repE0EEENS1_36merge_oddeven_config_static_selectorELNS0_4arch9wavefront6targetE1EEEvSJ_.has_dyn_sized_stack, 0
	.set _ZN7rocprim17ROCPRIM_400000_NS6detail17trampoline_kernelINS0_14default_configENS1_38merge_sort_block_merge_config_selectorIssEEZZNS1_27merge_sort_block_merge_implIS3_N6thrust23THRUST_200600_302600_NS6detail15normal_iteratorINS8_10device_ptrIsEEEESD_jNS1_19radix_merge_compareILb0ELb1EsNS0_19identity_decomposerEEEEE10hipError_tT0_T1_T2_jT3_P12ihipStream_tbPNSt15iterator_traitsISI_E10value_typeEPNSO_ISJ_E10value_typeEPSK_NS1_7vsmem_tEENKUlT_SI_SJ_SK_E_clISD_PsSD_S10_EESH_SX_SI_SJ_SK_EUlSX_E1_NS1_11comp_targetILNS1_3genE3ELNS1_11target_archE908ELNS1_3gpuE7ELNS1_3repE0EEENS1_36merge_oddeven_config_static_selectorELNS0_4arch9wavefront6targetE1EEEvSJ_.has_recursion, 0
	.set _ZN7rocprim17ROCPRIM_400000_NS6detail17trampoline_kernelINS0_14default_configENS1_38merge_sort_block_merge_config_selectorIssEEZZNS1_27merge_sort_block_merge_implIS3_N6thrust23THRUST_200600_302600_NS6detail15normal_iteratorINS8_10device_ptrIsEEEESD_jNS1_19radix_merge_compareILb0ELb1EsNS0_19identity_decomposerEEEEE10hipError_tT0_T1_T2_jT3_P12ihipStream_tbPNSt15iterator_traitsISI_E10value_typeEPNSO_ISJ_E10value_typeEPSK_NS1_7vsmem_tEENKUlT_SI_SJ_SK_E_clISD_PsSD_S10_EESH_SX_SI_SJ_SK_EUlSX_E1_NS1_11comp_targetILNS1_3genE3ELNS1_11target_archE908ELNS1_3gpuE7ELNS1_3repE0EEENS1_36merge_oddeven_config_static_selectorELNS0_4arch9wavefront6targetE1EEEvSJ_.has_indirect_call, 0
	.section	.AMDGPU.csdata,"",@progbits
; Kernel info:
; codeLenInByte = 0
; TotalNumSgprs: 6
; NumVgprs: 0
; NumAgprs: 0
; TotalNumVgprs: 0
; ScratchSize: 0
; MemoryBound: 0
; FloatMode: 240
; IeeeMode: 1
; LDSByteSize: 0 bytes/workgroup (compile time only)
; SGPRBlocks: 0
; VGPRBlocks: 0
; NumSGPRsForWavesPerEU: 6
; NumVGPRsForWavesPerEU: 1
; AccumOffset: 4
; Occupancy: 8
; WaveLimiterHint : 0
; COMPUTE_PGM_RSRC2:SCRATCH_EN: 0
; COMPUTE_PGM_RSRC2:USER_SGPR: 2
; COMPUTE_PGM_RSRC2:TRAP_HANDLER: 0
; COMPUTE_PGM_RSRC2:TGID_X_EN: 1
; COMPUTE_PGM_RSRC2:TGID_Y_EN: 0
; COMPUTE_PGM_RSRC2:TGID_Z_EN: 0
; COMPUTE_PGM_RSRC2:TIDIG_COMP_CNT: 0
; COMPUTE_PGM_RSRC3_GFX90A:ACCUM_OFFSET: 0
; COMPUTE_PGM_RSRC3_GFX90A:TG_SPLIT: 0
	.section	.text._ZN7rocprim17ROCPRIM_400000_NS6detail17trampoline_kernelINS0_14default_configENS1_38merge_sort_block_merge_config_selectorIssEEZZNS1_27merge_sort_block_merge_implIS3_N6thrust23THRUST_200600_302600_NS6detail15normal_iteratorINS8_10device_ptrIsEEEESD_jNS1_19radix_merge_compareILb0ELb1EsNS0_19identity_decomposerEEEEE10hipError_tT0_T1_T2_jT3_P12ihipStream_tbPNSt15iterator_traitsISI_E10value_typeEPNSO_ISJ_E10value_typeEPSK_NS1_7vsmem_tEENKUlT_SI_SJ_SK_E_clISD_PsSD_S10_EESH_SX_SI_SJ_SK_EUlSX_E1_NS1_11comp_targetILNS1_3genE2ELNS1_11target_archE906ELNS1_3gpuE6ELNS1_3repE0EEENS1_36merge_oddeven_config_static_selectorELNS0_4arch9wavefront6targetE1EEEvSJ_,"axG",@progbits,_ZN7rocprim17ROCPRIM_400000_NS6detail17trampoline_kernelINS0_14default_configENS1_38merge_sort_block_merge_config_selectorIssEEZZNS1_27merge_sort_block_merge_implIS3_N6thrust23THRUST_200600_302600_NS6detail15normal_iteratorINS8_10device_ptrIsEEEESD_jNS1_19radix_merge_compareILb0ELb1EsNS0_19identity_decomposerEEEEE10hipError_tT0_T1_T2_jT3_P12ihipStream_tbPNSt15iterator_traitsISI_E10value_typeEPNSO_ISJ_E10value_typeEPSK_NS1_7vsmem_tEENKUlT_SI_SJ_SK_E_clISD_PsSD_S10_EESH_SX_SI_SJ_SK_EUlSX_E1_NS1_11comp_targetILNS1_3genE2ELNS1_11target_archE906ELNS1_3gpuE6ELNS1_3repE0EEENS1_36merge_oddeven_config_static_selectorELNS0_4arch9wavefront6targetE1EEEvSJ_,comdat
	.protected	_ZN7rocprim17ROCPRIM_400000_NS6detail17trampoline_kernelINS0_14default_configENS1_38merge_sort_block_merge_config_selectorIssEEZZNS1_27merge_sort_block_merge_implIS3_N6thrust23THRUST_200600_302600_NS6detail15normal_iteratorINS8_10device_ptrIsEEEESD_jNS1_19radix_merge_compareILb0ELb1EsNS0_19identity_decomposerEEEEE10hipError_tT0_T1_T2_jT3_P12ihipStream_tbPNSt15iterator_traitsISI_E10value_typeEPNSO_ISJ_E10value_typeEPSK_NS1_7vsmem_tEENKUlT_SI_SJ_SK_E_clISD_PsSD_S10_EESH_SX_SI_SJ_SK_EUlSX_E1_NS1_11comp_targetILNS1_3genE2ELNS1_11target_archE906ELNS1_3gpuE6ELNS1_3repE0EEENS1_36merge_oddeven_config_static_selectorELNS0_4arch9wavefront6targetE1EEEvSJ_ ; -- Begin function _ZN7rocprim17ROCPRIM_400000_NS6detail17trampoline_kernelINS0_14default_configENS1_38merge_sort_block_merge_config_selectorIssEEZZNS1_27merge_sort_block_merge_implIS3_N6thrust23THRUST_200600_302600_NS6detail15normal_iteratorINS8_10device_ptrIsEEEESD_jNS1_19radix_merge_compareILb0ELb1EsNS0_19identity_decomposerEEEEE10hipError_tT0_T1_T2_jT3_P12ihipStream_tbPNSt15iterator_traitsISI_E10value_typeEPNSO_ISJ_E10value_typeEPSK_NS1_7vsmem_tEENKUlT_SI_SJ_SK_E_clISD_PsSD_S10_EESH_SX_SI_SJ_SK_EUlSX_E1_NS1_11comp_targetILNS1_3genE2ELNS1_11target_archE906ELNS1_3gpuE6ELNS1_3repE0EEENS1_36merge_oddeven_config_static_selectorELNS0_4arch9wavefront6targetE1EEEvSJ_
	.globl	_ZN7rocprim17ROCPRIM_400000_NS6detail17trampoline_kernelINS0_14default_configENS1_38merge_sort_block_merge_config_selectorIssEEZZNS1_27merge_sort_block_merge_implIS3_N6thrust23THRUST_200600_302600_NS6detail15normal_iteratorINS8_10device_ptrIsEEEESD_jNS1_19radix_merge_compareILb0ELb1EsNS0_19identity_decomposerEEEEE10hipError_tT0_T1_T2_jT3_P12ihipStream_tbPNSt15iterator_traitsISI_E10value_typeEPNSO_ISJ_E10value_typeEPSK_NS1_7vsmem_tEENKUlT_SI_SJ_SK_E_clISD_PsSD_S10_EESH_SX_SI_SJ_SK_EUlSX_E1_NS1_11comp_targetILNS1_3genE2ELNS1_11target_archE906ELNS1_3gpuE6ELNS1_3repE0EEENS1_36merge_oddeven_config_static_selectorELNS0_4arch9wavefront6targetE1EEEvSJ_
	.p2align	8
	.type	_ZN7rocprim17ROCPRIM_400000_NS6detail17trampoline_kernelINS0_14default_configENS1_38merge_sort_block_merge_config_selectorIssEEZZNS1_27merge_sort_block_merge_implIS3_N6thrust23THRUST_200600_302600_NS6detail15normal_iteratorINS8_10device_ptrIsEEEESD_jNS1_19radix_merge_compareILb0ELb1EsNS0_19identity_decomposerEEEEE10hipError_tT0_T1_T2_jT3_P12ihipStream_tbPNSt15iterator_traitsISI_E10value_typeEPNSO_ISJ_E10value_typeEPSK_NS1_7vsmem_tEENKUlT_SI_SJ_SK_E_clISD_PsSD_S10_EESH_SX_SI_SJ_SK_EUlSX_E1_NS1_11comp_targetILNS1_3genE2ELNS1_11target_archE906ELNS1_3gpuE6ELNS1_3repE0EEENS1_36merge_oddeven_config_static_selectorELNS0_4arch9wavefront6targetE1EEEvSJ_,@function
_ZN7rocprim17ROCPRIM_400000_NS6detail17trampoline_kernelINS0_14default_configENS1_38merge_sort_block_merge_config_selectorIssEEZZNS1_27merge_sort_block_merge_implIS3_N6thrust23THRUST_200600_302600_NS6detail15normal_iteratorINS8_10device_ptrIsEEEESD_jNS1_19radix_merge_compareILb0ELb1EsNS0_19identity_decomposerEEEEE10hipError_tT0_T1_T2_jT3_P12ihipStream_tbPNSt15iterator_traitsISI_E10value_typeEPNSO_ISJ_E10value_typeEPSK_NS1_7vsmem_tEENKUlT_SI_SJ_SK_E_clISD_PsSD_S10_EESH_SX_SI_SJ_SK_EUlSX_E1_NS1_11comp_targetILNS1_3genE2ELNS1_11target_archE906ELNS1_3gpuE6ELNS1_3repE0EEENS1_36merge_oddeven_config_static_selectorELNS0_4arch9wavefront6targetE1EEEvSJ_: ; @_ZN7rocprim17ROCPRIM_400000_NS6detail17trampoline_kernelINS0_14default_configENS1_38merge_sort_block_merge_config_selectorIssEEZZNS1_27merge_sort_block_merge_implIS3_N6thrust23THRUST_200600_302600_NS6detail15normal_iteratorINS8_10device_ptrIsEEEESD_jNS1_19radix_merge_compareILb0ELb1EsNS0_19identity_decomposerEEEEE10hipError_tT0_T1_T2_jT3_P12ihipStream_tbPNSt15iterator_traitsISI_E10value_typeEPNSO_ISJ_E10value_typeEPSK_NS1_7vsmem_tEENKUlT_SI_SJ_SK_E_clISD_PsSD_S10_EESH_SX_SI_SJ_SK_EUlSX_E1_NS1_11comp_targetILNS1_3genE2ELNS1_11target_archE906ELNS1_3gpuE6ELNS1_3repE0EEENS1_36merge_oddeven_config_static_selectorELNS0_4arch9wavefront6targetE1EEEvSJ_
; %bb.0:
	.section	.rodata,"a",@progbits
	.p2align	6, 0x0
	.amdhsa_kernel _ZN7rocprim17ROCPRIM_400000_NS6detail17trampoline_kernelINS0_14default_configENS1_38merge_sort_block_merge_config_selectorIssEEZZNS1_27merge_sort_block_merge_implIS3_N6thrust23THRUST_200600_302600_NS6detail15normal_iteratorINS8_10device_ptrIsEEEESD_jNS1_19radix_merge_compareILb0ELb1EsNS0_19identity_decomposerEEEEE10hipError_tT0_T1_T2_jT3_P12ihipStream_tbPNSt15iterator_traitsISI_E10value_typeEPNSO_ISJ_E10value_typeEPSK_NS1_7vsmem_tEENKUlT_SI_SJ_SK_E_clISD_PsSD_S10_EESH_SX_SI_SJ_SK_EUlSX_E1_NS1_11comp_targetILNS1_3genE2ELNS1_11target_archE906ELNS1_3gpuE6ELNS1_3repE0EEENS1_36merge_oddeven_config_static_selectorELNS0_4arch9wavefront6targetE1EEEvSJ_
		.amdhsa_group_segment_fixed_size 0
		.amdhsa_private_segment_fixed_size 0
		.amdhsa_kernarg_size 48
		.amdhsa_user_sgpr_count 2
		.amdhsa_user_sgpr_dispatch_ptr 0
		.amdhsa_user_sgpr_queue_ptr 0
		.amdhsa_user_sgpr_kernarg_segment_ptr 1
		.amdhsa_user_sgpr_dispatch_id 0
		.amdhsa_user_sgpr_kernarg_preload_length 0
		.amdhsa_user_sgpr_kernarg_preload_offset 0
		.amdhsa_user_sgpr_private_segment_size 0
		.amdhsa_uses_dynamic_stack 0
		.amdhsa_enable_private_segment 0
		.amdhsa_system_sgpr_workgroup_id_x 1
		.amdhsa_system_sgpr_workgroup_id_y 0
		.amdhsa_system_sgpr_workgroup_id_z 0
		.amdhsa_system_sgpr_workgroup_info 0
		.amdhsa_system_vgpr_workitem_id 0
		.amdhsa_next_free_vgpr 1
		.amdhsa_next_free_sgpr 0
		.amdhsa_accum_offset 4
		.amdhsa_reserve_vcc 0
		.amdhsa_float_round_mode_32 0
		.amdhsa_float_round_mode_16_64 0
		.amdhsa_float_denorm_mode_32 3
		.amdhsa_float_denorm_mode_16_64 3
		.amdhsa_dx10_clamp 1
		.amdhsa_ieee_mode 1
		.amdhsa_fp16_overflow 0
		.amdhsa_tg_split 0
		.amdhsa_exception_fp_ieee_invalid_op 0
		.amdhsa_exception_fp_denorm_src 0
		.amdhsa_exception_fp_ieee_div_zero 0
		.amdhsa_exception_fp_ieee_overflow 0
		.amdhsa_exception_fp_ieee_underflow 0
		.amdhsa_exception_fp_ieee_inexact 0
		.amdhsa_exception_int_div_zero 0
	.end_amdhsa_kernel
	.section	.text._ZN7rocprim17ROCPRIM_400000_NS6detail17trampoline_kernelINS0_14default_configENS1_38merge_sort_block_merge_config_selectorIssEEZZNS1_27merge_sort_block_merge_implIS3_N6thrust23THRUST_200600_302600_NS6detail15normal_iteratorINS8_10device_ptrIsEEEESD_jNS1_19radix_merge_compareILb0ELb1EsNS0_19identity_decomposerEEEEE10hipError_tT0_T1_T2_jT3_P12ihipStream_tbPNSt15iterator_traitsISI_E10value_typeEPNSO_ISJ_E10value_typeEPSK_NS1_7vsmem_tEENKUlT_SI_SJ_SK_E_clISD_PsSD_S10_EESH_SX_SI_SJ_SK_EUlSX_E1_NS1_11comp_targetILNS1_3genE2ELNS1_11target_archE906ELNS1_3gpuE6ELNS1_3repE0EEENS1_36merge_oddeven_config_static_selectorELNS0_4arch9wavefront6targetE1EEEvSJ_,"axG",@progbits,_ZN7rocprim17ROCPRIM_400000_NS6detail17trampoline_kernelINS0_14default_configENS1_38merge_sort_block_merge_config_selectorIssEEZZNS1_27merge_sort_block_merge_implIS3_N6thrust23THRUST_200600_302600_NS6detail15normal_iteratorINS8_10device_ptrIsEEEESD_jNS1_19radix_merge_compareILb0ELb1EsNS0_19identity_decomposerEEEEE10hipError_tT0_T1_T2_jT3_P12ihipStream_tbPNSt15iterator_traitsISI_E10value_typeEPNSO_ISJ_E10value_typeEPSK_NS1_7vsmem_tEENKUlT_SI_SJ_SK_E_clISD_PsSD_S10_EESH_SX_SI_SJ_SK_EUlSX_E1_NS1_11comp_targetILNS1_3genE2ELNS1_11target_archE906ELNS1_3gpuE6ELNS1_3repE0EEENS1_36merge_oddeven_config_static_selectorELNS0_4arch9wavefront6targetE1EEEvSJ_,comdat
.Lfunc_end1612:
	.size	_ZN7rocprim17ROCPRIM_400000_NS6detail17trampoline_kernelINS0_14default_configENS1_38merge_sort_block_merge_config_selectorIssEEZZNS1_27merge_sort_block_merge_implIS3_N6thrust23THRUST_200600_302600_NS6detail15normal_iteratorINS8_10device_ptrIsEEEESD_jNS1_19radix_merge_compareILb0ELb1EsNS0_19identity_decomposerEEEEE10hipError_tT0_T1_T2_jT3_P12ihipStream_tbPNSt15iterator_traitsISI_E10value_typeEPNSO_ISJ_E10value_typeEPSK_NS1_7vsmem_tEENKUlT_SI_SJ_SK_E_clISD_PsSD_S10_EESH_SX_SI_SJ_SK_EUlSX_E1_NS1_11comp_targetILNS1_3genE2ELNS1_11target_archE906ELNS1_3gpuE6ELNS1_3repE0EEENS1_36merge_oddeven_config_static_selectorELNS0_4arch9wavefront6targetE1EEEvSJ_, .Lfunc_end1612-_ZN7rocprim17ROCPRIM_400000_NS6detail17trampoline_kernelINS0_14default_configENS1_38merge_sort_block_merge_config_selectorIssEEZZNS1_27merge_sort_block_merge_implIS3_N6thrust23THRUST_200600_302600_NS6detail15normal_iteratorINS8_10device_ptrIsEEEESD_jNS1_19radix_merge_compareILb0ELb1EsNS0_19identity_decomposerEEEEE10hipError_tT0_T1_T2_jT3_P12ihipStream_tbPNSt15iterator_traitsISI_E10value_typeEPNSO_ISJ_E10value_typeEPSK_NS1_7vsmem_tEENKUlT_SI_SJ_SK_E_clISD_PsSD_S10_EESH_SX_SI_SJ_SK_EUlSX_E1_NS1_11comp_targetILNS1_3genE2ELNS1_11target_archE906ELNS1_3gpuE6ELNS1_3repE0EEENS1_36merge_oddeven_config_static_selectorELNS0_4arch9wavefront6targetE1EEEvSJ_
                                        ; -- End function
	.set _ZN7rocprim17ROCPRIM_400000_NS6detail17trampoline_kernelINS0_14default_configENS1_38merge_sort_block_merge_config_selectorIssEEZZNS1_27merge_sort_block_merge_implIS3_N6thrust23THRUST_200600_302600_NS6detail15normal_iteratorINS8_10device_ptrIsEEEESD_jNS1_19radix_merge_compareILb0ELb1EsNS0_19identity_decomposerEEEEE10hipError_tT0_T1_T2_jT3_P12ihipStream_tbPNSt15iterator_traitsISI_E10value_typeEPNSO_ISJ_E10value_typeEPSK_NS1_7vsmem_tEENKUlT_SI_SJ_SK_E_clISD_PsSD_S10_EESH_SX_SI_SJ_SK_EUlSX_E1_NS1_11comp_targetILNS1_3genE2ELNS1_11target_archE906ELNS1_3gpuE6ELNS1_3repE0EEENS1_36merge_oddeven_config_static_selectorELNS0_4arch9wavefront6targetE1EEEvSJ_.num_vgpr, 0
	.set _ZN7rocprim17ROCPRIM_400000_NS6detail17trampoline_kernelINS0_14default_configENS1_38merge_sort_block_merge_config_selectorIssEEZZNS1_27merge_sort_block_merge_implIS3_N6thrust23THRUST_200600_302600_NS6detail15normal_iteratorINS8_10device_ptrIsEEEESD_jNS1_19radix_merge_compareILb0ELb1EsNS0_19identity_decomposerEEEEE10hipError_tT0_T1_T2_jT3_P12ihipStream_tbPNSt15iterator_traitsISI_E10value_typeEPNSO_ISJ_E10value_typeEPSK_NS1_7vsmem_tEENKUlT_SI_SJ_SK_E_clISD_PsSD_S10_EESH_SX_SI_SJ_SK_EUlSX_E1_NS1_11comp_targetILNS1_3genE2ELNS1_11target_archE906ELNS1_3gpuE6ELNS1_3repE0EEENS1_36merge_oddeven_config_static_selectorELNS0_4arch9wavefront6targetE1EEEvSJ_.num_agpr, 0
	.set _ZN7rocprim17ROCPRIM_400000_NS6detail17trampoline_kernelINS0_14default_configENS1_38merge_sort_block_merge_config_selectorIssEEZZNS1_27merge_sort_block_merge_implIS3_N6thrust23THRUST_200600_302600_NS6detail15normal_iteratorINS8_10device_ptrIsEEEESD_jNS1_19radix_merge_compareILb0ELb1EsNS0_19identity_decomposerEEEEE10hipError_tT0_T1_T2_jT3_P12ihipStream_tbPNSt15iterator_traitsISI_E10value_typeEPNSO_ISJ_E10value_typeEPSK_NS1_7vsmem_tEENKUlT_SI_SJ_SK_E_clISD_PsSD_S10_EESH_SX_SI_SJ_SK_EUlSX_E1_NS1_11comp_targetILNS1_3genE2ELNS1_11target_archE906ELNS1_3gpuE6ELNS1_3repE0EEENS1_36merge_oddeven_config_static_selectorELNS0_4arch9wavefront6targetE1EEEvSJ_.numbered_sgpr, 0
	.set _ZN7rocprim17ROCPRIM_400000_NS6detail17trampoline_kernelINS0_14default_configENS1_38merge_sort_block_merge_config_selectorIssEEZZNS1_27merge_sort_block_merge_implIS3_N6thrust23THRUST_200600_302600_NS6detail15normal_iteratorINS8_10device_ptrIsEEEESD_jNS1_19radix_merge_compareILb0ELb1EsNS0_19identity_decomposerEEEEE10hipError_tT0_T1_T2_jT3_P12ihipStream_tbPNSt15iterator_traitsISI_E10value_typeEPNSO_ISJ_E10value_typeEPSK_NS1_7vsmem_tEENKUlT_SI_SJ_SK_E_clISD_PsSD_S10_EESH_SX_SI_SJ_SK_EUlSX_E1_NS1_11comp_targetILNS1_3genE2ELNS1_11target_archE906ELNS1_3gpuE6ELNS1_3repE0EEENS1_36merge_oddeven_config_static_selectorELNS0_4arch9wavefront6targetE1EEEvSJ_.num_named_barrier, 0
	.set _ZN7rocprim17ROCPRIM_400000_NS6detail17trampoline_kernelINS0_14default_configENS1_38merge_sort_block_merge_config_selectorIssEEZZNS1_27merge_sort_block_merge_implIS3_N6thrust23THRUST_200600_302600_NS6detail15normal_iteratorINS8_10device_ptrIsEEEESD_jNS1_19radix_merge_compareILb0ELb1EsNS0_19identity_decomposerEEEEE10hipError_tT0_T1_T2_jT3_P12ihipStream_tbPNSt15iterator_traitsISI_E10value_typeEPNSO_ISJ_E10value_typeEPSK_NS1_7vsmem_tEENKUlT_SI_SJ_SK_E_clISD_PsSD_S10_EESH_SX_SI_SJ_SK_EUlSX_E1_NS1_11comp_targetILNS1_3genE2ELNS1_11target_archE906ELNS1_3gpuE6ELNS1_3repE0EEENS1_36merge_oddeven_config_static_selectorELNS0_4arch9wavefront6targetE1EEEvSJ_.private_seg_size, 0
	.set _ZN7rocprim17ROCPRIM_400000_NS6detail17trampoline_kernelINS0_14default_configENS1_38merge_sort_block_merge_config_selectorIssEEZZNS1_27merge_sort_block_merge_implIS3_N6thrust23THRUST_200600_302600_NS6detail15normal_iteratorINS8_10device_ptrIsEEEESD_jNS1_19radix_merge_compareILb0ELb1EsNS0_19identity_decomposerEEEEE10hipError_tT0_T1_T2_jT3_P12ihipStream_tbPNSt15iterator_traitsISI_E10value_typeEPNSO_ISJ_E10value_typeEPSK_NS1_7vsmem_tEENKUlT_SI_SJ_SK_E_clISD_PsSD_S10_EESH_SX_SI_SJ_SK_EUlSX_E1_NS1_11comp_targetILNS1_3genE2ELNS1_11target_archE906ELNS1_3gpuE6ELNS1_3repE0EEENS1_36merge_oddeven_config_static_selectorELNS0_4arch9wavefront6targetE1EEEvSJ_.uses_vcc, 0
	.set _ZN7rocprim17ROCPRIM_400000_NS6detail17trampoline_kernelINS0_14default_configENS1_38merge_sort_block_merge_config_selectorIssEEZZNS1_27merge_sort_block_merge_implIS3_N6thrust23THRUST_200600_302600_NS6detail15normal_iteratorINS8_10device_ptrIsEEEESD_jNS1_19radix_merge_compareILb0ELb1EsNS0_19identity_decomposerEEEEE10hipError_tT0_T1_T2_jT3_P12ihipStream_tbPNSt15iterator_traitsISI_E10value_typeEPNSO_ISJ_E10value_typeEPSK_NS1_7vsmem_tEENKUlT_SI_SJ_SK_E_clISD_PsSD_S10_EESH_SX_SI_SJ_SK_EUlSX_E1_NS1_11comp_targetILNS1_3genE2ELNS1_11target_archE906ELNS1_3gpuE6ELNS1_3repE0EEENS1_36merge_oddeven_config_static_selectorELNS0_4arch9wavefront6targetE1EEEvSJ_.uses_flat_scratch, 0
	.set _ZN7rocprim17ROCPRIM_400000_NS6detail17trampoline_kernelINS0_14default_configENS1_38merge_sort_block_merge_config_selectorIssEEZZNS1_27merge_sort_block_merge_implIS3_N6thrust23THRUST_200600_302600_NS6detail15normal_iteratorINS8_10device_ptrIsEEEESD_jNS1_19radix_merge_compareILb0ELb1EsNS0_19identity_decomposerEEEEE10hipError_tT0_T1_T2_jT3_P12ihipStream_tbPNSt15iterator_traitsISI_E10value_typeEPNSO_ISJ_E10value_typeEPSK_NS1_7vsmem_tEENKUlT_SI_SJ_SK_E_clISD_PsSD_S10_EESH_SX_SI_SJ_SK_EUlSX_E1_NS1_11comp_targetILNS1_3genE2ELNS1_11target_archE906ELNS1_3gpuE6ELNS1_3repE0EEENS1_36merge_oddeven_config_static_selectorELNS0_4arch9wavefront6targetE1EEEvSJ_.has_dyn_sized_stack, 0
	.set _ZN7rocprim17ROCPRIM_400000_NS6detail17trampoline_kernelINS0_14default_configENS1_38merge_sort_block_merge_config_selectorIssEEZZNS1_27merge_sort_block_merge_implIS3_N6thrust23THRUST_200600_302600_NS6detail15normal_iteratorINS8_10device_ptrIsEEEESD_jNS1_19radix_merge_compareILb0ELb1EsNS0_19identity_decomposerEEEEE10hipError_tT0_T1_T2_jT3_P12ihipStream_tbPNSt15iterator_traitsISI_E10value_typeEPNSO_ISJ_E10value_typeEPSK_NS1_7vsmem_tEENKUlT_SI_SJ_SK_E_clISD_PsSD_S10_EESH_SX_SI_SJ_SK_EUlSX_E1_NS1_11comp_targetILNS1_3genE2ELNS1_11target_archE906ELNS1_3gpuE6ELNS1_3repE0EEENS1_36merge_oddeven_config_static_selectorELNS0_4arch9wavefront6targetE1EEEvSJ_.has_recursion, 0
	.set _ZN7rocprim17ROCPRIM_400000_NS6detail17trampoline_kernelINS0_14default_configENS1_38merge_sort_block_merge_config_selectorIssEEZZNS1_27merge_sort_block_merge_implIS3_N6thrust23THRUST_200600_302600_NS6detail15normal_iteratorINS8_10device_ptrIsEEEESD_jNS1_19radix_merge_compareILb0ELb1EsNS0_19identity_decomposerEEEEE10hipError_tT0_T1_T2_jT3_P12ihipStream_tbPNSt15iterator_traitsISI_E10value_typeEPNSO_ISJ_E10value_typeEPSK_NS1_7vsmem_tEENKUlT_SI_SJ_SK_E_clISD_PsSD_S10_EESH_SX_SI_SJ_SK_EUlSX_E1_NS1_11comp_targetILNS1_3genE2ELNS1_11target_archE906ELNS1_3gpuE6ELNS1_3repE0EEENS1_36merge_oddeven_config_static_selectorELNS0_4arch9wavefront6targetE1EEEvSJ_.has_indirect_call, 0
	.section	.AMDGPU.csdata,"",@progbits
; Kernel info:
; codeLenInByte = 0
; TotalNumSgprs: 6
; NumVgprs: 0
; NumAgprs: 0
; TotalNumVgprs: 0
; ScratchSize: 0
; MemoryBound: 0
; FloatMode: 240
; IeeeMode: 1
; LDSByteSize: 0 bytes/workgroup (compile time only)
; SGPRBlocks: 0
; VGPRBlocks: 0
; NumSGPRsForWavesPerEU: 6
; NumVGPRsForWavesPerEU: 1
; AccumOffset: 4
; Occupancy: 8
; WaveLimiterHint : 0
; COMPUTE_PGM_RSRC2:SCRATCH_EN: 0
; COMPUTE_PGM_RSRC2:USER_SGPR: 2
; COMPUTE_PGM_RSRC2:TRAP_HANDLER: 0
; COMPUTE_PGM_RSRC2:TGID_X_EN: 1
; COMPUTE_PGM_RSRC2:TGID_Y_EN: 0
; COMPUTE_PGM_RSRC2:TGID_Z_EN: 0
; COMPUTE_PGM_RSRC2:TIDIG_COMP_CNT: 0
; COMPUTE_PGM_RSRC3_GFX90A:ACCUM_OFFSET: 0
; COMPUTE_PGM_RSRC3_GFX90A:TG_SPLIT: 0
	.section	.text._ZN7rocprim17ROCPRIM_400000_NS6detail17trampoline_kernelINS0_14default_configENS1_38merge_sort_block_merge_config_selectorIssEEZZNS1_27merge_sort_block_merge_implIS3_N6thrust23THRUST_200600_302600_NS6detail15normal_iteratorINS8_10device_ptrIsEEEESD_jNS1_19radix_merge_compareILb0ELb1EsNS0_19identity_decomposerEEEEE10hipError_tT0_T1_T2_jT3_P12ihipStream_tbPNSt15iterator_traitsISI_E10value_typeEPNSO_ISJ_E10value_typeEPSK_NS1_7vsmem_tEENKUlT_SI_SJ_SK_E_clISD_PsSD_S10_EESH_SX_SI_SJ_SK_EUlSX_E1_NS1_11comp_targetILNS1_3genE9ELNS1_11target_archE1100ELNS1_3gpuE3ELNS1_3repE0EEENS1_36merge_oddeven_config_static_selectorELNS0_4arch9wavefront6targetE1EEEvSJ_,"axG",@progbits,_ZN7rocprim17ROCPRIM_400000_NS6detail17trampoline_kernelINS0_14default_configENS1_38merge_sort_block_merge_config_selectorIssEEZZNS1_27merge_sort_block_merge_implIS3_N6thrust23THRUST_200600_302600_NS6detail15normal_iteratorINS8_10device_ptrIsEEEESD_jNS1_19radix_merge_compareILb0ELb1EsNS0_19identity_decomposerEEEEE10hipError_tT0_T1_T2_jT3_P12ihipStream_tbPNSt15iterator_traitsISI_E10value_typeEPNSO_ISJ_E10value_typeEPSK_NS1_7vsmem_tEENKUlT_SI_SJ_SK_E_clISD_PsSD_S10_EESH_SX_SI_SJ_SK_EUlSX_E1_NS1_11comp_targetILNS1_3genE9ELNS1_11target_archE1100ELNS1_3gpuE3ELNS1_3repE0EEENS1_36merge_oddeven_config_static_selectorELNS0_4arch9wavefront6targetE1EEEvSJ_,comdat
	.protected	_ZN7rocprim17ROCPRIM_400000_NS6detail17trampoline_kernelINS0_14default_configENS1_38merge_sort_block_merge_config_selectorIssEEZZNS1_27merge_sort_block_merge_implIS3_N6thrust23THRUST_200600_302600_NS6detail15normal_iteratorINS8_10device_ptrIsEEEESD_jNS1_19radix_merge_compareILb0ELb1EsNS0_19identity_decomposerEEEEE10hipError_tT0_T1_T2_jT3_P12ihipStream_tbPNSt15iterator_traitsISI_E10value_typeEPNSO_ISJ_E10value_typeEPSK_NS1_7vsmem_tEENKUlT_SI_SJ_SK_E_clISD_PsSD_S10_EESH_SX_SI_SJ_SK_EUlSX_E1_NS1_11comp_targetILNS1_3genE9ELNS1_11target_archE1100ELNS1_3gpuE3ELNS1_3repE0EEENS1_36merge_oddeven_config_static_selectorELNS0_4arch9wavefront6targetE1EEEvSJ_ ; -- Begin function _ZN7rocprim17ROCPRIM_400000_NS6detail17trampoline_kernelINS0_14default_configENS1_38merge_sort_block_merge_config_selectorIssEEZZNS1_27merge_sort_block_merge_implIS3_N6thrust23THRUST_200600_302600_NS6detail15normal_iteratorINS8_10device_ptrIsEEEESD_jNS1_19radix_merge_compareILb0ELb1EsNS0_19identity_decomposerEEEEE10hipError_tT0_T1_T2_jT3_P12ihipStream_tbPNSt15iterator_traitsISI_E10value_typeEPNSO_ISJ_E10value_typeEPSK_NS1_7vsmem_tEENKUlT_SI_SJ_SK_E_clISD_PsSD_S10_EESH_SX_SI_SJ_SK_EUlSX_E1_NS1_11comp_targetILNS1_3genE9ELNS1_11target_archE1100ELNS1_3gpuE3ELNS1_3repE0EEENS1_36merge_oddeven_config_static_selectorELNS0_4arch9wavefront6targetE1EEEvSJ_
	.globl	_ZN7rocprim17ROCPRIM_400000_NS6detail17trampoline_kernelINS0_14default_configENS1_38merge_sort_block_merge_config_selectorIssEEZZNS1_27merge_sort_block_merge_implIS3_N6thrust23THRUST_200600_302600_NS6detail15normal_iteratorINS8_10device_ptrIsEEEESD_jNS1_19radix_merge_compareILb0ELb1EsNS0_19identity_decomposerEEEEE10hipError_tT0_T1_T2_jT3_P12ihipStream_tbPNSt15iterator_traitsISI_E10value_typeEPNSO_ISJ_E10value_typeEPSK_NS1_7vsmem_tEENKUlT_SI_SJ_SK_E_clISD_PsSD_S10_EESH_SX_SI_SJ_SK_EUlSX_E1_NS1_11comp_targetILNS1_3genE9ELNS1_11target_archE1100ELNS1_3gpuE3ELNS1_3repE0EEENS1_36merge_oddeven_config_static_selectorELNS0_4arch9wavefront6targetE1EEEvSJ_
	.p2align	8
	.type	_ZN7rocprim17ROCPRIM_400000_NS6detail17trampoline_kernelINS0_14default_configENS1_38merge_sort_block_merge_config_selectorIssEEZZNS1_27merge_sort_block_merge_implIS3_N6thrust23THRUST_200600_302600_NS6detail15normal_iteratorINS8_10device_ptrIsEEEESD_jNS1_19radix_merge_compareILb0ELb1EsNS0_19identity_decomposerEEEEE10hipError_tT0_T1_T2_jT3_P12ihipStream_tbPNSt15iterator_traitsISI_E10value_typeEPNSO_ISJ_E10value_typeEPSK_NS1_7vsmem_tEENKUlT_SI_SJ_SK_E_clISD_PsSD_S10_EESH_SX_SI_SJ_SK_EUlSX_E1_NS1_11comp_targetILNS1_3genE9ELNS1_11target_archE1100ELNS1_3gpuE3ELNS1_3repE0EEENS1_36merge_oddeven_config_static_selectorELNS0_4arch9wavefront6targetE1EEEvSJ_,@function
_ZN7rocprim17ROCPRIM_400000_NS6detail17trampoline_kernelINS0_14default_configENS1_38merge_sort_block_merge_config_selectorIssEEZZNS1_27merge_sort_block_merge_implIS3_N6thrust23THRUST_200600_302600_NS6detail15normal_iteratorINS8_10device_ptrIsEEEESD_jNS1_19radix_merge_compareILb0ELb1EsNS0_19identity_decomposerEEEEE10hipError_tT0_T1_T2_jT3_P12ihipStream_tbPNSt15iterator_traitsISI_E10value_typeEPNSO_ISJ_E10value_typeEPSK_NS1_7vsmem_tEENKUlT_SI_SJ_SK_E_clISD_PsSD_S10_EESH_SX_SI_SJ_SK_EUlSX_E1_NS1_11comp_targetILNS1_3genE9ELNS1_11target_archE1100ELNS1_3gpuE3ELNS1_3repE0EEENS1_36merge_oddeven_config_static_selectorELNS0_4arch9wavefront6targetE1EEEvSJ_: ; @_ZN7rocprim17ROCPRIM_400000_NS6detail17trampoline_kernelINS0_14default_configENS1_38merge_sort_block_merge_config_selectorIssEEZZNS1_27merge_sort_block_merge_implIS3_N6thrust23THRUST_200600_302600_NS6detail15normal_iteratorINS8_10device_ptrIsEEEESD_jNS1_19radix_merge_compareILb0ELb1EsNS0_19identity_decomposerEEEEE10hipError_tT0_T1_T2_jT3_P12ihipStream_tbPNSt15iterator_traitsISI_E10value_typeEPNSO_ISJ_E10value_typeEPSK_NS1_7vsmem_tEENKUlT_SI_SJ_SK_E_clISD_PsSD_S10_EESH_SX_SI_SJ_SK_EUlSX_E1_NS1_11comp_targetILNS1_3genE9ELNS1_11target_archE1100ELNS1_3gpuE3ELNS1_3repE0EEENS1_36merge_oddeven_config_static_selectorELNS0_4arch9wavefront6targetE1EEEvSJ_
; %bb.0:
	.section	.rodata,"a",@progbits
	.p2align	6, 0x0
	.amdhsa_kernel _ZN7rocprim17ROCPRIM_400000_NS6detail17trampoline_kernelINS0_14default_configENS1_38merge_sort_block_merge_config_selectorIssEEZZNS1_27merge_sort_block_merge_implIS3_N6thrust23THRUST_200600_302600_NS6detail15normal_iteratorINS8_10device_ptrIsEEEESD_jNS1_19radix_merge_compareILb0ELb1EsNS0_19identity_decomposerEEEEE10hipError_tT0_T1_T2_jT3_P12ihipStream_tbPNSt15iterator_traitsISI_E10value_typeEPNSO_ISJ_E10value_typeEPSK_NS1_7vsmem_tEENKUlT_SI_SJ_SK_E_clISD_PsSD_S10_EESH_SX_SI_SJ_SK_EUlSX_E1_NS1_11comp_targetILNS1_3genE9ELNS1_11target_archE1100ELNS1_3gpuE3ELNS1_3repE0EEENS1_36merge_oddeven_config_static_selectorELNS0_4arch9wavefront6targetE1EEEvSJ_
		.amdhsa_group_segment_fixed_size 0
		.amdhsa_private_segment_fixed_size 0
		.amdhsa_kernarg_size 48
		.amdhsa_user_sgpr_count 2
		.amdhsa_user_sgpr_dispatch_ptr 0
		.amdhsa_user_sgpr_queue_ptr 0
		.amdhsa_user_sgpr_kernarg_segment_ptr 1
		.amdhsa_user_sgpr_dispatch_id 0
		.amdhsa_user_sgpr_kernarg_preload_length 0
		.amdhsa_user_sgpr_kernarg_preload_offset 0
		.amdhsa_user_sgpr_private_segment_size 0
		.amdhsa_uses_dynamic_stack 0
		.amdhsa_enable_private_segment 0
		.amdhsa_system_sgpr_workgroup_id_x 1
		.amdhsa_system_sgpr_workgroup_id_y 0
		.amdhsa_system_sgpr_workgroup_id_z 0
		.amdhsa_system_sgpr_workgroup_info 0
		.amdhsa_system_vgpr_workitem_id 0
		.amdhsa_next_free_vgpr 1
		.amdhsa_next_free_sgpr 0
		.amdhsa_accum_offset 4
		.amdhsa_reserve_vcc 0
		.amdhsa_float_round_mode_32 0
		.amdhsa_float_round_mode_16_64 0
		.amdhsa_float_denorm_mode_32 3
		.amdhsa_float_denorm_mode_16_64 3
		.amdhsa_dx10_clamp 1
		.amdhsa_ieee_mode 1
		.amdhsa_fp16_overflow 0
		.amdhsa_tg_split 0
		.amdhsa_exception_fp_ieee_invalid_op 0
		.amdhsa_exception_fp_denorm_src 0
		.amdhsa_exception_fp_ieee_div_zero 0
		.amdhsa_exception_fp_ieee_overflow 0
		.amdhsa_exception_fp_ieee_underflow 0
		.amdhsa_exception_fp_ieee_inexact 0
		.amdhsa_exception_int_div_zero 0
	.end_amdhsa_kernel
	.section	.text._ZN7rocprim17ROCPRIM_400000_NS6detail17trampoline_kernelINS0_14default_configENS1_38merge_sort_block_merge_config_selectorIssEEZZNS1_27merge_sort_block_merge_implIS3_N6thrust23THRUST_200600_302600_NS6detail15normal_iteratorINS8_10device_ptrIsEEEESD_jNS1_19radix_merge_compareILb0ELb1EsNS0_19identity_decomposerEEEEE10hipError_tT0_T1_T2_jT3_P12ihipStream_tbPNSt15iterator_traitsISI_E10value_typeEPNSO_ISJ_E10value_typeEPSK_NS1_7vsmem_tEENKUlT_SI_SJ_SK_E_clISD_PsSD_S10_EESH_SX_SI_SJ_SK_EUlSX_E1_NS1_11comp_targetILNS1_3genE9ELNS1_11target_archE1100ELNS1_3gpuE3ELNS1_3repE0EEENS1_36merge_oddeven_config_static_selectorELNS0_4arch9wavefront6targetE1EEEvSJ_,"axG",@progbits,_ZN7rocprim17ROCPRIM_400000_NS6detail17trampoline_kernelINS0_14default_configENS1_38merge_sort_block_merge_config_selectorIssEEZZNS1_27merge_sort_block_merge_implIS3_N6thrust23THRUST_200600_302600_NS6detail15normal_iteratorINS8_10device_ptrIsEEEESD_jNS1_19radix_merge_compareILb0ELb1EsNS0_19identity_decomposerEEEEE10hipError_tT0_T1_T2_jT3_P12ihipStream_tbPNSt15iterator_traitsISI_E10value_typeEPNSO_ISJ_E10value_typeEPSK_NS1_7vsmem_tEENKUlT_SI_SJ_SK_E_clISD_PsSD_S10_EESH_SX_SI_SJ_SK_EUlSX_E1_NS1_11comp_targetILNS1_3genE9ELNS1_11target_archE1100ELNS1_3gpuE3ELNS1_3repE0EEENS1_36merge_oddeven_config_static_selectorELNS0_4arch9wavefront6targetE1EEEvSJ_,comdat
.Lfunc_end1613:
	.size	_ZN7rocprim17ROCPRIM_400000_NS6detail17trampoline_kernelINS0_14default_configENS1_38merge_sort_block_merge_config_selectorIssEEZZNS1_27merge_sort_block_merge_implIS3_N6thrust23THRUST_200600_302600_NS6detail15normal_iteratorINS8_10device_ptrIsEEEESD_jNS1_19radix_merge_compareILb0ELb1EsNS0_19identity_decomposerEEEEE10hipError_tT0_T1_T2_jT3_P12ihipStream_tbPNSt15iterator_traitsISI_E10value_typeEPNSO_ISJ_E10value_typeEPSK_NS1_7vsmem_tEENKUlT_SI_SJ_SK_E_clISD_PsSD_S10_EESH_SX_SI_SJ_SK_EUlSX_E1_NS1_11comp_targetILNS1_3genE9ELNS1_11target_archE1100ELNS1_3gpuE3ELNS1_3repE0EEENS1_36merge_oddeven_config_static_selectorELNS0_4arch9wavefront6targetE1EEEvSJ_, .Lfunc_end1613-_ZN7rocprim17ROCPRIM_400000_NS6detail17trampoline_kernelINS0_14default_configENS1_38merge_sort_block_merge_config_selectorIssEEZZNS1_27merge_sort_block_merge_implIS3_N6thrust23THRUST_200600_302600_NS6detail15normal_iteratorINS8_10device_ptrIsEEEESD_jNS1_19radix_merge_compareILb0ELb1EsNS0_19identity_decomposerEEEEE10hipError_tT0_T1_T2_jT3_P12ihipStream_tbPNSt15iterator_traitsISI_E10value_typeEPNSO_ISJ_E10value_typeEPSK_NS1_7vsmem_tEENKUlT_SI_SJ_SK_E_clISD_PsSD_S10_EESH_SX_SI_SJ_SK_EUlSX_E1_NS1_11comp_targetILNS1_3genE9ELNS1_11target_archE1100ELNS1_3gpuE3ELNS1_3repE0EEENS1_36merge_oddeven_config_static_selectorELNS0_4arch9wavefront6targetE1EEEvSJ_
                                        ; -- End function
	.set _ZN7rocprim17ROCPRIM_400000_NS6detail17trampoline_kernelINS0_14default_configENS1_38merge_sort_block_merge_config_selectorIssEEZZNS1_27merge_sort_block_merge_implIS3_N6thrust23THRUST_200600_302600_NS6detail15normal_iteratorINS8_10device_ptrIsEEEESD_jNS1_19radix_merge_compareILb0ELb1EsNS0_19identity_decomposerEEEEE10hipError_tT0_T1_T2_jT3_P12ihipStream_tbPNSt15iterator_traitsISI_E10value_typeEPNSO_ISJ_E10value_typeEPSK_NS1_7vsmem_tEENKUlT_SI_SJ_SK_E_clISD_PsSD_S10_EESH_SX_SI_SJ_SK_EUlSX_E1_NS1_11comp_targetILNS1_3genE9ELNS1_11target_archE1100ELNS1_3gpuE3ELNS1_3repE0EEENS1_36merge_oddeven_config_static_selectorELNS0_4arch9wavefront6targetE1EEEvSJ_.num_vgpr, 0
	.set _ZN7rocprim17ROCPRIM_400000_NS6detail17trampoline_kernelINS0_14default_configENS1_38merge_sort_block_merge_config_selectorIssEEZZNS1_27merge_sort_block_merge_implIS3_N6thrust23THRUST_200600_302600_NS6detail15normal_iteratorINS8_10device_ptrIsEEEESD_jNS1_19radix_merge_compareILb0ELb1EsNS0_19identity_decomposerEEEEE10hipError_tT0_T1_T2_jT3_P12ihipStream_tbPNSt15iterator_traitsISI_E10value_typeEPNSO_ISJ_E10value_typeEPSK_NS1_7vsmem_tEENKUlT_SI_SJ_SK_E_clISD_PsSD_S10_EESH_SX_SI_SJ_SK_EUlSX_E1_NS1_11comp_targetILNS1_3genE9ELNS1_11target_archE1100ELNS1_3gpuE3ELNS1_3repE0EEENS1_36merge_oddeven_config_static_selectorELNS0_4arch9wavefront6targetE1EEEvSJ_.num_agpr, 0
	.set _ZN7rocprim17ROCPRIM_400000_NS6detail17trampoline_kernelINS0_14default_configENS1_38merge_sort_block_merge_config_selectorIssEEZZNS1_27merge_sort_block_merge_implIS3_N6thrust23THRUST_200600_302600_NS6detail15normal_iteratorINS8_10device_ptrIsEEEESD_jNS1_19radix_merge_compareILb0ELb1EsNS0_19identity_decomposerEEEEE10hipError_tT0_T1_T2_jT3_P12ihipStream_tbPNSt15iterator_traitsISI_E10value_typeEPNSO_ISJ_E10value_typeEPSK_NS1_7vsmem_tEENKUlT_SI_SJ_SK_E_clISD_PsSD_S10_EESH_SX_SI_SJ_SK_EUlSX_E1_NS1_11comp_targetILNS1_3genE9ELNS1_11target_archE1100ELNS1_3gpuE3ELNS1_3repE0EEENS1_36merge_oddeven_config_static_selectorELNS0_4arch9wavefront6targetE1EEEvSJ_.numbered_sgpr, 0
	.set _ZN7rocprim17ROCPRIM_400000_NS6detail17trampoline_kernelINS0_14default_configENS1_38merge_sort_block_merge_config_selectorIssEEZZNS1_27merge_sort_block_merge_implIS3_N6thrust23THRUST_200600_302600_NS6detail15normal_iteratorINS8_10device_ptrIsEEEESD_jNS1_19radix_merge_compareILb0ELb1EsNS0_19identity_decomposerEEEEE10hipError_tT0_T1_T2_jT3_P12ihipStream_tbPNSt15iterator_traitsISI_E10value_typeEPNSO_ISJ_E10value_typeEPSK_NS1_7vsmem_tEENKUlT_SI_SJ_SK_E_clISD_PsSD_S10_EESH_SX_SI_SJ_SK_EUlSX_E1_NS1_11comp_targetILNS1_3genE9ELNS1_11target_archE1100ELNS1_3gpuE3ELNS1_3repE0EEENS1_36merge_oddeven_config_static_selectorELNS0_4arch9wavefront6targetE1EEEvSJ_.num_named_barrier, 0
	.set _ZN7rocprim17ROCPRIM_400000_NS6detail17trampoline_kernelINS0_14default_configENS1_38merge_sort_block_merge_config_selectorIssEEZZNS1_27merge_sort_block_merge_implIS3_N6thrust23THRUST_200600_302600_NS6detail15normal_iteratorINS8_10device_ptrIsEEEESD_jNS1_19radix_merge_compareILb0ELb1EsNS0_19identity_decomposerEEEEE10hipError_tT0_T1_T2_jT3_P12ihipStream_tbPNSt15iterator_traitsISI_E10value_typeEPNSO_ISJ_E10value_typeEPSK_NS1_7vsmem_tEENKUlT_SI_SJ_SK_E_clISD_PsSD_S10_EESH_SX_SI_SJ_SK_EUlSX_E1_NS1_11comp_targetILNS1_3genE9ELNS1_11target_archE1100ELNS1_3gpuE3ELNS1_3repE0EEENS1_36merge_oddeven_config_static_selectorELNS0_4arch9wavefront6targetE1EEEvSJ_.private_seg_size, 0
	.set _ZN7rocprim17ROCPRIM_400000_NS6detail17trampoline_kernelINS0_14default_configENS1_38merge_sort_block_merge_config_selectorIssEEZZNS1_27merge_sort_block_merge_implIS3_N6thrust23THRUST_200600_302600_NS6detail15normal_iteratorINS8_10device_ptrIsEEEESD_jNS1_19radix_merge_compareILb0ELb1EsNS0_19identity_decomposerEEEEE10hipError_tT0_T1_T2_jT3_P12ihipStream_tbPNSt15iterator_traitsISI_E10value_typeEPNSO_ISJ_E10value_typeEPSK_NS1_7vsmem_tEENKUlT_SI_SJ_SK_E_clISD_PsSD_S10_EESH_SX_SI_SJ_SK_EUlSX_E1_NS1_11comp_targetILNS1_3genE9ELNS1_11target_archE1100ELNS1_3gpuE3ELNS1_3repE0EEENS1_36merge_oddeven_config_static_selectorELNS0_4arch9wavefront6targetE1EEEvSJ_.uses_vcc, 0
	.set _ZN7rocprim17ROCPRIM_400000_NS6detail17trampoline_kernelINS0_14default_configENS1_38merge_sort_block_merge_config_selectorIssEEZZNS1_27merge_sort_block_merge_implIS3_N6thrust23THRUST_200600_302600_NS6detail15normal_iteratorINS8_10device_ptrIsEEEESD_jNS1_19radix_merge_compareILb0ELb1EsNS0_19identity_decomposerEEEEE10hipError_tT0_T1_T2_jT3_P12ihipStream_tbPNSt15iterator_traitsISI_E10value_typeEPNSO_ISJ_E10value_typeEPSK_NS1_7vsmem_tEENKUlT_SI_SJ_SK_E_clISD_PsSD_S10_EESH_SX_SI_SJ_SK_EUlSX_E1_NS1_11comp_targetILNS1_3genE9ELNS1_11target_archE1100ELNS1_3gpuE3ELNS1_3repE0EEENS1_36merge_oddeven_config_static_selectorELNS0_4arch9wavefront6targetE1EEEvSJ_.uses_flat_scratch, 0
	.set _ZN7rocprim17ROCPRIM_400000_NS6detail17trampoline_kernelINS0_14default_configENS1_38merge_sort_block_merge_config_selectorIssEEZZNS1_27merge_sort_block_merge_implIS3_N6thrust23THRUST_200600_302600_NS6detail15normal_iteratorINS8_10device_ptrIsEEEESD_jNS1_19radix_merge_compareILb0ELb1EsNS0_19identity_decomposerEEEEE10hipError_tT0_T1_T2_jT3_P12ihipStream_tbPNSt15iterator_traitsISI_E10value_typeEPNSO_ISJ_E10value_typeEPSK_NS1_7vsmem_tEENKUlT_SI_SJ_SK_E_clISD_PsSD_S10_EESH_SX_SI_SJ_SK_EUlSX_E1_NS1_11comp_targetILNS1_3genE9ELNS1_11target_archE1100ELNS1_3gpuE3ELNS1_3repE0EEENS1_36merge_oddeven_config_static_selectorELNS0_4arch9wavefront6targetE1EEEvSJ_.has_dyn_sized_stack, 0
	.set _ZN7rocprim17ROCPRIM_400000_NS6detail17trampoline_kernelINS0_14default_configENS1_38merge_sort_block_merge_config_selectorIssEEZZNS1_27merge_sort_block_merge_implIS3_N6thrust23THRUST_200600_302600_NS6detail15normal_iteratorINS8_10device_ptrIsEEEESD_jNS1_19radix_merge_compareILb0ELb1EsNS0_19identity_decomposerEEEEE10hipError_tT0_T1_T2_jT3_P12ihipStream_tbPNSt15iterator_traitsISI_E10value_typeEPNSO_ISJ_E10value_typeEPSK_NS1_7vsmem_tEENKUlT_SI_SJ_SK_E_clISD_PsSD_S10_EESH_SX_SI_SJ_SK_EUlSX_E1_NS1_11comp_targetILNS1_3genE9ELNS1_11target_archE1100ELNS1_3gpuE3ELNS1_3repE0EEENS1_36merge_oddeven_config_static_selectorELNS0_4arch9wavefront6targetE1EEEvSJ_.has_recursion, 0
	.set _ZN7rocprim17ROCPRIM_400000_NS6detail17trampoline_kernelINS0_14default_configENS1_38merge_sort_block_merge_config_selectorIssEEZZNS1_27merge_sort_block_merge_implIS3_N6thrust23THRUST_200600_302600_NS6detail15normal_iteratorINS8_10device_ptrIsEEEESD_jNS1_19radix_merge_compareILb0ELb1EsNS0_19identity_decomposerEEEEE10hipError_tT0_T1_T2_jT3_P12ihipStream_tbPNSt15iterator_traitsISI_E10value_typeEPNSO_ISJ_E10value_typeEPSK_NS1_7vsmem_tEENKUlT_SI_SJ_SK_E_clISD_PsSD_S10_EESH_SX_SI_SJ_SK_EUlSX_E1_NS1_11comp_targetILNS1_3genE9ELNS1_11target_archE1100ELNS1_3gpuE3ELNS1_3repE0EEENS1_36merge_oddeven_config_static_selectorELNS0_4arch9wavefront6targetE1EEEvSJ_.has_indirect_call, 0
	.section	.AMDGPU.csdata,"",@progbits
; Kernel info:
; codeLenInByte = 0
; TotalNumSgprs: 6
; NumVgprs: 0
; NumAgprs: 0
; TotalNumVgprs: 0
; ScratchSize: 0
; MemoryBound: 0
; FloatMode: 240
; IeeeMode: 1
; LDSByteSize: 0 bytes/workgroup (compile time only)
; SGPRBlocks: 0
; VGPRBlocks: 0
; NumSGPRsForWavesPerEU: 6
; NumVGPRsForWavesPerEU: 1
; AccumOffset: 4
; Occupancy: 8
; WaveLimiterHint : 0
; COMPUTE_PGM_RSRC2:SCRATCH_EN: 0
; COMPUTE_PGM_RSRC2:USER_SGPR: 2
; COMPUTE_PGM_RSRC2:TRAP_HANDLER: 0
; COMPUTE_PGM_RSRC2:TGID_X_EN: 1
; COMPUTE_PGM_RSRC2:TGID_Y_EN: 0
; COMPUTE_PGM_RSRC2:TGID_Z_EN: 0
; COMPUTE_PGM_RSRC2:TIDIG_COMP_CNT: 0
; COMPUTE_PGM_RSRC3_GFX90A:ACCUM_OFFSET: 0
; COMPUTE_PGM_RSRC3_GFX90A:TG_SPLIT: 0
	.section	.text._ZN7rocprim17ROCPRIM_400000_NS6detail17trampoline_kernelINS0_14default_configENS1_38merge_sort_block_merge_config_selectorIssEEZZNS1_27merge_sort_block_merge_implIS3_N6thrust23THRUST_200600_302600_NS6detail15normal_iteratorINS8_10device_ptrIsEEEESD_jNS1_19radix_merge_compareILb0ELb1EsNS0_19identity_decomposerEEEEE10hipError_tT0_T1_T2_jT3_P12ihipStream_tbPNSt15iterator_traitsISI_E10value_typeEPNSO_ISJ_E10value_typeEPSK_NS1_7vsmem_tEENKUlT_SI_SJ_SK_E_clISD_PsSD_S10_EESH_SX_SI_SJ_SK_EUlSX_E1_NS1_11comp_targetILNS1_3genE8ELNS1_11target_archE1030ELNS1_3gpuE2ELNS1_3repE0EEENS1_36merge_oddeven_config_static_selectorELNS0_4arch9wavefront6targetE1EEEvSJ_,"axG",@progbits,_ZN7rocprim17ROCPRIM_400000_NS6detail17trampoline_kernelINS0_14default_configENS1_38merge_sort_block_merge_config_selectorIssEEZZNS1_27merge_sort_block_merge_implIS3_N6thrust23THRUST_200600_302600_NS6detail15normal_iteratorINS8_10device_ptrIsEEEESD_jNS1_19radix_merge_compareILb0ELb1EsNS0_19identity_decomposerEEEEE10hipError_tT0_T1_T2_jT3_P12ihipStream_tbPNSt15iterator_traitsISI_E10value_typeEPNSO_ISJ_E10value_typeEPSK_NS1_7vsmem_tEENKUlT_SI_SJ_SK_E_clISD_PsSD_S10_EESH_SX_SI_SJ_SK_EUlSX_E1_NS1_11comp_targetILNS1_3genE8ELNS1_11target_archE1030ELNS1_3gpuE2ELNS1_3repE0EEENS1_36merge_oddeven_config_static_selectorELNS0_4arch9wavefront6targetE1EEEvSJ_,comdat
	.protected	_ZN7rocprim17ROCPRIM_400000_NS6detail17trampoline_kernelINS0_14default_configENS1_38merge_sort_block_merge_config_selectorIssEEZZNS1_27merge_sort_block_merge_implIS3_N6thrust23THRUST_200600_302600_NS6detail15normal_iteratorINS8_10device_ptrIsEEEESD_jNS1_19radix_merge_compareILb0ELb1EsNS0_19identity_decomposerEEEEE10hipError_tT0_T1_T2_jT3_P12ihipStream_tbPNSt15iterator_traitsISI_E10value_typeEPNSO_ISJ_E10value_typeEPSK_NS1_7vsmem_tEENKUlT_SI_SJ_SK_E_clISD_PsSD_S10_EESH_SX_SI_SJ_SK_EUlSX_E1_NS1_11comp_targetILNS1_3genE8ELNS1_11target_archE1030ELNS1_3gpuE2ELNS1_3repE0EEENS1_36merge_oddeven_config_static_selectorELNS0_4arch9wavefront6targetE1EEEvSJ_ ; -- Begin function _ZN7rocprim17ROCPRIM_400000_NS6detail17trampoline_kernelINS0_14default_configENS1_38merge_sort_block_merge_config_selectorIssEEZZNS1_27merge_sort_block_merge_implIS3_N6thrust23THRUST_200600_302600_NS6detail15normal_iteratorINS8_10device_ptrIsEEEESD_jNS1_19radix_merge_compareILb0ELb1EsNS0_19identity_decomposerEEEEE10hipError_tT0_T1_T2_jT3_P12ihipStream_tbPNSt15iterator_traitsISI_E10value_typeEPNSO_ISJ_E10value_typeEPSK_NS1_7vsmem_tEENKUlT_SI_SJ_SK_E_clISD_PsSD_S10_EESH_SX_SI_SJ_SK_EUlSX_E1_NS1_11comp_targetILNS1_3genE8ELNS1_11target_archE1030ELNS1_3gpuE2ELNS1_3repE0EEENS1_36merge_oddeven_config_static_selectorELNS0_4arch9wavefront6targetE1EEEvSJ_
	.globl	_ZN7rocprim17ROCPRIM_400000_NS6detail17trampoline_kernelINS0_14default_configENS1_38merge_sort_block_merge_config_selectorIssEEZZNS1_27merge_sort_block_merge_implIS3_N6thrust23THRUST_200600_302600_NS6detail15normal_iteratorINS8_10device_ptrIsEEEESD_jNS1_19radix_merge_compareILb0ELb1EsNS0_19identity_decomposerEEEEE10hipError_tT0_T1_T2_jT3_P12ihipStream_tbPNSt15iterator_traitsISI_E10value_typeEPNSO_ISJ_E10value_typeEPSK_NS1_7vsmem_tEENKUlT_SI_SJ_SK_E_clISD_PsSD_S10_EESH_SX_SI_SJ_SK_EUlSX_E1_NS1_11comp_targetILNS1_3genE8ELNS1_11target_archE1030ELNS1_3gpuE2ELNS1_3repE0EEENS1_36merge_oddeven_config_static_selectorELNS0_4arch9wavefront6targetE1EEEvSJ_
	.p2align	8
	.type	_ZN7rocprim17ROCPRIM_400000_NS6detail17trampoline_kernelINS0_14default_configENS1_38merge_sort_block_merge_config_selectorIssEEZZNS1_27merge_sort_block_merge_implIS3_N6thrust23THRUST_200600_302600_NS6detail15normal_iteratorINS8_10device_ptrIsEEEESD_jNS1_19radix_merge_compareILb0ELb1EsNS0_19identity_decomposerEEEEE10hipError_tT0_T1_T2_jT3_P12ihipStream_tbPNSt15iterator_traitsISI_E10value_typeEPNSO_ISJ_E10value_typeEPSK_NS1_7vsmem_tEENKUlT_SI_SJ_SK_E_clISD_PsSD_S10_EESH_SX_SI_SJ_SK_EUlSX_E1_NS1_11comp_targetILNS1_3genE8ELNS1_11target_archE1030ELNS1_3gpuE2ELNS1_3repE0EEENS1_36merge_oddeven_config_static_selectorELNS0_4arch9wavefront6targetE1EEEvSJ_,@function
_ZN7rocprim17ROCPRIM_400000_NS6detail17trampoline_kernelINS0_14default_configENS1_38merge_sort_block_merge_config_selectorIssEEZZNS1_27merge_sort_block_merge_implIS3_N6thrust23THRUST_200600_302600_NS6detail15normal_iteratorINS8_10device_ptrIsEEEESD_jNS1_19radix_merge_compareILb0ELb1EsNS0_19identity_decomposerEEEEE10hipError_tT0_T1_T2_jT3_P12ihipStream_tbPNSt15iterator_traitsISI_E10value_typeEPNSO_ISJ_E10value_typeEPSK_NS1_7vsmem_tEENKUlT_SI_SJ_SK_E_clISD_PsSD_S10_EESH_SX_SI_SJ_SK_EUlSX_E1_NS1_11comp_targetILNS1_3genE8ELNS1_11target_archE1030ELNS1_3gpuE2ELNS1_3repE0EEENS1_36merge_oddeven_config_static_selectorELNS0_4arch9wavefront6targetE1EEEvSJ_: ; @_ZN7rocprim17ROCPRIM_400000_NS6detail17trampoline_kernelINS0_14default_configENS1_38merge_sort_block_merge_config_selectorIssEEZZNS1_27merge_sort_block_merge_implIS3_N6thrust23THRUST_200600_302600_NS6detail15normal_iteratorINS8_10device_ptrIsEEEESD_jNS1_19radix_merge_compareILb0ELb1EsNS0_19identity_decomposerEEEEE10hipError_tT0_T1_T2_jT3_P12ihipStream_tbPNSt15iterator_traitsISI_E10value_typeEPNSO_ISJ_E10value_typeEPSK_NS1_7vsmem_tEENKUlT_SI_SJ_SK_E_clISD_PsSD_S10_EESH_SX_SI_SJ_SK_EUlSX_E1_NS1_11comp_targetILNS1_3genE8ELNS1_11target_archE1030ELNS1_3gpuE2ELNS1_3repE0EEENS1_36merge_oddeven_config_static_selectorELNS0_4arch9wavefront6targetE1EEEvSJ_
; %bb.0:
	.section	.rodata,"a",@progbits
	.p2align	6, 0x0
	.amdhsa_kernel _ZN7rocprim17ROCPRIM_400000_NS6detail17trampoline_kernelINS0_14default_configENS1_38merge_sort_block_merge_config_selectorIssEEZZNS1_27merge_sort_block_merge_implIS3_N6thrust23THRUST_200600_302600_NS6detail15normal_iteratorINS8_10device_ptrIsEEEESD_jNS1_19radix_merge_compareILb0ELb1EsNS0_19identity_decomposerEEEEE10hipError_tT0_T1_T2_jT3_P12ihipStream_tbPNSt15iterator_traitsISI_E10value_typeEPNSO_ISJ_E10value_typeEPSK_NS1_7vsmem_tEENKUlT_SI_SJ_SK_E_clISD_PsSD_S10_EESH_SX_SI_SJ_SK_EUlSX_E1_NS1_11comp_targetILNS1_3genE8ELNS1_11target_archE1030ELNS1_3gpuE2ELNS1_3repE0EEENS1_36merge_oddeven_config_static_selectorELNS0_4arch9wavefront6targetE1EEEvSJ_
		.amdhsa_group_segment_fixed_size 0
		.amdhsa_private_segment_fixed_size 0
		.amdhsa_kernarg_size 48
		.amdhsa_user_sgpr_count 2
		.amdhsa_user_sgpr_dispatch_ptr 0
		.amdhsa_user_sgpr_queue_ptr 0
		.amdhsa_user_sgpr_kernarg_segment_ptr 1
		.amdhsa_user_sgpr_dispatch_id 0
		.amdhsa_user_sgpr_kernarg_preload_length 0
		.amdhsa_user_sgpr_kernarg_preload_offset 0
		.amdhsa_user_sgpr_private_segment_size 0
		.amdhsa_uses_dynamic_stack 0
		.amdhsa_enable_private_segment 0
		.amdhsa_system_sgpr_workgroup_id_x 1
		.amdhsa_system_sgpr_workgroup_id_y 0
		.amdhsa_system_sgpr_workgroup_id_z 0
		.amdhsa_system_sgpr_workgroup_info 0
		.amdhsa_system_vgpr_workitem_id 0
		.amdhsa_next_free_vgpr 1
		.amdhsa_next_free_sgpr 0
		.amdhsa_accum_offset 4
		.amdhsa_reserve_vcc 0
		.amdhsa_float_round_mode_32 0
		.amdhsa_float_round_mode_16_64 0
		.amdhsa_float_denorm_mode_32 3
		.amdhsa_float_denorm_mode_16_64 3
		.amdhsa_dx10_clamp 1
		.amdhsa_ieee_mode 1
		.amdhsa_fp16_overflow 0
		.amdhsa_tg_split 0
		.amdhsa_exception_fp_ieee_invalid_op 0
		.amdhsa_exception_fp_denorm_src 0
		.amdhsa_exception_fp_ieee_div_zero 0
		.amdhsa_exception_fp_ieee_overflow 0
		.amdhsa_exception_fp_ieee_underflow 0
		.amdhsa_exception_fp_ieee_inexact 0
		.amdhsa_exception_int_div_zero 0
	.end_amdhsa_kernel
	.section	.text._ZN7rocprim17ROCPRIM_400000_NS6detail17trampoline_kernelINS0_14default_configENS1_38merge_sort_block_merge_config_selectorIssEEZZNS1_27merge_sort_block_merge_implIS3_N6thrust23THRUST_200600_302600_NS6detail15normal_iteratorINS8_10device_ptrIsEEEESD_jNS1_19radix_merge_compareILb0ELb1EsNS0_19identity_decomposerEEEEE10hipError_tT0_T1_T2_jT3_P12ihipStream_tbPNSt15iterator_traitsISI_E10value_typeEPNSO_ISJ_E10value_typeEPSK_NS1_7vsmem_tEENKUlT_SI_SJ_SK_E_clISD_PsSD_S10_EESH_SX_SI_SJ_SK_EUlSX_E1_NS1_11comp_targetILNS1_3genE8ELNS1_11target_archE1030ELNS1_3gpuE2ELNS1_3repE0EEENS1_36merge_oddeven_config_static_selectorELNS0_4arch9wavefront6targetE1EEEvSJ_,"axG",@progbits,_ZN7rocprim17ROCPRIM_400000_NS6detail17trampoline_kernelINS0_14default_configENS1_38merge_sort_block_merge_config_selectorIssEEZZNS1_27merge_sort_block_merge_implIS3_N6thrust23THRUST_200600_302600_NS6detail15normal_iteratorINS8_10device_ptrIsEEEESD_jNS1_19radix_merge_compareILb0ELb1EsNS0_19identity_decomposerEEEEE10hipError_tT0_T1_T2_jT3_P12ihipStream_tbPNSt15iterator_traitsISI_E10value_typeEPNSO_ISJ_E10value_typeEPSK_NS1_7vsmem_tEENKUlT_SI_SJ_SK_E_clISD_PsSD_S10_EESH_SX_SI_SJ_SK_EUlSX_E1_NS1_11comp_targetILNS1_3genE8ELNS1_11target_archE1030ELNS1_3gpuE2ELNS1_3repE0EEENS1_36merge_oddeven_config_static_selectorELNS0_4arch9wavefront6targetE1EEEvSJ_,comdat
.Lfunc_end1614:
	.size	_ZN7rocprim17ROCPRIM_400000_NS6detail17trampoline_kernelINS0_14default_configENS1_38merge_sort_block_merge_config_selectorIssEEZZNS1_27merge_sort_block_merge_implIS3_N6thrust23THRUST_200600_302600_NS6detail15normal_iteratorINS8_10device_ptrIsEEEESD_jNS1_19radix_merge_compareILb0ELb1EsNS0_19identity_decomposerEEEEE10hipError_tT0_T1_T2_jT3_P12ihipStream_tbPNSt15iterator_traitsISI_E10value_typeEPNSO_ISJ_E10value_typeEPSK_NS1_7vsmem_tEENKUlT_SI_SJ_SK_E_clISD_PsSD_S10_EESH_SX_SI_SJ_SK_EUlSX_E1_NS1_11comp_targetILNS1_3genE8ELNS1_11target_archE1030ELNS1_3gpuE2ELNS1_3repE0EEENS1_36merge_oddeven_config_static_selectorELNS0_4arch9wavefront6targetE1EEEvSJ_, .Lfunc_end1614-_ZN7rocprim17ROCPRIM_400000_NS6detail17trampoline_kernelINS0_14default_configENS1_38merge_sort_block_merge_config_selectorIssEEZZNS1_27merge_sort_block_merge_implIS3_N6thrust23THRUST_200600_302600_NS6detail15normal_iteratorINS8_10device_ptrIsEEEESD_jNS1_19radix_merge_compareILb0ELb1EsNS0_19identity_decomposerEEEEE10hipError_tT0_T1_T2_jT3_P12ihipStream_tbPNSt15iterator_traitsISI_E10value_typeEPNSO_ISJ_E10value_typeEPSK_NS1_7vsmem_tEENKUlT_SI_SJ_SK_E_clISD_PsSD_S10_EESH_SX_SI_SJ_SK_EUlSX_E1_NS1_11comp_targetILNS1_3genE8ELNS1_11target_archE1030ELNS1_3gpuE2ELNS1_3repE0EEENS1_36merge_oddeven_config_static_selectorELNS0_4arch9wavefront6targetE1EEEvSJ_
                                        ; -- End function
	.set _ZN7rocprim17ROCPRIM_400000_NS6detail17trampoline_kernelINS0_14default_configENS1_38merge_sort_block_merge_config_selectorIssEEZZNS1_27merge_sort_block_merge_implIS3_N6thrust23THRUST_200600_302600_NS6detail15normal_iteratorINS8_10device_ptrIsEEEESD_jNS1_19radix_merge_compareILb0ELb1EsNS0_19identity_decomposerEEEEE10hipError_tT0_T1_T2_jT3_P12ihipStream_tbPNSt15iterator_traitsISI_E10value_typeEPNSO_ISJ_E10value_typeEPSK_NS1_7vsmem_tEENKUlT_SI_SJ_SK_E_clISD_PsSD_S10_EESH_SX_SI_SJ_SK_EUlSX_E1_NS1_11comp_targetILNS1_3genE8ELNS1_11target_archE1030ELNS1_3gpuE2ELNS1_3repE0EEENS1_36merge_oddeven_config_static_selectorELNS0_4arch9wavefront6targetE1EEEvSJ_.num_vgpr, 0
	.set _ZN7rocprim17ROCPRIM_400000_NS6detail17trampoline_kernelINS0_14default_configENS1_38merge_sort_block_merge_config_selectorIssEEZZNS1_27merge_sort_block_merge_implIS3_N6thrust23THRUST_200600_302600_NS6detail15normal_iteratorINS8_10device_ptrIsEEEESD_jNS1_19radix_merge_compareILb0ELb1EsNS0_19identity_decomposerEEEEE10hipError_tT0_T1_T2_jT3_P12ihipStream_tbPNSt15iterator_traitsISI_E10value_typeEPNSO_ISJ_E10value_typeEPSK_NS1_7vsmem_tEENKUlT_SI_SJ_SK_E_clISD_PsSD_S10_EESH_SX_SI_SJ_SK_EUlSX_E1_NS1_11comp_targetILNS1_3genE8ELNS1_11target_archE1030ELNS1_3gpuE2ELNS1_3repE0EEENS1_36merge_oddeven_config_static_selectorELNS0_4arch9wavefront6targetE1EEEvSJ_.num_agpr, 0
	.set _ZN7rocprim17ROCPRIM_400000_NS6detail17trampoline_kernelINS0_14default_configENS1_38merge_sort_block_merge_config_selectorIssEEZZNS1_27merge_sort_block_merge_implIS3_N6thrust23THRUST_200600_302600_NS6detail15normal_iteratorINS8_10device_ptrIsEEEESD_jNS1_19radix_merge_compareILb0ELb1EsNS0_19identity_decomposerEEEEE10hipError_tT0_T1_T2_jT3_P12ihipStream_tbPNSt15iterator_traitsISI_E10value_typeEPNSO_ISJ_E10value_typeEPSK_NS1_7vsmem_tEENKUlT_SI_SJ_SK_E_clISD_PsSD_S10_EESH_SX_SI_SJ_SK_EUlSX_E1_NS1_11comp_targetILNS1_3genE8ELNS1_11target_archE1030ELNS1_3gpuE2ELNS1_3repE0EEENS1_36merge_oddeven_config_static_selectorELNS0_4arch9wavefront6targetE1EEEvSJ_.numbered_sgpr, 0
	.set _ZN7rocprim17ROCPRIM_400000_NS6detail17trampoline_kernelINS0_14default_configENS1_38merge_sort_block_merge_config_selectorIssEEZZNS1_27merge_sort_block_merge_implIS3_N6thrust23THRUST_200600_302600_NS6detail15normal_iteratorINS8_10device_ptrIsEEEESD_jNS1_19radix_merge_compareILb0ELb1EsNS0_19identity_decomposerEEEEE10hipError_tT0_T1_T2_jT3_P12ihipStream_tbPNSt15iterator_traitsISI_E10value_typeEPNSO_ISJ_E10value_typeEPSK_NS1_7vsmem_tEENKUlT_SI_SJ_SK_E_clISD_PsSD_S10_EESH_SX_SI_SJ_SK_EUlSX_E1_NS1_11comp_targetILNS1_3genE8ELNS1_11target_archE1030ELNS1_3gpuE2ELNS1_3repE0EEENS1_36merge_oddeven_config_static_selectorELNS0_4arch9wavefront6targetE1EEEvSJ_.num_named_barrier, 0
	.set _ZN7rocprim17ROCPRIM_400000_NS6detail17trampoline_kernelINS0_14default_configENS1_38merge_sort_block_merge_config_selectorIssEEZZNS1_27merge_sort_block_merge_implIS3_N6thrust23THRUST_200600_302600_NS6detail15normal_iteratorINS8_10device_ptrIsEEEESD_jNS1_19radix_merge_compareILb0ELb1EsNS0_19identity_decomposerEEEEE10hipError_tT0_T1_T2_jT3_P12ihipStream_tbPNSt15iterator_traitsISI_E10value_typeEPNSO_ISJ_E10value_typeEPSK_NS1_7vsmem_tEENKUlT_SI_SJ_SK_E_clISD_PsSD_S10_EESH_SX_SI_SJ_SK_EUlSX_E1_NS1_11comp_targetILNS1_3genE8ELNS1_11target_archE1030ELNS1_3gpuE2ELNS1_3repE0EEENS1_36merge_oddeven_config_static_selectorELNS0_4arch9wavefront6targetE1EEEvSJ_.private_seg_size, 0
	.set _ZN7rocprim17ROCPRIM_400000_NS6detail17trampoline_kernelINS0_14default_configENS1_38merge_sort_block_merge_config_selectorIssEEZZNS1_27merge_sort_block_merge_implIS3_N6thrust23THRUST_200600_302600_NS6detail15normal_iteratorINS8_10device_ptrIsEEEESD_jNS1_19radix_merge_compareILb0ELb1EsNS0_19identity_decomposerEEEEE10hipError_tT0_T1_T2_jT3_P12ihipStream_tbPNSt15iterator_traitsISI_E10value_typeEPNSO_ISJ_E10value_typeEPSK_NS1_7vsmem_tEENKUlT_SI_SJ_SK_E_clISD_PsSD_S10_EESH_SX_SI_SJ_SK_EUlSX_E1_NS1_11comp_targetILNS1_3genE8ELNS1_11target_archE1030ELNS1_3gpuE2ELNS1_3repE0EEENS1_36merge_oddeven_config_static_selectorELNS0_4arch9wavefront6targetE1EEEvSJ_.uses_vcc, 0
	.set _ZN7rocprim17ROCPRIM_400000_NS6detail17trampoline_kernelINS0_14default_configENS1_38merge_sort_block_merge_config_selectorIssEEZZNS1_27merge_sort_block_merge_implIS3_N6thrust23THRUST_200600_302600_NS6detail15normal_iteratorINS8_10device_ptrIsEEEESD_jNS1_19radix_merge_compareILb0ELb1EsNS0_19identity_decomposerEEEEE10hipError_tT0_T1_T2_jT3_P12ihipStream_tbPNSt15iterator_traitsISI_E10value_typeEPNSO_ISJ_E10value_typeEPSK_NS1_7vsmem_tEENKUlT_SI_SJ_SK_E_clISD_PsSD_S10_EESH_SX_SI_SJ_SK_EUlSX_E1_NS1_11comp_targetILNS1_3genE8ELNS1_11target_archE1030ELNS1_3gpuE2ELNS1_3repE0EEENS1_36merge_oddeven_config_static_selectorELNS0_4arch9wavefront6targetE1EEEvSJ_.uses_flat_scratch, 0
	.set _ZN7rocprim17ROCPRIM_400000_NS6detail17trampoline_kernelINS0_14default_configENS1_38merge_sort_block_merge_config_selectorIssEEZZNS1_27merge_sort_block_merge_implIS3_N6thrust23THRUST_200600_302600_NS6detail15normal_iteratorINS8_10device_ptrIsEEEESD_jNS1_19radix_merge_compareILb0ELb1EsNS0_19identity_decomposerEEEEE10hipError_tT0_T1_T2_jT3_P12ihipStream_tbPNSt15iterator_traitsISI_E10value_typeEPNSO_ISJ_E10value_typeEPSK_NS1_7vsmem_tEENKUlT_SI_SJ_SK_E_clISD_PsSD_S10_EESH_SX_SI_SJ_SK_EUlSX_E1_NS1_11comp_targetILNS1_3genE8ELNS1_11target_archE1030ELNS1_3gpuE2ELNS1_3repE0EEENS1_36merge_oddeven_config_static_selectorELNS0_4arch9wavefront6targetE1EEEvSJ_.has_dyn_sized_stack, 0
	.set _ZN7rocprim17ROCPRIM_400000_NS6detail17trampoline_kernelINS0_14default_configENS1_38merge_sort_block_merge_config_selectorIssEEZZNS1_27merge_sort_block_merge_implIS3_N6thrust23THRUST_200600_302600_NS6detail15normal_iteratorINS8_10device_ptrIsEEEESD_jNS1_19radix_merge_compareILb0ELb1EsNS0_19identity_decomposerEEEEE10hipError_tT0_T1_T2_jT3_P12ihipStream_tbPNSt15iterator_traitsISI_E10value_typeEPNSO_ISJ_E10value_typeEPSK_NS1_7vsmem_tEENKUlT_SI_SJ_SK_E_clISD_PsSD_S10_EESH_SX_SI_SJ_SK_EUlSX_E1_NS1_11comp_targetILNS1_3genE8ELNS1_11target_archE1030ELNS1_3gpuE2ELNS1_3repE0EEENS1_36merge_oddeven_config_static_selectorELNS0_4arch9wavefront6targetE1EEEvSJ_.has_recursion, 0
	.set _ZN7rocprim17ROCPRIM_400000_NS6detail17trampoline_kernelINS0_14default_configENS1_38merge_sort_block_merge_config_selectorIssEEZZNS1_27merge_sort_block_merge_implIS3_N6thrust23THRUST_200600_302600_NS6detail15normal_iteratorINS8_10device_ptrIsEEEESD_jNS1_19radix_merge_compareILb0ELb1EsNS0_19identity_decomposerEEEEE10hipError_tT0_T1_T2_jT3_P12ihipStream_tbPNSt15iterator_traitsISI_E10value_typeEPNSO_ISJ_E10value_typeEPSK_NS1_7vsmem_tEENKUlT_SI_SJ_SK_E_clISD_PsSD_S10_EESH_SX_SI_SJ_SK_EUlSX_E1_NS1_11comp_targetILNS1_3genE8ELNS1_11target_archE1030ELNS1_3gpuE2ELNS1_3repE0EEENS1_36merge_oddeven_config_static_selectorELNS0_4arch9wavefront6targetE1EEEvSJ_.has_indirect_call, 0
	.section	.AMDGPU.csdata,"",@progbits
; Kernel info:
; codeLenInByte = 0
; TotalNumSgprs: 6
; NumVgprs: 0
; NumAgprs: 0
; TotalNumVgprs: 0
; ScratchSize: 0
; MemoryBound: 0
; FloatMode: 240
; IeeeMode: 1
; LDSByteSize: 0 bytes/workgroup (compile time only)
; SGPRBlocks: 0
; VGPRBlocks: 0
; NumSGPRsForWavesPerEU: 6
; NumVGPRsForWavesPerEU: 1
; AccumOffset: 4
; Occupancy: 8
; WaveLimiterHint : 0
; COMPUTE_PGM_RSRC2:SCRATCH_EN: 0
; COMPUTE_PGM_RSRC2:USER_SGPR: 2
; COMPUTE_PGM_RSRC2:TRAP_HANDLER: 0
; COMPUTE_PGM_RSRC2:TGID_X_EN: 1
; COMPUTE_PGM_RSRC2:TGID_Y_EN: 0
; COMPUTE_PGM_RSRC2:TGID_Z_EN: 0
; COMPUTE_PGM_RSRC2:TIDIG_COMP_CNT: 0
; COMPUTE_PGM_RSRC3_GFX90A:ACCUM_OFFSET: 0
; COMPUTE_PGM_RSRC3_GFX90A:TG_SPLIT: 0
	.section	.text._ZN7rocprim17ROCPRIM_400000_NS6detail17trampoline_kernelINS0_14default_configENS1_35radix_sort_onesweep_config_selectorIssEEZNS1_34radix_sort_onesweep_global_offsetsIS3_Lb0EN6thrust23THRUST_200600_302600_NS6detail15normal_iteratorINS8_10device_ptrIsEEEESD_jNS0_19identity_decomposerEEE10hipError_tT1_T2_PT3_SI_jT4_jjP12ihipStream_tbEUlT_E_NS1_11comp_targetILNS1_3genE0ELNS1_11target_archE4294967295ELNS1_3gpuE0ELNS1_3repE0EEENS1_52radix_sort_onesweep_histogram_config_static_selectorELNS0_4arch9wavefront6targetE1EEEvSG_,"axG",@progbits,_ZN7rocprim17ROCPRIM_400000_NS6detail17trampoline_kernelINS0_14default_configENS1_35radix_sort_onesweep_config_selectorIssEEZNS1_34radix_sort_onesweep_global_offsetsIS3_Lb0EN6thrust23THRUST_200600_302600_NS6detail15normal_iteratorINS8_10device_ptrIsEEEESD_jNS0_19identity_decomposerEEE10hipError_tT1_T2_PT3_SI_jT4_jjP12ihipStream_tbEUlT_E_NS1_11comp_targetILNS1_3genE0ELNS1_11target_archE4294967295ELNS1_3gpuE0ELNS1_3repE0EEENS1_52radix_sort_onesweep_histogram_config_static_selectorELNS0_4arch9wavefront6targetE1EEEvSG_,comdat
	.protected	_ZN7rocprim17ROCPRIM_400000_NS6detail17trampoline_kernelINS0_14default_configENS1_35radix_sort_onesweep_config_selectorIssEEZNS1_34radix_sort_onesweep_global_offsetsIS3_Lb0EN6thrust23THRUST_200600_302600_NS6detail15normal_iteratorINS8_10device_ptrIsEEEESD_jNS0_19identity_decomposerEEE10hipError_tT1_T2_PT3_SI_jT4_jjP12ihipStream_tbEUlT_E_NS1_11comp_targetILNS1_3genE0ELNS1_11target_archE4294967295ELNS1_3gpuE0ELNS1_3repE0EEENS1_52radix_sort_onesweep_histogram_config_static_selectorELNS0_4arch9wavefront6targetE1EEEvSG_ ; -- Begin function _ZN7rocprim17ROCPRIM_400000_NS6detail17trampoline_kernelINS0_14default_configENS1_35radix_sort_onesweep_config_selectorIssEEZNS1_34radix_sort_onesweep_global_offsetsIS3_Lb0EN6thrust23THRUST_200600_302600_NS6detail15normal_iteratorINS8_10device_ptrIsEEEESD_jNS0_19identity_decomposerEEE10hipError_tT1_T2_PT3_SI_jT4_jjP12ihipStream_tbEUlT_E_NS1_11comp_targetILNS1_3genE0ELNS1_11target_archE4294967295ELNS1_3gpuE0ELNS1_3repE0EEENS1_52radix_sort_onesweep_histogram_config_static_selectorELNS0_4arch9wavefront6targetE1EEEvSG_
	.globl	_ZN7rocprim17ROCPRIM_400000_NS6detail17trampoline_kernelINS0_14default_configENS1_35radix_sort_onesweep_config_selectorIssEEZNS1_34radix_sort_onesweep_global_offsetsIS3_Lb0EN6thrust23THRUST_200600_302600_NS6detail15normal_iteratorINS8_10device_ptrIsEEEESD_jNS0_19identity_decomposerEEE10hipError_tT1_T2_PT3_SI_jT4_jjP12ihipStream_tbEUlT_E_NS1_11comp_targetILNS1_3genE0ELNS1_11target_archE4294967295ELNS1_3gpuE0ELNS1_3repE0EEENS1_52radix_sort_onesweep_histogram_config_static_selectorELNS0_4arch9wavefront6targetE1EEEvSG_
	.p2align	8
	.type	_ZN7rocprim17ROCPRIM_400000_NS6detail17trampoline_kernelINS0_14default_configENS1_35radix_sort_onesweep_config_selectorIssEEZNS1_34radix_sort_onesweep_global_offsetsIS3_Lb0EN6thrust23THRUST_200600_302600_NS6detail15normal_iteratorINS8_10device_ptrIsEEEESD_jNS0_19identity_decomposerEEE10hipError_tT1_T2_PT3_SI_jT4_jjP12ihipStream_tbEUlT_E_NS1_11comp_targetILNS1_3genE0ELNS1_11target_archE4294967295ELNS1_3gpuE0ELNS1_3repE0EEENS1_52radix_sort_onesweep_histogram_config_static_selectorELNS0_4arch9wavefront6targetE1EEEvSG_,@function
_ZN7rocprim17ROCPRIM_400000_NS6detail17trampoline_kernelINS0_14default_configENS1_35radix_sort_onesweep_config_selectorIssEEZNS1_34radix_sort_onesweep_global_offsetsIS3_Lb0EN6thrust23THRUST_200600_302600_NS6detail15normal_iteratorINS8_10device_ptrIsEEEESD_jNS0_19identity_decomposerEEE10hipError_tT1_T2_PT3_SI_jT4_jjP12ihipStream_tbEUlT_E_NS1_11comp_targetILNS1_3genE0ELNS1_11target_archE4294967295ELNS1_3gpuE0ELNS1_3repE0EEENS1_52radix_sort_onesweep_histogram_config_static_selectorELNS0_4arch9wavefront6targetE1EEEvSG_: ; @_ZN7rocprim17ROCPRIM_400000_NS6detail17trampoline_kernelINS0_14default_configENS1_35radix_sort_onesweep_config_selectorIssEEZNS1_34radix_sort_onesweep_global_offsetsIS3_Lb0EN6thrust23THRUST_200600_302600_NS6detail15normal_iteratorINS8_10device_ptrIsEEEESD_jNS0_19identity_decomposerEEE10hipError_tT1_T2_PT3_SI_jT4_jjP12ihipStream_tbEUlT_E_NS1_11comp_targetILNS1_3genE0ELNS1_11target_archE4294967295ELNS1_3gpuE0ELNS1_3repE0EEENS1_52radix_sort_onesweep_histogram_config_static_selectorELNS0_4arch9wavefront6targetE1EEEvSG_
; %bb.0:
	.section	.rodata,"a",@progbits
	.p2align	6, 0x0
	.amdhsa_kernel _ZN7rocprim17ROCPRIM_400000_NS6detail17trampoline_kernelINS0_14default_configENS1_35radix_sort_onesweep_config_selectorIssEEZNS1_34radix_sort_onesweep_global_offsetsIS3_Lb0EN6thrust23THRUST_200600_302600_NS6detail15normal_iteratorINS8_10device_ptrIsEEEESD_jNS0_19identity_decomposerEEE10hipError_tT1_T2_PT3_SI_jT4_jjP12ihipStream_tbEUlT_E_NS1_11comp_targetILNS1_3genE0ELNS1_11target_archE4294967295ELNS1_3gpuE0ELNS1_3repE0EEENS1_52radix_sort_onesweep_histogram_config_static_selectorELNS0_4arch9wavefront6targetE1EEEvSG_
		.amdhsa_group_segment_fixed_size 0
		.amdhsa_private_segment_fixed_size 0
		.amdhsa_kernarg_size 40
		.amdhsa_user_sgpr_count 2
		.amdhsa_user_sgpr_dispatch_ptr 0
		.amdhsa_user_sgpr_queue_ptr 0
		.amdhsa_user_sgpr_kernarg_segment_ptr 1
		.amdhsa_user_sgpr_dispatch_id 0
		.amdhsa_user_sgpr_kernarg_preload_length 0
		.amdhsa_user_sgpr_kernarg_preload_offset 0
		.amdhsa_user_sgpr_private_segment_size 0
		.amdhsa_uses_dynamic_stack 0
		.amdhsa_enable_private_segment 0
		.amdhsa_system_sgpr_workgroup_id_x 1
		.amdhsa_system_sgpr_workgroup_id_y 0
		.amdhsa_system_sgpr_workgroup_id_z 0
		.amdhsa_system_sgpr_workgroup_info 0
		.amdhsa_system_vgpr_workitem_id 0
		.amdhsa_next_free_vgpr 1
		.amdhsa_next_free_sgpr 0
		.amdhsa_accum_offset 4
		.amdhsa_reserve_vcc 0
		.amdhsa_float_round_mode_32 0
		.amdhsa_float_round_mode_16_64 0
		.amdhsa_float_denorm_mode_32 3
		.amdhsa_float_denorm_mode_16_64 3
		.amdhsa_dx10_clamp 1
		.amdhsa_ieee_mode 1
		.amdhsa_fp16_overflow 0
		.amdhsa_tg_split 0
		.amdhsa_exception_fp_ieee_invalid_op 0
		.amdhsa_exception_fp_denorm_src 0
		.amdhsa_exception_fp_ieee_div_zero 0
		.amdhsa_exception_fp_ieee_overflow 0
		.amdhsa_exception_fp_ieee_underflow 0
		.amdhsa_exception_fp_ieee_inexact 0
		.amdhsa_exception_int_div_zero 0
	.end_amdhsa_kernel
	.section	.text._ZN7rocprim17ROCPRIM_400000_NS6detail17trampoline_kernelINS0_14default_configENS1_35radix_sort_onesweep_config_selectorIssEEZNS1_34radix_sort_onesweep_global_offsetsIS3_Lb0EN6thrust23THRUST_200600_302600_NS6detail15normal_iteratorINS8_10device_ptrIsEEEESD_jNS0_19identity_decomposerEEE10hipError_tT1_T2_PT3_SI_jT4_jjP12ihipStream_tbEUlT_E_NS1_11comp_targetILNS1_3genE0ELNS1_11target_archE4294967295ELNS1_3gpuE0ELNS1_3repE0EEENS1_52radix_sort_onesweep_histogram_config_static_selectorELNS0_4arch9wavefront6targetE1EEEvSG_,"axG",@progbits,_ZN7rocprim17ROCPRIM_400000_NS6detail17trampoline_kernelINS0_14default_configENS1_35radix_sort_onesweep_config_selectorIssEEZNS1_34radix_sort_onesweep_global_offsetsIS3_Lb0EN6thrust23THRUST_200600_302600_NS6detail15normal_iteratorINS8_10device_ptrIsEEEESD_jNS0_19identity_decomposerEEE10hipError_tT1_T2_PT3_SI_jT4_jjP12ihipStream_tbEUlT_E_NS1_11comp_targetILNS1_3genE0ELNS1_11target_archE4294967295ELNS1_3gpuE0ELNS1_3repE0EEENS1_52radix_sort_onesweep_histogram_config_static_selectorELNS0_4arch9wavefront6targetE1EEEvSG_,comdat
.Lfunc_end1615:
	.size	_ZN7rocprim17ROCPRIM_400000_NS6detail17trampoline_kernelINS0_14default_configENS1_35radix_sort_onesweep_config_selectorIssEEZNS1_34radix_sort_onesweep_global_offsetsIS3_Lb0EN6thrust23THRUST_200600_302600_NS6detail15normal_iteratorINS8_10device_ptrIsEEEESD_jNS0_19identity_decomposerEEE10hipError_tT1_T2_PT3_SI_jT4_jjP12ihipStream_tbEUlT_E_NS1_11comp_targetILNS1_3genE0ELNS1_11target_archE4294967295ELNS1_3gpuE0ELNS1_3repE0EEENS1_52radix_sort_onesweep_histogram_config_static_selectorELNS0_4arch9wavefront6targetE1EEEvSG_, .Lfunc_end1615-_ZN7rocprim17ROCPRIM_400000_NS6detail17trampoline_kernelINS0_14default_configENS1_35radix_sort_onesweep_config_selectorIssEEZNS1_34radix_sort_onesweep_global_offsetsIS3_Lb0EN6thrust23THRUST_200600_302600_NS6detail15normal_iteratorINS8_10device_ptrIsEEEESD_jNS0_19identity_decomposerEEE10hipError_tT1_T2_PT3_SI_jT4_jjP12ihipStream_tbEUlT_E_NS1_11comp_targetILNS1_3genE0ELNS1_11target_archE4294967295ELNS1_3gpuE0ELNS1_3repE0EEENS1_52radix_sort_onesweep_histogram_config_static_selectorELNS0_4arch9wavefront6targetE1EEEvSG_
                                        ; -- End function
	.set _ZN7rocprim17ROCPRIM_400000_NS6detail17trampoline_kernelINS0_14default_configENS1_35radix_sort_onesweep_config_selectorIssEEZNS1_34radix_sort_onesweep_global_offsetsIS3_Lb0EN6thrust23THRUST_200600_302600_NS6detail15normal_iteratorINS8_10device_ptrIsEEEESD_jNS0_19identity_decomposerEEE10hipError_tT1_T2_PT3_SI_jT4_jjP12ihipStream_tbEUlT_E_NS1_11comp_targetILNS1_3genE0ELNS1_11target_archE4294967295ELNS1_3gpuE0ELNS1_3repE0EEENS1_52radix_sort_onesweep_histogram_config_static_selectorELNS0_4arch9wavefront6targetE1EEEvSG_.num_vgpr, 0
	.set _ZN7rocprim17ROCPRIM_400000_NS6detail17trampoline_kernelINS0_14default_configENS1_35radix_sort_onesweep_config_selectorIssEEZNS1_34radix_sort_onesweep_global_offsetsIS3_Lb0EN6thrust23THRUST_200600_302600_NS6detail15normal_iteratorINS8_10device_ptrIsEEEESD_jNS0_19identity_decomposerEEE10hipError_tT1_T2_PT3_SI_jT4_jjP12ihipStream_tbEUlT_E_NS1_11comp_targetILNS1_3genE0ELNS1_11target_archE4294967295ELNS1_3gpuE0ELNS1_3repE0EEENS1_52radix_sort_onesweep_histogram_config_static_selectorELNS0_4arch9wavefront6targetE1EEEvSG_.num_agpr, 0
	.set _ZN7rocprim17ROCPRIM_400000_NS6detail17trampoline_kernelINS0_14default_configENS1_35radix_sort_onesweep_config_selectorIssEEZNS1_34radix_sort_onesweep_global_offsetsIS3_Lb0EN6thrust23THRUST_200600_302600_NS6detail15normal_iteratorINS8_10device_ptrIsEEEESD_jNS0_19identity_decomposerEEE10hipError_tT1_T2_PT3_SI_jT4_jjP12ihipStream_tbEUlT_E_NS1_11comp_targetILNS1_3genE0ELNS1_11target_archE4294967295ELNS1_3gpuE0ELNS1_3repE0EEENS1_52radix_sort_onesweep_histogram_config_static_selectorELNS0_4arch9wavefront6targetE1EEEvSG_.numbered_sgpr, 0
	.set _ZN7rocprim17ROCPRIM_400000_NS6detail17trampoline_kernelINS0_14default_configENS1_35radix_sort_onesweep_config_selectorIssEEZNS1_34radix_sort_onesweep_global_offsetsIS3_Lb0EN6thrust23THRUST_200600_302600_NS6detail15normal_iteratorINS8_10device_ptrIsEEEESD_jNS0_19identity_decomposerEEE10hipError_tT1_T2_PT3_SI_jT4_jjP12ihipStream_tbEUlT_E_NS1_11comp_targetILNS1_3genE0ELNS1_11target_archE4294967295ELNS1_3gpuE0ELNS1_3repE0EEENS1_52radix_sort_onesweep_histogram_config_static_selectorELNS0_4arch9wavefront6targetE1EEEvSG_.num_named_barrier, 0
	.set _ZN7rocprim17ROCPRIM_400000_NS6detail17trampoline_kernelINS0_14default_configENS1_35radix_sort_onesweep_config_selectorIssEEZNS1_34radix_sort_onesweep_global_offsetsIS3_Lb0EN6thrust23THRUST_200600_302600_NS6detail15normal_iteratorINS8_10device_ptrIsEEEESD_jNS0_19identity_decomposerEEE10hipError_tT1_T2_PT3_SI_jT4_jjP12ihipStream_tbEUlT_E_NS1_11comp_targetILNS1_3genE0ELNS1_11target_archE4294967295ELNS1_3gpuE0ELNS1_3repE0EEENS1_52radix_sort_onesweep_histogram_config_static_selectorELNS0_4arch9wavefront6targetE1EEEvSG_.private_seg_size, 0
	.set _ZN7rocprim17ROCPRIM_400000_NS6detail17trampoline_kernelINS0_14default_configENS1_35radix_sort_onesweep_config_selectorIssEEZNS1_34radix_sort_onesweep_global_offsetsIS3_Lb0EN6thrust23THRUST_200600_302600_NS6detail15normal_iteratorINS8_10device_ptrIsEEEESD_jNS0_19identity_decomposerEEE10hipError_tT1_T2_PT3_SI_jT4_jjP12ihipStream_tbEUlT_E_NS1_11comp_targetILNS1_3genE0ELNS1_11target_archE4294967295ELNS1_3gpuE0ELNS1_3repE0EEENS1_52radix_sort_onesweep_histogram_config_static_selectorELNS0_4arch9wavefront6targetE1EEEvSG_.uses_vcc, 0
	.set _ZN7rocprim17ROCPRIM_400000_NS6detail17trampoline_kernelINS0_14default_configENS1_35radix_sort_onesweep_config_selectorIssEEZNS1_34radix_sort_onesweep_global_offsetsIS3_Lb0EN6thrust23THRUST_200600_302600_NS6detail15normal_iteratorINS8_10device_ptrIsEEEESD_jNS0_19identity_decomposerEEE10hipError_tT1_T2_PT3_SI_jT4_jjP12ihipStream_tbEUlT_E_NS1_11comp_targetILNS1_3genE0ELNS1_11target_archE4294967295ELNS1_3gpuE0ELNS1_3repE0EEENS1_52radix_sort_onesweep_histogram_config_static_selectorELNS0_4arch9wavefront6targetE1EEEvSG_.uses_flat_scratch, 0
	.set _ZN7rocprim17ROCPRIM_400000_NS6detail17trampoline_kernelINS0_14default_configENS1_35radix_sort_onesweep_config_selectorIssEEZNS1_34radix_sort_onesweep_global_offsetsIS3_Lb0EN6thrust23THRUST_200600_302600_NS6detail15normal_iteratorINS8_10device_ptrIsEEEESD_jNS0_19identity_decomposerEEE10hipError_tT1_T2_PT3_SI_jT4_jjP12ihipStream_tbEUlT_E_NS1_11comp_targetILNS1_3genE0ELNS1_11target_archE4294967295ELNS1_3gpuE0ELNS1_3repE0EEENS1_52radix_sort_onesweep_histogram_config_static_selectorELNS0_4arch9wavefront6targetE1EEEvSG_.has_dyn_sized_stack, 0
	.set _ZN7rocprim17ROCPRIM_400000_NS6detail17trampoline_kernelINS0_14default_configENS1_35radix_sort_onesweep_config_selectorIssEEZNS1_34radix_sort_onesweep_global_offsetsIS3_Lb0EN6thrust23THRUST_200600_302600_NS6detail15normal_iteratorINS8_10device_ptrIsEEEESD_jNS0_19identity_decomposerEEE10hipError_tT1_T2_PT3_SI_jT4_jjP12ihipStream_tbEUlT_E_NS1_11comp_targetILNS1_3genE0ELNS1_11target_archE4294967295ELNS1_3gpuE0ELNS1_3repE0EEENS1_52radix_sort_onesweep_histogram_config_static_selectorELNS0_4arch9wavefront6targetE1EEEvSG_.has_recursion, 0
	.set _ZN7rocprim17ROCPRIM_400000_NS6detail17trampoline_kernelINS0_14default_configENS1_35radix_sort_onesweep_config_selectorIssEEZNS1_34radix_sort_onesweep_global_offsetsIS3_Lb0EN6thrust23THRUST_200600_302600_NS6detail15normal_iteratorINS8_10device_ptrIsEEEESD_jNS0_19identity_decomposerEEE10hipError_tT1_T2_PT3_SI_jT4_jjP12ihipStream_tbEUlT_E_NS1_11comp_targetILNS1_3genE0ELNS1_11target_archE4294967295ELNS1_3gpuE0ELNS1_3repE0EEENS1_52radix_sort_onesweep_histogram_config_static_selectorELNS0_4arch9wavefront6targetE1EEEvSG_.has_indirect_call, 0
	.section	.AMDGPU.csdata,"",@progbits
; Kernel info:
; codeLenInByte = 0
; TotalNumSgprs: 6
; NumVgprs: 0
; NumAgprs: 0
; TotalNumVgprs: 0
; ScratchSize: 0
; MemoryBound: 0
; FloatMode: 240
; IeeeMode: 1
; LDSByteSize: 0 bytes/workgroup (compile time only)
; SGPRBlocks: 0
; VGPRBlocks: 0
; NumSGPRsForWavesPerEU: 6
; NumVGPRsForWavesPerEU: 1
; AccumOffset: 4
; Occupancy: 8
; WaveLimiterHint : 0
; COMPUTE_PGM_RSRC2:SCRATCH_EN: 0
; COMPUTE_PGM_RSRC2:USER_SGPR: 2
; COMPUTE_PGM_RSRC2:TRAP_HANDLER: 0
; COMPUTE_PGM_RSRC2:TGID_X_EN: 1
; COMPUTE_PGM_RSRC2:TGID_Y_EN: 0
; COMPUTE_PGM_RSRC2:TGID_Z_EN: 0
; COMPUTE_PGM_RSRC2:TIDIG_COMP_CNT: 0
; COMPUTE_PGM_RSRC3_GFX90A:ACCUM_OFFSET: 0
; COMPUTE_PGM_RSRC3_GFX90A:TG_SPLIT: 0
	.section	.text._ZN7rocprim17ROCPRIM_400000_NS6detail17trampoline_kernelINS0_14default_configENS1_35radix_sort_onesweep_config_selectorIssEEZNS1_34radix_sort_onesweep_global_offsetsIS3_Lb0EN6thrust23THRUST_200600_302600_NS6detail15normal_iteratorINS8_10device_ptrIsEEEESD_jNS0_19identity_decomposerEEE10hipError_tT1_T2_PT3_SI_jT4_jjP12ihipStream_tbEUlT_E_NS1_11comp_targetILNS1_3genE6ELNS1_11target_archE950ELNS1_3gpuE13ELNS1_3repE0EEENS1_52radix_sort_onesweep_histogram_config_static_selectorELNS0_4arch9wavefront6targetE1EEEvSG_,"axG",@progbits,_ZN7rocprim17ROCPRIM_400000_NS6detail17trampoline_kernelINS0_14default_configENS1_35radix_sort_onesweep_config_selectorIssEEZNS1_34radix_sort_onesweep_global_offsetsIS3_Lb0EN6thrust23THRUST_200600_302600_NS6detail15normal_iteratorINS8_10device_ptrIsEEEESD_jNS0_19identity_decomposerEEE10hipError_tT1_T2_PT3_SI_jT4_jjP12ihipStream_tbEUlT_E_NS1_11comp_targetILNS1_3genE6ELNS1_11target_archE950ELNS1_3gpuE13ELNS1_3repE0EEENS1_52radix_sort_onesweep_histogram_config_static_selectorELNS0_4arch9wavefront6targetE1EEEvSG_,comdat
	.protected	_ZN7rocprim17ROCPRIM_400000_NS6detail17trampoline_kernelINS0_14default_configENS1_35radix_sort_onesweep_config_selectorIssEEZNS1_34radix_sort_onesweep_global_offsetsIS3_Lb0EN6thrust23THRUST_200600_302600_NS6detail15normal_iteratorINS8_10device_ptrIsEEEESD_jNS0_19identity_decomposerEEE10hipError_tT1_T2_PT3_SI_jT4_jjP12ihipStream_tbEUlT_E_NS1_11comp_targetILNS1_3genE6ELNS1_11target_archE950ELNS1_3gpuE13ELNS1_3repE0EEENS1_52radix_sort_onesweep_histogram_config_static_selectorELNS0_4arch9wavefront6targetE1EEEvSG_ ; -- Begin function _ZN7rocprim17ROCPRIM_400000_NS6detail17trampoline_kernelINS0_14default_configENS1_35radix_sort_onesweep_config_selectorIssEEZNS1_34radix_sort_onesweep_global_offsetsIS3_Lb0EN6thrust23THRUST_200600_302600_NS6detail15normal_iteratorINS8_10device_ptrIsEEEESD_jNS0_19identity_decomposerEEE10hipError_tT1_T2_PT3_SI_jT4_jjP12ihipStream_tbEUlT_E_NS1_11comp_targetILNS1_3genE6ELNS1_11target_archE950ELNS1_3gpuE13ELNS1_3repE0EEENS1_52radix_sort_onesweep_histogram_config_static_selectorELNS0_4arch9wavefront6targetE1EEEvSG_
	.globl	_ZN7rocprim17ROCPRIM_400000_NS6detail17trampoline_kernelINS0_14default_configENS1_35radix_sort_onesweep_config_selectorIssEEZNS1_34radix_sort_onesweep_global_offsetsIS3_Lb0EN6thrust23THRUST_200600_302600_NS6detail15normal_iteratorINS8_10device_ptrIsEEEESD_jNS0_19identity_decomposerEEE10hipError_tT1_T2_PT3_SI_jT4_jjP12ihipStream_tbEUlT_E_NS1_11comp_targetILNS1_3genE6ELNS1_11target_archE950ELNS1_3gpuE13ELNS1_3repE0EEENS1_52radix_sort_onesweep_histogram_config_static_selectorELNS0_4arch9wavefront6targetE1EEEvSG_
	.p2align	8
	.type	_ZN7rocprim17ROCPRIM_400000_NS6detail17trampoline_kernelINS0_14default_configENS1_35radix_sort_onesweep_config_selectorIssEEZNS1_34radix_sort_onesweep_global_offsetsIS3_Lb0EN6thrust23THRUST_200600_302600_NS6detail15normal_iteratorINS8_10device_ptrIsEEEESD_jNS0_19identity_decomposerEEE10hipError_tT1_T2_PT3_SI_jT4_jjP12ihipStream_tbEUlT_E_NS1_11comp_targetILNS1_3genE6ELNS1_11target_archE950ELNS1_3gpuE13ELNS1_3repE0EEENS1_52radix_sort_onesweep_histogram_config_static_selectorELNS0_4arch9wavefront6targetE1EEEvSG_,@function
_ZN7rocprim17ROCPRIM_400000_NS6detail17trampoline_kernelINS0_14default_configENS1_35radix_sort_onesweep_config_selectorIssEEZNS1_34radix_sort_onesweep_global_offsetsIS3_Lb0EN6thrust23THRUST_200600_302600_NS6detail15normal_iteratorINS8_10device_ptrIsEEEESD_jNS0_19identity_decomposerEEE10hipError_tT1_T2_PT3_SI_jT4_jjP12ihipStream_tbEUlT_E_NS1_11comp_targetILNS1_3genE6ELNS1_11target_archE950ELNS1_3gpuE13ELNS1_3repE0EEENS1_52radix_sort_onesweep_histogram_config_static_selectorELNS0_4arch9wavefront6targetE1EEEvSG_: ; @_ZN7rocprim17ROCPRIM_400000_NS6detail17trampoline_kernelINS0_14default_configENS1_35radix_sort_onesweep_config_selectorIssEEZNS1_34radix_sort_onesweep_global_offsetsIS3_Lb0EN6thrust23THRUST_200600_302600_NS6detail15normal_iteratorINS8_10device_ptrIsEEEESD_jNS0_19identity_decomposerEEE10hipError_tT1_T2_PT3_SI_jT4_jjP12ihipStream_tbEUlT_E_NS1_11comp_targetILNS1_3genE6ELNS1_11target_archE950ELNS1_3gpuE13ELNS1_3repE0EEENS1_52radix_sort_onesweep_histogram_config_static_selectorELNS0_4arch9wavefront6targetE1EEEvSG_
; %bb.0:
	s_load_dword s11, s[0:1], 0x14
	s_load_dwordx4 s[4:7], s[0:1], 0x0
	s_load_dwordx2 s[8:9], s[0:1], 0x1c
	s_lshl_b32 s10, s2, 14
	s_waitcnt lgkmcnt(0)
	s_cmp_ge_u32 s2, s11
	s_mov_b64 s[2:3], -1
	s_cbranch_scc0 .LBB1616_462
; %bb.1:
	s_load_dword s2, s[0:1], 0x10
	s_lshl_b32 s3, s11, 14
	s_mov_b32 s11, 0
	s_lshl_b64 s[0:1], s[10:11], 1
	v_mov_b32_e32 v62, 0
	s_waitcnt lgkmcnt(0)
	s_sub_i32 s11, s2, s3
	s_add_u32 s0, s4, s0
	v_cmp_gt_u32_e32 vcc, s11, v0
	s_addc_u32 s1, s5, s1
	v_mov_b32_e32 v64, 0
	s_and_saveexec_b64 s[2:3], vcc
	s_cbranch_execz .LBB1616_3
; %bb.2:
	v_lshlrev_b32_e32 v1, 1, v0
	global_load_ushort v1, v1, s[0:1]
	s_waitcnt vmcnt(0)
	v_xor_b32_e32 v1, 0xffff8000, v1
	v_and_b32_e32 v64, 0xffff, v1
.LBB1616_3:
	s_or_b64 exec, exec, s[2:3]
	v_or_b32_e32 v65, 0x200, v0
	v_cmp_gt_u32_e32 vcc, s11, v65
	s_and_saveexec_b64 s[2:3], vcc
	s_cbranch_execz .LBB1616_5
; %bb.4:
	v_lshlrev_b32_e32 v1, 1, v0
	global_load_ushort v1, v1, s[0:1] offset:1024
	s_waitcnt vmcnt(0)
	v_xor_b32_e32 v1, 0xffff8000, v1
	v_and_b32_e32 v62, 0xffff, v1
.LBB1616_5:
	s_or_b64 exec, exec, s[2:3]
	v_or_b32_e32 v63, 0x400, v0
	v_cmp_gt_u32_e32 vcc, s11, v63
	v_mov_b32_e32 v58, 0
	v_mov_b32_e32 v61, 0
	s_and_saveexec_b64 s[2:3], vcc
	s_cbranch_execz .LBB1616_7
; %bb.6:
	v_lshlrev_b32_e32 v1, 1, v0
	global_load_ushort v1, v1, s[0:1] offset:2048
	s_waitcnt vmcnt(0)
	v_xor_b32_e32 v1, 0xffff8000, v1
	v_and_b32_e32 v61, 0xffff, v1
.LBB1616_7:
	s_or_b64 exec, exec, s[2:3]
	v_or_b32_e32 v60, 0x600, v0
	v_cmp_gt_u32_e32 vcc, s11, v60
	s_and_saveexec_b64 s[2:3], vcc
	s_cbranch_execz .LBB1616_9
; %bb.8:
	v_lshlrev_b32_e32 v1, 1, v0
	global_load_ushort v1, v1, s[0:1] offset:3072
	s_waitcnt vmcnt(0)
	v_xor_b32_e32 v1, 0xffff8000, v1
	v_and_b32_e32 v58, 0xffff, v1
.LBB1616_9:
	s_or_b64 exec, exec, s[2:3]
	v_or_b32_e32 v59, 0x800, v0
	v_cmp_gt_u32_e32 vcc, s11, v59
	v_mov_b32_e32 v54, 0
	v_mov_b32_e32 v57, 0
	s_and_saveexec_b64 s[2:3], vcc
	s_cbranch_execz .LBB1616_11
; %bb.10:
	v_lshlrev_b32_e32 v1, 1, v59
	global_load_ushort v1, v1, s[0:1]
	s_waitcnt vmcnt(0)
	v_xor_b32_e32 v1, 0xffff8000, v1
	v_and_b32_e32 v57, 0xffff, v1
.LBB1616_11:
	s_or_b64 exec, exec, s[2:3]
	v_or_b32_e32 v56, 0xa00, v0
	v_cmp_gt_u32_e32 vcc, s11, v56
	s_and_saveexec_b64 s[2:3], vcc
	s_cbranch_execz .LBB1616_13
; %bb.12:
	v_lshlrev_b32_e32 v1, 1, v56
	global_load_ushort v1, v1, s[0:1]
	s_waitcnt vmcnt(0)
	v_xor_b32_e32 v1, 0xffff8000, v1
	v_and_b32_e32 v54, 0xffff, v1
.LBB1616_13:
	s_or_b64 exec, exec, s[2:3]
	v_or_b32_e32 v55, 0xc00, v0
	v_cmp_gt_u32_e32 vcc, s11, v55
	v_mov_b32_e32 v50, 0
	v_mov_b32_e32 v53, 0
	s_and_saveexec_b64 s[2:3], vcc
	s_cbranch_execz .LBB1616_15
; %bb.14:
	v_lshlrev_b32_e32 v1, 1, v55
	global_load_ushort v1, v1, s[0:1]
	s_waitcnt vmcnt(0)
	v_xor_b32_e32 v1, 0xffff8000, v1
	v_and_b32_e32 v53, 0xffff, v1
.LBB1616_15:
	s_or_b64 exec, exec, s[2:3]
	v_or_b32_e32 v52, 0xe00, v0
	v_cmp_gt_u32_e32 vcc, s11, v52
	s_and_saveexec_b64 s[2:3], vcc
	s_cbranch_execz .LBB1616_17
; %bb.16:
	v_lshlrev_b32_e32 v1, 1, v52
	global_load_ushort v1, v1, s[0:1]
	s_waitcnt vmcnt(0)
	v_xor_b32_e32 v1, 0xffff8000, v1
	v_and_b32_e32 v50, 0xffff, v1
.LBB1616_17:
	;; [unrolled: 26-line block ×14, first 2 shown]
	s_or_b64 exec, exec, s[2:3]
	s_movk_i32 s0, 0x300
	v_cmp_gt_u32_e32 vcc, s0, v0
	s_and_saveexec_b64 s[2:3], vcc
	s_cbranch_execz .LBB1616_72
; %bb.66:
	s_movk_i32 s0, 0x100
	v_sub_u32_e64 v1, s0, v0 clamp
	v_add_u32_e32 v1, 0x1ff, v1
	v_lshrrev_b32_e32 v2, 9, v1
	s_mov_b32 s12, 0
	v_mov_b32_e32 v1, v2
	v_lshlrev_b32_e32 v66, 2, v0
	s_mov_b32 s13, 1
	s_mov_b64 s[14:15], 0
	v_mov_b32_e32 v67, 0
	s_mov_b32 s16, s12
	s_branch .LBB1616_68
.LBB1616_67:                            ;   in Loop: Header=BB1616_68 Depth=1
	s_or_b64 exec, exec, s[0:1]
	s_add_i32 s16, s16, 2
	v_cmp_eq_u32_e64 s[0:1], 2, s16
	s_or_b64 s[14:15], s[0:1], s[14:15]
	v_add_u32_e32 v66, 0x1000, v66
	s_andn2_b64 exec, exec, s[14:15]
	s_cbranch_execz .LBB1616_72
.LBB1616_68:                            ; =>This Inner Loop Header: Depth=1
	s_mov_b32 s17, s16
	s_or_b64 s[0:1], s[16:17], s[12:13]
	v_cmp_le_u32_e32 vcc, s1, v1
	v_cmp_le_u32_e64 s[0:1], s0, v2
	s_and_saveexec_b64 s[18:19], s[0:1]
; %bb.69:                               ;   in Loop: Header=BB1616_68 Depth=1
	ds_write_b32 v66, v67
; %bb.70:                               ;   in Loop: Header=BB1616_68 Depth=1
	s_or_b64 exec, exec, s[18:19]
	s_and_saveexec_b64 s[0:1], vcc
	s_cbranch_execz .LBB1616_67
; %bb.71:                               ;   in Loop: Header=BB1616_68 Depth=1
	ds_write_b32 v66, v67 offset:2048
	s_branch .LBB1616_67
.LBB1616_72:
	s_or_b64 exec, exec, s[2:3]
	s_cmp_ge_u32 s8, s9
	s_cselect_b64 s[2:3], -1, 0
	s_and_b64 s[0:1], s[2:3], exec
	v_cmp_le_u32_e32 vcc, s11, v0
	s_cselect_b32 s18, 8, 10
	v_and_b32_e32 v1, 3, v0
	s_nor_b64 s[12:13], s[2:3], vcc
	v_mov_b32_e32 v2, s18
	s_waitcnt lgkmcnt(0)
	s_barrier
	s_and_saveexec_b64 s[0:1], s[12:13]
	s_cbranch_execz .LBB1616_74
; %bb.73:
	s_sub_i32 s12, s9, s8
	s_min_u32 s12, s12, 6
	v_lshrrev_b32_e32 v2, s8, v64
	v_bfe_u32 v2, v2, 0, s12
	v_lshlrev_b32_e32 v66, 2, v1
	v_lshl_or_b32 v2, v2, 4, v66
	v_mov_b32_e32 v66, 1
	ds_add_u32 v2, v66
	v_mov_b32_e32 v2, 0
.LBB1616_74:
	s_or_b64 exec, exec, s[0:1]
	v_cmp_gt_i32_e64 s[0:1], 10, v2
	s_mov_b64 s[14:15], -1
	s_and_saveexec_b64 s[12:13], s[0:1]
; %bb.75:
	v_cmp_eq_u32_e64 s[0:1], 0, v2
	s_orn2_b64 s[14:15], s[0:1], exec
; %bb.76:
	s_or_b64 exec, exec, s[12:13]
	s_and_saveexec_b64 s[12:13], s[14:15]
	s_cbranch_execz .LBB1616_84
; %bb.77:
	s_add_i32 s14, s8, 6
	s_cmp_le_u32 s9, s14
	s_cselect_b64 s[0:1], -1, 0
	s_and_b64 s[16:17], s[0:1], exec
	s_cselect_b32 s15, 8, 10
	s_nor_b64 s[16:17], s[0:1], vcc
	v_mov_b32_e32 v2, s15
	s_and_saveexec_b64 s[0:1], s[16:17]
	s_cbranch_execz .LBB1616_79
; %bb.78:
	s_sub_i32 s15, s9, s14
	s_min_u32 s15, s15, 6
	v_lshrrev_b32_e32 v2, s14, v64
	v_bfe_u32 v2, v2, 0, s15
	v_lshlrev_b32_e32 v66, 2, v1
	v_lshl_or_b32 v2, v2, 4, v66
	v_mov_b32_e32 v66, 1
	ds_add_u32 v2, v66 offset:1024
	v_mov_b32_e32 v2, 0
.LBB1616_79:
	s_or_b64 exec, exec, s[0:1]
	v_cmp_gt_i32_e64 s[0:1], 10, v2
	s_mov_b64 s[14:15], -1
	s_and_saveexec_b64 s[16:17], s[0:1]
; %bb.80:
	v_cmp_eq_u32_e64 s[0:1], 0, v2
	s_orn2_b64 s[14:15], s[0:1], exec
; %bb.81:
	s_or_b64 exec, exec, s[16:17]
	s_and_b64 exec, exec, s[14:15]
	s_cbranch_execz .LBB1616_84
; %bb.82:
	s_add_i32 s0, s8, 12
	s_cmp_gt_u32 s9, s0
	s_cselect_b64 s[14:15], -1, 0
	s_xor_b64 s[16:17], vcc, -1
	s_and_b64 s[14:15], s[14:15], s[16:17]
	s_and_b64 exec, exec, s[14:15]
	s_cbranch_execz .LBB1616_84
; %bb.83:
	s_sub_i32 s1, s9, s0
	s_min_u32 s1, s1, 6
	v_lshrrev_b32_e32 v2, s0, v64
	v_bfe_u32 v2, v2, 0, s1
	v_lshlrev_b32_e32 v64, 2, v1
	v_lshl_or_b32 v2, v2, 4, v64
	v_mov_b32_e32 v64, 1
	ds_add_u32 v2, v64 offset:2048
.LBB1616_84:
	s_or_b64 exec, exec, s[12:13]
	v_cmp_le_u32_e32 vcc, s11, v65
	s_nor_b64 s[12:13], s[2:3], vcc
	v_mov_b32_e32 v2, s18
	s_and_saveexec_b64 s[0:1], s[12:13]
	s_cbranch_execz .LBB1616_86
; %bb.85:
	s_sub_i32 s12, s9, s8
	s_min_u32 s12, s12, 6
	v_lshrrev_b32_e32 v2, s8, v62
	v_bfe_u32 v2, v2, 0, s12
	v_lshlrev_b32_e32 v64, 2, v1
	v_lshl_or_b32 v2, v2, 4, v64
	v_mov_b32_e32 v64, 1
	ds_add_u32 v2, v64
	v_mov_b32_e32 v2, 0
.LBB1616_86:
	s_or_b64 exec, exec, s[0:1]
	v_cmp_gt_i32_e64 s[0:1], 10, v2
	s_mov_b64 s[14:15], -1
	s_and_saveexec_b64 s[12:13], s[0:1]
; %bb.87:
	v_cmp_eq_u32_e64 s[0:1], 0, v2
	s_orn2_b64 s[14:15], s[0:1], exec
; %bb.88:
	s_or_b64 exec, exec, s[12:13]
	s_and_saveexec_b64 s[12:13], s[14:15]
	s_cbranch_execz .LBB1616_96
; %bb.89:
	s_add_i32 s14, s8, 6
	s_cmp_le_u32 s9, s14
	s_cselect_b64 s[0:1], -1, 0
	s_and_b64 s[16:17], s[0:1], exec
	s_cselect_b32 s15, 8, 10
	s_nor_b64 s[16:17], s[0:1], vcc
	v_mov_b32_e32 v2, s15
	s_and_saveexec_b64 s[0:1], s[16:17]
	s_cbranch_execz .LBB1616_91
; %bb.90:
	s_sub_i32 s15, s9, s14
	s_min_u32 s15, s15, 6
	v_lshrrev_b32_e32 v2, s14, v62
	v_bfe_u32 v2, v2, 0, s15
	v_lshlrev_b32_e32 v64, 2, v1
	v_lshl_or_b32 v2, v2, 4, v64
	v_mov_b32_e32 v64, 1
	ds_add_u32 v2, v64 offset:1024
	v_mov_b32_e32 v2, 0
.LBB1616_91:
	s_or_b64 exec, exec, s[0:1]
	v_cmp_gt_i32_e64 s[0:1], 10, v2
	s_mov_b64 s[14:15], -1
	s_and_saveexec_b64 s[16:17], s[0:1]
; %bb.92:
	v_cmp_eq_u32_e64 s[0:1], 0, v2
	s_orn2_b64 s[14:15], s[0:1], exec
; %bb.93:
	s_or_b64 exec, exec, s[16:17]
	s_and_b64 exec, exec, s[14:15]
	s_cbranch_execz .LBB1616_96
; %bb.94:
	s_add_i32 s0, s8, 12
	s_cmp_gt_u32 s9, s0
	s_cselect_b64 s[14:15], -1, 0
	s_xor_b64 s[16:17], vcc, -1
	s_and_b64 s[14:15], s[14:15], s[16:17]
	s_and_b64 exec, exec, s[14:15]
	s_cbranch_execz .LBB1616_96
; %bb.95:
	s_sub_i32 s1, s9, s0
	s_min_u32 s1, s1, 6
	v_lshrrev_b32_e32 v2, s0, v62
	v_bfe_u32 v2, v2, 0, s1
	v_lshlrev_b32_e32 v62, 2, v1
	v_lshl_or_b32 v2, v2, 4, v62
	v_mov_b32_e32 v62, 1
	ds_add_u32 v2, v62 offset:2048
.LBB1616_96:
	s_or_b64 exec, exec, s[12:13]
	v_cmp_le_u32_e32 vcc, s11, v63
	s_nor_b64 s[12:13], s[2:3], vcc
	v_mov_b32_e32 v2, s18
	s_and_saveexec_b64 s[0:1], s[12:13]
	s_cbranch_execz .LBB1616_98
; %bb.97:
	s_sub_i32 s12, s9, s8
	s_min_u32 s12, s12, 6
	v_lshrrev_b32_e32 v2, s8, v61
	v_bfe_u32 v2, v2, 0, s12
	v_lshlrev_b32_e32 v62, 2, v1
	v_lshl_or_b32 v2, v2, 4, v62
	v_mov_b32_e32 v62, 1
	ds_add_u32 v2, v62
	v_mov_b32_e32 v2, 0
.LBB1616_98:
	s_or_b64 exec, exec, s[0:1]
	v_cmp_gt_i32_e64 s[0:1], 10, v2
	s_mov_b64 s[14:15], -1
	s_and_saveexec_b64 s[12:13], s[0:1]
; %bb.99:
	v_cmp_eq_u32_e64 s[0:1], 0, v2
	s_orn2_b64 s[14:15], s[0:1], exec
; %bb.100:
	s_or_b64 exec, exec, s[12:13]
	s_and_saveexec_b64 s[12:13], s[14:15]
	s_cbranch_execz .LBB1616_108
; %bb.101:
	s_add_i32 s14, s8, 6
	s_cmp_le_u32 s9, s14
	s_cselect_b64 s[0:1], -1, 0
	s_and_b64 s[16:17], s[0:1], exec
	s_cselect_b32 s15, 8, 10
	s_nor_b64 s[16:17], s[0:1], vcc
	v_mov_b32_e32 v2, s15
	s_and_saveexec_b64 s[0:1], s[16:17]
	s_cbranch_execz .LBB1616_103
; %bb.102:
	s_sub_i32 s15, s9, s14
	s_min_u32 s15, s15, 6
	v_lshrrev_b32_e32 v2, s14, v61
	v_bfe_u32 v2, v2, 0, s15
	v_lshlrev_b32_e32 v62, 2, v1
	v_lshl_or_b32 v2, v2, 4, v62
	v_mov_b32_e32 v62, 1
	ds_add_u32 v2, v62 offset:1024
	v_mov_b32_e32 v2, 0
.LBB1616_103:
	s_or_b64 exec, exec, s[0:1]
	v_cmp_gt_i32_e64 s[0:1], 10, v2
	s_mov_b64 s[14:15], -1
	s_and_saveexec_b64 s[16:17], s[0:1]
; %bb.104:
	v_cmp_eq_u32_e64 s[0:1], 0, v2
	s_orn2_b64 s[14:15], s[0:1], exec
; %bb.105:
	s_or_b64 exec, exec, s[16:17]
	s_and_b64 exec, exec, s[14:15]
	s_cbranch_execz .LBB1616_108
; %bb.106:
	s_add_i32 s0, s8, 12
	s_cmp_gt_u32 s9, s0
	s_cselect_b64 s[14:15], -1, 0
	s_xor_b64 s[16:17], vcc, -1
	s_and_b64 s[14:15], s[14:15], s[16:17]
	s_and_b64 exec, exec, s[14:15]
	s_cbranch_execz .LBB1616_108
; %bb.107:
	s_sub_i32 s1, s9, s0
	s_min_u32 s1, s1, 6
	v_lshrrev_b32_e32 v2, s0, v61
	v_bfe_u32 v2, v2, 0, s1
	v_lshlrev_b32_e32 v61, 2, v1
	v_lshl_or_b32 v2, v2, 4, v61
	v_mov_b32_e32 v61, 1
	ds_add_u32 v2, v61 offset:2048
.LBB1616_108:
	s_or_b64 exec, exec, s[12:13]
	v_cmp_le_u32_e32 vcc, s11, v60
	s_nor_b64 s[12:13], s[2:3], vcc
	v_mov_b32_e32 v2, s18
	s_and_saveexec_b64 s[0:1], s[12:13]
	s_cbranch_execz .LBB1616_110
; %bb.109:
	s_sub_i32 s12, s9, s8
	s_min_u32 s12, s12, 6
	v_lshrrev_b32_e32 v2, s8, v58
	v_bfe_u32 v2, v2, 0, s12
	v_lshlrev_b32_e32 v60, 2, v1
	v_lshl_or_b32 v2, v2, 4, v60
	v_mov_b32_e32 v60, 1
	ds_add_u32 v2, v60
	v_mov_b32_e32 v2, 0
.LBB1616_110:
	s_or_b64 exec, exec, s[0:1]
	v_cmp_gt_i32_e64 s[0:1], 10, v2
	s_mov_b64 s[14:15], -1
	s_and_saveexec_b64 s[12:13], s[0:1]
; %bb.111:
	v_cmp_eq_u32_e64 s[0:1], 0, v2
	s_orn2_b64 s[14:15], s[0:1], exec
; %bb.112:
	s_or_b64 exec, exec, s[12:13]
	s_and_saveexec_b64 s[12:13], s[14:15]
	s_cbranch_execz .LBB1616_120
; %bb.113:
	s_add_i32 s14, s8, 6
	s_cmp_le_u32 s9, s14
	s_cselect_b64 s[0:1], -1, 0
	s_and_b64 s[16:17], s[0:1], exec
	s_cselect_b32 s15, 8, 10
	s_nor_b64 s[16:17], s[0:1], vcc
	v_mov_b32_e32 v2, s15
	s_and_saveexec_b64 s[0:1], s[16:17]
	s_cbranch_execz .LBB1616_115
; %bb.114:
	s_sub_i32 s15, s9, s14
	s_min_u32 s15, s15, 6
	v_lshrrev_b32_e32 v2, s14, v58
	v_bfe_u32 v2, v2, 0, s15
	v_lshlrev_b32_e32 v60, 2, v1
	v_lshl_or_b32 v2, v2, 4, v60
	v_mov_b32_e32 v60, 1
	ds_add_u32 v2, v60 offset:1024
	v_mov_b32_e32 v2, 0
.LBB1616_115:
	s_or_b64 exec, exec, s[0:1]
	v_cmp_gt_i32_e64 s[0:1], 10, v2
	s_mov_b64 s[14:15], -1
	s_and_saveexec_b64 s[16:17], s[0:1]
; %bb.116:
	v_cmp_eq_u32_e64 s[0:1], 0, v2
	s_orn2_b64 s[14:15], s[0:1], exec
; %bb.117:
	s_or_b64 exec, exec, s[16:17]
	s_and_b64 exec, exec, s[14:15]
	s_cbranch_execz .LBB1616_120
; %bb.118:
	s_add_i32 s0, s8, 12
	s_cmp_gt_u32 s9, s0
	s_cselect_b64 s[14:15], -1, 0
	s_xor_b64 s[16:17], vcc, -1
	s_and_b64 s[14:15], s[14:15], s[16:17]
	s_and_b64 exec, exec, s[14:15]
	s_cbranch_execz .LBB1616_120
; %bb.119:
	s_sub_i32 s1, s9, s0
	s_min_u32 s1, s1, 6
	v_lshrrev_b32_e32 v2, s0, v58
	v_bfe_u32 v2, v2, 0, s1
	v_lshlrev_b32_e32 v58, 2, v1
	v_lshl_or_b32 v2, v2, 4, v58
	v_mov_b32_e32 v58, 1
	ds_add_u32 v2, v58 offset:2048
.LBB1616_120:
	s_or_b64 exec, exec, s[12:13]
	v_cmp_le_u32_e32 vcc, s11, v59
	s_nor_b64 s[12:13], s[2:3], vcc
	v_mov_b32_e32 v2, s18
	s_and_saveexec_b64 s[0:1], s[12:13]
	s_cbranch_execz .LBB1616_122
; %bb.121:
	s_sub_i32 s12, s9, s8
	s_min_u32 s12, s12, 6
	v_lshrrev_b32_e32 v2, s8, v57
	v_bfe_u32 v2, v2, 0, s12
	v_lshlrev_b32_e32 v58, 2, v1
	v_lshl_or_b32 v2, v2, 4, v58
	v_mov_b32_e32 v58, 1
	ds_add_u32 v2, v58
	v_mov_b32_e32 v2, 0
.LBB1616_122:
	s_or_b64 exec, exec, s[0:1]
	v_cmp_gt_i32_e64 s[0:1], 10, v2
	s_mov_b64 s[14:15], -1
	s_and_saveexec_b64 s[12:13], s[0:1]
; %bb.123:
	v_cmp_eq_u32_e64 s[0:1], 0, v2
	s_orn2_b64 s[14:15], s[0:1], exec
; %bb.124:
	s_or_b64 exec, exec, s[12:13]
	s_and_saveexec_b64 s[12:13], s[14:15]
	s_cbranch_execz .LBB1616_132
; %bb.125:
	s_add_i32 s14, s8, 6
	s_cmp_le_u32 s9, s14
	s_cselect_b64 s[0:1], -1, 0
	s_and_b64 s[16:17], s[0:1], exec
	s_cselect_b32 s15, 8, 10
	s_nor_b64 s[16:17], s[0:1], vcc
	v_mov_b32_e32 v2, s15
	s_and_saveexec_b64 s[0:1], s[16:17]
	s_cbranch_execz .LBB1616_127
; %bb.126:
	s_sub_i32 s15, s9, s14
	s_min_u32 s15, s15, 6
	v_lshrrev_b32_e32 v2, s14, v57
	v_bfe_u32 v2, v2, 0, s15
	v_lshlrev_b32_e32 v58, 2, v1
	v_lshl_or_b32 v2, v2, 4, v58
	v_mov_b32_e32 v58, 1
	ds_add_u32 v2, v58 offset:1024
	v_mov_b32_e32 v2, 0
.LBB1616_127:
	s_or_b64 exec, exec, s[0:1]
	v_cmp_gt_i32_e64 s[0:1], 10, v2
	s_mov_b64 s[14:15], -1
	s_and_saveexec_b64 s[16:17], s[0:1]
; %bb.128:
	v_cmp_eq_u32_e64 s[0:1], 0, v2
	s_orn2_b64 s[14:15], s[0:1], exec
; %bb.129:
	s_or_b64 exec, exec, s[16:17]
	s_and_b64 exec, exec, s[14:15]
	s_cbranch_execz .LBB1616_132
; %bb.130:
	s_add_i32 s0, s8, 12
	s_cmp_gt_u32 s9, s0
	s_cselect_b64 s[14:15], -1, 0
	s_xor_b64 s[16:17], vcc, -1
	s_and_b64 s[14:15], s[14:15], s[16:17]
	s_and_b64 exec, exec, s[14:15]
	s_cbranch_execz .LBB1616_132
; %bb.131:
	s_sub_i32 s1, s9, s0
	s_min_u32 s1, s1, 6
	v_lshrrev_b32_e32 v2, s0, v57
	v_bfe_u32 v2, v2, 0, s1
	v_lshlrev_b32_e32 v57, 2, v1
	v_lshl_or_b32 v2, v2, 4, v57
	v_mov_b32_e32 v57, 1
	ds_add_u32 v2, v57 offset:2048
.LBB1616_132:
	s_or_b64 exec, exec, s[12:13]
	v_cmp_le_u32_e32 vcc, s11, v56
	s_nor_b64 s[12:13], s[2:3], vcc
	v_mov_b32_e32 v2, s18
	s_and_saveexec_b64 s[0:1], s[12:13]
	s_cbranch_execz .LBB1616_134
; %bb.133:
	s_sub_i32 s12, s9, s8
	s_min_u32 s12, s12, 6
	v_lshrrev_b32_e32 v2, s8, v54
	v_bfe_u32 v2, v2, 0, s12
	v_lshlrev_b32_e32 v56, 2, v1
	v_lshl_or_b32 v2, v2, 4, v56
	v_mov_b32_e32 v56, 1
	ds_add_u32 v2, v56
	v_mov_b32_e32 v2, 0
.LBB1616_134:
	s_or_b64 exec, exec, s[0:1]
	v_cmp_gt_i32_e64 s[0:1], 10, v2
	s_mov_b64 s[14:15], -1
	s_and_saveexec_b64 s[12:13], s[0:1]
; %bb.135:
	v_cmp_eq_u32_e64 s[0:1], 0, v2
	s_orn2_b64 s[14:15], s[0:1], exec
; %bb.136:
	s_or_b64 exec, exec, s[12:13]
	s_and_saveexec_b64 s[12:13], s[14:15]
	s_cbranch_execz .LBB1616_144
; %bb.137:
	s_add_i32 s14, s8, 6
	s_cmp_le_u32 s9, s14
	s_cselect_b64 s[0:1], -1, 0
	s_and_b64 s[16:17], s[0:1], exec
	s_cselect_b32 s15, 8, 10
	s_nor_b64 s[16:17], s[0:1], vcc
	v_mov_b32_e32 v2, s15
	s_and_saveexec_b64 s[0:1], s[16:17]
	s_cbranch_execz .LBB1616_139
; %bb.138:
	s_sub_i32 s15, s9, s14
	s_min_u32 s15, s15, 6
	v_lshrrev_b32_e32 v2, s14, v54
	v_bfe_u32 v2, v2, 0, s15
	v_lshlrev_b32_e32 v56, 2, v1
	v_lshl_or_b32 v2, v2, 4, v56
	v_mov_b32_e32 v56, 1
	ds_add_u32 v2, v56 offset:1024
	v_mov_b32_e32 v2, 0
.LBB1616_139:
	s_or_b64 exec, exec, s[0:1]
	v_cmp_gt_i32_e64 s[0:1], 10, v2
	s_mov_b64 s[14:15], -1
	s_and_saveexec_b64 s[16:17], s[0:1]
; %bb.140:
	v_cmp_eq_u32_e64 s[0:1], 0, v2
	s_orn2_b64 s[14:15], s[0:1], exec
; %bb.141:
	s_or_b64 exec, exec, s[16:17]
	s_and_b64 exec, exec, s[14:15]
	s_cbranch_execz .LBB1616_144
; %bb.142:
	s_add_i32 s0, s8, 12
	s_cmp_gt_u32 s9, s0
	s_cselect_b64 s[14:15], -1, 0
	s_xor_b64 s[16:17], vcc, -1
	s_and_b64 s[14:15], s[14:15], s[16:17]
	s_and_b64 exec, exec, s[14:15]
	s_cbranch_execz .LBB1616_144
; %bb.143:
	s_sub_i32 s1, s9, s0
	s_min_u32 s1, s1, 6
	v_lshrrev_b32_e32 v2, s0, v54
	v_bfe_u32 v2, v2, 0, s1
	v_lshlrev_b32_e32 v54, 2, v1
	v_lshl_or_b32 v2, v2, 4, v54
	v_mov_b32_e32 v54, 1
	ds_add_u32 v2, v54 offset:2048
.LBB1616_144:
	s_or_b64 exec, exec, s[12:13]
	v_cmp_le_u32_e32 vcc, s11, v55
	s_nor_b64 s[12:13], s[2:3], vcc
	v_mov_b32_e32 v2, s18
	s_and_saveexec_b64 s[0:1], s[12:13]
	s_cbranch_execz .LBB1616_146
; %bb.145:
	s_sub_i32 s12, s9, s8
	s_min_u32 s12, s12, 6
	v_lshrrev_b32_e32 v2, s8, v53
	v_bfe_u32 v2, v2, 0, s12
	v_lshlrev_b32_e32 v54, 2, v1
	v_lshl_or_b32 v2, v2, 4, v54
	v_mov_b32_e32 v54, 1
	ds_add_u32 v2, v54
	v_mov_b32_e32 v2, 0
.LBB1616_146:
	s_or_b64 exec, exec, s[0:1]
	v_cmp_gt_i32_e64 s[0:1], 10, v2
	s_mov_b64 s[14:15], -1
	s_and_saveexec_b64 s[12:13], s[0:1]
; %bb.147:
	v_cmp_eq_u32_e64 s[0:1], 0, v2
	s_orn2_b64 s[14:15], s[0:1], exec
; %bb.148:
	s_or_b64 exec, exec, s[12:13]
	s_and_saveexec_b64 s[12:13], s[14:15]
	s_cbranch_execz .LBB1616_156
; %bb.149:
	s_add_i32 s14, s8, 6
	s_cmp_le_u32 s9, s14
	s_cselect_b64 s[0:1], -1, 0
	s_and_b64 s[16:17], s[0:1], exec
	s_cselect_b32 s15, 8, 10
	s_nor_b64 s[16:17], s[0:1], vcc
	v_mov_b32_e32 v2, s15
	s_and_saveexec_b64 s[0:1], s[16:17]
	s_cbranch_execz .LBB1616_151
; %bb.150:
	s_sub_i32 s15, s9, s14
	s_min_u32 s15, s15, 6
	v_lshrrev_b32_e32 v2, s14, v53
	v_bfe_u32 v2, v2, 0, s15
	v_lshlrev_b32_e32 v54, 2, v1
	v_lshl_or_b32 v2, v2, 4, v54
	v_mov_b32_e32 v54, 1
	ds_add_u32 v2, v54 offset:1024
	v_mov_b32_e32 v2, 0
.LBB1616_151:
	s_or_b64 exec, exec, s[0:1]
	v_cmp_gt_i32_e64 s[0:1], 10, v2
	s_mov_b64 s[14:15], -1
	s_and_saveexec_b64 s[16:17], s[0:1]
; %bb.152:
	v_cmp_eq_u32_e64 s[0:1], 0, v2
	s_orn2_b64 s[14:15], s[0:1], exec
; %bb.153:
	s_or_b64 exec, exec, s[16:17]
	s_and_b64 exec, exec, s[14:15]
	s_cbranch_execz .LBB1616_156
; %bb.154:
	s_add_i32 s0, s8, 12
	s_cmp_gt_u32 s9, s0
	s_cselect_b64 s[14:15], -1, 0
	s_xor_b64 s[16:17], vcc, -1
	s_and_b64 s[14:15], s[14:15], s[16:17]
	s_and_b64 exec, exec, s[14:15]
	s_cbranch_execz .LBB1616_156
; %bb.155:
	s_sub_i32 s1, s9, s0
	s_min_u32 s1, s1, 6
	v_lshrrev_b32_e32 v2, s0, v53
	v_bfe_u32 v2, v2, 0, s1
	v_lshlrev_b32_e32 v53, 2, v1
	v_lshl_or_b32 v2, v2, 4, v53
	v_mov_b32_e32 v53, 1
	ds_add_u32 v2, v53 offset:2048
.LBB1616_156:
	s_or_b64 exec, exec, s[12:13]
	v_cmp_le_u32_e32 vcc, s11, v52
	s_nor_b64 s[12:13], s[2:3], vcc
	v_mov_b32_e32 v2, s18
	s_and_saveexec_b64 s[0:1], s[12:13]
	s_cbranch_execz .LBB1616_158
; %bb.157:
	s_sub_i32 s12, s9, s8
	s_min_u32 s12, s12, 6
	v_lshrrev_b32_e32 v2, s8, v50
	v_bfe_u32 v2, v2, 0, s12
	v_lshlrev_b32_e32 v52, 2, v1
	v_lshl_or_b32 v2, v2, 4, v52
	v_mov_b32_e32 v52, 1
	ds_add_u32 v2, v52
	v_mov_b32_e32 v2, 0
.LBB1616_158:
	s_or_b64 exec, exec, s[0:1]
	v_cmp_gt_i32_e64 s[0:1], 10, v2
	s_mov_b64 s[14:15], -1
	s_and_saveexec_b64 s[12:13], s[0:1]
; %bb.159:
	v_cmp_eq_u32_e64 s[0:1], 0, v2
	s_orn2_b64 s[14:15], s[0:1], exec
; %bb.160:
	s_or_b64 exec, exec, s[12:13]
	s_and_saveexec_b64 s[12:13], s[14:15]
	s_cbranch_execz .LBB1616_168
; %bb.161:
	s_add_i32 s14, s8, 6
	s_cmp_le_u32 s9, s14
	s_cselect_b64 s[0:1], -1, 0
	s_and_b64 s[16:17], s[0:1], exec
	s_cselect_b32 s15, 8, 10
	s_nor_b64 s[16:17], s[0:1], vcc
	v_mov_b32_e32 v2, s15
	s_and_saveexec_b64 s[0:1], s[16:17]
	s_cbranch_execz .LBB1616_163
; %bb.162:
	s_sub_i32 s15, s9, s14
	s_min_u32 s15, s15, 6
	v_lshrrev_b32_e32 v2, s14, v50
	v_bfe_u32 v2, v2, 0, s15
	v_lshlrev_b32_e32 v52, 2, v1
	v_lshl_or_b32 v2, v2, 4, v52
	v_mov_b32_e32 v52, 1
	ds_add_u32 v2, v52 offset:1024
	v_mov_b32_e32 v2, 0
.LBB1616_163:
	s_or_b64 exec, exec, s[0:1]
	v_cmp_gt_i32_e64 s[0:1], 10, v2
	s_mov_b64 s[14:15], -1
	s_and_saveexec_b64 s[16:17], s[0:1]
; %bb.164:
	v_cmp_eq_u32_e64 s[0:1], 0, v2
	s_orn2_b64 s[14:15], s[0:1], exec
; %bb.165:
	s_or_b64 exec, exec, s[16:17]
	s_and_b64 exec, exec, s[14:15]
	s_cbranch_execz .LBB1616_168
; %bb.166:
	s_add_i32 s0, s8, 12
	s_cmp_gt_u32 s9, s0
	s_cselect_b64 s[14:15], -1, 0
	s_xor_b64 s[16:17], vcc, -1
	s_and_b64 s[14:15], s[14:15], s[16:17]
	s_and_b64 exec, exec, s[14:15]
	s_cbranch_execz .LBB1616_168
; %bb.167:
	s_sub_i32 s1, s9, s0
	s_min_u32 s1, s1, 6
	v_lshrrev_b32_e32 v2, s0, v50
	v_bfe_u32 v2, v2, 0, s1
	v_lshlrev_b32_e32 v50, 2, v1
	v_lshl_or_b32 v2, v2, 4, v50
	v_mov_b32_e32 v50, 1
	ds_add_u32 v2, v50 offset:2048
.LBB1616_168:
	s_or_b64 exec, exec, s[12:13]
	v_cmp_le_u32_e32 vcc, s11, v51
	s_nor_b64 s[12:13], s[2:3], vcc
	v_mov_b32_e32 v2, s18
	s_and_saveexec_b64 s[0:1], s[12:13]
	s_cbranch_execz .LBB1616_170
; %bb.169:
	s_sub_i32 s12, s9, s8
	s_min_u32 s12, s12, 6
	v_lshrrev_b32_e32 v2, s8, v49
	v_bfe_u32 v2, v2, 0, s12
	v_lshlrev_b32_e32 v50, 2, v1
	v_lshl_or_b32 v2, v2, 4, v50
	v_mov_b32_e32 v50, 1
	ds_add_u32 v2, v50
	v_mov_b32_e32 v2, 0
.LBB1616_170:
	s_or_b64 exec, exec, s[0:1]
	v_cmp_gt_i32_e64 s[0:1], 10, v2
	s_mov_b64 s[14:15], -1
	s_and_saveexec_b64 s[12:13], s[0:1]
; %bb.171:
	v_cmp_eq_u32_e64 s[0:1], 0, v2
	s_orn2_b64 s[14:15], s[0:1], exec
; %bb.172:
	s_or_b64 exec, exec, s[12:13]
	s_and_saveexec_b64 s[12:13], s[14:15]
	s_cbranch_execz .LBB1616_180
; %bb.173:
	s_add_i32 s14, s8, 6
	s_cmp_le_u32 s9, s14
	s_cselect_b64 s[0:1], -1, 0
	s_and_b64 s[16:17], s[0:1], exec
	s_cselect_b32 s15, 8, 10
	s_nor_b64 s[16:17], s[0:1], vcc
	v_mov_b32_e32 v2, s15
	s_and_saveexec_b64 s[0:1], s[16:17]
	s_cbranch_execz .LBB1616_175
; %bb.174:
	s_sub_i32 s15, s9, s14
	s_min_u32 s15, s15, 6
	v_lshrrev_b32_e32 v2, s14, v49
	v_bfe_u32 v2, v2, 0, s15
	v_lshlrev_b32_e32 v50, 2, v1
	v_lshl_or_b32 v2, v2, 4, v50
	v_mov_b32_e32 v50, 1
	ds_add_u32 v2, v50 offset:1024
	v_mov_b32_e32 v2, 0
.LBB1616_175:
	s_or_b64 exec, exec, s[0:1]
	v_cmp_gt_i32_e64 s[0:1], 10, v2
	s_mov_b64 s[14:15], -1
	s_and_saveexec_b64 s[16:17], s[0:1]
; %bb.176:
	v_cmp_eq_u32_e64 s[0:1], 0, v2
	s_orn2_b64 s[14:15], s[0:1], exec
; %bb.177:
	s_or_b64 exec, exec, s[16:17]
	s_and_b64 exec, exec, s[14:15]
	s_cbranch_execz .LBB1616_180
; %bb.178:
	s_add_i32 s0, s8, 12
	s_cmp_gt_u32 s9, s0
	s_cselect_b64 s[14:15], -1, 0
	s_xor_b64 s[16:17], vcc, -1
	s_and_b64 s[14:15], s[14:15], s[16:17]
	s_and_b64 exec, exec, s[14:15]
	s_cbranch_execz .LBB1616_180
; %bb.179:
	s_sub_i32 s1, s9, s0
	s_min_u32 s1, s1, 6
	v_lshrrev_b32_e32 v2, s0, v49
	v_bfe_u32 v2, v2, 0, s1
	v_lshlrev_b32_e32 v49, 2, v1
	v_lshl_or_b32 v2, v2, 4, v49
	v_mov_b32_e32 v49, 1
	ds_add_u32 v2, v49 offset:2048
.LBB1616_180:
	s_or_b64 exec, exec, s[12:13]
	v_cmp_le_u32_e32 vcc, s11, v48
	s_nor_b64 s[12:13], s[2:3], vcc
	v_mov_b32_e32 v2, s18
	s_and_saveexec_b64 s[0:1], s[12:13]
	s_cbranch_execz .LBB1616_182
; %bb.181:
	s_sub_i32 s12, s9, s8
	s_min_u32 s12, s12, 6
	v_lshrrev_b32_e32 v2, s8, v46
	v_bfe_u32 v2, v2, 0, s12
	v_lshlrev_b32_e32 v48, 2, v1
	v_lshl_or_b32 v2, v2, 4, v48
	v_mov_b32_e32 v48, 1
	ds_add_u32 v2, v48
	v_mov_b32_e32 v2, 0
.LBB1616_182:
	s_or_b64 exec, exec, s[0:1]
	v_cmp_gt_i32_e64 s[0:1], 10, v2
	s_mov_b64 s[14:15], -1
	s_and_saveexec_b64 s[12:13], s[0:1]
; %bb.183:
	v_cmp_eq_u32_e64 s[0:1], 0, v2
	s_orn2_b64 s[14:15], s[0:1], exec
; %bb.184:
	s_or_b64 exec, exec, s[12:13]
	s_and_saveexec_b64 s[12:13], s[14:15]
	s_cbranch_execz .LBB1616_192
; %bb.185:
	s_add_i32 s14, s8, 6
	s_cmp_le_u32 s9, s14
	s_cselect_b64 s[0:1], -1, 0
	s_and_b64 s[16:17], s[0:1], exec
	s_cselect_b32 s15, 8, 10
	s_nor_b64 s[16:17], s[0:1], vcc
	v_mov_b32_e32 v2, s15
	s_and_saveexec_b64 s[0:1], s[16:17]
	s_cbranch_execz .LBB1616_187
; %bb.186:
	s_sub_i32 s15, s9, s14
	s_min_u32 s15, s15, 6
	v_lshrrev_b32_e32 v2, s14, v46
	v_bfe_u32 v2, v2, 0, s15
	v_lshlrev_b32_e32 v48, 2, v1
	v_lshl_or_b32 v2, v2, 4, v48
	v_mov_b32_e32 v48, 1
	ds_add_u32 v2, v48 offset:1024
	v_mov_b32_e32 v2, 0
.LBB1616_187:
	s_or_b64 exec, exec, s[0:1]
	v_cmp_gt_i32_e64 s[0:1], 10, v2
	s_mov_b64 s[14:15], -1
	s_and_saveexec_b64 s[16:17], s[0:1]
; %bb.188:
	v_cmp_eq_u32_e64 s[0:1], 0, v2
	s_orn2_b64 s[14:15], s[0:1], exec
; %bb.189:
	s_or_b64 exec, exec, s[16:17]
	s_and_b64 exec, exec, s[14:15]
	s_cbranch_execz .LBB1616_192
; %bb.190:
	s_add_i32 s0, s8, 12
	s_cmp_gt_u32 s9, s0
	s_cselect_b64 s[14:15], -1, 0
	s_xor_b64 s[16:17], vcc, -1
	s_and_b64 s[14:15], s[14:15], s[16:17]
	s_and_b64 exec, exec, s[14:15]
	s_cbranch_execz .LBB1616_192
; %bb.191:
	s_sub_i32 s1, s9, s0
	s_min_u32 s1, s1, 6
	v_lshrrev_b32_e32 v2, s0, v46
	v_bfe_u32 v2, v2, 0, s1
	v_lshlrev_b32_e32 v46, 2, v1
	v_lshl_or_b32 v2, v2, 4, v46
	v_mov_b32_e32 v46, 1
	ds_add_u32 v2, v46 offset:2048
.LBB1616_192:
	s_or_b64 exec, exec, s[12:13]
	v_cmp_le_u32_e32 vcc, s11, v47
	s_nor_b64 s[12:13], s[2:3], vcc
	v_mov_b32_e32 v2, s18
	s_and_saveexec_b64 s[0:1], s[12:13]
	s_cbranch_execz .LBB1616_194
; %bb.193:
	s_sub_i32 s12, s9, s8
	s_min_u32 s12, s12, 6
	v_lshrrev_b32_e32 v2, s8, v45
	v_bfe_u32 v2, v2, 0, s12
	v_lshlrev_b32_e32 v46, 2, v1
	v_lshl_or_b32 v2, v2, 4, v46
	v_mov_b32_e32 v46, 1
	ds_add_u32 v2, v46
	v_mov_b32_e32 v2, 0
.LBB1616_194:
	s_or_b64 exec, exec, s[0:1]
	v_cmp_gt_i32_e64 s[0:1], 10, v2
	s_mov_b64 s[14:15], -1
	s_and_saveexec_b64 s[12:13], s[0:1]
; %bb.195:
	v_cmp_eq_u32_e64 s[0:1], 0, v2
	s_orn2_b64 s[14:15], s[0:1], exec
; %bb.196:
	s_or_b64 exec, exec, s[12:13]
	s_and_saveexec_b64 s[12:13], s[14:15]
	s_cbranch_execz .LBB1616_204
; %bb.197:
	s_add_i32 s14, s8, 6
	s_cmp_le_u32 s9, s14
	s_cselect_b64 s[0:1], -1, 0
	s_and_b64 s[16:17], s[0:1], exec
	s_cselect_b32 s15, 8, 10
	s_nor_b64 s[16:17], s[0:1], vcc
	v_mov_b32_e32 v2, s15
	s_and_saveexec_b64 s[0:1], s[16:17]
	s_cbranch_execz .LBB1616_199
; %bb.198:
	s_sub_i32 s15, s9, s14
	s_min_u32 s15, s15, 6
	v_lshrrev_b32_e32 v2, s14, v45
	v_bfe_u32 v2, v2, 0, s15
	v_lshlrev_b32_e32 v46, 2, v1
	v_lshl_or_b32 v2, v2, 4, v46
	v_mov_b32_e32 v46, 1
	ds_add_u32 v2, v46 offset:1024
	v_mov_b32_e32 v2, 0
.LBB1616_199:
	s_or_b64 exec, exec, s[0:1]
	v_cmp_gt_i32_e64 s[0:1], 10, v2
	s_mov_b64 s[14:15], -1
	s_and_saveexec_b64 s[16:17], s[0:1]
; %bb.200:
	v_cmp_eq_u32_e64 s[0:1], 0, v2
	s_orn2_b64 s[14:15], s[0:1], exec
; %bb.201:
	s_or_b64 exec, exec, s[16:17]
	s_and_b64 exec, exec, s[14:15]
	s_cbranch_execz .LBB1616_204
; %bb.202:
	s_add_i32 s0, s8, 12
	s_cmp_gt_u32 s9, s0
	s_cselect_b64 s[14:15], -1, 0
	s_xor_b64 s[16:17], vcc, -1
	s_and_b64 s[14:15], s[14:15], s[16:17]
	s_and_b64 exec, exec, s[14:15]
	s_cbranch_execz .LBB1616_204
; %bb.203:
	s_sub_i32 s1, s9, s0
	s_min_u32 s1, s1, 6
	v_lshrrev_b32_e32 v2, s0, v45
	v_bfe_u32 v2, v2, 0, s1
	v_lshlrev_b32_e32 v45, 2, v1
	v_lshl_or_b32 v2, v2, 4, v45
	v_mov_b32_e32 v45, 1
	ds_add_u32 v2, v45 offset:2048
.LBB1616_204:
	s_or_b64 exec, exec, s[12:13]
	v_cmp_le_u32_e32 vcc, s11, v44
	s_nor_b64 s[12:13], s[2:3], vcc
	v_mov_b32_e32 v2, s18
	s_and_saveexec_b64 s[0:1], s[12:13]
	s_cbranch_execz .LBB1616_206
; %bb.205:
	s_sub_i32 s12, s9, s8
	s_min_u32 s12, s12, 6
	v_lshrrev_b32_e32 v2, s8, v42
	v_bfe_u32 v2, v2, 0, s12
	v_lshlrev_b32_e32 v44, 2, v1
	v_lshl_or_b32 v2, v2, 4, v44
	v_mov_b32_e32 v44, 1
	ds_add_u32 v2, v44
	v_mov_b32_e32 v2, 0
.LBB1616_206:
	s_or_b64 exec, exec, s[0:1]
	v_cmp_gt_i32_e64 s[0:1], 10, v2
	s_mov_b64 s[14:15], -1
	s_and_saveexec_b64 s[12:13], s[0:1]
; %bb.207:
	v_cmp_eq_u32_e64 s[0:1], 0, v2
	s_orn2_b64 s[14:15], s[0:1], exec
; %bb.208:
	s_or_b64 exec, exec, s[12:13]
	s_and_saveexec_b64 s[12:13], s[14:15]
	s_cbranch_execz .LBB1616_216
; %bb.209:
	s_add_i32 s14, s8, 6
	s_cmp_le_u32 s9, s14
	s_cselect_b64 s[0:1], -1, 0
	s_and_b64 s[16:17], s[0:1], exec
	s_cselect_b32 s15, 8, 10
	s_nor_b64 s[16:17], s[0:1], vcc
	v_mov_b32_e32 v2, s15
	s_and_saveexec_b64 s[0:1], s[16:17]
	s_cbranch_execz .LBB1616_211
; %bb.210:
	s_sub_i32 s15, s9, s14
	s_min_u32 s15, s15, 6
	v_lshrrev_b32_e32 v2, s14, v42
	v_bfe_u32 v2, v2, 0, s15
	v_lshlrev_b32_e32 v44, 2, v1
	v_lshl_or_b32 v2, v2, 4, v44
	v_mov_b32_e32 v44, 1
	ds_add_u32 v2, v44 offset:1024
	v_mov_b32_e32 v2, 0
.LBB1616_211:
	s_or_b64 exec, exec, s[0:1]
	v_cmp_gt_i32_e64 s[0:1], 10, v2
	s_mov_b64 s[14:15], -1
	s_and_saveexec_b64 s[16:17], s[0:1]
; %bb.212:
	v_cmp_eq_u32_e64 s[0:1], 0, v2
	s_orn2_b64 s[14:15], s[0:1], exec
; %bb.213:
	s_or_b64 exec, exec, s[16:17]
	s_and_b64 exec, exec, s[14:15]
	s_cbranch_execz .LBB1616_216
; %bb.214:
	s_add_i32 s0, s8, 12
	s_cmp_gt_u32 s9, s0
	s_cselect_b64 s[14:15], -1, 0
	s_xor_b64 s[16:17], vcc, -1
	s_and_b64 s[14:15], s[14:15], s[16:17]
	s_and_b64 exec, exec, s[14:15]
	s_cbranch_execz .LBB1616_216
; %bb.215:
	s_sub_i32 s1, s9, s0
	s_min_u32 s1, s1, 6
	v_lshrrev_b32_e32 v2, s0, v42
	v_bfe_u32 v2, v2, 0, s1
	v_lshlrev_b32_e32 v42, 2, v1
	v_lshl_or_b32 v2, v2, 4, v42
	v_mov_b32_e32 v42, 1
	ds_add_u32 v2, v42 offset:2048
.LBB1616_216:
	s_or_b64 exec, exec, s[12:13]
	v_cmp_le_u32_e32 vcc, s11, v43
	s_nor_b64 s[12:13], s[2:3], vcc
	v_mov_b32_e32 v2, s18
	s_and_saveexec_b64 s[0:1], s[12:13]
	s_cbranch_execz .LBB1616_218
; %bb.217:
	s_sub_i32 s12, s9, s8
	s_min_u32 s12, s12, 6
	v_lshrrev_b32_e32 v2, s8, v41
	v_bfe_u32 v2, v2, 0, s12
	v_lshlrev_b32_e32 v42, 2, v1
	v_lshl_or_b32 v2, v2, 4, v42
	v_mov_b32_e32 v42, 1
	ds_add_u32 v2, v42
	v_mov_b32_e32 v2, 0
.LBB1616_218:
	s_or_b64 exec, exec, s[0:1]
	v_cmp_gt_i32_e64 s[0:1], 10, v2
	s_mov_b64 s[14:15], -1
	s_and_saveexec_b64 s[12:13], s[0:1]
; %bb.219:
	v_cmp_eq_u32_e64 s[0:1], 0, v2
	s_orn2_b64 s[14:15], s[0:1], exec
; %bb.220:
	s_or_b64 exec, exec, s[12:13]
	s_and_saveexec_b64 s[12:13], s[14:15]
	s_cbranch_execz .LBB1616_228
; %bb.221:
	s_add_i32 s14, s8, 6
	s_cmp_le_u32 s9, s14
	s_cselect_b64 s[0:1], -1, 0
	s_and_b64 s[16:17], s[0:1], exec
	s_cselect_b32 s15, 8, 10
	s_nor_b64 s[16:17], s[0:1], vcc
	v_mov_b32_e32 v2, s15
	s_and_saveexec_b64 s[0:1], s[16:17]
	s_cbranch_execz .LBB1616_223
; %bb.222:
	s_sub_i32 s15, s9, s14
	s_min_u32 s15, s15, 6
	v_lshrrev_b32_e32 v2, s14, v41
	v_bfe_u32 v2, v2, 0, s15
	v_lshlrev_b32_e32 v42, 2, v1
	v_lshl_or_b32 v2, v2, 4, v42
	v_mov_b32_e32 v42, 1
	ds_add_u32 v2, v42 offset:1024
	v_mov_b32_e32 v2, 0
.LBB1616_223:
	s_or_b64 exec, exec, s[0:1]
	v_cmp_gt_i32_e64 s[0:1], 10, v2
	s_mov_b64 s[14:15], -1
	s_and_saveexec_b64 s[16:17], s[0:1]
; %bb.224:
	v_cmp_eq_u32_e64 s[0:1], 0, v2
	s_orn2_b64 s[14:15], s[0:1], exec
; %bb.225:
	s_or_b64 exec, exec, s[16:17]
	s_and_b64 exec, exec, s[14:15]
	s_cbranch_execz .LBB1616_228
; %bb.226:
	s_add_i32 s0, s8, 12
	s_cmp_gt_u32 s9, s0
	s_cselect_b64 s[14:15], -1, 0
	s_xor_b64 s[16:17], vcc, -1
	s_and_b64 s[14:15], s[14:15], s[16:17]
	s_and_b64 exec, exec, s[14:15]
	s_cbranch_execz .LBB1616_228
; %bb.227:
	s_sub_i32 s1, s9, s0
	s_min_u32 s1, s1, 6
	v_lshrrev_b32_e32 v2, s0, v41
	v_bfe_u32 v2, v2, 0, s1
	v_lshlrev_b32_e32 v41, 2, v1
	v_lshl_or_b32 v2, v2, 4, v41
	v_mov_b32_e32 v41, 1
	ds_add_u32 v2, v41 offset:2048
.LBB1616_228:
	s_or_b64 exec, exec, s[12:13]
	v_cmp_le_u32_e32 vcc, s11, v40
	s_nor_b64 s[12:13], s[2:3], vcc
	v_mov_b32_e32 v2, s18
	s_and_saveexec_b64 s[0:1], s[12:13]
	s_cbranch_execz .LBB1616_230
; %bb.229:
	s_sub_i32 s12, s9, s8
	s_min_u32 s12, s12, 6
	v_lshrrev_b32_e32 v2, s8, v38
	v_bfe_u32 v2, v2, 0, s12
	v_lshlrev_b32_e32 v40, 2, v1
	v_lshl_or_b32 v2, v2, 4, v40
	v_mov_b32_e32 v40, 1
	ds_add_u32 v2, v40
	v_mov_b32_e32 v2, 0
.LBB1616_230:
	s_or_b64 exec, exec, s[0:1]
	v_cmp_gt_i32_e64 s[0:1], 10, v2
	s_mov_b64 s[14:15], -1
	s_and_saveexec_b64 s[12:13], s[0:1]
; %bb.231:
	v_cmp_eq_u32_e64 s[0:1], 0, v2
	s_orn2_b64 s[14:15], s[0:1], exec
; %bb.232:
	s_or_b64 exec, exec, s[12:13]
	s_and_saveexec_b64 s[12:13], s[14:15]
	s_cbranch_execz .LBB1616_240
; %bb.233:
	s_add_i32 s14, s8, 6
	s_cmp_le_u32 s9, s14
	s_cselect_b64 s[0:1], -1, 0
	s_and_b64 s[16:17], s[0:1], exec
	s_cselect_b32 s15, 8, 10
	s_nor_b64 s[16:17], s[0:1], vcc
	v_mov_b32_e32 v2, s15
	s_and_saveexec_b64 s[0:1], s[16:17]
	s_cbranch_execz .LBB1616_235
; %bb.234:
	s_sub_i32 s15, s9, s14
	s_min_u32 s15, s15, 6
	v_lshrrev_b32_e32 v2, s14, v38
	v_bfe_u32 v2, v2, 0, s15
	v_lshlrev_b32_e32 v40, 2, v1
	v_lshl_or_b32 v2, v2, 4, v40
	v_mov_b32_e32 v40, 1
	ds_add_u32 v2, v40 offset:1024
	v_mov_b32_e32 v2, 0
.LBB1616_235:
	s_or_b64 exec, exec, s[0:1]
	v_cmp_gt_i32_e64 s[0:1], 10, v2
	s_mov_b64 s[14:15], -1
	s_and_saveexec_b64 s[16:17], s[0:1]
; %bb.236:
	v_cmp_eq_u32_e64 s[0:1], 0, v2
	s_orn2_b64 s[14:15], s[0:1], exec
; %bb.237:
	s_or_b64 exec, exec, s[16:17]
	s_and_b64 exec, exec, s[14:15]
	s_cbranch_execz .LBB1616_240
; %bb.238:
	s_add_i32 s0, s8, 12
	s_cmp_gt_u32 s9, s0
	s_cselect_b64 s[14:15], -1, 0
	s_xor_b64 s[16:17], vcc, -1
	s_and_b64 s[14:15], s[14:15], s[16:17]
	s_and_b64 exec, exec, s[14:15]
	s_cbranch_execz .LBB1616_240
; %bb.239:
	s_sub_i32 s1, s9, s0
	s_min_u32 s1, s1, 6
	v_lshrrev_b32_e32 v2, s0, v38
	v_bfe_u32 v2, v2, 0, s1
	v_lshlrev_b32_e32 v38, 2, v1
	v_lshl_or_b32 v2, v2, 4, v38
	v_mov_b32_e32 v38, 1
	ds_add_u32 v2, v38 offset:2048
.LBB1616_240:
	s_or_b64 exec, exec, s[12:13]
	v_cmp_le_u32_e32 vcc, s11, v39
	s_nor_b64 s[12:13], s[2:3], vcc
	v_mov_b32_e32 v2, s18
	s_and_saveexec_b64 s[0:1], s[12:13]
	s_cbranch_execz .LBB1616_242
; %bb.241:
	s_sub_i32 s12, s9, s8
	s_min_u32 s12, s12, 6
	v_lshrrev_b32_e32 v2, s8, v37
	v_bfe_u32 v2, v2, 0, s12
	v_lshlrev_b32_e32 v38, 2, v1
	v_lshl_or_b32 v2, v2, 4, v38
	v_mov_b32_e32 v38, 1
	ds_add_u32 v2, v38
	v_mov_b32_e32 v2, 0
.LBB1616_242:
	s_or_b64 exec, exec, s[0:1]
	v_cmp_gt_i32_e64 s[0:1], 10, v2
	s_mov_b64 s[14:15], -1
	s_and_saveexec_b64 s[12:13], s[0:1]
; %bb.243:
	v_cmp_eq_u32_e64 s[0:1], 0, v2
	s_orn2_b64 s[14:15], s[0:1], exec
; %bb.244:
	s_or_b64 exec, exec, s[12:13]
	s_and_saveexec_b64 s[12:13], s[14:15]
	s_cbranch_execz .LBB1616_252
; %bb.245:
	s_add_i32 s14, s8, 6
	s_cmp_le_u32 s9, s14
	s_cselect_b64 s[0:1], -1, 0
	s_and_b64 s[16:17], s[0:1], exec
	s_cselect_b32 s15, 8, 10
	s_nor_b64 s[16:17], s[0:1], vcc
	v_mov_b32_e32 v2, s15
	s_and_saveexec_b64 s[0:1], s[16:17]
	s_cbranch_execz .LBB1616_247
; %bb.246:
	s_sub_i32 s15, s9, s14
	s_min_u32 s15, s15, 6
	v_lshrrev_b32_e32 v2, s14, v37
	v_bfe_u32 v2, v2, 0, s15
	v_lshlrev_b32_e32 v38, 2, v1
	v_lshl_or_b32 v2, v2, 4, v38
	v_mov_b32_e32 v38, 1
	ds_add_u32 v2, v38 offset:1024
	v_mov_b32_e32 v2, 0
.LBB1616_247:
	s_or_b64 exec, exec, s[0:1]
	v_cmp_gt_i32_e64 s[0:1], 10, v2
	s_mov_b64 s[14:15], -1
	s_and_saveexec_b64 s[16:17], s[0:1]
; %bb.248:
	v_cmp_eq_u32_e64 s[0:1], 0, v2
	s_orn2_b64 s[14:15], s[0:1], exec
; %bb.249:
	s_or_b64 exec, exec, s[16:17]
	s_and_b64 exec, exec, s[14:15]
	s_cbranch_execz .LBB1616_252
; %bb.250:
	s_add_i32 s0, s8, 12
	s_cmp_gt_u32 s9, s0
	s_cselect_b64 s[14:15], -1, 0
	s_xor_b64 s[16:17], vcc, -1
	s_and_b64 s[14:15], s[14:15], s[16:17]
	s_and_b64 exec, exec, s[14:15]
	s_cbranch_execz .LBB1616_252
; %bb.251:
	s_sub_i32 s1, s9, s0
	s_min_u32 s1, s1, 6
	v_lshrrev_b32_e32 v2, s0, v37
	v_bfe_u32 v2, v2, 0, s1
	v_lshlrev_b32_e32 v37, 2, v1
	v_lshl_or_b32 v2, v2, 4, v37
	v_mov_b32_e32 v37, 1
	ds_add_u32 v2, v37 offset:2048
.LBB1616_252:
	s_or_b64 exec, exec, s[12:13]
	v_cmp_le_u32_e32 vcc, s11, v36
	s_nor_b64 s[12:13], s[2:3], vcc
	v_mov_b32_e32 v2, s18
	s_and_saveexec_b64 s[0:1], s[12:13]
	s_cbranch_execz .LBB1616_254
; %bb.253:
	s_sub_i32 s12, s9, s8
	s_min_u32 s12, s12, 6
	v_lshrrev_b32_e32 v2, s8, v34
	v_bfe_u32 v2, v2, 0, s12
	v_lshlrev_b32_e32 v36, 2, v1
	v_lshl_or_b32 v2, v2, 4, v36
	v_mov_b32_e32 v36, 1
	ds_add_u32 v2, v36
	v_mov_b32_e32 v2, 0
.LBB1616_254:
	s_or_b64 exec, exec, s[0:1]
	v_cmp_gt_i32_e64 s[0:1], 10, v2
	s_mov_b64 s[14:15], -1
	s_and_saveexec_b64 s[12:13], s[0:1]
; %bb.255:
	v_cmp_eq_u32_e64 s[0:1], 0, v2
	s_orn2_b64 s[14:15], s[0:1], exec
; %bb.256:
	s_or_b64 exec, exec, s[12:13]
	s_and_saveexec_b64 s[12:13], s[14:15]
	s_cbranch_execz .LBB1616_264
; %bb.257:
	s_add_i32 s14, s8, 6
	s_cmp_le_u32 s9, s14
	s_cselect_b64 s[0:1], -1, 0
	s_and_b64 s[16:17], s[0:1], exec
	s_cselect_b32 s15, 8, 10
	s_nor_b64 s[16:17], s[0:1], vcc
	v_mov_b32_e32 v2, s15
	s_and_saveexec_b64 s[0:1], s[16:17]
	s_cbranch_execz .LBB1616_259
; %bb.258:
	s_sub_i32 s15, s9, s14
	s_min_u32 s15, s15, 6
	v_lshrrev_b32_e32 v2, s14, v34
	v_bfe_u32 v2, v2, 0, s15
	v_lshlrev_b32_e32 v36, 2, v1
	v_lshl_or_b32 v2, v2, 4, v36
	v_mov_b32_e32 v36, 1
	ds_add_u32 v2, v36 offset:1024
	v_mov_b32_e32 v2, 0
.LBB1616_259:
	s_or_b64 exec, exec, s[0:1]
	v_cmp_gt_i32_e64 s[0:1], 10, v2
	s_mov_b64 s[14:15], -1
	s_and_saveexec_b64 s[16:17], s[0:1]
; %bb.260:
	v_cmp_eq_u32_e64 s[0:1], 0, v2
	s_orn2_b64 s[14:15], s[0:1], exec
; %bb.261:
	s_or_b64 exec, exec, s[16:17]
	s_and_b64 exec, exec, s[14:15]
	s_cbranch_execz .LBB1616_264
; %bb.262:
	s_add_i32 s0, s8, 12
	s_cmp_gt_u32 s9, s0
	s_cselect_b64 s[14:15], -1, 0
	s_xor_b64 s[16:17], vcc, -1
	s_and_b64 s[14:15], s[14:15], s[16:17]
	s_and_b64 exec, exec, s[14:15]
	s_cbranch_execz .LBB1616_264
; %bb.263:
	s_sub_i32 s1, s9, s0
	s_min_u32 s1, s1, 6
	v_lshrrev_b32_e32 v2, s0, v34
	v_bfe_u32 v2, v2, 0, s1
	v_lshlrev_b32_e32 v34, 2, v1
	v_lshl_or_b32 v2, v2, 4, v34
	v_mov_b32_e32 v34, 1
	ds_add_u32 v2, v34 offset:2048
.LBB1616_264:
	s_or_b64 exec, exec, s[12:13]
	v_cmp_le_u32_e32 vcc, s11, v35
	s_nor_b64 s[12:13], s[2:3], vcc
	v_mov_b32_e32 v2, s18
	s_and_saveexec_b64 s[0:1], s[12:13]
	s_cbranch_execz .LBB1616_266
; %bb.265:
	s_sub_i32 s12, s9, s8
	s_min_u32 s12, s12, 6
	v_lshrrev_b32_e32 v2, s8, v33
	v_bfe_u32 v2, v2, 0, s12
	v_lshlrev_b32_e32 v34, 2, v1
	v_lshl_or_b32 v2, v2, 4, v34
	v_mov_b32_e32 v34, 1
	ds_add_u32 v2, v34
	v_mov_b32_e32 v2, 0
.LBB1616_266:
	s_or_b64 exec, exec, s[0:1]
	v_cmp_gt_i32_e64 s[0:1], 10, v2
	s_mov_b64 s[14:15], -1
	s_and_saveexec_b64 s[12:13], s[0:1]
; %bb.267:
	v_cmp_eq_u32_e64 s[0:1], 0, v2
	s_orn2_b64 s[14:15], s[0:1], exec
; %bb.268:
	s_or_b64 exec, exec, s[12:13]
	s_and_saveexec_b64 s[12:13], s[14:15]
	s_cbranch_execz .LBB1616_276
; %bb.269:
	s_add_i32 s14, s8, 6
	s_cmp_le_u32 s9, s14
	s_cselect_b64 s[0:1], -1, 0
	s_and_b64 s[16:17], s[0:1], exec
	s_cselect_b32 s15, 8, 10
	s_nor_b64 s[16:17], s[0:1], vcc
	v_mov_b32_e32 v2, s15
	s_and_saveexec_b64 s[0:1], s[16:17]
	s_cbranch_execz .LBB1616_271
; %bb.270:
	s_sub_i32 s15, s9, s14
	s_min_u32 s15, s15, 6
	v_lshrrev_b32_e32 v2, s14, v33
	v_bfe_u32 v2, v2, 0, s15
	v_lshlrev_b32_e32 v34, 2, v1
	v_lshl_or_b32 v2, v2, 4, v34
	v_mov_b32_e32 v34, 1
	ds_add_u32 v2, v34 offset:1024
	v_mov_b32_e32 v2, 0
.LBB1616_271:
	s_or_b64 exec, exec, s[0:1]
	v_cmp_gt_i32_e64 s[0:1], 10, v2
	s_mov_b64 s[14:15], -1
	s_and_saveexec_b64 s[16:17], s[0:1]
; %bb.272:
	v_cmp_eq_u32_e64 s[0:1], 0, v2
	s_orn2_b64 s[14:15], s[0:1], exec
; %bb.273:
	s_or_b64 exec, exec, s[16:17]
	s_and_b64 exec, exec, s[14:15]
	s_cbranch_execz .LBB1616_276
; %bb.274:
	s_add_i32 s0, s8, 12
	s_cmp_gt_u32 s9, s0
	s_cselect_b64 s[14:15], -1, 0
	s_xor_b64 s[16:17], vcc, -1
	s_and_b64 s[14:15], s[14:15], s[16:17]
	s_and_b64 exec, exec, s[14:15]
	s_cbranch_execz .LBB1616_276
; %bb.275:
	s_sub_i32 s1, s9, s0
	s_min_u32 s1, s1, 6
	v_lshrrev_b32_e32 v2, s0, v33
	v_bfe_u32 v2, v2, 0, s1
	v_lshlrev_b32_e32 v33, 2, v1
	v_lshl_or_b32 v2, v2, 4, v33
	v_mov_b32_e32 v33, 1
	ds_add_u32 v2, v33 offset:2048
.LBB1616_276:
	s_or_b64 exec, exec, s[12:13]
	v_cmp_le_u32_e32 vcc, s11, v32
	s_nor_b64 s[12:13], s[2:3], vcc
	v_mov_b32_e32 v2, s18
	s_and_saveexec_b64 s[0:1], s[12:13]
	s_cbranch_execz .LBB1616_278
; %bb.277:
	s_sub_i32 s12, s9, s8
	s_min_u32 s12, s12, 6
	v_lshrrev_b32_e32 v2, s8, v30
	v_bfe_u32 v2, v2, 0, s12
	v_lshlrev_b32_e32 v32, 2, v1
	v_lshl_or_b32 v2, v2, 4, v32
	v_mov_b32_e32 v32, 1
	ds_add_u32 v2, v32
	v_mov_b32_e32 v2, 0
.LBB1616_278:
	s_or_b64 exec, exec, s[0:1]
	v_cmp_gt_i32_e64 s[0:1], 10, v2
	s_mov_b64 s[14:15], -1
	s_and_saveexec_b64 s[12:13], s[0:1]
; %bb.279:
	v_cmp_eq_u32_e64 s[0:1], 0, v2
	s_orn2_b64 s[14:15], s[0:1], exec
; %bb.280:
	s_or_b64 exec, exec, s[12:13]
	s_and_saveexec_b64 s[12:13], s[14:15]
	s_cbranch_execz .LBB1616_288
; %bb.281:
	s_add_i32 s14, s8, 6
	s_cmp_le_u32 s9, s14
	s_cselect_b64 s[0:1], -1, 0
	s_and_b64 s[16:17], s[0:1], exec
	s_cselect_b32 s15, 8, 10
	s_nor_b64 s[16:17], s[0:1], vcc
	v_mov_b32_e32 v2, s15
	s_and_saveexec_b64 s[0:1], s[16:17]
	s_cbranch_execz .LBB1616_283
; %bb.282:
	s_sub_i32 s15, s9, s14
	s_min_u32 s15, s15, 6
	v_lshrrev_b32_e32 v2, s14, v30
	v_bfe_u32 v2, v2, 0, s15
	v_lshlrev_b32_e32 v32, 2, v1
	v_lshl_or_b32 v2, v2, 4, v32
	v_mov_b32_e32 v32, 1
	ds_add_u32 v2, v32 offset:1024
	v_mov_b32_e32 v2, 0
.LBB1616_283:
	s_or_b64 exec, exec, s[0:1]
	v_cmp_gt_i32_e64 s[0:1], 10, v2
	s_mov_b64 s[14:15], -1
	s_and_saveexec_b64 s[16:17], s[0:1]
; %bb.284:
	v_cmp_eq_u32_e64 s[0:1], 0, v2
	s_orn2_b64 s[14:15], s[0:1], exec
; %bb.285:
	s_or_b64 exec, exec, s[16:17]
	s_and_b64 exec, exec, s[14:15]
	s_cbranch_execz .LBB1616_288
; %bb.286:
	s_add_i32 s0, s8, 12
	s_cmp_gt_u32 s9, s0
	s_cselect_b64 s[14:15], -1, 0
	s_xor_b64 s[16:17], vcc, -1
	s_and_b64 s[14:15], s[14:15], s[16:17]
	s_and_b64 exec, exec, s[14:15]
	s_cbranch_execz .LBB1616_288
; %bb.287:
	s_sub_i32 s1, s9, s0
	s_min_u32 s1, s1, 6
	v_lshrrev_b32_e32 v2, s0, v30
	v_bfe_u32 v2, v2, 0, s1
	v_lshlrev_b32_e32 v30, 2, v1
	v_lshl_or_b32 v2, v2, 4, v30
	v_mov_b32_e32 v30, 1
	ds_add_u32 v2, v30 offset:2048
.LBB1616_288:
	s_or_b64 exec, exec, s[12:13]
	v_cmp_le_u32_e32 vcc, s11, v31
	s_nor_b64 s[12:13], s[2:3], vcc
	v_mov_b32_e32 v2, s18
	s_and_saveexec_b64 s[0:1], s[12:13]
	s_cbranch_execz .LBB1616_290
; %bb.289:
	s_sub_i32 s12, s9, s8
	s_min_u32 s12, s12, 6
	v_lshrrev_b32_e32 v2, s8, v29
	v_bfe_u32 v2, v2, 0, s12
	v_lshlrev_b32_e32 v30, 2, v1
	v_lshl_or_b32 v2, v2, 4, v30
	v_mov_b32_e32 v30, 1
	ds_add_u32 v2, v30
	v_mov_b32_e32 v2, 0
.LBB1616_290:
	s_or_b64 exec, exec, s[0:1]
	v_cmp_gt_i32_e64 s[0:1], 10, v2
	s_mov_b64 s[14:15], -1
	s_and_saveexec_b64 s[12:13], s[0:1]
; %bb.291:
	v_cmp_eq_u32_e64 s[0:1], 0, v2
	s_orn2_b64 s[14:15], s[0:1], exec
; %bb.292:
	s_or_b64 exec, exec, s[12:13]
	s_and_saveexec_b64 s[12:13], s[14:15]
	s_cbranch_execz .LBB1616_300
; %bb.293:
	s_add_i32 s14, s8, 6
	s_cmp_le_u32 s9, s14
	s_cselect_b64 s[0:1], -1, 0
	s_and_b64 s[16:17], s[0:1], exec
	s_cselect_b32 s15, 8, 10
	s_nor_b64 s[16:17], s[0:1], vcc
	v_mov_b32_e32 v2, s15
	s_and_saveexec_b64 s[0:1], s[16:17]
	s_cbranch_execz .LBB1616_295
; %bb.294:
	s_sub_i32 s15, s9, s14
	s_min_u32 s15, s15, 6
	v_lshrrev_b32_e32 v2, s14, v29
	v_bfe_u32 v2, v2, 0, s15
	v_lshlrev_b32_e32 v30, 2, v1
	v_lshl_or_b32 v2, v2, 4, v30
	v_mov_b32_e32 v30, 1
	ds_add_u32 v2, v30 offset:1024
	v_mov_b32_e32 v2, 0
.LBB1616_295:
	s_or_b64 exec, exec, s[0:1]
	v_cmp_gt_i32_e64 s[0:1], 10, v2
	s_mov_b64 s[14:15], -1
	s_and_saveexec_b64 s[16:17], s[0:1]
; %bb.296:
	v_cmp_eq_u32_e64 s[0:1], 0, v2
	s_orn2_b64 s[14:15], s[0:1], exec
; %bb.297:
	s_or_b64 exec, exec, s[16:17]
	s_and_b64 exec, exec, s[14:15]
	s_cbranch_execz .LBB1616_300
; %bb.298:
	s_add_i32 s0, s8, 12
	s_cmp_gt_u32 s9, s0
	s_cselect_b64 s[14:15], -1, 0
	s_xor_b64 s[16:17], vcc, -1
	s_and_b64 s[14:15], s[14:15], s[16:17]
	s_and_b64 exec, exec, s[14:15]
	s_cbranch_execz .LBB1616_300
; %bb.299:
	s_sub_i32 s1, s9, s0
	s_min_u32 s1, s1, 6
	v_lshrrev_b32_e32 v2, s0, v29
	v_bfe_u32 v2, v2, 0, s1
	v_lshlrev_b32_e32 v29, 2, v1
	v_lshl_or_b32 v2, v2, 4, v29
	v_mov_b32_e32 v29, 1
	ds_add_u32 v2, v29 offset:2048
.LBB1616_300:
	s_or_b64 exec, exec, s[12:13]
	v_cmp_le_u32_e32 vcc, s11, v28
	s_nor_b64 s[12:13], s[2:3], vcc
	v_mov_b32_e32 v2, s18
	s_and_saveexec_b64 s[0:1], s[12:13]
	s_cbranch_execz .LBB1616_302
; %bb.301:
	s_sub_i32 s12, s9, s8
	s_min_u32 s12, s12, 6
	v_lshrrev_b32_e32 v2, s8, v26
	v_bfe_u32 v2, v2, 0, s12
	v_lshlrev_b32_e32 v28, 2, v1
	v_lshl_or_b32 v2, v2, 4, v28
	v_mov_b32_e32 v28, 1
	ds_add_u32 v2, v28
	v_mov_b32_e32 v2, 0
.LBB1616_302:
	s_or_b64 exec, exec, s[0:1]
	v_cmp_gt_i32_e64 s[0:1], 10, v2
	s_mov_b64 s[14:15], -1
	s_and_saveexec_b64 s[12:13], s[0:1]
; %bb.303:
	v_cmp_eq_u32_e64 s[0:1], 0, v2
	s_orn2_b64 s[14:15], s[0:1], exec
; %bb.304:
	s_or_b64 exec, exec, s[12:13]
	s_and_saveexec_b64 s[12:13], s[14:15]
	s_cbranch_execz .LBB1616_312
; %bb.305:
	s_add_i32 s14, s8, 6
	s_cmp_le_u32 s9, s14
	s_cselect_b64 s[0:1], -1, 0
	s_and_b64 s[16:17], s[0:1], exec
	s_cselect_b32 s15, 8, 10
	s_nor_b64 s[16:17], s[0:1], vcc
	v_mov_b32_e32 v2, s15
	s_and_saveexec_b64 s[0:1], s[16:17]
	s_cbranch_execz .LBB1616_307
; %bb.306:
	s_sub_i32 s15, s9, s14
	s_min_u32 s15, s15, 6
	v_lshrrev_b32_e32 v2, s14, v26
	v_bfe_u32 v2, v2, 0, s15
	v_lshlrev_b32_e32 v28, 2, v1
	v_lshl_or_b32 v2, v2, 4, v28
	v_mov_b32_e32 v28, 1
	ds_add_u32 v2, v28 offset:1024
	v_mov_b32_e32 v2, 0
.LBB1616_307:
	s_or_b64 exec, exec, s[0:1]
	v_cmp_gt_i32_e64 s[0:1], 10, v2
	s_mov_b64 s[14:15], -1
	s_and_saveexec_b64 s[16:17], s[0:1]
; %bb.308:
	v_cmp_eq_u32_e64 s[0:1], 0, v2
	s_orn2_b64 s[14:15], s[0:1], exec
; %bb.309:
	s_or_b64 exec, exec, s[16:17]
	s_and_b64 exec, exec, s[14:15]
	s_cbranch_execz .LBB1616_312
; %bb.310:
	s_add_i32 s0, s8, 12
	s_cmp_gt_u32 s9, s0
	s_cselect_b64 s[14:15], -1, 0
	s_xor_b64 s[16:17], vcc, -1
	s_and_b64 s[14:15], s[14:15], s[16:17]
	s_and_b64 exec, exec, s[14:15]
	s_cbranch_execz .LBB1616_312
; %bb.311:
	s_sub_i32 s1, s9, s0
	s_min_u32 s1, s1, 6
	v_lshrrev_b32_e32 v2, s0, v26
	v_bfe_u32 v2, v2, 0, s1
	v_lshlrev_b32_e32 v26, 2, v1
	v_lshl_or_b32 v2, v2, 4, v26
	v_mov_b32_e32 v26, 1
	ds_add_u32 v2, v26 offset:2048
.LBB1616_312:
	s_or_b64 exec, exec, s[12:13]
	v_cmp_le_u32_e32 vcc, s11, v27
	s_nor_b64 s[12:13], s[2:3], vcc
	v_mov_b32_e32 v2, s18
	s_and_saveexec_b64 s[0:1], s[12:13]
	s_cbranch_execz .LBB1616_314
; %bb.313:
	s_sub_i32 s12, s9, s8
	s_min_u32 s12, s12, 6
	v_lshrrev_b32_e32 v2, s8, v25
	v_bfe_u32 v2, v2, 0, s12
	v_lshlrev_b32_e32 v26, 2, v1
	v_lshl_or_b32 v2, v2, 4, v26
	v_mov_b32_e32 v26, 1
	ds_add_u32 v2, v26
	v_mov_b32_e32 v2, 0
.LBB1616_314:
	s_or_b64 exec, exec, s[0:1]
	v_cmp_gt_i32_e64 s[0:1], 10, v2
	s_mov_b64 s[14:15], -1
	s_and_saveexec_b64 s[12:13], s[0:1]
; %bb.315:
	v_cmp_eq_u32_e64 s[0:1], 0, v2
	s_orn2_b64 s[14:15], s[0:1], exec
; %bb.316:
	s_or_b64 exec, exec, s[12:13]
	s_and_saveexec_b64 s[12:13], s[14:15]
	s_cbranch_execz .LBB1616_324
; %bb.317:
	s_add_i32 s14, s8, 6
	s_cmp_le_u32 s9, s14
	s_cselect_b64 s[0:1], -1, 0
	s_and_b64 s[16:17], s[0:1], exec
	s_cselect_b32 s15, 8, 10
	s_nor_b64 s[16:17], s[0:1], vcc
	v_mov_b32_e32 v2, s15
	s_and_saveexec_b64 s[0:1], s[16:17]
	s_cbranch_execz .LBB1616_319
; %bb.318:
	s_sub_i32 s15, s9, s14
	s_min_u32 s15, s15, 6
	v_lshrrev_b32_e32 v2, s14, v25
	v_bfe_u32 v2, v2, 0, s15
	v_lshlrev_b32_e32 v26, 2, v1
	v_lshl_or_b32 v2, v2, 4, v26
	v_mov_b32_e32 v26, 1
	ds_add_u32 v2, v26 offset:1024
	v_mov_b32_e32 v2, 0
.LBB1616_319:
	s_or_b64 exec, exec, s[0:1]
	v_cmp_gt_i32_e64 s[0:1], 10, v2
	s_mov_b64 s[14:15], -1
	s_and_saveexec_b64 s[16:17], s[0:1]
; %bb.320:
	v_cmp_eq_u32_e64 s[0:1], 0, v2
	s_orn2_b64 s[14:15], s[0:1], exec
; %bb.321:
	s_or_b64 exec, exec, s[16:17]
	s_and_b64 exec, exec, s[14:15]
	s_cbranch_execz .LBB1616_324
; %bb.322:
	s_add_i32 s0, s8, 12
	s_cmp_gt_u32 s9, s0
	s_cselect_b64 s[14:15], -1, 0
	s_xor_b64 s[16:17], vcc, -1
	s_and_b64 s[14:15], s[14:15], s[16:17]
	s_and_b64 exec, exec, s[14:15]
	s_cbranch_execz .LBB1616_324
; %bb.323:
	s_sub_i32 s1, s9, s0
	s_min_u32 s1, s1, 6
	v_lshrrev_b32_e32 v2, s0, v25
	v_bfe_u32 v2, v2, 0, s1
	v_lshlrev_b32_e32 v25, 2, v1
	v_lshl_or_b32 v2, v2, 4, v25
	v_mov_b32_e32 v25, 1
	ds_add_u32 v2, v25 offset:2048
.LBB1616_324:
	s_or_b64 exec, exec, s[12:13]
	v_cmp_le_u32_e32 vcc, s11, v24
	s_nor_b64 s[12:13], s[2:3], vcc
	v_mov_b32_e32 v2, s18
	s_and_saveexec_b64 s[0:1], s[12:13]
	s_cbranch_execz .LBB1616_326
; %bb.325:
	s_sub_i32 s12, s9, s8
	s_min_u32 s12, s12, 6
	v_lshrrev_b32_e32 v2, s8, v22
	v_bfe_u32 v2, v2, 0, s12
	v_lshlrev_b32_e32 v24, 2, v1
	v_lshl_or_b32 v2, v2, 4, v24
	v_mov_b32_e32 v24, 1
	ds_add_u32 v2, v24
	v_mov_b32_e32 v2, 0
.LBB1616_326:
	s_or_b64 exec, exec, s[0:1]
	v_cmp_gt_i32_e64 s[0:1], 10, v2
	s_mov_b64 s[14:15], -1
	s_and_saveexec_b64 s[12:13], s[0:1]
; %bb.327:
	v_cmp_eq_u32_e64 s[0:1], 0, v2
	s_orn2_b64 s[14:15], s[0:1], exec
; %bb.328:
	s_or_b64 exec, exec, s[12:13]
	s_and_saveexec_b64 s[12:13], s[14:15]
	s_cbranch_execz .LBB1616_336
; %bb.329:
	s_add_i32 s14, s8, 6
	s_cmp_le_u32 s9, s14
	s_cselect_b64 s[0:1], -1, 0
	s_and_b64 s[16:17], s[0:1], exec
	s_cselect_b32 s15, 8, 10
	s_nor_b64 s[16:17], s[0:1], vcc
	v_mov_b32_e32 v2, s15
	s_and_saveexec_b64 s[0:1], s[16:17]
	s_cbranch_execz .LBB1616_331
; %bb.330:
	s_sub_i32 s15, s9, s14
	s_min_u32 s15, s15, 6
	v_lshrrev_b32_e32 v2, s14, v22
	v_bfe_u32 v2, v2, 0, s15
	v_lshlrev_b32_e32 v24, 2, v1
	v_lshl_or_b32 v2, v2, 4, v24
	v_mov_b32_e32 v24, 1
	ds_add_u32 v2, v24 offset:1024
	v_mov_b32_e32 v2, 0
.LBB1616_331:
	s_or_b64 exec, exec, s[0:1]
	v_cmp_gt_i32_e64 s[0:1], 10, v2
	s_mov_b64 s[14:15], -1
	s_and_saveexec_b64 s[16:17], s[0:1]
; %bb.332:
	v_cmp_eq_u32_e64 s[0:1], 0, v2
	s_orn2_b64 s[14:15], s[0:1], exec
; %bb.333:
	s_or_b64 exec, exec, s[16:17]
	s_and_b64 exec, exec, s[14:15]
	s_cbranch_execz .LBB1616_336
; %bb.334:
	s_add_i32 s0, s8, 12
	s_cmp_gt_u32 s9, s0
	s_cselect_b64 s[14:15], -1, 0
	s_xor_b64 s[16:17], vcc, -1
	s_and_b64 s[14:15], s[14:15], s[16:17]
	s_and_b64 exec, exec, s[14:15]
	s_cbranch_execz .LBB1616_336
; %bb.335:
	s_sub_i32 s1, s9, s0
	s_min_u32 s1, s1, 6
	v_lshrrev_b32_e32 v2, s0, v22
	v_bfe_u32 v2, v2, 0, s1
	v_lshlrev_b32_e32 v22, 2, v1
	v_lshl_or_b32 v2, v2, 4, v22
	v_mov_b32_e32 v22, 1
	ds_add_u32 v2, v22 offset:2048
.LBB1616_336:
	s_or_b64 exec, exec, s[12:13]
	v_cmp_le_u32_e32 vcc, s11, v23
	s_nor_b64 s[12:13], s[2:3], vcc
	v_mov_b32_e32 v2, s18
	s_and_saveexec_b64 s[0:1], s[12:13]
	s_cbranch_execz .LBB1616_338
; %bb.337:
	s_sub_i32 s12, s9, s8
	s_min_u32 s12, s12, 6
	v_lshrrev_b32_e32 v2, s8, v21
	v_bfe_u32 v2, v2, 0, s12
	v_lshlrev_b32_e32 v22, 2, v1
	v_lshl_or_b32 v2, v2, 4, v22
	v_mov_b32_e32 v22, 1
	ds_add_u32 v2, v22
	v_mov_b32_e32 v2, 0
.LBB1616_338:
	s_or_b64 exec, exec, s[0:1]
	v_cmp_gt_i32_e64 s[0:1], 10, v2
	s_mov_b64 s[14:15], -1
	s_and_saveexec_b64 s[12:13], s[0:1]
; %bb.339:
	v_cmp_eq_u32_e64 s[0:1], 0, v2
	s_orn2_b64 s[14:15], s[0:1], exec
; %bb.340:
	s_or_b64 exec, exec, s[12:13]
	s_and_saveexec_b64 s[12:13], s[14:15]
	s_cbranch_execz .LBB1616_348
; %bb.341:
	s_add_i32 s14, s8, 6
	s_cmp_le_u32 s9, s14
	s_cselect_b64 s[0:1], -1, 0
	s_and_b64 s[16:17], s[0:1], exec
	s_cselect_b32 s15, 8, 10
	s_nor_b64 s[16:17], s[0:1], vcc
	v_mov_b32_e32 v2, s15
	s_and_saveexec_b64 s[0:1], s[16:17]
	s_cbranch_execz .LBB1616_343
; %bb.342:
	s_sub_i32 s15, s9, s14
	s_min_u32 s15, s15, 6
	v_lshrrev_b32_e32 v2, s14, v21
	v_bfe_u32 v2, v2, 0, s15
	v_lshlrev_b32_e32 v22, 2, v1
	v_lshl_or_b32 v2, v2, 4, v22
	v_mov_b32_e32 v22, 1
	ds_add_u32 v2, v22 offset:1024
	v_mov_b32_e32 v2, 0
.LBB1616_343:
	s_or_b64 exec, exec, s[0:1]
	v_cmp_gt_i32_e64 s[0:1], 10, v2
	s_mov_b64 s[14:15], -1
	s_and_saveexec_b64 s[16:17], s[0:1]
; %bb.344:
	v_cmp_eq_u32_e64 s[0:1], 0, v2
	s_orn2_b64 s[14:15], s[0:1], exec
; %bb.345:
	s_or_b64 exec, exec, s[16:17]
	s_and_b64 exec, exec, s[14:15]
	s_cbranch_execz .LBB1616_348
; %bb.346:
	s_add_i32 s0, s8, 12
	s_cmp_gt_u32 s9, s0
	s_cselect_b64 s[14:15], -1, 0
	s_xor_b64 s[16:17], vcc, -1
	s_and_b64 s[14:15], s[14:15], s[16:17]
	s_and_b64 exec, exec, s[14:15]
	s_cbranch_execz .LBB1616_348
; %bb.347:
	s_sub_i32 s1, s9, s0
	s_min_u32 s1, s1, 6
	v_lshrrev_b32_e32 v2, s0, v21
	v_bfe_u32 v2, v2, 0, s1
	v_lshlrev_b32_e32 v21, 2, v1
	v_lshl_or_b32 v2, v2, 4, v21
	v_mov_b32_e32 v21, 1
	ds_add_u32 v2, v21 offset:2048
.LBB1616_348:
	s_or_b64 exec, exec, s[12:13]
	v_cmp_le_u32_e32 vcc, s11, v20
	s_nor_b64 s[12:13], s[2:3], vcc
	v_mov_b32_e32 v2, s18
	s_and_saveexec_b64 s[0:1], s[12:13]
	s_cbranch_execz .LBB1616_350
; %bb.349:
	s_sub_i32 s12, s9, s8
	s_min_u32 s12, s12, 6
	v_lshrrev_b32_e32 v2, s8, v18
	v_bfe_u32 v2, v2, 0, s12
	v_lshlrev_b32_e32 v20, 2, v1
	v_lshl_or_b32 v2, v2, 4, v20
	v_mov_b32_e32 v20, 1
	ds_add_u32 v2, v20
	v_mov_b32_e32 v2, 0
.LBB1616_350:
	s_or_b64 exec, exec, s[0:1]
	v_cmp_gt_i32_e64 s[0:1], 10, v2
	s_mov_b64 s[14:15], -1
	s_and_saveexec_b64 s[12:13], s[0:1]
; %bb.351:
	v_cmp_eq_u32_e64 s[0:1], 0, v2
	s_orn2_b64 s[14:15], s[0:1], exec
; %bb.352:
	s_or_b64 exec, exec, s[12:13]
	s_and_saveexec_b64 s[12:13], s[14:15]
	s_cbranch_execz .LBB1616_360
; %bb.353:
	s_add_i32 s14, s8, 6
	s_cmp_le_u32 s9, s14
	s_cselect_b64 s[0:1], -1, 0
	s_and_b64 s[16:17], s[0:1], exec
	s_cselect_b32 s15, 8, 10
	s_nor_b64 s[16:17], s[0:1], vcc
	v_mov_b32_e32 v2, s15
	s_and_saveexec_b64 s[0:1], s[16:17]
	s_cbranch_execz .LBB1616_355
; %bb.354:
	s_sub_i32 s15, s9, s14
	s_min_u32 s15, s15, 6
	v_lshrrev_b32_e32 v2, s14, v18
	v_bfe_u32 v2, v2, 0, s15
	v_lshlrev_b32_e32 v20, 2, v1
	v_lshl_or_b32 v2, v2, 4, v20
	v_mov_b32_e32 v20, 1
	ds_add_u32 v2, v20 offset:1024
	v_mov_b32_e32 v2, 0
.LBB1616_355:
	s_or_b64 exec, exec, s[0:1]
	v_cmp_gt_i32_e64 s[0:1], 10, v2
	s_mov_b64 s[14:15], -1
	s_and_saveexec_b64 s[16:17], s[0:1]
; %bb.356:
	v_cmp_eq_u32_e64 s[0:1], 0, v2
	s_orn2_b64 s[14:15], s[0:1], exec
; %bb.357:
	s_or_b64 exec, exec, s[16:17]
	s_and_b64 exec, exec, s[14:15]
	s_cbranch_execz .LBB1616_360
; %bb.358:
	s_add_i32 s0, s8, 12
	s_cmp_gt_u32 s9, s0
	s_cselect_b64 s[14:15], -1, 0
	s_xor_b64 s[16:17], vcc, -1
	s_and_b64 s[14:15], s[14:15], s[16:17]
	s_and_b64 exec, exec, s[14:15]
	s_cbranch_execz .LBB1616_360
; %bb.359:
	s_sub_i32 s1, s9, s0
	s_min_u32 s1, s1, 6
	v_lshrrev_b32_e32 v2, s0, v18
	v_bfe_u32 v2, v2, 0, s1
	v_lshlrev_b32_e32 v18, 2, v1
	v_lshl_or_b32 v2, v2, 4, v18
	v_mov_b32_e32 v18, 1
	ds_add_u32 v2, v18 offset:2048
.LBB1616_360:
	s_or_b64 exec, exec, s[12:13]
	v_cmp_le_u32_e32 vcc, s11, v19
	s_nor_b64 s[12:13], s[2:3], vcc
	v_mov_b32_e32 v2, s18
	s_and_saveexec_b64 s[0:1], s[12:13]
	s_cbranch_execz .LBB1616_362
; %bb.361:
	s_sub_i32 s12, s9, s8
	s_min_u32 s12, s12, 6
	v_lshrrev_b32_e32 v2, s8, v17
	v_bfe_u32 v2, v2, 0, s12
	v_lshlrev_b32_e32 v18, 2, v1
	v_lshl_or_b32 v2, v2, 4, v18
	v_mov_b32_e32 v18, 1
	ds_add_u32 v2, v18
	v_mov_b32_e32 v2, 0
.LBB1616_362:
	s_or_b64 exec, exec, s[0:1]
	v_cmp_gt_i32_e64 s[0:1], 10, v2
	s_mov_b64 s[14:15], -1
	s_and_saveexec_b64 s[12:13], s[0:1]
; %bb.363:
	v_cmp_eq_u32_e64 s[0:1], 0, v2
	s_orn2_b64 s[14:15], s[0:1], exec
; %bb.364:
	s_or_b64 exec, exec, s[12:13]
	s_and_saveexec_b64 s[12:13], s[14:15]
	s_cbranch_execz .LBB1616_372
; %bb.365:
	s_add_i32 s14, s8, 6
	s_cmp_le_u32 s9, s14
	s_cselect_b64 s[0:1], -1, 0
	s_and_b64 s[16:17], s[0:1], exec
	s_cselect_b32 s15, 8, 10
	s_nor_b64 s[16:17], s[0:1], vcc
	v_mov_b32_e32 v2, s15
	s_and_saveexec_b64 s[0:1], s[16:17]
	s_cbranch_execz .LBB1616_367
; %bb.366:
	s_sub_i32 s15, s9, s14
	s_min_u32 s15, s15, 6
	v_lshrrev_b32_e32 v2, s14, v17
	v_bfe_u32 v2, v2, 0, s15
	v_lshlrev_b32_e32 v18, 2, v1
	v_lshl_or_b32 v2, v2, 4, v18
	v_mov_b32_e32 v18, 1
	ds_add_u32 v2, v18 offset:1024
	v_mov_b32_e32 v2, 0
.LBB1616_367:
	s_or_b64 exec, exec, s[0:1]
	v_cmp_gt_i32_e64 s[0:1], 10, v2
	s_mov_b64 s[14:15], -1
	s_and_saveexec_b64 s[16:17], s[0:1]
; %bb.368:
	v_cmp_eq_u32_e64 s[0:1], 0, v2
	s_orn2_b64 s[14:15], s[0:1], exec
; %bb.369:
	s_or_b64 exec, exec, s[16:17]
	s_and_b64 exec, exec, s[14:15]
	s_cbranch_execz .LBB1616_372
; %bb.370:
	s_add_i32 s0, s8, 12
	s_cmp_gt_u32 s9, s0
	s_cselect_b64 s[14:15], -1, 0
	s_xor_b64 s[16:17], vcc, -1
	s_and_b64 s[14:15], s[14:15], s[16:17]
	s_and_b64 exec, exec, s[14:15]
	s_cbranch_execz .LBB1616_372
; %bb.371:
	s_sub_i32 s1, s9, s0
	s_min_u32 s1, s1, 6
	v_lshrrev_b32_e32 v2, s0, v17
	v_bfe_u32 v2, v2, 0, s1
	v_lshlrev_b32_e32 v17, 2, v1
	v_lshl_or_b32 v2, v2, 4, v17
	v_mov_b32_e32 v17, 1
	ds_add_u32 v2, v17 offset:2048
.LBB1616_372:
	s_or_b64 exec, exec, s[12:13]
	v_cmp_le_u32_e32 vcc, s11, v16
	s_nor_b64 s[12:13], s[2:3], vcc
	v_mov_b32_e32 v2, s18
	s_and_saveexec_b64 s[0:1], s[12:13]
	s_cbranch_execz .LBB1616_374
; %bb.373:
	s_sub_i32 s12, s9, s8
	s_min_u32 s12, s12, 6
	v_lshrrev_b32_e32 v2, s8, v14
	v_bfe_u32 v2, v2, 0, s12
	v_lshlrev_b32_e32 v16, 2, v1
	v_lshl_or_b32 v2, v2, 4, v16
	v_mov_b32_e32 v16, 1
	ds_add_u32 v2, v16
	v_mov_b32_e32 v2, 0
.LBB1616_374:
	s_or_b64 exec, exec, s[0:1]
	v_cmp_gt_i32_e64 s[0:1], 10, v2
	s_mov_b64 s[14:15], -1
	s_and_saveexec_b64 s[12:13], s[0:1]
; %bb.375:
	v_cmp_eq_u32_e64 s[0:1], 0, v2
	s_orn2_b64 s[14:15], s[0:1], exec
; %bb.376:
	s_or_b64 exec, exec, s[12:13]
	s_and_saveexec_b64 s[12:13], s[14:15]
	s_cbranch_execz .LBB1616_384
; %bb.377:
	s_add_i32 s14, s8, 6
	s_cmp_le_u32 s9, s14
	s_cselect_b64 s[0:1], -1, 0
	s_and_b64 s[16:17], s[0:1], exec
	s_cselect_b32 s15, 8, 10
	s_nor_b64 s[16:17], s[0:1], vcc
	v_mov_b32_e32 v2, s15
	s_and_saveexec_b64 s[0:1], s[16:17]
	s_cbranch_execz .LBB1616_379
; %bb.378:
	s_sub_i32 s15, s9, s14
	s_min_u32 s15, s15, 6
	v_lshrrev_b32_e32 v2, s14, v14
	v_bfe_u32 v2, v2, 0, s15
	v_lshlrev_b32_e32 v16, 2, v1
	v_lshl_or_b32 v2, v2, 4, v16
	v_mov_b32_e32 v16, 1
	ds_add_u32 v2, v16 offset:1024
	v_mov_b32_e32 v2, 0
.LBB1616_379:
	s_or_b64 exec, exec, s[0:1]
	v_cmp_gt_i32_e64 s[0:1], 10, v2
	s_mov_b64 s[14:15], -1
	s_and_saveexec_b64 s[16:17], s[0:1]
; %bb.380:
	v_cmp_eq_u32_e64 s[0:1], 0, v2
	s_orn2_b64 s[14:15], s[0:1], exec
; %bb.381:
	s_or_b64 exec, exec, s[16:17]
	s_and_b64 exec, exec, s[14:15]
	s_cbranch_execz .LBB1616_384
; %bb.382:
	s_add_i32 s0, s8, 12
	s_cmp_gt_u32 s9, s0
	s_cselect_b64 s[14:15], -1, 0
	s_xor_b64 s[16:17], vcc, -1
	s_and_b64 s[14:15], s[14:15], s[16:17]
	s_and_b64 exec, exec, s[14:15]
	s_cbranch_execz .LBB1616_384
; %bb.383:
	s_sub_i32 s1, s9, s0
	s_min_u32 s1, s1, 6
	v_lshrrev_b32_e32 v2, s0, v14
	v_bfe_u32 v2, v2, 0, s1
	v_lshlrev_b32_e32 v14, 2, v1
	v_lshl_or_b32 v2, v2, 4, v14
	v_mov_b32_e32 v14, 1
	ds_add_u32 v2, v14 offset:2048
.LBB1616_384:
	s_or_b64 exec, exec, s[12:13]
	v_cmp_le_u32_e32 vcc, s11, v15
	s_nor_b64 s[12:13], s[2:3], vcc
	v_mov_b32_e32 v2, s18
	s_and_saveexec_b64 s[0:1], s[12:13]
	s_cbranch_execz .LBB1616_386
; %bb.385:
	s_sub_i32 s12, s9, s8
	s_min_u32 s12, s12, 6
	v_lshrrev_b32_e32 v2, s8, v13
	v_bfe_u32 v2, v2, 0, s12
	v_lshlrev_b32_e32 v14, 2, v1
	v_lshl_or_b32 v2, v2, 4, v14
	v_mov_b32_e32 v14, 1
	ds_add_u32 v2, v14
	v_mov_b32_e32 v2, 0
.LBB1616_386:
	s_or_b64 exec, exec, s[0:1]
	v_cmp_gt_i32_e64 s[0:1], 10, v2
	s_mov_b64 s[14:15], -1
	s_and_saveexec_b64 s[12:13], s[0:1]
; %bb.387:
	v_cmp_eq_u32_e64 s[0:1], 0, v2
	s_orn2_b64 s[14:15], s[0:1], exec
; %bb.388:
	s_or_b64 exec, exec, s[12:13]
	s_and_saveexec_b64 s[12:13], s[14:15]
	s_cbranch_execz .LBB1616_396
; %bb.389:
	s_add_i32 s14, s8, 6
	s_cmp_le_u32 s9, s14
	s_cselect_b64 s[0:1], -1, 0
	s_and_b64 s[16:17], s[0:1], exec
	s_cselect_b32 s15, 8, 10
	s_nor_b64 s[16:17], s[0:1], vcc
	v_mov_b32_e32 v2, s15
	s_and_saveexec_b64 s[0:1], s[16:17]
	s_cbranch_execz .LBB1616_391
; %bb.390:
	s_sub_i32 s15, s9, s14
	s_min_u32 s15, s15, 6
	v_lshrrev_b32_e32 v2, s14, v13
	v_bfe_u32 v2, v2, 0, s15
	v_lshlrev_b32_e32 v14, 2, v1
	v_lshl_or_b32 v2, v2, 4, v14
	v_mov_b32_e32 v14, 1
	ds_add_u32 v2, v14 offset:1024
	v_mov_b32_e32 v2, 0
.LBB1616_391:
	s_or_b64 exec, exec, s[0:1]
	v_cmp_gt_i32_e64 s[0:1], 10, v2
	s_mov_b64 s[14:15], -1
	s_and_saveexec_b64 s[16:17], s[0:1]
; %bb.392:
	v_cmp_eq_u32_e64 s[0:1], 0, v2
	s_orn2_b64 s[14:15], s[0:1], exec
; %bb.393:
	s_or_b64 exec, exec, s[16:17]
	s_and_b64 exec, exec, s[14:15]
	s_cbranch_execz .LBB1616_396
; %bb.394:
	s_add_i32 s0, s8, 12
	s_cmp_gt_u32 s9, s0
	s_cselect_b64 s[14:15], -1, 0
	s_xor_b64 s[16:17], vcc, -1
	s_and_b64 s[14:15], s[14:15], s[16:17]
	s_and_b64 exec, exec, s[14:15]
	s_cbranch_execz .LBB1616_396
; %bb.395:
	s_sub_i32 s1, s9, s0
	s_min_u32 s1, s1, 6
	v_lshrrev_b32_e32 v2, s0, v13
	v_bfe_u32 v2, v2, 0, s1
	v_lshlrev_b32_e32 v13, 2, v1
	v_lshl_or_b32 v2, v2, 4, v13
	v_mov_b32_e32 v13, 1
	ds_add_u32 v2, v13 offset:2048
.LBB1616_396:
	s_or_b64 exec, exec, s[12:13]
	v_cmp_le_u32_e32 vcc, s11, v12
	s_nor_b64 s[12:13], s[2:3], vcc
	v_mov_b32_e32 v2, s18
	s_and_saveexec_b64 s[0:1], s[12:13]
	s_cbranch_execz .LBB1616_398
; %bb.397:
	s_sub_i32 s12, s9, s8
	s_min_u32 s12, s12, 6
	v_lshrrev_b32_e32 v2, s8, v10
	v_bfe_u32 v2, v2, 0, s12
	v_lshlrev_b32_e32 v12, 2, v1
	v_lshl_or_b32 v2, v2, 4, v12
	v_mov_b32_e32 v12, 1
	ds_add_u32 v2, v12
	v_mov_b32_e32 v2, 0
.LBB1616_398:
	s_or_b64 exec, exec, s[0:1]
	v_cmp_gt_i32_e64 s[0:1], 10, v2
	s_mov_b64 s[14:15], -1
	s_and_saveexec_b64 s[12:13], s[0:1]
; %bb.399:
	v_cmp_eq_u32_e64 s[0:1], 0, v2
	s_orn2_b64 s[14:15], s[0:1], exec
; %bb.400:
	s_or_b64 exec, exec, s[12:13]
	s_and_saveexec_b64 s[12:13], s[14:15]
	s_cbranch_execz .LBB1616_408
; %bb.401:
	s_add_i32 s14, s8, 6
	s_cmp_le_u32 s9, s14
	s_cselect_b64 s[0:1], -1, 0
	s_and_b64 s[16:17], s[0:1], exec
	s_cselect_b32 s15, 8, 10
	s_nor_b64 s[16:17], s[0:1], vcc
	v_mov_b32_e32 v2, s15
	s_and_saveexec_b64 s[0:1], s[16:17]
	s_cbranch_execz .LBB1616_403
; %bb.402:
	s_sub_i32 s15, s9, s14
	s_min_u32 s15, s15, 6
	v_lshrrev_b32_e32 v2, s14, v10
	v_bfe_u32 v2, v2, 0, s15
	v_lshlrev_b32_e32 v12, 2, v1
	v_lshl_or_b32 v2, v2, 4, v12
	v_mov_b32_e32 v12, 1
	ds_add_u32 v2, v12 offset:1024
	v_mov_b32_e32 v2, 0
.LBB1616_403:
	s_or_b64 exec, exec, s[0:1]
	v_cmp_gt_i32_e64 s[0:1], 10, v2
	s_mov_b64 s[14:15], -1
	s_and_saveexec_b64 s[16:17], s[0:1]
; %bb.404:
	v_cmp_eq_u32_e64 s[0:1], 0, v2
	s_orn2_b64 s[14:15], s[0:1], exec
; %bb.405:
	s_or_b64 exec, exec, s[16:17]
	s_and_b64 exec, exec, s[14:15]
	s_cbranch_execz .LBB1616_408
; %bb.406:
	s_add_i32 s0, s8, 12
	s_cmp_gt_u32 s9, s0
	s_cselect_b64 s[14:15], -1, 0
	s_xor_b64 s[16:17], vcc, -1
	s_and_b64 s[14:15], s[14:15], s[16:17]
	s_and_b64 exec, exec, s[14:15]
	s_cbranch_execz .LBB1616_408
; %bb.407:
	s_sub_i32 s1, s9, s0
	s_min_u32 s1, s1, 6
	v_lshrrev_b32_e32 v2, s0, v10
	v_bfe_u32 v2, v2, 0, s1
	v_lshlrev_b32_e32 v10, 2, v1
	v_lshl_or_b32 v2, v2, 4, v10
	v_mov_b32_e32 v10, 1
	ds_add_u32 v2, v10 offset:2048
.LBB1616_408:
	s_or_b64 exec, exec, s[12:13]
	v_cmp_le_u32_e32 vcc, s11, v11
	s_nor_b64 s[12:13], s[2:3], vcc
	v_mov_b32_e32 v2, s18
	s_and_saveexec_b64 s[0:1], s[12:13]
	s_cbranch_execz .LBB1616_410
; %bb.409:
	s_sub_i32 s12, s9, s8
	s_min_u32 s12, s12, 6
	v_lshrrev_b32_e32 v2, s8, v9
	v_bfe_u32 v2, v2, 0, s12
	v_lshlrev_b32_e32 v10, 2, v1
	v_lshl_or_b32 v2, v2, 4, v10
	v_mov_b32_e32 v10, 1
	ds_add_u32 v2, v10
	v_mov_b32_e32 v2, 0
.LBB1616_410:
	s_or_b64 exec, exec, s[0:1]
	v_cmp_gt_i32_e64 s[0:1], 10, v2
	s_mov_b64 s[14:15], -1
	s_and_saveexec_b64 s[12:13], s[0:1]
; %bb.411:
	v_cmp_eq_u32_e64 s[0:1], 0, v2
	s_orn2_b64 s[14:15], s[0:1], exec
; %bb.412:
	s_or_b64 exec, exec, s[12:13]
	s_and_saveexec_b64 s[12:13], s[14:15]
	s_cbranch_execz .LBB1616_420
; %bb.413:
	s_add_i32 s14, s8, 6
	s_cmp_le_u32 s9, s14
	s_cselect_b64 s[0:1], -1, 0
	s_and_b64 s[16:17], s[0:1], exec
	s_cselect_b32 s15, 8, 10
	s_nor_b64 s[16:17], s[0:1], vcc
	v_mov_b32_e32 v2, s15
	s_and_saveexec_b64 s[0:1], s[16:17]
	s_cbranch_execz .LBB1616_415
; %bb.414:
	s_sub_i32 s15, s9, s14
	s_min_u32 s15, s15, 6
	v_lshrrev_b32_e32 v2, s14, v9
	v_bfe_u32 v2, v2, 0, s15
	v_lshlrev_b32_e32 v10, 2, v1
	v_lshl_or_b32 v2, v2, 4, v10
	v_mov_b32_e32 v10, 1
	ds_add_u32 v2, v10 offset:1024
	v_mov_b32_e32 v2, 0
.LBB1616_415:
	s_or_b64 exec, exec, s[0:1]
	v_cmp_gt_i32_e64 s[0:1], 10, v2
	s_mov_b64 s[14:15], -1
	s_and_saveexec_b64 s[16:17], s[0:1]
; %bb.416:
	v_cmp_eq_u32_e64 s[0:1], 0, v2
	s_orn2_b64 s[14:15], s[0:1], exec
; %bb.417:
	s_or_b64 exec, exec, s[16:17]
	s_and_b64 exec, exec, s[14:15]
	s_cbranch_execz .LBB1616_420
; %bb.418:
	s_add_i32 s0, s8, 12
	s_cmp_gt_u32 s9, s0
	s_cselect_b64 s[14:15], -1, 0
	s_xor_b64 s[16:17], vcc, -1
	s_and_b64 s[14:15], s[14:15], s[16:17]
	s_and_b64 exec, exec, s[14:15]
	s_cbranch_execz .LBB1616_420
; %bb.419:
	s_sub_i32 s1, s9, s0
	s_min_u32 s1, s1, 6
	v_lshrrev_b32_e32 v2, s0, v9
	v_bfe_u32 v2, v2, 0, s1
	v_lshlrev_b32_e32 v9, 2, v1
	v_lshl_or_b32 v2, v2, 4, v9
	v_mov_b32_e32 v9, 1
	ds_add_u32 v2, v9 offset:2048
.LBB1616_420:
	s_or_b64 exec, exec, s[12:13]
	v_cmp_le_u32_e32 vcc, s11, v8
	s_nor_b64 s[12:13], s[2:3], vcc
	v_mov_b32_e32 v2, s18
	s_and_saveexec_b64 s[0:1], s[12:13]
	s_cbranch_execz .LBB1616_422
; %bb.421:
	s_sub_i32 s12, s9, s8
	s_min_u32 s12, s12, 6
	v_lshrrev_b32_e32 v2, s8, v6
	v_bfe_u32 v2, v2, 0, s12
	v_lshlrev_b32_e32 v8, 2, v1
	v_lshl_or_b32 v2, v2, 4, v8
	v_mov_b32_e32 v8, 1
	ds_add_u32 v2, v8
	v_mov_b32_e32 v2, 0
.LBB1616_422:
	s_or_b64 exec, exec, s[0:1]
	v_cmp_gt_i32_e64 s[0:1], 10, v2
	s_mov_b64 s[14:15], -1
	s_and_saveexec_b64 s[12:13], s[0:1]
; %bb.423:
	v_cmp_eq_u32_e64 s[0:1], 0, v2
	s_orn2_b64 s[14:15], s[0:1], exec
; %bb.424:
	s_or_b64 exec, exec, s[12:13]
	s_and_saveexec_b64 s[12:13], s[14:15]
	s_cbranch_execz .LBB1616_432
; %bb.425:
	s_add_i32 s14, s8, 6
	s_cmp_le_u32 s9, s14
	s_cselect_b64 s[0:1], -1, 0
	s_and_b64 s[16:17], s[0:1], exec
	s_cselect_b32 s15, 8, 10
	s_nor_b64 s[16:17], s[0:1], vcc
	v_mov_b32_e32 v2, s15
	s_and_saveexec_b64 s[0:1], s[16:17]
	s_cbranch_execz .LBB1616_427
; %bb.426:
	s_sub_i32 s15, s9, s14
	s_min_u32 s15, s15, 6
	v_lshrrev_b32_e32 v2, s14, v6
	v_bfe_u32 v2, v2, 0, s15
	v_lshlrev_b32_e32 v8, 2, v1
	v_lshl_or_b32 v2, v2, 4, v8
	v_mov_b32_e32 v8, 1
	ds_add_u32 v2, v8 offset:1024
	v_mov_b32_e32 v2, 0
.LBB1616_427:
	s_or_b64 exec, exec, s[0:1]
	v_cmp_gt_i32_e64 s[0:1], 10, v2
	s_mov_b64 s[14:15], -1
	s_and_saveexec_b64 s[16:17], s[0:1]
; %bb.428:
	v_cmp_eq_u32_e64 s[0:1], 0, v2
	s_orn2_b64 s[14:15], s[0:1], exec
; %bb.429:
	s_or_b64 exec, exec, s[16:17]
	s_and_b64 exec, exec, s[14:15]
	s_cbranch_execz .LBB1616_432
; %bb.430:
	s_add_i32 s0, s8, 12
	s_cmp_gt_u32 s9, s0
	s_cselect_b64 s[14:15], -1, 0
	s_xor_b64 s[16:17], vcc, -1
	s_and_b64 s[14:15], s[14:15], s[16:17]
	s_and_b64 exec, exec, s[14:15]
	s_cbranch_execz .LBB1616_432
; %bb.431:
	s_sub_i32 s1, s9, s0
	s_min_u32 s1, s1, 6
	v_lshrrev_b32_e32 v2, s0, v6
	v_bfe_u32 v2, v2, 0, s1
	v_lshlrev_b32_e32 v6, 2, v1
	v_lshl_or_b32 v2, v2, 4, v6
	v_mov_b32_e32 v6, 1
	ds_add_u32 v2, v6 offset:2048
.LBB1616_432:
	s_or_b64 exec, exec, s[12:13]
	v_cmp_le_u32_e32 vcc, s11, v7
	s_nor_b64 s[12:13], s[2:3], vcc
	v_mov_b32_e32 v2, s18
	s_and_saveexec_b64 s[0:1], s[12:13]
	s_cbranch_execz .LBB1616_434
; %bb.433:
	s_sub_i32 s12, s9, s8
	s_min_u32 s12, s12, 6
	v_lshrrev_b32_e32 v2, s8, v5
	v_bfe_u32 v2, v2, 0, s12
	v_lshlrev_b32_e32 v6, 2, v1
	v_lshl_or_b32 v2, v2, 4, v6
	v_mov_b32_e32 v6, 1
	ds_add_u32 v2, v6
	v_mov_b32_e32 v2, 0
.LBB1616_434:
	s_or_b64 exec, exec, s[0:1]
	v_cmp_gt_i32_e64 s[0:1], 10, v2
	s_mov_b64 s[14:15], -1
	s_and_saveexec_b64 s[12:13], s[0:1]
; %bb.435:
	v_cmp_eq_u32_e64 s[0:1], 0, v2
	s_orn2_b64 s[14:15], s[0:1], exec
; %bb.436:
	s_or_b64 exec, exec, s[12:13]
	s_and_saveexec_b64 s[12:13], s[14:15]
	s_cbranch_execz .LBB1616_444
; %bb.437:
	s_add_i32 s14, s8, 6
	s_cmp_le_u32 s9, s14
	s_cselect_b64 s[0:1], -1, 0
	s_and_b64 s[16:17], s[0:1], exec
	s_cselect_b32 s15, 8, 10
	s_nor_b64 s[16:17], s[0:1], vcc
	v_mov_b32_e32 v2, s15
	s_and_saveexec_b64 s[0:1], s[16:17]
	s_cbranch_execz .LBB1616_439
; %bb.438:
	s_sub_i32 s15, s9, s14
	s_min_u32 s15, s15, 6
	v_lshrrev_b32_e32 v2, s14, v5
	v_bfe_u32 v2, v2, 0, s15
	v_lshlrev_b32_e32 v6, 2, v1
	v_lshl_or_b32 v2, v2, 4, v6
	v_mov_b32_e32 v6, 1
	ds_add_u32 v2, v6 offset:1024
	v_mov_b32_e32 v2, 0
.LBB1616_439:
	s_or_b64 exec, exec, s[0:1]
	v_cmp_gt_i32_e64 s[0:1], 10, v2
	s_mov_b64 s[14:15], -1
	s_and_saveexec_b64 s[16:17], s[0:1]
; %bb.440:
	v_cmp_eq_u32_e64 s[0:1], 0, v2
	s_orn2_b64 s[14:15], s[0:1], exec
; %bb.441:
	s_or_b64 exec, exec, s[16:17]
	s_and_b64 exec, exec, s[14:15]
	s_cbranch_execz .LBB1616_444
; %bb.442:
	s_add_i32 s0, s8, 12
	s_cmp_gt_u32 s9, s0
	s_cselect_b64 s[14:15], -1, 0
	s_xor_b64 s[16:17], vcc, -1
	s_and_b64 s[14:15], s[14:15], s[16:17]
	s_and_b64 exec, exec, s[14:15]
	s_cbranch_execz .LBB1616_444
; %bb.443:
	s_sub_i32 s1, s9, s0
	s_min_u32 s1, s1, 6
	v_lshrrev_b32_e32 v2, s0, v5
	v_bfe_u32 v2, v2, 0, s1
	v_lshlrev_b32_e32 v5, 2, v1
	v_lshl_or_b32 v2, v2, 4, v5
	v_mov_b32_e32 v5, 1
	ds_add_u32 v2, v5 offset:2048
.LBB1616_444:
	s_or_b64 exec, exec, s[12:13]
	v_cmp_le_u32_e32 vcc, s11, v4
	s_nor_b64 s[2:3], s[2:3], vcc
	v_mov_b32_e32 v2, s18
	s_and_saveexec_b64 s[0:1], s[2:3]
	s_cbranch_execz .LBB1616_446
; %bb.445:
	s_sub_i32 s2, s9, s8
	s_min_u32 s2, s2, 6
	v_lshrrev_b32_e32 v2, s8, v3
	v_bfe_u32 v2, v2, 0, s2
	v_lshlrev_b32_e32 v4, 2, v1
	v_lshl_or_b32 v2, v2, 4, v4
	v_mov_b32_e32 v4, 1
	ds_add_u32 v2, v4
	v_mov_b32_e32 v2, 0
.LBB1616_446:
	s_or_b64 exec, exec, s[0:1]
	v_cmp_gt_i32_e64 s[0:1], 10, v2
	s_mov_b64 s[12:13], -1
	s_and_saveexec_b64 s[2:3], s[0:1]
; %bb.447:
	v_cmp_eq_u32_e64 s[0:1], 0, v2
	s_orn2_b64 s[12:13], s[0:1], exec
; %bb.448:
	s_or_b64 exec, exec, s[2:3]
	s_and_saveexec_b64 s[2:3], s[12:13]
	s_cbranch_execz .LBB1616_456
; %bb.449:
	s_add_i32 s11, s8, 6
	s_cmp_le_u32 s9, s11
	s_cselect_b64 s[0:1], -1, 0
	s_and_b64 s[12:13], s[0:1], exec
	s_cselect_b32 s14, 8, 10
	s_nor_b64 s[12:13], s[0:1], vcc
	v_mov_b32_e32 v2, s14
	s_and_saveexec_b64 s[0:1], s[12:13]
	s_cbranch_execz .LBB1616_451
; %bb.450:
	s_sub_i32 s12, s9, s11
	s_min_u32 s12, s12, 6
	v_lshrrev_b32_e32 v2, s11, v3
	v_bfe_u32 v2, v2, 0, s12
	v_lshlrev_b32_e32 v4, 2, v1
	v_lshl_or_b32 v2, v2, 4, v4
	v_mov_b32_e32 v4, 1
	ds_add_u32 v2, v4 offset:1024
	v_mov_b32_e32 v2, 0
.LBB1616_451:
	s_or_b64 exec, exec, s[0:1]
	v_cmp_gt_i32_e64 s[0:1], 10, v2
	s_mov_b64 s[12:13], -1
	s_and_saveexec_b64 s[14:15], s[0:1]
; %bb.452:
	v_cmp_eq_u32_e64 s[0:1], 0, v2
	s_orn2_b64 s[12:13], s[0:1], exec
; %bb.453:
	s_or_b64 exec, exec, s[14:15]
	s_and_b64 exec, exec, s[12:13]
	s_cbranch_execz .LBB1616_456
; %bb.454:
	s_add_i32 s0, s8, 12
	s_cmp_gt_u32 s9, s0
	s_cselect_b64 s[12:13], -1, 0
	s_xor_b64 s[14:15], vcc, -1
	s_and_b64 s[12:13], s[12:13], s[14:15]
	s_and_b64 exec, exec, s[12:13]
	s_cbranch_execz .LBB1616_456
; %bb.455:
	s_sub_i32 s1, s9, s0
	s_min_u32 s1, s1, 6
	v_lshrrev_b32_e32 v2, s0, v3
	v_bfe_u32 v2, v2, 0, s1
	v_lshlrev_b32_e32 v1, 2, v1
	v_lshl_or_b32 v1, v2, 4, v1
	v_mov_b32_e32 v2, 1
	ds_add_u32 v1, v2 offset:2048
.LBB1616_456:
	s_or_b64 exec, exec, s[2:3]
	s_cmp_lt_u32 s8, s9
	s_waitcnt lgkmcnt(0)
	s_barrier
	s_cbranch_scc0 .LBB1616_461
; %bb.457:
	v_cmp_gt_u32_e32 vcc, 64, v0
	v_lshlrev_b32_e32 v1, 4, v0
	v_mov_b32_e32 v3, 0
	v_mov_b32_e32 v2, v0
	s_mov_b32 s2, s8
	s_branch .LBB1616_459
.LBB1616_458:                           ;   in Loop: Header=BB1616_459 Depth=1
	s_or_b64 exec, exec, s[0:1]
	s_add_i32 s2, s2, 6
	v_add_u32_e32 v2, 64, v2
	s_cmp_lt_u32 s2, s9
	v_add_u32_e32 v1, 0x400, v1
	s_cbranch_scc0 .LBB1616_461
.LBB1616_459:                           ; =>This Inner Loop Header: Depth=1
	s_and_saveexec_b64 s[0:1], vcc
	s_cbranch_execz .LBB1616_458
; %bb.460:                              ;   in Loop: Header=BB1616_459 Depth=1
	ds_read2_b32 v[4:5], v1 offset1:1
	ds_read2_b32 v[6:7], v1 offset0:2 offset1:3
	s_waitcnt lgkmcnt(1)
	v_add_u32_e32 v4, v5, v4
	s_waitcnt lgkmcnt(0)
	v_add3_u32 v6, v4, v6, v7
	v_lshl_add_u64 v[4:5], v[2:3], 2, s[6:7]
	global_atomic_add v[4:5], v6, off
	s_branch .LBB1616_458
.LBB1616_461:
	s_mov_b64 s[2:3], 0
.LBB1616_462:
	s_and_b64 vcc, exec, s[2:3]
	s_cbranch_vccz .LBB1616_632
; %bb.463:
	s_cmp_lg_u32 s8, 0
	s_cselect_b64 s[0:1], -1, 0
	s_cmp_lg_u32 s9, 16
	s_mov_b32 s11, 0
	s_cselect_b64 s[2:3], -1, 0
	s_or_b64 s[2:3], s[0:1], s[2:3]
	s_lshl_b64 s[0:1], s[10:11], 1
	s_add_u32 s0, s4, s0
	s_addc_u32 s1, s5, s1
	v_mov_b32_e32 v3, 0
	v_lshlrev_b32_e32 v2, 1, v0
	v_lshl_add_u64 v[28:29], s[0:1], 0, v[2:3]
	s_movk_i32 s4, 0x1000
	v_add_co_u32_e32 v30, vcc, s4, v28
	s_movk_i32 s4, 0x2000
	s_nop 0
	v_addc_co_u32_e32 v31, vcc, 0, v29, vcc
	v_add_co_u32_e32 v12, vcc, s4, v28
	s_movk_i32 s4, 0x3000
	s_nop 0
	v_addc_co_u32_e32 v13, vcc, 0, v29, vcc
	;; [unrolled: 4-line block ×5, first 2 shown]
	v_add_co_u32_e32 v36, vcc, s4, v28
	global_load_ushort v10, v2, s[0:1] offset:3072
	global_load_ushort v11, v[12:13], off offset:-4096
	global_load_ushort v4, v[12:13], off
	global_load_ushort v5, v[12:13], off offset:1024
	global_load_ushort v6, v[12:13], off offset:2048
	global_load_ushort v7, v[12:13], off offset:3072
	global_load_ushort v8, v[34:35], off offset:-4096
	global_load_ushort v9, v[34:35], off
	v_addc_co_u32_e32 v37, vcc, 0, v29, vcc
	global_load_ushort v24, v[30:31], off offset:1024
	global_load_ushort v25, v[30:31], off offset:2048
	;; [unrolled: 1-line block ×11, first 2 shown]
	global_load_ushort v23, v[36:37], off offset:-4096
	global_load_ushort v17, v[36:37], off
	global_load_ushort v18, v[36:37], off offset:1024
	global_load_ushort v19, v[36:37], off offset:2048
                                        ; kill: killed $vgpr32 killed $vgpr33
                                        ; kill: killed $vgpr34 killed $vgpr35
                                        ; kill: killed $vgpr30 killed $vgpr31
	global_load_ushort v27, v[36:37], off offset:3072
	v_add_co_u32_e32 v40, vcc, 0x7000, v28
	v_and_b32_e32 v32, 3, v0
	s_nop 0
	v_addc_co_u32_e32 v41, vcc, 0, v29, vcc
	global_load_ushort v34, v2, s[0:1]
	global_load_ushort v35, v2, s[0:1] offset:1024
	global_load_ushort v36, v2, s[0:1] offset:2048
	global_load_ushort v33, v[38:39], off offset:3072
	global_load_ushort v28, v[40:41], off
	global_load_ushort v29, v[40:41], off offset:1024
	global_load_ushort v30, v[40:41], off offset:2048
	;; [unrolled: 1-line block ×3, first 2 shown]
	s_movk_i32 s0, 0x300
	v_cmp_gt_u32_e64 s[0:1], s0, v0
	s_mov_b64 s[4:5], -1
	s_and_b64 vcc, exec, s[2:3]
	s_cbranch_vccz .LBB1616_622
; %bb.464:
	s_and_saveexec_b64 s[4:5], s[0:1]
	s_cbranch_execz .LBB1616_471
; %bb.465:
	s_movk_i32 s2, 0x100
	v_sub_u32_e64 v1, s2, v0 clamp
	v_add_u32_e32 v1, 0x1ff, v1
	v_lshrrev_b32_e32 v2, 9, v1
	s_mov_b32 s10, 0
	v_mov_b32_e32 v1, v2
	v_lshlrev_b32_e32 v3, 2, v0
	s_mov_b32 s11, 1
	s_mov_b64 s[12:13], 0
	v_mov_b32_e32 v37, 0
	s_mov_b32 s14, s10
	s_branch .LBB1616_467
.LBB1616_466:                           ;   in Loop: Header=BB1616_467 Depth=1
	s_or_b64 exec, exec, s[2:3]
	s_add_i32 s14, s14, 2
	v_cmp_eq_u32_e64 s[2:3], 2, s14
	s_or_b64 s[12:13], s[2:3], s[12:13]
	v_add_u32_e32 v3, 0x1000, v3
	s_andn2_b64 exec, exec, s[12:13]
	s_cbranch_execz .LBB1616_471
.LBB1616_467:                           ; =>This Inner Loop Header: Depth=1
	s_mov_b32 s15, s14
	s_or_b64 s[2:3], s[14:15], s[10:11]
	v_cmp_le_u32_e32 vcc, s3, v1
	v_cmp_le_u32_e64 s[2:3], s2, v2
	s_and_saveexec_b64 s[16:17], s[2:3]
; %bb.468:                              ;   in Loop: Header=BB1616_467 Depth=1
	ds_write_b32 v3, v37
; %bb.469:                              ;   in Loop: Header=BB1616_467 Depth=1
	s_or_b64 exec, exec, s[16:17]
	s_and_saveexec_b64 s[2:3], vcc
	s_cbranch_execz .LBB1616_466
; %bb.470:                              ;   in Loop: Header=BB1616_467 Depth=1
	ds_write_b32 v3, v37 offset:2048
	s_branch .LBB1616_466
.LBB1616_471:
	s_or_b64 exec, exec, s[4:5]
	s_cmp_lt_u32 s8, s9
	s_cselect_b64 s[2:3], -1, 0
	s_and_b64 vcc, exec, s[2:3]
	s_waitcnt lgkmcnt(0)
	s_barrier
	s_cbranch_vccz .LBB1616_616
; %bb.472:
	s_sub_i32 s4, s9, s8
	s_waitcnt vmcnt(7)
	v_xor_b32_e32 v3, 0xffff8000, v34
	s_min_u32 s4, s4, 6
	s_lshl_b32 s4, -1, s4
	v_lshrrev_b32_sdwa v1, s8, v3 dst_sel:DWORD dst_unused:UNUSED_PAD src0_sel:DWORD src1_sel:WORD_0
	v_bitop3_b32 v37, v1, s4, v1 bitop3:0x30
	v_lshlrev_b32_e32 v1, 2, v32
	v_lshl_or_b32 v37, v37, 4, v1
	v_mov_b32_e32 v38, 1
	s_not_b32 s14, s4
	ds_add_u32 v37, v38
	s_add_i32 s15, s8, 6
	s_cmp_le_u32 s9, s15
	s_waitcnt vmcnt(6)
	v_xor_b32_e32 v2, 0xffff8000, v35
	s_cselect_b64 s[4:5], -1, 0
	s_and_b64 vcc, exec, s[4:5]
	v_lshrrev_b32_sdwa v37, s8, v2 dst_sel:DWORD dst_unused:UNUSED_PAD src0_sel:DWORD src1_sel:WORD_0
	s_cbranch_vccz .LBB1616_474
; %bb.473:
	v_and_b32_e32 v38, s14, v37
	v_lshlrev_b32_e32 v38, 4, v38
	s_mov_b64 s[10:11], -1
	s_cbranch_execz .LBB1616_475
	s_branch .LBB1616_479
.LBB1616_474:
	s_mov_b64 s[10:11], 0
                                        ; implicit-def: $vgpr38
.LBB1616_475:
	s_sub_i32 s12, s9, s15
	s_min_u32 s12, s12, 6
	s_lshl_b32 s12, -1, s12
	v_lshrrev_b32_sdwa v38, s15, v3 dst_sel:DWORD dst_unused:UNUSED_PAD src0_sel:DWORD src1_sel:WORD_0
	v_bitop3_b32 v38, v38, s12, v38 bitop3:0x30
	v_lshl_or_b32 v39, v38, 4, v1
	v_mov_b32_e32 v38, 1
	ds_add_u32 v39, v38 offset:1024
	s_not_b32 s17, s12
	s_add_i32 s16, s8, 12
	s_cmp_gt_u32 s9, s16
	s_cselect_b64 s[12:13], -1, 0
	s_cmp_le_u32 s9, s16
	s_cbranch_scc1 .LBB1616_477
; %bb.476:
	s_sub_i32 s18, s9, s16
	s_min_u32 s18, s18, 6
	v_lshrrev_b32_sdwa v3, s16, v3 dst_sel:DWORD dst_unused:UNUSED_PAD src0_sel:DWORD src1_sel:WORD_0
	v_bfe_u32 v3, v3, 0, s18
	v_lshl_or_b32 v3, v3, 4, v1
	ds_add_u32 v3, v38 offset:2048
.LBB1616_477:
	v_and_b32_e32 v3, s14, v37
	v_lshl_or_b32 v3, v3, 4, v1
	ds_add_u32 v3, v38
	v_lshrrev_b32_sdwa v3, s15, v2 dst_sel:DWORD dst_unused:UNUSED_PAD src0_sel:DWORD src1_sel:WORD_0
	v_and_b32_e32 v3, s17, v3
	v_lshl_or_b32 v3, v3, 4, v1
	ds_add_u32 v3, v38 offset:1024
	s_andn2_b64 vcc, exec, s[12:13]
                                        ; implicit-def: $vgpr38
	s_cbranch_vccnz .LBB1616_479
; %bb.478:
	s_sub_i32 s10, s9, s16
	s_min_u32 s10, s10, 6
	v_lshrrev_b32_sdwa v2, s16, v2 dst_sel:DWORD dst_unused:UNUSED_PAD src0_sel:DWORD src1_sel:WORD_0
	v_bfe_u32 v2, v2, 0, s10
	v_mov_b32_e32 v3, 0x800
	v_lshl_or_b32 v38, v2, 4, v3
	s_mov_b64 s[10:11], -1
.LBB1616_479:
	s_and_b64 vcc, exec, s[10:11]
	s_cbranch_vccz .LBB1616_481
; %bb.480:
	v_lshl_add_u32 v2, v32, 2, v38
	v_mov_b32_e32 v3, 1
	ds_add_u32 v2, v3
.LBB1616_481:
	s_waitcnt vmcnt(5)
	v_xor_b32_e32 v3, 0xffff8000, v36
	v_lshrrev_b32_sdwa v37, s8, v3 dst_sel:DWORD dst_unused:UNUSED_PAD src0_sel:DWORD src1_sel:WORD_0
	v_and_b32_e32 v37, s14, v37
	v_lshl_or_b32 v37, v37, 4, v1
	v_mov_b32_e32 v38, 1
	ds_add_u32 v37, v38
	v_xor_b32_e32 v2, 0xffff8000, v10
	s_and_b64 vcc, exec, s[4:5]
	v_lshrrev_b32_sdwa v37, s8, v2 dst_sel:DWORD dst_unused:UNUSED_PAD src0_sel:DWORD src1_sel:WORD_0
	s_cbranch_vccz .LBB1616_483
; %bb.482:
	v_and_b32_e32 v38, s14, v37
	v_lshlrev_b32_e32 v38, 4, v38
	s_mov_b64 s[10:11], -1
	s_cbranch_execz .LBB1616_484
	s_branch .LBB1616_488
.LBB1616_483:
	s_mov_b64 s[10:11], 0
                                        ; implicit-def: $vgpr38
.LBB1616_484:
	s_sub_i32 s12, s9, s15
	s_min_u32 s12, s12, 6
	s_lshl_b32 s12, -1, s12
	v_lshrrev_b32_sdwa v38, s15, v3 dst_sel:DWORD dst_unused:UNUSED_PAD src0_sel:DWORD src1_sel:WORD_0
	v_bitop3_b32 v38, v38, s12, v38 bitop3:0x30
	v_lshl_or_b32 v39, v38, 4, v1
	v_mov_b32_e32 v38, 1
	ds_add_u32 v39, v38 offset:1024
	s_not_b32 s17, s12
	s_add_i32 s16, s8, 12
	s_cmp_gt_u32 s9, s16
	s_cselect_b64 s[12:13], -1, 0
	s_cmp_le_u32 s9, s16
	s_cbranch_scc1 .LBB1616_486
; %bb.485:
	s_sub_i32 s18, s9, s16
	s_min_u32 s18, s18, 6
	v_lshrrev_b32_sdwa v3, s16, v3 dst_sel:DWORD dst_unused:UNUSED_PAD src0_sel:DWORD src1_sel:WORD_0
	v_bfe_u32 v3, v3, 0, s18
	v_lshl_or_b32 v3, v3, 4, v1
	ds_add_u32 v3, v38 offset:2048
.LBB1616_486:
	v_and_b32_e32 v3, s14, v37
	v_lshl_or_b32 v3, v3, 4, v1
	ds_add_u32 v3, v38
	v_lshrrev_b32_sdwa v3, s15, v2 dst_sel:DWORD dst_unused:UNUSED_PAD src0_sel:DWORD src1_sel:WORD_0
	v_and_b32_e32 v3, s17, v3
	v_lshl_or_b32 v3, v3, 4, v1
	ds_add_u32 v3, v38 offset:1024
	s_andn2_b64 vcc, exec, s[12:13]
                                        ; implicit-def: $vgpr38
	s_cbranch_vccnz .LBB1616_488
; %bb.487:
	s_sub_i32 s10, s9, s16
	s_min_u32 s10, s10, 6
	v_lshrrev_b32_sdwa v2, s16, v2 dst_sel:DWORD dst_unused:UNUSED_PAD src0_sel:DWORD src1_sel:WORD_0
	v_bfe_u32 v2, v2, 0, s10
	v_mov_b32_e32 v3, 0x800
	v_lshl_or_b32 v38, v2, 4, v3
	s_mov_b64 s[10:11], -1
.LBB1616_488:
	s_and_b64 vcc, exec, s[10:11]
	s_cbranch_vccz .LBB1616_490
; %bb.489:
	v_lshl_add_u32 v2, v32, 2, v38
	v_mov_b32_e32 v3, 1
	ds_add_u32 v2, v3
.LBB1616_490:
	v_xor_b32_e32 v3, 0xffff8000, v11
	v_lshrrev_b32_sdwa v37, s8, v3 dst_sel:DWORD dst_unused:UNUSED_PAD src0_sel:DWORD src1_sel:WORD_0
	v_and_b32_e32 v37, s14, v37
	v_lshl_or_b32 v37, v37, 4, v1
	v_mov_b32_e32 v38, 1
	ds_add_u32 v37, v38
	v_xor_b32_e32 v2, 0xffff8000, v24
	s_and_b64 vcc, exec, s[4:5]
	v_lshrrev_b32_sdwa v37, s8, v2 dst_sel:DWORD dst_unused:UNUSED_PAD src0_sel:DWORD src1_sel:WORD_0
	s_cbranch_vccz .LBB1616_492
; %bb.491:
	v_and_b32_e32 v38, s14, v37
	v_lshlrev_b32_e32 v38, 4, v38
	s_mov_b64 s[10:11], -1
	s_cbranch_execz .LBB1616_493
	s_branch .LBB1616_497
.LBB1616_492:
	s_mov_b64 s[10:11], 0
                                        ; implicit-def: $vgpr38
.LBB1616_493:
	s_sub_i32 s12, s9, s15
	s_min_u32 s12, s12, 6
	s_lshl_b32 s12, -1, s12
	v_lshrrev_b32_sdwa v38, s15, v3 dst_sel:DWORD dst_unused:UNUSED_PAD src0_sel:DWORD src1_sel:WORD_0
	v_bitop3_b32 v38, v38, s12, v38 bitop3:0x30
	v_lshl_or_b32 v39, v38, 4, v1
	v_mov_b32_e32 v38, 1
	ds_add_u32 v39, v38 offset:1024
	s_not_b32 s17, s12
	s_add_i32 s16, s8, 12
	s_cmp_gt_u32 s9, s16
	s_cselect_b64 s[12:13], -1, 0
	s_cmp_le_u32 s9, s16
	s_cbranch_scc1 .LBB1616_495
; %bb.494:
	s_sub_i32 s18, s9, s16
	s_min_u32 s18, s18, 6
	v_lshrrev_b32_sdwa v3, s16, v3 dst_sel:DWORD dst_unused:UNUSED_PAD src0_sel:DWORD src1_sel:WORD_0
	v_bfe_u32 v3, v3, 0, s18
	v_lshl_or_b32 v3, v3, 4, v1
	ds_add_u32 v3, v38 offset:2048
.LBB1616_495:
	v_and_b32_e32 v3, s14, v37
	v_lshl_or_b32 v3, v3, 4, v1
	ds_add_u32 v3, v38
	v_lshrrev_b32_sdwa v3, s15, v2 dst_sel:DWORD dst_unused:UNUSED_PAD src0_sel:DWORD src1_sel:WORD_0
	v_and_b32_e32 v3, s17, v3
	v_lshl_or_b32 v3, v3, 4, v1
	ds_add_u32 v3, v38 offset:1024
	s_andn2_b64 vcc, exec, s[12:13]
                                        ; implicit-def: $vgpr38
	s_cbranch_vccnz .LBB1616_497
; %bb.496:
	s_sub_i32 s10, s9, s16
	s_min_u32 s10, s10, 6
	v_lshrrev_b32_sdwa v2, s16, v2 dst_sel:DWORD dst_unused:UNUSED_PAD src0_sel:DWORD src1_sel:WORD_0
	v_bfe_u32 v2, v2, 0, s10
	v_mov_b32_e32 v3, 0x800
	v_lshl_or_b32 v38, v2, 4, v3
	s_mov_b64 s[10:11], -1
.LBB1616_497:
	s_and_b64 vcc, exec, s[10:11]
	s_cbranch_vccz .LBB1616_499
; %bb.498:
	v_lshl_add_u32 v2, v32, 2, v38
	v_mov_b32_e32 v3, 1
	ds_add_u32 v2, v3
.LBB1616_499:
	v_xor_b32_e32 v3, 0xffff8000, v25
	v_lshrrev_b32_sdwa v37, s8, v3 dst_sel:DWORD dst_unused:UNUSED_PAD src0_sel:DWORD src1_sel:WORD_0
	v_and_b32_e32 v37, s14, v37
	v_lshl_or_b32 v37, v37, 4, v1
	v_mov_b32_e32 v38, 1
	ds_add_u32 v37, v38
	v_xor_b32_e32 v2, 0xffff8000, v26
	s_and_b64 vcc, exec, s[4:5]
	v_lshrrev_b32_sdwa v37, s8, v2 dst_sel:DWORD dst_unused:UNUSED_PAD src0_sel:DWORD src1_sel:WORD_0
	s_cbranch_vccz .LBB1616_501
; %bb.500:
	v_and_b32_e32 v38, s14, v37
	v_lshlrev_b32_e32 v38, 4, v38
	s_mov_b64 s[10:11], -1
	s_cbranch_execz .LBB1616_502
	s_branch .LBB1616_506
.LBB1616_501:
	s_mov_b64 s[10:11], 0
                                        ; implicit-def: $vgpr38
.LBB1616_502:
	s_sub_i32 s12, s9, s15
	s_min_u32 s12, s12, 6
	s_lshl_b32 s12, -1, s12
	v_lshrrev_b32_sdwa v38, s15, v3 dst_sel:DWORD dst_unused:UNUSED_PAD src0_sel:DWORD src1_sel:WORD_0
	v_bitop3_b32 v38, v38, s12, v38 bitop3:0x30
	v_lshl_or_b32 v39, v38, 4, v1
	v_mov_b32_e32 v38, 1
	ds_add_u32 v39, v38 offset:1024
	s_not_b32 s17, s12
	s_add_i32 s16, s8, 12
	s_cmp_gt_u32 s9, s16
	s_cselect_b64 s[12:13], -1, 0
	s_cmp_le_u32 s9, s16
	s_cbranch_scc1 .LBB1616_504
; %bb.503:
	s_sub_i32 s18, s9, s16
	s_min_u32 s18, s18, 6
	v_lshrrev_b32_sdwa v3, s16, v3 dst_sel:DWORD dst_unused:UNUSED_PAD src0_sel:DWORD src1_sel:WORD_0
	v_bfe_u32 v3, v3, 0, s18
	v_lshl_or_b32 v3, v3, 4, v1
	ds_add_u32 v3, v38 offset:2048
.LBB1616_504:
	v_and_b32_e32 v3, s14, v37
	v_lshl_or_b32 v3, v3, 4, v1
	ds_add_u32 v3, v38
	v_lshrrev_b32_sdwa v3, s15, v2 dst_sel:DWORD dst_unused:UNUSED_PAD src0_sel:DWORD src1_sel:WORD_0
	v_and_b32_e32 v3, s17, v3
	v_lshl_or_b32 v3, v3, 4, v1
	ds_add_u32 v3, v38 offset:1024
	s_andn2_b64 vcc, exec, s[12:13]
                                        ; implicit-def: $vgpr38
	s_cbranch_vccnz .LBB1616_506
; %bb.505:
	s_sub_i32 s10, s9, s16
	s_min_u32 s10, s10, 6
	v_lshrrev_b32_sdwa v2, s16, v2 dst_sel:DWORD dst_unused:UNUSED_PAD src0_sel:DWORD src1_sel:WORD_0
	v_bfe_u32 v2, v2, 0, s10
	v_mov_b32_e32 v3, 0x800
	v_lshl_or_b32 v38, v2, 4, v3
	s_mov_b64 s[10:11], -1
.LBB1616_506:
	s_and_b64 vcc, exec, s[10:11]
	s_cbranch_vccz .LBB1616_508
; %bb.507:
	v_lshl_add_u32 v2, v32, 2, v38
	v_mov_b32_e32 v3, 1
	ds_add_u32 v2, v3
.LBB1616_508:
	v_xor_b32_e32 v3, 0xffff8000, v4
	v_lshrrev_b32_sdwa v37, s8, v3 dst_sel:DWORD dst_unused:UNUSED_PAD src0_sel:DWORD src1_sel:WORD_0
	v_and_b32_e32 v37, s14, v37
	v_lshl_or_b32 v37, v37, 4, v1
	v_mov_b32_e32 v38, 1
	ds_add_u32 v37, v38
	v_xor_b32_e32 v2, 0xffff8000, v5
	s_and_b64 vcc, exec, s[4:5]
	v_lshrrev_b32_sdwa v37, s8, v2 dst_sel:DWORD dst_unused:UNUSED_PAD src0_sel:DWORD src1_sel:WORD_0
	s_cbranch_vccz .LBB1616_510
; %bb.509:
	v_and_b32_e32 v38, s14, v37
	v_lshlrev_b32_e32 v38, 4, v38
	s_mov_b64 s[10:11], -1
	s_cbranch_execz .LBB1616_511
	s_branch .LBB1616_515
.LBB1616_510:
	s_mov_b64 s[10:11], 0
                                        ; implicit-def: $vgpr38
.LBB1616_511:
	s_sub_i32 s12, s9, s15
	s_min_u32 s12, s12, 6
	s_lshl_b32 s12, -1, s12
	v_lshrrev_b32_sdwa v38, s15, v3 dst_sel:DWORD dst_unused:UNUSED_PAD src0_sel:DWORD src1_sel:WORD_0
	v_bitop3_b32 v38, v38, s12, v38 bitop3:0x30
	v_lshl_or_b32 v39, v38, 4, v1
	v_mov_b32_e32 v38, 1
	ds_add_u32 v39, v38 offset:1024
	s_not_b32 s17, s12
	s_add_i32 s16, s8, 12
	s_cmp_gt_u32 s9, s16
	s_cselect_b64 s[12:13], -1, 0
	s_cmp_le_u32 s9, s16
	s_cbranch_scc1 .LBB1616_513
; %bb.512:
	s_sub_i32 s18, s9, s16
	s_min_u32 s18, s18, 6
	v_lshrrev_b32_sdwa v3, s16, v3 dst_sel:DWORD dst_unused:UNUSED_PAD src0_sel:DWORD src1_sel:WORD_0
	v_bfe_u32 v3, v3, 0, s18
	v_lshl_or_b32 v3, v3, 4, v1
	ds_add_u32 v3, v38 offset:2048
.LBB1616_513:
	v_and_b32_e32 v3, s14, v37
	v_lshl_or_b32 v3, v3, 4, v1
	ds_add_u32 v3, v38
	v_lshrrev_b32_sdwa v3, s15, v2 dst_sel:DWORD dst_unused:UNUSED_PAD src0_sel:DWORD src1_sel:WORD_0
	v_and_b32_e32 v3, s17, v3
	v_lshl_or_b32 v3, v3, 4, v1
	ds_add_u32 v3, v38 offset:1024
	s_andn2_b64 vcc, exec, s[12:13]
                                        ; implicit-def: $vgpr38
	s_cbranch_vccnz .LBB1616_515
; %bb.514:
	s_sub_i32 s10, s9, s16
	s_min_u32 s10, s10, 6
	v_lshrrev_b32_sdwa v2, s16, v2 dst_sel:DWORD dst_unused:UNUSED_PAD src0_sel:DWORD src1_sel:WORD_0
	v_bfe_u32 v2, v2, 0, s10
	v_mov_b32_e32 v3, 0x800
	v_lshl_or_b32 v38, v2, 4, v3
	s_mov_b64 s[10:11], -1
.LBB1616_515:
	s_and_b64 vcc, exec, s[10:11]
	s_cbranch_vccz .LBB1616_517
; %bb.516:
	v_lshl_add_u32 v2, v32, 2, v38
	v_mov_b32_e32 v3, 1
	ds_add_u32 v2, v3
.LBB1616_517:
	v_xor_b32_e32 v3, 0xffff8000, v6
	v_lshrrev_b32_sdwa v37, s8, v3 dst_sel:DWORD dst_unused:UNUSED_PAD src0_sel:DWORD src1_sel:WORD_0
	v_and_b32_e32 v37, s14, v37
	v_lshl_or_b32 v37, v37, 4, v1
	v_mov_b32_e32 v38, 1
	ds_add_u32 v37, v38
	v_xor_b32_e32 v2, 0xffff8000, v7
	s_and_b64 vcc, exec, s[4:5]
	v_lshrrev_b32_sdwa v37, s8, v2 dst_sel:DWORD dst_unused:UNUSED_PAD src0_sel:DWORD src1_sel:WORD_0
	s_cbranch_vccz .LBB1616_519
; %bb.518:
	v_and_b32_e32 v38, s14, v37
	v_lshlrev_b32_e32 v38, 4, v38
	s_mov_b64 s[10:11], -1
	s_cbranch_execz .LBB1616_520
	s_branch .LBB1616_524
.LBB1616_519:
	s_mov_b64 s[10:11], 0
                                        ; implicit-def: $vgpr38
.LBB1616_520:
	s_sub_i32 s12, s9, s15
	s_min_u32 s12, s12, 6
	s_lshl_b32 s12, -1, s12
	v_lshrrev_b32_sdwa v38, s15, v3 dst_sel:DWORD dst_unused:UNUSED_PAD src0_sel:DWORD src1_sel:WORD_0
	v_bitop3_b32 v38, v38, s12, v38 bitop3:0x30
	v_lshl_or_b32 v39, v38, 4, v1
	v_mov_b32_e32 v38, 1
	ds_add_u32 v39, v38 offset:1024
	s_not_b32 s17, s12
	s_add_i32 s16, s8, 12
	s_cmp_gt_u32 s9, s16
	s_cselect_b64 s[12:13], -1, 0
	s_cmp_le_u32 s9, s16
	s_cbranch_scc1 .LBB1616_522
; %bb.521:
	s_sub_i32 s18, s9, s16
	s_min_u32 s18, s18, 6
	v_lshrrev_b32_sdwa v3, s16, v3 dst_sel:DWORD dst_unused:UNUSED_PAD src0_sel:DWORD src1_sel:WORD_0
	v_bfe_u32 v3, v3, 0, s18
	v_lshl_or_b32 v3, v3, 4, v1
	ds_add_u32 v3, v38 offset:2048
.LBB1616_522:
	v_and_b32_e32 v3, s14, v37
	v_lshl_or_b32 v3, v3, 4, v1
	ds_add_u32 v3, v38
	v_lshrrev_b32_sdwa v3, s15, v2 dst_sel:DWORD dst_unused:UNUSED_PAD src0_sel:DWORD src1_sel:WORD_0
	v_and_b32_e32 v3, s17, v3
	v_lshl_or_b32 v3, v3, 4, v1
	ds_add_u32 v3, v38 offset:1024
	s_andn2_b64 vcc, exec, s[12:13]
                                        ; implicit-def: $vgpr38
	s_cbranch_vccnz .LBB1616_524
; %bb.523:
	s_sub_i32 s10, s9, s16
	s_min_u32 s10, s10, 6
	v_lshrrev_b32_sdwa v2, s16, v2 dst_sel:DWORD dst_unused:UNUSED_PAD src0_sel:DWORD src1_sel:WORD_0
	v_bfe_u32 v2, v2, 0, s10
	v_mov_b32_e32 v3, 0x800
	v_lshl_or_b32 v38, v2, 4, v3
	s_mov_b64 s[10:11], -1
.LBB1616_524:
	s_and_b64 vcc, exec, s[10:11]
	s_cbranch_vccz .LBB1616_526
; %bb.525:
	v_lshl_add_u32 v2, v32, 2, v38
	v_mov_b32_e32 v3, 1
	ds_add_u32 v2, v3
.LBB1616_526:
	v_xor_b32_e32 v3, 0xffff8000, v8
	v_lshrrev_b32_sdwa v37, s8, v3 dst_sel:DWORD dst_unused:UNUSED_PAD src0_sel:DWORD src1_sel:WORD_0
	v_and_b32_e32 v37, s14, v37
	v_lshl_or_b32 v37, v37, 4, v1
	v_mov_b32_e32 v38, 1
	ds_add_u32 v37, v38
	v_xor_b32_e32 v2, 0xffff8000, v14
	s_and_b64 vcc, exec, s[4:5]
	v_lshrrev_b32_sdwa v37, s8, v2 dst_sel:DWORD dst_unused:UNUSED_PAD src0_sel:DWORD src1_sel:WORD_0
	s_cbranch_vccz .LBB1616_528
; %bb.527:
	v_and_b32_e32 v38, s14, v37
	v_lshlrev_b32_e32 v38, 4, v38
	s_mov_b64 s[10:11], -1
	s_cbranch_execz .LBB1616_529
	s_branch .LBB1616_533
.LBB1616_528:
	s_mov_b64 s[10:11], 0
                                        ; implicit-def: $vgpr38
.LBB1616_529:
	s_sub_i32 s12, s9, s15
	s_min_u32 s12, s12, 6
	s_lshl_b32 s12, -1, s12
	v_lshrrev_b32_sdwa v38, s15, v3 dst_sel:DWORD dst_unused:UNUSED_PAD src0_sel:DWORD src1_sel:WORD_0
	v_bitop3_b32 v38, v38, s12, v38 bitop3:0x30
	v_lshl_or_b32 v39, v38, 4, v1
	v_mov_b32_e32 v38, 1
	ds_add_u32 v39, v38 offset:1024
	s_not_b32 s17, s12
	s_add_i32 s16, s8, 12
	s_cmp_gt_u32 s9, s16
	s_cselect_b64 s[12:13], -1, 0
	s_cmp_le_u32 s9, s16
	s_cbranch_scc1 .LBB1616_531
; %bb.530:
	s_sub_i32 s18, s9, s16
	s_min_u32 s18, s18, 6
	v_lshrrev_b32_sdwa v3, s16, v3 dst_sel:DWORD dst_unused:UNUSED_PAD src0_sel:DWORD src1_sel:WORD_0
	v_bfe_u32 v3, v3, 0, s18
	v_lshl_or_b32 v3, v3, 4, v1
	ds_add_u32 v3, v38 offset:2048
.LBB1616_531:
	v_and_b32_e32 v3, s14, v37
	v_lshl_or_b32 v3, v3, 4, v1
	ds_add_u32 v3, v38
	v_lshrrev_b32_sdwa v3, s15, v2 dst_sel:DWORD dst_unused:UNUSED_PAD src0_sel:DWORD src1_sel:WORD_0
	v_and_b32_e32 v3, s17, v3
	v_lshl_or_b32 v3, v3, 4, v1
	ds_add_u32 v3, v38 offset:1024
	s_andn2_b64 vcc, exec, s[12:13]
                                        ; implicit-def: $vgpr38
	s_cbranch_vccnz .LBB1616_533
; %bb.532:
	s_sub_i32 s10, s9, s16
	s_min_u32 s10, s10, 6
	v_lshrrev_b32_sdwa v2, s16, v2 dst_sel:DWORD dst_unused:UNUSED_PAD src0_sel:DWORD src1_sel:WORD_0
	v_bfe_u32 v2, v2, 0, s10
	v_mov_b32_e32 v3, 0x800
	v_lshl_or_b32 v38, v2, 4, v3
	s_mov_b64 s[10:11], -1
.LBB1616_533:
	s_and_b64 vcc, exec, s[10:11]
	s_cbranch_vccz .LBB1616_535
; %bb.534:
	v_lshl_add_u32 v2, v32, 2, v38
	v_mov_b32_e32 v3, 1
	ds_add_u32 v2, v3
.LBB1616_535:
	v_xor_b32_e32 v3, 0xffff8000, v15
	v_lshrrev_b32_sdwa v37, s8, v3 dst_sel:DWORD dst_unused:UNUSED_PAD src0_sel:DWORD src1_sel:WORD_0
	v_and_b32_e32 v37, s14, v37
	v_lshl_or_b32 v37, v37, 4, v1
	v_mov_b32_e32 v38, 1
	ds_add_u32 v37, v38
	v_xor_b32_e32 v2, 0xffff8000, v16
	s_and_b64 vcc, exec, s[4:5]
	v_lshrrev_b32_sdwa v37, s8, v2 dst_sel:DWORD dst_unused:UNUSED_PAD src0_sel:DWORD src1_sel:WORD_0
	s_cbranch_vccz .LBB1616_537
; %bb.536:
	v_and_b32_e32 v38, s14, v37
	v_lshlrev_b32_e32 v38, 4, v38
	s_mov_b64 s[10:11], -1
	s_cbranch_execz .LBB1616_538
	s_branch .LBB1616_542
.LBB1616_537:
	s_mov_b64 s[10:11], 0
                                        ; implicit-def: $vgpr38
.LBB1616_538:
	s_sub_i32 s12, s9, s15
	s_min_u32 s12, s12, 6
	s_lshl_b32 s12, -1, s12
	v_lshrrev_b32_sdwa v38, s15, v3 dst_sel:DWORD dst_unused:UNUSED_PAD src0_sel:DWORD src1_sel:WORD_0
	v_bitop3_b32 v38, v38, s12, v38 bitop3:0x30
	v_lshl_or_b32 v39, v38, 4, v1
	v_mov_b32_e32 v38, 1
	ds_add_u32 v39, v38 offset:1024
	s_not_b32 s17, s12
	s_add_i32 s16, s8, 12
	s_cmp_gt_u32 s9, s16
	s_cselect_b64 s[12:13], -1, 0
	s_cmp_le_u32 s9, s16
	s_cbranch_scc1 .LBB1616_540
; %bb.539:
	s_sub_i32 s18, s9, s16
	s_min_u32 s18, s18, 6
	v_lshrrev_b32_sdwa v3, s16, v3 dst_sel:DWORD dst_unused:UNUSED_PAD src0_sel:DWORD src1_sel:WORD_0
	v_bfe_u32 v3, v3, 0, s18
	v_lshl_or_b32 v3, v3, 4, v1
	ds_add_u32 v3, v38 offset:2048
.LBB1616_540:
	v_and_b32_e32 v3, s14, v37
	v_lshl_or_b32 v3, v3, 4, v1
	ds_add_u32 v3, v38
	v_lshrrev_b32_sdwa v3, s15, v2 dst_sel:DWORD dst_unused:UNUSED_PAD src0_sel:DWORD src1_sel:WORD_0
	v_and_b32_e32 v3, s17, v3
	v_lshl_or_b32 v3, v3, 4, v1
	ds_add_u32 v3, v38 offset:1024
	s_andn2_b64 vcc, exec, s[12:13]
                                        ; implicit-def: $vgpr38
	s_cbranch_vccnz .LBB1616_542
; %bb.541:
	s_sub_i32 s10, s9, s16
	s_min_u32 s10, s10, 6
	v_lshrrev_b32_sdwa v2, s16, v2 dst_sel:DWORD dst_unused:UNUSED_PAD src0_sel:DWORD src1_sel:WORD_0
	v_bfe_u32 v2, v2, 0, s10
	v_mov_b32_e32 v3, 0x800
	v_lshl_or_b32 v38, v2, 4, v3
	s_mov_b64 s[10:11], -1
.LBB1616_542:
	s_and_b64 vcc, exec, s[10:11]
	s_cbranch_vccz .LBB1616_544
; %bb.543:
	v_lshl_add_u32 v2, v32, 2, v38
	v_mov_b32_e32 v3, 1
	ds_add_u32 v2, v3
.LBB1616_544:
	v_xor_b32_e32 v3, 0xffff8000, v9
	v_lshrrev_b32_sdwa v37, s8, v3 dst_sel:DWORD dst_unused:UNUSED_PAD src0_sel:DWORD src1_sel:WORD_0
	v_and_b32_e32 v37, s14, v37
	v_lshl_or_b32 v37, v37, 4, v1
	v_mov_b32_e32 v38, 1
	ds_add_u32 v37, v38
	v_xor_b32_e32 v2, 0xffff8000, v20
	s_and_b64 vcc, exec, s[4:5]
	v_lshrrev_b32_sdwa v37, s8, v2 dst_sel:DWORD dst_unused:UNUSED_PAD src0_sel:DWORD src1_sel:WORD_0
	s_cbranch_vccz .LBB1616_546
; %bb.545:
	v_and_b32_e32 v38, s14, v37
	v_lshlrev_b32_e32 v38, 4, v38
	s_mov_b64 s[10:11], -1
	s_cbranch_execz .LBB1616_547
	s_branch .LBB1616_551
.LBB1616_546:
	s_mov_b64 s[10:11], 0
                                        ; implicit-def: $vgpr38
.LBB1616_547:
	s_sub_i32 s12, s9, s15
	s_min_u32 s12, s12, 6
	s_lshl_b32 s12, -1, s12
	v_lshrrev_b32_sdwa v38, s15, v3 dst_sel:DWORD dst_unused:UNUSED_PAD src0_sel:DWORD src1_sel:WORD_0
	v_bitop3_b32 v38, v38, s12, v38 bitop3:0x30
	v_lshl_or_b32 v39, v38, 4, v1
	v_mov_b32_e32 v38, 1
	ds_add_u32 v39, v38 offset:1024
	s_not_b32 s17, s12
	s_add_i32 s16, s8, 12
	s_cmp_gt_u32 s9, s16
	s_cselect_b64 s[12:13], -1, 0
	s_cmp_le_u32 s9, s16
	s_cbranch_scc1 .LBB1616_549
; %bb.548:
	s_sub_i32 s18, s9, s16
	s_min_u32 s18, s18, 6
	v_lshrrev_b32_sdwa v3, s16, v3 dst_sel:DWORD dst_unused:UNUSED_PAD src0_sel:DWORD src1_sel:WORD_0
	v_bfe_u32 v3, v3, 0, s18
	v_lshl_or_b32 v3, v3, 4, v1
	ds_add_u32 v3, v38 offset:2048
.LBB1616_549:
	v_and_b32_e32 v3, s14, v37
	v_lshl_or_b32 v3, v3, 4, v1
	ds_add_u32 v3, v38
	v_lshrrev_b32_sdwa v3, s15, v2 dst_sel:DWORD dst_unused:UNUSED_PAD src0_sel:DWORD src1_sel:WORD_0
	v_and_b32_e32 v3, s17, v3
	v_lshl_or_b32 v3, v3, 4, v1
	ds_add_u32 v3, v38 offset:1024
	s_andn2_b64 vcc, exec, s[12:13]
                                        ; implicit-def: $vgpr38
	s_cbranch_vccnz .LBB1616_551
; %bb.550:
	s_sub_i32 s10, s9, s16
	s_min_u32 s10, s10, 6
	v_lshrrev_b32_sdwa v2, s16, v2 dst_sel:DWORD dst_unused:UNUSED_PAD src0_sel:DWORD src1_sel:WORD_0
	v_bfe_u32 v2, v2, 0, s10
	v_mov_b32_e32 v3, 0x800
	v_lshl_or_b32 v38, v2, 4, v3
	s_mov_b64 s[10:11], -1
.LBB1616_551:
	s_and_b64 vcc, exec, s[10:11]
	s_cbranch_vccz .LBB1616_553
; %bb.552:
	v_lshl_add_u32 v2, v32, 2, v38
	v_mov_b32_e32 v3, 1
	ds_add_u32 v2, v3
.LBB1616_553:
	v_xor_b32_e32 v3, 0xffff8000, v21
	v_lshrrev_b32_sdwa v37, s8, v3 dst_sel:DWORD dst_unused:UNUSED_PAD src0_sel:DWORD src1_sel:WORD_0
	v_and_b32_e32 v37, s14, v37
	v_lshl_or_b32 v37, v37, 4, v1
	v_mov_b32_e32 v38, 1
	ds_add_u32 v37, v38
	v_xor_b32_e32 v2, 0xffff8000, v22
	s_and_b64 vcc, exec, s[4:5]
	v_lshrrev_b32_sdwa v37, s8, v2 dst_sel:DWORD dst_unused:UNUSED_PAD src0_sel:DWORD src1_sel:WORD_0
	s_cbranch_vccz .LBB1616_555
; %bb.554:
	v_and_b32_e32 v38, s14, v37
	v_lshlrev_b32_e32 v38, 4, v38
	s_mov_b64 s[10:11], -1
	s_cbranch_execz .LBB1616_556
	s_branch .LBB1616_560
.LBB1616_555:
	s_mov_b64 s[10:11], 0
                                        ; implicit-def: $vgpr38
.LBB1616_556:
	s_sub_i32 s12, s9, s15
	s_min_u32 s12, s12, 6
	s_lshl_b32 s12, -1, s12
	v_lshrrev_b32_sdwa v38, s15, v3 dst_sel:DWORD dst_unused:UNUSED_PAD src0_sel:DWORD src1_sel:WORD_0
	v_bitop3_b32 v38, v38, s12, v38 bitop3:0x30
	v_lshl_or_b32 v39, v38, 4, v1
	v_mov_b32_e32 v38, 1
	ds_add_u32 v39, v38 offset:1024
	s_not_b32 s17, s12
	s_add_i32 s16, s8, 12
	s_cmp_gt_u32 s9, s16
	s_cselect_b64 s[12:13], -1, 0
	s_cmp_le_u32 s9, s16
	s_cbranch_scc1 .LBB1616_558
; %bb.557:
	s_sub_i32 s18, s9, s16
	v_lshrrev_b32_sdwa v3, s16, v3 dst_sel:DWORD dst_unused:UNUSED_PAD src0_sel:DWORD src1_sel:WORD_0
	s_min_u32 s18, s18, 6
	v_bfe_u32 v3, v3, 0, s18
	v_lshl_or_b32 v3, v3, 4, v1
	ds_add_u32 v3, v38 offset:2048
.LBB1616_558:
	v_and_b32_e32 v3, s14, v37
	v_lshl_or_b32 v3, v3, 4, v1
	ds_add_u32 v3, v38
	v_lshrrev_b32_sdwa v3, s15, v2 dst_sel:DWORD dst_unused:UNUSED_PAD src0_sel:DWORD src1_sel:WORD_0
	v_and_b32_e32 v3, s17, v3
	v_lshl_or_b32 v3, v3, 4, v1
	ds_add_u32 v3, v38 offset:1024
	s_andn2_b64 vcc, exec, s[12:13]
                                        ; implicit-def: $vgpr38
	s_cbranch_vccnz .LBB1616_560
; %bb.559:
	s_sub_i32 s10, s9, s16
	s_min_u32 s10, s10, 6
	v_lshrrev_b32_sdwa v2, s16, v2 dst_sel:DWORD dst_unused:UNUSED_PAD src0_sel:DWORD src1_sel:WORD_0
	v_bfe_u32 v2, v2, 0, s10
	v_mov_b32_e32 v3, 0x800
	v_lshl_or_b32 v38, v2, 4, v3
	s_mov_b64 s[10:11], -1
.LBB1616_560:
	s_and_b64 vcc, exec, s[10:11]
	s_cbranch_vccz .LBB1616_562
; %bb.561:
	v_lshl_add_u32 v2, v32, 2, v38
	v_mov_b32_e32 v3, 1
	ds_add_u32 v2, v3
.LBB1616_562:
	v_xor_b32_e32 v3, 0xffff8000, v23
	v_lshrrev_b32_sdwa v37, s8, v3 dst_sel:DWORD dst_unused:UNUSED_PAD src0_sel:DWORD src1_sel:WORD_0
	v_and_b32_e32 v37, s14, v37
	v_lshl_or_b32 v37, v37, 4, v1
	v_mov_b32_e32 v38, 1
	ds_add_u32 v37, v38
	v_xor_b32_e32 v2, 0xffff8000, v12
	s_and_b64 vcc, exec, s[4:5]
	v_lshrrev_b32_sdwa v37, s8, v2 dst_sel:DWORD dst_unused:UNUSED_PAD src0_sel:DWORD src1_sel:WORD_0
	s_cbranch_vccz .LBB1616_564
; %bb.563:
	v_and_b32_e32 v38, s14, v37
	v_lshlrev_b32_e32 v38, 4, v38
	s_mov_b64 s[10:11], -1
	s_cbranch_execz .LBB1616_565
	s_branch .LBB1616_569
.LBB1616_564:
	s_mov_b64 s[10:11], 0
                                        ; implicit-def: $vgpr38
.LBB1616_565:
	s_sub_i32 s12, s9, s15
	s_min_u32 s12, s12, 6
	s_lshl_b32 s12, -1, s12
	v_lshrrev_b32_sdwa v38, s15, v3 dst_sel:DWORD dst_unused:UNUSED_PAD src0_sel:DWORD src1_sel:WORD_0
	v_bitop3_b32 v38, v38, s12, v38 bitop3:0x30
	v_lshl_or_b32 v39, v38, 4, v1
	v_mov_b32_e32 v38, 1
	ds_add_u32 v39, v38 offset:1024
	s_not_b32 s17, s12
	s_add_i32 s16, s8, 12
	s_cmp_gt_u32 s9, s16
	s_cselect_b64 s[12:13], -1, 0
	s_cmp_le_u32 s9, s16
	s_cbranch_scc1 .LBB1616_567
; %bb.566:
	s_sub_i32 s18, s9, s16
	s_min_u32 s18, s18, 6
	v_lshrrev_b32_sdwa v3, s16, v3 dst_sel:DWORD dst_unused:UNUSED_PAD src0_sel:DWORD src1_sel:WORD_0
	v_bfe_u32 v3, v3, 0, s18
	v_lshl_or_b32 v3, v3, 4, v1
	ds_add_u32 v3, v38 offset:2048
.LBB1616_567:
	v_and_b32_e32 v3, s14, v37
	v_lshl_or_b32 v3, v3, 4, v1
	ds_add_u32 v3, v38
	v_lshrrev_b32_sdwa v3, s15, v2 dst_sel:DWORD dst_unused:UNUSED_PAD src0_sel:DWORD src1_sel:WORD_0
	v_and_b32_e32 v3, s17, v3
	v_lshl_or_b32 v3, v3, 4, v1
	ds_add_u32 v3, v38 offset:1024
	s_andn2_b64 vcc, exec, s[12:13]
                                        ; implicit-def: $vgpr38
	s_cbranch_vccnz .LBB1616_569
; %bb.568:
	s_sub_i32 s10, s9, s16
	s_min_u32 s10, s10, 6
	v_lshrrev_b32_sdwa v2, s16, v2 dst_sel:DWORD dst_unused:UNUSED_PAD src0_sel:DWORD src1_sel:WORD_0
	v_bfe_u32 v2, v2, 0, s10
	v_mov_b32_e32 v3, 0x800
	v_lshl_or_b32 v38, v2, 4, v3
	s_mov_b64 s[10:11], -1
.LBB1616_569:
	s_and_b64 vcc, exec, s[10:11]
	s_cbranch_vccz .LBB1616_571
; %bb.570:
	v_lshl_add_u32 v2, v32, 2, v38
	v_mov_b32_e32 v3, 1
	ds_add_u32 v2, v3
.LBB1616_571:
	v_xor_b32_e32 v3, 0xffff8000, v13
	v_lshrrev_b32_sdwa v37, s8, v3 dst_sel:DWORD dst_unused:UNUSED_PAD src0_sel:DWORD src1_sel:WORD_0
	v_and_b32_e32 v37, s14, v37
	v_lshl_or_b32 v37, v37, 4, v1
	v_mov_b32_e32 v38, 1
	ds_add_u32 v37, v38
	s_waitcnt vmcnt(4)
	v_xor_b32_e32 v2, 0xffff8000, v33
	s_and_b64 vcc, exec, s[4:5]
	v_lshrrev_b32_sdwa v37, s8, v2 dst_sel:DWORD dst_unused:UNUSED_PAD src0_sel:DWORD src1_sel:WORD_0
	s_cbranch_vccz .LBB1616_573
; %bb.572:
	v_and_b32_e32 v38, s14, v37
	v_lshlrev_b32_e32 v38, 4, v38
	s_mov_b64 s[10:11], -1
	s_cbranch_execz .LBB1616_574
	s_branch .LBB1616_578
.LBB1616_573:
	s_mov_b64 s[10:11], 0
                                        ; implicit-def: $vgpr38
.LBB1616_574:
	s_sub_i32 s12, s9, s15
	s_min_u32 s12, s12, 6
	s_lshl_b32 s12, -1, s12
	v_lshrrev_b32_sdwa v38, s15, v3 dst_sel:DWORD dst_unused:UNUSED_PAD src0_sel:DWORD src1_sel:WORD_0
	v_bitop3_b32 v38, v38, s12, v38 bitop3:0x30
	v_lshl_or_b32 v39, v38, 4, v1
	v_mov_b32_e32 v38, 1
	ds_add_u32 v39, v38 offset:1024
	s_not_b32 s17, s12
	s_add_i32 s16, s8, 12
	s_cmp_gt_u32 s9, s16
	s_cselect_b64 s[12:13], -1, 0
	s_cmp_le_u32 s9, s16
	s_cbranch_scc1 .LBB1616_576
; %bb.575:
	s_sub_i32 s18, s9, s16
	s_min_u32 s18, s18, 6
	v_lshrrev_b32_sdwa v3, s16, v3 dst_sel:DWORD dst_unused:UNUSED_PAD src0_sel:DWORD src1_sel:WORD_0
	v_bfe_u32 v3, v3, 0, s18
	v_lshl_or_b32 v3, v3, 4, v1
	ds_add_u32 v3, v38 offset:2048
.LBB1616_576:
	v_and_b32_e32 v3, s14, v37
	v_lshl_or_b32 v3, v3, 4, v1
	ds_add_u32 v3, v38
	v_lshrrev_b32_sdwa v3, s15, v2 dst_sel:DWORD dst_unused:UNUSED_PAD src0_sel:DWORD src1_sel:WORD_0
	v_and_b32_e32 v3, s17, v3
	v_lshl_or_b32 v3, v3, 4, v1
	ds_add_u32 v3, v38 offset:1024
	s_andn2_b64 vcc, exec, s[12:13]
                                        ; implicit-def: $vgpr38
	s_cbranch_vccnz .LBB1616_578
; %bb.577:
	s_sub_i32 s10, s9, s16
	s_min_u32 s10, s10, 6
	v_lshrrev_b32_sdwa v2, s16, v2 dst_sel:DWORD dst_unused:UNUSED_PAD src0_sel:DWORD src1_sel:WORD_0
	v_bfe_u32 v2, v2, 0, s10
	v_mov_b32_e32 v3, 0x800
	v_lshl_or_b32 v38, v2, 4, v3
	s_mov_b64 s[10:11], -1
.LBB1616_578:
	s_and_b64 vcc, exec, s[10:11]
	s_cbranch_vccz .LBB1616_580
; %bb.579:
	v_lshl_add_u32 v2, v32, 2, v38
	v_mov_b32_e32 v3, 1
	ds_add_u32 v2, v3
.LBB1616_580:
	v_xor_b32_e32 v3, 0xffff8000, v17
	v_lshrrev_b32_sdwa v37, s8, v3 dst_sel:DWORD dst_unused:UNUSED_PAD src0_sel:DWORD src1_sel:WORD_0
	v_and_b32_e32 v37, s14, v37
	v_lshl_or_b32 v37, v37, 4, v1
	v_mov_b32_e32 v38, 1
	ds_add_u32 v37, v38
	v_xor_b32_e32 v2, 0xffff8000, v18
	s_and_b64 vcc, exec, s[4:5]
	v_lshrrev_b32_sdwa v37, s8, v2 dst_sel:DWORD dst_unused:UNUSED_PAD src0_sel:DWORD src1_sel:WORD_0
	s_cbranch_vccz .LBB1616_582
; %bb.581:
	v_and_b32_e32 v38, s14, v37
	v_lshlrev_b32_e32 v38, 4, v38
	s_mov_b64 s[10:11], -1
	s_cbranch_execz .LBB1616_583
	s_branch .LBB1616_587
.LBB1616_582:
	s_mov_b64 s[10:11], 0
                                        ; implicit-def: $vgpr38
.LBB1616_583:
	s_sub_i32 s12, s9, s15
	s_min_u32 s12, s12, 6
	s_lshl_b32 s12, -1, s12
	v_lshrrev_b32_sdwa v38, s15, v3 dst_sel:DWORD dst_unused:UNUSED_PAD src0_sel:DWORD src1_sel:WORD_0
	v_bitop3_b32 v38, v38, s12, v38 bitop3:0x30
	v_lshl_or_b32 v39, v38, 4, v1
	v_mov_b32_e32 v38, 1
	ds_add_u32 v39, v38 offset:1024
	s_not_b32 s17, s12
	s_add_i32 s16, s8, 12
	s_cmp_gt_u32 s9, s16
	s_cselect_b64 s[12:13], -1, 0
	s_cmp_le_u32 s9, s16
	s_cbranch_scc1 .LBB1616_585
; %bb.584:
	s_sub_i32 s18, s9, s16
	s_min_u32 s18, s18, 6
	v_lshrrev_b32_sdwa v3, s16, v3 dst_sel:DWORD dst_unused:UNUSED_PAD src0_sel:DWORD src1_sel:WORD_0
	v_bfe_u32 v3, v3, 0, s18
	v_lshl_or_b32 v3, v3, 4, v1
	ds_add_u32 v3, v38 offset:2048
.LBB1616_585:
	v_and_b32_e32 v3, s14, v37
	v_lshl_or_b32 v3, v3, 4, v1
	ds_add_u32 v3, v38
	v_lshrrev_b32_sdwa v3, s15, v2 dst_sel:DWORD dst_unused:UNUSED_PAD src0_sel:DWORD src1_sel:WORD_0
	v_and_b32_e32 v3, s17, v3
	v_lshl_or_b32 v3, v3, 4, v1
	ds_add_u32 v3, v38 offset:1024
	s_andn2_b64 vcc, exec, s[12:13]
                                        ; implicit-def: $vgpr38
	s_cbranch_vccnz .LBB1616_587
; %bb.586:
	s_sub_i32 s10, s9, s16
	s_min_u32 s10, s10, 6
	v_lshrrev_b32_sdwa v2, s16, v2 dst_sel:DWORD dst_unused:UNUSED_PAD src0_sel:DWORD src1_sel:WORD_0
	v_bfe_u32 v2, v2, 0, s10
	v_mov_b32_e32 v3, 0x800
	v_lshl_or_b32 v38, v2, 4, v3
	s_mov_b64 s[10:11], -1
.LBB1616_587:
	s_and_b64 vcc, exec, s[10:11]
	s_cbranch_vccz .LBB1616_589
; %bb.588:
	v_lshl_add_u32 v2, v32, 2, v38
	v_mov_b32_e32 v3, 1
	ds_add_u32 v2, v3
.LBB1616_589:
	v_xor_b32_e32 v3, 0xffff8000, v19
	v_lshrrev_b32_sdwa v37, s8, v3 dst_sel:DWORD dst_unused:UNUSED_PAD src0_sel:DWORD src1_sel:WORD_0
	v_and_b32_e32 v37, s14, v37
	v_lshl_or_b32 v37, v37, 4, v1
	v_mov_b32_e32 v38, 1
	ds_add_u32 v37, v38
	v_xor_b32_e32 v2, 0xffff8000, v27
	s_and_b64 vcc, exec, s[4:5]
	v_lshrrev_b32_sdwa v37, s8, v2 dst_sel:DWORD dst_unused:UNUSED_PAD src0_sel:DWORD src1_sel:WORD_0
	s_cbranch_vccz .LBB1616_591
; %bb.590:
	v_and_b32_e32 v38, s14, v37
	v_lshlrev_b32_e32 v38, 4, v38
	s_mov_b64 s[10:11], -1
	s_cbranch_execz .LBB1616_592
	s_branch .LBB1616_596
.LBB1616_591:
	s_mov_b64 s[10:11], 0
                                        ; implicit-def: $vgpr38
.LBB1616_592:
	s_sub_i32 s12, s9, s15
	s_min_u32 s12, s12, 6
	s_lshl_b32 s12, -1, s12
	v_lshrrev_b32_sdwa v38, s15, v3 dst_sel:DWORD dst_unused:UNUSED_PAD src0_sel:DWORD src1_sel:WORD_0
	v_bitop3_b32 v38, v38, s12, v38 bitop3:0x30
	v_lshl_or_b32 v39, v38, 4, v1
	v_mov_b32_e32 v38, 1
	ds_add_u32 v39, v38 offset:1024
	s_not_b32 s17, s12
	s_add_i32 s16, s8, 12
	s_cmp_gt_u32 s9, s16
	s_cselect_b64 s[12:13], -1, 0
	s_cmp_le_u32 s9, s16
	s_cbranch_scc1 .LBB1616_594
; %bb.593:
	s_sub_i32 s18, s9, s16
	s_min_u32 s18, s18, 6
	v_lshrrev_b32_sdwa v3, s16, v3 dst_sel:DWORD dst_unused:UNUSED_PAD src0_sel:DWORD src1_sel:WORD_0
	v_bfe_u32 v3, v3, 0, s18
	v_lshl_or_b32 v3, v3, 4, v1
	ds_add_u32 v3, v38 offset:2048
.LBB1616_594:
	v_and_b32_e32 v3, s14, v37
	v_lshl_or_b32 v3, v3, 4, v1
	ds_add_u32 v3, v38
	v_lshrrev_b32_sdwa v3, s15, v2 dst_sel:DWORD dst_unused:UNUSED_PAD src0_sel:DWORD src1_sel:WORD_0
	v_and_b32_e32 v3, s17, v3
	v_lshl_or_b32 v3, v3, 4, v1
	ds_add_u32 v3, v38 offset:1024
	s_andn2_b64 vcc, exec, s[12:13]
                                        ; implicit-def: $vgpr38
	s_cbranch_vccnz .LBB1616_596
; %bb.595:
	s_sub_i32 s10, s9, s16
	s_min_u32 s10, s10, 6
	v_lshrrev_b32_sdwa v2, s16, v2 dst_sel:DWORD dst_unused:UNUSED_PAD src0_sel:DWORD src1_sel:WORD_0
	v_bfe_u32 v2, v2, 0, s10
	v_mov_b32_e32 v3, 0x800
	v_lshl_or_b32 v38, v2, 4, v3
	s_mov_b64 s[10:11], -1
.LBB1616_596:
	s_and_b64 vcc, exec, s[10:11]
	s_cbranch_vccz .LBB1616_598
; %bb.597:
	v_lshl_add_u32 v2, v32, 2, v38
	v_mov_b32_e32 v3, 1
	ds_add_u32 v2, v3
.LBB1616_598:
	s_waitcnt vmcnt(3)
	v_xor_b32_e32 v3, 0xffff8000, v28
	v_lshrrev_b32_sdwa v37, s8, v3 dst_sel:DWORD dst_unused:UNUSED_PAD src0_sel:DWORD src1_sel:WORD_0
	v_and_b32_e32 v37, s14, v37
	v_lshl_or_b32 v37, v37, 4, v1
	v_mov_b32_e32 v38, 1
	ds_add_u32 v37, v38
	s_waitcnt vmcnt(2)
	v_xor_b32_e32 v2, 0xffff8000, v29
	s_and_b64 vcc, exec, s[4:5]
	v_lshrrev_b32_sdwa v37, s8, v2 dst_sel:DWORD dst_unused:UNUSED_PAD src0_sel:DWORD src1_sel:WORD_0
	s_cbranch_vccz .LBB1616_600
; %bb.599:
	v_and_b32_e32 v38, s14, v37
	v_lshlrev_b32_e32 v38, 4, v38
	s_mov_b64 s[10:11], -1
	s_cbranch_execz .LBB1616_601
	s_branch .LBB1616_605
.LBB1616_600:
	s_mov_b64 s[10:11], 0
                                        ; implicit-def: $vgpr38
.LBB1616_601:
	s_sub_i32 s12, s9, s15
	s_min_u32 s12, s12, 6
	s_lshl_b32 s12, -1, s12
	v_lshrrev_b32_sdwa v38, s15, v3 dst_sel:DWORD dst_unused:UNUSED_PAD src0_sel:DWORD src1_sel:WORD_0
	v_bitop3_b32 v38, v38, s12, v38 bitop3:0x30
	v_lshl_or_b32 v39, v38, 4, v1
	v_mov_b32_e32 v38, 1
	ds_add_u32 v39, v38 offset:1024
	s_not_b32 s17, s12
	s_add_i32 s16, s8, 12
	s_cmp_gt_u32 s9, s16
	s_cselect_b64 s[12:13], -1, 0
	s_cmp_le_u32 s9, s16
	s_cbranch_scc1 .LBB1616_603
; %bb.602:
	s_sub_i32 s18, s9, s16
	s_min_u32 s18, s18, 6
	v_lshrrev_b32_sdwa v3, s16, v3 dst_sel:DWORD dst_unused:UNUSED_PAD src0_sel:DWORD src1_sel:WORD_0
	v_bfe_u32 v3, v3, 0, s18
	v_lshl_or_b32 v3, v3, 4, v1
	ds_add_u32 v3, v38 offset:2048
.LBB1616_603:
	v_and_b32_e32 v3, s14, v37
	v_lshl_or_b32 v3, v3, 4, v1
	ds_add_u32 v3, v38
	v_lshrrev_b32_sdwa v3, s15, v2 dst_sel:DWORD dst_unused:UNUSED_PAD src0_sel:DWORD src1_sel:WORD_0
	v_and_b32_e32 v3, s17, v3
	v_lshl_or_b32 v3, v3, 4, v1
	ds_add_u32 v3, v38 offset:1024
	s_andn2_b64 vcc, exec, s[12:13]
                                        ; implicit-def: $vgpr38
	s_cbranch_vccnz .LBB1616_605
; %bb.604:
	s_sub_i32 s10, s9, s16
	s_min_u32 s10, s10, 6
	v_lshrrev_b32_sdwa v2, s16, v2 dst_sel:DWORD dst_unused:UNUSED_PAD src0_sel:DWORD src1_sel:WORD_0
	v_bfe_u32 v2, v2, 0, s10
	v_mov_b32_e32 v3, 0x800
	v_lshl_or_b32 v38, v2, 4, v3
	s_mov_b64 s[10:11], -1
.LBB1616_605:
	s_and_b64 vcc, exec, s[10:11]
	s_cbranch_vccz .LBB1616_607
; %bb.606:
	v_lshl_add_u32 v2, v32, 2, v38
	v_mov_b32_e32 v3, 1
	ds_add_u32 v2, v3
.LBB1616_607:
	s_waitcnt vmcnt(1)
	v_xor_b32_e32 v3, 0xffff8000, v30
	v_lshrrev_b32_sdwa v37, s8, v3 dst_sel:DWORD dst_unused:UNUSED_PAD src0_sel:DWORD src1_sel:WORD_0
	v_and_b32_e32 v37, s14, v37
	v_lshl_or_b32 v37, v37, 4, v1
	v_mov_b32_e32 v38, 1
	ds_add_u32 v37, v38
	s_waitcnt vmcnt(0)
	v_xor_b32_e32 v2, 0xffff8000, v31
	s_and_b64 vcc, exec, s[4:5]
	v_lshrrev_b32_sdwa v37, s8, v2 dst_sel:DWORD dst_unused:UNUSED_PAD src0_sel:DWORD src1_sel:WORD_0
	s_cbranch_vccz .LBB1616_609
; %bb.608:
	v_and_b32_e32 v38, s14, v37
	v_lshlrev_b32_e32 v38, 4, v38
	s_mov_b64 s[4:5], -1
	s_cbranch_execz .LBB1616_610
	s_branch .LBB1616_614
.LBB1616_609:
	s_mov_b64 s[4:5], 0
                                        ; implicit-def: $vgpr38
.LBB1616_610:
	s_sub_i32 s10, s9, s15
	s_min_u32 s10, s10, 6
	s_lshl_b32 s10, -1, s10
	v_lshrrev_b32_sdwa v38, s15, v3 dst_sel:DWORD dst_unused:UNUSED_PAD src0_sel:DWORD src1_sel:WORD_0
	v_bitop3_b32 v38, v38, s10, v38 bitop3:0x30
	v_lshl_or_b32 v39, v38, 4, v1
	v_mov_b32_e32 v38, 1
	ds_add_u32 v39, v38 offset:1024
	s_not_b32 s13, s10
	s_add_i32 s12, s8, 12
	s_cmp_gt_u32 s9, s12
	s_cselect_b64 s[10:11], -1, 0
	s_cmp_le_u32 s9, s12
	s_cbranch_scc1 .LBB1616_612
; %bb.611:
	s_sub_i32 s16, s9, s12
	v_lshrrev_b32_sdwa v3, s12, v3 dst_sel:DWORD dst_unused:UNUSED_PAD src0_sel:DWORD src1_sel:WORD_0
	s_min_u32 s16, s16, 6
	v_bfe_u32 v3, v3, 0, s16
	v_lshl_or_b32 v3, v3, 4, v1
	ds_add_u32 v3, v38 offset:2048
.LBB1616_612:
	v_and_b32_e32 v3, s14, v37
	v_lshl_or_b32 v3, v3, 4, v1
	ds_add_u32 v3, v38
	v_lshrrev_b32_sdwa v3, s15, v2 dst_sel:DWORD dst_unused:UNUSED_PAD src0_sel:DWORD src1_sel:WORD_0
	v_and_b32_e32 v3, s13, v3
	v_lshl_or_b32 v1, v3, 4, v1
	ds_add_u32 v1, v38 offset:1024
	s_andn2_b64 vcc, exec, s[10:11]
                                        ; implicit-def: $vgpr38
	s_cbranch_vccnz .LBB1616_614
; %bb.613:
	s_sub_i32 s4, s9, s12
	s_min_u32 s4, s4, 6
	v_lshrrev_b32_sdwa v1, s12, v2 dst_sel:DWORD dst_unused:UNUSED_PAD src0_sel:DWORD src1_sel:WORD_0
	v_bfe_u32 v1, v1, 0, s4
	v_mov_b32_e32 v2, 0x800
	v_lshl_or_b32 v38, v1, 4, v2
	s_mov_b64 s[4:5], -1
.LBB1616_614:
	s_and_b64 vcc, exec, s[4:5]
	s_cbranch_vccz .LBB1616_616
; %bb.615:
	v_lshl_add_u32 v1, v32, 2, v38
	v_mov_b32_e32 v2, 1
	ds_add_u32 v1, v2
.LBB1616_616:
	s_and_b64 vcc, exec, s[2:3]
	s_waitcnt lgkmcnt(0)
	s_barrier
	s_cbranch_vccz .LBB1616_621
; %bb.617:
	v_cmp_gt_u32_e32 vcc, 64, v0
	v_lshlrev_b32_e32 v1, 4, v0
	v_mov_b32_e32 v3, 0
	v_mov_b32_e32 v2, v0
	s_branch .LBB1616_619
.LBB1616_618:                           ;   in Loop: Header=BB1616_619 Depth=1
	s_or_b64 exec, exec, s[2:3]
	s_add_i32 s8, s8, 6
	v_add_u32_e32 v2, 64, v2
	s_cmp_ge_u32 s8, s9
	v_add_u32_e32 v1, 0x400, v1
	s_cbranch_scc1 .LBB1616_621
.LBB1616_619:                           ; =>This Inner Loop Header: Depth=1
	s_and_saveexec_b64 s[2:3], vcc
	s_cbranch_execz .LBB1616_618
; %bb.620:                              ;   in Loop: Header=BB1616_619 Depth=1
	ds_read2_b32 v[38:39], v1 offset1:1
	ds_read2_b32 v[40:41], v1 offset0:2 offset1:3
	s_waitcnt lgkmcnt(1)
	v_add_u32_e32 v37, v39, v38
	s_waitcnt lgkmcnt(0)
	v_add3_u32 v37, v37, v40, v41
	v_lshl_add_u64 v[38:39], v[2:3], 2, s[6:7]
	global_atomic_add v[38:39], v37, off
	s_branch .LBB1616_618
.LBB1616_621:
	s_mov_b64 s[4:5], 0
.LBB1616_622:
	s_and_b64 vcc, exec, s[4:5]
	s_cbranch_vccz .LBB1616_632
; %bb.623:
	v_lshlrev_b32_e32 v3, 2, v0
	s_and_saveexec_b64 s[2:3], s[0:1]
	s_cbranch_execz .LBB1616_630
; %bb.624:
	s_movk_i32 s0, 0x100
	v_sub_u32_e64 v1, s0, v0 clamp
	v_add_u32_e32 v1, 0x1ff, v1
	v_lshrrev_b32_e32 v2, 9, v1
	s_mov_b32 s4, 0
	v_mov_b32_e32 v1, v2
	s_mov_b32 s5, 1
	s_mov_b64 s[8:9], 0
	v_mov_b32_e32 v37, 0
	v_mov_b32_e32 v38, v3
	s_mov_b32 s10, s4
	s_branch .LBB1616_626
.LBB1616_625:                           ;   in Loop: Header=BB1616_626 Depth=1
	s_or_b64 exec, exec, s[0:1]
	s_add_i32 s10, s10, 2
	v_cmp_eq_u32_e64 s[0:1], 2, s10
	s_or_b64 s[8:9], s[0:1], s[8:9]
	v_add_u32_e32 v38, 0x1000, v38
	s_andn2_b64 exec, exec, s[8:9]
	s_cbranch_execz .LBB1616_630
.LBB1616_626:                           ; =>This Inner Loop Header: Depth=1
	s_mov_b32 s11, s10
	s_or_b64 s[0:1], s[10:11], s[4:5]
	v_cmp_le_u32_e32 vcc, s1, v1
	v_cmp_le_u32_e64 s[0:1], s0, v2
	s_and_saveexec_b64 s[12:13], s[0:1]
; %bb.627:                              ;   in Loop: Header=BB1616_626 Depth=1
	ds_write_b32 v38, v37
; %bb.628:                              ;   in Loop: Header=BB1616_626 Depth=1
	s_or_b64 exec, exec, s[12:13]
	s_and_saveexec_b64 s[0:1], vcc
	s_cbranch_execz .LBB1616_625
; %bb.629:                              ;   in Loop: Header=BB1616_626 Depth=1
	ds_write_b32 v38, v37 offset:2048
	s_branch .LBB1616_625
.LBB1616_630:
	s_or_b64 exec, exec, s[2:3]
	s_waitcnt vmcnt(7)
	v_xor_b32_e32 v1, 0xffff8000, v34
	s_waitcnt vmcnt(6)
	v_xor_b32_e32 v2, 0xffff8000, v35
	v_mov_b32_e32 v35, 4
	s_waitcnt vmcnt(5)
	v_xor_b32_e32 v34, 0xffff8000, v36
	v_lshlrev_b32_sdwa v36, v35, v1 dst_sel:DWORD dst_unused:UNUSED_PAD src0_sel:DWORD src1_sel:WORD_0
	v_lshlrev_b32_e32 v32, 2, v32
	s_movk_i32 s0, 0x3f0
	v_and_or_b32 v36, v36, s0, v32
	v_mov_b32_e32 v37, 1
	s_waitcnt lgkmcnt(0)
	s_barrier
	ds_add_u32 v36, v37
	v_mov_b32_e32 v36, 2
	v_lshrrev_b32_sdwa v38, v36, v1 dst_sel:DWORD dst_unused:UNUSED_PAD src0_sel:DWORD src1_sel:WORD_0
	v_and_or_b32 v38, v38, s0, v32
	ds_add_u32 v38, v37 offset:1024
	v_mov_b32_e32 v38, 8
	v_lshrrev_b32_sdwa v1, v38, v1 dst_sel:DWORD dst_unused:UNUSED_PAD src0_sel:DWORD src1_sel:WORD_0
	s_movk_i32 s1, 0xf0
	v_and_or_b32 v1, v1, s1, v32
	ds_add_u32 v1, v37 offset:2048
	v_lshlrev_b32_sdwa v1, v35, v2 dst_sel:DWORD dst_unused:UNUSED_PAD src0_sel:DWORD src1_sel:WORD_0
	v_and_or_b32 v1, v1, s0, v32
	ds_add_u32 v1, v37
	v_lshrrev_b32_sdwa v1, v36, v2 dst_sel:DWORD dst_unused:UNUSED_PAD src0_sel:DWORD src1_sel:WORD_0
	v_and_or_b32 v1, v1, s0, v32
	ds_add_u32 v1, v37 offset:1024
	v_lshrrev_b32_sdwa v1, v38, v2 dst_sel:DWORD dst_unused:UNUSED_PAD src0_sel:DWORD src1_sel:WORD_0
	v_and_or_b32 v1, v1, s1, v32
	ds_add_u32 v1, v37 offset:2048
	v_lshlrev_b32_sdwa v1, v35, v34 dst_sel:DWORD dst_unused:UNUSED_PAD src0_sel:DWORD src1_sel:WORD_0
	v_and_or_b32 v1, v1, s0, v32
	ds_add_u32 v1, v37
	v_lshrrev_b32_sdwa v1, v36, v34 dst_sel:DWORD dst_unused:UNUSED_PAD src0_sel:DWORD src1_sel:WORD_0
	v_and_or_b32 v1, v1, s0, v32
	ds_add_u32 v1, v37 offset:1024
	v_lshrrev_b32_sdwa v1, v38, v34 dst_sel:DWORD dst_unused:UNUSED_PAD src0_sel:DWORD src1_sel:WORD_0
	v_xor_b32_e32 v10, 0xffff8000, v10
	v_and_or_b32 v1, v1, s1, v32
	ds_add_u32 v1, v37 offset:2048
	v_lshlrev_b32_sdwa v1, v35, v10 dst_sel:DWORD dst_unused:UNUSED_PAD src0_sel:DWORD src1_sel:WORD_0
	v_and_or_b32 v1, v1, s0, v32
	ds_add_u32 v1, v37
	v_lshrrev_b32_sdwa v1, v36, v10 dst_sel:DWORD dst_unused:UNUSED_PAD src0_sel:DWORD src1_sel:WORD_0
	v_and_or_b32 v1, v1, s0, v32
	ds_add_u32 v1, v37 offset:1024
	v_lshrrev_b32_sdwa v1, v38, v10 dst_sel:DWORD dst_unused:UNUSED_PAD src0_sel:DWORD src1_sel:WORD_0
	v_xor_b32_e32 v11, 0xffff8000, v11
	;; [unrolled: 10-line block ×20, first 2 shown]
	v_and_or_b32 v1, v1, s1, v32
	ds_add_u32 v1, v37 offset:2048
	v_lshlrev_b32_sdwa v1, v35, v13 dst_sel:DWORD dst_unused:UNUSED_PAD src0_sel:DWORD src1_sel:WORD_0
	v_and_or_b32 v1, v1, s0, v32
	ds_add_u32 v1, v37
	v_lshrrev_b32_sdwa v1, v36, v13 dst_sel:DWORD dst_unused:UNUSED_PAD src0_sel:DWORD src1_sel:WORD_0
	v_and_or_b32 v1, v1, s0, v32
	ds_add_u32 v1, v37 offset:1024
	v_lshrrev_b32_sdwa v1, v38, v13 dst_sel:DWORD dst_unused:UNUSED_PAD src0_sel:DWORD src1_sel:WORD_0
	s_waitcnt vmcnt(4)
	v_xor_b32_e32 v33, 0xffff8000, v33
	v_and_or_b32 v1, v1, s1, v32
	ds_add_u32 v1, v37 offset:2048
	v_lshlrev_b32_sdwa v1, v35, v33 dst_sel:DWORD dst_unused:UNUSED_PAD src0_sel:DWORD src1_sel:WORD_0
	v_and_or_b32 v1, v1, s0, v32
	ds_add_u32 v1, v37
	v_lshrrev_b32_sdwa v1, v36, v33 dst_sel:DWORD dst_unused:UNUSED_PAD src0_sel:DWORD src1_sel:WORD_0
	v_and_or_b32 v1, v1, s0, v32
	ds_add_u32 v1, v37 offset:1024
	v_lshrrev_b32_sdwa v1, v38, v33 dst_sel:DWORD dst_unused:UNUSED_PAD src0_sel:DWORD src1_sel:WORD_0
	v_xor_b32_e32 v17, 0xffff8000, v17
	v_and_or_b32 v1, v1, s1, v32
	ds_add_u32 v1, v37 offset:2048
	v_lshlrev_b32_sdwa v1, v35, v17 dst_sel:DWORD dst_unused:UNUSED_PAD src0_sel:DWORD src1_sel:WORD_0
	v_and_or_b32 v1, v1, s0, v32
	ds_add_u32 v1, v37
	v_lshrrev_b32_sdwa v1, v36, v17 dst_sel:DWORD dst_unused:UNUSED_PAD src0_sel:DWORD src1_sel:WORD_0
	v_and_or_b32 v1, v1, s0, v32
	ds_add_u32 v1, v37 offset:1024
	v_lshrrev_b32_sdwa v1, v38, v17 dst_sel:DWORD dst_unused:UNUSED_PAD src0_sel:DWORD src1_sel:WORD_0
	;; [unrolled: 10-line block ×5, first 2 shown]
	s_waitcnt vmcnt(3)
	v_xor_b32_e32 v28, 0xffff8000, v28
	v_and_or_b32 v1, v1, s1, v32
	ds_add_u32 v1, v37 offset:2048
	v_lshlrev_b32_sdwa v1, v35, v28 dst_sel:DWORD dst_unused:UNUSED_PAD src0_sel:DWORD src1_sel:WORD_0
	v_and_or_b32 v1, v1, s0, v32
	ds_add_u32 v1, v37
	v_lshrrev_b32_sdwa v1, v36, v28 dst_sel:DWORD dst_unused:UNUSED_PAD src0_sel:DWORD src1_sel:WORD_0
	v_and_or_b32 v1, v1, s0, v32
	ds_add_u32 v1, v37 offset:1024
	v_lshrrev_b32_sdwa v1, v38, v28 dst_sel:DWORD dst_unused:UNUSED_PAD src0_sel:DWORD src1_sel:WORD_0
	s_waitcnt vmcnt(2)
	v_xor_b32_e32 v29, 0xffff8000, v29
	v_and_or_b32 v1, v1, s1, v32
	ds_add_u32 v1, v37 offset:2048
	v_lshlrev_b32_sdwa v1, v35, v29 dst_sel:DWORD dst_unused:UNUSED_PAD src0_sel:DWORD src1_sel:WORD_0
	v_and_or_b32 v1, v1, s0, v32
	ds_add_u32 v1, v37
	v_lshrrev_b32_sdwa v1, v36, v29 dst_sel:DWORD dst_unused:UNUSED_PAD src0_sel:DWORD src1_sel:WORD_0
	v_and_or_b32 v1, v1, s0, v32
	ds_add_u32 v1, v37 offset:1024
	v_lshrrev_b32_sdwa v1, v38, v29 dst_sel:DWORD dst_unused:UNUSED_PAD src0_sel:DWORD src1_sel:WORD_0
	;; [unrolled: 11-line block ×4, first 2 shown]
	v_and_or_b32 v1, v1, s1, v32
	ds_add_u32 v1, v37 offset:2048
	v_cmp_gt_u32_e32 vcc, 64, v0
	s_waitcnt lgkmcnt(0)
	s_barrier
	s_and_saveexec_b64 s[0:1], vcc
	s_cbranch_execz .LBB1616_632
; %bb.631:
	v_lshlrev_b32_e32 v2, 4, v0
	ds_read2_b32 v[0:1], v2 offset1:1
	ds_read2_b32 v[4:5], v2 offset0:2 offset1:3
	v_add_u32_e32 v6, 0x400, v2
	v_add_u32_e32 v7, 0x408, v2
	s_waitcnt lgkmcnt(1)
	v_add_u32_e32 v0, v1, v0
	s_waitcnt lgkmcnt(0)
	v_add3_u32 v0, v0, v4, v5
	global_atomic_add v3, v0, s[6:7]
	ds_read2_b32 v[0:1], v6 offset1:1
	ds_read2_b32 v[4:5], v7 offset1:1
	v_add_u32_e32 v6, 0x800, v2
	v_add_u32_e32 v2, 0x808, v2
	s_waitcnt lgkmcnt(1)
	v_add_u32_e32 v0, v1, v0
	s_waitcnt lgkmcnt(0)
	v_add3_u32 v0, v0, v4, v5
	global_atomic_add v3, v0, s[6:7] offset:256
	ds_read2_b32 v[0:1], v6 offset1:1
	ds_read2_b32 v[4:5], v2 offset1:1
	s_waitcnt lgkmcnt(1)
	v_add_u32_e32 v0, v1, v0
	s_waitcnt lgkmcnt(0)
	v_add3_u32 v0, v0, v4, v5
	global_atomic_add v3, v0, s[6:7] offset:512
.LBB1616_632:
	s_endpgm
	.section	.rodata,"a",@progbits
	.p2align	6, 0x0
	.amdhsa_kernel _ZN7rocprim17ROCPRIM_400000_NS6detail17trampoline_kernelINS0_14default_configENS1_35radix_sort_onesweep_config_selectorIssEEZNS1_34radix_sort_onesweep_global_offsetsIS3_Lb0EN6thrust23THRUST_200600_302600_NS6detail15normal_iteratorINS8_10device_ptrIsEEEESD_jNS0_19identity_decomposerEEE10hipError_tT1_T2_PT3_SI_jT4_jjP12ihipStream_tbEUlT_E_NS1_11comp_targetILNS1_3genE6ELNS1_11target_archE950ELNS1_3gpuE13ELNS1_3repE0EEENS1_52radix_sort_onesweep_histogram_config_static_selectorELNS0_4arch9wavefront6targetE1EEEvSG_
		.amdhsa_group_segment_fixed_size 3072
		.amdhsa_private_segment_fixed_size 0
		.amdhsa_kernarg_size 40
		.amdhsa_user_sgpr_count 2
		.amdhsa_user_sgpr_dispatch_ptr 0
		.amdhsa_user_sgpr_queue_ptr 0
		.amdhsa_user_sgpr_kernarg_segment_ptr 1
		.amdhsa_user_sgpr_dispatch_id 0
		.amdhsa_user_sgpr_kernarg_preload_length 0
		.amdhsa_user_sgpr_kernarg_preload_offset 0
		.amdhsa_user_sgpr_private_segment_size 0
		.amdhsa_uses_dynamic_stack 0
		.amdhsa_enable_private_segment 0
		.amdhsa_system_sgpr_workgroup_id_x 1
		.amdhsa_system_sgpr_workgroup_id_y 0
		.amdhsa_system_sgpr_workgroup_id_z 0
		.amdhsa_system_sgpr_workgroup_info 0
		.amdhsa_system_vgpr_workitem_id 0
		.amdhsa_next_free_vgpr 68
		.amdhsa_next_free_sgpr 20
		.amdhsa_accum_offset 68
		.amdhsa_reserve_vcc 1
		.amdhsa_float_round_mode_32 0
		.amdhsa_float_round_mode_16_64 0
		.amdhsa_float_denorm_mode_32 3
		.amdhsa_float_denorm_mode_16_64 3
		.amdhsa_dx10_clamp 1
		.amdhsa_ieee_mode 1
		.amdhsa_fp16_overflow 0
		.amdhsa_tg_split 0
		.amdhsa_exception_fp_ieee_invalid_op 0
		.amdhsa_exception_fp_denorm_src 0
		.amdhsa_exception_fp_ieee_div_zero 0
		.amdhsa_exception_fp_ieee_overflow 0
		.amdhsa_exception_fp_ieee_underflow 0
		.amdhsa_exception_fp_ieee_inexact 0
		.amdhsa_exception_int_div_zero 0
	.end_amdhsa_kernel
	.section	.text._ZN7rocprim17ROCPRIM_400000_NS6detail17trampoline_kernelINS0_14default_configENS1_35radix_sort_onesweep_config_selectorIssEEZNS1_34radix_sort_onesweep_global_offsetsIS3_Lb0EN6thrust23THRUST_200600_302600_NS6detail15normal_iteratorINS8_10device_ptrIsEEEESD_jNS0_19identity_decomposerEEE10hipError_tT1_T2_PT3_SI_jT4_jjP12ihipStream_tbEUlT_E_NS1_11comp_targetILNS1_3genE6ELNS1_11target_archE950ELNS1_3gpuE13ELNS1_3repE0EEENS1_52radix_sort_onesweep_histogram_config_static_selectorELNS0_4arch9wavefront6targetE1EEEvSG_,"axG",@progbits,_ZN7rocprim17ROCPRIM_400000_NS6detail17trampoline_kernelINS0_14default_configENS1_35radix_sort_onesweep_config_selectorIssEEZNS1_34radix_sort_onesweep_global_offsetsIS3_Lb0EN6thrust23THRUST_200600_302600_NS6detail15normal_iteratorINS8_10device_ptrIsEEEESD_jNS0_19identity_decomposerEEE10hipError_tT1_T2_PT3_SI_jT4_jjP12ihipStream_tbEUlT_E_NS1_11comp_targetILNS1_3genE6ELNS1_11target_archE950ELNS1_3gpuE13ELNS1_3repE0EEENS1_52radix_sort_onesweep_histogram_config_static_selectorELNS0_4arch9wavefront6targetE1EEEvSG_,comdat
.Lfunc_end1616:
	.size	_ZN7rocprim17ROCPRIM_400000_NS6detail17trampoline_kernelINS0_14default_configENS1_35radix_sort_onesweep_config_selectorIssEEZNS1_34radix_sort_onesweep_global_offsetsIS3_Lb0EN6thrust23THRUST_200600_302600_NS6detail15normal_iteratorINS8_10device_ptrIsEEEESD_jNS0_19identity_decomposerEEE10hipError_tT1_T2_PT3_SI_jT4_jjP12ihipStream_tbEUlT_E_NS1_11comp_targetILNS1_3genE6ELNS1_11target_archE950ELNS1_3gpuE13ELNS1_3repE0EEENS1_52radix_sort_onesweep_histogram_config_static_selectorELNS0_4arch9wavefront6targetE1EEEvSG_, .Lfunc_end1616-_ZN7rocprim17ROCPRIM_400000_NS6detail17trampoline_kernelINS0_14default_configENS1_35radix_sort_onesweep_config_selectorIssEEZNS1_34radix_sort_onesweep_global_offsetsIS3_Lb0EN6thrust23THRUST_200600_302600_NS6detail15normal_iteratorINS8_10device_ptrIsEEEESD_jNS0_19identity_decomposerEEE10hipError_tT1_T2_PT3_SI_jT4_jjP12ihipStream_tbEUlT_E_NS1_11comp_targetILNS1_3genE6ELNS1_11target_archE950ELNS1_3gpuE13ELNS1_3repE0EEENS1_52radix_sort_onesweep_histogram_config_static_selectorELNS0_4arch9wavefront6targetE1EEEvSG_
                                        ; -- End function
	.set _ZN7rocprim17ROCPRIM_400000_NS6detail17trampoline_kernelINS0_14default_configENS1_35radix_sort_onesweep_config_selectorIssEEZNS1_34radix_sort_onesweep_global_offsetsIS3_Lb0EN6thrust23THRUST_200600_302600_NS6detail15normal_iteratorINS8_10device_ptrIsEEEESD_jNS0_19identity_decomposerEEE10hipError_tT1_T2_PT3_SI_jT4_jjP12ihipStream_tbEUlT_E_NS1_11comp_targetILNS1_3genE6ELNS1_11target_archE950ELNS1_3gpuE13ELNS1_3repE0EEENS1_52radix_sort_onesweep_histogram_config_static_selectorELNS0_4arch9wavefront6targetE1EEEvSG_.num_vgpr, 68
	.set _ZN7rocprim17ROCPRIM_400000_NS6detail17trampoline_kernelINS0_14default_configENS1_35radix_sort_onesweep_config_selectorIssEEZNS1_34radix_sort_onesweep_global_offsetsIS3_Lb0EN6thrust23THRUST_200600_302600_NS6detail15normal_iteratorINS8_10device_ptrIsEEEESD_jNS0_19identity_decomposerEEE10hipError_tT1_T2_PT3_SI_jT4_jjP12ihipStream_tbEUlT_E_NS1_11comp_targetILNS1_3genE6ELNS1_11target_archE950ELNS1_3gpuE13ELNS1_3repE0EEENS1_52radix_sort_onesweep_histogram_config_static_selectorELNS0_4arch9wavefront6targetE1EEEvSG_.num_agpr, 0
	.set _ZN7rocprim17ROCPRIM_400000_NS6detail17trampoline_kernelINS0_14default_configENS1_35radix_sort_onesweep_config_selectorIssEEZNS1_34radix_sort_onesweep_global_offsetsIS3_Lb0EN6thrust23THRUST_200600_302600_NS6detail15normal_iteratorINS8_10device_ptrIsEEEESD_jNS0_19identity_decomposerEEE10hipError_tT1_T2_PT3_SI_jT4_jjP12ihipStream_tbEUlT_E_NS1_11comp_targetILNS1_3genE6ELNS1_11target_archE950ELNS1_3gpuE13ELNS1_3repE0EEENS1_52radix_sort_onesweep_histogram_config_static_selectorELNS0_4arch9wavefront6targetE1EEEvSG_.numbered_sgpr, 20
	.set _ZN7rocprim17ROCPRIM_400000_NS6detail17trampoline_kernelINS0_14default_configENS1_35radix_sort_onesweep_config_selectorIssEEZNS1_34radix_sort_onesweep_global_offsetsIS3_Lb0EN6thrust23THRUST_200600_302600_NS6detail15normal_iteratorINS8_10device_ptrIsEEEESD_jNS0_19identity_decomposerEEE10hipError_tT1_T2_PT3_SI_jT4_jjP12ihipStream_tbEUlT_E_NS1_11comp_targetILNS1_3genE6ELNS1_11target_archE950ELNS1_3gpuE13ELNS1_3repE0EEENS1_52radix_sort_onesweep_histogram_config_static_selectorELNS0_4arch9wavefront6targetE1EEEvSG_.num_named_barrier, 0
	.set _ZN7rocprim17ROCPRIM_400000_NS6detail17trampoline_kernelINS0_14default_configENS1_35radix_sort_onesweep_config_selectorIssEEZNS1_34radix_sort_onesweep_global_offsetsIS3_Lb0EN6thrust23THRUST_200600_302600_NS6detail15normal_iteratorINS8_10device_ptrIsEEEESD_jNS0_19identity_decomposerEEE10hipError_tT1_T2_PT3_SI_jT4_jjP12ihipStream_tbEUlT_E_NS1_11comp_targetILNS1_3genE6ELNS1_11target_archE950ELNS1_3gpuE13ELNS1_3repE0EEENS1_52radix_sort_onesweep_histogram_config_static_selectorELNS0_4arch9wavefront6targetE1EEEvSG_.private_seg_size, 0
	.set _ZN7rocprim17ROCPRIM_400000_NS6detail17trampoline_kernelINS0_14default_configENS1_35radix_sort_onesweep_config_selectorIssEEZNS1_34radix_sort_onesweep_global_offsetsIS3_Lb0EN6thrust23THRUST_200600_302600_NS6detail15normal_iteratorINS8_10device_ptrIsEEEESD_jNS0_19identity_decomposerEEE10hipError_tT1_T2_PT3_SI_jT4_jjP12ihipStream_tbEUlT_E_NS1_11comp_targetILNS1_3genE6ELNS1_11target_archE950ELNS1_3gpuE13ELNS1_3repE0EEENS1_52radix_sort_onesweep_histogram_config_static_selectorELNS0_4arch9wavefront6targetE1EEEvSG_.uses_vcc, 1
	.set _ZN7rocprim17ROCPRIM_400000_NS6detail17trampoline_kernelINS0_14default_configENS1_35radix_sort_onesweep_config_selectorIssEEZNS1_34radix_sort_onesweep_global_offsetsIS3_Lb0EN6thrust23THRUST_200600_302600_NS6detail15normal_iteratorINS8_10device_ptrIsEEEESD_jNS0_19identity_decomposerEEE10hipError_tT1_T2_PT3_SI_jT4_jjP12ihipStream_tbEUlT_E_NS1_11comp_targetILNS1_3genE6ELNS1_11target_archE950ELNS1_3gpuE13ELNS1_3repE0EEENS1_52radix_sort_onesweep_histogram_config_static_selectorELNS0_4arch9wavefront6targetE1EEEvSG_.uses_flat_scratch, 0
	.set _ZN7rocprim17ROCPRIM_400000_NS6detail17trampoline_kernelINS0_14default_configENS1_35radix_sort_onesweep_config_selectorIssEEZNS1_34radix_sort_onesweep_global_offsetsIS3_Lb0EN6thrust23THRUST_200600_302600_NS6detail15normal_iteratorINS8_10device_ptrIsEEEESD_jNS0_19identity_decomposerEEE10hipError_tT1_T2_PT3_SI_jT4_jjP12ihipStream_tbEUlT_E_NS1_11comp_targetILNS1_3genE6ELNS1_11target_archE950ELNS1_3gpuE13ELNS1_3repE0EEENS1_52radix_sort_onesweep_histogram_config_static_selectorELNS0_4arch9wavefront6targetE1EEEvSG_.has_dyn_sized_stack, 0
	.set _ZN7rocprim17ROCPRIM_400000_NS6detail17trampoline_kernelINS0_14default_configENS1_35radix_sort_onesweep_config_selectorIssEEZNS1_34radix_sort_onesweep_global_offsetsIS3_Lb0EN6thrust23THRUST_200600_302600_NS6detail15normal_iteratorINS8_10device_ptrIsEEEESD_jNS0_19identity_decomposerEEE10hipError_tT1_T2_PT3_SI_jT4_jjP12ihipStream_tbEUlT_E_NS1_11comp_targetILNS1_3genE6ELNS1_11target_archE950ELNS1_3gpuE13ELNS1_3repE0EEENS1_52radix_sort_onesweep_histogram_config_static_selectorELNS0_4arch9wavefront6targetE1EEEvSG_.has_recursion, 0
	.set _ZN7rocprim17ROCPRIM_400000_NS6detail17trampoline_kernelINS0_14default_configENS1_35radix_sort_onesweep_config_selectorIssEEZNS1_34radix_sort_onesweep_global_offsetsIS3_Lb0EN6thrust23THRUST_200600_302600_NS6detail15normal_iteratorINS8_10device_ptrIsEEEESD_jNS0_19identity_decomposerEEE10hipError_tT1_T2_PT3_SI_jT4_jjP12ihipStream_tbEUlT_E_NS1_11comp_targetILNS1_3genE6ELNS1_11target_archE950ELNS1_3gpuE13ELNS1_3repE0EEENS1_52radix_sort_onesweep_histogram_config_static_selectorELNS0_4arch9wavefront6targetE1EEEvSG_.has_indirect_call, 0
	.section	.AMDGPU.csdata,"",@progbits
; Kernel info:
; codeLenInByte = 21512
; TotalNumSgprs: 26
; NumVgprs: 68
; NumAgprs: 0
; TotalNumVgprs: 68
; ScratchSize: 0
; MemoryBound: 0
; FloatMode: 240
; IeeeMode: 1
; LDSByteSize: 3072 bytes/workgroup (compile time only)
; SGPRBlocks: 3
; VGPRBlocks: 8
; NumSGPRsForWavesPerEU: 26
; NumVGPRsForWavesPerEU: 68
; AccumOffset: 68
; Occupancy: 7
; WaveLimiterHint : 1
; COMPUTE_PGM_RSRC2:SCRATCH_EN: 0
; COMPUTE_PGM_RSRC2:USER_SGPR: 2
; COMPUTE_PGM_RSRC2:TRAP_HANDLER: 0
; COMPUTE_PGM_RSRC2:TGID_X_EN: 1
; COMPUTE_PGM_RSRC2:TGID_Y_EN: 0
; COMPUTE_PGM_RSRC2:TGID_Z_EN: 0
; COMPUTE_PGM_RSRC2:TIDIG_COMP_CNT: 0
; COMPUTE_PGM_RSRC3_GFX90A:ACCUM_OFFSET: 16
; COMPUTE_PGM_RSRC3_GFX90A:TG_SPLIT: 0
	.section	.text._ZN7rocprim17ROCPRIM_400000_NS6detail17trampoline_kernelINS0_14default_configENS1_35radix_sort_onesweep_config_selectorIssEEZNS1_34radix_sort_onesweep_global_offsetsIS3_Lb0EN6thrust23THRUST_200600_302600_NS6detail15normal_iteratorINS8_10device_ptrIsEEEESD_jNS0_19identity_decomposerEEE10hipError_tT1_T2_PT3_SI_jT4_jjP12ihipStream_tbEUlT_E_NS1_11comp_targetILNS1_3genE5ELNS1_11target_archE942ELNS1_3gpuE9ELNS1_3repE0EEENS1_52radix_sort_onesweep_histogram_config_static_selectorELNS0_4arch9wavefront6targetE1EEEvSG_,"axG",@progbits,_ZN7rocprim17ROCPRIM_400000_NS6detail17trampoline_kernelINS0_14default_configENS1_35radix_sort_onesweep_config_selectorIssEEZNS1_34radix_sort_onesweep_global_offsetsIS3_Lb0EN6thrust23THRUST_200600_302600_NS6detail15normal_iteratorINS8_10device_ptrIsEEEESD_jNS0_19identity_decomposerEEE10hipError_tT1_T2_PT3_SI_jT4_jjP12ihipStream_tbEUlT_E_NS1_11comp_targetILNS1_3genE5ELNS1_11target_archE942ELNS1_3gpuE9ELNS1_3repE0EEENS1_52radix_sort_onesweep_histogram_config_static_selectorELNS0_4arch9wavefront6targetE1EEEvSG_,comdat
	.protected	_ZN7rocprim17ROCPRIM_400000_NS6detail17trampoline_kernelINS0_14default_configENS1_35radix_sort_onesweep_config_selectorIssEEZNS1_34radix_sort_onesweep_global_offsetsIS3_Lb0EN6thrust23THRUST_200600_302600_NS6detail15normal_iteratorINS8_10device_ptrIsEEEESD_jNS0_19identity_decomposerEEE10hipError_tT1_T2_PT3_SI_jT4_jjP12ihipStream_tbEUlT_E_NS1_11comp_targetILNS1_3genE5ELNS1_11target_archE942ELNS1_3gpuE9ELNS1_3repE0EEENS1_52radix_sort_onesweep_histogram_config_static_selectorELNS0_4arch9wavefront6targetE1EEEvSG_ ; -- Begin function _ZN7rocprim17ROCPRIM_400000_NS6detail17trampoline_kernelINS0_14default_configENS1_35radix_sort_onesweep_config_selectorIssEEZNS1_34radix_sort_onesweep_global_offsetsIS3_Lb0EN6thrust23THRUST_200600_302600_NS6detail15normal_iteratorINS8_10device_ptrIsEEEESD_jNS0_19identity_decomposerEEE10hipError_tT1_T2_PT3_SI_jT4_jjP12ihipStream_tbEUlT_E_NS1_11comp_targetILNS1_3genE5ELNS1_11target_archE942ELNS1_3gpuE9ELNS1_3repE0EEENS1_52radix_sort_onesweep_histogram_config_static_selectorELNS0_4arch9wavefront6targetE1EEEvSG_
	.globl	_ZN7rocprim17ROCPRIM_400000_NS6detail17trampoline_kernelINS0_14default_configENS1_35radix_sort_onesweep_config_selectorIssEEZNS1_34radix_sort_onesweep_global_offsetsIS3_Lb0EN6thrust23THRUST_200600_302600_NS6detail15normal_iteratorINS8_10device_ptrIsEEEESD_jNS0_19identity_decomposerEEE10hipError_tT1_T2_PT3_SI_jT4_jjP12ihipStream_tbEUlT_E_NS1_11comp_targetILNS1_3genE5ELNS1_11target_archE942ELNS1_3gpuE9ELNS1_3repE0EEENS1_52radix_sort_onesweep_histogram_config_static_selectorELNS0_4arch9wavefront6targetE1EEEvSG_
	.p2align	8
	.type	_ZN7rocprim17ROCPRIM_400000_NS6detail17trampoline_kernelINS0_14default_configENS1_35radix_sort_onesweep_config_selectorIssEEZNS1_34radix_sort_onesweep_global_offsetsIS3_Lb0EN6thrust23THRUST_200600_302600_NS6detail15normal_iteratorINS8_10device_ptrIsEEEESD_jNS0_19identity_decomposerEEE10hipError_tT1_T2_PT3_SI_jT4_jjP12ihipStream_tbEUlT_E_NS1_11comp_targetILNS1_3genE5ELNS1_11target_archE942ELNS1_3gpuE9ELNS1_3repE0EEENS1_52radix_sort_onesweep_histogram_config_static_selectorELNS0_4arch9wavefront6targetE1EEEvSG_,@function
_ZN7rocprim17ROCPRIM_400000_NS6detail17trampoline_kernelINS0_14default_configENS1_35radix_sort_onesweep_config_selectorIssEEZNS1_34radix_sort_onesweep_global_offsetsIS3_Lb0EN6thrust23THRUST_200600_302600_NS6detail15normal_iteratorINS8_10device_ptrIsEEEESD_jNS0_19identity_decomposerEEE10hipError_tT1_T2_PT3_SI_jT4_jjP12ihipStream_tbEUlT_E_NS1_11comp_targetILNS1_3genE5ELNS1_11target_archE942ELNS1_3gpuE9ELNS1_3repE0EEENS1_52radix_sort_onesweep_histogram_config_static_selectorELNS0_4arch9wavefront6targetE1EEEvSG_: ; @_ZN7rocprim17ROCPRIM_400000_NS6detail17trampoline_kernelINS0_14default_configENS1_35radix_sort_onesweep_config_selectorIssEEZNS1_34radix_sort_onesweep_global_offsetsIS3_Lb0EN6thrust23THRUST_200600_302600_NS6detail15normal_iteratorINS8_10device_ptrIsEEEESD_jNS0_19identity_decomposerEEE10hipError_tT1_T2_PT3_SI_jT4_jjP12ihipStream_tbEUlT_E_NS1_11comp_targetILNS1_3genE5ELNS1_11target_archE942ELNS1_3gpuE9ELNS1_3repE0EEENS1_52radix_sort_onesweep_histogram_config_static_selectorELNS0_4arch9wavefront6targetE1EEEvSG_
; %bb.0:
	.section	.rodata,"a",@progbits
	.p2align	6, 0x0
	.amdhsa_kernel _ZN7rocprim17ROCPRIM_400000_NS6detail17trampoline_kernelINS0_14default_configENS1_35radix_sort_onesweep_config_selectorIssEEZNS1_34radix_sort_onesweep_global_offsetsIS3_Lb0EN6thrust23THRUST_200600_302600_NS6detail15normal_iteratorINS8_10device_ptrIsEEEESD_jNS0_19identity_decomposerEEE10hipError_tT1_T2_PT3_SI_jT4_jjP12ihipStream_tbEUlT_E_NS1_11comp_targetILNS1_3genE5ELNS1_11target_archE942ELNS1_3gpuE9ELNS1_3repE0EEENS1_52radix_sort_onesweep_histogram_config_static_selectorELNS0_4arch9wavefront6targetE1EEEvSG_
		.amdhsa_group_segment_fixed_size 0
		.amdhsa_private_segment_fixed_size 0
		.amdhsa_kernarg_size 40
		.amdhsa_user_sgpr_count 2
		.amdhsa_user_sgpr_dispatch_ptr 0
		.amdhsa_user_sgpr_queue_ptr 0
		.amdhsa_user_sgpr_kernarg_segment_ptr 1
		.amdhsa_user_sgpr_dispatch_id 0
		.amdhsa_user_sgpr_kernarg_preload_length 0
		.amdhsa_user_sgpr_kernarg_preload_offset 0
		.amdhsa_user_sgpr_private_segment_size 0
		.amdhsa_uses_dynamic_stack 0
		.amdhsa_enable_private_segment 0
		.amdhsa_system_sgpr_workgroup_id_x 1
		.amdhsa_system_sgpr_workgroup_id_y 0
		.amdhsa_system_sgpr_workgroup_id_z 0
		.amdhsa_system_sgpr_workgroup_info 0
		.amdhsa_system_vgpr_workitem_id 0
		.amdhsa_next_free_vgpr 1
		.amdhsa_next_free_sgpr 0
		.amdhsa_accum_offset 4
		.amdhsa_reserve_vcc 0
		.amdhsa_float_round_mode_32 0
		.amdhsa_float_round_mode_16_64 0
		.amdhsa_float_denorm_mode_32 3
		.amdhsa_float_denorm_mode_16_64 3
		.amdhsa_dx10_clamp 1
		.amdhsa_ieee_mode 1
		.amdhsa_fp16_overflow 0
		.amdhsa_tg_split 0
		.amdhsa_exception_fp_ieee_invalid_op 0
		.amdhsa_exception_fp_denorm_src 0
		.amdhsa_exception_fp_ieee_div_zero 0
		.amdhsa_exception_fp_ieee_overflow 0
		.amdhsa_exception_fp_ieee_underflow 0
		.amdhsa_exception_fp_ieee_inexact 0
		.amdhsa_exception_int_div_zero 0
	.end_amdhsa_kernel
	.section	.text._ZN7rocprim17ROCPRIM_400000_NS6detail17trampoline_kernelINS0_14default_configENS1_35radix_sort_onesweep_config_selectorIssEEZNS1_34radix_sort_onesweep_global_offsetsIS3_Lb0EN6thrust23THRUST_200600_302600_NS6detail15normal_iteratorINS8_10device_ptrIsEEEESD_jNS0_19identity_decomposerEEE10hipError_tT1_T2_PT3_SI_jT4_jjP12ihipStream_tbEUlT_E_NS1_11comp_targetILNS1_3genE5ELNS1_11target_archE942ELNS1_3gpuE9ELNS1_3repE0EEENS1_52radix_sort_onesweep_histogram_config_static_selectorELNS0_4arch9wavefront6targetE1EEEvSG_,"axG",@progbits,_ZN7rocprim17ROCPRIM_400000_NS6detail17trampoline_kernelINS0_14default_configENS1_35radix_sort_onesweep_config_selectorIssEEZNS1_34radix_sort_onesweep_global_offsetsIS3_Lb0EN6thrust23THRUST_200600_302600_NS6detail15normal_iteratorINS8_10device_ptrIsEEEESD_jNS0_19identity_decomposerEEE10hipError_tT1_T2_PT3_SI_jT4_jjP12ihipStream_tbEUlT_E_NS1_11comp_targetILNS1_3genE5ELNS1_11target_archE942ELNS1_3gpuE9ELNS1_3repE0EEENS1_52radix_sort_onesweep_histogram_config_static_selectorELNS0_4arch9wavefront6targetE1EEEvSG_,comdat
.Lfunc_end1617:
	.size	_ZN7rocprim17ROCPRIM_400000_NS6detail17trampoline_kernelINS0_14default_configENS1_35radix_sort_onesweep_config_selectorIssEEZNS1_34radix_sort_onesweep_global_offsetsIS3_Lb0EN6thrust23THRUST_200600_302600_NS6detail15normal_iteratorINS8_10device_ptrIsEEEESD_jNS0_19identity_decomposerEEE10hipError_tT1_T2_PT3_SI_jT4_jjP12ihipStream_tbEUlT_E_NS1_11comp_targetILNS1_3genE5ELNS1_11target_archE942ELNS1_3gpuE9ELNS1_3repE0EEENS1_52radix_sort_onesweep_histogram_config_static_selectorELNS0_4arch9wavefront6targetE1EEEvSG_, .Lfunc_end1617-_ZN7rocprim17ROCPRIM_400000_NS6detail17trampoline_kernelINS0_14default_configENS1_35radix_sort_onesweep_config_selectorIssEEZNS1_34radix_sort_onesweep_global_offsetsIS3_Lb0EN6thrust23THRUST_200600_302600_NS6detail15normal_iteratorINS8_10device_ptrIsEEEESD_jNS0_19identity_decomposerEEE10hipError_tT1_T2_PT3_SI_jT4_jjP12ihipStream_tbEUlT_E_NS1_11comp_targetILNS1_3genE5ELNS1_11target_archE942ELNS1_3gpuE9ELNS1_3repE0EEENS1_52radix_sort_onesweep_histogram_config_static_selectorELNS0_4arch9wavefront6targetE1EEEvSG_
                                        ; -- End function
	.set _ZN7rocprim17ROCPRIM_400000_NS6detail17trampoline_kernelINS0_14default_configENS1_35radix_sort_onesweep_config_selectorIssEEZNS1_34radix_sort_onesweep_global_offsetsIS3_Lb0EN6thrust23THRUST_200600_302600_NS6detail15normal_iteratorINS8_10device_ptrIsEEEESD_jNS0_19identity_decomposerEEE10hipError_tT1_T2_PT3_SI_jT4_jjP12ihipStream_tbEUlT_E_NS1_11comp_targetILNS1_3genE5ELNS1_11target_archE942ELNS1_3gpuE9ELNS1_3repE0EEENS1_52radix_sort_onesweep_histogram_config_static_selectorELNS0_4arch9wavefront6targetE1EEEvSG_.num_vgpr, 0
	.set _ZN7rocprim17ROCPRIM_400000_NS6detail17trampoline_kernelINS0_14default_configENS1_35radix_sort_onesweep_config_selectorIssEEZNS1_34radix_sort_onesweep_global_offsetsIS3_Lb0EN6thrust23THRUST_200600_302600_NS6detail15normal_iteratorINS8_10device_ptrIsEEEESD_jNS0_19identity_decomposerEEE10hipError_tT1_T2_PT3_SI_jT4_jjP12ihipStream_tbEUlT_E_NS1_11comp_targetILNS1_3genE5ELNS1_11target_archE942ELNS1_3gpuE9ELNS1_3repE0EEENS1_52radix_sort_onesweep_histogram_config_static_selectorELNS0_4arch9wavefront6targetE1EEEvSG_.num_agpr, 0
	.set _ZN7rocprim17ROCPRIM_400000_NS6detail17trampoline_kernelINS0_14default_configENS1_35radix_sort_onesweep_config_selectorIssEEZNS1_34radix_sort_onesweep_global_offsetsIS3_Lb0EN6thrust23THRUST_200600_302600_NS6detail15normal_iteratorINS8_10device_ptrIsEEEESD_jNS0_19identity_decomposerEEE10hipError_tT1_T2_PT3_SI_jT4_jjP12ihipStream_tbEUlT_E_NS1_11comp_targetILNS1_3genE5ELNS1_11target_archE942ELNS1_3gpuE9ELNS1_3repE0EEENS1_52radix_sort_onesweep_histogram_config_static_selectorELNS0_4arch9wavefront6targetE1EEEvSG_.numbered_sgpr, 0
	.set _ZN7rocprim17ROCPRIM_400000_NS6detail17trampoline_kernelINS0_14default_configENS1_35radix_sort_onesweep_config_selectorIssEEZNS1_34radix_sort_onesweep_global_offsetsIS3_Lb0EN6thrust23THRUST_200600_302600_NS6detail15normal_iteratorINS8_10device_ptrIsEEEESD_jNS0_19identity_decomposerEEE10hipError_tT1_T2_PT3_SI_jT4_jjP12ihipStream_tbEUlT_E_NS1_11comp_targetILNS1_3genE5ELNS1_11target_archE942ELNS1_3gpuE9ELNS1_3repE0EEENS1_52radix_sort_onesweep_histogram_config_static_selectorELNS0_4arch9wavefront6targetE1EEEvSG_.num_named_barrier, 0
	.set _ZN7rocprim17ROCPRIM_400000_NS6detail17trampoline_kernelINS0_14default_configENS1_35radix_sort_onesweep_config_selectorIssEEZNS1_34radix_sort_onesweep_global_offsetsIS3_Lb0EN6thrust23THRUST_200600_302600_NS6detail15normal_iteratorINS8_10device_ptrIsEEEESD_jNS0_19identity_decomposerEEE10hipError_tT1_T2_PT3_SI_jT4_jjP12ihipStream_tbEUlT_E_NS1_11comp_targetILNS1_3genE5ELNS1_11target_archE942ELNS1_3gpuE9ELNS1_3repE0EEENS1_52radix_sort_onesweep_histogram_config_static_selectorELNS0_4arch9wavefront6targetE1EEEvSG_.private_seg_size, 0
	.set _ZN7rocprim17ROCPRIM_400000_NS6detail17trampoline_kernelINS0_14default_configENS1_35radix_sort_onesweep_config_selectorIssEEZNS1_34radix_sort_onesweep_global_offsetsIS3_Lb0EN6thrust23THRUST_200600_302600_NS6detail15normal_iteratorINS8_10device_ptrIsEEEESD_jNS0_19identity_decomposerEEE10hipError_tT1_T2_PT3_SI_jT4_jjP12ihipStream_tbEUlT_E_NS1_11comp_targetILNS1_3genE5ELNS1_11target_archE942ELNS1_3gpuE9ELNS1_3repE0EEENS1_52radix_sort_onesweep_histogram_config_static_selectorELNS0_4arch9wavefront6targetE1EEEvSG_.uses_vcc, 0
	.set _ZN7rocprim17ROCPRIM_400000_NS6detail17trampoline_kernelINS0_14default_configENS1_35radix_sort_onesweep_config_selectorIssEEZNS1_34radix_sort_onesweep_global_offsetsIS3_Lb0EN6thrust23THRUST_200600_302600_NS6detail15normal_iteratorINS8_10device_ptrIsEEEESD_jNS0_19identity_decomposerEEE10hipError_tT1_T2_PT3_SI_jT4_jjP12ihipStream_tbEUlT_E_NS1_11comp_targetILNS1_3genE5ELNS1_11target_archE942ELNS1_3gpuE9ELNS1_3repE0EEENS1_52radix_sort_onesweep_histogram_config_static_selectorELNS0_4arch9wavefront6targetE1EEEvSG_.uses_flat_scratch, 0
	.set _ZN7rocprim17ROCPRIM_400000_NS6detail17trampoline_kernelINS0_14default_configENS1_35radix_sort_onesweep_config_selectorIssEEZNS1_34radix_sort_onesweep_global_offsetsIS3_Lb0EN6thrust23THRUST_200600_302600_NS6detail15normal_iteratorINS8_10device_ptrIsEEEESD_jNS0_19identity_decomposerEEE10hipError_tT1_T2_PT3_SI_jT4_jjP12ihipStream_tbEUlT_E_NS1_11comp_targetILNS1_3genE5ELNS1_11target_archE942ELNS1_3gpuE9ELNS1_3repE0EEENS1_52radix_sort_onesweep_histogram_config_static_selectorELNS0_4arch9wavefront6targetE1EEEvSG_.has_dyn_sized_stack, 0
	.set _ZN7rocprim17ROCPRIM_400000_NS6detail17trampoline_kernelINS0_14default_configENS1_35radix_sort_onesweep_config_selectorIssEEZNS1_34radix_sort_onesweep_global_offsetsIS3_Lb0EN6thrust23THRUST_200600_302600_NS6detail15normal_iteratorINS8_10device_ptrIsEEEESD_jNS0_19identity_decomposerEEE10hipError_tT1_T2_PT3_SI_jT4_jjP12ihipStream_tbEUlT_E_NS1_11comp_targetILNS1_3genE5ELNS1_11target_archE942ELNS1_3gpuE9ELNS1_3repE0EEENS1_52radix_sort_onesweep_histogram_config_static_selectorELNS0_4arch9wavefront6targetE1EEEvSG_.has_recursion, 0
	.set _ZN7rocprim17ROCPRIM_400000_NS6detail17trampoline_kernelINS0_14default_configENS1_35radix_sort_onesweep_config_selectorIssEEZNS1_34radix_sort_onesweep_global_offsetsIS3_Lb0EN6thrust23THRUST_200600_302600_NS6detail15normal_iteratorINS8_10device_ptrIsEEEESD_jNS0_19identity_decomposerEEE10hipError_tT1_T2_PT3_SI_jT4_jjP12ihipStream_tbEUlT_E_NS1_11comp_targetILNS1_3genE5ELNS1_11target_archE942ELNS1_3gpuE9ELNS1_3repE0EEENS1_52radix_sort_onesweep_histogram_config_static_selectorELNS0_4arch9wavefront6targetE1EEEvSG_.has_indirect_call, 0
	.section	.AMDGPU.csdata,"",@progbits
; Kernel info:
; codeLenInByte = 0
; TotalNumSgprs: 6
; NumVgprs: 0
; NumAgprs: 0
; TotalNumVgprs: 0
; ScratchSize: 0
; MemoryBound: 0
; FloatMode: 240
; IeeeMode: 1
; LDSByteSize: 0 bytes/workgroup (compile time only)
; SGPRBlocks: 0
; VGPRBlocks: 0
; NumSGPRsForWavesPerEU: 6
; NumVGPRsForWavesPerEU: 1
; AccumOffset: 4
; Occupancy: 8
; WaveLimiterHint : 0
; COMPUTE_PGM_RSRC2:SCRATCH_EN: 0
; COMPUTE_PGM_RSRC2:USER_SGPR: 2
; COMPUTE_PGM_RSRC2:TRAP_HANDLER: 0
; COMPUTE_PGM_RSRC2:TGID_X_EN: 1
; COMPUTE_PGM_RSRC2:TGID_Y_EN: 0
; COMPUTE_PGM_RSRC2:TGID_Z_EN: 0
; COMPUTE_PGM_RSRC2:TIDIG_COMP_CNT: 0
; COMPUTE_PGM_RSRC3_GFX90A:ACCUM_OFFSET: 0
; COMPUTE_PGM_RSRC3_GFX90A:TG_SPLIT: 0
	.section	.text._ZN7rocprim17ROCPRIM_400000_NS6detail17trampoline_kernelINS0_14default_configENS1_35radix_sort_onesweep_config_selectorIssEEZNS1_34radix_sort_onesweep_global_offsetsIS3_Lb0EN6thrust23THRUST_200600_302600_NS6detail15normal_iteratorINS8_10device_ptrIsEEEESD_jNS0_19identity_decomposerEEE10hipError_tT1_T2_PT3_SI_jT4_jjP12ihipStream_tbEUlT_E_NS1_11comp_targetILNS1_3genE2ELNS1_11target_archE906ELNS1_3gpuE6ELNS1_3repE0EEENS1_52radix_sort_onesweep_histogram_config_static_selectorELNS0_4arch9wavefront6targetE1EEEvSG_,"axG",@progbits,_ZN7rocprim17ROCPRIM_400000_NS6detail17trampoline_kernelINS0_14default_configENS1_35radix_sort_onesweep_config_selectorIssEEZNS1_34radix_sort_onesweep_global_offsetsIS3_Lb0EN6thrust23THRUST_200600_302600_NS6detail15normal_iteratorINS8_10device_ptrIsEEEESD_jNS0_19identity_decomposerEEE10hipError_tT1_T2_PT3_SI_jT4_jjP12ihipStream_tbEUlT_E_NS1_11comp_targetILNS1_3genE2ELNS1_11target_archE906ELNS1_3gpuE6ELNS1_3repE0EEENS1_52radix_sort_onesweep_histogram_config_static_selectorELNS0_4arch9wavefront6targetE1EEEvSG_,comdat
	.protected	_ZN7rocprim17ROCPRIM_400000_NS6detail17trampoline_kernelINS0_14default_configENS1_35radix_sort_onesweep_config_selectorIssEEZNS1_34radix_sort_onesweep_global_offsetsIS3_Lb0EN6thrust23THRUST_200600_302600_NS6detail15normal_iteratorINS8_10device_ptrIsEEEESD_jNS0_19identity_decomposerEEE10hipError_tT1_T2_PT3_SI_jT4_jjP12ihipStream_tbEUlT_E_NS1_11comp_targetILNS1_3genE2ELNS1_11target_archE906ELNS1_3gpuE6ELNS1_3repE0EEENS1_52radix_sort_onesweep_histogram_config_static_selectorELNS0_4arch9wavefront6targetE1EEEvSG_ ; -- Begin function _ZN7rocprim17ROCPRIM_400000_NS6detail17trampoline_kernelINS0_14default_configENS1_35radix_sort_onesweep_config_selectorIssEEZNS1_34radix_sort_onesweep_global_offsetsIS3_Lb0EN6thrust23THRUST_200600_302600_NS6detail15normal_iteratorINS8_10device_ptrIsEEEESD_jNS0_19identity_decomposerEEE10hipError_tT1_T2_PT3_SI_jT4_jjP12ihipStream_tbEUlT_E_NS1_11comp_targetILNS1_3genE2ELNS1_11target_archE906ELNS1_3gpuE6ELNS1_3repE0EEENS1_52radix_sort_onesweep_histogram_config_static_selectorELNS0_4arch9wavefront6targetE1EEEvSG_
	.globl	_ZN7rocprim17ROCPRIM_400000_NS6detail17trampoline_kernelINS0_14default_configENS1_35radix_sort_onesweep_config_selectorIssEEZNS1_34radix_sort_onesweep_global_offsetsIS3_Lb0EN6thrust23THRUST_200600_302600_NS6detail15normal_iteratorINS8_10device_ptrIsEEEESD_jNS0_19identity_decomposerEEE10hipError_tT1_T2_PT3_SI_jT4_jjP12ihipStream_tbEUlT_E_NS1_11comp_targetILNS1_3genE2ELNS1_11target_archE906ELNS1_3gpuE6ELNS1_3repE0EEENS1_52radix_sort_onesweep_histogram_config_static_selectorELNS0_4arch9wavefront6targetE1EEEvSG_
	.p2align	8
	.type	_ZN7rocprim17ROCPRIM_400000_NS6detail17trampoline_kernelINS0_14default_configENS1_35radix_sort_onesweep_config_selectorIssEEZNS1_34radix_sort_onesweep_global_offsetsIS3_Lb0EN6thrust23THRUST_200600_302600_NS6detail15normal_iteratorINS8_10device_ptrIsEEEESD_jNS0_19identity_decomposerEEE10hipError_tT1_T2_PT3_SI_jT4_jjP12ihipStream_tbEUlT_E_NS1_11comp_targetILNS1_3genE2ELNS1_11target_archE906ELNS1_3gpuE6ELNS1_3repE0EEENS1_52radix_sort_onesweep_histogram_config_static_selectorELNS0_4arch9wavefront6targetE1EEEvSG_,@function
_ZN7rocprim17ROCPRIM_400000_NS6detail17trampoline_kernelINS0_14default_configENS1_35radix_sort_onesweep_config_selectorIssEEZNS1_34radix_sort_onesweep_global_offsetsIS3_Lb0EN6thrust23THRUST_200600_302600_NS6detail15normal_iteratorINS8_10device_ptrIsEEEESD_jNS0_19identity_decomposerEEE10hipError_tT1_T2_PT3_SI_jT4_jjP12ihipStream_tbEUlT_E_NS1_11comp_targetILNS1_3genE2ELNS1_11target_archE906ELNS1_3gpuE6ELNS1_3repE0EEENS1_52radix_sort_onesweep_histogram_config_static_selectorELNS0_4arch9wavefront6targetE1EEEvSG_: ; @_ZN7rocprim17ROCPRIM_400000_NS6detail17trampoline_kernelINS0_14default_configENS1_35radix_sort_onesweep_config_selectorIssEEZNS1_34radix_sort_onesweep_global_offsetsIS3_Lb0EN6thrust23THRUST_200600_302600_NS6detail15normal_iteratorINS8_10device_ptrIsEEEESD_jNS0_19identity_decomposerEEE10hipError_tT1_T2_PT3_SI_jT4_jjP12ihipStream_tbEUlT_E_NS1_11comp_targetILNS1_3genE2ELNS1_11target_archE906ELNS1_3gpuE6ELNS1_3repE0EEENS1_52radix_sort_onesweep_histogram_config_static_selectorELNS0_4arch9wavefront6targetE1EEEvSG_
; %bb.0:
	.section	.rodata,"a",@progbits
	.p2align	6, 0x0
	.amdhsa_kernel _ZN7rocprim17ROCPRIM_400000_NS6detail17trampoline_kernelINS0_14default_configENS1_35radix_sort_onesweep_config_selectorIssEEZNS1_34radix_sort_onesweep_global_offsetsIS3_Lb0EN6thrust23THRUST_200600_302600_NS6detail15normal_iteratorINS8_10device_ptrIsEEEESD_jNS0_19identity_decomposerEEE10hipError_tT1_T2_PT3_SI_jT4_jjP12ihipStream_tbEUlT_E_NS1_11comp_targetILNS1_3genE2ELNS1_11target_archE906ELNS1_3gpuE6ELNS1_3repE0EEENS1_52radix_sort_onesweep_histogram_config_static_selectorELNS0_4arch9wavefront6targetE1EEEvSG_
		.amdhsa_group_segment_fixed_size 0
		.amdhsa_private_segment_fixed_size 0
		.amdhsa_kernarg_size 40
		.amdhsa_user_sgpr_count 2
		.amdhsa_user_sgpr_dispatch_ptr 0
		.amdhsa_user_sgpr_queue_ptr 0
		.amdhsa_user_sgpr_kernarg_segment_ptr 1
		.amdhsa_user_sgpr_dispatch_id 0
		.amdhsa_user_sgpr_kernarg_preload_length 0
		.amdhsa_user_sgpr_kernarg_preload_offset 0
		.amdhsa_user_sgpr_private_segment_size 0
		.amdhsa_uses_dynamic_stack 0
		.amdhsa_enable_private_segment 0
		.amdhsa_system_sgpr_workgroup_id_x 1
		.amdhsa_system_sgpr_workgroup_id_y 0
		.amdhsa_system_sgpr_workgroup_id_z 0
		.amdhsa_system_sgpr_workgroup_info 0
		.amdhsa_system_vgpr_workitem_id 0
		.amdhsa_next_free_vgpr 1
		.amdhsa_next_free_sgpr 0
		.amdhsa_accum_offset 4
		.amdhsa_reserve_vcc 0
		.amdhsa_float_round_mode_32 0
		.amdhsa_float_round_mode_16_64 0
		.amdhsa_float_denorm_mode_32 3
		.amdhsa_float_denorm_mode_16_64 3
		.amdhsa_dx10_clamp 1
		.amdhsa_ieee_mode 1
		.amdhsa_fp16_overflow 0
		.amdhsa_tg_split 0
		.amdhsa_exception_fp_ieee_invalid_op 0
		.amdhsa_exception_fp_denorm_src 0
		.amdhsa_exception_fp_ieee_div_zero 0
		.amdhsa_exception_fp_ieee_overflow 0
		.amdhsa_exception_fp_ieee_underflow 0
		.amdhsa_exception_fp_ieee_inexact 0
		.amdhsa_exception_int_div_zero 0
	.end_amdhsa_kernel
	.section	.text._ZN7rocprim17ROCPRIM_400000_NS6detail17trampoline_kernelINS0_14default_configENS1_35radix_sort_onesweep_config_selectorIssEEZNS1_34radix_sort_onesweep_global_offsetsIS3_Lb0EN6thrust23THRUST_200600_302600_NS6detail15normal_iteratorINS8_10device_ptrIsEEEESD_jNS0_19identity_decomposerEEE10hipError_tT1_T2_PT3_SI_jT4_jjP12ihipStream_tbEUlT_E_NS1_11comp_targetILNS1_3genE2ELNS1_11target_archE906ELNS1_3gpuE6ELNS1_3repE0EEENS1_52radix_sort_onesweep_histogram_config_static_selectorELNS0_4arch9wavefront6targetE1EEEvSG_,"axG",@progbits,_ZN7rocprim17ROCPRIM_400000_NS6detail17trampoline_kernelINS0_14default_configENS1_35radix_sort_onesweep_config_selectorIssEEZNS1_34radix_sort_onesweep_global_offsetsIS3_Lb0EN6thrust23THRUST_200600_302600_NS6detail15normal_iteratorINS8_10device_ptrIsEEEESD_jNS0_19identity_decomposerEEE10hipError_tT1_T2_PT3_SI_jT4_jjP12ihipStream_tbEUlT_E_NS1_11comp_targetILNS1_3genE2ELNS1_11target_archE906ELNS1_3gpuE6ELNS1_3repE0EEENS1_52radix_sort_onesweep_histogram_config_static_selectorELNS0_4arch9wavefront6targetE1EEEvSG_,comdat
.Lfunc_end1618:
	.size	_ZN7rocprim17ROCPRIM_400000_NS6detail17trampoline_kernelINS0_14default_configENS1_35radix_sort_onesweep_config_selectorIssEEZNS1_34radix_sort_onesweep_global_offsetsIS3_Lb0EN6thrust23THRUST_200600_302600_NS6detail15normal_iteratorINS8_10device_ptrIsEEEESD_jNS0_19identity_decomposerEEE10hipError_tT1_T2_PT3_SI_jT4_jjP12ihipStream_tbEUlT_E_NS1_11comp_targetILNS1_3genE2ELNS1_11target_archE906ELNS1_3gpuE6ELNS1_3repE0EEENS1_52radix_sort_onesweep_histogram_config_static_selectorELNS0_4arch9wavefront6targetE1EEEvSG_, .Lfunc_end1618-_ZN7rocprim17ROCPRIM_400000_NS6detail17trampoline_kernelINS0_14default_configENS1_35radix_sort_onesweep_config_selectorIssEEZNS1_34radix_sort_onesweep_global_offsetsIS3_Lb0EN6thrust23THRUST_200600_302600_NS6detail15normal_iteratorINS8_10device_ptrIsEEEESD_jNS0_19identity_decomposerEEE10hipError_tT1_T2_PT3_SI_jT4_jjP12ihipStream_tbEUlT_E_NS1_11comp_targetILNS1_3genE2ELNS1_11target_archE906ELNS1_3gpuE6ELNS1_3repE0EEENS1_52radix_sort_onesweep_histogram_config_static_selectorELNS0_4arch9wavefront6targetE1EEEvSG_
                                        ; -- End function
	.set _ZN7rocprim17ROCPRIM_400000_NS6detail17trampoline_kernelINS0_14default_configENS1_35radix_sort_onesweep_config_selectorIssEEZNS1_34radix_sort_onesweep_global_offsetsIS3_Lb0EN6thrust23THRUST_200600_302600_NS6detail15normal_iteratorINS8_10device_ptrIsEEEESD_jNS0_19identity_decomposerEEE10hipError_tT1_T2_PT3_SI_jT4_jjP12ihipStream_tbEUlT_E_NS1_11comp_targetILNS1_3genE2ELNS1_11target_archE906ELNS1_3gpuE6ELNS1_3repE0EEENS1_52radix_sort_onesweep_histogram_config_static_selectorELNS0_4arch9wavefront6targetE1EEEvSG_.num_vgpr, 0
	.set _ZN7rocprim17ROCPRIM_400000_NS6detail17trampoline_kernelINS0_14default_configENS1_35radix_sort_onesweep_config_selectorIssEEZNS1_34radix_sort_onesweep_global_offsetsIS3_Lb0EN6thrust23THRUST_200600_302600_NS6detail15normal_iteratorINS8_10device_ptrIsEEEESD_jNS0_19identity_decomposerEEE10hipError_tT1_T2_PT3_SI_jT4_jjP12ihipStream_tbEUlT_E_NS1_11comp_targetILNS1_3genE2ELNS1_11target_archE906ELNS1_3gpuE6ELNS1_3repE0EEENS1_52radix_sort_onesweep_histogram_config_static_selectorELNS0_4arch9wavefront6targetE1EEEvSG_.num_agpr, 0
	.set _ZN7rocprim17ROCPRIM_400000_NS6detail17trampoline_kernelINS0_14default_configENS1_35radix_sort_onesweep_config_selectorIssEEZNS1_34radix_sort_onesweep_global_offsetsIS3_Lb0EN6thrust23THRUST_200600_302600_NS6detail15normal_iteratorINS8_10device_ptrIsEEEESD_jNS0_19identity_decomposerEEE10hipError_tT1_T2_PT3_SI_jT4_jjP12ihipStream_tbEUlT_E_NS1_11comp_targetILNS1_3genE2ELNS1_11target_archE906ELNS1_3gpuE6ELNS1_3repE0EEENS1_52radix_sort_onesweep_histogram_config_static_selectorELNS0_4arch9wavefront6targetE1EEEvSG_.numbered_sgpr, 0
	.set _ZN7rocprim17ROCPRIM_400000_NS6detail17trampoline_kernelINS0_14default_configENS1_35radix_sort_onesweep_config_selectorIssEEZNS1_34radix_sort_onesweep_global_offsetsIS3_Lb0EN6thrust23THRUST_200600_302600_NS6detail15normal_iteratorINS8_10device_ptrIsEEEESD_jNS0_19identity_decomposerEEE10hipError_tT1_T2_PT3_SI_jT4_jjP12ihipStream_tbEUlT_E_NS1_11comp_targetILNS1_3genE2ELNS1_11target_archE906ELNS1_3gpuE6ELNS1_3repE0EEENS1_52radix_sort_onesweep_histogram_config_static_selectorELNS0_4arch9wavefront6targetE1EEEvSG_.num_named_barrier, 0
	.set _ZN7rocprim17ROCPRIM_400000_NS6detail17trampoline_kernelINS0_14default_configENS1_35radix_sort_onesweep_config_selectorIssEEZNS1_34radix_sort_onesweep_global_offsetsIS3_Lb0EN6thrust23THRUST_200600_302600_NS6detail15normal_iteratorINS8_10device_ptrIsEEEESD_jNS0_19identity_decomposerEEE10hipError_tT1_T2_PT3_SI_jT4_jjP12ihipStream_tbEUlT_E_NS1_11comp_targetILNS1_3genE2ELNS1_11target_archE906ELNS1_3gpuE6ELNS1_3repE0EEENS1_52radix_sort_onesweep_histogram_config_static_selectorELNS0_4arch9wavefront6targetE1EEEvSG_.private_seg_size, 0
	.set _ZN7rocprim17ROCPRIM_400000_NS6detail17trampoline_kernelINS0_14default_configENS1_35radix_sort_onesweep_config_selectorIssEEZNS1_34radix_sort_onesweep_global_offsetsIS3_Lb0EN6thrust23THRUST_200600_302600_NS6detail15normal_iteratorINS8_10device_ptrIsEEEESD_jNS0_19identity_decomposerEEE10hipError_tT1_T2_PT3_SI_jT4_jjP12ihipStream_tbEUlT_E_NS1_11comp_targetILNS1_3genE2ELNS1_11target_archE906ELNS1_3gpuE6ELNS1_3repE0EEENS1_52radix_sort_onesweep_histogram_config_static_selectorELNS0_4arch9wavefront6targetE1EEEvSG_.uses_vcc, 0
	.set _ZN7rocprim17ROCPRIM_400000_NS6detail17trampoline_kernelINS0_14default_configENS1_35radix_sort_onesweep_config_selectorIssEEZNS1_34radix_sort_onesweep_global_offsetsIS3_Lb0EN6thrust23THRUST_200600_302600_NS6detail15normal_iteratorINS8_10device_ptrIsEEEESD_jNS0_19identity_decomposerEEE10hipError_tT1_T2_PT3_SI_jT4_jjP12ihipStream_tbEUlT_E_NS1_11comp_targetILNS1_3genE2ELNS1_11target_archE906ELNS1_3gpuE6ELNS1_3repE0EEENS1_52radix_sort_onesweep_histogram_config_static_selectorELNS0_4arch9wavefront6targetE1EEEvSG_.uses_flat_scratch, 0
	.set _ZN7rocprim17ROCPRIM_400000_NS6detail17trampoline_kernelINS0_14default_configENS1_35radix_sort_onesweep_config_selectorIssEEZNS1_34radix_sort_onesweep_global_offsetsIS3_Lb0EN6thrust23THRUST_200600_302600_NS6detail15normal_iteratorINS8_10device_ptrIsEEEESD_jNS0_19identity_decomposerEEE10hipError_tT1_T2_PT3_SI_jT4_jjP12ihipStream_tbEUlT_E_NS1_11comp_targetILNS1_3genE2ELNS1_11target_archE906ELNS1_3gpuE6ELNS1_3repE0EEENS1_52radix_sort_onesweep_histogram_config_static_selectorELNS0_4arch9wavefront6targetE1EEEvSG_.has_dyn_sized_stack, 0
	.set _ZN7rocprim17ROCPRIM_400000_NS6detail17trampoline_kernelINS0_14default_configENS1_35radix_sort_onesweep_config_selectorIssEEZNS1_34radix_sort_onesweep_global_offsetsIS3_Lb0EN6thrust23THRUST_200600_302600_NS6detail15normal_iteratorINS8_10device_ptrIsEEEESD_jNS0_19identity_decomposerEEE10hipError_tT1_T2_PT3_SI_jT4_jjP12ihipStream_tbEUlT_E_NS1_11comp_targetILNS1_3genE2ELNS1_11target_archE906ELNS1_3gpuE6ELNS1_3repE0EEENS1_52radix_sort_onesweep_histogram_config_static_selectorELNS0_4arch9wavefront6targetE1EEEvSG_.has_recursion, 0
	.set _ZN7rocprim17ROCPRIM_400000_NS6detail17trampoline_kernelINS0_14default_configENS1_35radix_sort_onesweep_config_selectorIssEEZNS1_34radix_sort_onesweep_global_offsetsIS3_Lb0EN6thrust23THRUST_200600_302600_NS6detail15normal_iteratorINS8_10device_ptrIsEEEESD_jNS0_19identity_decomposerEEE10hipError_tT1_T2_PT3_SI_jT4_jjP12ihipStream_tbEUlT_E_NS1_11comp_targetILNS1_3genE2ELNS1_11target_archE906ELNS1_3gpuE6ELNS1_3repE0EEENS1_52radix_sort_onesweep_histogram_config_static_selectorELNS0_4arch9wavefront6targetE1EEEvSG_.has_indirect_call, 0
	.section	.AMDGPU.csdata,"",@progbits
; Kernel info:
; codeLenInByte = 0
; TotalNumSgprs: 6
; NumVgprs: 0
; NumAgprs: 0
; TotalNumVgprs: 0
; ScratchSize: 0
; MemoryBound: 0
; FloatMode: 240
; IeeeMode: 1
; LDSByteSize: 0 bytes/workgroup (compile time only)
; SGPRBlocks: 0
; VGPRBlocks: 0
; NumSGPRsForWavesPerEU: 6
; NumVGPRsForWavesPerEU: 1
; AccumOffset: 4
; Occupancy: 8
; WaveLimiterHint : 0
; COMPUTE_PGM_RSRC2:SCRATCH_EN: 0
; COMPUTE_PGM_RSRC2:USER_SGPR: 2
; COMPUTE_PGM_RSRC2:TRAP_HANDLER: 0
; COMPUTE_PGM_RSRC2:TGID_X_EN: 1
; COMPUTE_PGM_RSRC2:TGID_Y_EN: 0
; COMPUTE_PGM_RSRC2:TGID_Z_EN: 0
; COMPUTE_PGM_RSRC2:TIDIG_COMP_CNT: 0
; COMPUTE_PGM_RSRC3_GFX90A:ACCUM_OFFSET: 0
; COMPUTE_PGM_RSRC3_GFX90A:TG_SPLIT: 0
	.section	.text._ZN7rocprim17ROCPRIM_400000_NS6detail17trampoline_kernelINS0_14default_configENS1_35radix_sort_onesweep_config_selectorIssEEZNS1_34radix_sort_onesweep_global_offsetsIS3_Lb0EN6thrust23THRUST_200600_302600_NS6detail15normal_iteratorINS8_10device_ptrIsEEEESD_jNS0_19identity_decomposerEEE10hipError_tT1_T2_PT3_SI_jT4_jjP12ihipStream_tbEUlT_E_NS1_11comp_targetILNS1_3genE4ELNS1_11target_archE910ELNS1_3gpuE8ELNS1_3repE0EEENS1_52radix_sort_onesweep_histogram_config_static_selectorELNS0_4arch9wavefront6targetE1EEEvSG_,"axG",@progbits,_ZN7rocprim17ROCPRIM_400000_NS6detail17trampoline_kernelINS0_14default_configENS1_35radix_sort_onesweep_config_selectorIssEEZNS1_34radix_sort_onesweep_global_offsetsIS3_Lb0EN6thrust23THRUST_200600_302600_NS6detail15normal_iteratorINS8_10device_ptrIsEEEESD_jNS0_19identity_decomposerEEE10hipError_tT1_T2_PT3_SI_jT4_jjP12ihipStream_tbEUlT_E_NS1_11comp_targetILNS1_3genE4ELNS1_11target_archE910ELNS1_3gpuE8ELNS1_3repE0EEENS1_52radix_sort_onesweep_histogram_config_static_selectorELNS0_4arch9wavefront6targetE1EEEvSG_,comdat
	.protected	_ZN7rocprim17ROCPRIM_400000_NS6detail17trampoline_kernelINS0_14default_configENS1_35radix_sort_onesweep_config_selectorIssEEZNS1_34radix_sort_onesweep_global_offsetsIS3_Lb0EN6thrust23THRUST_200600_302600_NS6detail15normal_iteratorINS8_10device_ptrIsEEEESD_jNS0_19identity_decomposerEEE10hipError_tT1_T2_PT3_SI_jT4_jjP12ihipStream_tbEUlT_E_NS1_11comp_targetILNS1_3genE4ELNS1_11target_archE910ELNS1_3gpuE8ELNS1_3repE0EEENS1_52radix_sort_onesweep_histogram_config_static_selectorELNS0_4arch9wavefront6targetE1EEEvSG_ ; -- Begin function _ZN7rocprim17ROCPRIM_400000_NS6detail17trampoline_kernelINS0_14default_configENS1_35radix_sort_onesweep_config_selectorIssEEZNS1_34radix_sort_onesweep_global_offsetsIS3_Lb0EN6thrust23THRUST_200600_302600_NS6detail15normal_iteratorINS8_10device_ptrIsEEEESD_jNS0_19identity_decomposerEEE10hipError_tT1_T2_PT3_SI_jT4_jjP12ihipStream_tbEUlT_E_NS1_11comp_targetILNS1_3genE4ELNS1_11target_archE910ELNS1_3gpuE8ELNS1_3repE0EEENS1_52radix_sort_onesweep_histogram_config_static_selectorELNS0_4arch9wavefront6targetE1EEEvSG_
	.globl	_ZN7rocprim17ROCPRIM_400000_NS6detail17trampoline_kernelINS0_14default_configENS1_35radix_sort_onesweep_config_selectorIssEEZNS1_34radix_sort_onesweep_global_offsetsIS3_Lb0EN6thrust23THRUST_200600_302600_NS6detail15normal_iteratorINS8_10device_ptrIsEEEESD_jNS0_19identity_decomposerEEE10hipError_tT1_T2_PT3_SI_jT4_jjP12ihipStream_tbEUlT_E_NS1_11comp_targetILNS1_3genE4ELNS1_11target_archE910ELNS1_3gpuE8ELNS1_3repE0EEENS1_52radix_sort_onesweep_histogram_config_static_selectorELNS0_4arch9wavefront6targetE1EEEvSG_
	.p2align	8
	.type	_ZN7rocprim17ROCPRIM_400000_NS6detail17trampoline_kernelINS0_14default_configENS1_35radix_sort_onesweep_config_selectorIssEEZNS1_34radix_sort_onesweep_global_offsetsIS3_Lb0EN6thrust23THRUST_200600_302600_NS6detail15normal_iteratorINS8_10device_ptrIsEEEESD_jNS0_19identity_decomposerEEE10hipError_tT1_T2_PT3_SI_jT4_jjP12ihipStream_tbEUlT_E_NS1_11comp_targetILNS1_3genE4ELNS1_11target_archE910ELNS1_3gpuE8ELNS1_3repE0EEENS1_52radix_sort_onesweep_histogram_config_static_selectorELNS0_4arch9wavefront6targetE1EEEvSG_,@function
_ZN7rocprim17ROCPRIM_400000_NS6detail17trampoline_kernelINS0_14default_configENS1_35radix_sort_onesweep_config_selectorIssEEZNS1_34radix_sort_onesweep_global_offsetsIS3_Lb0EN6thrust23THRUST_200600_302600_NS6detail15normal_iteratorINS8_10device_ptrIsEEEESD_jNS0_19identity_decomposerEEE10hipError_tT1_T2_PT3_SI_jT4_jjP12ihipStream_tbEUlT_E_NS1_11comp_targetILNS1_3genE4ELNS1_11target_archE910ELNS1_3gpuE8ELNS1_3repE0EEENS1_52radix_sort_onesweep_histogram_config_static_selectorELNS0_4arch9wavefront6targetE1EEEvSG_: ; @_ZN7rocprim17ROCPRIM_400000_NS6detail17trampoline_kernelINS0_14default_configENS1_35radix_sort_onesweep_config_selectorIssEEZNS1_34radix_sort_onesweep_global_offsetsIS3_Lb0EN6thrust23THRUST_200600_302600_NS6detail15normal_iteratorINS8_10device_ptrIsEEEESD_jNS0_19identity_decomposerEEE10hipError_tT1_T2_PT3_SI_jT4_jjP12ihipStream_tbEUlT_E_NS1_11comp_targetILNS1_3genE4ELNS1_11target_archE910ELNS1_3gpuE8ELNS1_3repE0EEENS1_52radix_sort_onesweep_histogram_config_static_selectorELNS0_4arch9wavefront6targetE1EEEvSG_
; %bb.0:
	.section	.rodata,"a",@progbits
	.p2align	6, 0x0
	.amdhsa_kernel _ZN7rocprim17ROCPRIM_400000_NS6detail17trampoline_kernelINS0_14default_configENS1_35radix_sort_onesweep_config_selectorIssEEZNS1_34radix_sort_onesweep_global_offsetsIS3_Lb0EN6thrust23THRUST_200600_302600_NS6detail15normal_iteratorINS8_10device_ptrIsEEEESD_jNS0_19identity_decomposerEEE10hipError_tT1_T2_PT3_SI_jT4_jjP12ihipStream_tbEUlT_E_NS1_11comp_targetILNS1_3genE4ELNS1_11target_archE910ELNS1_3gpuE8ELNS1_3repE0EEENS1_52radix_sort_onesweep_histogram_config_static_selectorELNS0_4arch9wavefront6targetE1EEEvSG_
		.amdhsa_group_segment_fixed_size 0
		.amdhsa_private_segment_fixed_size 0
		.amdhsa_kernarg_size 40
		.amdhsa_user_sgpr_count 2
		.amdhsa_user_sgpr_dispatch_ptr 0
		.amdhsa_user_sgpr_queue_ptr 0
		.amdhsa_user_sgpr_kernarg_segment_ptr 1
		.amdhsa_user_sgpr_dispatch_id 0
		.amdhsa_user_sgpr_kernarg_preload_length 0
		.amdhsa_user_sgpr_kernarg_preload_offset 0
		.amdhsa_user_sgpr_private_segment_size 0
		.amdhsa_uses_dynamic_stack 0
		.amdhsa_enable_private_segment 0
		.amdhsa_system_sgpr_workgroup_id_x 1
		.amdhsa_system_sgpr_workgroup_id_y 0
		.amdhsa_system_sgpr_workgroup_id_z 0
		.amdhsa_system_sgpr_workgroup_info 0
		.amdhsa_system_vgpr_workitem_id 0
		.amdhsa_next_free_vgpr 1
		.amdhsa_next_free_sgpr 0
		.amdhsa_accum_offset 4
		.amdhsa_reserve_vcc 0
		.amdhsa_float_round_mode_32 0
		.amdhsa_float_round_mode_16_64 0
		.amdhsa_float_denorm_mode_32 3
		.amdhsa_float_denorm_mode_16_64 3
		.amdhsa_dx10_clamp 1
		.amdhsa_ieee_mode 1
		.amdhsa_fp16_overflow 0
		.amdhsa_tg_split 0
		.amdhsa_exception_fp_ieee_invalid_op 0
		.amdhsa_exception_fp_denorm_src 0
		.amdhsa_exception_fp_ieee_div_zero 0
		.amdhsa_exception_fp_ieee_overflow 0
		.amdhsa_exception_fp_ieee_underflow 0
		.amdhsa_exception_fp_ieee_inexact 0
		.amdhsa_exception_int_div_zero 0
	.end_amdhsa_kernel
	.section	.text._ZN7rocprim17ROCPRIM_400000_NS6detail17trampoline_kernelINS0_14default_configENS1_35radix_sort_onesweep_config_selectorIssEEZNS1_34radix_sort_onesweep_global_offsetsIS3_Lb0EN6thrust23THRUST_200600_302600_NS6detail15normal_iteratorINS8_10device_ptrIsEEEESD_jNS0_19identity_decomposerEEE10hipError_tT1_T2_PT3_SI_jT4_jjP12ihipStream_tbEUlT_E_NS1_11comp_targetILNS1_3genE4ELNS1_11target_archE910ELNS1_3gpuE8ELNS1_3repE0EEENS1_52radix_sort_onesweep_histogram_config_static_selectorELNS0_4arch9wavefront6targetE1EEEvSG_,"axG",@progbits,_ZN7rocprim17ROCPRIM_400000_NS6detail17trampoline_kernelINS0_14default_configENS1_35radix_sort_onesweep_config_selectorIssEEZNS1_34radix_sort_onesweep_global_offsetsIS3_Lb0EN6thrust23THRUST_200600_302600_NS6detail15normal_iteratorINS8_10device_ptrIsEEEESD_jNS0_19identity_decomposerEEE10hipError_tT1_T2_PT3_SI_jT4_jjP12ihipStream_tbEUlT_E_NS1_11comp_targetILNS1_3genE4ELNS1_11target_archE910ELNS1_3gpuE8ELNS1_3repE0EEENS1_52radix_sort_onesweep_histogram_config_static_selectorELNS0_4arch9wavefront6targetE1EEEvSG_,comdat
.Lfunc_end1619:
	.size	_ZN7rocprim17ROCPRIM_400000_NS6detail17trampoline_kernelINS0_14default_configENS1_35radix_sort_onesweep_config_selectorIssEEZNS1_34radix_sort_onesweep_global_offsetsIS3_Lb0EN6thrust23THRUST_200600_302600_NS6detail15normal_iteratorINS8_10device_ptrIsEEEESD_jNS0_19identity_decomposerEEE10hipError_tT1_T2_PT3_SI_jT4_jjP12ihipStream_tbEUlT_E_NS1_11comp_targetILNS1_3genE4ELNS1_11target_archE910ELNS1_3gpuE8ELNS1_3repE0EEENS1_52radix_sort_onesweep_histogram_config_static_selectorELNS0_4arch9wavefront6targetE1EEEvSG_, .Lfunc_end1619-_ZN7rocprim17ROCPRIM_400000_NS6detail17trampoline_kernelINS0_14default_configENS1_35radix_sort_onesweep_config_selectorIssEEZNS1_34radix_sort_onesweep_global_offsetsIS3_Lb0EN6thrust23THRUST_200600_302600_NS6detail15normal_iteratorINS8_10device_ptrIsEEEESD_jNS0_19identity_decomposerEEE10hipError_tT1_T2_PT3_SI_jT4_jjP12ihipStream_tbEUlT_E_NS1_11comp_targetILNS1_3genE4ELNS1_11target_archE910ELNS1_3gpuE8ELNS1_3repE0EEENS1_52radix_sort_onesweep_histogram_config_static_selectorELNS0_4arch9wavefront6targetE1EEEvSG_
                                        ; -- End function
	.set _ZN7rocprim17ROCPRIM_400000_NS6detail17trampoline_kernelINS0_14default_configENS1_35radix_sort_onesweep_config_selectorIssEEZNS1_34radix_sort_onesweep_global_offsetsIS3_Lb0EN6thrust23THRUST_200600_302600_NS6detail15normal_iteratorINS8_10device_ptrIsEEEESD_jNS0_19identity_decomposerEEE10hipError_tT1_T2_PT3_SI_jT4_jjP12ihipStream_tbEUlT_E_NS1_11comp_targetILNS1_3genE4ELNS1_11target_archE910ELNS1_3gpuE8ELNS1_3repE0EEENS1_52radix_sort_onesweep_histogram_config_static_selectorELNS0_4arch9wavefront6targetE1EEEvSG_.num_vgpr, 0
	.set _ZN7rocprim17ROCPRIM_400000_NS6detail17trampoline_kernelINS0_14default_configENS1_35radix_sort_onesweep_config_selectorIssEEZNS1_34radix_sort_onesweep_global_offsetsIS3_Lb0EN6thrust23THRUST_200600_302600_NS6detail15normal_iteratorINS8_10device_ptrIsEEEESD_jNS0_19identity_decomposerEEE10hipError_tT1_T2_PT3_SI_jT4_jjP12ihipStream_tbEUlT_E_NS1_11comp_targetILNS1_3genE4ELNS1_11target_archE910ELNS1_3gpuE8ELNS1_3repE0EEENS1_52radix_sort_onesweep_histogram_config_static_selectorELNS0_4arch9wavefront6targetE1EEEvSG_.num_agpr, 0
	.set _ZN7rocprim17ROCPRIM_400000_NS6detail17trampoline_kernelINS0_14default_configENS1_35radix_sort_onesweep_config_selectorIssEEZNS1_34radix_sort_onesweep_global_offsetsIS3_Lb0EN6thrust23THRUST_200600_302600_NS6detail15normal_iteratorINS8_10device_ptrIsEEEESD_jNS0_19identity_decomposerEEE10hipError_tT1_T2_PT3_SI_jT4_jjP12ihipStream_tbEUlT_E_NS1_11comp_targetILNS1_3genE4ELNS1_11target_archE910ELNS1_3gpuE8ELNS1_3repE0EEENS1_52radix_sort_onesweep_histogram_config_static_selectorELNS0_4arch9wavefront6targetE1EEEvSG_.numbered_sgpr, 0
	.set _ZN7rocprim17ROCPRIM_400000_NS6detail17trampoline_kernelINS0_14default_configENS1_35radix_sort_onesweep_config_selectorIssEEZNS1_34radix_sort_onesweep_global_offsetsIS3_Lb0EN6thrust23THRUST_200600_302600_NS6detail15normal_iteratorINS8_10device_ptrIsEEEESD_jNS0_19identity_decomposerEEE10hipError_tT1_T2_PT3_SI_jT4_jjP12ihipStream_tbEUlT_E_NS1_11comp_targetILNS1_3genE4ELNS1_11target_archE910ELNS1_3gpuE8ELNS1_3repE0EEENS1_52radix_sort_onesweep_histogram_config_static_selectorELNS0_4arch9wavefront6targetE1EEEvSG_.num_named_barrier, 0
	.set _ZN7rocprim17ROCPRIM_400000_NS6detail17trampoline_kernelINS0_14default_configENS1_35radix_sort_onesweep_config_selectorIssEEZNS1_34radix_sort_onesweep_global_offsetsIS3_Lb0EN6thrust23THRUST_200600_302600_NS6detail15normal_iteratorINS8_10device_ptrIsEEEESD_jNS0_19identity_decomposerEEE10hipError_tT1_T2_PT3_SI_jT4_jjP12ihipStream_tbEUlT_E_NS1_11comp_targetILNS1_3genE4ELNS1_11target_archE910ELNS1_3gpuE8ELNS1_3repE0EEENS1_52radix_sort_onesweep_histogram_config_static_selectorELNS0_4arch9wavefront6targetE1EEEvSG_.private_seg_size, 0
	.set _ZN7rocprim17ROCPRIM_400000_NS6detail17trampoline_kernelINS0_14default_configENS1_35radix_sort_onesweep_config_selectorIssEEZNS1_34radix_sort_onesweep_global_offsetsIS3_Lb0EN6thrust23THRUST_200600_302600_NS6detail15normal_iteratorINS8_10device_ptrIsEEEESD_jNS0_19identity_decomposerEEE10hipError_tT1_T2_PT3_SI_jT4_jjP12ihipStream_tbEUlT_E_NS1_11comp_targetILNS1_3genE4ELNS1_11target_archE910ELNS1_3gpuE8ELNS1_3repE0EEENS1_52radix_sort_onesweep_histogram_config_static_selectorELNS0_4arch9wavefront6targetE1EEEvSG_.uses_vcc, 0
	.set _ZN7rocprim17ROCPRIM_400000_NS6detail17trampoline_kernelINS0_14default_configENS1_35radix_sort_onesweep_config_selectorIssEEZNS1_34radix_sort_onesweep_global_offsetsIS3_Lb0EN6thrust23THRUST_200600_302600_NS6detail15normal_iteratorINS8_10device_ptrIsEEEESD_jNS0_19identity_decomposerEEE10hipError_tT1_T2_PT3_SI_jT4_jjP12ihipStream_tbEUlT_E_NS1_11comp_targetILNS1_3genE4ELNS1_11target_archE910ELNS1_3gpuE8ELNS1_3repE0EEENS1_52radix_sort_onesweep_histogram_config_static_selectorELNS0_4arch9wavefront6targetE1EEEvSG_.uses_flat_scratch, 0
	.set _ZN7rocprim17ROCPRIM_400000_NS6detail17trampoline_kernelINS0_14default_configENS1_35radix_sort_onesweep_config_selectorIssEEZNS1_34radix_sort_onesweep_global_offsetsIS3_Lb0EN6thrust23THRUST_200600_302600_NS6detail15normal_iteratorINS8_10device_ptrIsEEEESD_jNS0_19identity_decomposerEEE10hipError_tT1_T2_PT3_SI_jT4_jjP12ihipStream_tbEUlT_E_NS1_11comp_targetILNS1_3genE4ELNS1_11target_archE910ELNS1_3gpuE8ELNS1_3repE0EEENS1_52radix_sort_onesweep_histogram_config_static_selectorELNS0_4arch9wavefront6targetE1EEEvSG_.has_dyn_sized_stack, 0
	.set _ZN7rocprim17ROCPRIM_400000_NS6detail17trampoline_kernelINS0_14default_configENS1_35radix_sort_onesweep_config_selectorIssEEZNS1_34radix_sort_onesweep_global_offsetsIS3_Lb0EN6thrust23THRUST_200600_302600_NS6detail15normal_iteratorINS8_10device_ptrIsEEEESD_jNS0_19identity_decomposerEEE10hipError_tT1_T2_PT3_SI_jT4_jjP12ihipStream_tbEUlT_E_NS1_11comp_targetILNS1_3genE4ELNS1_11target_archE910ELNS1_3gpuE8ELNS1_3repE0EEENS1_52radix_sort_onesweep_histogram_config_static_selectorELNS0_4arch9wavefront6targetE1EEEvSG_.has_recursion, 0
	.set _ZN7rocprim17ROCPRIM_400000_NS6detail17trampoline_kernelINS0_14default_configENS1_35radix_sort_onesweep_config_selectorIssEEZNS1_34radix_sort_onesweep_global_offsetsIS3_Lb0EN6thrust23THRUST_200600_302600_NS6detail15normal_iteratorINS8_10device_ptrIsEEEESD_jNS0_19identity_decomposerEEE10hipError_tT1_T2_PT3_SI_jT4_jjP12ihipStream_tbEUlT_E_NS1_11comp_targetILNS1_3genE4ELNS1_11target_archE910ELNS1_3gpuE8ELNS1_3repE0EEENS1_52radix_sort_onesweep_histogram_config_static_selectorELNS0_4arch9wavefront6targetE1EEEvSG_.has_indirect_call, 0
	.section	.AMDGPU.csdata,"",@progbits
; Kernel info:
; codeLenInByte = 0
; TotalNumSgprs: 6
; NumVgprs: 0
; NumAgprs: 0
; TotalNumVgprs: 0
; ScratchSize: 0
; MemoryBound: 0
; FloatMode: 240
; IeeeMode: 1
; LDSByteSize: 0 bytes/workgroup (compile time only)
; SGPRBlocks: 0
; VGPRBlocks: 0
; NumSGPRsForWavesPerEU: 6
; NumVGPRsForWavesPerEU: 1
; AccumOffset: 4
; Occupancy: 8
; WaveLimiterHint : 0
; COMPUTE_PGM_RSRC2:SCRATCH_EN: 0
; COMPUTE_PGM_RSRC2:USER_SGPR: 2
; COMPUTE_PGM_RSRC2:TRAP_HANDLER: 0
; COMPUTE_PGM_RSRC2:TGID_X_EN: 1
; COMPUTE_PGM_RSRC2:TGID_Y_EN: 0
; COMPUTE_PGM_RSRC2:TGID_Z_EN: 0
; COMPUTE_PGM_RSRC2:TIDIG_COMP_CNT: 0
; COMPUTE_PGM_RSRC3_GFX90A:ACCUM_OFFSET: 0
; COMPUTE_PGM_RSRC3_GFX90A:TG_SPLIT: 0
	.section	.text._ZN7rocprim17ROCPRIM_400000_NS6detail17trampoline_kernelINS0_14default_configENS1_35radix_sort_onesweep_config_selectorIssEEZNS1_34radix_sort_onesweep_global_offsetsIS3_Lb0EN6thrust23THRUST_200600_302600_NS6detail15normal_iteratorINS8_10device_ptrIsEEEESD_jNS0_19identity_decomposerEEE10hipError_tT1_T2_PT3_SI_jT4_jjP12ihipStream_tbEUlT_E_NS1_11comp_targetILNS1_3genE3ELNS1_11target_archE908ELNS1_3gpuE7ELNS1_3repE0EEENS1_52radix_sort_onesweep_histogram_config_static_selectorELNS0_4arch9wavefront6targetE1EEEvSG_,"axG",@progbits,_ZN7rocprim17ROCPRIM_400000_NS6detail17trampoline_kernelINS0_14default_configENS1_35radix_sort_onesweep_config_selectorIssEEZNS1_34radix_sort_onesweep_global_offsetsIS3_Lb0EN6thrust23THRUST_200600_302600_NS6detail15normal_iteratorINS8_10device_ptrIsEEEESD_jNS0_19identity_decomposerEEE10hipError_tT1_T2_PT3_SI_jT4_jjP12ihipStream_tbEUlT_E_NS1_11comp_targetILNS1_3genE3ELNS1_11target_archE908ELNS1_3gpuE7ELNS1_3repE0EEENS1_52radix_sort_onesweep_histogram_config_static_selectorELNS0_4arch9wavefront6targetE1EEEvSG_,comdat
	.protected	_ZN7rocprim17ROCPRIM_400000_NS6detail17trampoline_kernelINS0_14default_configENS1_35radix_sort_onesweep_config_selectorIssEEZNS1_34radix_sort_onesweep_global_offsetsIS3_Lb0EN6thrust23THRUST_200600_302600_NS6detail15normal_iteratorINS8_10device_ptrIsEEEESD_jNS0_19identity_decomposerEEE10hipError_tT1_T2_PT3_SI_jT4_jjP12ihipStream_tbEUlT_E_NS1_11comp_targetILNS1_3genE3ELNS1_11target_archE908ELNS1_3gpuE7ELNS1_3repE0EEENS1_52radix_sort_onesweep_histogram_config_static_selectorELNS0_4arch9wavefront6targetE1EEEvSG_ ; -- Begin function _ZN7rocprim17ROCPRIM_400000_NS6detail17trampoline_kernelINS0_14default_configENS1_35radix_sort_onesweep_config_selectorIssEEZNS1_34radix_sort_onesweep_global_offsetsIS3_Lb0EN6thrust23THRUST_200600_302600_NS6detail15normal_iteratorINS8_10device_ptrIsEEEESD_jNS0_19identity_decomposerEEE10hipError_tT1_T2_PT3_SI_jT4_jjP12ihipStream_tbEUlT_E_NS1_11comp_targetILNS1_3genE3ELNS1_11target_archE908ELNS1_3gpuE7ELNS1_3repE0EEENS1_52radix_sort_onesweep_histogram_config_static_selectorELNS0_4arch9wavefront6targetE1EEEvSG_
	.globl	_ZN7rocprim17ROCPRIM_400000_NS6detail17trampoline_kernelINS0_14default_configENS1_35radix_sort_onesweep_config_selectorIssEEZNS1_34radix_sort_onesweep_global_offsetsIS3_Lb0EN6thrust23THRUST_200600_302600_NS6detail15normal_iteratorINS8_10device_ptrIsEEEESD_jNS0_19identity_decomposerEEE10hipError_tT1_T2_PT3_SI_jT4_jjP12ihipStream_tbEUlT_E_NS1_11comp_targetILNS1_3genE3ELNS1_11target_archE908ELNS1_3gpuE7ELNS1_3repE0EEENS1_52radix_sort_onesweep_histogram_config_static_selectorELNS0_4arch9wavefront6targetE1EEEvSG_
	.p2align	8
	.type	_ZN7rocprim17ROCPRIM_400000_NS6detail17trampoline_kernelINS0_14default_configENS1_35radix_sort_onesweep_config_selectorIssEEZNS1_34radix_sort_onesweep_global_offsetsIS3_Lb0EN6thrust23THRUST_200600_302600_NS6detail15normal_iteratorINS8_10device_ptrIsEEEESD_jNS0_19identity_decomposerEEE10hipError_tT1_T2_PT3_SI_jT4_jjP12ihipStream_tbEUlT_E_NS1_11comp_targetILNS1_3genE3ELNS1_11target_archE908ELNS1_3gpuE7ELNS1_3repE0EEENS1_52radix_sort_onesweep_histogram_config_static_selectorELNS0_4arch9wavefront6targetE1EEEvSG_,@function
_ZN7rocprim17ROCPRIM_400000_NS6detail17trampoline_kernelINS0_14default_configENS1_35radix_sort_onesweep_config_selectorIssEEZNS1_34radix_sort_onesweep_global_offsetsIS3_Lb0EN6thrust23THRUST_200600_302600_NS6detail15normal_iteratorINS8_10device_ptrIsEEEESD_jNS0_19identity_decomposerEEE10hipError_tT1_T2_PT3_SI_jT4_jjP12ihipStream_tbEUlT_E_NS1_11comp_targetILNS1_3genE3ELNS1_11target_archE908ELNS1_3gpuE7ELNS1_3repE0EEENS1_52radix_sort_onesweep_histogram_config_static_selectorELNS0_4arch9wavefront6targetE1EEEvSG_: ; @_ZN7rocprim17ROCPRIM_400000_NS6detail17trampoline_kernelINS0_14default_configENS1_35radix_sort_onesweep_config_selectorIssEEZNS1_34radix_sort_onesweep_global_offsetsIS3_Lb0EN6thrust23THRUST_200600_302600_NS6detail15normal_iteratorINS8_10device_ptrIsEEEESD_jNS0_19identity_decomposerEEE10hipError_tT1_T2_PT3_SI_jT4_jjP12ihipStream_tbEUlT_E_NS1_11comp_targetILNS1_3genE3ELNS1_11target_archE908ELNS1_3gpuE7ELNS1_3repE0EEENS1_52radix_sort_onesweep_histogram_config_static_selectorELNS0_4arch9wavefront6targetE1EEEvSG_
; %bb.0:
	.section	.rodata,"a",@progbits
	.p2align	6, 0x0
	.amdhsa_kernel _ZN7rocprim17ROCPRIM_400000_NS6detail17trampoline_kernelINS0_14default_configENS1_35radix_sort_onesweep_config_selectorIssEEZNS1_34radix_sort_onesweep_global_offsetsIS3_Lb0EN6thrust23THRUST_200600_302600_NS6detail15normal_iteratorINS8_10device_ptrIsEEEESD_jNS0_19identity_decomposerEEE10hipError_tT1_T2_PT3_SI_jT4_jjP12ihipStream_tbEUlT_E_NS1_11comp_targetILNS1_3genE3ELNS1_11target_archE908ELNS1_3gpuE7ELNS1_3repE0EEENS1_52radix_sort_onesweep_histogram_config_static_selectorELNS0_4arch9wavefront6targetE1EEEvSG_
		.amdhsa_group_segment_fixed_size 0
		.amdhsa_private_segment_fixed_size 0
		.amdhsa_kernarg_size 40
		.amdhsa_user_sgpr_count 2
		.amdhsa_user_sgpr_dispatch_ptr 0
		.amdhsa_user_sgpr_queue_ptr 0
		.amdhsa_user_sgpr_kernarg_segment_ptr 1
		.amdhsa_user_sgpr_dispatch_id 0
		.amdhsa_user_sgpr_kernarg_preload_length 0
		.amdhsa_user_sgpr_kernarg_preload_offset 0
		.amdhsa_user_sgpr_private_segment_size 0
		.amdhsa_uses_dynamic_stack 0
		.amdhsa_enable_private_segment 0
		.amdhsa_system_sgpr_workgroup_id_x 1
		.amdhsa_system_sgpr_workgroup_id_y 0
		.amdhsa_system_sgpr_workgroup_id_z 0
		.amdhsa_system_sgpr_workgroup_info 0
		.amdhsa_system_vgpr_workitem_id 0
		.amdhsa_next_free_vgpr 1
		.amdhsa_next_free_sgpr 0
		.amdhsa_accum_offset 4
		.amdhsa_reserve_vcc 0
		.amdhsa_float_round_mode_32 0
		.amdhsa_float_round_mode_16_64 0
		.amdhsa_float_denorm_mode_32 3
		.amdhsa_float_denorm_mode_16_64 3
		.amdhsa_dx10_clamp 1
		.amdhsa_ieee_mode 1
		.amdhsa_fp16_overflow 0
		.amdhsa_tg_split 0
		.amdhsa_exception_fp_ieee_invalid_op 0
		.amdhsa_exception_fp_denorm_src 0
		.amdhsa_exception_fp_ieee_div_zero 0
		.amdhsa_exception_fp_ieee_overflow 0
		.amdhsa_exception_fp_ieee_underflow 0
		.amdhsa_exception_fp_ieee_inexact 0
		.amdhsa_exception_int_div_zero 0
	.end_amdhsa_kernel
	.section	.text._ZN7rocprim17ROCPRIM_400000_NS6detail17trampoline_kernelINS0_14default_configENS1_35radix_sort_onesweep_config_selectorIssEEZNS1_34radix_sort_onesweep_global_offsetsIS3_Lb0EN6thrust23THRUST_200600_302600_NS6detail15normal_iteratorINS8_10device_ptrIsEEEESD_jNS0_19identity_decomposerEEE10hipError_tT1_T2_PT3_SI_jT4_jjP12ihipStream_tbEUlT_E_NS1_11comp_targetILNS1_3genE3ELNS1_11target_archE908ELNS1_3gpuE7ELNS1_3repE0EEENS1_52radix_sort_onesweep_histogram_config_static_selectorELNS0_4arch9wavefront6targetE1EEEvSG_,"axG",@progbits,_ZN7rocprim17ROCPRIM_400000_NS6detail17trampoline_kernelINS0_14default_configENS1_35radix_sort_onesweep_config_selectorIssEEZNS1_34radix_sort_onesweep_global_offsetsIS3_Lb0EN6thrust23THRUST_200600_302600_NS6detail15normal_iteratorINS8_10device_ptrIsEEEESD_jNS0_19identity_decomposerEEE10hipError_tT1_T2_PT3_SI_jT4_jjP12ihipStream_tbEUlT_E_NS1_11comp_targetILNS1_3genE3ELNS1_11target_archE908ELNS1_3gpuE7ELNS1_3repE0EEENS1_52radix_sort_onesweep_histogram_config_static_selectorELNS0_4arch9wavefront6targetE1EEEvSG_,comdat
.Lfunc_end1620:
	.size	_ZN7rocprim17ROCPRIM_400000_NS6detail17trampoline_kernelINS0_14default_configENS1_35radix_sort_onesweep_config_selectorIssEEZNS1_34radix_sort_onesweep_global_offsetsIS3_Lb0EN6thrust23THRUST_200600_302600_NS6detail15normal_iteratorINS8_10device_ptrIsEEEESD_jNS0_19identity_decomposerEEE10hipError_tT1_T2_PT3_SI_jT4_jjP12ihipStream_tbEUlT_E_NS1_11comp_targetILNS1_3genE3ELNS1_11target_archE908ELNS1_3gpuE7ELNS1_3repE0EEENS1_52radix_sort_onesweep_histogram_config_static_selectorELNS0_4arch9wavefront6targetE1EEEvSG_, .Lfunc_end1620-_ZN7rocprim17ROCPRIM_400000_NS6detail17trampoline_kernelINS0_14default_configENS1_35radix_sort_onesweep_config_selectorIssEEZNS1_34radix_sort_onesweep_global_offsetsIS3_Lb0EN6thrust23THRUST_200600_302600_NS6detail15normal_iteratorINS8_10device_ptrIsEEEESD_jNS0_19identity_decomposerEEE10hipError_tT1_T2_PT3_SI_jT4_jjP12ihipStream_tbEUlT_E_NS1_11comp_targetILNS1_3genE3ELNS1_11target_archE908ELNS1_3gpuE7ELNS1_3repE0EEENS1_52radix_sort_onesweep_histogram_config_static_selectorELNS0_4arch9wavefront6targetE1EEEvSG_
                                        ; -- End function
	.set _ZN7rocprim17ROCPRIM_400000_NS6detail17trampoline_kernelINS0_14default_configENS1_35radix_sort_onesweep_config_selectorIssEEZNS1_34radix_sort_onesweep_global_offsetsIS3_Lb0EN6thrust23THRUST_200600_302600_NS6detail15normal_iteratorINS8_10device_ptrIsEEEESD_jNS0_19identity_decomposerEEE10hipError_tT1_T2_PT3_SI_jT4_jjP12ihipStream_tbEUlT_E_NS1_11comp_targetILNS1_3genE3ELNS1_11target_archE908ELNS1_3gpuE7ELNS1_3repE0EEENS1_52radix_sort_onesweep_histogram_config_static_selectorELNS0_4arch9wavefront6targetE1EEEvSG_.num_vgpr, 0
	.set _ZN7rocprim17ROCPRIM_400000_NS6detail17trampoline_kernelINS0_14default_configENS1_35radix_sort_onesweep_config_selectorIssEEZNS1_34radix_sort_onesweep_global_offsetsIS3_Lb0EN6thrust23THRUST_200600_302600_NS6detail15normal_iteratorINS8_10device_ptrIsEEEESD_jNS0_19identity_decomposerEEE10hipError_tT1_T2_PT3_SI_jT4_jjP12ihipStream_tbEUlT_E_NS1_11comp_targetILNS1_3genE3ELNS1_11target_archE908ELNS1_3gpuE7ELNS1_3repE0EEENS1_52radix_sort_onesweep_histogram_config_static_selectorELNS0_4arch9wavefront6targetE1EEEvSG_.num_agpr, 0
	.set _ZN7rocprim17ROCPRIM_400000_NS6detail17trampoline_kernelINS0_14default_configENS1_35radix_sort_onesweep_config_selectorIssEEZNS1_34radix_sort_onesweep_global_offsetsIS3_Lb0EN6thrust23THRUST_200600_302600_NS6detail15normal_iteratorINS8_10device_ptrIsEEEESD_jNS0_19identity_decomposerEEE10hipError_tT1_T2_PT3_SI_jT4_jjP12ihipStream_tbEUlT_E_NS1_11comp_targetILNS1_3genE3ELNS1_11target_archE908ELNS1_3gpuE7ELNS1_3repE0EEENS1_52radix_sort_onesweep_histogram_config_static_selectorELNS0_4arch9wavefront6targetE1EEEvSG_.numbered_sgpr, 0
	.set _ZN7rocprim17ROCPRIM_400000_NS6detail17trampoline_kernelINS0_14default_configENS1_35radix_sort_onesweep_config_selectorIssEEZNS1_34radix_sort_onesweep_global_offsetsIS3_Lb0EN6thrust23THRUST_200600_302600_NS6detail15normal_iteratorINS8_10device_ptrIsEEEESD_jNS0_19identity_decomposerEEE10hipError_tT1_T2_PT3_SI_jT4_jjP12ihipStream_tbEUlT_E_NS1_11comp_targetILNS1_3genE3ELNS1_11target_archE908ELNS1_3gpuE7ELNS1_3repE0EEENS1_52radix_sort_onesweep_histogram_config_static_selectorELNS0_4arch9wavefront6targetE1EEEvSG_.num_named_barrier, 0
	.set _ZN7rocprim17ROCPRIM_400000_NS6detail17trampoline_kernelINS0_14default_configENS1_35radix_sort_onesweep_config_selectorIssEEZNS1_34radix_sort_onesweep_global_offsetsIS3_Lb0EN6thrust23THRUST_200600_302600_NS6detail15normal_iteratorINS8_10device_ptrIsEEEESD_jNS0_19identity_decomposerEEE10hipError_tT1_T2_PT3_SI_jT4_jjP12ihipStream_tbEUlT_E_NS1_11comp_targetILNS1_3genE3ELNS1_11target_archE908ELNS1_3gpuE7ELNS1_3repE0EEENS1_52radix_sort_onesweep_histogram_config_static_selectorELNS0_4arch9wavefront6targetE1EEEvSG_.private_seg_size, 0
	.set _ZN7rocprim17ROCPRIM_400000_NS6detail17trampoline_kernelINS0_14default_configENS1_35radix_sort_onesweep_config_selectorIssEEZNS1_34radix_sort_onesweep_global_offsetsIS3_Lb0EN6thrust23THRUST_200600_302600_NS6detail15normal_iteratorINS8_10device_ptrIsEEEESD_jNS0_19identity_decomposerEEE10hipError_tT1_T2_PT3_SI_jT4_jjP12ihipStream_tbEUlT_E_NS1_11comp_targetILNS1_3genE3ELNS1_11target_archE908ELNS1_3gpuE7ELNS1_3repE0EEENS1_52radix_sort_onesweep_histogram_config_static_selectorELNS0_4arch9wavefront6targetE1EEEvSG_.uses_vcc, 0
	.set _ZN7rocprim17ROCPRIM_400000_NS6detail17trampoline_kernelINS0_14default_configENS1_35radix_sort_onesweep_config_selectorIssEEZNS1_34radix_sort_onesweep_global_offsetsIS3_Lb0EN6thrust23THRUST_200600_302600_NS6detail15normal_iteratorINS8_10device_ptrIsEEEESD_jNS0_19identity_decomposerEEE10hipError_tT1_T2_PT3_SI_jT4_jjP12ihipStream_tbEUlT_E_NS1_11comp_targetILNS1_3genE3ELNS1_11target_archE908ELNS1_3gpuE7ELNS1_3repE0EEENS1_52radix_sort_onesweep_histogram_config_static_selectorELNS0_4arch9wavefront6targetE1EEEvSG_.uses_flat_scratch, 0
	.set _ZN7rocprim17ROCPRIM_400000_NS6detail17trampoline_kernelINS0_14default_configENS1_35radix_sort_onesweep_config_selectorIssEEZNS1_34radix_sort_onesweep_global_offsetsIS3_Lb0EN6thrust23THRUST_200600_302600_NS6detail15normal_iteratorINS8_10device_ptrIsEEEESD_jNS0_19identity_decomposerEEE10hipError_tT1_T2_PT3_SI_jT4_jjP12ihipStream_tbEUlT_E_NS1_11comp_targetILNS1_3genE3ELNS1_11target_archE908ELNS1_3gpuE7ELNS1_3repE0EEENS1_52radix_sort_onesweep_histogram_config_static_selectorELNS0_4arch9wavefront6targetE1EEEvSG_.has_dyn_sized_stack, 0
	.set _ZN7rocprim17ROCPRIM_400000_NS6detail17trampoline_kernelINS0_14default_configENS1_35radix_sort_onesweep_config_selectorIssEEZNS1_34radix_sort_onesweep_global_offsetsIS3_Lb0EN6thrust23THRUST_200600_302600_NS6detail15normal_iteratorINS8_10device_ptrIsEEEESD_jNS0_19identity_decomposerEEE10hipError_tT1_T2_PT3_SI_jT4_jjP12ihipStream_tbEUlT_E_NS1_11comp_targetILNS1_3genE3ELNS1_11target_archE908ELNS1_3gpuE7ELNS1_3repE0EEENS1_52radix_sort_onesweep_histogram_config_static_selectorELNS0_4arch9wavefront6targetE1EEEvSG_.has_recursion, 0
	.set _ZN7rocprim17ROCPRIM_400000_NS6detail17trampoline_kernelINS0_14default_configENS1_35radix_sort_onesweep_config_selectorIssEEZNS1_34radix_sort_onesweep_global_offsetsIS3_Lb0EN6thrust23THRUST_200600_302600_NS6detail15normal_iteratorINS8_10device_ptrIsEEEESD_jNS0_19identity_decomposerEEE10hipError_tT1_T2_PT3_SI_jT4_jjP12ihipStream_tbEUlT_E_NS1_11comp_targetILNS1_3genE3ELNS1_11target_archE908ELNS1_3gpuE7ELNS1_3repE0EEENS1_52radix_sort_onesweep_histogram_config_static_selectorELNS0_4arch9wavefront6targetE1EEEvSG_.has_indirect_call, 0
	.section	.AMDGPU.csdata,"",@progbits
; Kernel info:
; codeLenInByte = 0
; TotalNumSgprs: 6
; NumVgprs: 0
; NumAgprs: 0
; TotalNumVgprs: 0
; ScratchSize: 0
; MemoryBound: 0
; FloatMode: 240
; IeeeMode: 1
; LDSByteSize: 0 bytes/workgroup (compile time only)
; SGPRBlocks: 0
; VGPRBlocks: 0
; NumSGPRsForWavesPerEU: 6
; NumVGPRsForWavesPerEU: 1
; AccumOffset: 4
; Occupancy: 8
; WaveLimiterHint : 0
; COMPUTE_PGM_RSRC2:SCRATCH_EN: 0
; COMPUTE_PGM_RSRC2:USER_SGPR: 2
; COMPUTE_PGM_RSRC2:TRAP_HANDLER: 0
; COMPUTE_PGM_RSRC2:TGID_X_EN: 1
; COMPUTE_PGM_RSRC2:TGID_Y_EN: 0
; COMPUTE_PGM_RSRC2:TGID_Z_EN: 0
; COMPUTE_PGM_RSRC2:TIDIG_COMP_CNT: 0
; COMPUTE_PGM_RSRC3_GFX90A:ACCUM_OFFSET: 0
; COMPUTE_PGM_RSRC3_GFX90A:TG_SPLIT: 0
	.section	.text._ZN7rocprim17ROCPRIM_400000_NS6detail17trampoline_kernelINS0_14default_configENS1_35radix_sort_onesweep_config_selectorIssEEZNS1_34radix_sort_onesweep_global_offsetsIS3_Lb0EN6thrust23THRUST_200600_302600_NS6detail15normal_iteratorINS8_10device_ptrIsEEEESD_jNS0_19identity_decomposerEEE10hipError_tT1_T2_PT3_SI_jT4_jjP12ihipStream_tbEUlT_E_NS1_11comp_targetILNS1_3genE10ELNS1_11target_archE1201ELNS1_3gpuE5ELNS1_3repE0EEENS1_52radix_sort_onesweep_histogram_config_static_selectorELNS0_4arch9wavefront6targetE1EEEvSG_,"axG",@progbits,_ZN7rocprim17ROCPRIM_400000_NS6detail17trampoline_kernelINS0_14default_configENS1_35radix_sort_onesweep_config_selectorIssEEZNS1_34radix_sort_onesweep_global_offsetsIS3_Lb0EN6thrust23THRUST_200600_302600_NS6detail15normal_iteratorINS8_10device_ptrIsEEEESD_jNS0_19identity_decomposerEEE10hipError_tT1_T2_PT3_SI_jT4_jjP12ihipStream_tbEUlT_E_NS1_11comp_targetILNS1_3genE10ELNS1_11target_archE1201ELNS1_3gpuE5ELNS1_3repE0EEENS1_52radix_sort_onesweep_histogram_config_static_selectorELNS0_4arch9wavefront6targetE1EEEvSG_,comdat
	.protected	_ZN7rocprim17ROCPRIM_400000_NS6detail17trampoline_kernelINS0_14default_configENS1_35radix_sort_onesweep_config_selectorIssEEZNS1_34radix_sort_onesweep_global_offsetsIS3_Lb0EN6thrust23THRUST_200600_302600_NS6detail15normal_iteratorINS8_10device_ptrIsEEEESD_jNS0_19identity_decomposerEEE10hipError_tT1_T2_PT3_SI_jT4_jjP12ihipStream_tbEUlT_E_NS1_11comp_targetILNS1_3genE10ELNS1_11target_archE1201ELNS1_3gpuE5ELNS1_3repE0EEENS1_52radix_sort_onesweep_histogram_config_static_selectorELNS0_4arch9wavefront6targetE1EEEvSG_ ; -- Begin function _ZN7rocprim17ROCPRIM_400000_NS6detail17trampoline_kernelINS0_14default_configENS1_35radix_sort_onesweep_config_selectorIssEEZNS1_34radix_sort_onesweep_global_offsetsIS3_Lb0EN6thrust23THRUST_200600_302600_NS6detail15normal_iteratorINS8_10device_ptrIsEEEESD_jNS0_19identity_decomposerEEE10hipError_tT1_T2_PT3_SI_jT4_jjP12ihipStream_tbEUlT_E_NS1_11comp_targetILNS1_3genE10ELNS1_11target_archE1201ELNS1_3gpuE5ELNS1_3repE0EEENS1_52radix_sort_onesweep_histogram_config_static_selectorELNS0_4arch9wavefront6targetE1EEEvSG_
	.globl	_ZN7rocprim17ROCPRIM_400000_NS6detail17trampoline_kernelINS0_14default_configENS1_35radix_sort_onesweep_config_selectorIssEEZNS1_34radix_sort_onesweep_global_offsetsIS3_Lb0EN6thrust23THRUST_200600_302600_NS6detail15normal_iteratorINS8_10device_ptrIsEEEESD_jNS0_19identity_decomposerEEE10hipError_tT1_T2_PT3_SI_jT4_jjP12ihipStream_tbEUlT_E_NS1_11comp_targetILNS1_3genE10ELNS1_11target_archE1201ELNS1_3gpuE5ELNS1_3repE0EEENS1_52radix_sort_onesweep_histogram_config_static_selectorELNS0_4arch9wavefront6targetE1EEEvSG_
	.p2align	8
	.type	_ZN7rocprim17ROCPRIM_400000_NS6detail17trampoline_kernelINS0_14default_configENS1_35radix_sort_onesweep_config_selectorIssEEZNS1_34radix_sort_onesweep_global_offsetsIS3_Lb0EN6thrust23THRUST_200600_302600_NS6detail15normal_iteratorINS8_10device_ptrIsEEEESD_jNS0_19identity_decomposerEEE10hipError_tT1_T2_PT3_SI_jT4_jjP12ihipStream_tbEUlT_E_NS1_11comp_targetILNS1_3genE10ELNS1_11target_archE1201ELNS1_3gpuE5ELNS1_3repE0EEENS1_52radix_sort_onesweep_histogram_config_static_selectorELNS0_4arch9wavefront6targetE1EEEvSG_,@function
_ZN7rocprim17ROCPRIM_400000_NS6detail17trampoline_kernelINS0_14default_configENS1_35radix_sort_onesweep_config_selectorIssEEZNS1_34radix_sort_onesweep_global_offsetsIS3_Lb0EN6thrust23THRUST_200600_302600_NS6detail15normal_iteratorINS8_10device_ptrIsEEEESD_jNS0_19identity_decomposerEEE10hipError_tT1_T2_PT3_SI_jT4_jjP12ihipStream_tbEUlT_E_NS1_11comp_targetILNS1_3genE10ELNS1_11target_archE1201ELNS1_3gpuE5ELNS1_3repE0EEENS1_52radix_sort_onesweep_histogram_config_static_selectorELNS0_4arch9wavefront6targetE1EEEvSG_: ; @_ZN7rocprim17ROCPRIM_400000_NS6detail17trampoline_kernelINS0_14default_configENS1_35radix_sort_onesweep_config_selectorIssEEZNS1_34radix_sort_onesweep_global_offsetsIS3_Lb0EN6thrust23THRUST_200600_302600_NS6detail15normal_iteratorINS8_10device_ptrIsEEEESD_jNS0_19identity_decomposerEEE10hipError_tT1_T2_PT3_SI_jT4_jjP12ihipStream_tbEUlT_E_NS1_11comp_targetILNS1_3genE10ELNS1_11target_archE1201ELNS1_3gpuE5ELNS1_3repE0EEENS1_52radix_sort_onesweep_histogram_config_static_selectorELNS0_4arch9wavefront6targetE1EEEvSG_
; %bb.0:
	.section	.rodata,"a",@progbits
	.p2align	6, 0x0
	.amdhsa_kernel _ZN7rocprim17ROCPRIM_400000_NS6detail17trampoline_kernelINS0_14default_configENS1_35radix_sort_onesweep_config_selectorIssEEZNS1_34radix_sort_onesweep_global_offsetsIS3_Lb0EN6thrust23THRUST_200600_302600_NS6detail15normal_iteratorINS8_10device_ptrIsEEEESD_jNS0_19identity_decomposerEEE10hipError_tT1_T2_PT3_SI_jT4_jjP12ihipStream_tbEUlT_E_NS1_11comp_targetILNS1_3genE10ELNS1_11target_archE1201ELNS1_3gpuE5ELNS1_3repE0EEENS1_52radix_sort_onesweep_histogram_config_static_selectorELNS0_4arch9wavefront6targetE1EEEvSG_
		.amdhsa_group_segment_fixed_size 0
		.amdhsa_private_segment_fixed_size 0
		.amdhsa_kernarg_size 40
		.amdhsa_user_sgpr_count 2
		.amdhsa_user_sgpr_dispatch_ptr 0
		.amdhsa_user_sgpr_queue_ptr 0
		.amdhsa_user_sgpr_kernarg_segment_ptr 1
		.amdhsa_user_sgpr_dispatch_id 0
		.amdhsa_user_sgpr_kernarg_preload_length 0
		.amdhsa_user_sgpr_kernarg_preload_offset 0
		.amdhsa_user_sgpr_private_segment_size 0
		.amdhsa_uses_dynamic_stack 0
		.amdhsa_enable_private_segment 0
		.amdhsa_system_sgpr_workgroup_id_x 1
		.amdhsa_system_sgpr_workgroup_id_y 0
		.amdhsa_system_sgpr_workgroup_id_z 0
		.amdhsa_system_sgpr_workgroup_info 0
		.amdhsa_system_vgpr_workitem_id 0
		.amdhsa_next_free_vgpr 1
		.amdhsa_next_free_sgpr 0
		.amdhsa_accum_offset 4
		.amdhsa_reserve_vcc 0
		.amdhsa_float_round_mode_32 0
		.amdhsa_float_round_mode_16_64 0
		.amdhsa_float_denorm_mode_32 3
		.amdhsa_float_denorm_mode_16_64 3
		.amdhsa_dx10_clamp 1
		.amdhsa_ieee_mode 1
		.amdhsa_fp16_overflow 0
		.amdhsa_tg_split 0
		.amdhsa_exception_fp_ieee_invalid_op 0
		.amdhsa_exception_fp_denorm_src 0
		.amdhsa_exception_fp_ieee_div_zero 0
		.amdhsa_exception_fp_ieee_overflow 0
		.amdhsa_exception_fp_ieee_underflow 0
		.amdhsa_exception_fp_ieee_inexact 0
		.amdhsa_exception_int_div_zero 0
	.end_amdhsa_kernel
	.section	.text._ZN7rocprim17ROCPRIM_400000_NS6detail17trampoline_kernelINS0_14default_configENS1_35radix_sort_onesweep_config_selectorIssEEZNS1_34radix_sort_onesweep_global_offsetsIS3_Lb0EN6thrust23THRUST_200600_302600_NS6detail15normal_iteratorINS8_10device_ptrIsEEEESD_jNS0_19identity_decomposerEEE10hipError_tT1_T2_PT3_SI_jT4_jjP12ihipStream_tbEUlT_E_NS1_11comp_targetILNS1_3genE10ELNS1_11target_archE1201ELNS1_3gpuE5ELNS1_3repE0EEENS1_52radix_sort_onesweep_histogram_config_static_selectorELNS0_4arch9wavefront6targetE1EEEvSG_,"axG",@progbits,_ZN7rocprim17ROCPRIM_400000_NS6detail17trampoline_kernelINS0_14default_configENS1_35radix_sort_onesweep_config_selectorIssEEZNS1_34radix_sort_onesweep_global_offsetsIS3_Lb0EN6thrust23THRUST_200600_302600_NS6detail15normal_iteratorINS8_10device_ptrIsEEEESD_jNS0_19identity_decomposerEEE10hipError_tT1_T2_PT3_SI_jT4_jjP12ihipStream_tbEUlT_E_NS1_11comp_targetILNS1_3genE10ELNS1_11target_archE1201ELNS1_3gpuE5ELNS1_3repE0EEENS1_52radix_sort_onesweep_histogram_config_static_selectorELNS0_4arch9wavefront6targetE1EEEvSG_,comdat
.Lfunc_end1621:
	.size	_ZN7rocprim17ROCPRIM_400000_NS6detail17trampoline_kernelINS0_14default_configENS1_35radix_sort_onesweep_config_selectorIssEEZNS1_34radix_sort_onesweep_global_offsetsIS3_Lb0EN6thrust23THRUST_200600_302600_NS6detail15normal_iteratorINS8_10device_ptrIsEEEESD_jNS0_19identity_decomposerEEE10hipError_tT1_T2_PT3_SI_jT4_jjP12ihipStream_tbEUlT_E_NS1_11comp_targetILNS1_3genE10ELNS1_11target_archE1201ELNS1_3gpuE5ELNS1_3repE0EEENS1_52radix_sort_onesweep_histogram_config_static_selectorELNS0_4arch9wavefront6targetE1EEEvSG_, .Lfunc_end1621-_ZN7rocprim17ROCPRIM_400000_NS6detail17trampoline_kernelINS0_14default_configENS1_35radix_sort_onesweep_config_selectorIssEEZNS1_34radix_sort_onesweep_global_offsetsIS3_Lb0EN6thrust23THRUST_200600_302600_NS6detail15normal_iteratorINS8_10device_ptrIsEEEESD_jNS0_19identity_decomposerEEE10hipError_tT1_T2_PT3_SI_jT4_jjP12ihipStream_tbEUlT_E_NS1_11comp_targetILNS1_3genE10ELNS1_11target_archE1201ELNS1_3gpuE5ELNS1_3repE0EEENS1_52radix_sort_onesweep_histogram_config_static_selectorELNS0_4arch9wavefront6targetE1EEEvSG_
                                        ; -- End function
	.set _ZN7rocprim17ROCPRIM_400000_NS6detail17trampoline_kernelINS0_14default_configENS1_35radix_sort_onesweep_config_selectorIssEEZNS1_34radix_sort_onesweep_global_offsetsIS3_Lb0EN6thrust23THRUST_200600_302600_NS6detail15normal_iteratorINS8_10device_ptrIsEEEESD_jNS0_19identity_decomposerEEE10hipError_tT1_T2_PT3_SI_jT4_jjP12ihipStream_tbEUlT_E_NS1_11comp_targetILNS1_3genE10ELNS1_11target_archE1201ELNS1_3gpuE5ELNS1_3repE0EEENS1_52radix_sort_onesweep_histogram_config_static_selectorELNS0_4arch9wavefront6targetE1EEEvSG_.num_vgpr, 0
	.set _ZN7rocprim17ROCPRIM_400000_NS6detail17trampoline_kernelINS0_14default_configENS1_35radix_sort_onesweep_config_selectorIssEEZNS1_34radix_sort_onesweep_global_offsetsIS3_Lb0EN6thrust23THRUST_200600_302600_NS6detail15normal_iteratorINS8_10device_ptrIsEEEESD_jNS0_19identity_decomposerEEE10hipError_tT1_T2_PT3_SI_jT4_jjP12ihipStream_tbEUlT_E_NS1_11comp_targetILNS1_3genE10ELNS1_11target_archE1201ELNS1_3gpuE5ELNS1_3repE0EEENS1_52radix_sort_onesweep_histogram_config_static_selectorELNS0_4arch9wavefront6targetE1EEEvSG_.num_agpr, 0
	.set _ZN7rocprim17ROCPRIM_400000_NS6detail17trampoline_kernelINS0_14default_configENS1_35radix_sort_onesweep_config_selectorIssEEZNS1_34radix_sort_onesweep_global_offsetsIS3_Lb0EN6thrust23THRUST_200600_302600_NS6detail15normal_iteratorINS8_10device_ptrIsEEEESD_jNS0_19identity_decomposerEEE10hipError_tT1_T2_PT3_SI_jT4_jjP12ihipStream_tbEUlT_E_NS1_11comp_targetILNS1_3genE10ELNS1_11target_archE1201ELNS1_3gpuE5ELNS1_3repE0EEENS1_52radix_sort_onesweep_histogram_config_static_selectorELNS0_4arch9wavefront6targetE1EEEvSG_.numbered_sgpr, 0
	.set _ZN7rocprim17ROCPRIM_400000_NS6detail17trampoline_kernelINS0_14default_configENS1_35radix_sort_onesweep_config_selectorIssEEZNS1_34radix_sort_onesweep_global_offsetsIS3_Lb0EN6thrust23THRUST_200600_302600_NS6detail15normal_iteratorINS8_10device_ptrIsEEEESD_jNS0_19identity_decomposerEEE10hipError_tT1_T2_PT3_SI_jT4_jjP12ihipStream_tbEUlT_E_NS1_11comp_targetILNS1_3genE10ELNS1_11target_archE1201ELNS1_3gpuE5ELNS1_3repE0EEENS1_52radix_sort_onesweep_histogram_config_static_selectorELNS0_4arch9wavefront6targetE1EEEvSG_.num_named_barrier, 0
	.set _ZN7rocprim17ROCPRIM_400000_NS6detail17trampoline_kernelINS0_14default_configENS1_35radix_sort_onesweep_config_selectorIssEEZNS1_34radix_sort_onesweep_global_offsetsIS3_Lb0EN6thrust23THRUST_200600_302600_NS6detail15normal_iteratorINS8_10device_ptrIsEEEESD_jNS0_19identity_decomposerEEE10hipError_tT1_T2_PT3_SI_jT4_jjP12ihipStream_tbEUlT_E_NS1_11comp_targetILNS1_3genE10ELNS1_11target_archE1201ELNS1_3gpuE5ELNS1_3repE0EEENS1_52radix_sort_onesweep_histogram_config_static_selectorELNS0_4arch9wavefront6targetE1EEEvSG_.private_seg_size, 0
	.set _ZN7rocprim17ROCPRIM_400000_NS6detail17trampoline_kernelINS0_14default_configENS1_35radix_sort_onesweep_config_selectorIssEEZNS1_34radix_sort_onesweep_global_offsetsIS3_Lb0EN6thrust23THRUST_200600_302600_NS6detail15normal_iteratorINS8_10device_ptrIsEEEESD_jNS0_19identity_decomposerEEE10hipError_tT1_T2_PT3_SI_jT4_jjP12ihipStream_tbEUlT_E_NS1_11comp_targetILNS1_3genE10ELNS1_11target_archE1201ELNS1_3gpuE5ELNS1_3repE0EEENS1_52radix_sort_onesweep_histogram_config_static_selectorELNS0_4arch9wavefront6targetE1EEEvSG_.uses_vcc, 0
	.set _ZN7rocprim17ROCPRIM_400000_NS6detail17trampoline_kernelINS0_14default_configENS1_35radix_sort_onesweep_config_selectorIssEEZNS1_34radix_sort_onesweep_global_offsetsIS3_Lb0EN6thrust23THRUST_200600_302600_NS6detail15normal_iteratorINS8_10device_ptrIsEEEESD_jNS0_19identity_decomposerEEE10hipError_tT1_T2_PT3_SI_jT4_jjP12ihipStream_tbEUlT_E_NS1_11comp_targetILNS1_3genE10ELNS1_11target_archE1201ELNS1_3gpuE5ELNS1_3repE0EEENS1_52radix_sort_onesweep_histogram_config_static_selectorELNS0_4arch9wavefront6targetE1EEEvSG_.uses_flat_scratch, 0
	.set _ZN7rocprim17ROCPRIM_400000_NS6detail17trampoline_kernelINS0_14default_configENS1_35radix_sort_onesweep_config_selectorIssEEZNS1_34radix_sort_onesweep_global_offsetsIS3_Lb0EN6thrust23THRUST_200600_302600_NS6detail15normal_iteratorINS8_10device_ptrIsEEEESD_jNS0_19identity_decomposerEEE10hipError_tT1_T2_PT3_SI_jT4_jjP12ihipStream_tbEUlT_E_NS1_11comp_targetILNS1_3genE10ELNS1_11target_archE1201ELNS1_3gpuE5ELNS1_3repE0EEENS1_52radix_sort_onesweep_histogram_config_static_selectorELNS0_4arch9wavefront6targetE1EEEvSG_.has_dyn_sized_stack, 0
	.set _ZN7rocprim17ROCPRIM_400000_NS6detail17trampoline_kernelINS0_14default_configENS1_35radix_sort_onesweep_config_selectorIssEEZNS1_34radix_sort_onesweep_global_offsetsIS3_Lb0EN6thrust23THRUST_200600_302600_NS6detail15normal_iteratorINS8_10device_ptrIsEEEESD_jNS0_19identity_decomposerEEE10hipError_tT1_T2_PT3_SI_jT4_jjP12ihipStream_tbEUlT_E_NS1_11comp_targetILNS1_3genE10ELNS1_11target_archE1201ELNS1_3gpuE5ELNS1_3repE0EEENS1_52radix_sort_onesweep_histogram_config_static_selectorELNS0_4arch9wavefront6targetE1EEEvSG_.has_recursion, 0
	.set _ZN7rocprim17ROCPRIM_400000_NS6detail17trampoline_kernelINS0_14default_configENS1_35radix_sort_onesweep_config_selectorIssEEZNS1_34radix_sort_onesweep_global_offsetsIS3_Lb0EN6thrust23THRUST_200600_302600_NS6detail15normal_iteratorINS8_10device_ptrIsEEEESD_jNS0_19identity_decomposerEEE10hipError_tT1_T2_PT3_SI_jT4_jjP12ihipStream_tbEUlT_E_NS1_11comp_targetILNS1_3genE10ELNS1_11target_archE1201ELNS1_3gpuE5ELNS1_3repE0EEENS1_52radix_sort_onesweep_histogram_config_static_selectorELNS0_4arch9wavefront6targetE1EEEvSG_.has_indirect_call, 0
	.section	.AMDGPU.csdata,"",@progbits
; Kernel info:
; codeLenInByte = 0
; TotalNumSgprs: 6
; NumVgprs: 0
; NumAgprs: 0
; TotalNumVgprs: 0
; ScratchSize: 0
; MemoryBound: 0
; FloatMode: 240
; IeeeMode: 1
; LDSByteSize: 0 bytes/workgroup (compile time only)
; SGPRBlocks: 0
; VGPRBlocks: 0
; NumSGPRsForWavesPerEU: 6
; NumVGPRsForWavesPerEU: 1
; AccumOffset: 4
; Occupancy: 8
; WaveLimiterHint : 0
; COMPUTE_PGM_RSRC2:SCRATCH_EN: 0
; COMPUTE_PGM_RSRC2:USER_SGPR: 2
; COMPUTE_PGM_RSRC2:TRAP_HANDLER: 0
; COMPUTE_PGM_RSRC2:TGID_X_EN: 1
; COMPUTE_PGM_RSRC2:TGID_Y_EN: 0
; COMPUTE_PGM_RSRC2:TGID_Z_EN: 0
; COMPUTE_PGM_RSRC2:TIDIG_COMP_CNT: 0
; COMPUTE_PGM_RSRC3_GFX90A:ACCUM_OFFSET: 0
; COMPUTE_PGM_RSRC3_GFX90A:TG_SPLIT: 0
	.section	.text._ZN7rocprim17ROCPRIM_400000_NS6detail17trampoline_kernelINS0_14default_configENS1_35radix_sort_onesweep_config_selectorIssEEZNS1_34radix_sort_onesweep_global_offsetsIS3_Lb0EN6thrust23THRUST_200600_302600_NS6detail15normal_iteratorINS8_10device_ptrIsEEEESD_jNS0_19identity_decomposerEEE10hipError_tT1_T2_PT3_SI_jT4_jjP12ihipStream_tbEUlT_E_NS1_11comp_targetILNS1_3genE9ELNS1_11target_archE1100ELNS1_3gpuE3ELNS1_3repE0EEENS1_52radix_sort_onesweep_histogram_config_static_selectorELNS0_4arch9wavefront6targetE1EEEvSG_,"axG",@progbits,_ZN7rocprim17ROCPRIM_400000_NS6detail17trampoline_kernelINS0_14default_configENS1_35radix_sort_onesweep_config_selectorIssEEZNS1_34radix_sort_onesweep_global_offsetsIS3_Lb0EN6thrust23THRUST_200600_302600_NS6detail15normal_iteratorINS8_10device_ptrIsEEEESD_jNS0_19identity_decomposerEEE10hipError_tT1_T2_PT3_SI_jT4_jjP12ihipStream_tbEUlT_E_NS1_11comp_targetILNS1_3genE9ELNS1_11target_archE1100ELNS1_3gpuE3ELNS1_3repE0EEENS1_52radix_sort_onesweep_histogram_config_static_selectorELNS0_4arch9wavefront6targetE1EEEvSG_,comdat
	.protected	_ZN7rocprim17ROCPRIM_400000_NS6detail17trampoline_kernelINS0_14default_configENS1_35radix_sort_onesweep_config_selectorIssEEZNS1_34radix_sort_onesweep_global_offsetsIS3_Lb0EN6thrust23THRUST_200600_302600_NS6detail15normal_iteratorINS8_10device_ptrIsEEEESD_jNS0_19identity_decomposerEEE10hipError_tT1_T2_PT3_SI_jT4_jjP12ihipStream_tbEUlT_E_NS1_11comp_targetILNS1_3genE9ELNS1_11target_archE1100ELNS1_3gpuE3ELNS1_3repE0EEENS1_52radix_sort_onesweep_histogram_config_static_selectorELNS0_4arch9wavefront6targetE1EEEvSG_ ; -- Begin function _ZN7rocprim17ROCPRIM_400000_NS6detail17trampoline_kernelINS0_14default_configENS1_35radix_sort_onesweep_config_selectorIssEEZNS1_34radix_sort_onesweep_global_offsetsIS3_Lb0EN6thrust23THRUST_200600_302600_NS6detail15normal_iteratorINS8_10device_ptrIsEEEESD_jNS0_19identity_decomposerEEE10hipError_tT1_T2_PT3_SI_jT4_jjP12ihipStream_tbEUlT_E_NS1_11comp_targetILNS1_3genE9ELNS1_11target_archE1100ELNS1_3gpuE3ELNS1_3repE0EEENS1_52radix_sort_onesweep_histogram_config_static_selectorELNS0_4arch9wavefront6targetE1EEEvSG_
	.globl	_ZN7rocprim17ROCPRIM_400000_NS6detail17trampoline_kernelINS0_14default_configENS1_35radix_sort_onesweep_config_selectorIssEEZNS1_34radix_sort_onesweep_global_offsetsIS3_Lb0EN6thrust23THRUST_200600_302600_NS6detail15normal_iteratorINS8_10device_ptrIsEEEESD_jNS0_19identity_decomposerEEE10hipError_tT1_T2_PT3_SI_jT4_jjP12ihipStream_tbEUlT_E_NS1_11comp_targetILNS1_3genE9ELNS1_11target_archE1100ELNS1_3gpuE3ELNS1_3repE0EEENS1_52radix_sort_onesweep_histogram_config_static_selectorELNS0_4arch9wavefront6targetE1EEEvSG_
	.p2align	8
	.type	_ZN7rocprim17ROCPRIM_400000_NS6detail17trampoline_kernelINS0_14default_configENS1_35radix_sort_onesweep_config_selectorIssEEZNS1_34radix_sort_onesweep_global_offsetsIS3_Lb0EN6thrust23THRUST_200600_302600_NS6detail15normal_iteratorINS8_10device_ptrIsEEEESD_jNS0_19identity_decomposerEEE10hipError_tT1_T2_PT3_SI_jT4_jjP12ihipStream_tbEUlT_E_NS1_11comp_targetILNS1_3genE9ELNS1_11target_archE1100ELNS1_3gpuE3ELNS1_3repE0EEENS1_52radix_sort_onesweep_histogram_config_static_selectorELNS0_4arch9wavefront6targetE1EEEvSG_,@function
_ZN7rocprim17ROCPRIM_400000_NS6detail17trampoline_kernelINS0_14default_configENS1_35radix_sort_onesweep_config_selectorIssEEZNS1_34radix_sort_onesweep_global_offsetsIS3_Lb0EN6thrust23THRUST_200600_302600_NS6detail15normal_iteratorINS8_10device_ptrIsEEEESD_jNS0_19identity_decomposerEEE10hipError_tT1_T2_PT3_SI_jT4_jjP12ihipStream_tbEUlT_E_NS1_11comp_targetILNS1_3genE9ELNS1_11target_archE1100ELNS1_3gpuE3ELNS1_3repE0EEENS1_52radix_sort_onesweep_histogram_config_static_selectorELNS0_4arch9wavefront6targetE1EEEvSG_: ; @_ZN7rocprim17ROCPRIM_400000_NS6detail17trampoline_kernelINS0_14default_configENS1_35radix_sort_onesweep_config_selectorIssEEZNS1_34radix_sort_onesweep_global_offsetsIS3_Lb0EN6thrust23THRUST_200600_302600_NS6detail15normal_iteratorINS8_10device_ptrIsEEEESD_jNS0_19identity_decomposerEEE10hipError_tT1_T2_PT3_SI_jT4_jjP12ihipStream_tbEUlT_E_NS1_11comp_targetILNS1_3genE9ELNS1_11target_archE1100ELNS1_3gpuE3ELNS1_3repE0EEENS1_52radix_sort_onesweep_histogram_config_static_selectorELNS0_4arch9wavefront6targetE1EEEvSG_
; %bb.0:
	.section	.rodata,"a",@progbits
	.p2align	6, 0x0
	.amdhsa_kernel _ZN7rocprim17ROCPRIM_400000_NS6detail17trampoline_kernelINS0_14default_configENS1_35radix_sort_onesweep_config_selectorIssEEZNS1_34radix_sort_onesweep_global_offsetsIS3_Lb0EN6thrust23THRUST_200600_302600_NS6detail15normal_iteratorINS8_10device_ptrIsEEEESD_jNS0_19identity_decomposerEEE10hipError_tT1_T2_PT3_SI_jT4_jjP12ihipStream_tbEUlT_E_NS1_11comp_targetILNS1_3genE9ELNS1_11target_archE1100ELNS1_3gpuE3ELNS1_3repE0EEENS1_52radix_sort_onesweep_histogram_config_static_selectorELNS0_4arch9wavefront6targetE1EEEvSG_
		.amdhsa_group_segment_fixed_size 0
		.amdhsa_private_segment_fixed_size 0
		.amdhsa_kernarg_size 40
		.amdhsa_user_sgpr_count 2
		.amdhsa_user_sgpr_dispatch_ptr 0
		.amdhsa_user_sgpr_queue_ptr 0
		.amdhsa_user_sgpr_kernarg_segment_ptr 1
		.amdhsa_user_sgpr_dispatch_id 0
		.amdhsa_user_sgpr_kernarg_preload_length 0
		.amdhsa_user_sgpr_kernarg_preload_offset 0
		.amdhsa_user_sgpr_private_segment_size 0
		.amdhsa_uses_dynamic_stack 0
		.amdhsa_enable_private_segment 0
		.amdhsa_system_sgpr_workgroup_id_x 1
		.amdhsa_system_sgpr_workgroup_id_y 0
		.amdhsa_system_sgpr_workgroup_id_z 0
		.amdhsa_system_sgpr_workgroup_info 0
		.amdhsa_system_vgpr_workitem_id 0
		.amdhsa_next_free_vgpr 1
		.amdhsa_next_free_sgpr 0
		.amdhsa_accum_offset 4
		.amdhsa_reserve_vcc 0
		.amdhsa_float_round_mode_32 0
		.amdhsa_float_round_mode_16_64 0
		.amdhsa_float_denorm_mode_32 3
		.amdhsa_float_denorm_mode_16_64 3
		.amdhsa_dx10_clamp 1
		.amdhsa_ieee_mode 1
		.amdhsa_fp16_overflow 0
		.amdhsa_tg_split 0
		.amdhsa_exception_fp_ieee_invalid_op 0
		.amdhsa_exception_fp_denorm_src 0
		.amdhsa_exception_fp_ieee_div_zero 0
		.amdhsa_exception_fp_ieee_overflow 0
		.amdhsa_exception_fp_ieee_underflow 0
		.amdhsa_exception_fp_ieee_inexact 0
		.amdhsa_exception_int_div_zero 0
	.end_amdhsa_kernel
	.section	.text._ZN7rocprim17ROCPRIM_400000_NS6detail17trampoline_kernelINS0_14default_configENS1_35radix_sort_onesweep_config_selectorIssEEZNS1_34radix_sort_onesweep_global_offsetsIS3_Lb0EN6thrust23THRUST_200600_302600_NS6detail15normal_iteratorINS8_10device_ptrIsEEEESD_jNS0_19identity_decomposerEEE10hipError_tT1_T2_PT3_SI_jT4_jjP12ihipStream_tbEUlT_E_NS1_11comp_targetILNS1_3genE9ELNS1_11target_archE1100ELNS1_3gpuE3ELNS1_3repE0EEENS1_52radix_sort_onesweep_histogram_config_static_selectorELNS0_4arch9wavefront6targetE1EEEvSG_,"axG",@progbits,_ZN7rocprim17ROCPRIM_400000_NS6detail17trampoline_kernelINS0_14default_configENS1_35radix_sort_onesweep_config_selectorIssEEZNS1_34radix_sort_onesweep_global_offsetsIS3_Lb0EN6thrust23THRUST_200600_302600_NS6detail15normal_iteratorINS8_10device_ptrIsEEEESD_jNS0_19identity_decomposerEEE10hipError_tT1_T2_PT3_SI_jT4_jjP12ihipStream_tbEUlT_E_NS1_11comp_targetILNS1_3genE9ELNS1_11target_archE1100ELNS1_3gpuE3ELNS1_3repE0EEENS1_52radix_sort_onesweep_histogram_config_static_selectorELNS0_4arch9wavefront6targetE1EEEvSG_,comdat
.Lfunc_end1622:
	.size	_ZN7rocprim17ROCPRIM_400000_NS6detail17trampoline_kernelINS0_14default_configENS1_35radix_sort_onesweep_config_selectorIssEEZNS1_34radix_sort_onesweep_global_offsetsIS3_Lb0EN6thrust23THRUST_200600_302600_NS6detail15normal_iteratorINS8_10device_ptrIsEEEESD_jNS0_19identity_decomposerEEE10hipError_tT1_T2_PT3_SI_jT4_jjP12ihipStream_tbEUlT_E_NS1_11comp_targetILNS1_3genE9ELNS1_11target_archE1100ELNS1_3gpuE3ELNS1_3repE0EEENS1_52radix_sort_onesweep_histogram_config_static_selectorELNS0_4arch9wavefront6targetE1EEEvSG_, .Lfunc_end1622-_ZN7rocprim17ROCPRIM_400000_NS6detail17trampoline_kernelINS0_14default_configENS1_35radix_sort_onesweep_config_selectorIssEEZNS1_34radix_sort_onesweep_global_offsetsIS3_Lb0EN6thrust23THRUST_200600_302600_NS6detail15normal_iteratorINS8_10device_ptrIsEEEESD_jNS0_19identity_decomposerEEE10hipError_tT1_T2_PT3_SI_jT4_jjP12ihipStream_tbEUlT_E_NS1_11comp_targetILNS1_3genE9ELNS1_11target_archE1100ELNS1_3gpuE3ELNS1_3repE0EEENS1_52radix_sort_onesweep_histogram_config_static_selectorELNS0_4arch9wavefront6targetE1EEEvSG_
                                        ; -- End function
	.set _ZN7rocprim17ROCPRIM_400000_NS6detail17trampoline_kernelINS0_14default_configENS1_35radix_sort_onesweep_config_selectorIssEEZNS1_34radix_sort_onesweep_global_offsetsIS3_Lb0EN6thrust23THRUST_200600_302600_NS6detail15normal_iteratorINS8_10device_ptrIsEEEESD_jNS0_19identity_decomposerEEE10hipError_tT1_T2_PT3_SI_jT4_jjP12ihipStream_tbEUlT_E_NS1_11comp_targetILNS1_3genE9ELNS1_11target_archE1100ELNS1_3gpuE3ELNS1_3repE0EEENS1_52radix_sort_onesweep_histogram_config_static_selectorELNS0_4arch9wavefront6targetE1EEEvSG_.num_vgpr, 0
	.set _ZN7rocprim17ROCPRIM_400000_NS6detail17trampoline_kernelINS0_14default_configENS1_35radix_sort_onesweep_config_selectorIssEEZNS1_34radix_sort_onesweep_global_offsetsIS3_Lb0EN6thrust23THRUST_200600_302600_NS6detail15normal_iteratorINS8_10device_ptrIsEEEESD_jNS0_19identity_decomposerEEE10hipError_tT1_T2_PT3_SI_jT4_jjP12ihipStream_tbEUlT_E_NS1_11comp_targetILNS1_3genE9ELNS1_11target_archE1100ELNS1_3gpuE3ELNS1_3repE0EEENS1_52radix_sort_onesweep_histogram_config_static_selectorELNS0_4arch9wavefront6targetE1EEEvSG_.num_agpr, 0
	.set _ZN7rocprim17ROCPRIM_400000_NS6detail17trampoline_kernelINS0_14default_configENS1_35radix_sort_onesweep_config_selectorIssEEZNS1_34radix_sort_onesweep_global_offsetsIS3_Lb0EN6thrust23THRUST_200600_302600_NS6detail15normal_iteratorINS8_10device_ptrIsEEEESD_jNS0_19identity_decomposerEEE10hipError_tT1_T2_PT3_SI_jT4_jjP12ihipStream_tbEUlT_E_NS1_11comp_targetILNS1_3genE9ELNS1_11target_archE1100ELNS1_3gpuE3ELNS1_3repE0EEENS1_52radix_sort_onesweep_histogram_config_static_selectorELNS0_4arch9wavefront6targetE1EEEvSG_.numbered_sgpr, 0
	.set _ZN7rocprim17ROCPRIM_400000_NS6detail17trampoline_kernelINS0_14default_configENS1_35radix_sort_onesweep_config_selectorIssEEZNS1_34radix_sort_onesweep_global_offsetsIS3_Lb0EN6thrust23THRUST_200600_302600_NS6detail15normal_iteratorINS8_10device_ptrIsEEEESD_jNS0_19identity_decomposerEEE10hipError_tT1_T2_PT3_SI_jT4_jjP12ihipStream_tbEUlT_E_NS1_11comp_targetILNS1_3genE9ELNS1_11target_archE1100ELNS1_3gpuE3ELNS1_3repE0EEENS1_52radix_sort_onesweep_histogram_config_static_selectorELNS0_4arch9wavefront6targetE1EEEvSG_.num_named_barrier, 0
	.set _ZN7rocprim17ROCPRIM_400000_NS6detail17trampoline_kernelINS0_14default_configENS1_35radix_sort_onesweep_config_selectorIssEEZNS1_34radix_sort_onesweep_global_offsetsIS3_Lb0EN6thrust23THRUST_200600_302600_NS6detail15normal_iteratorINS8_10device_ptrIsEEEESD_jNS0_19identity_decomposerEEE10hipError_tT1_T2_PT3_SI_jT4_jjP12ihipStream_tbEUlT_E_NS1_11comp_targetILNS1_3genE9ELNS1_11target_archE1100ELNS1_3gpuE3ELNS1_3repE0EEENS1_52radix_sort_onesweep_histogram_config_static_selectorELNS0_4arch9wavefront6targetE1EEEvSG_.private_seg_size, 0
	.set _ZN7rocprim17ROCPRIM_400000_NS6detail17trampoline_kernelINS0_14default_configENS1_35radix_sort_onesweep_config_selectorIssEEZNS1_34radix_sort_onesweep_global_offsetsIS3_Lb0EN6thrust23THRUST_200600_302600_NS6detail15normal_iteratorINS8_10device_ptrIsEEEESD_jNS0_19identity_decomposerEEE10hipError_tT1_T2_PT3_SI_jT4_jjP12ihipStream_tbEUlT_E_NS1_11comp_targetILNS1_3genE9ELNS1_11target_archE1100ELNS1_3gpuE3ELNS1_3repE0EEENS1_52radix_sort_onesweep_histogram_config_static_selectorELNS0_4arch9wavefront6targetE1EEEvSG_.uses_vcc, 0
	.set _ZN7rocprim17ROCPRIM_400000_NS6detail17trampoline_kernelINS0_14default_configENS1_35radix_sort_onesweep_config_selectorIssEEZNS1_34radix_sort_onesweep_global_offsetsIS3_Lb0EN6thrust23THRUST_200600_302600_NS6detail15normal_iteratorINS8_10device_ptrIsEEEESD_jNS0_19identity_decomposerEEE10hipError_tT1_T2_PT3_SI_jT4_jjP12ihipStream_tbEUlT_E_NS1_11comp_targetILNS1_3genE9ELNS1_11target_archE1100ELNS1_3gpuE3ELNS1_3repE0EEENS1_52radix_sort_onesweep_histogram_config_static_selectorELNS0_4arch9wavefront6targetE1EEEvSG_.uses_flat_scratch, 0
	.set _ZN7rocprim17ROCPRIM_400000_NS6detail17trampoline_kernelINS0_14default_configENS1_35radix_sort_onesweep_config_selectorIssEEZNS1_34radix_sort_onesweep_global_offsetsIS3_Lb0EN6thrust23THRUST_200600_302600_NS6detail15normal_iteratorINS8_10device_ptrIsEEEESD_jNS0_19identity_decomposerEEE10hipError_tT1_T2_PT3_SI_jT4_jjP12ihipStream_tbEUlT_E_NS1_11comp_targetILNS1_3genE9ELNS1_11target_archE1100ELNS1_3gpuE3ELNS1_3repE0EEENS1_52radix_sort_onesweep_histogram_config_static_selectorELNS0_4arch9wavefront6targetE1EEEvSG_.has_dyn_sized_stack, 0
	.set _ZN7rocprim17ROCPRIM_400000_NS6detail17trampoline_kernelINS0_14default_configENS1_35radix_sort_onesweep_config_selectorIssEEZNS1_34radix_sort_onesweep_global_offsetsIS3_Lb0EN6thrust23THRUST_200600_302600_NS6detail15normal_iteratorINS8_10device_ptrIsEEEESD_jNS0_19identity_decomposerEEE10hipError_tT1_T2_PT3_SI_jT4_jjP12ihipStream_tbEUlT_E_NS1_11comp_targetILNS1_3genE9ELNS1_11target_archE1100ELNS1_3gpuE3ELNS1_3repE0EEENS1_52radix_sort_onesweep_histogram_config_static_selectorELNS0_4arch9wavefront6targetE1EEEvSG_.has_recursion, 0
	.set _ZN7rocprim17ROCPRIM_400000_NS6detail17trampoline_kernelINS0_14default_configENS1_35radix_sort_onesweep_config_selectorIssEEZNS1_34radix_sort_onesweep_global_offsetsIS3_Lb0EN6thrust23THRUST_200600_302600_NS6detail15normal_iteratorINS8_10device_ptrIsEEEESD_jNS0_19identity_decomposerEEE10hipError_tT1_T2_PT3_SI_jT4_jjP12ihipStream_tbEUlT_E_NS1_11comp_targetILNS1_3genE9ELNS1_11target_archE1100ELNS1_3gpuE3ELNS1_3repE0EEENS1_52radix_sort_onesweep_histogram_config_static_selectorELNS0_4arch9wavefront6targetE1EEEvSG_.has_indirect_call, 0
	.section	.AMDGPU.csdata,"",@progbits
; Kernel info:
; codeLenInByte = 0
; TotalNumSgprs: 6
; NumVgprs: 0
; NumAgprs: 0
; TotalNumVgprs: 0
; ScratchSize: 0
; MemoryBound: 0
; FloatMode: 240
; IeeeMode: 1
; LDSByteSize: 0 bytes/workgroup (compile time only)
; SGPRBlocks: 0
; VGPRBlocks: 0
; NumSGPRsForWavesPerEU: 6
; NumVGPRsForWavesPerEU: 1
; AccumOffset: 4
; Occupancy: 8
; WaveLimiterHint : 0
; COMPUTE_PGM_RSRC2:SCRATCH_EN: 0
; COMPUTE_PGM_RSRC2:USER_SGPR: 2
; COMPUTE_PGM_RSRC2:TRAP_HANDLER: 0
; COMPUTE_PGM_RSRC2:TGID_X_EN: 1
; COMPUTE_PGM_RSRC2:TGID_Y_EN: 0
; COMPUTE_PGM_RSRC2:TGID_Z_EN: 0
; COMPUTE_PGM_RSRC2:TIDIG_COMP_CNT: 0
; COMPUTE_PGM_RSRC3_GFX90A:ACCUM_OFFSET: 0
; COMPUTE_PGM_RSRC3_GFX90A:TG_SPLIT: 0
	.section	.text._ZN7rocprim17ROCPRIM_400000_NS6detail17trampoline_kernelINS0_14default_configENS1_35radix_sort_onesweep_config_selectorIssEEZNS1_34radix_sort_onesweep_global_offsetsIS3_Lb0EN6thrust23THRUST_200600_302600_NS6detail15normal_iteratorINS8_10device_ptrIsEEEESD_jNS0_19identity_decomposerEEE10hipError_tT1_T2_PT3_SI_jT4_jjP12ihipStream_tbEUlT_E_NS1_11comp_targetILNS1_3genE8ELNS1_11target_archE1030ELNS1_3gpuE2ELNS1_3repE0EEENS1_52radix_sort_onesweep_histogram_config_static_selectorELNS0_4arch9wavefront6targetE1EEEvSG_,"axG",@progbits,_ZN7rocprim17ROCPRIM_400000_NS6detail17trampoline_kernelINS0_14default_configENS1_35radix_sort_onesweep_config_selectorIssEEZNS1_34radix_sort_onesweep_global_offsetsIS3_Lb0EN6thrust23THRUST_200600_302600_NS6detail15normal_iteratorINS8_10device_ptrIsEEEESD_jNS0_19identity_decomposerEEE10hipError_tT1_T2_PT3_SI_jT4_jjP12ihipStream_tbEUlT_E_NS1_11comp_targetILNS1_3genE8ELNS1_11target_archE1030ELNS1_3gpuE2ELNS1_3repE0EEENS1_52radix_sort_onesweep_histogram_config_static_selectorELNS0_4arch9wavefront6targetE1EEEvSG_,comdat
	.protected	_ZN7rocprim17ROCPRIM_400000_NS6detail17trampoline_kernelINS0_14default_configENS1_35radix_sort_onesweep_config_selectorIssEEZNS1_34radix_sort_onesweep_global_offsetsIS3_Lb0EN6thrust23THRUST_200600_302600_NS6detail15normal_iteratorINS8_10device_ptrIsEEEESD_jNS0_19identity_decomposerEEE10hipError_tT1_T2_PT3_SI_jT4_jjP12ihipStream_tbEUlT_E_NS1_11comp_targetILNS1_3genE8ELNS1_11target_archE1030ELNS1_3gpuE2ELNS1_3repE0EEENS1_52radix_sort_onesweep_histogram_config_static_selectorELNS0_4arch9wavefront6targetE1EEEvSG_ ; -- Begin function _ZN7rocprim17ROCPRIM_400000_NS6detail17trampoline_kernelINS0_14default_configENS1_35radix_sort_onesweep_config_selectorIssEEZNS1_34radix_sort_onesweep_global_offsetsIS3_Lb0EN6thrust23THRUST_200600_302600_NS6detail15normal_iteratorINS8_10device_ptrIsEEEESD_jNS0_19identity_decomposerEEE10hipError_tT1_T2_PT3_SI_jT4_jjP12ihipStream_tbEUlT_E_NS1_11comp_targetILNS1_3genE8ELNS1_11target_archE1030ELNS1_3gpuE2ELNS1_3repE0EEENS1_52radix_sort_onesweep_histogram_config_static_selectorELNS0_4arch9wavefront6targetE1EEEvSG_
	.globl	_ZN7rocprim17ROCPRIM_400000_NS6detail17trampoline_kernelINS0_14default_configENS1_35radix_sort_onesweep_config_selectorIssEEZNS1_34radix_sort_onesweep_global_offsetsIS3_Lb0EN6thrust23THRUST_200600_302600_NS6detail15normal_iteratorINS8_10device_ptrIsEEEESD_jNS0_19identity_decomposerEEE10hipError_tT1_T2_PT3_SI_jT4_jjP12ihipStream_tbEUlT_E_NS1_11comp_targetILNS1_3genE8ELNS1_11target_archE1030ELNS1_3gpuE2ELNS1_3repE0EEENS1_52radix_sort_onesweep_histogram_config_static_selectorELNS0_4arch9wavefront6targetE1EEEvSG_
	.p2align	8
	.type	_ZN7rocprim17ROCPRIM_400000_NS6detail17trampoline_kernelINS0_14default_configENS1_35radix_sort_onesweep_config_selectorIssEEZNS1_34radix_sort_onesweep_global_offsetsIS3_Lb0EN6thrust23THRUST_200600_302600_NS6detail15normal_iteratorINS8_10device_ptrIsEEEESD_jNS0_19identity_decomposerEEE10hipError_tT1_T2_PT3_SI_jT4_jjP12ihipStream_tbEUlT_E_NS1_11comp_targetILNS1_3genE8ELNS1_11target_archE1030ELNS1_3gpuE2ELNS1_3repE0EEENS1_52radix_sort_onesweep_histogram_config_static_selectorELNS0_4arch9wavefront6targetE1EEEvSG_,@function
_ZN7rocprim17ROCPRIM_400000_NS6detail17trampoline_kernelINS0_14default_configENS1_35radix_sort_onesweep_config_selectorIssEEZNS1_34radix_sort_onesweep_global_offsetsIS3_Lb0EN6thrust23THRUST_200600_302600_NS6detail15normal_iteratorINS8_10device_ptrIsEEEESD_jNS0_19identity_decomposerEEE10hipError_tT1_T2_PT3_SI_jT4_jjP12ihipStream_tbEUlT_E_NS1_11comp_targetILNS1_3genE8ELNS1_11target_archE1030ELNS1_3gpuE2ELNS1_3repE0EEENS1_52radix_sort_onesweep_histogram_config_static_selectorELNS0_4arch9wavefront6targetE1EEEvSG_: ; @_ZN7rocprim17ROCPRIM_400000_NS6detail17trampoline_kernelINS0_14default_configENS1_35radix_sort_onesweep_config_selectorIssEEZNS1_34radix_sort_onesweep_global_offsetsIS3_Lb0EN6thrust23THRUST_200600_302600_NS6detail15normal_iteratorINS8_10device_ptrIsEEEESD_jNS0_19identity_decomposerEEE10hipError_tT1_T2_PT3_SI_jT4_jjP12ihipStream_tbEUlT_E_NS1_11comp_targetILNS1_3genE8ELNS1_11target_archE1030ELNS1_3gpuE2ELNS1_3repE0EEENS1_52radix_sort_onesweep_histogram_config_static_selectorELNS0_4arch9wavefront6targetE1EEEvSG_
; %bb.0:
	.section	.rodata,"a",@progbits
	.p2align	6, 0x0
	.amdhsa_kernel _ZN7rocprim17ROCPRIM_400000_NS6detail17trampoline_kernelINS0_14default_configENS1_35radix_sort_onesweep_config_selectorIssEEZNS1_34radix_sort_onesweep_global_offsetsIS3_Lb0EN6thrust23THRUST_200600_302600_NS6detail15normal_iteratorINS8_10device_ptrIsEEEESD_jNS0_19identity_decomposerEEE10hipError_tT1_T2_PT3_SI_jT4_jjP12ihipStream_tbEUlT_E_NS1_11comp_targetILNS1_3genE8ELNS1_11target_archE1030ELNS1_3gpuE2ELNS1_3repE0EEENS1_52radix_sort_onesweep_histogram_config_static_selectorELNS0_4arch9wavefront6targetE1EEEvSG_
		.amdhsa_group_segment_fixed_size 0
		.amdhsa_private_segment_fixed_size 0
		.amdhsa_kernarg_size 40
		.amdhsa_user_sgpr_count 2
		.amdhsa_user_sgpr_dispatch_ptr 0
		.amdhsa_user_sgpr_queue_ptr 0
		.amdhsa_user_sgpr_kernarg_segment_ptr 1
		.amdhsa_user_sgpr_dispatch_id 0
		.amdhsa_user_sgpr_kernarg_preload_length 0
		.amdhsa_user_sgpr_kernarg_preload_offset 0
		.amdhsa_user_sgpr_private_segment_size 0
		.amdhsa_uses_dynamic_stack 0
		.amdhsa_enable_private_segment 0
		.amdhsa_system_sgpr_workgroup_id_x 1
		.amdhsa_system_sgpr_workgroup_id_y 0
		.amdhsa_system_sgpr_workgroup_id_z 0
		.amdhsa_system_sgpr_workgroup_info 0
		.amdhsa_system_vgpr_workitem_id 0
		.amdhsa_next_free_vgpr 1
		.amdhsa_next_free_sgpr 0
		.amdhsa_accum_offset 4
		.amdhsa_reserve_vcc 0
		.amdhsa_float_round_mode_32 0
		.amdhsa_float_round_mode_16_64 0
		.amdhsa_float_denorm_mode_32 3
		.amdhsa_float_denorm_mode_16_64 3
		.amdhsa_dx10_clamp 1
		.amdhsa_ieee_mode 1
		.amdhsa_fp16_overflow 0
		.amdhsa_tg_split 0
		.amdhsa_exception_fp_ieee_invalid_op 0
		.amdhsa_exception_fp_denorm_src 0
		.amdhsa_exception_fp_ieee_div_zero 0
		.amdhsa_exception_fp_ieee_overflow 0
		.amdhsa_exception_fp_ieee_underflow 0
		.amdhsa_exception_fp_ieee_inexact 0
		.amdhsa_exception_int_div_zero 0
	.end_amdhsa_kernel
	.section	.text._ZN7rocprim17ROCPRIM_400000_NS6detail17trampoline_kernelINS0_14default_configENS1_35radix_sort_onesweep_config_selectorIssEEZNS1_34radix_sort_onesweep_global_offsetsIS3_Lb0EN6thrust23THRUST_200600_302600_NS6detail15normal_iteratorINS8_10device_ptrIsEEEESD_jNS0_19identity_decomposerEEE10hipError_tT1_T2_PT3_SI_jT4_jjP12ihipStream_tbEUlT_E_NS1_11comp_targetILNS1_3genE8ELNS1_11target_archE1030ELNS1_3gpuE2ELNS1_3repE0EEENS1_52radix_sort_onesweep_histogram_config_static_selectorELNS0_4arch9wavefront6targetE1EEEvSG_,"axG",@progbits,_ZN7rocprim17ROCPRIM_400000_NS6detail17trampoline_kernelINS0_14default_configENS1_35radix_sort_onesweep_config_selectorIssEEZNS1_34radix_sort_onesweep_global_offsetsIS3_Lb0EN6thrust23THRUST_200600_302600_NS6detail15normal_iteratorINS8_10device_ptrIsEEEESD_jNS0_19identity_decomposerEEE10hipError_tT1_T2_PT3_SI_jT4_jjP12ihipStream_tbEUlT_E_NS1_11comp_targetILNS1_3genE8ELNS1_11target_archE1030ELNS1_3gpuE2ELNS1_3repE0EEENS1_52radix_sort_onesweep_histogram_config_static_selectorELNS0_4arch9wavefront6targetE1EEEvSG_,comdat
.Lfunc_end1623:
	.size	_ZN7rocprim17ROCPRIM_400000_NS6detail17trampoline_kernelINS0_14default_configENS1_35radix_sort_onesweep_config_selectorIssEEZNS1_34radix_sort_onesweep_global_offsetsIS3_Lb0EN6thrust23THRUST_200600_302600_NS6detail15normal_iteratorINS8_10device_ptrIsEEEESD_jNS0_19identity_decomposerEEE10hipError_tT1_T2_PT3_SI_jT4_jjP12ihipStream_tbEUlT_E_NS1_11comp_targetILNS1_3genE8ELNS1_11target_archE1030ELNS1_3gpuE2ELNS1_3repE0EEENS1_52radix_sort_onesweep_histogram_config_static_selectorELNS0_4arch9wavefront6targetE1EEEvSG_, .Lfunc_end1623-_ZN7rocprim17ROCPRIM_400000_NS6detail17trampoline_kernelINS0_14default_configENS1_35radix_sort_onesweep_config_selectorIssEEZNS1_34radix_sort_onesweep_global_offsetsIS3_Lb0EN6thrust23THRUST_200600_302600_NS6detail15normal_iteratorINS8_10device_ptrIsEEEESD_jNS0_19identity_decomposerEEE10hipError_tT1_T2_PT3_SI_jT4_jjP12ihipStream_tbEUlT_E_NS1_11comp_targetILNS1_3genE8ELNS1_11target_archE1030ELNS1_3gpuE2ELNS1_3repE0EEENS1_52radix_sort_onesweep_histogram_config_static_selectorELNS0_4arch9wavefront6targetE1EEEvSG_
                                        ; -- End function
	.set _ZN7rocprim17ROCPRIM_400000_NS6detail17trampoline_kernelINS0_14default_configENS1_35radix_sort_onesweep_config_selectorIssEEZNS1_34radix_sort_onesweep_global_offsetsIS3_Lb0EN6thrust23THRUST_200600_302600_NS6detail15normal_iteratorINS8_10device_ptrIsEEEESD_jNS0_19identity_decomposerEEE10hipError_tT1_T2_PT3_SI_jT4_jjP12ihipStream_tbEUlT_E_NS1_11comp_targetILNS1_3genE8ELNS1_11target_archE1030ELNS1_3gpuE2ELNS1_3repE0EEENS1_52radix_sort_onesweep_histogram_config_static_selectorELNS0_4arch9wavefront6targetE1EEEvSG_.num_vgpr, 0
	.set _ZN7rocprim17ROCPRIM_400000_NS6detail17trampoline_kernelINS0_14default_configENS1_35radix_sort_onesweep_config_selectorIssEEZNS1_34radix_sort_onesweep_global_offsetsIS3_Lb0EN6thrust23THRUST_200600_302600_NS6detail15normal_iteratorINS8_10device_ptrIsEEEESD_jNS0_19identity_decomposerEEE10hipError_tT1_T2_PT3_SI_jT4_jjP12ihipStream_tbEUlT_E_NS1_11comp_targetILNS1_3genE8ELNS1_11target_archE1030ELNS1_3gpuE2ELNS1_3repE0EEENS1_52radix_sort_onesweep_histogram_config_static_selectorELNS0_4arch9wavefront6targetE1EEEvSG_.num_agpr, 0
	.set _ZN7rocprim17ROCPRIM_400000_NS6detail17trampoline_kernelINS0_14default_configENS1_35radix_sort_onesweep_config_selectorIssEEZNS1_34radix_sort_onesweep_global_offsetsIS3_Lb0EN6thrust23THRUST_200600_302600_NS6detail15normal_iteratorINS8_10device_ptrIsEEEESD_jNS0_19identity_decomposerEEE10hipError_tT1_T2_PT3_SI_jT4_jjP12ihipStream_tbEUlT_E_NS1_11comp_targetILNS1_3genE8ELNS1_11target_archE1030ELNS1_3gpuE2ELNS1_3repE0EEENS1_52radix_sort_onesweep_histogram_config_static_selectorELNS0_4arch9wavefront6targetE1EEEvSG_.numbered_sgpr, 0
	.set _ZN7rocprim17ROCPRIM_400000_NS6detail17trampoline_kernelINS0_14default_configENS1_35radix_sort_onesweep_config_selectorIssEEZNS1_34radix_sort_onesweep_global_offsetsIS3_Lb0EN6thrust23THRUST_200600_302600_NS6detail15normal_iteratorINS8_10device_ptrIsEEEESD_jNS0_19identity_decomposerEEE10hipError_tT1_T2_PT3_SI_jT4_jjP12ihipStream_tbEUlT_E_NS1_11comp_targetILNS1_3genE8ELNS1_11target_archE1030ELNS1_3gpuE2ELNS1_3repE0EEENS1_52radix_sort_onesweep_histogram_config_static_selectorELNS0_4arch9wavefront6targetE1EEEvSG_.num_named_barrier, 0
	.set _ZN7rocprim17ROCPRIM_400000_NS6detail17trampoline_kernelINS0_14default_configENS1_35radix_sort_onesweep_config_selectorIssEEZNS1_34radix_sort_onesweep_global_offsetsIS3_Lb0EN6thrust23THRUST_200600_302600_NS6detail15normal_iteratorINS8_10device_ptrIsEEEESD_jNS0_19identity_decomposerEEE10hipError_tT1_T2_PT3_SI_jT4_jjP12ihipStream_tbEUlT_E_NS1_11comp_targetILNS1_3genE8ELNS1_11target_archE1030ELNS1_3gpuE2ELNS1_3repE0EEENS1_52radix_sort_onesweep_histogram_config_static_selectorELNS0_4arch9wavefront6targetE1EEEvSG_.private_seg_size, 0
	.set _ZN7rocprim17ROCPRIM_400000_NS6detail17trampoline_kernelINS0_14default_configENS1_35radix_sort_onesweep_config_selectorIssEEZNS1_34radix_sort_onesweep_global_offsetsIS3_Lb0EN6thrust23THRUST_200600_302600_NS6detail15normal_iteratorINS8_10device_ptrIsEEEESD_jNS0_19identity_decomposerEEE10hipError_tT1_T2_PT3_SI_jT4_jjP12ihipStream_tbEUlT_E_NS1_11comp_targetILNS1_3genE8ELNS1_11target_archE1030ELNS1_3gpuE2ELNS1_3repE0EEENS1_52radix_sort_onesweep_histogram_config_static_selectorELNS0_4arch9wavefront6targetE1EEEvSG_.uses_vcc, 0
	.set _ZN7rocprim17ROCPRIM_400000_NS6detail17trampoline_kernelINS0_14default_configENS1_35radix_sort_onesweep_config_selectorIssEEZNS1_34radix_sort_onesweep_global_offsetsIS3_Lb0EN6thrust23THRUST_200600_302600_NS6detail15normal_iteratorINS8_10device_ptrIsEEEESD_jNS0_19identity_decomposerEEE10hipError_tT1_T2_PT3_SI_jT4_jjP12ihipStream_tbEUlT_E_NS1_11comp_targetILNS1_3genE8ELNS1_11target_archE1030ELNS1_3gpuE2ELNS1_3repE0EEENS1_52radix_sort_onesweep_histogram_config_static_selectorELNS0_4arch9wavefront6targetE1EEEvSG_.uses_flat_scratch, 0
	.set _ZN7rocprim17ROCPRIM_400000_NS6detail17trampoline_kernelINS0_14default_configENS1_35radix_sort_onesweep_config_selectorIssEEZNS1_34radix_sort_onesweep_global_offsetsIS3_Lb0EN6thrust23THRUST_200600_302600_NS6detail15normal_iteratorINS8_10device_ptrIsEEEESD_jNS0_19identity_decomposerEEE10hipError_tT1_T2_PT3_SI_jT4_jjP12ihipStream_tbEUlT_E_NS1_11comp_targetILNS1_3genE8ELNS1_11target_archE1030ELNS1_3gpuE2ELNS1_3repE0EEENS1_52radix_sort_onesweep_histogram_config_static_selectorELNS0_4arch9wavefront6targetE1EEEvSG_.has_dyn_sized_stack, 0
	.set _ZN7rocprim17ROCPRIM_400000_NS6detail17trampoline_kernelINS0_14default_configENS1_35radix_sort_onesweep_config_selectorIssEEZNS1_34radix_sort_onesweep_global_offsetsIS3_Lb0EN6thrust23THRUST_200600_302600_NS6detail15normal_iteratorINS8_10device_ptrIsEEEESD_jNS0_19identity_decomposerEEE10hipError_tT1_T2_PT3_SI_jT4_jjP12ihipStream_tbEUlT_E_NS1_11comp_targetILNS1_3genE8ELNS1_11target_archE1030ELNS1_3gpuE2ELNS1_3repE0EEENS1_52radix_sort_onesweep_histogram_config_static_selectorELNS0_4arch9wavefront6targetE1EEEvSG_.has_recursion, 0
	.set _ZN7rocprim17ROCPRIM_400000_NS6detail17trampoline_kernelINS0_14default_configENS1_35radix_sort_onesweep_config_selectorIssEEZNS1_34radix_sort_onesweep_global_offsetsIS3_Lb0EN6thrust23THRUST_200600_302600_NS6detail15normal_iteratorINS8_10device_ptrIsEEEESD_jNS0_19identity_decomposerEEE10hipError_tT1_T2_PT3_SI_jT4_jjP12ihipStream_tbEUlT_E_NS1_11comp_targetILNS1_3genE8ELNS1_11target_archE1030ELNS1_3gpuE2ELNS1_3repE0EEENS1_52radix_sort_onesweep_histogram_config_static_selectorELNS0_4arch9wavefront6targetE1EEEvSG_.has_indirect_call, 0
	.section	.AMDGPU.csdata,"",@progbits
; Kernel info:
; codeLenInByte = 0
; TotalNumSgprs: 6
; NumVgprs: 0
; NumAgprs: 0
; TotalNumVgprs: 0
; ScratchSize: 0
; MemoryBound: 0
; FloatMode: 240
; IeeeMode: 1
; LDSByteSize: 0 bytes/workgroup (compile time only)
; SGPRBlocks: 0
; VGPRBlocks: 0
; NumSGPRsForWavesPerEU: 6
; NumVGPRsForWavesPerEU: 1
; AccumOffset: 4
; Occupancy: 8
; WaveLimiterHint : 0
; COMPUTE_PGM_RSRC2:SCRATCH_EN: 0
; COMPUTE_PGM_RSRC2:USER_SGPR: 2
; COMPUTE_PGM_RSRC2:TRAP_HANDLER: 0
; COMPUTE_PGM_RSRC2:TGID_X_EN: 1
; COMPUTE_PGM_RSRC2:TGID_Y_EN: 0
; COMPUTE_PGM_RSRC2:TGID_Z_EN: 0
; COMPUTE_PGM_RSRC2:TIDIG_COMP_CNT: 0
; COMPUTE_PGM_RSRC3_GFX90A:ACCUM_OFFSET: 0
; COMPUTE_PGM_RSRC3_GFX90A:TG_SPLIT: 0
	.section	.text._ZN7rocprim17ROCPRIM_400000_NS6detail17trampoline_kernelINS0_14default_configENS1_35radix_sort_onesweep_config_selectorIssEEZNS1_34radix_sort_onesweep_global_offsetsIS3_Lb0EN6thrust23THRUST_200600_302600_NS6detail15normal_iteratorINS8_10device_ptrIsEEEESD_jNS0_19identity_decomposerEEE10hipError_tT1_T2_PT3_SI_jT4_jjP12ihipStream_tbEUlT_E0_NS1_11comp_targetILNS1_3genE0ELNS1_11target_archE4294967295ELNS1_3gpuE0ELNS1_3repE0EEENS1_52radix_sort_onesweep_histogram_config_static_selectorELNS0_4arch9wavefront6targetE1EEEvSG_,"axG",@progbits,_ZN7rocprim17ROCPRIM_400000_NS6detail17trampoline_kernelINS0_14default_configENS1_35radix_sort_onesweep_config_selectorIssEEZNS1_34radix_sort_onesweep_global_offsetsIS3_Lb0EN6thrust23THRUST_200600_302600_NS6detail15normal_iteratorINS8_10device_ptrIsEEEESD_jNS0_19identity_decomposerEEE10hipError_tT1_T2_PT3_SI_jT4_jjP12ihipStream_tbEUlT_E0_NS1_11comp_targetILNS1_3genE0ELNS1_11target_archE4294967295ELNS1_3gpuE0ELNS1_3repE0EEENS1_52radix_sort_onesweep_histogram_config_static_selectorELNS0_4arch9wavefront6targetE1EEEvSG_,comdat
	.protected	_ZN7rocprim17ROCPRIM_400000_NS6detail17trampoline_kernelINS0_14default_configENS1_35radix_sort_onesweep_config_selectorIssEEZNS1_34radix_sort_onesweep_global_offsetsIS3_Lb0EN6thrust23THRUST_200600_302600_NS6detail15normal_iteratorINS8_10device_ptrIsEEEESD_jNS0_19identity_decomposerEEE10hipError_tT1_T2_PT3_SI_jT4_jjP12ihipStream_tbEUlT_E0_NS1_11comp_targetILNS1_3genE0ELNS1_11target_archE4294967295ELNS1_3gpuE0ELNS1_3repE0EEENS1_52radix_sort_onesweep_histogram_config_static_selectorELNS0_4arch9wavefront6targetE1EEEvSG_ ; -- Begin function _ZN7rocprim17ROCPRIM_400000_NS6detail17trampoline_kernelINS0_14default_configENS1_35radix_sort_onesweep_config_selectorIssEEZNS1_34radix_sort_onesweep_global_offsetsIS3_Lb0EN6thrust23THRUST_200600_302600_NS6detail15normal_iteratorINS8_10device_ptrIsEEEESD_jNS0_19identity_decomposerEEE10hipError_tT1_T2_PT3_SI_jT4_jjP12ihipStream_tbEUlT_E0_NS1_11comp_targetILNS1_3genE0ELNS1_11target_archE4294967295ELNS1_3gpuE0ELNS1_3repE0EEENS1_52radix_sort_onesweep_histogram_config_static_selectorELNS0_4arch9wavefront6targetE1EEEvSG_
	.globl	_ZN7rocprim17ROCPRIM_400000_NS6detail17trampoline_kernelINS0_14default_configENS1_35radix_sort_onesweep_config_selectorIssEEZNS1_34radix_sort_onesweep_global_offsetsIS3_Lb0EN6thrust23THRUST_200600_302600_NS6detail15normal_iteratorINS8_10device_ptrIsEEEESD_jNS0_19identity_decomposerEEE10hipError_tT1_T2_PT3_SI_jT4_jjP12ihipStream_tbEUlT_E0_NS1_11comp_targetILNS1_3genE0ELNS1_11target_archE4294967295ELNS1_3gpuE0ELNS1_3repE0EEENS1_52radix_sort_onesweep_histogram_config_static_selectorELNS0_4arch9wavefront6targetE1EEEvSG_
	.p2align	8
	.type	_ZN7rocprim17ROCPRIM_400000_NS6detail17trampoline_kernelINS0_14default_configENS1_35radix_sort_onesweep_config_selectorIssEEZNS1_34radix_sort_onesweep_global_offsetsIS3_Lb0EN6thrust23THRUST_200600_302600_NS6detail15normal_iteratorINS8_10device_ptrIsEEEESD_jNS0_19identity_decomposerEEE10hipError_tT1_T2_PT3_SI_jT4_jjP12ihipStream_tbEUlT_E0_NS1_11comp_targetILNS1_3genE0ELNS1_11target_archE4294967295ELNS1_3gpuE0ELNS1_3repE0EEENS1_52radix_sort_onesweep_histogram_config_static_selectorELNS0_4arch9wavefront6targetE1EEEvSG_,@function
_ZN7rocprim17ROCPRIM_400000_NS6detail17trampoline_kernelINS0_14default_configENS1_35radix_sort_onesweep_config_selectorIssEEZNS1_34radix_sort_onesweep_global_offsetsIS3_Lb0EN6thrust23THRUST_200600_302600_NS6detail15normal_iteratorINS8_10device_ptrIsEEEESD_jNS0_19identity_decomposerEEE10hipError_tT1_T2_PT3_SI_jT4_jjP12ihipStream_tbEUlT_E0_NS1_11comp_targetILNS1_3genE0ELNS1_11target_archE4294967295ELNS1_3gpuE0ELNS1_3repE0EEENS1_52radix_sort_onesweep_histogram_config_static_selectorELNS0_4arch9wavefront6targetE1EEEvSG_: ; @_ZN7rocprim17ROCPRIM_400000_NS6detail17trampoline_kernelINS0_14default_configENS1_35radix_sort_onesweep_config_selectorIssEEZNS1_34radix_sort_onesweep_global_offsetsIS3_Lb0EN6thrust23THRUST_200600_302600_NS6detail15normal_iteratorINS8_10device_ptrIsEEEESD_jNS0_19identity_decomposerEEE10hipError_tT1_T2_PT3_SI_jT4_jjP12ihipStream_tbEUlT_E0_NS1_11comp_targetILNS1_3genE0ELNS1_11target_archE4294967295ELNS1_3gpuE0ELNS1_3repE0EEENS1_52radix_sort_onesweep_histogram_config_static_selectorELNS0_4arch9wavefront6targetE1EEEvSG_
; %bb.0:
	.section	.rodata,"a",@progbits
	.p2align	6, 0x0
	.amdhsa_kernel _ZN7rocprim17ROCPRIM_400000_NS6detail17trampoline_kernelINS0_14default_configENS1_35radix_sort_onesweep_config_selectorIssEEZNS1_34radix_sort_onesweep_global_offsetsIS3_Lb0EN6thrust23THRUST_200600_302600_NS6detail15normal_iteratorINS8_10device_ptrIsEEEESD_jNS0_19identity_decomposerEEE10hipError_tT1_T2_PT3_SI_jT4_jjP12ihipStream_tbEUlT_E0_NS1_11comp_targetILNS1_3genE0ELNS1_11target_archE4294967295ELNS1_3gpuE0ELNS1_3repE0EEENS1_52radix_sort_onesweep_histogram_config_static_selectorELNS0_4arch9wavefront6targetE1EEEvSG_
		.amdhsa_group_segment_fixed_size 0
		.amdhsa_private_segment_fixed_size 0
		.amdhsa_kernarg_size 8
		.amdhsa_user_sgpr_count 2
		.amdhsa_user_sgpr_dispatch_ptr 0
		.amdhsa_user_sgpr_queue_ptr 0
		.amdhsa_user_sgpr_kernarg_segment_ptr 1
		.amdhsa_user_sgpr_dispatch_id 0
		.amdhsa_user_sgpr_kernarg_preload_length 0
		.amdhsa_user_sgpr_kernarg_preload_offset 0
		.amdhsa_user_sgpr_private_segment_size 0
		.amdhsa_uses_dynamic_stack 0
		.amdhsa_enable_private_segment 0
		.amdhsa_system_sgpr_workgroup_id_x 1
		.amdhsa_system_sgpr_workgroup_id_y 0
		.amdhsa_system_sgpr_workgroup_id_z 0
		.amdhsa_system_sgpr_workgroup_info 0
		.amdhsa_system_vgpr_workitem_id 0
		.amdhsa_next_free_vgpr 1
		.amdhsa_next_free_sgpr 0
		.amdhsa_accum_offset 4
		.amdhsa_reserve_vcc 0
		.amdhsa_float_round_mode_32 0
		.amdhsa_float_round_mode_16_64 0
		.amdhsa_float_denorm_mode_32 3
		.amdhsa_float_denorm_mode_16_64 3
		.amdhsa_dx10_clamp 1
		.amdhsa_ieee_mode 1
		.amdhsa_fp16_overflow 0
		.amdhsa_tg_split 0
		.amdhsa_exception_fp_ieee_invalid_op 0
		.amdhsa_exception_fp_denorm_src 0
		.amdhsa_exception_fp_ieee_div_zero 0
		.amdhsa_exception_fp_ieee_overflow 0
		.amdhsa_exception_fp_ieee_underflow 0
		.amdhsa_exception_fp_ieee_inexact 0
		.amdhsa_exception_int_div_zero 0
	.end_amdhsa_kernel
	.section	.text._ZN7rocprim17ROCPRIM_400000_NS6detail17trampoline_kernelINS0_14default_configENS1_35radix_sort_onesweep_config_selectorIssEEZNS1_34radix_sort_onesweep_global_offsetsIS3_Lb0EN6thrust23THRUST_200600_302600_NS6detail15normal_iteratorINS8_10device_ptrIsEEEESD_jNS0_19identity_decomposerEEE10hipError_tT1_T2_PT3_SI_jT4_jjP12ihipStream_tbEUlT_E0_NS1_11comp_targetILNS1_3genE0ELNS1_11target_archE4294967295ELNS1_3gpuE0ELNS1_3repE0EEENS1_52radix_sort_onesweep_histogram_config_static_selectorELNS0_4arch9wavefront6targetE1EEEvSG_,"axG",@progbits,_ZN7rocprim17ROCPRIM_400000_NS6detail17trampoline_kernelINS0_14default_configENS1_35radix_sort_onesweep_config_selectorIssEEZNS1_34radix_sort_onesweep_global_offsetsIS3_Lb0EN6thrust23THRUST_200600_302600_NS6detail15normal_iteratorINS8_10device_ptrIsEEEESD_jNS0_19identity_decomposerEEE10hipError_tT1_T2_PT3_SI_jT4_jjP12ihipStream_tbEUlT_E0_NS1_11comp_targetILNS1_3genE0ELNS1_11target_archE4294967295ELNS1_3gpuE0ELNS1_3repE0EEENS1_52radix_sort_onesweep_histogram_config_static_selectorELNS0_4arch9wavefront6targetE1EEEvSG_,comdat
.Lfunc_end1624:
	.size	_ZN7rocprim17ROCPRIM_400000_NS6detail17trampoline_kernelINS0_14default_configENS1_35radix_sort_onesweep_config_selectorIssEEZNS1_34radix_sort_onesweep_global_offsetsIS3_Lb0EN6thrust23THRUST_200600_302600_NS6detail15normal_iteratorINS8_10device_ptrIsEEEESD_jNS0_19identity_decomposerEEE10hipError_tT1_T2_PT3_SI_jT4_jjP12ihipStream_tbEUlT_E0_NS1_11comp_targetILNS1_3genE0ELNS1_11target_archE4294967295ELNS1_3gpuE0ELNS1_3repE0EEENS1_52radix_sort_onesweep_histogram_config_static_selectorELNS0_4arch9wavefront6targetE1EEEvSG_, .Lfunc_end1624-_ZN7rocprim17ROCPRIM_400000_NS6detail17trampoline_kernelINS0_14default_configENS1_35radix_sort_onesweep_config_selectorIssEEZNS1_34radix_sort_onesweep_global_offsetsIS3_Lb0EN6thrust23THRUST_200600_302600_NS6detail15normal_iteratorINS8_10device_ptrIsEEEESD_jNS0_19identity_decomposerEEE10hipError_tT1_T2_PT3_SI_jT4_jjP12ihipStream_tbEUlT_E0_NS1_11comp_targetILNS1_3genE0ELNS1_11target_archE4294967295ELNS1_3gpuE0ELNS1_3repE0EEENS1_52radix_sort_onesweep_histogram_config_static_selectorELNS0_4arch9wavefront6targetE1EEEvSG_
                                        ; -- End function
	.set _ZN7rocprim17ROCPRIM_400000_NS6detail17trampoline_kernelINS0_14default_configENS1_35radix_sort_onesweep_config_selectorIssEEZNS1_34radix_sort_onesweep_global_offsetsIS3_Lb0EN6thrust23THRUST_200600_302600_NS6detail15normal_iteratorINS8_10device_ptrIsEEEESD_jNS0_19identity_decomposerEEE10hipError_tT1_T2_PT3_SI_jT4_jjP12ihipStream_tbEUlT_E0_NS1_11comp_targetILNS1_3genE0ELNS1_11target_archE4294967295ELNS1_3gpuE0ELNS1_3repE0EEENS1_52radix_sort_onesweep_histogram_config_static_selectorELNS0_4arch9wavefront6targetE1EEEvSG_.num_vgpr, 0
	.set _ZN7rocprim17ROCPRIM_400000_NS6detail17trampoline_kernelINS0_14default_configENS1_35radix_sort_onesweep_config_selectorIssEEZNS1_34radix_sort_onesweep_global_offsetsIS3_Lb0EN6thrust23THRUST_200600_302600_NS6detail15normal_iteratorINS8_10device_ptrIsEEEESD_jNS0_19identity_decomposerEEE10hipError_tT1_T2_PT3_SI_jT4_jjP12ihipStream_tbEUlT_E0_NS1_11comp_targetILNS1_3genE0ELNS1_11target_archE4294967295ELNS1_3gpuE0ELNS1_3repE0EEENS1_52radix_sort_onesweep_histogram_config_static_selectorELNS0_4arch9wavefront6targetE1EEEvSG_.num_agpr, 0
	.set _ZN7rocprim17ROCPRIM_400000_NS6detail17trampoline_kernelINS0_14default_configENS1_35radix_sort_onesweep_config_selectorIssEEZNS1_34radix_sort_onesweep_global_offsetsIS3_Lb0EN6thrust23THRUST_200600_302600_NS6detail15normal_iteratorINS8_10device_ptrIsEEEESD_jNS0_19identity_decomposerEEE10hipError_tT1_T2_PT3_SI_jT4_jjP12ihipStream_tbEUlT_E0_NS1_11comp_targetILNS1_3genE0ELNS1_11target_archE4294967295ELNS1_3gpuE0ELNS1_3repE0EEENS1_52radix_sort_onesweep_histogram_config_static_selectorELNS0_4arch9wavefront6targetE1EEEvSG_.numbered_sgpr, 0
	.set _ZN7rocprim17ROCPRIM_400000_NS6detail17trampoline_kernelINS0_14default_configENS1_35radix_sort_onesweep_config_selectorIssEEZNS1_34radix_sort_onesweep_global_offsetsIS3_Lb0EN6thrust23THRUST_200600_302600_NS6detail15normal_iteratorINS8_10device_ptrIsEEEESD_jNS0_19identity_decomposerEEE10hipError_tT1_T2_PT3_SI_jT4_jjP12ihipStream_tbEUlT_E0_NS1_11comp_targetILNS1_3genE0ELNS1_11target_archE4294967295ELNS1_3gpuE0ELNS1_3repE0EEENS1_52radix_sort_onesweep_histogram_config_static_selectorELNS0_4arch9wavefront6targetE1EEEvSG_.num_named_barrier, 0
	.set _ZN7rocprim17ROCPRIM_400000_NS6detail17trampoline_kernelINS0_14default_configENS1_35radix_sort_onesweep_config_selectorIssEEZNS1_34radix_sort_onesweep_global_offsetsIS3_Lb0EN6thrust23THRUST_200600_302600_NS6detail15normal_iteratorINS8_10device_ptrIsEEEESD_jNS0_19identity_decomposerEEE10hipError_tT1_T2_PT3_SI_jT4_jjP12ihipStream_tbEUlT_E0_NS1_11comp_targetILNS1_3genE0ELNS1_11target_archE4294967295ELNS1_3gpuE0ELNS1_3repE0EEENS1_52radix_sort_onesweep_histogram_config_static_selectorELNS0_4arch9wavefront6targetE1EEEvSG_.private_seg_size, 0
	.set _ZN7rocprim17ROCPRIM_400000_NS6detail17trampoline_kernelINS0_14default_configENS1_35radix_sort_onesweep_config_selectorIssEEZNS1_34radix_sort_onesweep_global_offsetsIS3_Lb0EN6thrust23THRUST_200600_302600_NS6detail15normal_iteratorINS8_10device_ptrIsEEEESD_jNS0_19identity_decomposerEEE10hipError_tT1_T2_PT3_SI_jT4_jjP12ihipStream_tbEUlT_E0_NS1_11comp_targetILNS1_3genE0ELNS1_11target_archE4294967295ELNS1_3gpuE0ELNS1_3repE0EEENS1_52radix_sort_onesweep_histogram_config_static_selectorELNS0_4arch9wavefront6targetE1EEEvSG_.uses_vcc, 0
	.set _ZN7rocprim17ROCPRIM_400000_NS6detail17trampoline_kernelINS0_14default_configENS1_35radix_sort_onesweep_config_selectorIssEEZNS1_34radix_sort_onesweep_global_offsetsIS3_Lb0EN6thrust23THRUST_200600_302600_NS6detail15normal_iteratorINS8_10device_ptrIsEEEESD_jNS0_19identity_decomposerEEE10hipError_tT1_T2_PT3_SI_jT4_jjP12ihipStream_tbEUlT_E0_NS1_11comp_targetILNS1_3genE0ELNS1_11target_archE4294967295ELNS1_3gpuE0ELNS1_3repE0EEENS1_52radix_sort_onesweep_histogram_config_static_selectorELNS0_4arch9wavefront6targetE1EEEvSG_.uses_flat_scratch, 0
	.set _ZN7rocprim17ROCPRIM_400000_NS6detail17trampoline_kernelINS0_14default_configENS1_35radix_sort_onesweep_config_selectorIssEEZNS1_34radix_sort_onesweep_global_offsetsIS3_Lb0EN6thrust23THRUST_200600_302600_NS6detail15normal_iteratorINS8_10device_ptrIsEEEESD_jNS0_19identity_decomposerEEE10hipError_tT1_T2_PT3_SI_jT4_jjP12ihipStream_tbEUlT_E0_NS1_11comp_targetILNS1_3genE0ELNS1_11target_archE4294967295ELNS1_3gpuE0ELNS1_3repE0EEENS1_52radix_sort_onesweep_histogram_config_static_selectorELNS0_4arch9wavefront6targetE1EEEvSG_.has_dyn_sized_stack, 0
	.set _ZN7rocprim17ROCPRIM_400000_NS6detail17trampoline_kernelINS0_14default_configENS1_35radix_sort_onesweep_config_selectorIssEEZNS1_34radix_sort_onesweep_global_offsetsIS3_Lb0EN6thrust23THRUST_200600_302600_NS6detail15normal_iteratorINS8_10device_ptrIsEEEESD_jNS0_19identity_decomposerEEE10hipError_tT1_T2_PT3_SI_jT4_jjP12ihipStream_tbEUlT_E0_NS1_11comp_targetILNS1_3genE0ELNS1_11target_archE4294967295ELNS1_3gpuE0ELNS1_3repE0EEENS1_52radix_sort_onesweep_histogram_config_static_selectorELNS0_4arch9wavefront6targetE1EEEvSG_.has_recursion, 0
	.set _ZN7rocprim17ROCPRIM_400000_NS6detail17trampoline_kernelINS0_14default_configENS1_35radix_sort_onesweep_config_selectorIssEEZNS1_34radix_sort_onesweep_global_offsetsIS3_Lb0EN6thrust23THRUST_200600_302600_NS6detail15normal_iteratorINS8_10device_ptrIsEEEESD_jNS0_19identity_decomposerEEE10hipError_tT1_T2_PT3_SI_jT4_jjP12ihipStream_tbEUlT_E0_NS1_11comp_targetILNS1_3genE0ELNS1_11target_archE4294967295ELNS1_3gpuE0ELNS1_3repE0EEENS1_52radix_sort_onesweep_histogram_config_static_selectorELNS0_4arch9wavefront6targetE1EEEvSG_.has_indirect_call, 0
	.section	.AMDGPU.csdata,"",@progbits
; Kernel info:
; codeLenInByte = 0
; TotalNumSgprs: 6
; NumVgprs: 0
; NumAgprs: 0
; TotalNumVgprs: 0
; ScratchSize: 0
; MemoryBound: 0
; FloatMode: 240
; IeeeMode: 1
; LDSByteSize: 0 bytes/workgroup (compile time only)
; SGPRBlocks: 0
; VGPRBlocks: 0
; NumSGPRsForWavesPerEU: 6
; NumVGPRsForWavesPerEU: 1
; AccumOffset: 4
; Occupancy: 8
; WaveLimiterHint : 0
; COMPUTE_PGM_RSRC2:SCRATCH_EN: 0
; COMPUTE_PGM_RSRC2:USER_SGPR: 2
; COMPUTE_PGM_RSRC2:TRAP_HANDLER: 0
; COMPUTE_PGM_RSRC2:TGID_X_EN: 1
; COMPUTE_PGM_RSRC2:TGID_Y_EN: 0
; COMPUTE_PGM_RSRC2:TGID_Z_EN: 0
; COMPUTE_PGM_RSRC2:TIDIG_COMP_CNT: 0
; COMPUTE_PGM_RSRC3_GFX90A:ACCUM_OFFSET: 0
; COMPUTE_PGM_RSRC3_GFX90A:TG_SPLIT: 0
	.section	.text._ZN7rocprim17ROCPRIM_400000_NS6detail17trampoline_kernelINS0_14default_configENS1_35radix_sort_onesweep_config_selectorIssEEZNS1_34radix_sort_onesweep_global_offsetsIS3_Lb0EN6thrust23THRUST_200600_302600_NS6detail15normal_iteratorINS8_10device_ptrIsEEEESD_jNS0_19identity_decomposerEEE10hipError_tT1_T2_PT3_SI_jT4_jjP12ihipStream_tbEUlT_E0_NS1_11comp_targetILNS1_3genE6ELNS1_11target_archE950ELNS1_3gpuE13ELNS1_3repE0EEENS1_52radix_sort_onesweep_histogram_config_static_selectorELNS0_4arch9wavefront6targetE1EEEvSG_,"axG",@progbits,_ZN7rocprim17ROCPRIM_400000_NS6detail17trampoline_kernelINS0_14default_configENS1_35radix_sort_onesweep_config_selectorIssEEZNS1_34radix_sort_onesweep_global_offsetsIS3_Lb0EN6thrust23THRUST_200600_302600_NS6detail15normal_iteratorINS8_10device_ptrIsEEEESD_jNS0_19identity_decomposerEEE10hipError_tT1_T2_PT3_SI_jT4_jjP12ihipStream_tbEUlT_E0_NS1_11comp_targetILNS1_3genE6ELNS1_11target_archE950ELNS1_3gpuE13ELNS1_3repE0EEENS1_52radix_sort_onesweep_histogram_config_static_selectorELNS0_4arch9wavefront6targetE1EEEvSG_,comdat
	.protected	_ZN7rocprim17ROCPRIM_400000_NS6detail17trampoline_kernelINS0_14default_configENS1_35radix_sort_onesweep_config_selectorIssEEZNS1_34radix_sort_onesweep_global_offsetsIS3_Lb0EN6thrust23THRUST_200600_302600_NS6detail15normal_iteratorINS8_10device_ptrIsEEEESD_jNS0_19identity_decomposerEEE10hipError_tT1_T2_PT3_SI_jT4_jjP12ihipStream_tbEUlT_E0_NS1_11comp_targetILNS1_3genE6ELNS1_11target_archE950ELNS1_3gpuE13ELNS1_3repE0EEENS1_52radix_sort_onesweep_histogram_config_static_selectorELNS0_4arch9wavefront6targetE1EEEvSG_ ; -- Begin function _ZN7rocprim17ROCPRIM_400000_NS6detail17trampoline_kernelINS0_14default_configENS1_35radix_sort_onesweep_config_selectorIssEEZNS1_34radix_sort_onesweep_global_offsetsIS3_Lb0EN6thrust23THRUST_200600_302600_NS6detail15normal_iteratorINS8_10device_ptrIsEEEESD_jNS0_19identity_decomposerEEE10hipError_tT1_T2_PT3_SI_jT4_jjP12ihipStream_tbEUlT_E0_NS1_11comp_targetILNS1_3genE6ELNS1_11target_archE950ELNS1_3gpuE13ELNS1_3repE0EEENS1_52radix_sort_onesweep_histogram_config_static_selectorELNS0_4arch9wavefront6targetE1EEEvSG_
	.globl	_ZN7rocprim17ROCPRIM_400000_NS6detail17trampoline_kernelINS0_14default_configENS1_35radix_sort_onesweep_config_selectorIssEEZNS1_34radix_sort_onesweep_global_offsetsIS3_Lb0EN6thrust23THRUST_200600_302600_NS6detail15normal_iteratorINS8_10device_ptrIsEEEESD_jNS0_19identity_decomposerEEE10hipError_tT1_T2_PT3_SI_jT4_jjP12ihipStream_tbEUlT_E0_NS1_11comp_targetILNS1_3genE6ELNS1_11target_archE950ELNS1_3gpuE13ELNS1_3repE0EEENS1_52radix_sort_onesweep_histogram_config_static_selectorELNS0_4arch9wavefront6targetE1EEEvSG_
	.p2align	8
	.type	_ZN7rocprim17ROCPRIM_400000_NS6detail17trampoline_kernelINS0_14default_configENS1_35radix_sort_onesweep_config_selectorIssEEZNS1_34radix_sort_onesweep_global_offsetsIS3_Lb0EN6thrust23THRUST_200600_302600_NS6detail15normal_iteratorINS8_10device_ptrIsEEEESD_jNS0_19identity_decomposerEEE10hipError_tT1_T2_PT3_SI_jT4_jjP12ihipStream_tbEUlT_E0_NS1_11comp_targetILNS1_3genE6ELNS1_11target_archE950ELNS1_3gpuE13ELNS1_3repE0EEENS1_52radix_sort_onesweep_histogram_config_static_selectorELNS0_4arch9wavefront6targetE1EEEvSG_,@function
_ZN7rocprim17ROCPRIM_400000_NS6detail17trampoline_kernelINS0_14default_configENS1_35radix_sort_onesweep_config_selectorIssEEZNS1_34radix_sort_onesweep_global_offsetsIS3_Lb0EN6thrust23THRUST_200600_302600_NS6detail15normal_iteratorINS8_10device_ptrIsEEEESD_jNS0_19identity_decomposerEEE10hipError_tT1_T2_PT3_SI_jT4_jjP12ihipStream_tbEUlT_E0_NS1_11comp_targetILNS1_3genE6ELNS1_11target_archE950ELNS1_3gpuE13ELNS1_3repE0EEENS1_52radix_sort_onesweep_histogram_config_static_selectorELNS0_4arch9wavefront6targetE1EEEvSG_: ; @_ZN7rocprim17ROCPRIM_400000_NS6detail17trampoline_kernelINS0_14default_configENS1_35radix_sort_onesweep_config_selectorIssEEZNS1_34radix_sort_onesweep_global_offsetsIS3_Lb0EN6thrust23THRUST_200600_302600_NS6detail15normal_iteratorINS8_10device_ptrIsEEEESD_jNS0_19identity_decomposerEEE10hipError_tT1_T2_PT3_SI_jT4_jjP12ihipStream_tbEUlT_E0_NS1_11comp_targetILNS1_3genE6ELNS1_11target_archE950ELNS1_3gpuE13ELNS1_3repE0EEENS1_52radix_sort_onesweep_histogram_config_static_selectorELNS0_4arch9wavefront6targetE1EEEvSG_
; %bb.0:
	s_load_dwordx2 s[0:1], s[0:1], 0x0
	s_lshl_b32 s2, s2, 6
	s_mov_b32 s3, 0
	s_lshl_b64 s[2:3], s[2:3], 2
	v_cmp_gt_u32_e32 vcc, 64, v0
	s_waitcnt lgkmcnt(0)
	s_add_u32 s4, s0, s2
	s_addc_u32 s5, s1, s3
	v_cmp_lt_u32_e64 s[0:1], 63, v0
	v_lshlrev_b32_e32 v1, 2, v0
                                        ; implicit-def: $vgpr3
	s_and_saveexec_b64 s[2:3], vcc
	s_cbranch_execz .LBB1625_2
; %bb.1:
	global_load_dword v3, v1, s[4:5]
.LBB1625_2:
	s_or_b64 exec, exec, s[2:3]
	v_mbcnt_lo_u32_b32 v2, -1, 0
	v_mbcnt_hi_u32_b32 v2, -1, v2
	v_and_b32_e32 v4, 15, v2
	s_waitcnt vmcnt(0)
	v_mov_b32_dpp v5, v3 row_shr:1 row_mask:0xf bank_mask:0xf
	v_cmp_ne_u32_e64 s[2:3], 0, v4
	s_nop 1
	v_cndmask_b32_e64 v5, 0, v5, s[2:3]
	v_add_u32_e32 v3, v5, v3
	v_cmp_lt_u32_e64 s[2:3], 1, v4
	s_nop 0
	v_mov_b32_dpp v5, v3 row_shr:2 row_mask:0xf bank_mask:0xf
	v_cndmask_b32_e64 v5, 0, v5, s[2:3]
	v_add_u32_e32 v3, v3, v5
	v_cmp_lt_u32_e64 s[2:3], 3, v4
	s_nop 0
	v_mov_b32_dpp v5, v3 row_shr:4 row_mask:0xf bank_mask:0xf
	;; [unrolled: 5-line block ×3, first 2 shown]
	v_cndmask_b32_e64 v4, 0, v5, s[2:3]
	v_add_u32_e32 v3, v3, v4
	v_bfe_i32 v5, v2, 4, 1
	v_cmp_lt_u32_e64 s[2:3], 31, v2
	v_mov_b32_dpp v4, v3 row_bcast:15 row_mask:0xf bank_mask:0xf
	v_and_b32_e32 v4, v5, v4
	v_add_u32_e32 v3, v3, v4
	v_or_b32_e32 v5, 63, v0
	s_nop 0
	v_mov_b32_dpp v4, v3 row_bcast:31 row_mask:0xf bank_mask:0xf
	v_cndmask_b32_e64 v4, 0, v4, s[2:3]
	v_add_u32_e32 v3, v3, v4
	v_lshrrev_b32_e32 v4, 6, v0
	v_cmp_eq_u32_e64 s[2:3], v0, v5
	s_and_saveexec_b64 s[6:7], s[2:3]
; %bb.3:
	v_lshlrev_b32_e32 v5, 2, v4
	ds_write_b32 v5, v3
; %bb.4:
	s_or_b64 exec, exec, s[6:7]
	v_cmp_gt_u32_e64 s[2:3], 8, v0
	s_waitcnt lgkmcnt(0)
	s_barrier
	s_and_saveexec_b64 s[6:7], s[2:3]
	s_cbranch_execz .LBB1625_6
; %bb.5:
	ds_read_b32 v0, v1
	v_and_b32_e32 v5, 7, v2
	v_cmp_ne_u32_e64 s[2:3], 0, v5
	s_waitcnt lgkmcnt(0)
	v_mov_b32_dpp v6, v0 row_shr:1 row_mask:0xf bank_mask:0xf
	v_cndmask_b32_e64 v6, 0, v6, s[2:3]
	v_add_u32_e32 v0, v6, v0
	v_cmp_lt_u32_e64 s[2:3], 1, v5
	s_nop 0
	v_mov_b32_dpp v6, v0 row_shr:2 row_mask:0xf bank_mask:0xf
	v_cndmask_b32_e64 v6, 0, v6, s[2:3]
	v_add_u32_e32 v0, v0, v6
	v_cmp_lt_u32_e64 s[2:3], 3, v5
	s_nop 0
	v_mov_b32_dpp v6, v0 row_shr:4 row_mask:0xf bank_mask:0xf
	v_cndmask_b32_e64 v5, 0, v6, s[2:3]
	v_add_u32_e32 v0, v0, v5
	ds_write_b32 v1, v0
.LBB1625_6:
	s_or_b64 exec, exec, s[6:7]
	v_mov_b32_e32 v0, 0
	s_waitcnt lgkmcnt(0)
	s_barrier
	s_and_saveexec_b64 s[2:3], s[0:1]
; %bb.7:
	v_lshl_add_u32 v0, v4, 2, -4
	ds_read_b32 v0, v0
; %bb.8:
	s_or_b64 exec, exec, s[2:3]
	v_add_u32_e32 v4, -1, v2
	v_and_b32_e32 v5, 64, v2
	v_cmp_lt_i32_e64 s[0:1], v4, v5
	s_waitcnt lgkmcnt(0)
	v_add_u32_e32 v3, v0, v3
	v_cndmask_b32_e64 v4, v4, v2, s[0:1]
	v_lshlrev_b32_e32 v4, 2, v4
	ds_bpermute_b32 v3, v4, v3
	s_and_saveexec_b64 s[0:1], vcc
	s_cbranch_execz .LBB1625_10
; %bb.9:
	v_cmp_eq_u32_e32 vcc, 0, v2
	s_waitcnt lgkmcnt(0)
	s_nop 0
	v_cndmask_b32_e32 v0, v3, v0, vcc
	global_store_dword v1, v0, s[4:5]
.LBB1625_10:
	s_endpgm
	.section	.rodata,"a",@progbits
	.p2align	6, 0x0
	.amdhsa_kernel _ZN7rocprim17ROCPRIM_400000_NS6detail17trampoline_kernelINS0_14default_configENS1_35radix_sort_onesweep_config_selectorIssEEZNS1_34radix_sort_onesweep_global_offsetsIS3_Lb0EN6thrust23THRUST_200600_302600_NS6detail15normal_iteratorINS8_10device_ptrIsEEEESD_jNS0_19identity_decomposerEEE10hipError_tT1_T2_PT3_SI_jT4_jjP12ihipStream_tbEUlT_E0_NS1_11comp_targetILNS1_3genE6ELNS1_11target_archE950ELNS1_3gpuE13ELNS1_3repE0EEENS1_52radix_sort_onesweep_histogram_config_static_selectorELNS0_4arch9wavefront6targetE1EEEvSG_
		.amdhsa_group_segment_fixed_size 32
		.amdhsa_private_segment_fixed_size 0
		.amdhsa_kernarg_size 8
		.amdhsa_user_sgpr_count 2
		.amdhsa_user_sgpr_dispatch_ptr 0
		.amdhsa_user_sgpr_queue_ptr 0
		.amdhsa_user_sgpr_kernarg_segment_ptr 1
		.amdhsa_user_sgpr_dispatch_id 0
		.amdhsa_user_sgpr_kernarg_preload_length 0
		.amdhsa_user_sgpr_kernarg_preload_offset 0
		.amdhsa_user_sgpr_private_segment_size 0
		.amdhsa_uses_dynamic_stack 0
		.amdhsa_enable_private_segment 0
		.amdhsa_system_sgpr_workgroup_id_x 1
		.amdhsa_system_sgpr_workgroup_id_y 0
		.amdhsa_system_sgpr_workgroup_id_z 0
		.amdhsa_system_sgpr_workgroup_info 0
		.amdhsa_system_vgpr_workitem_id 0
		.amdhsa_next_free_vgpr 7
		.amdhsa_next_free_sgpr 8
		.amdhsa_accum_offset 8
		.amdhsa_reserve_vcc 1
		.amdhsa_float_round_mode_32 0
		.amdhsa_float_round_mode_16_64 0
		.amdhsa_float_denorm_mode_32 3
		.amdhsa_float_denorm_mode_16_64 3
		.amdhsa_dx10_clamp 1
		.amdhsa_ieee_mode 1
		.amdhsa_fp16_overflow 0
		.amdhsa_tg_split 0
		.amdhsa_exception_fp_ieee_invalid_op 0
		.amdhsa_exception_fp_denorm_src 0
		.amdhsa_exception_fp_ieee_div_zero 0
		.amdhsa_exception_fp_ieee_overflow 0
		.amdhsa_exception_fp_ieee_underflow 0
		.amdhsa_exception_fp_ieee_inexact 0
		.amdhsa_exception_int_div_zero 0
	.end_amdhsa_kernel
	.section	.text._ZN7rocprim17ROCPRIM_400000_NS6detail17trampoline_kernelINS0_14default_configENS1_35radix_sort_onesweep_config_selectorIssEEZNS1_34radix_sort_onesweep_global_offsetsIS3_Lb0EN6thrust23THRUST_200600_302600_NS6detail15normal_iteratorINS8_10device_ptrIsEEEESD_jNS0_19identity_decomposerEEE10hipError_tT1_T2_PT3_SI_jT4_jjP12ihipStream_tbEUlT_E0_NS1_11comp_targetILNS1_3genE6ELNS1_11target_archE950ELNS1_3gpuE13ELNS1_3repE0EEENS1_52radix_sort_onesweep_histogram_config_static_selectorELNS0_4arch9wavefront6targetE1EEEvSG_,"axG",@progbits,_ZN7rocprim17ROCPRIM_400000_NS6detail17trampoline_kernelINS0_14default_configENS1_35radix_sort_onesweep_config_selectorIssEEZNS1_34radix_sort_onesweep_global_offsetsIS3_Lb0EN6thrust23THRUST_200600_302600_NS6detail15normal_iteratorINS8_10device_ptrIsEEEESD_jNS0_19identity_decomposerEEE10hipError_tT1_T2_PT3_SI_jT4_jjP12ihipStream_tbEUlT_E0_NS1_11comp_targetILNS1_3genE6ELNS1_11target_archE950ELNS1_3gpuE13ELNS1_3repE0EEENS1_52radix_sort_onesweep_histogram_config_static_selectorELNS0_4arch9wavefront6targetE1EEEvSG_,comdat
.Lfunc_end1625:
	.size	_ZN7rocprim17ROCPRIM_400000_NS6detail17trampoline_kernelINS0_14default_configENS1_35radix_sort_onesweep_config_selectorIssEEZNS1_34radix_sort_onesweep_global_offsetsIS3_Lb0EN6thrust23THRUST_200600_302600_NS6detail15normal_iteratorINS8_10device_ptrIsEEEESD_jNS0_19identity_decomposerEEE10hipError_tT1_T2_PT3_SI_jT4_jjP12ihipStream_tbEUlT_E0_NS1_11comp_targetILNS1_3genE6ELNS1_11target_archE950ELNS1_3gpuE13ELNS1_3repE0EEENS1_52radix_sort_onesweep_histogram_config_static_selectorELNS0_4arch9wavefront6targetE1EEEvSG_, .Lfunc_end1625-_ZN7rocprim17ROCPRIM_400000_NS6detail17trampoline_kernelINS0_14default_configENS1_35radix_sort_onesweep_config_selectorIssEEZNS1_34radix_sort_onesweep_global_offsetsIS3_Lb0EN6thrust23THRUST_200600_302600_NS6detail15normal_iteratorINS8_10device_ptrIsEEEESD_jNS0_19identity_decomposerEEE10hipError_tT1_T2_PT3_SI_jT4_jjP12ihipStream_tbEUlT_E0_NS1_11comp_targetILNS1_3genE6ELNS1_11target_archE950ELNS1_3gpuE13ELNS1_3repE0EEENS1_52radix_sort_onesweep_histogram_config_static_selectorELNS0_4arch9wavefront6targetE1EEEvSG_
                                        ; -- End function
	.set _ZN7rocprim17ROCPRIM_400000_NS6detail17trampoline_kernelINS0_14default_configENS1_35radix_sort_onesweep_config_selectorIssEEZNS1_34radix_sort_onesweep_global_offsetsIS3_Lb0EN6thrust23THRUST_200600_302600_NS6detail15normal_iteratorINS8_10device_ptrIsEEEESD_jNS0_19identity_decomposerEEE10hipError_tT1_T2_PT3_SI_jT4_jjP12ihipStream_tbEUlT_E0_NS1_11comp_targetILNS1_3genE6ELNS1_11target_archE950ELNS1_3gpuE13ELNS1_3repE0EEENS1_52radix_sort_onesweep_histogram_config_static_selectorELNS0_4arch9wavefront6targetE1EEEvSG_.num_vgpr, 7
	.set _ZN7rocprim17ROCPRIM_400000_NS6detail17trampoline_kernelINS0_14default_configENS1_35radix_sort_onesweep_config_selectorIssEEZNS1_34radix_sort_onesweep_global_offsetsIS3_Lb0EN6thrust23THRUST_200600_302600_NS6detail15normal_iteratorINS8_10device_ptrIsEEEESD_jNS0_19identity_decomposerEEE10hipError_tT1_T2_PT3_SI_jT4_jjP12ihipStream_tbEUlT_E0_NS1_11comp_targetILNS1_3genE6ELNS1_11target_archE950ELNS1_3gpuE13ELNS1_3repE0EEENS1_52radix_sort_onesweep_histogram_config_static_selectorELNS0_4arch9wavefront6targetE1EEEvSG_.num_agpr, 0
	.set _ZN7rocprim17ROCPRIM_400000_NS6detail17trampoline_kernelINS0_14default_configENS1_35radix_sort_onesweep_config_selectorIssEEZNS1_34radix_sort_onesweep_global_offsetsIS3_Lb0EN6thrust23THRUST_200600_302600_NS6detail15normal_iteratorINS8_10device_ptrIsEEEESD_jNS0_19identity_decomposerEEE10hipError_tT1_T2_PT3_SI_jT4_jjP12ihipStream_tbEUlT_E0_NS1_11comp_targetILNS1_3genE6ELNS1_11target_archE950ELNS1_3gpuE13ELNS1_3repE0EEENS1_52radix_sort_onesweep_histogram_config_static_selectorELNS0_4arch9wavefront6targetE1EEEvSG_.numbered_sgpr, 8
	.set _ZN7rocprim17ROCPRIM_400000_NS6detail17trampoline_kernelINS0_14default_configENS1_35radix_sort_onesweep_config_selectorIssEEZNS1_34radix_sort_onesweep_global_offsetsIS3_Lb0EN6thrust23THRUST_200600_302600_NS6detail15normal_iteratorINS8_10device_ptrIsEEEESD_jNS0_19identity_decomposerEEE10hipError_tT1_T2_PT3_SI_jT4_jjP12ihipStream_tbEUlT_E0_NS1_11comp_targetILNS1_3genE6ELNS1_11target_archE950ELNS1_3gpuE13ELNS1_3repE0EEENS1_52radix_sort_onesweep_histogram_config_static_selectorELNS0_4arch9wavefront6targetE1EEEvSG_.num_named_barrier, 0
	.set _ZN7rocprim17ROCPRIM_400000_NS6detail17trampoline_kernelINS0_14default_configENS1_35radix_sort_onesweep_config_selectorIssEEZNS1_34radix_sort_onesweep_global_offsetsIS3_Lb0EN6thrust23THRUST_200600_302600_NS6detail15normal_iteratorINS8_10device_ptrIsEEEESD_jNS0_19identity_decomposerEEE10hipError_tT1_T2_PT3_SI_jT4_jjP12ihipStream_tbEUlT_E0_NS1_11comp_targetILNS1_3genE6ELNS1_11target_archE950ELNS1_3gpuE13ELNS1_3repE0EEENS1_52radix_sort_onesweep_histogram_config_static_selectorELNS0_4arch9wavefront6targetE1EEEvSG_.private_seg_size, 0
	.set _ZN7rocprim17ROCPRIM_400000_NS6detail17trampoline_kernelINS0_14default_configENS1_35radix_sort_onesweep_config_selectorIssEEZNS1_34radix_sort_onesweep_global_offsetsIS3_Lb0EN6thrust23THRUST_200600_302600_NS6detail15normal_iteratorINS8_10device_ptrIsEEEESD_jNS0_19identity_decomposerEEE10hipError_tT1_T2_PT3_SI_jT4_jjP12ihipStream_tbEUlT_E0_NS1_11comp_targetILNS1_3genE6ELNS1_11target_archE950ELNS1_3gpuE13ELNS1_3repE0EEENS1_52radix_sort_onesweep_histogram_config_static_selectorELNS0_4arch9wavefront6targetE1EEEvSG_.uses_vcc, 1
	.set _ZN7rocprim17ROCPRIM_400000_NS6detail17trampoline_kernelINS0_14default_configENS1_35radix_sort_onesweep_config_selectorIssEEZNS1_34radix_sort_onesweep_global_offsetsIS3_Lb0EN6thrust23THRUST_200600_302600_NS6detail15normal_iteratorINS8_10device_ptrIsEEEESD_jNS0_19identity_decomposerEEE10hipError_tT1_T2_PT3_SI_jT4_jjP12ihipStream_tbEUlT_E0_NS1_11comp_targetILNS1_3genE6ELNS1_11target_archE950ELNS1_3gpuE13ELNS1_3repE0EEENS1_52radix_sort_onesweep_histogram_config_static_selectorELNS0_4arch9wavefront6targetE1EEEvSG_.uses_flat_scratch, 0
	.set _ZN7rocprim17ROCPRIM_400000_NS6detail17trampoline_kernelINS0_14default_configENS1_35radix_sort_onesweep_config_selectorIssEEZNS1_34radix_sort_onesweep_global_offsetsIS3_Lb0EN6thrust23THRUST_200600_302600_NS6detail15normal_iteratorINS8_10device_ptrIsEEEESD_jNS0_19identity_decomposerEEE10hipError_tT1_T2_PT3_SI_jT4_jjP12ihipStream_tbEUlT_E0_NS1_11comp_targetILNS1_3genE6ELNS1_11target_archE950ELNS1_3gpuE13ELNS1_3repE0EEENS1_52radix_sort_onesweep_histogram_config_static_selectorELNS0_4arch9wavefront6targetE1EEEvSG_.has_dyn_sized_stack, 0
	.set _ZN7rocprim17ROCPRIM_400000_NS6detail17trampoline_kernelINS0_14default_configENS1_35radix_sort_onesweep_config_selectorIssEEZNS1_34radix_sort_onesweep_global_offsetsIS3_Lb0EN6thrust23THRUST_200600_302600_NS6detail15normal_iteratorINS8_10device_ptrIsEEEESD_jNS0_19identity_decomposerEEE10hipError_tT1_T2_PT3_SI_jT4_jjP12ihipStream_tbEUlT_E0_NS1_11comp_targetILNS1_3genE6ELNS1_11target_archE950ELNS1_3gpuE13ELNS1_3repE0EEENS1_52radix_sort_onesweep_histogram_config_static_selectorELNS0_4arch9wavefront6targetE1EEEvSG_.has_recursion, 0
	.set _ZN7rocprim17ROCPRIM_400000_NS6detail17trampoline_kernelINS0_14default_configENS1_35radix_sort_onesweep_config_selectorIssEEZNS1_34radix_sort_onesweep_global_offsetsIS3_Lb0EN6thrust23THRUST_200600_302600_NS6detail15normal_iteratorINS8_10device_ptrIsEEEESD_jNS0_19identity_decomposerEEE10hipError_tT1_T2_PT3_SI_jT4_jjP12ihipStream_tbEUlT_E0_NS1_11comp_targetILNS1_3genE6ELNS1_11target_archE950ELNS1_3gpuE13ELNS1_3repE0EEENS1_52radix_sort_onesweep_histogram_config_static_selectorELNS0_4arch9wavefront6targetE1EEEvSG_.has_indirect_call, 0
	.section	.AMDGPU.csdata,"",@progbits
; Kernel info:
; codeLenInByte = 572
; TotalNumSgprs: 14
; NumVgprs: 7
; NumAgprs: 0
; TotalNumVgprs: 7
; ScratchSize: 0
; MemoryBound: 0
; FloatMode: 240
; IeeeMode: 1
; LDSByteSize: 32 bytes/workgroup (compile time only)
; SGPRBlocks: 1
; VGPRBlocks: 0
; NumSGPRsForWavesPerEU: 14
; NumVGPRsForWavesPerEU: 7
; AccumOffset: 8
; Occupancy: 8
; WaveLimiterHint : 0
; COMPUTE_PGM_RSRC2:SCRATCH_EN: 0
; COMPUTE_PGM_RSRC2:USER_SGPR: 2
; COMPUTE_PGM_RSRC2:TRAP_HANDLER: 0
; COMPUTE_PGM_RSRC2:TGID_X_EN: 1
; COMPUTE_PGM_RSRC2:TGID_Y_EN: 0
; COMPUTE_PGM_RSRC2:TGID_Z_EN: 0
; COMPUTE_PGM_RSRC2:TIDIG_COMP_CNT: 0
; COMPUTE_PGM_RSRC3_GFX90A:ACCUM_OFFSET: 1
; COMPUTE_PGM_RSRC3_GFX90A:TG_SPLIT: 0
	.section	.text._ZN7rocprim17ROCPRIM_400000_NS6detail17trampoline_kernelINS0_14default_configENS1_35radix_sort_onesweep_config_selectorIssEEZNS1_34radix_sort_onesweep_global_offsetsIS3_Lb0EN6thrust23THRUST_200600_302600_NS6detail15normal_iteratorINS8_10device_ptrIsEEEESD_jNS0_19identity_decomposerEEE10hipError_tT1_T2_PT3_SI_jT4_jjP12ihipStream_tbEUlT_E0_NS1_11comp_targetILNS1_3genE5ELNS1_11target_archE942ELNS1_3gpuE9ELNS1_3repE0EEENS1_52radix_sort_onesweep_histogram_config_static_selectorELNS0_4arch9wavefront6targetE1EEEvSG_,"axG",@progbits,_ZN7rocprim17ROCPRIM_400000_NS6detail17trampoline_kernelINS0_14default_configENS1_35radix_sort_onesweep_config_selectorIssEEZNS1_34radix_sort_onesweep_global_offsetsIS3_Lb0EN6thrust23THRUST_200600_302600_NS6detail15normal_iteratorINS8_10device_ptrIsEEEESD_jNS0_19identity_decomposerEEE10hipError_tT1_T2_PT3_SI_jT4_jjP12ihipStream_tbEUlT_E0_NS1_11comp_targetILNS1_3genE5ELNS1_11target_archE942ELNS1_3gpuE9ELNS1_3repE0EEENS1_52radix_sort_onesweep_histogram_config_static_selectorELNS0_4arch9wavefront6targetE1EEEvSG_,comdat
	.protected	_ZN7rocprim17ROCPRIM_400000_NS6detail17trampoline_kernelINS0_14default_configENS1_35radix_sort_onesweep_config_selectorIssEEZNS1_34radix_sort_onesweep_global_offsetsIS3_Lb0EN6thrust23THRUST_200600_302600_NS6detail15normal_iteratorINS8_10device_ptrIsEEEESD_jNS0_19identity_decomposerEEE10hipError_tT1_T2_PT3_SI_jT4_jjP12ihipStream_tbEUlT_E0_NS1_11comp_targetILNS1_3genE5ELNS1_11target_archE942ELNS1_3gpuE9ELNS1_3repE0EEENS1_52radix_sort_onesweep_histogram_config_static_selectorELNS0_4arch9wavefront6targetE1EEEvSG_ ; -- Begin function _ZN7rocprim17ROCPRIM_400000_NS6detail17trampoline_kernelINS0_14default_configENS1_35radix_sort_onesweep_config_selectorIssEEZNS1_34radix_sort_onesweep_global_offsetsIS3_Lb0EN6thrust23THRUST_200600_302600_NS6detail15normal_iteratorINS8_10device_ptrIsEEEESD_jNS0_19identity_decomposerEEE10hipError_tT1_T2_PT3_SI_jT4_jjP12ihipStream_tbEUlT_E0_NS1_11comp_targetILNS1_3genE5ELNS1_11target_archE942ELNS1_3gpuE9ELNS1_3repE0EEENS1_52radix_sort_onesweep_histogram_config_static_selectorELNS0_4arch9wavefront6targetE1EEEvSG_
	.globl	_ZN7rocprim17ROCPRIM_400000_NS6detail17trampoline_kernelINS0_14default_configENS1_35radix_sort_onesweep_config_selectorIssEEZNS1_34radix_sort_onesweep_global_offsetsIS3_Lb0EN6thrust23THRUST_200600_302600_NS6detail15normal_iteratorINS8_10device_ptrIsEEEESD_jNS0_19identity_decomposerEEE10hipError_tT1_T2_PT3_SI_jT4_jjP12ihipStream_tbEUlT_E0_NS1_11comp_targetILNS1_3genE5ELNS1_11target_archE942ELNS1_3gpuE9ELNS1_3repE0EEENS1_52radix_sort_onesweep_histogram_config_static_selectorELNS0_4arch9wavefront6targetE1EEEvSG_
	.p2align	8
	.type	_ZN7rocprim17ROCPRIM_400000_NS6detail17trampoline_kernelINS0_14default_configENS1_35radix_sort_onesweep_config_selectorIssEEZNS1_34radix_sort_onesweep_global_offsetsIS3_Lb0EN6thrust23THRUST_200600_302600_NS6detail15normal_iteratorINS8_10device_ptrIsEEEESD_jNS0_19identity_decomposerEEE10hipError_tT1_T2_PT3_SI_jT4_jjP12ihipStream_tbEUlT_E0_NS1_11comp_targetILNS1_3genE5ELNS1_11target_archE942ELNS1_3gpuE9ELNS1_3repE0EEENS1_52radix_sort_onesweep_histogram_config_static_selectorELNS0_4arch9wavefront6targetE1EEEvSG_,@function
_ZN7rocprim17ROCPRIM_400000_NS6detail17trampoline_kernelINS0_14default_configENS1_35radix_sort_onesweep_config_selectorIssEEZNS1_34radix_sort_onesweep_global_offsetsIS3_Lb0EN6thrust23THRUST_200600_302600_NS6detail15normal_iteratorINS8_10device_ptrIsEEEESD_jNS0_19identity_decomposerEEE10hipError_tT1_T2_PT3_SI_jT4_jjP12ihipStream_tbEUlT_E0_NS1_11comp_targetILNS1_3genE5ELNS1_11target_archE942ELNS1_3gpuE9ELNS1_3repE0EEENS1_52radix_sort_onesweep_histogram_config_static_selectorELNS0_4arch9wavefront6targetE1EEEvSG_: ; @_ZN7rocprim17ROCPRIM_400000_NS6detail17trampoline_kernelINS0_14default_configENS1_35radix_sort_onesweep_config_selectorIssEEZNS1_34radix_sort_onesweep_global_offsetsIS3_Lb0EN6thrust23THRUST_200600_302600_NS6detail15normal_iteratorINS8_10device_ptrIsEEEESD_jNS0_19identity_decomposerEEE10hipError_tT1_T2_PT3_SI_jT4_jjP12ihipStream_tbEUlT_E0_NS1_11comp_targetILNS1_3genE5ELNS1_11target_archE942ELNS1_3gpuE9ELNS1_3repE0EEENS1_52radix_sort_onesweep_histogram_config_static_selectorELNS0_4arch9wavefront6targetE1EEEvSG_
; %bb.0:
	.section	.rodata,"a",@progbits
	.p2align	6, 0x0
	.amdhsa_kernel _ZN7rocprim17ROCPRIM_400000_NS6detail17trampoline_kernelINS0_14default_configENS1_35radix_sort_onesweep_config_selectorIssEEZNS1_34radix_sort_onesweep_global_offsetsIS3_Lb0EN6thrust23THRUST_200600_302600_NS6detail15normal_iteratorINS8_10device_ptrIsEEEESD_jNS0_19identity_decomposerEEE10hipError_tT1_T2_PT3_SI_jT4_jjP12ihipStream_tbEUlT_E0_NS1_11comp_targetILNS1_3genE5ELNS1_11target_archE942ELNS1_3gpuE9ELNS1_3repE0EEENS1_52radix_sort_onesweep_histogram_config_static_selectorELNS0_4arch9wavefront6targetE1EEEvSG_
		.amdhsa_group_segment_fixed_size 0
		.amdhsa_private_segment_fixed_size 0
		.amdhsa_kernarg_size 8
		.amdhsa_user_sgpr_count 2
		.amdhsa_user_sgpr_dispatch_ptr 0
		.amdhsa_user_sgpr_queue_ptr 0
		.amdhsa_user_sgpr_kernarg_segment_ptr 1
		.amdhsa_user_sgpr_dispatch_id 0
		.amdhsa_user_sgpr_kernarg_preload_length 0
		.amdhsa_user_sgpr_kernarg_preload_offset 0
		.amdhsa_user_sgpr_private_segment_size 0
		.amdhsa_uses_dynamic_stack 0
		.amdhsa_enable_private_segment 0
		.amdhsa_system_sgpr_workgroup_id_x 1
		.amdhsa_system_sgpr_workgroup_id_y 0
		.amdhsa_system_sgpr_workgroup_id_z 0
		.amdhsa_system_sgpr_workgroup_info 0
		.amdhsa_system_vgpr_workitem_id 0
		.amdhsa_next_free_vgpr 1
		.amdhsa_next_free_sgpr 0
		.amdhsa_accum_offset 4
		.amdhsa_reserve_vcc 0
		.amdhsa_float_round_mode_32 0
		.amdhsa_float_round_mode_16_64 0
		.amdhsa_float_denorm_mode_32 3
		.amdhsa_float_denorm_mode_16_64 3
		.amdhsa_dx10_clamp 1
		.amdhsa_ieee_mode 1
		.amdhsa_fp16_overflow 0
		.amdhsa_tg_split 0
		.amdhsa_exception_fp_ieee_invalid_op 0
		.amdhsa_exception_fp_denorm_src 0
		.amdhsa_exception_fp_ieee_div_zero 0
		.amdhsa_exception_fp_ieee_overflow 0
		.amdhsa_exception_fp_ieee_underflow 0
		.amdhsa_exception_fp_ieee_inexact 0
		.amdhsa_exception_int_div_zero 0
	.end_amdhsa_kernel
	.section	.text._ZN7rocprim17ROCPRIM_400000_NS6detail17trampoline_kernelINS0_14default_configENS1_35radix_sort_onesweep_config_selectorIssEEZNS1_34radix_sort_onesweep_global_offsetsIS3_Lb0EN6thrust23THRUST_200600_302600_NS6detail15normal_iteratorINS8_10device_ptrIsEEEESD_jNS0_19identity_decomposerEEE10hipError_tT1_T2_PT3_SI_jT4_jjP12ihipStream_tbEUlT_E0_NS1_11comp_targetILNS1_3genE5ELNS1_11target_archE942ELNS1_3gpuE9ELNS1_3repE0EEENS1_52radix_sort_onesweep_histogram_config_static_selectorELNS0_4arch9wavefront6targetE1EEEvSG_,"axG",@progbits,_ZN7rocprim17ROCPRIM_400000_NS6detail17trampoline_kernelINS0_14default_configENS1_35radix_sort_onesweep_config_selectorIssEEZNS1_34radix_sort_onesweep_global_offsetsIS3_Lb0EN6thrust23THRUST_200600_302600_NS6detail15normal_iteratorINS8_10device_ptrIsEEEESD_jNS0_19identity_decomposerEEE10hipError_tT1_T2_PT3_SI_jT4_jjP12ihipStream_tbEUlT_E0_NS1_11comp_targetILNS1_3genE5ELNS1_11target_archE942ELNS1_3gpuE9ELNS1_3repE0EEENS1_52radix_sort_onesweep_histogram_config_static_selectorELNS0_4arch9wavefront6targetE1EEEvSG_,comdat
.Lfunc_end1626:
	.size	_ZN7rocprim17ROCPRIM_400000_NS6detail17trampoline_kernelINS0_14default_configENS1_35radix_sort_onesweep_config_selectorIssEEZNS1_34radix_sort_onesweep_global_offsetsIS3_Lb0EN6thrust23THRUST_200600_302600_NS6detail15normal_iteratorINS8_10device_ptrIsEEEESD_jNS0_19identity_decomposerEEE10hipError_tT1_T2_PT3_SI_jT4_jjP12ihipStream_tbEUlT_E0_NS1_11comp_targetILNS1_3genE5ELNS1_11target_archE942ELNS1_3gpuE9ELNS1_3repE0EEENS1_52radix_sort_onesweep_histogram_config_static_selectorELNS0_4arch9wavefront6targetE1EEEvSG_, .Lfunc_end1626-_ZN7rocprim17ROCPRIM_400000_NS6detail17trampoline_kernelINS0_14default_configENS1_35radix_sort_onesweep_config_selectorIssEEZNS1_34radix_sort_onesweep_global_offsetsIS3_Lb0EN6thrust23THRUST_200600_302600_NS6detail15normal_iteratorINS8_10device_ptrIsEEEESD_jNS0_19identity_decomposerEEE10hipError_tT1_T2_PT3_SI_jT4_jjP12ihipStream_tbEUlT_E0_NS1_11comp_targetILNS1_3genE5ELNS1_11target_archE942ELNS1_3gpuE9ELNS1_3repE0EEENS1_52radix_sort_onesweep_histogram_config_static_selectorELNS0_4arch9wavefront6targetE1EEEvSG_
                                        ; -- End function
	.set _ZN7rocprim17ROCPRIM_400000_NS6detail17trampoline_kernelINS0_14default_configENS1_35radix_sort_onesweep_config_selectorIssEEZNS1_34radix_sort_onesweep_global_offsetsIS3_Lb0EN6thrust23THRUST_200600_302600_NS6detail15normal_iteratorINS8_10device_ptrIsEEEESD_jNS0_19identity_decomposerEEE10hipError_tT1_T2_PT3_SI_jT4_jjP12ihipStream_tbEUlT_E0_NS1_11comp_targetILNS1_3genE5ELNS1_11target_archE942ELNS1_3gpuE9ELNS1_3repE0EEENS1_52radix_sort_onesweep_histogram_config_static_selectorELNS0_4arch9wavefront6targetE1EEEvSG_.num_vgpr, 0
	.set _ZN7rocprim17ROCPRIM_400000_NS6detail17trampoline_kernelINS0_14default_configENS1_35radix_sort_onesweep_config_selectorIssEEZNS1_34radix_sort_onesweep_global_offsetsIS3_Lb0EN6thrust23THRUST_200600_302600_NS6detail15normal_iteratorINS8_10device_ptrIsEEEESD_jNS0_19identity_decomposerEEE10hipError_tT1_T2_PT3_SI_jT4_jjP12ihipStream_tbEUlT_E0_NS1_11comp_targetILNS1_3genE5ELNS1_11target_archE942ELNS1_3gpuE9ELNS1_3repE0EEENS1_52radix_sort_onesweep_histogram_config_static_selectorELNS0_4arch9wavefront6targetE1EEEvSG_.num_agpr, 0
	.set _ZN7rocprim17ROCPRIM_400000_NS6detail17trampoline_kernelINS0_14default_configENS1_35radix_sort_onesweep_config_selectorIssEEZNS1_34radix_sort_onesweep_global_offsetsIS3_Lb0EN6thrust23THRUST_200600_302600_NS6detail15normal_iteratorINS8_10device_ptrIsEEEESD_jNS0_19identity_decomposerEEE10hipError_tT1_T2_PT3_SI_jT4_jjP12ihipStream_tbEUlT_E0_NS1_11comp_targetILNS1_3genE5ELNS1_11target_archE942ELNS1_3gpuE9ELNS1_3repE0EEENS1_52radix_sort_onesweep_histogram_config_static_selectorELNS0_4arch9wavefront6targetE1EEEvSG_.numbered_sgpr, 0
	.set _ZN7rocprim17ROCPRIM_400000_NS6detail17trampoline_kernelINS0_14default_configENS1_35radix_sort_onesweep_config_selectorIssEEZNS1_34radix_sort_onesweep_global_offsetsIS3_Lb0EN6thrust23THRUST_200600_302600_NS6detail15normal_iteratorINS8_10device_ptrIsEEEESD_jNS0_19identity_decomposerEEE10hipError_tT1_T2_PT3_SI_jT4_jjP12ihipStream_tbEUlT_E0_NS1_11comp_targetILNS1_3genE5ELNS1_11target_archE942ELNS1_3gpuE9ELNS1_3repE0EEENS1_52radix_sort_onesweep_histogram_config_static_selectorELNS0_4arch9wavefront6targetE1EEEvSG_.num_named_barrier, 0
	.set _ZN7rocprim17ROCPRIM_400000_NS6detail17trampoline_kernelINS0_14default_configENS1_35radix_sort_onesweep_config_selectorIssEEZNS1_34radix_sort_onesweep_global_offsetsIS3_Lb0EN6thrust23THRUST_200600_302600_NS6detail15normal_iteratorINS8_10device_ptrIsEEEESD_jNS0_19identity_decomposerEEE10hipError_tT1_T2_PT3_SI_jT4_jjP12ihipStream_tbEUlT_E0_NS1_11comp_targetILNS1_3genE5ELNS1_11target_archE942ELNS1_3gpuE9ELNS1_3repE0EEENS1_52radix_sort_onesweep_histogram_config_static_selectorELNS0_4arch9wavefront6targetE1EEEvSG_.private_seg_size, 0
	.set _ZN7rocprim17ROCPRIM_400000_NS6detail17trampoline_kernelINS0_14default_configENS1_35radix_sort_onesweep_config_selectorIssEEZNS1_34radix_sort_onesweep_global_offsetsIS3_Lb0EN6thrust23THRUST_200600_302600_NS6detail15normal_iteratorINS8_10device_ptrIsEEEESD_jNS0_19identity_decomposerEEE10hipError_tT1_T2_PT3_SI_jT4_jjP12ihipStream_tbEUlT_E0_NS1_11comp_targetILNS1_3genE5ELNS1_11target_archE942ELNS1_3gpuE9ELNS1_3repE0EEENS1_52radix_sort_onesweep_histogram_config_static_selectorELNS0_4arch9wavefront6targetE1EEEvSG_.uses_vcc, 0
	.set _ZN7rocprim17ROCPRIM_400000_NS6detail17trampoline_kernelINS0_14default_configENS1_35radix_sort_onesweep_config_selectorIssEEZNS1_34radix_sort_onesweep_global_offsetsIS3_Lb0EN6thrust23THRUST_200600_302600_NS6detail15normal_iteratorINS8_10device_ptrIsEEEESD_jNS0_19identity_decomposerEEE10hipError_tT1_T2_PT3_SI_jT4_jjP12ihipStream_tbEUlT_E0_NS1_11comp_targetILNS1_3genE5ELNS1_11target_archE942ELNS1_3gpuE9ELNS1_3repE0EEENS1_52radix_sort_onesweep_histogram_config_static_selectorELNS0_4arch9wavefront6targetE1EEEvSG_.uses_flat_scratch, 0
	.set _ZN7rocprim17ROCPRIM_400000_NS6detail17trampoline_kernelINS0_14default_configENS1_35radix_sort_onesweep_config_selectorIssEEZNS1_34radix_sort_onesweep_global_offsetsIS3_Lb0EN6thrust23THRUST_200600_302600_NS6detail15normal_iteratorINS8_10device_ptrIsEEEESD_jNS0_19identity_decomposerEEE10hipError_tT1_T2_PT3_SI_jT4_jjP12ihipStream_tbEUlT_E0_NS1_11comp_targetILNS1_3genE5ELNS1_11target_archE942ELNS1_3gpuE9ELNS1_3repE0EEENS1_52radix_sort_onesweep_histogram_config_static_selectorELNS0_4arch9wavefront6targetE1EEEvSG_.has_dyn_sized_stack, 0
	.set _ZN7rocprim17ROCPRIM_400000_NS6detail17trampoline_kernelINS0_14default_configENS1_35radix_sort_onesweep_config_selectorIssEEZNS1_34radix_sort_onesweep_global_offsetsIS3_Lb0EN6thrust23THRUST_200600_302600_NS6detail15normal_iteratorINS8_10device_ptrIsEEEESD_jNS0_19identity_decomposerEEE10hipError_tT1_T2_PT3_SI_jT4_jjP12ihipStream_tbEUlT_E0_NS1_11comp_targetILNS1_3genE5ELNS1_11target_archE942ELNS1_3gpuE9ELNS1_3repE0EEENS1_52radix_sort_onesweep_histogram_config_static_selectorELNS0_4arch9wavefront6targetE1EEEvSG_.has_recursion, 0
	.set _ZN7rocprim17ROCPRIM_400000_NS6detail17trampoline_kernelINS0_14default_configENS1_35radix_sort_onesweep_config_selectorIssEEZNS1_34radix_sort_onesweep_global_offsetsIS3_Lb0EN6thrust23THRUST_200600_302600_NS6detail15normal_iteratorINS8_10device_ptrIsEEEESD_jNS0_19identity_decomposerEEE10hipError_tT1_T2_PT3_SI_jT4_jjP12ihipStream_tbEUlT_E0_NS1_11comp_targetILNS1_3genE5ELNS1_11target_archE942ELNS1_3gpuE9ELNS1_3repE0EEENS1_52radix_sort_onesweep_histogram_config_static_selectorELNS0_4arch9wavefront6targetE1EEEvSG_.has_indirect_call, 0
	.section	.AMDGPU.csdata,"",@progbits
; Kernel info:
; codeLenInByte = 0
; TotalNumSgprs: 6
; NumVgprs: 0
; NumAgprs: 0
; TotalNumVgprs: 0
; ScratchSize: 0
; MemoryBound: 0
; FloatMode: 240
; IeeeMode: 1
; LDSByteSize: 0 bytes/workgroup (compile time only)
; SGPRBlocks: 0
; VGPRBlocks: 0
; NumSGPRsForWavesPerEU: 6
; NumVGPRsForWavesPerEU: 1
; AccumOffset: 4
; Occupancy: 8
; WaveLimiterHint : 0
; COMPUTE_PGM_RSRC2:SCRATCH_EN: 0
; COMPUTE_PGM_RSRC2:USER_SGPR: 2
; COMPUTE_PGM_RSRC2:TRAP_HANDLER: 0
; COMPUTE_PGM_RSRC2:TGID_X_EN: 1
; COMPUTE_PGM_RSRC2:TGID_Y_EN: 0
; COMPUTE_PGM_RSRC2:TGID_Z_EN: 0
; COMPUTE_PGM_RSRC2:TIDIG_COMP_CNT: 0
; COMPUTE_PGM_RSRC3_GFX90A:ACCUM_OFFSET: 0
; COMPUTE_PGM_RSRC3_GFX90A:TG_SPLIT: 0
	.section	.text._ZN7rocprim17ROCPRIM_400000_NS6detail17trampoline_kernelINS0_14default_configENS1_35radix_sort_onesweep_config_selectorIssEEZNS1_34radix_sort_onesweep_global_offsetsIS3_Lb0EN6thrust23THRUST_200600_302600_NS6detail15normal_iteratorINS8_10device_ptrIsEEEESD_jNS0_19identity_decomposerEEE10hipError_tT1_T2_PT3_SI_jT4_jjP12ihipStream_tbEUlT_E0_NS1_11comp_targetILNS1_3genE2ELNS1_11target_archE906ELNS1_3gpuE6ELNS1_3repE0EEENS1_52radix_sort_onesweep_histogram_config_static_selectorELNS0_4arch9wavefront6targetE1EEEvSG_,"axG",@progbits,_ZN7rocprim17ROCPRIM_400000_NS6detail17trampoline_kernelINS0_14default_configENS1_35radix_sort_onesweep_config_selectorIssEEZNS1_34radix_sort_onesweep_global_offsetsIS3_Lb0EN6thrust23THRUST_200600_302600_NS6detail15normal_iteratorINS8_10device_ptrIsEEEESD_jNS0_19identity_decomposerEEE10hipError_tT1_T2_PT3_SI_jT4_jjP12ihipStream_tbEUlT_E0_NS1_11comp_targetILNS1_3genE2ELNS1_11target_archE906ELNS1_3gpuE6ELNS1_3repE0EEENS1_52radix_sort_onesweep_histogram_config_static_selectorELNS0_4arch9wavefront6targetE1EEEvSG_,comdat
	.protected	_ZN7rocprim17ROCPRIM_400000_NS6detail17trampoline_kernelINS0_14default_configENS1_35radix_sort_onesweep_config_selectorIssEEZNS1_34radix_sort_onesweep_global_offsetsIS3_Lb0EN6thrust23THRUST_200600_302600_NS6detail15normal_iteratorINS8_10device_ptrIsEEEESD_jNS0_19identity_decomposerEEE10hipError_tT1_T2_PT3_SI_jT4_jjP12ihipStream_tbEUlT_E0_NS1_11comp_targetILNS1_3genE2ELNS1_11target_archE906ELNS1_3gpuE6ELNS1_3repE0EEENS1_52radix_sort_onesweep_histogram_config_static_selectorELNS0_4arch9wavefront6targetE1EEEvSG_ ; -- Begin function _ZN7rocprim17ROCPRIM_400000_NS6detail17trampoline_kernelINS0_14default_configENS1_35radix_sort_onesweep_config_selectorIssEEZNS1_34radix_sort_onesweep_global_offsetsIS3_Lb0EN6thrust23THRUST_200600_302600_NS6detail15normal_iteratorINS8_10device_ptrIsEEEESD_jNS0_19identity_decomposerEEE10hipError_tT1_T2_PT3_SI_jT4_jjP12ihipStream_tbEUlT_E0_NS1_11comp_targetILNS1_3genE2ELNS1_11target_archE906ELNS1_3gpuE6ELNS1_3repE0EEENS1_52radix_sort_onesweep_histogram_config_static_selectorELNS0_4arch9wavefront6targetE1EEEvSG_
	.globl	_ZN7rocprim17ROCPRIM_400000_NS6detail17trampoline_kernelINS0_14default_configENS1_35radix_sort_onesweep_config_selectorIssEEZNS1_34radix_sort_onesweep_global_offsetsIS3_Lb0EN6thrust23THRUST_200600_302600_NS6detail15normal_iteratorINS8_10device_ptrIsEEEESD_jNS0_19identity_decomposerEEE10hipError_tT1_T2_PT3_SI_jT4_jjP12ihipStream_tbEUlT_E0_NS1_11comp_targetILNS1_3genE2ELNS1_11target_archE906ELNS1_3gpuE6ELNS1_3repE0EEENS1_52radix_sort_onesweep_histogram_config_static_selectorELNS0_4arch9wavefront6targetE1EEEvSG_
	.p2align	8
	.type	_ZN7rocprim17ROCPRIM_400000_NS6detail17trampoline_kernelINS0_14default_configENS1_35radix_sort_onesweep_config_selectorIssEEZNS1_34radix_sort_onesweep_global_offsetsIS3_Lb0EN6thrust23THRUST_200600_302600_NS6detail15normal_iteratorINS8_10device_ptrIsEEEESD_jNS0_19identity_decomposerEEE10hipError_tT1_T2_PT3_SI_jT4_jjP12ihipStream_tbEUlT_E0_NS1_11comp_targetILNS1_3genE2ELNS1_11target_archE906ELNS1_3gpuE6ELNS1_3repE0EEENS1_52radix_sort_onesweep_histogram_config_static_selectorELNS0_4arch9wavefront6targetE1EEEvSG_,@function
_ZN7rocprim17ROCPRIM_400000_NS6detail17trampoline_kernelINS0_14default_configENS1_35radix_sort_onesweep_config_selectorIssEEZNS1_34radix_sort_onesweep_global_offsetsIS3_Lb0EN6thrust23THRUST_200600_302600_NS6detail15normal_iteratorINS8_10device_ptrIsEEEESD_jNS0_19identity_decomposerEEE10hipError_tT1_T2_PT3_SI_jT4_jjP12ihipStream_tbEUlT_E0_NS1_11comp_targetILNS1_3genE2ELNS1_11target_archE906ELNS1_3gpuE6ELNS1_3repE0EEENS1_52radix_sort_onesweep_histogram_config_static_selectorELNS0_4arch9wavefront6targetE1EEEvSG_: ; @_ZN7rocprim17ROCPRIM_400000_NS6detail17trampoline_kernelINS0_14default_configENS1_35radix_sort_onesweep_config_selectorIssEEZNS1_34radix_sort_onesweep_global_offsetsIS3_Lb0EN6thrust23THRUST_200600_302600_NS6detail15normal_iteratorINS8_10device_ptrIsEEEESD_jNS0_19identity_decomposerEEE10hipError_tT1_T2_PT3_SI_jT4_jjP12ihipStream_tbEUlT_E0_NS1_11comp_targetILNS1_3genE2ELNS1_11target_archE906ELNS1_3gpuE6ELNS1_3repE0EEENS1_52radix_sort_onesweep_histogram_config_static_selectorELNS0_4arch9wavefront6targetE1EEEvSG_
; %bb.0:
	.section	.rodata,"a",@progbits
	.p2align	6, 0x0
	.amdhsa_kernel _ZN7rocprim17ROCPRIM_400000_NS6detail17trampoline_kernelINS0_14default_configENS1_35radix_sort_onesweep_config_selectorIssEEZNS1_34radix_sort_onesweep_global_offsetsIS3_Lb0EN6thrust23THRUST_200600_302600_NS6detail15normal_iteratorINS8_10device_ptrIsEEEESD_jNS0_19identity_decomposerEEE10hipError_tT1_T2_PT3_SI_jT4_jjP12ihipStream_tbEUlT_E0_NS1_11comp_targetILNS1_3genE2ELNS1_11target_archE906ELNS1_3gpuE6ELNS1_3repE0EEENS1_52radix_sort_onesweep_histogram_config_static_selectorELNS0_4arch9wavefront6targetE1EEEvSG_
		.amdhsa_group_segment_fixed_size 0
		.amdhsa_private_segment_fixed_size 0
		.amdhsa_kernarg_size 8
		.amdhsa_user_sgpr_count 2
		.amdhsa_user_sgpr_dispatch_ptr 0
		.amdhsa_user_sgpr_queue_ptr 0
		.amdhsa_user_sgpr_kernarg_segment_ptr 1
		.amdhsa_user_sgpr_dispatch_id 0
		.amdhsa_user_sgpr_kernarg_preload_length 0
		.amdhsa_user_sgpr_kernarg_preload_offset 0
		.amdhsa_user_sgpr_private_segment_size 0
		.amdhsa_uses_dynamic_stack 0
		.amdhsa_enable_private_segment 0
		.amdhsa_system_sgpr_workgroup_id_x 1
		.amdhsa_system_sgpr_workgroup_id_y 0
		.amdhsa_system_sgpr_workgroup_id_z 0
		.amdhsa_system_sgpr_workgroup_info 0
		.amdhsa_system_vgpr_workitem_id 0
		.amdhsa_next_free_vgpr 1
		.amdhsa_next_free_sgpr 0
		.amdhsa_accum_offset 4
		.amdhsa_reserve_vcc 0
		.amdhsa_float_round_mode_32 0
		.amdhsa_float_round_mode_16_64 0
		.amdhsa_float_denorm_mode_32 3
		.amdhsa_float_denorm_mode_16_64 3
		.amdhsa_dx10_clamp 1
		.amdhsa_ieee_mode 1
		.amdhsa_fp16_overflow 0
		.amdhsa_tg_split 0
		.amdhsa_exception_fp_ieee_invalid_op 0
		.amdhsa_exception_fp_denorm_src 0
		.amdhsa_exception_fp_ieee_div_zero 0
		.amdhsa_exception_fp_ieee_overflow 0
		.amdhsa_exception_fp_ieee_underflow 0
		.amdhsa_exception_fp_ieee_inexact 0
		.amdhsa_exception_int_div_zero 0
	.end_amdhsa_kernel
	.section	.text._ZN7rocprim17ROCPRIM_400000_NS6detail17trampoline_kernelINS0_14default_configENS1_35radix_sort_onesweep_config_selectorIssEEZNS1_34radix_sort_onesweep_global_offsetsIS3_Lb0EN6thrust23THRUST_200600_302600_NS6detail15normal_iteratorINS8_10device_ptrIsEEEESD_jNS0_19identity_decomposerEEE10hipError_tT1_T2_PT3_SI_jT4_jjP12ihipStream_tbEUlT_E0_NS1_11comp_targetILNS1_3genE2ELNS1_11target_archE906ELNS1_3gpuE6ELNS1_3repE0EEENS1_52radix_sort_onesweep_histogram_config_static_selectorELNS0_4arch9wavefront6targetE1EEEvSG_,"axG",@progbits,_ZN7rocprim17ROCPRIM_400000_NS6detail17trampoline_kernelINS0_14default_configENS1_35radix_sort_onesweep_config_selectorIssEEZNS1_34radix_sort_onesweep_global_offsetsIS3_Lb0EN6thrust23THRUST_200600_302600_NS6detail15normal_iteratorINS8_10device_ptrIsEEEESD_jNS0_19identity_decomposerEEE10hipError_tT1_T2_PT3_SI_jT4_jjP12ihipStream_tbEUlT_E0_NS1_11comp_targetILNS1_3genE2ELNS1_11target_archE906ELNS1_3gpuE6ELNS1_3repE0EEENS1_52radix_sort_onesweep_histogram_config_static_selectorELNS0_4arch9wavefront6targetE1EEEvSG_,comdat
.Lfunc_end1627:
	.size	_ZN7rocprim17ROCPRIM_400000_NS6detail17trampoline_kernelINS0_14default_configENS1_35radix_sort_onesweep_config_selectorIssEEZNS1_34radix_sort_onesweep_global_offsetsIS3_Lb0EN6thrust23THRUST_200600_302600_NS6detail15normal_iteratorINS8_10device_ptrIsEEEESD_jNS0_19identity_decomposerEEE10hipError_tT1_T2_PT3_SI_jT4_jjP12ihipStream_tbEUlT_E0_NS1_11comp_targetILNS1_3genE2ELNS1_11target_archE906ELNS1_3gpuE6ELNS1_3repE0EEENS1_52radix_sort_onesweep_histogram_config_static_selectorELNS0_4arch9wavefront6targetE1EEEvSG_, .Lfunc_end1627-_ZN7rocprim17ROCPRIM_400000_NS6detail17trampoline_kernelINS0_14default_configENS1_35radix_sort_onesweep_config_selectorIssEEZNS1_34radix_sort_onesweep_global_offsetsIS3_Lb0EN6thrust23THRUST_200600_302600_NS6detail15normal_iteratorINS8_10device_ptrIsEEEESD_jNS0_19identity_decomposerEEE10hipError_tT1_T2_PT3_SI_jT4_jjP12ihipStream_tbEUlT_E0_NS1_11comp_targetILNS1_3genE2ELNS1_11target_archE906ELNS1_3gpuE6ELNS1_3repE0EEENS1_52radix_sort_onesweep_histogram_config_static_selectorELNS0_4arch9wavefront6targetE1EEEvSG_
                                        ; -- End function
	.set _ZN7rocprim17ROCPRIM_400000_NS6detail17trampoline_kernelINS0_14default_configENS1_35radix_sort_onesweep_config_selectorIssEEZNS1_34radix_sort_onesweep_global_offsetsIS3_Lb0EN6thrust23THRUST_200600_302600_NS6detail15normal_iteratorINS8_10device_ptrIsEEEESD_jNS0_19identity_decomposerEEE10hipError_tT1_T2_PT3_SI_jT4_jjP12ihipStream_tbEUlT_E0_NS1_11comp_targetILNS1_3genE2ELNS1_11target_archE906ELNS1_3gpuE6ELNS1_3repE0EEENS1_52radix_sort_onesweep_histogram_config_static_selectorELNS0_4arch9wavefront6targetE1EEEvSG_.num_vgpr, 0
	.set _ZN7rocprim17ROCPRIM_400000_NS6detail17trampoline_kernelINS0_14default_configENS1_35radix_sort_onesweep_config_selectorIssEEZNS1_34radix_sort_onesweep_global_offsetsIS3_Lb0EN6thrust23THRUST_200600_302600_NS6detail15normal_iteratorINS8_10device_ptrIsEEEESD_jNS0_19identity_decomposerEEE10hipError_tT1_T2_PT3_SI_jT4_jjP12ihipStream_tbEUlT_E0_NS1_11comp_targetILNS1_3genE2ELNS1_11target_archE906ELNS1_3gpuE6ELNS1_3repE0EEENS1_52radix_sort_onesweep_histogram_config_static_selectorELNS0_4arch9wavefront6targetE1EEEvSG_.num_agpr, 0
	.set _ZN7rocprim17ROCPRIM_400000_NS6detail17trampoline_kernelINS0_14default_configENS1_35radix_sort_onesweep_config_selectorIssEEZNS1_34radix_sort_onesweep_global_offsetsIS3_Lb0EN6thrust23THRUST_200600_302600_NS6detail15normal_iteratorINS8_10device_ptrIsEEEESD_jNS0_19identity_decomposerEEE10hipError_tT1_T2_PT3_SI_jT4_jjP12ihipStream_tbEUlT_E0_NS1_11comp_targetILNS1_3genE2ELNS1_11target_archE906ELNS1_3gpuE6ELNS1_3repE0EEENS1_52radix_sort_onesweep_histogram_config_static_selectorELNS0_4arch9wavefront6targetE1EEEvSG_.numbered_sgpr, 0
	.set _ZN7rocprim17ROCPRIM_400000_NS6detail17trampoline_kernelINS0_14default_configENS1_35radix_sort_onesweep_config_selectorIssEEZNS1_34radix_sort_onesweep_global_offsetsIS3_Lb0EN6thrust23THRUST_200600_302600_NS6detail15normal_iteratorINS8_10device_ptrIsEEEESD_jNS0_19identity_decomposerEEE10hipError_tT1_T2_PT3_SI_jT4_jjP12ihipStream_tbEUlT_E0_NS1_11comp_targetILNS1_3genE2ELNS1_11target_archE906ELNS1_3gpuE6ELNS1_3repE0EEENS1_52radix_sort_onesweep_histogram_config_static_selectorELNS0_4arch9wavefront6targetE1EEEvSG_.num_named_barrier, 0
	.set _ZN7rocprim17ROCPRIM_400000_NS6detail17trampoline_kernelINS0_14default_configENS1_35radix_sort_onesweep_config_selectorIssEEZNS1_34radix_sort_onesweep_global_offsetsIS3_Lb0EN6thrust23THRUST_200600_302600_NS6detail15normal_iteratorINS8_10device_ptrIsEEEESD_jNS0_19identity_decomposerEEE10hipError_tT1_T2_PT3_SI_jT4_jjP12ihipStream_tbEUlT_E0_NS1_11comp_targetILNS1_3genE2ELNS1_11target_archE906ELNS1_3gpuE6ELNS1_3repE0EEENS1_52radix_sort_onesweep_histogram_config_static_selectorELNS0_4arch9wavefront6targetE1EEEvSG_.private_seg_size, 0
	.set _ZN7rocprim17ROCPRIM_400000_NS6detail17trampoline_kernelINS0_14default_configENS1_35radix_sort_onesweep_config_selectorIssEEZNS1_34radix_sort_onesweep_global_offsetsIS3_Lb0EN6thrust23THRUST_200600_302600_NS6detail15normal_iteratorINS8_10device_ptrIsEEEESD_jNS0_19identity_decomposerEEE10hipError_tT1_T2_PT3_SI_jT4_jjP12ihipStream_tbEUlT_E0_NS1_11comp_targetILNS1_3genE2ELNS1_11target_archE906ELNS1_3gpuE6ELNS1_3repE0EEENS1_52radix_sort_onesweep_histogram_config_static_selectorELNS0_4arch9wavefront6targetE1EEEvSG_.uses_vcc, 0
	.set _ZN7rocprim17ROCPRIM_400000_NS6detail17trampoline_kernelINS0_14default_configENS1_35radix_sort_onesweep_config_selectorIssEEZNS1_34radix_sort_onesweep_global_offsetsIS3_Lb0EN6thrust23THRUST_200600_302600_NS6detail15normal_iteratorINS8_10device_ptrIsEEEESD_jNS0_19identity_decomposerEEE10hipError_tT1_T2_PT3_SI_jT4_jjP12ihipStream_tbEUlT_E0_NS1_11comp_targetILNS1_3genE2ELNS1_11target_archE906ELNS1_3gpuE6ELNS1_3repE0EEENS1_52radix_sort_onesweep_histogram_config_static_selectorELNS0_4arch9wavefront6targetE1EEEvSG_.uses_flat_scratch, 0
	.set _ZN7rocprim17ROCPRIM_400000_NS6detail17trampoline_kernelINS0_14default_configENS1_35radix_sort_onesweep_config_selectorIssEEZNS1_34radix_sort_onesweep_global_offsetsIS3_Lb0EN6thrust23THRUST_200600_302600_NS6detail15normal_iteratorINS8_10device_ptrIsEEEESD_jNS0_19identity_decomposerEEE10hipError_tT1_T2_PT3_SI_jT4_jjP12ihipStream_tbEUlT_E0_NS1_11comp_targetILNS1_3genE2ELNS1_11target_archE906ELNS1_3gpuE6ELNS1_3repE0EEENS1_52radix_sort_onesweep_histogram_config_static_selectorELNS0_4arch9wavefront6targetE1EEEvSG_.has_dyn_sized_stack, 0
	.set _ZN7rocprim17ROCPRIM_400000_NS6detail17trampoline_kernelINS0_14default_configENS1_35radix_sort_onesweep_config_selectorIssEEZNS1_34radix_sort_onesweep_global_offsetsIS3_Lb0EN6thrust23THRUST_200600_302600_NS6detail15normal_iteratorINS8_10device_ptrIsEEEESD_jNS0_19identity_decomposerEEE10hipError_tT1_T2_PT3_SI_jT4_jjP12ihipStream_tbEUlT_E0_NS1_11comp_targetILNS1_3genE2ELNS1_11target_archE906ELNS1_3gpuE6ELNS1_3repE0EEENS1_52radix_sort_onesweep_histogram_config_static_selectorELNS0_4arch9wavefront6targetE1EEEvSG_.has_recursion, 0
	.set _ZN7rocprim17ROCPRIM_400000_NS6detail17trampoline_kernelINS0_14default_configENS1_35radix_sort_onesweep_config_selectorIssEEZNS1_34radix_sort_onesweep_global_offsetsIS3_Lb0EN6thrust23THRUST_200600_302600_NS6detail15normal_iteratorINS8_10device_ptrIsEEEESD_jNS0_19identity_decomposerEEE10hipError_tT1_T2_PT3_SI_jT4_jjP12ihipStream_tbEUlT_E0_NS1_11comp_targetILNS1_3genE2ELNS1_11target_archE906ELNS1_3gpuE6ELNS1_3repE0EEENS1_52radix_sort_onesweep_histogram_config_static_selectorELNS0_4arch9wavefront6targetE1EEEvSG_.has_indirect_call, 0
	.section	.AMDGPU.csdata,"",@progbits
; Kernel info:
; codeLenInByte = 0
; TotalNumSgprs: 6
; NumVgprs: 0
; NumAgprs: 0
; TotalNumVgprs: 0
; ScratchSize: 0
; MemoryBound: 0
; FloatMode: 240
; IeeeMode: 1
; LDSByteSize: 0 bytes/workgroup (compile time only)
; SGPRBlocks: 0
; VGPRBlocks: 0
; NumSGPRsForWavesPerEU: 6
; NumVGPRsForWavesPerEU: 1
; AccumOffset: 4
; Occupancy: 8
; WaveLimiterHint : 0
; COMPUTE_PGM_RSRC2:SCRATCH_EN: 0
; COMPUTE_PGM_RSRC2:USER_SGPR: 2
; COMPUTE_PGM_RSRC2:TRAP_HANDLER: 0
; COMPUTE_PGM_RSRC2:TGID_X_EN: 1
; COMPUTE_PGM_RSRC2:TGID_Y_EN: 0
; COMPUTE_PGM_RSRC2:TGID_Z_EN: 0
; COMPUTE_PGM_RSRC2:TIDIG_COMP_CNT: 0
; COMPUTE_PGM_RSRC3_GFX90A:ACCUM_OFFSET: 0
; COMPUTE_PGM_RSRC3_GFX90A:TG_SPLIT: 0
	.section	.text._ZN7rocprim17ROCPRIM_400000_NS6detail17trampoline_kernelINS0_14default_configENS1_35radix_sort_onesweep_config_selectorIssEEZNS1_34radix_sort_onesweep_global_offsetsIS3_Lb0EN6thrust23THRUST_200600_302600_NS6detail15normal_iteratorINS8_10device_ptrIsEEEESD_jNS0_19identity_decomposerEEE10hipError_tT1_T2_PT3_SI_jT4_jjP12ihipStream_tbEUlT_E0_NS1_11comp_targetILNS1_3genE4ELNS1_11target_archE910ELNS1_3gpuE8ELNS1_3repE0EEENS1_52radix_sort_onesweep_histogram_config_static_selectorELNS0_4arch9wavefront6targetE1EEEvSG_,"axG",@progbits,_ZN7rocprim17ROCPRIM_400000_NS6detail17trampoline_kernelINS0_14default_configENS1_35radix_sort_onesweep_config_selectorIssEEZNS1_34radix_sort_onesweep_global_offsetsIS3_Lb0EN6thrust23THRUST_200600_302600_NS6detail15normal_iteratorINS8_10device_ptrIsEEEESD_jNS0_19identity_decomposerEEE10hipError_tT1_T2_PT3_SI_jT4_jjP12ihipStream_tbEUlT_E0_NS1_11comp_targetILNS1_3genE4ELNS1_11target_archE910ELNS1_3gpuE8ELNS1_3repE0EEENS1_52radix_sort_onesweep_histogram_config_static_selectorELNS0_4arch9wavefront6targetE1EEEvSG_,comdat
	.protected	_ZN7rocprim17ROCPRIM_400000_NS6detail17trampoline_kernelINS0_14default_configENS1_35radix_sort_onesweep_config_selectorIssEEZNS1_34radix_sort_onesweep_global_offsetsIS3_Lb0EN6thrust23THRUST_200600_302600_NS6detail15normal_iteratorINS8_10device_ptrIsEEEESD_jNS0_19identity_decomposerEEE10hipError_tT1_T2_PT3_SI_jT4_jjP12ihipStream_tbEUlT_E0_NS1_11comp_targetILNS1_3genE4ELNS1_11target_archE910ELNS1_3gpuE8ELNS1_3repE0EEENS1_52radix_sort_onesweep_histogram_config_static_selectorELNS0_4arch9wavefront6targetE1EEEvSG_ ; -- Begin function _ZN7rocprim17ROCPRIM_400000_NS6detail17trampoline_kernelINS0_14default_configENS1_35radix_sort_onesweep_config_selectorIssEEZNS1_34radix_sort_onesweep_global_offsetsIS3_Lb0EN6thrust23THRUST_200600_302600_NS6detail15normal_iteratorINS8_10device_ptrIsEEEESD_jNS0_19identity_decomposerEEE10hipError_tT1_T2_PT3_SI_jT4_jjP12ihipStream_tbEUlT_E0_NS1_11comp_targetILNS1_3genE4ELNS1_11target_archE910ELNS1_3gpuE8ELNS1_3repE0EEENS1_52radix_sort_onesweep_histogram_config_static_selectorELNS0_4arch9wavefront6targetE1EEEvSG_
	.globl	_ZN7rocprim17ROCPRIM_400000_NS6detail17trampoline_kernelINS0_14default_configENS1_35radix_sort_onesweep_config_selectorIssEEZNS1_34radix_sort_onesweep_global_offsetsIS3_Lb0EN6thrust23THRUST_200600_302600_NS6detail15normal_iteratorINS8_10device_ptrIsEEEESD_jNS0_19identity_decomposerEEE10hipError_tT1_T2_PT3_SI_jT4_jjP12ihipStream_tbEUlT_E0_NS1_11comp_targetILNS1_3genE4ELNS1_11target_archE910ELNS1_3gpuE8ELNS1_3repE0EEENS1_52radix_sort_onesweep_histogram_config_static_selectorELNS0_4arch9wavefront6targetE1EEEvSG_
	.p2align	8
	.type	_ZN7rocprim17ROCPRIM_400000_NS6detail17trampoline_kernelINS0_14default_configENS1_35radix_sort_onesweep_config_selectorIssEEZNS1_34radix_sort_onesweep_global_offsetsIS3_Lb0EN6thrust23THRUST_200600_302600_NS6detail15normal_iteratorINS8_10device_ptrIsEEEESD_jNS0_19identity_decomposerEEE10hipError_tT1_T2_PT3_SI_jT4_jjP12ihipStream_tbEUlT_E0_NS1_11comp_targetILNS1_3genE4ELNS1_11target_archE910ELNS1_3gpuE8ELNS1_3repE0EEENS1_52radix_sort_onesweep_histogram_config_static_selectorELNS0_4arch9wavefront6targetE1EEEvSG_,@function
_ZN7rocprim17ROCPRIM_400000_NS6detail17trampoline_kernelINS0_14default_configENS1_35radix_sort_onesweep_config_selectorIssEEZNS1_34radix_sort_onesweep_global_offsetsIS3_Lb0EN6thrust23THRUST_200600_302600_NS6detail15normal_iteratorINS8_10device_ptrIsEEEESD_jNS0_19identity_decomposerEEE10hipError_tT1_T2_PT3_SI_jT4_jjP12ihipStream_tbEUlT_E0_NS1_11comp_targetILNS1_3genE4ELNS1_11target_archE910ELNS1_3gpuE8ELNS1_3repE0EEENS1_52radix_sort_onesweep_histogram_config_static_selectorELNS0_4arch9wavefront6targetE1EEEvSG_: ; @_ZN7rocprim17ROCPRIM_400000_NS6detail17trampoline_kernelINS0_14default_configENS1_35radix_sort_onesweep_config_selectorIssEEZNS1_34radix_sort_onesweep_global_offsetsIS3_Lb0EN6thrust23THRUST_200600_302600_NS6detail15normal_iteratorINS8_10device_ptrIsEEEESD_jNS0_19identity_decomposerEEE10hipError_tT1_T2_PT3_SI_jT4_jjP12ihipStream_tbEUlT_E0_NS1_11comp_targetILNS1_3genE4ELNS1_11target_archE910ELNS1_3gpuE8ELNS1_3repE0EEENS1_52radix_sort_onesweep_histogram_config_static_selectorELNS0_4arch9wavefront6targetE1EEEvSG_
; %bb.0:
	.section	.rodata,"a",@progbits
	.p2align	6, 0x0
	.amdhsa_kernel _ZN7rocprim17ROCPRIM_400000_NS6detail17trampoline_kernelINS0_14default_configENS1_35radix_sort_onesweep_config_selectorIssEEZNS1_34radix_sort_onesweep_global_offsetsIS3_Lb0EN6thrust23THRUST_200600_302600_NS6detail15normal_iteratorINS8_10device_ptrIsEEEESD_jNS0_19identity_decomposerEEE10hipError_tT1_T2_PT3_SI_jT4_jjP12ihipStream_tbEUlT_E0_NS1_11comp_targetILNS1_3genE4ELNS1_11target_archE910ELNS1_3gpuE8ELNS1_3repE0EEENS1_52radix_sort_onesweep_histogram_config_static_selectorELNS0_4arch9wavefront6targetE1EEEvSG_
		.amdhsa_group_segment_fixed_size 0
		.amdhsa_private_segment_fixed_size 0
		.amdhsa_kernarg_size 8
		.amdhsa_user_sgpr_count 2
		.amdhsa_user_sgpr_dispatch_ptr 0
		.amdhsa_user_sgpr_queue_ptr 0
		.amdhsa_user_sgpr_kernarg_segment_ptr 1
		.amdhsa_user_sgpr_dispatch_id 0
		.amdhsa_user_sgpr_kernarg_preload_length 0
		.amdhsa_user_sgpr_kernarg_preload_offset 0
		.amdhsa_user_sgpr_private_segment_size 0
		.amdhsa_uses_dynamic_stack 0
		.amdhsa_enable_private_segment 0
		.amdhsa_system_sgpr_workgroup_id_x 1
		.amdhsa_system_sgpr_workgroup_id_y 0
		.amdhsa_system_sgpr_workgroup_id_z 0
		.amdhsa_system_sgpr_workgroup_info 0
		.amdhsa_system_vgpr_workitem_id 0
		.amdhsa_next_free_vgpr 1
		.amdhsa_next_free_sgpr 0
		.amdhsa_accum_offset 4
		.amdhsa_reserve_vcc 0
		.amdhsa_float_round_mode_32 0
		.amdhsa_float_round_mode_16_64 0
		.amdhsa_float_denorm_mode_32 3
		.amdhsa_float_denorm_mode_16_64 3
		.amdhsa_dx10_clamp 1
		.amdhsa_ieee_mode 1
		.amdhsa_fp16_overflow 0
		.amdhsa_tg_split 0
		.amdhsa_exception_fp_ieee_invalid_op 0
		.amdhsa_exception_fp_denorm_src 0
		.amdhsa_exception_fp_ieee_div_zero 0
		.amdhsa_exception_fp_ieee_overflow 0
		.amdhsa_exception_fp_ieee_underflow 0
		.amdhsa_exception_fp_ieee_inexact 0
		.amdhsa_exception_int_div_zero 0
	.end_amdhsa_kernel
	.section	.text._ZN7rocprim17ROCPRIM_400000_NS6detail17trampoline_kernelINS0_14default_configENS1_35radix_sort_onesweep_config_selectorIssEEZNS1_34radix_sort_onesweep_global_offsetsIS3_Lb0EN6thrust23THRUST_200600_302600_NS6detail15normal_iteratorINS8_10device_ptrIsEEEESD_jNS0_19identity_decomposerEEE10hipError_tT1_T2_PT3_SI_jT4_jjP12ihipStream_tbEUlT_E0_NS1_11comp_targetILNS1_3genE4ELNS1_11target_archE910ELNS1_3gpuE8ELNS1_3repE0EEENS1_52radix_sort_onesweep_histogram_config_static_selectorELNS0_4arch9wavefront6targetE1EEEvSG_,"axG",@progbits,_ZN7rocprim17ROCPRIM_400000_NS6detail17trampoline_kernelINS0_14default_configENS1_35radix_sort_onesweep_config_selectorIssEEZNS1_34radix_sort_onesweep_global_offsetsIS3_Lb0EN6thrust23THRUST_200600_302600_NS6detail15normal_iteratorINS8_10device_ptrIsEEEESD_jNS0_19identity_decomposerEEE10hipError_tT1_T2_PT3_SI_jT4_jjP12ihipStream_tbEUlT_E0_NS1_11comp_targetILNS1_3genE4ELNS1_11target_archE910ELNS1_3gpuE8ELNS1_3repE0EEENS1_52radix_sort_onesweep_histogram_config_static_selectorELNS0_4arch9wavefront6targetE1EEEvSG_,comdat
.Lfunc_end1628:
	.size	_ZN7rocprim17ROCPRIM_400000_NS6detail17trampoline_kernelINS0_14default_configENS1_35radix_sort_onesweep_config_selectorIssEEZNS1_34radix_sort_onesweep_global_offsetsIS3_Lb0EN6thrust23THRUST_200600_302600_NS6detail15normal_iteratorINS8_10device_ptrIsEEEESD_jNS0_19identity_decomposerEEE10hipError_tT1_T2_PT3_SI_jT4_jjP12ihipStream_tbEUlT_E0_NS1_11comp_targetILNS1_3genE4ELNS1_11target_archE910ELNS1_3gpuE8ELNS1_3repE0EEENS1_52radix_sort_onesweep_histogram_config_static_selectorELNS0_4arch9wavefront6targetE1EEEvSG_, .Lfunc_end1628-_ZN7rocprim17ROCPRIM_400000_NS6detail17trampoline_kernelINS0_14default_configENS1_35radix_sort_onesweep_config_selectorIssEEZNS1_34radix_sort_onesweep_global_offsetsIS3_Lb0EN6thrust23THRUST_200600_302600_NS6detail15normal_iteratorINS8_10device_ptrIsEEEESD_jNS0_19identity_decomposerEEE10hipError_tT1_T2_PT3_SI_jT4_jjP12ihipStream_tbEUlT_E0_NS1_11comp_targetILNS1_3genE4ELNS1_11target_archE910ELNS1_3gpuE8ELNS1_3repE0EEENS1_52radix_sort_onesweep_histogram_config_static_selectorELNS0_4arch9wavefront6targetE1EEEvSG_
                                        ; -- End function
	.set _ZN7rocprim17ROCPRIM_400000_NS6detail17trampoline_kernelINS0_14default_configENS1_35radix_sort_onesweep_config_selectorIssEEZNS1_34radix_sort_onesweep_global_offsetsIS3_Lb0EN6thrust23THRUST_200600_302600_NS6detail15normal_iteratorINS8_10device_ptrIsEEEESD_jNS0_19identity_decomposerEEE10hipError_tT1_T2_PT3_SI_jT4_jjP12ihipStream_tbEUlT_E0_NS1_11comp_targetILNS1_3genE4ELNS1_11target_archE910ELNS1_3gpuE8ELNS1_3repE0EEENS1_52radix_sort_onesweep_histogram_config_static_selectorELNS0_4arch9wavefront6targetE1EEEvSG_.num_vgpr, 0
	.set _ZN7rocprim17ROCPRIM_400000_NS6detail17trampoline_kernelINS0_14default_configENS1_35radix_sort_onesweep_config_selectorIssEEZNS1_34radix_sort_onesweep_global_offsetsIS3_Lb0EN6thrust23THRUST_200600_302600_NS6detail15normal_iteratorINS8_10device_ptrIsEEEESD_jNS0_19identity_decomposerEEE10hipError_tT1_T2_PT3_SI_jT4_jjP12ihipStream_tbEUlT_E0_NS1_11comp_targetILNS1_3genE4ELNS1_11target_archE910ELNS1_3gpuE8ELNS1_3repE0EEENS1_52radix_sort_onesweep_histogram_config_static_selectorELNS0_4arch9wavefront6targetE1EEEvSG_.num_agpr, 0
	.set _ZN7rocprim17ROCPRIM_400000_NS6detail17trampoline_kernelINS0_14default_configENS1_35radix_sort_onesweep_config_selectorIssEEZNS1_34radix_sort_onesweep_global_offsetsIS3_Lb0EN6thrust23THRUST_200600_302600_NS6detail15normal_iteratorINS8_10device_ptrIsEEEESD_jNS0_19identity_decomposerEEE10hipError_tT1_T2_PT3_SI_jT4_jjP12ihipStream_tbEUlT_E0_NS1_11comp_targetILNS1_3genE4ELNS1_11target_archE910ELNS1_3gpuE8ELNS1_3repE0EEENS1_52radix_sort_onesweep_histogram_config_static_selectorELNS0_4arch9wavefront6targetE1EEEvSG_.numbered_sgpr, 0
	.set _ZN7rocprim17ROCPRIM_400000_NS6detail17trampoline_kernelINS0_14default_configENS1_35radix_sort_onesweep_config_selectorIssEEZNS1_34radix_sort_onesweep_global_offsetsIS3_Lb0EN6thrust23THRUST_200600_302600_NS6detail15normal_iteratorINS8_10device_ptrIsEEEESD_jNS0_19identity_decomposerEEE10hipError_tT1_T2_PT3_SI_jT4_jjP12ihipStream_tbEUlT_E0_NS1_11comp_targetILNS1_3genE4ELNS1_11target_archE910ELNS1_3gpuE8ELNS1_3repE0EEENS1_52radix_sort_onesweep_histogram_config_static_selectorELNS0_4arch9wavefront6targetE1EEEvSG_.num_named_barrier, 0
	.set _ZN7rocprim17ROCPRIM_400000_NS6detail17trampoline_kernelINS0_14default_configENS1_35radix_sort_onesweep_config_selectorIssEEZNS1_34radix_sort_onesweep_global_offsetsIS3_Lb0EN6thrust23THRUST_200600_302600_NS6detail15normal_iteratorINS8_10device_ptrIsEEEESD_jNS0_19identity_decomposerEEE10hipError_tT1_T2_PT3_SI_jT4_jjP12ihipStream_tbEUlT_E0_NS1_11comp_targetILNS1_3genE4ELNS1_11target_archE910ELNS1_3gpuE8ELNS1_3repE0EEENS1_52radix_sort_onesweep_histogram_config_static_selectorELNS0_4arch9wavefront6targetE1EEEvSG_.private_seg_size, 0
	.set _ZN7rocprim17ROCPRIM_400000_NS6detail17trampoline_kernelINS0_14default_configENS1_35radix_sort_onesweep_config_selectorIssEEZNS1_34radix_sort_onesweep_global_offsetsIS3_Lb0EN6thrust23THRUST_200600_302600_NS6detail15normal_iteratorINS8_10device_ptrIsEEEESD_jNS0_19identity_decomposerEEE10hipError_tT1_T2_PT3_SI_jT4_jjP12ihipStream_tbEUlT_E0_NS1_11comp_targetILNS1_3genE4ELNS1_11target_archE910ELNS1_3gpuE8ELNS1_3repE0EEENS1_52radix_sort_onesweep_histogram_config_static_selectorELNS0_4arch9wavefront6targetE1EEEvSG_.uses_vcc, 0
	.set _ZN7rocprim17ROCPRIM_400000_NS6detail17trampoline_kernelINS0_14default_configENS1_35radix_sort_onesweep_config_selectorIssEEZNS1_34radix_sort_onesweep_global_offsetsIS3_Lb0EN6thrust23THRUST_200600_302600_NS6detail15normal_iteratorINS8_10device_ptrIsEEEESD_jNS0_19identity_decomposerEEE10hipError_tT1_T2_PT3_SI_jT4_jjP12ihipStream_tbEUlT_E0_NS1_11comp_targetILNS1_3genE4ELNS1_11target_archE910ELNS1_3gpuE8ELNS1_3repE0EEENS1_52radix_sort_onesweep_histogram_config_static_selectorELNS0_4arch9wavefront6targetE1EEEvSG_.uses_flat_scratch, 0
	.set _ZN7rocprim17ROCPRIM_400000_NS6detail17trampoline_kernelINS0_14default_configENS1_35radix_sort_onesweep_config_selectorIssEEZNS1_34radix_sort_onesweep_global_offsetsIS3_Lb0EN6thrust23THRUST_200600_302600_NS6detail15normal_iteratorINS8_10device_ptrIsEEEESD_jNS0_19identity_decomposerEEE10hipError_tT1_T2_PT3_SI_jT4_jjP12ihipStream_tbEUlT_E0_NS1_11comp_targetILNS1_3genE4ELNS1_11target_archE910ELNS1_3gpuE8ELNS1_3repE0EEENS1_52radix_sort_onesweep_histogram_config_static_selectorELNS0_4arch9wavefront6targetE1EEEvSG_.has_dyn_sized_stack, 0
	.set _ZN7rocprim17ROCPRIM_400000_NS6detail17trampoline_kernelINS0_14default_configENS1_35radix_sort_onesweep_config_selectorIssEEZNS1_34radix_sort_onesweep_global_offsetsIS3_Lb0EN6thrust23THRUST_200600_302600_NS6detail15normal_iteratorINS8_10device_ptrIsEEEESD_jNS0_19identity_decomposerEEE10hipError_tT1_T2_PT3_SI_jT4_jjP12ihipStream_tbEUlT_E0_NS1_11comp_targetILNS1_3genE4ELNS1_11target_archE910ELNS1_3gpuE8ELNS1_3repE0EEENS1_52radix_sort_onesweep_histogram_config_static_selectorELNS0_4arch9wavefront6targetE1EEEvSG_.has_recursion, 0
	.set _ZN7rocprim17ROCPRIM_400000_NS6detail17trampoline_kernelINS0_14default_configENS1_35radix_sort_onesweep_config_selectorIssEEZNS1_34radix_sort_onesweep_global_offsetsIS3_Lb0EN6thrust23THRUST_200600_302600_NS6detail15normal_iteratorINS8_10device_ptrIsEEEESD_jNS0_19identity_decomposerEEE10hipError_tT1_T2_PT3_SI_jT4_jjP12ihipStream_tbEUlT_E0_NS1_11comp_targetILNS1_3genE4ELNS1_11target_archE910ELNS1_3gpuE8ELNS1_3repE0EEENS1_52radix_sort_onesweep_histogram_config_static_selectorELNS0_4arch9wavefront6targetE1EEEvSG_.has_indirect_call, 0
	.section	.AMDGPU.csdata,"",@progbits
; Kernel info:
; codeLenInByte = 0
; TotalNumSgprs: 6
; NumVgprs: 0
; NumAgprs: 0
; TotalNumVgprs: 0
; ScratchSize: 0
; MemoryBound: 0
; FloatMode: 240
; IeeeMode: 1
; LDSByteSize: 0 bytes/workgroup (compile time only)
; SGPRBlocks: 0
; VGPRBlocks: 0
; NumSGPRsForWavesPerEU: 6
; NumVGPRsForWavesPerEU: 1
; AccumOffset: 4
; Occupancy: 8
; WaveLimiterHint : 0
; COMPUTE_PGM_RSRC2:SCRATCH_EN: 0
; COMPUTE_PGM_RSRC2:USER_SGPR: 2
; COMPUTE_PGM_RSRC2:TRAP_HANDLER: 0
; COMPUTE_PGM_RSRC2:TGID_X_EN: 1
; COMPUTE_PGM_RSRC2:TGID_Y_EN: 0
; COMPUTE_PGM_RSRC2:TGID_Z_EN: 0
; COMPUTE_PGM_RSRC2:TIDIG_COMP_CNT: 0
; COMPUTE_PGM_RSRC3_GFX90A:ACCUM_OFFSET: 0
; COMPUTE_PGM_RSRC3_GFX90A:TG_SPLIT: 0
	.section	.text._ZN7rocprim17ROCPRIM_400000_NS6detail17trampoline_kernelINS0_14default_configENS1_35radix_sort_onesweep_config_selectorIssEEZNS1_34radix_sort_onesweep_global_offsetsIS3_Lb0EN6thrust23THRUST_200600_302600_NS6detail15normal_iteratorINS8_10device_ptrIsEEEESD_jNS0_19identity_decomposerEEE10hipError_tT1_T2_PT3_SI_jT4_jjP12ihipStream_tbEUlT_E0_NS1_11comp_targetILNS1_3genE3ELNS1_11target_archE908ELNS1_3gpuE7ELNS1_3repE0EEENS1_52radix_sort_onesweep_histogram_config_static_selectorELNS0_4arch9wavefront6targetE1EEEvSG_,"axG",@progbits,_ZN7rocprim17ROCPRIM_400000_NS6detail17trampoline_kernelINS0_14default_configENS1_35radix_sort_onesweep_config_selectorIssEEZNS1_34radix_sort_onesweep_global_offsetsIS3_Lb0EN6thrust23THRUST_200600_302600_NS6detail15normal_iteratorINS8_10device_ptrIsEEEESD_jNS0_19identity_decomposerEEE10hipError_tT1_T2_PT3_SI_jT4_jjP12ihipStream_tbEUlT_E0_NS1_11comp_targetILNS1_3genE3ELNS1_11target_archE908ELNS1_3gpuE7ELNS1_3repE0EEENS1_52radix_sort_onesweep_histogram_config_static_selectorELNS0_4arch9wavefront6targetE1EEEvSG_,comdat
	.protected	_ZN7rocprim17ROCPRIM_400000_NS6detail17trampoline_kernelINS0_14default_configENS1_35radix_sort_onesweep_config_selectorIssEEZNS1_34radix_sort_onesweep_global_offsetsIS3_Lb0EN6thrust23THRUST_200600_302600_NS6detail15normal_iteratorINS8_10device_ptrIsEEEESD_jNS0_19identity_decomposerEEE10hipError_tT1_T2_PT3_SI_jT4_jjP12ihipStream_tbEUlT_E0_NS1_11comp_targetILNS1_3genE3ELNS1_11target_archE908ELNS1_3gpuE7ELNS1_3repE0EEENS1_52radix_sort_onesweep_histogram_config_static_selectorELNS0_4arch9wavefront6targetE1EEEvSG_ ; -- Begin function _ZN7rocprim17ROCPRIM_400000_NS6detail17trampoline_kernelINS0_14default_configENS1_35radix_sort_onesweep_config_selectorIssEEZNS1_34radix_sort_onesweep_global_offsetsIS3_Lb0EN6thrust23THRUST_200600_302600_NS6detail15normal_iteratorINS8_10device_ptrIsEEEESD_jNS0_19identity_decomposerEEE10hipError_tT1_T2_PT3_SI_jT4_jjP12ihipStream_tbEUlT_E0_NS1_11comp_targetILNS1_3genE3ELNS1_11target_archE908ELNS1_3gpuE7ELNS1_3repE0EEENS1_52radix_sort_onesweep_histogram_config_static_selectorELNS0_4arch9wavefront6targetE1EEEvSG_
	.globl	_ZN7rocprim17ROCPRIM_400000_NS6detail17trampoline_kernelINS0_14default_configENS1_35radix_sort_onesweep_config_selectorIssEEZNS1_34radix_sort_onesweep_global_offsetsIS3_Lb0EN6thrust23THRUST_200600_302600_NS6detail15normal_iteratorINS8_10device_ptrIsEEEESD_jNS0_19identity_decomposerEEE10hipError_tT1_T2_PT3_SI_jT4_jjP12ihipStream_tbEUlT_E0_NS1_11comp_targetILNS1_3genE3ELNS1_11target_archE908ELNS1_3gpuE7ELNS1_3repE0EEENS1_52radix_sort_onesweep_histogram_config_static_selectorELNS0_4arch9wavefront6targetE1EEEvSG_
	.p2align	8
	.type	_ZN7rocprim17ROCPRIM_400000_NS6detail17trampoline_kernelINS0_14default_configENS1_35radix_sort_onesweep_config_selectorIssEEZNS1_34radix_sort_onesweep_global_offsetsIS3_Lb0EN6thrust23THRUST_200600_302600_NS6detail15normal_iteratorINS8_10device_ptrIsEEEESD_jNS0_19identity_decomposerEEE10hipError_tT1_T2_PT3_SI_jT4_jjP12ihipStream_tbEUlT_E0_NS1_11comp_targetILNS1_3genE3ELNS1_11target_archE908ELNS1_3gpuE7ELNS1_3repE0EEENS1_52radix_sort_onesweep_histogram_config_static_selectorELNS0_4arch9wavefront6targetE1EEEvSG_,@function
_ZN7rocprim17ROCPRIM_400000_NS6detail17trampoline_kernelINS0_14default_configENS1_35radix_sort_onesweep_config_selectorIssEEZNS1_34radix_sort_onesweep_global_offsetsIS3_Lb0EN6thrust23THRUST_200600_302600_NS6detail15normal_iteratorINS8_10device_ptrIsEEEESD_jNS0_19identity_decomposerEEE10hipError_tT1_T2_PT3_SI_jT4_jjP12ihipStream_tbEUlT_E0_NS1_11comp_targetILNS1_3genE3ELNS1_11target_archE908ELNS1_3gpuE7ELNS1_3repE0EEENS1_52radix_sort_onesweep_histogram_config_static_selectorELNS0_4arch9wavefront6targetE1EEEvSG_: ; @_ZN7rocprim17ROCPRIM_400000_NS6detail17trampoline_kernelINS0_14default_configENS1_35radix_sort_onesweep_config_selectorIssEEZNS1_34radix_sort_onesweep_global_offsetsIS3_Lb0EN6thrust23THRUST_200600_302600_NS6detail15normal_iteratorINS8_10device_ptrIsEEEESD_jNS0_19identity_decomposerEEE10hipError_tT1_T2_PT3_SI_jT4_jjP12ihipStream_tbEUlT_E0_NS1_11comp_targetILNS1_3genE3ELNS1_11target_archE908ELNS1_3gpuE7ELNS1_3repE0EEENS1_52radix_sort_onesweep_histogram_config_static_selectorELNS0_4arch9wavefront6targetE1EEEvSG_
; %bb.0:
	.section	.rodata,"a",@progbits
	.p2align	6, 0x0
	.amdhsa_kernel _ZN7rocprim17ROCPRIM_400000_NS6detail17trampoline_kernelINS0_14default_configENS1_35radix_sort_onesweep_config_selectorIssEEZNS1_34radix_sort_onesweep_global_offsetsIS3_Lb0EN6thrust23THRUST_200600_302600_NS6detail15normal_iteratorINS8_10device_ptrIsEEEESD_jNS0_19identity_decomposerEEE10hipError_tT1_T2_PT3_SI_jT4_jjP12ihipStream_tbEUlT_E0_NS1_11comp_targetILNS1_3genE3ELNS1_11target_archE908ELNS1_3gpuE7ELNS1_3repE0EEENS1_52radix_sort_onesweep_histogram_config_static_selectorELNS0_4arch9wavefront6targetE1EEEvSG_
		.amdhsa_group_segment_fixed_size 0
		.amdhsa_private_segment_fixed_size 0
		.amdhsa_kernarg_size 8
		.amdhsa_user_sgpr_count 2
		.amdhsa_user_sgpr_dispatch_ptr 0
		.amdhsa_user_sgpr_queue_ptr 0
		.amdhsa_user_sgpr_kernarg_segment_ptr 1
		.amdhsa_user_sgpr_dispatch_id 0
		.amdhsa_user_sgpr_kernarg_preload_length 0
		.amdhsa_user_sgpr_kernarg_preload_offset 0
		.amdhsa_user_sgpr_private_segment_size 0
		.amdhsa_uses_dynamic_stack 0
		.amdhsa_enable_private_segment 0
		.amdhsa_system_sgpr_workgroup_id_x 1
		.amdhsa_system_sgpr_workgroup_id_y 0
		.amdhsa_system_sgpr_workgroup_id_z 0
		.amdhsa_system_sgpr_workgroup_info 0
		.amdhsa_system_vgpr_workitem_id 0
		.amdhsa_next_free_vgpr 1
		.amdhsa_next_free_sgpr 0
		.amdhsa_accum_offset 4
		.amdhsa_reserve_vcc 0
		.amdhsa_float_round_mode_32 0
		.amdhsa_float_round_mode_16_64 0
		.amdhsa_float_denorm_mode_32 3
		.amdhsa_float_denorm_mode_16_64 3
		.amdhsa_dx10_clamp 1
		.amdhsa_ieee_mode 1
		.amdhsa_fp16_overflow 0
		.amdhsa_tg_split 0
		.amdhsa_exception_fp_ieee_invalid_op 0
		.amdhsa_exception_fp_denorm_src 0
		.amdhsa_exception_fp_ieee_div_zero 0
		.amdhsa_exception_fp_ieee_overflow 0
		.amdhsa_exception_fp_ieee_underflow 0
		.amdhsa_exception_fp_ieee_inexact 0
		.amdhsa_exception_int_div_zero 0
	.end_amdhsa_kernel
	.section	.text._ZN7rocprim17ROCPRIM_400000_NS6detail17trampoline_kernelINS0_14default_configENS1_35radix_sort_onesweep_config_selectorIssEEZNS1_34radix_sort_onesweep_global_offsetsIS3_Lb0EN6thrust23THRUST_200600_302600_NS6detail15normal_iteratorINS8_10device_ptrIsEEEESD_jNS0_19identity_decomposerEEE10hipError_tT1_T2_PT3_SI_jT4_jjP12ihipStream_tbEUlT_E0_NS1_11comp_targetILNS1_3genE3ELNS1_11target_archE908ELNS1_3gpuE7ELNS1_3repE0EEENS1_52radix_sort_onesweep_histogram_config_static_selectorELNS0_4arch9wavefront6targetE1EEEvSG_,"axG",@progbits,_ZN7rocprim17ROCPRIM_400000_NS6detail17trampoline_kernelINS0_14default_configENS1_35radix_sort_onesweep_config_selectorIssEEZNS1_34radix_sort_onesweep_global_offsetsIS3_Lb0EN6thrust23THRUST_200600_302600_NS6detail15normal_iteratorINS8_10device_ptrIsEEEESD_jNS0_19identity_decomposerEEE10hipError_tT1_T2_PT3_SI_jT4_jjP12ihipStream_tbEUlT_E0_NS1_11comp_targetILNS1_3genE3ELNS1_11target_archE908ELNS1_3gpuE7ELNS1_3repE0EEENS1_52radix_sort_onesweep_histogram_config_static_selectorELNS0_4arch9wavefront6targetE1EEEvSG_,comdat
.Lfunc_end1629:
	.size	_ZN7rocprim17ROCPRIM_400000_NS6detail17trampoline_kernelINS0_14default_configENS1_35radix_sort_onesweep_config_selectorIssEEZNS1_34radix_sort_onesweep_global_offsetsIS3_Lb0EN6thrust23THRUST_200600_302600_NS6detail15normal_iteratorINS8_10device_ptrIsEEEESD_jNS0_19identity_decomposerEEE10hipError_tT1_T2_PT3_SI_jT4_jjP12ihipStream_tbEUlT_E0_NS1_11comp_targetILNS1_3genE3ELNS1_11target_archE908ELNS1_3gpuE7ELNS1_3repE0EEENS1_52radix_sort_onesweep_histogram_config_static_selectorELNS0_4arch9wavefront6targetE1EEEvSG_, .Lfunc_end1629-_ZN7rocprim17ROCPRIM_400000_NS6detail17trampoline_kernelINS0_14default_configENS1_35radix_sort_onesweep_config_selectorIssEEZNS1_34radix_sort_onesweep_global_offsetsIS3_Lb0EN6thrust23THRUST_200600_302600_NS6detail15normal_iteratorINS8_10device_ptrIsEEEESD_jNS0_19identity_decomposerEEE10hipError_tT1_T2_PT3_SI_jT4_jjP12ihipStream_tbEUlT_E0_NS1_11comp_targetILNS1_3genE3ELNS1_11target_archE908ELNS1_3gpuE7ELNS1_3repE0EEENS1_52radix_sort_onesweep_histogram_config_static_selectorELNS0_4arch9wavefront6targetE1EEEvSG_
                                        ; -- End function
	.set _ZN7rocprim17ROCPRIM_400000_NS6detail17trampoline_kernelINS0_14default_configENS1_35radix_sort_onesweep_config_selectorIssEEZNS1_34radix_sort_onesweep_global_offsetsIS3_Lb0EN6thrust23THRUST_200600_302600_NS6detail15normal_iteratorINS8_10device_ptrIsEEEESD_jNS0_19identity_decomposerEEE10hipError_tT1_T2_PT3_SI_jT4_jjP12ihipStream_tbEUlT_E0_NS1_11comp_targetILNS1_3genE3ELNS1_11target_archE908ELNS1_3gpuE7ELNS1_3repE0EEENS1_52radix_sort_onesweep_histogram_config_static_selectorELNS0_4arch9wavefront6targetE1EEEvSG_.num_vgpr, 0
	.set _ZN7rocprim17ROCPRIM_400000_NS6detail17trampoline_kernelINS0_14default_configENS1_35radix_sort_onesweep_config_selectorIssEEZNS1_34radix_sort_onesweep_global_offsetsIS3_Lb0EN6thrust23THRUST_200600_302600_NS6detail15normal_iteratorINS8_10device_ptrIsEEEESD_jNS0_19identity_decomposerEEE10hipError_tT1_T2_PT3_SI_jT4_jjP12ihipStream_tbEUlT_E0_NS1_11comp_targetILNS1_3genE3ELNS1_11target_archE908ELNS1_3gpuE7ELNS1_3repE0EEENS1_52radix_sort_onesweep_histogram_config_static_selectorELNS0_4arch9wavefront6targetE1EEEvSG_.num_agpr, 0
	.set _ZN7rocprim17ROCPRIM_400000_NS6detail17trampoline_kernelINS0_14default_configENS1_35radix_sort_onesweep_config_selectorIssEEZNS1_34radix_sort_onesweep_global_offsetsIS3_Lb0EN6thrust23THRUST_200600_302600_NS6detail15normal_iteratorINS8_10device_ptrIsEEEESD_jNS0_19identity_decomposerEEE10hipError_tT1_T2_PT3_SI_jT4_jjP12ihipStream_tbEUlT_E0_NS1_11comp_targetILNS1_3genE3ELNS1_11target_archE908ELNS1_3gpuE7ELNS1_3repE0EEENS1_52radix_sort_onesweep_histogram_config_static_selectorELNS0_4arch9wavefront6targetE1EEEvSG_.numbered_sgpr, 0
	.set _ZN7rocprim17ROCPRIM_400000_NS6detail17trampoline_kernelINS0_14default_configENS1_35radix_sort_onesweep_config_selectorIssEEZNS1_34radix_sort_onesweep_global_offsetsIS3_Lb0EN6thrust23THRUST_200600_302600_NS6detail15normal_iteratorINS8_10device_ptrIsEEEESD_jNS0_19identity_decomposerEEE10hipError_tT1_T2_PT3_SI_jT4_jjP12ihipStream_tbEUlT_E0_NS1_11comp_targetILNS1_3genE3ELNS1_11target_archE908ELNS1_3gpuE7ELNS1_3repE0EEENS1_52radix_sort_onesweep_histogram_config_static_selectorELNS0_4arch9wavefront6targetE1EEEvSG_.num_named_barrier, 0
	.set _ZN7rocprim17ROCPRIM_400000_NS6detail17trampoline_kernelINS0_14default_configENS1_35radix_sort_onesweep_config_selectorIssEEZNS1_34radix_sort_onesweep_global_offsetsIS3_Lb0EN6thrust23THRUST_200600_302600_NS6detail15normal_iteratorINS8_10device_ptrIsEEEESD_jNS0_19identity_decomposerEEE10hipError_tT1_T2_PT3_SI_jT4_jjP12ihipStream_tbEUlT_E0_NS1_11comp_targetILNS1_3genE3ELNS1_11target_archE908ELNS1_3gpuE7ELNS1_3repE0EEENS1_52radix_sort_onesweep_histogram_config_static_selectorELNS0_4arch9wavefront6targetE1EEEvSG_.private_seg_size, 0
	.set _ZN7rocprim17ROCPRIM_400000_NS6detail17trampoline_kernelINS0_14default_configENS1_35radix_sort_onesweep_config_selectorIssEEZNS1_34radix_sort_onesweep_global_offsetsIS3_Lb0EN6thrust23THRUST_200600_302600_NS6detail15normal_iteratorINS8_10device_ptrIsEEEESD_jNS0_19identity_decomposerEEE10hipError_tT1_T2_PT3_SI_jT4_jjP12ihipStream_tbEUlT_E0_NS1_11comp_targetILNS1_3genE3ELNS1_11target_archE908ELNS1_3gpuE7ELNS1_3repE0EEENS1_52radix_sort_onesweep_histogram_config_static_selectorELNS0_4arch9wavefront6targetE1EEEvSG_.uses_vcc, 0
	.set _ZN7rocprim17ROCPRIM_400000_NS6detail17trampoline_kernelINS0_14default_configENS1_35radix_sort_onesweep_config_selectorIssEEZNS1_34radix_sort_onesweep_global_offsetsIS3_Lb0EN6thrust23THRUST_200600_302600_NS6detail15normal_iteratorINS8_10device_ptrIsEEEESD_jNS0_19identity_decomposerEEE10hipError_tT1_T2_PT3_SI_jT4_jjP12ihipStream_tbEUlT_E0_NS1_11comp_targetILNS1_3genE3ELNS1_11target_archE908ELNS1_3gpuE7ELNS1_3repE0EEENS1_52radix_sort_onesweep_histogram_config_static_selectorELNS0_4arch9wavefront6targetE1EEEvSG_.uses_flat_scratch, 0
	.set _ZN7rocprim17ROCPRIM_400000_NS6detail17trampoline_kernelINS0_14default_configENS1_35radix_sort_onesweep_config_selectorIssEEZNS1_34radix_sort_onesweep_global_offsetsIS3_Lb0EN6thrust23THRUST_200600_302600_NS6detail15normal_iteratorINS8_10device_ptrIsEEEESD_jNS0_19identity_decomposerEEE10hipError_tT1_T2_PT3_SI_jT4_jjP12ihipStream_tbEUlT_E0_NS1_11comp_targetILNS1_3genE3ELNS1_11target_archE908ELNS1_3gpuE7ELNS1_3repE0EEENS1_52radix_sort_onesweep_histogram_config_static_selectorELNS0_4arch9wavefront6targetE1EEEvSG_.has_dyn_sized_stack, 0
	.set _ZN7rocprim17ROCPRIM_400000_NS6detail17trampoline_kernelINS0_14default_configENS1_35radix_sort_onesweep_config_selectorIssEEZNS1_34radix_sort_onesweep_global_offsetsIS3_Lb0EN6thrust23THRUST_200600_302600_NS6detail15normal_iteratorINS8_10device_ptrIsEEEESD_jNS0_19identity_decomposerEEE10hipError_tT1_T2_PT3_SI_jT4_jjP12ihipStream_tbEUlT_E0_NS1_11comp_targetILNS1_3genE3ELNS1_11target_archE908ELNS1_3gpuE7ELNS1_3repE0EEENS1_52radix_sort_onesweep_histogram_config_static_selectorELNS0_4arch9wavefront6targetE1EEEvSG_.has_recursion, 0
	.set _ZN7rocprim17ROCPRIM_400000_NS6detail17trampoline_kernelINS0_14default_configENS1_35radix_sort_onesweep_config_selectorIssEEZNS1_34radix_sort_onesweep_global_offsetsIS3_Lb0EN6thrust23THRUST_200600_302600_NS6detail15normal_iteratorINS8_10device_ptrIsEEEESD_jNS0_19identity_decomposerEEE10hipError_tT1_T2_PT3_SI_jT4_jjP12ihipStream_tbEUlT_E0_NS1_11comp_targetILNS1_3genE3ELNS1_11target_archE908ELNS1_3gpuE7ELNS1_3repE0EEENS1_52radix_sort_onesweep_histogram_config_static_selectorELNS0_4arch9wavefront6targetE1EEEvSG_.has_indirect_call, 0
	.section	.AMDGPU.csdata,"",@progbits
; Kernel info:
; codeLenInByte = 0
; TotalNumSgprs: 6
; NumVgprs: 0
; NumAgprs: 0
; TotalNumVgprs: 0
; ScratchSize: 0
; MemoryBound: 0
; FloatMode: 240
; IeeeMode: 1
; LDSByteSize: 0 bytes/workgroup (compile time only)
; SGPRBlocks: 0
; VGPRBlocks: 0
; NumSGPRsForWavesPerEU: 6
; NumVGPRsForWavesPerEU: 1
; AccumOffset: 4
; Occupancy: 8
; WaveLimiterHint : 0
; COMPUTE_PGM_RSRC2:SCRATCH_EN: 0
; COMPUTE_PGM_RSRC2:USER_SGPR: 2
; COMPUTE_PGM_RSRC2:TRAP_HANDLER: 0
; COMPUTE_PGM_RSRC2:TGID_X_EN: 1
; COMPUTE_PGM_RSRC2:TGID_Y_EN: 0
; COMPUTE_PGM_RSRC2:TGID_Z_EN: 0
; COMPUTE_PGM_RSRC2:TIDIG_COMP_CNT: 0
; COMPUTE_PGM_RSRC3_GFX90A:ACCUM_OFFSET: 0
; COMPUTE_PGM_RSRC3_GFX90A:TG_SPLIT: 0
	.section	.text._ZN7rocprim17ROCPRIM_400000_NS6detail17trampoline_kernelINS0_14default_configENS1_35radix_sort_onesweep_config_selectorIssEEZNS1_34radix_sort_onesweep_global_offsetsIS3_Lb0EN6thrust23THRUST_200600_302600_NS6detail15normal_iteratorINS8_10device_ptrIsEEEESD_jNS0_19identity_decomposerEEE10hipError_tT1_T2_PT3_SI_jT4_jjP12ihipStream_tbEUlT_E0_NS1_11comp_targetILNS1_3genE10ELNS1_11target_archE1201ELNS1_3gpuE5ELNS1_3repE0EEENS1_52radix_sort_onesweep_histogram_config_static_selectorELNS0_4arch9wavefront6targetE1EEEvSG_,"axG",@progbits,_ZN7rocprim17ROCPRIM_400000_NS6detail17trampoline_kernelINS0_14default_configENS1_35radix_sort_onesweep_config_selectorIssEEZNS1_34radix_sort_onesweep_global_offsetsIS3_Lb0EN6thrust23THRUST_200600_302600_NS6detail15normal_iteratorINS8_10device_ptrIsEEEESD_jNS0_19identity_decomposerEEE10hipError_tT1_T2_PT3_SI_jT4_jjP12ihipStream_tbEUlT_E0_NS1_11comp_targetILNS1_3genE10ELNS1_11target_archE1201ELNS1_3gpuE5ELNS1_3repE0EEENS1_52radix_sort_onesweep_histogram_config_static_selectorELNS0_4arch9wavefront6targetE1EEEvSG_,comdat
	.protected	_ZN7rocprim17ROCPRIM_400000_NS6detail17trampoline_kernelINS0_14default_configENS1_35radix_sort_onesweep_config_selectorIssEEZNS1_34radix_sort_onesweep_global_offsetsIS3_Lb0EN6thrust23THRUST_200600_302600_NS6detail15normal_iteratorINS8_10device_ptrIsEEEESD_jNS0_19identity_decomposerEEE10hipError_tT1_T2_PT3_SI_jT4_jjP12ihipStream_tbEUlT_E0_NS1_11comp_targetILNS1_3genE10ELNS1_11target_archE1201ELNS1_3gpuE5ELNS1_3repE0EEENS1_52radix_sort_onesweep_histogram_config_static_selectorELNS0_4arch9wavefront6targetE1EEEvSG_ ; -- Begin function _ZN7rocprim17ROCPRIM_400000_NS6detail17trampoline_kernelINS0_14default_configENS1_35radix_sort_onesweep_config_selectorIssEEZNS1_34radix_sort_onesweep_global_offsetsIS3_Lb0EN6thrust23THRUST_200600_302600_NS6detail15normal_iteratorINS8_10device_ptrIsEEEESD_jNS0_19identity_decomposerEEE10hipError_tT1_T2_PT3_SI_jT4_jjP12ihipStream_tbEUlT_E0_NS1_11comp_targetILNS1_3genE10ELNS1_11target_archE1201ELNS1_3gpuE5ELNS1_3repE0EEENS1_52radix_sort_onesweep_histogram_config_static_selectorELNS0_4arch9wavefront6targetE1EEEvSG_
	.globl	_ZN7rocprim17ROCPRIM_400000_NS6detail17trampoline_kernelINS0_14default_configENS1_35radix_sort_onesweep_config_selectorIssEEZNS1_34radix_sort_onesweep_global_offsetsIS3_Lb0EN6thrust23THRUST_200600_302600_NS6detail15normal_iteratorINS8_10device_ptrIsEEEESD_jNS0_19identity_decomposerEEE10hipError_tT1_T2_PT3_SI_jT4_jjP12ihipStream_tbEUlT_E0_NS1_11comp_targetILNS1_3genE10ELNS1_11target_archE1201ELNS1_3gpuE5ELNS1_3repE0EEENS1_52radix_sort_onesweep_histogram_config_static_selectorELNS0_4arch9wavefront6targetE1EEEvSG_
	.p2align	8
	.type	_ZN7rocprim17ROCPRIM_400000_NS6detail17trampoline_kernelINS0_14default_configENS1_35radix_sort_onesweep_config_selectorIssEEZNS1_34radix_sort_onesweep_global_offsetsIS3_Lb0EN6thrust23THRUST_200600_302600_NS6detail15normal_iteratorINS8_10device_ptrIsEEEESD_jNS0_19identity_decomposerEEE10hipError_tT1_T2_PT3_SI_jT4_jjP12ihipStream_tbEUlT_E0_NS1_11comp_targetILNS1_3genE10ELNS1_11target_archE1201ELNS1_3gpuE5ELNS1_3repE0EEENS1_52radix_sort_onesweep_histogram_config_static_selectorELNS0_4arch9wavefront6targetE1EEEvSG_,@function
_ZN7rocprim17ROCPRIM_400000_NS6detail17trampoline_kernelINS0_14default_configENS1_35radix_sort_onesweep_config_selectorIssEEZNS1_34radix_sort_onesweep_global_offsetsIS3_Lb0EN6thrust23THRUST_200600_302600_NS6detail15normal_iteratorINS8_10device_ptrIsEEEESD_jNS0_19identity_decomposerEEE10hipError_tT1_T2_PT3_SI_jT4_jjP12ihipStream_tbEUlT_E0_NS1_11comp_targetILNS1_3genE10ELNS1_11target_archE1201ELNS1_3gpuE5ELNS1_3repE0EEENS1_52radix_sort_onesweep_histogram_config_static_selectorELNS0_4arch9wavefront6targetE1EEEvSG_: ; @_ZN7rocprim17ROCPRIM_400000_NS6detail17trampoline_kernelINS0_14default_configENS1_35radix_sort_onesweep_config_selectorIssEEZNS1_34radix_sort_onesweep_global_offsetsIS3_Lb0EN6thrust23THRUST_200600_302600_NS6detail15normal_iteratorINS8_10device_ptrIsEEEESD_jNS0_19identity_decomposerEEE10hipError_tT1_T2_PT3_SI_jT4_jjP12ihipStream_tbEUlT_E0_NS1_11comp_targetILNS1_3genE10ELNS1_11target_archE1201ELNS1_3gpuE5ELNS1_3repE0EEENS1_52radix_sort_onesweep_histogram_config_static_selectorELNS0_4arch9wavefront6targetE1EEEvSG_
; %bb.0:
	.section	.rodata,"a",@progbits
	.p2align	6, 0x0
	.amdhsa_kernel _ZN7rocprim17ROCPRIM_400000_NS6detail17trampoline_kernelINS0_14default_configENS1_35radix_sort_onesweep_config_selectorIssEEZNS1_34radix_sort_onesweep_global_offsetsIS3_Lb0EN6thrust23THRUST_200600_302600_NS6detail15normal_iteratorINS8_10device_ptrIsEEEESD_jNS0_19identity_decomposerEEE10hipError_tT1_T2_PT3_SI_jT4_jjP12ihipStream_tbEUlT_E0_NS1_11comp_targetILNS1_3genE10ELNS1_11target_archE1201ELNS1_3gpuE5ELNS1_3repE0EEENS1_52radix_sort_onesweep_histogram_config_static_selectorELNS0_4arch9wavefront6targetE1EEEvSG_
		.amdhsa_group_segment_fixed_size 0
		.amdhsa_private_segment_fixed_size 0
		.amdhsa_kernarg_size 8
		.amdhsa_user_sgpr_count 2
		.amdhsa_user_sgpr_dispatch_ptr 0
		.amdhsa_user_sgpr_queue_ptr 0
		.amdhsa_user_sgpr_kernarg_segment_ptr 1
		.amdhsa_user_sgpr_dispatch_id 0
		.amdhsa_user_sgpr_kernarg_preload_length 0
		.amdhsa_user_sgpr_kernarg_preload_offset 0
		.amdhsa_user_sgpr_private_segment_size 0
		.amdhsa_uses_dynamic_stack 0
		.amdhsa_enable_private_segment 0
		.amdhsa_system_sgpr_workgroup_id_x 1
		.amdhsa_system_sgpr_workgroup_id_y 0
		.amdhsa_system_sgpr_workgroup_id_z 0
		.amdhsa_system_sgpr_workgroup_info 0
		.amdhsa_system_vgpr_workitem_id 0
		.amdhsa_next_free_vgpr 1
		.amdhsa_next_free_sgpr 0
		.amdhsa_accum_offset 4
		.amdhsa_reserve_vcc 0
		.amdhsa_float_round_mode_32 0
		.amdhsa_float_round_mode_16_64 0
		.amdhsa_float_denorm_mode_32 3
		.amdhsa_float_denorm_mode_16_64 3
		.amdhsa_dx10_clamp 1
		.amdhsa_ieee_mode 1
		.amdhsa_fp16_overflow 0
		.amdhsa_tg_split 0
		.amdhsa_exception_fp_ieee_invalid_op 0
		.amdhsa_exception_fp_denorm_src 0
		.amdhsa_exception_fp_ieee_div_zero 0
		.amdhsa_exception_fp_ieee_overflow 0
		.amdhsa_exception_fp_ieee_underflow 0
		.amdhsa_exception_fp_ieee_inexact 0
		.amdhsa_exception_int_div_zero 0
	.end_amdhsa_kernel
	.section	.text._ZN7rocprim17ROCPRIM_400000_NS6detail17trampoline_kernelINS0_14default_configENS1_35radix_sort_onesweep_config_selectorIssEEZNS1_34radix_sort_onesweep_global_offsetsIS3_Lb0EN6thrust23THRUST_200600_302600_NS6detail15normal_iteratorINS8_10device_ptrIsEEEESD_jNS0_19identity_decomposerEEE10hipError_tT1_T2_PT3_SI_jT4_jjP12ihipStream_tbEUlT_E0_NS1_11comp_targetILNS1_3genE10ELNS1_11target_archE1201ELNS1_3gpuE5ELNS1_3repE0EEENS1_52radix_sort_onesweep_histogram_config_static_selectorELNS0_4arch9wavefront6targetE1EEEvSG_,"axG",@progbits,_ZN7rocprim17ROCPRIM_400000_NS6detail17trampoline_kernelINS0_14default_configENS1_35radix_sort_onesweep_config_selectorIssEEZNS1_34radix_sort_onesweep_global_offsetsIS3_Lb0EN6thrust23THRUST_200600_302600_NS6detail15normal_iteratorINS8_10device_ptrIsEEEESD_jNS0_19identity_decomposerEEE10hipError_tT1_T2_PT3_SI_jT4_jjP12ihipStream_tbEUlT_E0_NS1_11comp_targetILNS1_3genE10ELNS1_11target_archE1201ELNS1_3gpuE5ELNS1_3repE0EEENS1_52radix_sort_onesweep_histogram_config_static_selectorELNS0_4arch9wavefront6targetE1EEEvSG_,comdat
.Lfunc_end1630:
	.size	_ZN7rocprim17ROCPRIM_400000_NS6detail17trampoline_kernelINS0_14default_configENS1_35radix_sort_onesweep_config_selectorIssEEZNS1_34radix_sort_onesweep_global_offsetsIS3_Lb0EN6thrust23THRUST_200600_302600_NS6detail15normal_iteratorINS8_10device_ptrIsEEEESD_jNS0_19identity_decomposerEEE10hipError_tT1_T2_PT3_SI_jT4_jjP12ihipStream_tbEUlT_E0_NS1_11comp_targetILNS1_3genE10ELNS1_11target_archE1201ELNS1_3gpuE5ELNS1_3repE0EEENS1_52radix_sort_onesweep_histogram_config_static_selectorELNS0_4arch9wavefront6targetE1EEEvSG_, .Lfunc_end1630-_ZN7rocprim17ROCPRIM_400000_NS6detail17trampoline_kernelINS0_14default_configENS1_35radix_sort_onesweep_config_selectorIssEEZNS1_34radix_sort_onesweep_global_offsetsIS3_Lb0EN6thrust23THRUST_200600_302600_NS6detail15normal_iteratorINS8_10device_ptrIsEEEESD_jNS0_19identity_decomposerEEE10hipError_tT1_T2_PT3_SI_jT4_jjP12ihipStream_tbEUlT_E0_NS1_11comp_targetILNS1_3genE10ELNS1_11target_archE1201ELNS1_3gpuE5ELNS1_3repE0EEENS1_52radix_sort_onesweep_histogram_config_static_selectorELNS0_4arch9wavefront6targetE1EEEvSG_
                                        ; -- End function
	.set _ZN7rocprim17ROCPRIM_400000_NS6detail17trampoline_kernelINS0_14default_configENS1_35radix_sort_onesweep_config_selectorIssEEZNS1_34radix_sort_onesweep_global_offsetsIS3_Lb0EN6thrust23THRUST_200600_302600_NS6detail15normal_iteratorINS8_10device_ptrIsEEEESD_jNS0_19identity_decomposerEEE10hipError_tT1_T2_PT3_SI_jT4_jjP12ihipStream_tbEUlT_E0_NS1_11comp_targetILNS1_3genE10ELNS1_11target_archE1201ELNS1_3gpuE5ELNS1_3repE0EEENS1_52radix_sort_onesweep_histogram_config_static_selectorELNS0_4arch9wavefront6targetE1EEEvSG_.num_vgpr, 0
	.set _ZN7rocprim17ROCPRIM_400000_NS6detail17trampoline_kernelINS0_14default_configENS1_35radix_sort_onesweep_config_selectorIssEEZNS1_34radix_sort_onesweep_global_offsetsIS3_Lb0EN6thrust23THRUST_200600_302600_NS6detail15normal_iteratorINS8_10device_ptrIsEEEESD_jNS0_19identity_decomposerEEE10hipError_tT1_T2_PT3_SI_jT4_jjP12ihipStream_tbEUlT_E0_NS1_11comp_targetILNS1_3genE10ELNS1_11target_archE1201ELNS1_3gpuE5ELNS1_3repE0EEENS1_52radix_sort_onesweep_histogram_config_static_selectorELNS0_4arch9wavefront6targetE1EEEvSG_.num_agpr, 0
	.set _ZN7rocprim17ROCPRIM_400000_NS6detail17trampoline_kernelINS0_14default_configENS1_35radix_sort_onesweep_config_selectorIssEEZNS1_34radix_sort_onesweep_global_offsetsIS3_Lb0EN6thrust23THRUST_200600_302600_NS6detail15normal_iteratorINS8_10device_ptrIsEEEESD_jNS0_19identity_decomposerEEE10hipError_tT1_T2_PT3_SI_jT4_jjP12ihipStream_tbEUlT_E0_NS1_11comp_targetILNS1_3genE10ELNS1_11target_archE1201ELNS1_3gpuE5ELNS1_3repE0EEENS1_52radix_sort_onesweep_histogram_config_static_selectorELNS0_4arch9wavefront6targetE1EEEvSG_.numbered_sgpr, 0
	.set _ZN7rocprim17ROCPRIM_400000_NS6detail17trampoline_kernelINS0_14default_configENS1_35radix_sort_onesweep_config_selectorIssEEZNS1_34radix_sort_onesweep_global_offsetsIS3_Lb0EN6thrust23THRUST_200600_302600_NS6detail15normal_iteratorINS8_10device_ptrIsEEEESD_jNS0_19identity_decomposerEEE10hipError_tT1_T2_PT3_SI_jT4_jjP12ihipStream_tbEUlT_E0_NS1_11comp_targetILNS1_3genE10ELNS1_11target_archE1201ELNS1_3gpuE5ELNS1_3repE0EEENS1_52radix_sort_onesweep_histogram_config_static_selectorELNS0_4arch9wavefront6targetE1EEEvSG_.num_named_barrier, 0
	.set _ZN7rocprim17ROCPRIM_400000_NS6detail17trampoline_kernelINS0_14default_configENS1_35radix_sort_onesweep_config_selectorIssEEZNS1_34radix_sort_onesweep_global_offsetsIS3_Lb0EN6thrust23THRUST_200600_302600_NS6detail15normal_iteratorINS8_10device_ptrIsEEEESD_jNS0_19identity_decomposerEEE10hipError_tT1_T2_PT3_SI_jT4_jjP12ihipStream_tbEUlT_E0_NS1_11comp_targetILNS1_3genE10ELNS1_11target_archE1201ELNS1_3gpuE5ELNS1_3repE0EEENS1_52radix_sort_onesweep_histogram_config_static_selectorELNS0_4arch9wavefront6targetE1EEEvSG_.private_seg_size, 0
	.set _ZN7rocprim17ROCPRIM_400000_NS6detail17trampoline_kernelINS0_14default_configENS1_35radix_sort_onesweep_config_selectorIssEEZNS1_34radix_sort_onesweep_global_offsetsIS3_Lb0EN6thrust23THRUST_200600_302600_NS6detail15normal_iteratorINS8_10device_ptrIsEEEESD_jNS0_19identity_decomposerEEE10hipError_tT1_T2_PT3_SI_jT4_jjP12ihipStream_tbEUlT_E0_NS1_11comp_targetILNS1_3genE10ELNS1_11target_archE1201ELNS1_3gpuE5ELNS1_3repE0EEENS1_52radix_sort_onesweep_histogram_config_static_selectorELNS0_4arch9wavefront6targetE1EEEvSG_.uses_vcc, 0
	.set _ZN7rocprim17ROCPRIM_400000_NS6detail17trampoline_kernelINS0_14default_configENS1_35radix_sort_onesweep_config_selectorIssEEZNS1_34radix_sort_onesweep_global_offsetsIS3_Lb0EN6thrust23THRUST_200600_302600_NS6detail15normal_iteratorINS8_10device_ptrIsEEEESD_jNS0_19identity_decomposerEEE10hipError_tT1_T2_PT3_SI_jT4_jjP12ihipStream_tbEUlT_E0_NS1_11comp_targetILNS1_3genE10ELNS1_11target_archE1201ELNS1_3gpuE5ELNS1_3repE0EEENS1_52radix_sort_onesweep_histogram_config_static_selectorELNS0_4arch9wavefront6targetE1EEEvSG_.uses_flat_scratch, 0
	.set _ZN7rocprim17ROCPRIM_400000_NS6detail17trampoline_kernelINS0_14default_configENS1_35radix_sort_onesweep_config_selectorIssEEZNS1_34radix_sort_onesweep_global_offsetsIS3_Lb0EN6thrust23THRUST_200600_302600_NS6detail15normal_iteratorINS8_10device_ptrIsEEEESD_jNS0_19identity_decomposerEEE10hipError_tT1_T2_PT3_SI_jT4_jjP12ihipStream_tbEUlT_E0_NS1_11comp_targetILNS1_3genE10ELNS1_11target_archE1201ELNS1_3gpuE5ELNS1_3repE0EEENS1_52radix_sort_onesweep_histogram_config_static_selectorELNS0_4arch9wavefront6targetE1EEEvSG_.has_dyn_sized_stack, 0
	.set _ZN7rocprim17ROCPRIM_400000_NS6detail17trampoline_kernelINS0_14default_configENS1_35radix_sort_onesweep_config_selectorIssEEZNS1_34radix_sort_onesweep_global_offsetsIS3_Lb0EN6thrust23THRUST_200600_302600_NS6detail15normal_iteratorINS8_10device_ptrIsEEEESD_jNS0_19identity_decomposerEEE10hipError_tT1_T2_PT3_SI_jT4_jjP12ihipStream_tbEUlT_E0_NS1_11comp_targetILNS1_3genE10ELNS1_11target_archE1201ELNS1_3gpuE5ELNS1_3repE0EEENS1_52radix_sort_onesweep_histogram_config_static_selectorELNS0_4arch9wavefront6targetE1EEEvSG_.has_recursion, 0
	.set _ZN7rocprim17ROCPRIM_400000_NS6detail17trampoline_kernelINS0_14default_configENS1_35radix_sort_onesweep_config_selectorIssEEZNS1_34radix_sort_onesweep_global_offsetsIS3_Lb0EN6thrust23THRUST_200600_302600_NS6detail15normal_iteratorINS8_10device_ptrIsEEEESD_jNS0_19identity_decomposerEEE10hipError_tT1_T2_PT3_SI_jT4_jjP12ihipStream_tbEUlT_E0_NS1_11comp_targetILNS1_3genE10ELNS1_11target_archE1201ELNS1_3gpuE5ELNS1_3repE0EEENS1_52radix_sort_onesweep_histogram_config_static_selectorELNS0_4arch9wavefront6targetE1EEEvSG_.has_indirect_call, 0
	.section	.AMDGPU.csdata,"",@progbits
; Kernel info:
; codeLenInByte = 0
; TotalNumSgprs: 6
; NumVgprs: 0
; NumAgprs: 0
; TotalNumVgprs: 0
; ScratchSize: 0
; MemoryBound: 0
; FloatMode: 240
; IeeeMode: 1
; LDSByteSize: 0 bytes/workgroup (compile time only)
; SGPRBlocks: 0
; VGPRBlocks: 0
; NumSGPRsForWavesPerEU: 6
; NumVGPRsForWavesPerEU: 1
; AccumOffset: 4
; Occupancy: 8
; WaveLimiterHint : 0
; COMPUTE_PGM_RSRC2:SCRATCH_EN: 0
; COMPUTE_PGM_RSRC2:USER_SGPR: 2
; COMPUTE_PGM_RSRC2:TRAP_HANDLER: 0
; COMPUTE_PGM_RSRC2:TGID_X_EN: 1
; COMPUTE_PGM_RSRC2:TGID_Y_EN: 0
; COMPUTE_PGM_RSRC2:TGID_Z_EN: 0
; COMPUTE_PGM_RSRC2:TIDIG_COMP_CNT: 0
; COMPUTE_PGM_RSRC3_GFX90A:ACCUM_OFFSET: 0
; COMPUTE_PGM_RSRC3_GFX90A:TG_SPLIT: 0
	.section	.text._ZN7rocprim17ROCPRIM_400000_NS6detail17trampoline_kernelINS0_14default_configENS1_35radix_sort_onesweep_config_selectorIssEEZNS1_34radix_sort_onesweep_global_offsetsIS3_Lb0EN6thrust23THRUST_200600_302600_NS6detail15normal_iteratorINS8_10device_ptrIsEEEESD_jNS0_19identity_decomposerEEE10hipError_tT1_T2_PT3_SI_jT4_jjP12ihipStream_tbEUlT_E0_NS1_11comp_targetILNS1_3genE9ELNS1_11target_archE1100ELNS1_3gpuE3ELNS1_3repE0EEENS1_52radix_sort_onesweep_histogram_config_static_selectorELNS0_4arch9wavefront6targetE1EEEvSG_,"axG",@progbits,_ZN7rocprim17ROCPRIM_400000_NS6detail17trampoline_kernelINS0_14default_configENS1_35radix_sort_onesweep_config_selectorIssEEZNS1_34radix_sort_onesweep_global_offsetsIS3_Lb0EN6thrust23THRUST_200600_302600_NS6detail15normal_iteratorINS8_10device_ptrIsEEEESD_jNS0_19identity_decomposerEEE10hipError_tT1_T2_PT3_SI_jT4_jjP12ihipStream_tbEUlT_E0_NS1_11comp_targetILNS1_3genE9ELNS1_11target_archE1100ELNS1_3gpuE3ELNS1_3repE0EEENS1_52radix_sort_onesweep_histogram_config_static_selectorELNS0_4arch9wavefront6targetE1EEEvSG_,comdat
	.protected	_ZN7rocprim17ROCPRIM_400000_NS6detail17trampoline_kernelINS0_14default_configENS1_35radix_sort_onesweep_config_selectorIssEEZNS1_34radix_sort_onesweep_global_offsetsIS3_Lb0EN6thrust23THRUST_200600_302600_NS6detail15normal_iteratorINS8_10device_ptrIsEEEESD_jNS0_19identity_decomposerEEE10hipError_tT1_T2_PT3_SI_jT4_jjP12ihipStream_tbEUlT_E0_NS1_11comp_targetILNS1_3genE9ELNS1_11target_archE1100ELNS1_3gpuE3ELNS1_3repE0EEENS1_52radix_sort_onesweep_histogram_config_static_selectorELNS0_4arch9wavefront6targetE1EEEvSG_ ; -- Begin function _ZN7rocprim17ROCPRIM_400000_NS6detail17trampoline_kernelINS0_14default_configENS1_35radix_sort_onesweep_config_selectorIssEEZNS1_34radix_sort_onesweep_global_offsetsIS3_Lb0EN6thrust23THRUST_200600_302600_NS6detail15normal_iteratorINS8_10device_ptrIsEEEESD_jNS0_19identity_decomposerEEE10hipError_tT1_T2_PT3_SI_jT4_jjP12ihipStream_tbEUlT_E0_NS1_11comp_targetILNS1_3genE9ELNS1_11target_archE1100ELNS1_3gpuE3ELNS1_3repE0EEENS1_52radix_sort_onesweep_histogram_config_static_selectorELNS0_4arch9wavefront6targetE1EEEvSG_
	.globl	_ZN7rocprim17ROCPRIM_400000_NS6detail17trampoline_kernelINS0_14default_configENS1_35radix_sort_onesweep_config_selectorIssEEZNS1_34radix_sort_onesweep_global_offsetsIS3_Lb0EN6thrust23THRUST_200600_302600_NS6detail15normal_iteratorINS8_10device_ptrIsEEEESD_jNS0_19identity_decomposerEEE10hipError_tT1_T2_PT3_SI_jT4_jjP12ihipStream_tbEUlT_E0_NS1_11comp_targetILNS1_3genE9ELNS1_11target_archE1100ELNS1_3gpuE3ELNS1_3repE0EEENS1_52radix_sort_onesweep_histogram_config_static_selectorELNS0_4arch9wavefront6targetE1EEEvSG_
	.p2align	8
	.type	_ZN7rocprim17ROCPRIM_400000_NS6detail17trampoline_kernelINS0_14default_configENS1_35radix_sort_onesweep_config_selectorIssEEZNS1_34radix_sort_onesweep_global_offsetsIS3_Lb0EN6thrust23THRUST_200600_302600_NS6detail15normal_iteratorINS8_10device_ptrIsEEEESD_jNS0_19identity_decomposerEEE10hipError_tT1_T2_PT3_SI_jT4_jjP12ihipStream_tbEUlT_E0_NS1_11comp_targetILNS1_3genE9ELNS1_11target_archE1100ELNS1_3gpuE3ELNS1_3repE0EEENS1_52radix_sort_onesweep_histogram_config_static_selectorELNS0_4arch9wavefront6targetE1EEEvSG_,@function
_ZN7rocprim17ROCPRIM_400000_NS6detail17trampoline_kernelINS0_14default_configENS1_35radix_sort_onesweep_config_selectorIssEEZNS1_34radix_sort_onesweep_global_offsetsIS3_Lb0EN6thrust23THRUST_200600_302600_NS6detail15normal_iteratorINS8_10device_ptrIsEEEESD_jNS0_19identity_decomposerEEE10hipError_tT1_T2_PT3_SI_jT4_jjP12ihipStream_tbEUlT_E0_NS1_11comp_targetILNS1_3genE9ELNS1_11target_archE1100ELNS1_3gpuE3ELNS1_3repE0EEENS1_52radix_sort_onesweep_histogram_config_static_selectorELNS0_4arch9wavefront6targetE1EEEvSG_: ; @_ZN7rocprim17ROCPRIM_400000_NS6detail17trampoline_kernelINS0_14default_configENS1_35radix_sort_onesweep_config_selectorIssEEZNS1_34radix_sort_onesweep_global_offsetsIS3_Lb0EN6thrust23THRUST_200600_302600_NS6detail15normal_iteratorINS8_10device_ptrIsEEEESD_jNS0_19identity_decomposerEEE10hipError_tT1_T2_PT3_SI_jT4_jjP12ihipStream_tbEUlT_E0_NS1_11comp_targetILNS1_3genE9ELNS1_11target_archE1100ELNS1_3gpuE3ELNS1_3repE0EEENS1_52radix_sort_onesweep_histogram_config_static_selectorELNS0_4arch9wavefront6targetE1EEEvSG_
; %bb.0:
	.section	.rodata,"a",@progbits
	.p2align	6, 0x0
	.amdhsa_kernel _ZN7rocprim17ROCPRIM_400000_NS6detail17trampoline_kernelINS0_14default_configENS1_35radix_sort_onesweep_config_selectorIssEEZNS1_34radix_sort_onesweep_global_offsetsIS3_Lb0EN6thrust23THRUST_200600_302600_NS6detail15normal_iteratorINS8_10device_ptrIsEEEESD_jNS0_19identity_decomposerEEE10hipError_tT1_T2_PT3_SI_jT4_jjP12ihipStream_tbEUlT_E0_NS1_11comp_targetILNS1_3genE9ELNS1_11target_archE1100ELNS1_3gpuE3ELNS1_3repE0EEENS1_52radix_sort_onesweep_histogram_config_static_selectorELNS0_4arch9wavefront6targetE1EEEvSG_
		.amdhsa_group_segment_fixed_size 0
		.amdhsa_private_segment_fixed_size 0
		.amdhsa_kernarg_size 8
		.amdhsa_user_sgpr_count 2
		.amdhsa_user_sgpr_dispatch_ptr 0
		.amdhsa_user_sgpr_queue_ptr 0
		.amdhsa_user_sgpr_kernarg_segment_ptr 1
		.amdhsa_user_sgpr_dispatch_id 0
		.amdhsa_user_sgpr_kernarg_preload_length 0
		.amdhsa_user_sgpr_kernarg_preload_offset 0
		.amdhsa_user_sgpr_private_segment_size 0
		.amdhsa_uses_dynamic_stack 0
		.amdhsa_enable_private_segment 0
		.amdhsa_system_sgpr_workgroup_id_x 1
		.amdhsa_system_sgpr_workgroup_id_y 0
		.amdhsa_system_sgpr_workgroup_id_z 0
		.amdhsa_system_sgpr_workgroup_info 0
		.amdhsa_system_vgpr_workitem_id 0
		.amdhsa_next_free_vgpr 1
		.amdhsa_next_free_sgpr 0
		.amdhsa_accum_offset 4
		.amdhsa_reserve_vcc 0
		.amdhsa_float_round_mode_32 0
		.amdhsa_float_round_mode_16_64 0
		.amdhsa_float_denorm_mode_32 3
		.amdhsa_float_denorm_mode_16_64 3
		.amdhsa_dx10_clamp 1
		.amdhsa_ieee_mode 1
		.amdhsa_fp16_overflow 0
		.amdhsa_tg_split 0
		.amdhsa_exception_fp_ieee_invalid_op 0
		.amdhsa_exception_fp_denorm_src 0
		.amdhsa_exception_fp_ieee_div_zero 0
		.amdhsa_exception_fp_ieee_overflow 0
		.amdhsa_exception_fp_ieee_underflow 0
		.amdhsa_exception_fp_ieee_inexact 0
		.amdhsa_exception_int_div_zero 0
	.end_amdhsa_kernel
	.section	.text._ZN7rocprim17ROCPRIM_400000_NS6detail17trampoline_kernelINS0_14default_configENS1_35radix_sort_onesweep_config_selectorIssEEZNS1_34radix_sort_onesweep_global_offsetsIS3_Lb0EN6thrust23THRUST_200600_302600_NS6detail15normal_iteratorINS8_10device_ptrIsEEEESD_jNS0_19identity_decomposerEEE10hipError_tT1_T2_PT3_SI_jT4_jjP12ihipStream_tbEUlT_E0_NS1_11comp_targetILNS1_3genE9ELNS1_11target_archE1100ELNS1_3gpuE3ELNS1_3repE0EEENS1_52radix_sort_onesweep_histogram_config_static_selectorELNS0_4arch9wavefront6targetE1EEEvSG_,"axG",@progbits,_ZN7rocprim17ROCPRIM_400000_NS6detail17trampoline_kernelINS0_14default_configENS1_35radix_sort_onesweep_config_selectorIssEEZNS1_34radix_sort_onesweep_global_offsetsIS3_Lb0EN6thrust23THRUST_200600_302600_NS6detail15normal_iteratorINS8_10device_ptrIsEEEESD_jNS0_19identity_decomposerEEE10hipError_tT1_T2_PT3_SI_jT4_jjP12ihipStream_tbEUlT_E0_NS1_11comp_targetILNS1_3genE9ELNS1_11target_archE1100ELNS1_3gpuE3ELNS1_3repE0EEENS1_52radix_sort_onesweep_histogram_config_static_selectorELNS0_4arch9wavefront6targetE1EEEvSG_,comdat
.Lfunc_end1631:
	.size	_ZN7rocprim17ROCPRIM_400000_NS6detail17trampoline_kernelINS0_14default_configENS1_35radix_sort_onesweep_config_selectorIssEEZNS1_34radix_sort_onesweep_global_offsetsIS3_Lb0EN6thrust23THRUST_200600_302600_NS6detail15normal_iteratorINS8_10device_ptrIsEEEESD_jNS0_19identity_decomposerEEE10hipError_tT1_T2_PT3_SI_jT4_jjP12ihipStream_tbEUlT_E0_NS1_11comp_targetILNS1_3genE9ELNS1_11target_archE1100ELNS1_3gpuE3ELNS1_3repE0EEENS1_52radix_sort_onesweep_histogram_config_static_selectorELNS0_4arch9wavefront6targetE1EEEvSG_, .Lfunc_end1631-_ZN7rocprim17ROCPRIM_400000_NS6detail17trampoline_kernelINS0_14default_configENS1_35radix_sort_onesweep_config_selectorIssEEZNS1_34radix_sort_onesweep_global_offsetsIS3_Lb0EN6thrust23THRUST_200600_302600_NS6detail15normal_iteratorINS8_10device_ptrIsEEEESD_jNS0_19identity_decomposerEEE10hipError_tT1_T2_PT3_SI_jT4_jjP12ihipStream_tbEUlT_E0_NS1_11comp_targetILNS1_3genE9ELNS1_11target_archE1100ELNS1_3gpuE3ELNS1_3repE0EEENS1_52radix_sort_onesweep_histogram_config_static_selectorELNS0_4arch9wavefront6targetE1EEEvSG_
                                        ; -- End function
	.set _ZN7rocprim17ROCPRIM_400000_NS6detail17trampoline_kernelINS0_14default_configENS1_35radix_sort_onesweep_config_selectorIssEEZNS1_34radix_sort_onesweep_global_offsetsIS3_Lb0EN6thrust23THRUST_200600_302600_NS6detail15normal_iteratorINS8_10device_ptrIsEEEESD_jNS0_19identity_decomposerEEE10hipError_tT1_T2_PT3_SI_jT4_jjP12ihipStream_tbEUlT_E0_NS1_11comp_targetILNS1_3genE9ELNS1_11target_archE1100ELNS1_3gpuE3ELNS1_3repE0EEENS1_52radix_sort_onesweep_histogram_config_static_selectorELNS0_4arch9wavefront6targetE1EEEvSG_.num_vgpr, 0
	.set _ZN7rocprim17ROCPRIM_400000_NS6detail17trampoline_kernelINS0_14default_configENS1_35radix_sort_onesweep_config_selectorIssEEZNS1_34radix_sort_onesweep_global_offsetsIS3_Lb0EN6thrust23THRUST_200600_302600_NS6detail15normal_iteratorINS8_10device_ptrIsEEEESD_jNS0_19identity_decomposerEEE10hipError_tT1_T2_PT3_SI_jT4_jjP12ihipStream_tbEUlT_E0_NS1_11comp_targetILNS1_3genE9ELNS1_11target_archE1100ELNS1_3gpuE3ELNS1_3repE0EEENS1_52radix_sort_onesweep_histogram_config_static_selectorELNS0_4arch9wavefront6targetE1EEEvSG_.num_agpr, 0
	.set _ZN7rocprim17ROCPRIM_400000_NS6detail17trampoline_kernelINS0_14default_configENS1_35radix_sort_onesweep_config_selectorIssEEZNS1_34radix_sort_onesweep_global_offsetsIS3_Lb0EN6thrust23THRUST_200600_302600_NS6detail15normal_iteratorINS8_10device_ptrIsEEEESD_jNS0_19identity_decomposerEEE10hipError_tT1_T2_PT3_SI_jT4_jjP12ihipStream_tbEUlT_E0_NS1_11comp_targetILNS1_3genE9ELNS1_11target_archE1100ELNS1_3gpuE3ELNS1_3repE0EEENS1_52radix_sort_onesweep_histogram_config_static_selectorELNS0_4arch9wavefront6targetE1EEEvSG_.numbered_sgpr, 0
	.set _ZN7rocprim17ROCPRIM_400000_NS6detail17trampoline_kernelINS0_14default_configENS1_35radix_sort_onesweep_config_selectorIssEEZNS1_34radix_sort_onesweep_global_offsetsIS3_Lb0EN6thrust23THRUST_200600_302600_NS6detail15normal_iteratorINS8_10device_ptrIsEEEESD_jNS0_19identity_decomposerEEE10hipError_tT1_T2_PT3_SI_jT4_jjP12ihipStream_tbEUlT_E0_NS1_11comp_targetILNS1_3genE9ELNS1_11target_archE1100ELNS1_3gpuE3ELNS1_3repE0EEENS1_52radix_sort_onesweep_histogram_config_static_selectorELNS0_4arch9wavefront6targetE1EEEvSG_.num_named_barrier, 0
	.set _ZN7rocprim17ROCPRIM_400000_NS6detail17trampoline_kernelINS0_14default_configENS1_35radix_sort_onesweep_config_selectorIssEEZNS1_34radix_sort_onesweep_global_offsetsIS3_Lb0EN6thrust23THRUST_200600_302600_NS6detail15normal_iteratorINS8_10device_ptrIsEEEESD_jNS0_19identity_decomposerEEE10hipError_tT1_T2_PT3_SI_jT4_jjP12ihipStream_tbEUlT_E0_NS1_11comp_targetILNS1_3genE9ELNS1_11target_archE1100ELNS1_3gpuE3ELNS1_3repE0EEENS1_52radix_sort_onesweep_histogram_config_static_selectorELNS0_4arch9wavefront6targetE1EEEvSG_.private_seg_size, 0
	.set _ZN7rocprim17ROCPRIM_400000_NS6detail17trampoline_kernelINS0_14default_configENS1_35radix_sort_onesweep_config_selectorIssEEZNS1_34radix_sort_onesweep_global_offsetsIS3_Lb0EN6thrust23THRUST_200600_302600_NS6detail15normal_iteratorINS8_10device_ptrIsEEEESD_jNS0_19identity_decomposerEEE10hipError_tT1_T2_PT3_SI_jT4_jjP12ihipStream_tbEUlT_E0_NS1_11comp_targetILNS1_3genE9ELNS1_11target_archE1100ELNS1_3gpuE3ELNS1_3repE0EEENS1_52radix_sort_onesweep_histogram_config_static_selectorELNS0_4arch9wavefront6targetE1EEEvSG_.uses_vcc, 0
	.set _ZN7rocprim17ROCPRIM_400000_NS6detail17trampoline_kernelINS0_14default_configENS1_35radix_sort_onesweep_config_selectorIssEEZNS1_34radix_sort_onesweep_global_offsetsIS3_Lb0EN6thrust23THRUST_200600_302600_NS6detail15normal_iteratorINS8_10device_ptrIsEEEESD_jNS0_19identity_decomposerEEE10hipError_tT1_T2_PT3_SI_jT4_jjP12ihipStream_tbEUlT_E0_NS1_11comp_targetILNS1_3genE9ELNS1_11target_archE1100ELNS1_3gpuE3ELNS1_3repE0EEENS1_52radix_sort_onesweep_histogram_config_static_selectorELNS0_4arch9wavefront6targetE1EEEvSG_.uses_flat_scratch, 0
	.set _ZN7rocprim17ROCPRIM_400000_NS6detail17trampoline_kernelINS0_14default_configENS1_35radix_sort_onesweep_config_selectorIssEEZNS1_34radix_sort_onesweep_global_offsetsIS3_Lb0EN6thrust23THRUST_200600_302600_NS6detail15normal_iteratorINS8_10device_ptrIsEEEESD_jNS0_19identity_decomposerEEE10hipError_tT1_T2_PT3_SI_jT4_jjP12ihipStream_tbEUlT_E0_NS1_11comp_targetILNS1_3genE9ELNS1_11target_archE1100ELNS1_3gpuE3ELNS1_3repE0EEENS1_52radix_sort_onesweep_histogram_config_static_selectorELNS0_4arch9wavefront6targetE1EEEvSG_.has_dyn_sized_stack, 0
	.set _ZN7rocprim17ROCPRIM_400000_NS6detail17trampoline_kernelINS0_14default_configENS1_35radix_sort_onesweep_config_selectorIssEEZNS1_34radix_sort_onesweep_global_offsetsIS3_Lb0EN6thrust23THRUST_200600_302600_NS6detail15normal_iteratorINS8_10device_ptrIsEEEESD_jNS0_19identity_decomposerEEE10hipError_tT1_T2_PT3_SI_jT4_jjP12ihipStream_tbEUlT_E0_NS1_11comp_targetILNS1_3genE9ELNS1_11target_archE1100ELNS1_3gpuE3ELNS1_3repE0EEENS1_52radix_sort_onesweep_histogram_config_static_selectorELNS0_4arch9wavefront6targetE1EEEvSG_.has_recursion, 0
	.set _ZN7rocprim17ROCPRIM_400000_NS6detail17trampoline_kernelINS0_14default_configENS1_35radix_sort_onesweep_config_selectorIssEEZNS1_34radix_sort_onesweep_global_offsetsIS3_Lb0EN6thrust23THRUST_200600_302600_NS6detail15normal_iteratorINS8_10device_ptrIsEEEESD_jNS0_19identity_decomposerEEE10hipError_tT1_T2_PT3_SI_jT4_jjP12ihipStream_tbEUlT_E0_NS1_11comp_targetILNS1_3genE9ELNS1_11target_archE1100ELNS1_3gpuE3ELNS1_3repE0EEENS1_52radix_sort_onesweep_histogram_config_static_selectorELNS0_4arch9wavefront6targetE1EEEvSG_.has_indirect_call, 0
	.section	.AMDGPU.csdata,"",@progbits
; Kernel info:
; codeLenInByte = 0
; TotalNumSgprs: 6
; NumVgprs: 0
; NumAgprs: 0
; TotalNumVgprs: 0
; ScratchSize: 0
; MemoryBound: 0
; FloatMode: 240
; IeeeMode: 1
; LDSByteSize: 0 bytes/workgroup (compile time only)
; SGPRBlocks: 0
; VGPRBlocks: 0
; NumSGPRsForWavesPerEU: 6
; NumVGPRsForWavesPerEU: 1
; AccumOffset: 4
; Occupancy: 8
; WaveLimiterHint : 0
; COMPUTE_PGM_RSRC2:SCRATCH_EN: 0
; COMPUTE_PGM_RSRC2:USER_SGPR: 2
; COMPUTE_PGM_RSRC2:TRAP_HANDLER: 0
; COMPUTE_PGM_RSRC2:TGID_X_EN: 1
; COMPUTE_PGM_RSRC2:TGID_Y_EN: 0
; COMPUTE_PGM_RSRC2:TGID_Z_EN: 0
; COMPUTE_PGM_RSRC2:TIDIG_COMP_CNT: 0
; COMPUTE_PGM_RSRC3_GFX90A:ACCUM_OFFSET: 0
; COMPUTE_PGM_RSRC3_GFX90A:TG_SPLIT: 0
	.section	.text._ZN7rocprim17ROCPRIM_400000_NS6detail17trampoline_kernelINS0_14default_configENS1_35radix_sort_onesweep_config_selectorIssEEZNS1_34radix_sort_onesweep_global_offsetsIS3_Lb0EN6thrust23THRUST_200600_302600_NS6detail15normal_iteratorINS8_10device_ptrIsEEEESD_jNS0_19identity_decomposerEEE10hipError_tT1_T2_PT3_SI_jT4_jjP12ihipStream_tbEUlT_E0_NS1_11comp_targetILNS1_3genE8ELNS1_11target_archE1030ELNS1_3gpuE2ELNS1_3repE0EEENS1_52radix_sort_onesweep_histogram_config_static_selectorELNS0_4arch9wavefront6targetE1EEEvSG_,"axG",@progbits,_ZN7rocprim17ROCPRIM_400000_NS6detail17trampoline_kernelINS0_14default_configENS1_35radix_sort_onesweep_config_selectorIssEEZNS1_34radix_sort_onesweep_global_offsetsIS3_Lb0EN6thrust23THRUST_200600_302600_NS6detail15normal_iteratorINS8_10device_ptrIsEEEESD_jNS0_19identity_decomposerEEE10hipError_tT1_T2_PT3_SI_jT4_jjP12ihipStream_tbEUlT_E0_NS1_11comp_targetILNS1_3genE8ELNS1_11target_archE1030ELNS1_3gpuE2ELNS1_3repE0EEENS1_52radix_sort_onesweep_histogram_config_static_selectorELNS0_4arch9wavefront6targetE1EEEvSG_,comdat
	.protected	_ZN7rocprim17ROCPRIM_400000_NS6detail17trampoline_kernelINS0_14default_configENS1_35radix_sort_onesweep_config_selectorIssEEZNS1_34radix_sort_onesweep_global_offsetsIS3_Lb0EN6thrust23THRUST_200600_302600_NS6detail15normal_iteratorINS8_10device_ptrIsEEEESD_jNS0_19identity_decomposerEEE10hipError_tT1_T2_PT3_SI_jT4_jjP12ihipStream_tbEUlT_E0_NS1_11comp_targetILNS1_3genE8ELNS1_11target_archE1030ELNS1_3gpuE2ELNS1_3repE0EEENS1_52radix_sort_onesweep_histogram_config_static_selectorELNS0_4arch9wavefront6targetE1EEEvSG_ ; -- Begin function _ZN7rocprim17ROCPRIM_400000_NS6detail17trampoline_kernelINS0_14default_configENS1_35radix_sort_onesweep_config_selectorIssEEZNS1_34radix_sort_onesweep_global_offsetsIS3_Lb0EN6thrust23THRUST_200600_302600_NS6detail15normal_iteratorINS8_10device_ptrIsEEEESD_jNS0_19identity_decomposerEEE10hipError_tT1_T2_PT3_SI_jT4_jjP12ihipStream_tbEUlT_E0_NS1_11comp_targetILNS1_3genE8ELNS1_11target_archE1030ELNS1_3gpuE2ELNS1_3repE0EEENS1_52radix_sort_onesweep_histogram_config_static_selectorELNS0_4arch9wavefront6targetE1EEEvSG_
	.globl	_ZN7rocprim17ROCPRIM_400000_NS6detail17trampoline_kernelINS0_14default_configENS1_35radix_sort_onesweep_config_selectorIssEEZNS1_34radix_sort_onesweep_global_offsetsIS3_Lb0EN6thrust23THRUST_200600_302600_NS6detail15normal_iteratorINS8_10device_ptrIsEEEESD_jNS0_19identity_decomposerEEE10hipError_tT1_T2_PT3_SI_jT4_jjP12ihipStream_tbEUlT_E0_NS1_11comp_targetILNS1_3genE8ELNS1_11target_archE1030ELNS1_3gpuE2ELNS1_3repE0EEENS1_52radix_sort_onesweep_histogram_config_static_selectorELNS0_4arch9wavefront6targetE1EEEvSG_
	.p2align	8
	.type	_ZN7rocprim17ROCPRIM_400000_NS6detail17trampoline_kernelINS0_14default_configENS1_35radix_sort_onesweep_config_selectorIssEEZNS1_34radix_sort_onesweep_global_offsetsIS3_Lb0EN6thrust23THRUST_200600_302600_NS6detail15normal_iteratorINS8_10device_ptrIsEEEESD_jNS0_19identity_decomposerEEE10hipError_tT1_T2_PT3_SI_jT4_jjP12ihipStream_tbEUlT_E0_NS1_11comp_targetILNS1_3genE8ELNS1_11target_archE1030ELNS1_3gpuE2ELNS1_3repE0EEENS1_52radix_sort_onesweep_histogram_config_static_selectorELNS0_4arch9wavefront6targetE1EEEvSG_,@function
_ZN7rocprim17ROCPRIM_400000_NS6detail17trampoline_kernelINS0_14default_configENS1_35radix_sort_onesweep_config_selectorIssEEZNS1_34radix_sort_onesweep_global_offsetsIS3_Lb0EN6thrust23THRUST_200600_302600_NS6detail15normal_iteratorINS8_10device_ptrIsEEEESD_jNS0_19identity_decomposerEEE10hipError_tT1_T2_PT3_SI_jT4_jjP12ihipStream_tbEUlT_E0_NS1_11comp_targetILNS1_3genE8ELNS1_11target_archE1030ELNS1_3gpuE2ELNS1_3repE0EEENS1_52radix_sort_onesweep_histogram_config_static_selectorELNS0_4arch9wavefront6targetE1EEEvSG_: ; @_ZN7rocprim17ROCPRIM_400000_NS6detail17trampoline_kernelINS0_14default_configENS1_35radix_sort_onesweep_config_selectorIssEEZNS1_34radix_sort_onesweep_global_offsetsIS3_Lb0EN6thrust23THRUST_200600_302600_NS6detail15normal_iteratorINS8_10device_ptrIsEEEESD_jNS0_19identity_decomposerEEE10hipError_tT1_T2_PT3_SI_jT4_jjP12ihipStream_tbEUlT_E0_NS1_11comp_targetILNS1_3genE8ELNS1_11target_archE1030ELNS1_3gpuE2ELNS1_3repE0EEENS1_52radix_sort_onesweep_histogram_config_static_selectorELNS0_4arch9wavefront6targetE1EEEvSG_
; %bb.0:
	.section	.rodata,"a",@progbits
	.p2align	6, 0x0
	.amdhsa_kernel _ZN7rocprim17ROCPRIM_400000_NS6detail17trampoline_kernelINS0_14default_configENS1_35radix_sort_onesweep_config_selectorIssEEZNS1_34radix_sort_onesweep_global_offsetsIS3_Lb0EN6thrust23THRUST_200600_302600_NS6detail15normal_iteratorINS8_10device_ptrIsEEEESD_jNS0_19identity_decomposerEEE10hipError_tT1_T2_PT3_SI_jT4_jjP12ihipStream_tbEUlT_E0_NS1_11comp_targetILNS1_3genE8ELNS1_11target_archE1030ELNS1_3gpuE2ELNS1_3repE0EEENS1_52radix_sort_onesweep_histogram_config_static_selectorELNS0_4arch9wavefront6targetE1EEEvSG_
		.amdhsa_group_segment_fixed_size 0
		.amdhsa_private_segment_fixed_size 0
		.amdhsa_kernarg_size 8
		.amdhsa_user_sgpr_count 2
		.amdhsa_user_sgpr_dispatch_ptr 0
		.amdhsa_user_sgpr_queue_ptr 0
		.amdhsa_user_sgpr_kernarg_segment_ptr 1
		.amdhsa_user_sgpr_dispatch_id 0
		.amdhsa_user_sgpr_kernarg_preload_length 0
		.amdhsa_user_sgpr_kernarg_preload_offset 0
		.amdhsa_user_sgpr_private_segment_size 0
		.amdhsa_uses_dynamic_stack 0
		.amdhsa_enable_private_segment 0
		.amdhsa_system_sgpr_workgroup_id_x 1
		.amdhsa_system_sgpr_workgroup_id_y 0
		.amdhsa_system_sgpr_workgroup_id_z 0
		.amdhsa_system_sgpr_workgroup_info 0
		.amdhsa_system_vgpr_workitem_id 0
		.amdhsa_next_free_vgpr 1
		.amdhsa_next_free_sgpr 0
		.amdhsa_accum_offset 4
		.amdhsa_reserve_vcc 0
		.amdhsa_float_round_mode_32 0
		.amdhsa_float_round_mode_16_64 0
		.amdhsa_float_denorm_mode_32 3
		.amdhsa_float_denorm_mode_16_64 3
		.amdhsa_dx10_clamp 1
		.amdhsa_ieee_mode 1
		.amdhsa_fp16_overflow 0
		.amdhsa_tg_split 0
		.amdhsa_exception_fp_ieee_invalid_op 0
		.amdhsa_exception_fp_denorm_src 0
		.amdhsa_exception_fp_ieee_div_zero 0
		.amdhsa_exception_fp_ieee_overflow 0
		.amdhsa_exception_fp_ieee_underflow 0
		.amdhsa_exception_fp_ieee_inexact 0
		.amdhsa_exception_int_div_zero 0
	.end_amdhsa_kernel
	.section	.text._ZN7rocprim17ROCPRIM_400000_NS6detail17trampoline_kernelINS0_14default_configENS1_35radix_sort_onesweep_config_selectorIssEEZNS1_34radix_sort_onesweep_global_offsetsIS3_Lb0EN6thrust23THRUST_200600_302600_NS6detail15normal_iteratorINS8_10device_ptrIsEEEESD_jNS0_19identity_decomposerEEE10hipError_tT1_T2_PT3_SI_jT4_jjP12ihipStream_tbEUlT_E0_NS1_11comp_targetILNS1_3genE8ELNS1_11target_archE1030ELNS1_3gpuE2ELNS1_3repE0EEENS1_52radix_sort_onesweep_histogram_config_static_selectorELNS0_4arch9wavefront6targetE1EEEvSG_,"axG",@progbits,_ZN7rocprim17ROCPRIM_400000_NS6detail17trampoline_kernelINS0_14default_configENS1_35radix_sort_onesweep_config_selectorIssEEZNS1_34radix_sort_onesweep_global_offsetsIS3_Lb0EN6thrust23THRUST_200600_302600_NS6detail15normal_iteratorINS8_10device_ptrIsEEEESD_jNS0_19identity_decomposerEEE10hipError_tT1_T2_PT3_SI_jT4_jjP12ihipStream_tbEUlT_E0_NS1_11comp_targetILNS1_3genE8ELNS1_11target_archE1030ELNS1_3gpuE2ELNS1_3repE0EEENS1_52radix_sort_onesweep_histogram_config_static_selectorELNS0_4arch9wavefront6targetE1EEEvSG_,comdat
.Lfunc_end1632:
	.size	_ZN7rocprim17ROCPRIM_400000_NS6detail17trampoline_kernelINS0_14default_configENS1_35radix_sort_onesweep_config_selectorIssEEZNS1_34radix_sort_onesweep_global_offsetsIS3_Lb0EN6thrust23THRUST_200600_302600_NS6detail15normal_iteratorINS8_10device_ptrIsEEEESD_jNS0_19identity_decomposerEEE10hipError_tT1_T2_PT3_SI_jT4_jjP12ihipStream_tbEUlT_E0_NS1_11comp_targetILNS1_3genE8ELNS1_11target_archE1030ELNS1_3gpuE2ELNS1_3repE0EEENS1_52radix_sort_onesweep_histogram_config_static_selectorELNS0_4arch9wavefront6targetE1EEEvSG_, .Lfunc_end1632-_ZN7rocprim17ROCPRIM_400000_NS6detail17trampoline_kernelINS0_14default_configENS1_35radix_sort_onesweep_config_selectorIssEEZNS1_34radix_sort_onesweep_global_offsetsIS3_Lb0EN6thrust23THRUST_200600_302600_NS6detail15normal_iteratorINS8_10device_ptrIsEEEESD_jNS0_19identity_decomposerEEE10hipError_tT1_T2_PT3_SI_jT4_jjP12ihipStream_tbEUlT_E0_NS1_11comp_targetILNS1_3genE8ELNS1_11target_archE1030ELNS1_3gpuE2ELNS1_3repE0EEENS1_52radix_sort_onesweep_histogram_config_static_selectorELNS0_4arch9wavefront6targetE1EEEvSG_
                                        ; -- End function
	.set _ZN7rocprim17ROCPRIM_400000_NS6detail17trampoline_kernelINS0_14default_configENS1_35radix_sort_onesweep_config_selectorIssEEZNS1_34radix_sort_onesweep_global_offsetsIS3_Lb0EN6thrust23THRUST_200600_302600_NS6detail15normal_iteratorINS8_10device_ptrIsEEEESD_jNS0_19identity_decomposerEEE10hipError_tT1_T2_PT3_SI_jT4_jjP12ihipStream_tbEUlT_E0_NS1_11comp_targetILNS1_3genE8ELNS1_11target_archE1030ELNS1_3gpuE2ELNS1_3repE0EEENS1_52radix_sort_onesweep_histogram_config_static_selectorELNS0_4arch9wavefront6targetE1EEEvSG_.num_vgpr, 0
	.set _ZN7rocprim17ROCPRIM_400000_NS6detail17trampoline_kernelINS0_14default_configENS1_35radix_sort_onesweep_config_selectorIssEEZNS1_34radix_sort_onesweep_global_offsetsIS3_Lb0EN6thrust23THRUST_200600_302600_NS6detail15normal_iteratorINS8_10device_ptrIsEEEESD_jNS0_19identity_decomposerEEE10hipError_tT1_T2_PT3_SI_jT4_jjP12ihipStream_tbEUlT_E0_NS1_11comp_targetILNS1_3genE8ELNS1_11target_archE1030ELNS1_3gpuE2ELNS1_3repE0EEENS1_52radix_sort_onesweep_histogram_config_static_selectorELNS0_4arch9wavefront6targetE1EEEvSG_.num_agpr, 0
	.set _ZN7rocprim17ROCPRIM_400000_NS6detail17trampoline_kernelINS0_14default_configENS1_35radix_sort_onesweep_config_selectorIssEEZNS1_34radix_sort_onesweep_global_offsetsIS3_Lb0EN6thrust23THRUST_200600_302600_NS6detail15normal_iteratorINS8_10device_ptrIsEEEESD_jNS0_19identity_decomposerEEE10hipError_tT1_T2_PT3_SI_jT4_jjP12ihipStream_tbEUlT_E0_NS1_11comp_targetILNS1_3genE8ELNS1_11target_archE1030ELNS1_3gpuE2ELNS1_3repE0EEENS1_52radix_sort_onesweep_histogram_config_static_selectorELNS0_4arch9wavefront6targetE1EEEvSG_.numbered_sgpr, 0
	.set _ZN7rocprim17ROCPRIM_400000_NS6detail17trampoline_kernelINS0_14default_configENS1_35radix_sort_onesweep_config_selectorIssEEZNS1_34radix_sort_onesweep_global_offsetsIS3_Lb0EN6thrust23THRUST_200600_302600_NS6detail15normal_iteratorINS8_10device_ptrIsEEEESD_jNS0_19identity_decomposerEEE10hipError_tT1_T2_PT3_SI_jT4_jjP12ihipStream_tbEUlT_E0_NS1_11comp_targetILNS1_3genE8ELNS1_11target_archE1030ELNS1_3gpuE2ELNS1_3repE0EEENS1_52radix_sort_onesweep_histogram_config_static_selectorELNS0_4arch9wavefront6targetE1EEEvSG_.num_named_barrier, 0
	.set _ZN7rocprim17ROCPRIM_400000_NS6detail17trampoline_kernelINS0_14default_configENS1_35radix_sort_onesweep_config_selectorIssEEZNS1_34radix_sort_onesweep_global_offsetsIS3_Lb0EN6thrust23THRUST_200600_302600_NS6detail15normal_iteratorINS8_10device_ptrIsEEEESD_jNS0_19identity_decomposerEEE10hipError_tT1_T2_PT3_SI_jT4_jjP12ihipStream_tbEUlT_E0_NS1_11comp_targetILNS1_3genE8ELNS1_11target_archE1030ELNS1_3gpuE2ELNS1_3repE0EEENS1_52radix_sort_onesweep_histogram_config_static_selectorELNS0_4arch9wavefront6targetE1EEEvSG_.private_seg_size, 0
	.set _ZN7rocprim17ROCPRIM_400000_NS6detail17trampoline_kernelINS0_14default_configENS1_35radix_sort_onesweep_config_selectorIssEEZNS1_34radix_sort_onesweep_global_offsetsIS3_Lb0EN6thrust23THRUST_200600_302600_NS6detail15normal_iteratorINS8_10device_ptrIsEEEESD_jNS0_19identity_decomposerEEE10hipError_tT1_T2_PT3_SI_jT4_jjP12ihipStream_tbEUlT_E0_NS1_11comp_targetILNS1_3genE8ELNS1_11target_archE1030ELNS1_3gpuE2ELNS1_3repE0EEENS1_52radix_sort_onesweep_histogram_config_static_selectorELNS0_4arch9wavefront6targetE1EEEvSG_.uses_vcc, 0
	.set _ZN7rocprim17ROCPRIM_400000_NS6detail17trampoline_kernelINS0_14default_configENS1_35radix_sort_onesweep_config_selectorIssEEZNS1_34radix_sort_onesweep_global_offsetsIS3_Lb0EN6thrust23THRUST_200600_302600_NS6detail15normal_iteratorINS8_10device_ptrIsEEEESD_jNS0_19identity_decomposerEEE10hipError_tT1_T2_PT3_SI_jT4_jjP12ihipStream_tbEUlT_E0_NS1_11comp_targetILNS1_3genE8ELNS1_11target_archE1030ELNS1_3gpuE2ELNS1_3repE0EEENS1_52radix_sort_onesweep_histogram_config_static_selectorELNS0_4arch9wavefront6targetE1EEEvSG_.uses_flat_scratch, 0
	.set _ZN7rocprim17ROCPRIM_400000_NS6detail17trampoline_kernelINS0_14default_configENS1_35radix_sort_onesweep_config_selectorIssEEZNS1_34radix_sort_onesweep_global_offsetsIS3_Lb0EN6thrust23THRUST_200600_302600_NS6detail15normal_iteratorINS8_10device_ptrIsEEEESD_jNS0_19identity_decomposerEEE10hipError_tT1_T2_PT3_SI_jT4_jjP12ihipStream_tbEUlT_E0_NS1_11comp_targetILNS1_3genE8ELNS1_11target_archE1030ELNS1_3gpuE2ELNS1_3repE0EEENS1_52radix_sort_onesweep_histogram_config_static_selectorELNS0_4arch9wavefront6targetE1EEEvSG_.has_dyn_sized_stack, 0
	.set _ZN7rocprim17ROCPRIM_400000_NS6detail17trampoline_kernelINS0_14default_configENS1_35radix_sort_onesweep_config_selectorIssEEZNS1_34radix_sort_onesweep_global_offsetsIS3_Lb0EN6thrust23THRUST_200600_302600_NS6detail15normal_iteratorINS8_10device_ptrIsEEEESD_jNS0_19identity_decomposerEEE10hipError_tT1_T2_PT3_SI_jT4_jjP12ihipStream_tbEUlT_E0_NS1_11comp_targetILNS1_3genE8ELNS1_11target_archE1030ELNS1_3gpuE2ELNS1_3repE0EEENS1_52radix_sort_onesweep_histogram_config_static_selectorELNS0_4arch9wavefront6targetE1EEEvSG_.has_recursion, 0
	.set _ZN7rocprim17ROCPRIM_400000_NS6detail17trampoline_kernelINS0_14default_configENS1_35radix_sort_onesweep_config_selectorIssEEZNS1_34radix_sort_onesweep_global_offsetsIS3_Lb0EN6thrust23THRUST_200600_302600_NS6detail15normal_iteratorINS8_10device_ptrIsEEEESD_jNS0_19identity_decomposerEEE10hipError_tT1_T2_PT3_SI_jT4_jjP12ihipStream_tbEUlT_E0_NS1_11comp_targetILNS1_3genE8ELNS1_11target_archE1030ELNS1_3gpuE2ELNS1_3repE0EEENS1_52radix_sort_onesweep_histogram_config_static_selectorELNS0_4arch9wavefront6targetE1EEEvSG_.has_indirect_call, 0
	.section	.AMDGPU.csdata,"",@progbits
; Kernel info:
; codeLenInByte = 0
; TotalNumSgprs: 6
; NumVgprs: 0
; NumAgprs: 0
; TotalNumVgprs: 0
; ScratchSize: 0
; MemoryBound: 0
; FloatMode: 240
; IeeeMode: 1
; LDSByteSize: 0 bytes/workgroup (compile time only)
; SGPRBlocks: 0
; VGPRBlocks: 0
; NumSGPRsForWavesPerEU: 6
; NumVGPRsForWavesPerEU: 1
; AccumOffset: 4
; Occupancy: 8
; WaveLimiterHint : 0
; COMPUTE_PGM_RSRC2:SCRATCH_EN: 0
; COMPUTE_PGM_RSRC2:USER_SGPR: 2
; COMPUTE_PGM_RSRC2:TRAP_HANDLER: 0
; COMPUTE_PGM_RSRC2:TGID_X_EN: 1
; COMPUTE_PGM_RSRC2:TGID_Y_EN: 0
; COMPUTE_PGM_RSRC2:TGID_Z_EN: 0
; COMPUTE_PGM_RSRC2:TIDIG_COMP_CNT: 0
; COMPUTE_PGM_RSRC3_GFX90A:ACCUM_OFFSET: 0
; COMPUTE_PGM_RSRC3_GFX90A:TG_SPLIT: 0
	.section	.text._ZN7rocprim17ROCPRIM_400000_NS6detail17trampoline_kernelINS0_14default_configENS1_25transform_config_selectorIsLb0EEEZNS1_14transform_implILb0ES3_S5_N6thrust23THRUST_200600_302600_NS6detail15normal_iteratorINS8_10device_ptrIsEEEEPsNS0_8identityIsEEEE10hipError_tT2_T3_mT4_P12ihipStream_tbEUlT_E_NS1_11comp_targetILNS1_3genE0ELNS1_11target_archE4294967295ELNS1_3gpuE0ELNS1_3repE0EEENS1_30default_config_static_selectorELNS0_4arch9wavefront6targetE1EEEvT1_,"axG",@progbits,_ZN7rocprim17ROCPRIM_400000_NS6detail17trampoline_kernelINS0_14default_configENS1_25transform_config_selectorIsLb0EEEZNS1_14transform_implILb0ES3_S5_N6thrust23THRUST_200600_302600_NS6detail15normal_iteratorINS8_10device_ptrIsEEEEPsNS0_8identityIsEEEE10hipError_tT2_T3_mT4_P12ihipStream_tbEUlT_E_NS1_11comp_targetILNS1_3genE0ELNS1_11target_archE4294967295ELNS1_3gpuE0ELNS1_3repE0EEENS1_30default_config_static_selectorELNS0_4arch9wavefront6targetE1EEEvT1_,comdat
	.protected	_ZN7rocprim17ROCPRIM_400000_NS6detail17trampoline_kernelINS0_14default_configENS1_25transform_config_selectorIsLb0EEEZNS1_14transform_implILb0ES3_S5_N6thrust23THRUST_200600_302600_NS6detail15normal_iteratorINS8_10device_ptrIsEEEEPsNS0_8identityIsEEEE10hipError_tT2_T3_mT4_P12ihipStream_tbEUlT_E_NS1_11comp_targetILNS1_3genE0ELNS1_11target_archE4294967295ELNS1_3gpuE0ELNS1_3repE0EEENS1_30default_config_static_selectorELNS0_4arch9wavefront6targetE1EEEvT1_ ; -- Begin function _ZN7rocprim17ROCPRIM_400000_NS6detail17trampoline_kernelINS0_14default_configENS1_25transform_config_selectorIsLb0EEEZNS1_14transform_implILb0ES3_S5_N6thrust23THRUST_200600_302600_NS6detail15normal_iteratorINS8_10device_ptrIsEEEEPsNS0_8identityIsEEEE10hipError_tT2_T3_mT4_P12ihipStream_tbEUlT_E_NS1_11comp_targetILNS1_3genE0ELNS1_11target_archE4294967295ELNS1_3gpuE0ELNS1_3repE0EEENS1_30default_config_static_selectorELNS0_4arch9wavefront6targetE1EEEvT1_
	.globl	_ZN7rocprim17ROCPRIM_400000_NS6detail17trampoline_kernelINS0_14default_configENS1_25transform_config_selectorIsLb0EEEZNS1_14transform_implILb0ES3_S5_N6thrust23THRUST_200600_302600_NS6detail15normal_iteratorINS8_10device_ptrIsEEEEPsNS0_8identityIsEEEE10hipError_tT2_T3_mT4_P12ihipStream_tbEUlT_E_NS1_11comp_targetILNS1_3genE0ELNS1_11target_archE4294967295ELNS1_3gpuE0ELNS1_3repE0EEENS1_30default_config_static_selectorELNS0_4arch9wavefront6targetE1EEEvT1_
	.p2align	8
	.type	_ZN7rocprim17ROCPRIM_400000_NS6detail17trampoline_kernelINS0_14default_configENS1_25transform_config_selectorIsLb0EEEZNS1_14transform_implILb0ES3_S5_N6thrust23THRUST_200600_302600_NS6detail15normal_iteratorINS8_10device_ptrIsEEEEPsNS0_8identityIsEEEE10hipError_tT2_T3_mT4_P12ihipStream_tbEUlT_E_NS1_11comp_targetILNS1_3genE0ELNS1_11target_archE4294967295ELNS1_3gpuE0ELNS1_3repE0EEENS1_30default_config_static_selectorELNS0_4arch9wavefront6targetE1EEEvT1_,@function
_ZN7rocprim17ROCPRIM_400000_NS6detail17trampoline_kernelINS0_14default_configENS1_25transform_config_selectorIsLb0EEEZNS1_14transform_implILb0ES3_S5_N6thrust23THRUST_200600_302600_NS6detail15normal_iteratorINS8_10device_ptrIsEEEEPsNS0_8identityIsEEEE10hipError_tT2_T3_mT4_P12ihipStream_tbEUlT_E_NS1_11comp_targetILNS1_3genE0ELNS1_11target_archE4294967295ELNS1_3gpuE0ELNS1_3repE0EEENS1_30default_config_static_selectorELNS0_4arch9wavefront6targetE1EEEvT1_: ; @_ZN7rocprim17ROCPRIM_400000_NS6detail17trampoline_kernelINS0_14default_configENS1_25transform_config_selectorIsLb0EEEZNS1_14transform_implILb0ES3_S5_N6thrust23THRUST_200600_302600_NS6detail15normal_iteratorINS8_10device_ptrIsEEEEPsNS0_8identityIsEEEE10hipError_tT2_T3_mT4_P12ihipStream_tbEUlT_E_NS1_11comp_targetILNS1_3genE0ELNS1_11target_archE4294967295ELNS1_3gpuE0ELNS1_3repE0EEENS1_30default_config_static_selectorELNS0_4arch9wavefront6targetE1EEEvT1_
; %bb.0:
	s_load_dwordx8 s[4:11], s[0:1], 0x0
	s_load_dword s3, s[0:1], 0x28
	v_lshlrev_b32_e32 v4, 1, v0
	s_waitcnt lgkmcnt(0)
	s_lshl_b64 s[0:1], s[6:7], 1
	s_add_u32 s4, s4, s0
	s_addc_u32 s5, s5, s1
	s_add_u32 s9, s10, s0
	s_addc_u32 s16, s11, s1
	s_lshl_b32 s0, s2, 9
	s_mov_b32 s1, 0
	s_add_i32 s3, s3, -1
	s_lshl_b64 s[12:13], s[0:1], 1
	s_add_u32 s14, s4, s12
	s_addc_u32 s15, s5, s13
	s_cmp_lg_u32 s2, s3
	s_cbranch_scc0 .LBB1633_2
; %bb.1:
	v_mov_b32_e32 v5, 0
	v_lshl_add_u64 v[2:3], s[14:15], 0, v[4:5]
	flat_load_ushort v8, v[2:3]
	flat_load_ushort v9, v[2:3] offset:256
	flat_load_ushort v10, v[2:3] offset:512
	;; [unrolled: 1-line block ×3, first 2 shown]
	s_add_u32 s4, s9, s12
	s_addc_u32 s5, s16, s13
	v_lshl_add_u64 v[6:7], s[4:5], 0, v[4:5]
	s_mov_b64 s[10:11], -1
	s_waitcnt vmcnt(0) lgkmcnt(0)
	global_store_short v4, v8, s[4:5]
	global_store_short v4, v9, s[4:5] offset:256
	global_store_short v4, v10, s[4:5] offset:512
	s_cbranch_execz .LBB1633_3
	s_branch .LBB1633_17
.LBB1633_2:
	s_mov_b64 s[10:11], 0
                                        ; implicit-def: $vgpr1
                                        ; implicit-def: $vgpr6_vgpr7
.LBB1633_3:
	s_sub_i32 s6, s8, s0
	v_mov_b32_e32 v2, 0
	v_cmp_gt_u32_e32 vcc, s6, v0
	v_mov_b32_e32 v3, v2
	s_and_saveexec_b64 s[0:1], vcc
	s_cbranch_execz .LBB1633_5
; %bb.4:
	v_mov_b32_e32 v5, v2
	v_lshl_add_u64 v[6:7], s[14:15], 0, v[4:5]
	flat_load_ushort v1, v[6:7]
	v_mov_b32_e32 v7, v2
	s_waitcnt vmcnt(0) lgkmcnt(0)
	v_and_b32_e32 v6, 0xffff, v1
	v_mov_b64_e32 v[2:3], v[6:7]
.LBB1633_5:
	s_or_b64 exec, exec, s[0:1]
	v_or_b32_e32 v1, 0x80, v0
	v_cmp_gt_u32_e64 s[0:1], s6, v1
	s_and_saveexec_b64 s[2:3], s[0:1]
	s_cbranch_execz .LBB1633_7
; %bb.6:
	v_mov_b32_e32 v5, 0
	v_lshl_add_u64 v[6:7], s[14:15], 0, v[4:5]
	flat_load_ushort v1, v[6:7] offset:256
	s_mov_b32 s4, 0x5040100
	s_waitcnt vmcnt(0) lgkmcnt(0)
	v_perm_b32 v2, v1, v2, s4
.LBB1633_7:
	s_or_b64 exec, exec, s[2:3]
	v_or_b32_e32 v1, 0x100, v0
	v_cmp_gt_u32_e64 s[2:3], s6, v1
	s_and_saveexec_b64 s[4:5], s[2:3]
	s_cbranch_execz .LBB1633_9
; %bb.8:
	v_mov_b32_e32 v5, 0
	v_lshl_add_u64 v[4:5], s[14:15], 0, v[4:5]
	flat_load_ushort v1, v[4:5] offset:512
	s_mov_b32 s7, 0xffff
	s_waitcnt vmcnt(0) lgkmcnt(0)
	v_bfi_b32 v3, s7, v1, v3
.LBB1633_9:
	s_or_b64 exec, exec, s[4:5]
	v_or_b32_e32 v1, 0x180, v0
	v_cmp_gt_u32_e64 s[4:5], s6, v1
	v_cmp_le_u32_e64 s[6:7], s6, v1
	s_and_saveexec_b64 s[18:19], s[6:7]
	s_xor_b64 s[6:7], exec, s[18:19]
	s_andn2_saveexec_b64 s[6:7], s[6:7]
	s_cbranch_execz .LBB1633_11
; %bb.10:
	v_lshlrev_b32_e32 v4, 1, v0
	v_mov_b32_e32 v5, 0
	v_lshl_add_u64 v[4:5], s[14:15], 0, v[4:5]
	flat_load_ushort v1, v[4:5] offset:768
	s_mov_b32 s8, 0x5040100
	s_waitcnt vmcnt(0) lgkmcnt(0)
	v_perm_b32 v3, v1, v3, s8
.LBB1633_11:
	s_or_b64 exec, exec, s[6:7]
	s_add_u32 s6, s9, s12
	v_mov_b32_e32 v5, 0
	s_addc_u32 s7, s16, s13
	v_lshlrev_b32_e32 v4, 1, v0
	v_cndmask_b32_sdwa v1, v5, v2, vcc dst_sel:DWORD dst_unused:UNUSED_PAD src0_sel:DWORD src1_sel:WORD_0
	v_lshl_add_u64 v[6:7], s[6:7], 0, v[4:5]
	s_and_saveexec_b64 s[6:7], vcc
	s_cbranch_execnz .LBB1633_20
; %bb.12:
	s_or_b64 exec, exec, s[6:7]
	v_cndmask_b32_e64 v0, v1, v2, s[0:1]
	s_and_saveexec_b64 s[6:7], s[0:1]
	s_cbranch_execnz .LBB1633_21
.LBB1633_13:
	s_or_b64 exec, exec, s[6:7]
	s_and_saveexec_b64 s[0:1], s[2:3]
	s_cbranch_execnz .LBB1633_22
.LBB1633_14:
	s_or_b64 exec, exec, s[0:1]
                                        ; implicit-def: $vgpr1
	s_and_saveexec_b64 s[0:1], s[4:5]
.LBB1633_15:
	v_cndmask_b32_e64 v0, 0, v3, s[4:5]
	v_lshrrev_b32_e32 v1, 16, v0
	s_or_b64 s[10:11], s[10:11], exec
.LBB1633_16:
	s_or_b64 exec, exec, s[0:1]
.LBB1633_17:
	s_and_saveexec_b64 s[0:1], s[10:11]
	s_cbranch_execnz .LBB1633_19
; %bb.18:
	s_endpgm
.LBB1633_19:
	global_store_short v[6:7], v1, off offset:768
	s_endpgm
.LBB1633_20:
	global_store_short v[6:7], v1, off
	s_or_b64 exec, exec, s[6:7]
	v_cndmask_b32_e64 v0, v1, v2, s[0:1]
	s_and_saveexec_b64 s[6:7], s[0:1]
	s_cbranch_execz .LBB1633_13
.LBB1633_21:
	global_store_short_d16_hi v[6:7], v0, off offset:256
	s_or_b64 exec, exec, s[6:7]
	s_and_saveexec_b64 s[0:1], s[2:3]
	s_cbranch_execz .LBB1633_14
.LBB1633_22:
	v_cndmask_b32_e64 v0, 0, v3, s[2:3]
	global_store_short v[6:7], v0, off offset:512
	s_or_b64 exec, exec, s[0:1]
                                        ; implicit-def: $vgpr1
	s_and_saveexec_b64 s[0:1], s[4:5]
	s_cbranch_execnz .LBB1633_15
	s_branch .LBB1633_16
	.section	.rodata,"a",@progbits
	.p2align	6, 0x0
	.amdhsa_kernel _ZN7rocprim17ROCPRIM_400000_NS6detail17trampoline_kernelINS0_14default_configENS1_25transform_config_selectorIsLb0EEEZNS1_14transform_implILb0ES3_S5_N6thrust23THRUST_200600_302600_NS6detail15normal_iteratorINS8_10device_ptrIsEEEEPsNS0_8identityIsEEEE10hipError_tT2_T3_mT4_P12ihipStream_tbEUlT_E_NS1_11comp_targetILNS1_3genE0ELNS1_11target_archE4294967295ELNS1_3gpuE0ELNS1_3repE0EEENS1_30default_config_static_selectorELNS0_4arch9wavefront6targetE1EEEvT1_
		.amdhsa_group_segment_fixed_size 0
		.amdhsa_private_segment_fixed_size 0
		.amdhsa_kernarg_size 296
		.amdhsa_user_sgpr_count 2
		.amdhsa_user_sgpr_dispatch_ptr 0
		.amdhsa_user_sgpr_queue_ptr 0
		.amdhsa_user_sgpr_kernarg_segment_ptr 1
		.amdhsa_user_sgpr_dispatch_id 0
		.amdhsa_user_sgpr_kernarg_preload_length 0
		.amdhsa_user_sgpr_kernarg_preload_offset 0
		.amdhsa_user_sgpr_private_segment_size 0
		.amdhsa_uses_dynamic_stack 0
		.amdhsa_enable_private_segment 0
		.amdhsa_system_sgpr_workgroup_id_x 1
		.amdhsa_system_sgpr_workgroup_id_y 0
		.amdhsa_system_sgpr_workgroup_id_z 0
		.amdhsa_system_sgpr_workgroup_info 0
		.amdhsa_system_vgpr_workitem_id 0
		.amdhsa_next_free_vgpr 11
		.amdhsa_next_free_sgpr 20
		.amdhsa_accum_offset 12
		.amdhsa_reserve_vcc 1
		.amdhsa_float_round_mode_32 0
		.amdhsa_float_round_mode_16_64 0
		.amdhsa_float_denorm_mode_32 3
		.amdhsa_float_denorm_mode_16_64 3
		.amdhsa_dx10_clamp 1
		.amdhsa_ieee_mode 1
		.amdhsa_fp16_overflow 0
		.amdhsa_tg_split 0
		.amdhsa_exception_fp_ieee_invalid_op 0
		.amdhsa_exception_fp_denorm_src 0
		.amdhsa_exception_fp_ieee_div_zero 0
		.amdhsa_exception_fp_ieee_overflow 0
		.amdhsa_exception_fp_ieee_underflow 0
		.amdhsa_exception_fp_ieee_inexact 0
		.amdhsa_exception_int_div_zero 0
	.end_amdhsa_kernel
	.section	.text._ZN7rocprim17ROCPRIM_400000_NS6detail17trampoline_kernelINS0_14default_configENS1_25transform_config_selectorIsLb0EEEZNS1_14transform_implILb0ES3_S5_N6thrust23THRUST_200600_302600_NS6detail15normal_iteratorINS8_10device_ptrIsEEEEPsNS0_8identityIsEEEE10hipError_tT2_T3_mT4_P12ihipStream_tbEUlT_E_NS1_11comp_targetILNS1_3genE0ELNS1_11target_archE4294967295ELNS1_3gpuE0ELNS1_3repE0EEENS1_30default_config_static_selectorELNS0_4arch9wavefront6targetE1EEEvT1_,"axG",@progbits,_ZN7rocprim17ROCPRIM_400000_NS6detail17trampoline_kernelINS0_14default_configENS1_25transform_config_selectorIsLb0EEEZNS1_14transform_implILb0ES3_S5_N6thrust23THRUST_200600_302600_NS6detail15normal_iteratorINS8_10device_ptrIsEEEEPsNS0_8identityIsEEEE10hipError_tT2_T3_mT4_P12ihipStream_tbEUlT_E_NS1_11comp_targetILNS1_3genE0ELNS1_11target_archE4294967295ELNS1_3gpuE0ELNS1_3repE0EEENS1_30default_config_static_selectorELNS0_4arch9wavefront6targetE1EEEvT1_,comdat
.Lfunc_end1633:
	.size	_ZN7rocprim17ROCPRIM_400000_NS6detail17trampoline_kernelINS0_14default_configENS1_25transform_config_selectorIsLb0EEEZNS1_14transform_implILb0ES3_S5_N6thrust23THRUST_200600_302600_NS6detail15normal_iteratorINS8_10device_ptrIsEEEEPsNS0_8identityIsEEEE10hipError_tT2_T3_mT4_P12ihipStream_tbEUlT_E_NS1_11comp_targetILNS1_3genE0ELNS1_11target_archE4294967295ELNS1_3gpuE0ELNS1_3repE0EEENS1_30default_config_static_selectorELNS0_4arch9wavefront6targetE1EEEvT1_, .Lfunc_end1633-_ZN7rocprim17ROCPRIM_400000_NS6detail17trampoline_kernelINS0_14default_configENS1_25transform_config_selectorIsLb0EEEZNS1_14transform_implILb0ES3_S5_N6thrust23THRUST_200600_302600_NS6detail15normal_iteratorINS8_10device_ptrIsEEEEPsNS0_8identityIsEEEE10hipError_tT2_T3_mT4_P12ihipStream_tbEUlT_E_NS1_11comp_targetILNS1_3genE0ELNS1_11target_archE4294967295ELNS1_3gpuE0ELNS1_3repE0EEENS1_30default_config_static_selectorELNS0_4arch9wavefront6targetE1EEEvT1_
                                        ; -- End function
	.set _ZN7rocprim17ROCPRIM_400000_NS6detail17trampoline_kernelINS0_14default_configENS1_25transform_config_selectorIsLb0EEEZNS1_14transform_implILb0ES3_S5_N6thrust23THRUST_200600_302600_NS6detail15normal_iteratorINS8_10device_ptrIsEEEEPsNS0_8identityIsEEEE10hipError_tT2_T3_mT4_P12ihipStream_tbEUlT_E_NS1_11comp_targetILNS1_3genE0ELNS1_11target_archE4294967295ELNS1_3gpuE0ELNS1_3repE0EEENS1_30default_config_static_selectorELNS0_4arch9wavefront6targetE1EEEvT1_.num_vgpr, 11
	.set _ZN7rocprim17ROCPRIM_400000_NS6detail17trampoline_kernelINS0_14default_configENS1_25transform_config_selectorIsLb0EEEZNS1_14transform_implILb0ES3_S5_N6thrust23THRUST_200600_302600_NS6detail15normal_iteratorINS8_10device_ptrIsEEEEPsNS0_8identityIsEEEE10hipError_tT2_T3_mT4_P12ihipStream_tbEUlT_E_NS1_11comp_targetILNS1_3genE0ELNS1_11target_archE4294967295ELNS1_3gpuE0ELNS1_3repE0EEENS1_30default_config_static_selectorELNS0_4arch9wavefront6targetE1EEEvT1_.num_agpr, 0
	.set _ZN7rocprim17ROCPRIM_400000_NS6detail17trampoline_kernelINS0_14default_configENS1_25transform_config_selectorIsLb0EEEZNS1_14transform_implILb0ES3_S5_N6thrust23THRUST_200600_302600_NS6detail15normal_iteratorINS8_10device_ptrIsEEEEPsNS0_8identityIsEEEE10hipError_tT2_T3_mT4_P12ihipStream_tbEUlT_E_NS1_11comp_targetILNS1_3genE0ELNS1_11target_archE4294967295ELNS1_3gpuE0ELNS1_3repE0EEENS1_30default_config_static_selectorELNS0_4arch9wavefront6targetE1EEEvT1_.numbered_sgpr, 20
	.set _ZN7rocprim17ROCPRIM_400000_NS6detail17trampoline_kernelINS0_14default_configENS1_25transform_config_selectorIsLb0EEEZNS1_14transform_implILb0ES3_S5_N6thrust23THRUST_200600_302600_NS6detail15normal_iteratorINS8_10device_ptrIsEEEEPsNS0_8identityIsEEEE10hipError_tT2_T3_mT4_P12ihipStream_tbEUlT_E_NS1_11comp_targetILNS1_3genE0ELNS1_11target_archE4294967295ELNS1_3gpuE0ELNS1_3repE0EEENS1_30default_config_static_selectorELNS0_4arch9wavefront6targetE1EEEvT1_.num_named_barrier, 0
	.set _ZN7rocprim17ROCPRIM_400000_NS6detail17trampoline_kernelINS0_14default_configENS1_25transform_config_selectorIsLb0EEEZNS1_14transform_implILb0ES3_S5_N6thrust23THRUST_200600_302600_NS6detail15normal_iteratorINS8_10device_ptrIsEEEEPsNS0_8identityIsEEEE10hipError_tT2_T3_mT4_P12ihipStream_tbEUlT_E_NS1_11comp_targetILNS1_3genE0ELNS1_11target_archE4294967295ELNS1_3gpuE0ELNS1_3repE0EEENS1_30default_config_static_selectorELNS0_4arch9wavefront6targetE1EEEvT1_.private_seg_size, 0
	.set _ZN7rocprim17ROCPRIM_400000_NS6detail17trampoline_kernelINS0_14default_configENS1_25transform_config_selectorIsLb0EEEZNS1_14transform_implILb0ES3_S5_N6thrust23THRUST_200600_302600_NS6detail15normal_iteratorINS8_10device_ptrIsEEEEPsNS0_8identityIsEEEE10hipError_tT2_T3_mT4_P12ihipStream_tbEUlT_E_NS1_11comp_targetILNS1_3genE0ELNS1_11target_archE4294967295ELNS1_3gpuE0ELNS1_3repE0EEENS1_30default_config_static_selectorELNS0_4arch9wavefront6targetE1EEEvT1_.uses_vcc, 1
	.set _ZN7rocprim17ROCPRIM_400000_NS6detail17trampoline_kernelINS0_14default_configENS1_25transform_config_selectorIsLb0EEEZNS1_14transform_implILb0ES3_S5_N6thrust23THRUST_200600_302600_NS6detail15normal_iteratorINS8_10device_ptrIsEEEEPsNS0_8identityIsEEEE10hipError_tT2_T3_mT4_P12ihipStream_tbEUlT_E_NS1_11comp_targetILNS1_3genE0ELNS1_11target_archE4294967295ELNS1_3gpuE0ELNS1_3repE0EEENS1_30default_config_static_selectorELNS0_4arch9wavefront6targetE1EEEvT1_.uses_flat_scratch, 0
	.set _ZN7rocprim17ROCPRIM_400000_NS6detail17trampoline_kernelINS0_14default_configENS1_25transform_config_selectorIsLb0EEEZNS1_14transform_implILb0ES3_S5_N6thrust23THRUST_200600_302600_NS6detail15normal_iteratorINS8_10device_ptrIsEEEEPsNS0_8identityIsEEEE10hipError_tT2_T3_mT4_P12ihipStream_tbEUlT_E_NS1_11comp_targetILNS1_3genE0ELNS1_11target_archE4294967295ELNS1_3gpuE0ELNS1_3repE0EEENS1_30default_config_static_selectorELNS0_4arch9wavefront6targetE1EEEvT1_.has_dyn_sized_stack, 0
	.set _ZN7rocprim17ROCPRIM_400000_NS6detail17trampoline_kernelINS0_14default_configENS1_25transform_config_selectorIsLb0EEEZNS1_14transform_implILb0ES3_S5_N6thrust23THRUST_200600_302600_NS6detail15normal_iteratorINS8_10device_ptrIsEEEEPsNS0_8identityIsEEEE10hipError_tT2_T3_mT4_P12ihipStream_tbEUlT_E_NS1_11comp_targetILNS1_3genE0ELNS1_11target_archE4294967295ELNS1_3gpuE0ELNS1_3repE0EEENS1_30default_config_static_selectorELNS0_4arch9wavefront6targetE1EEEvT1_.has_recursion, 0
	.set _ZN7rocprim17ROCPRIM_400000_NS6detail17trampoline_kernelINS0_14default_configENS1_25transform_config_selectorIsLb0EEEZNS1_14transform_implILb0ES3_S5_N6thrust23THRUST_200600_302600_NS6detail15normal_iteratorINS8_10device_ptrIsEEEEPsNS0_8identityIsEEEE10hipError_tT2_T3_mT4_P12ihipStream_tbEUlT_E_NS1_11comp_targetILNS1_3genE0ELNS1_11target_archE4294967295ELNS1_3gpuE0ELNS1_3repE0EEENS1_30default_config_static_selectorELNS0_4arch9wavefront6targetE1EEEvT1_.has_indirect_call, 0
	.section	.AMDGPU.csdata,"",@progbits
; Kernel info:
; codeLenInByte = 676
; TotalNumSgprs: 26
; NumVgprs: 11
; NumAgprs: 0
; TotalNumVgprs: 11
; ScratchSize: 0
; MemoryBound: 0
; FloatMode: 240
; IeeeMode: 1
; LDSByteSize: 0 bytes/workgroup (compile time only)
; SGPRBlocks: 3
; VGPRBlocks: 1
; NumSGPRsForWavesPerEU: 26
; NumVGPRsForWavesPerEU: 11
; AccumOffset: 12
; Occupancy: 8
; WaveLimiterHint : 1
; COMPUTE_PGM_RSRC2:SCRATCH_EN: 0
; COMPUTE_PGM_RSRC2:USER_SGPR: 2
; COMPUTE_PGM_RSRC2:TRAP_HANDLER: 0
; COMPUTE_PGM_RSRC2:TGID_X_EN: 1
; COMPUTE_PGM_RSRC2:TGID_Y_EN: 0
; COMPUTE_PGM_RSRC2:TGID_Z_EN: 0
; COMPUTE_PGM_RSRC2:TIDIG_COMP_CNT: 0
; COMPUTE_PGM_RSRC3_GFX90A:ACCUM_OFFSET: 2
; COMPUTE_PGM_RSRC3_GFX90A:TG_SPLIT: 0
	.section	.text._ZN7rocprim17ROCPRIM_400000_NS6detail17trampoline_kernelINS0_14default_configENS1_25transform_config_selectorIsLb0EEEZNS1_14transform_implILb0ES3_S5_N6thrust23THRUST_200600_302600_NS6detail15normal_iteratorINS8_10device_ptrIsEEEEPsNS0_8identityIsEEEE10hipError_tT2_T3_mT4_P12ihipStream_tbEUlT_E_NS1_11comp_targetILNS1_3genE5ELNS1_11target_archE942ELNS1_3gpuE9ELNS1_3repE0EEENS1_30default_config_static_selectorELNS0_4arch9wavefront6targetE1EEEvT1_,"axG",@progbits,_ZN7rocprim17ROCPRIM_400000_NS6detail17trampoline_kernelINS0_14default_configENS1_25transform_config_selectorIsLb0EEEZNS1_14transform_implILb0ES3_S5_N6thrust23THRUST_200600_302600_NS6detail15normal_iteratorINS8_10device_ptrIsEEEEPsNS0_8identityIsEEEE10hipError_tT2_T3_mT4_P12ihipStream_tbEUlT_E_NS1_11comp_targetILNS1_3genE5ELNS1_11target_archE942ELNS1_3gpuE9ELNS1_3repE0EEENS1_30default_config_static_selectorELNS0_4arch9wavefront6targetE1EEEvT1_,comdat
	.protected	_ZN7rocprim17ROCPRIM_400000_NS6detail17trampoline_kernelINS0_14default_configENS1_25transform_config_selectorIsLb0EEEZNS1_14transform_implILb0ES3_S5_N6thrust23THRUST_200600_302600_NS6detail15normal_iteratorINS8_10device_ptrIsEEEEPsNS0_8identityIsEEEE10hipError_tT2_T3_mT4_P12ihipStream_tbEUlT_E_NS1_11comp_targetILNS1_3genE5ELNS1_11target_archE942ELNS1_3gpuE9ELNS1_3repE0EEENS1_30default_config_static_selectorELNS0_4arch9wavefront6targetE1EEEvT1_ ; -- Begin function _ZN7rocprim17ROCPRIM_400000_NS6detail17trampoline_kernelINS0_14default_configENS1_25transform_config_selectorIsLb0EEEZNS1_14transform_implILb0ES3_S5_N6thrust23THRUST_200600_302600_NS6detail15normal_iteratorINS8_10device_ptrIsEEEEPsNS0_8identityIsEEEE10hipError_tT2_T3_mT4_P12ihipStream_tbEUlT_E_NS1_11comp_targetILNS1_3genE5ELNS1_11target_archE942ELNS1_3gpuE9ELNS1_3repE0EEENS1_30default_config_static_selectorELNS0_4arch9wavefront6targetE1EEEvT1_
	.globl	_ZN7rocprim17ROCPRIM_400000_NS6detail17trampoline_kernelINS0_14default_configENS1_25transform_config_selectorIsLb0EEEZNS1_14transform_implILb0ES3_S5_N6thrust23THRUST_200600_302600_NS6detail15normal_iteratorINS8_10device_ptrIsEEEEPsNS0_8identityIsEEEE10hipError_tT2_T3_mT4_P12ihipStream_tbEUlT_E_NS1_11comp_targetILNS1_3genE5ELNS1_11target_archE942ELNS1_3gpuE9ELNS1_3repE0EEENS1_30default_config_static_selectorELNS0_4arch9wavefront6targetE1EEEvT1_
	.p2align	8
	.type	_ZN7rocprim17ROCPRIM_400000_NS6detail17trampoline_kernelINS0_14default_configENS1_25transform_config_selectorIsLb0EEEZNS1_14transform_implILb0ES3_S5_N6thrust23THRUST_200600_302600_NS6detail15normal_iteratorINS8_10device_ptrIsEEEEPsNS0_8identityIsEEEE10hipError_tT2_T3_mT4_P12ihipStream_tbEUlT_E_NS1_11comp_targetILNS1_3genE5ELNS1_11target_archE942ELNS1_3gpuE9ELNS1_3repE0EEENS1_30default_config_static_selectorELNS0_4arch9wavefront6targetE1EEEvT1_,@function
_ZN7rocprim17ROCPRIM_400000_NS6detail17trampoline_kernelINS0_14default_configENS1_25transform_config_selectorIsLb0EEEZNS1_14transform_implILb0ES3_S5_N6thrust23THRUST_200600_302600_NS6detail15normal_iteratorINS8_10device_ptrIsEEEEPsNS0_8identityIsEEEE10hipError_tT2_T3_mT4_P12ihipStream_tbEUlT_E_NS1_11comp_targetILNS1_3genE5ELNS1_11target_archE942ELNS1_3gpuE9ELNS1_3repE0EEENS1_30default_config_static_selectorELNS0_4arch9wavefront6targetE1EEEvT1_: ; @_ZN7rocprim17ROCPRIM_400000_NS6detail17trampoline_kernelINS0_14default_configENS1_25transform_config_selectorIsLb0EEEZNS1_14transform_implILb0ES3_S5_N6thrust23THRUST_200600_302600_NS6detail15normal_iteratorINS8_10device_ptrIsEEEEPsNS0_8identityIsEEEE10hipError_tT2_T3_mT4_P12ihipStream_tbEUlT_E_NS1_11comp_targetILNS1_3genE5ELNS1_11target_archE942ELNS1_3gpuE9ELNS1_3repE0EEENS1_30default_config_static_selectorELNS0_4arch9wavefront6targetE1EEEvT1_
; %bb.0:
	.section	.rodata,"a",@progbits
	.p2align	6, 0x0
	.amdhsa_kernel _ZN7rocprim17ROCPRIM_400000_NS6detail17trampoline_kernelINS0_14default_configENS1_25transform_config_selectorIsLb0EEEZNS1_14transform_implILb0ES3_S5_N6thrust23THRUST_200600_302600_NS6detail15normal_iteratorINS8_10device_ptrIsEEEEPsNS0_8identityIsEEEE10hipError_tT2_T3_mT4_P12ihipStream_tbEUlT_E_NS1_11comp_targetILNS1_3genE5ELNS1_11target_archE942ELNS1_3gpuE9ELNS1_3repE0EEENS1_30default_config_static_selectorELNS0_4arch9wavefront6targetE1EEEvT1_
		.amdhsa_group_segment_fixed_size 0
		.amdhsa_private_segment_fixed_size 0
		.amdhsa_kernarg_size 40
		.amdhsa_user_sgpr_count 2
		.amdhsa_user_sgpr_dispatch_ptr 0
		.amdhsa_user_sgpr_queue_ptr 0
		.amdhsa_user_sgpr_kernarg_segment_ptr 1
		.amdhsa_user_sgpr_dispatch_id 0
		.amdhsa_user_sgpr_kernarg_preload_length 0
		.amdhsa_user_sgpr_kernarg_preload_offset 0
		.amdhsa_user_sgpr_private_segment_size 0
		.amdhsa_uses_dynamic_stack 0
		.amdhsa_enable_private_segment 0
		.amdhsa_system_sgpr_workgroup_id_x 1
		.amdhsa_system_sgpr_workgroup_id_y 0
		.amdhsa_system_sgpr_workgroup_id_z 0
		.amdhsa_system_sgpr_workgroup_info 0
		.amdhsa_system_vgpr_workitem_id 0
		.amdhsa_next_free_vgpr 1
		.amdhsa_next_free_sgpr 0
		.amdhsa_accum_offset 4
		.amdhsa_reserve_vcc 0
		.amdhsa_float_round_mode_32 0
		.amdhsa_float_round_mode_16_64 0
		.amdhsa_float_denorm_mode_32 3
		.amdhsa_float_denorm_mode_16_64 3
		.amdhsa_dx10_clamp 1
		.amdhsa_ieee_mode 1
		.amdhsa_fp16_overflow 0
		.amdhsa_tg_split 0
		.amdhsa_exception_fp_ieee_invalid_op 0
		.amdhsa_exception_fp_denorm_src 0
		.amdhsa_exception_fp_ieee_div_zero 0
		.amdhsa_exception_fp_ieee_overflow 0
		.amdhsa_exception_fp_ieee_underflow 0
		.amdhsa_exception_fp_ieee_inexact 0
		.amdhsa_exception_int_div_zero 0
	.end_amdhsa_kernel
	.section	.text._ZN7rocprim17ROCPRIM_400000_NS6detail17trampoline_kernelINS0_14default_configENS1_25transform_config_selectorIsLb0EEEZNS1_14transform_implILb0ES3_S5_N6thrust23THRUST_200600_302600_NS6detail15normal_iteratorINS8_10device_ptrIsEEEEPsNS0_8identityIsEEEE10hipError_tT2_T3_mT4_P12ihipStream_tbEUlT_E_NS1_11comp_targetILNS1_3genE5ELNS1_11target_archE942ELNS1_3gpuE9ELNS1_3repE0EEENS1_30default_config_static_selectorELNS0_4arch9wavefront6targetE1EEEvT1_,"axG",@progbits,_ZN7rocprim17ROCPRIM_400000_NS6detail17trampoline_kernelINS0_14default_configENS1_25transform_config_selectorIsLb0EEEZNS1_14transform_implILb0ES3_S5_N6thrust23THRUST_200600_302600_NS6detail15normal_iteratorINS8_10device_ptrIsEEEEPsNS0_8identityIsEEEE10hipError_tT2_T3_mT4_P12ihipStream_tbEUlT_E_NS1_11comp_targetILNS1_3genE5ELNS1_11target_archE942ELNS1_3gpuE9ELNS1_3repE0EEENS1_30default_config_static_selectorELNS0_4arch9wavefront6targetE1EEEvT1_,comdat
.Lfunc_end1634:
	.size	_ZN7rocprim17ROCPRIM_400000_NS6detail17trampoline_kernelINS0_14default_configENS1_25transform_config_selectorIsLb0EEEZNS1_14transform_implILb0ES3_S5_N6thrust23THRUST_200600_302600_NS6detail15normal_iteratorINS8_10device_ptrIsEEEEPsNS0_8identityIsEEEE10hipError_tT2_T3_mT4_P12ihipStream_tbEUlT_E_NS1_11comp_targetILNS1_3genE5ELNS1_11target_archE942ELNS1_3gpuE9ELNS1_3repE0EEENS1_30default_config_static_selectorELNS0_4arch9wavefront6targetE1EEEvT1_, .Lfunc_end1634-_ZN7rocprim17ROCPRIM_400000_NS6detail17trampoline_kernelINS0_14default_configENS1_25transform_config_selectorIsLb0EEEZNS1_14transform_implILb0ES3_S5_N6thrust23THRUST_200600_302600_NS6detail15normal_iteratorINS8_10device_ptrIsEEEEPsNS0_8identityIsEEEE10hipError_tT2_T3_mT4_P12ihipStream_tbEUlT_E_NS1_11comp_targetILNS1_3genE5ELNS1_11target_archE942ELNS1_3gpuE9ELNS1_3repE0EEENS1_30default_config_static_selectorELNS0_4arch9wavefront6targetE1EEEvT1_
                                        ; -- End function
	.set _ZN7rocprim17ROCPRIM_400000_NS6detail17trampoline_kernelINS0_14default_configENS1_25transform_config_selectorIsLb0EEEZNS1_14transform_implILb0ES3_S5_N6thrust23THRUST_200600_302600_NS6detail15normal_iteratorINS8_10device_ptrIsEEEEPsNS0_8identityIsEEEE10hipError_tT2_T3_mT4_P12ihipStream_tbEUlT_E_NS1_11comp_targetILNS1_3genE5ELNS1_11target_archE942ELNS1_3gpuE9ELNS1_3repE0EEENS1_30default_config_static_selectorELNS0_4arch9wavefront6targetE1EEEvT1_.num_vgpr, 0
	.set _ZN7rocprim17ROCPRIM_400000_NS6detail17trampoline_kernelINS0_14default_configENS1_25transform_config_selectorIsLb0EEEZNS1_14transform_implILb0ES3_S5_N6thrust23THRUST_200600_302600_NS6detail15normal_iteratorINS8_10device_ptrIsEEEEPsNS0_8identityIsEEEE10hipError_tT2_T3_mT4_P12ihipStream_tbEUlT_E_NS1_11comp_targetILNS1_3genE5ELNS1_11target_archE942ELNS1_3gpuE9ELNS1_3repE0EEENS1_30default_config_static_selectorELNS0_4arch9wavefront6targetE1EEEvT1_.num_agpr, 0
	.set _ZN7rocprim17ROCPRIM_400000_NS6detail17trampoline_kernelINS0_14default_configENS1_25transform_config_selectorIsLb0EEEZNS1_14transform_implILb0ES3_S5_N6thrust23THRUST_200600_302600_NS6detail15normal_iteratorINS8_10device_ptrIsEEEEPsNS0_8identityIsEEEE10hipError_tT2_T3_mT4_P12ihipStream_tbEUlT_E_NS1_11comp_targetILNS1_3genE5ELNS1_11target_archE942ELNS1_3gpuE9ELNS1_3repE0EEENS1_30default_config_static_selectorELNS0_4arch9wavefront6targetE1EEEvT1_.numbered_sgpr, 0
	.set _ZN7rocprim17ROCPRIM_400000_NS6detail17trampoline_kernelINS0_14default_configENS1_25transform_config_selectorIsLb0EEEZNS1_14transform_implILb0ES3_S5_N6thrust23THRUST_200600_302600_NS6detail15normal_iteratorINS8_10device_ptrIsEEEEPsNS0_8identityIsEEEE10hipError_tT2_T3_mT4_P12ihipStream_tbEUlT_E_NS1_11comp_targetILNS1_3genE5ELNS1_11target_archE942ELNS1_3gpuE9ELNS1_3repE0EEENS1_30default_config_static_selectorELNS0_4arch9wavefront6targetE1EEEvT1_.num_named_barrier, 0
	.set _ZN7rocprim17ROCPRIM_400000_NS6detail17trampoline_kernelINS0_14default_configENS1_25transform_config_selectorIsLb0EEEZNS1_14transform_implILb0ES3_S5_N6thrust23THRUST_200600_302600_NS6detail15normal_iteratorINS8_10device_ptrIsEEEEPsNS0_8identityIsEEEE10hipError_tT2_T3_mT4_P12ihipStream_tbEUlT_E_NS1_11comp_targetILNS1_3genE5ELNS1_11target_archE942ELNS1_3gpuE9ELNS1_3repE0EEENS1_30default_config_static_selectorELNS0_4arch9wavefront6targetE1EEEvT1_.private_seg_size, 0
	.set _ZN7rocprim17ROCPRIM_400000_NS6detail17trampoline_kernelINS0_14default_configENS1_25transform_config_selectorIsLb0EEEZNS1_14transform_implILb0ES3_S5_N6thrust23THRUST_200600_302600_NS6detail15normal_iteratorINS8_10device_ptrIsEEEEPsNS0_8identityIsEEEE10hipError_tT2_T3_mT4_P12ihipStream_tbEUlT_E_NS1_11comp_targetILNS1_3genE5ELNS1_11target_archE942ELNS1_3gpuE9ELNS1_3repE0EEENS1_30default_config_static_selectorELNS0_4arch9wavefront6targetE1EEEvT1_.uses_vcc, 0
	.set _ZN7rocprim17ROCPRIM_400000_NS6detail17trampoline_kernelINS0_14default_configENS1_25transform_config_selectorIsLb0EEEZNS1_14transform_implILb0ES3_S5_N6thrust23THRUST_200600_302600_NS6detail15normal_iteratorINS8_10device_ptrIsEEEEPsNS0_8identityIsEEEE10hipError_tT2_T3_mT4_P12ihipStream_tbEUlT_E_NS1_11comp_targetILNS1_3genE5ELNS1_11target_archE942ELNS1_3gpuE9ELNS1_3repE0EEENS1_30default_config_static_selectorELNS0_4arch9wavefront6targetE1EEEvT1_.uses_flat_scratch, 0
	.set _ZN7rocprim17ROCPRIM_400000_NS6detail17trampoline_kernelINS0_14default_configENS1_25transform_config_selectorIsLb0EEEZNS1_14transform_implILb0ES3_S5_N6thrust23THRUST_200600_302600_NS6detail15normal_iteratorINS8_10device_ptrIsEEEEPsNS0_8identityIsEEEE10hipError_tT2_T3_mT4_P12ihipStream_tbEUlT_E_NS1_11comp_targetILNS1_3genE5ELNS1_11target_archE942ELNS1_3gpuE9ELNS1_3repE0EEENS1_30default_config_static_selectorELNS0_4arch9wavefront6targetE1EEEvT1_.has_dyn_sized_stack, 0
	.set _ZN7rocprim17ROCPRIM_400000_NS6detail17trampoline_kernelINS0_14default_configENS1_25transform_config_selectorIsLb0EEEZNS1_14transform_implILb0ES3_S5_N6thrust23THRUST_200600_302600_NS6detail15normal_iteratorINS8_10device_ptrIsEEEEPsNS0_8identityIsEEEE10hipError_tT2_T3_mT4_P12ihipStream_tbEUlT_E_NS1_11comp_targetILNS1_3genE5ELNS1_11target_archE942ELNS1_3gpuE9ELNS1_3repE0EEENS1_30default_config_static_selectorELNS0_4arch9wavefront6targetE1EEEvT1_.has_recursion, 0
	.set _ZN7rocprim17ROCPRIM_400000_NS6detail17trampoline_kernelINS0_14default_configENS1_25transform_config_selectorIsLb0EEEZNS1_14transform_implILb0ES3_S5_N6thrust23THRUST_200600_302600_NS6detail15normal_iteratorINS8_10device_ptrIsEEEEPsNS0_8identityIsEEEE10hipError_tT2_T3_mT4_P12ihipStream_tbEUlT_E_NS1_11comp_targetILNS1_3genE5ELNS1_11target_archE942ELNS1_3gpuE9ELNS1_3repE0EEENS1_30default_config_static_selectorELNS0_4arch9wavefront6targetE1EEEvT1_.has_indirect_call, 0
	.section	.AMDGPU.csdata,"",@progbits
; Kernel info:
; codeLenInByte = 0
; TotalNumSgprs: 6
; NumVgprs: 0
; NumAgprs: 0
; TotalNumVgprs: 0
; ScratchSize: 0
; MemoryBound: 0
; FloatMode: 240
; IeeeMode: 1
; LDSByteSize: 0 bytes/workgroup (compile time only)
; SGPRBlocks: 0
; VGPRBlocks: 0
; NumSGPRsForWavesPerEU: 6
; NumVGPRsForWavesPerEU: 1
; AccumOffset: 4
; Occupancy: 8
; WaveLimiterHint : 0
; COMPUTE_PGM_RSRC2:SCRATCH_EN: 0
; COMPUTE_PGM_RSRC2:USER_SGPR: 2
; COMPUTE_PGM_RSRC2:TRAP_HANDLER: 0
; COMPUTE_PGM_RSRC2:TGID_X_EN: 1
; COMPUTE_PGM_RSRC2:TGID_Y_EN: 0
; COMPUTE_PGM_RSRC2:TGID_Z_EN: 0
; COMPUTE_PGM_RSRC2:TIDIG_COMP_CNT: 0
; COMPUTE_PGM_RSRC3_GFX90A:ACCUM_OFFSET: 0
; COMPUTE_PGM_RSRC3_GFX90A:TG_SPLIT: 0
	.section	.text._ZN7rocprim17ROCPRIM_400000_NS6detail17trampoline_kernelINS0_14default_configENS1_25transform_config_selectorIsLb0EEEZNS1_14transform_implILb0ES3_S5_N6thrust23THRUST_200600_302600_NS6detail15normal_iteratorINS8_10device_ptrIsEEEEPsNS0_8identityIsEEEE10hipError_tT2_T3_mT4_P12ihipStream_tbEUlT_E_NS1_11comp_targetILNS1_3genE4ELNS1_11target_archE910ELNS1_3gpuE8ELNS1_3repE0EEENS1_30default_config_static_selectorELNS0_4arch9wavefront6targetE1EEEvT1_,"axG",@progbits,_ZN7rocprim17ROCPRIM_400000_NS6detail17trampoline_kernelINS0_14default_configENS1_25transform_config_selectorIsLb0EEEZNS1_14transform_implILb0ES3_S5_N6thrust23THRUST_200600_302600_NS6detail15normal_iteratorINS8_10device_ptrIsEEEEPsNS0_8identityIsEEEE10hipError_tT2_T3_mT4_P12ihipStream_tbEUlT_E_NS1_11comp_targetILNS1_3genE4ELNS1_11target_archE910ELNS1_3gpuE8ELNS1_3repE0EEENS1_30default_config_static_selectorELNS0_4arch9wavefront6targetE1EEEvT1_,comdat
	.protected	_ZN7rocprim17ROCPRIM_400000_NS6detail17trampoline_kernelINS0_14default_configENS1_25transform_config_selectorIsLb0EEEZNS1_14transform_implILb0ES3_S5_N6thrust23THRUST_200600_302600_NS6detail15normal_iteratorINS8_10device_ptrIsEEEEPsNS0_8identityIsEEEE10hipError_tT2_T3_mT4_P12ihipStream_tbEUlT_E_NS1_11comp_targetILNS1_3genE4ELNS1_11target_archE910ELNS1_3gpuE8ELNS1_3repE0EEENS1_30default_config_static_selectorELNS0_4arch9wavefront6targetE1EEEvT1_ ; -- Begin function _ZN7rocprim17ROCPRIM_400000_NS6detail17trampoline_kernelINS0_14default_configENS1_25transform_config_selectorIsLb0EEEZNS1_14transform_implILb0ES3_S5_N6thrust23THRUST_200600_302600_NS6detail15normal_iteratorINS8_10device_ptrIsEEEEPsNS0_8identityIsEEEE10hipError_tT2_T3_mT4_P12ihipStream_tbEUlT_E_NS1_11comp_targetILNS1_3genE4ELNS1_11target_archE910ELNS1_3gpuE8ELNS1_3repE0EEENS1_30default_config_static_selectorELNS0_4arch9wavefront6targetE1EEEvT1_
	.globl	_ZN7rocprim17ROCPRIM_400000_NS6detail17trampoline_kernelINS0_14default_configENS1_25transform_config_selectorIsLb0EEEZNS1_14transform_implILb0ES3_S5_N6thrust23THRUST_200600_302600_NS6detail15normal_iteratorINS8_10device_ptrIsEEEEPsNS0_8identityIsEEEE10hipError_tT2_T3_mT4_P12ihipStream_tbEUlT_E_NS1_11comp_targetILNS1_3genE4ELNS1_11target_archE910ELNS1_3gpuE8ELNS1_3repE0EEENS1_30default_config_static_selectorELNS0_4arch9wavefront6targetE1EEEvT1_
	.p2align	8
	.type	_ZN7rocprim17ROCPRIM_400000_NS6detail17trampoline_kernelINS0_14default_configENS1_25transform_config_selectorIsLb0EEEZNS1_14transform_implILb0ES3_S5_N6thrust23THRUST_200600_302600_NS6detail15normal_iteratorINS8_10device_ptrIsEEEEPsNS0_8identityIsEEEE10hipError_tT2_T3_mT4_P12ihipStream_tbEUlT_E_NS1_11comp_targetILNS1_3genE4ELNS1_11target_archE910ELNS1_3gpuE8ELNS1_3repE0EEENS1_30default_config_static_selectorELNS0_4arch9wavefront6targetE1EEEvT1_,@function
_ZN7rocprim17ROCPRIM_400000_NS6detail17trampoline_kernelINS0_14default_configENS1_25transform_config_selectorIsLb0EEEZNS1_14transform_implILb0ES3_S5_N6thrust23THRUST_200600_302600_NS6detail15normal_iteratorINS8_10device_ptrIsEEEEPsNS0_8identityIsEEEE10hipError_tT2_T3_mT4_P12ihipStream_tbEUlT_E_NS1_11comp_targetILNS1_3genE4ELNS1_11target_archE910ELNS1_3gpuE8ELNS1_3repE0EEENS1_30default_config_static_selectorELNS0_4arch9wavefront6targetE1EEEvT1_: ; @_ZN7rocprim17ROCPRIM_400000_NS6detail17trampoline_kernelINS0_14default_configENS1_25transform_config_selectorIsLb0EEEZNS1_14transform_implILb0ES3_S5_N6thrust23THRUST_200600_302600_NS6detail15normal_iteratorINS8_10device_ptrIsEEEEPsNS0_8identityIsEEEE10hipError_tT2_T3_mT4_P12ihipStream_tbEUlT_E_NS1_11comp_targetILNS1_3genE4ELNS1_11target_archE910ELNS1_3gpuE8ELNS1_3repE0EEENS1_30default_config_static_selectorELNS0_4arch9wavefront6targetE1EEEvT1_
; %bb.0:
	.section	.rodata,"a",@progbits
	.p2align	6, 0x0
	.amdhsa_kernel _ZN7rocprim17ROCPRIM_400000_NS6detail17trampoline_kernelINS0_14default_configENS1_25transform_config_selectorIsLb0EEEZNS1_14transform_implILb0ES3_S5_N6thrust23THRUST_200600_302600_NS6detail15normal_iteratorINS8_10device_ptrIsEEEEPsNS0_8identityIsEEEE10hipError_tT2_T3_mT4_P12ihipStream_tbEUlT_E_NS1_11comp_targetILNS1_3genE4ELNS1_11target_archE910ELNS1_3gpuE8ELNS1_3repE0EEENS1_30default_config_static_selectorELNS0_4arch9wavefront6targetE1EEEvT1_
		.amdhsa_group_segment_fixed_size 0
		.amdhsa_private_segment_fixed_size 0
		.amdhsa_kernarg_size 40
		.amdhsa_user_sgpr_count 2
		.amdhsa_user_sgpr_dispatch_ptr 0
		.amdhsa_user_sgpr_queue_ptr 0
		.amdhsa_user_sgpr_kernarg_segment_ptr 1
		.amdhsa_user_sgpr_dispatch_id 0
		.amdhsa_user_sgpr_kernarg_preload_length 0
		.amdhsa_user_sgpr_kernarg_preload_offset 0
		.amdhsa_user_sgpr_private_segment_size 0
		.amdhsa_uses_dynamic_stack 0
		.amdhsa_enable_private_segment 0
		.amdhsa_system_sgpr_workgroup_id_x 1
		.amdhsa_system_sgpr_workgroup_id_y 0
		.amdhsa_system_sgpr_workgroup_id_z 0
		.amdhsa_system_sgpr_workgroup_info 0
		.amdhsa_system_vgpr_workitem_id 0
		.amdhsa_next_free_vgpr 1
		.amdhsa_next_free_sgpr 0
		.amdhsa_accum_offset 4
		.amdhsa_reserve_vcc 0
		.amdhsa_float_round_mode_32 0
		.amdhsa_float_round_mode_16_64 0
		.amdhsa_float_denorm_mode_32 3
		.amdhsa_float_denorm_mode_16_64 3
		.amdhsa_dx10_clamp 1
		.amdhsa_ieee_mode 1
		.amdhsa_fp16_overflow 0
		.amdhsa_tg_split 0
		.amdhsa_exception_fp_ieee_invalid_op 0
		.amdhsa_exception_fp_denorm_src 0
		.amdhsa_exception_fp_ieee_div_zero 0
		.amdhsa_exception_fp_ieee_overflow 0
		.amdhsa_exception_fp_ieee_underflow 0
		.amdhsa_exception_fp_ieee_inexact 0
		.amdhsa_exception_int_div_zero 0
	.end_amdhsa_kernel
	.section	.text._ZN7rocprim17ROCPRIM_400000_NS6detail17trampoline_kernelINS0_14default_configENS1_25transform_config_selectorIsLb0EEEZNS1_14transform_implILb0ES3_S5_N6thrust23THRUST_200600_302600_NS6detail15normal_iteratorINS8_10device_ptrIsEEEEPsNS0_8identityIsEEEE10hipError_tT2_T3_mT4_P12ihipStream_tbEUlT_E_NS1_11comp_targetILNS1_3genE4ELNS1_11target_archE910ELNS1_3gpuE8ELNS1_3repE0EEENS1_30default_config_static_selectorELNS0_4arch9wavefront6targetE1EEEvT1_,"axG",@progbits,_ZN7rocprim17ROCPRIM_400000_NS6detail17trampoline_kernelINS0_14default_configENS1_25transform_config_selectorIsLb0EEEZNS1_14transform_implILb0ES3_S5_N6thrust23THRUST_200600_302600_NS6detail15normal_iteratorINS8_10device_ptrIsEEEEPsNS0_8identityIsEEEE10hipError_tT2_T3_mT4_P12ihipStream_tbEUlT_E_NS1_11comp_targetILNS1_3genE4ELNS1_11target_archE910ELNS1_3gpuE8ELNS1_3repE0EEENS1_30default_config_static_selectorELNS0_4arch9wavefront6targetE1EEEvT1_,comdat
.Lfunc_end1635:
	.size	_ZN7rocprim17ROCPRIM_400000_NS6detail17trampoline_kernelINS0_14default_configENS1_25transform_config_selectorIsLb0EEEZNS1_14transform_implILb0ES3_S5_N6thrust23THRUST_200600_302600_NS6detail15normal_iteratorINS8_10device_ptrIsEEEEPsNS0_8identityIsEEEE10hipError_tT2_T3_mT4_P12ihipStream_tbEUlT_E_NS1_11comp_targetILNS1_3genE4ELNS1_11target_archE910ELNS1_3gpuE8ELNS1_3repE0EEENS1_30default_config_static_selectorELNS0_4arch9wavefront6targetE1EEEvT1_, .Lfunc_end1635-_ZN7rocprim17ROCPRIM_400000_NS6detail17trampoline_kernelINS0_14default_configENS1_25transform_config_selectorIsLb0EEEZNS1_14transform_implILb0ES3_S5_N6thrust23THRUST_200600_302600_NS6detail15normal_iteratorINS8_10device_ptrIsEEEEPsNS0_8identityIsEEEE10hipError_tT2_T3_mT4_P12ihipStream_tbEUlT_E_NS1_11comp_targetILNS1_3genE4ELNS1_11target_archE910ELNS1_3gpuE8ELNS1_3repE0EEENS1_30default_config_static_selectorELNS0_4arch9wavefront6targetE1EEEvT1_
                                        ; -- End function
	.set _ZN7rocprim17ROCPRIM_400000_NS6detail17trampoline_kernelINS0_14default_configENS1_25transform_config_selectorIsLb0EEEZNS1_14transform_implILb0ES3_S5_N6thrust23THRUST_200600_302600_NS6detail15normal_iteratorINS8_10device_ptrIsEEEEPsNS0_8identityIsEEEE10hipError_tT2_T3_mT4_P12ihipStream_tbEUlT_E_NS1_11comp_targetILNS1_3genE4ELNS1_11target_archE910ELNS1_3gpuE8ELNS1_3repE0EEENS1_30default_config_static_selectorELNS0_4arch9wavefront6targetE1EEEvT1_.num_vgpr, 0
	.set _ZN7rocprim17ROCPRIM_400000_NS6detail17trampoline_kernelINS0_14default_configENS1_25transform_config_selectorIsLb0EEEZNS1_14transform_implILb0ES3_S5_N6thrust23THRUST_200600_302600_NS6detail15normal_iteratorINS8_10device_ptrIsEEEEPsNS0_8identityIsEEEE10hipError_tT2_T3_mT4_P12ihipStream_tbEUlT_E_NS1_11comp_targetILNS1_3genE4ELNS1_11target_archE910ELNS1_3gpuE8ELNS1_3repE0EEENS1_30default_config_static_selectorELNS0_4arch9wavefront6targetE1EEEvT1_.num_agpr, 0
	.set _ZN7rocprim17ROCPRIM_400000_NS6detail17trampoline_kernelINS0_14default_configENS1_25transform_config_selectorIsLb0EEEZNS1_14transform_implILb0ES3_S5_N6thrust23THRUST_200600_302600_NS6detail15normal_iteratorINS8_10device_ptrIsEEEEPsNS0_8identityIsEEEE10hipError_tT2_T3_mT4_P12ihipStream_tbEUlT_E_NS1_11comp_targetILNS1_3genE4ELNS1_11target_archE910ELNS1_3gpuE8ELNS1_3repE0EEENS1_30default_config_static_selectorELNS0_4arch9wavefront6targetE1EEEvT1_.numbered_sgpr, 0
	.set _ZN7rocprim17ROCPRIM_400000_NS6detail17trampoline_kernelINS0_14default_configENS1_25transform_config_selectorIsLb0EEEZNS1_14transform_implILb0ES3_S5_N6thrust23THRUST_200600_302600_NS6detail15normal_iteratorINS8_10device_ptrIsEEEEPsNS0_8identityIsEEEE10hipError_tT2_T3_mT4_P12ihipStream_tbEUlT_E_NS1_11comp_targetILNS1_3genE4ELNS1_11target_archE910ELNS1_3gpuE8ELNS1_3repE0EEENS1_30default_config_static_selectorELNS0_4arch9wavefront6targetE1EEEvT1_.num_named_barrier, 0
	.set _ZN7rocprim17ROCPRIM_400000_NS6detail17trampoline_kernelINS0_14default_configENS1_25transform_config_selectorIsLb0EEEZNS1_14transform_implILb0ES3_S5_N6thrust23THRUST_200600_302600_NS6detail15normal_iteratorINS8_10device_ptrIsEEEEPsNS0_8identityIsEEEE10hipError_tT2_T3_mT4_P12ihipStream_tbEUlT_E_NS1_11comp_targetILNS1_3genE4ELNS1_11target_archE910ELNS1_3gpuE8ELNS1_3repE0EEENS1_30default_config_static_selectorELNS0_4arch9wavefront6targetE1EEEvT1_.private_seg_size, 0
	.set _ZN7rocprim17ROCPRIM_400000_NS6detail17trampoline_kernelINS0_14default_configENS1_25transform_config_selectorIsLb0EEEZNS1_14transform_implILb0ES3_S5_N6thrust23THRUST_200600_302600_NS6detail15normal_iteratorINS8_10device_ptrIsEEEEPsNS0_8identityIsEEEE10hipError_tT2_T3_mT4_P12ihipStream_tbEUlT_E_NS1_11comp_targetILNS1_3genE4ELNS1_11target_archE910ELNS1_3gpuE8ELNS1_3repE0EEENS1_30default_config_static_selectorELNS0_4arch9wavefront6targetE1EEEvT1_.uses_vcc, 0
	.set _ZN7rocprim17ROCPRIM_400000_NS6detail17trampoline_kernelINS0_14default_configENS1_25transform_config_selectorIsLb0EEEZNS1_14transform_implILb0ES3_S5_N6thrust23THRUST_200600_302600_NS6detail15normal_iteratorINS8_10device_ptrIsEEEEPsNS0_8identityIsEEEE10hipError_tT2_T3_mT4_P12ihipStream_tbEUlT_E_NS1_11comp_targetILNS1_3genE4ELNS1_11target_archE910ELNS1_3gpuE8ELNS1_3repE0EEENS1_30default_config_static_selectorELNS0_4arch9wavefront6targetE1EEEvT1_.uses_flat_scratch, 0
	.set _ZN7rocprim17ROCPRIM_400000_NS6detail17trampoline_kernelINS0_14default_configENS1_25transform_config_selectorIsLb0EEEZNS1_14transform_implILb0ES3_S5_N6thrust23THRUST_200600_302600_NS6detail15normal_iteratorINS8_10device_ptrIsEEEEPsNS0_8identityIsEEEE10hipError_tT2_T3_mT4_P12ihipStream_tbEUlT_E_NS1_11comp_targetILNS1_3genE4ELNS1_11target_archE910ELNS1_3gpuE8ELNS1_3repE0EEENS1_30default_config_static_selectorELNS0_4arch9wavefront6targetE1EEEvT1_.has_dyn_sized_stack, 0
	.set _ZN7rocprim17ROCPRIM_400000_NS6detail17trampoline_kernelINS0_14default_configENS1_25transform_config_selectorIsLb0EEEZNS1_14transform_implILb0ES3_S5_N6thrust23THRUST_200600_302600_NS6detail15normal_iteratorINS8_10device_ptrIsEEEEPsNS0_8identityIsEEEE10hipError_tT2_T3_mT4_P12ihipStream_tbEUlT_E_NS1_11comp_targetILNS1_3genE4ELNS1_11target_archE910ELNS1_3gpuE8ELNS1_3repE0EEENS1_30default_config_static_selectorELNS0_4arch9wavefront6targetE1EEEvT1_.has_recursion, 0
	.set _ZN7rocprim17ROCPRIM_400000_NS6detail17trampoline_kernelINS0_14default_configENS1_25transform_config_selectorIsLb0EEEZNS1_14transform_implILb0ES3_S5_N6thrust23THRUST_200600_302600_NS6detail15normal_iteratorINS8_10device_ptrIsEEEEPsNS0_8identityIsEEEE10hipError_tT2_T3_mT4_P12ihipStream_tbEUlT_E_NS1_11comp_targetILNS1_3genE4ELNS1_11target_archE910ELNS1_3gpuE8ELNS1_3repE0EEENS1_30default_config_static_selectorELNS0_4arch9wavefront6targetE1EEEvT1_.has_indirect_call, 0
	.section	.AMDGPU.csdata,"",@progbits
; Kernel info:
; codeLenInByte = 0
; TotalNumSgprs: 6
; NumVgprs: 0
; NumAgprs: 0
; TotalNumVgprs: 0
; ScratchSize: 0
; MemoryBound: 0
; FloatMode: 240
; IeeeMode: 1
; LDSByteSize: 0 bytes/workgroup (compile time only)
; SGPRBlocks: 0
; VGPRBlocks: 0
; NumSGPRsForWavesPerEU: 6
; NumVGPRsForWavesPerEU: 1
; AccumOffset: 4
; Occupancy: 8
; WaveLimiterHint : 0
; COMPUTE_PGM_RSRC2:SCRATCH_EN: 0
; COMPUTE_PGM_RSRC2:USER_SGPR: 2
; COMPUTE_PGM_RSRC2:TRAP_HANDLER: 0
; COMPUTE_PGM_RSRC2:TGID_X_EN: 1
; COMPUTE_PGM_RSRC2:TGID_Y_EN: 0
; COMPUTE_PGM_RSRC2:TGID_Z_EN: 0
; COMPUTE_PGM_RSRC2:TIDIG_COMP_CNT: 0
; COMPUTE_PGM_RSRC3_GFX90A:ACCUM_OFFSET: 0
; COMPUTE_PGM_RSRC3_GFX90A:TG_SPLIT: 0
	.section	.text._ZN7rocprim17ROCPRIM_400000_NS6detail17trampoline_kernelINS0_14default_configENS1_25transform_config_selectorIsLb0EEEZNS1_14transform_implILb0ES3_S5_N6thrust23THRUST_200600_302600_NS6detail15normal_iteratorINS8_10device_ptrIsEEEEPsNS0_8identityIsEEEE10hipError_tT2_T3_mT4_P12ihipStream_tbEUlT_E_NS1_11comp_targetILNS1_3genE3ELNS1_11target_archE908ELNS1_3gpuE7ELNS1_3repE0EEENS1_30default_config_static_selectorELNS0_4arch9wavefront6targetE1EEEvT1_,"axG",@progbits,_ZN7rocprim17ROCPRIM_400000_NS6detail17trampoline_kernelINS0_14default_configENS1_25transform_config_selectorIsLb0EEEZNS1_14transform_implILb0ES3_S5_N6thrust23THRUST_200600_302600_NS6detail15normal_iteratorINS8_10device_ptrIsEEEEPsNS0_8identityIsEEEE10hipError_tT2_T3_mT4_P12ihipStream_tbEUlT_E_NS1_11comp_targetILNS1_3genE3ELNS1_11target_archE908ELNS1_3gpuE7ELNS1_3repE0EEENS1_30default_config_static_selectorELNS0_4arch9wavefront6targetE1EEEvT1_,comdat
	.protected	_ZN7rocprim17ROCPRIM_400000_NS6detail17trampoline_kernelINS0_14default_configENS1_25transform_config_selectorIsLb0EEEZNS1_14transform_implILb0ES3_S5_N6thrust23THRUST_200600_302600_NS6detail15normal_iteratorINS8_10device_ptrIsEEEEPsNS0_8identityIsEEEE10hipError_tT2_T3_mT4_P12ihipStream_tbEUlT_E_NS1_11comp_targetILNS1_3genE3ELNS1_11target_archE908ELNS1_3gpuE7ELNS1_3repE0EEENS1_30default_config_static_selectorELNS0_4arch9wavefront6targetE1EEEvT1_ ; -- Begin function _ZN7rocprim17ROCPRIM_400000_NS6detail17trampoline_kernelINS0_14default_configENS1_25transform_config_selectorIsLb0EEEZNS1_14transform_implILb0ES3_S5_N6thrust23THRUST_200600_302600_NS6detail15normal_iteratorINS8_10device_ptrIsEEEEPsNS0_8identityIsEEEE10hipError_tT2_T3_mT4_P12ihipStream_tbEUlT_E_NS1_11comp_targetILNS1_3genE3ELNS1_11target_archE908ELNS1_3gpuE7ELNS1_3repE0EEENS1_30default_config_static_selectorELNS0_4arch9wavefront6targetE1EEEvT1_
	.globl	_ZN7rocprim17ROCPRIM_400000_NS6detail17trampoline_kernelINS0_14default_configENS1_25transform_config_selectorIsLb0EEEZNS1_14transform_implILb0ES3_S5_N6thrust23THRUST_200600_302600_NS6detail15normal_iteratorINS8_10device_ptrIsEEEEPsNS0_8identityIsEEEE10hipError_tT2_T3_mT4_P12ihipStream_tbEUlT_E_NS1_11comp_targetILNS1_3genE3ELNS1_11target_archE908ELNS1_3gpuE7ELNS1_3repE0EEENS1_30default_config_static_selectorELNS0_4arch9wavefront6targetE1EEEvT1_
	.p2align	8
	.type	_ZN7rocprim17ROCPRIM_400000_NS6detail17trampoline_kernelINS0_14default_configENS1_25transform_config_selectorIsLb0EEEZNS1_14transform_implILb0ES3_S5_N6thrust23THRUST_200600_302600_NS6detail15normal_iteratorINS8_10device_ptrIsEEEEPsNS0_8identityIsEEEE10hipError_tT2_T3_mT4_P12ihipStream_tbEUlT_E_NS1_11comp_targetILNS1_3genE3ELNS1_11target_archE908ELNS1_3gpuE7ELNS1_3repE0EEENS1_30default_config_static_selectorELNS0_4arch9wavefront6targetE1EEEvT1_,@function
_ZN7rocprim17ROCPRIM_400000_NS6detail17trampoline_kernelINS0_14default_configENS1_25transform_config_selectorIsLb0EEEZNS1_14transform_implILb0ES3_S5_N6thrust23THRUST_200600_302600_NS6detail15normal_iteratorINS8_10device_ptrIsEEEEPsNS0_8identityIsEEEE10hipError_tT2_T3_mT4_P12ihipStream_tbEUlT_E_NS1_11comp_targetILNS1_3genE3ELNS1_11target_archE908ELNS1_3gpuE7ELNS1_3repE0EEENS1_30default_config_static_selectorELNS0_4arch9wavefront6targetE1EEEvT1_: ; @_ZN7rocprim17ROCPRIM_400000_NS6detail17trampoline_kernelINS0_14default_configENS1_25transform_config_selectorIsLb0EEEZNS1_14transform_implILb0ES3_S5_N6thrust23THRUST_200600_302600_NS6detail15normal_iteratorINS8_10device_ptrIsEEEEPsNS0_8identityIsEEEE10hipError_tT2_T3_mT4_P12ihipStream_tbEUlT_E_NS1_11comp_targetILNS1_3genE3ELNS1_11target_archE908ELNS1_3gpuE7ELNS1_3repE0EEENS1_30default_config_static_selectorELNS0_4arch9wavefront6targetE1EEEvT1_
; %bb.0:
	.section	.rodata,"a",@progbits
	.p2align	6, 0x0
	.amdhsa_kernel _ZN7rocprim17ROCPRIM_400000_NS6detail17trampoline_kernelINS0_14default_configENS1_25transform_config_selectorIsLb0EEEZNS1_14transform_implILb0ES3_S5_N6thrust23THRUST_200600_302600_NS6detail15normal_iteratorINS8_10device_ptrIsEEEEPsNS0_8identityIsEEEE10hipError_tT2_T3_mT4_P12ihipStream_tbEUlT_E_NS1_11comp_targetILNS1_3genE3ELNS1_11target_archE908ELNS1_3gpuE7ELNS1_3repE0EEENS1_30default_config_static_selectorELNS0_4arch9wavefront6targetE1EEEvT1_
		.amdhsa_group_segment_fixed_size 0
		.amdhsa_private_segment_fixed_size 0
		.amdhsa_kernarg_size 40
		.amdhsa_user_sgpr_count 2
		.amdhsa_user_sgpr_dispatch_ptr 0
		.amdhsa_user_sgpr_queue_ptr 0
		.amdhsa_user_sgpr_kernarg_segment_ptr 1
		.amdhsa_user_sgpr_dispatch_id 0
		.amdhsa_user_sgpr_kernarg_preload_length 0
		.amdhsa_user_sgpr_kernarg_preload_offset 0
		.amdhsa_user_sgpr_private_segment_size 0
		.amdhsa_uses_dynamic_stack 0
		.amdhsa_enable_private_segment 0
		.amdhsa_system_sgpr_workgroup_id_x 1
		.amdhsa_system_sgpr_workgroup_id_y 0
		.amdhsa_system_sgpr_workgroup_id_z 0
		.amdhsa_system_sgpr_workgroup_info 0
		.amdhsa_system_vgpr_workitem_id 0
		.amdhsa_next_free_vgpr 1
		.amdhsa_next_free_sgpr 0
		.amdhsa_accum_offset 4
		.amdhsa_reserve_vcc 0
		.amdhsa_float_round_mode_32 0
		.amdhsa_float_round_mode_16_64 0
		.amdhsa_float_denorm_mode_32 3
		.amdhsa_float_denorm_mode_16_64 3
		.amdhsa_dx10_clamp 1
		.amdhsa_ieee_mode 1
		.amdhsa_fp16_overflow 0
		.amdhsa_tg_split 0
		.amdhsa_exception_fp_ieee_invalid_op 0
		.amdhsa_exception_fp_denorm_src 0
		.amdhsa_exception_fp_ieee_div_zero 0
		.amdhsa_exception_fp_ieee_overflow 0
		.amdhsa_exception_fp_ieee_underflow 0
		.amdhsa_exception_fp_ieee_inexact 0
		.amdhsa_exception_int_div_zero 0
	.end_amdhsa_kernel
	.section	.text._ZN7rocprim17ROCPRIM_400000_NS6detail17trampoline_kernelINS0_14default_configENS1_25transform_config_selectorIsLb0EEEZNS1_14transform_implILb0ES3_S5_N6thrust23THRUST_200600_302600_NS6detail15normal_iteratorINS8_10device_ptrIsEEEEPsNS0_8identityIsEEEE10hipError_tT2_T3_mT4_P12ihipStream_tbEUlT_E_NS1_11comp_targetILNS1_3genE3ELNS1_11target_archE908ELNS1_3gpuE7ELNS1_3repE0EEENS1_30default_config_static_selectorELNS0_4arch9wavefront6targetE1EEEvT1_,"axG",@progbits,_ZN7rocprim17ROCPRIM_400000_NS6detail17trampoline_kernelINS0_14default_configENS1_25transform_config_selectorIsLb0EEEZNS1_14transform_implILb0ES3_S5_N6thrust23THRUST_200600_302600_NS6detail15normal_iteratorINS8_10device_ptrIsEEEEPsNS0_8identityIsEEEE10hipError_tT2_T3_mT4_P12ihipStream_tbEUlT_E_NS1_11comp_targetILNS1_3genE3ELNS1_11target_archE908ELNS1_3gpuE7ELNS1_3repE0EEENS1_30default_config_static_selectorELNS0_4arch9wavefront6targetE1EEEvT1_,comdat
.Lfunc_end1636:
	.size	_ZN7rocprim17ROCPRIM_400000_NS6detail17trampoline_kernelINS0_14default_configENS1_25transform_config_selectorIsLb0EEEZNS1_14transform_implILb0ES3_S5_N6thrust23THRUST_200600_302600_NS6detail15normal_iteratorINS8_10device_ptrIsEEEEPsNS0_8identityIsEEEE10hipError_tT2_T3_mT4_P12ihipStream_tbEUlT_E_NS1_11comp_targetILNS1_3genE3ELNS1_11target_archE908ELNS1_3gpuE7ELNS1_3repE0EEENS1_30default_config_static_selectorELNS0_4arch9wavefront6targetE1EEEvT1_, .Lfunc_end1636-_ZN7rocprim17ROCPRIM_400000_NS6detail17trampoline_kernelINS0_14default_configENS1_25transform_config_selectorIsLb0EEEZNS1_14transform_implILb0ES3_S5_N6thrust23THRUST_200600_302600_NS6detail15normal_iteratorINS8_10device_ptrIsEEEEPsNS0_8identityIsEEEE10hipError_tT2_T3_mT4_P12ihipStream_tbEUlT_E_NS1_11comp_targetILNS1_3genE3ELNS1_11target_archE908ELNS1_3gpuE7ELNS1_3repE0EEENS1_30default_config_static_selectorELNS0_4arch9wavefront6targetE1EEEvT1_
                                        ; -- End function
	.set _ZN7rocprim17ROCPRIM_400000_NS6detail17trampoline_kernelINS0_14default_configENS1_25transform_config_selectorIsLb0EEEZNS1_14transform_implILb0ES3_S5_N6thrust23THRUST_200600_302600_NS6detail15normal_iteratorINS8_10device_ptrIsEEEEPsNS0_8identityIsEEEE10hipError_tT2_T3_mT4_P12ihipStream_tbEUlT_E_NS1_11comp_targetILNS1_3genE3ELNS1_11target_archE908ELNS1_3gpuE7ELNS1_3repE0EEENS1_30default_config_static_selectorELNS0_4arch9wavefront6targetE1EEEvT1_.num_vgpr, 0
	.set _ZN7rocprim17ROCPRIM_400000_NS6detail17trampoline_kernelINS0_14default_configENS1_25transform_config_selectorIsLb0EEEZNS1_14transform_implILb0ES3_S5_N6thrust23THRUST_200600_302600_NS6detail15normal_iteratorINS8_10device_ptrIsEEEEPsNS0_8identityIsEEEE10hipError_tT2_T3_mT4_P12ihipStream_tbEUlT_E_NS1_11comp_targetILNS1_3genE3ELNS1_11target_archE908ELNS1_3gpuE7ELNS1_3repE0EEENS1_30default_config_static_selectorELNS0_4arch9wavefront6targetE1EEEvT1_.num_agpr, 0
	.set _ZN7rocprim17ROCPRIM_400000_NS6detail17trampoline_kernelINS0_14default_configENS1_25transform_config_selectorIsLb0EEEZNS1_14transform_implILb0ES3_S5_N6thrust23THRUST_200600_302600_NS6detail15normal_iteratorINS8_10device_ptrIsEEEEPsNS0_8identityIsEEEE10hipError_tT2_T3_mT4_P12ihipStream_tbEUlT_E_NS1_11comp_targetILNS1_3genE3ELNS1_11target_archE908ELNS1_3gpuE7ELNS1_3repE0EEENS1_30default_config_static_selectorELNS0_4arch9wavefront6targetE1EEEvT1_.numbered_sgpr, 0
	.set _ZN7rocprim17ROCPRIM_400000_NS6detail17trampoline_kernelINS0_14default_configENS1_25transform_config_selectorIsLb0EEEZNS1_14transform_implILb0ES3_S5_N6thrust23THRUST_200600_302600_NS6detail15normal_iteratorINS8_10device_ptrIsEEEEPsNS0_8identityIsEEEE10hipError_tT2_T3_mT4_P12ihipStream_tbEUlT_E_NS1_11comp_targetILNS1_3genE3ELNS1_11target_archE908ELNS1_3gpuE7ELNS1_3repE0EEENS1_30default_config_static_selectorELNS0_4arch9wavefront6targetE1EEEvT1_.num_named_barrier, 0
	.set _ZN7rocprim17ROCPRIM_400000_NS6detail17trampoline_kernelINS0_14default_configENS1_25transform_config_selectorIsLb0EEEZNS1_14transform_implILb0ES3_S5_N6thrust23THRUST_200600_302600_NS6detail15normal_iteratorINS8_10device_ptrIsEEEEPsNS0_8identityIsEEEE10hipError_tT2_T3_mT4_P12ihipStream_tbEUlT_E_NS1_11comp_targetILNS1_3genE3ELNS1_11target_archE908ELNS1_3gpuE7ELNS1_3repE0EEENS1_30default_config_static_selectorELNS0_4arch9wavefront6targetE1EEEvT1_.private_seg_size, 0
	.set _ZN7rocprim17ROCPRIM_400000_NS6detail17trampoline_kernelINS0_14default_configENS1_25transform_config_selectorIsLb0EEEZNS1_14transform_implILb0ES3_S5_N6thrust23THRUST_200600_302600_NS6detail15normal_iteratorINS8_10device_ptrIsEEEEPsNS0_8identityIsEEEE10hipError_tT2_T3_mT4_P12ihipStream_tbEUlT_E_NS1_11comp_targetILNS1_3genE3ELNS1_11target_archE908ELNS1_3gpuE7ELNS1_3repE0EEENS1_30default_config_static_selectorELNS0_4arch9wavefront6targetE1EEEvT1_.uses_vcc, 0
	.set _ZN7rocprim17ROCPRIM_400000_NS6detail17trampoline_kernelINS0_14default_configENS1_25transform_config_selectorIsLb0EEEZNS1_14transform_implILb0ES3_S5_N6thrust23THRUST_200600_302600_NS6detail15normal_iteratorINS8_10device_ptrIsEEEEPsNS0_8identityIsEEEE10hipError_tT2_T3_mT4_P12ihipStream_tbEUlT_E_NS1_11comp_targetILNS1_3genE3ELNS1_11target_archE908ELNS1_3gpuE7ELNS1_3repE0EEENS1_30default_config_static_selectorELNS0_4arch9wavefront6targetE1EEEvT1_.uses_flat_scratch, 0
	.set _ZN7rocprim17ROCPRIM_400000_NS6detail17trampoline_kernelINS0_14default_configENS1_25transform_config_selectorIsLb0EEEZNS1_14transform_implILb0ES3_S5_N6thrust23THRUST_200600_302600_NS6detail15normal_iteratorINS8_10device_ptrIsEEEEPsNS0_8identityIsEEEE10hipError_tT2_T3_mT4_P12ihipStream_tbEUlT_E_NS1_11comp_targetILNS1_3genE3ELNS1_11target_archE908ELNS1_3gpuE7ELNS1_3repE0EEENS1_30default_config_static_selectorELNS0_4arch9wavefront6targetE1EEEvT1_.has_dyn_sized_stack, 0
	.set _ZN7rocprim17ROCPRIM_400000_NS6detail17trampoline_kernelINS0_14default_configENS1_25transform_config_selectorIsLb0EEEZNS1_14transform_implILb0ES3_S5_N6thrust23THRUST_200600_302600_NS6detail15normal_iteratorINS8_10device_ptrIsEEEEPsNS0_8identityIsEEEE10hipError_tT2_T3_mT4_P12ihipStream_tbEUlT_E_NS1_11comp_targetILNS1_3genE3ELNS1_11target_archE908ELNS1_3gpuE7ELNS1_3repE0EEENS1_30default_config_static_selectorELNS0_4arch9wavefront6targetE1EEEvT1_.has_recursion, 0
	.set _ZN7rocprim17ROCPRIM_400000_NS6detail17trampoline_kernelINS0_14default_configENS1_25transform_config_selectorIsLb0EEEZNS1_14transform_implILb0ES3_S5_N6thrust23THRUST_200600_302600_NS6detail15normal_iteratorINS8_10device_ptrIsEEEEPsNS0_8identityIsEEEE10hipError_tT2_T3_mT4_P12ihipStream_tbEUlT_E_NS1_11comp_targetILNS1_3genE3ELNS1_11target_archE908ELNS1_3gpuE7ELNS1_3repE0EEENS1_30default_config_static_selectorELNS0_4arch9wavefront6targetE1EEEvT1_.has_indirect_call, 0
	.section	.AMDGPU.csdata,"",@progbits
; Kernel info:
; codeLenInByte = 0
; TotalNumSgprs: 6
; NumVgprs: 0
; NumAgprs: 0
; TotalNumVgprs: 0
; ScratchSize: 0
; MemoryBound: 0
; FloatMode: 240
; IeeeMode: 1
; LDSByteSize: 0 bytes/workgroup (compile time only)
; SGPRBlocks: 0
; VGPRBlocks: 0
; NumSGPRsForWavesPerEU: 6
; NumVGPRsForWavesPerEU: 1
; AccumOffset: 4
; Occupancy: 8
; WaveLimiterHint : 0
; COMPUTE_PGM_RSRC2:SCRATCH_EN: 0
; COMPUTE_PGM_RSRC2:USER_SGPR: 2
; COMPUTE_PGM_RSRC2:TRAP_HANDLER: 0
; COMPUTE_PGM_RSRC2:TGID_X_EN: 1
; COMPUTE_PGM_RSRC2:TGID_Y_EN: 0
; COMPUTE_PGM_RSRC2:TGID_Z_EN: 0
; COMPUTE_PGM_RSRC2:TIDIG_COMP_CNT: 0
; COMPUTE_PGM_RSRC3_GFX90A:ACCUM_OFFSET: 0
; COMPUTE_PGM_RSRC3_GFX90A:TG_SPLIT: 0
	.section	.text._ZN7rocprim17ROCPRIM_400000_NS6detail17trampoline_kernelINS0_14default_configENS1_25transform_config_selectorIsLb0EEEZNS1_14transform_implILb0ES3_S5_N6thrust23THRUST_200600_302600_NS6detail15normal_iteratorINS8_10device_ptrIsEEEEPsNS0_8identityIsEEEE10hipError_tT2_T3_mT4_P12ihipStream_tbEUlT_E_NS1_11comp_targetILNS1_3genE2ELNS1_11target_archE906ELNS1_3gpuE6ELNS1_3repE0EEENS1_30default_config_static_selectorELNS0_4arch9wavefront6targetE1EEEvT1_,"axG",@progbits,_ZN7rocprim17ROCPRIM_400000_NS6detail17trampoline_kernelINS0_14default_configENS1_25transform_config_selectorIsLb0EEEZNS1_14transform_implILb0ES3_S5_N6thrust23THRUST_200600_302600_NS6detail15normal_iteratorINS8_10device_ptrIsEEEEPsNS0_8identityIsEEEE10hipError_tT2_T3_mT4_P12ihipStream_tbEUlT_E_NS1_11comp_targetILNS1_3genE2ELNS1_11target_archE906ELNS1_3gpuE6ELNS1_3repE0EEENS1_30default_config_static_selectorELNS0_4arch9wavefront6targetE1EEEvT1_,comdat
	.protected	_ZN7rocprim17ROCPRIM_400000_NS6detail17trampoline_kernelINS0_14default_configENS1_25transform_config_selectorIsLb0EEEZNS1_14transform_implILb0ES3_S5_N6thrust23THRUST_200600_302600_NS6detail15normal_iteratorINS8_10device_ptrIsEEEEPsNS0_8identityIsEEEE10hipError_tT2_T3_mT4_P12ihipStream_tbEUlT_E_NS1_11comp_targetILNS1_3genE2ELNS1_11target_archE906ELNS1_3gpuE6ELNS1_3repE0EEENS1_30default_config_static_selectorELNS0_4arch9wavefront6targetE1EEEvT1_ ; -- Begin function _ZN7rocprim17ROCPRIM_400000_NS6detail17trampoline_kernelINS0_14default_configENS1_25transform_config_selectorIsLb0EEEZNS1_14transform_implILb0ES3_S5_N6thrust23THRUST_200600_302600_NS6detail15normal_iteratorINS8_10device_ptrIsEEEEPsNS0_8identityIsEEEE10hipError_tT2_T3_mT4_P12ihipStream_tbEUlT_E_NS1_11comp_targetILNS1_3genE2ELNS1_11target_archE906ELNS1_3gpuE6ELNS1_3repE0EEENS1_30default_config_static_selectorELNS0_4arch9wavefront6targetE1EEEvT1_
	.globl	_ZN7rocprim17ROCPRIM_400000_NS6detail17trampoline_kernelINS0_14default_configENS1_25transform_config_selectorIsLb0EEEZNS1_14transform_implILb0ES3_S5_N6thrust23THRUST_200600_302600_NS6detail15normal_iteratorINS8_10device_ptrIsEEEEPsNS0_8identityIsEEEE10hipError_tT2_T3_mT4_P12ihipStream_tbEUlT_E_NS1_11comp_targetILNS1_3genE2ELNS1_11target_archE906ELNS1_3gpuE6ELNS1_3repE0EEENS1_30default_config_static_selectorELNS0_4arch9wavefront6targetE1EEEvT1_
	.p2align	8
	.type	_ZN7rocprim17ROCPRIM_400000_NS6detail17trampoline_kernelINS0_14default_configENS1_25transform_config_selectorIsLb0EEEZNS1_14transform_implILb0ES3_S5_N6thrust23THRUST_200600_302600_NS6detail15normal_iteratorINS8_10device_ptrIsEEEEPsNS0_8identityIsEEEE10hipError_tT2_T3_mT4_P12ihipStream_tbEUlT_E_NS1_11comp_targetILNS1_3genE2ELNS1_11target_archE906ELNS1_3gpuE6ELNS1_3repE0EEENS1_30default_config_static_selectorELNS0_4arch9wavefront6targetE1EEEvT1_,@function
_ZN7rocprim17ROCPRIM_400000_NS6detail17trampoline_kernelINS0_14default_configENS1_25transform_config_selectorIsLb0EEEZNS1_14transform_implILb0ES3_S5_N6thrust23THRUST_200600_302600_NS6detail15normal_iteratorINS8_10device_ptrIsEEEEPsNS0_8identityIsEEEE10hipError_tT2_T3_mT4_P12ihipStream_tbEUlT_E_NS1_11comp_targetILNS1_3genE2ELNS1_11target_archE906ELNS1_3gpuE6ELNS1_3repE0EEENS1_30default_config_static_selectorELNS0_4arch9wavefront6targetE1EEEvT1_: ; @_ZN7rocprim17ROCPRIM_400000_NS6detail17trampoline_kernelINS0_14default_configENS1_25transform_config_selectorIsLb0EEEZNS1_14transform_implILb0ES3_S5_N6thrust23THRUST_200600_302600_NS6detail15normal_iteratorINS8_10device_ptrIsEEEEPsNS0_8identityIsEEEE10hipError_tT2_T3_mT4_P12ihipStream_tbEUlT_E_NS1_11comp_targetILNS1_3genE2ELNS1_11target_archE906ELNS1_3gpuE6ELNS1_3repE0EEENS1_30default_config_static_selectorELNS0_4arch9wavefront6targetE1EEEvT1_
; %bb.0:
	.section	.rodata,"a",@progbits
	.p2align	6, 0x0
	.amdhsa_kernel _ZN7rocprim17ROCPRIM_400000_NS6detail17trampoline_kernelINS0_14default_configENS1_25transform_config_selectorIsLb0EEEZNS1_14transform_implILb0ES3_S5_N6thrust23THRUST_200600_302600_NS6detail15normal_iteratorINS8_10device_ptrIsEEEEPsNS0_8identityIsEEEE10hipError_tT2_T3_mT4_P12ihipStream_tbEUlT_E_NS1_11comp_targetILNS1_3genE2ELNS1_11target_archE906ELNS1_3gpuE6ELNS1_3repE0EEENS1_30default_config_static_selectorELNS0_4arch9wavefront6targetE1EEEvT1_
		.amdhsa_group_segment_fixed_size 0
		.amdhsa_private_segment_fixed_size 0
		.amdhsa_kernarg_size 40
		.amdhsa_user_sgpr_count 2
		.amdhsa_user_sgpr_dispatch_ptr 0
		.amdhsa_user_sgpr_queue_ptr 0
		.amdhsa_user_sgpr_kernarg_segment_ptr 1
		.amdhsa_user_sgpr_dispatch_id 0
		.amdhsa_user_sgpr_kernarg_preload_length 0
		.amdhsa_user_sgpr_kernarg_preload_offset 0
		.amdhsa_user_sgpr_private_segment_size 0
		.amdhsa_uses_dynamic_stack 0
		.amdhsa_enable_private_segment 0
		.amdhsa_system_sgpr_workgroup_id_x 1
		.amdhsa_system_sgpr_workgroup_id_y 0
		.amdhsa_system_sgpr_workgroup_id_z 0
		.amdhsa_system_sgpr_workgroup_info 0
		.amdhsa_system_vgpr_workitem_id 0
		.amdhsa_next_free_vgpr 1
		.amdhsa_next_free_sgpr 0
		.amdhsa_accum_offset 4
		.amdhsa_reserve_vcc 0
		.amdhsa_float_round_mode_32 0
		.amdhsa_float_round_mode_16_64 0
		.amdhsa_float_denorm_mode_32 3
		.amdhsa_float_denorm_mode_16_64 3
		.amdhsa_dx10_clamp 1
		.amdhsa_ieee_mode 1
		.amdhsa_fp16_overflow 0
		.amdhsa_tg_split 0
		.amdhsa_exception_fp_ieee_invalid_op 0
		.amdhsa_exception_fp_denorm_src 0
		.amdhsa_exception_fp_ieee_div_zero 0
		.amdhsa_exception_fp_ieee_overflow 0
		.amdhsa_exception_fp_ieee_underflow 0
		.amdhsa_exception_fp_ieee_inexact 0
		.amdhsa_exception_int_div_zero 0
	.end_amdhsa_kernel
	.section	.text._ZN7rocprim17ROCPRIM_400000_NS6detail17trampoline_kernelINS0_14default_configENS1_25transform_config_selectorIsLb0EEEZNS1_14transform_implILb0ES3_S5_N6thrust23THRUST_200600_302600_NS6detail15normal_iteratorINS8_10device_ptrIsEEEEPsNS0_8identityIsEEEE10hipError_tT2_T3_mT4_P12ihipStream_tbEUlT_E_NS1_11comp_targetILNS1_3genE2ELNS1_11target_archE906ELNS1_3gpuE6ELNS1_3repE0EEENS1_30default_config_static_selectorELNS0_4arch9wavefront6targetE1EEEvT1_,"axG",@progbits,_ZN7rocprim17ROCPRIM_400000_NS6detail17trampoline_kernelINS0_14default_configENS1_25transform_config_selectorIsLb0EEEZNS1_14transform_implILb0ES3_S5_N6thrust23THRUST_200600_302600_NS6detail15normal_iteratorINS8_10device_ptrIsEEEEPsNS0_8identityIsEEEE10hipError_tT2_T3_mT4_P12ihipStream_tbEUlT_E_NS1_11comp_targetILNS1_3genE2ELNS1_11target_archE906ELNS1_3gpuE6ELNS1_3repE0EEENS1_30default_config_static_selectorELNS0_4arch9wavefront6targetE1EEEvT1_,comdat
.Lfunc_end1637:
	.size	_ZN7rocprim17ROCPRIM_400000_NS6detail17trampoline_kernelINS0_14default_configENS1_25transform_config_selectorIsLb0EEEZNS1_14transform_implILb0ES3_S5_N6thrust23THRUST_200600_302600_NS6detail15normal_iteratorINS8_10device_ptrIsEEEEPsNS0_8identityIsEEEE10hipError_tT2_T3_mT4_P12ihipStream_tbEUlT_E_NS1_11comp_targetILNS1_3genE2ELNS1_11target_archE906ELNS1_3gpuE6ELNS1_3repE0EEENS1_30default_config_static_selectorELNS0_4arch9wavefront6targetE1EEEvT1_, .Lfunc_end1637-_ZN7rocprim17ROCPRIM_400000_NS6detail17trampoline_kernelINS0_14default_configENS1_25transform_config_selectorIsLb0EEEZNS1_14transform_implILb0ES3_S5_N6thrust23THRUST_200600_302600_NS6detail15normal_iteratorINS8_10device_ptrIsEEEEPsNS0_8identityIsEEEE10hipError_tT2_T3_mT4_P12ihipStream_tbEUlT_E_NS1_11comp_targetILNS1_3genE2ELNS1_11target_archE906ELNS1_3gpuE6ELNS1_3repE0EEENS1_30default_config_static_selectorELNS0_4arch9wavefront6targetE1EEEvT1_
                                        ; -- End function
	.set _ZN7rocprim17ROCPRIM_400000_NS6detail17trampoline_kernelINS0_14default_configENS1_25transform_config_selectorIsLb0EEEZNS1_14transform_implILb0ES3_S5_N6thrust23THRUST_200600_302600_NS6detail15normal_iteratorINS8_10device_ptrIsEEEEPsNS0_8identityIsEEEE10hipError_tT2_T3_mT4_P12ihipStream_tbEUlT_E_NS1_11comp_targetILNS1_3genE2ELNS1_11target_archE906ELNS1_3gpuE6ELNS1_3repE0EEENS1_30default_config_static_selectorELNS0_4arch9wavefront6targetE1EEEvT1_.num_vgpr, 0
	.set _ZN7rocprim17ROCPRIM_400000_NS6detail17trampoline_kernelINS0_14default_configENS1_25transform_config_selectorIsLb0EEEZNS1_14transform_implILb0ES3_S5_N6thrust23THRUST_200600_302600_NS6detail15normal_iteratorINS8_10device_ptrIsEEEEPsNS0_8identityIsEEEE10hipError_tT2_T3_mT4_P12ihipStream_tbEUlT_E_NS1_11comp_targetILNS1_3genE2ELNS1_11target_archE906ELNS1_3gpuE6ELNS1_3repE0EEENS1_30default_config_static_selectorELNS0_4arch9wavefront6targetE1EEEvT1_.num_agpr, 0
	.set _ZN7rocprim17ROCPRIM_400000_NS6detail17trampoline_kernelINS0_14default_configENS1_25transform_config_selectorIsLb0EEEZNS1_14transform_implILb0ES3_S5_N6thrust23THRUST_200600_302600_NS6detail15normal_iteratorINS8_10device_ptrIsEEEEPsNS0_8identityIsEEEE10hipError_tT2_T3_mT4_P12ihipStream_tbEUlT_E_NS1_11comp_targetILNS1_3genE2ELNS1_11target_archE906ELNS1_3gpuE6ELNS1_3repE0EEENS1_30default_config_static_selectorELNS0_4arch9wavefront6targetE1EEEvT1_.numbered_sgpr, 0
	.set _ZN7rocprim17ROCPRIM_400000_NS6detail17trampoline_kernelINS0_14default_configENS1_25transform_config_selectorIsLb0EEEZNS1_14transform_implILb0ES3_S5_N6thrust23THRUST_200600_302600_NS6detail15normal_iteratorINS8_10device_ptrIsEEEEPsNS0_8identityIsEEEE10hipError_tT2_T3_mT4_P12ihipStream_tbEUlT_E_NS1_11comp_targetILNS1_3genE2ELNS1_11target_archE906ELNS1_3gpuE6ELNS1_3repE0EEENS1_30default_config_static_selectorELNS0_4arch9wavefront6targetE1EEEvT1_.num_named_barrier, 0
	.set _ZN7rocprim17ROCPRIM_400000_NS6detail17trampoline_kernelINS0_14default_configENS1_25transform_config_selectorIsLb0EEEZNS1_14transform_implILb0ES3_S5_N6thrust23THRUST_200600_302600_NS6detail15normal_iteratorINS8_10device_ptrIsEEEEPsNS0_8identityIsEEEE10hipError_tT2_T3_mT4_P12ihipStream_tbEUlT_E_NS1_11comp_targetILNS1_3genE2ELNS1_11target_archE906ELNS1_3gpuE6ELNS1_3repE0EEENS1_30default_config_static_selectorELNS0_4arch9wavefront6targetE1EEEvT1_.private_seg_size, 0
	.set _ZN7rocprim17ROCPRIM_400000_NS6detail17trampoline_kernelINS0_14default_configENS1_25transform_config_selectorIsLb0EEEZNS1_14transform_implILb0ES3_S5_N6thrust23THRUST_200600_302600_NS6detail15normal_iteratorINS8_10device_ptrIsEEEEPsNS0_8identityIsEEEE10hipError_tT2_T3_mT4_P12ihipStream_tbEUlT_E_NS1_11comp_targetILNS1_3genE2ELNS1_11target_archE906ELNS1_3gpuE6ELNS1_3repE0EEENS1_30default_config_static_selectorELNS0_4arch9wavefront6targetE1EEEvT1_.uses_vcc, 0
	.set _ZN7rocprim17ROCPRIM_400000_NS6detail17trampoline_kernelINS0_14default_configENS1_25transform_config_selectorIsLb0EEEZNS1_14transform_implILb0ES3_S5_N6thrust23THRUST_200600_302600_NS6detail15normal_iteratorINS8_10device_ptrIsEEEEPsNS0_8identityIsEEEE10hipError_tT2_T3_mT4_P12ihipStream_tbEUlT_E_NS1_11comp_targetILNS1_3genE2ELNS1_11target_archE906ELNS1_3gpuE6ELNS1_3repE0EEENS1_30default_config_static_selectorELNS0_4arch9wavefront6targetE1EEEvT1_.uses_flat_scratch, 0
	.set _ZN7rocprim17ROCPRIM_400000_NS6detail17trampoline_kernelINS0_14default_configENS1_25transform_config_selectorIsLb0EEEZNS1_14transform_implILb0ES3_S5_N6thrust23THRUST_200600_302600_NS6detail15normal_iteratorINS8_10device_ptrIsEEEEPsNS0_8identityIsEEEE10hipError_tT2_T3_mT4_P12ihipStream_tbEUlT_E_NS1_11comp_targetILNS1_3genE2ELNS1_11target_archE906ELNS1_3gpuE6ELNS1_3repE0EEENS1_30default_config_static_selectorELNS0_4arch9wavefront6targetE1EEEvT1_.has_dyn_sized_stack, 0
	.set _ZN7rocprim17ROCPRIM_400000_NS6detail17trampoline_kernelINS0_14default_configENS1_25transform_config_selectorIsLb0EEEZNS1_14transform_implILb0ES3_S5_N6thrust23THRUST_200600_302600_NS6detail15normal_iteratorINS8_10device_ptrIsEEEEPsNS0_8identityIsEEEE10hipError_tT2_T3_mT4_P12ihipStream_tbEUlT_E_NS1_11comp_targetILNS1_3genE2ELNS1_11target_archE906ELNS1_3gpuE6ELNS1_3repE0EEENS1_30default_config_static_selectorELNS0_4arch9wavefront6targetE1EEEvT1_.has_recursion, 0
	.set _ZN7rocprim17ROCPRIM_400000_NS6detail17trampoline_kernelINS0_14default_configENS1_25transform_config_selectorIsLb0EEEZNS1_14transform_implILb0ES3_S5_N6thrust23THRUST_200600_302600_NS6detail15normal_iteratorINS8_10device_ptrIsEEEEPsNS0_8identityIsEEEE10hipError_tT2_T3_mT4_P12ihipStream_tbEUlT_E_NS1_11comp_targetILNS1_3genE2ELNS1_11target_archE906ELNS1_3gpuE6ELNS1_3repE0EEENS1_30default_config_static_selectorELNS0_4arch9wavefront6targetE1EEEvT1_.has_indirect_call, 0
	.section	.AMDGPU.csdata,"",@progbits
; Kernel info:
; codeLenInByte = 0
; TotalNumSgprs: 6
; NumVgprs: 0
; NumAgprs: 0
; TotalNumVgprs: 0
; ScratchSize: 0
; MemoryBound: 0
; FloatMode: 240
; IeeeMode: 1
; LDSByteSize: 0 bytes/workgroup (compile time only)
; SGPRBlocks: 0
; VGPRBlocks: 0
; NumSGPRsForWavesPerEU: 6
; NumVGPRsForWavesPerEU: 1
; AccumOffset: 4
; Occupancy: 8
; WaveLimiterHint : 0
; COMPUTE_PGM_RSRC2:SCRATCH_EN: 0
; COMPUTE_PGM_RSRC2:USER_SGPR: 2
; COMPUTE_PGM_RSRC2:TRAP_HANDLER: 0
; COMPUTE_PGM_RSRC2:TGID_X_EN: 1
; COMPUTE_PGM_RSRC2:TGID_Y_EN: 0
; COMPUTE_PGM_RSRC2:TGID_Z_EN: 0
; COMPUTE_PGM_RSRC2:TIDIG_COMP_CNT: 0
; COMPUTE_PGM_RSRC3_GFX90A:ACCUM_OFFSET: 0
; COMPUTE_PGM_RSRC3_GFX90A:TG_SPLIT: 0
	.section	.text._ZN7rocprim17ROCPRIM_400000_NS6detail17trampoline_kernelINS0_14default_configENS1_25transform_config_selectorIsLb0EEEZNS1_14transform_implILb0ES3_S5_N6thrust23THRUST_200600_302600_NS6detail15normal_iteratorINS8_10device_ptrIsEEEEPsNS0_8identityIsEEEE10hipError_tT2_T3_mT4_P12ihipStream_tbEUlT_E_NS1_11comp_targetILNS1_3genE10ELNS1_11target_archE1201ELNS1_3gpuE5ELNS1_3repE0EEENS1_30default_config_static_selectorELNS0_4arch9wavefront6targetE1EEEvT1_,"axG",@progbits,_ZN7rocprim17ROCPRIM_400000_NS6detail17trampoline_kernelINS0_14default_configENS1_25transform_config_selectorIsLb0EEEZNS1_14transform_implILb0ES3_S5_N6thrust23THRUST_200600_302600_NS6detail15normal_iteratorINS8_10device_ptrIsEEEEPsNS0_8identityIsEEEE10hipError_tT2_T3_mT4_P12ihipStream_tbEUlT_E_NS1_11comp_targetILNS1_3genE10ELNS1_11target_archE1201ELNS1_3gpuE5ELNS1_3repE0EEENS1_30default_config_static_selectorELNS0_4arch9wavefront6targetE1EEEvT1_,comdat
	.protected	_ZN7rocprim17ROCPRIM_400000_NS6detail17trampoline_kernelINS0_14default_configENS1_25transform_config_selectorIsLb0EEEZNS1_14transform_implILb0ES3_S5_N6thrust23THRUST_200600_302600_NS6detail15normal_iteratorINS8_10device_ptrIsEEEEPsNS0_8identityIsEEEE10hipError_tT2_T3_mT4_P12ihipStream_tbEUlT_E_NS1_11comp_targetILNS1_3genE10ELNS1_11target_archE1201ELNS1_3gpuE5ELNS1_3repE0EEENS1_30default_config_static_selectorELNS0_4arch9wavefront6targetE1EEEvT1_ ; -- Begin function _ZN7rocprim17ROCPRIM_400000_NS6detail17trampoline_kernelINS0_14default_configENS1_25transform_config_selectorIsLb0EEEZNS1_14transform_implILb0ES3_S5_N6thrust23THRUST_200600_302600_NS6detail15normal_iteratorINS8_10device_ptrIsEEEEPsNS0_8identityIsEEEE10hipError_tT2_T3_mT4_P12ihipStream_tbEUlT_E_NS1_11comp_targetILNS1_3genE10ELNS1_11target_archE1201ELNS1_3gpuE5ELNS1_3repE0EEENS1_30default_config_static_selectorELNS0_4arch9wavefront6targetE1EEEvT1_
	.globl	_ZN7rocprim17ROCPRIM_400000_NS6detail17trampoline_kernelINS0_14default_configENS1_25transform_config_selectorIsLb0EEEZNS1_14transform_implILb0ES3_S5_N6thrust23THRUST_200600_302600_NS6detail15normal_iteratorINS8_10device_ptrIsEEEEPsNS0_8identityIsEEEE10hipError_tT2_T3_mT4_P12ihipStream_tbEUlT_E_NS1_11comp_targetILNS1_3genE10ELNS1_11target_archE1201ELNS1_3gpuE5ELNS1_3repE0EEENS1_30default_config_static_selectorELNS0_4arch9wavefront6targetE1EEEvT1_
	.p2align	8
	.type	_ZN7rocprim17ROCPRIM_400000_NS6detail17trampoline_kernelINS0_14default_configENS1_25transform_config_selectorIsLb0EEEZNS1_14transform_implILb0ES3_S5_N6thrust23THRUST_200600_302600_NS6detail15normal_iteratorINS8_10device_ptrIsEEEEPsNS0_8identityIsEEEE10hipError_tT2_T3_mT4_P12ihipStream_tbEUlT_E_NS1_11comp_targetILNS1_3genE10ELNS1_11target_archE1201ELNS1_3gpuE5ELNS1_3repE0EEENS1_30default_config_static_selectorELNS0_4arch9wavefront6targetE1EEEvT1_,@function
_ZN7rocprim17ROCPRIM_400000_NS6detail17trampoline_kernelINS0_14default_configENS1_25transform_config_selectorIsLb0EEEZNS1_14transform_implILb0ES3_S5_N6thrust23THRUST_200600_302600_NS6detail15normal_iteratorINS8_10device_ptrIsEEEEPsNS0_8identityIsEEEE10hipError_tT2_T3_mT4_P12ihipStream_tbEUlT_E_NS1_11comp_targetILNS1_3genE10ELNS1_11target_archE1201ELNS1_3gpuE5ELNS1_3repE0EEENS1_30default_config_static_selectorELNS0_4arch9wavefront6targetE1EEEvT1_: ; @_ZN7rocprim17ROCPRIM_400000_NS6detail17trampoline_kernelINS0_14default_configENS1_25transform_config_selectorIsLb0EEEZNS1_14transform_implILb0ES3_S5_N6thrust23THRUST_200600_302600_NS6detail15normal_iteratorINS8_10device_ptrIsEEEEPsNS0_8identityIsEEEE10hipError_tT2_T3_mT4_P12ihipStream_tbEUlT_E_NS1_11comp_targetILNS1_3genE10ELNS1_11target_archE1201ELNS1_3gpuE5ELNS1_3repE0EEENS1_30default_config_static_selectorELNS0_4arch9wavefront6targetE1EEEvT1_
; %bb.0:
	.section	.rodata,"a",@progbits
	.p2align	6, 0x0
	.amdhsa_kernel _ZN7rocprim17ROCPRIM_400000_NS6detail17trampoline_kernelINS0_14default_configENS1_25transform_config_selectorIsLb0EEEZNS1_14transform_implILb0ES3_S5_N6thrust23THRUST_200600_302600_NS6detail15normal_iteratorINS8_10device_ptrIsEEEEPsNS0_8identityIsEEEE10hipError_tT2_T3_mT4_P12ihipStream_tbEUlT_E_NS1_11comp_targetILNS1_3genE10ELNS1_11target_archE1201ELNS1_3gpuE5ELNS1_3repE0EEENS1_30default_config_static_selectorELNS0_4arch9wavefront6targetE1EEEvT1_
		.amdhsa_group_segment_fixed_size 0
		.amdhsa_private_segment_fixed_size 0
		.amdhsa_kernarg_size 40
		.amdhsa_user_sgpr_count 2
		.amdhsa_user_sgpr_dispatch_ptr 0
		.amdhsa_user_sgpr_queue_ptr 0
		.amdhsa_user_sgpr_kernarg_segment_ptr 1
		.amdhsa_user_sgpr_dispatch_id 0
		.amdhsa_user_sgpr_kernarg_preload_length 0
		.amdhsa_user_sgpr_kernarg_preload_offset 0
		.amdhsa_user_sgpr_private_segment_size 0
		.amdhsa_uses_dynamic_stack 0
		.amdhsa_enable_private_segment 0
		.amdhsa_system_sgpr_workgroup_id_x 1
		.amdhsa_system_sgpr_workgroup_id_y 0
		.amdhsa_system_sgpr_workgroup_id_z 0
		.amdhsa_system_sgpr_workgroup_info 0
		.amdhsa_system_vgpr_workitem_id 0
		.amdhsa_next_free_vgpr 1
		.amdhsa_next_free_sgpr 0
		.amdhsa_accum_offset 4
		.amdhsa_reserve_vcc 0
		.amdhsa_float_round_mode_32 0
		.amdhsa_float_round_mode_16_64 0
		.amdhsa_float_denorm_mode_32 3
		.amdhsa_float_denorm_mode_16_64 3
		.amdhsa_dx10_clamp 1
		.amdhsa_ieee_mode 1
		.amdhsa_fp16_overflow 0
		.amdhsa_tg_split 0
		.amdhsa_exception_fp_ieee_invalid_op 0
		.amdhsa_exception_fp_denorm_src 0
		.amdhsa_exception_fp_ieee_div_zero 0
		.amdhsa_exception_fp_ieee_overflow 0
		.amdhsa_exception_fp_ieee_underflow 0
		.amdhsa_exception_fp_ieee_inexact 0
		.amdhsa_exception_int_div_zero 0
	.end_amdhsa_kernel
	.section	.text._ZN7rocprim17ROCPRIM_400000_NS6detail17trampoline_kernelINS0_14default_configENS1_25transform_config_selectorIsLb0EEEZNS1_14transform_implILb0ES3_S5_N6thrust23THRUST_200600_302600_NS6detail15normal_iteratorINS8_10device_ptrIsEEEEPsNS0_8identityIsEEEE10hipError_tT2_T3_mT4_P12ihipStream_tbEUlT_E_NS1_11comp_targetILNS1_3genE10ELNS1_11target_archE1201ELNS1_3gpuE5ELNS1_3repE0EEENS1_30default_config_static_selectorELNS0_4arch9wavefront6targetE1EEEvT1_,"axG",@progbits,_ZN7rocprim17ROCPRIM_400000_NS6detail17trampoline_kernelINS0_14default_configENS1_25transform_config_selectorIsLb0EEEZNS1_14transform_implILb0ES3_S5_N6thrust23THRUST_200600_302600_NS6detail15normal_iteratorINS8_10device_ptrIsEEEEPsNS0_8identityIsEEEE10hipError_tT2_T3_mT4_P12ihipStream_tbEUlT_E_NS1_11comp_targetILNS1_3genE10ELNS1_11target_archE1201ELNS1_3gpuE5ELNS1_3repE0EEENS1_30default_config_static_selectorELNS0_4arch9wavefront6targetE1EEEvT1_,comdat
.Lfunc_end1638:
	.size	_ZN7rocprim17ROCPRIM_400000_NS6detail17trampoline_kernelINS0_14default_configENS1_25transform_config_selectorIsLb0EEEZNS1_14transform_implILb0ES3_S5_N6thrust23THRUST_200600_302600_NS6detail15normal_iteratorINS8_10device_ptrIsEEEEPsNS0_8identityIsEEEE10hipError_tT2_T3_mT4_P12ihipStream_tbEUlT_E_NS1_11comp_targetILNS1_3genE10ELNS1_11target_archE1201ELNS1_3gpuE5ELNS1_3repE0EEENS1_30default_config_static_selectorELNS0_4arch9wavefront6targetE1EEEvT1_, .Lfunc_end1638-_ZN7rocprim17ROCPRIM_400000_NS6detail17trampoline_kernelINS0_14default_configENS1_25transform_config_selectorIsLb0EEEZNS1_14transform_implILb0ES3_S5_N6thrust23THRUST_200600_302600_NS6detail15normal_iteratorINS8_10device_ptrIsEEEEPsNS0_8identityIsEEEE10hipError_tT2_T3_mT4_P12ihipStream_tbEUlT_E_NS1_11comp_targetILNS1_3genE10ELNS1_11target_archE1201ELNS1_3gpuE5ELNS1_3repE0EEENS1_30default_config_static_selectorELNS0_4arch9wavefront6targetE1EEEvT1_
                                        ; -- End function
	.set _ZN7rocprim17ROCPRIM_400000_NS6detail17trampoline_kernelINS0_14default_configENS1_25transform_config_selectorIsLb0EEEZNS1_14transform_implILb0ES3_S5_N6thrust23THRUST_200600_302600_NS6detail15normal_iteratorINS8_10device_ptrIsEEEEPsNS0_8identityIsEEEE10hipError_tT2_T3_mT4_P12ihipStream_tbEUlT_E_NS1_11comp_targetILNS1_3genE10ELNS1_11target_archE1201ELNS1_3gpuE5ELNS1_3repE0EEENS1_30default_config_static_selectorELNS0_4arch9wavefront6targetE1EEEvT1_.num_vgpr, 0
	.set _ZN7rocprim17ROCPRIM_400000_NS6detail17trampoline_kernelINS0_14default_configENS1_25transform_config_selectorIsLb0EEEZNS1_14transform_implILb0ES3_S5_N6thrust23THRUST_200600_302600_NS6detail15normal_iteratorINS8_10device_ptrIsEEEEPsNS0_8identityIsEEEE10hipError_tT2_T3_mT4_P12ihipStream_tbEUlT_E_NS1_11comp_targetILNS1_3genE10ELNS1_11target_archE1201ELNS1_3gpuE5ELNS1_3repE0EEENS1_30default_config_static_selectorELNS0_4arch9wavefront6targetE1EEEvT1_.num_agpr, 0
	.set _ZN7rocprim17ROCPRIM_400000_NS6detail17trampoline_kernelINS0_14default_configENS1_25transform_config_selectorIsLb0EEEZNS1_14transform_implILb0ES3_S5_N6thrust23THRUST_200600_302600_NS6detail15normal_iteratorINS8_10device_ptrIsEEEEPsNS0_8identityIsEEEE10hipError_tT2_T3_mT4_P12ihipStream_tbEUlT_E_NS1_11comp_targetILNS1_3genE10ELNS1_11target_archE1201ELNS1_3gpuE5ELNS1_3repE0EEENS1_30default_config_static_selectorELNS0_4arch9wavefront6targetE1EEEvT1_.numbered_sgpr, 0
	.set _ZN7rocprim17ROCPRIM_400000_NS6detail17trampoline_kernelINS0_14default_configENS1_25transform_config_selectorIsLb0EEEZNS1_14transform_implILb0ES3_S5_N6thrust23THRUST_200600_302600_NS6detail15normal_iteratorINS8_10device_ptrIsEEEEPsNS0_8identityIsEEEE10hipError_tT2_T3_mT4_P12ihipStream_tbEUlT_E_NS1_11comp_targetILNS1_3genE10ELNS1_11target_archE1201ELNS1_3gpuE5ELNS1_3repE0EEENS1_30default_config_static_selectorELNS0_4arch9wavefront6targetE1EEEvT1_.num_named_barrier, 0
	.set _ZN7rocprim17ROCPRIM_400000_NS6detail17trampoline_kernelINS0_14default_configENS1_25transform_config_selectorIsLb0EEEZNS1_14transform_implILb0ES3_S5_N6thrust23THRUST_200600_302600_NS6detail15normal_iteratorINS8_10device_ptrIsEEEEPsNS0_8identityIsEEEE10hipError_tT2_T3_mT4_P12ihipStream_tbEUlT_E_NS1_11comp_targetILNS1_3genE10ELNS1_11target_archE1201ELNS1_3gpuE5ELNS1_3repE0EEENS1_30default_config_static_selectorELNS0_4arch9wavefront6targetE1EEEvT1_.private_seg_size, 0
	.set _ZN7rocprim17ROCPRIM_400000_NS6detail17trampoline_kernelINS0_14default_configENS1_25transform_config_selectorIsLb0EEEZNS1_14transform_implILb0ES3_S5_N6thrust23THRUST_200600_302600_NS6detail15normal_iteratorINS8_10device_ptrIsEEEEPsNS0_8identityIsEEEE10hipError_tT2_T3_mT4_P12ihipStream_tbEUlT_E_NS1_11comp_targetILNS1_3genE10ELNS1_11target_archE1201ELNS1_3gpuE5ELNS1_3repE0EEENS1_30default_config_static_selectorELNS0_4arch9wavefront6targetE1EEEvT1_.uses_vcc, 0
	.set _ZN7rocprim17ROCPRIM_400000_NS6detail17trampoline_kernelINS0_14default_configENS1_25transform_config_selectorIsLb0EEEZNS1_14transform_implILb0ES3_S5_N6thrust23THRUST_200600_302600_NS6detail15normal_iteratorINS8_10device_ptrIsEEEEPsNS0_8identityIsEEEE10hipError_tT2_T3_mT4_P12ihipStream_tbEUlT_E_NS1_11comp_targetILNS1_3genE10ELNS1_11target_archE1201ELNS1_3gpuE5ELNS1_3repE0EEENS1_30default_config_static_selectorELNS0_4arch9wavefront6targetE1EEEvT1_.uses_flat_scratch, 0
	.set _ZN7rocprim17ROCPRIM_400000_NS6detail17trampoline_kernelINS0_14default_configENS1_25transform_config_selectorIsLb0EEEZNS1_14transform_implILb0ES3_S5_N6thrust23THRUST_200600_302600_NS6detail15normal_iteratorINS8_10device_ptrIsEEEEPsNS0_8identityIsEEEE10hipError_tT2_T3_mT4_P12ihipStream_tbEUlT_E_NS1_11comp_targetILNS1_3genE10ELNS1_11target_archE1201ELNS1_3gpuE5ELNS1_3repE0EEENS1_30default_config_static_selectorELNS0_4arch9wavefront6targetE1EEEvT1_.has_dyn_sized_stack, 0
	.set _ZN7rocprim17ROCPRIM_400000_NS6detail17trampoline_kernelINS0_14default_configENS1_25transform_config_selectorIsLb0EEEZNS1_14transform_implILb0ES3_S5_N6thrust23THRUST_200600_302600_NS6detail15normal_iteratorINS8_10device_ptrIsEEEEPsNS0_8identityIsEEEE10hipError_tT2_T3_mT4_P12ihipStream_tbEUlT_E_NS1_11comp_targetILNS1_3genE10ELNS1_11target_archE1201ELNS1_3gpuE5ELNS1_3repE0EEENS1_30default_config_static_selectorELNS0_4arch9wavefront6targetE1EEEvT1_.has_recursion, 0
	.set _ZN7rocprim17ROCPRIM_400000_NS6detail17trampoline_kernelINS0_14default_configENS1_25transform_config_selectorIsLb0EEEZNS1_14transform_implILb0ES3_S5_N6thrust23THRUST_200600_302600_NS6detail15normal_iteratorINS8_10device_ptrIsEEEEPsNS0_8identityIsEEEE10hipError_tT2_T3_mT4_P12ihipStream_tbEUlT_E_NS1_11comp_targetILNS1_3genE10ELNS1_11target_archE1201ELNS1_3gpuE5ELNS1_3repE0EEENS1_30default_config_static_selectorELNS0_4arch9wavefront6targetE1EEEvT1_.has_indirect_call, 0
	.section	.AMDGPU.csdata,"",@progbits
; Kernel info:
; codeLenInByte = 0
; TotalNumSgprs: 6
; NumVgprs: 0
; NumAgprs: 0
; TotalNumVgprs: 0
; ScratchSize: 0
; MemoryBound: 0
; FloatMode: 240
; IeeeMode: 1
; LDSByteSize: 0 bytes/workgroup (compile time only)
; SGPRBlocks: 0
; VGPRBlocks: 0
; NumSGPRsForWavesPerEU: 6
; NumVGPRsForWavesPerEU: 1
; AccumOffset: 4
; Occupancy: 8
; WaveLimiterHint : 0
; COMPUTE_PGM_RSRC2:SCRATCH_EN: 0
; COMPUTE_PGM_RSRC2:USER_SGPR: 2
; COMPUTE_PGM_RSRC2:TRAP_HANDLER: 0
; COMPUTE_PGM_RSRC2:TGID_X_EN: 1
; COMPUTE_PGM_RSRC2:TGID_Y_EN: 0
; COMPUTE_PGM_RSRC2:TGID_Z_EN: 0
; COMPUTE_PGM_RSRC2:TIDIG_COMP_CNT: 0
; COMPUTE_PGM_RSRC3_GFX90A:ACCUM_OFFSET: 0
; COMPUTE_PGM_RSRC3_GFX90A:TG_SPLIT: 0
	.section	.text._ZN7rocprim17ROCPRIM_400000_NS6detail17trampoline_kernelINS0_14default_configENS1_25transform_config_selectorIsLb0EEEZNS1_14transform_implILb0ES3_S5_N6thrust23THRUST_200600_302600_NS6detail15normal_iteratorINS8_10device_ptrIsEEEEPsNS0_8identityIsEEEE10hipError_tT2_T3_mT4_P12ihipStream_tbEUlT_E_NS1_11comp_targetILNS1_3genE10ELNS1_11target_archE1200ELNS1_3gpuE4ELNS1_3repE0EEENS1_30default_config_static_selectorELNS0_4arch9wavefront6targetE1EEEvT1_,"axG",@progbits,_ZN7rocprim17ROCPRIM_400000_NS6detail17trampoline_kernelINS0_14default_configENS1_25transform_config_selectorIsLb0EEEZNS1_14transform_implILb0ES3_S5_N6thrust23THRUST_200600_302600_NS6detail15normal_iteratorINS8_10device_ptrIsEEEEPsNS0_8identityIsEEEE10hipError_tT2_T3_mT4_P12ihipStream_tbEUlT_E_NS1_11comp_targetILNS1_3genE10ELNS1_11target_archE1200ELNS1_3gpuE4ELNS1_3repE0EEENS1_30default_config_static_selectorELNS0_4arch9wavefront6targetE1EEEvT1_,comdat
	.protected	_ZN7rocprim17ROCPRIM_400000_NS6detail17trampoline_kernelINS0_14default_configENS1_25transform_config_selectorIsLb0EEEZNS1_14transform_implILb0ES3_S5_N6thrust23THRUST_200600_302600_NS6detail15normal_iteratorINS8_10device_ptrIsEEEEPsNS0_8identityIsEEEE10hipError_tT2_T3_mT4_P12ihipStream_tbEUlT_E_NS1_11comp_targetILNS1_3genE10ELNS1_11target_archE1200ELNS1_3gpuE4ELNS1_3repE0EEENS1_30default_config_static_selectorELNS0_4arch9wavefront6targetE1EEEvT1_ ; -- Begin function _ZN7rocprim17ROCPRIM_400000_NS6detail17trampoline_kernelINS0_14default_configENS1_25transform_config_selectorIsLb0EEEZNS1_14transform_implILb0ES3_S5_N6thrust23THRUST_200600_302600_NS6detail15normal_iteratorINS8_10device_ptrIsEEEEPsNS0_8identityIsEEEE10hipError_tT2_T3_mT4_P12ihipStream_tbEUlT_E_NS1_11comp_targetILNS1_3genE10ELNS1_11target_archE1200ELNS1_3gpuE4ELNS1_3repE0EEENS1_30default_config_static_selectorELNS0_4arch9wavefront6targetE1EEEvT1_
	.globl	_ZN7rocprim17ROCPRIM_400000_NS6detail17trampoline_kernelINS0_14default_configENS1_25transform_config_selectorIsLb0EEEZNS1_14transform_implILb0ES3_S5_N6thrust23THRUST_200600_302600_NS6detail15normal_iteratorINS8_10device_ptrIsEEEEPsNS0_8identityIsEEEE10hipError_tT2_T3_mT4_P12ihipStream_tbEUlT_E_NS1_11comp_targetILNS1_3genE10ELNS1_11target_archE1200ELNS1_3gpuE4ELNS1_3repE0EEENS1_30default_config_static_selectorELNS0_4arch9wavefront6targetE1EEEvT1_
	.p2align	8
	.type	_ZN7rocprim17ROCPRIM_400000_NS6detail17trampoline_kernelINS0_14default_configENS1_25transform_config_selectorIsLb0EEEZNS1_14transform_implILb0ES3_S5_N6thrust23THRUST_200600_302600_NS6detail15normal_iteratorINS8_10device_ptrIsEEEEPsNS0_8identityIsEEEE10hipError_tT2_T3_mT4_P12ihipStream_tbEUlT_E_NS1_11comp_targetILNS1_3genE10ELNS1_11target_archE1200ELNS1_3gpuE4ELNS1_3repE0EEENS1_30default_config_static_selectorELNS0_4arch9wavefront6targetE1EEEvT1_,@function
_ZN7rocprim17ROCPRIM_400000_NS6detail17trampoline_kernelINS0_14default_configENS1_25transform_config_selectorIsLb0EEEZNS1_14transform_implILb0ES3_S5_N6thrust23THRUST_200600_302600_NS6detail15normal_iteratorINS8_10device_ptrIsEEEEPsNS0_8identityIsEEEE10hipError_tT2_T3_mT4_P12ihipStream_tbEUlT_E_NS1_11comp_targetILNS1_3genE10ELNS1_11target_archE1200ELNS1_3gpuE4ELNS1_3repE0EEENS1_30default_config_static_selectorELNS0_4arch9wavefront6targetE1EEEvT1_: ; @_ZN7rocprim17ROCPRIM_400000_NS6detail17trampoline_kernelINS0_14default_configENS1_25transform_config_selectorIsLb0EEEZNS1_14transform_implILb0ES3_S5_N6thrust23THRUST_200600_302600_NS6detail15normal_iteratorINS8_10device_ptrIsEEEEPsNS0_8identityIsEEEE10hipError_tT2_T3_mT4_P12ihipStream_tbEUlT_E_NS1_11comp_targetILNS1_3genE10ELNS1_11target_archE1200ELNS1_3gpuE4ELNS1_3repE0EEENS1_30default_config_static_selectorELNS0_4arch9wavefront6targetE1EEEvT1_
; %bb.0:
	.section	.rodata,"a",@progbits
	.p2align	6, 0x0
	.amdhsa_kernel _ZN7rocprim17ROCPRIM_400000_NS6detail17trampoline_kernelINS0_14default_configENS1_25transform_config_selectorIsLb0EEEZNS1_14transform_implILb0ES3_S5_N6thrust23THRUST_200600_302600_NS6detail15normal_iteratorINS8_10device_ptrIsEEEEPsNS0_8identityIsEEEE10hipError_tT2_T3_mT4_P12ihipStream_tbEUlT_E_NS1_11comp_targetILNS1_3genE10ELNS1_11target_archE1200ELNS1_3gpuE4ELNS1_3repE0EEENS1_30default_config_static_selectorELNS0_4arch9wavefront6targetE1EEEvT1_
		.amdhsa_group_segment_fixed_size 0
		.amdhsa_private_segment_fixed_size 0
		.amdhsa_kernarg_size 40
		.amdhsa_user_sgpr_count 2
		.amdhsa_user_sgpr_dispatch_ptr 0
		.amdhsa_user_sgpr_queue_ptr 0
		.amdhsa_user_sgpr_kernarg_segment_ptr 1
		.amdhsa_user_sgpr_dispatch_id 0
		.amdhsa_user_sgpr_kernarg_preload_length 0
		.amdhsa_user_sgpr_kernarg_preload_offset 0
		.amdhsa_user_sgpr_private_segment_size 0
		.amdhsa_uses_dynamic_stack 0
		.amdhsa_enable_private_segment 0
		.amdhsa_system_sgpr_workgroup_id_x 1
		.amdhsa_system_sgpr_workgroup_id_y 0
		.amdhsa_system_sgpr_workgroup_id_z 0
		.amdhsa_system_sgpr_workgroup_info 0
		.amdhsa_system_vgpr_workitem_id 0
		.amdhsa_next_free_vgpr 1
		.amdhsa_next_free_sgpr 0
		.amdhsa_accum_offset 4
		.amdhsa_reserve_vcc 0
		.amdhsa_float_round_mode_32 0
		.amdhsa_float_round_mode_16_64 0
		.amdhsa_float_denorm_mode_32 3
		.amdhsa_float_denorm_mode_16_64 3
		.amdhsa_dx10_clamp 1
		.amdhsa_ieee_mode 1
		.amdhsa_fp16_overflow 0
		.amdhsa_tg_split 0
		.amdhsa_exception_fp_ieee_invalid_op 0
		.amdhsa_exception_fp_denorm_src 0
		.amdhsa_exception_fp_ieee_div_zero 0
		.amdhsa_exception_fp_ieee_overflow 0
		.amdhsa_exception_fp_ieee_underflow 0
		.amdhsa_exception_fp_ieee_inexact 0
		.amdhsa_exception_int_div_zero 0
	.end_amdhsa_kernel
	.section	.text._ZN7rocprim17ROCPRIM_400000_NS6detail17trampoline_kernelINS0_14default_configENS1_25transform_config_selectorIsLb0EEEZNS1_14transform_implILb0ES3_S5_N6thrust23THRUST_200600_302600_NS6detail15normal_iteratorINS8_10device_ptrIsEEEEPsNS0_8identityIsEEEE10hipError_tT2_T3_mT4_P12ihipStream_tbEUlT_E_NS1_11comp_targetILNS1_3genE10ELNS1_11target_archE1200ELNS1_3gpuE4ELNS1_3repE0EEENS1_30default_config_static_selectorELNS0_4arch9wavefront6targetE1EEEvT1_,"axG",@progbits,_ZN7rocprim17ROCPRIM_400000_NS6detail17trampoline_kernelINS0_14default_configENS1_25transform_config_selectorIsLb0EEEZNS1_14transform_implILb0ES3_S5_N6thrust23THRUST_200600_302600_NS6detail15normal_iteratorINS8_10device_ptrIsEEEEPsNS0_8identityIsEEEE10hipError_tT2_T3_mT4_P12ihipStream_tbEUlT_E_NS1_11comp_targetILNS1_3genE10ELNS1_11target_archE1200ELNS1_3gpuE4ELNS1_3repE0EEENS1_30default_config_static_selectorELNS0_4arch9wavefront6targetE1EEEvT1_,comdat
.Lfunc_end1639:
	.size	_ZN7rocprim17ROCPRIM_400000_NS6detail17trampoline_kernelINS0_14default_configENS1_25transform_config_selectorIsLb0EEEZNS1_14transform_implILb0ES3_S5_N6thrust23THRUST_200600_302600_NS6detail15normal_iteratorINS8_10device_ptrIsEEEEPsNS0_8identityIsEEEE10hipError_tT2_T3_mT4_P12ihipStream_tbEUlT_E_NS1_11comp_targetILNS1_3genE10ELNS1_11target_archE1200ELNS1_3gpuE4ELNS1_3repE0EEENS1_30default_config_static_selectorELNS0_4arch9wavefront6targetE1EEEvT1_, .Lfunc_end1639-_ZN7rocprim17ROCPRIM_400000_NS6detail17trampoline_kernelINS0_14default_configENS1_25transform_config_selectorIsLb0EEEZNS1_14transform_implILb0ES3_S5_N6thrust23THRUST_200600_302600_NS6detail15normal_iteratorINS8_10device_ptrIsEEEEPsNS0_8identityIsEEEE10hipError_tT2_T3_mT4_P12ihipStream_tbEUlT_E_NS1_11comp_targetILNS1_3genE10ELNS1_11target_archE1200ELNS1_3gpuE4ELNS1_3repE0EEENS1_30default_config_static_selectorELNS0_4arch9wavefront6targetE1EEEvT1_
                                        ; -- End function
	.set _ZN7rocprim17ROCPRIM_400000_NS6detail17trampoline_kernelINS0_14default_configENS1_25transform_config_selectorIsLb0EEEZNS1_14transform_implILb0ES3_S5_N6thrust23THRUST_200600_302600_NS6detail15normal_iteratorINS8_10device_ptrIsEEEEPsNS0_8identityIsEEEE10hipError_tT2_T3_mT4_P12ihipStream_tbEUlT_E_NS1_11comp_targetILNS1_3genE10ELNS1_11target_archE1200ELNS1_3gpuE4ELNS1_3repE0EEENS1_30default_config_static_selectorELNS0_4arch9wavefront6targetE1EEEvT1_.num_vgpr, 0
	.set _ZN7rocprim17ROCPRIM_400000_NS6detail17trampoline_kernelINS0_14default_configENS1_25transform_config_selectorIsLb0EEEZNS1_14transform_implILb0ES3_S5_N6thrust23THRUST_200600_302600_NS6detail15normal_iteratorINS8_10device_ptrIsEEEEPsNS0_8identityIsEEEE10hipError_tT2_T3_mT4_P12ihipStream_tbEUlT_E_NS1_11comp_targetILNS1_3genE10ELNS1_11target_archE1200ELNS1_3gpuE4ELNS1_3repE0EEENS1_30default_config_static_selectorELNS0_4arch9wavefront6targetE1EEEvT1_.num_agpr, 0
	.set _ZN7rocprim17ROCPRIM_400000_NS6detail17trampoline_kernelINS0_14default_configENS1_25transform_config_selectorIsLb0EEEZNS1_14transform_implILb0ES3_S5_N6thrust23THRUST_200600_302600_NS6detail15normal_iteratorINS8_10device_ptrIsEEEEPsNS0_8identityIsEEEE10hipError_tT2_T3_mT4_P12ihipStream_tbEUlT_E_NS1_11comp_targetILNS1_3genE10ELNS1_11target_archE1200ELNS1_3gpuE4ELNS1_3repE0EEENS1_30default_config_static_selectorELNS0_4arch9wavefront6targetE1EEEvT1_.numbered_sgpr, 0
	.set _ZN7rocprim17ROCPRIM_400000_NS6detail17trampoline_kernelINS0_14default_configENS1_25transform_config_selectorIsLb0EEEZNS1_14transform_implILb0ES3_S5_N6thrust23THRUST_200600_302600_NS6detail15normal_iteratorINS8_10device_ptrIsEEEEPsNS0_8identityIsEEEE10hipError_tT2_T3_mT4_P12ihipStream_tbEUlT_E_NS1_11comp_targetILNS1_3genE10ELNS1_11target_archE1200ELNS1_3gpuE4ELNS1_3repE0EEENS1_30default_config_static_selectorELNS0_4arch9wavefront6targetE1EEEvT1_.num_named_barrier, 0
	.set _ZN7rocprim17ROCPRIM_400000_NS6detail17trampoline_kernelINS0_14default_configENS1_25transform_config_selectorIsLb0EEEZNS1_14transform_implILb0ES3_S5_N6thrust23THRUST_200600_302600_NS6detail15normal_iteratorINS8_10device_ptrIsEEEEPsNS0_8identityIsEEEE10hipError_tT2_T3_mT4_P12ihipStream_tbEUlT_E_NS1_11comp_targetILNS1_3genE10ELNS1_11target_archE1200ELNS1_3gpuE4ELNS1_3repE0EEENS1_30default_config_static_selectorELNS0_4arch9wavefront6targetE1EEEvT1_.private_seg_size, 0
	.set _ZN7rocprim17ROCPRIM_400000_NS6detail17trampoline_kernelINS0_14default_configENS1_25transform_config_selectorIsLb0EEEZNS1_14transform_implILb0ES3_S5_N6thrust23THRUST_200600_302600_NS6detail15normal_iteratorINS8_10device_ptrIsEEEEPsNS0_8identityIsEEEE10hipError_tT2_T3_mT4_P12ihipStream_tbEUlT_E_NS1_11comp_targetILNS1_3genE10ELNS1_11target_archE1200ELNS1_3gpuE4ELNS1_3repE0EEENS1_30default_config_static_selectorELNS0_4arch9wavefront6targetE1EEEvT1_.uses_vcc, 0
	.set _ZN7rocprim17ROCPRIM_400000_NS6detail17trampoline_kernelINS0_14default_configENS1_25transform_config_selectorIsLb0EEEZNS1_14transform_implILb0ES3_S5_N6thrust23THRUST_200600_302600_NS6detail15normal_iteratorINS8_10device_ptrIsEEEEPsNS0_8identityIsEEEE10hipError_tT2_T3_mT4_P12ihipStream_tbEUlT_E_NS1_11comp_targetILNS1_3genE10ELNS1_11target_archE1200ELNS1_3gpuE4ELNS1_3repE0EEENS1_30default_config_static_selectorELNS0_4arch9wavefront6targetE1EEEvT1_.uses_flat_scratch, 0
	.set _ZN7rocprim17ROCPRIM_400000_NS6detail17trampoline_kernelINS0_14default_configENS1_25transform_config_selectorIsLb0EEEZNS1_14transform_implILb0ES3_S5_N6thrust23THRUST_200600_302600_NS6detail15normal_iteratorINS8_10device_ptrIsEEEEPsNS0_8identityIsEEEE10hipError_tT2_T3_mT4_P12ihipStream_tbEUlT_E_NS1_11comp_targetILNS1_3genE10ELNS1_11target_archE1200ELNS1_3gpuE4ELNS1_3repE0EEENS1_30default_config_static_selectorELNS0_4arch9wavefront6targetE1EEEvT1_.has_dyn_sized_stack, 0
	.set _ZN7rocprim17ROCPRIM_400000_NS6detail17trampoline_kernelINS0_14default_configENS1_25transform_config_selectorIsLb0EEEZNS1_14transform_implILb0ES3_S5_N6thrust23THRUST_200600_302600_NS6detail15normal_iteratorINS8_10device_ptrIsEEEEPsNS0_8identityIsEEEE10hipError_tT2_T3_mT4_P12ihipStream_tbEUlT_E_NS1_11comp_targetILNS1_3genE10ELNS1_11target_archE1200ELNS1_3gpuE4ELNS1_3repE0EEENS1_30default_config_static_selectorELNS0_4arch9wavefront6targetE1EEEvT1_.has_recursion, 0
	.set _ZN7rocprim17ROCPRIM_400000_NS6detail17trampoline_kernelINS0_14default_configENS1_25transform_config_selectorIsLb0EEEZNS1_14transform_implILb0ES3_S5_N6thrust23THRUST_200600_302600_NS6detail15normal_iteratorINS8_10device_ptrIsEEEEPsNS0_8identityIsEEEE10hipError_tT2_T3_mT4_P12ihipStream_tbEUlT_E_NS1_11comp_targetILNS1_3genE10ELNS1_11target_archE1200ELNS1_3gpuE4ELNS1_3repE0EEENS1_30default_config_static_selectorELNS0_4arch9wavefront6targetE1EEEvT1_.has_indirect_call, 0
	.section	.AMDGPU.csdata,"",@progbits
; Kernel info:
; codeLenInByte = 0
; TotalNumSgprs: 6
; NumVgprs: 0
; NumAgprs: 0
; TotalNumVgprs: 0
; ScratchSize: 0
; MemoryBound: 0
; FloatMode: 240
; IeeeMode: 1
; LDSByteSize: 0 bytes/workgroup (compile time only)
; SGPRBlocks: 0
; VGPRBlocks: 0
; NumSGPRsForWavesPerEU: 6
; NumVGPRsForWavesPerEU: 1
; AccumOffset: 4
; Occupancy: 8
; WaveLimiterHint : 0
; COMPUTE_PGM_RSRC2:SCRATCH_EN: 0
; COMPUTE_PGM_RSRC2:USER_SGPR: 2
; COMPUTE_PGM_RSRC2:TRAP_HANDLER: 0
; COMPUTE_PGM_RSRC2:TGID_X_EN: 1
; COMPUTE_PGM_RSRC2:TGID_Y_EN: 0
; COMPUTE_PGM_RSRC2:TGID_Z_EN: 0
; COMPUTE_PGM_RSRC2:TIDIG_COMP_CNT: 0
; COMPUTE_PGM_RSRC3_GFX90A:ACCUM_OFFSET: 0
; COMPUTE_PGM_RSRC3_GFX90A:TG_SPLIT: 0
	.section	.text._ZN7rocprim17ROCPRIM_400000_NS6detail17trampoline_kernelINS0_14default_configENS1_25transform_config_selectorIsLb0EEEZNS1_14transform_implILb0ES3_S5_N6thrust23THRUST_200600_302600_NS6detail15normal_iteratorINS8_10device_ptrIsEEEEPsNS0_8identityIsEEEE10hipError_tT2_T3_mT4_P12ihipStream_tbEUlT_E_NS1_11comp_targetILNS1_3genE9ELNS1_11target_archE1100ELNS1_3gpuE3ELNS1_3repE0EEENS1_30default_config_static_selectorELNS0_4arch9wavefront6targetE1EEEvT1_,"axG",@progbits,_ZN7rocprim17ROCPRIM_400000_NS6detail17trampoline_kernelINS0_14default_configENS1_25transform_config_selectorIsLb0EEEZNS1_14transform_implILb0ES3_S5_N6thrust23THRUST_200600_302600_NS6detail15normal_iteratorINS8_10device_ptrIsEEEEPsNS0_8identityIsEEEE10hipError_tT2_T3_mT4_P12ihipStream_tbEUlT_E_NS1_11comp_targetILNS1_3genE9ELNS1_11target_archE1100ELNS1_3gpuE3ELNS1_3repE0EEENS1_30default_config_static_selectorELNS0_4arch9wavefront6targetE1EEEvT1_,comdat
	.protected	_ZN7rocprim17ROCPRIM_400000_NS6detail17trampoline_kernelINS0_14default_configENS1_25transform_config_selectorIsLb0EEEZNS1_14transform_implILb0ES3_S5_N6thrust23THRUST_200600_302600_NS6detail15normal_iteratorINS8_10device_ptrIsEEEEPsNS0_8identityIsEEEE10hipError_tT2_T3_mT4_P12ihipStream_tbEUlT_E_NS1_11comp_targetILNS1_3genE9ELNS1_11target_archE1100ELNS1_3gpuE3ELNS1_3repE0EEENS1_30default_config_static_selectorELNS0_4arch9wavefront6targetE1EEEvT1_ ; -- Begin function _ZN7rocprim17ROCPRIM_400000_NS6detail17trampoline_kernelINS0_14default_configENS1_25transform_config_selectorIsLb0EEEZNS1_14transform_implILb0ES3_S5_N6thrust23THRUST_200600_302600_NS6detail15normal_iteratorINS8_10device_ptrIsEEEEPsNS0_8identityIsEEEE10hipError_tT2_T3_mT4_P12ihipStream_tbEUlT_E_NS1_11comp_targetILNS1_3genE9ELNS1_11target_archE1100ELNS1_3gpuE3ELNS1_3repE0EEENS1_30default_config_static_selectorELNS0_4arch9wavefront6targetE1EEEvT1_
	.globl	_ZN7rocprim17ROCPRIM_400000_NS6detail17trampoline_kernelINS0_14default_configENS1_25transform_config_selectorIsLb0EEEZNS1_14transform_implILb0ES3_S5_N6thrust23THRUST_200600_302600_NS6detail15normal_iteratorINS8_10device_ptrIsEEEEPsNS0_8identityIsEEEE10hipError_tT2_T3_mT4_P12ihipStream_tbEUlT_E_NS1_11comp_targetILNS1_3genE9ELNS1_11target_archE1100ELNS1_3gpuE3ELNS1_3repE0EEENS1_30default_config_static_selectorELNS0_4arch9wavefront6targetE1EEEvT1_
	.p2align	8
	.type	_ZN7rocprim17ROCPRIM_400000_NS6detail17trampoline_kernelINS0_14default_configENS1_25transform_config_selectorIsLb0EEEZNS1_14transform_implILb0ES3_S5_N6thrust23THRUST_200600_302600_NS6detail15normal_iteratorINS8_10device_ptrIsEEEEPsNS0_8identityIsEEEE10hipError_tT2_T3_mT4_P12ihipStream_tbEUlT_E_NS1_11comp_targetILNS1_3genE9ELNS1_11target_archE1100ELNS1_3gpuE3ELNS1_3repE0EEENS1_30default_config_static_selectorELNS0_4arch9wavefront6targetE1EEEvT1_,@function
_ZN7rocprim17ROCPRIM_400000_NS6detail17trampoline_kernelINS0_14default_configENS1_25transform_config_selectorIsLb0EEEZNS1_14transform_implILb0ES3_S5_N6thrust23THRUST_200600_302600_NS6detail15normal_iteratorINS8_10device_ptrIsEEEEPsNS0_8identityIsEEEE10hipError_tT2_T3_mT4_P12ihipStream_tbEUlT_E_NS1_11comp_targetILNS1_3genE9ELNS1_11target_archE1100ELNS1_3gpuE3ELNS1_3repE0EEENS1_30default_config_static_selectorELNS0_4arch9wavefront6targetE1EEEvT1_: ; @_ZN7rocprim17ROCPRIM_400000_NS6detail17trampoline_kernelINS0_14default_configENS1_25transform_config_selectorIsLb0EEEZNS1_14transform_implILb0ES3_S5_N6thrust23THRUST_200600_302600_NS6detail15normal_iteratorINS8_10device_ptrIsEEEEPsNS0_8identityIsEEEE10hipError_tT2_T3_mT4_P12ihipStream_tbEUlT_E_NS1_11comp_targetILNS1_3genE9ELNS1_11target_archE1100ELNS1_3gpuE3ELNS1_3repE0EEENS1_30default_config_static_selectorELNS0_4arch9wavefront6targetE1EEEvT1_
; %bb.0:
	.section	.rodata,"a",@progbits
	.p2align	6, 0x0
	.amdhsa_kernel _ZN7rocprim17ROCPRIM_400000_NS6detail17trampoline_kernelINS0_14default_configENS1_25transform_config_selectorIsLb0EEEZNS1_14transform_implILb0ES3_S5_N6thrust23THRUST_200600_302600_NS6detail15normal_iteratorINS8_10device_ptrIsEEEEPsNS0_8identityIsEEEE10hipError_tT2_T3_mT4_P12ihipStream_tbEUlT_E_NS1_11comp_targetILNS1_3genE9ELNS1_11target_archE1100ELNS1_3gpuE3ELNS1_3repE0EEENS1_30default_config_static_selectorELNS0_4arch9wavefront6targetE1EEEvT1_
		.amdhsa_group_segment_fixed_size 0
		.amdhsa_private_segment_fixed_size 0
		.amdhsa_kernarg_size 40
		.amdhsa_user_sgpr_count 2
		.amdhsa_user_sgpr_dispatch_ptr 0
		.amdhsa_user_sgpr_queue_ptr 0
		.amdhsa_user_sgpr_kernarg_segment_ptr 1
		.amdhsa_user_sgpr_dispatch_id 0
		.amdhsa_user_sgpr_kernarg_preload_length 0
		.amdhsa_user_sgpr_kernarg_preload_offset 0
		.amdhsa_user_sgpr_private_segment_size 0
		.amdhsa_uses_dynamic_stack 0
		.amdhsa_enable_private_segment 0
		.amdhsa_system_sgpr_workgroup_id_x 1
		.amdhsa_system_sgpr_workgroup_id_y 0
		.amdhsa_system_sgpr_workgroup_id_z 0
		.amdhsa_system_sgpr_workgroup_info 0
		.amdhsa_system_vgpr_workitem_id 0
		.amdhsa_next_free_vgpr 1
		.amdhsa_next_free_sgpr 0
		.amdhsa_accum_offset 4
		.amdhsa_reserve_vcc 0
		.amdhsa_float_round_mode_32 0
		.amdhsa_float_round_mode_16_64 0
		.amdhsa_float_denorm_mode_32 3
		.amdhsa_float_denorm_mode_16_64 3
		.amdhsa_dx10_clamp 1
		.amdhsa_ieee_mode 1
		.amdhsa_fp16_overflow 0
		.amdhsa_tg_split 0
		.amdhsa_exception_fp_ieee_invalid_op 0
		.amdhsa_exception_fp_denorm_src 0
		.amdhsa_exception_fp_ieee_div_zero 0
		.amdhsa_exception_fp_ieee_overflow 0
		.amdhsa_exception_fp_ieee_underflow 0
		.amdhsa_exception_fp_ieee_inexact 0
		.amdhsa_exception_int_div_zero 0
	.end_amdhsa_kernel
	.section	.text._ZN7rocprim17ROCPRIM_400000_NS6detail17trampoline_kernelINS0_14default_configENS1_25transform_config_selectorIsLb0EEEZNS1_14transform_implILb0ES3_S5_N6thrust23THRUST_200600_302600_NS6detail15normal_iteratorINS8_10device_ptrIsEEEEPsNS0_8identityIsEEEE10hipError_tT2_T3_mT4_P12ihipStream_tbEUlT_E_NS1_11comp_targetILNS1_3genE9ELNS1_11target_archE1100ELNS1_3gpuE3ELNS1_3repE0EEENS1_30default_config_static_selectorELNS0_4arch9wavefront6targetE1EEEvT1_,"axG",@progbits,_ZN7rocprim17ROCPRIM_400000_NS6detail17trampoline_kernelINS0_14default_configENS1_25transform_config_selectorIsLb0EEEZNS1_14transform_implILb0ES3_S5_N6thrust23THRUST_200600_302600_NS6detail15normal_iteratorINS8_10device_ptrIsEEEEPsNS0_8identityIsEEEE10hipError_tT2_T3_mT4_P12ihipStream_tbEUlT_E_NS1_11comp_targetILNS1_3genE9ELNS1_11target_archE1100ELNS1_3gpuE3ELNS1_3repE0EEENS1_30default_config_static_selectorELNS0_4arch9wavefront6targetE1EEEvT1_,comdat
.Lfunc_end1640:
	.size	_ZN7rocprim17ROCPRIM_400000_NS6detail17trampoline_kernelINS0_14default_configENS1_25transform_config_selectorIsLb0EEEZNS1_14transform_implILb0ES3_S5_N6thrust23THRUST_200600_302600_NS6detail15normal_iteratorINS8_10device_ptrIsEEEEPsNS0_8identityIsEEEE10hipError_tT2_T3_mT4_P12ihipStream_tbEUlT_E_NS1_11comp_targetILNS1_3genE9ELNS1_11target_archE1100ELNS1_3gpuE3ELNS1_3repE0EEENS1_30default_config_static_selectorELNS0_4arch9wavefront6targetE1EEEvT1_, .Lfunc_end1640-_ZN7rocprim17ROCPRIM_400000_NS6detail17trampoline_kernelINS0_14default_configENS1_25transform_config_selectorIsLb0EEEZNS1_14transform_implILb0ES3_S5_N6thrust23THRUST_200600_302600_NS6detail15normal_iteratorINS8_10device_ptrIsEEEEPsNS0_8identityIsEEEE10hipError_tT2_T3_mT4_P12ihipStream_tbEUlT_E_NS1_11comp_targetILNS1_3genE9ELNS1_11target_archE1100ELNS1_3gpuE3ELNS1_3repE0EEENS1_30default_config_static_selectorELNS0_4arch9wavefront6targetE1EEEvT1_
                                        ; -- End function
	.set _ZN7rocprim17ROCPRIM_400000_NS6detail17trampoline_kernelINS0_14default_configENS1_25transform_config_selectorIsLb0EEEZNS1_14transform_implILb0ES3_S5_N6thrust23THRUST_200600_302600_NS6detail15normal_iteratorINS8_10device_ptrIsEEEEPsNS0_8identityIsEEEE10hipError_tT2_T3_mT4_P12ihipStream_tbEUlT_E_NS1_11comp_targetILNS1_3genE9ELNS1_11target_archE1100ELNS1_3gpuE3ELNS1_3repE0EEENS1_30default_config_static_selectorELNS0_4arch9wavefront6targetE1EEEvT1_.num_vgpr, 0
	.set _ZN7rocprim17ROCPRIM_400000_NS6detail17trampoline_kernelINS0_14default_configENS1_25transform_config_selectorIsLb0EEEZNS1_14transform_implILb0ES3_S5_N6thrust23THRUST_200600_302600_NS6detail15normal_iteratorINS8_10device_ptrIsEEEEPsNS0_8identityIsEEEE10hipError_tT2_T3_mT4_P12ihipStream_tbEUlT_E_NS1_11comp_targetILNS1_3genE9ELNS1_11target_archE1100ELNS1_3gpuE3ELNS1_3repE0EEENS1_30default_config_static_selectorELNS0_4arch9wavefront6targetE1EEEvT1_.num_agpr, 0
	.set _ZN7rocprim17ROCPRIM_400000_NS6detail17trampoline_kernelINS0_14default_configENS1_25transform_config_selectorIsLb0EEEZNS1_14transform_implILb0ES3_S5_N6thrust23THRUST_200600_302600_NS6detail15normal_iteratorINS8_10device_ptrIsEEEEPsNS0_8identityIsEEEE10hipError_tT2_T3_mT4_P12ihipStream_tbEUlT_E_NS1_11comp_targetILNS1_3genE9ELNS1_11target_archE1100ELNS1_3gpuE3ELNS1_3repE0EEENS1_30default_config_static_selectorELNS0_4arch9wavefront6targetE1EEEvT1_.numbered_sgpr, 0
	.set _ZN7rocprim17ROCPRIM_400000_NS6detail17trampoline_kernelINS0_14default_configENS1_25transform_config_selectorIsLb0EEEZNS1_14transform_implILb0ES3_S5_N6thrust23THRUST_200600_302600_NS6detail15normal_iteratorINS8_10device_ptrIsEEEEPsNS0_8identityIsEEEE10hipError_tT2_T3_mT4_P12ihipStream_tbEUlT_E_NS1_11comp_targetILNS1_3genE9ELNS1_11target_archE1100ELNS1_3gpuE3ELNS1_3repE0EEENS1_30default_config_static_selectorELNS0_4arch9wavefront6targetE1EEEvT1_.num_named_barrier, 0
	.set _ZN7rocprim17ROCPRIM_400000_NS6detail17trampoline_kernelINS0_14default_configENS1_25transform_config_selectorIsLb0EEEZNS1_14transform_implILb0ES3_S5_N6thrust23THRUST_200600_302600_NS6detail15normal_iteratorINS8_10device_ptrIsEEEEPsNS0_8identityIsEEEE10hipError_tT2_T3_mT4_P12ihipStream_tbEUlT_E_NS1_11comp_targetILNS1_3genE9ELNS1_11target_archE1100ELNS1_3gpuE3ELNS1_3repE0EEENS1_30default_config_static_selectorELNS0_4arch9wavefront6targetE1EEEvT1_.private_seg_size, 0
	.set _ZN7rocprim17ROCPRIM_400000_NS6detail17trampoline_kernelINS0_14default_configENS1_25transform_config_selectorIsLb0EEEZNS1_14transform_implILb0ES3_S5_N6thrust23THRUST_200600_302600_NS6detail15normal_iteratorINS8_10device_ptrIsEEEEPsNS0_8identityIsEEEE10hipError_tT2_T3_mT4_P12ihipStream_tbEUlT_E_NS1_11comp_targetILNS1_3genE9ELNS1_11target_archE1100ELNS1_3gpuE3ELNS1_3repE0EEENS1_30default_config_static_selectorELNS0_4arch9wavefront6targetE1EEEvT1_.uses_vcc, 0
	.set _ZN7rocprim17ROCPRIM_400000_NS6detail17trampoline_kernelINS0_14default_configENS1_25transform_config_selectorIsLb0EEEZNS1_14transform_implILb0ES3_S5_N6thrust23THRUST_200600_302600_NS6detail15normal_iteratorINS8_10device_ptrIsEEEEPsNS0_8identityIsEEEE10hipError_tT2_T3_mT4_P12ihipStream_tbEUlT_E_NS1_11comp_targetILNS1_3genE9ELNS1_11target_archE1100ELNS1_3gpuE3ELNS1_3repE0EEENS1_30default_config_static_selectorELNS0_4arch9wavefront6targetE1EEEvT1_.uses_flat_scratch, 0
	.set _ZN7rocprim17ROCPRIM_400000_NS6detail17trampoline_kernelINS0_14default_configENS1_25transform_config_selectorIsLb0EEEZNS1_14transform_implILb0ES3_S5_N6thrust23THRUST_200600_302600_NS6detail15normal_iteratorINS8_10device_ptrIsEEEEPsNS0_8identityIsEEEE10hipError_tT2_T3_mT4_P12ihipStream_tbEUlT_E_NS1_11comp_targetILNS1_3genE9ELNS1_11target_archE1100ELNS1_3gpuE3ELNS1_3repE0EEENS1_30default_config_static_selectorELNS0_4arch9wavefront6targetE1EEEvT1_.has_dyn_sized_stack, 0
	.set _ZN7rocprim17ROCPRIM_400000_NS6detail17trampoline_kernelINS0_14default_configENS1_25transform_config_selectorIsLb0EEEZNS1_14transform_implILb0ES3_S5_N6thrust23THRUST_200600_302600_NS6detail15normal_iteratorINS8_10device_ptrIsEEEEPsNS0_8identityIsEEEE10hipError_tT2_T3_mT4_P12ihipStream_tbEUlT_E_NS1_11comp_targetILNS1_3genE9ELNS1_11target_archE1100ELNS1_3gpuE3ELNS1_3repE0EEENS1_30default_config_static_selectorELNS0_4arch9wavefront6targetE1EEEvT1_.has_recursion, 0
	.set _ZN7rocprim17ROCPRIM_400000_NS6detail17trampoline_kernelINS0_14default_configENS1_25transform_config_selectorIsLb0EEEZNS1_14transform_implILb0ES3_S5_N6thrust23THRUST_200600_302600_NS6detail15normal_iteratorINS8_10device_ptrIsEEEEPsNS0_8identityIsEEEE10hipError_tT2_T3_mT4_P12ihipStream_tbEUlT_E_NS1_11comp_targetILNS1_3genE9ELNS1_11target_archE1100ELNS1_3gpuE3ELNS1_3repE0EEENS1_30default_config_static_selectorELNS0_4arch9wavefront6targetE1EEEvT1_.has_indirect_call, 0
	.section	.AMDGPU.csdata,"",@progbits
; Kernel info:
; codeLenInByte = 0
; TotalNumSgprs: 6
; NumVgprs: 0
; NumAgprs: 0
; TotalNumVgprs: 0
; ScratchSize: 0
; MemoryBound: 0
; FloatMode: 240
; IeeeMode: 1
; LDSByteSize: 0 bytes/workgroup (compile time only)
; SGPRBlocks: 0
; VGPRBlocks: 0
; NumSGPRsForWavesPerEU: 6
; NumVGPRsForWavesPerEU: 1
; AccumOffset: 4
; Occupancy: 8
; WaveLimiterHint : 0
; COMPUTE_PGM_RSRC2:SCRATCH_EN: 0
; COMPUTE_PGM_RSRC2:USER_SGPR: 2
; COMPUTE_PGM_RSRC2:TRAP_HANDLER: 0
; COMPUTE_PGM_RSRC2:TGID_X_EN: 1
; COMPUTE_PGM_RSRC2:TGID_Y_EN: 0
; COMPUTE_PGM_RSRC2:TGID_Z_EN: 0
; COMPUTE_PGM_RSRC2:TIDIG_COMP_CNT: 0
; COMPUTE_PGM_RSRC3_GFX90A:ACCUM_OFFSET: 0
; COMPUTE_PGM_RSRC3_GFX90A:TG_SPLIT: 0
	.section	.text._ZN7rocprim17ROCPRIM_400000_NS6detail17trampoline_kernelINS0_14default_configENS1_25transform_config_selectorIsLb0EEEZNS1_14transform_implILb0ES3_S5_N6thrust23THRUST_200600_302600_NS6detail15normal_iteratorINS8_10device_ptrIsEEEEPsNS0_8identityIsEEEE10hipError_tT2_T3_mT4_P12ihipStream_tbEUlT_E_NS1_11comp_targetILNS1_3genE8ELNS1_11target_archE1030ELNS1_3gpuE2ELNS1_3repE0EEENS1_30default_config_static_selectorELNS0_4arch9wavefront6targetE1EEEvT1_,"axG",@progbits,_ZN7rocprim17ROCPRIM_400000_NS6detail17trampoline_kernelINS0_14default_configENS1_25transform_config_selectorIsLb0EEEZNS1_14transform_implILb0ES3_S5_N6thrust23THRUST_200600_302600_NS6detail15normal_iteratorINS8_10device_ptrIsEEEEPsNS0_8identityIsEEEE10hipError_tT2_T3_mT4_P12ihipStream_tbEUlT_E_NS1_11comp_targetILNS1_3genE8ELNS1_11target_archE1030ELNS1_3gpuE2ELNS1_3repE0EEENS1_30default_config_static_selectorELNS0_4arch9wavefront6targetE1EEEvT1_,comdat
	.protected	_ZN7rocprim17ROCPRIM_400000_NS6detail17trampoline_kernelINS0_14default_configENS1_25transform_config_selectorIsLb0EEEZNS1_14transform_implILb0ES3_S5_N6thrust23THRUST_200600_302600_NS6detail15normal_iteratorINS8_10device_ptrIsEEEEPsNS0_8identityIsEEEE10hipError_tT2_T3_mT4_P12ihipStream_tbEUlT_E_NS1_11comp_targetILNS1_3genE8ELNS1_11target_archE1030ELNS1_3gpuE2ELNS1_3repE0EEENS1_30default_config_static_selectorELNS0_4arch9wavefront6targetE1EEEvT1_ ; -- Begin function _ZN7rocprim17ROCPRIM_400000_NS6detail17trampoline_kernelINS0_14default_configENS1_25transform_config_selectorIsLb0EEEZNS1_14transform_implILb0ES3_S5_N6thrust23THRUST_200600_302600_NS6detail15normal_iteratorINS8_10device_ptrIsEEEEPsNS0_8identityIsEEEE10hipError_tT2_T3_mT4_P12ihipStream_tbEUlT_E_NS1_11comp_targetILNS1_3genE8ELNS1_11target_archE1030ELNS1_3gpuE2ELNS1_3repE0EEENS1_30default_config_static_selectorELNS0_4arch9wavefront6targetE1EEEvT1_
	.globl	_ZN7rocprim17ROCPRIM_400000_NS6detail17trampoline_kernelINS0_14default_configENS1_25transform_config_selectorIsLb0EEEZNS1_14transform_implILb0ES3_S5_N6thrust23THRUST_200600_302600_NS6detail15normal_iteratorINS8_10device_ptrIsEEEEPsNS0_8identityIsEEEE10hipError_tT2_T3_mT4_P12ihipStream_tbEUlT_E_NS1_11comp_targetILNS1_3genE8ELNS1_11target_archE1030ELNS1_3gpuE2ELNS1_3repE0EEENS1_30default_config_static_selectorELNS0_4arch9wavefront6targetE1EEEvT1_
	.p2align	8
	.type	_ZN7rocprim17ROCPRIM_400000_NS6detail17trampoline_kernelINS0_14default_configENS1_25transform_config_selectorIsLb0EEEZNS1_14transform_implILb0ES3_S5_N6thrust23THRUST_200600_302600_NS6detail15normal_iteratorINS8_10device_ptrIsEEEEPsNS0_8identityIsEEEE10hipError_tT2_T3_mT4_P12ihipStream_tbEUlT_E_NS1_11comp_targetILNS1_3genE8ELNS1_11target_archE1030ELNS1_3gpuE2ELNS1_3repE0EEENS1_30default_config_static_selectorELNS0_4arch9wavefront6targetE1EEEvT1_,@function
_ZN7rocprim17ROCPRIM_400000_NS6detail17trampoline_kernelINS0_14default_configENS1_25transform_config_selectorIsLb0EEEZNS1_14transform_implILb0ES3_S5_N6thrust23THRUST_200600_302600_NS6detail15normal_iteratorINS8_10device_ptrIsEEEEPsNS0_8identityIsEEEE10hipError_tT2_T3_mT4_P12ihipStream_tbEUlT_E_NS1_11comp_targetILNS1_3genE8ELNS1_11target_archE1030ELNS1_3gpuE2ELNS1_3repE0EEENS1_30default_config_static_selectorELNS0_4arch9wavefront6targetE1EEEvT1_: ; @_ZN7rocprim17ROCPRIM_400000_NS6detail17trampoline_kernelINS0_14default_configENS1_25transform_config_selectorIsLb0EEEZNS1_14transform_implILb0ES3_S5_N6thrust23THRUST_200600_302600_NS6detail15normal_iteratorINS8_10device_ptrIsEEEEPsNS0_8identityIsEEEE10hipError_tT2_T3_mT4_P12ihipStream_tbEUlT_E_NS1_11comp_targetILNS1_3genE8ELNS1_11target_archE1030ELNS1_3gpuE2ELNS1_3repE0EEENS1_30default_config_static_selectorELNS0_4arch9wavefront6targetE1EEEvT1_
; %bb.0:
	.section	.rodata,"a",@progbits
	.p2align	6, 0x0
	.amdhsa_kernel _ZN7rocprim17ROCPRIM_400000_NS6detail17trampoline_kernelINS0_14default_configENS1_25transform_config_selectorIsLb0EEEZNS1_14transform_implILb0ES3_S5_N6thrust23THRUST_200600_302600_NS6detail15normal_iteratorINS8_10device_ptrIsEEEEPsNS0_8identityIsEEEE10hipError_tT2_T3_mT4_P12ihipStream_tbEUlT_E_NS1_11comp_targetILNS1_3genE8ELNS1_11target_archE1030ELNS1_3gpuE2ELNS1_3repE0EEENS1_30default_config_static_selectorELNS0_4arch9wavefront6targetE1EEEvT1_
		.amdhsa_group_segment_fixed_size 0
		.amdhsa_private_segment_fixed_size 0
		.amdhsa_kernarg_size 40
		.amdhsa_user_sgpr_count 2
		.amdhsa_user_sgpr_dispatch_ptr 0
		.amdhsa_user_sgpr_queue_ptr 0
		.amdhsa_user_sgpr_kernarg_segment_ptr 1
		.amdhsa_user_sgpr_dispatch_id 0
		.amdhsa_user_sgpr_kernarg_preload_length 0
		.amdhsa_user_sgpr_kernarg_preload_offset 0
		.amdhsa_user_sgpr_private_segment_size 0
		.amdhsa_uses_dynamic_stack 0
		.amdhsa_enable_private_segment 0
		.amdhsa_system_sgpr_workgroup_id_x 1
		.amdhsa_system_sgpr_workgroup_id_y 0
		.amdhsa_system_sgpr_workgroup_id_z 0
		.amdhsa_system_sgpr_workgroup_info 0
		.amdhsa_system_vgpr_workitem_id 0
		.amdhsa_next_free_vgpr 1
		.amdhsa_next_free_sgpr 0
		.amdhsa_accum_offset 4
		.amdhsa_reserve_vcc 0
		.amdhsa_float_round_mode_32 0
		.amdhsa_float_round_mode_16_64 0
		.amdhsa_float_denorm_mode_32 3
		.amdhsa_float_denorm_mode_16_64 3
		.amdhsa_dx10_clamp 1
		.amdhsa_ieee_mode 1
		.amdhsa_fp16_overflow 0
		.amdhsa_tg_split 0
		.amdhsa_exception_fp_ieee_invalid_op 0
		.amdhsa_exception_fp_denorm_src 0
		.amdhsa_exception_fp_ieee_div_zero 0
		.amdhsa_exception_fp_ieee_overflow 0
		.amdhsa_exception_fp_ieee_underflow 0
		.amdhsa_exception_fp_ieee_inexact 0
		.amdhsa_exception_int_div_zero 0
	.end_amdhsa_kernel
	.section	.text._ZN7rocprim17ROCPRIM_400000_NS6detail17trampoline_kernelINS0_14default_configENS1_25transform_config_selectorIsLb0EEEZNS1_14transform_implILb0ES3_S5_N6thrust23THRUST_200600_302600_NS6detail15normal_iteratorINS8_10device_ptrIsEEEEPsNS0_8identityIsEEEE10hipError_tT2_T3_mT4_P12ihipStream_tbEUlT_E_NS1_11comp_targetILNS1_3genE8ELNS1_11target_archE1030ELNS1_3gpuE2ELNS1_3repE0EEENS1_30default_config_static_selectorELNS0_4arch9wavefront6targetE1EEEvT1_,"axG",@progbits,_ZN7rocprim17ROCPRIM_400000_NS6detail17trampoline_kernelINS0_14default_configENS1_25transform_config_selectorIsLb0EEEZNS1_14transform_implILb0ES3_S5_N6thrust23THRUST_200600_302600_NS6detail15normal_iteratorINS8_10device_ptrIsEEEEPsNS0_8identityIsEEEE10hipError_tT2_T3_mT4_P12ihipStream_tbEUlT_E_NS1_11comp_targetILNS1_3genE8ELNS1_11target_archE1030ELNS1_3gpuE2ELNS1_3repE0EEENS1_30default_config_static_selectorELNS0_4arch9wavefront6targetE1EEEvT1_,comdat
.Lfunc_end1641:
	.size	_ZN7rocprim17ROCPRIM_400000_NS6detail17trampoline_kernelINS0_14default_configENS1_25transform_config_selectorIsLb0EEEZNS1_14transform_implILb0ES3_S5_N6thrust23THRUST_200600_302600_NS6detail15normal_iteratorINS8_10device_ptrIsEEEEPsNS0_8identityIsEEEE10hipError_tT2_T3_mT4_P12ihipStream_tbEUlT_E_NS1_11comp_targetILNS1_3genE8ELNS1_11target_archE1030ELNS1_3gpuE2ELNS1_3repE0EEENS1_30default_config_static_selectorELNS0_4arch9wavefront6targetE1EEEvT1_, .Lfunc_end1641-_ZN7rocprim17ROCPRIM_400000_NS6detail17trampoline_kernelINS0_14default_configENS1_25transform_config_selectorIsLb0EEEZNS1_14transform_implILb0ES3_S5_N6thrust23THRUST_200600_302600_NS6detail15normal_iteratorINS8_10device_ptrIsEEEEPsNS0_8identityIsEEEE10hipError_tT2_T3_mT4_P12ihipStream_tbEUlT_E_NS1_11comp_targetILNS1_3genE8ELNS1_11target_archE1030ELNS1_3gpuE2ELNS1_3repE0EEENS1_30default_config_static_selectorELNS0_4arch9wavefront6targetE1EEEvT1_
                                        ; -- End function
	.set _ZN7rocprim17ROCPRIM_400000_NS6detail17trampoline_kernelINS0_14default_configENS1_25transform_config_selectorIsLb0EEEZNS1_14transform_implILb0ES3_S5_N6thrust23THRUST_200600_302600_NS6detail15normal_iteratorINS8_10device_ptrIsEEEEPsNS0_8identityIsEEEE10hipError_tT2_T3_mT4_P12ihipStream_tbEUlT_E_NS1_11comp_targetILNS1_3genE8ELNS1_11target_archE1030ELNS1_3gpuE2ELNS1_3repE0EEENS1_30default_config_static_selectorELNS0_4arch9wavefront6targetE1EEEvT1_.num_vgpr, 0
	.set _ZN7rocprim17ROCPRIM_400000_NS6detail17trampoline_kernelINS0_14default_configENS1_25transform_config_selectorIsLb0EEEZNS1_14transform_implILb0ES3_S5_N6thrust23THRUST_200600_302600_NS6detail15normal_iteratorINS8_10device_ptrIsEEEEPsNS0_8identityIsEEEE10hipError_tT2_T3_mT4_P12ihipStream_tbEUlT_E_NS1_11comp_targetILNS1_3genE8ELNS1_11target_archE1030ELNS1_3gpuE2ELNS1_3repE0EEENS1_30default_config_static_selectorELNS0_4arch9wavefront6targetE1EEEvT1_.num_agpr, 0
	.set _ZN7rocprim17ROCPRIM_400000_NS6detail17trampoline_kernelINS0_14default_configENS1_25transform_config_selectorIsLb0EEEZNS1_14transform_implILb0ES3_S5_N6thrust23THRUST_200600_302600_NS6detail15normal_iteratorINS8_10device_ptrIsEEEEPsNS0_8identityIsEEEE10hipError_tT2_T3_mT4_P12ihipStream_tbEUlT_E_NS1_11comp_targetILNS1_3genE8ELNS1_11target_archE1030ELNS1_3gpuE2ELNS1_3repE0EEENS1_30default_config_static_selectorELNS0_4arch9wavefront6targetE1EEEvT1_.numbered_sgpr, 0
	.set _ZN7rocprim17ROCPRIM_400000_NS6detail17trampoline_kernelINS0_14default_configENS1_25transform_config_selectorIsLb0EEEZNS1_14transform_implILb0ES3_S5_N6thrust23THRUST_200600_302600_NS6detail15normal_iteratorINS8_10device_ptrIsEEEEPsNS0_8identityIsEEEE10hipError_tT2_T3_mT4_P12ihipStream_tbEUlT_E_NS1_11comp_targetILNS1_3genE8ELNS1_11target_archE1030ELNS1_3gpuE2ELNS1_3repE0EEENS1_30default_config_static_selectorELNS0_4arch9wavefront6targetE1EEEvT1_.num_named_barrier, 0
	.set _ZN7rocprim17ROCPRIM_400000_NS6detail17trampoline_kernelINS0_14default_configENS1_25transform_config_selectorIsLb0EEEZNS1_14transform_implILb0ES3_S5_N6thrust23THRUST_200600_302600_NS6detail15normal_iteratorINS8_10device_ptrIsEEEEPsNS0_8identityIsEEEE10hipError_tT2_T3_mT4_P12ihipStream_tbEUlT_E_NS1_11comp_targetILNS1_3genE8ELNS1_11target_archE1030ELNS1_3gpuE2ELNS1_3repE0EEENS1_30default_config_static_selectorELNS0_4arch9wavefront6targetE1EEEvT1_.private_seg_size, 0
	.set _ZN7rocprim17ROCPRIM_400000_NS6detail17trampoline_kernelINS0_14default_configENS1_25transform_config_selectorIsLb0EEEZNS1_14transform_implILb0ES3_S5_N6thrust23THRUST_200600_302600_NS6detail15normal_iteratorINS8_10device_ptrIsEEEEPsNS0_8identityIsEEEE10hipError_tT2_T3_mT4_P12ihipStream_tbEUlT_E_NS1_11comp_targetILNS1_3genE8ELNS1_11target_archE1030ELNS1_3gpuE2ELNS1_3repE0EEENS1_30default_config_static_selectorELNS0_4arch9wavefront6targetE1EEEvT1_.uses_vcc, 0
	.set _ZN7rocprim17ROCPRIM_400000_NS6detail17trampoline_kernelINS0_14default_configENS1_25transform_config_selectorIsLb0EEEZNS1_14transform_implILb0ES3_S5_N6thrust23THRUST_200600_302600_NS6detail15normal_iteratorINS8_10device_ptrIsEEEEPsNS0_8identityIsEEEE10hipError_tT2_T3_mT4_P12ihipStream_tbEUlT_E_NS1_11comp_targetILNS1_3genE8ELNS1_11target_archE1030ELNS1_3gpuE2ELNS1_3repE0EEENS1_30default_config_static_selectorELNS0_4arch9wavefront6targetE1EEEvT1_.uses_flat_scratch, 0
	.set _ZN7rocprim17ROCPRIM_400000_NS6detail17trampoline_kernelINS0_14default_configENS1_25transform_config_selectorIsLb0EEEZNS1_14transform_implILb0ES3_S5_N6thrust23THRUST_200600_302600_NS6detail15normal_iteratorINS8_10device_ptrIsEEEEPsNS0_8identityIsEEEE10hipError_tT2_T3_mT4_P12ihipStream_tbEUlT_E_NS1_11comp_targetILNS1_3genE8ELNS1_11target_archE1030ELNS1_3gpuE2ELNS1_3repE0EEENS1_30default_config_static_selectorELNS0_4arch9wavefront6targetE1EEEvT1_.has_dyn_sized_stack, 0
	.set _ZN7rocprim17ROCPRIM_400000_NS6detail17trampoline_kernelINS0_14default_configENS1_25transform_config_selectorIsLb0EEEZNS1_14transform_implILb0ES3_S5_N6thrust23THRUST_200600_302600_NS6detail15normal_iteratorINS8_10device_ptrIsEEEEPsNS0_8identityIsEEEE10hipError_tT2_T3_mT4_P12ihipStream_tbEUlT_E_NS1_11comp_targetILNS1_3genE8ELNS1_11target_archE1030ELNS1_3gpuE2ELNS1_3repE0EEENS1_30default_config_static_selectorELNS0_4arch9wavefront6targetE1EEEvT1_.has_recursion, 0
	.set _ZN7rocprim17ROCPRIM_400000_NS6detail17trampoline_kernelINS0_14default_configENS1_25transform_config_selectorIsLb0EEEZNS1_14transform_implILb0ES3_S5_N6thrust23THRUST_200600_302600_NS6detail15normal_iteratorINS8_10device_ptrIsEEEEPsNS0_8identityIsEEEE10hipError_tT2_T3_mT4_P12ihipStream_tbEUlT_E_NS1_11comp_targetILNS1_3genE8ELNS1_11target_archE1030ELNS1_3gpuE2ELNS1_3repE0EEENS1_30default_config_static_selectorELNS0_4arch9wavefront6targetE1EEEvT1_.has_indirect_call, 0
	.section	.AMDGPU.csdata,"",@progbits
; Kernel info:
; codeLenInByte = 0
; TotalNumSgprs: 6
; NumVgprs: 0
; NumAgprs: 0
; TotalNumVgprs: 0
; ScratchSize: 0
; MemoryBound: 0
; FloatMode: 240
; IeeeMode: 1
; LDSByteSize: 0 bytes/workgroup (compile time only)
; SGPRBlocks: 0
; VGPRBlocks: 0
; NumSGPRsForWavesPerEU: 6
; NumVGPRsForWavesPerEU: 1
; AccumOffset: 4
; Occupancy: 8
; WaveLimiterHint : 0
; COMPUTE_PGM_RSRC2:SCRATCH_EN: 0
; COMPUTE_PGM_RSRC2:USER_SGPR: 2
; COMPUTE_PGM_RSRC2:TRAP_HANDLER: 0
; COMPUTE_PGM_RSRC2:TGID_X_EN: 1
; COMPUTE_PGM_RSRC2:TGID_Y_EN: 0
; COMPUTE_PGM_RSRC2:TGID_Z_EN: 0
; COMPUTE_PGM_RSRC2:TIDIG_COMP_CNT: 0
; COMPUTE_PGM_RSRC3_GFX90A:ACCUM_OFFSET: 0
; COMPUTE_PGM_RSRC3_GFX90A:TG_SPLIT: 0
	.section	.text._ZN7rocprim17ROCPRIM_400000_NS6detail17trampoline_kernelINS0_14default_configENS1_35radix_sort_onesweep_config_selectorIssEEZZNS1_29radix_sort_onesweep_iterationIS3_Lb0EN6thrust23THRUST_200600_302600_NS6detail15normal_iteratorINS8_10device_ptrIsEEEESD_SD_SD_jNS0_19identity_decomposerENS1_16block_id_wrapperIjLb1EEEEE10hipError_tT1_PNSt15iterator_traitsISI_E10value_typeET2_T3_PNSJ_ISO_E10value_typeET4_T5_PST_SU_PNS1_23onesweep_lookback_stateEbbT6_jjT7_P12ihipStream_tbENKUlT_T0_SI_SN_E_clISD_SD_SD_SD_EEDaS11_S12_SI_SN_EUlS11_E_NS1_11comp_targetILNS1_3genE0ELNS1_11target_archE4294967295ELNS1_3gpuE0ELNS1_3repE0EEENS1_47radix_sort_onesweep_sort_config_static_selectorELNS0_4arch9wavefront6targetE1EEEvSI_,"axG",@progbits,_ZN7rocprim17ROCPRIM_400000_NS6detail17trampoline_kernelINS0_14default_configENS1_35radix_sort_onesweep_config_selectorIssEEZZNS1_29radix_sort_onesweep_iterationIS3_Lb0EN6thrust23THRUST_200600_302600_NS6detail15normal_iteratorINS8_10device_ptrIsEEEESD_SD_SD_jNS0_19identity_decomposerENS1_16block_id_wrapperIjLb1EEEEE10hipError_tT1_PNSt15iterator_traitsISI_E10value_typeET2_T3_PNSJ_ISO_E10value_typeET4_T5_PST_SU_PNS1_23onesweep_lookback_stateEbbT6_jjT7_P12ihipStream_tbENKUlT_T0_SI_SN_E_clISD_SD_SD_SD_EEDaS11_S12_SI_SN_EUlS11_E_NS1_11comp_targetILNS1_3genE0ELNS1_11target_archE4294967295ELNS1_3gpuE0ELNS1_3repE0EEENS1_47radix_sort_onesweep_sort_config_static_selectorELNS0_4arch9wavefront6targetE1EEEvSI_,comdat
	.protected	_ZN7rocprim17ROCPRIM_400000_NS6detail17trampoline_kernelINS0_14default_configENS1_35radix_sort_onesweep_config_selectorIssEEZZNS1_29radix_sort_onesweep_iterationIS3_Lb0EN6thrust23THRUST_200600_302600_NS6detail15normal_iteratorINS8_10device_ptrIsEEEESD_SD_SD_jNS0_19identity_decomposerENS1_16block_id_wrapperIjLb1EEEEE10hipError_tT1_PNSt15iterator_traitsISI_E10value_typeET2_T3_PNSJ_ISO_E10value_typeET4_T5_PST_SU_PNS1_23onesweep_lookback_stateEbbT6_jjT7_P12ihipStream_tbENKUlT_T0_SI_SN_E_clISD_SD_SD_SD_EEDaS11_S12_SI_SN_EUlS11_E_NS1_11comp_targetILNS1_3genE0ELNS1_11target_archE4294967295ELNS1_3gpuE0ELNS1_3repE0EEENS1_47radix_sort_onesweep_sort_config_static_selectorELNS0_4arch9wavefront6targetE1EEEvSI_ ; -- Begin function _ZN7rocprim17ROCPRIM_400000_NS6detail17trampoline_kernelINS0_14default_configENS1_35radix_sort_onesweep_config_selectorIssEEZZNS1_29radix_sort_onesweep_iterationIS3_Lb0EN6thrust23THRUST_200600_302600_NS6detail15normal_iteratorINS8_10device_ptrIsEEEESD_SD_SD_jNS0_19identity_decomposerENS1_16block_id_wrapperIjLb1EEEEE10hipError_tT1_PNSt15iterator_traitsISI_E10value_typeET2_T3_PNSJ_ISO_E10value_typeET4_T5_PST_SU_PNS1_23onesweep_lookback_stateEbbT6_jjT7_P12ihipStream_tbENKUlT_T0_SI_SN_E_clISD_SD_SD_SD_EEDaS11_S12_SI_SN_EUlS11_E_NS1_11comp_targetILNS1_3genE0ELNS1_11target_archE4294967295ELNS1_3gpuE0ELNS1_3repE0EEENS1_47radix_sort_onesweep_sort_config_static_selectorELNS0_4arch9wavefront6targetE1EEEvSI_
	.globl	_ZN7rocprim17ROCPRIM_400000_NS6detail17trampoline_kernelINS0_14default_configENS1_35radix_sort_onesweep_config_selectorIssEEZZNS1_29radix_sort_onesweep_iterationIS3_Lb0EN6thrust23THRUST_200600_302600_NS6detail15normal_iteratorINS8_10device_ptrIsEEEESD_SD_SD_jNS0_19identity_decomposerENS1_16block_id_wrapperIjLb1EEEEE10hipError_tT1_PNSt15iterator_traitsISI_E10value_typeET2_T3_PNSJ_ISO_E10value_typeET4_T5_PST_SU_PNS1_23onesweep_lookback_stateEbbT6_jjT7_P12ihipStream_tbENKUlT_T0_SI_SN_E_clISD_SD_SD_SD_EEDaS11_S12_SI_SN_EUlS11_E_NS1_11comp_targetILNS1_3genE0ELNS1_11target_archE4294967295ELNS1_3gpuE0ELNS1_3repE0EEENS1_47radix_sort_onesweep_sort_config_static_selectorELNS0_4arch9wavefront6targetE1EEEvSI_
	.p2align	8
	.type	_ZN7rocprim17ROCPRIM_400000_NS6detail17trampoline_kernelINS0_14default_configENS1_35radix_sort_onesweep_config_selectorIssEEZZNS1_29radix_sort_onesweep_iterationIS3_Lb0EN6thrust23THRUST_200600_302600_NS6detail15normal_iteratorINS8_10device_ptrIsEEEESD_SD_SD_jNS0_19identity_decomposerENS1_16block_id_wrapperIjLb1EEEEE10hipError_tT1_PNSt15iterator_traitsISI_E10value_typeET2_T3_PNSJ_ISO_E10value_typeET4_T5_PST_SU_PNS1_23onesweep_lookback_stateEbbT6_jjT7_P12ihipStream_tbENKUlT_T0_SI_SN_E_clISD_SD_SD_SD_EEDaS11_S12_SI_SN_EUlS11_E_NS1_11comp_targetILNS1_3genE0ELNS1_11target_archE4294967295ELNS1_3gpuE0ELNS1_3repE0EEENS1_47radix_sort_onesweep_sort_config_static_selectorELNS0_4arch9wavefront6targetE1EEEvSI_,@function
_ZN7rocprim17ROCPRIM_400000_NS6detail17trampoline_kernelINS0_14default_configENS1_35radix_sort_onesweep_config_selectorIssEEZZNS1_29radix_sort_onesweep_iterationIS3_Lb0EN6thrust23THRUST_200600_302600_NS6detail15normal_iteratorINS8_10device_ptrIsEEEESD_SD_SD_jNS0_19identity_decomposerENS1_16block_id_wrapperIjLb1EEEEE10hipError_tT1_PNSt15iterator_traitsISI_E10value_typeET2_T3_PNSJ_ISO_E10value_typeET4_T5_PST_SU_PNS1_23onesweep_lookback_stateEbbT6_jjT7_P12ihipStream_tbENKUlT_T0_SI_SN_E_clISD_SD_SD_SD_EEDaS11_S12_SI_SN_EUlS11_E_NS1_11comp_targetILNS1_3genE0ELNS1_11target_archE4294967295ELNS1_3gpuE0ELNS1_3repE0EEENS1_47radix_sort_onesweep_sort_config_static_selectorELNS0_4arch9wavefront6targetE1EEEvSI_: ; @_ZN7rocprim17ROCPRIM_400000_NS6detail17trampoline_kernelINS0_14default_configENS1_35radix_sort_onesweep_config_selectorIssEEZZNS1_29radix_sort_onesweep_iterationIS3_Lb0EN6thrust23THRUST_200600_302600_NS6detail15normal_iteratorINS8_10device_ptrIsEEEESD_SD_SD_jNS0_19identity_decomposerENS1_16block_id_wrapperIjLb1EEEEE10hipError_tT1_PNSt15iterator_traitsISI_E10value_typeET2_T3_PNSJ_ISO_E10value_typeET4_T5_PST_SU_PNS1_23onesweep_lookback_stateEbbT6_jjT7_P12ihipStream_tbENKUlT_T0_SI_SN_E_clISD_SD_SD_SD_EEDaS11_S12_SI_SN_EUlS11_E_NS1_11comp_targetILNS1_3genE0ELNS1_11target_archE4294967295ELNS1_3gpuE0ELNS1_3repE0EEENS1_47radix_sort_onesweep_sort_config_static_selectorELNS0_4arch9wavefront6targetE1EEEvSI_
; %bb.0:
	.section	.rodata,"a",@progbits
	.p2align	6, 0x0
	.amdhsa_kernel _ZN7rocprim17ROCPRIM_400000_NS6detail17trampoline_kernelINS0_14default_configENS1_35radix_sort_onesweep_config_selectorIssEEZZNS1_29radix_sort_onesweep_iterationIS3_Lb0EN6thrust23THRUST_200600_302600_NS6detail15normal_iteratorINS8_10device_ptrIsEEEESD_SD_SD_jNS0_19identity_decomposerENS1_16block_id_wrapperIjLb1EEEEE10hipError_tT1_PNSt15iterator_traitsISI_E10value_typeET2_T3_PNSJ_ISO_E10value_typeET4_T5_PST_SU_PNS1_23onesweep_lookback_stateEbbT6_jjT7_P12ihipStream_tbENKUlT_T0_SI_SN_E_clISD_SD_SD_SD_EEDaS11_S12_SI_SN_EUlS11_E_NS1_11comp_targetILNS1_3genE0ELNS1_11target_archE4294967295ELNS1_3gpuE0ELNS1_3repE0EEENS1_47radix_sort_onesweep_sort_config_static_selectorELNS0_4arch9wavefront6targetE1EEEvSI_
		.amdhsa_group_segment_fixed_size 0
		.amdhsa_private_segment_fixed_size 0
		.amdhsa_kernarg_size 88
		.amdhsa_user_sgpr_count 2
		.amdhsa_user_sgpr_dispatch_ptr 0
		.amdhsa_user_sgpr_queue_ptr 0
		.amdhsa_user_sgpr_kernarg_segment_ptr 1
		.amdhsa_user_sgpr_dispatch_id 0
		.amdhsa_user_sgpr_kernarg_preload_length 0
		.amdhsa_user_sgpr_kernarg_preload_offset 0
		.amdhsa_user_sgpr_private_segment_size 0
		.amdhsa_uses_dynamic_stack 0
		.amdhsa_enable_private_segment 0
		.amdhsa_system_sgpr_workgroup_id_x 1
		.amdhsa_system_sgpr_workgroup_id_y 0
		.amdhsa_system_sgpr_workgroup_id_z 0
		.amdhsa_system_sgpr_workgroup_info 0
		.amdhsa_system_vgpr_workitem_id 0
		.amdhsa_next_free_vgpr 1
		.amdhsa_next_free_sgpr 0
		.amdhsa_accum_offset 4
		.amdhsa_reserve_vcc 0
		.amdhsa_float_round_mode_32 0
		.amdhsa_float_round_mode_16_64 0
		.amdhsa_float_denorm_mode_32 3
		.amdhsa_float_denorm_mode_16_64 3
		.amdhsa_dx10_clamp 1
		.amdhsa_ieee_mode 1
		.amdhsa_fp16_overflow 0
		.amdhsa_tg_split 0
		.amdhsa_exception_fp_ieee_invalid_op 0
		.amdhsa_exception_fp_denorm_src 0
		.amdhsa_exception_fp_ieee_div_zero 0
		.amdhsa_exception_fp_ieee_overflow 0
		.amdhsa_exception_fp_ieee_underflow 0
		.amdhsa_exception_fp_ieee_inexact 0
		.amdhsa_exception_int_div_zero 0
	.end_amdhsa_kernel
	.section	.text._ZN7rocprim17ROCPRIM_400000_NS6detail17trampoline_kernelINS0_14default_configENS1_35radix_sort_onesweep_config_selectorIssEEZZNS1_29radix_sort_onesweep_iterationIS3_Lb0EN6thrust23THRUST_200600_302600_NS6detail15normal_iteratorINS8_10device_ptrIsEEEESD_SD_SD_jNS0_19identity_decomposerENS1_16block_id_wrapperIjLb1EEEEE10hipError_tT1_PNSt15iterator_traitsISI_E10value_typeET2_T3_PNSJ_ISO_E10value_typeET4_T5_PST_SU_PNS1_23onesweep_lookback_stateEbbT6_jjT7_P12ihipStream_tbENKUlT_T0_SI_SN_E_clISD_SD_SD_SD_EEDaS11_S12_SI_SN_EUlS11_E_NS1_11comp_targetILNS1_3genE0ELNS1_11target_archE4294967295ELNS1_3gpuE0ELNS1_3repE0EEENS1_47radix_sort_onesweep_sort_config_static_selectorELNS0_4arch9wavefront6targetE1EEEvSI_,"axG",@progbits,_ZN7rocprim17ROCPRIM_400000_NS6detail17trampoline_kernelINS0_14default_configENS1_35radix_sort_onesweep_config_selectorIssEEZZNS1_29radix_sort_onesweep_iterationIS3_Lb0EN6thrust23THRUST_200600_302600_NS6detail15normal_iteratorINS8_10device_ptrIsEEEESD_SD_SD_jNS0_19identity_decomposerENS1_16block_id_wrapperIjLb1EEEEE10hipError_tT1_PNSt15iterator_traitsISI_E10value_typeET2_T3_PNSJ_ISO_E10value_typeET4_T5_PST_SU_PNS1_23onesweep_lookback_stateEbbT6_jjT7_P12ihipStream_tbENKUlT_T0_SI_SN_E_clISD_SD_SD_SD_EEDaS11_S12_SI_SN_EUlS11_E_NS1_11comp_targetILNS1_3genE0ELNS1_11target_archE4294967295ELNS1_3gpuE0ELNS1_3repE0EEENS1_47radix_sort_onesweep_sort_config_static_selectorELNS0_4arch9wavefront6targetE1EEEvSI_,comdat
.Lfunc_end1642:
	.size	_ZN7rocprim17ROCPRIM_400000_NS6detail17trampoline_kernelINS0_14default_configENS1_35radix_sort_onesweep_config_selectorIssEEZZNS1_29radix_sort_onesweep_iterationIS3_Lb0EN6thrust23THRUST_200600_302600_NS6detail15normal_iteratorINS8_10device_ptrIsEEEESD_SD_SD_jNS0_19identity_decomposerENS1_16block_id_wrapperIjLb1EEEEE10hipError_tT1_PNSt15iterator_traitsISI_E10value_typeET2_T3_PNSJ_ISO_E10value_typeET4_T5_PST_SU_PNS1_23onesweep_lookback_stateEbbT6_jjT7_P12ihipStream_tbENKUlT_T0_SI_SN_E_clISD_SD_SD_SD_EEDaS11_S12_SI_SN_EUlS11_E_NS1_11comp_targetILNS1_3genE0ELNS1_11target_archE4294967295ELNS1_3gpuE0ELNS1_3repE0EEENS1_47radix_sort_onesweep_sort_config_static_selectorELNS0_4arch9wavefront6targetE1EEEvSI_, .Lfunc_end1642-_ZN7rocprim17ROCPRIM_400000_NS6detail17trampoline_kernelINS0_14default_configENS1_35radix_sort_onesweep_config_selectorIssEEZZNS1_29radix_sort_onesweep_iterationIS3_Lb0EN6thrust23THRUST_200600_302600_NS6detail15normal_iteratorINS8_10device_ptrIsEEEESD_SD_SD_jNS0_19identity_decomposerENS1_16block_id_wrapperIjLb1EEEEE10hipError_tT1_PNSt15iterator_traitsISI_E10value_typeET2_T3_PNSJ_ISO_E10value_typeET4_T5_PST_SU_PNS1_23onesweep_lookback_stateEbbT6_jjT7_P12ihipStream_tbENKUlT_T0_SI_SN_E_clISD_SD_SD_SD_EEDaS11_S12_SI_SN_EUlS11_E_NS1_11comp_targetILNS1_3genE0ELNS1_11target_archE4294967295ELNS1_3gpuE0ELNS1_3repE0EEENS1_47radix_sort_onesweep_sort_config_static_selectorELNS0_4arch9wavefront6targetE1EEEvSI_
                                        ; -- End function
	.set _ZN7rocprim17ROCPRIM_400000_NS6detail17trampoline_kernelINS0_14default_configENS1_35radix_sort_onesweep_config_selectorIssEEZZNS1_29radix_sort_onesweep_iterationIS3_Lb0EN6thrust23THRUST_200600_302600_NS6detail15normal_iteratorINS8_10device_ptrIsEEEESD_SD_SD_jNS0_19identity_decomposerENS1_16block_id_wrapperIjLb1EEEEE10hipError_tT1_PNSt15iterator_traitsISI_E10value_typeET2_T3_PNSJ_ISO_E10value_typeET4_T5_PST_SU_PNS1_23onesweep_lookback_stateEbbT6_jjT7_P12ihipStream_tbENKUlT_T0_SI_SN_E_clISD_SD_SD_SD_EEDaS11_S12_SI_SN_EUlS11_E_NS1_11comp_targetILNS1_3genE0ELNS1_11target_archE4294967295ELNS1_3gpuE0ELNS1_3repE0EEENS1_47radix_sort_onesweep_sort_config_static_selectorELNS0_4arch9wavefront6targetE1EEEvSI_.num_vgpr, 0
	.set _ZN7rocprim17ROCPRIM_400000_NS6detail17trampoline_kernelINS0_14default_configENS1_35radix_sort_onesweep_config_selectorIssEEZZNS1_29radix_sort_onesweep_iterationIS3_Lb0EN6thrust23THRUST_200600_302600_NS6detail15normal_iteratorINS8_10device_ptrIsEEEESD_SD_SD_jNS0_19identity_decomposerENS1_16block_id_wrapperIjLb1EEEEE10hipError_tT1_PNSt15iterator_traitsISI_E10value_typeET2_T3_PNSJ_ISO_E10value_typeET4_T5_PST_SU_PNS1_23onesweep_lookback_stateEbbT6_jjT7_P12ihipStream_tbENKUlT_T0_SI_SN_E_clISD_SD_SD_SD_EEDaS11_S12_SI_SN_EUlS11_E_NS1_11comp_targetILNS1_3genE0ELNS1_11target_archE4294967295ELNS1_3gpuE0ELNS1_3repE0EEENS1_47radix_sort_onesweep_sort_config_static_selectorELNS0_4arch9wavefront6targetE1EEEvSI_.num_agpr, 0
	.set _ZN7rocprim17ROCPRIM_400000_NS6detail17trampoline_kernelINS0_14default_configENS1_35radix_sort_onesweep_config_selectorIssEEZZNS1_29radix_sort_onesweep_iterationIS3_Lb0EN6thrust23THRUST_200600_302600_NS6detail15normal_iteratorINS8_10device_ptrIsEEEESD_SD_SD_jNS0_19identity_decomposerENS1_16block_id_wrapperIjLb1EEEEE10hipError_tT1_PNSt15iterator_traitsISI_E10value_typeET2_T3_PNSJ_ISO_E10value_typeET4_T5_PST_SU_PNS1_23onesweep_lookback_stateEbbT6_jjT7_P12ihipStream_tbENKUlT_T0_SI_SN_E_clISD_SD_SD_SD_EEDaS11_S12_SI_SN_EUlS11_E_NS1_11comp_targetILNS1_3genE0ELNS1_11target_archE4294967295ELNS1_3gpuE0ELNS1_3repE0EEENS1_47radix_sort_onesweep_sort_config_static_selectorELNS0_4arch9wavefront6targetE1EEEvSI_.numbered_sgpr, 0
	.set _ZN7rocprim17ROCPRIM_400000_NS6detail17trampoline_kernelINS0_14default_configENS1_35radix_sort_onesweep_config_selectorIssEEZZNS1_29radix_sort_onesweep_iterationIS3_Lb0EN6thrust23THRUST_200600_302600_NS6detail15normal_iteratorINS8_10device_ptrIsEEEESD_SD_SD_jNS0_19identity_decomposerENS1_16block_id_wrapperIjLb1EEEEE10hipError_tT1_PNSt15iterator_traitsISI_E10value_typeET2_T3_PNSJ_ISO_E10value_typeET4_T5_PST_SU_PNS1_23onesweep_lookback_stateEbbT6_jjT7_P12ihipStream_tbENKUlT_T0_SI_SN_E_clISD_SD_SD_SD_EEDaS11_S12_SI_SN_EUlS11_E_NS1_11comp_targetILNS1_3genE0ELNS1_11target_archE4294967295ELNS1_3gpuE0ELNS1_3repE0EEENS1_47radix_sort_onesweep_sort_config_static_selectorELNS0_4arch9wavefront6targetE1EEEvSI_.num_named_barrier, 0
	.set _ZN7rocprim17ROCPRIM_400000_NS6detail17trampoline_kernelINS0_14default_configENS1_35radix_sort_onesweep_config_selectorIssEEZZNS1_29radix_sort_onesweep_iterationIS3_Lb0EN6thrust23THRUST_200600_302600_NS6detail15normal_iteratorINS8_10device_ptrIsEEEESD_SD_SD_jNS0_19identity_decomposerENS1_16block_id_wrapperIjLb1EEEEE10hipError_tT1_PNSt15iterator_traitsISI_E10value_typeET2_T3_PNSJ_ISO_E10value_typeET4_T5_PST_SU_PNS1_23onesweep_lookback_stateEbbT6_jjT7_P12ihipStream_tbENKUlT_T0_SI_SN_E_clISD_SD_SD_SD_EEDaS11_S12_SI_SN_EUlS11_E_NS1_11comp_targetILNS1_3genE0ELNS1_11target_archE4294967295ELNS1_3gpuE0ELNS1_3repE0EEENS1_47radix_sort_onesweep_sort_config_static_selectorELNS0_4arch9wavefront6targetE1EEEvSI_.private_seg_size, 0
	.set _ZN7rocprim17ROCPRIM_400000_NS6detail17trampoline_kernelINS0_14default_configENS1_35radix_sort_onesweep_config_selectorIssEEZZNS1_29radix_sort_onesweep_iterationIS3_Lb0EN6thrust23THRUST_200600_302600_NS6detail15normal_iteratorINS8_10device_ptrIsEEEESD_SD_SD_jNS0_19identity_decomposerENS1_16block_id_wrapperIjLb1EEEEE10hipError_tT1_PNSt15iterator_traitsISI_E10value_typeET2_T3_PNSJ_ISO_E10value_typeET4_T5_PST_SU_PNS1_23onesweep_lookback_stateEbbT6_jjT7_P12ihipStream_tbENKUlT_T0_SI_SN_E_clISD_SD_SD_SD_EEDaS11_S12_SI_SN_EUlS11_E_NS1_11comp_targetILNS1_3genE0ELNS1_11target_archE4294967295ELNS1_3gpuE0ELNS1_3repE0EEENS1_47radix_sort_onesweep_sort_config_static_selectorELNS0_4arch9wavefront6targetE1EEEvSI_.uses_vcc, 0
	.set _ZN7rocprim17ROCPRIM_400000_NS6detail17trampoline_kernelINS0_14default_configENS1_35radix_sort_onesweep_config_selectorIssEEZZNS1_29radix_sort_onesweep_iterationIS3_Lb0EN6thrust23THRUST_200600_302600_NS6detail15normal_iteratorINS8_10device_ptrIsEEEESD_SD_SD_jNS0_19identity_decomposerENS1_16block_id_wrapperIjLb1EEEEE10hipError_tT1_PNSt15iterator_traitsISI_E10value_typeET2_T3_PNSJ_ISO_E10value_typeET4_T5_PST_SU_PNS1_23onesweep_lookback_stateEbbT6_jjT7_P12ihipStream_tbENKUlT_T0_SI_SN_E_clISD_SD_SD_SD_EEDaS11_S12_SI_SN_EUlS11_E_NS1_11comp_targetILNS1_3genE0ELNS1_11target_archE4294967295ELNS1_3gpuE0ELNS1_3repE0EEENS1_47radix_sort_onesweep_sort_config_static_selectorELNS0_4arch9wavefront6targetE1EEEvSI_.uses_flat_scratch, 0
	.set _ZN7rocprim17ROCPRIM_400000_NS6detail17trampoline_kernelINS0_14default_configENS1_35radix_sort_onesweep_config_selectorIssEEZZNS1_29radix_sort_onesweep_iterationIS3_Lb0EN6thrust23THRUST_200600_302600_NS6detail15normal_iteratorINS8_10device_ptrIsEEEESD_SD_SD_jNS0_19identity_decomposerENS1_16block_id_wrapperIjLb1EEEEE10hipError_tT1_PNSt15iterator_traitsISI_E10value_typeET2_T3_PNSJ_ISO_E10value_typeET4_T5_PST_SU_PNS1_23onesweep_lookback_stateEbbT6_jjT7_P12ihipStream_tbENKUlT_T0_SI_SN_E_clISD_SD_SD_SD_EEDaS11_S12_SI_SN_EUlS11_E_NS1_11comp_targetILNS1_3genE0ELNS1_11target_archE4294967295ELNS1_3gpuE0ELNS1_3repE0EEENS1_47radix_sort_onesweep_sort_config_static_selectorELNS0_4arch9wavefront6targetE1EEEvSI_.has_dyn_sized_stack, 0
	.set _ZN7rocprim17ROCPRIM_400000_NS6detail17trampoline_kernelINS0_14default_configENS1_35radix_sort_onesweep_config_selectorIssEEZZNS1_29radix_sort_onesweep_iterationIS3_Lb0EN6thrust23THRUST_200600_302600_NS6detail15normal_iteratorINS8_10device_ptrIsEEEESD_SD_SD_jNS0_19identity_decomposerENS1_16block_id_wrapperIjLb1EEEEE10hipError_tT1_PNSt15iterator_traitsISI_E10value_typeET2_T3_PNSJ_ISO_E10value_typeET4_T5_PST_SU_PNS1_23onesweep_lookback_stateEbbT6_jjT7_P12ihipStream_tbENKUlT_T0_SI_SN_E_clISD_SD_SD_SD_EEDaS11_S12_SI_SN_EUlS11_E_NS1_11comp_targetILNS1_3genE0ELNS1_11target_archE4294967295ELNS1_3gpuE0ELNS1_3repE0EEENS1_47radix_sort_onesweep_sort_config_static_selectorELNS0_4arch9wavefront6targetE1EEEvSI_.has_recursion, 0
	.set _ZN7rocprim17ROCPRIM_400000_NS6detail17trampoline_kernelINS0_14default_configENS1_35radix_sort_onesweep_config_selectorIssEEZZNS1_29radix_sort_onesweep_iterationIS3_Lb0EN6thrust23THRUST_200600_302600_NS6detail15normal_iteratorINS8_10device_ptrIsEEEESD_SD_SD_jNS0_19identity_decomposerENS1_16block_id_wrapperIjLb1EEEEE10hipError_tT1_PNSt15iterator_traitsISI_E10value_typeET2_T3_PNSJ_ISO_E10value_typeET4_T5_PST_SU_PNS1_23onesweep_lookback_stateEbbT6_jjT7_P12ihipStream_tbENKUlT_T0_SI_SN_E_clISD_SD_SD_SD_EEDaS11_S12_SI_SN_EUlS11_E_NS1_11comp_targetILNS1_3genE0ELNS1_11target_archE4294967295ELNS1_3gpuE0ELNS1_3repE0EEENS1_47radix_sort_onesweep_sort_config_static_selectorELNS0_4arch9wavefront6targetE1EEEvSI_.has_indirect_call, 0
	.section	.AMDGPU.csdata,"",@progbits
; Kernel info:
; codeLenInByte = 0
; TotalNumSgprs: 6
; NumVgprs: 0
; NumAgprs: 0
; TotalNumVgprs: 0
; ScratchSize: 0
; MemoryBound: 0
; FloatMode: 240
; IeeeMode: 1
; LDSByteSize: 0 bytes/workgroup (compile time only)
; SGPRBlocks: 0
; VGPRBlocks: 0
; NumSGPRsForWavesPerEU: 6
; NumVGPRsForWavesPerEU: 1
; AccumOffset: 4
; Occupancy: 8
; WaveLimiterHint : 0
; COMPUTE_PGM_RSRC2:SCRATCH_EN: 0
; COMPUTE_PGM_RSRC2:USER_SGPR: 2
; COMPUTE_PGM_RSRC2:TRAP_HANDLER: 0
; COMPUTE_PGM_RSRC2:TGID_X_EN: 1
; COMPUTE_PGM_RSRC2:TGID_Y_EN: 0
; COMPUTE_PGM_RSRC2:TGID_Z_EN: 0
; COMPUTE_PGM_RSRC2:TIDIG_COMP_CNT: 0
; COMPUTE_PGM_RSRC3_GFX90A:ACCUM_OFFSET: 0
; COMPUTE_PGM_RSRC3_GFX90A:TG_SPLIT: 0
	.section	.text._ZN7rocprim17ROCPRIM_400000_NS6detail17trampoline_kernelINS0_14default_configENS1_35radix_sort_onesweep_config_selectorIssEEZZNS1_29radix_sort_onesweep_iterationIS3_Lb0EN6thrust23THRUST_200600_302600_NS6detail15normal_iteratorINS8_10device_ptrIsEEEESD_SD_SD_jNS0_19identity_decomposerENS1_16block_id_wrapperIjLb1EEEEE10hipError_tT1_PNSt15iterator_traitsISI_E10value_typeET2_T3_PNSJ_ISO_E10value_typeET4_T5_PST_SU_PNS1_23onesweep_lookback_stateEbbT6_jjT7_P12ihipStream_tbENKUlT_T0_SI_SN_E_clISD_SD_SD_SD_EEDaS11_S12_SI_SN_EUlS11_E_NS1_11comp_targetILNS1_3genE6ELNS1_11target_archE950ELNS1_3gpuE13ELNS1_3repE0EEENS1_47radix_sort_onesweep_sort_config_static_selectorELNS0_4arch9wavefront6targetE1EEEvSI_,"axG",@progbits,_ZN7rocprim17ROCPRIM_400000_NS6detail17trampoline_kernelINS0_14default_configENS1_35radix_sort_onesweep_config_selectorIssEEZZNS1_29radix_sort_onesweep_iterationIS3_Lb0EN6thrust23THRUST_200600_302600_NS6detail15normal_iteratorINS8_10device_ptrIsEEEESD_SD_SD_jNS0_19identity_decomposerENS1_16block_id_wrapperIjLb1EEEEE10hipError_tT1_PNSt15iterator_traitsISI_E10value_typeET2_T3_PNSJ_ISO_E10value_typeET4_T5_PST_SU_PNS1_23onesweep_lookback_stateEbbT6_jjT7_P12ihipStream_tbENKUlT_T0_SI_SN_E_clISD_SD_SD_SD_EEDaS11_S12_SI_SN_EUlS11_E_NS1_11comp_targetILNS1_3genE6ELNS1_11target_archE950ELNS1_3gpuE13ELNS1_3repE0EEENS1_47radix_sort_onesweep_sort_config_static_selectorELNS0_4arch9wavefront6targetE1EEEvSI_,comdat
	.protected	_ZN7rocprim17ROCPRIM_400000_NS6detail17trampoline_kernelINS0_14default_configENS1_35radix_sort_onesweep_config_selectorIssEEZZNS1_29radix_sort_onesweep_iterationIS3_Lb0EN6thrust23THRUST_200600_302600_NS6detail15normal_iteratorINS8_10device_ptrIsEEEESD_SD_SD_jNS0_19identity_decomposerENS1_16block_id_wrapperIjLb1EEEEE10hipError_tT1_PNSt15iterator_traitsISI_E10value_typeET2_T3_PNSJ_ISO_E10value_typeET4_T5_PST_SU_PNS1_23onesweep_lookback_stateEbbT6_jjT7_P12ihipStream_tbENKUlT_T0_SI_SN_E_clISD_SD_SD_SD_EEDaS11_S12_SI_SN_EUlS11_E_NS1_11comp_targetILNS1_3genE6ELNS1_11target_archE950ELNS1_3gpuE13ELNS1_3repE0EEENS1_47radix_sort_onesweep_sort_config_static_selectorELNS0_4arch9wavefront6targetE1EEEvSI_ ; -- Begin function _ZN7rocprim17ROCPRIM_400000_NS6detail17trampoline_kernelINS0_14default_configENS1_35radix_sort_onesweep_config_selectorIssEEZZNS1_29radix_sort_onesweep_iterationIS3_Lb0EN6thrust23THRUST_200600_302600_NS6detail15normal_iteratorINS8_10device_ptrIsEEEESD_SD_SD_jNS0_19identity_decomposerENS1_16block_id_wrapperIjLb1EEEEE10hipError_tT1_PNSt15iterator_traitsISI_E10value_typeET2_T3_PNSJ_ISO_E10value_typeET4_T5_PST_SU_PNS1_23onesweep_lookback_stateEbbT6_jjT7_P12ihipStream_tbENKUlT_T0_SI_SN_E_clISD_SD_SD_SD_EEDaS11_S12_SI_SN_EUlS11_E_NS1_11comp_targetILNS1_3genE6ELNS1_11target_archE950ELNS1_3gpuE13ELNS1_3repE0EEENS1_47radix_sort_onesweep_sort_config_static_selectorELNS0_4arch9wavefront6targetE1EEEvSI_
	.globl	_ZN7rocprim17ROCPRIM_400000_NS6detail17trampoline_kernelINS0_14default_configENS1_35radix_sort_onesweep_config_selectorIssEEZZNS1_29radix_sort_onesweep_iterationIS3_Lb0EN6thrust23THRUST_200600_302600_NS6detail15normal_iteratorINS8_10device_ptrIsEEEESD_SD_SD_jNS0_19identity_decomposerENS1_16block_id_wrapperIjLb1EEEEE10hipError_tT1_PNSt15iterator_traitsISI_E10value_typeET2_T3_PNSJ_ISO_E10value_typeET4_T5_PST_SU_PNS1_23onesweep_lookback_stateEbbT6_jjT7_P12ihipStream_tbENKUlT_T0_SI_SN_E_clISD_SD_SD_SD_EEDaS11_S12_SI_SN_EUlS11_E_NS1_11comp_targetILNS1_3genE6ELNS1_11target_archE950ELNS1_3gpuE13ELNS1_3repE0EEENS1_47radix_sort_onesweep_sort_config_static_selectorELNS0_4arch9wavefront6targetE1EEEvSI_
	.p2align	8
	.type	_ZN7rocprim17ROCPRIM_400000_NS6detail17trampoline_kernelINS0_14default_configENS1_35radix_sort_onesweep_config_selectorIssEEZZNS1_29radix_sort_onesweep_iterationIS3_Lb0EN6thrust23THRUST_200600_302600_NS6detail15normal_iteratorINS8_10device_ptrIsEEEESD_SD_SD_jNS0_19identity_decomposerENS1_16block_id_wrapperIjLb1EEEEE10hipError_tT1_PNSt15iterator_traitsISI_E10value_typeET2_T3_PNSJ_ISO_E10value_typeET4_T5_PST_SU_PNS1_23onesweep_lookback_stateEbbT6_jjT7_P12ihipStream_tbENKUlT_T0_SI_SN_E_clISD_SD_SD_SD_EEDaS11_S12_SI_SN_EUlS11_E_NS1_11comp_targetILNS1_3genE6ELNS1_11target_archE950ELNS1_3gpuE13ELNS1_3repE0EEENS1_47radix_sort_onesweep_sort_config_static_selectorELNS0_4arch9wavefront6targetE1EEEvSI_,@function
_ZN7rocprim17ROCPRIM_400000_NS6detail17trampoline_kernelINS0_14default_configENS1_35radix_sort_onesweep_config_selectorIssEEZZNS1_29radix_sort_onesweep_iterationIS3_Lb0EN6thrust23THRUST_200600_302600_NS6detail15normal_iteratorINS8_10device_ptrIsEEEESD_SD_SD_jNS0_19identity_decomposerENS1_16block_id_wrapperIjLb1EEEEE10hipError_tT1_PNSt15iterator_traitsISI_E10value_typeET2_T3_PNSJ_ISO_E10value_typeET4_T5_PST_SU_PNS1_23onesweep_lookback_stateEbbT6_jjT7_P12ihipStream_tbENKUlT_T0_SI_SN_E_clISD_SD_SD_SD_EEDaS11_S12_SI_SN_EUlS11_E_NS1_11comp_targetILNS1_3genE6ELNS1_11target_archE950ELNS1_3gpuE13ELNS1_3repE0EEENS1_47radix_sort_onesweep_sort_config_static_selectorELNS0_4arch9wavefront6targetE1EEEvSI_: ; @_ZN7rocprim17ROCPRIM_400000_NS6detail17trampoline_kernelINS0_14default_configENS1_35radix_sort_onesweep_config_selectorIssEEZZNS1_29radix_sort_onesweep_iterationIS3_Lb0EN6thrust23THRUST_200600_302600_NS6detail15normal_iteratorINS8_10device_ptrIsEEEESD_SD_SD_jNS0_19identity_decomposerENS1_16block_id_wrapperIjLb1EEEEE10hipError_tT1_PNSt15iterator_traitsISI_E10value_typeET2_T3_PNSJ_ISO_E10value_typeET4_T5_PST_SU_PNS1_23onesweep_lookback_stateEbbT6_jjT7_P12ihipStream_tbENKUlT_T0_SI_SN_E_clISD_SD_SD_SD_EEDaS11_S12_SI_SN_EUlS11_E_NS1_11comp_targetILNS1_3genE6ELNS1_11target_archE950ELNS1_3gpuE13ELNS1_3repE0EEENS1_47radix_sort_onesweep_sort_config_static_selectorELNS0_4arch9wavefront6targetE1EEEvSI_
; %bb.0:
	s_load_dwordx4 s[4:7], s[0:1], 0x28
                                        ; implicit-def: $vgpr117 : SGPR spill to VGPR lane
	v_and_b32_e32 v2, 0x3ff, v0
	v_cmp_eq_u32_e64 s[94:95], 0, v2
	s_waitcnt lgkmcnt(0)
	v_writelane_b32 v117, s4, 0
	s_nop 1
	v_writelane_b32 v117, s5, 1
	v_writelane_b32 v117, s6, 2
	;; [unrolled: 1-line block ×3, first 2 shown]
	s_load_dwordx2 s[6:7], s[0:1], 0x38
	s_load_dwordx4 s[96:99], s[0:1], 0x44
	s_and_saveexec_b64 s[4:5], s[94:95]
	s_cbranch_execz .LBB1643_4
; %bb.1:
	s_mov_b64 s[10:11], exec
	v_mbcnt_lo_u32_b32 v1, s10, 0
	v_mbcnt_hi_u32_b32 v1, s11, v1
	v_cmp_eq_u32_e32 vcc, 0, v1
                                        ; implicit-def: $vgpr3
	s_and_saveexec_b64 s[8:9], vcc
	s_cbranch_execz .LBB1643_3
; %bb.2:
	s_load_dwordx2 s[12:13], s[0:1], 0x50
	s_bcnt1_i32_b64 s3, s[10:11]
	v_mov_b32_e32 v3, 0
	v_mov_b32_e32 v4, s3
	s_waitcnt lgkmcnt(0)
	global_atomic_add v3, v3, v4, s[12:13] sc0
.LBB1643_3:
	s_or_b64 exec, exec, s[8:9]
	s_waitcnt vmcnt(0)
	v_readfirstlane_b32 s3, v3
	v_mov_b32_e32 v3, 0
	s_nop 0
	v_add_u32_e32 v1, s3, v1
	ds_write_b32 v3, v1 offset:22784
.LBB1643_4:
	s_or_b64 exec, exec, s[4:5]
	v_mov_b32_e32 v5, 0
	s_load_dwordx8 s[8:15], s[0:1], 0x0
	s_load_dword s3, s[0:1], 0x20
	s_waitcnt lgkmcnt(0)
	s_barrier
	ds_read_b32 v1, v5 offset:22784
	s_mov_b64 s[16:17], -1
	s_waitcnt lgkmcnt(0)
	s_barrier
	v_readfirstlane_b32 s33, v1
	v_cmp_le_u32_e32 vcc, s98, v1
	s_mul_i32 s4, s33, 0x2c00
	v_mbcnt_lo_u32_b32 v1, -1, 0
	s_cbranch_vccz .LBB1643_292
; %bb.5:
	s_mul_i32 s5, s98, 0xffffd400
	s_add_i32 s3, s5, s3
	s_mov_b32 s5, 0
	s_lshl_b64 s[98:99], s[4:5], 1
	v_mbcnt_hi_u32_b32 v15, -1, v1
	s_add_u32 s16, s8, s98
	v_and_b32_e32 v3, 63, v15
	v_and_b32_e32 v20, 0x3c0, v2
	s_addc_u32 s17, s9, s99
	v_mul_u32_u24_e32 v10, 22, v20
	v_lshlrev_b32_e32 v4, 1, v3
	v_lshl_add_u64 v[8:9], s[16:17], 0, v[4:5]
	v_lshlrev_b32_e32 v6, 1, v10
	v_mov_b32_e32 v7, v5
	v_lshl_add_u64 v[8:9], v[8:9], 0, v[6:7]
	v_or_b32_e32 v10, v3, v10
	v_mov_b32_e32 v3, -1
	v_mov_b32_e32 v5, -1
	v_cmp_gt_u32_e64 s[18:19], s3, v10
	s_mov_b64 s[16:17], exec
	s_nop 0
	v_writelane_b32 v117, s18, 4
	s_nop 1
	v_writelane_b32 v117, s19, 5
	s_and_b64 s[18:19], s[16:17], s[18:19]
	s_mov_b64 exec, s[18:19]
	s_cbranch_execz .LBB1643_7
; %bb.6:
	global_load_ushort v5, v[8:9], off
	s_waitcnt vmcnt(0)
	v_xor_b32_e32 v5, 0xffff8000, v5
.LBB1643_7:
	s_or_b64 exec, exec, s[16:17]
	v_or_b32_e32 v7, 64, v10
	v_cmp_gt_u32_e64 s[18:19], s3, v7
	s_mov_b64 s[16:17], exec
	s_nop 0
	v_writelane_b32 v117, s18, 6
	s_nop 1
	v_writelane_b32 v117, s19, 7
	s_and_b64 s[18:19], s[16:17], s[18:19]
	s_mov_b64 exec, s[18:19]
	s_cbranch_execz .LBB1643_9
; %bb.8:
	global_load_ushort v3, v[8:9], off offset:128
	s_waitcnt vmcnt(0)
	v_xor_b32_e32 v3, 0xffff8000, v3
.LBB1643_9:
	s_or_b64 exec, exec, s[16:17]
	v_add_u32_e32 v7, 0x80, v10
	v_cmp_gt_u32_e64 s[18:19], s3, v7
	v_mov_b32_e32 v7, -1
	v_mov_b32_e32 v12, -1
	s_mov_b64 s[16:17], exec
	v_writelane_b32 v117, s18, 8
	s_nop 1
	v_writelane_b32 v117, s19, 9
	s_and_b64 s[18:19], s[16:17], s[18:19]
	s_mov_b64 exec, s[18:19]
	s_cbranch_execz .LBB1643_11
; %bb.10:
	global_load_ushort v11, v[8:9], off offset:256
	s_waitcnt vmcnt(0)
	v_xor_b32_e32 v12, 0xffff8000, v11
.LBB1643_11:
	s_or_b64 exec, exec, s[16:17]
	v_add_u32_e32 v11, 0xc0, v10
	v_cmp_gt_u32_e64 s[18:19], s3, v11
	s_mov_b64 s[16:17], exec
	s_nop 0
	v_writelane_b32 v117, s18, 10
	s_nop 1
	v_writelane_b32 v117, s19, 11
	s_and_b64 s[18:19], s[16:17], s[18:19]
	s_mov_b64 exec, s[18:19]
	s_cbranch_execz .LBB1643_13
; %bb.12:
	global_load_ushort v7, v[8:9], off offset:384
	s_waitcnt vmcnt(0)
	v_xor_b32_e32 v7, 0xffff8000, v7
.LBB1643_13:
	s_or_b64 exec, exec, s[16:17]
	v_add_u32_e32 v11, 0x100, v10
	v_mov_b32_e32 v13, -1
	v_mov_b32_e32 v14, -1
	v_cmp_gt_u32_e64 s[18:19], s3, v11
	s_mov_b64 s[16:17], exec
	s_nop 0
	v_writelane_b32 v117, s18, 12
	s_nop 1
	v_writelane_b32 v117, s19, 13
	s_and_b64 s[18:19], s[16:17], s[18:19]
	s_mov_b64 exec, s[18:19]
	s_cbranch_execz .LBB1643_15
; %bb.14:
	global_load_ushort v11, v[8:9], off offset:512
	s_waitcnt vmcnt(0)
	v_xor_b32_e32 v14, 0xffff8000, v11
.LBB1643_15:
	s_or_b64 exec, exec, s[16:17]
	v_add_u32_e32 v11, 0x140, v10
	v_cmp_gt_u32_e64 s[18:19], s3, v11
	s_mov_b64 s[16:17], exec
	s_nop 0
	v_writelane_b32 v117, s18, 14
	s_nop 1
	v_writelane_b32 v117, s19, 15
	s_and_b64 s[18:19], s[16:17], s[18:19]
	s_mov_b64 exec, s[18:19]
	s_cbranch_execz .LBB1643_17
; %bb.16:
	global_load_ushort v11, v[8:9], off offset:640
	s_waitcnt vmcnt(0)
	v_xor_b32_e32 v13, 0xffff8000, v11
.LBB1643_17:
	s_or_b64 exec, exec, s[16:17]
	v_add_u32_e32 v11, 0x180, v10
	v_mov_b32_e32 v16, -1
	v_mov_b32_e32 v17, -1
	v_cmp_gt_u32_e64 s[18:19], s3, v11
	s_mov_b64 s[16:17], exec
	s_nop 0
	v_writelane_b32 v117, s18, 16
	s_nop 1
	v_writelane_b32 v117, s19, 17
	s_and_b64 s[18:19], s[16:17], s[18:19]
	s_mov_b64 exec, s[18:19]
	s_cbranch_execz .LBB1643_19
; %bb.18:
	global_load_ushort v11, v[8:9], off offset:768
	s_waitcnt vmcnt(0)
	v_xor_b32_e32 v17, 0xffff8000, v11
.LBB1643_19:
	s_or_b64 exec, exec, s[16:17]
	v_add_u32_e32 v11, 0x1c0, v10
	v_cmp_gt_u32_e64 s[18:19], s3, v11
	s_mov_b64 s[16:17], exec
	s_nop 0
	v_writelane_b32 v117, s18, 18
	s_nop 1
	v_writelane_b32 v117, s19, 19
	s_and_b64 s[18:19], s[16:17], s[18:19]
	s_mov_b64 exec, s[18:19]
	s_cbranch_execz .LBB1643_21
; %bb.20:
	global_load_ushort v11, v[8:9], off offset:896
	s_waitcnt vmcnt(0)
	v_xor_b32_e32 v16, 0xffff8000, v11
.LBB1643_21:
	s_or_b64 exec, exec, s[16:17]
	v_add_u32_e32 v11, 0x200, v10
	v_cmp_gt_u32_e32 vcc, s3, v11
	v_mov_b32_e32 v18, -1
	v_mov_b32_e32 v19, -1
	s_and_saveexec_b64 s[16:17], vcc
	s_cbranch_execz .LBB1643_23
; %bb.22:
	global_load_ushort v11, v[8:9], off offset:1024
	s_waitcnt vmcnt(0)
	v_xor_b32_e32 v19, 0xffff8000, v11
.LBB1643_23:
	s_or_b64 exec, exec, s[16:17]
	v_add_u32_e32 v11, 0x240, v10
	v_cmp_gt_u32_e64 s[20:21], s3, v11
	s_and_saveexec_b64 s[16:17], s[20:21]
	s_cbranch_execz .LBB1643_25
; %bb.24:
	global_load_ushort v11, v[8:9], off offset:1152
	s_waitcnt vmcnt(0)
	v_xor_b32_e32 v18, 0xffff8000, v11
.LBB1643_25:
	s_or_b64 exec, exec, s[16:17]
	v_add_u32_e32 v11, 0x280, v10
	v_cmp_gt_u32_e64 s[22:23], s3, v11
	v_mov_b32_e32 v21, -1
	v_mov_b32_e32 v22, -1
	s_and_saveexec_b64 s[16:17], s[22:23]
	s_cbranch_execz .LBB1643_27
; %bb.26:
	global_load_ushort v11, v[8:9], off offset:1280
	s_waitcnt vmcnt(0)
	v_xor_b32_e32 v22, 0xffff8000, v11
.LBB1643_27:
	s_or_b64 exec, exec, s[16:17]
	v_add_u32_e32 v11, 0x2c0, v10
	v_cmp_gt_u32_e64 s[24:25], s3, v11
	s_and_saveexec_b64 s[16:17], s[24:25]
	s_cbranch_execz .LBB1643_29
; %bb.28:
	global_load_ushort v11, v[8:9], off offset:1408
	s_waitcnt vmcnt(0)
	v_xor_b32_e32 v21, 0xffff8000, v11
.LBB1643_29:
	s_or_b64 exec, exec, s[16:17]
	v_add_u32_e32 v11, 0x300, v10
	v_cmp_gt_u32_e64 s[26:27], s3, v11
	v_mov_b32_e32 v23, -1
	v_mov_b32_e32 v24, -1
	s_and_saveexec_b64 s[16:17], s[26:27]
	;; [unrolled: 22-line block ×6, first 2 shown]
	s_cbranch_execz .LBB1643_47
; %bb.46:
	global_load_ushort v11, v[8:9], off offset:2560
	s_waitcnt vmcnt(0)
	v_xor_b32_e32 v32, 0xffff8000, v11
.LBB1643_47:
	s_or_b64 exec, exec, s[16:17]
	v_add_u32_e32 v10, 0x540, v10
	v_cmp_gt_u32_e64 s[46:47], s3, v10
	s_and_saveexec_b64 s[16:17], s[46:47]
	s_cbranch_execz .LBB1643_49
; %bb.48:
	global_load_ushort v8, v[8:9], off offset:2688
	s_waitcnt vmcnt(0)
	v_xor_b32_e32 v31, 0xffff8000, v8
.LBB1643_49:
	s_or_b64 exec, exec, s[16:17]
	s_load_dword s5, s[0:1], 0x64
	s_load_dword s18, s[0:1], 0x58
	s_add_u32 s16, s0, 0x58
	s_addc_u32 s17, s1, 0
	v_mov_b32_e32 v8, 0
	s_waitcnt lgkmcnt(0)
	s_lshr_b32 s5, s5, 16
	s_cmp_lt_u32 s2, s18
	s_cselect_b32 s18, 12, 18
	s_add_u32 s16, s16, s18
	s_addc_u32 s17, s17, 0
	global_load_ushort v36, v8, s[16:17]
	v_lshrrev_b32_sdwa v35, s96, v5 dst_sel:DWORD dst_unused:UNUSED_PAD src0_sel:DWORD src1_sel:WORD_0
	s_lshl_b32 s16, -1, s97
	v_bfe_u32 v10, v0, 10, 10
	v_bfe_u32 v34, v0, 20, 10
	v_lshlrev_b32_e32 v33, 3, v2
	v_mov_b32_e32 v9, v8
	v_bitop3_b32 v38, v35, s16, v35 bitop3:0x30
	v_mov_b32_e32 v11, v8
	ds_write_b64 v33, v[8:9] offset:32
	v_mad_u32_u24 v37, v34, s5, v10
	v_and_b32_e32 v10, 1, v38
	v_lshlrev_b32_e32 v9, 30, v38
	v_lshl_add_u64 v[34:35], v[10:11], 0, -1
	v_cmp_ne_u32_e64 s[48:49], 0, v10
	v_cmp_gt_i64_e64 s[50:51], 0, v[8:9]
	v_not_b32_e32 v10, v9
	v_lshlrev_b32_e32 v9, 29, v38
	v_xor_b32_e32 v11, s49, v35
	v_xor_b32_e32 v34, s48, v34
	v_ashrrev_i32_e32 v10, 31, v10
	v_cmp_gt_i64_e64 s[48:49], 0, v[8:9]
	v_not_b32_e32 v35, v9
	v_lshlrev_b32_e32 v9, 28, v38
	v_and_b32_e32 v11, exec_hi, v11
	v_and_b32_e32 v34, exec_lo, v34
	v_xor_b32_e32 v39, s51, v10
	v_xor_b32_e32 v10, s50, v10
	v_ashrrev_i32_e32 v35, 31, v35
	v_cmp_gt_i64_e64 s[50:51], 0, v[8:9]
	v_not_b32_e32 v40, v9
	v_lshlrev_b32_e32 v9, 27, v38
	v_and_b32_e32 v11, v11, v39
	v_and_b32_e32 v10, v34, v10
	v_xor_b32_e32 v34, s49, v35
	v_xor_b32_e32 v35, s48, v35
	v_ashrrev_i32_e32 v39, 31, v40
	v_cmp_gt_i64_e64 s[48:49], 0, v[8:9]
	v_not_b32_e32 v40, v9
	v_lshlrev_b32_e32 v9, 26, v38
	v_and_b32_e32 v11, v11, v34
	v_and_b32_e32 v10, v10, v35
	v_xor_b32_e32 v34, s51, v39
	v_xor_b32_e32 v35, s50, v39
	v_ashrrev_i32_e32 v39, 31, v40
	v_cmp_gt_i64_e64 s[50:51], 0, v[8:9]
	v_not_b32_e32 v9, v9
	v_and_b32_e32 v11, v11, v34
	v_and_b32_e32 v10, v10, v35
	v_xor_b32_e32 v34, s49, v39
	v_xor_b32_e32 v35, s48, v39
	v_ashrrev_i32_e32 v9, 31, v9
	v_and_b32_e32 v11, v11, v34
	v_and_b32_e32 v10, v10, v35
	v_xor_b32_e32 v34, s51, v9
	v_xor_b32_e32 v9, s50, v9
	v_and_b32_e32 v10, v10, v9
	s_not_b32 s5, s16
	v_and_b32_e32 v11, v11, v34
	v_mbcnt_lo_u32_b32 v9, v10, 0
	v_mbcnt_hi_u32_b32 v34, v11, v9
	v_cmp_ne_u64_e64 s[48:49], 0, v[10:11]
	v_cmp_eq_u32_e64 s[50:51], 0, v34
	s_and_b64 s[48:49], s[48:49], s[50:51]
	s_waitcnt lgkmcnt(0)
	s_barrier
	s_waitcnt vmcnt(0)
	; wave barrier
	v_mad_u64_u32 v[36:37], s[16:17], v37, v36, v[2:3]
	v_lshrrev_b32_e32 v9, 6, v36
	v_lshlrev_b32_e32 v43, 2, v9
	v_mad_u32_u24 v36, v38, 36, v43
	s_and_saveexec_b64 s[16:17], s[48:49]
; %bb.50:
	v_bcnt_u32_b32 v9, v10, 0
	v_bcnt_u32_b32 v9, v11, v9
	ds_write_b32 v36, v9 offset:32
; %bb.51:
	s_or_b64 exec, exec, s[16:17]
	v_lshrrev_b32_sdwa v9, s96, v3 dst_sel:DWORD dst_unused:UNUSED_PAD src0_sel:DWORD src1_sel:WORD_0
	v_and_b32_e32 v40, s5, v9
	v_and_b32_e32 v10, 1, v40
	v_mov_b32_e32 v11, v8
	v_lshl_add_u64 v[38:39], v[10:11], 0, -1
	v_cmp_ne_u32_e64 s[48:49], 0, v10
	v_mad_u32_u24 v37, v40, 36, v43
	s_nop 0
	v_xor_b32_e32 v9, s49, v39
	v_and_b32_e32 v11, exec_hi, v9
	v_lshlrev_b32_e32 v9, 30, v40
	v_xor_b32_e32 v10, s48, v38
	v_cmp_gt_i64_e64 s[48:49], 0, v[8:9]
	v_not_b32_e32 v9, v9
	v_ashrrev_i32_e32 v9, 31, v9
	v_and_b32_e32 v10, exec_lo, v10
	v_xor_b32_e32 v38, s49, v9
	v_xor_b32_e32 v9, s48, v9
	v_and_b32_e32 v10, v10, v9
	v_lshlrev_b32_e32 v9, 29, v40
	v_cmp_gt_i64_e64 s[48:49], 0, v[8:9]
	v_not_b32_e32 v9, v9
	v_ashrrev_i32_e32 v9, 31, v9
	v_and_b32_e32 v11, v11, v38
	v_xor_b32_e32 v38, s49, v9
	v_xor_b32_e32 v9, s48, v9
	v_and_b32_e32 v10, v10, v9
	v_lshlrev_b32_e32 v9, 28, v40
	v_cmp_gt_i64_e64 s[48:49], 0, v[8:9]
	v_not_b32_e32 v9, v9
	v_ashrrev_i32_e32 v9, 31, v9
	v_and_b32_e32 v11, v11, v38
	;; [unrolled: 8-line block ×3, first 2 shown]
	v_xor_b32_e32 v38, s49, v9
	v_xor_b32_e32 v9, s48, v9
	v_and_b32_e32 v10, v10, v9
	v_lshlrev_b32_e32 v9, 26, v40
	v_cmp_gt_i64_e64 s[48:49], 0, v[8:9]
	v_not_b32_e32 v8, v9
	v_ashrrev_i32_e32 v8, 31, v8
	v_xor_b32_e32 v9, s49, v8
	v_xor_b32_e32 v8, s48, v8
	; wave barrier
	ds_read_b32 v35, v37 offset:32
	v_and_b32_e32 v11, v11, v38
	v_and_b32_e32 v8, v10, v8
	;; [unrolled: 1-line block ×3, first 2 shown]
	v_mbcnt_lo_u32_b32 v10, v8, 0
	v_mbcnt_hi_u32_b32 v38, v9, v10
	v_cmp_eq_u32_e64 s[48:49], 0, v38
	v_cmp_ne_u64_e64 s[50:51], 0, v[8:9]
	s_and_b64 s[48:49], s[50:51], s[48:49]
	; wave barrier
	s_and_saveexec_b64 s[16:17], s[48:49]
	s_cbranch_execz .LBB1643_53
; %bb.52:
	v_bcnt_u32_b32 v8, v8, 0
	v_bcnt_u32_b32 v8, v9, v8
	s_waitcnt lgkmcnt(0)
	v_add_u32_e32 v8, v35, v8
	ds_write_b32 v37, v8 offset:32
.LBB1643_53:
	s_or_b64 exec, exec, s[16:17]
	v_lshrrev_b32_sdwa v8, s96, v12 dst_sel:DWORD dst_unused:UNUSED_PAD src0_sel:DWORD src1_sel:WORD_0
	v_and_b32_e32 v41, s5, v8
	v_and_b32_e32 v8, 1, v41
	v_mov_b32_e32 v9, 0
	v_lshl_add_u64 v[10:11], v[8:9], 0, -1
	v_cmp_ne_u32_e64 s[48:49], 0, v8
	v_mad_u32_u24 v40, v41, 36, v43
	s_nop 0
	v_xor_b32_e32 v10, s48, v10
	v_xor_b32_e32 v8, s49, v11
	v_and_b32_e32 v42, exec_lo, v10
	v_lshlrev_b32_e32 v11, 30, v41
	v_mov_b32_e32 v10, v9
	v_cmp_gt_i64_e64 s[48:49], 0, v[10:11]
	v_not_b32_e32 v10, v11
	v_ashrrev_i32_e32 v10, 31, v10
	v_and_b32_e32 v8, exec_hi, v8
	v_xor_b32_e32 v11, s49, v10
	v_xor_b32_e32 v10, s48, v10
	v_and_b32_e32 v8, v8, v11
	v_and_b32_e32 v42, v42, v10
	v_lshlrev_b32_e32 v11, 29, v41
	v_mov_b32_e32 v10, v9
	v_cmp_gt_i64_e64 s[48:49], 0, v[10:11]
	v_not_b32_e32 v10, v11
	v_ashrrev_i32_e32 v10, 31, v10
	v_xor_b32_e32 v11, s49, v10
	v_xor_b32_e32 v10, s48, v10
	v_and_b32_e32 v8, v8, v11
	v_and_b32_e32 v42, v42, v10
	v_lshlrev_b32_e32 v11, 28, v41
	v_mov_b32_e32 v10, v9
	v_cmp_gt_i64_e64 s[48:49], 0, v[10:11]
	v_not_b32_e32 v10, v11
	v_ashrrev_i32_e32 v10, 31, v10
	;; [unrolled: 9-line block ×4, first 2 shown]
	v_xor_b32_e32 v11, s49, v10
	v_xor_b32_e32 v10, s48, v10
	; wave barrier
	ds_read_b32 v39, v40 offset:32
	v_and_b32_e32 v10, v42, v10
	v_and_b32_e32 v11, v8, v11
	v_mbcnt_lo_u32_b32 v8, v10, 0
	v_mbcnt_hi_u32_b32 v41, v11, v8
	v_cmp_eq_u32_e64 s[48:49], 0, v41
	v_cmp_ne_u64_e64 s[50:51], 0, v[10:11]
	s_and_b64 s[48:49], s[50:51], s[48:49]
	; wave barrier
	s_and_saveexec_b64 s[16:17], s[48:49]
	s_cbranch_execz .LBB1643_55
; %bb.54:
	v_bcnt_u32_b32 v8, v10, 0
	v_bcnt_u32_b32 v8, v11, v8
	s_waitcnt lgkmcnt(0)
	v_add_u32_e32 v8, v39, v8
	ds_write_b32 v40, v8 offset:32
.LBB1643_55:
	s_or_b64 exec, exec, s[16:17]
	v_lshrrev_b32_sdwa v8, s96, v7 dst_sel:DWORD dst_unused:UNUSED_PAD src0_sel:DWORD src1_sel:WORD_0
	v_and_b32_e32 v45, s5, v8
	v_and_b32_e32 v8, 1, v45
	v_lshl_add_u64 v[10:11], v[8:9], 0, -1
	v_cmp_ne_u32_e64 s[48:49], 0, v8
	v_mad_u32_u24 v44, v45, 36, v43
	s_nop 0
	v_xor_b32_e32 v10, s48, v10
	v_xor_b32_e32 v8, s49, v11
	v_and_b32_e32 v46, exec_lo, v10
	v_lshlrev_b32_e32 v11, 30, v45
	v_mov_b32_e32 v10, v9
	v_cmp_gt_i64_e64 s[48:49], 0, v[10:11]
	v_not_b32_e32 v10, v11
	v_ashrrev_i32_e32 v10, 31, v10
	v_and_b32_e32 v8, exec_hi, v8
	v_xor_b32_e32 v11, s49, v10
	v_xor_b32_e32 v10, s48, v10
	v_and_b32_e32 v8, v8, v11
	v_and_b32_e32 v46, v46, v10
	v_lshlrev_b32_e32 v11, 29, v45
	v_mov_b32_e32 v10, v9
	v_cmp_gt_i64_e64 s[48:49], 0, v[10:11]
	v_not_b32_e32 v10, v11
	v_ashrrev_i32_e32 v10, 31, v10
	v_xor_b32_e32 v11, s49, v10
	v_xor_b32_e32 v10, s48, v10
	v_and_b32_e32 v8, v8, v11
	v_and_b32_e32 v46, v46, v10
	v_lshlrev_b32_e32 v11, 28, v45
	v_mov_b32_e32 v10, v9
	v_cmp_gt_i64_e64 s[48:49], 0, v[10:11]
	v_not_b32_e32 v10, v11
	v_ashrrev_i32_e32 v10, 31, v10
	;; [unrolled: 9-line block ×3, first 2 shown]
	v_xor_b32_e32 v11, s49, v10
	v_xor_b32_e32 v10, s48, v10
	v_and_b32_e32 v8, v8, v11
	v_lshlrev_b32_e32 v11, 26, v45
	v_and_b32_e32 v46, v46, v10
	v_mov_b32_e32 v10, v9
	v_not_b32_e32 v9, v11
	v_cmp_gt_i64_e64 s[48:49], 0, v[10:11]
	v_ashrrev_i32_e32 v9, 31, v9
	; wave barrier
	s_nop 0
	v_xor_b32_e32 v10, s49, v9
	v_xor_b32_e32 v11, s48, v9
	ds_read_b32 v42, v44 offset:32
	v_and_b32_e32 v9, v8, v10
	v_and_b32_e32 v8, v46, v11
	v_mbcnt_lo_u32_b32 v10, v8, 0
	v_mbcnt_hi_u32_b32 v45, v9, v10
	v_cmp_eq_u32_e64 s[48:49], 0, v45
	v_cmp_ne_u64_e64 s[50:51], 0, v[8:9]
	s_and_b64 s[48:49], s[50:51], s[48:49]
	; wave barrier
	s_and_saveexec_b64 s[16:17], s[48:49]
	s_cbranch_execz .LBB1643_57
; %bb.56:
	v_bcnt_u32_b32 v8, v8, 0
	v_bcnt_u32_b32 v8, v9, v8
	s_waitcnt lgkmcnt(0)
	v_add_u32_e32 v8, v42, v8
	ds_write_b32 v44, v8 offset:32
.LBB1643_57:
	s_or_b64 exec, exec, s[16:17]
	v_lshrrev_b32_sdwa v8, s96, v14 dst_sel:DWORD dst_unused:UNUSED_PAD src0_sel:DWORD src1_sel:WORD_0
	v_and_b32_e32 v48, s5, v8
	v_and_b32_e32 v8, 1, v48
	v_mov_b32_e32 v9, 0
	v_lshl_add_u64 v[10:11], v[8:9], 0, -1
	v_cmp_ne_u32_e64 s[48:49], 0, v8
	v_mad_u32_u24 v47, v48, 36, v43
	s_nop 0
	v_xor_b32_e32 v10, s48, v10
	v_xor_b32_e32 v8, s49, v11
	v_and_b32_e32 v49, exec_lo, v10
	v_lshlrev_b32_e32 v11, 30, v48
	v_mov_b32_e32 v10, v9
	v_cmp_gt_i64_e64 s[48:49], 0, v[10:11]
	v_not_b32_e32 v10, v11
	v_ashrrev_i32_e32 v10, 31, v10
	v_and_b32_e32 v8, exec_hi, v8
	v_xor_b32_e32 v11, s49, v10
	v_xor_b32_e32 v10, s48, v10
	v_and_b32_e32 v8, v8, v11
	v_and_b32_e32 v49, v49, v10
	v_lshlrev_b32_e32 v11, 29, v48
	v_mov_b32_e32 v10, v9
	v_cmp_gt_i64_e64 s[48:49], 0, v[10:11]
	v_not_b32_e32 v10, v11
	v_ashrrev_i32_e32 v10, 31, v10
	v_xor_b32_e32 v11, s49, v10
	v_xor_b32_e32 v10, s48, v10
	v_and_b32_e32 v8, v8, v11
	v_and_b32_e32 v49, v49, v10
	v_lshlrev_b32_e32 v11, 28, v48
	v_mov_b32_e32 v10, v9
	v_cmp_gt_i64_e64 s[48:49], 0, v[10:11]
	v_not_b32_e32 v10, v11
	v_ashrrev_i32_e32 v10, 31, v10
	;; [unrolled: 9-line block ×4, first 2 shown]
	v_xor_b32_e32 v11, s49, v10
	v_xor_b32_e32 v10, s48, v10
	; wave barrier
	ds_read_b32 v46, v47 offset:32
	v_and_b32_e32 v10, v49, v10
	v_and_b32_e32 v11, v8, v11
	v_mbcnt_lo_u32_b32 v8, v10, 0
	v_mbcnt_hi_u32_b32 v48, v11, v8
	v_cmp_eq_u32_e64 s[48:49], 0, v48
	v_cmp_ne_u64_e64 s[50:51], 0, v[10:11]
	s_and_b64 s[48:49], s[50:51], s[48:49]
	; wave barrier
	s_and_saveexec_b64 s[16:17], s[48:49]
	s_cbranch_execz .LBB1643_59
; %bb.58:
	v_bcnt_u32_b32 v8, v10, 0
	v_bcnt_u32_b32 v8, v11, v8
	s_waitcnt lgkmcnt(0)
	v_add_u32_e32 v8, v46, v8
	ds_write_b32 v47, v8 offset:32
.LBB1643_59:
	s_or_b64 exec, exec, s[16:17]
	v_lshrrev_b32_sdwa v8, s96, v13 dst_sel:DWORD dst_unused:UNUSED_PAD src0_sel:DWORD src1_sel:WORD_0
	v_and_b32_e32 v51, s5, v8
	v_and_b32_e32 v8, 1, v51
	v_lshl_add_u64 v[10:11], v[8:9], 0, -1
	v_cmp_ne_u32_e64 s[48:49], 0, v8
	v_mad_u32_u24 v50, v51, 36, v43
	s_nop 0
	v_xor_b32_e32 v10, s48, v10
	v_xor_b32_e32 v8, s49, v11
	v_and_b32_e32 v52, exec_lo, v10
	v_lshlrev_b32_e32 v11, 30, v51
	v_mov_b32_e32 v10, v9
	v_cmp_gt_i64_e64 s[48:49], 0, v[10:11]
	v_not_b32_e32 v10, v11
	v_ashrrev_i32_e32 v10, 31, v10
	v_and_b32_e32 v8, exec_hi, v8
	v_xor_b32_e32 v11, s49, v10
	v_xor_b32_e32 v10, s48, v10
	v_and_b32_e32 v8, v8, v11
	v_and_b32_e32 v52, v52, v10
	v_lshlrev_b32_e32 v11, 29, v51
	v_mov_b32_e32 v10, v9
	v_cmp_gt_i64_e64 s[48:49], 0, v[10:11]
	v_not_b32_e32 v10, v11
	v_ashrrev_i32_e32 v10, 31, v10
	v_xor_b32_e32 v11, s49, v10
	v_xor_b32_e32 v10, s48, v10
	v_and_b32_e32 v8, v8, v11
	v_and_b32_e32 v52, v52, v10
	v_lshlrev_b32_e32 v11, 28, v51
	v_mov_b32_e32 v10, v9
	v_cmp_gt_i64_e64 s[48:49], 0, v[10:11]
	v_not_b32_e32 v10, v11
	v_ashrrev_i32_e32 v10, 31, v10
	;; [unrolled: 9-line block ×3, first 2 shown]
	v_xor_b32_e32 v11, s49, v10
	v_xor_b32_e32 v10, s48, v10
	v_and_b32_e32 v8, v8, v11
	v_lshlrev_b32_e32 v11, 26, v51
	v_and_b32_e32 v52, v52, v10
	v_mov_b32_e32 v10, v9
	v_not_b32_e32 v9, v11
	v_cmp_gt_i64_e64 s[48:49], 0, v[10:11]
	v_ashrrev_i32_e32 v9, 31, v9
	; wave barrier
	s_nop 0
	v_xor_b32_e32 v10, s49, v9
	v_xor_b32_e32 v11, s48, v9
	ds_read_b32 v49, v50 offset:32
	v_and_b32_e32 v9, v8, v10
	v_and_b32_e32 v8, v52, v11
	v_mbcnt_lo_u32_b32 v10, v8, 0
	v_mbcnt_hi_u32_b32 v51, v9, v10
	v_cmp_eq_u32_e64 s[48:49], 0, v51
	v_cmp_ne_u64_e64 s[50:51], 0, v[8:9]
	s_and_b64 s[48:49], s[50:51], s[48:49]
	; wave barrier
	s_and_saveexec_b64 s[16:17], s[48:49]
	s_cbranch_execz .LBB1643_61
; %bb.60:
	v_bcnt_u32_b32 v8, v8, 0
	v_bcnt_u32_b32 v8, v9, v8
	s_waitcnt lgkmcnt(0)
	v_add_u32_e32 v8, v49, v8
	ds_write_b32 v50, v8 offset:32
.LBB1643_61:
	s_or_b64 exec, exec, s[16:17]
	v_lshrrev_b32_sdwa v8, s96, v17 dst_sel:DWORD dst_unused:UNUSED_PAD src0_sel:DWORD src1_sel:WORD_0
	v_and_b32_e32 v54, s5, v8
	v_and_b32_e32 v8, 1, v54
	v_mov_b32_e32 v9, 0
	v_lshl_add_u64 v[10:11], v[8:9], 0, -1
	v_cmp_ne_u32_e64 s[48:49], 0, v8
	v_mad_u32_u24 v53, v54, 36, v43
	s_nop 0
	v_xor_b32_e32 v10, s48, v10
	v_xor_b32_e32 v8, s49, v11
	v_and_b32_e32 v55, exec_lo, v10
	v_lshlrev_b32_e32 v11, 30, v54
	v_mov_b32_e32 v10, v9
	v_cmp_gt_i64_e64 s[48:49], 0, v[10:11]
	v_not_b32_e32 v10, v11
	v_ashrrev_i32_e32 v10, 31, v10
	v_and_b32_e32 v8, exec_hi, v8
	v_xor_b32_e32 v11, s49, v10
	v_xor_b32_e32 v10, s48, v10
	v_and_b32_e32 v8, v8, v11
	v_and_b32_e32 v55, v55, v10
	v_lshlrev_b32_e32 v11, 29, v54
	v_mov_b32_e32 v10, v9
	v_cmp_gt_i64_e64 s[48:49], 0, v[10:11]
	v_not_b32_e32 v10, v11
	v_ashrrev_i32_e32 v10, 31, v10
	v_xor_b32_e32 v11, s49, v10
	v_xor_b32_e32 v10, s48, v10
	v_and_b32_e32 v8, v8, v11
	v_and_b32_e32 v55, v55, v10
	v_lshlrev_b32_e32 v11, 28, v54
	v_mov_b32_e32 v10, v9
	v_cmp_gt_i64_e64 s[48:49], 0, v[10:11]
	v_not_b32_e32 v10, v11
	v_ashrrev_i32_e32 v10, 31, v10
	;; [unrolled: 9-line block ×4, first 2 shown]
	v_xor_b32_e32 v11, s49, v10
	v_xor_b32_e32 v10, s48, v10
	; wave barrier
	ds_read_b32 v52, v53 offset:32
	v_and_b32_e32 v10, v55, v10
	v_and_b32_e32 v11, v8, v11
	v_mbcnt_lo_u32_b32 v8, v10, 0
	v_mbcnt_hi_u32_b32 v54, v11, v8
	v_cmp_eq_u32_e64 s[48:49], 0, v54
	v_cmp_ne_u64_e64 s[50:51], 0, v[10:11]
	s_and_b64 s[48:49], s[50:51], s[48:49]
	; wave barrier
	s_and_saveexec_b64 s[16:17], s[48:49]
	s_cbranch_execz .LBB1643_63
; %bb.62:
	v_bcnt_u32_b32 v8, v10, 0
	v_bcnt_u32_b32 v8, v11, v8
	s_waitcnt lgkmcnt(0)
	v_add_u32_e32 v8, v52, v8
	ds_write_b32 v53, v8 offset:32
.LBB1643_63:
	s_or_b64 exec, exec, s[16:17]
	v_lshrrev_b32_sdwa v8, s96, v16 dst_sel:DWORD dst_unused:UNUSED_PAD src0_sel:DWORD src1_sel:WORD_0
	v_and_b32_e32 v57, s5, v8
	v_and_b32_e32 v8, 1, v57
	v_lshl_add_u64 v[10:11], v[8:9], 0, -1
	v_cmp_ne_u32_e64 s[48:49], 0, v8
	v_mad_u32_u24 v56, v57, 36, v43
	s_nop 0
	v_xor_b32_e32 v10, s48, v10
	v_xor_b32_e32 v8, s49, v11
	v_and_b32_e32 v58, exec_lo, v10
	v_lshlrev_b32_e32 v11, 30, v57
	v_mov_b32_e32 v10, v9
	v_cmp_gt_i64_e64 s[48:49], 0, v[10:11]
	v_not_b32_e32 v10, v11
	v_ashrrev_i32_e32 v10, 31, v10
	v_and_b32_e32 v8, exec_hi, v8
	v_xor_b32_e32 v11, s49, v10
	v_xor_b32_e32 v10, s48, v10
	v_and_b32_e32 v8, v8, v11
	v_and_b32_e32 v58, v58, v10
	v_lshlrev_b32_e32 v11, 29, v57
	v_mov_b32_e32 v10, v9
	v_cmp_gt_i64_e64 s[48:49], 0, v[10:11]
	v_not_b32_e32 v10, v11
	v_ashrrev_i32_e32 v10, 31, v10
	v_xor_b32_e32 v11, s49, v10
	v_xor_b32_e32 v10, s48, v10
	v_and_b32_e32 v8, v8, v11
	v_and_b32_e32 v58, v58, v10
	v_lshlrev_b32_e32 v11, 28, v57
	v_mov_b32_e32 v10, v9
	v_cmp_gt_i64_e64 s[48:49], 0, v[10:11]
	v_not_b32_e32 v10, v11
	v_ashrrev_i32_e32 v10, 31, v10
	;; [unrolled: 9-line block ×3, first 2 shown]
	v_xor_b32_e32 v11, s49, v10
	v_xor_b32_e32 v10, s48, v10
	v_and_b32_e32 v8, v8, v11
	v_lshlrev_b32_e32 v11, 26, v57
	v_and_b32_e32 v58, v58, v10
	v_mov_b32_e32 v10, v9
	v_not_b32_e32 v9, v11
	v_cmp_gt_i64_e64 s[48:49], 0, v[10:11]
	v_ashrrev_i32_e32 v9, 31, v9
	; wave barrier
	s_nop 0
	v_xor_b32_e32 v10, s49, v9
	v_xor_b32_e32 v11, s48, v9
	ds_read_b32 v55, v56 offset:32
	v_and_b32_e32 v9, v8, v10
	v_and_b32_e32 v8, v58, v11
	v_mbcnt_lo_u32_b32 v10, v8, 0
	v_mbcnt_hi_u32_b32 v57, v9, v10
	v_cmp_eq_u32_e64 s[48:49], 0, v57
	v_cmp_ne_u64_e64 s[50:51], 0, v[8:9]
	s_and_b64 s[48:49], s[50:51], s[48:49]
	; wave barrier
	s_and_saveexec_b64 s[16:17], s[48:49]
	s_cbranch_execz .LBB1643_65
; %bb.64:
	v_bcnt_u32_b32 v8, v8, 0
	v_bcnt_u32_b32 v8, v9, v8
	s_waitcnt lgkmcnt(0)
	v_add_u32_e32 v8, v55, v8
	ds_write_b32 v56, v8 offset:32
.LBB1643_65:
	s_or_b64 exec, exec, s[16:17]
	v_lshrrev_b32_sdwa v8, s96, v19 dst_sel:DWORD dst_unused:UNUSED_PAD src0_sel:DWORD src1_sel:WORD_0
	v_and_b32_e32 v60, s5, v8
	v_and_b32_e32 v8, 1, v60
	v_mov_b32_e32 v9, 0
	v_lshl_add_u64 v[10:11], v[8:9], 0, -1
	v_cmp_ne_u32_e64 s[48:49], 0, v8
	v_mad_u32_u24 v59, v60, 36, v43
	s_nop 0
	v_xor_b32_e32 v10, s48, v10
	v_xor_b32_e32 v8, s49, v11
	v_and_b32_e32 v61, exec_lo, v10
	v_lshlrev_b32_e32 v11, 30, v60
	v_mov_b32_e32 v10, v9
	v_cmp_gt_i64_e64 s[48:49], 0, v[10:11]
	v_not_b32_e32 v10, v11
	v_ashrrev_i32_e32 v10, 31, v10
	v_and_b32_e32 v8, exec_hi, v8
	v_xor_b32_e32 v11, s49, v10
	v_xor_b32_e32 v10, s48, v10
	v_and_b32_e32 v8, v8, v11
	v_and_b32_e32 v61, v61, v10
	v_lshlrev_b32_e32 v11, 29, v60
	v_mov_b32_e32 v10, v9
	v_cmp_gt_i64_e64 s[48:49], 0, v[10:11]
	v_not_b32_e32 v10, v11
	v_ashrrev_i32_e32 v10, 31, v10
	v_xor_b32_e32 v11, s49, v10
	v_xor_b32_e32 v10, s48, v10
	v_and_b32_e32 v8, v8, v11
	v_and_b32_e32 v61, v61, v10
	v_lshlrev_b32_e32 v11, 28, v60
	v_mov_b32_e32 v10, v9
	v_cmp_gt_i64_e64 s[48:49], 0, v[10:11]
	v_not_b32_e32 v10, v11
	v_ashrrev_i32_e32 v10, 31, v10
	;; [unrolled: 9-line block ×4, first 2 shown]
	v_xor_b32_e32 v11, s49, v10
	v_xor_b32_e32 v10, s48, v10
	; wave barrier
	ds_read_b32 v58, v59 offset:32
	v_and_b32_e32 v10, v61, v10
	v_and_b32_e32 v11, v8, v11
	v_mbcnt_lo_u32_b32 v8, v10, 0
	v_mbcnt_hi_u32_b32 v60, v11, v8
	v_cmp_eq_u32_e64 s[48:49], 0, v60
	v_cmp_ne_u64_e64 s[50:51], 0, v[10:11]
	s_and_b64 s[48:49], s[50:51], s[48:49]
	; wave barrier
	s_and_saveexec_b64 s[16:17], s[48:49]
	s_cbranch_execz .LBB1643_67
; %bb.66:
	v_bcnt_u32_b32 v8, v10, 0
	v_bcnt_u32_b32 v8, v11, v8
	s_waitcnt lgkmcnt(0)
	v_add_u32_e32 v8, v58, v8
	ds_write_b32 v59, v8 offset:32
.LBB1643_67:
	s_or_b64 exec, exec, s[16:17]
	v_lshrrev_b32_sdwa v8, s96, v18 dst_sel:DWORD dst_unused:UNUSED_PAD src0_sel:DWORD src1_sel:WORD_0
	v_and_b32_e32 v63, s5, v8
	v_and_b32_e32 v8, 1, v63
	v_lshl_add_u64 v[10:11], v[8:9], 0, -1
	v_cmp_ne_u32_e64 s[48:49], 0, v8
	v_mad_u32_u24 v62, v63, 36, v43
	s_nop 0
	v_xor_b32_e32 v10, s48, v10
	v_xor_b32_e32 v8, s49, v11
	v_and_b32_e32 v64, exec_lo, v10
	v_lshlrev_b32_e32 v11, 30, v63
	v_mov_b32_e32 v10, v9
	v_cmp_gt_i64_e64 s[48:49], 0, v[10:11]
	v_not_b32_e32 v10, v11
	v_ashrrev_i32_e32 v10, 31, v10
	v_and_b32_e32 v8, exec_hi, v8
	v_xor_b32_e32 v11, s49, v10
	v_xor_b32_e32 v10, s48, v10
	v_and_b32_e32 v8, v8, v11
	v_and_b32_e32 v64, v64, v10
	v_lshlrev_b32_e32 v11, 29, v63
	v_mov_b32_e32 v10, v9
	v_cmp_gt_i64_e64 s[48:49], 0, v[10:11]
	v_not_b32_e32 v10, v11
	v_ashrrev_i32_e32 v10, 31, v10
	v_xor_b32_e32 v11, s49, v10
	v_xor_b32_e32 v10, s48, v10
	v_and_b32_e32 v8, v8, v11
	v_and_b32_e32 v64, v64, v10
	v_lshlrev_b32_e32 v11, 28, v63
	v_mov_b32_e32 v10, v9
	v_cmp_gt_i64_e64 s[48:49], 0, v[10:11]
	v_not_b32_e32 v10, v11
	v_ashrrev_i32_e32 v10, 31, v10
	;; [unrolled: 9-line block ×3, first 2 shown]
	v_xor_b32_e32 v11, s49, v10
	v_xor_b32_e32 v10, s48, v10
	v_and_b32_e32 v8, v8, v11
	v_lshlrev_b32_e32 v11, 26, v63
	v_and_b32_e32 v64, v64, v10
	v_mov_b32_e32 v10, v9
	v_not_b32_e32 v9, v11
	v_cmp_gt_i64_e64 s[48:49], 0, v[10:11]
	v_ashrrev_i32_e32 v9, 31, v9
	; wave barrier
	s_nop 0
	v_xor_b32_e32 v10, s49, v9
	v_xor_b32_e32 v11, s48, v9
	ds_read_b32 v61, v62 offset:32
	v_and_b32_e32 v9, v8, v10
	v_and_b32_e32 v8, v64, v11
	v_mbcnt_lo_u32_b32 v10, v8, 0
	v_mbcnt_hi_u32_b32 v63, v9, v10
	v_cmp_eq_u32_e64 s[48:49], 0, v63
	v_cmp_ne_u64_e64 s[50:51], 0, v[8:9]
	s_and_b64 s[48:49], s[50:51], s[48:49]
	; wave barrier
	s_and_saveexec_b64 s[16:17], s[48:49]
	s_cbranch_execz .LBB1643_69
; %bb.68:
	v_bcnt_u32_b32 v8, v8, 0
	v_bcnt_u32_b32 v8, v9, v8
	s_waitcnt lgkmcnt(0)
	v_add_u32_e32 v8, v61, v8
	ds_write_b32 v62, v8 offset:32
.LBB1643_69:
	s_or_b64 exec, exec, s[16:17]
	v_lshrrev_b32_sdwa v8, s96, v22 dst_sel:DWORD dst_unused:UNUSED_PAD src0_sel:DWORD src1_sel:WORD_0
	v_and_b32_e32 v66, s5, v8
	v_and_b32_e32 v8, 1, v66
	v_mov_b32_e32 v9, 0
	v_lshl_add_u64 v[10:11], v[8:9], 0, -1
	v_cmp_ne_u32_e64 s[48:49], 0, v8
	v_mad_u32_u24 v65, v66, 36, v43
	s_nop 0
	v_xor_b32_e32 v10, s48, v10
	v_xor_b32_e32 v8, s49, v11
	v_and_b32_e32 v67, exec_lo, v10
	v_lshlrev_b32_e32 v11, 30, v66
	v_mov_b32_e32 v10, v9
	v_cmp_gt_i64_e64 s[48:49], 0, v[10:11]
	v_not_b32_e32 v10, v11
	v_ashrrev_i32_e32 v10, 31, v10
	v_and_b32_e32 v8, exec_hi, v8
	v_xor_b32_e32 v11, s49, v10
	v_xor_b32_e32 v10, s48, v10
	v_and_b32_e32 v8, v8, v11
	v_and_b32_e32 v67, v67, v10
	v_lshlrev_b32_e32 v11, 29, v66
	v_mov_b32_e32 v10, v9
	v_cmp_gt_i64_e64 s[48:49], 0, v[10:11]
	v_not_b32_e32 v10, v11
	v_ashrrev_i32_e32 v10, 31, v10
	v_xor_b32_e32 v11, s49, v10
	v_xor_b32_e32 v10, s48, v10
	v_and_b32_e32 v8, v8, v11
	v_and_b32_e32 v67, v67, v10
	v_lshlrev_b32_e32 v11, 28, v66
	v_mov_b32_e32 v10, v9
	v_cmp_gt_i64_e64 s[48:49], 0, v[10:11]
	v_not_b32_e32 v10, v11
	v_ashrrev_i32_e32 v10, 31, v10
	;; [unrolled: 9-line block ×4, first 2 shown]
	v_xor_b32_e32 v11, s49, v10
	v_xor_b32_e32 v10, s48, v10
	; wave barrier
	ds_read_b32 v64, v65 offset:32
	v_and_b32_e32 v10, v67, v10
	v_and_b32_e32 v11, v8, v11
	v_mbcnt_lo_u32_b32 v8, v10, 0
	v_mbcnt_hi_u32_b32 v66, v11, v8
	v_cmp_eq_u32_e64 s[48:49], 0, v66
	v_cmp_ne_u64_e64 s[50:51], 0, v[10:11]
	s_and_b64 s[48:49], s[50:51], s[48:49]
	; wave barrier
	s_and_saveexec_b64 s[16:17], s[48:49]
	s_cbranch_execz .LBB1643_71
; %bb.70:
	v_bcnt_u32_b32 v8, v10, 0
	v_bcnt_u32_b32 v8, v11, v8
	s_waitcnt lgkmcnt(0)
	v_add_u32_e32 v8, v64, v8
	ds_write_b32 v65, v8 offset:32
.LBB1643_71:
	s_or_b64 exec, exec, s[16:17]
	v_lshrrev_b32_sdwa v8, s96, v21 dst_sel:DWORD dst_unused:UNUSED_PAD src0_sel:DWORD src1_sel:WORD_0
	v_and_b32_e32 v69, s5, v8
	v_and_b32_e32 v8, 1, v69
	v_lshl_add_u64 v[10:11], v[8:9], 0, -1
	v_cmp_ne_u32_e64 s[48:49], 0, v8
	v_mad_u32_u24 v68, v69, 36, v43
	s_nop 0
	v_xor_b32_e32 v10, s48, v10
	v_xor_b32_e32 v8, s49, v11
	v_and_b32_e32 v70, exec_lo, v10
	v_lshlrev_b32_e32 v11, 30, v69
	v_mov_b32_e32 v10, v9
	v_cmp_gt_i64_e64 s[48:49], 0, v[10:11]
	v_not_b32_e32 v10, v11
	v_ashrrev_i32_e32 v10, 31, v10
	v_and_b32_e32 v8, exec_hi, v8
	v_xor_b32_e32 v11, s49, v10
	v_xor_b32_e32 v10, s48, v10
	v_and_b32_e32 v8, v8, v11
	v_and_b32_e32 v70, v70, v10
	v_lshlrev_b32_e32 v11, 29, v69
	v_mov_b32_e32 v10, v9
	v_cmp_gt_i64_e64 s[48:49], 0, v[10:11]
	v_not_b32_e32 v10, v11
	v_ashrrev_i32_e32 v10, 31, v10
	v_xor_b32_e32 v11, s49, v10
	v_xor_b32_e32 v10, s48, v10
	v_and_b32_e32 v8, v8, v11
	v_and_b32_e32 v70, v70, v10
	v_lshlrev_b32_e32 v11, 28, v69
	v_mov_b32_e32 v10, v9
	v_cmp_gt_i64_e64 s[48:49], 0, v[10:11]
	v_not_b32_e32 v10, v11
	v_ashrrev_i32_e32 v10, 31, v10
	;; [unrolled: 9-line block ×3, first 2 shown]
	v_xor_b32_e32 v11, s49, v10
	v_xor_b32_e32 v10, s48, v10
	v_and_b32_e32 v8, v8, v11
	v_lshlrev_b32_e32 v11, 26, v69
	v_and_b32_e32 v70, v70, v10
	v_mov_b32_e32 v10, v9
	v_not_b32_e32 v9, v11
	v_cmp_gt_i64_e64 s[48:49], 0, v[10:11]
	v_ashrrev_i32_e32 v9, 31, v9
	; wave barrier
	s_nop 0
	v_xor_b32_e32 v10, s49, v9
	v_xor_b32_e32 v11, s48, v9
	ds_read_b32 v67, v68 offset:32
	v_and_b32_e32 v9, v8, v10
	v_and_b32_e32 v8, v70, v11
	v_mbcnt_lo_u32_b32 v10, v8, 0
	v_mbcnt_hi_u32_b32 v69, v9, v10
	v_cmp_eq_u32_e64 s[48:49], 0, v69
	v_cmp_ne_u64_e64 s[50:51], 0, v[8:9]
	s_and_b64 s[48:49], s[50:51], s[48:49]
	; wave barrier
	s_and_saveexec_b64 s[16:17], s[48:49]
	s_cbranch_execz .LBB1643_73
; %bb.72:
	v_bcnt_u32_b32 v8, v8, 0
	v_bcnt_u32_b32 v8, v9, v8
	s_waitcnt lgkmcnt(0)
	v_add_u32_e32 v8, v67, v8
	ds_write_b32 v68, v8 offset:32
.LBB1643_73:
	s_or_b64 exec, exec, s[16:17]
	v_lshrrev_b32_sdwa v8, s96, v24 dst_sel:DWORD dst_unused:UNUSED_PAD src0_sel:DWORD src1_sel:WORD_0
	v_and_b32_e32 v72, s5, v8
	v_and_b32_e32 v8, 1, v72
	v_mov_b32_e32 v9, 0
	v_lshl_add_u64 v[10:11], v[8:9], 0, -1
	v_cmp_ne_u32_e64 s[48:49], 0, v8
	v_mad_u32_u24 v70, v72, 36, v43
	s_nop 0
	v_xor_b32_e32 v10, s48, v10
	v_xor_b32_e32 v8, s49, v11
	v_and_b32_e32 v73, exec_lo, v10
	v_lshlrev_b32_e32 v11, 30, v72
	v_mov_b32_e32 v10, v9
	v_cmp_gt_i64_e64 s[48:49], 0, v[10:11]
	v_not_b32_e32 v10, v11
	v_ashrrev_i32_e32 v10, 31, v10
	v_and_b32_e32 v8, exec_hi, v8
	v_xor_b32_e32 v11, s49, v10
	v_xor_b32_e32 v10, s48, v10
	v_and_b32_e32 v8, v8, v11
	v_and_b32_e32 v73, v73, v10
	v_lshlrev_b32_e32 v11, 29, v72
	v_mov_b32_e32 v10, v9
	v_cmp_gt_i64_e64 s[48:49], 0, v[10:11]
	v_not_b32_e32 v10, v11
	v_ashrrev_i32_e32 v10, 31, v10
	v_xor_b32_e32 v11, s49, v10
	v_xor_b32_e32 v10, s48, v10
	v_and_b32_e32 v8, v8, v11
	v_and_b32_e32 v73, v73, v10
	v_lshlrev_b32_e32 v11, 28, v72
	v_mov_b32_e32 v10, v9
	v_cmp_gt_i64_e64 s[48:49], 0, v[10:11]
	v_not_b32_e32 v10, v11
	v_ashrrev_i32_e32 v10, 31, v10
	;; [unrolled: 9-line block ×4, first 2 shown]
	v_xor_b32_e32 v11, s49, v10
	v_xor_b32_e32 v10, s48, v10
	; wave barrier
	ds_read_b32 v71, v70 offset:32
	v_and_b32_e32 v10, v73, v10
	v_and_b32_e32 v11, v8, v11
	v_mbcnt_lo_u32_b32 v8, v10, 0
	v_mbcnt_hi_u32_b32 v72, v11, v8
	v_cmp_eq_u32_e64 s[48:49], 0, v72
	v_cmp_ne_u64_e64 s[50:51], 0, v[10:11]
	s_and_b64 s[48:49], s[50:51], s[48:49]
	; wave barrier
	s_and_saveexec_b64 s[16:17], s[48:49]
	s_cbranch_execz .LBB1643_75
; %bb.74:
	v_bcnt_u32_b32 v8, v10, 0
	v_bcnt_u32_b32 v8, v11, v8
	s_waitcnt lgkmcnt(0)
	v_add_u32_e32 v8, v71, v8
	ds_write_b32 v70, v8 offset:32
.LBB1643_75:
	s_or_b64 exec, exec, s[16:17]
	v_lshrrev_b32_sdwa v8, s96, v23 dst_sel:DWORD dst_unused:UNUSED_PAD src0_sel:DWORD src1_sel:WORD_0
	v_and_b32_e32 v75, s5, v8
	v_and_b32_e32 v8, 1, v75
	v_lshl_add_u64 v[10:11], v[8:9], 0, -1
	v_cmp_ne_u32_e64 s[48:49], 0, v8
	v_mad_u32_u24 v74, v75, 36, v43
	s_nop 0
	v_xor_b32_e32 v10, s48, v10
	v_xor_b32_e32 v8, s49, v11
	v_and_b32_e32 v76, exec_lo, v10
	v_lshlrev_b32_e32 v11, 30, v75
	v_mov_b32_e32 v10, v9
	v_cmp_gt_i64_e64 s[48:49], 0, v[10:11]
	v_not_b32_e32 v10, v11
	v_ashrrev_i32_e32 v10, 31, v10
	v_and_b32_e32 v8, exec_hi, v8
	v_xor_b32_e32 v11, s49, v10
	v_xor_b32_e32 v10, s48, v10
	v_and_b32_e32 v8, v8, v11
	v_and_b32_e32 v76, v76, v10
	v_lshlrev_b32_e32 v11, 29, v75
	v_mov_b32_e32 v10, v9
	v_cmp_gt_i64_e64 s[48:49], 0, v[10:11]
	v_not_b32_e32 v10, v11
	v_ashrrev_i32_e32 v10, 31, v10
	v_xor_b32_e32 v11, s49, v10
	v_xor_b32_e32 v10, s48, v10
	v_and_b32_e32 v8, v8, v11
	v_and_b32_e32 v76, v76, v10
	v_lshlrev_b32_e32 v11, 28, v75
	v_mov_b32_e32 v10, v9
	v_cmp_gt_i64_e64 s[48:49], 0, v[10:11]
	v_not_b32_e32 v10, v11
	v_ashrrev_i32_e32 v10, 31, v10
	;; [unrolled: 9-line block ×3, first 2 shown]
	v_xor_b32_e32 v11, s49, v10
	v_xor_b32_e32 v10, s48, v10
	v_and_b32_e32 v8, v8, v11
	v_lshlrev_b32_e32 v11, 26, v75
	v_and_b32_e32 v76, v76, v10
	v_mov_b32_e32 v10, v9
	v_not_b32_e32 v9, v11
	v_cmp_gt_i64_e64 s[48:49], 0, v[10:11]
	v_ashrrev_i32_e32 v9, 31, v9
	; wave barrier
	s_nop 0
	v_xor_b32_e32 v10, s49, v9
	v_xor_b32_e32 v11, s48, v9
	ds_read_b32 v73, v74 offset:32
	v_and_b32_e32 v9, v8, v10
	v_and_b32_e32 v8, v76, v11
	v_mbcnt_lo_u32_b32 v10, v8, 0
	v_mbcnt_hi_u32_b32 v75, v9, v10
	v_cmp_eq_u32_e64 s[48:49], 0, v75
	v_cmp_ne_u64_e64 s[50:51], 0, v[8:9]
	s_and_b64 s[48:49], s[50:51], s[48:49]
	; wave barrier
	s_and_saveexec_b64 s[16:17], s[48:49]
	s_cbranch_execz .LBB1643_77
; %bb.76:
	v_bcnt_u32_b32 v8, v8, 0
	v_bcnt_u32_b32 v8, v9, v8
	s_waitcnt lgkmcnt(0)
	v_add_u32_e32 v8, v73, v8
	ds_write_b32 v74, v8 offset:32
.LBB1643_77:
	s_or_b64 exec, exec, s[16:17]
	v_lshrrev_b32_sdwa v8, s96, v26 dst_sel:DWORD dst_unused:UNUSED_PAD src0_sel:DWORD src1_sel:WORD_0
	v_and_b32_e32 v78, s5, v8
	v_and_b32_e32 v8, 1, v78
	v_mov_b32_e32 v9, 0
	v_lshl_add_u64 v[10:11], v[8:9], 0, -1
	v_cmp_ne_u32_e64 s[48:49], 0, v8
	v_mad_u32_u24 v77, v78, 36, v43
	s_nop 0
	v_xor_b32_e32 v10, s48, v10
	v_xor_b32_e32 v8, s49, v11
	v_and_b32_e32 v79, exec_lo, v10
	v_lshlrev_b32_e32 v11, 30, v78
	v_mov_b32_e32 v10, v9
	v_cmp_gt_i64_e64 s[48:49], 0, v[10:11]
	v_not_b32_e32 v10, v11
	v_ashrrev_i32_e32 v10, 31, v10
	v_and_b32_e32 v8, exec_hi, v8
	v_xor_b32_e32 v11, s49, v10
	v_xor_b32_e32 v10, s48, v10
	v_and_b32_e32 v8, v8, v11
	v_and_b32_e32 v79, v79, v10
	v_lshlrev_b32_e32 v11, 29, v78
	v_mov_b32_e32 v10, v9
	v_cmp_gt_i64_e64 s[48:49], 0, v[10:11]
	v_not_b32_e32 v10, v11
	v_ashrrev_i32_e32 v10, 31, v10
	v_xor_b32_e32 v11, s49, v10
	v_xor_b32_e32 v10, s48, v10
	v_and_b32_e32 v8, v8, v11
	v_and_b32_e32 v79, v79, v10
	v_lshlrev_b32_e32 v11, 28, v78
	v_mov_b32_e32 v10, v9
	v_cmp_gt_i64_e64 s[48:49], 0, v[10:11]
	v_not_b32_e32 v10, v11
	v_ashrrev_i32_e32 v10, 31, v10
	;; [unrolled: 9-line block ×4, first 2 shown]
	v_xor_b32_e32 v11, s49, v10
	v_xor_b32_e32 v10, s48, v10
	; wave barrier
	ds_read_b32 v76, v77 offset:32
	v_and_b32_e32 v10, v79, v10
	v_and_b32_e32 v11, v8, v11
	v_mbcnt_lo_u32_b32 v8, v10, 0
	v_mbcnt_hi_u32_b32 v78, v11, v8
	v_cmp_eq_u32_e64 s[48:49], 0, v78
	v_cmp_ne_u64_e64 s[50:51], 0, v[10:11]
	s_and_b64 s[48:49], s[50:51], s[48:49]
	; wave barrier
	s_and_saveexec_b64 s[16:17], s[48:49]
	s_cbranch_execz .LBB1643_79
; %bb.78:
	v_bcnt_u32_b32 v8, v10, 0
	v_bcnt_u32_b32 v8, v11, v8
	s_waitcnt lgkmcnt(0)
	v_add_u32_e32 v8, v76, v8
	ds_write_b32 v77, v8 offset:32
.LBB1643_79:
	s_or_b64 exec, exec, s[16:17]
	v_lshrrev_b32_sdwa v8, s96, v25 dst_sel:DWORD dst_unused:UNUSED_PAD src0_sel:DWORD src1_sel:WORD_0
	v_and_b32_e32 v81, s5, v8
	v_and_b32_e32 v8, 1, v81
	v_lshl_add_u64 v[10:11], v[8:9], 0, -1
	v_cmp_ne_u32_e64 s[48:49], 0, v8
	v_mad_u32_u24 v80, v81, 36, v43
	s_nop 0
	v_xor_b32_e32 v10, s48, v10
	v_xor_b32_e32 v8, s49, v11
	v_and_b32_e32 v82, exec_lo, v10
	v_lshlrev_b32_e32 v11, 30, v81
	v_mov_b32_e32 v10, v9
	v_cmp_gt_i64_e64 s[48:49], 0, v[10:11]
	v_not_b32_e32 v10, v11
	v_ashrrev_i32_e32 v10, 31, v10
	v_and_b32_e32 v8, exec_hi, v8
	v_xor_b32_e32 v11, s49, v10
	v_xor_b32_e32 v10, s48, v10
	v_and_b32_e32 v8, v8, v11
	v_and_b32_e32 v82, v82, v10
	v_lshlrev_b32_e32 v11, 29, v81
	v_mov_b32_e32 v10, v9
	v_cmp_gt_i64_e64 s[48:49], 0, v[10:11]
	v_not_b32_e32 v10, v11
	v_ashrrev_i32_e32 v10, 31, v10
	v_xor_b32_e32 v11, s49, v10
	v_xor_b32_e32 v10, s48, v10
	v_and_b32_e32 v8, v8, v11
	v_and_b32_e32 v82, v82, v10
	v_lshlrev_b32_e32 v11, 28, v81
	v_mov_b32_e32 v10, v9
	v_cmp_gt_i64_e64 s[48:49], 0, v[10:11]
	v_not_b32_e32 v10, v11
	v_ashrrev_i32_e32 v10, 31, v10
	;; [unrolled: 9-line block ×3, first 2 shown]
	v_xor_b32_e32 v11, s49, v10
	v_xor_b32_e32 v10, s48, v10
	v_and_b32_e32 v8, v8, v11
	v_lshlrev_b32_e32 v11, 26, v81
	v_and_b32_e32 v82, v82, v10
	v_mov_b32_e32 v10, v9
	v_not_b32_e32 v9, v11
	v_cmp_gt_i64_e64 s[48:49], 0, v[10:11]
	v_ashrrev_i32_e32 v9, 31, v9
	; wave barrier
	s_nop 0
	v_xor_b32_e32 v10, s49, v9
	v_xor_b32_e32 v11, s48, v9
	ds_read_b32 v79, v80 offset:32
	v_and_b32_e32 v9, v8, v10
	v_and_b32_e32 v8, v82, v11
	v_mbcnt_lo_u32_b32 v10, v8, 0
	v_mbcnt_hi_u32_b32 v81, v9, v10
	v_cmp_eq_u32_e64 s[48:49], 0, v81
	v_cmp_ne_u64_e64 s[50:51], 0, v[8:9]
	s_and_b64 s[48:49], s[50:51], s[48:49]
	; wave barrier
	s_and_saveexec_b64 s[16:17], s[48:49]
	s_cbranch_execz .LBB1643_81
; %bb.80:
	v_bcnt_u32_b32 v8, v8, 0
	v_bcnt_u32_b32 v8, v9, v8
	s_waitcnt lgkmcnt(0)
	v_add_u32_e32 v8, v79, v8
	ds_write_b32 v80, v8 offset:32
.LBB1643_81:
	s_or_b64 exec, exec, s[16:17]
	v_lshrrev_b32_sdwa v8, s96, v28 dst_sel:DWORD dst_unused:UNUSED_PAD src0_sel:DWORD src1_sel:WORD_0
	v_and_b32_e32 v84, s5, v8
	v_and_b32_e32 v8, 1, v84
	v_mov_b32_e32 v9, 0
	v_lshl_add_u64 v[10:11], v[8:9], 0, -1
	v_cmp_ne_u32_e64 s[48:49], 0, v8
	v_mad_u32_u24 v83, v84, 36, v43
	s_nop 0
	v_xor_b32_e32 v10, s48, v10
	v_xor_b32_e32 v8, s49, v11
	v_and_b32_e32 v85, exec_lo, v10
	v_lshlrev_b32_e32 v11, 30, v84
	v_mov_b32_e32 v10, v9
	v_cmp_gt_i64_e64 s[48:49], 0, v[10:11]
	v_not_b32_e32 v10, v11
	v_ashrrev_i32_e32 v10, 31, v10
	v_and_b32_e32 v8, exec_hi, v8
	v_xor_b32_e32 v11, s49, v10
	v_xor_b32_e32 v10, s48, v10
	v_and_b32_e32 v8, v8, v11
	v_and_b32_e32 v85, v85, v10
	v_lshlrev_b32_e32 v11, 29, v84
	v_mov_b32_e32 v10, v9
	v_cmp_gt_i64_e64 s[48:49], 0, v[10:11]
	v_not_b32_e32 v10, v11
	v_ashrrev_i32_e32 v10, 31, v10
	v_xor_b32_e32 v11, s49, v10
	v_xor_b32_e32 v10, s48, v10
	v_and_b32_e32 v8, v8, v11
	v_and_b32_e32 v85, v85, v10
	v_lshlrev_b32_e32 v11, 28, v84
	v_mov_b32_e32 v10, v9
	v_cmp_gt_i64_e64 s[48:49], 0, v[10:11]
	v_not_b32_e32 v10, v11
	v_ashrrev_i32_e32 v10, 31, v10
	;; [unrolled: 9-line block ×4, first 2 shown]
	v_xor_b32_e32 v11, s49, v10
	v_xor_b32_e32 v10, s48, v10
	; wave barrier
	ds_read_b32 v82, v83 offset:32
	v_and_b32_e32 v10, v85, v10
	v_and_b32_e32 v11, v8, v11
	v_mbcnt_lo_u32_b32 v8, v10, 0
	v_mbcnt_hi_u32_b32 v84, v11, v8
	v_cmp_eq_u32_e64 s[48:49], 0, v84
	v_cmp_ne_u64_e64 s[50:51], 0, v[10:11]
	s_and_b64 s[48:49], s[50:51], s[48:49]
	; wave barrier
	s_and_saveexec_b64 s[16:17], s[48:49]
	s_cbranch_execz .LBB1643_83
; %bb.82:
	v_bcnt_u32_b32 v8, v10, 0
	v_bcnt_u32_b32 v8, v11, v8
	s_waitcnt lgkmcnt(0)
	v_add_u32_e32 v8, v82, v8
	ds_write_b32 v83, v8 offset:32
.LBB1643_83:
	s_or_b64 exec, exec, s[16:17]
	v_lshrrev_b32_sdwa v8, s96, v27 dst_sel:DWORD dst_unused:UNUSED_PAD src0_sel:DWORD src1_sel:WORD_0
	v_and_b32_e32 v87, s5, v8
	v_and_b32_e32 v8, 1, v87
	v_lshl_add_u64 v[10:11], v[8:9], 0, -1
	v_cmp_ne_u32_e64 s[48:49], 0, v8
	v_mad_u32_u24 v86, v87, 36, v43
	s_nop 0
	v_xor_b32_e32 v10, s48, v10
	v_xor_b32_e32 v8, s49, v11
	v_and_b32_e32 v88, exec_lo, v10
	v_lshlrev_b32_e32 v11, 30, v87
	v_mov_b32_e32 v10, v9
	v_cmp_gt_i64_e64 s[48:49], 0, v[10:11]
	v_not_b32_e32 v10, v11
	v_ashrrev_i32_e32 v10, 31, v10
	v_and_b32_e32 v8, exec_hi, v8
	v_xor_b32_e32 v11, s49, v10
	v_xor_b32_e32 v10, s48, v10
	v_and_b32_e32 v8, v8, v11
	v_and_b32_e32 v88, v88, v10
	v_lshlrev_b32_e32 v11, 29, v87
	v_mov_b32_e32 v10, v9
	v_cmp_gt_i64_e64 s[48:49], 0, v[10:11]
	v_not_b32_e32 v10, v11
	v_ashrrev_i32_e32 v10, 31, v10
	v_xor_b32_e32 v11, s49, v10
	v_xor_b32_e32 v10, s48, v10
	v_and_b32_e32 v8, v8, v11
	v_and_b32_e32 v88, v88, v10
	v_lshlrev_b32_e32 v11, 28, v87
	v_mov_b32_e32 v10, v9
	v_cmp_gt_i64_e64 s[48:49], 0, v[10:11]
	v_not_b32_e32 v10, v11
	v_ashrrev_i32_e32 v10, 31, v10
	;; [unrolled: 9-line block ×3, first 2 shown]
	v_xor_b32_e32 v11, s49, v10
	v_xor_b32_e32 v10, s48, v10
	v_and_b32_e32 v8, v8, v11
	v_lshlrev_b32_e32 v11, 26, v87
	v_and_b32_e32 v88, v88, v10
	v_mov_b32_e32 v10, v9
	v_not_b32_e32 v9, v11
	v_cmp_gt_i64_e64 s[48:49], 0, v[10:11]
	v_ashrrev_i32_e32 v9, 31, v9
	; wave barrier
	s_nop 0
	v_xor_b32_e32 v10, s49, v9
	v_xor_b32_e32 v11, s48, v9
	ds_read_b32 v85, v86 offset:32
	v_and_b32_e32 v9, v8, v10
	v_and_b32_e32 v8, v88, v11
	v_mbcnt_lo_u32_b32 v10, v8, 0
	v_mbcnt_hi_u32_b32 v87, v9, v10
	v_cmp_eq_u32_e64 s[48:49], 0, v87
	v_cmp_ne_u64_e64 s[50:51], 0, v[8:9]
	s_and_b64 s[48:49], s[50:51], s[48:49]
	; wave barrier
	s_and_saveexec_b64 s[16:17], s[48:49]
	s_cbranch_execz .LBB1643_85
; %bb.84:
	v_bcnt_u32_b32 v8, v8, 0
	v_bcnt_u32_b32 v8, v9, v8
	s_waitcnt lgkmcnt(0)
	v_add_u32_e32 v8, v85, v8
	ds_write_b32 v86, v8 offset:32
.LBB1643_85:
	s_or_b64 exec, exec, s[16:17]
	v_lshrrev_b32_sdwa v8, s96, v30 dst_sel:DWORD dst_unused:UNUSED_PAD src0_sel:DWORD src1_sel:WORD_0
	v_and_b32_e32 v90, s5, v8
	v_and_b32_e32 v8, 1, v90
	v_mov_b32_e32 v9, 0
	v_lshl_add_u64 v[10:11], v[8:9], 0, -1
	v_cmp_ne_u32_e64 s[48:49], 0, v8
	v_mad_u32_u24 v89, v90, 36, v43
	s_nop 0
	v_xor_b32_e32 v10, s48, v10
	v_xor_b32_e32 v8, s49, v11
	v_and_b32_e32 v91, exec_lo, v10
	v_lshlrev_b32_e32 v11, 30, v90
	v_mov_b32_e32 v10, v9
	v_cmp_gt_i64_e64 s[48:49], 0, v[10:11]
	v_not_b32_e32 v10, v11
	v_ashrrev_i32_e32 v10, 31, v10
	v_and_b32_e32 v8, exec_hi, v8
	v_xor_b32_e32 v11, s49, v10
	v_xor_b32_e32 v10, s48, v10
	v_and_b32_e32 v8, v8, v11
	v_and_b32_e32 v91, v91, v10
	v_lshlrev_b32_e32 v11, 29, v90
	v_mov_b32_e32 v10, v9
	v_cmp_gt_i64_e64 s[48:49], 0, v[10:11]
	v_not_b32_e32 v10, v11
	v_ashrrev_i32_e32 v10, 31, v10
	v_xor_b32_e32 v11, s49, v10
	v_xor_b32_e32 v10, s48, v10
	v_and_b32_e32 v8, v8, v11
	v_and_b32_e32 v91, v91, v10
	v_lshlrev_b32_e32 v11, 28, v90
	v_mov_b32_e32 v10, v9
	v_cmp_gt_i64_e64 s[48:49], 0, v[10:11]
	v_not_b32_e32 v10, v11
	v_ashrrev_i32_e32 v10, 31, v10
	;; [unrolled: 9-line block ×4, first 2 shown]
	v_xor_b32_e32 v11, s49, v10
	v_xor_b32_e32 v10, s48, v10
	; wave barrier
	ds_read_b32 v88, v89 offset:32
	v_and_b32_e32 v10, v91, v10
	v_and_b32_e32 v11, v8, v11
	v_mbcnt_lo_u32_b32 v8, v10, 0
	v_mbcnt_hi_u32_b32 v90, v11, v8
	v_cmp_eq_u32_e64 s[48:49], 0, v90
	v_cmp_ne_u64_e64 s[50:51], 0, v[10:11]
	s_and_b64 s[48:49], s[50:51], s[48:49]
	; wave barrier
	s_and_saveexec_b64 s[16:17], s[48:49]
	s_cbranch_execz .LBB1643_87
; %bb.86:
	v_bcnt_u32_b32 v8, v10, 0
	v_bcnt_u32_b32 v8, v11, v8
	s_waitcnt lgkmcnt(0)
	v_add_u32_e32 v8, v88, v8
	ds_write_b32 v89, v8 offset:32
.LBB1643_87:
	s_or_b64 exec, exec, s[16:17]
	v_lshrrev_b32_sdwa v8, s96, v29 dst_sel:DWORD dst_unused:UNUSED_PAD src0_sel:DWORD src1_sel:WORD_0
	v_and_b32_e32 v93, s5, v8
	v_and_b32_e32 v8, 1, v93
	v_lshl_add_u64 v[10:11], v[8:9], 0, -1
	v_cmp_ne_u32_e64 s[48:49], 0, v8
	v_mad_u32_u24 v92, v93, 36, v43
	s_nop 0
	v_xor_b32_e32 v10, s48, v10
	v_xor_b32_e32 v8, s49, v11
	v_and_b32_e32 v94, exec_lo, v10
	v_lshlrev_b32_e32 v11, 30, v93
	v_mov_b32_e32 v10, v9
	v_cmp_gt_i64_e64 s[48:49], 0, v[10:11]
	v_not_b32_e32 v10, v11
	v_ashrrev_i32_e32 v10, 31, v10
	v_and_b32_e32 v8, exec_hi, v8
	v_xor_b32_e32 v11, s49, v10
	v_xor_b32_e32 v10, s48, v10
	v_and_b32_e32 v8, v8, v11
	v_and_b32_e32 v94, v94, v10
	v_lshlrev_b32_e32 v11, 29, v93
	v_mov_b32_e32 v10, v9
	v_cmp_gt_i64_e64 s[48:49], 0, v[10:11]
	v_not_b32_e32 v10, v11
	v_ashrrev_i32_e32 v10, 31, v10
	v_xor_b32_e32 v11, s49, v10
	v_xor_b32_e32 v10, s48, v10
	v_and_b32_e32 v8, v8, v11
	v_and_b32_e32 v94, v94, v10
	v_lshlrev_b32_e32 v11, 28, v93
	v_mov_b32_e32 v10, v9
	v_cmp_gt_i64_e64 s[48:49], 0, v[10:11]
	v_not_b32_e32 v10, v11
	v_ashrrev_i32_e32 v10, 31, v10
	v_xor_b32_e32 v11, s49, v10
	v_xor_b32_e32 v10, s48, v10
	v_and_b32_e32 v8, v8, v11
	v_and_b32_e32 v94, v94, v10
	v_lshlrev_b32_e32 v11, 27, v93
	v_mov_b32_e32 v10, v9
	v_cmp_gt_i64_e64 s[48:49], 0, v[10:11]
	v_not_b32_e32 v10, v11
	v_ashrrev_i32_e32 v10, 31, v10
	v_xor_b32_e32 v11, s49, v10
	v_xor_b32_e32 v10, s48, v10
	v_and_b32_e32 v8, v8, v11
	v_lshlrev_b32_e32 v11, 26, v93
	v_and_b32_e32 v94, v94, v10
	v_mov_b32_e32 v10, v9
	v_not_b32_e32 v9, v11
	v_cmp_gt_i64_e64 s[48:49], 0, v[10:11]
	v_ashrrev_i32_e32 v9, 31, v9
	; wave barrier
	s_nop 0
	v_xor_b32_e32 v10, s49, v9
	v_xor_b32_e32 v11, s48, v9
	ds_read_b32 v91, v92 offset:32
	v_and_b32_e32 v9, v8, v10
	v_and_b32_e32 v8, v94, v11
	v_mbcnt_lo_u32_b32 v10, v8, 0
	v_mbcnt_hi_u32_b32 v93, v9, v10
	v_cmp_eq_u32_e64 s[48:49], 0, v93
	v_cmp_ne_u64_e64 s[50:51], 0, v[8:9]
	s_and_b64 s[48:49], s[50:51], s[48:49]
	; wave barrier
	s_and_saveexec_b64 s[16:17], s[48:49]
	s_cbranch_execz .LBB1643_89
; %bb.88:
	v_bcnt_u32_b32 v8, v8, 0
	v_bcnt_u32_b32 v8, v9, v8
	s_waitcnt lgkmcnt(0)
	v_add_u32_e32 v8, v91, v8
	ds_write_b32 v92, v8 offset:32
.LBB1643_89:
	s_or_b64 exec, exec, s[16:17]
	v_lshrrev_b32_sdwa v8, s96, v32 dst_sel:DWORD dst_unused:UNUSED_PAD src0_sel:DWORD src1_sel:WORD_0
	v_and_b32_e32 v96, s5, v8
	v_and_b32_e32 v8, 1, v96
	v_mov_b32_e32 v9, 0
	v_lshl_add_u64 v[10:11], v[8:9], 0, -1
	v_cmp_ne_u32_e64 s[48:49], 0, v8
	v_mad_u32_u24 v95, v96, 36, v43
	s_nop 0
	v_xor_b32_e32 v10, s48, v10
	v_xor_b32_e32 v8, s49, v11
	v_and_b32_e32 v97, exec_lo, v10
	v_lshlrev_b32_e32 v11, 30, v96
	v_mov_b32_e32 v10, v9
	v_cmp_gt_i64_e64 s[48:49], 0, v[10:11]
	v_not_b32_e32 v10, v11
	v_ashrrev_i32_e32 v10, 31, v10
	v_and_b32_e32 v8, exec_hi, v8
	v_xor_b32_e32 v11, s49, v10
	v_xor_b32_e32 v10, s48, v10
	v_and_b32_e32 v8, v8, v11
	v_and_b32_e32 v97, v97, v10
	v_lshlrev_b32_e32 v11, 29, v96
	v_mov_b32_e32 v10, v9
	v_cmp_gt_i64_e64 s[48:49], 0, v[10:11]
	v_not_b32_e32 v10, v11
	v_ashrrev_i32_e32 v10, 31, v10
	v_xor_b32_e32 v11, s49, v10
	v_xor_b32_e32 v10, s48, v10
	v_and_b32_e32 v8, v8, v11
	v_and_b32_e32 v97, v97, v10
	v_lshlrev_b32_e32 v11, 28, v96
	v_mov_b32_e32 v10, v9
	v_cmp_gt_i64_e64 s[48:49], 0, v[10:11]
	v_not_b32_e32 v10, v11
	v_ashrrev_i32_e32 v10, 31, v10
	;; [unrolled: 9-line block ×4, first 2 shown]
	v_xor_b32_e32 v11, s49, v10
	v_xor_b32_e32 v10, s48, v10
	; wave barrier
	ds_read_b32 v94, v95 offset:32
	v_and_b32_e32 v10, v97, v10
	v_and_b32_e32 v11, v8, v11
	v_mbcnt_lo_u32_b32 v8, v10, 0
	v_mbcnt_hi_u32_b32 v96, v11, v8
	v_cmp_eq_u32_e64 s[48:49], 0, v96
	v_cmp_ne_u64_e64 s[50:51], 0, v[10:11]
	s_and_b64 s[48:49], s[50:51], s[48:49]
	; wave barrier
	s_and_saveexec_b64 s[16:17], s[48:49]
	s_cbranch_execz .LBB1643_91
; %bb.90:
	v_bcnt_u32_b32 v8, v10, 0
	v_bcnt_u32_b32 v8, v11, v8
	s_waitcnt lgkmcnt(0)
	v_add_u32_e32 v8, v94, v8
	ds_write_b32 v95, v8 offset:32
.LBB1643_91:
	s_or_b64 exec, exec, s[16:17]
	v_lshrrev_b32_sdwa v8, s96, v31 dst_sel:DWORD dst_unused:UNUSED_PAD src0_sel:DWORD src1_sel:WORD_0
	v_and_b32_e32 v97, s5, v8
	v_and_b32_e32 v8, 1, v97
	v_lshl_add_u64 v[98:99], v[8:9], 0, -1
	v_cmp_ne_u32_e64 s[48:49], 0, v8
	v_mad_u32_u24 v11, v97, 36, v43
	s_nop 0
	v_xor_b32_e32 v8, s49, v99
	v_xor_b32_e32 v43, s48, v98
	v_lshlrev_b32_e32 v99, 30, v97
	v_mov_b32_e32 v98, v9
	v_cmp_gt_i64_e64 s[48:49], 0, v[98:99]
	v_not_b32_e32 v98, v99
	v_ashrrev_i32_e32 v98, 31, v98
	v_and_b32_e32 v8, exec_hi, v8
	v_and_b32_e32 v43, exec_lo, v43
	v_xor_b32_e32 v99, s49, v98
	v_xor_b32_e32 v98, s48, v98
	v_and_b32_e32 v8, v8, v99
	v_and_b32_e32 v43, v43, v98
	v_lshlrev_b32_e32 v99, 29, v97
	v_mov_b32_e32 v98, v9
	v_cmp_gt_i64_e64 s[48:49], 0, v[98:99]
	v_not_b32_e32 v98, v99
	v_ashrrev_i32_e32 v98, 31, v98
	v_xor_b32_e32 v99, s49, v98
	v_xor_b32_e32 v98, s48, v98
	v_and_b32_e32 v8, v8, v99
	v_and_b32_e32 v43, v43, v98
	v_lshlrev_b32_e32 v99, 28, v97
	v_mov_b32_e32 v98, v9
	v_cmp_gt_i64_e64 s[48:49], 0, v[98:99]
	v_not_b32_e32 v98, v99
	v_ashrrev_i32_e32 v98, 31, v98
	;; [unrolled: 9-line block ×3, first 2 shown]
	v_xor_b32_e32 v99, s49, v98
	v_xor_b32_e32 v98, s48, v98
	v_and_b32_e32 v8, v8, v99
	v_lshlrev_b32_e32 v99, 26, v97
	v_and_b32_e32 v43, v43, v98
	v_mov_b32_e32 v98, v9
	v_not_b32_e32 v9, v99
	v_cmp_gt_i64_e64 s[48:49], 0, v[98:99]
	v_ashrrev_i32_e32 v9, 31, v9
	; wave barrier
	s_nop 0
	v_xor_b32_e32 v97, s49, v9
	v_xor_b32_e32 v98, s48, v9
	ds_read_b32 v10, v11 offset:32
	v_and_b32_e32 v9, v8, v97
	v_and_b32_e32 v8, v43, v98
	v_mbcnt_lo_u32_b32 v43, v8, 0
	v_mbcnt_hi_u32_b32 v97, v9, v43
	v_cmp_eq_u32_e64 s[48:49], 0, v97
	v_cmp_ne_u64_e64 s[50:51], 0, v[8:9]
	s_and_b64 s[48:49], s[50:51], s[48:49]
	; wave barrier
	s_and_saveexec_b64 s[16:17], s[48:49]
	s_cbranch_execz .LBB1643_93
; %bb.92:
	v_bcnt_u32_b32 v8, v8, 0
	v_bcnt_u32_b32 v8, v9, v8
	s_waitcnt lgkmcnt(0)
	v_add_u32_e32 v8, v10, v8
	ds_write_b32 v11, v8 offset:32
.LBB1643_93:
	s_or_b64 exec, exec, s[16:17]
	; wave barrier
	s_waitcnt lgkmcnt(0)
	s_barrier
	ds_read_b64 v[8:9], v33 offset:32
	v_and_b32_e32 v43, 15, v15
	v_cmp_ne_u32_e64 s[48:49], 0, v43
	v_min_u32_e32 v20, 0x1c0, v20
	v_or_b32_e32 v20, 63, v20
	s_waitcnt lgkmcnt(0)
	v_add_u32_e32 v9, v9, v8
	s_nop 1
	v_mov_b32_dpp v98, v9 row_shr:1 row_mask:0xf bank_mask:0xf
	v_cndmask_b32_e64 v98, 0, v98, s[48:49]
	v_add_u32_e32 v9, v98, v9
	v_cmp_lt_u32_e64 s[48:49], 1, v43
	s_nop 0
	v_mov_b32_dpp v98, v9 row_shr:2 row_mask:0xf bank_mask:0xf
	v_cndmask_b32_e64 v98, 0, v98, s[48:49]
	v_add_u32_e32 v9, v9, v98
	v_cmp_lt_u32_e64 s[48:49], 3, v43
	;; [unrolled: 5-line block ×3, first 2 shown]
	s_nop 0
	v_mov_b32_dpp v98, v9 row_shr:8 row_mask:0xf bank_mask:0xf
	v_cndmask_b32_e64 v43, 0, v98, s[48:49]
	v_add_u32_e32 v9, v9, v43
	v_bfe_i32 v98, v15, 4, 1
	v_cmp_lt_u32_e64 s[48:49], 31, v15
	v_mov_b32_dpp v43, v9 row_bcast:15 row_mask:0xf bank_mask:0xf
	v_and_b32_e32 v43, v98, v43
	v_add_u32_e32 v9, v9, v43
	s_nop 1
	v_mov_b32_dpp v43, v9 row_bcast:31 row_mask:0xf bank_mask:0xf
	v_cndmask_b32_e64 v43, 0, v43, s[48:49]
	v_add_u32_e32 v9, v9, v43
	v_lshrrev_b32_e32 v43, 6, v2
	v_cmp_eq_u32_e64 s[48:49], v2, v20
	s_and_saveexec_b64 s[16:17], s[48:49]
; %bb.94:
	v_lshlrev_b32_e32 v20, 2, v43
	ds_write_b32 v20, v9
; %bb.95:
	s_or_b64 exec, exec, s[16:17]
	v_cmp_gt_u32_e64 s[48:49], 8, v2
	s_waitcnt lgkmcnt(0)
	s_barrier
	s_and_saveexec_b64 s[50:51], s[48:49]
	s_cbranch_execz .LBB1643_97
; %bb.96:
	v_lshlrev_b32_e32 v20, 2, v2
	ds_read_b32 v98, v20
	v_and_b32_e32 v99, 7, v15
	v_cmp_ne_u32_e64 s[48:49], 0, v99
	s_waitcnt lgkmcnt(0)
	v_mov_b32_dpp v100, v98 row_shr:1 row_mask:0xf bank_mask:0xf
	v_cndmask_b32_e64 v100, 0, v100, s[48:49]
	v_add_u32_e32 v98, v100, v98
	v_cmp_lt_u32_e64 s[48:49], 1, v99
	s_nop 0
	v_mov_b32_dpp v100, v98 row_shr:2 row_mask:0xf bank_mask:0xf
	v_cndmask_b32_e64 v100, 0, v100, s[48:49]
	v_add_u32_e32 v98, v98, v100
	v_cmp_lt_u32_e64 s[48:49], 3, v99
	s_nop 0
	v_mov_b32_dpp v100, v98 row_shr:4 row_mask:0xf bank_mask:0xf
	v_cndmask_b32_e64 v99, 0, v100, s[48:49]
	v_add_u32_e32 v98, v98, v99
	ds_write_b32 v20, v98
.LBB1643_97:
	s_or_b64 exec, exec, s[50:51]
	v_cmp_gt_u32_e64 s[50:51], 64, v2
	v_cmp_lt_u32_e64 s[48:49], 63, v2
	v_mov_b32_e32 v20, 0
	s_waitcnt lgkmcnt(0)
	s_barrier
	s_and_saveexec_b64 s[16:17], s[48:49]
; %bb.98:
	v_lshl_add_u32 v20, v43, 2, -4
	ds_read_b32 v20, v20
; %bb.99:
	s_or_b64 exec, exec, s[16:17]
	v_subrev_co_u32_e64 v43, s[52:53], 1, v15
	v_and_b32_e32 v98, 64, v15
	v_cmp_lt_i32_e64 s[54:55], v43, v98
	s_waitcnt lgkmcnt(0)
	v_add_u32_e32 v9, v20, v9
	v_cndmask_b32_e64 v15, v43, v15, s[54:55]
	v_lshlrev_b32_e32 v15, 2, v15
	ds_bpermute_b32 v9, v15, v9
                                        ; implicit-def: $vgpr15
	s_waitcnt lgkmcnt(0)
	v_cndmask_b32_e64 v9, v9, v20, s[52:53]
	v_cndmask_b32_e64 v98, v9, 0, s[94:95]
	v_add_u32_e32 v99, v98, v8
	ds_write_b64 v33, v[98:99] offset:32
	s_waitcnt lgkmcnt(0)
	s_barrier
	ds_read_b32 v8, v36 offset:32
	ds_read_b32 v9, v37 offset:32
	;; [unrolled: 1-line block ×22, first 2 shown]
                                        ; implicit-def: $vgpr20
	s_and_saveexec_b64 s[54:55], s[50:51]
	s_cbranch_execz .LBB1643_103
; %bb.100:
	v_mul_u32_u24_e32 v15, 36, v2
	ds_read_b32 v15, v15 offset:32
	v_add_u32_e32 v50, 1, v2
	v_cmp_ne_u32_e64 s[52:53], 64, v50
	v_mov_b32_e32 v20, 0x2c00
	s_and_saveexec_b64 s[16:17], s[52:53]
; %bb.101:
	v_mul_u32_u24_e32 v20, 36, v50
	ds_read_b32 v20, v20 offset:32
; %bb.102:
	s_or_b64 exec, exec, s[16:17]
	s_waitcnt lgkmcnt(0)
	v_sub_u32_e32 v20, v20, v15
.LBB1643_103:
	s_or_b64 exec, exec, s[54:55]
	s_waitcnt lgkmcnt(14)
	v_add_u32_e32 v70, v8, v34
	v_add3_u32 v68, v38, v35, v9
	v_add3_u32 v65, v41, v39, v33
	v_add3_u32 v62, v45, v42, v36
	v_add3_u32 v59, v48, v46, v37
	v_add3_u32 v56, v51, v49, v40
	v_add3_u32 v52, v54, v52, v43
	v_add3_u32 v50, v57, v55, v44
	s_waitcnt lgkmcnt(13)
	v_add3_u32 v47, v60, v58, v47
	s_waitcnt lgkmcnt(12)
	v_add3_u32 v45, v63, v61, v53
	;; [unrolled: 2-line block ×6, first 2 shown]
	v_lshlrev_b32_e32 v74, 1, v70
	v_lshlrev_b32_e32 v72, 1, v68
	;; [unrolled: 1-line block ×13, first 2 shown]
	s_waitcnt lgkmcnt(7)
	v_add3_u32 v40, v78, v76, v77
	s_waitcnt lgkmcnt(6)
	v_add3_u32 v39, v81, v79, v80
	;; [unrolled: 2-line block ×8, first 2 shown]
	s_barrier
	ds_write_b16 v74, v5 offset:256
	ds_write_b16 v72, v3 offset:256
	;; [unrolled: 1-line block ×13, first 2 shown]
	v_lshlrev_b32_e32 v24, 1, v41
	ds_write_b16 v24, v23 offset:256
	v_lshlrev_b32_e32 v23, 1, v40
	v_lshlrev_b32_e32 v22, 1, v39
	;; [unrolled: 1-line block ×8, first 2 shown]
	v_mov_b32_e32 v9, 0
	v_lshlrev_b32_e32 v3, 2, v2
	ds_write_b16 v23, v26 offset:256
	ds_write_b16 v22, v25 offset:256
	;; [unrolled: 1-line block ×8, first 2 shown]
	s_and_saveexec_b64 s[52:53], s[50:51]
	s_cbranch_execz .LBB1643_113
; %bb.104:
	v_lshl_add_u32 v8, s33, 6, v2
	v_lshl_add_u64 v[10:11], v[8:9], 2, s[6:7]
	v_or_b32_e32 v5, 2.0, v20
	global_store_dword v[10:11], v5, off sc1
	s_mov_b64 s[54:55], 0
	s_brev_b32 s58, -4
	s_mov_b32 s59, s33
	v_mov_b32_e32 v5, 0
                                        ; implicit-def: $sgpr50_sgpr51
	s_branch .LBB1643_107
.LBB1643_105:                           ;   in Loop: Header=BB1643_107 Depth=1
	s_or_b64 exec, exec, s[16:17]
.LBB1643_106:                           ;   in Loop: Header=BB1643_107 Depth=1
	s_or_b64 exec, exec, s[56:57]
	v_and_b32_e32 v8, 0x3fffffff, v7
	v_add_u32_e32 v5, v8, v5
	v_cmp_gt_i32_e64 s[50:51], -2.0, v7
	s_and_b64 s[16:17], exec, s[50:51]
	s_or_b64 s[54:55], s[16:17], s[54:55]
	s_andn2_b64 exec, exec, s[54:55]
	s_cbranch_execz .LBB1643_112
.LBB1643_107:                           ; =>This Loop Header: Depth=1
                                        ;     Child Loop BB1643_110 Depth 2
	s_or_b64 s[50:51], s[50:51], exec
	s_cmp_eq_u32 s59, 0
	s_cbranch_scc1 .LBB1643_111
; %bb.108:                              ;   in Loop: Header=BB1643_107 Depth=1
	s_add_i32 s59, s59, -1
	v_lshl_or_b32 v8, s59, 6, v2
	v_lshl_add_u64 v[12:13], v[8:9], 2, s[6:7]
	global_load_dword v7, v[12:13], off sc1
	s_waitcnt vmcnt(0)
	v_cmp_gt_u32_e64 s[50:51], 2.0, v7
	s_and_saveexec_b64 s[56:57], s[50:51]
	s_cbranch_execz .LBB1643_106
; %bb.109:                              ;   in Loop: Header=BB1643_107 Depth=1
	s_mov_b64 s[16:17], 0
.LBB1643_110:                           ;   Parent Loop BB1643_107 Depth=1
                                        ; =>  This Inner Loop Header: Depth=2
	global_load_dword v7, v[12:13], off sc1
	s_waitcnt vmcnt(0)
	v_cmp_lt_u32_e64 s[50:51], s58, v7
	s_or_b64 s[16:17], s[50:51], s[16:17]
	s_andn2_b64 exec, exec, s[16:17]
	s_cbranch_execnz .LBB1643_110
	s_branch .LBB1643_105
.LBB1643_111:                           ;   in Loop: Header=BB1643_107 Depth=1
                                        ; implicit-def: $sgpr59
	s_and_b64 s[16:17], exec, s[50:51]
	s_or_b64 s[54:55], s[16:17], s[54:55]
	s_andn2_b64 exec, exec, s[54:55]
	s_cbranch_execnz .LBB1643_107
.LBB1643_112:
	s_or_b64 exec, exec, s[54:55]
	s_load_dwordx4 s[16:19], s[0:1], 0x28
	v_add_u32_e32 v7, v5, v20
	v_or_b32_e32 v7, 0x80000000, v7
	global_store_dword v[10:11], v7, off sc1
	v_sub_u32_e32 v5, v5, v15
	s_waitcnt lgkmcnt(0)
	global_load_dword v7, v3, s[16:17]
	s_waitcnt vmcnt(0)
	v_add_u32_e32 v5, v5, v7
	ds_write_b32 v3, v5
.LBB1643_113:
	s_or_b64 exec, exec, s[52:53]
	v_cmp_gt_u32_e64 s[50:51], s3, v2
	v_mov_b32_e32 v8, 0
	v_mov_b32_e32 v11, 0
	s_waitcnt lgkmcnt(0)
	s_barrier
	s_and_saveexec_b64 s[52:53], s[50:51]
	s_cbranch_execz .LBB1643_115
; %bb.114:
	v_lshlrev_b32_e32 v5, 1, v2
	v_sub_u32_e32 v5, v3, v5
	ds_read_u16 v5, v5 offset:256
	v_mov_b32_e32 v13, 0
	s_waitcnt lgkmcnt(0)
	v_lshrrev_b32_sdwa v7, s96, v5 dst_sel:DWORD dst_unused:UNUSED_PAD src0_sel:DWORD src1_sel:WORD_0
	v_and_b32_e32 v11, s5, v7
	v_lshlrev_b32_e32 v7, 2, v11
	ds_read_b32 v7, v7
	v_xor_b32_e32 v5, 0xffff8000, v5
	s_waitcnt lgkmcnt(0)
	v_add_u32_e32 v12, v7, v2
	v_lshl_add_u64 v[12:13], v[12:13], 1, s[10:11]
	global_store_short v[12:13], v5, off
.LBB1643_115:
	s_or_b64 exec, exec, s[52:53]
	v_add_u32_e32 v10, 0x200, v2
	v_cmp_gt_u32_e64 s[52:53], s3, v10
	s_and_saveexec_b64 s[54:55], s[52:53]
	s_cbranch_execz .LBB1643_117
; %bb.116:
	v_lshlrev_b32_e32 v5, 1, v2
	v_sub_u32_e32 v5, v3, v5
	ds_read_u16 v5, v5 offset:1280
	v_mov_b32_e32 v13, 0
	s_waitcnt lgkmcnt(0)
	v_lshrrev_b32_sdwa v7, s96, v5 dst_sel:DWORD dst_unused:UNUSED_PAD src0_sel:DWORD src1_sel:WORD_0
	v_and_b32_e32 v8, s5, v7
	v_lshlrev_b32_e32 v7, 2, v8
	ds_read_b32 v7, v7
	v_xor_b32_e32 v5, 0xffff8000, v5
	s_waitcnt lgkmcnt(0)
	v_add_u32_e32 v12, v7, v10
	v_lshl_add_u64 v[12:13], v[12:13], 1, s[10:11]
	global_store_short v[12:13], v5, off
.LBB1643_117:
	s_or_b64 exec, exec, s[54:55]
	v_or_b32_e32 v12, 0x400, v2
	v_cmp_gt_u32_e64 s[54:55], s3, v12
	v_mov_b32_e32 v9, 0
	v_mov_b32_e32 v26, 0
	s_and_saveexec_b64 s[56:57], s[54:55]
	s_cbranch_execz .LBB1643_119
; %bb.118:
	v_lshlrev_b32_e32 v5, 1, v2
	v_sub_u32_e32 v5, v3, v5
	ds_read_u16 v5, v5 offset:2304
	v_mov_b32_e32 v29, 0
	s_waitcnt lgkmcnt(0)
	v_lshrrev_b32_sdwa v7, s96, v5 dst_sel:DWORD dst_unused:UNUSED_PAD src0_sel:DWORD src1_sel:WORD_0
	v_and_b32_e32 v26, s5, v7
	v_lshlrev_b32_e32 v7, 2, v26
	ds_read_b32 v7, v7
	v_xor_b32_e32 v5, 0xffff8000, v5
	s_waitcnt lgkmcnt(0)
	v_add_u32_e32 v28, v7, v12
	v_lshl_add_u64 v[28:29], v[28:29], 1, s[10:11]
	global_store_short v[28:29], v5, off
.LBB1643_119:
	s_or_b64 exec, exec, s[56:57]
	v_add_u32_e32 v25, 0x600, v2
	v_cmp_gt_u32_e64 s[56:57], s3, v25
	s_and_saveexec_b64 s[58:59], s[56:57]
	s_cbranch_execz .LBB1643_121
; %bb.120:
	v_lshlrev_b32_e32 v5, 1, v2
	v_sub_u32_e32 v5, v3, v5
	ds_read_u16 v5, v5 offset:3328
	v_mov_b32_e32 v29, 0
	s_waitcnt lgkmcnt(0)
	v_lshrrev_b32_sdwa v7, s96, v5 dst_sel:DWORD dst_unused:UNUSED_PAD src0_sel:DWORD src1_sel:WORD_0
	v_and_b32_e32 v9, s5, v7
	v_lshlrev_b32_e32 v7, 2, v9
	ds_read_b32 v7, v7
	v_xor_b32_e32 v5, 0xffff8000, v5
	s_waitcnt lgkmcnt(0)
	v_add_u32_e32 v28, v7, v25
	v_lshl_add_u64 v[28:29], v[28:29], 1, s[10:11]
	global_store_short v[28:29], v5, off
.LBB1643_121:
	s_or_b64 exec, exec, s[58:59]
	v_or_b32_e32 v27, 0x800, v2
	v_cmp_gt_u32_e64 s[58:59], s3, v27
	v_mov_b32_e32 v13, 0
	v_mov_b32_e32 v30, 0
	;; [unrolled: 44-line block ×3, first 2 shown]
	s_and_saveexec_b64 s[64:65], s[62:63]
	s_cbranch_execz .LBB1643_127
; %bb.126:
	v_lshlrev_b32_e32 v5, 1, v2
	v_sub_u32_e32 v5, v3, v5
	ds_read_u16 v5, v5 offset:6400
	v_mov_b32_e32 v77, 0
	s_waitcnt lgkmcnt(0)
	v_lshrrev_b32_sdwa v7, s96, v5 dst_sel:DWORD dst_unused:UNUSED_PAD src0_sel:DWORD src1_sel:WORD_0
	v_and_b32_e32 v63, s5, v7
	v_lshlrev_b32_e32 v7, 2, v63
	ds_read_b32 v7, v7
	v_xor_b32_e32 v5, 0xffff8000, v5
	s_waitcnt lgkmcnt(0)
	v_add_u32_e32 v76, v7, v31
	v_lshl_add_u64 v[76:77], v[76:77], 1, s[10:11]
	global_store_short v[76:77], v5, off
.LBB1643_127:
	s_or_b64 exec, exec, s[64:65]
	v_add_u32_e32 v60, 0xe00, v2
	v_cmp_gt_u32_e64 s[64:65], s3, v60
	s_and_saveexec_b64 s[66:67], s[64:65]
	s_cbranch_execz .LBB1643_129
; %bb.128:
	v_lshlrev_b32_e32 v5, 1, v2
	ds_read_u16 v5, v5 offset:7424
	v_mov_b32_e32 v77, 0
	s_waitcnt lgkmcnt(0)
	v_lshrrev_b32_sdwa v7, s96, v5 dst_sel:DWORD dst_unused:UNUSED_PAD src0_sel:DWORD src1_sel:WORD_0
	v_and_b32_e32 v28, s5, v7
	v_lshlrev_b32_e32 v7, 2, v28
	ds_read_b32 v7, v7
	v_xor_b32_e32 v5, 0xffff8000, v5
	s_waitcnt lgkmcnt(0)
	v_add_u32_e32 v76, v7, v60
	v_lshl_add_u64 v[76:77], v[76:77], 1, s[10:11]
	global_store_short v[76:77], v5, off
.LBB1643_129:
	s_or_b64 exec, exec, s[66:67]
	v_or_b32_e32 v64, 0x1000, v2
	v_cmp_gt_u32_e64 s[66:67], s3, v64
	v_mov_b32_e32 v32, 0
	v_mov_b32_e32 v71, 0
	s_and_saveexec_b64 s[68:69], s[66:67]
	s_cbranch_execz .LBB1643_131
; %bb.130:
	v_lshlrev_b32_e32 v5, 1, v2
	ds_read_u16 v5, v5 offset:8448
	v_mov_b32_e32 v77, 0
	s_waitcnt lgkmcnt(0)
	v_lshrrev_b32_sdwa v7, s96, v5 dst_sel:DWORD dst_unused:UNUSED_PAD src0_sel:DWORD src1_sel:WORD_0
	v_and_b32_e32 v71, s5, v7
	v_lshlrev_b32_e32 v7, 2, v71
	ds_read_b32 v7, v7
	v_xor_b32_e32 v5, 0xffff8000, v5
	s_waitcnt lgkmcnt(0)
	v_add_u32_e32 v76, v7, v64
	v_lshl_add_u64 v[76:77], v[76:77], 1, s[10:11]
	global_store_short v[76:77], v5, off
.LBB1643_131:
	s_or_b64 exec, exec, s[68:69]
	v_add_u32_e32 v69, 0x1200, v2
	v_cmp_gt_u32_e64 s[68:69], s3, v69
	s_and_saveexec_b64 s[70:71], s[68:69]
	s_cbranch_execz .LBB1643_133
; %bb.132:
	v_lshlrev_b32_e32 v5, 1, v2
	ds_read_u16 v5, v5 offset:9472
	v_mov_b32_e32 v77, 0
	s_waitcnt lgkmcnt(0)
	v_lshrrev_b32_sdwa v7, s96, v5 dst_sel:DWORD dst_unused:UNUSED_PAD src0_sel:DWORD src1_sel:WORD_0
	v_and_b32_e32 v32, s5, v7
	v_lshlrev_b32_e32 v7, 2, v32
	ds_read_b32 v7, v7
	v_xor_b32_e32 v5, 0xffff8000, v5
	s_waitcnt lgkmcnt(0)
	v_add_u32_e32 v76, v7, v69
	v_lshl_add_u64 v[76:77], v[76:77], 1, s[10:11]
	global_store_short v[76:77], v5, off
.LBB1643_133:
	s_or_b64 exec, exec, s[70:71]
	v_or_b32_e32 v73, 0x1400, v2
	v_cmp_gt_u32_e64 s[70:71], s3, v73
	v_mov_b32_e32 v67, 0
	v_mov_b32_e32 v77, 0
	s_and_saveexec_b64 s[72:73], s[70:71]
	s_cbranch_execz .LBB1643_135
; %bb.134:
	v_lshlrev_b32_e32 v5, 1, v2
	ds_read_u16 v5, v5 offset:10496
	v_mov_b32_e32 v79, 0
	s_waitcnt lgkmcnt(0)
	v_lshrrev_b32_sdwa v7, s96, v5 dst_sel:DWORD dst_unused:UNUSED_PAD src0_sel:DWORD src1_sel:WORD_0
	v_and_b32_e32 v77, s5, v7
	v_lshlrev_b32_e32 v7, 2, v77
	ds_read_b32 v7, v7
	v_xor_b32_e32 v5, 0xffff8000, v5
	s_waitcnt lgkmcnt(0)
	v_add_u32_e32 v78, v7, v73
	v_lshl_add_u64 v[78:79], v[78:79], 1, s[10:11]
	global_store_short v[78:79], v5, off
.LBB1643_135:
	;; [unrolled: 42-line block ×7, first 2 shown]
	s_or_b64 exec, exec, s[92:93]
	v_add_u32_e32 v95, 0x2a00, v2
	v_cmp_gt_u32_e64 s[92:93], s3, v95
	s_and_saveexec_b64 s[16:17], s[92:93]
	s_cbranch_execz .LBB1643_157
; %bb.156:
	v_lshlrev_b32_e32 v5, 1, v2
	ds_read_u16 v5, v5 offset:21760
	v_mov_b32_e32 v99, 0
	s_waitcnt lgkmcnt(0)
	v_lshrrev_b32_sdwa v7, s96, v5 dst_sel:DWORD dst_unused:UNUSED_PAD src0_sel:DWORD src1_sel:WORD_0
	v_and_b32_e32 v91, s5, v7
	v_lshlrev_b32_e32 v7, 2, v91
	ds_read_b32 v7, v7
	v_xor_b32_e32 v5, 0xffff8000, v5
	s_waitcnt lgkmcnt(0)
	v_add_u32_e32 v98, v7, v95
	v_lshl_add_u64 v[98:99], v[98:99], 1, s[10:11]
	global_store_short v[98:99], v5, off
.LBB1643_157:
	s_or_b64 exec, exec, s[16:17]
	s_add_u32 s16, s12, s98
	s_addc_u32 s17, s13, s99
	v_mov_b32_e32 v5, 0
	v_lshl_add_u64 v[98:99], s[16:17], 0, v[4:5]
	v_mov_b32_e32 v7, v5
	v_lshl_add_u64 v[4:5], v[98:99], 0, v[6:7]
                                        ; implicit-def: $vgpr6
	s_mov_b64 s[16:17], exec
	v_readlane_b32 s18, v117, 4
	v_readlane_b32 s19, v117, 5
	s_and_b64 s[18:19], s[16:17], s[18:19]
	s_xor_b64 s[16:17], s[18:19], s[16:17]
	s_mov_b64 exec, s[18:19]
	s_cbranch_execz .LBB1643_159
; %bb.158:
	global_load_ushort v6, v[4:5], off
.LBB1643_159:
	s_or_b64 exec, exec, s[16:17]
	v_readlane_b32 s18, v117, 6
	v_readlane_b32 s19, v117, 7
                                        ; implicit-def: $vgpr7
	s_and_saveexec_b64 s[16:17], s[18:19]
	s_cbranch_execz .LBB1643_161
; %bb.160:
	global_load_ushort v7, v[4:5], off offset:128
.LBB1643_161:
	s_or_b64 exec, exec, s[16:17]
	v_readlane_b32 s18, v117, 8
	v_readlane_b32 s19, v117, 9
                                        ; implicit-def: $vgpr97
	s_and_saveexec_b64 s[16:17], s[18:19]
	s_cbranch_execz .LBB1643_163
; %bb.162:
	global_load_ushort v97, v[4:5], off offset:256
.LBB1643_163:
	s_or_b64 exec, exec, s[16:17]
	v_readlane_b32 s18, v117, 10
	v_readlane_b32 s19, v117, 11
                                        ; implicit-def: $vgpr98
	s_and_saveexec_b64 s[16:17], s[18:19]
	s_cbranch_execz .LBB1643_165
; %bb.164:
	global_load_ushort v98, v[4:5], off offset:384
.LBB1643_165:
	s_or_b64 exec, exec, s[16:17]
	v_readlane_b32 s18, v117, 12
	v_readlane_b32 s19, v117, 13
                                        ; implicit-def: $vgpr99
	s_and_saveexec_b64 s[16:17], s[18:19]
	s_cbranch_execz .LBB1643_167
; %bb.166:
	global_load_ushort v99, v[4:5], off offset:512
.LBB1643_167:
	s_or_b64 exec, exec, s[16:17]
	v_readlane_b32 s18, v117, 14
	v_readlane_b32 s19, v117, 15
                                        ; implicit-def: $vgpr100
	s_and_saveexec_b64 s[16:17], s[18:19]
	s_cbranch_execz .LBB1643_169
; %bb.168:
	global_load_ushort v100, v[4:5], off offset:640
.LBB1643_169:
	s_or_b64 exec, exec, s[16:17]
	v_readlane_b32 s18, v117, 16
	v_readlane_b32 s19, v117, 17
                                        ; implicit-def: $vgpr101
	s_and_saveexec_b64 s[16:17], s[18:19]
	s_cbranch_execz .LBB1643_171
; %bb.170:
	global_load_ushort v101, v[4:5], off offset:768
.LBB1643_171:
	s_or_b64 exec, exec, s[16:17]
	v_readlane_b32 s18, v117, 18
	v_readlane_b32 s19, v117, 19
                                        ; implicit-def: $vgpr102
	s_and_saveexec_b64 s[16:17], s[18:19]
	s_cbranch_execz .LBB1643_209
; %bb.172:
	global_load_ushort v102, v[4:5], off offset:896
	s_or_b64 exec, exec, s[16:17]
                                        ; implicit-def: $vgpr103
	s_and_saveexec_b64 s[16:17], vcc
	s_cbranch_execnz .LBB1643_210
.LBB1643_173:
	s_or_b64 exec, exec, s[16:17]
                                        ; implicit-def: $vgpr104
	s_and_saveexec_b64 s[16:17], s[20:21]
	s_cbranch_execz .LBB1643_211
.LBB1643_174:
	global_load_ushort v104, v[4:5], off offset:1152
	s_or_b64 exec, exec, s[16:17]
                                        ; implicit-def: $vgpr105
	s_and_saveexec_b64 s[16:17], s[22:23]
	s_cbranch_execnz .LBB1643_212
.LBB1643_175:
	s_or_b64 exec, exec, s[16:17]
                                        ; implicit-def: $vgpr106
	s_and_saveexec_b64 s[16:17], s[24:25]
	s_cbranch_execz .LBB1643_213
.LBB1643_176:
	global_load_ushort v106, v[4:5], off offset:1408
	s_or_b64 exec, exec, s[16:17]
                                        ; implicit-def: $vgpr107
	s_and_saveexec_b64 s[16:17], s[26:27]
	s_cbranch_execnz .LBB1643_214
.LBB1643_177:
	s_or_b64 exec, exec, s[16:17]
                                        ; implicit-def: $vgpr108
	s_and_saveexec_b64 s[16:17], s[28:29]
	s_cbranch_execz .LBB1643_215
.LBB1643_178:
	global_load_ushort v108, v[4:5], off offset:1664
	s_or_b64 exec, exec, s[16:17]
                                        ; implicit-def: $vgpr109
	s_and_saveexec_b64 s[16:17], s[30:31]
	s_cbranch_execnz .LBB1643_216
.LBB1643_179:
	s_or_b64 exec, exec, s[16:17]
                                        ; implicit-def: $vgpr110
	s_and_saveexec_b64 s[16:17], s[34:35]
	s_cbranch_execz .LBB1643_217
.LBB1643_180:
	global_load_ushort v110, v[4:5], off offset:1920
	s_or_b64 exec, exec, s[16:17]
                                        ; implicit-def: $vgpr111
	s_and_saveexec_b64 s[16:17], s[36:37]
	s_cbranch_execnz .LBB1643_218
.LBB1643_181:
	s_or_b64 exec, exec, s[16:17]
                                        ; implicit-def: $vgpr112
	s_and_saveexec_b64 s[16:17], s[38:39]
	s_cbranch_execz .LBB1643_219
.LBB1643_182:
	global_load_ushort v112, v[4:5], off offset:2176
	s_or_b64 exec, exec, s[16:17]
                                        ; implicit-def: $vgpr113
	s_and_saveexec_b64 s[16:17], s[40:41]
	s_cbranch_execnz .LBB1643_220
.LBB1643_183:
	s_or_b64 exec, exec, s[16:17]
                                        ; implicit-def: $vgpr114
	s_and_saveexec_b64 s[16:17], s[42:43]
	s_cbranch_execz .LBB1643_221
.LBB1643_184:
	global_load_ushort v114, v[4:5], off offset:2432
	s_or_b64 exec, exec, s[16:17]
                                        ; implicit-def: $vgpr115
	s_and_saveexec_b64 s[16:17], s[44:45]
	s_cbranch_execnz .LBB1643_222
.LBB1643_185:
	s_or_b64 exec, exec, s[16:17]
                                        ; implicit-def: $vgpr116
	s_and_saveexec_b64 s[16:17], s[46:47]
	s_cbranch_execz .LBB1643_187
.LBB1643_186:
	global_load_ushort v116, v[4:5], off offset:2688
.LBB1643_187:
	s_or_b64 exec, exec, s[16:17]
	s_movk_i32 s3, 0x2c00
	v_cmp_gt_u32_e32 vcc, s3, v70
	s_barrier
	s_and_saveexec_b64 s[16:17], vcc
	s_cbranch_execz .LBB1643_223
; %bb.188:
	s_waitcnt vmcnt(0)
	ds_write_b16 v74, v6 offset:256
	s_or_b64 exec, exec, s[16:17]
	v_cmp_gt_u32_e32 vcc, s3, v68
	s_and_saveexec_b64 s[16:17], vcc
	s_cbranch_execnz .LBB1643_224
.LBB1643_189:
	s_or_b64 exec, exec, s[16:17]
	v_cmp_gt_u32_e32 vcc, s3, v65
	s_and_saveexec_b64 s[16:17], vcc
	s_cbranch_execz .LBB1643_225
.LBB1643_190:
	s_waitcnt vmcnt(0)
	ds_write_b16 v66, v97 offset:256
	s_or_b64 exec, exec, s[16:17]
	v_cmp_gt_u32_e32 vcc, s3, v62
	s_and_saveexec_b64 s[16:17], vcc
	s_cbranch_execnz .LBB1643_226
.LBB1643_191:
	s_or_b64 exec, exec, s[16:17]
	v_cmp_gt_u32_e32 vcc, s3, v59
	s_and_saveexec_b64 s[16:17], vcc
	s_cbranch_execz .LBB1643_227
.LBB1643_192:
	s_waitcnt vmcnt(0)
	ds_write_b16 v58, v99 offset:256
	s_or_b64 exec, exec, s[16:17]
	v_cmp_gt_u32_e32 vcc, s3, v56
	s_and_saveexec_b64 s[16:17], vcc
	s_cbranch_execnz .LBB1643_228
.LBB1643_193:
	s_or_b64 exec, exec, s[16:17]
	v_cmp_gt_u32_e32 vcc, s3, v52
	s_and_saveexec_b64 s[16:17], vcc
	s_cbranch_execz .LBB1643_229
.LBB1643_194:
	s_waitcnt vmcnt(0)
	ds_write_b16 v55, v101 offset:256
	s_or_b64 exec, exec, s[16:17]
	v_cmp_gt_u32_e32 vcc, s3, v50
	s_and_saveexec_b64 s[16:17], vcc
	s_cbranch_execnz .LBB1643_230
.LBB1643_195:
	s_or_b64 exec, exec, s[16:17]
	v_cmp_gt_u32_e32 vcc, s3, v47
	s_and_saveexec_b64 s[16:17], vcc
	s_cbranch_execz .LBB1643_231
.LBB1643_196:
	s_waitcnt vmcnt(0)
	ds_write_b16 v53, v103 offset:256
	s_or_b64 exec, exec, s[16:17]
	v_cmp_gt_u32_e32 vcc, s3, v45
	s_and_saveexec_b64 s[16:17], vcc
	s_cbranch_execnz .LBB1643_232
.LBB1643_197:
	s_or_b64 exec, exec, s[16:17]
	v_cmp_gt_u32_e32 vcc, s3, v44
	s_and_saveexec_b64 s[16:17], vcc
	s_cbranch_execz .LBB1643_233
.LBB1643_198:
	s_waitcnt vmcnt(0)
	ds_write_b16 v49, v105 offset:256
	s_or_b64 exec, exec, s[16:17]
	v_cmp_gt_u32_e32 vcc, s3, v43
	s_and_saveexec_b64 s[16:17], vcc
	s_cbranch_execnz .LBB1643_234
.LBB1643_199:
	s_or_b64 exec, exec, s[16:17]
	v_cmp_gt_u32_e32 vcc, s3, v42
	s_and_saveexec_b64 s[16:17], vcc
	s_cbranch_execz .LBB1643_235
.LBB1643_200:
	s_waitcnt vmcnt(0)
	ds_write_b16 v46, v107 offset:256
	s_or_b64 exec, exec, s[16:17]
	v_cmp_gt_u32_e32 vcc, s3, v41
	s_and_saveexec_b64 s[16:17], vcc
	s_cbranch_execnz .LBB1643_236
.LBB1643_201:
	s_or_b64 exec, exec, s[16:17]
	v_cmp_gt_u32_e32 vcc, s3, v40
	s_and_saveexec_b64 s[16:17], vcc
	s_cbranch_execz .LBB1643_237
.LBB1643_202:
	s_waitcnt vmcnt(0)
	ds_write_b16 v23, v109 offset:256
	s_or_b64 exec, exec, s[16:17]
	v_cmp_gt_u32_e32 vcc, s3, v39
	s_and_saveexec_b64 s[16:17], vcc
	s_cbranch_execnz .LBB1643_238
.LBB1643_203:
	s_or_b64 exec, exec, s[16:17]
	v_cmp_gt_u32_e32 vcc, s3, v38
	s_and_saveexec_b64 s[16:17], vcc
	s_cbranch_execz .LBB1643_239
.LBB1643_204:
	s_waitcnt vmcnt(0)
	ds_write_b16 v21, v111 offset:256
	s_or_b64 exec, exec, s[16:17]
	v_cmp_gt_u32_e32 vcc, s3, v37
	s_and_saveexec_b64 s[16:17], vcc
	s_cbranch_execnz .LBB1643_240
.LBB1643_205:
	s_or_b64 exec, exec, s[16:17]
	v_cmp_gt_u32_e32 vcc, s3, v36
	s_and_saveexec_b64 s[16:17], vcc
	s_cbranch_execz .LBB1643_241
.LBB1643_206:
	s_waitcnt vmcnt(0)
	ds_write_b16 v18, v113 offset:256
	s_or_b64 exec, exec, s[16:17]
	v_cmp_gt_u32_e32 vcc, s3, v35
	s_and_saveexec_b64 s[16:17], vcc
	s_cbranch_execnz .LBB1643_242
.LBB1643_207:
	s_or_b64 exec, exec, s[16:17]
	v_cmp_gt_u32_e32 vcc, s3, v34
	s_and_saveexec_b64 s[16:17], vcc
	s_cbranch_execz .LBB1643_243
.LBB1643_208:
	s_waitcnt vmcnt(0)
	ds_write_b16 v16, v115 offset:256
	s_or_b64 exec, exec, s[16:17]
	v_cmp_gt_u32_e32 vcc, s3, v33
	s_and_saveexec_b64 s[16:17], vcc
	s_cbranch_execnz .LBB1643_244
	s_branch .LBB1643_245
.LBB1643_209:
	s_or_b64 exec, exec, s[16:17]
                                        ; implicit-def: $vgpr103
	s_and_saveexec_b64 s[16:17], vcc
	s_cbranch_execz .LBB1643_173
.LBB1643_210:
	global_load_ushort v103, v[4:5], off offset:1024
	s_or_b64 exec, exec, s[16:17]
                                        ; implicit-def: $vgpr104
	s_and_saveexec_b64 s[16:17], s[20:21]
	s_cbranch_execnz .LBB1643_174
.LBB1643_211:
	s_or_b64 exec, exec, s[16:17]
                                        ; implicit-def: $vgpr105
	s_and_saveexec_b64 s[16:17], s[22:23]
	s_cbranch_execz .LBB1643_175
.LBB1643_212:
	global_load_ushort v105, v[4:5], off offset:1280
	s_or_b64 exec, exec, s[16:17]
                                        ; implicit-def: $vgpr106
	s_and_saveexec_b64 s[16:17], s[24:25]
	s_cbranch_execnz .LBB1643_176
.LBB1643_213:
	s_or_b64 exec, exec, s[16:17]
                                        ; implicit-def: $vgpr107
	s_and_saveexec_b64 s[16:17], s[26:27]
	s_cbranch_execz .LBB1643_177
.LBB1643_214:
	global_load_ushort v107, v[4:5], off offset:1536
	s_or_b64 exec, exec, s[16:17]
                                        ; implicit-def: $vgpr108
	s_and_saveexec_b64 s[16:17], s[28:29]
	s_cbranch_execnz .LBB1643_178
.LBB1643_215:
	s_or_b64 exec, exec, s[16:17]
                                        ; implicit-def: $vgpr109
	s_and_saveexec_b64 s[16:17], s[30:31]
	s_cbranch_execz .LBB1643_179
.LBB1643_216:
	global_load_ushort v109, v[4:5], off offset:1792
	s_or_b64 exec, exec, s[16:17]
                                        ; implicit-def: $vgpr110
	s_and_saveexec_b64 s[16:17], s[34:35]
	s_cbranch_execnz .LBB1643_180
.LBB1643_217:
	s_or_b64 exec, exec, s[16:17]
                                        ; implicit-def: $vgpr111
	s_and_saveexec_b64 s[16:17], s[36:37]
	s_cbranch_execz .LBB1643_181
.LBB1643_218:
	global_load_ushort v111, v[4:5], off offset:2048
	s_or_b64 exec, exec, s[16:17]
                                        ; implicit-def: $vgpr112
	s_and_saveexec_b64 s[16:17], s[38:39]
	s_cbranch_execnz .LBB1643_182
.LBB1643_219:
	s_or_b64 exec, exec, s[16:17]
                                        ; implicit-def: $vgpr113
	s_and_saveexec_b64 s[16:17], s[40:41]
	s_cbranch_execz .LBB1643_183
.LBB1643_220:
	global_load_ushort v113, v[4:5], off offset:2304
	s_or_b64 exec, exec, s[16:17]
                                        ; implicit-def: $vgpr114
	s_and_saveexec_b64 s[16:17], s[42:43]
	s_cbranch_execnz .LBB1643_184
.LBB1643_221:
	s_or_b64 exec, exec, s[16:17]
                                        ; implicit-def: $vgpr115
	s_and_saveexec_b64 s[16:17], s[44:45]
	s_cbranch_execz .LBB1643_185
.LBB1643_222:
	global_load_ushort v115, v[4:5], off offset:2560
	s_or_b64 exec, exec, s[16:17]
                                        ; implicit-def: $vgpr116
	s_and_saveexec_b64 s[16:17], s[46:47]
	s_cbranch_execnz .LBB1643_186
	s_branch .LBB1643_187
.LBB1643_223:
	s_or_b64 exec, exec, s[16:17]
	v_cmp_gt_u32_e32 vcc, s3, v68
	s_and_saveexec_b64 s[16:17], vcc
	s_cbranch_execz .LBB1643_189
.LBB1643_224:
	s_waitcnt vmcnt(0)
	ds_write_b16 v72, v7 offset:256
	s_or_b64 exec, exec, s[16:17]
	v_cmp_gt_u32_e32 vcc, s3, v65
	s_and_saveexec_b64 s[16:17], vcc
	s_cbranch_execnz .LBB1643_190
.LBB1643_225:
	s_or_b64 exec, exec, s[16:17]
	v_cmp_gt_u32_e32 vcc, s3, v62
	s_and_saveexec_b64 s[16:17], vcc
	s_cbranch_execz .LBB1643_191
.LBB1643_226:
	s_waitcnt vmcnt(0)
	ds_write_b16 v61, v98 offset:256
	s_or_b64 exec, exec, s[16:17]
	v_cmp_gt_u32_e32 vcc, s3, v59
	s_and_saveexec_b64 s[16:17], vcc
	s_cbranch_execnz .LBB1643_192
.LBB1643_227:
	s_or_b64 exec, exec, s[16:17]
	v_cmp_gt_u32_e32 vcc, s3, v56
	s_and_saveexec_b64 s[16:17], vcc
	s_cbranch_execz .LBB1643_193
.LBB1643_228:
	s_waitcnt vmcnt(0)
	ds_write_b16 v57, v100 offset:256
	s_or_b64 exec, exec, s[16:17]
	v_cmp_gt_u32_e32 vcc, s3, v52
	s_and_saveexec_b64 s[16:17], vcc
	s_cbranch_execnz .LBB1643_194
.LBB1643_229:
	s_or_b64 exec, exec, s[16:17]
	v_cmp_gt_u32_e32 vcc, s3, v50
	s_and_saveexec_b64 s[16:17], vcc
	s_cbranch_execz .LBB1643_195
.LBB1643_230:
	s_waitcnt vmcnt(0)
	ds_write_b16 v54, v102 offset:256
	s_or_b64 exec, exec, s[16:17]
	v_cmp_gt_u32_e32 vcc, s3, v47
	s_and_saveexec_b64 s[16:17], vcc
	s_cbranch_execnz .LBB1643_196
.LBB1643_231:
	s_or_b64 exec, exec, s[16:17]
	v_cmp_gt_u32_e32 vcc, s3, v45
	s_and_saveexec_b64 s[16:17], vcc
	s_cbranch_execz .LBB1643_197
.LBB1643_232:
	s_waitcnt vmcnt(0)
	ds_write_b16 v51, v104 offset:256
	s_or_b64 exec, exec, s[16:17]
	v_cmp_gt_u32_e32 vcc, s3, v44
	s_and_saveexec_b64 s[16:17], vcc
	s_cbranch_execnz .LBB1643_198
.LBB1643_233:
	s_or_b64 exec, exec, s[16:17]
	v_cmp_gt_u32_e32 vcc, s3, v43
	s_and_saveexec_b64 s[16:17], vcc
	s_cbranch_execz .LBB1643_199
.LBB1643_234:
	s_waitcnt vmcnt(0)
	ds_write_b16 v48, v106 offset:256
	s_or_b64 exec, exec, s[16:17]
	v_cmp_gt_u32_e32 vcc, s3, v42
	s_and_saveexec_b64 s[16:17], vcc
	s_cbranch_execnz .LBB1643_200
.LBB1643_235:
	s_or_b64 exec, exec, s[16:17]
	v_cmp_gt_u32_e32 vcc, s3, v41
	s_and_saveexec_b64 s[16:17], vcc
	s_cbranch_execz .LBB1643_201
.LBB1643_236:
	s_waitcnt vmcnt(0)
	ds_write_b16 v24, v108 offset:256
	s_or_b64 exec, exec, s[16:17]
	v_cmp_gt_u32_e32 vcc, s3, v40
	s_and_saveexec_b64 s[16:17], vcc
	s_cbranch_execnz .LBB1643_202
.LBB1643_237:
	s_or_b64 exec, exec, s[16:17]
	v_cmp_gt_u32_e32 vcc, s3, v39
	s_and_saveexec_b64 s[16:17], vcc
	s_cbranch_execz .LBB1643_203
.LBB1643_238:
	s_waitcnt vmcnt(0)
	ds_write_b16 v22, v110 offset:256
	s_or_b64 exec, exec, s[16:17]
	v_cmp_gt_u32_e32 vcc, s3, v38
	s_and_saveexec_b64 s[16:17], vcc
	s_cbranch_execnz .LBB1643_204
.LBB1643_239:
	s_or_b64 exec, exec, s[16:17]
	v_cmp_gt_u32_e32 vcc, s3, v37
	s_and_saveexec_b64 s[16:17], vcc
	s_cbranch_execz .LBB1643_205
.LBB1643_240:
	s_waitcnt vmcnt(0)
	ds_write_b16 v19, v112 offset:256
	s_or_b64 exec, exec, s[16:17]
	v_cmp_gt_u32_e32 vcc, s3, v36
	s_and_saveexec_b64 s[16:17], vcc
	s_cbranch_execnz .LBB1643_206
.LBB1643_241:
	s_or_b64 exec, exec, s[16:17]
	v_cmp_gt_u32_e32 vcc, s3, v35
	s_and_saveexec_b64 s[16:17], vcc
	s_cbranch_execz .LBB1643_207
.LBB1643_242:
	s_waitcnt vmcnt(0)
	ds_write_b16 v17, v114 offset:256
	s_or_b64 exec, exec, s[16:17]
	v_cmp_gt_u32_e32 vcc, s3, v34
	s_and_saveexec_b64 s[16:17], vcc
	s_cbranch_execnz .LBB1643_208
.LBB1643_243:
	s_or_b64 exec, exec, s[16:17]
	v_cmp_gt_u32_e32 vcc, s3, v33
	s_and_saveexec_b64 s[16:17], vcc
	s_cbranch_execz .LBB1643_245
.LBB1643_244:
	s_waitcnt vmcnt(0)
	ds_write_b16 v14, v116 offset:256
.LBB1643_245:
	s_or_b64 exec, exec, s[16:17]
	s_waitcnt lgkmcnt(0)
	s_barrier
	s_and_saveexec_b64 s[16:17], s[50:51]
	s_cbranch_execz .LBB1643_267
; %bb.246:
	v_lshlrev_b32_e32 v4, 2, v11
	ds_read_b32 v4, v4
	v_lshlrev_b32_e32 v5, 1, v2
	s_waitcnt vmcnt(0)
	ds_read_u16 v6, v5 offset:256
	v_mov_b32_e32 v5, 0
	s_waitcnt lgkmcnt(1)
	v_add_u32_e32 v4, v4, v2
	v_lshl_add_u64 v[4:5], v[4:5], 1, s[14:15]
	s_waitcnt lgkmcnt(0)
	global_store_short v[4:5], v6, off
	s_or_b64 exec, exec, s[16:17]
	s_and_saveexec_b64 s[16:17], s[52:53]
	s_cbranch_execnz .LBB1643_268
.LBB1643_247:
	s_or_b64 exec, exec, s[16:17]
	s_and_saveexec_b64 s[16:17], s[54:55]
	s_cbranch_execz .LBB1643_269
.LBB1643_248:
	v_lshlrev_b32_e32 v4, 2, v26
	ds_read_b32 v4, v4
	v_lshlrev_b32_e32 v5, 1, v2
	s_waitcnt vmcnt(0)
	ds_read_u16 v6, v5 offset:2304
	v_mov_b32_e32 v5, 0
	s_waitcnt lgkmcnt(1)
	v_add_u32_e32 v4, v4, v12
	v_lshl_add_u64 v[4:5], v[4:5], 1, s[14:15]
	s_waitcnt lgkmcnt(0)
	global_store_short v[4:5], v6, off
	s_or_b64 exec, exec, s[16:17]
	s_and_saveexec_b64 s[16:17], s[56:57]
	s_cbranch_execnz .LBB1643_270
.LBB1643_249:
	s_or_b64 exec, exec, s[16:17]
	s_and_saveexec_b64 s[16:17], s[58:59]
	s_cbranch_execz .LBB1643_271
.LBB1643_250:
	v_lshlrev_b32_e32 v4, 2, v30
	ds_read_b32 v4, v4
	v_lshlrev_b32_e32 v5, 1, v2
	s_waitcnt vmcnt(0)
	ds_read_u16 v6, v5 offset:4352
	v_mov_b32_e32 v5, 0
	s_waitcnt lgkmcnt(1)
	v_add_u32_e32 v4, v4, v27
	v_lshl_add_u64 v[4:5], v[4:5], 1, s[14:15]
	s_waitcnt lgkmcnt(0)
	global_store_short v[4:5], v6, off
	s_or_b64 exec, exec, s[16:17]
	s_and_saveexec_b64 s[16:17], s[60:61]
	s_cbranch_execnz .LBB1643_272
.LBB1643_251:
	s_or_b64 exec, exec, s[16:17]
	s_and_saveexec_b64 s[16:17], s[62:63]
	s_cbranch_execz .LBB1643_273
.LBB1643_252:
	v_lshlrev_b32_e32 v4, 2, v63
	ds_read_b32 v4, v4
	v_lshlrev_b32_e32 v5, 1, v2
	s_waitcnt vmcnt(0)
	ds_read_u16 v6, v5 offset:6400
	v_mov_b32_e32 v5, 0
	s_waitcnt lgkmcnt(1)
	v_add_u32_e32 v4, v4, v31
	v_lshl_add_u64 v[4:5], v[4:5], 1, s[14:15]
	s_waitcnt lgkmcnt(0)
	global_store_short v[4:5], v6, off
	s_or_b64 exec, exec, s[16:17]
	s_and_saveexec_b64 s[16:17], s[64:65]
	s_cbranch_execnz .LBB1643_274
.LBB1643_253:
	s_or_b64 exec, exec, s[16:17]
	s_and_saveexec_b64 s[16:17], s[66:67]
	s_cbranch_execz .LBB1643_275
.LBB1643_254:
	v_lshlrev_b32_e32 v4, 2, v71
	ds_read_b32 v4, v4
	v_lshlrev_b32_e32 v5, 1, v2
	s_waitcnt vmcnt(0)
	ds_read_u16 v6, v5 offset:8448
	v_mov_b32_e32 v5, 0
	s_waitcnt lgkmcnt(1)
	v_add_u32_e32 v4, v4, v64
	v_lshl_add_u64 v[4:5], v[4:5], 1, s[14:15]
	s_waitcnt lgkmcnt(0)
	global_store_short v[4:5], v6, off
	s_or_b64 exec, exec, s[16:17]
	s_and_saveexec_b64 s[16:17], s[68:69]
	s_cbranch_execnz .LBB1643_276
.LBB1643_255:
	s_or_b64 exec, exec, s[16:17]
	s_and_saveexec_b64 s[16:17], s[70:71]
	s_cbranch_execz .LBB1643_277
.LBB1643_256:
	v_lshlrev_b32_e32 v4, 2, v77
	ds_read_b32 v4, v4
	v_lshlrev_b32_e32 v5, 1, v2
	s_waitcnt vmcnt(0)
	ds_read_u16 v6, v5 offset:10496
	v_mov_b32_e32 v5, 0
	s_waitcnt lgkmcnt(1)
	v_add_u32_e32 v4, v4, v73
	v_lshl_add_u64 v[4:5], v[4:5], 1, s[14:15]
	s_waitcnt lgkmcnt(0)
	global_store_short v[4:5], v6, off
	s_or_b64 exec, exec, s[16:17]
	s_and_saveexec_b64 s[16:17], s[72:73]
	s_cbranch_execnz .LBB1643_278
.LBB1643_257:
	s_or_b64 exec, exec, s[16:17]
	s_and_saveexec_b64 s[16:17], s[74:75]
	s_cbranch_execz .LBB1643_279
.LBB1643_258:
	v_lshlrev_b32_e32 v4, 2, v81
	ds_read_b32 v4, v4
	v_lshlrev_b32_e32 v5, 1, v2
	s_waitcnt vmcnt(0)
	ds_read_u16 v6, v5 offset:12544
	v_mov_b32_e32 v5, 0
	s_waitcnt lgkmcnt(1)
	v_add_u32_e32 v4, v4, v78
	v_lshl_add_u64 v[4:5], v[4:5], 1, s[14:15]
	s_waitcnt lgkmcnt(0)
	global_store_short v[4:5], v6, off
	s_or_b64 exec, exec, s[16:17]
	s_and_saveexec_b64 s[16:17], s[76:77]
	s_cbranch_execnz .LBB1643_280
.LBB1643_259:
	s_or_b64 exec, exec, s[16:17]
	s_and_saveexec_b64 s[16:17], s[78:79]
	s_cbranch_execz .LBB1643_281
.LBB1643_260:
	v_lshlrev_b32_e32 v4, 2, v85
	ds_read_b32 v4, v4
	v_lshlrev_b32_e32 v5, 1, v2
	s_waitcnt vmcnt(0)
	ds_read_u16 v6, v5 offset:14592
	v_mov_b32_e32 v5, 0
	s_waitcnt lgkmcnt(1)
	v_add_u32_e32 v4, v4, v82
	v_lshl_add_u64 v[4:5], v[4:5], 1, s[14:15]
	s_waitcnt lgkmcnt(0)
	global_store_short v[4:5], v6, off
	s_or_b64 exec, exec, s[16:17]
	s_and_saveexec_b64 s[16:17], s[80:81]
	s_cbranch_execnz .LBB1643_282
.LBB1643_261:
	s_or_b64 exec, exec, s[16:17]
	s_and_saveexec_b64 s[16:17], s[82:83]
	s_cbranch_execz .LBB1643_283
.LBB1643_262:
	v_lshlrev_b32_e32 v4, 2, v89
	ds_read_b32 v4, v4
	v_lshlrev_b32_e32 v5, 1, v2
	s_waitcnt vmcnt(0)
	ds_read_u16 v6, v5 offset:16640
	v_mov_b32_e32 v5, 0
	s_waitcnt lgkmcnt(1)
	v_add_u32_e32 v4, v4, v86
	v_lshl_add_u64 v[4:5], v[4:5], 1, s[14:15]
	s_waitcnt lgkmcnt(0)
	global_store_short v[4:5], v6, off
	s_or_b64 exec, exec, s[16:17]
	s_and_saveexec_b64 s[16:17], s[84:85]
	s_cbranch_execnz .LBB1643_284
.LBB1643_263:
	s_or_b64 exec, exec, s[16:17]
	s_and_saveexec_b64 s[16:17], s[86:87]
	s_cbranch_execz .LBB1643_285
.LBB1643_264:
	v_lshlrev_b32_e32 v4, 2, v93
	ds_read_b32 v4, v4
	v_lshlrev_b32_e32 v5, 1, v2
	s_waitcnt vmcnt(0)
	ds_read_u16 v6, v5 offset:18688
	v_mov_b32_e32 v5, 0
	s_waitcnt lgkmcnt(1)
	v_add_u32_e32 v4, v4, v90
	v_lshl_add_u64 v[4:5], v[4:5], 1, s[14:15]
	s_waitcnt lgkmcnt(0)
	global_store_short v[4:5], v6, off
	s_or_b64 exec, exec, s[16:17]
	s_and_saveexec_b64 s[16:17], s[88:89]
	s_cbranch_execnz .LBB1643_286
.LBB1643_265:
	s_or_b64 exec, exec, s[16:17]
	s_and_saveexec_b64 s[16:17], s[90:91]
	s_cbranch_execz .LBB1643_287
.LBB1643_266:
	v_lshlrev_b32_e32 v4, 2, v96
	ds_read_b32 v4, v4
	v_lshlrev_b32_e32 v5, 1, v2
	s_waitcnt vmcnt(0)
	ds_read_u16 v6, v5 offset:20736
	v_mov_b32_e32 v5, 0
	s_waitcnt lgkmcnt(1)
	v_add_u32_e32 v4, v4, v94
	v_lshl_add_u64 v[4:5], v[4:5], 1, s[14:15]
	s_waitcnt lgkmcnt(0)
	global_store_short v[4:5], v6, off
	s_or_b64 exec, exec, s[16:17]
	s_and_saveexec_b64 s[16:17], s[92:93]
	s_cbranch_execnz .LBB1643_288
	s_branch .LBB1643_289
.LBB1643_267:
	s_or_b64 exec, exec, s[16:17]
	s_and_saveexec_b64 s[16:17], s[52:53]
	s_cbranch_execz .LBB1643_247
.LBB1643_268:
	v_lshlrev_b32_e32 v4, 2, v8
	ds_read_b32 v4, v4
	v_lshlrev_b32_e32 v5, 1, v2
	s_waitcnt vmcnt(0)
	ds_read_u16 v6, v5 offset:1280
	v_mov_b32_e32 v5, 0
	s_waitcnt lgkmcnt(1)
	v_add_u32_e32 v4, v4, v10
	v_lshl_add_u64 v[4:5], v[4:5], 1, s[14:15]
	s_waitcnt lgkmcnt(0)
	global_store_short v[4:5], v6, off
	s_or_b64 exec, exec, s[16:17]
	s_and_saveexec_b64 s[16:17], s[54:55]
	s_cbranch_execnz .LBB1643_248
.LBB1643_269:
	s_or_b64 exec, exec, s[16:17]
	s_and_saveexec_b64 s[16:17], s[56:57]
	s_cbranch_execz .LBB1643_249
.LBB1643_270:
	v_lshlrev_b32_e32 v4, 2, v9
	ds_read_b32 v4, v4
	v_lshlrev_b32_e32 v5, 1, v2
	s_waitcnt vmcnt(0)
	ds_read_u16 v6, v5 offset:3328
	v_mov_b32_e32 v5, 0
	s_waitcnt lgkmcnt(1)
	v_add_u32_e32 v4, v4, v25
	v_lshl_add_u64 v[4:5], v[4:5], 1, s[14:15]
	s_waitcnt lgkmcnt(0)
	global_store_short v[4:5], v6, off
	s_or_b64 exec, exec, s[16:17]
	s_and_saveexec_b64 s[16:17], s[58:59]
	s_cbranch_execnz .LBB1643_250
.LBB1643_271:
	s_or_b64 exec, exec, s[16:17]
	s_and_saveexec_b64 s[16:17], s[60:61]
	s_cbranch_execz .LBB1643_251
.LBB1643_272:
	v_lshlrev_b32_e32 v4, 2, v13
	ds_read_b32 v4, v4
	v_lshlrev_b32_e32 v5, 1, v2
	s_waitcnt vmcnt(0)
	ds_read_u16 v6, v5 offset:5376
	v_mov_b32_e32 v5, 0
	s_waitcnt lgkmcnt(1)
	v_add_u32_e32 v4, v4, v29
	v_lshl_add_u64 v[4:5], v[4:5], 1, s[14:15]
	s_waitcnt lgkmcnt(0)
	global_store_short v[4:5], v6, off
	s_or_b64 exec, exec, s[16:17]
	s_and_saveexec_b64 s[16:17], s[62:63]
	s_cbranch_execnz .LBB1643_252
.LBB1643_273:
	s_or_b64 exec, exec, s[16:17]
	s_and_saveexec_b64 s[16:17], s[64:65]
	s_cbranch_execz .LBB1643_253
.LBB1643_274:
	v_lshlrev_b32_e32 v4, 2, v28
	ds_read_b32 v4, v4
	v_lshlrev_b32_e32 v5, 1, v2
	s_waitcnt vmcnt(0)
	ds_read_u16 v6, v5 offset:7424
	v_mov_b32_e32 v5, 0
	s_waitcnt lgkmcnt(1)
	v_add_u32_e32 v4, v4, v60
	v_lshl_add_u64 v[4:5], v[4:5], 1, s[14:15]
	s_waitcnt lgkmcnt(0)
	global_store_short v[4:5], v6, off
	s_or_b64 exec, exec, s[16:17]
	s_and_saveexec_b64 s[16:17], s[66:67]
	s_cbranch_execnz .LBB1643_254
.LBB1643_275:
	s_or_b64 exec, exec, s[16:17]
	s_and_saveexec_b64 s[16:17], s[68:69]
	s_cbranch_execz .LBB1643_255
.LBB1643_276:
	v_lshlrev_b32_e32 v4, 2, v32
	ds_read_b32 v4, v4
	v_lshlrev_b32_e32 v5, 1, v2
	s_waitcnt vmcnt(0)
	ds_read_u16 v6, v5 offset:9472
	v_mov_b32_e32 v5, 0
	s_waitcnt lgkmcnt(1)
	v_add_u32_e32 v4, v4, v69
	v_lshl_add_u64 v[4:5], v[4:5], 1, s[14:15]
	s_waitcnt lgkmcnt(0)
	global_store_short v[4:5], v6, off
	s_or_b64 exec, exec, s[16:17]
	s_and_saveexec_b64 s[16:17], s[70:71]
	s_cbranch_execnz .LBB1643_256
.LBB1643_277:
	s_or_b64 exec, exec, s[16:17]
	s_and_saveexec_b64 s[16:17], s[72:73]
	s_cbranch_execz .LBB1643_257
.LBB1643_278:
	v_lshlrev_b32_e32 v4, 2, v67
	ds_read_b32 v4, v4
	v_lshlrev_b32_e32 v5, 1, v2
	s_waitcnt vmcnt(0)
	ds_read_u16 v6, v5 offset:11520
	v_mov_b32_e32 v5, 0
	s_waitcnt lgkmcnt(1)
	v_add_u32_e32 v4, v4, v76
	v_lshl_add_u64 v[4:5], v[4:5], 1, s[14:15]
	s_waitcnt lgkmcnt(0)
	global_store_short v[4:5], v6, off
	s_or_b64 exec, exec, s[16:17]
	s_and_saveexec_b64 s[16:17], s[74:75]
	s_cbranch_execnz .LBB1643_258
.LBB1643_279:
	s_or_b64 exec, exec, s[16:17]
	s_and_saveexec_b64 s[16:17], s[76:77]
	s_cbranch_execz .LBB1643_259
.LBB1643_280:
	v_lshlrev_b32_e32 v4, 2, v75
	ds_read_b32 v4, v4
	v_lshlrev_b32_e32 v5, 1, v2
	s_waitcnt vmcnt(0)
	ds_read_u16 v6, v5 offset:13568
	v_mov_b32_e32 v5, 0
	s_waitcnt lgkmcnt(1)
	v_add_u32_e32 v4, v4, v80
	v_lshl_add_u64 v[4:5], v[4:5], 1, s[14:15]
	s_waitcnt lgkmcnt(0)
	global_store_short v[4:5], v6, off
	s_or_b64 exec, exec, s[16:17]
	s_and_saveexec_b64 s[16:17], s[78:79]
	s_cbranch_execnz .LBB1643_260
.LBB1643_281:
	s_or_b64 exec, exec, s[16:17]
	s_and_saveexec_b64 s[16:17], s[80:81]
	s_cbranch_execz .LBB1643_261
.LBB1643_282:
	v_lshlrev_b32_e32 v4, 2, v79
	ds_read_b32 v4, v4
	v_lshlrev_b32_e32 v5, 1, v2
	s_waitcnt vmcnt(0)
	ds_read_u16 v6, v5 offset:15616
	v_mov_b32_e32 v5, 0
	s_waitcnt lgkmcnt(1)
	v_add_u32_e32 v4, v4, v84
	v_lshl_add_u64 v[4:5], v[4:5], 1, s[14:15]
	s_waitcnt lgkmcnt(0)
	global_store_short v[4:5], v6, off
	s_or_b64 exec, exec, s[16:17]
	s_and_saveexec_b64 s[16:17], s[82:83]
	s_cbranch_execnz .LBB1643_262
.LBB1643_283:
	s_or_b64 exec, exec, s[16:17]
	s_and_saveexec_b64 s[16:17], s[84:85]
	s_cbranch_execz .LBB1643_263
.LBB1643_284:
	v_lshlrev_b32_e32 v4, 2, v83
	ds_read_b32 v4, v4
	v_lshlrev_b32_e32 v5, 1, v2
	s_waitcnt vmcnt(0)
	ds_read_u16 v6, v5 offset:17664
	v_mov_b32_e32 v5, 0
	s_waitcnt lgkmcnt(1)
	v_add_u32_e32 v4, v4, v88
	v_lshl_add_u64 v[4:5], v[4:5], 1, s[14:15]
	s_waitcnt lgkmcnt(0)
	global_store_short v[4:5], v6, off
	s_or_b64 exec, exec, s[16:17]
	s_and_saveexec_b64 s[16:17], s[86:87]
	s_cbranch_execnz .LBB1643_264
.LBB1643_285:
	s_or_b64 exec, exec, s[16:17]
	s_and_saveexec_b64 s[16:17], s[88:89]
	s_cbranch_execz .LBB1643_265
.LBB1643_286:
	v_lshlrev_b32_e32 v4, 2, v87
	ds_read_b32 v4, v4
	v_lshlrev_b32_e32 v5, 1, v2
	s_waitcnt vmcnt(0)
	ds_read_u16 v6, v5 offset:19712
	v_mov_b32_e32 v5, 0
	s_waitcnt lgkmcnt(1)
	v_add_u32_e32 v4, v4, v92
	v_lshl_add_u64 v[4:5], v[4:5], 1, s[14:15]
	s_waitcnt lgkmcnt(0)
	global_store_short v[4:5], v6, off
	s_or_b64 exec, exec, s[16:17]
	s_and_saveexec_b64 s[16:17], s[90:91]
	s_cbranch_execnz .LBB1643_266
.LBB1643_287:
	s_or_b64 exec, exec, s[16:17]
	s_and_saveexec_b64 s[16:17], s[92:93]
	s_cbranch_execz .LBB1643_289
.LBB1643_288:
	v_lshlrev_b32_e32 v4, 2, v91
	ds_read_b32 v4, v4
	v_lshlrev_b32_e32 v5, 1, v2
	s_waitcnt vmcnt(0)
	ds_read_u16 v6, v5 offset:21760
	v_mov_b32_e32 v5, 0
	s_waitcnt lgkmcnt(1)
	v_add_u32_e32 v4, v4, v95
	v_lshl_add_u64 v[4:5], v[4:5], 1, s[14:15]
	s_waitcnt lgkmcnt(0)
	global_store_short v[4:5], v6, off
.LBB1643_289:
	s_or_b64 exec, exec, s[16:17]
	s_load_dword s3, s[0:1], 0x58
	s_waitcnt lgkmcnt(0)
	s_add_i32 s3, s3, -1
	s_cmp_eq_u32 s33, s3
	s_cselect_b64 s[16:17], -1, 0
	s_xor_b64 s[18:19], s[48:49], -1
	s_and_b64 s[18:19], s[18:19], s[16:17]
	s_and_saveexec_b64 s[16:17], s[18:19]
	s_cbranch_execz .LBB1643_291
; %bb.290:
	ds_read_b32 v4, v3
	s_load_dwordx4 s[20:23], s[0:1], 0x28
	s_waitcnt lgkmcnt(0)
	v_add3_u32 v4, v15, v20, v4
	global_store_dword v3, v4, s[22:23]
.LBB1643_291:
	s_or_b64 exec, exec, s[16:17]
	s_mov_b64 s[16:17], 0
.LBB1643_292:
	s_and_b64 vcc, exec, s[16:17]
	s_cbranch_vccz .LBB1643_383
; %bb.293:
	s_mov_b32 s5, 0
	s_lshl_b64 s[16:17], s[4:5], 1
	v_mbcnt_hi_u32_b32 v3, -1, v1
	s_add_u32 s4, s8, s16
	v_and_b32_e32 v4, 63, v3
	v_and_b32_e32 v10, 0x3c0, v2
	v_mov_b32_e32 v1, 0
	s_addc_u32 s5, s9, s17
	s_waitcnt vmcnt(0)
	v_mul_u32_u24_e32 v6, 22, v10
	v_lshlrev_b32_e32 v4, 1, v4
	v_mov_b32_e32 v5, v1
	v_lshl_add_u64 v[8:9], s[4:5], 0, v[4:5]
	v_lshlrev_b32_e32 v6, 1, v6
	v_mov_b32_e32 v7, v1
	v_lshl_add_u64 v[8:9], v[8:9], 0, v[6:7]
	s_load_dword s20, s[0:1], 0x58
	s_load_dword s3, s[0:1], 0x64
	global_load_ushort v5, v[8:9], off
	s_add_u32 s0, s0, 0x58
	s_addc_u32 s1, s1, 0
	v_bfe_u32 v13, v0, 20, 10
	s_waitcnt lgkmcnt(0)
	s_lshr_b32 s3, s3, 16
	s_cmp_lt_u32 s2, s20
	s_cselect_b32 s2, 12, 18
	s_add_u32 s0, s0, s2
	s_addc_u32 s1, s1, 0
	global_load_ushort v14, v1, s[0:1]
	global_load_ushort v11, v[8:9], off offset:128
	global_load_ushort v15, v[8:9], off offset:256
	;; [unrolled: 1-line block ×14, first 2 shown]
                                        ; kill: killed $sgpr0 killed $sgpr1
	global_load_ushort v50, v[8:9], off offset:1920
	global_load_ushort v45, v[8:9], off offset:2048
	;; [unrolled: 1-line block ×7, first 2 shown]
	v_bfe_u32 v9, v0, 10, 10
	v_lshlrev_b32_e32 v7, 3, v2
	v_mov_b32_e32 v0, v1
	ds_write_b64 v7, v[0:1] offset:32
	s_lshl_b32 s0, -1, s97
	v_mad_u32_u24 v18, v13, s3, v9
	v_mov_b32_e32 v8, v1
	v_mov_b32_e32 v12, v1
	s_not_b32 s21, s0
	v_mov_b32_e32 v16, v1
	s_waitcnt lgkmcnt(0)
	s_barrier
	s_waitcnt vmcnt(22)
	; wave barrier
	v_xor_b32_e32 v5, 0xffff8000, v5
	v_lshrrev_b32_sdwa v0, s96, v5 dst_sel:DWORD dst_unused:UNUSED_PAD src0_sel:DWORD src1_sel:WORD_0
	v_bitop3_b32 v21, v0, s0, v0 bitop3:0x30
	v_and_b32_e32 v0, 1, v21
	v_lshlrev_b32_e32 v9, 30, v21
	v_lshlrev_b32_e32 v13, 29, v21
	s_waitcnt vmcnt(21)
	v_mad_u64_u32 v[22:23], s[0:1], v18, v14, v[2:3]
	v_lshl_add_u64 v[28:29], v[0:1], 0, -1
	v_cmp_ne_u32_e32 vcc, 0, v0
	v_not_b32_e32 v0, v9
	v_lshlrev_b32_e32 v17, 28, v21
	v_cmp_gt_i64_e64 s[0:1], 0, v[8:9]
	v_cmp_gt_i64_e64 s[2:3], 0, v[12:13]
	v_not_b32_e32 v8, v13
	v_lshrrev_b32_e32 v12, 6, v22
	v_xor_b32_e32 v13, vcc_hi, v29
	v_xor_b32_e32 v14, vcc_lo, v28
	v_ashrrev_i32_e32 v0, 31, v0
	v_cmp_gt_i64_e64 s[4:5], 0, v[16:17]
	v_ashrrev_i32_e32 v8, 31, v8
	v_lshlrev_b32_e32 v24, 2, v12
	v_and_b32_e32 v12, exec_hi, v13
	v_and_b32_e32 v13, exec_lo, v14
	v_xor_b32_e32 v16, s1, v0
	v_xor_b32_e32 v0, s0, v0
	v_not_b32_e32 v9, v17
	v_xor_b32_e32 v17, s3, v8
	v_xor_b32_e32 v8, s2, v8
	v_and_b32_e32 v0, v13, v0
	v_and_b32_e32 v12, v12, v16
	;; [unrolled: 1-line block ×3, first 2 shown]
	v_ashrrev_i32_e32 v8, 31, v9
	v_and_b32_e32 v12, v12, v17
	v_xor_b32_e32 v9, s5, v8
	v_xor_b32_e32 v8, s4, v8
	v_and_b32_e32 v12, v12, v9
	v_and_b32_e32 v0, v0, v8
	v_lshlrev_b32_e32 v9, 27, v21
	v_mov_b32_e32 v8, v1
	v_cmp_gt_i64_e32 vcc, 0, v[8:9]
	v_not_b32_e32 v8, v9
	v_ashrrev_i32_e32 v8, 31, v8
	v_xor_b32_e32 v9, vcc_hi, v8
	v_xor_b32_e32 v8, vcc_lo, v8
	v_and_b32_e32 v12, v12, v9
	v_and_b32_e32 v0, v0, v8
	v_lshlrev_b32_e32 v9, 26, v21
	v_mov_b32_e32 v8, v1
	v_cmp_gt_i64_e32 vcc, 0, v[8:9]
	v_not_b32_e32 v8, v9
	v_ashrrev_i32_e32 v8, 31, v8
	v_xor_b32_e32 v9, vcc_hi, v8
	v_xor_b32_e32 v8, vcc_lo, v8
	v_and_b32_e32 v8, v0, v8
	v_and_b32_e32 v9, v12, v9
	v_mbcnt_lo_u32_b32 v0, v8, 0
	v_mbcnt_hi_u32_b32 v12, v9, v0
	v_cmp_eq_u32_e32 vcc, 0, v12
	v_cmp_ne_u64_e64 s[0:1], 0, v[8:9]
	v_mad_u32_u24 v14, v21, 36, v24
	s_and_b64 s[2:3], s[0:1], vcc
	s_and_saveexec_b64 s[0:1], s[2:3]
; %bb.294:
	v_bcnt_u32_b32 v0, v8, 0
	v_bcnt_u32_b32 v0, v9, v0
	ds_write_b32 v14, v0 offset:32
; %bb.295:
	s_or_b64 exec, exec, s[0:1]
	s_waitcnt vmcnt(20)
	v_xor_b32_e32 v11, 0xffff8000, v11
	v_lshrrev_b32_sdwa v0, s96, v11 dst_sel:DWORD dst_unused:UNUSED_PAD src0_sel:DWORD src1_sel:WORD_0
	v_and_b32_e32 v17, s21, v0
	v_and_b32_e32 v0, 1, v17
	v_lshl_add_u64 v[8:9], v[0:1], 0, -1
	v_cmp_ne_u32_e32 vcc, 0, v0
	v_mad_u32_u24 v16, v17, 36, v24
	s_nop 0
	v_xor_b32_e32 v8, vcc_lo, v8
	v_xor_b32_e32 v0, vcc_hi, v9
	v_and_b32_e32 v18, exec_lo, v8
	v_lshlrev_b32_e32 v9, 30, v17
	v_mov_b32_e32 v8, v1
	v_cmp_gt_i64_e32 vcc, 0, v[8:9]
	v_not_b32_e32 v8, v9
	v_ashrrev_i32_e32 v8, 31, v8
	v_and_b32_e32 v0, exec_hi, v0
	v_xor_b32_e32 v9, vcc_hi, v8
	v_xor_b32_e32 v8, vcc_lo, v8
	v_and_b32_e32 v0, v0, v9
	v_and_b32_e32 v18, v18, v8
	v_lshlrev_b32_e32 v9, 29, v17
	v_mov_b32_e32 v8, v1
	v_cmp_gt_i64_e32 vcc, 0, v[8:9]
	v_not_b32_e32 v8, v9
	v_ashrrev_i32_e32 v8, 31, v8
	v_xor_b32_e32 v9, vcc_hi, v8
	v_xor_b32_e32 v8, vcc_lo, v8
	v_and_b32_e32 v0, v0, v9
	v_and_b32_e32 v18, v18, v8
	v_lshlrev_b32_e32 v9, 28, v17
	v_mov_b32_e32 v8, v1
	v_cmp_gt_i64_e32 vcc, 0, v[8:9]
	v_not_b32_e32 v8, v9
	v_ashrrev_i32_e32 v8, 31, v8
	;; [unrolled: 9-line block ×3, first 2 shown]
	v_xor_b32_e32 v9, vcc_hi, v8
	v_xor_b32_e32 v8, vcc_lo, v8
	v_and_b32_e32 v0, v0, v9
	v_lshlrev_b32_e32 v9, 26, v17
	v_and_b32_e32 v18, v18, v8
	v_mov_b32_e32 v8, v1
	v_not_b32_e32 v1, v9
	v_cmp_gt_i64_e32 vcc, 0, v[8:9]
	v_ashrrev_i32_e32 v1, 31, v1
	; wave barrier
	s_nop 0
	v_xor_b32_e32 v8, vcc_hi, v1
	v_xor_b32_e32 v9, vcc_lo, v1
	ds_read_b32 v13, v16 offset:32
	v_and_b32_e32 v1, v0, v8
	v_and_b32_e32 v0, v18, v9
	v_mbcnt_lo_u32_b32 v8, v0, 0
	v_mbcnt_hi_u32_b32 v17, v1, v8
	v_cmp_eq_u32_e32 vcc, 0, v17
	v_cmp_ne_u64_e64 s[0:1], 0, v[0:1]
	s_and_b64 s[2:3], s[0:1], vcc
	; wave barrier
	s_and_saveexec_b64 s[0:1], s[2:3]
	s_cbranch_execz .LBB1643_297
; %bb.296:
	v_bcnt_u32_b32 v0, v0, 0
	v_bcnt_u32_b32 v0, v1, v0
	s_waitcnt lgkmcnt(0)
	v_add_u32_e32 v0, v13, v0
	ds_write_b32 v16, v0 offset:32
.LBB1643_297:
	s_or_b64 exec, exec, s[0:1]
	s_waitcnt vmcnt(19)
	v_xor_b32_e32 v15, 0xffff8000, v15
	v_lshrrev_b32_sdwa v0, s96, v15 dst_sel:DWORD dst_unused:UNUSED_PAD src0_sel:DWORD src1_sel:WORD_0
	v_and_b32_e32 v22, s21, v0
	v_and_b32_e32 v0, 1, v22
	v_mov_b32_e32 v1, 0
	v_lshl_add_u64 v[8:9], v[0:1], 0, -1
	v_cmp_ne_u32_e32 vcc, 0, v0
	v_mad_u32_u24 v21, v22, 36, v24
	s_nop 0
	v_xor_b32_e32 v8, vcc_lo, v8
	v_xor_b32_e32 v0, vcc_hi, v9
	v_and_b32_e32 v23, exec_lo, v8
	v_lshlrev_b32_e32 v9, 30, v22
	v_mov_b32_e32 v8, v1
	v_cmp_gt_i64_e32 vcc, 0, v[8:9]
	v_not_b32_e32 v8, v9
	v_ashrrev_i32_e32 v8, 31, v8
	v_and_b32_e32 v0, exec_hi, v0
	v_xor_b32_e32 v9, vcc_hi, v8
	v_xor_b32_e32 v8, vcc_lo, v8
	v_and_b32_e32 v0, v0, v9
	v_and_b32_e32 v23, v23, v8
	v_lshlrev_b32_e32 v9, 29, v22
	v_mov_b32_e32 v8, v1
	v_cmp_gt_i64_e32 vcc, 0, v[8:9]
	v_not_b32_e32 v8, v9
	v_ashrrev_i32_e32 v8, 31, v8
	v_xor_b32_e32 v9, vcc_hi, v8
	v_xor_b32_e32 v8, vcc_lo, v8
	v_and_b32_e32 v0, v0, v9
	v_and_b32_e32 v23, v23, v8
	v_lshlrev_b32_e32 v9, 28, v22
	v_mov_b32_e32 v8, v1
	v_cmp_gt_i64_e32 vcc, 0, v[8:9]
	v_not_b32_e32 v8, v9
	v_ashrrev_i32_e32 v8, 31, v8
	v_xor_b32_e32 v9, vcc_hi, v8
	v_xor_b32_e32 v8, vcc_lo, v8
	v_and_b32_e32 v0, v0, v9
	v_and_b32_e32 v23, v23, v8
	v_lshlrev_b32_e32 v9, 27, v22
	v_mov_b32_e32 v8, v1
	v_cmp_gt_i64_e32 vcc, 0, v[8:9]
	v_not_b32_e32 v8, v9
	v_ashrrev_i32_e32 v8, 31, v8
	v_xor_b32_e32 v9, vcc_hi, v8
	v_xor_b32_e32 v8, vcc_lo, v8
	v_and_b32_e32 v0, v0, v9
	v_and_b32_e32 v23, v23, v8
	v_lshlrev_b32_e32 v9, 26, v22
	v_mov_b32_e32 v8, v1
	v_cmp_gt_i64_e32 vcc, 0, v[8:9]
	v_not_b32_e32 v8, v9
	v_ashrrev_i32_e32 v8, 31, v8
	v_xor_b32_e32 v9, vcc_hi, v8
	v_xor_b32_e32 v8, vcc_lo, v8
	; wave barrier
	ds_read_b32 v18, v21 offset:32
	v_and_b32_e32 v8, v23, v8
	v_and_b32_e32 v9, v0, v9
	v_mbcnt_lo_u32_b32 v0, v8, 0
	v_mbcnt_hi_u32_b32 v22, v9, v0
	v_cmp_eq_u32_e32 vcc, 0, v22
	v_cmp_ne_u64_e64 s[0:1], 0, v[8:9]
	s_and_b64 s[2:3], s[0:1], vcc
	; wave barrier
	s_and_saveexec_b64 s[0:1], s[2:3]
	s_cbranch_execz .LBB1643_299
; %bb.298:
	v_bcnt_u32_b32 v0, v8, 0
	v_bcnt_u32_b32 v0, v9, v0
	s_waitcnt lgkmcnt(0)
	v_add_u32_e32 v0, v18, v0
	ds_write_b32 v21, v0 offset:32
.LBB1643_299:
	s_or_b64 exec, exec, s[0:1]
	s_waitcnt vmcnt(18)
	v_xor_b32_e32 v20, 0xffff8000, v20
	v_lshrrev_b32_sdwa v0, s96, v20 dst_sel:DWORD dst_unused:UNUSED_PAD src0_sel:DWORD src1_sel:WORD_0
	v_and_b32_e32 v28, s21, v0
	v_and_b32_e32 v0, 1, v28
	v_lshl_add_u64 v[8:9], v[0:1], 0, -1
	v_cmp_ne_u32_e32 vcc, 0, v0
	v_mad_u32_u24 v27, v28, 36, v24
	s_nop 0
	v_xor_b32_e32 v8, vcc_lo, v8
	v_xor_b32_e32 v0, vcc_hi, v9
	v_and_b32_e32 v29, exec_lo, v8
	v_lshlrev_b32_e32 v9, 30, v28
	v_mov_b32_e32 v8, v1
	v_cmp_gt_i64_e32 vcc, 0, v[8:9]
	v_not_b32_e32 v8, v9
	v_ashrrev_i32_e32 v8, 31, v8
	v_and_b32_e32 v0, exec_hi, v0
	v_xor_b32_e32 v9, vcc_hi, v8
	v_xor_b32_e32 v8, vcc_lo, v8
	v_and_b32_e32 v0, v0, v9
	v_and_b32_e32 v29, v29, v8
	v_lshlrev_b32_e32 v9, 29, v28
	v_mov_b32_e32 v8, v1
	v_cmp_gt_i64_e32 vcc, 0, v[8:9]
	v_not_b32_e32 v8, v9
	v_ashrrev_i32_e32 v8, 31, v8
	v_xor_b32_e32 v9, vcc_hi, v8
	v_xor_b32_e32 v8, vcc_lo, v8
	v_and_b32_e32 v0, v0, v9
	v_and_b32_e32 v29, v29, v8
	v_lshlrev_b32_e32 v9, 28, v28
	v_mov_b32_e32 v8, v1
	v_cmp_gt_i64_e32 vcc, 0, v[8:9]
	v_not_b32_e32 v8, v9
	v_ashrrev_i32_e32 v8, 31, v8
	;; [unrolled: 9-line block ×3, first 2 shown]
	v_xor_b32_e32 v9, vcc_hi, v8
	v_xor_b32_e32 v8, vcc_lo, v8
	v_and_b32_e32 v0, v0, v9
	v_lshlrev_b32_e32 v9, 26, v28
	v_and_b32_e32 v29, v29, v8
	v_mov_b32_e32 v8, v1
	v_not_b32_e32 v1, v9
	v_cmp_gt_i64_e32 vcc, 0, v[8:9]
	v_ashrrev_i32_e32 v1, 31, v1
	; wave barrier
	s_nop 0
	v_xor_b32_e32 v8, vcc_hi, v1
	v_xor_b32_e32 v9, vcc_lo, v1
	ds_read_b32 v23, v27 offset:32
	v_and_b32_e32 v1, v0, v8
	v_and_b32_e32 v0, v29, v9
	v_mbcnt_lo_u32_b32 v8, v0, 0
	v_mbcnt_hi_u32_b32 v28, v1, v8
	v_cmp_eq_u32_e32 vcc, 0, v28
	v_cmp_ne_u64_e64 s[0:1], 0, v[0:1]
	s_and_b64 s[2:3], s[0:1], vcc
	; wave barrier
	s_and_saveexec_b64 s[0:1], s[2:3]
	s_cbranch_execz .LBB1643_301
; %bb.300:
	v_bcnt_u32_b32 v0, v0, 0
	v_bcnt_u32_b32 v0, v1, v0
	s_waitcnt lgkmcnt(0)
	v_add_u32_e32 v0, v23, v0
	ds_write_b32 v27, v0 offset:32
.LBB1643_301:
	s_or_b64 exec, exec, s[0:1]
	s_waitcnt vmcnt(17)
	v_xor_b32_e32 v26, 0xffff8000, v26
	v_lshrrev_b32_sdwa v0, s96, v26 dst_sel:DWORD dst_unused:UNUSED_PAD src0_sel:DWORD src1_sel:WORD_0
	v_and_b32_e32 v33, s21, v0
	v_and_b32_e32 v0, 1, v33
	v_mov_b32_e32 v1, 0
	v_lshl_add_u64 v[8:9], v[0:1], 0, -1
	v_cmp_ne_u32_e32 vcc, 0, v0
	v_mad_u32_u24 v32, v33, 36, v24
	s_nop 0
	v_xor_b32_e32 v8, vcc_lo, v8
	v_xor_b32_e32 v0, vcc_hi, v9
	v_and_b32_e32 v34, exec_lo, v8
	v_lshlrev_b32_e32 v9, 30, v33
	v_mov_b32_e32 v8, v1
	v_cmp_gt_i64_e32 vcc, 0, v[8:9]
	v_not_b32_e32 v8, v9
	v_ashrrev_i32_e32 v8, 31, v8
	v_and_b32_e32 v0, exec_hi, v0
	v_xor_b32_e32 v9, vcc_hi, v8
	v_xor_b32_e32 v8, vcc_lo, v8
	v_and_b32_e32 v0, v0, v9
	v_and_b32_e32 v34, v34, v8
	v_lshlrev_b32_e32 v9, 29, v33
	v_mov_b32_e32 v8, v1
	v_cmp_gt_i64_e32 vcc, 0, v[8:9]
	v_not_b32_e32 v8, v9
	v_ashrrev_i32_e32 v8, 31, v8
	v_xor_b32_e32 v9, vcc_hi, v8
	v_xor_b32_e32 v8, vcc_lo, v8
	v_and_b32_e32 v0, v0, v9
	v_and_b32_e32 v34, v34, v8
	v_lshlrev_b32_e32 v9, 28, v33
	v_mov_b32_e32 v8, v1
	v_cmp_gt_i64_e32 vcc, 0, v[8:9]
	v_not_b32_e32 v8, v9
	v_ashrrev_i32_e32 v8, 31, v8
	v_xor_b32_e32 v9, vcc_hi, v8
	v_xor_b32_e32 v8, vcc_lo, v8
	v_and_b32_e32 v0, v0, v9
	v_and_b32_e32 v34, v34, v8
	v_lshlrev_b32_e32 v9, 27, v33
	v_mov_b32_e32 v8, v1
	v_cmp_gt_i64_e32 vcc, 0, v[8:9]
	v_not_b32_e32 v8, v9
	v_ashrrev_i32_e32 v8, 31, v8
	v_xor_b32_e32 v9, vcc_hi, v8
	v_xor_b32_e32 v8, vcc_lo, v8
	v_and_b32_e32 v0, v0, v9
	v_and_b32_e32 v34, v34, v8
	v_lshlrev_b32_e32 v9, 26, v33
	v_mov_b32_e32 v8, v1
	v_cmp_gt_i64_e32 vcc, 0, v[8:9]
	v_not_b32_e32 v8, v9
	v_ashrrev_i32_e32 v8, 31, v8
	v_xor_b32_e32 v9, vcc_hi, v8
	v_xor_b32_e32 v8, vcc_lo, v8
	; wave barrier
	ds_read_b32 v29, v32 offset:32
	v_and_b32_e32 v8, v34, v8
	v_and_b32_e32 v9, v0, v9
	v_mbcnt_lo_u32_b32 v0, v8, 0
	v_mbcnt_hi_u32_b32 v33, v9, v0
	v_cmp_eq_u32_e32 vcc, 0, v33
	v_cmp_ne_u64_e64 s[0:1], 0, v[8:9]
	s_and_b64 s[2:3], s[0:1], vcc
	; wave barrier
	s_and_saveexec_b64 s[0:1], s[2:3]
	s_cbranch_execz .LBB1643_303
; %bb.302:
	v_bcnt_u32_b32 v0, v8, 0
	v_bcnt_u32_b32 v0, v9, v0
	s_waitcnt lgkmcnt(0)
	v_add_u32_e32 v0, v29, v0
	ds_write_b32 v32, v0 offset:32
.LBB1643_303:
	s_or_b64 exec, exec, s[0:1]
	s_waitcnt vmcnt(16)
	v_xor_b32_e32 v31, 0xffff8000, v31
	v_lshrrev_b32_sdwa v0, s96, v31 dst_sel:DWORD dst_unused:UNUSED_PAD src0_sel:DWORD src1_sel:WORD_0
	v_and_b32_e32 v38, s21, v0
	v_and_b32_e32 v0, 1, v38
	v_lshl_add_u64 v[8:9], v[0:1], 0, -1
	v_cmp_ne_u32_e32 vcc, 0, v0
	v_mad_u32_u24 v37, v38, 36, v24
	s_nop 0
	v_xor_b32_e32 v8, vcc_lo, v8
	v_xor_b32_e32 v0, vcc_hi, v9
	v_and_b32_e32 v39, exec_lo, v8
	v_lshlrev_b32_e32 v9, 30, v38
	v_mov_b32_e32 v8, v1
	v_cmp_gt_i64_e32 vcc, 0, v[8:9]
	v_not_b32_e32 v8, v9
	v_ashrrev_i32_e32 v8, 31, v8
	v_and_b32_e32 v0, exec_hi, v0
	v_xor_b32_e32 v9, vcc_hi, v8
	v_xor_b32_e32 v8, vcc_lo, v8
	v_and_b32_e32 v0, v0, v9
	v_and_b32_e32 v39, v39, v8
	v_lshlrev_b32_e32 v9, 29, v38
	v_mov_b32_e32 v8, v1
	v_cmp_gt_i64_e32 vcc, 0, v[8:9]
	v_not_b32_e32 v8, v9
	v_ashrrev_i32_e32 v8, 31, v8
	v_xor_b32_e32 v9, vcc_hi, v8
	v_xor_b32_e32 v8, vcc_lo, v8
	v_and_b32_e32 v0, v0, v9
	v_and_b32_e32 v39, v39, v8
	v_lshlrev_b32_e32 v9, 28, v38
	v_mov_b32_e32 v8, v1
	v_cmp_gt_i64_e32 vcc, 0, v[8:9]
	v_not_b32_e32 v8, v9
	v_ashrrev_i32_e32 v8, 31, v8
	;; [unrolled: 9-line block ×3, first 2 shown]
	v_xor_b32_e32 v9, vcc_hi, v8
	v_xor_b32_e32 v8, vcc_lo, v8
	v_and_b32_e32 v0, v0, v9
	v_lshlrev_b32_e32 v9, 26, v38
	v_and_b32_e32 v39, v39, v8
	v_mov_b32_e32 v8, v1
	v_not_b32_e32 v1, v9
	v_cmp_gt_i64_e32 vcc, 0, v[8:9]
	v_ashrrev_i32_e32 v1, 31, v1
	; wave barrier
	s_nop 0
	v_xor_b32_e32 v8, vcc_hi, v1
	v_xor_b32_e32 v9, vcc_lo, v1
	ds_read_b32 v34, v37 offset:32
	v_and_b32_e32 v1, v0, v8
	v_and_b32_e32 v0, v39, v9
	v_mbcnt_lo_u32_b32 v8, v0, 0
	v_mbcnt_hi_u32_b32 v38, v1, v8
	v_cmp_eq_u32_e32 vcc, 0, v38
	v_cmp_ne_u64_e64 s[0:1], 0, v[0:1]
	s_and_b64 s[2:3], s[0:1], vcc
	; wave barrier
	s_and_saveexec_b64 s[0:1], s[2:3]
	s_cbranch_execz .LBB1643_305
; %bb.304:
	v_bcnt_u32_b32 v0, v0, 0
	v_bcnt_u32_b32 v0, v1, v0
	s_waitcnt lgkmcnt(0)
	v_add_u32_e32 v0, v34, v0
	ds_write_b32 v37, v0 offset:32
.LBB1643_305:
	s_or_b64 exec, exec, s[0:1]
	s_waitcnt vmcnt(15)
	v_xor_b32_e32 v36, 0xffff8000, v36
	v_lshrrev_b32_sdwa v0, s96, v36 dst_sel:DWORD dst_unused:UNUSED_PAD src0_sel:DWORD src1_sel:WORD_0
	v_and_b32_e32 v43, s21, v0
	v_and_b32_e32 v0, 1, v43
	v_mov_b32_e32 v1, 0
	v_lshl_add_u64 v[8:9], v[0:1], 0, -1
	v_cmp_ne_u32_e32 vcc, 0, v0
	v_mad_u32_u24 v42, v43, 36, v24
	s_nop 0
	v_xor_b32_e32 v8, vcc_lo, v8
	v_xor_b32_e32 v0, vcc_hi, v9
	v_and_b32_e32 v44, exec_lo, v8
	v_lshlrev_b32_e32 v9, 30, v43
	v_mov_b32_e32 v8, v1
	v_cmp_gt_i64_e32 vcc, 0, v[8:9]
	v_not_b32_e32 v8, v9
	v_ashrrev_i32_e32 v8, 31, v8
	v_and_b32_e32 v0, exec_hi, v0
	v_xor_b32_e32 v9, vcc_hi, v8
	v_xor_b32_e32 v8, vcc_lo, v8
	v_and_b32_e32 v0, v0, v9
	v_and_b32_e32 v44, v44, v8
	v_lshlrev_b32_e32 v9, 29, v43
	v_mov_b32_e32 v8, v1
	v_cmp_gt_i64_e32 vcc, 0, v[8:9]
	v_not_b32_e32 v8, v9
	v_ashrrev_i32_e32 v8, 31, v8
	v_xor_b32_e32 v9, vcc_hi, v8
	v_xor_b32_e32 v8, vcc_lo, v8
	v_and_b32_e32 v0, v0, v9
	v_and_b32_e32 v44, v44, v8
	v_lshlrev_b32_e32 v9, 28, v43
	v_mov_b32_e32 v8, v1
	v_cmp_gt_i64_e32 vcc, 0, v[8:9]
	v_not_b32_e32 v8, v9
	v_ashrrev_i32_e32 v8, 31, v8
	;; [unrolled: 9-line block ×4, first 2 shown]
	v_xor_b32_e32 v9, vcc_hi, v8
	v_xor_b32_e32 v8, vcc_lo, v8
	; wave barrier
	ds_read_b32 v39, v42 offset:32
	v_and_b32_e32 v8, v44, v8
	v_and_b32_e32 v9, v0, v9
	v_mbcnt_lo_u32_b32 v0, v8, 0
	v_mbcnt_hi_u32_b32 v43, v9, v0
	v_cmp_eq_u32_e32 vcc, 0, v43
	v_cmp_ne_u64_e64 s[0:1], 0, v[8:9]
	s_and_b64 s[2:3], s[0:1], vcc
	; wave barrier
	s_and_saveexec_b64 s[0:1], s[2:3]
	s_cbranch_execz .LBB1643_307
; %bb.306:
	v_bcnt_u32_b32 v0, v8, 0
	v_bcnt_u32_b32 v0, v9, v0
	s_waitcnt lgkmcnt(0)
	v_add_u32_e32 v0, v39, v0
	ds_write_b32 v42, v0 offset:32
.LBB1643_307:
	s_or_b64 exec, exec, s[0:1]
	s_waitcnt vmcnt(14)
	v_xor_b32_e32 v41, 0xffff8000, v41
	v_lshrrev_b32_sdwa v0, s96, v41 dst_sel:DWORD dst_unused:UNUSED_PAD src0_sel:DWORD src1_sel:WORD_0
	v_and_b32_e32 v48, s21, v0
	v_and_b32_e32 v0, 1, v48
	v_lshl_add_u64 v[8:9], v[0:1], 0, -1
	v_cmp_ne_u32_e32 vcc, 0, v0
	v_mad_u32_u24 v47, v48, 36, v24
	s_nop 0
	v_xor_b32_e32 v8, vcc_lo, v8
	v_xor_b32_e32 v0, vcc_hi, v9
	v_and_b32_e32 v49, exec_lo, v8
	v_lshlrev_b32_e32 v9, 30, v48
	v_mov_b32_e32 v8, v1
	v_cmp_gt_i64_e32 vcc, 0, v[8:9]
	v_not_b32_e32 v8, v9
	v_ashrrev_i32_e32 v8, 31, v8
	v_and_b32_e32 v0, exec_hi, v0
	v_xor_b32_e32 v9, vcc_hi, v8
	v_xor_b32_e32 v8, vcc_lo, v8
	v_and_b32_e32 v0, v0, v9
	v_and_b32_e32 v49, v49, v8
	v_lshlrev_b32_e32 v9, 29, v48
	v_mov_b32_e32 v8, v1
	v_cmp_gt_i64_e32 vcc, 0, v[8:9]
	v_not_b32_e32 v8, v9
	v_ashrrev_i32_e32 v8, 31, v8
	v_xor_b32_e32 v9, vcc_hi, v8
	v_xor_b32_e32 v8, vcc_lo, v8
	v_and_b32_e32 v0, v0, v9
	v_and_b32_e32 v49, v49, v8
	v_lshlrev_b32_e32 v9, 28, v48
	v_mov_b32_e32 v8, v1
	v_cmp_gt_i64_e32 vcc, 0, v[8:9]
	v_not_b32_e32 v8, v9
	v_ashrrev_i32_e32 v8, 31, v8
	;; [unrolled: 9-line block ×3, first 2 shown]
	v_xor_b32_e32 v9, vcc_hi, v8
	v_xor_b32_e32 v8, vcc_lo, v8
	v_and_b32_e32 v0, v0, v9
	v_lshlrev_b32_e32 v9, 26, v48
	v_and_b32_e32 v49, v49, v8
	v_mov_b32_e32 v8, v1
	v_not_b32_e32 v1, v9
	v_cmp_gt_i64_e32 vcc, 0, v[8:9]
	v_ashrrev_i32_e32 v1, 31, v1
	; wave barrier
	s_nop 0
	v_xor_b32_e32 v8, vcc_hi, v1
	v_xor_b32_e32 v9, vcc_lo, v1
	ds_read_b32 v44, v47 offset:32
	v_and_b32_e32 v1, v0, v8
	v_and_b32_e32 v0, v49, v9
	v_mbcnt_lo_u32_b32 v8, v0, 0
	v_mbcnt_hi_u32_b32 v48, v1, v8
	v_cmp_eq_u32_e32 vcc, 0, v48
	v_cmp_ne_u64_e64 s[0:1], 0, v[0:1]
	s_and_b64 s[2:3], s[0:1], vcc
	; wave barrier
	s_and_saveexec_b64 s[0:1], s[2:3]
	s_cbranch_execz .LBB1643_309
; %bb.308:
	v_bcnt_u32_b32 v0, v0, 0
	v_bcnt_u32_b32 v0, v1, v0
	s_waitcnt lgkmcnt(0)
	v_add_u32_e32 v0, v44, v0
	ds_write_b32 v47, v0 offset:32
.LBB1643_309:
	s_or_b64 exec, exec, s[0:1]
	s_waitcnt vmcnt(13)
	v_xor_b32_e32 v46, 0xffff8000, v46
	v_lshrrev_b32_sdwa v0, s96, v46 dst_sel:DWORD dst_unused:UNUSED_PAD src0_sel:DWORD src1_sel:WORD_0
	v_and_b32_e32 v53, s21, v0
	v_and_b32_e32 v0, 1, v53
	v_mov_b32_e32 v1, 0
	v_lshl_add_u64 v[8:9], v[0:1], 0, -1
	v_cmp_ne_u32_e32 vcc, 0, v0
	v_mad_u32_u24 v52, v53, 36, v24
	s_nop 0
	v_xor_b32_e32 v8, vcc_lo, v8
	v_xor_b32_e32 v0, vcc_hi, v9
	v_and_b32_e32 v54, exec_lo, v8
	v_lshlrev_b32_e32 v9, 30, v53
	v_mov_b32_e32 v8, v1
	v_cmp_gt_i64_e32 vcc, 0, v[8:9]
	v_not_b32_e32 v8, v9
	v_ashrrev_i32_e32 v8, 31, v8
	v_and_b32_e32 v0, exec_hi, v0
	v_xor_b32_e32 v9, vcc_hi, v8
	v_xor_b32_e32 v8, vcc_lo, v8
	v_and_b32_e32 v0, v0, v9
	v_and_b32_e32 v54, v54, v8
	v_lshlrev_b32_e32 v9, 29, v53
	v_mov_b32_e32 v8, v1
	v_cmp_gt_i64_e32 vcc, 0, v[8:9]
	v_not_b32_e32 v8, v9
	v_ashrrev_i32_e32 v8, 31, v8
	v_xor_b32_e32 v9, vcc_hi, v8
	v_xor_b32_e32 v8, vcc_lo, v8
	v_and_b32_e32 v0, v0, v9
	v_and_b32_e32 v54, v54, v8
	v_lshlrev_b32_e32 v9, 28, v53
	v_mov_b32_e32 v8, v1
	v_cmp_gt_i64_e32 vcc, 0, v[8:9]
	v_not_b32_e32 v8, v9
	v_ashrrev_i32_e32 v8, 31, v8
	;; [unrolled: 9-line block ×4, first 2 shown]
	v_xor_b32_e32 v9, vcc_hi, v8
	v_xor_b32_e32 v8, vcc_lo, v8
	; wave barrier
	ds_read_b32 v49, v52 offset:32
	v_and_b32_e32 v8, v54, v8
	v_and_b32_e32 v9, v0, v9
	v_mbcnt_lo_u32_b32 v0, v8, 0
	v_mbcnt_hi_u32_b32 v53, v9, v0
	v_cmp_eq_u32_e32 vcc, 0, v53
	v_cmp_ne_u64_e64 s[0:1], 0, v[8:9]
	s_and_b64 s[2:3], s[0:1], vcc
	; wave barrier
	s_and_saveexec_b64 s[0:1], s[2:3]
	s_cbranch_execz .LBB1643_311
; %bb.310:
	v_bcnt_u32_b32 v0, v8, 0
	v_bcnt_u32_b32 v0, v9, v0
	s_waitcnt lgkmcnt(0)
	v_add_u32_e32 v0, v49, v0
	ds_write_b32 v52, v0 offset:32
.LBB1643_311:
	s_or_b64 exec, exec, s[0:1]
	s_waitcnt vmcnt(12)
	v_xor_b32_e32 v51, 0xffff8000, v51
	v_lshrrev_b32_sdwa v0, s96, v51 dst_sel:DWORD dst_unused:UNUSED_PAD src0_sel:DWORD src1_sel:WORD_0
	v_and_b32_e32 v58, s21, v0
	v_and_b32_e32 v0, 1, v58
	v_lshl_add_u64 v[8:9], v[0:1], 0, -1
	v_cmp_ne_u32_e32 vcc, 0, v0
	v_mad_u32_u24 v57, v58, 36, v24
	s_nop 0
	v_xor_b32_e32 v8, vcc_lo, v8
	v_xor_b32_e32 v0, vcc_hi, v9
	v_and_b32_e32 v59, exec_lo, v8
	v_lshlrev_b32_e32 v9, 30, v58
	v_mov_b32_e32 v8, v1
	v_cmp_gt_i64_e32 vcc, 0, v[8:9]
	v_not_b32_e32 v8, v9
	v_ashrrev_i32_e32 v8, 31, v8
	v_and_b32_e32 v0, exec_hi, v0
	v_xor_b32_e32 v9, vcc_hi, v8
	v_xor_b32_e32 v8, vcc_lo, v8
	v_and_b32_e32 v0, v0, v9
	v_and_b32_e32 v59, v59, v8
	v_lshlrev_b32_e32 v9, 29, v58
	v_mov_b32_e32 v8, v1
	v_cmp_gt_i64_e32 vcc, 0, v[8:9]
	v_not_b32_e32 v8, v9
	v_ashrrev_i32_e32 v8, 31, v8
	v_xor_b32_e32 v9, vcc_hi, v8
	v_xor_b32_e32 v8, vcc_lo, v8
	v_and_b32_e32 v0, v0, v9
	v_and_b32_e32 v59, v59, v8
	v_lshlrev_b32_e32 v9, 28, v58
	v_mov_b32_e32 v8, v1
	v_cmp_gt_i64_e32 vcc, 0, v[8:9]
	v_not_b32_e32 v8, v9
	v_ashrrev_i32_e32 v8, 31, v8
	;; [unrolled: 9-line block ×3, first 2 shown]
	v_xor_b32_e32 v9, vcc_hi, v8
	v_xor_b32_e32 v8, vcc_lo, v8
	v_and_b32_e32 v0, v0, v9
	v_lshlrev_b32_e32 v9, 26, v58
	v_and_b32_e32 v59, v59, v8
	v_mov_b32_e32 v8, v1
	v_not_b32_e32 v1, v9
	v_cmp_gt_i64_e32 vcc, 0, v[8:9]
	v_ashrrev_i32_e32 v1, 31, v1
	; wave barrier
	s_nop 0
	v_xor_b32_e32 v8, vcc_hi, v1
	v_xor_b32_e32 v9, vcc_lo, v1
	ds_read_b32 v54, v57 offset:32
	v_and_b32_e32 v1, v0, v8
	v_and_b32_e32 v0, v59, v9
	v_mbcnt_lo_u32_b32 v8, v0, 0
	v_mbcnt_hi_u32_b32 v58, v1, v8
	v_cmp_eq_u32_e32 vcc, 0, v58
	v_cmp_ne_u64_e64 s[0:1], 0, v[0:1]
	s_and_b64 s[2:3], s[0:1], vcc
	; wave barrier
	s_and_saveexec_b64 s[0:1], s[2:3]
	s_cbranch_execz .LBB1643_313
; %bb.312:
	v_bcnt_u32_b32 v0, v0, 0
	v_bcnt_u32_b32 v0, v1, v0
	s_waitcnt lgkmcnt(0)
	v_add_u32_e32 v0, v54, v0
	ds_write_b32 v57, v0 offset:32
.LBB1643_313:
	s_or_b64 exec, exec, s[0:1]
	s_waitcnt vmcnt(11)
	v_xor_b32_e32 v56, 0xffff8000, v56
	v_lshrrev_b32_sdwa v0, s96, v56 dst_sel:DWORD dst_unused:UNUSED_PAD src0_sel:DWORD src1_sel:WORD_0
	v_and_b32_e32 v63, s21, v0
	v_and_b32_e32 v0, 1, v63
	v_mov_b32_e32 v1, 0
	v_lshl_add_u64 v[8:9], v[0:1], 0, -1
	v_cmp_ne_u32_e32 vcc, 0, v0
	v_mad_u32_u24 v62, v63, 36, v24
	s_nop 0
	v_xor_b32_e32 v8, vcc_lo, v8
	v_xor_b32_e32 v0, vcc_hi, v9
	v_and_b32_e32 v64, exec_lo, v8
	v_lshlrev_b32_e32 v9, 30, v63
	v_mov_b32_e32 v8, v1
	v_cmp_gt_i64_e32 vcc, 0, v[8:9]
	v_not_b32_e32 v8, v9
	v_ashrrev_i32_e32 v8, 31, v8
	v_and_b32_e32 v0, exec_hi, v0
	v_xor_b32_e32 v9, vcc_hi, v8
	v_xor_b32_e32 v8, vcc_lo, v8
	v_and_b32_e32 v0, v0, v9
	v_and_b32_e32 v64, v64, v8
	v_lshlrev_b32_e32 v9, 29, v63
	v_mov_b32_e32 v8, v1
	v_cmp_gt_i64_e32 vcc, 0, v[8:9]
	v_not_b32_e32 v8, v9
	v_ashrrev_i32_e32 v8, 31, v8
	v_xor_b32_e32 v9, vcc_hi, v8
	v_xor_b32_e32 v8, vcc_lo, v8
	v_and_b32_e32 v0, v0, v9
	v_and_b32_e32 v64, v64, v8
	v_lshlrev_b32_e32 v9, 28, v63
	v_mov_b32_e32 v8, v1
	v_cmp_gt_i64_e32 vcc, 0, v[8:9]
	v_not_b32_e32 v8, v9
	v_ashrrev_i32_e32 v8, 31, v8
	;; [unrolled: 9-line block ×4, first 2 shown]
	v_xor_b32_e32 v9, vcc_hi, v8
	v_xor_b32_e32 v8, vcc_lo, v8
	; wave barrier
	ds_read_b32 v59, v62 offset:32
	v_and_b32_e32 v8, v64, v8
	v_and_b32_e32 v9, v0, v9
	v_mbcnt_lo_u32_b32 v0, v8, 0
	v_mbcnt_hi_u32_b32 v63, v9, v0
	v_cmp_eq_u32_e32 vcc, 0, v63
	v_cmp_ne_u64_e64 s[0:1], 0, v[8:9]
	s_and_b64 s[2:3], s[0:1], vcc
	; wave barrier
	s_and_saveexec_b64 s[0:1], s[2:3]
	s_cbranch_execz .LBB1643_315
; %bb.314:
	v_bcnt_u32_b32 v0, v8, 0
	v_bcnt_u32_b32 v0, v9, v0
	s_waitcnt lgkmcnt(0)
	v_add_u32_e32 v0, v59, v0
	ds_write_b32 v62, v0 offset:32
.LBB1643_315:
	s_or_b64 exec, exec, s[0:1]
	s_waitcnt vmcnt(10)
	v_xor_b32_e32 v61, 0xffff8000, v61
	v_lshrrev_b32_sdwa v0, s96, v61 dst_sel:DWORD dst_unused:UNUSED_PAD src0_sel:DWORD src1_sel:WORD_0
	v_and_b32_e32 v67, s21, v0
	v_and_b32_e32 v0, 1, v67
	v_lshl_add_u64 v[8:9], v[0:1], 0, -1
	v_cmp_ne_u32_e32 vcc, 0, v0
	v_mad_u32_u24 v66, v67, 36, v24
	s_nop 0
	v_xor_b32_e32 v8, vcc_lo, v8
	v_xor_b32_e32 v0, vcc_hi, v9
	v_and_b32_e32 v68, exec_lo, v8
	v_lshlrev_b32_e32 v9, 30, v67
	v_mov_b32_e32 v8, v1
	v_cmp_gt_i64_e32 vcc, 0, v[8:9]
	v_not_b32_e32 v8, v9
	v_ashrrev_i32_e32 v8, 31, v8
	v_and_b32_e32 v0, exec_hi, v0
	v_xor_b32_e32 v9, vcc_hi, v8
	v_xor_b32_e32 v8, vcc_lo, v8
	v_and_b32_e32 v0, v0, v9
	v_and_b32_e32 v68, v68, v8
	v_lshlrev_b32_e32 v9, 29, v67
	v_mov_b32_e32 v8, v1
	v_cmp_gt_i64_e32 vcc, 0, v[8:9]
	v_not_b32_e32 v8, v9
	v_ashrrev_i32_e32 v8, 31, v8
	v_xor_b32_e32 v9, vcc_hi, v8
	v_xor_b32_e32 v8, vcc_lo, v8
	v_and_b32_e32 v0, v0, v9
	v_and_b32_e32 v68, v68, v8
	v_lshlrev_b32_e32 v9, 28, v67
	v_mov_b32_e32 v8, v1
	v_cmp_gt_i64_e32 vcc, 0, v[8:9]
	v_not_b32_e32 v8, v9
	v_ashrrev_i32_e32 v8, 31, v8
	;; [unrolled: 9-line block ×3, first 2 shown]
	v_xor_b32_e32 v9, vcc_hi, v8
	v_xor_b32_e32 v8, vcc_lo, v8
	v_and_b32_e32 v0, v0, v9
	v_lshlrev_b32_e32 v9, 26, v67
	v_and_b32_e32 v68, v68, v8
	v_mov_b32_e32 v8, v1
	v_not_b32_e32 v1, v9
	v_cmp_gt_i64_e32 vcc, 0, v[8:9]
	v_ashrrev_i32_e32 v1, 31, v1
	; wave barrier
	s_nop 0
	v_xor_b32_e32 v8, vcc_hi, v1
	v_xor_b32_e32 v9, vcc_lo, v1
	ds_read_b32 v64, v66 offset:32
	v_and_b32_e32 v1, v0, v8
	v_and_b32_e32 v0, v68, v9
	v_mbcnt_lo_u32_b32 v8, v0, 0
	v_mbcnt_hi_u32_b32 v67, v1, v8
	v_cmp_eq_u32_e32 vcc, 0, v67
	v_cmp_ne_u64_e64 s[0:1], 0, v[0:1]
	s_and_b64 s[2:3], s[0:1], vcc
	; wave barrier
	s_and_saveexec_b64 s[0:1], s[2:3]
	s_cbranch_execz .LBB1643_317
; %bb.316:
	v_bcnt_u32_b32 v0, v0, 0
	v_bcnt_u32_b32 v0, v1, v0
	s_waitcnt lgkmcnt(0)
	v_add_u32_e32 v0, v64, v0
	ds_write_b32 v66, v0 offset:32
.LBB1643_317:
	s_or_b64 exec, exec, s[0:1]
	s_waitcnt vmcnt(9)
	v_xor_b32_e32 v65, 0xffff8000, v65
	v_lshrrev_b32_sdwa v0, s96, v65 dst_sel:DWORD dst_unused:UNUSED_PAD src0_sel:DWORD src1_sel:WORD_0
	v_and_b32_e32 v70, s21, v0
	v_and_b32_e32 v0, 1, v70
	v_mov_b32_e32 v1, 0
	v_lshl_add_u64 v[8:9], v[0:1], 0, -1
	v_cmp_ne_u32_e32 vcc, 0, v0
	v_mad_u32_u24 v69, v70, 36, v24
	s_nop 0
	v_xor_b32_e32 v8, vcc_lo, v8
	v_xor_b32_e32 v0, vcc_hi, v9
	v_and_b32_e32 v71, exec_lo, v8
	v_lshlrev_b32_e32 v9, 30, v70
	v_mov_b32_e32 v8, v1
	v_cmp_gt_i64_e32 vcc, 0, v[8:9]
	v_not_b32_e32 v8, v9
	v_ashrrev_i32_e32 v8, 31, v8
	v_and_b32_e32 v0, exec_hi, v0
	v_xor_b32_e32 v9, vcc_hi, v8
	v_xor_b32_e32 v8, vcc_lo, v8
	v_and_b32_e32 v0, v0, v9
	v_and_b32_e32 v71, v71, v8
	v_lshlrev_b32_e32 v9, 29, v70
	v_mov_b32_e32 v8, v1
	v_cmp_gt_i64_e32 vcc, 0, v[8:9]
	v_not_b32_e32 v8, v9
	v_ashrrev_i32_e32 v8, 31, v8
	v_xor_b32_e32 v9, vcc_hi, v8
	v_xor_b32_e32 v8, vcc_lo, v8
	v_and_b32_e32 v0, v0, v9
	v_and_b32_e32 v71, v71, v8
	v_lshlrev_b32_e32 v9, 28, v70
	v_mov_b32_e32 v8, v1
	v_cmp_gt_i64_e32 vcc, 0, v[8:9]
	v_not_b32_e32 v8, v9
	v_ashrrev_i32_e32 v8, 31, v8
	;; [unrolled: 9-line block ×4, first 2 shown]
	v_xor_b32_e32 v9, vcc_hi, v8
	v_xor_b32_e32 v8, vcc_lo, v8
	; wave barrier
	ds_read_b32 v68, v69 offset:32
	v_and_b32_e32 v8, v71, v8
	v_and_b32_e32 v9, v0, v9
	v_mbcnt_lo_u32_b32 v0, v8, 0
	v_mbcnt_hi_u32_b32 v70, v9, v0
	v_cmp_eq_u32_e32 vcc, 0, v70
	v_cmp_ne_u64_e64 s[0:1], 0, v[8:9]
	s_and_b64 s[2:3], s[0:1], vcc
	; wave barrier
	s_and_saveexec_b64 s[0:1], s[2:3]
	s_cbranch_execz .LBB1643_319
; %bb.318:
	v_bcnt_u32_b32 v0, v8, 0
	v_bcnt_u32_b32 v0, v9, v0
	s_waitcnt lgkmcnt(0)
	v_add_u32_e32 v0, v68, v0
	ds_write_b32 v69, v0 offset:32
.LBB1643_319:
	s_or_b64 exec, exec, s[0:1]
	s_waitcnt vmcnt(8)
	v_xor_b32_e32 v60, 0xffff8000, v60
	v_lshrrev_b32_sdwa v0, s96, v60 dst_sel:DWORD dst_unused:UNUSED_PAD src0_sel:DWORD src1_sel:WORD_0
	v_and_b32_e32 v73, s21, v0
	v_and_b32_e32 v0, 1, v73
	v_lshl_add_u64 v[8:9], v[0:1], 0, -1
	v_cmp_ne_u32_e32 vcc, 0, v0
	v_mad_u32_u24 v72, v73, 36, v24
	s_nop 0
	v_xor_b32_e32 v8, vcc_lo, v8
	v_xor_b32_e32 v0, vcc_hi, v9
	v_and_b32_e32 v74, exec_lo, v8
	v_lshlrev_b32_e32 v9, 30, v73
	v_mov_b32_e32 v8, v1
	v_cmp_gt_i64_e32 vcc, 0, v[8:9]
	v_not_b32_e32 v8, v9
	v_ashrrev_i32_e32 v8, 31, v8
	v_and_b32_e32 v0, exec_hi, v0
	v_xor_b32_e32 v9, vcc_hi, v8
	v_xor_b32_e32 v8, vcc_lo, v8
	v_and_b32_e32 v0, v0, v9
	v_and_b32_e32 v74, v74, v8
	v_lshlrev_b32_e32 v9, 29, v73
	v_mov_b32_e32 v8, v1
	v_cmp_gt_i64_e32 vcc, 0, v[8:9]
	v_not_b32_e32 v8, v9
	v_ashrrev_i32_e32 v8, 31, v8
	v_xor_b32_e32 v9, vcc_hi, v8
	v_xor_b32_e32 v8, vcc_lo, v8
	v_and_b32_e32 v0, v0, v9
	v_and_b32_e32 v74, v74, v8
	v_lshlrev_b32_e32 v9, 28, v73
	v_mov_b32_e32 v8, v1
	v_cmp_gt_i64_e32 vcc, 0, v[8:9]
	v_not_b32_e32 v8, v9
	v_ashrrev_i32_e32 v8, 31, v8
	;; [unrolled: 9-line block ×3, first 2 shown]
	v_xor_b32_e32 v9, vcc_hi, v8
	v_xor_b32_e32 v8, vcc_lo, v8
	v_and_b32_e32 v0, v0, v9
	v_lshlrev_b32_e32 v9, 26, v73
	v_and_b32_e32 v74, v74, v8
	v_mov_b32_e32 v8, v1
	v_not_b32_e32 v1, v9
	v_cmp_gt_i64_e32 vcc, 0, v[8:9]
	v_ashrrev_i32_e32 v1, 31, v1
	; wave barrier
	s_nop 0
	v_xor_b32_e32 v8, vcc_hi, v1
	v_xor_b32_e32 v9, vcc_lo, v1
	ds_read_b32 v71, v72 offset:32
	v_and_b32_e32 v1, v0, v8
	v_and_b32_e32 v0, v74, v9
	v_mbcnt_lo_u32_b32 v8, v0, 0
	v_mbcnt_hi_u32_b32 v73, v1, v8
	v_cmp_eq_u32_e32 vcc, 0, v73
	v_cmp_ne_u64_e64 s[0:1], 0, v[0:1]
	s_and_b64 s[2:3], s[0:1], vcc
	; wave barrier
	s_and_saveexec_b64 s[0:1], s[2:3]
	s_cbranch_execz .LBB1643_321
; %bb.320:
	v_bcnt_u32_b32 v0, v0, 0
	v_bcnt_u32_b32 v0, v1, v0
	s_waitcnt lgkmcnt(0)
	v_add_u32_e32 v0, v71, v0
	ds_write_b32 v72, v0 offset:32
.LBB1643_321:
	s_or_b64 exec, exec, s[0:1]
	s_waitcnt vmcnt(7)
	v_xor_b32_e32 v55, 0xffff8000, v55
	v_lshrrev_b32_sdwa v0, s96, v55 dst_sel:DWORD dst_unused:UNUSED_PAD src0_sel:DWORD src1_sel:WORD_0
	v_and_b32_e32 v76, s21, v0
	v_and_b32_e32 v0, 1, v76
	v_mov_b32_e32 v1, 0
	v_lshl_add_u64 v[8:9], v[0:1], 0, -1
	v_cmp_ne_u32_e32 vcc, 0, v0
	v_mad_u32_u24 v75, v76, 36, v24
	s_nop 0
	v_xor_b32_e32 v8, vcc_lo, v8
	v_xor_b32_e32 v0, vcc_hi, v9
	v_and_b32_e32 v77, exec_lo, v8
	v_lshlrev_b32_e32 v9, 30, v76
	v_mov_b32_e32 v8, v1
	v_cmp_gt_i64_e32 vcc, 0, v[8:9]
	v_not_b32_e32 v8, v9
	v_ashrrev_i32_e32 v8, 31, v8
	v_and_b32_e32 v0, exec_hi, v0
	v_xor_b32_e32 v9, vcc_hi, v8
	v_xor_b32_e32 v8, vcc_lo, v8
	v_and_b32_e32 v0, v0, v9
	v_and_b32_e32 v77, v77, v8
	v_lshlrev_b32_e32 v9, 29, v76
	v_mov_b32_e32 v8, v1
	v_cmp_gt_i64_e32 vcc, 0, v[8:9]
	v_not_b32_e32 v8, v9
	v_ashrrev_i32_e32 v8, 31, v8
	v_xor_b32_e32 v9, vcc_hi, v8
	v_xor_b32_e32 v8, vcc_lo, v8
	v_and_b32_e32 v0, v0, v9
	v_and_b32_e32 v77, v77, v8
	v_lshlrev_b32_e32 v9, 28, v76
	v_mov_b32_e32 v8, v1
	v_cmp_gt_i64_e32 vcc, 0, v[8:9]
	v_not_b32_e32 v8, v9
	v_ashrrev_i32_e32 v8, 31, v8
	;; [unrolled: 9-line block ×4, first 2 shown]
	v_xor_b32_e32 v9, vcc_hi, v8
	v_xor_b32_e32 v8, vcc_lo, v8
	; wave barrier
	ds_read_b32 v74, v75 offset:32
	v_and_b32_e32 v8, v77, v8
	v_and_b32_e32 v9, v0, v9
	v_mbcnt_lo_u32_b32 v0, v8, 0
	v_mbcnt_hi_u32_b32 v76, v9, v0
	v_cmp_eq_u32_e32 vcc, 0, v76
	v_cmp_ne_u64_e64 s[0:1], 0, v[8:9]
	s_and_b64 s[2:3], s[0:1], vcc
	; wave barrier
	s_and_saveexec_b64 s[0:1], s[2:3]
	s_cbranch_execz .LBB1643_323
; %bb.322:
	v_bcnt_u32_b32 v0, v8, 0
	v_bcnt_u32_b32 v0, v9, v0
	s_waitcnt lgkmcnt(0)
	v_add_u32_e32 v0, v74, v0
	ds_write_b32 v75, v0 offset:32
.LBB1643_323:
	s_or_b64 exec, exec, s[0:1]
	s_waitcnt vmcnt(6)
	v_xor_b32_e32 v50, 0xffff8000, v50
	v_lshrrev_b32_sdwa v0, s96, v50 dst_sel:DWORD dst_unused:UNUSED_PAD src0_sel:DWORD src1_sel:WORD_0
	v_and_b32_e32 v79, s21, v0
	v_and_b32_e32 v0, 1, v79
	v_lshl_add_u64 v[8:9], v[0:1], 0, -1
	v_cmp_ne_u32_e32 vcc, 0, v0
	v_mad_u32_u24 v78, v79, 36, v24
	s_nop 0
	v_xor_b32_e32 v8, vcc_lo, v8
	v_xor_b32_e32 v0, vcc_hi, v9
	v_and_b32_e32 v80, exec_lo, v8
	v_lshlrev_b32_e32 v9, 30, v79
	v_mov_b32_e32 v8, v1
	v_cmp_gt_i64_e32 vcc, 0, v[8:9]
	v_not_b32_e32 v8, v9
	v_ashrrev_i32_e32 v8, 31, v8
	v_and_b32_e32 v0, exec_hi, v0
	v_xor_b32_e32 v9, vcc_hi, v8
	v_xor_b32_e32 v8, vcc_lo, v8
	v_and_b32_e32 v0, v0, v9
	v_and_b32_e32 v80, v80, v8
	v_lshlrev_b32_e32 v9, 29, v79
	v_mov_b32_e32 v8, v1
	v_cmp_gt_i64_e32 vcc, 0, v[8:9]
	v_not_b32_e32 v8, v9
	v_ashrrev_i32_e32 v8, 31, v8
	v_xor_b32_e32 v9, vcc_hi, v8
	v_xor_b32_e32 v8, vcc_lo, v8
	v_and_b32_e32 v0, v0, v9
	v_and_b32_e32 v80, v80, v8
	v_lshlrev_b32_e32 v9, 28, v79
	v_mov_b32_e32 v8, v1
	v_cmp_gt_i64_e32 vcc, 0, v[8:9]
	v_not_b32_e32 v8, v9
	v_ashrrev_i32_e32 v8, 31, v8
	;; [unrolled: 9-line block ×3, first 2 shown]
	v_xor_b32_e32 v9, vcc_hi, v8
	v_xor_b32_e32 v8, vcc_lo, v8
	v_and_b32_e32 v0, v0, v9
	v_lshlrev_b32_e32 v9, 26, v79
	v_and_b32_e32 v80, v80, v8
	v_mov_b32_e32 v8, v1
	v_not_b32_e32 v1, v9
	v_cmp_gt_i64_e32 vcc, 0, v[8:9]
	v_ashrrev_i32_e32 v1, 31, v1
	; wave barrier
	s_nop 0
	v_xor_b32_e32 v8, vcc_hi, v1
	v_xor_b32_e32 v9, vcc_lo, v1
	ds_read_b32 v77, v78 offset:32
	v_and_b32_e32 v1, v0, v8
	v_and_b32_e32 v0, v80, v9
	v_mbcnt_lo_u32_b32 v8, v0, 0
	v_mbcnt_hi_u32_b32 v79, v1, v8
	v_cmp_eq_u32_e32 vcc, 0, v79
	v_cmp_ne_u64_e64 s[0:1], 0, v[0:1]
	s_and_b64 s[2:3], s[0:1], vcc
	; wave barrier
	s_and_saveexec_b64 s[0:1], s[2:3]
	s_cbranch_execz .LBB1643_325
; %bb.324:
	v_bcnt_u32_b32 v0, v0, 0
	v_bcnt_u32_b32 v0, v1, v0
	s_waitcnt lgkmcnt(0)
	v_add_u32_e32 v0, v77, v0
	ds_write_b32 v78, v0 offset:32
.LBB1643_325:
	s_or_b64 exec, exec, s[0:1]
	s_waitcnt vmcnt(5)
	v_xor_b32_e32 v45, 0xffff8000, v45
	v_lshrrev_b32_sdwa v0, s96, v45 dst_sel:DWORD dst_unused:UNUSED_PAD src0_sel:DWORD src1_sel:WORD_0
	v_and_b32_e32 v81, s21, v0
	v_and_b32_e32 v0, 1, v81
	v_mov_b32_e32 v1, 0
	v_lshl_add_u64 v[8:9], v[0:1], 0, -1
	v_cmp_ne_u32_e32 vcc, 0, v0
	v_mad_u32_u24 v82, v81, 36, v24
	s_nop 0
	v_xor_b32_e32 v8, vcc_lo, v8
	v_xor_b32_e32 v0, vcc_hi, v9
	v_and_b32_e32 v83, exec_lo, v8
	v_lshlrev_b32_e32 v9, 30, v81
	v_mov_b32_e32 v8, v1
	v_cmp_gt_i64_e32 vcc, 0, v[8:9]
	v_not_b32_e32 v8, v9
	v_ashrrev_i32_e32 v8, 31, v8
	v_and_b32_e32 v0, exec_hi, v0
	v_xor_b32_e32 v9, vcc_hi, v8
	v_xor_b32_e32 v8, vcc_lo, v8
	v_and_b32_e32 v0, v0, v9
	v_and_b32_e32 v83, v83, v8
	v_lshlrev_b32_e32 v9, 29, v81
	v_mov_b32_e32 v8, v1
	v_cmp_gt_i64_e32 vcc, 0, v[8:9]
	v_not_b32_e32 v8, v9
	v_ashrrev_i32_e32 v8, 31, v8
	v_xor_b32_e32 v9, vcc_hi, v8
	v_xor_b32_e32 v8, vcc_lo, v8
	v_and_b32_e32 v0, v0, v9
	v_and_b32_e32 v83, v83, v8
	v_lshlrev_b32_e32 v9, 28, v81
	v_mov_b32_e32 v8, v1
	v_cmp_gt_i64_e32 vcc, 0, v[8:9]
	v_not_b32_e32 v8, v9
	v_ashrrev_i32_e32 v8, 31, v8
	;; [unrolled: 9-line block ×4, first 2 shown]
	v_xor_b32_e32 v9, vcc_hi, v8
	v_xor_b32_e32 v8, vcc_lo, v8
	; wave barrier
	ds_read_b32 v80, v82 offset:32
	v_and_b32_e32 v8, v83, v8
	v_and_b32_e32 v9, v0, v9
	v_mbcnt_lo_u32_b32 v0, v8, 0
	v_mbcnt_hi_u32_b32 v83, v9, v0
	v_cmp_eq_u32_e32 vcc, 0, v83
	v_cmp_ne_u64_e64 s[0:1], 0, v[8:9]
	s_and_b64 s[2:3], s[0:1], vcc
	; wave barrier
	s_and_saveexec_b64 s[0:1], s[2:3]
	s_cbranch_execz .LBB1643_327
; %bb.326:
	v_bcnt_u32_b32 v0, v8, 0
	v_bcnt_u32_b32 v0, v9, v0
	s_waitcnt lgkmcnt(0)
	v_add_u32_e32 v0, v80, v0
	ds_write_b32 v82, v0 offset:32
.LBB1643_327:
	s_or_b64 exec, exec, s[0:1]
	s_waitcnt vmcnt(4)
	v_xor_b32_e32 v81, 0xffff8000, v40
	v_lshrrev_b32_sdwa v0, s96, v81 dst_sel:DWORD dst_unused:UNUSED_PAD src0_sel:DWORD src1_sel:WORD_0
	v_and_b32_e32 v85, s21, v0
	v_and_b32_e32 v0, 1, v85
	v_lshl_add_u64 v[8:9], v[0:1], 0, -1
	v_cmp_ne_u32_e32 vcc, 0, v0
	v_mad_u32_u24 v40, v85, 36, v24
	s_nop 0
	v_xor_b32_e32 v8, vcc_lo, v8
	v_xor_b32_e32 v0, vcc_hi, v9
	v_and_b32_e32 v86, exec_lo, v8
	v_lshlrev_b32_e32 v9, 30, v85
	v_mov_b32_e32 v8, v1
	v_cmp_gt_i64_e32 vcc, 0, v[8:9]
	v_not_b32_e32 v8, v9
	v_ashrrev_i32_e32 v8, 31, v8
	v_and_b32_e32 v0, exec_hi, v0
	v_xor_b32_e32 v9, vcc_hi, v8
	v_xor_b32_e32 v8, vcc_lo, v8
	v_and_b32_e32 v0, v0, v9
	v_and_b32_e32 v86, v86, v8
	v_lshlrev_b32_e32 v9, 29, v85
	v_mov_b32_e32 v8, v1
	v_cmp_gt_i64_e32 vcc, 0, v[8:9]
	v_not_b32_e32 v8, v9
	v_ashrrev_i32_e32 v8, 31, v8
	v_xor_b32_e32 v9, vcc_hi, v8
	v_xor_b32_e32 v8, vcc_lo, v8
	v_and_b32_e32 v0, v0, v9
	v_and_b32_e32 v86, v86, v8
	v_lshlrev_b32_e32 v9, 28, v85
	v_mov_b32_e32 v8, v1
	v_cmp_gt_i64_e32 vcc, 0, v[8:9]
	v_not_b32_e32 v8, v9
	v_ashrrev_i32_e32 v8, 31, v8
	;; [unrolled: 9-line block ×3, first 2 shown]
	v_xor_b32_e32 v9, vcc_hi, v8
	v_xor_b32_e32 v8, vcc_lo, v8
	v_and_b32_e32 v0, v0, v9
	v_lshlrev_b32_e32 v9, 26, v85
	v_and_b32_e32 v86, v86, v8
	v_mov_b32_e32 v8, v1
	v_not_b32_e32 v1, v9
	v_cmp_gt_i64_e32 vcc, 0, v[8:9]
	v_ashrrev_i32_e32 v1, 31, v1
	; wave barrier
	s_nop 0
	v_xor_b32_e32 v8, vcc_hi, v1
	v_xor_b32_e32 v9, vcc_lo, v1
	ds_read_b32 v84, v40 offset:32
	v_and_b32_e32 v1, v0, v8
	v_and_b32_e32 v0, v86, v9
	v_mbcnt_lo_u32_b32 v8, v0, 0
	v_mbcnt_hi_u32_b32 v86, v1, v8
	v_cmp_eq_u32_e32 vcc, 0, v86
	v_cmp_ne_u64_e64 s[0:1], 0, v[0:1]
	s_and_b64 s[2:3], s[0:1], vcc
	; wave barrier
	s_and_saveexec_b64 s[0:1], s[2:3]
	s_cbranch_execz .LBB1643_329
; %bb.328:
	v_bcnt_u32_b32 v0, v0, 0
	v_bcnt_u32_b32 v0, v1, v0
	s_waitcnt lgkmcnt(0)
	v_add_u32_e32 v0, v84, v0
	ds_write_b32 v40, v0 offset:32
.LBB1643_329:
	s_or_b64 exec, exec, s[0:1]
	s_waitcnt vmcnt(3)
	v_xor_b32_e32 v85, 0xffff8000, v35
	v_lshrrev_b32_sdwa v0, s96, v85 dst_sel:DWORD dst_unused:UNUSED_PAD src0_sel:DWORD src1_sel:WORD_0
	v_and_b32_e32 v88, s21, v0
	v_and_b32_e32 v0, 1, v88
	v_mov_b32_e32 v1, 0
	v_lshl_add_u64 v[8:9], v[0:1], 0, -1
	v_cmp_ne_u32_e32 vcc, 0, v0
	v_mad_u32_u24 v35, v88, 36, v24
	s_nop 0
	v_xor_b32_e32 v8, vcc_lo, v8
	v_xor_b32_e32 v0, vcc_hi, v9
	v_and_b32_e32 v89, exec_lo, v8
	v_lshlrev_b32_e32 v9, 30, v88
	v_mov_b32_e32 v8, v1
	v_cmp_gt_i64_e32 vcc, 0, v[8:9]
	v_not_b32_e32 v8, v9
	v_ashrrev_i32_e32 v8, 31, v8
	v_and_b32_e32 v0, exec_hi, v0
	v_xor_b32_e32 v9, vcc_hi, v8
	v_xor_b32_e32 v8, vcc_lo, v8
	v_and_b32_e32 v0, v0, v9
	v_and_b32_e32 v89, v89, v8
	v_lshlrev_b32_e32 v9, 29, v88
	v_mov_b32_e32 v8, v1
	v_cmp_gt_i64_e32 vcc, 0, v[8:9]
	v_not_b32_e32 v8, v9
	v_ashrrev_i32_e32 v8, 31, v8
	v_xor_b32_e32 v9, vcc_hi, v8
	v_xor_b32_e32 v8, vcc_lo, v8
	v_and_b32_e32 v0, v0, v9
	v_and_b32_e32 v89, v89, v8
	v_lshlrev_b32_e32 v9, 28, v88
	v_mov_b32_e32 v8, v1
	v_cmp_gt_i64_e32 vcc, 0, v[8:9]
	v_not_b32_e32 v8, v9
	v_ashrrev_i32_e32 v8, 31, v8
	;; [unrolled: 9-line block ×4, first 2 shown]
	v_xor_b32_e32 v9, vcc_hi, v8
	v_xor_b32_e32 v8, vcc_lo, v8
	; wave barrier
	ds_read_b32 v87, v35 offset:32
	v_and_b32_e32 v8, v89, v8
	v_and_b32_e32 v9, v0, v9
	v_mbcnt_lo_u32_b32 v0, v8, 0
	v_mbcnt_hi_u32_b32 v89, v9, v0
	v_cmp_eq_u32_e32 vcc, 0, v89
	v_cmp_ne_u64_e64 s[0:1], 0, v[8:9]
	s_and_b64 s[2:3], s[0:1], vcc
	; wave barrier
	s_and_saveexec_b64 s[0:1], s[2:3]
	s_cbranch_execz .LBB1643_331
; %bb.330:
	v_bcnt_u32_b32 v0, v8, 0
	v_bcnt_u32_b32 v0, v9, v0
	s_waitcnt lgkmcnt(0)
	v_add_u32_e32 v0, v87, v0
	ds_write_b32 v35, v0 offset:32
.LBB1643_331:
	s_or_b64 exec, exec, s[0:1]
	s_waitcnt vmcnt(2)
	v_xor_b32_e32 v88, 0xffff8000, v30
	v_lshrrev_b32_sdwa v0, s96, v88 dst_sel:DWORD dst_unused:UNUSED_PAD src0_sel:DWORD src1_sel:WORD_0
	v_and_b32_e32 v90, s21, v0
	v_and_b32_e32 v0, 1, v90
	v_lshl_add_u64 v[8:9], v[0:1], 0, -1
	v_cmp_ne_u32_e32 vcc, 0, v0
	v_mad_u32_u24 v91, v90, 36, v24
	s_nop 0
	v_xor_b32_e32 v8, vcc_lo, v8
	v_xor_b32_e32 v0, vcc_hi, v9
	v_and_b32_e32 v92, exec_lo, v8
	v_lshlrev_b32_e32 v9, 30, v90
	v_mov_b32_e32 v8, v1
	v_cmp_gt_i64_e32 vcc, 0, v[8:9]
	v_not_b32_e32 v8, v9
	v_ashrrev_i32_e32 v8, 31, v8
	v_and_b32_e32 v0, exec_hi, v0
	v_xor_b32_e32 v9, vcc_hi, v8
	v_xor_b32_e32 v8, vcc_lo, v8
	v_and_b32_e32 v0, v0, v9
	v_and_b32_e32 v92, v92, v8
	v_lshlrev_b32_e32 v9, 29, v90
	v_mov_b32_e32 v8, v1
	v_cmp_gt_i64_e32 vcc, 0, v[8:9]
	v_not_b32_e32 v8, v9
	v_ashrrev_i32_e32 v8, 31, v8
	v_xor_b32_e32 v9, vcc_hi, v8
	v_xor_b32_e32 v8, vcc_lo, v8
	v_and_b32_e32 v0, v0, v9
	v_and_b32_e32 v92, v92, v8
	v_lshlrev_b32_e32 v9, 28, v90
	v_mov_b32_e32 v8, v1
	v_cmp_gt_i64_e32 vcc, 0, v[8:9]
	v_not_b32_e32 v8, v9
	v_ashrrev_i32_e32 v8, 31, v8
	;; [unrolled: 9-line block ×3, first 2 shown]
	v_xor_b32_e32 v9, vcc_hi, v8
	v_xor_b32_e32 v8, vcc_lo, v8
	v_and_b32_e32 v0, v0, v9
	v_lshlrev_b32_e32 v9, 26, v90
	v_and_b32_e32 v92, v92, v8
	v_mov_b32_e32 v8, v1
	v_not_b32_e32 v1, v9
	v_cmp_gt_i64_e32 vcc, 0, v[8:9]
	v_ashrrev_i32_e32 v1, 31, v1
	; wave barrier
	s_nop 0
	v_xor_b32_e32 v8, vcc_hi, v1
	v_xor_b32_e32 v9, vcc_lo, v1
	ds_read_b32 v30, v91 offset:32
	v_and_b32_e32 v1, v0, v8
	v_and_b32_e32 v0, v92, v9
	v_mbcnt_lo_u32_b32 v8, v0, 0
	v_mbcnt_hi_u32_b32 v92, v1, v8
	v_cmp_eq_u32_e32 vcc, 0, v92
	v_cmp_ne_u64_e64 s[0:1], 0, v[0:1]
	s_and_b64 s[2:3], s[0:1], vcc
	; wave barrier
	s_and_saveexec_b64 s[0:1], s[2:3]
	s_cbranch_execz .LBB1643_333
; %bb.332:
	v_bcnt_u32_b32 v0, v0, 0
	v_bcnt_u32_b32 v0, v1, v0
	s_waitcnt lgkmcnt(0)
	v_add_u32_e32 v0, v30, v0
	ds_write_b32 v91, v0 offset:32
.LBB1643_333:
	s_or_b64 exec, exec, s[0:1]
	s_waitcnt vmcnt(1)
	v_xor_b32_e32 v90, 0xffff8000, v25
	v_lshrrev_b32_sdwa v0, s96, v90 dst_sel:DWORD dst_unused:UNUSED_PAD src0_sel:DWORD src1_sel:WORD_0
	v_and_b32_e32 v94, s21, v0
	v_and_b32_e32 v0, 1, v94
	v_mov_b32_e32 v1, 0
	v_lshl_add_u64 v[8:9], v[0:1], 0, -1
	v_cmp_ne_u32_e32 vcc, 0, v0
	v_mad_u32_u24 v25, v94, 36, v24
	s_nop 0
	v_xor_b32_e32 v8, vcc_lo, v8
	v_xor_b32_e32 v0, vcc_hi, v9
	v_and_b32_e32 v95, exec_lo, v8
	v_lshlrev_b32_e32 v9, 30, v94
	v_mov_b32_e32 v8, v1
	v_cmp_gt_i64_e32 vcc, 0, v[8:9]
	v_not_b32_e32 v8, v9
	v_ashrrev_i32_e32 v8, 31, v8
	v_and_b32_e32 v0, exec_hi, v0
	v_xor_b32_e32 v9, vcc_hi, v8
	v_xor_b32_e32 v8, vcc_lo, v8
	v_and_b32_e32 v0, v0, v9
	v_and_b32_e32 v95, v95, v8
	v_lshlrev_b32_e32 v9, 29, v94
	v_mov_b32_e32 v8, v1
	v_cmp_gt_i64_e32 vcc, 0, v[8:9]
	v_not_b32_e32 v8, v9
	v_ashrrev_i32_e32 v8, 31, v8
	v_xor_b32_e32 v9, vcc_hi, v8
	v_xor_b32_e32 v8, vcc_lo, v8
	v_and_b32_e32 v0, v0, v9
	v_and_b32_e32 v95, v95, v8
	v_lshlrev_b32_e32 v9, 28, v94
	v_mov_b32_e32 v8, v1
	v_cmp_gt_i64_e32 vcc, 0, v[8:9]
	v_not_b32_e32 v8, v9
	v_ashrrev_i32_e32 v8, 31, v8
	;; [unrolled: 9-line block ×4, first 2 shown]
	v_xor_b32_e32 v9, vcc_hi, v8
	v_xor_b32_e32 v8, vcc_lo, v8
	; wave barrier
	ds_read_b32 v93, v25 offset:32
	v_and_b32_e32 v8, v95, v8
	v_and_b32_e32 v9, v0, v9
	v_mbcnt_lo_u32_b32 v0, v8, 0
	v_mbcnt_hi_u32_b32 v94, v9, v0
	v_cmp_eq_u32_e32 vcc, 0, v94
	v_cmp_ne_u64_e64 s[0:1], 0, v[8:9]
	s_and_b64 s[2:3], s[0:1], vcc
	; wave barrier
	s_and_saveexec_b64 s[0:1], s[2:3]
	s_cbranch_execz .LBB1643_335
; %bb.334:
	v_bcnt_u32_b32 v0, v8, 0
	v_bcnt_u32_b32 v0, v9, v0
	s_waitcnt lgkmcnt(0)
	v_add_u32_e32 v0, v93, v0
	ds_write_b32 v25, v0 offset:32
.LBB1643_335:
	s_or_b64 exec, exec, s[0:1]
	s_waitcnt vmcnt(0)
	v_xor_b32_e32 v8, 0xffff8000, v19
	v_lshrrev_b32_sdwa v0, s96, v8 dst_sel:DWORD dst_unused:UNUSED_PAD src0_sel:DWORD src1_sel:WORD_0
	v_and_b32_e32 v19, s21, v0
	v_and_b32_e32 v0, 1, v19
	v_lshl_add_u64 v[96:97], v[0:1], 0, -1
	v_cmp_ne_u32_e32 vcc, 0, v0
	v_mad_u32_u24 v24, v19, 36, v24
	s_nop 0
	v_xor_b32_e32 v0, vcc_hi, v97
	v_xor_b32_e32 v95, vcc_lo, v96
	v_lshlrev_b32_e32 v97, 30, v19
	v_mov_b32_e32 v96, v1
	v_cmp_gt_i64_e32 vcc, 0, v[96:97]
	v_not_b32_e32 v96, v97
	v_ashrrev_i32_e32 v96, 31, v96
	v_and_b32_e32 v0, exec_hi, v0
	v_and_b32_e32 v95, exec_lo, v95
	v_xor_b32_e32 v97, vcc_hi, v96
	v_xor_b32_e32 v96, vcc_lo, v96
	v_and_b32_e32 v0, v0, v97
	v_and_b32_e32 v95, v95, v96
	v_lshlrev_b32_e32 v97, 29, v19
	v_mov_b32_e32 v96, v1
	v_cmp_gt_i64_e32 vcc, 0, v[96:97]
	v_not_b32_e32 v96, v97
	v_ashrrev_i32_e32 v96, 31, v96
	v_xor_b32_e32 v97, vcc_hi, v96
	v_xor_b32_e32 v96, vcc_lo, v96
	v_and_b32_e32 v0, v0, v97
	v_and_b32_e32 v95, v95, v96
	v_lshlrev_b32_e32 v97, 28, v19
	v_mov_b32_e32 v96, v1
	v_cmp_gt_i64_e32 vcc, 0, v[96:97]
	v_not_b32_e32 v96, v97
	v_ashrrev_i32_e32 v96, 31, v96
	;; [unrolled: 9-line block ×3, first 2 shown]
	v_xor_b32_e32 v97, vcc_hi, v96
	v_xor_b32_e32 v96, vcc_lo, v96
	v_and_b32_e32 v0, v0, v97
	v_lshlrev_b32_e32 v97, 26, v19
	v_and_b32_e32 v95, v95, v96
	v_mov_b32_e32 v96, v1
	v_not_b32_e32 v1, v97
	v_cmp_gt_i64_e32 vcc, 0, v[96:97]
	v_ashrrev_i32_e32 v1, 31, v1
	; wave barrier
	s_nop 0
	v_xor_b32_e32 v19, vcc_hi, v1
	v_xor_b32_e32 v96, vcc_lo, v1
	ds_read_b32 v9, v24 offset:32
	v_and_b32_e32 v1, v0, v19
	v_and_b32_e32 v0, v95, v96
	v_mbcnt_lo_u32_b32 v19, v0, 0
	v_mbcnt_hi_u32_b32 v95, v1, v19
	v_cmp_eq_u32_e32 vcc, 0, v95
	v_cmp_ne_u64_e64 s[0:1], 0, v[0:1]
	s_and_b64 s[2:3], s[0:1], vcc
	; wave barrier
	s_and_saveexec_b64 s[0:1], s[2:3]
	s_cbranch_execz .LBB1643_337
; %bb.336:
	v_bcnt_u32_b32 v0, v0, 0
	v_bcnt_u32_b32 v0, v1, v0
	s_waitcnt lgkmcnt(0)
	v_add_u32_e32 v0, v9, v0
	ds_write_b32 v24, v0 offset:32
.LBB1643_337:
	s_or_b64 exec, exec, s[0:1]
	; wave barrier
	s_waitcnt lgkmcnt(0)
	s_barrier
	ds_read_b64 v[0:1], v7 offset:32
	v_and_b32_e32 v19, 15, v3
	v_cmp_ne_u32_e32 vcc, 0, v19
	v_min_u32_e32 v10, 0x1c0, v10
	v_or_b32_e32 v10, 63, v10
	s_waitcnt lgkmcnt(0)
	v_add_u32_e32 v1, v1, v0
	s_nop 1
	v_mov_b32_dpp v96, v1 row_shr:1 row_mask:0xf bank_mask:0xf
	v_cndmask_b32_e32 v96, 0, v96, vcc
	v_add_u32_e32 v1, v96, v1
	v_cmp_lt_u32_e32 vcc, 1, v19
	s_nop 0
	v_mov_b32_dpp v96, v1 row_shr:2 row_mask:0xf bank_mask:0xf
	v_cndmask_b32_e32 v96, 0, v96, vcc
	v_add_u32_e32 v1, v1, v96
	v_cmp_lt_u32_e32 vcc, 3, v19
	;; [unrolled: 5-line block ×3, first 2 shown]
	s_nop 0
	v_mov_b32_dpp v96, v1 row_shr:8 row_mask:0xf bank_mask:0xf
	v_cndmask_b32_e32 v19, 0, v96, vcc
	v_add_u32_e32 v1, v1, v19
	v_bfe_i32 v96, v3, 4, 1
	v_cmp_lt_u32_e32 vcc, 31, v3
	v_mov_b32_dpp v19, v1 row_bcast:15 row_mask:0xf bank_mask:0xf
	v_and_b32_e32 v19, v96, v19
	v_add_u32_e32 v1, v1, v19
	v_lshrrev_b32_e32 v96, 6, v2
	s_nop 0
	v_mov_b32_dpp v19, v1 row_bcast:31 row_mask:0xf bank_mask:0xf
	v_cndmask_b32_e32 v19, 0, v19, vcc
	v_add_u32_e32 v1, v1, v19
	v_cmp_eq_u32_e32 vcc, v2, v10
	s_and_saveexec_b64 s[0:1], vcc
; %bb.338:
	v_lshlrev_b32_e32 v10, 2, v96
	ds_write_b32 v10, v1
; %bb.339:
	s_or_b64 exec, exec, s[0:1]
	v_cmp_gt_u32_e32 vcc, 8, v2
	v_lshlrev_b32_e32 v19, 2, v2
	s_waitcnt lgkmcnt(0)
	s_barrier
	s_and_saveexec_b64 s[0:1], vcc
	s_cbranch_execz .LBB1643_341
; %bb.340:
	ds_read_b32 v10, v19
	v_and_b32_e32 v97, 7, v3
	v_cmp_ne_u32_e32 vcc, 0, v97
	s_waitcnt lgkmcnt(0)
	v_mov_b32_dpp v98, v10 row_shr:1 row_mask:0xf bank_mask:0xf
	v_cndmask_b32_e32 v98, 0, v98, vcc
	v_add_u32_e32 v10, v98, v10
	v_cmp_lt_u32_e32 vcc, 1, v97
	s_nop 0
	v_mov_b32_dpp v98, v10 row_shr:2 row_mask:0xf bank_mask:0xf
	v_cndmask_b32_e32 v98, 0, v98, vcc
	v_add_u32_e32 v10, v10, v98
	v_cmp_lt_u32_e32 vcc, 3, v97
	s_nop 0
	v_mov_b32_dpp v98, v10 row_shr:4 row_mask:0xf bank_mask:0xf
	v_cndmask_b32_e32 v97, 0, v98, vcc
	v_add_u32_e32 v10, v10, v97
	ds_write_b32 v19, v10
.LBB1643_341:
	s_or_b64 exec, exec, s[0:1]
	v_cmp_gt_u32_e64 s[0:1], 64, v2
	v_cmp_lt_u32_e32 vcc, 63, v2
	v_mov_b32_e32 v10, 0
	s_waitcnt lgkmcnt(0)
	s_barrier
	s_and_saveexec_b64 s[2:3], vcc
; %bb.342:
	v_lshl_add_u32 v10, v96, 2, -4
	ds_read_b32 v10, v10
; %bb.343:
	s_or_b64 exec, exec, s[2:3]
	v_subrev_co_u32_e64 v96, s[2:3], 1, v3
	v_and_b32_e32 v97, 64, v3
	v_cmp_lt_i32_e64 s[4:5], v96, v97
	s_waitcnt lgkmcnt(0)
	v_add_u32_e32 v1, v10, v1
	v_cndmask_b32_e64 v3, v96, v3, s[4:5]
	v_lshlrev_b32_e32 v3, 2, v3
	ds_bpermute_b32 v1, v3, v1
                                        ; implicit-def: $vgpr3
	s_waitcnt lgkmcnt(0)
	v_cndmask_b32_e64 v1, v1, v10, s[2:3]
	v_cndmask_b32_e64 v96, v1, 0, s[94:95]
	v_add_u32_e32 v97, v96, v0
	ds_write_b64 v7, v[96:97] offset:32
	s_waitcnt lgkmcnt(0)
	s_barrier
	ds_read_b32 v0, v14 offset:32
	ds_read_b32 v1, v16 offset:32
	;; [unrolled: 1-line block ×22, first 2 shown]
                                        ; implicit-def: $vgpr14
	s_and_saveexec_b64 s[4:5], s[0:1]
	s_cbranch_execz .LBB1643_347
; %bb.344:
	v_mul_u32_u24_e32 v3, 36, v2
	ds_read_b32 v3, v3 offset:32
	v_add_u32_e32 v25, 1, v2
	v_cmp_ne_u32_e64 s[2:3], 64, v25
	v_mov_b32_e32 v14, 0x2c00
	s_and_saveexec_b64 s[8:9], s[2:3]
; %bb.345:
	v_mul_u32_u24_e32 v14, 36, v25
	ds_read_b32 v14, v14 offset:32
; %bb.346:
	s_or_b64 exec, exec, s[8:9]
	s_waitcnt lgkmcnt(0)
	v_sub_u32_e32 v14, v14, v3
.LBB1643_347:
	s_or_b64 exec, exec, s[4:5]
	s_waitcnt lgkmcnt(14)
	v_add_u32_e32 v69, v0, v12
	v_add3_u32 v66, v17, v13, v1
	v_add3_u32 v62, v22, v18, v7
	;; [unrolled: 1-line block ×7, first 2 shown]
	s_waitcnt lgkmcnt(13)
	v_add3_u32 v37, v53, v49, v37
	s_waitcnt lgkmcnt(12)
	v_add3_u32 v35, v58, v54, v96
	;; [unrolled: 2-line block ×14, first 2 shown]
	v_lshlrev_b32_e32 v63, 1, v69
	v_lshlrev_b32_e32 v59, 1, v66
	;; [unrolled: 1-line block ×8, first 2 shown]
	s_barrier
	ds_write_b16 v63, v5 offset:256
	ds_write_b16 v59, v11 offset:256
	;; [unrolled: 1-line block ×8, first 2 shown]
	v_lshlrev_b32_e32 v43, 1, v37
	v_lshlrev_b32_e32 v41, 1, v35
	v_lshlrev_b32_e32 v39, 1, v33
	v_lshlrev_b32_e32 v38, 1, v32
	v_lshlrev_b32_e32 v36, 1, v29
	v_lshlrev_b32_e32 v34, 1, v27
	v_lshlrev_b32_e32 v31, 1, v25
	v_lshlrev_b32_e32 v30, 1, v23
	v_lshlrev_b32_e32 v28, 1, v21
	v_lshlrev_b32_e32 v26, 1, v18
	v_lshlrev_b32_e32 v24, 1, v17
	v_lshlrev_b32_e32 v22, 1, v16
	v_lshlrev_b32_e32 v20, 1, v13
	v_lshlrev_b32_e32 v15, 1, v12
	v_mov_b32_e32 v1, 0
	ds_write_b16 v43, v46 offset:256
	ds_write_b16 v41, v51 offset:256
	;; [unrolled: 1-line block ×14, first 2 shown]
	s_and_saveexec_b64 s[2:3], s[0:1]
	s_cbranch_execz .LBB1643_357
; %bb.348:
	v_lshl_add_u32 v0, s33, 6, v2
	v_lshl_add_u64 v[8:9], v[0:1], 2, s[6:7]
	v_or_b32_e32 v0, 2.0, v14
	s_mov_b64 s[4:5], 0
	s_brev_b32 s22, -4
	s_mov_b32 s23, s33
	v_mov_b32_e32 v5, 0
	global_store_dword v[8:9], v0, off sc1
                                        ; implicit-def: $sgpr0_sgpr1
	s_branch .LBB1643_351
.LBB1643_349:                           ;   in Loop: Header=BB1643_351 Depth=1
	s_or_b64 exec, exec, s[18:19]
.LBB1643_350:                           ;   in Loop: Header=BB1643_351 Depth=1
	s_or_b64 exec, exec, s[8:9]
	v_and_b32_e32 v7, 0x3fffffff, v0
	v_add_u32_e32 v5, v7, v5
	v_cmp_gt_i32_e64 s[0:1], -2.0, v0
	s_and_b64 s[8:9], exec, s[0:1]
	s_or_b64 s[4:5], s[8:9], s[4:5]
	s_andn2_b64 exec, exec, s[4:5]
	s_cbranch_execz .LBB1643_356
.LBB1643_351:                           ; =>This Loop Header: Depth=1
                                        ;     Child Loop BB1643_354 Depth 2
	s_or_b64 s[0:1], s[0:1], exec
	s_cmp_eq_u32 s23, 0
	s_cbranch_scc1 .LBB1643_355
; %bb.352:                              ;   in Loop: Header=BB1643_351 Depth=1
	s_add_i32 s23, s23, -1
	v_lshl_or_b32 v0, s23, 6, v2
	v_lshl_add_u64 v[10:11], v[0:1], 2, s[6:7]
	global_load_dword v0, v[10:11], off sc1
	s_waitcnt vmcnt(0)
	v_cmp_gt_u32_e64 s[0:1], 2.0, v0
	s_and_saveexec_b64 s[8:9], s[0:1]
	s_cbranch_execz .LBB1643_350
; %bb.353:                              ;   in Loop: Header=BB1643_351 Depth=1
	s_mov_b64 s[18:19], 0
.LBB1643_354:                           ;   Parent Loop BB1643_351 Depth=1
                                        ; =>  This Inner Loop Header: Depth=2
	global_load_dword v0, v[10:11], off sc1
	s_waitcnt vmcnt(0)
	v_cmp_lt_u32_e64 s[0:1], s22, v0
	s_or_b64 s[18:19], s[0:1], s[18:19]
	s_andn2_b64 exec, exec, s[18:19]
	s_cbranch_execnz .LBB1643_354
	s_branch .LBB1643_349
.LBB1643_355:                           ;   in Loop: Header=BB1643_351 Depth=1
                                        ; implicit-def: $sgpr23
	s_and_b64 s[8:9], exec, s[0:1]
	s_or_b64 s[4:5], s[8:9], s[4:5]
	s_andn2_b64 exec, exec, s[4:5]
	s_cbranch_execnz .LBB1643_351
.LBB1643_356:
	s_or_b64 exec, exec, s[4:5]
	v_add_u32_e32 v0, v5, v14
	v_or_b32_e32 v0, 0x80000000, v0
	v_readlane_b32 s4, v117, 0
	global_store_dword v[8:9], v0, off sc1
	v_readlane_b32 s5, v117, 1
	v_sub_u32_e32 v1, v5, v3
	v_readlane_b32 s6, v117, 2
	v_readlane_b32 s7, v117, 3
	s_nop 1
	global_load_dword v0, v19, s[4:5]
	s_waitcnt vmcnt(0)
	v_add_u32_e32 v0, v1, v0
	ds_write_b32 v19, v0
.LBB1643_357:
	s_or_b64 exec, exec, s[2:3]
	v_lshlrev_b32_e32 v0, 1, v2
	v_sub_u32_e32 v5, v19, v0
	s_waitcnt lgkmcnt(0)
	s_barrier
	ds_read_u16 v7, v5 offset:10496
	ds_read_u16 v82, v5 offset:11520
	;; [unrolled: 1-line block ×12, first 2 shown]
	s_waitcnt lgkmcnt(8)
	v_lshrrev_b32_sdwa v1, s96, v84 dst_sel:DWORD dst_unused:UNUSED_PAD src0_sel:DWORD src1_sel:WORD_0
	s_waitcnt lgkmcnt(5)
	v_lshrrev_b32_sdwa v8, s96, v87 dst_sel:DWORD dst_unused:UNUSED_PAD src0_sel:DWORD src1_sel:WORD_0
	v_and_b32_e32 v1, s21, v1
	s_waitcnt lgkmcnt(3)
	v_lshrrev_b32_sdwa v9, s96, v99 dst_sel:DWORD dst_unused:UNUSED_PAD src0_sel:DWORD src1_sel:WORD_0
	v_and_b32_e32 v9, s21, v9
	v_lshlrev_b32_e32 v45, 2, v9
	s_waitcnt lgkmcnt(2)
	v_lshrrev_b32_sdwa v9, s96, v100 dst_sel:DWORD dst_unused:UNUSED_PAD src0_sel:DWORD src1_sel:WORD_0
	v_and_b32_e32 v9, s21, v9
	v_lshlrev_b32_e32 v11, 2, v9
	;; [unrolled: 4-line block ×3, first 2 shown]
	s_waitcnt lgkmcnt(0)
	v_lshrrev_b32_sdwa v9, s96, v102 dst_sel:DWORD dst_unused:UNUSED_PAD src0_sel:DWORD src1_sel:WORD_0
	v_and_b32_e32 v8, s21, v8
	v_and_b32_e32 v9, s21, v9
	v_lshlrev_b32_e32 v1, 2, v1
	v_lshlrev_b32_e32 v8, 2, v8
	;; [unrolled: 1-line block ×3, first 2 shown]
	ds_read_u16 v46, v5 offset:256
	ds_read_u16 v56, v5 offset:1280
	ds_read_b32 v103, v1
	ds_read_b32 v104, v8
	;; [unrolled: 1-line block ×6, first 2 shown]
	s_waitcnt lgkmcnt(7)
	v_lshrrev_b32_sdwa v50, s96, v46 dst_sel:DWORD dst_unused:UNUSED_PAD src0_sel:DWORD src1_sel:WORD_0
	v_and_b32_e32 v50, s21, v50
	v_lshlrev_b32_e32 v95, 2, v50
	s_waitcnt lgkmcnt(6)
	v_lshrrev_b32_sdwa v50, s96, v56 dst_sel:DWORD dst_unused:UNUSED_PAD src0_sel:DWORD src1_sel:WORD_0
	v_and_b32_e32 v50, s21, v50
	v_lshlrev_b32_e32 v92, 2, v50
	ds_read_u16 v61, v5 offset:2304
	ds_read_u16 v64, v5 offset:3328
	;; [unrolled: 1-line block ×8, first 2 shown]
	s_waitcnt lgkmcnt(7)
	v_lshrrev_b32_sdwa v50, s96, v61 dst_sel:DWORD dst_unused:UNUSED_PAD src0_sel:DWORD src1_sel:WORD_0
	v_and_b32_e32 v50, s21, v50
	v_lshlrev_b32_e32 v94, 2, v50
	s_waitcnt lgkmcnt(6)
	v_lshrrev_b32_sdwa v50, s96, v64 dst_sel:DWORD dst_unused:UNUSED_PAD src0_sel:DWORD src1_sel:WORD_0
	v_and_b32_e32 v50, s21, v50
	v_lshlrev_b32_e32 v93, 2, v50
	;; [unrolled: 4-line block ×6, first 2 shown]
	ds_read_b32 v50, v95
	ds_read_b32 v60, v92
	;; [unrolled: 1-line block ×8, first 2 shown]
	s_waitcnt lgkmcnt(7)
	v_add_u32_e32 v96, v50, v2
	v_mov_b32_e32 v97, 0
	v_add_u32_e32 v55, 0x200, v2
	v_xor_b32_e32 v46, 0xffff8000, v46
	v_lshl_add_u64 v[50:51], v[96:97], 1, s[10:11]
	s_waitcnt lgkmcnt(6)
	v_add_u32_e32 v96, v60, v55
	v_or_b32_e32 v60, 0x400, v2
	global_store_short v[50:51], v46, off
	v_xor_b32_e32 v46, 0xffff8000, v56
	v_lshl_add_u64 v[50:51], v[96:97], 1, s[10:11]
	s_waitcnt lgkmcnt(5)
	v_add_u32_e32 v96, v71, v60
	global_store_short v[50:51], v46, off
	v_xor_b32_e32 v46, 0xffff8000, v61
	v_lshl_add_u64 v[50:51], v[96:97], 1, s[10:11]
	global_store_short v[50:51], v46, off
	v_add_u32_e32 v46, 0x600, v2
	s_waitcnt lgkmcnt(4)
	v_add_u32_e32 v96, v73, v46
	v_xor_b32_e32 v56, 0xffff8000, v64
	v_lshl_add_u64 v[50:51], v[96:97], 1, s[10:11]
	global_store_short v[50:51], v56, off
	v_or_b32_e32 v50, 0x800, v2
	s_waitcnt lgkmcnt(3)
	v_add_u32_e32 v96, v74, v50
	v_add_u32_e32 v56, 0xa00, v2
	v_xor_b32_e32 v51, 0xffff8000, v65
	v_lshl_add_u64 v[64:65], v[96:97], 1, s[10:11]
	s_waitcnt lgkmcnt(2)
	v_add_u32_e32 v96, v75, v56
	v_or_b32_e32 v61, 0xc00, v2
	global_store_short v[64:65], v51, off
	v_xor_b32_e32 v51, 0xffff8000, v67
	v_lshl_add_u64 v[64:65], v[96:97], 1, s[10:11]
	s_waitcnt lgkmcnt(1)
	v_add_u32_e32 v96, v76, v61
	global_store_short v[64:65], v51, off
	v_xor_b32_e32 v51, 0xffff8000, v68
	v_lshl_add_u64 v[64:65], v[96:97], 1, s[10:11]
	global_store_short v[64:65], v51, off
	v_add_u32_e32 v64, 0xe00, v2
	s_waitcnt lgkmcnt(0)
	v_add_u32_e32 v96, v77, v64
	v_xor_b32_e32 v51, 0xffff8000, v70
	v_lshl_add_u64 v[70:71], v[96:97], 1, s[10:11]
	v_lshrrev_b32_sdwa v65, s96, v72 dst_sel:DWORD dst_unused:UNUSED_PAD src0_sel:DWORD src1_sel:WORD_0
	global_store_short v[70:71], v51, off
	v_and_b32_e32 v65, s21, v65
	v_xor_b32_e32 v75, 0xffff8000, v72
	v_lshrrev_b32_sdwa v67, s96, v5 dst_sel:DWORD dst_unused:UNUSED_PAD src0_sel:DWORD src1_sel:WORD_0
	v_lshrrev_b32_sdwa v68, s96, v7 dst_sel:DWORD dst_unused:UNUSED_PAD src0_sel:DWORD src1_sel:WORD_0
	;; [unrolled: 1-line block ×7, first 2 shown]
	v_or_b32_e32 v51, 0x1000, v2
	v_lshlrev_b32_e32 v65, 2, v65
	v_and_b32_e32 v67, s21, v67
	v_and_b32_e32 v68, s21, v68
	v_and_b32_e32 v70, s21, v70
	v_and_b32_e32 v71, s21, v71
	v_and_b32_e32 v72, s21, v72
	v_and_b32_e32 v73, s21, v73
	v_and_b32_e32 v74, s21, v74
	v_lshlrev_b32_e32 v67, 2, v67
	v_lshlrev_b32_e32 v68, 2, v68
	;; [unrolled: 1-line block ×7, first 2 shown]
	ds_read_b32 v76, v65
	ds_read_b32 v78, v67
	;; [unrolled: 1-line block ×8, first 2 shown]
	s_waitcnt lgkmcnt(7)
	v_add_u32_e32 v96, v76, v51
	v_lshl_add_u64 v[76:77], v[96:97], 1, s[10:11]
	global_store_short v[76:77], v75, off
	v_add_u32_e32 v77, 0x1200, v2
	s_waitcnt lgkmcnt(6)
	v_add_u32_e32 v96, v78, v77
	v_xor_b32_e32 v5, 0xffff8000, v5
	v_lshl_add_u64 v[78:79], v[96:97], 1, s[10:11]
	global_store_short v[78:79], v5, off
	v_or_b32_e32 v79, 0x1400, v2
	s_waitcnt lgkmcnt(5)
	v_add_u32_e32 v96, v80, v79
	v_add_u32_e32 v75, 0x1600, v2
	v_xor_b32_e32 v5, 0xffff8000, v7
	v_lshl_add_u64 v[80:81], v[96:97], 1, s[10:11]
	s_waitcnt lgkmcnt(4)
	v_add_u32_e32 v96, v109, v75
	v_or_b32_e32 v76, 0x1800, v2
	global_store_short v[80:81], v5, off
	v_xor_b32_e32 v5, 0xffff8000, v82
	v_lshl_add_u64 v[80:81], v[96:97], 1, s[10:11]
	s_waitcnt lgkmcnt(3)
	v_add_u32_e32 v96, v110, v76
	v_add_u32_e32 v78, 0x1a00, v2
	global_store_short v[80:81], v5, off
	v_xor_b32_e32 v5, 0xffff8000, v83
	v_lshl_add_u64 v[80:81], v[96:97], 1, s[10:11]
	s_waitcnt lgkmcnt(2)
	v_add_u32_e32 v96, v111, v78
	global_store_short v[80:81], v5, off
	v_xor_b32_e32 v5, 0xffff8000, v85
	v_lshl_add_u64 v[80:81], v[96:97], 1, s[10:11]
	global_store_short v[80:81], v5, off
	v_or_b32_e32 v80, 0x1c00, v2
	s_waitcnt lgkmcnt(1)
	v_add_u32_e32 v96, v112, v80
	v_add_u32_e32 v81, 0x1e00, v2
	v_xor_b32_e32 v5, 0xffff8000, v86
	v_lshl_add_u64 v[82:83], v[96:97], 1, s[10:11]
	s_waitcnt lgkmcnt(0)
	v_add_u32_e32 v96, v113, v81
	global_store_short v[82:83], v5, off
	v_xor_b32_e32 v5, 0xffff8000, v98
	v_lshl_add_u64 v[82:83], v[96:97], 1, s[10:11]
	global_store_short v[82:83], v5, off
	v_or_b32_e32 v82, 0x2000, v2
	v_add_u32_e32 v96, v103, v82
	v_add_u32_e32 v83, 0x2200, v2
	v_xor_b32_e32 v5, 0xffff8000, v84
	v_lshl_add_u64 v[84:85], v[96:97], 1, s[10:11]
	v_add_u32_e32 v96, v104, v83
	global_store_short v[84:85], v5, off
	v_xor_b32_e32 v5, 0xffff8000, v87
	v_lshl_add_u64 v[84:85], v[96:97], 1, s[10:11]
	global_store_short v[84:85], v5, off
	v_or_b32_e32 v85, 0x2400, v2
	v_add_u32_e32 v96, v105, v85
	v_add_u32_e32 v84, 0x2600, v2
	v_xor_b32_e32 v5, 0xffff8000, v99
	v_lshl_add_u64 v[86:87], v[96:97], 1, s[10:11]
	;; [unrolled: 10-line block ×3, first 2 shown]
	v_add_u32_e32 v96, v108, v87
	global_store_short v[98:99], v5, off
	v_xor_b32_e32 v5, 0xffff8000, v102
	v_lshl_add_u64 v[98:99], v[96:97], 1, s[10:11]
	s_add_u32 s0, s12, s16
	global_store_short v[98:99], v5, off
	s_addc_u32 s1, s13, s17
	v_mov_b32_e32 v5, v97
	v_lshl_add_u64 v[4:5], s[0:1], 0, v[4:5]
	v_mov_b32_e32 v7, v97
	v_lshl_add_u64 v[114:115], v[4:5], 0, v[6:7]
	global_load_ushort v113, v[114:115], off
	global_load_ushort v112, v[114:115], off offset:128
	global_load_ushort v111, v[114:115], off offset:256
	;; [unrolled: 1-line block ×21, first 2 shown]
	s_movk_i32 s4, 0x2c00
	v_cmp_gt_u32_e64 s[0:1], s4, v69
	s_barrier
	s_and_saveexec_b64 s[2:3], s[0:1]
	s_cbranch_execz .LBB1643_384
; %bb.358:
	s_waitcnt vmcnt(21)
	ds_write_b16 v63, v113 offset:256
	s_or_b64 exec, exec, s[2:3]
	v_cmp_gt_u32_e64 s[0:1], s4, v66
	s_and_saveexec_b64 s[2:3], s[0:1]
	s_cbranch_execnz .LBB1643_385
.LBB1643_359:
	s_or_b64 exec, exec, s[2:3]
	v_cmp_gt_u32_e64 s[0:1], s4, v62
	s_and_saveexec_b64 s[2:3], s[0:1]
	s_cbranch_execz .LBB1643_386
.LBB1643_360:
	s_waitcnt vmcnt(19)
	ds_write_b16 v58, v111 offset:256
	s_or_b64 exec, exec, s[2:3]
	v_cmp_gt_u32_e64 s[0:1], s4, v57
	s_and_saveexec_b64 s[2:3], s[0:1]
	s_cbranch_execnz .LBB1643_387
.LBB1643_361:
	s_or_b64 exec, exec, s[2:3]
	v_cmp_gt_u32_e64 s[0:1], s4, v52
	s_and_saveexec_b64 s[2:3], s[0:1]
	s_cbranch_execz .LBB1643_388
.LBB1643_362:
	s_waitcnt vmcnt(17)
	ds_write_b16 v53, v109 offset:256
	s_or_b64 exec, exec, s[2:3]
	v_cmp_gt_u32_e64 s[0:1], s4, v47
	s_and_saveexec_b64 s[2:3], s[0:1]
	s_cbranch_execnz .LBB1643_389
.LBB1643_363:
	s_or_b64 exec, exec, s[2:3]
	v_cmp_gt_u32_e64 s[0:1], s4, v42
	s_and_saveexec_b64 s[2:3], s[0:1]
	s_cbranch_execz .LBB1643_390
.LBB1643_364:
	s_waitcnt vmcnt(15)
	ds_write_b16 v48, v107 offset:256
	s_or_b64 exec, exec, s[2:3]
	v_cmp_gt_u32_e64 s[0:1], s4, v40
	s_and_saveexec_b64 s[2:3], s[0:1]
	s_cbranch_execnz .LBB1643_391
.LBB1643_365:
	s_or_b64 exec, exec, s[2:3]
	v_cmp_gt_u32_e64 s[0:1], s4, v37
	s_and_saveexec_b64 s[2:3], s[0:1]
	s_cbranch_execz .LBB1643_392
.LBB1643_366:
	s_waitcnt vmcnt(13)
	ds_write_b16 v43, v105 offset:256
	s_or_b64 exec, exec, s[2:3]
	v_cmp_gt_u32_e64 s[0:1], s4, v35
	s_and_saveexec_b64 s[2:3], s[0:1]
	s_cbranch_execnz .LBB1643_393
.LBB1643_367:
	s_or_b64 exec, exec, s[2:3]
	v_cmp_gt_u32_e64 s[0:1], s4, v33
	s_and_saveexec_b64 s[2:3], s[0:1]
	s_cbranch_execz .LBB1643_394
.LBB1643_368:
	s_waitcnt vmcnt(11)
	ds_write_b16 v39, v103 offset:256
	s_or_b64 exec, exec, s[2:3]
	v_cmp_gt_u32_e64 s[0:1], s4, v32
	s_and_saveexec_b64 s[2:3], s[0:1]
	s_cbranch_execnz .LBB1643_395
.LBB1643_369:
	s_or_b64 exec, exec, s[2:3]
	v_cmp_gt_u32_e64 s[0:1], s4, v29
	s_and_saveexec_b64 s[2:3], s[0:1]
	s_cbranch_execz .LBB1643_396
.LBB1643_370:
	s_waitcnt vmcnt(9)
	ds_write_b16 v36, v101 offset:256
	s_or_b64 exec, exec, s[2:3]
	v_cmp_gt_u32_e64 s[0:1], s4, v27
	s_and_saveexec_b64 s[2:3], s[0:1]
	s_cbranch_execnz .LBB1643_397
.LBB1643_371:
	s_or_b64 exec, exec, s[2:3]
	v_cmp_gt_u32_e64 s[0:1], s4, v25
	s_and_saveexec_b64 s[2:3], s[0:1]
	s_cbranch_execz .LBB1643_398
.LBB1643_372:
	s_waitcnt vmcnt(7)
	ds_write_b16 v31, v99 offset:256
	s_or_b64 exec, exec, s[2:3]
	v_cmp_gt_u32_e64 s[0:1], s4, v23
	s_and_saveexec_b64 s[2:3], s[0:1]
	s_cbranch_execnz .LBB1643_399
.LBB1643_373:
	s_or_b64 exec, exec, s[2:3]
	v_cmp_gt_u32_e64 s[0:1], s4, v21
	s_and_saveexec_b64 s[2:3], s[0:1]
	s_cbranch_execz .LBB1643_400
.LBB1643_374:
	s_waitcnt vmcnt(5)
	ds_write_b16 v28, v97 offset:256
	s_or_b64 exec, exec, s[2:3]
	v_cmp_gt_u32_e64 s[0:1], s4, v18
	s_and_saveexec_b64 s[2:3], s[0:1]
	s_cbranch_execnz .LBB1643_401
.LBB1643_375:
	s_or_b64 exec, exec, s[2:3]
	v_cmp_gt_u32_e64 s[0:1], s4, v17
	s_and_saveexec_b64 s[2:3], s[0:1]
	s_cbranch_execz .LBB1643_402
.LBB1643_376:
	s_waitcnt vmcnt(3)
	ds_write_b16 v24, v7 offset:256
	s_or_b64 exec, exec, s[2:3]
	v_cmp_gt_u32_e64 s[0:1], s4, v16
	s_and_saveexec_b64 s[2:3], s[0:1]
	s_cbranch_execnz .LBB1643_403
.LBB1643_377:
	s_or_b64 exec, exec, s[2:3]
	v_cmp_gt_u32_e64 s[0:1], s4, v13
	s_and_saveexec_b64 s[2:3], s[0:1]
	s_cbranch_execz .LBB1643_379
.LBB1643_378:
	s_waitcnt vmcnt(1)
	ds_write_b16 v20, v5 offset:256
.LBB1643_379:
	s_or_b64 exec, exec, s[2:3]
	v_sub_u32_e32 v0, 0, v0
	v_cmp_gt_u32_e64 s[0:1], s4, v12
	s_and_saveexec_b64 s[2:3], s[0:1]
	s_cbranch_execz .LBB1643_381
; %bb.380:
	s_waitcnt vmcnt(0)
	ds_write_b16 v15, v4 offset:256
.LBB1643_381:
	s_or_b64 exec, exec, s[2:3]
	s_waitcnt lgkmcnt(0)
	s_barrier
	v_add_u32_e32 v12, v19, v0
	ds_read_b32 v0, v95
	ds_read_b32 v13, v92
	;; [unrolled: 1-line block ×8, first 2 shown]
	s_waitcnt vmcnt(0) lgkmcnt(7)
	v_add_u32_e32 v4, v0, v2
	v_mov_b32_e32 v5, 0
	v_lshl_add_u64 v[6:7], v[4:5], 1, s[14:15]
	ds_read_u16 v0, v12 offset:256
	ds_read_u16 v2, v12 offset:1280
	ds_read_b32 v22, v1
	ds_read_b32 v8, v8
	;; [unrolled: 1-line block ×6, first 2 shown]
	s_waitcnt lgkmcnt(14)
	v_add_u32_e32 v4, v13, v55
	s_waitcnt lgkmcnt(7)
	global_store_short v[6:7], v0, off
	v_lshl_add_u64 v[0:1], v[4:5], 1, s[14:15]
	v_add_u32_e32 v4, v15, v60
	s_waitcnt lgkmcnt(6)
	global_store_short v[0:1], v2, off
	v_lshl_add_u64 v[0:1], v[4:5], 1, s[14:15]
	v_add_u32_e32 v4, v16, v46
	ds_read_u16 v2, v12 offset:2304
	ds_read_u16 v6, v12 offset:3328
	;; [unrolled: 1-line block ×8, first 2 shown]
	s_waitcnt lgkmcnt(7)
	global_store_short v[0:1], v2, off
	v_lshl_add_u64 v[0:1], v[4:5], 1, s[14:15]
	v_add_u32_e32 v4, v17, v50
	s_waitcnt lgkmcnt(6)
	global_store_short v[0:1], v6, off
	v_lshl_add_u64 v[0:1], v[4:5], 1, s[14:15]
	v_add_u32_e32 v4, v18, v56
	;; [unrolled: 4-line block ×4, first 2 shown]
	s_waitcnt lgkmcnt(3)
	global_store_short v[0:1], v15, off
	v_lshl_add_u64 v[0:1], v[4:5], 1, s[14:15]
	s_waitcnt lgkmcnt(2)
	global_store_short v[0:1], v24, off
	ds_read_b32 v0, v65
	ds_read_b32 v2, v67
	;; [unrolled: 1-line block ×8, first 2 shown]
	s_waitcnt lgkmcnt(7)
	v_add_u32_e32 v4, v0, v51
	v_lshl_add_u64 v[0:1], v[4:5], 1, s[14:15]
	s_waitcnt lgkmcnt(6)
	v_add_u32_e32 v4, v2, v77
	global_store_short v[0:1], v25, off
	v_lshl_add_u64 v[0:1], v[4:5], 1, s[14:15]
	s_waitcnt lgkmcnt(5)
	v_add_u32_e32 v4, v6, v79
	global_store_short v[0:1], v26, off
	v_lshl_add_u64 v[0:1], v[4:5], 1, s[14:15]
	s_waitcnt lgkmcnt(4)
	v_add_u32_e32 v4, v7, v75
	ds_read_u16 v2, v12 offset:10496
	ds_read_u16 v6, v12 offset:11520
	;; [unrolled: 1-line block ×8, first 2 shown]
	s_waitcnt lgkmcnt(7)
	global_store_short v[0:1], v2, off
	v_lshl_add_u64 v[0:1], v[4:5], 1, s[14:15]
	v_add_u32_e32 v4, v13, v76
	s_waitcnt lgkmcnt(6)
	global_store_short v[0:1], v6, off
	v_lshl_add_u64 v[0:1], v[4:5], 1, s[14:15]
	v_add_u32_e32 v4, v15, v78
	;; [unrolled: 4-line block ×6, first 2 shown]
	ds_read_u16 v2, v12 offset:18688
	s_waitcnt lgkmcnt(2)
	global_store_short v[0:1], v25, off
	v_lshl_add_u64 v[0:1], v[4:5], 1, s[14:15]
	s_waitcnt lgkmcnt(1)
	global_store_short v[0:1], v26, off
	v_add_u32_e32 v4, v23, v85
	ds_read_u16 v6, v12 offset:19712
	ds_read_u16 v7, v12 offset:20736
	;; [unrolled: 1-line block ×3, first 2 shown]
	v_lshl_add_u64 v[0:1], v[4:5], 1, s[14:15]
	v_add_u32_e32 v4, v11, v84
	s_add_i32 s20, s20, -1
	s_waitcnt lgkmcnt(3)
	global_store_short v[0:1], v2, off
	v_lshl_add_u64 v[0:1], v[4:5], 1, s[14:15]
	v_add_u32_e32 v4, v10, v86
	s_cmp_eq_u32 s33, s20
	s_waitcnt lgkmcnt(2)
	global_store_short v[0:1], v6, off
	v_lshl_add_u64 v[0:1], v[4:5], 1, s[14:15]
	v_add_u32_e32 v4, v9, v87
	s_cselect_b64 s[0:1], -1, 0
	s_xor_b64 s[2:3], vcc, -1
	s_waitcnt lgkmcnt(1)
	global_store_short v[0:1], v7, off
	v_lshl_add_u64 v[0:1], v[4:5], 1, s[14:15]
	s_and_b64 s[0:1], s[2:3], s[0:1]
	s_waitcnt lgkmcnt(0)
	global_store_short v[0:1], v8, off
	s_and_saveexec_b64 s[2:3], s[0:1]
	s_cbranch_execz .LBB1643_383
; %bb.382:
	ds_read_b32 v0, v19
	v_readlane_b32 s0, v117, 0
	v_readlane_b32 s2, v117, 2
	v_readlane_b32 s3, v117, 3
	v_readlane_b32 s1, v117, 1
	s_waitcnt lgkmcnt(0)
	v_add3_u32 v0, v3, v14, v0
	s_nop 1
	global_store_dword v19, v0, s[2:3]
.LBB1643_383:
	s_endpgm
.LBB1643_384:
	s_or_b64 exec, exec, s[2:3]
	v_cmp_gt_u32_e64 s[0:1], s4, v66
	s_and_saveexec_b64 s[2:3], s[0:1]
	s_cbranch_execz .LBB1643_359
.LBB1643_385:
	s_waitcnt vmcnt(20)
	ds_write_b16 v59, v112 offset:256
	s_or_b64 exec, exec, s[2:3]
	v_cmp_gt_u32_e64 s[0:1], s4, v62
	s_and_saveexec_b64 s[2:3], s[0:1]
	s_cbranch_execnz .LBB1643_360
.LBB1643_386:
	s_or_b64 exec, exec, s[2:3]
	v_cmp_gt_u32_e64 s[0:1], s4, v57
	s_and_saveexec_b64 s[2:3], s[0:1]
	s_cbranch_execz .LBB1643_361
.LBB1643_387:
	s_waitcnt vmcnt(18)
	ds_write_b16 v54, v110 offset:256
	s_or_b64 exec, exec, s[2:3]
	v_cmp_gt_u32_e64 s[0:1], s4, v52
	s_and_saveexec_b64 s[2:3], s[0:1]
	s_cbranch_execnz .LBB1643_362
.LBB1643_388:
	s_or_b64 exec, exec, s[2:3]
	v_cmp_gt_u32_e64 s[0:1], s4, v47
	s_and_saveexec_b64 s[2:3], s[0:1]
	s_cbranch_execz .LBB1643_363
.LBB1643_389:
	s_waitcnt vmcnt(16)
	ds_write_b16 v49, v108 offset:256
	s_or_b64 exec, exec, s[2:3]
	v_cmp_gt_u32_e64 s[0:1], s4, v42
	s_and_saveexec_b64 s[2:3], s[0:1]
	s_cbranch_execnz .LBB1643_364
.LBB1643_390:
	s_or_b64 exec, exec, s[2:3]
	v_cmp_gt_u32_e64 s[0:1], s4, v40
	s_and_saveexec_b64 s[2:3], s[0:1]
	s_cbranch_execz .LBB1643_365
.LBB1643_391:
	s_waitcnt vmcnt(14)
	ds_write_b16 v44, v106 offset:256
	s_or_b64 exec, exec, s[2:3]
	v_cmp_gt_u32_e64 s[0:1], s4, v37
	s_and_saveexec_b64 s[2:3], s[0:1]
	s_cbranch_execnz .LBB1643_366
.LBB1643_392:
	s_or_b64 exec, exec, s[2:3]
	v_cmp_gt_u32_e64 s[0:1], s4, v35
	s_and_saveexec_b64 s[2:3], s[0:1]
	s_cbranch_execz .LBB1643_367
.LBB1643_393:
	s_waitcnt vmcnt(12)
	ds_write_b16 v41, v104 offset:256
	s_or_b64 exec, exec, s[2:3]
	v_cmp_gt_u32_e64 s[0:1], s4, v33
	s_and_saveexec_b64 s[2:3], s[0:1]
	s_cbranch_execnz .LBB1643_368
.LBB1643_394:
	s_or_b64 exec, exec, s[2:3]
	v_cmp_gt_u32_e64 s[0:1], s4, v32
	s_and_saveexec_b64 s[2:3], s[0:1]
	s_cbranch_execz .LBB1643_369
.LBB1643_395:
	s_waitcnt vmcnt(10)
	ds_write_b16 v38, v102 offset:256
	s_or_b64 exec, exec, s[2:3]
	v_cmp_gt_u32_e64 s[0:1], s4, v29
	s_and_saveexec_b64 s[2:3], s[0:1]
	s_cbranch_execnz .LBB1643_370
.LBB1643_396:
	s_or_b64 exec, exec, s[2:3]
	v_cmp_gt_u32_e64 s[0:1], s4, v27
	s_and_saveexec_b64 s[2:3], s[0:1]
	s_cbranch_execz .LBB1643_371
.LBB1643_397:
	s_waitcnt vmcnt(8)
	ds_write_b16 v34, v100 offset:256
	s_or_b64 exec, exec, s[2:3]
	v_cmp_gt_u32_e64 s[0:1], s4, v25
	s_and_saveexec_b64 s[2:3], s[0:1]
	s_cbranch_execnz .LBB1643_372
.LBB1643_398:
	s_or_b64 exec, exec, s[2:3]
	v_cmp_gt_u32_e64 s[0:1], s4, v23
	s_and_saveexec_b64 s[2:3], s[0:1]
	s_cbranch_execz .LBB1643_373
.LBB1643_399:
	s_waitcnt vmcnt(6)
	ds_write_b16 v30, v98 offset:256
	s_or_b64 exec, exec, s[2:3]
	v_cmp_gt_u32_e64 s[0:1], s4, v21
	s_and_saveexec_b64 s[2:3], s[0:1]
	s_cbranch_execnz .LBB1643_374
.LBB1643_400:
	s_or_b64 exec, exec, s[2:3]
	v_cmp_gt_u32_e64 s[0:1], s4, v18
	s_and_saveexec_b64 s[2:3], s[0:1]
	s_cbranch_execz .LBB1643_375
.LBB1643_401:
	s_waitcnt vmcnt(4)
	ds_write_b16 v26, v96 offset:256
	s_or_b64 exec, exec, s[2:3]
	v_cmp_gt_u32_e64 s[0:1], s4, v17
	s_and_saveexec_b64 s[2:3], s[0:1]
	s_cbranch_execnz .LBB1643_376
.LBB1643_402:
	s_or_b64 exec, exec, s[2:3]
	v_cmp_gt_u32_e64 s[0:1], s4, v16
	s_and_saveexec_b64 s[2:3], s[0:1]
	s_cbranch_execz .LBB1643_377
.LBB1643_403:
	s_waitcnt vmcnt(2)
	ds_write_b16 v22, v6 offset:256
	s_or_b64 exec, exec, s[2:3]
	v_cmp_gt_u32_e64 s[0:1], s4, v13
	s_and_saveexec_b64 s[2:3], s[0:1]
	s_cbranch_execnz .LBB1643_378
	s_branch .LBB1643_379
	.section	.rodata,"a",@progbits
	.p2align	6, 0x0
	.amdhsa_kernel _ZN7rocprim17ROCPRIM_400000_NS6detail17trampoline_kernelINS0_14default_configENS1_35radix_sort_onesweep_config_selectorIssEEZZNS1_29radix_sort_onesweep_iterationIS3_Lb0EN6thrust23THRUST_200600_302600_NS6detail15normal_iteratorINS8_10device_ptrIsEEEESD_SD_SD_jNS0_19identity_decomposerENS1_16block_id_wrapperIjLb1EEEEE10hipError_tT1_PNSt15iterator_traitsISI_E10value_typeET2_T3_PNSJ_ISO_E10value_typeET4_T5_PST_SU_PNS1_23onesweep_lookback_stateEbbT6_jjT7_P12ihipStream_tbENKUlT_T0_SI_SN_E_clISD_SD_SD_SD_EEDaS11_S12_SI_SN_EUlS11_E_NS1_11comp_targetILNS1_3genE6ELNS1_11target_archE950ELNS1_3gpuE13ELNS1_3repE0EEENS1_47radix_sort_onesweep_sort_config_static_selectorELNS0_4arch9wavefront6targetE1EEEvSI_
		.amdhsa_group_segment_fixed_size 22792
		.amdhsa_private_segment_fixed_size 0
		.amdhsa_kernarg_size 344
		.amdhsa_user_sgpr_count 2
		.amdhsa_user_sgpr_dispatch_ptr 0
		.amdhsa_user_sgpr_queue_ptr 0
		.amdhsa_user_sgpr_kernarg_segment_ptr 1
		.amdhsa_user_sgpr_dispatch_id 0
		.amdhsa_user_sgpr_kernarg_preload_length 0
		.amdhsa_user_sgpr_kernarg_preload_offset 0
		.amdhsa_user_sgpr_private_segment_size 0
		.amdhsa_uses_dynamic_stack 0
		.amdhsa_enable_private_segment 0
		.amdhsa_system_sgpr_workgroup_id_x 1
		.amdhsa_system_sgpr_workgroup_id_y 0
		.amdhsa_system_sgpr_workgroup_id_z 0
		.amdhsa_system_sgpr_workgroup_info 0
		.amdhsa_system_vgpr_workitem_id 2
		.amdhsa_next_free_vgpr 118
		.amdhsa_next_free_sgpr 100
		.amdhsa_accum_offset 120
		.amdhsa_reserve_vcc 1
		.amdhsa_float_round_mode_32 0
		.amdhsa_float_round_mode_16_64 0
		.amdhsa_float_denorm_mode_32 3
		.amdhsa_float_denorm_mode_16_64 3
		.amdhsa_dx10_clamp 1
		.amdhsa_ieee_mode 1
		.amdhsa_fp16_overflow 0
		.amdhsa_tg_split 0
		.amdhsa_exception_fp_ieee_invalid_op 0
		.amdhsa_exception_fp_denorm_src 0
		.amdhsa_exception_fp_ieee_div_zero 0
		.amdhsa_exception_fp_ieee_overflow 0
		.amdhsa_exception_fp_ieee_underflow 0
		.amdhsa_exception_fp_ieee_inexact 0
		.amdhsa_exception_int_div_zero 0
	.end_amdhsa_kernel
	.section	.text._ZN7rocprim17ROCPRIM_400000_NS6detail17trampoline_kernelINS0_14default_configENS1_35radix_sort_onesweep_config_selectorIssEEZZNS1_29radix_sort_onesweep_iterationIS3_Lb0EN6thrust23THRUST_200600_302600_NS6detail15normal_iteratorINS8_10device_ptrIsEEEESD_SD_SD_jNS0_19identity_decomposerENS1_16block_id_wrapperIjLb1EEEEE10hipError_tT1_PNSt15iterator_traitsISI_E10value_typeET2_T3_PNSJ_ISO_E10value_typeET4_T5_PST_SU_PNS1_23onesweep_lookback_stateEbbT6_jjT7_P12ihipStream_tbENKUlT_T0_SI_SN_E_clISD_SD_SD_SD_EEDaS11_S12_SI_SN_EUlS11_E_NS1_11comp_targetILNS1_3genE6ELNS1_11target_archE950ELNS1_3gpuE13ELNS1_3repE0EEENS1_47radix_sort_onesweep_sort_config_static_selectorELNS0_4arch9wavefront6targetE1EEEvSI_,"axG",@progbits,_ZN7rocprim17ROCPRIM_400000_NS6detail17trampoline_kernelINS0_14default_configENS1_35radix_sort_onesweep_config_selectorIssEEZZNS1_29radix_sort_onesweep_iterationIS3_Lb0EN6thrust23THRUST_200600_302600_NS6detail15normal_iteratorINS8_10device_ptrIsEEEESD_SD_SD_jNS0_19identity_decomposerENS1_16block_id_wrapperIjLb1EEEEE10hipError_tT1_PNSt15iterator_traitsISI_E10value_typeET2_T3_PNSJ_ISO_E10value_typeET4_T5_PST_SU_PNS1_23onesweep_lookback_stateEbbT6_jjT7_P12ihipStream_tbENKUlT_T0_SI_SN_E_clISD_SD_SD_SD_EEDaS11_S12_SI_SN_EUlS11_E_NS1_11comp_targetILNS1_3genE6ELNS1_11target_archE950ELNS1_3gpuE13ELNS1_3repE0EEENS1_47radix_sort_onesweep_sort_config_static_selectorELNS0_4arch9wavefront6targetE1EEEvSI_,comdat
.Lfunc_end1643:
	.size	_ZN7rocprim17ROCPRIM_400000_NS6detail17trampoline_kernelINS0_14default_configENS1_35radix_sort_onesweep_config_selectorIssEEZZNS1_29radix_sort_onesweep_iterationIS3_Lb0EN6thrust23THRUST_200600_302600_NS6detail15normal_iteratorINS8_10device_ptrIsEEEESD_SD_SD_jNS0_19identity_decomposerENS1_16block_id_wrapperIjLb1EEEEE10hipError_tT1_PNSt15iterator_traitsISI_E10value_typeET2_T3_PNSJ_ISO_E10value_typeET4_T5_PST_SU_PNS1_23onesweep_lookback_stateEbbT6_jjT7_P12ihipStream_tbENKUlT_T0_SI_SN_E_clISD_SD_SD_SD_EEDaS11_S12_SI_SN_EUlS11_E_NS1_11comp_targetILNS1_3genE6ELNS1_11target_archE950ELNS1_3gpuE13ELNS1_3repE0EEENS1_47radix_sort_onesweep_sort_config_static_selectorELNS0_4arch9wavefront6targetE1EEEvSI_, .Lfunc_end1643-_ZN7rocprim17ROCPRIM_400000_NS6detail17trampoline_kernelINS0_14default_configENS1_35radix_sort_onesweep_config_selectorIssEEZZNS1_29radix_sort_onesweep_iterationIS3_Lb0EN6thrust23THRUST_200600_302600_NS6detail15normal_iteratorINS8_10device_ptrIsEEEESD_SD_SD_jNS0_19identity_decomposerENS1_16block_id_wrapperIjLb1EEEEE10hipError_tT1_PNSt15iterator_traitsISI_E10value_typeET2_T3_PNSJ_ISO_E10value_typeET4_T5_PST_SU_PNS1_23onesweep_lookback_stateEbbT6_jjT7_P12ihipStream_tbENKUlT_T0_SI_SN_E_clISD_SD_SD_SD_EEDaS11_S12_SI_SN_EUlS11_E_NS1_11comp_targetILNS1_3genE6ELNS1_11target_archE950ELNS1_3gpuE13ELNS1_3repE0EEENS1_47radix_sort_onesweep_sort_config_static_selectorELNS0_4arch9wavefront6targetE1EEEvSI_
                                        ; -- End function
	.set _ZN7rocprim17ROCPRIM_400000_NS6detail17trampoline_kernelINS0_14default_configENS1_35radix_sort_onesweep_config_selectorIssEEZZNS1_29radix_sort_onesweep_iterationIS3_Lb0EN6thrust23THRUST_200600_302600_NS6detail15normal_iteratorINS8_10device_ptrIsEEEESD_SD_SD_jNS0_19identity_decomposerENS1_16block_id_wrapperIjLb1EEEEE10hipError_tT1_PNSt15iterator_traitsISI_E10value_typeET2_T3_PNSJ_ISO_E10value_typeET4_T5_PST_SU_PNS1_23onesweep_lookback_stateEbbT6_jjT7_P12ihipStream_tbENKUlT_T0_SI_SN_E_clISD_SD_SD_SD_EEDaS11_S12_SI_SN_EUlS11_E_NS1_11comp_targetILNS1_3genE6ELNS1_11target_archE950ELNS1_3gpuE13ELNS1_3repE0EEENS1_47radix_sort_onesweep_sort_config_static_selectorELNS0_4arch9wavefront6targetE1EEEvSI_.num_vgpr, 118
	.set _ZN7rocprim17ROCPRIM_400000_NS6detail17trampoline_kernelINS0_14default_configENS1_35radix_sort_onesweep_config_selectorIssEEZZNS1_29radix_sort_onesweep_iterationIS3_Lb0EN6thrust23THRUST_200600_302600_NS6detail15normal_iteratorINS8_10device_ptrIsEEEESD_SD_SD_jNS0_19identity_decomposerENS1_16block_id_wrapperIjLb1EEEEE10hipError_tT1_PNSt15iterator_traitsISI_E10value_typeET2_T3_PNSJ_ISO_E10value_typeET4_T5_PST_SU_PNS1_23onesweep_lookback_stateEbbT6_jjT7_P12ihipStream_tbENKUlT_T0_SI_SN_E_clISD_SD_SD_SD_EEDaS11_S12_SI_SN_EUlS11_E_NS1_11comp_targetILNS1_3genE6ELNS1_11target_archE950ELNS1_3gpuE13ELNS1_3repE0EEENS1_47radix_sort_onesweep_sort_config_static_selectorELNS0_4arch9wavefront6targetE1EEEvSI_.num_agpr, 0
	.set _ZN7rocprim17ROCPRIM_400000_NS6detail17trampoline_kernelINS0_14default_configENS1_35radix_sort_onesweep_config_selectorIssEEZZNS1_29radix_sort_onesweep_iterationIS3_Lb0EN6thrust23THRUST_200600_302600_NS6detail15normal_iteratorINS8_10device_ptrIsEEEESD_SD_SD_jNS0_19identity_decomposerENS1_16block_id_wrapperIjLb1EEEEE10hipError_tT1_PNSt15iterator_traitsISI_E10value_typeET2_T3_PNSJ_ISO_E10value_typeET4_T5_PST_SU_PNS1_23onesweep_lookback_stateEbbT6_jjT7_P12ihipStream_tbENKUlT_T0_SI_SN_E_clISD_SD_SD_SD_EEDaS11_S12_SI_SN_EUlS11_E_NS1_11comp_targetILNS1_3genE6ELNS1_11target_archE950ELNS1_3gpuE13ELNS1_3repE0EEENS1_47radix_sort_onesweep_sort_config_static_selectorELNS0_4arch9wavefront6targetE1EEEvSI_.numbered_sgpr, 100
	.set _ZN7rocprim17ROCPRIM_400000_NS6detail17trampoline_kernelINS0_14default_configENS1_35radix_sort_onesweep_config_selectorIssEEZZNS1_29radix_sort_onesweep_iterationIS3_Lb0EN6thrust23THRUST_200600_302600_NS6detail15normal_iteratorINS8_10device_ptrIsEEEESD_SD_SD_jNS0_19identity_decomposerENS1_16block_id_wrapperIjLb1EEEEE10hipError_tT1_PNSt15iterator_traitsISI_E10value_typeET2_T3_PNSJ_ISO_E10value_typeET4_T5_PST_SU_PNS1_23onesweep_lookback_stateEbbT6_jjT7_P12ihipStream_tbENKUlT_T0_SI_SN_E_clISD_SD_SD_SD_EEDaS11_S12_SI_SN_EUlS11_E_NS1_11comp_targetILNS1_3genE6ELNS1_11target_archE950ELNS1_3gpuE13ELNS1_3repE0EEENS1_47radix_sort_onesweep_sort_config_static_selectorELNS0_4arch9wavefront6targetE1EEEvSI_.num_named_barrier, 0
	.set _ZN7rocprim17ROCPRIM_400000_NS6detail17trampoline_kernelINS0_14default_configENS1_35radix_sort_onesweep_config_selectorIssEEZZNS1_29radix_sort_onesweep_iterationIS3_Lb0EN6thrust23THRUST_200600_302600_NS6detail15normal_iteratorINS8_10device_ptrIsEEEESD_SD_SD_jNS0_19identity_decomposerENS1_16block_id_wrapperIjLb1EEEEE10hipError_tT1_PNSt15iterator_traitsISI_E10value_typeET2_T3_PNSJ_ISO_E10value_typeET4_T5_PST_SU_PNS1_23onesweep_lookback_stateEbbT6_jjT7_P12ihipStream_tbENKUlT_T0_SI_SN_E_clISD_SD_SD_SD_EEDaS11_S12_SI_SN_EUlS11_E_NS1_11comp_targetILNS1_3genE6ELNS1_11target_archE950ELNS1_3gpuE13ELNS1_3repE0EEENS1_47radix_sort_onesweep_sort_config_static_selectorELNS0_4arch9wavefront6targetE1EEEvSI_.private_seg_size, 0
	.set _ZN7rocprim17ROCPRIM_400000_NS6detail17trampoline_kernelINS0_14default_configENS1_35radix_sort_onesweep_config_selectorIssEEZZNS1_29radix_sort_onesweep_iterationIS3_Lb0EN6thrust23THRUST_200600_302600_NS6detail15normal_iteratorINS8_10device_ptrIsEEEESD_SD_SD_jNS0_19identity_decomposerENS1_16block_id_wrapperIjLb1EEEEE10hipError_tT1_PNSt15iterator_traitsISI_E10value_typeET2_T3_PNSJ_ISO_E10value_typeET4_T5_PST_SU_PNS1_23onesweep_lookback_stateEbbT6_jjT7_P12ihipStream_tbENKUlT_T0_SI_SN_E_clISD_SD_SD_SD_EEDaS11_S12_SI_SN_EUlS11_E_NS1_11comp_targetILNS1_3genE6ELNS1_11target_archE950ELNS1_3gpuE13ELNS1_3repE0EEENS1_47radix_sort_onesweep_sort_config_static_selectorELNS0_4arch9wavefront6targetE1EEEvSI_.uses_vcc, 1
	.set _ZN7rocprim17ROCPRIM_400000_NS6detail17trampoline_kernelINS0_14default_configENS1_35radix_sort_onesweep_config_selectorIssEEZZNS1_29radix_sort_onesweep_iterationIS3_Lb0EN6thrust23THRUST_200600_302600_NS6detail15normal_iteratorINS8_10device_ptrIsEEEESD_SD_SD_jNS0_19identity_decomposerENS1_16block_id_wrapperIjLb1EEEEE10hipError_tT1_PNSt15iterator_traitsISI_E10value_typeET2_T3_PNSJ_ISO_E10value_typeET4_T5_PST_SU_PNS1_23onesweep_lookback_stateEbbT6_jjT7_P12ihipStream_tbENKUlT_T0_SI_SN_E_clISD_SD_SD_SD_EEDaS11_S12_SI_SN_EUlS11_E_NS1_11comp_targetILNS1_3genE6ELNS1_11target_archE950ELNS1_3gpuE13ELNS1_3repE0EEENS1_47radix_sort_onesweep_sort_config_static_selectorELNS0_4arch9wavefront6targetE1EEEvSI_.uses_flat_scratch, 0
	.set _ZN7rocprim17ROCPRIM_400000_NS6detail17trampoline_kernelINS0_14default_configENS1_35radix_sort_onesweep_config_selectorIssEEZZNS1_29radix_sort_onesweep_iterationIS3_Lb0EN6thrust23THRUST_200600_302600_NS6detail15normal_iteratorINS8_10device_ptrIsEEEESD_SD_SD_jNS0_19identity_decomposerENS1_16block_id_wrapperIjLb1EEEEE10hipError_tT1_PNSt15iterator_traitsISI_E10value_typeET2_T3_PNSJ_ISO_E10value_typeET4_T5_PST_SU_PNS1_23onesweep_lookback_stateEbbT6_jjT7_P12ihipStream_tbENKUlT_T0_SI_SN_E_clISD_SD_SD_SD_EEDaS11_S12_SI_SN_EUlS11_E_NS1_11comp_targetILNS1_3genE6ELNS1_11target_archE950ELNS1_3gpuE13ELNS1_3repE0EEENS1_47radix_sort_onesweep_sort_config_static_selectorELNS0_4arch9wavefront6targetE1EEEvSI_.has_dyn_sized_stack, 0
	.set _ZN7rocprim17ROCPRIM_400000_NS6detail17trampoline_kernelINS0_14default_configENS1_35radix_sort_onesweep_config_selectorIssEEZZNS1_29radix_sort_onesweep_iterationIS3_Lb0EN6thrust23THRUST_200600_302600_NS6detail15normal_iteratorINS8_10device_ptrIsEEEESD_SD_SD_jNS0_19identity_decomposerENS1_16block_id_wrapperIjLb1EEEEE10hipError_tT1_PNSt15iterator_traitsISI_E10value_typeET2_T3_PNSJ_ISO_E10value_typeET4_T5_PST_SU_PNS1_23onesweep_lookback_stateEbbT6_jjT7_P12ihipStream_tbENKUlT_T0_SI_SN_E_clISD_SD_SD_SD_EEDaS11_S12_SI_SN_EUlS11_E_NS1_11comp_targetILNS1_3genE6ELNS1_11target_archE950ELNS1_3gpuE13ELNS1_3repE0EEENS1_47radix_sort_onesweep_sort_config_static_selectorELNS0_4arch9wavefront6targetE1EEEvSI_.has_recursion, 0
	.set _ZN7rocprim17ROCPRIM_400000_NS6detail17trampoline_kernelINS0_14default_configENS1_35radix_sort_onesweep_config_selectorIssEEZZNS1_29radix_sort_onesweep_iterationIS3_Lb0EN6thrust23THRUST_200600_302600_NS6detail15normal_iteratorINS8_10device_ptrIsEEEESD_SD_SD_jNS0_19identity_decomposerENS1_16block_id_wrapperIjLb1EEEEE10hipError_tT1_PNSt15iterator_traitsISI_E10value_typeET2_T3_PNSJ_ISO_E10value_typeET4_T5_PST_SU_PNS1_23onesweep_lookback_stateEbbT6_jjT7_P12ihipStream_tbENKUlT_T0_SI_SN_E_clISD_SD_SD_SD_EEDaS11_S12_SI_SN_EUlS11_E_NS1_11comp_targetILNS1_3genE6ELNS1_11target_archE950ELNS1_3gpuE13ELNS1_3repE0EEENS1_47radix_sort_onesweep_sort_config_static_selectorELNS0_4arch9wavefront6targetE1EEEvSI_.has_indirect_call, 0
	.section	.AMDGPU.csdata,"",@progbits
; Kernel info:
; codeLenInByte = 30492
; TotalNumSgprs: 106
; NumVgprs: 118
; NumAgprs: 0
; TotalNumVgprs: 118
; ScratchSize: 0
; MemoryBound: 0
; FloatMode: 240
; IeeeMode: 1
; LDSByteSize: 22792 bytes/workgroup (compile time only)
; SGPRBlocks: 13
; VGPRBlocks: 14
; NumSGPRsForWavesPerEU: 106
; NumVGPRsForWavesPerEU: 118
; AccumOffset: 120
; Occupancy: 4
; WaveLimiterHint : 1
; COMPUTE_PGM_RSRC2:SCRATCH_EN: 0
; COMPUTE_PGM_RSRC2:USER_SGPR: 2
; COMPUTE_PGM_RSRC2:TRAP_HANDLER: 0
; COMPUTE_PGM_RSRC2:TGID_X_EN: 1
; COMPUTE_PGM_RSRC2:TGID_Y_EN: 0
; COMPUTE_PGM_RSRC2:TGID_Z_EN: 0
; COMPUTE_PGM_RSRC2:TIDIG_COMP_CNT: 2
; COMPUTE_PGM_RSRC3_GFX90A:ACCUM_OFFSET: 29
; COMPUTE_PGM_RSRC3_GFX90A:TG_SPLIT: 0
	.section	.text._ZN7rocprim17ROCPRIM_400000_NS6detail17trampoline_kernelINS0_14default_configENS1_35radix_sort_onesweep_config_selectorIssEEZZNS1_29radix_sort_onesweep_iterationIS3_Lb0EN6thrust23THRUST_200600_302600_NS6detail15normal_iteratorINS8_10device_ptrIsEEEESD_SD_SD_jNS0_19identity_decomposerENS1_16block_id_wrapperIjLb1EEEEE10hipError_tT1_PNSt15iterator_traitsISI_E10value_typeET2_T3_PNSJ_ISO_E10value_typeET4_T5_PST_SU_PNS1_23onesweep_lookback_stateEbbT6_jjT7_P12ihipStream_tbENKUlT_T0_SI_SN_E_clISD_SD_SD_SD_EEDaS11_S12_SI_SN_EUlS11_E_NS1_11comp_targetILNS1_3genE5ELNS1_11target_archE942ELNS1_3gpuE9ELNS1_3repE0EEENS1_47radix_sort_onesweep_sort_config_static_selectorELNS0_4arch9wavefront6targetE1EEEvSI_,"axG",@progbits,_ZN7rocprim17ROCPRIM_400000_NS6detail17trampoline_kernelINS0_14default_configENS1_35radix_sort_onesweep_config_selectorIssEEZZNS1_29radix_sort_onesweep_iterationIS3_Lb0EN6thrust23THRUST_200600_302600_NS6detail15normal_iteratorINS8_10device_ptrIsEEEESD_SD_SD_jNS0_19identity_decomposerENS1_16block_id_wrapperIjLb1EEEEE10hipError_tT1_PNSt15iterator_traitsISI_E10value_typeET2_T3_PNSJ_ISO_E10value_typeET4_T5_PST_SU_PNS1_23onesweep_lookback_stateEbbT6_jjT7_P12ihipStream_tbENKUlT_T0_SI_SN_E_clISD_SD_SD_SD_EEDaS11_S12_SI_SN_EUlS11_E_NS1_11comp_targetILNS1_3genE5ELNS1_11target_archE942ELNS1_3gpuE9ELNS1_3repE0EEENS1_47radix_sort_onesweep_sort_config_static_selectorELNS0_4arch9wavefront6targetE1EEEvSI_,comdat
	.protected	_ZN7rocprim17ROCPRIM_400000_NS6detail17trampoline_kernelINS0_14default_configENS1_35radix_sort_onesweep_config_selectorIssEEZZNS1_29radix_sort_onesweep_iterationIS3_Lb0EN6thrust23THRUST_200600_302600_NS6detail15normal_iteratorINS8_10device_ptrIsEEEESD_SD_SD_jNS0_19identity_decomposerENS1_16block_id_wrapperIjLb1EEEEE10hipError_tT1_PNSt15iterator_traitsISI_E10value_typeET2_T3_PNSJ_ISO_E10value_typeET4_T5_PST_SU_PNS1_23onesweep_lookback_stateEbbT6_jjT7_P12ihipStream_tbENKUlT_T0_SI_SN_E_clISD_SD_SD_SD_EEDaS11_S12_SI_SN_EUlS11_E_NS1_11comp_targetILNS1_3genE5ELNS1_11target_archE942ELNS1_3gpuE9ELNS1_3repE0EEENS1_47radix_sort_onesweep_sort_config_static_selectorELNS0_4arch9wavefront6targetE1EEEvSI_ ; -- Begin function _ZN7rocprim17ROCPRIM_400000_NS6detail17trampoline_kernelINS0_14default_configENS1_35radix_sort_onesweep_config_selectorIssEEZZNS1_29radix_sort_onesweep_iterationIS3_Lb0EN6thrust23THRUST_200600_302600_NS6detail15normal_iteratorINS8_10device_ptrIsEEEESD_SD_SD_jNS0_19identity_decomposerENS1_16block_id_wrapperIjLb1EEEEE10hipError_tT1_PNSt15iterator_traitsISI_E10value_typeET2_T3_PNSJ_ISO_E10value_typeET4_T5_PST_SU_PNS1_23onesweep_lookback_stateEbbT6_jjT7_P12ihipStream_tbENKUlT_T0_SI_SN_E_clISD_SD_SD_SD_EEDaS11_S12_SI_SN_EUlS11_E_NS1_11comp_targetILNS1_3genE5ELNS1_11target_archE942ELNS1_3gpuE9ELNS1_3repE0EEENS1_47radix_sort_onesweep_sort_config_static_selectorELNS0_4arch9wavefront6targetE1EEEvSI_
	.globl	_ZN7rocprim17ROCPRIM_400000_NS6detail17trampoline_kernelINS0_14default_configENS1_35radix_sort_onesweep_config_selectorIssEEZZNS1_29radix_sort_onesweep_iterationIS3_Lb0EN6thrust23THRUST_200600_302600_NS6detail15normal_iteratorINS8_10device_ptrIsEEEESD_SD_SD_jNS0_19identity_decomposerENS1_16block_id_wrapperIjLb1EEEEE10hipError_tT1_PNSt15iterator_traitsISI_E10value_typeET2_T3_PNSJ_ISO_E10value_typeET4_T5_PST_SU_PNS1_23onesweep_lookback_stateEbbT6_jjT7_P12ihipStream_tbENKUlT_T0_SI_SN_E_clISD_SD_SD_SD_EEDaS11_S12_SI_SN_EUlS11_E_NS1_11comp_targetILNS1_3genE5ELNS1_11target_archE942ELNS1_3gpuE9ELNS1_3repE0EEENS1_47radix_sort_onesweep_sort_config_static_selectorELNS0_4arch9wavefront6targetE1EEEvSI_
	.p2align	8
	.type	_ZN7rocprim17ROCPRIM_400000_NS6detail17trampoline_kernelINS0_14default_configENS1_35radix_sort_onesweep_config_selectorIssEEZZNS1_29radix_sort_onesweep_iterationIS3_Lb0EN6thrust23THRUST_200600_302600_NS6detail15normal_iteratorINS8_10device_ptrIsEEEESD_SD_SD_jNS0_19identity_decomposerENS1_16block_id_wrapperIjLb1EEEEE10hipError_tT1_PNSt15iterator_traitsISI_E10value_typeET2_T3_PNSJ_ISO_E10value_typeET4_T5_PST_SU_PNS1_23onesweep_lookback_stateEbbT6_jjT7_P12ihipStream_tbENKUlT_T0_SI_SN_E_clISD_SD_SD_SD_EEDaS11_S12_SI_SN_EUlS11_E_NS1_11comp_targetILNS1_3genE5ELNS1_11target_archE942ELNS1_3gpuE9ELNS1_3repE0EEENS1_47radix_sort_onesweep_sort_config_static_selectorELNS0_4arch9wavefront6targetE1EEEvSI_,@function
_ZN7rocprim17ROCPRIM_400000_NS6detail17trampoline_kernelINS0_14default_configENS1_35radix_sort_onesweep_config_selectorIssEEZZNS1_29radix_sort_onesweep_iterationIS3_Lb0EN6thrust23THRUST_200600_302600_NS6detail15normal_iteratorINS8_10device_ptrIsEEEESD_SD_SD_jNS0_19identity_decomposerENS1_16block_id_wrapperIjLb1EEEEE10hipError_tT1_PNSt15iterator_traitsISI_E10value_typeET2_T3_PNSJ_ISO_E10value_typeET4_T5_PST_SU_PNS1_23onesweep_lookback_stateEbbT6_jjT7_P12ihipStream_tbENKUlT_T0_SI_SN_E_clISD_SD_SD_SD_EEDaS11_S12_SI_SN_EUlS11_E_NS1_11comp_targetILNS1_3genE5ELNS1_11target_archE942ELNS1_3gpuE9ELNS1_3repE0EEENS1_47radix_sort_onesweep_sort_config_static_selectorELNS0_4arch9wavefront6targetE1EEEvSI_: ; @_ZN7rocprim17ROCPRIM_400000_NS6detail17trampoline_kernelINS0_14default_configENS1_35radix_sort_onesweep_config_selectorIssEEZZNS1_29radix_sort_onesweep_iterationIS3_Lb0EN6thrust23THRUST_200600_302600_NS6detail15normal_iteratorINS8_10device_ptrIsEEEESD_SD_SD_jNS0_19identity_decomposerENS1_16block_id_wrapperIjLb1EEEEE10hipError_tT1_PNSt15iterator_traitsISI_E10value_typeET2_T3_PNSJ_ISO_E10value_typeET4_T5_PST_SU_PNS1_23onesweep_lookback_stateEbbT6_jjT7_P12ihipStream_tbENKUlT_T0_SI_SN_E_clISD_SD_SD_SD_EEDaS11_S12_SI_SN_EUlS11_E_NS1_11comp_targetILNS1_3genE5ELNS1_11target_archE942ELNS1_3gpuE9ELNS1_3repE0EEENS1_47radix_sort_onesweep_sort_config_static_selectorELNS0_4arch9wavefront6targetE1EEEvSI_
; %bb.0:
	.section	.rodata,"a",@progbits
	.p2align	6, 0x0
	.amdhsa_kernel _ZN7rocprim17ROCPRIM_400000_NS6detail17trampoline_kernelINS0_14default_configENS1_35radix_sort_onesweep_config_selectorIssEEZZNS1_29radix_sort_onesweep_iterationIS3_Lb0EN6thrust23THRUST_200600_302600_NS6detail15normal_iteratorINS8_10device_ptrIsEEEESD_SD_SD_jNS0_19identity_decomposerENS1_16block_id_wrapperIjLb1EEEEE10hipError_tT1_PNSt15iterator_traitsISI_E10value_typeET2_T3_PNSJ_ISO_E10value_typeET4_T5_PST_SU_PNS1_23onesweep_lookback_stateEbbT6_jjT7_P12ihipStream_tbENKUlT_T0_SI_SN_E_clISD_SD_SD_SD_EEDaS11_S12_SI_SN_EUlS11_E_NS1_11comp_targetILNS1_3genE5ELNS1_11target_archE942ELNS1_3gpuE9ELNS1_3repE0EEENS1_47radix_sort_onesweep_sort_config_static_selectorELNS0_4arch9wavefront6targetE1EEEvSI_
		.amdhsa_group_segment_fixed_size 0
		.amdhsa_private_segment_fixed_size 0
		.amdhsa_kernarg_size 88
		.amdhsa_user_sgpr_count 2
		.amdhsa_user_sgpr_dispatch_ptr 0
		.amdhsa_user_sgpr_queue_ptr 0
		.amdhsa_user_sgpr_kernarg_segment_ptr 1
		.amdhsa_user_sgpr_dispatch_id 0
		.amdhsa_user_sgpr_kernarg_preload_length 0
		.amdhsa_user_sgpr_kernarg_preload_offset 0
		.amdhsa_user_sgpr_private_segment_size 0
		.amdhsa_uses_dynamic_stack 0
		.amdhsa_enable_private_segment 0
		.amdhsa_system_sgpr_workgroup_id_x 1
		.amdhsa_system_sgpr_workgroup_id_y 0
		.amdhsa_system_sgpr_workgroup_id_z 0
		.amdhsa_system_sgpr_workgroup_info 0
		.amdhsa_system_vgpr_workitem_id 0
		.amdhsa_next_free_vgpr 1
		.amdhsa_next_free_sgpr 0
		.amdhsa_accum_offset 4
		.amdhsa_reserve_vcc 0
		.amdhsa_float_round_mode_32 0
		.amdhsa_float_round_mode_16_64 0
		.amdhsa_float_denorm_mode_32 3
		.amdhsa_float_denorm_mode_16_64 3
		.amdhsa_dx10_clamp 1
		.amdhsa_ieee_mode 1
		.amdhsa_fp16_overflow 0
		.amdhsa_tg_split 0
		.amdhsa_exception_fp_ieee_invalid_op 0
		.amdhsa_exception_fp_denorm_src 0
		.amdhsa_exception_fp_ieee_div_zero 0
		.amdhsa_exception_fp_ieee_overflow 0
		.amdhsa_exception_fp_ieee_underflow 0
		.amdhsa_exception_fp_ieee_inexact 0
		.amdhsa_exception_int_div_zero 0
	.end_amdhsa_kernel
	.section	.text._ZN7rocprim17ROCPRIM_400000_NS6detail17trampoline_kernelINS0_14default_configENS1_35radix_sort_onesweep_config_selectorIssEEZZNS1_29radix_sort_onesweep_iterationIS3_Lb0EN6thrust23THRUST_200600_302600_NS6detail15normal_iteratorINS8_10device_ptrIsEEEESD_SD_SD_jNS0_19identity_decomposerENS1_16block_id_wrapperIjLb1EEEEE10hipError_tT1_PNSt15iterator_traitsISI_E10value_typeET2_T3_PNSJ_ISO_E10value_typeET4_T5_PST_SU_PNS1_23onesweep_lookback_stateEbbT6_jjT7_P12ihipStream_tbENKUlT_T0_SI_SN_E_clISD_SD_SD_SD_EEDaS11_S12_SI_SN_EUlS11_E_NS1_11comp_targetILNS1_3genE5ELNS1_11target_archE942ELNS1_3gpuE9ELNS1_3repE0EEENS1_47radix_sort_onesweep_sort_config_static_selectorELNS0_4arch9wavefront6targetE1EEEvSI_,"axG",@progbits,_ZN7rocprim17ROCPRIM_400000_NS6detail17trampoline_kernelINS0_14default_configENS1_35radix_sort_onesweep_config_selectorIssEEZZNS1_29radix_sort_onesweep_iterationIS3_Lb0EN6thrust23THRUST_200600_302600_NS6detail15normal_iteratorINS8_10device_ptrIsEEEESD_SD_SD_jNS0_19identity_decomposerENS1_16block_id_wrapperIjLb1EEEEE10hipError_tT1_PNSt15iterator_traitsISI_E10value_typeET2_T3_PNSJ_ISO_E10value_typeET4_T5_PST_SU_PNS1_23onesweep_lookback_stateEbbT6_jjT7_P12ihipStream_tbENKUlT_T0_SI_SN_E_clISD_SD_SD_SD_EEDaS11_S12_SI_SN_EUlS11_E_NS1_11comp_targetILNS1_3genE5ELNS1_11target_archE942ELNS1_3gpuE9ELNS1_3repE0EEENS1_47radix_sort_onesweep_sort_config_static_selectorELNS0_4arch9wavefront6targetE1EEEvSI_,comdat
.Lfunc_end1644:
	.size	_ZN7rocprim17ROCPRIM_400000_NS6detail17trampoline_kernelINS0_14default_configENS1_35radix_sort_onesweep_config_selectorIssEEZZNS1_29radix_sort_onesweep_iterationIS3_Lb0EN6thrust23THRUST_200600_302600_NS6detail15normal_iteratorINS8_10device_ptrIsEEEESD_SD_SD_jNS0_19identity_decomposerENS1_16block_id_wrapperIjLb1EEEEE10hipError_tT1_PNSt15iterator_traitsISI_E10value_typeET2_T3_PNSJ_ISO_E10value_typeET4_T5_PST_SU_PNS1_23onesweep_lookback_stateEbbT6_jjT7_P12ihipStream_tbENKUlT_T0_SI_SN_E_clISD_SD_SD_SD_EEDaS11_S12_SI_SN_EUlS11_E_NS1_11comp_targetILNS1_3genE5ELNS1_11target_archE942ELNS1_3gpuE9ELNS1_3repE0EEENS1_47radix_sort_onesweep_sort_config_static_selectorELNS0_4arch9wavefront6targetE1EEEvSI_, .Lfunc_end1644-_ZN7rocprim17ROCPRIM_400000_NS6detail17trampoline_kernelINS0_14default_configENS1_35radix_sort_onesweep_config_selectorIssEEZZNS1_29radix_sort_onesweep_iterationIS3_Lb0EN6thrust23THRUST_200600_302600_NS6detail15normal_iteratorINS8_10device_ptrIsEEEESD_SD_SD_jNS0_19identity_decomposerENS1_16block_id_wrapperIjLb1EEEEE10hipError_tT1_PNSt15iterator_traitsISI_E10value_typeET2_T3_PNSJ_ISO_E10value_typeET4_T5_PST_SU_PNS1_23onesweep_lookback_stateEbbT6_jjT7_P12ihipStream_tbENKUlT_T0_SI_SN_E_clISD_SD_SD_SD_EEDaS11_S12_SI_SN_EUlS11_E_NS1_11comp_targetILNS1_3genE5ELNS1_11target_archE942ELNS1_3gpuE9ELNS1_3repE0EEENS1_47radix_sort_onesweep_sort_config_static_selectorELNS0_4arch9wavefront6targetE1EEEvSI_
                                        ; -- End function
	.set _ZN7rocprim17ROCPRIM_400000_NS6detail17trampoline_kernelINS0_14default_configENS1_35radix_sort_onesweep_config_selectorIssEEZZNS1_29radix_sort_onesweep_iterationIS3_Lb0EN6thrust23THRUST_200600_302600_NS6detail15normal_iteratorINS8_10device_ptrIsEEEESD_SD_SD_jNS0_19identity_decomposerENS1_16block_id_wrapperIjLb1EEEEE10hipError_tT1_PNSt15iterator_traitsISI_E10value_typeET2_T3_PNSJ_ISO_E10value_typeET4_T5_PST_SU_PNS1_23onesweep_lookback_stateEbbT6_jjT7_P12ihipStream_tbENKUlT_T0_SI_SN_E_clISD_SD_SD_SD_EEDaS11_S12_SI_SN_EUlS11_E_NS1_11comp_targetILNS1_3genE5ELNS1_11target_archE942ELNS1_3gpuE9ELNS1_3repE0EEENS1_47radix_sort_onesweep_sort_config_static_selectorELNS0_4arch9wavefront6targetE1EEEvSI_.num_vgpr, 0
	.set _ZN7rocprim17ROCPRIM_400000_NS6detail17trampoline_kernelINS0_14default_configENS1_35radix_sort_onesweep_config_selectorIssEEZZNS1_29radix_sort_onesweep_iterationIS3_Lb0EN6thrust23THRUST_200600_302600_NS6detail15normal_iteratorINS8_10device_ptrIsEEEESD_SD_SD_jNS0_19identity_decomposerENS1_16block_id_wrapperIjLb1EEEEE10hipError_tT1_PNSt15iterator_traitsISI_E10value_typeET2_T3_PNSJ_ISO_E10value_typeET4_T5_PST_SU_PNS1_23onesweep_lookback_stateEbbT6_jjT7_P12ihipStream_tbENKUlT_T0_SI_SN_E_clISD_SD_SD_SD_EEDaS11_S12_SI_SN_EUlS11_E_NS1_11comp_targetILNS1_3genE5ELNS1_11target_archE942ELNS1_3gpuE9ELNS1_3repE0EEENS1_47radix_sort_onesweep_sort_config_static_selectorELNS0_4arch9wavefront6targetE1EEEvSI_.num_agpr, 0
	.set _ZN7rocprim17ROCPRIM_400000_NS6detail17trampoline_kernelINS0_14default_configENS1_35radix_sort_onesweep_config_selectorIssEEZZNS1_29radix_sort_onesweep_iterationIS3_Lb0EN6thrust23THRUST_200600_302600_NS6detail15normal_iteratorINS8_10device_ptrIsEEEESD_SD_SD_jNS0_19identity_decomposerENS1_16block_id_wrapperIjLb1EEEEE10hipError_tT1_PNSt15iterator_traitsISI_E10value_typeET2_T3_PNSJ_ISO_E10value_typeET4_T5_PST_SU_PNS1_23onesweep_lookback_stateEbbT6_jjT7_P12ihipStream_tbENKUlT_T0_SI_SN_E_clISD_SD_SD_SD_EEDaS11_S12_SI_SN_EUlS11_E_NS1_11comp_targetILNS1_3genE5ELNS1_11target_archE942ELNS1_3gpuE9ELNS1_3repE0EEENS1_47radix_sort_onesweep_sort_config_static_selectorELNS0_4arch9wavefront6targetE1EEEvSI_.numbered_sgpr, 0
	.set _ZN7rocprim17ROCPRIM_400000_NS6detail17trampoline_kernelINS0_14default_configENS1_35radix_sort_onesweep_config_selectorIssEEZZNS1_29radix_sort_onesweep_iterationIS3_Lb0EN6thrust23THRUST_200600_302600_NS6detail15normal_iteratorINS8_10device_ptrIsEEEESD_SD_SD_jNS0_19identity_decomposerENS1_16block_id_wrapperIjLb1EEEEE10hipError_tT1_PNSt15iterator_traitsISI_E10value_typeET2_T3_PNSJ_ISO_E10value_typeET4_T5_PST_SU_PNS1_23onesweep_lookback_stateEbbT6_jjT7_P12ihipStream_tbENKUlT_T0_SI_SN_E_clISD_SD_SD_SD_EEDaS11_S12_SI_SN_EUlS11_E_NS1_11comp_targetILNS1_3genE5ELNS1_11target_archE942ELNS1_3gpuE9ELNS1_3repE0EEENS1_47radix_sort_onesweep_sort_config_static_selectorELNS0_4arch9wavefront6targetE1EEEvSI_.num_named_barrier, 0
	.set _ZN7rocprim17ROCPRIM_400000_NS6detail17trampoline_kernelINS0_14default_configENS1_35radix_sort_onesweep_config_selectorIssEEZZNS1_29radix_sort_onesweep_iterationIS3_Lb0EN6thrust23THRUST_200600_302600_NS6detail15normal_iteratorINS8_10device_ptrIsEEEESD_SD_SD_jNS0_19identity_decomposerENS1_16block_id_wrapperIjLb1EEEEE10hipError_tT1_PNSt15iterator_traitsISI_E10value_typeET2_T3_PNSJ_ISO_E10value_typeET4_T5_PST_SU_PNS1_23onesweep_lookback_stateEbbT6_jjT7_P12ihipStream_tbENKUlT_T0_SI_SN_E_clISD_SD_SD_SD_EEDaS11_S12_SI_SN_EUlS11_E_NS1_11comp_targetILNS1_3genE5ELNS1_11target_archE942ELNS1_3gpuE9ELNS1_3repE0EEENS1_47radix_sort_onesweep_sort_config_static_selectorELNS0_4arch9wavefront6targetE1EEEvSI_.private_seg_size, 0
	.set _ZN7rocprim17ROCPRIM_400000_NS6detail17trampoline_kernelINS0_14default_configENS1_35radix_sort_onesweep_config_selectorIssEEZZNS1_29radix_sort_onesweep_iterationIS3_Lb0EN6thrust23THRUST_200600_302600_NS6detail15normal_iteratorINS8_10device_ptrIsEEEESD_SD_SD_jNS0_19identity_decomposerENS1_16block_id_wrapperIjLb1EEEEE10hipError_tT1_PNSt15iterator_traitsISI_E10value_typeET2_T3_PNSJ_ISO_E10value_typeET4_T5_PST_SU_PNS1_23onesweep_lookback_stateEbbT6_jjT7_P12ihipStream_tbENKUlT_T0_SI_SN_E_clISD_SD_SD_SD_EEDaS11_S12_SI_SN_EUlS11_E_NS1_11comp_targetILNS1_3genE5ELNS1_11target_archE942ELNS1_3gpuE9ELNS1_3repE0EEENS1_47radix_sort_onesweep_sort_config_static_selectorELNS0_4arch9wavefront6targetE1EEEvSI_.uses_vcc, 0
	.set _ZN7rocprim17ROCPRIM_400000_NS6detail17trampoline_kernelINS0_14default_configENS1_35radix_sort_onesweep_config_selectorIssEEZZNS1_29radix_sort_onesweep_iterationIS3_Lb0EN6thrust23THRUST_200600_302600_NS6detail15normal_iteratorINS8_10device_ptrIsEEEESD_SD_SD_jNS0_19identity_decomposerENS1_16block_id_wrapperIjLb1EEEEE10hipError_tT1_PNSt15iterator_traitsISI_E10value_typeET2_T3_PNSJ_ISO_E10value_typeET4_T5_PST_SU_PNS1_23onesweep_lookback_stateEbbT6_jjT7_P12ihipStream_tbENKUlT_T0_SI_SN_E_clISD_SD_SD_SD_EEDaS11_S12_SI_SN_EUlS11_E_NS1_11comp_targetILNS1_3genE5ELNS1_11target_archE942ELNS1_3gpuE9ELNS1_3repE0EEENS1_47radix_sort_onesweep_sort_config_static_selectorELNS0_4arch9wavefront6targetE1EEEvSI_.uses_flat_scratch, 0
	.set _ZN7rocprim17ROCPRIM_400000_NS6detail17trampoline_kernelINS0_14default_configENS1_35radix_sort_onesweep_config_selectorIssEEZZNS1_29radix_sort_onesweep_iterationIS3_Lb0EN6thrust23THRUST_200600_302600_NS6detail15normal_iteratorINS8_10device_ptrIsEEEESD_SD_SD_jNS0_19identity_decomposerENS1_16block_id_wrapperIjLb1EEEEE10hipError_tT1_PNSt15iterator_traitsISI_E10value_typeET2_T3_PNSJ_ISO_E10value_typeET4_T5_PST_SU_PNS1_23onesweep_lookback_stateEbbT6_jjT7_P12ihipStream_tbENKUlT_T0_SI_SN_E_clISD_SD_SD_SD_EEDaS11_S12_SI_SN_EUlS11_E_NS1_11comp_targetILNS1_3genE5ELNS1_11target_archE942ELNS1_3gpuE9ELNS1_3repE0EEENS1_47radix_sort_onesweep_sort_config_static_selectorELNS0_4arch9wavefront6targetE1EEEvSI_.has_dyn_sized_stack, 0
	.set _ZN7rocprim17ROCPRIM_400000_NS6detail17trampoline_kernelINS0_14default_configENS1_35radix_sort_onesweep_config_selectorIssEEZZNS1_29radix_sort_onesweep_iterationIS3_Lb0EN6thrust23THRUST_200600_302600_NS6detail15normal_iteratorINS8_10device_ptrIsEEEESD_SD_SD_jNS0_19identity_decomposerENS1_16block_id_wrapperIjLb1EEEEE10hipError_tT1_PNSt15iterator_traitsISI_E10value_typeET2_T3_PNSJ_ISO_E10value_typeET4_T5_PST_SU_PNS1_23onesweep_lookback_stateEbbT6_jjT7_P12ihipStream_tbENKUlT_T0_SI_SN_E_clISD_SD_SD_SD_EEDaS11_S12_SI_SN_EUlS11_E_NS1_11comp_targetILNS1_3genE5ELNS1_11target_archE942ELNS1_3gpuE9ELNS1_3repE0EEENS1_47radix_sort_onesweep_sort_config_static_selectorELNS0_4arch9wavefront6targetE1EEEvSI_.has_recursion, 0
	.set _ZN7rocprim17ROCPRIM_400000_NS6detail17trampoline_kernelINS0_14default_configENS1_35radix_sort_onesweep_config_selectorIssEEZZNS1_29radix_sort_onesweep_iterationIS3_Lb0EN6thrust23THRUST_200600_302600_NS6detail15normal_iteratorINS8_10device_ptrIsEEEESD_SD_SD_jNS0_19identity_decomposerENS1_16block_id_wrapperIjLb1EEEEE10hipError_tT1_PNSt15iterator_traitsISI_E10value_typeET2_T3_PNSJ_ISO_E10value_typeET4_T5_PST_SU_PNS1_23onesweep_lookback_stateEbbT6_jjT7_P12ihipStream_tbENKUlT_T0_SI_SN_E_clISD_SD_SD_SD_EEDaS11_S12_SI_SN_EUlS11_E_NS1_11comp_targetILNS1_3genE5ELNS1_11target_archE942ELNS1_3gpuE9ELNS1_3repE0EEENS1_47radix_sort_onesweep_sort_config_static_selectorELNS0_4arch9wavefront6targetE1EEEvSI_.has_indirect_call, 0
	.section	.AMDGPU.csdata,"",@progbits
; Kernel info:
; codeLenInByte = 0
; TotalNumSgprs: 6
; NumVgprs: 0
; NumAgprs: 0
; TotalNumVgprs: 0
; ScratchSize: 0
; MemoryBound: 0
; FloatMode: 240
; IeeeMode: 1
; LDSByteSize: 0 bytes/workgroup (compile time only)
; SGPRBlocks: 0
; VGPRBlocks: 0
; NumSGPRsForWavesPerEU: 6
; NumVGPRsForWavesPerEU: 1
; AccumOffset: 4
; Occupancy: 8
; WaveLimiterHint : 0
; COMPUTE_PGM_RSRC2:SCRATCH_EN: 0
; COMPUTE_PGM_RSRC2:USER_SGPR: 2
; COMPUTE_PGM_RSRC2:TRAP_HANDLER: 0
; COMPUTE_PGM_RSRC2:TGID_X_EN: 1
; COMPUTE_PGM_RSRC2:TGID_Y_EN: 0
; COMPUTE_PGM_RSRC2:TGID_Z_EN: 0
; COMPUTE_PGM_RSRC2:TIDIG_COMP_CNT: 0
; COMPUTE_PGM_RSRC3_GFX90A:ACCUM_OFFSET: 0
; COMPUTE_PGM_RSRC3_GFX90A:TG_SPLIT: 0
	.section	.text._ZN7rocprim17ROCPRIM_400000_NS6detail17trampoline_kernelINS0_14default_configENS1_35radix_sort_onesweep_config_selectorIssEEZZNS1_29radix_sort_onesweep_iterationIS3_Lb0EN6thrust23THRUST_200600_302600_NS6detail15normal_iteratorINS8_10device_ptrIsEEEESD_SD_SD_jNS0_19identity_decomposerENS1_16block_id_wrapperIjLb1EEEEE10hipError_tT1_PNSt15iterator_traitsISI_E10value_typeET2_T3_PNSJ_ISO_E10value_typeET4_T5_PST_SU_PNS1_23onesweep_lookback_stateEbbT6_jjT7_P12ihipStream_tbENKUlT_T0_SI_SN_E_clISD_SD_SD_SD_EEDaS11_S12_SI_SN_EUlS11_E_NS1_11comp_targetILNS1_3genE2ELNS1_11target_archE906ELNS1_3gpuE6ELNS1_3repE0EEENS1_47radix_sort_onesweep_sort_config_static_selectorELNS0_4arch9wavefront6targetE1EEEvSI_,"axG",@progbits,_ZN7rocprim17ROCPRIM_400000_NS6detail17trampoline_kernelINS0_14default_configENS1_35radix_sort_onesweep_config_selectorIssEEZZNS1_29radix_sort_onesweep_iterationIS3_Lb0EN6thrust23THRUST_200600_302600_NS6detail15normal_iteratorINS8_10device_ptrIsEEEESD_SD_SD_jNS0_19identity_decomposerENS1_16block_id_wrapperIjLb1EEEEE10hipError_tT1_PNSt15iterator_traitsISI_E10value_typeET2_T3_PNSJ_ISO_E10value_typeET4_T5_PST_SU_PNS1_23onesweep_lookback_stateEbbT6_jjT7_P12ihipStream_tbENKUlT_T0_SI_SN_E_clISD_SD_SD_SD_EEDaS11_S12_SI_SN_EUlS11_E_NS1_11comp_targetILNS1_3genE2ELNS1_11target_archE906ELNS1_3gpuE6ELNS1_3repE0EEENS1_47radix_sort_onesweep_sort_config_static_selectorELNS0_4arch9wavefront6targetE1EEEvSI_,comdat
	.protected	_ZN7rocprim17ROCPRIM_400000_NS6detail17trampoline_kernelINS0_14default_configENS1_35radix_sort_onesweep_config_selectorIssEEZZNS1_29radix_sort_onesweep_iterationIS3_Lb0EN6thrust23THRUST_200600_302600_NS6detail15normal_iteratorINS8_10device_ptrIsEEEESD_SD_SD_jNS0_19identity_decomposerENS1_16block_id_wrapperIjLb1EEEEE10hipError_tT1_PNSt15iterator_traitsISI_E10value_typeET2_T3_PNSJ_ISO_E10value_typeET4_T5_PST_SU_PNS1_23onesweep_lookback_stateEbbT6_jjT7_P12ihipStream_tbENKUlT_T0_SI_SN_E_clISD_SD_SD_SD_EEDaS11_S12_SI_SN_EUlS11_E_NS1_11comp_targetILNS1_3genE2ELNS1_11target_archE906ELNS1_3gpuE6ELNS1_3repE0EEENS1_47radix_sort_onesweep_sort_config_static_selectorELNS0_4arch9wavefront6targetE1EEEvSI_ ; -- Begin function _ZN7rocprim17ROCPRIM_400000_NS6detail17trampoline_kernelINS0_14default_configENS1_35radix_sort_onesweep_config_selectorIssEEZZNS1_29radix_sort_onesweep_iterationIS3_Lb0EN6thrust23THRUST_200600_302600_NS6detail15normal_iteratorINS8_10device_ptrIsEEEESD_SD_SD_jNS0_19identity_decomposerENS1_16block_id_wrapperIjLb1EEEEE10hipError_tT1_PNSt15iterator_traitsISI_E10value_typeET2_T3_PNSJ_ISO_E10value_typeET4_T5_PST_SU_PNS1_23onesweep_lookback_stateEbbT6_jjT7_P12ihipStream_tbENKUlT_T0_SI_SN_E_clISD_SD_SD_SD_EEDaS11_S12_SI_SN_EUlS11_E_NS1_11comp_targetILNS1_3genE2ELNS1_11target_archE906ELNS1_3gpuE6ELNS1_3repE0EEENS1_47radix_sort_onesweep_sort_config_static_selectorELNS0_4arch9wavefront6targetE1EEEvSI_
	.globl	_ZN7rocprim17ROCPRIM_400000_NS6detail17trampoline_kernelINS0_14default_configENS1_35radix_sort_onesweep_config_selectorIssEEZZNS1_29radix_sort_onesweep_iterationIS3_Lb0EN6thrust23THRUST_200600_302600_NS6detail15normal_iteratorINS8_10device_ptrIsEEEESD_SD_SD_jNS0_19identity_decomposerENS1_16block_id_wrapperIjLb1EEEEE10hipError_tT1_PNSt15iterator_traitsISI_E10value_typeET2_T3_PNSJ_ISO_E10value_typeET4_T5_PST_SU_PNS1_23onesweep_lookback_stateEbbT6_jjT7_P12ihipStream_tbENKUlT_T0_SI_SN_E_clISD_SD_SD_SD_EEDaS11_S12_SI_SN_EUlS11_E_NS1_11comp_targetILNS1_3genE2ELNS1_11target_archE906ELNS1_3gpuE6ELNS1_3repE0EEENS1_47radix_sort_onesweep_sort_config_static_selectorELNS0_4arch9wavefront6targetE1EEEvSI_
	.p2align	8
	.type	_ZN7rocprim17ROCPRIM_400000_NS6detail17trampoline_kernelINS0_14default_configENS1_35radix_sort_onesweep_config_selectorIssEEZZNS1_29radix_sort_onesweep_iterationIS3_Lb0EN6thrust23THRUST_200600_302600_NS6detail15normal_iteratorINS8_10device_ptrIsEEEESD_SD_SD_jNS0_19identity_decomposerENS1_16block_id_wrapperIjLb1EEEEE10hipError_tT1_PNSt15iterator_traitsISI_E10value_typeET2_T3_PNSJ_ISO_E10value_typeET4_T5_PST_SU_PNS1_23onesweep_lookback_stateEbbT6_jjT7_P12ihipStream_tbENKUlT_T0_SI_SN_E_clISD_SD_SD_SD_EEDaS11_S12_SI_SN_EUlS11_E_NS1_11comp_targetILNS1_3genE2ELNS1_11target_archE906ELNS1_3gpuE6ELNS1_3repE0EEENS1_47radix_sort_onesweep_sort_config_static_selectorELNS0_4arch9wavefront6targetE1EEEvSI_,@function
_ZN7rocprim17ROCPRIM_400000_NS6detail17trampoline_kernelINS0_14default_configENS1_35radix_sort_onesweep_config_selectorIssEEZZNS1_29radix_sort_onesweep_iterationIS3_Lb0EN6thrust23THRUST_200600_302600_NS6detail15normal_iteratorINS8_10device_ptrIsEEEESD_SD_SD_jNS0_19identity_decomposerENS1_16block_id_wrapperIjLb1EEEEE10hipError_tT1_PNSt15iterator_traitsISI_E10value_typeET2_T3_PNSJ_ISO_E10value_typeET4_T5_PST_SU_PNS1_23onesweep_lookback_stateEbbT6_jjT7_P12ihipStream_tbENKUlT_T0_SI_SN_E_clISD_SD_SD_SD_EEDaS11_S12_SI_SN_EUlS11_E_NS1_11comp_targetILNS1_3genE2ELNS1_11target_archE906ELNS1_3gpuE6ELNS1_3repE0EEENS1_47radix_sort_onesweep_sort_config_static_selectorELNS0_4arch9wavefront6targetE1EEEvSI_: ; @_ZN7rocprim17ROCPRIM_400000_NS6detail17trampoline_kernelINS0_14default_configENS1_35radix_sort_onesweep_config_selectorIssEEZZNS1_29radix_sort_onesweep_iterationIS3_Lb0EN6thrust23THRUST_200600_302600_NS6detail15normal_iteratorINS8_10device_ptrIsEEEESD_SD_SD_jNS0_19identity_decomposerENS1_16block_id_wrapperIjLb1EEEEE10hipError_tT1_PNSt15iterator_traitsISI_E10value_typeET2_T3_PNSJ_ISO_E10value_typeET4_T5_PST_SU_PNS1_23onesweep_lookback_stateEbbT6_jjT7_P12ihipStream_tbENKUlT_T0_SI_SN_E_clISD_SD_SD_SD_EEDaS11_S12_SI_SN_EUlS11_E_NS1_11comp_targetILNS1_3genE2ELNS1_11target_archE906ELNS1_3gpuE6ELNS1_3repE0EEENS1_47radix_sort_onesweep_sort_config_static_selectorELNS0_4arch9wavefront6targetE1EEEvSI_
; %bb.0:
	.section	.rodata,"a",@progbits
	.p2align	6, 0x0
	.amdhsa_kernel _ZN7rocprim17ROCPRIM_400000_NS6detail17trampoline_kernelINS0_14default_configENS1_35radix_sort_onesweep_config_selectorIssEEZZNS1_29radix_sort_onesweep_iterationIS3_Lb0EN6thrust23THRUST_200600_302600_NS6detail15normal_iteratorINS8_10device_ptrIsEEEESD_SD_SD_jNS0_19identity_decomposerENS1_16block_id_wrapperIjLb1EEEEE10hipError_tT1_PNSt15iterator_traitsISI_E10value_typeET2_T3_PNSJ_ISO_E10value_typeET4_T5_PST_SU_PNS1_23onesweep_lookback_stateEbbT6_jjT7_P12ihipStream_tbENKUlT_T0_SI_SN_E_clISD_SD_SD_SD_EEDaS11_S12_SI_SN_EUlS11_E_NS1_11comp_targetILNS1_3genE2ELNS1_11target_archE906ELNS1_3gpuE6ELNS1_3repE0EEENS1_47radix_sort_onesweep_sort_config_static_selectorELNS0_4arch9wavefront6targetE1EEEvSI_
		.amdhsa_group_segment_fixed_size 0
		.amdhsa_private_segment_fixed_size 0
		.amdhsa_kernarg_size 88
		.amdhsa_user_sgpr_count 2
		.amdhsa_user_sgpr_dispatch_ptr 0
		.amdhsa_user_sgpr_queue_ptr 0
		.amdhsa_user_sgpr_kernarg_segment_ptr 1
		.amdhsa_user_sgpr_dispatch_id 0
		.amdhsa_user_sgpr_kernarg_preload_length 0
		.amdhsa_user_sgpr_kernarg_preload_offset 0
		.amdhsa_user_sgpr_private_segment_size 0
		.amdhsa_uses_dynamic_stack 0
		.amdhsa_enable_private_segment 0
		.amdhsa_system_sgpr_workgroup_id_x 1
		.amdhsa_system_sgpr_workgroup_id_y 0
		.amdhsa_system_sgpr_workgroup_id_z 0
		.amdhsa_system_sgpr_workgroup_info 0
		.amdhsa_system_vgpr_workitem_id 0
		.amdhsa_next_free_vgpr 1
		.amdhsa_next_free_sgpr 0
		.amdhsa_accum_offset 4
		.amdhsa_reserve_vcc 0
		.amdhsa_float_round_mode_32 0
		.amdhsa_float_round_mode_16_64 0
		.amdhsa_float_denorm_mode_32 3
		.amdhsa_float_denorm_mode_16_64 3
		.amdhsa_dx10_clamp 1
		.amdhsa_ieee_mode 1
		.amdhsa_fp16_overflow 0
		.amdhsa_tg_split 0
		.amdhsa_exception_fp_ieee_invalid_op 0
		.amdhsa_exception_fp_denorm_src 0
		.amdhsa_exception_fp_ieee_div_zero 0
		.amdhsa_exception_fp_ieee_overflow 0
		.amdhsa_exception_fp_ieee_underflow 0
		.amdhsa_exception_fp_ieee_inexact 0
		.amdhsa_exception_int_div_zero 0
	.end_amdhsa_kernel
	.section	.text._ZN7rocprim17ROCPRIM_400000_NS6detail17trampoline_kernelINS0_14default_configENS1_35radix_sort_onesweep_config_selectorIssEEZZNS1_29radix_sort_onesweep_iterationIS3_Lb0EN6thrust23THRUST_200600_302600_NS6detail15normal_iteratorINS8_10device_ptrIsEEEESD_SD_SD_jNS0_19identity_decomposerENS1_16block_id_wrapperIjLb1EEEEE10hipError_tT1_PNSt15iterator_traitsISI_E10value_typeET2_T3_PNSJ_ISO_E10value_typeET4_T5_PST_SU_PNS1_23onesweep_lookback_stateEbbT6_jjT7_P12ihipStream_tbENKUlT_T0_SI_SN_E_clISD_SD_SD_SD_EEDaS11_S12_SI_SN_EUlS11_E_NS1_11comp_targetILNS1_3genE2ELNS1_11target_archE906ELNS1_3gpuE6ELNS1_3repE0EEENS1_47radix_sort_onesweep_sort_config_static_selectorELNS0_4arch9wavefront6targetE1EEEvSI_,"axG",@progbits,_ZN7rocprim17ROCPRIM_400000_NS6detail17trampoline_kernelINS0_14default_configENS1_35radix_sort_onesweep_config_selectorIssEEZZNS1_29radix_sort_onesweep_iterationIS3_Lb0EN6thrust23THRUST_200600_302600_NS6detail15normal_iteratorINS8_10device_ptrIsEEEESD_SD_SD_jNS0_19identity_decomposerENS1_16block_id_wrapperIjLb1EEEEE10hipError_tT1_PNSt15iterator_traitsISI_E10value_typeET2_T3_PNSJ_ISO_E10value_typeET4_T5_PST_SU_PNS1_23onesweep_lookback_stateEbbT6_jjT7_P12ihipStream_tbENKUlT_T0_SI_SN_E_clISD_SD_SD_SD_EEDaS11_S12_SI_SN_EUlS11_E_NS1_11comp_targetILNS1_3genE2ELNS1_11target_archE906ELNS1_3gpuE6ELNS1_3repE0EEENS1_47radix_sort_onesweep_sort_config_static_selectorELNS0_4arch9wavefront6targetE1EEEvSI_,comdat
.Lfunc_end1645:
	.size	_ZN7rocprim17ROCPRIM_400000_NS6detail17trampoline_kernelINS0_14default_configENS1_35radix_sort_onesweep_config_selectorIssEEZZNS1_29radix_sort_onesweep_iterationIS3_Lb0EN6thrust23THRUST_200600_302600_NS6detail15normal_iteratorINS8_10device_ptrIsEEEESD_SD_SD_jNS0_19identity_decomposerENS1_16block_id_wrapperIjLb1EEEEE10hipError_tT1_PNSt15iterator_traitsISI_E10value_typeET2_T3_PNSJ_ISO_E10value_typeET4_T5_PST_SU_PNS1_23onesweep_lookback_stateEbbT6_jjT7_P12ihipStream_tbENKUlT_T0_SI_SN_E_clISD_SD_SD_SD_EEDaS11_S12_SI_SN_EUlS11_E_NS1_11comp_targetILNS1_3genE2ELNS1_11target_archE906ELNS1_3gpuE6ELNS1_3repE0EEENS1_47radix_sort_onesweep_sort_config_static_selectorELNS0_4arch9wavefront6targetE1EEEvSI_, .Lfunc_end1645-_ZN7rocprim17ROCPRIM_400000_NS6detail17trampoline_kernelINS0_14default_configENS1_35radix_sort_onesweep_config_selectorIssEEZZNS1_29radix_sort_onesweep_iterationIS3_Lb0EN6thrust23THRUST_200600_302600_NS6detail15normal_iteratorINS8_10device_ptrIsEEEESD_SD_SD_jNS0_19identity_decomposerENS1_16block_id_wrapperIjLb1EEEEE10hipError_tT1_PNSt15iterator_traitsISI_E10value_typeET2_T3_PNSJ_ISO_E10value_typeET4_T5_PST_SU_PNS1_23onesweep_lookback_stateEbbT6_jjT7_P12ihipStream_tbENKUlT_T0_SI_SN_E_clISD_SD_SD_SD_EEDaS11_S12_SI_SN_EUlS11_E_NS1_11comp_targetILNS1_3genE2ELNS1_11target_archE906ELNS1_3gpuE6ELNS1_3repE0EEENS1_47radix_sort_onesweep_sort_config_static_selectorELNS0_4arch9wavefront6targetE1EEEvSI_
                                        ; -- End function
	.set _ZN7rocprim17ROCPRIM_400000_NS6detail17trampoline_kernelINS0_14default_configENS1_35radix_sort_onesweep_config_selectorIssEEZZNS1_29radix_sort_onesweep_iterationIS3_Lb0EN6thrust23THRUST_200600_302600_NS6detail15normal_iteratorINS8_10device_ptrIsEEEESD_SD_SD_jNS0_19identity_decomposerENS1_16block_id_wrapperIjLb1EEEEE10hipError_tT1_PNSt15iterator_traitsISI_E10value_typeET2_T3_PNSJ_ISO_E10value_typeET4_T5_PST_SU_PNS1_23onesweep_lookback_stateEbbT6_jjT7_P12ihipStream_tbENKUlT_T0_SI_SN_E_clISD_SD_SD_SD_EEDaS11_S12_SI_SN_EUlS11_E_NS1_11comp_targetILNS1_3genE2ELNS1_11target_archE906ELNS1_3gpuE6ELNS1_3repE0EEENS1_47radix_sort_onesweep_sort_config_static_selectorELNS0_4arch9wavefront6targetE1EEEvSI_.num_vgpr, 0
	.set _ZN7rocprim17ROCPRIM_400000_NS6detail17trampoline_kernelINS0_14default_configENS1_35radix_sort_onesweep_config_selectorIssEEZZNS1_29radix_sort_onesweep_iterationIS3_Lb0EN6thrust23THRUST_200600_302600_NS6detail15normal_iteratorINS8_10device_ptrIsEEEESD_SD_SD_jNS0_19identity_decomposerENS1_16block_id_wrapperIjLb1EEEEE10hipError_tT1_PNSt15iterator_traitsISI_E10value_typeET2_T3_PNSJ_ISO_E10value_typeET4_T5_PST_SU_PNS1_23onesweep_lookback_stateEbbT6_jjT7_P12ihipStream_tbENKUlT_T0_SI_SN_E_clISD_SD_SD_SD_EEDaS11_S12_SI_SN_EUlS11_E_NS1_11comp_targetILNS1_3genE2ELNS1_11target_archE906ELNS1_3gpuE6ELNS1_3repE0EEENS1_47radix_sort_onesweep_sort_config_static_selectorELNS0_4arch9wavefront6targetE1EEEvSI_.num_agpr, 0
	.set _ZN7rocprim17ROCPRIM_400000_NS6detail17trampoline_kernelINS0_14default_configENS1_35radix_sort_onesweep_config_selectorIssEEZZNS1_29radix_sort_onesweep_iterationIS3_Lb0EN6thrust23THRUST_200600_302600_NS6detail15normal_iteratorINS8_10device_ptrIsEEEESD_SD_SD_jNS0_19identity_decomposerENS1_16block_id_wrapperIjLb1EEEEE10hipError_tT1_PNSt15iterator_traitsISI_E10value_typeET2_T3_PNSJ_ISO_E10value_typeET4_T5_PST_SU_PNS1_23onesweep_lookback_stateEbbT6_jjT7_P12ihipStream_tbENKUlT_T0_SI_SN_E_clISD_SD_SD_SD_EEDaS11_S12_SI_SN_EUlS11_E_NS1_11comp_targetILNS1_3genE2ELNS1_11target_archE906ELNS1_3gpuE6ELNS1_3repE0EEENS1_47radix_sort_onesweep_sort_config_static_selectorELNS0_4arch9wavefront6targetE1EEEvSI_.numbered_sgpr, 0
	.set _ZN7rocprim17ROCPRIM_400000_NS6detail17trampoline_kernelINS0_14default_configENS1_35radix_sort_onesweep_config_selectorIssEEZZNS1_29radix_sort_onesweep_iterationIS3_Lb0EN6thrust23THRUST_200600_302600_NS6detail15normal_iteratorINS8_10device_ptrIsEEEESD_SD_SD_jNS0_19identity_decomposerENS1_16block_id_wrapperIjLb1EEEEE10hipError_tT1_PNSt15iterator_traitsISI_E10value_typeET2_T3_PNSJ_ISO_E10value_typeET4_T5_PST_SU_PNS1_23onesweep_lookback_stateEbbT6_jjT7_P12ihipStream_tbENKUlT_T0_SI_SN_E_clISD_SD_SD_SD_EEDaS11_S12_SI_SN_EUlS11_E_NS1_11comp_targetILNS1_3genE2ELNS1_11target_archE906ELNS1_3gpuE6ELNS1_3repE0EEENS1_47radix_sort_onesweep_sort_config_static_selectorELNS0_4arch9wavefront6targetE1EEEvSI_.num_named_barrier, 0
	.set _ZN7rocprim17ROCPRIM_400000_NS6detail17trampoline_kernelINS0_14default_configENS1_35radix_sort_onesweep_config_selectorIssEEZZNS1_29radix_sort_onesweep_iterationIS3_Lb0EN6thrust23THRUST_200600_302600_NS6detail15normal_iteratorINS8_10device_ptrIsEEEESD_SD_SD_jNS0_19identity_decomposerENS1_16block_id_wrapperIjLb1EEEEE10hipError_tT1_PNSt15iterator_traitsISI_E10value_typeET2_T3_PNSJ_ISO_E10value_typeET4_T5_PST_SU_PNS1_23onesweep_lookback_stateEbbT6_jjT7_P12ihipStream_tbENKUlT_T0_SI_SN_E_clISD_SD_SD_SD_EEDaS11_S12_SI_SN_EUlS11_E_NS1_11comp_targetILNS1_3genE2ELNS1_11target_archE906ELNS1_3gpuE6ELNS1_3repE0EEENS1_47radix_sort_onesweep_sort_config_static_selectorELNS0_4arch9wavefront6targetE1EEEvSI_.private_seg_size, 0
	.set _ZN7rocprim17ROCPRIM_400000_NS6detail17trampoline_kernelINS0_14default_configENS1_35radix_sort_onesweep_config_selectorIssEEZZNS1_29radix_sort_onesweep_iterationIS3_Lb0EN6thrust23THRUST_200600_302600_NS6detail15normal_iteratorINS8_10device_ptrIsEEEESD_SD_SD_jNS0_19identity_decomposerENS1_16block_id_wrapperIjLb1EEEEE10hipError_tT1_PNSt15iterator_traitsISI_E10value_typeET2_T3_PNSJ_ISO_E10value_typeET4_T5_PST_SU_PNS1_23onesweep_lookback_stateEbbT6_jjT7_P12ihipStream_tbENKUlT_T0_SI_SN_E_clISD_SD_SD_SD_EEDaS11_S12_SI_SN_EUlS11_E_NS1_11comp_targetILNS1_3genE2ELNS1_11target_archE906ELNS1_3gpuE6ELNS1_3repE0EEENS1_47radix_sort_onesweep_sort_config_static_selectorELNS0_4arch9wavefront6targetE1EEEvSI_.uses_vcc, 0
	.set _ZN7rocprim17ROCPRIM_400000_NS6detail17trampoline_kernelINS0_14default_configENS1_35radix_sort_onesweep_config_selectorIssEEZZNS1_29radix_sort_onesweep_iterationIS3_Lb0EN6thrust23THRUST_200600_302600_NS6detail15normal_iteratorINS8_10device_ptrIsEEEESD_SD_SD_jNS0_19identity_decomposerENS1_16block_id_wrapperIjLb1EEEEE10hipError_tT1_PNSt15iterator_traitsISI_E10value_typeET2_T3_PNSJ_ISO_E10value_typeET4_T5_PST_SU_PNS1_23onesweep_lookback_stateEbbT6_jjT7_P12ihipStream_tbENKUlT_T0_SI_SN_E_clISD_SD_SD_SD_EEDaS11_S12_SI_SN_EUlS11_E_NS1_11comp_targetILNS1_3genE2ELNS1_11target_archE906ELNS1_3gpuE6ELNS1_3repE0EEENS1_47radix_sort_onesweep_sort_config_static_selectorELNS0_4arch9wavefront6targetE1EEEvSI_.uses_flat_scratch, 0
	.set _ZN7rocprim17ROCPRIM_400000_NS6detail17trampoline_kernelINS0_14default_configENS1_35radix_sort_onesweep_config_selectorIssEEZZNS1_29radix_sort_onesweep_iterationIS3_Lb0EN6thrust23THRUST_200600_302600_NS6detail15normal_iteratorINS8_10device_ptrIsEEEESD_SD_SD_jNS0_19identity_decomposerENS1_16block_id_wrapperIjLb1EEEEE10hipError_tT1_PNSt15iterator_traitsISI_E10value_typeET2_T3_PNSJ_ISO_E10value_typeET4_T5_PST_SU_PNS1_23onesweep_lookback_stateEbbT6_jjT7_P12ihipStream_tbENKUlT_T0_SI_SN_E_clISD_SD_SD_SD_EEDaS11_S12_SI_SN_EUlS11_E_NS1_11comp_targetILNS1_3genE2ELNS1_11target_archE906ELNS1_3gpuE6ELNS1_3repE0EEENS1_47radix_sort_onesweep_sort_config_static_selectorELNS0_4arch9wavefront6targetE1EEEvSI_.has_dyn_sized_stack, 0
	.set _ZN7rocprim17ROCPRIM_400000_NS6detail17trampoline_kernelINS0_14default_configENS1_35radix_sort_onesweep_config_selectorIssEEZZNS1_29radix_sort_onesweep_iterationIS3_Lb0EN6thrust23THRUST_200600_302600_NS6detail15normal_iteratorINS8_10device_ptrIsEEEESD_SD_SD_jNS0_19identity_decomposerENS1_16block_id_wrapperIjLb1EEEEE10hipError_tT1_PNSt15iterator_traitsISI_E10value_typeET2_T3_PNSJ_ISO_E10value_typeET4_T5_PST_SU_PNS1_23onesweep_lookback_stateEbbT6_jjT7_P12ihipStream_tbENKUlT_T0_SI_SN_E_clISD_SD_SD_SD_EEDaS11_S12_SI_SN_EUlS11_E_NS1_11comp_targetILNS1_3genE2ELNS1_11target_archE906ELNS1_3gpuE6ELNS1_3repE0EEENS1_47radix_sort_onesweep_sort_config_static_selectorELNS0_4arch9wavefront6targetE1EEEvSI_.has_recursion, 0
	.set _ZN7rocprim17ROCPRIM_400000_NS6detail17trampoline_kernelINS0_14default_configENS1_35radix_sort_onesweep_config_selectorIssEEZZNS1_29radix_sort_onesweep_iterationIS3_Lb0EN6thrust23THRUST_200600_302600_NS6detail15normal_iteratorINS8_10device_ptrIsEEEESD_SD_SD_jNS0_19identity_decomposerENS1_16block_id_wrapperIjLb1EEEEE10hipError_tT1_PNSt15iterator_traitsISI_E10value_typeET2_T3_PNSJ_ISO_E10value_typeET4_T5_PST_SU_PNS1_23onesweep_lookback_stateEbbT6_jjT7_P12ihipStream_tbENKUlT_T0_SI_SN_E_clISD_SD_SD_SD_EEDaS11_S12_SI_SN_EUlS11_E_NS1_11comp_targetILNS1_3genE2ELNS1_11target_archE906ELNS1_3gpuE6ELNS1_3repE0EEENS1_47radix_sort_onesweep_sort_config_static_selectorELNS0_4arch9wavefront6targetE1EEEvSI_.has_indirect_call, 0
	.section	.AMDGPU.csdata,"",@progbits
; Kernel info:
; codeLenInByte = 0
; TotalNumSgprs: 6
; NumVgprs: 0
; NumAgprs: 0
; TotalNumVgprs: 0
; ScratchSize: 0
; MemoryBound: 0
; FloatMode: 240
; IeeeMode: 1
; LDSByteSize: 0 bytes/workgroup (compile time only)
; SGPRBlocks: 0
; VGPRBlocks: 0
; NumSGPRsForWavesPerEU: 6
; NumVGPRsForWavesPerEU: 1
; AccumOffset: 4
; Occupancy: 8
; WaveLimiterHint : 0
; COMPUTE_PGM_RSRC2:SCRATCH_EN: 0
; COMPUTE_PGM_RSRC2:USER_SGPR: 2
; COMPUTE_PGM_RSRC2:TRAP_HANDLER: 0
; COMPUTE_PGM_RSRC2:TGID_X_EN: 1
; COMPUTE_PGM_RSRC2:TGID_Y_EN: 0
; COMPUTE_PGM_RSRC2:TGID_Z_EN: 0
; COMPUTE_PGM_RSRC2:TIDIG_COMP_CNT: 0
; COMPUTE_PGM_RSRC3_GFX90A:ACCUM_OFFSET: 0
; COMPUTE_PGM_RSRC3_GFX90A:TG_SPLIT: 0
	.section	.text._ZN7rocprim17ROCPRIM_400000_NS6detail17trampoline_kernelINS0_14default_configENS1_35radix_sort_onesweep_config_selectorIssEEZZNS1_29radix_sort_onesweep_iterationIS3_Lb0EN6thrust23THRUST_200600_302600_NS6detail15normal_iteratorINS8_10device_ptrIsEEEESD_SD_SD_jNS0_19identity_decomposerENS1_16block_id_wrapperIjLb1EEEEE10hipError_tT1_PNSt15iterator_traitsISI_E10value_typeET2_T3_PNSJ_ISO_E10value_typeET4_T5_PST_SU_PNS1_23onesweep_lookback_stateEbbT6_jjT7_P12ihipStream_tbENKUlT_T0_SI_SN_E_clISD_SD_SD_SD_EEDaS11_S12_SI_SN_EUlS11_E_NS1_11comp_targetILNS1_3genE4ELNS1_11target_archE910ELNS1_3gpuE8ELNS1_3repE0EEENS1_47radix_sort_onesweep_sort_config_static_selectorELNS0_4arch9wavefront6targetE1EEEvSI_,"axG",@progbits,_ZN7rocprim17ROCPRIM_400000_NS6detail17trampoline_kernelINS0_14default_configENS1_35radix_sort_onesweep_config_selectorIssEEZZNS1_29radix_sort_onesweep_iterationIS3_Lb0EN6thrust23THRUST_200600_302600_NS6detail15normal_iteratorINS8_10device_ptrIsEEEESD_SD_SD_jNS0_19identity_decomposerENS1_16block_id_wrapperIjLb1EEEEE10hipError_tT1_PNSt15iterator_traitsISI_E10value_typeET2_T3_PNSJ_ISO_E10value_typeET4_T5_PST_SU_PNS1_23onesweep_lookback_stateEbbT6_jjT7_P12ihipStream_tbENKUlT_T0_SI_SN_E_clISD_SD_SD_SD_EEDaS11_S12_SI_SN_EUlS11_E_NS1_11comp_targetILNS1_3genE4ELNS1_11target_archE910ELNS1_3gpuE8ELNS1_3repE0EEENS1_47radix_sort_onesweep_sort_config_static_selectorELNS0_4arch9wavefront6targetE1EEEvSI_,comdat
	.protected	_ZN7rocprim17ROCPRIM_400000_NS6detail17trampoline_kernelINS0_14default_configENS1_35radix_sort_onesweep_config_selectorIssEEZZNS1_29radix_sort_onesweep_iterationIS3_Lb0EN6thrust23THRUST_200600_302600_NS6detail15normal_iteratorINS8_10device_ptrIsEEEESD_SD_SD_jNS0_19identity_decomposerENS1_16block_id_wrapperIjLb1EEEEE10hipError_tT1_PNSt15iterator_traitsISI_E10value_typeET2_T3_PNSJ_ISO_E10value_typeET4_T5_PST_SU_PNS1_23onesweep_lookback_stateEbbT6_jjT7_P12ihipStream_tbENKUlT_T0_SI_SN_E_clISD_SD_SD_SD_EEDaS11_S12_SI_SN_EUlS11_E_NS1_11comp_targetILNS1_3genE4ELNS1_11target_archE910ELNS1_3gpuE8ELNS1_3repE0EEENS1_47radix_sort_onesweep_sort_config_static_selectorELNS0_4arch9wavefront6targetE1EEEvSI_ ; -- Begin function _ZN7rocprim17ROCPRIM_400000_NS6detail17trampoline_kernelINS0_14default_configENS1_35radix_sort_onesweep_config_selectorIssEEZZNS1_29radix_sort_onesweep_iterationIS3_Lb0EN6thrust23THRUST_200600_302600_NS6detail15normal_iteratorINS8_10device_ptrIsEEEESD_SD_SD_jNS0_19identity_decomposerENS1_16block_id_wrapperIjLb1EEEEE10hipError_tT1_PNSt15iterator_traitsISI_E10value_typeET2_T3_PNSJ_ISO_E10value_typeET4_T5_PST_SU_PNS1_23onesweep_lookback_stateEbbT6_jjT7_P12ihipStream_tbENKUlT_T0_SI_SN_E_clISD_SD_SD_SD_EEDaS11_S12_SI_SN_EUlS11_E_NS1_11comp_targetILNS1_3genE4ELNS1_11target_archE910ELNS1_3gpuE8ELNS1_3repE0EEENS1_47radix_sort_onesweep_sort_config_static_selectorELNS0_4arch9wavefront6targetE1EEEvSI_
	.globl	_ZN7rocprim17ROCPRIM_400000_NS6detail17trampoline_kernelINS0_14default_configENS1_35radix_sort_onesweep_config_selectorIssEEZZNS1_29radix_sort_onesweep_iterationIS3_Lb0EN6thrust23THRUST_200600_302600_NS6detail15normal_iteratorINS8_10device_ptrIsEEEESD_SD_SD_jNS0_19identity_decomposerENS1_16block_id_wrapperIjLb1EEEEE10hipError_tT1_PNSt15iterator_traitsISI_E10value_typeET2_T3_PNSJ_ISO_E10value_typeET4_T5_PST_SU_PNS1_23onesweep_lookback_stateEbbT6_jjT7_P12ihipStream_tbENKUlT_T0_SI_SN_E_clISD_SD_SD_SD_EEDaS11_S12_SI_SN_EUlS11_E_NS1_11comp_targetILNS1_3genE4ELNS1_11target_archE910ELNS1_3gpuE8ELNS1_3repE0EEENS1_47radix_sort_onesweep_sort_config_static_selectorELNS0_4arch9wavefront6targetE1EEEvSI_
	.p2align	8
	.type	_ZN7rocprim17ROCPRIM_400000_NS6detail17trampoline_kernelINS0_14default_configENS1_35radix_sort_onesweep_config_selectorIssEEZZNS1_29radix_sort_onesweep_iterationIS3_Lb0EN6thrust23THRUST_200600_302600_NS6detail15normal_iteratorINS8_10device_ptrIsEEEESD_SD_SD_jNS0_19identity_decomposerENS1_16block_id_wrapperIjLb1EEEEE10hipError_tT1_PNSt15iterator_traitsISI_E10value_typeET2_T3_PNSJ_ISO_E10value_typeET4_T5_PST_SU_PNS1_23onesweep_lookback_stateEbbT6_jjT7_P12ihipStream_tbENKUlT_T0_SI_SN_E_clISD_SD_SD_SD_EEDaS11_S12_SI_SN_EUlS11_E_NS1_11comp_targetILNS1_3genE4ELNS1_11target_archE910ELNS1_3gpuE8ELNS1_3repE0EEENS1_47radix_sort_onesweep_sort_config_static_selectorELNS0_4arch9wavefront6targetE1EEEvSI_,@function
_ZN7rocprim17ROCPRIM_400000_NS6detail17trampoline_kernelINS0_14default_configENS1_35radix_sort_onesweep_config_selectorIssEEZZNS1_29radix_sort_onesweep_iterationIS3_Lb0EN6thrust23THRUST_200600_302600_NS6detail15normal_iteratorINS8_10device_ptrIsEEEESD_SD_SD_jNS0_19identity_decomposerENS1_16block_id_wrapperIjLb1EEEEE10hipError_tT1_PNSt15iterator_traitsISI_E10value_typeET2_T3_PNSJ_ISO_E10value_typeET4_T5_PST_SU_PNS1_23onesweep_lookback_stateEbbT6_jjT7_P12ihipStream_tbENKUlT_T0_SI_SN_E_clISD_SD_SD_SD_EEDaS11_S12_SI_SN_EUlS11_E_NS1_11comp_targetILNS1_3genE4ELNS1_11target_archE910ELNS1_3gpuE8ELNS1_3repE0EEENS1_47radix_sort_onesweep_sort_config_static_selectorELNS0_4arch9wavefront6targetE1EEEvSI_: ; @_ZN7rocprim17ROCPRIM_400000_NS6detail17trampoline_kernelINS0_14default_configENS1_35radix_sort_onesweep_config_selectorIssEEZZNS1_29radix_sort_onesweep_iterationIS3_Lb0EN6thrust23THRUST_200600_302600_NS6detail15normal_iteratorINS8_10device_ptrIsEEEESD_SD_SD_jNS0_19identity_decomposerENS1_16block_id_wrapperIjLb1EEEEE10hipError_tT1_PNSt15iterator_traitsISI_E10value_typeET2_T3_PNSJ_ISO_E10value_typeET4_T5_PST_SU_PNS1_23onesweep_lookback_stateEbbT6_jjT7_P12ihipStream_tbENKUlT_T0_SI_SN_E_clISD_SD_SD_SD_EEDaS11_S12_SI_SN_EUlS11_E_NS1_11comp_targetILNS1_3genE4ELNS1_11target_archE910ELNS1_3gpuE8ELNS1_3repE0EEENS1_47radix_sort_onesweep_sort_config_static_selectorELNS0_4arch9wavefront6targetE1EEEvSI_
; %bb.0:
	.section	.rodata,"a",@progbits
	.p2align	6, 0x0
	.amdhsa_kernel _ZN7rocprim17ROCPRIM_400000_NS6detail17trampoline_kernelINS0_14default_configENS1_35radix_sort_onesweep_config_selectorIssEEZZNS1_29radix_sort_onesweep_iterationIS3_Lb0EN6thrust23THRUST_200600_302600_NS6detail15normal_iteratorINS8_10device_ptrIsEEEESD_SD_SD_jNS0_19identity_decomposerENS1_16block_id_wrapperIjLb1EEEEE10hipError_tT1_PNSt15iterator_traitsISI_E10value_typeET2_T3_PNSJ_ISO_E10value_typeET4_T5_PST_SU_PNS1_23onesweep_lookback_stateEbbT6_jjT7_P12ihipStream_tbENKUlT_T0_SI_SN_E_clISD_SD_SD_SD_EEDaS11_S12_SI_SN_EUlS11_E_NS1_11comp_targetILNS1_3genE4ELNS1_11target_archE910ELNS1_3gpuE8ELNS1_3repE0EEENS1_47radix_sort_onesweep_sort_config_static_selectorELNS0_4arch9wavefront6targetE1EEEvSI_
		.amdhsa_group_segment_fixed_size 0
		.amdhsa_private_segment_fixed_size 0
		.amdhsa_kernarg_size 88
		.amdhsa_user_sgpr_count 2
		.amdhsa_user_sgpr_dispatch_ptr 0
		.amdhsa_user_sgpr_queue_ptr 0
		.amdhsa_user_sgpr_kernarg_segment_ptr 1
		.amdhsa_user_sgpr_dispatch_id 0
		.amdhsa_user_sgpr_kernarg_preload_length 0
		.amdhsa_user_sgpr_kernarg_preload_offset 0
		.amdhsa_user_sgpr_private_segment_size 0
		.amdhsa_uses_dynamic_stack 0
		.amdhsa_enable_private_segment 0
		.amdhsa_system_sgpr_workgroup_id_x 1
		.amdhsa_system_sgpr_workgroup_id_y 0
		.amdhsa_system_sgpr_workgroup_id_z 0
		.amdhsa_system_sgpr_workgroup_info 0
		.amdhsa_system_vgpr_workitem_id 0
		.amdhsa_next_free_vgpr 1
		.amdhsa_next_free_sgpr 0
		.amdhsa_accum_offset 4
		.amdhsa_reserve_vcc 0
		.amdhsa_float_round_mode_32 0
		.amdhsa_float_round_mode_16_64 0
		.amdhsa_float_denorm_mode_32 3
		.amdhsa_float_denorm_mode_16_64 3
		.amdhsa_dx10_clamp 1
		.amdhsa_ieee_mode 1
		.amdhsa_fp16_overflow 0
		.amdhsa_tg_split 0
		.amdhsa_exception_fp_ieee_invalid_op 0
		.amdhsa_exception_fp_denorm_src 0
		.amdhsa_exception_fp_ieee_div_zero 0
		.amdhsa_exception_fp_ieee_overflow 0
		.amdhsa_exception_fp_ieee_underflow 0
		.amdhsa_exception_fp_ieee_inexact 0
		.amdhsa_exception_int_div_zero 0
	.end_amdhsa_kernel
	.section	.text._ZN7rocprim17ROCPRIM_400000_NS6detail17trampoline_kernelINS0_14default_configENS1_35radix_sort_onesweep_config_selectorIssEEZZNS1_29radix_sort_onesweep_iterationIS3_Lb0EN6thrust23THRUST_200600_302600_NS6detail15normal_iteratorINS8_10device_ptrIsEEEESD_SD_SD_jNS0_19identity_decomposerENS1_16block_id_wrapperIjLb1EEEEE10hipError_tT1_PNSt15iterator_traitsISI_E10value_typeET2_T3_PNSJ_ISO_E10value_typeET4_T5_PST_SU_PNS1_23onesweep_lookback_stateEbbT6_jjT7_P12ihipStream_tbENKUlT_T0_SI_SN_E_clISD_SD_SD_SD_EEDaS11_S12_SI_SN_EUlS11_E_NS1_11comp_targetILNS1_3genE4ELNS1_11target_archE910ELNS1_3gpuE8ELNS1_3repE0EEENS1_47radix_sort_onesweep_sort_config_static_selectorELNS0_4arch9wavefront6targetE1EEEvSI_,"axG",@progbits,_ZN7rocprim17ROCPRIM_400000_NS6detail17trampoline_kernelINS0_14default_configENS1_35radix_sort_onesweep_config_selectorIssEEZZNS1_29radix_sort_onesweep_iterationIS3_Lb0EN6thrust23THRUST_200600_302600_NS6detail15normal_iteratorINS8_10device_ptrIsEEEESD_SD_SD_jNS0_19identity_decomposerENS1_16block_id_wrapperIjLb1EEEEE10hipError_tT1_PNSt15iterator_traitsISI_E10value_typeET2_T3_PNSJ_ISO_E10value_typeET4_T5_PST_SU_PNS1_23onesweep_lookback_stateEbbT6_jjT7_P12ihipStream_tbENKUlT_T0_SI_SN_E_clISD_SD_SD_SD_EEDaS11_S12_SI_SN_EUlS11_E_NS1_11comp_targetILNS1_3genE4ELNS1_11target_archE910ELNS1_3gpuE8ELNS1_3repE0EEENS1_47radix_sort_onesweep_sort_config_static_selectorELNS0_4arch9wavefront6targetE1EEEvSI_,comdat
.Lfunc_end1646:
	.size	_ZN7rocprim17ROCPRIM_400000_NS6detail17trampoline_kernelINS0_14default_configENS1_35radix_sort_onesweep_config_selectorIssEEZZNS1_29radix_sort_onesweep_iterationIS3_Lb0EN6thrust23THRUST_200600_302600_NS6detail15normal_iteratorINS8_10device_ptrIsEEEESD_SD_SD_jNS0_19identity_decomposerENS1_16block_id_wrapperIjLb1EEEEE10hipError_tT1_PNSt15iterator_traitsISI_E10value_typeET2_T3_PNSJ_ISO_E10value_typeET4_T5_PST_SU_PNS1_23onesweep_lookback_stateEbbT6_jjT7_P12ihipStream_tbENKUlT_T0_SI_SN_E_clISD_SD_SD_SD_EEDaS11_S12_SI_SN_EUlS11_E_NS1_11comp_targetILNS1_3genE4ELNS1_11target_archE910ELNS1_3gpuE8ELNS1_3repE0EEENS1_47radix_sort_onesweep_sort_config_static_selectorELNS0_4arch9wavefront6targetE1EEEvSI_, .Lfunc_end1646-_ZN7rocprim17ROCPRIM_400000_NS6detail17trampoline_kernelINS0_14default_configENS1_35radix_sort_onesweep_config_selectorIssEEZZNS1_29radix_sort_onesweep_iterationIS3_Lb0EN6thrust23THRUST_200600_302600_NS6detail15normal_iteratorINS8_10device_ptrIsEEEESD_SD_SD_jNS0_19identity_decomposerENS1_16block_id_wrapperIjLb1EEEEE10hipError_tT1_PNSt15iterator_traitsISI_E10value_typeET2_T3_PNSJ_ISO_E10value_typeET4_T5_PST_SU_PNS1_23onesweep_lookback_stateEbbT6_jjT7_P12ihipStream_tbENKUlT_T0_SI_SN_E_clISD_SD_SD_SD_EEDaS11_S12_SI_SN_EUlS11_E_NS1_11comp_targetILNS1_3genE4ELNS1_11target_archE910ELNS1_3gpuE8ELNS1_3repE0EEENS1_47radix_sort_onesweep_sort_config_static_selectorELNS0_4arch9wavefront6targetE1EEEvSI_
                                        ; -- End function
	.set _ZN7rocprim17ROCPRIM_400000_NS6detail17trampoline_kernelINS0_14default_configENS1_35radix_sort_onesweep_config_selectorIssEEZZNS1_29radix_sort_onesweep_iterationIS3_Lb0EN6thrust23THRUST_200600_302600_NS6detail15normal_iteratorINS8_10device_ptrIsEEEESD_SD_SD_jNS0_19identity_decomposerENS1_16block_id_wrapperIjLb1EEEEE10hipError_tT1_PNSt15iterator_traitsISI_E10value_typeET2_T3_PNSJ_ISO_E10value_typeET4_T5_PST_SU_PNS1_23onesweep_lookback_stateEbbT6_jjT7_P12ihipStream_tbENKUlT_T0_SI_SN_E_clISD_SD_SD_SD_EEDaS11_S12_SI_SN_EUlS11_E_NS1_11comp_targetILNS1_3genE4ELNS1_11target_archE910ELNS1_3gpuE8ELNS1_3repE0EEENS1_47radix_sort_onesweep_sort_config_static_selectorELNS0_4arch9wavefront6targetE1EEEvSI_.num_vgpr, 0
	.set _ZN7rocprim17ROCPRIM_400000_NS6detail17trampoline_kernelINS0_14default_configENS1_35radix_sort_onesweep_config_selectorIssEEZZNS1_29radix_sort_onesweep_iterationIS3_Lb0EN6thrust23THRUST_200600_302600_NS6detail15normal_iteratorINS8_10device_ptrIsEEEESD_SD_SD_jNS0_19identity_decomposerENS1_16block_id_wrapperIjLb1EEEEE10hipError_tT1_PNSt15iterator_traitsISI_E10value_typeET2_T3_PNSJ_ISO_E10value_typeET4_T5_PST_SU_PNS1_23onesweep_lookback_stateEbbT6_jjT7_P12ihipStream_tbENKUlT_T0_SI_SN_E_clISD_SD_SD_SD_EEDaS11_S12_SI_SN_EUlS11_E_NS1_11comp_targetILNS1_3genE4ELNS1_11target_archE910ELNS1_3gpuE8ELNS1_3repE0EEENS1_47radix_sort_onesweep_sort_config_static_selectorELNS0_4arch9wavefront6targetE1EEEvSI_.num_agpr, 0
	.set _ZN7rocprim17ROCPRIM_400000_NS6detail17trampoline_kernelINS0_14default_configENS1_35radix_sort_onesweep_config_selectorIssEEZZNS1_29radix_sort_onesweep_iterationIS3_Lb0EN6thrust23THRUST_200600_302600_NS6detail15normal_iteratorINS8_10device_ptrIsEEEESD_SD_SD_jNS0_19identity_decomposerENS1_16block_id_wrapperIjLb1EEEEE10hipError_tT1_PNSt15iterator_traitsISI_E10value_typeET2_T3_PNSJ_ISO_E10value_typeET4_T5_PST_SU_PNS1_23onesweep_lookback_stateEbbT6_jjT7_P12ihipStream_tbENKUlT_T0_SI_SN_E_clISD_SD_SD_SD_EEDaS11_S12_SI_SN_EUlS11_E_NS1_11comp_targetILNS1_3genE4ELNS1_11target_archE910ELNS1_3gpuE8ELNS1_3repE0EEENS1_47radix_sort_onesweep_sort_config_static_selectorELNS0_4arch9wavefront6targetE1EEEvSI_.numbered_sgpr, 0
	.set _ZN7rocprim17ROCPRIM_400000_NS6detail17trampoline_kernelINS0_14default_configENS1_35radix_sort_onesweep_config_selectorIssEEZZNS1_29radix_sort_onesweep_iterationIS3_Lb0EN6thrust23THRUST_200600_302600_NS6detail15normal_iteratorINS8_10device_ptrIsEEEESD_SD_SD_jNS0_19identity_decomposerENS1_16block_id_wrapperIjLb1EEEEE10hipError_tT1_PNSt15iterator_traitsISI_E10value_typeET2_T3_PNSJ_ISO_E10value_typeET4_T5_PST_SU_PNS1_23onesweep_lookback_stateEbbT6_jjT7_P12ihipStream_tbENKUlT_T0_SI_SN_E_clISD_SD_SD_SD_EEDaS11_S12_SI_SN_EUlS11_E_NS1_11comp_targetILNS1_3genE4ELNS1_11target_archE910ELNS1_3gpuE8ELNS1_3repE0EEENS1_47radix_sort_onesweep_sort_config_static_selectorELNS0_4arch9wavefront6targetE1EEEvSI_.num_named_barrier, 0
	.set _ZN7rocprim17ROCPRIM_400000_NS6detail17trampoline_kernelINS0_14default_configENS1_35radix_sort_onesweep_config_selectorIssEEZZNS1_29radix_sort_onesweep_iterationIS3_Lb0EN6thrust23THRUST_200600_302600_NS6detail15normal_iteratorINS8_10device_ptrIsEEEESD_SD_SD_jNS0_19identity_decomposerENS1_16block_id_wrapperIjLb1EEEEE10hipError_tT1_PNSt15iterator_traitsISI_E10value_typeET2_T3_PNSJ_ISO_E10value_typeET4_T5_PST_SU_PNS1_23onesweep_lookback_stateEbbT6_jjT7_P12ihipStream_tbENKUlT_T0_SI_SN_E_clISD_SD_SD_SD_EEDaS11_S12_SI_SN_EUlS11_E_NS1_11comp_targetILNS1_3genE4ELNS1_11target_archE910ELNS1_3gpuE8ELNS1_3repE0EEENS1_47radix_sort_onesweep_sort_config_static_selectorELNS0_4arch9wavefront6targetE1EEEvSI_.private_seg_size, 0
	.set _ZN7rocprim17ROCPRIM_400000_NS6detail17trampoline_kernelINS0_14default_configENS1_35radix_sort_onesweep_config_selectorIssEEZZNS1_29radix_sort_onesweep_iterationIS3_Lb0EN6thrust23THRUST_200600_302600_NS6detail15normal_iteratorINS8_10device_ptrIsEEEESD_SD_SD_jNS0_19identity_decomposerENS1_16block_id_wrapperIjLb1EEEEE10hipError_tT1_PNSt15iterator_traitsISI_E10value_typeET2_T3_PNSJ_ISO_E10value_typeET4_T5_PST_SU_PNS1_23onesweep_lookback_stateEbbT6_jjT7_P12ihipStream_tbENKUlT_T0_SI_SN_E_clISD_SD_SD_SD_EEDaS11_S12_SI_SN_EUlS11_E_NS1_11comp_targetILNS1_3genE4ELNS1_11target_archE910ELNS1_3gpuE8ELNS1_3repE0EEENS1_47radix_sort_onesweep_sort_config_static_selectorELNS0_4arch9wavefront6targetE1EEEvSI_.uses_vcc, 0
	.set _ZN7rocprim17ROCPRIM_400000_NS6detail17trampoline_kernelINS0_14default_configENS1_35radix_sort_onesweep_config_selectorIssEEZZNS1_29radix_sort_onesweep_iterationIS3_Lb0EN6thrust23THRUST_200600_302600_NS6detail15normal_iteratorINS8_10device_ptrIsEEEESD_SD_SD_jNS0_19identity_decomposerENS1_16block_id_wrapperIjLb1EEEEE10hipError_tT1_PNSt15iterator_traitsISI_E10value_typeET2_T3_PNSJ_ISO_E10value_typeET4_T5_PST_SU_PNS1_23onesweep_lookback_stateEbbT6_jjT7_P12ihipStream_tbENKUlT_T0_SI_SN_E_clISD_SD_SD_SD_EEDaS11_S12_SI_SN_EUlS11_E_NS1_11comp_targetILNS1_3genE4ELNS1_11target_archE910ELNS1_3gpuE8ELNS1_3repE0EEENS1_47radix_sort_onesweep_sort_config_static_selectorELNS0_4arch9wavefront6targetE1EEEvSI_.uses_flat_scratch, 0
	.set _ZN7rocprim17ROCPRIM_400000_NS6detail17trampoline_kernelINS0_14default_configENS1_35radix_sort_onesweep_config_selectorIssEEZZNS1_29radix_sort_onesweep_iterationIS3_Lb0EN6thrust23THRUST_200600_302600_NS6detail15normal_iteratorINS8_10device_ptrIsEEEESD_SD_SD_jNS0_19identity_decomposerENS1_16block_id_wrapperIjLb1EEEEE10hipError_tT1_PNSt15iterator_traitsISI_E10value_typeET2_T3_PNSJ_ISO_E10value_typeET4_T5_PST_SU_PNS1_23onesweep_lookback_stateEbbT6_jjT7_P12ihipStream_tbENKUlT_T0_SI_SN_E_clISD_SD_SD_SD_EEDaS11_S12_SI_SN_EUlS11_E_NS1_11comp_targetILNS1_3genE4ELNS1_11target_archE910ELNS1_3gpuE8ELNS1_3repE0EEENS1_47radix_sort_onesweep_sort_config_static_selectorELNS0_4arch9wavefront6targetE1EEEvSI_.has_dyn_sized_stack, 0
	.set _ZN7rocprim17ROCPRIM_400000_NS6detail17trampoline_kernelINS0_14default_configENS1_35radix_sort_onesweep_config_selectorIssEEZZNS1_29radix_sort_onesweep_iterationIS3_Lb0EN6thrust23THRUST_200600_302600_NS6detail15normal_iteratorINS8_10device_ptrIsEEEESD_SD_SD_jNS0_19identity_decomposerENS1_16block_id_wrapperIjLb1EEEEE10hipError_tT1_PNSt15iterator_traitsISI_E10value_typeET2_T3_PNSJ_ISO_E10value_typeET4_T5_PST_SU_PNS1_23onesweep_lookback_stateEbbT6_jjT7_P12ihipStream_tbENKUlT_T0_SI_SN_E_clISD_SD_SD_SD_EEDaS11_S12_SI_SN_EUlS11_E_NS1_11comp_targetILNS1_3genE4ELNS1_11target_archE910ELNS1_3gpuE8ELNS1_3repE0EEENS1_47radix_sort_onesweep_sort_config_static_selectorELNS0_4arch9wavefront6targetE1EEEvSI_.has_recursion, 0
	.set _ZN7rocprim17ROCPRIM_400000_NS6detail17trampoline_kernelINS0_14default_configENS1_35radix_sort_onesweep_config_selectorIssEEZZNS1_29radix_sort_onesweep_iterationIS3_Lb0EN6thrust23THRUST_200600_302600_NS6detail15normal_iteratorINS8_10device_ptrIsEEEESD_SD_SD_jNS0_19identity_decomposerENS1_16block_id_wrapperIjLb1EEEEE10hipError_tT1_PNSt15iterator_traitsISI_E10value_typeET2_T3_PNSJ_ISO_E10value_typeET4_T5_PST_SU_PNS1_23onesweep_lookback_stateEbbT6_jjT7_P12ihipStream_tbENKUlT_T0_SI_SN_E_clISD_SD_SD_SD_EEDaS11_S12_SI_SN_EUlS11_E_NS1_11comp_targetILNS1_3genE4ELNS1_11target_archE910ELNS1_3gpuE8ELNS1_3repE0EEENS1_47radix_sort_onesweep_sort_config_static_selectorELNS0_4arch9wavefront6targetE1EEEvSI_.has_indirect_call, 0
	.section	.AMDGPU.csdata,"",@progbits
; Kernel info:
; codeLenInByte = 0
; TotalNumSgprs: 6
; NumVgprs: 0
; NumAgprs: 0
; TotalNumVgprs: 0
; ScratchSize: 0
; MemoryBound: 0
; FloatMode: 240
; IeeeMode: 1
; LDSByteSize: 0 bytes/workgroup (compile time only)
; SGPRBlocks: 0
; VGPRBlocks: 0
; NumSGPRsForWavesPerEU: 6
; NumVGPRsForWavesPerEU: 1
; AccumOffset: 4
; Occupancy: 8
; WaveLimiterHint : 0
; COMPUTE_PGM_RSRC2:SCRATCH_EN: 0
; COMPUTE_PGM_RSRC2:USER_SGPR: 2
; COMPUTE_PGM_RSRC2:TRAP_HANDLER: 0
; COMPUTE_PGM_RSRC2:TGID_X_EN: 1
; COMPUTE_PGM_RSRC2:TGID_Y_EN: 0
; COMPUTE_PGM_RSRC2:TGID_Z_EN: 0
; COMPUTE_PGM_RSRC2:TIDIG_COMP_CNT: 0
; COMPUTE_PGM_RSRC3_GFX90A:ACCUM_OFFSET: 0
; COMPUTE_PGM_RSRC3_GFX90A:TG_SPLIT: 0
	.section	.text._ZN7rocprim17ROCPRIM_400000_NS6detail17trampoline_kernelINS0_14default_configENS1_35radix_sort_onesweep_config_selectorIssEEZZNS1_29radix_sort_onesweep_iterationIS3_Lb0EN6thrust23THRUST_200600_302600_NS6detail15normal_iteratorINS8_10device_ptrIsEEEESD_SD_SD_jNS0_19identity_decomposerENS1_16block_id_wrapperIjLb1EEEEE10hipError_tT1_PNSt15iterator_traitsISI_E10value_typeET2_T3_PNSJ_ISO_E10value_typeET4_T5_PST_SU_PNS1_23onesweep_lookback_stateEbbT6_jjT7_P12ihipStream_tbENKUlT_T0_SI_SN_E_clISD_SD_SD_SD_EEDaS11_S12_SI_SN_EUlS11_E_NS1_11comp_targetILNS1_3genE3ELNS1_11target_archE908ELNS1_3gpuE7ELNS1_3repE0EEENS1_47radix_sort_onesweep_sort_config_static_selectorELNS0_4arch9wavefront6targetE1EEEvSI_,"axG",@progbits,_ZN7rocprim17ROCPRIM_400000_NS6detail17trampoline_kernelINS0_14default_configENS1_35radix_sort_onesweep_config_selectorIssEEZZNS1_29radix_sort_onesweep_iterationIS3_Lb0EN6thrust23THRUST_200600_302600_NS6detail15normal_iteratorINS8_10device_ptrIsEEEESD_SD_SD_jNS0_19identity_decomposerENS1_16block_id_wrapperIjLb1EEEEE10hipError_tT1_PNSt15iterator_traitsISI_E10value_typeET2_T3_PNSJ_ISO_E10value_typeET4_T5_PST_SU_PNS1_23onesweep_lookback_stateEbbT6_jjT7_P12ihipStream_tbENKUlT_T0_SI_SN_E_clISD_SD_SD_SD_EEDaS11_S12_SI_SN_EUlS11_E_NS1_11comp_targetILNS1_3genE3ELNS1_11target_archE908ELNS1_3gpuE7ELNS1_3repE0EEENS1_47radix_sort_onesweep_sort_config_static_selectorELNS0_4arch9wavefront6targetE1EEEvSI_,comdat
	.protected	_ZN7rocprim17ROCPRIM_400000_NS6detail17trampoline_kernelINS0_14default_configENS1_35radix_sort_onesweep_config_selectorIssEEZZNS1_29radix_sort_onesweep_iterationIS3_Lb0EN6thrust23THRUST_200600_302600_NS6detail15normal_iteratorINS8_10device_ptrIsEEEESD_SD_SD_jNS0_19identity_decomposerENS1_16block_id_wrapperIjLb1EEEEE10hipError_tT1_PNSt15iterator_traitsISI_E10value_typeET2_T3_PNSJ_ISO_E10value_typeET4_T5_PST_SU_PNS1_23onesweep_lookback_stateEbbT6_jjT7_P12ihipStream_tbENKUlT_T0_SI_SN_E_clISD_SD_SD_SD_EEDaS11_S12_SI_SN_EUlS11_E_NS1_11comp_targetILNS1_3genE3ELNS1_11target_archE908ELNS1_3gpuE7ELNS1_3repE0EEENS1_47radix_sort_onesweep_sort_config_static_selectorELNS0_4arch9wavefront6targetE1EEEvSI_ ; -- Begin function _ZN7rocprim17ROCPRIM_400000_NS6detail17trampoline_kernelINS0_14default_configENS1_35radix_sort_onesweep_config_selectorIssEEZZNS1_29radix_sort_onesweep_iterationIS3_Lb0EN6thrust23THRUST_200600_302600_NS6detail15normal_iteratorINS8_10device_ptrIsEEEESD_SD_SD_jNS0_19identity_decomposerENS1_16block_id_wrapperIjLb1EEEEE10hipError_tT1_PNSt15iterator_traitsISI_E10value_typeET2_T3_PNSJ_ISO_E10value_typeET4_T5_PST_SU_PNS1_23onesweep_lookback_stateEbbT6_jjT7_P12ihipStream_tbENKUlT_T0_SI_SN_E_clISD_SD_SD_SD_EEDaS11_S12_SI_SN_EUlS11_E_NS1_11comp_targetILNS1_3genE3ELNS1_11target_archE908ELNS1_3gpuE7ELNS1_3repE0EEENS1_47radix_sort_onesweep_sort_config_static_selectorELNS0_4arch9wavefront6targetE1EEEvSI_
	.globl	_ZN7rocprim17ROCPRIM_400000_NS6detail17trampoline_kernelINS0_14default_configENS1_35radix_sort_onesweep_config_selectorIssEEZZNS1_29radix_sort_onesweep_iterationIS3_Lb0EN6thrust23THRUST_200600_302600_NS6detail15normal_iteratorINS8_10device_ptrIsEEEESD_SD_SD_jNS0_19identity_decomposerENS1_16block_id_wrapperIjLb1EEEEE10hipError_tT1_PNSt15iterator_traitsISI_E10value_typeET2_T3_PNSJ_ISO_E10value_typeET4_T5_PST_SU_PNS1_23onesweep_lookback_stateEbbT6_jjT7_P12ihipStream_tbENKUlT_T0_SI_SN_E_clISD_SD_SD_SD_EEDaS11_S12_SI_SN_EUlS11_E_NS1_11comp_targetILNS1_3genE3ELNS1_11target_archE908ELNS1_3gpuE7ELNS1_3repE0EEENS1_47radix_sort_onesweep_sort_config_static_selectorELNS0_4arch9wavefront6targetE1EEEvSI_
	.p2align	8
	.type	_ZN7rocprim17ROCPRIM_400000_NS6detail17trampoline_kernelINS0_14default_configENS1_35radix_sort_onesweep_config_selectorIssEEZZNS1_29radix_sort_onesweep_iterationIS3_Lb0EN6thrust23THRUST_200600_302600_NS6detail15normal_iteratorINS8_10device_ptrIsEEEESD_SD_SD_jNS0_19identity_decomposerENS1_16block_id_wrapperIjLb1EEEEE10hipError_tT1_PNSt15iterator_traitsISI_E10value_typeET2_T3_PNSJ_ISO_E10value_typeET4_T5_PST_SU_PNS1_23onesweep_lookback_stateEbbT6_jjT7_P12ihipStream_tbENKUlT_T0_SI_SN_E_clISD_SD_SD_SD_EEDaS11_S12_SI_SN_EUlS11_E_NS1_11comp_targetILNS1_3genE3ELNS1_11target_archE908ELNS1_3gpuE7ELNS1_3repE0EEENS1_47radix_sort_onesweep_sort_config_static_selectorELNS0_4arch9wavefront6targetE1EEEvSI_,@function
_ZN7rocprim17ROCPRIM_400000_NS6detail17trampoline_kernelINS0_14default_configENS1_35radix_sort_onesweep_config_selectorIssEEZZNS1_29radix_sort_onesweep_iterationIS3_Lb0EN6thrust23THRUST_200600_302600_NS6detail15normal_iteratorINS8_10device_ptrIsEEEESD_SD_SD_jNS0_19identity_decomposerENS1_16block_id_wrapperIjLb1EEEEE10hipError_tT1_PNSt15iterator_traitsISI_E10value_typeET2_T3_PNSJ_ISO_E10value_typeET4_T5_PST_SU_PNS1_23onesweep_lookback_stateEbbT6_jjT7_P12ihipStream_tbENKUlT_T0_SI_SN_E_clISD_SD_SD_SD_EEDaS11_S12_SI_SN_EUlS11_E_NS1_11comp_targetILNS1_3genE3ELNS1_11target_archE908ELNS1_3gpuE7ELNS1_3repE0EEENS1_47radix_sort_onesweep_sort_config_static_selectorELNS0_4arch9wavefront6targetE1EEEvSI_: ; @_ZN7rocprim17ROCPRIM_400000_NS6detail17trampoline_kernelINS0_14default_configENS1_35radix_sort_onesweep_config_selectorIssEEZZNS1_29radix_sort_onesweep_iterationIS3_Lb0EN6thrust23THRUST_200600_302600_NS6detail15normal_iteratorINS8_10device_ptrIsEEEESD_SD_SD_jNS0_19identity_decomposerENS1_16block_id_wrapperIjLb1EEEEE10hipError_tT1_PNSt15iterator_traitsISI_E10value_typeET2_T3_PNSJ_ISO_E10value_typeET4_T5_PST_SU_PNS1_23onesweep_lookback_stateEbbT6_jjT7_P12ihipStream_tbENKUlT_T0_SI_SN_E_clISD_SD_SD_SD_EEDaS11_S12_SI_SN_EUlS11_E_NS1_11comp_targetILNS1_3genE3ELNS1_11target_archE908ELNS1_3gpuE7ELNS1_3repE0EEENS1_47radix_sort_onesweep_sort_config_static_selectorELNS0_4arch9wavefront6targetE1EEEvSI_
; %bb.0:
	.section	.rodata,"a",@progbits
	.p2align	6, 0x0
	.amdhsa_kernel _ZN7rocprim17ROCPRIM_400000_NS6detail17trampoline_kernelINS0_14default_configENS1_35radix_sort_onesweep_config_selectorIssEEZZNS1_29radix_sort_onesweep_iterationIS3_Lb0EN6thrust23THRUST_200600_302600_NS6detail15normal_iteratorINS8_10device_ptrIsEEEESD_SD_SD_jNS0_19identity_decomposerENS1_16block_id_wrapperIjLb1EEEEE10hipError_tT1_PNSt15iterator_traitsISI_E10value_typeET2_T3_PNSJ_ISO_E10value_typeET4_T5_PST_SU_PNS1_23onesweep_lookback_stateEbbT6_jjT7_P12ihipStream_tbENKUlT_T0_SI_SN_E_clISD_SD_SD_SD_EEDaS11_S12_SI_SN_EUlS11_E_NS1_11comp_targetILNS1_3genE3ELNS1_11target_archE908ELNS1_3gpuE7ELNS1_3repE0EEENS1_47radix_sort_onesweep_sort_config_static_selectorELNS0_4arch9wavefront6targetE1EEEvSI_
		.amdhsa_group_segment_fixed_size 0
		.amdhsa_private_segment_fixed_size 0
		.amdhsa_kernarg_size 88
		.amdhsa_user_sgpr_count 2
		.amdhsa_user_sgpr_dispatch_ptr 0
		.amdhsa_user_sgpr_queue_ptr 0
		.amdhsa_user_sgpr_kernarg_segment_ptr 1
		.amdhsa_user_sgpr_dispatch_id 0
		.amdhsa_user_sgpr_kernarg_preload_length 0
		.amdhsa_user_sgpr_kernarg_preload_offset 0
		.amdhsa_user_sgpr_private_segment_size 0
		.amdhsa_uses_dynamic_stack 0
		.amdhsa_enable_private_segment 0
		.amdhsa_system_sgpr_workgroup_id_x 1
		.amdhsa_system_sgpr_workgroup_id_y 0
		.amdhsa_system_sgpr_workgroup_id_z 0
		.amdhsa_system_sgpr_workgroup_info 0
		.amdhsa_system_vgpr_workitem_id 0
		.amdhsa_next_free_vgpr 1
		.amdhsa_next_free_sgpr 0
		.amdhsa_accum_offset 4
		.amdhsa_reserve_vcc 0
		.amdhsa_float_round_mode_32 0
		.amdhsa_float_round_mode_16_64 0
		.amdhsa_float_denorm_mode_32 3
		.amdhsa_float_denorm_mode_16_64 3
		.amdhsa_dx10_clamp 1
		.amdhsa_ieee_mode 1
		.amdhsa_fp16_overflow 0
		.amdhsa_tg_split 0
		.amdhsa_exception_fp_ieee_invalid_op 0
		.amdhsa_exception_fp_denorm_src 0
		.amdhsa_exception_fp_ieee_div_zero 0
		.amdhsa_exception_fp_ieee_overflow 0
		.amdhsa_exception_fp_ieee_underflow 0
		.amdhsa_exception_fp_ieee_inexact 0
		.amdhsa_exception_int_div_zero 0
	.end_amdhsa_kernel
	.section	.text._ZN7rocprim17ROCPRIM_400000_NS6detail17trampoline_kernelINS0_14default_configENS1_35radix_sort_onesweep_config_selectorIssEEZZNS1_29radix_sort_onesweep_iterationIS3_Lb0EN6thrust23THRUST_200600_302600_NS6detail15normal_iteratorINS8_10device_ptrIsEEEESD_SD_SD_jNS0_19identity_decomposerENS1_16block_id_wrapperIjLb1EEEEE10hipError_tT1_PNSt15iterator_traitsISI_E10value_typeET2_T3_PNSJ_ISO_E10value_typeET4_T5_PST_SU_PNS1_23onesweep_lookback_stateEbbT6_jjT7_P12ihipStream_tbENKUlT_T0_SI_SN_E_clISD_SD_SD_SD_EEDaS11_S12_SI_SN_EUlS11_E_NS1_11comp_targetILNS1_3genE3ELNS1_11target_archE908ELNS1_3gpuE7ELNS1_3repE0EEENS1_47radix_sort_onesweep_sort_config_static_selectorELNS0_4arch9wavefront6targetE1EEEvSI_,"axG",@progbits,_ZN7rocprim17ROCPRIM_400000_NS6detail17trampoline_kernelINS0_14default_configENS1_35radix_sort_onesweep_config_selectorIssEEZZNS1_29radix_sort_onesweep_iterationIS3_Lb0EN6thrust23THRUST_200600_302600_NS6detail15normal_iteratorINS8_10device_ptrIsEEEESD_SD_SD_jNS0_19identity_decomposerENS1_16block_id_wrapperIjLb1EEEEE10hipError_tT1_PNSt15iterator_traitsISI_E10value_typeET2_T3_PNSJ_ISO_E10value_typeET4_T5_PST_SU_PNS1_23onesweep_lookback_stateEbbT6_jjT7_P12ihipStream_tbENKUlT_T0_SI_SN_E_clISD_SD_SD_SD_EEDaS11_S12_SI_SN_EUlS11_E_NS1_11comp_targetILNS1_3genE3ELNS1_11target_archE908ELNS1_3gpuE7ELNS1_3repE0EEENS1_47radix_sort_onesweep_sort_config_static_selectorELNS0_4arch9wavefront6targetE1EEEvSI_,comdat
.Lfunc_end1647:
	.size	_ZN7rocprim17ROCPRIM_400000_NS6detail17trampoline_kernelINS0_14default_configENS1_35radix_sort_onesweep_config_selectorIssEEZZNS1_29radix_sort_onesweep_iterationIS3_Lb0EN6thrust23THRUST_200600_302600_NS6detail15normal_iteratorINS8_10device_ptrIsEEEESD_SD_SD_jNS0_19identity_decomposerENS1_16block_id_wrapperIjLb1EEEEE10hipError_tT1_PNSt15iterator_traitsISI_E10value_typeET2_T3_PNSJ_ISO_E10value_typeET4_T5_PST_SU_PNS1_23onesweep_lookback_stateEbbT6_jjT7_P12ihipStream_tbENKUlT_T0_SI_SN_E_clISD_SD_SD_SD_EEDaS11_S12_SI_SN_EUlS11_E_NS1_11comp_targetILNS1_3genE3ELNS1_11target_archE908ELNS1_3gpuE7ELNS1_3repE0EEENS1_47radix_sort_onesweep_sort_config_static_selectorELNS0_4arch9wavefront6targetE1EEEvSI_, .Lfunc_end1647-_ZN7rocprim17ROCPRIM_400000_NS6detail17trampoline_kernelINS0_14default_configENS1_35radix_sort_onesweep_config_selectorIssEEZZNS1_29radix_sort_onesweep_iterationIS3_Lb0EN6thrust23THRUST_200600_302600_NS6detail15normal_iteratorINS8_10device_ptrIsEEEESD_SD_SD_jNS0_19identity_decomposerENS1_16block_id_wrapperIjLb1EEEEE10hipError_tT1_PNSt15iterator_traitsISI_E10value_typeET2_T3_PNSJ_ISO_E10value_typeET4_T5_PST_SU_PNS1_23onesweep_lookback_stateEbbT6_jjT7_P12ihipStream_tbENKUlT_T0_SI_SN_E_clISD_SD_SD_SD_EEDaS11_S12_SI_SN_EUlS11_E_NS1_11comp_targetILNS1_3genE3ELNS1_11target_archE908ELNS1_3gpuE7ELNS1_3repE0EEENS1_47radix_sort_onesweep_sort_config_static_selectorELNS0_4arch9wavefront6targetE1EEEvSI_
                                        ; -- End function
	.set _ZN7rocprim17ROCPRIM_400000_NS6detail17trampoline_kernelINS0_14default_configENS1_35radix_sort_onesweep_config_selectorIssEEZZNS1_29radix_sort_onesweep_iterationIS3_Lb0EN6thrust23THRUST_200600_302600_NS6detail15normal_iteratorINS8_10device_ptrIsEEEESD_SD_SD_jNS0_19identity_decomposerENS1_16block_id_wrapperIjLb1EEEEE10hipError_tT1_PNSt15iterator_traitsISI_E10value_typeET2_T3_PNSJ_ISO_E10value_typeET4_T5_PST_SU_PNS1_23onesweep_lookback_stateEbbT6_jjT7_P12ihipStream_tbENKUlT_T0_SI_SN_E_clISD_SD_SD_SD_EEDaS11_S12_SI_SN_EUlS11_E_NS1_11comp_targetILNS1_3genE3ELNS1_11target_archE908ELNS1_3gpuE7ELNS1_3repE0EEENS1_47radix_sort_onesweep_sort_config_static_selectorELNS0_4arch9wavefront6targetE1EEEvSI_.num_vgpr, 0
	.set _ZN7rocprim17ROCPRIM_400000_NS6detail17trampoline_kernelINS0_14default_configENS1_35radix_sort_onesweep_config_selectorIssEEZZNS1_29radix_sort_onesweep_iterationIS3_Lb0EN6thrust23THRUST_200600_302600_NS6detail15normal_iteratorINS8_10device_ptrIsEEEESD_SD_SD_jNS0_19identity_decomposerENS1_16block_id_wrapperIjLb1EEEEE10hipError_tT1_PNSt15iterator_traitsISI_E10value_typeET2_T3_PNSJ_ISO_E10value_typeET4_T5_PST_SU_PNS1_23onesweep_lookback_stateEbbT6_jjT7_P12ihipStream_tbENKUlT_T0_SI_SN_E_clISD_SD_SD_SD_EEDaS11_S12_SI_SN_EUlS11_E_NS1_11comp_targetILNS1_3genE3ELNS1_11target_archE908ELNS1_3gpuE7ELNS1_3repE0EEENS1_47radix_sort_onesweep_sort_config_static_selectorELNS0_4arch9wavefront6targetE1EEEvSI_.num_agpr, 0
	.set _ZN7rocprim17ROCPRIM_400000_NS6detail17trampoline_kernelINS0_14default_configENS1_35radix_sort_onesweep_config_selectorIssEEZZNS1_29radix_sort_onesweep_iterationIS3_Lb0EN6thrust23THRUST_200600_302600_NS6detail15normal_iteratorINS8_10device_ptrIsEEEESD_SD_SD_jNS0_19identity_decomposerENS1_16block_id_wrapperIjLb1EEEEE10hipError_tT1_PNSt15iterator_traitsISI_E10value_typeET2_T3_PNSJ_ISO_E10value_typeET4_T5_PST_SU_PNS1_23onesweep_lookback_stateEbbT6_jjT7_P12ihipStream_tbENKUlT_T0_SI_SN_E_clISD_SD_SD_SD_EEDaS11_S12_SI_SN_EUlS11_E_NS1_11comp_targetILNS1_3genE3ELNS1_11target_archE908ELNS1_3gpuE7ELNS1_3repE0EEENS1_47radix_sort_onesweep_sort_config_static_selectorELNS0_4arch9wavefront6targetE1EEEvSI_.numbered_sgpr, 0
	.set _ZN7rocprim17ROCPRIM_400000_NS6detail17trampoline_kernelINS0_14default_configENS1_35radix_sort_onesweep_config_selectorIssEEZZNS1_29radix_sort_onesweep_iterationIS3_Lb0EN6thrust23THRUST_200600_302600_NS6detail15normal_iteratorINS8_10device_ptrIsEEEESD_SD_SD_jNS0_19identity_decomposerENS1_16block_id_wrapperIjLb1EEEEE10hipError_tT1_PNSt15iterator_traitsISI_E10value_typeET2_T3_PNSJ_ISO_E10value_typeET4_T5_PST_SU_PNS1_23onesweep_lookback_stateEbbT6_jjT7_P12ihipStream_tbENKUlT_T0_SI_SN_E_clISD_SD_SD_SD_EEDaS11_S12_SI_SN_EUlS11_E_NS1_11comp_targetILNS1_3genE3ELNS1_11target_archE908ELNS1_3gpuE7ELNS1_3repE0EEENS1_47radix_sort_onesweep_sort_config_static_selectorELNS0_4arch9wavefront6targetE1EEEvSI_.num_named_barrier, 0
	.set _ZN7rocprim17ROCPRIM_400000_NS6detail17trampoline_kernelINS0_14default_configENS1_35radix_sort_onesweep_config_selectorIssEEZZNS1_29radix_sort_onesweep_iterationIS3_Lb0EN6thrust23THRUST_200600_302600_NS6detail15normal_iteratorINS8_10device_ptrIsEEEESD_SD_SD_jNS0_19identity_decomposerENS1_16block_id_wrapperIjLb1EEEEE10hipError_tT1_PNSt15iterator_traitsISI_E10value_typeET2_T3_PNSJ_ISO_E10value_typeET4_T5_PST_SU_PNS1_23onesweep_lookback_stateEbbT6_jjT7_P12ihipStream_tbENKUlT_T0_SI_SN_E_clISD_SD_SD_SD_EEDaS11_S12_SI_SN_EUlS11_E_NS1_11comp_targetILNS1_3genE3ELNS1_11target_archE908ELNS1_3gpuE7ELNS1_3repE0EEENS1_47radix_sort_onesweep_sort_config_static_selectorELNS0_4arch9wavefront6targetE1EEEvSI_.private_seg_size, 0
	.set _ZN7rocprim17ROCPRIM_400000_NS6detail17trampoline_kernelINS0_14default_configENS1_35radix_sort_onesweep_config_selectorIssEEZZNS1_29radix_sort_onesweep_iterationIS3_Lb0EN6thrust23THRUST_200600_302600_NS6detail15normal_iteratorINS8_10device_ptrIsEEEESD_SD_SD_jNS0_19identity_decomposerENS1_16block_id_wrapperIjLb1EEEEE10hipError_tT1_PNSt15iterator_traitsISI_E10value_typeET2_T3_PNSJ_ISO_E10value_typeET4_T5_PST_SU_PNS1_23onesweep_lookback_stateEbbT6_jjT7_P12ihipStream_tbENKUlT_T0_SI_SN_E_clISD_SD_SD_SD_EEDaS11_S12_SI_SN_EUlS11_E_NS1_11comp_targetILNS1_3genE3ELNS1_11target_archE908ELNS1_3gpuE7ELNS1_3repE0EEENS1_47radix_sort_onesweep_sort_config_static_selectorELNS0_4arch9wavefront6targetE1EEEvSI_.uses_vcc, 0
	.set _ZN7rocprim17ROCPRIM_400000_NS6detail17trampoline_kernelINS0_14default_configENS1_35radix_sort_onesweep_config_selectorIssEEZZNS1_29radix_sort_onesweep_iterationIS3_Lb0EN6thrust23THRUST_200600_302600_NS6detail15normal_iteratorINS8_10device_ptrIsEEEESD_SD_SD_jNS0_19identity_decomposerENS1_16block_id_wrapperIjLb1EEEEE10hipError_tT1_PNSt15iterator_traitsISI_E10value_typeET2_T3_PNSJ_ISO_E10value_typeET4_T5_PST_SU_PNS1_23onesweep_lookback_stateEbbT6_jjT7_P12ihipStream_tbENKUlT_T0_SI_SN_E_clISD_SD_SD_SD_EEDaS11_S12_SI_SN_EUlS11_E_NS1_11comp_targetILNS1_3genE3ELNS1_11target_archE908ELNS1_3gpuE7ELNS1_3repE0EEENS1_47radix_sort_onesweep_sort_config_static_selectorELNS0_4arch9wavefront6targetE1EEEvSI_.uses_flat_scratch, 0
	.set _ZN7rocprim17ROCPRIM_400000_NS6detail17trampoline_kernelINS0_14default_configENS1_35radix_sort_onesweep_config_selectorIssEEZZNS1_29radix_sort_onesweep_iterationIS3_Lb0EN6thrust23THRUST_200600_302600_NS6detail15normal_iteratorINS8_10device_ptrIsEEEESD_SD_SD_jNS0_19identity_decomposerENS1_16block_id_wrapperIjLb1EEEEE10hipError_tT1_PNSt15iterator_traitsISI_E10value_typeET2_T3_PNSJ_ISO_E10value_typeET4_T5_PST_SU_PNS1_23onesweep_lookback_stateEbbT6_jjT7_P12ihipStream_tbENKUlT_T0_SI_SN_E_clISD_SD_SD_SD_EEDaS11_S12_SI_SN_EUlS11_E_NS1_11comp_targetILNS1_3genE3ELNS1_11target_archE908ELNS1_3gpuE7ELNS1_3repE0EEENS1_47radix_sort_onesweep_sort_config_static_selectorELNS0_4arch9wavefront6targetE1EEEvSI_.has_dyn_sized_stack, 0
	.set _ZN7rocprim17ROCPRIM_400000_NS6detail17trampoline_kernelINS0_14default_configENS1_35radix_sort_onesweep_config_selectorIssEEZZNS1_29radix_sort_onesweep_iterationIS3_Lb0EN6thrust23THRUST_200600_302600_NS6detail15normal_iteratorINS8_10device_ptrIsEEEESD_SD_SD_jNS0_19identity_decomposerENS1_16block_id_wrapperIjLb1EEEEE10hipError_tT1_PNSt15iterator_traitsISI_E10value_typeET2_T3_PNSJ_ISO_E10value_typeET4_T5_PST_SU_PNS1_23onesweep_lookback_stateEbbT6_jjT7_P12ihipStream_tbENKUlT_T0_SI_SN_E_clISD_SD_SD_SD_EEDaS11_S12_SI_SN_EUlS11_E_NS1_11comp_targetILNS1_3genE3ELNS1_11target_archE908ELNS1_3gpuE7ELNS1_3repE0EEENS1_47radix_sort_onesweep_sort_config_static_selectorELNS0_4arch9wavefront6targetE1EEEvSI_.has_recursion, 0
	.set _ZN7rocprim17ROCPRIM_400000_NS6detail17trampoline_kernelINS0_14default_configENS1_35radix_sort_onesweep_config_selectorIssEEZZNS1_29radix_sort_onesweep_iterationIS3_Lb0EN6thrust23THRUST_200600_302600_NS6detail15normal_iteratorINS8_10device_ptrIsEEEESD_SD_SD_jNS0_19identity_decomposerENS1_16block_id_wrapperIjLb1EEEEE10hipError_tT1_PNSt15iterator_traitsISI_E10value_typeET2_T3_PNSJ_ISO_E10value_typeET4_T5_PST_SU_PNS1_23onesweep_lookback_stateEbbT6_jjT7_P12ihipStream_tbENKUlT_T0_SI_SN_E_clISD_SD_SD_SD_EEDaS11_S12_SI_SN_EUlS11_E_NS1_11comp_targetILNS1_3genE3ELNS1_11target_archE908ELNS1_3gpuE7ELNS1_3repE0EEENS1_47radix_sort_onesweep_sort_config_static_selectorELNS0_4arch9wavefront6targetE1EEEvSI_.has_indirect_call, 0
	.section	.AMDGPU.csdata,"",@progbits
; Kernel info:
; codeLenInByte = 0
; TotalNumSgprs: 6
; NumVgprs: 0
; NumAgprs: 0
; TotalNumVgprs: 0
; ScratchSize: 0
; MemoryBound: 0
; FloatMode: 240
; IeeeMode: 1
; LDSByteSize: 0 bytes/workgroup (compile time only)
; SGPRBlocks: 0
; VGPRBlocks: 0
; NumSGPRsForWavesPerEU: 6
; NumVGPRsForWavesPerEU: 1
; AccumOffset: 4
; Occupancy: 8
; WaveLimiterHint : 0
; COMPUTE_PGM_RSRC2:SCRATCH_EN: 0
; COMPUTE_PGM_RSRC2:USER_SGPR: 2
; COMPUTE_PGM_RSRC2:TRAP_HANDLER: 0
; COMPUTE_PGM_RSRC2:TGID_X_EN: 1
; COMPUTE_PGM_RSRC2:TGID_Y_EN: 0
; COMPUTE_PGM_RSRC2:TGID_Z_EN: 0
; COMPUTE_PGM_RSRC2:TIDIG_COMP_CNT: 0
; COMPUTE_PGM_RSRC3_GFX90A:ACCUM_OFFSET: 0
; COMPUTE_PGM_RSRC3_GFX90A:TG_SPLIT: 0
	.section	.text._ZN7rocprim17ROCPRIM_400000_NS6detail17trampoline_kernelINS0_14default_configENS1_35radix_sort_onesweep_config_selectorIssEEZZNS1_29radix_sort_onesweep_iterationIS3_Lb0EN6thrust23THRUST_200600_302600_NS6detail15normal_iteratorINS8_10device_ptrIsEEEESD_SD_SD_jNS0_19identity_decomposerENS1_16block_id_wrapperIjLb1EEEEE10hipError_tT1_PNSt15iterator_traitsISI_E10value_typeET2_T3_PNSJ_ISO_E10value_typeET4_T5_PST_SU_PNS1_23onesweep_lookback_stateEbbT6_jjT7_P12ihipStream_tbENKUlT_T0_SI_SN_E_clISD_SD_SD_SD_EEDaS11_S12_SI_SN_EUlS11_E_NS1_11comp_targetILNS1_3genE10ELNS1_11target_archE1201ELNS1_3gpuE5ELNS1_3repE0EEENS1_47radix_sort_onesweep_sort_config_static_selectorELNS0_4arch9wavefront6targetE1EEEvSI_,"axG",@progbits,_ZN7rocprim17ROCPRIM_400000_NS6detail17trampoline_kernelINS0_14default_configENS1_35radix_sort_onesweep_config_selectorIssEEZZNS1_29radix_sort_onesweep_iterationIS3_Lb0EN6thrust23THRUST_200600_302600_NS6detail15normal_iteratorINS8_10device_ptrIsEEEESD_SD_SD_jNS0_19identity_decomposerENS1_16block_id_wrapperIjLb1EEEEE10hipError_tT1_PNSt15iterator_traitsISI_E10value_typeET2_T3_PNSJ_ISO_E10value_typeET4_T5_PST_SU_PNS1_23onesweep_lookback_stateEbbT6_jjT7_P12ihipStream_tbENKUlT_T0_SI_SN_E_clISD_SD_SD_SD_EEDaS11_S12_SI_SN_EUlS11_E_NS1_11comp_targetILNS1_3genE10ELNS1_11target_archE1201ELNS1_3gpuE5ELNS1_3repE0EEENS1_47radix_sort_onesweep_sort_config_static_selectorELNS0_4arch9wavefront6targetE1EEEvSI_,comdat
	.protected	_ZN7rocprim17ROCPRIM_400000_NS6detail17trampoline_kernelINS0_14default_configENS1_35radix_sort_onesweep_config_selectorIssEEZZNS1_29radix_sort_onesweep_iterationIS3_Lb0EN6thrust23THRUST_200600_302600_NS6detail15normal_iteratorINS8_10device_ptrIsEEEESD_SD_SD_jNS0_19identity_decomposerENS1_16block_id_wrapperIjLb1EEEEE10hipError_tT1_PNSt15iterator_traitsISI_E10value_typeET2_T3_PNSJ_ISO_E10value_typeET4_T5_PST_SU_PNS1_23onesweep_lookback_stateEbbT6_jjT7_P12ihipStream_tbENKUlT_T0_SI_SN_E_clISD_SD_SD_SD_EEDaS11_S12_SI_SN_EUlS11_E_NS1_11comp_targetILNS1_3genE10ELNS1_11target_archE1201ELNS1_3gpuE5ELNS1_3repE0EEENS1_47radix_sort_onesweep_sort_config_static_selectorELNS0_4arch9wavefront6targetE1EEEvSI_ ; -- Begin function _ZN7rocprim17ROCPRIM_400000_NS6detail17trampoline_kernelINS0_14default_configENS1_35radix_sort_onesweep_config_selectorIssEEZZNS1_29radix_sort_onesweep_iterationIS3_Lb0EN6thrust23THRUST_200600_302600_NS6detail15normal_iteratorINS8_10device_ptrIsEEEESD_SD_SD_jNS0_19identity_decomposerENS1_16block_id_wrapperIjLb1EEEEE10hipError_tT1_PNSt15iterator_traitsISI_E10value_typeET2_T3_PNSJ_ISO_E10value_typeET4_T5_PST_SU_PNS1_23onesweep_lookback_stateEbbT6_jjT7_P12ihipStream_tbENKUlT_T0_SI_SN_E_clISD_SD_SD_SD_EEDaS11_S12_SI_SN_EUlS11_E_NS1_11comp_targetILNS1_3genE10ELNS1_11target_archE1201ELNS1_3gpuE5ELNS1_3repE0EEENS1_47radix_sort_onesweep_sort_config_static_selectorELNS0_4arch9wavefront6targetE1EEEvSI_
	.globl	_ZN7rocprim17ROCPRIM_400000_NS6detail17trampoline_kernelINS0_14default_configENS1_35radix_sort_onesweep_config_selectorIssEEZZNS1_29radix_sort_onesweep_iterationIS3_Lb0EN6thrust23THRUST_200600_302600_NS6detail15normal_iteratorINS8_10device_ptrIsEEEESD_SD_SD_jNS0_19identity_decomposerENS1_16block_id_wrapperIjLb1EEEEE10hipError_tT1_PNSt15iterator_traitsISI_E10value_typeET2_T3_PNSJ_ISO_E10value_typeET4_T5_PST_SU_PNS1_23onesweep_lookback_stateEbbT6_jjT7_P12ihipStream_tbENKUlT_T0_SI_SN_E_clISD_SD_SD_SD_EEDaS11_S12_SI_SN_EUlS11_E_NS1_11comp_targetILNS1_3genE10ELNS1_11target_archE1201ELNS1_3gpuE5ELNS1_3repE0EEENS1_47radix_sort_onesweep_sort_config_static_selectorELNS0_4arch9wavefront6targetE1EEEvSI_
	.p2align	8
	.type	_ZN7rocprim17ROCPRIM_400000_NS6detail17trampoline_kernelINS0_14default_configENS1_35radix_sort_onesweep_config_selectorIssEEZZNS1_29radix_sort_onesweep_iterationIS3_Lb0EN6thrust23THRUST_200600_302600_NS6detail15normal_iteratorINS8_10device_ptrIsEEEESD_SD_SD_jNS0_19identity_decomposerENS1_16block_id_wrapperIjLb1EEEEE10hipError_tT1_PNSt15iterator_traitsISI_E10value_typeET2_T3_PNSJ_ISO_E10value_typeET4_T5_PST_SU_PNS1_23onesweep_lookback_stateEbbT6_jjT7_P12ihipStream_tbENKUlT_T0_SI_SN_E_clISD_SD_SD_SD_EEDaS11_S12_SI_SN_EUlS11_E_NS1_11comp_targetILNS1_3genE10ELNS1_11target_archE1201ELNS1_3gpuE5ELNS1_3repE0EEENS1_47radix_sort_onesweep_sort_config_static_selectorELNS0_4arch9wavefront6targetE1EEEvSI_,@function
_ZN7rocprim17ROCPRIM_400000_NS6detail17trampoline_kernelINS0_14default_configENS1_35radix_sort_onesweep_config_selectorIssEEZZNS1_29radix_sort_onesweep_iterationIS3_Lb0EN6thrust23THRUST_200600_302600_NS6detail15normal_iteratorINS8_10device_ptrIsEEEESD_SD_SD_jNS0_19identity_decomposerENS1_16block_id_wrapperIjLb1EEEEE10hipError_tT1_PNSt15iterator_traitsISI_E10value_typeET2_T3_PNSJ_ISO_E10value_typeET4_T5_PST_SU_PNS1_23onesweep_lookback_stateEbbT6_jjT7_P12ihipStream_tbENKUlT_T0_SI_SN_E_clISD_SD_SD_SD_EEDaS11_S12_SI_SN_EUlS11_E_NS1_11comp_targetILNS1_3genE10ELNS1_11target_archE1201ELNS1_3gpuE5ELNS1_3repE0EEENS1_47radix_sort_onesweep_sort_config_static_selectorELNS0_4arch9wavefront6targetE1EEEvSI_: ; @_ZN7rocprim17ROCPRIM_400000_NS6detail17trampoline_kernelINS0_14default_configENS1_35radix_sort_onesweep_config_selectorIssEEZZNS1_29radix_sort_onesweep_iterationIS3_Lb0EN6thrust23THRUST_200600_302600_NS6detail15normal_iteratorINS8_10device_ptrIsEEEESD_SD_SD_jNS0_19identity_decomposerENS1_16block_id_wrapperIjLb1EEEEE10hipError_tT1_PNSt15iterator_traitsISI_E10value_typeET2_T3_PNSJ_ISO_E10value_typeET4_T5_PST_SU_PNS1_23onesweep_lookback_stateEbbT6_jjT7_P12ihipStream_tbENKUlT_T0_SI_SN_E_clISD_SD_SD_SD_EEDaS11_S12_SI_SN_EUlS11_E_NS1_11comp_targetILNS1_3genE10ELNS1_11target_archE1201ELNS1_3gpuE5ELNS1_3repE0EEENS1_47radix_sort_onesweep_sort_config_static_selectorELNS0_4arch9wavefront6targetE1EEEvSI_
; %bb.0:
	.section	.rodata,"a",@progbits
	.p2align	6, 0x0
	.amdhsa_kernel _ZN7rocprim17ROCPRIM_400000_NS6detail17trampoline_kernelINS0_14default_configENS1_35radix_sort_onesweep_config_selectorIssEEZZNS1_29radix_sort_onesweep_iterationIS3_Lb0EN6thrust23THRUST_200600_302600_NS6detail15normal_iteratorINS8_10device_ptrIsEEEESD_SD_SD_jNS0_19identity_decomposerENS1_16block_id_wrapperIjLb1EEEEE10hipError_tT1_PNSt15iterator_traitsISI_E10value_typeET2_T3_PNSJ_ISO_E10value_typeET4_T5_PST_SU_PNS1_23onesweep_lookback_stateEbbT6_jjT7_P12ihipStream_tbENKUlT_T0_SI_SN_E_clISD_SD_SD_SD_EEDaS11_S12_SI_SN_EUlS11_E_NS1_11comp_targetILNS1_3genE10ELNS1_11target_archE1201ELNS1_3gpuE5ELNS1_3repE0EEENS1_47radix_sort_onesweep_sort_config_static_selectorELNS0_4arch9wavefront6targetE1EEEvSI_
		.amdhsa_group_segment_fixed_size 0
		.amdhsa_private_segment_fixed_size 0
		.amdhsa_kernarg_size 88
		.amdhsa_user_sgpr_count 2
		.amdhsa_user_sgpr_dispatch_ptr 0
		.amdhsa_user_sgpr_queue_ptr 0
		.amdhsa_user_sgpr_kernarg_segment_ptr 1
		.amdhsa_user_sgpr_dispatch_id 0
		.amdhsa_user_sgpr_kernarg_preload_length 0
		.amdhsa_user_sgpr_kernarg_preload_offset 0
		.amdhsa_user_sgpr_private_segment_size 0
		.amdhsa_uses_dynamic_stack 0
		.amdhsa_enable_private_segment 0
		.amdhsa_system_sgpr_workgroup_id_x 1
		.amdhsa_system_sgpr_workgroup_id_y 0
		.amdhsa_system_sgpr_workgroup_id_z 0
		.amdhsa_system_sgpr_workgroup_info 0
		.amdhsa_system_vgpr_workitem_id 0
		.amdhsa_next_free_vgpr 1
		.amdhsa_next_free_sgpr 0
		.amdhsa_accum_offset 4
		.amdhsa_reserve_vcc 0
		.amdhsa_float_round_mode_32 0
		.amdhsa_float_round_mode_16_64 0
		.amdhsa_float_denorm_mode_32 3
		.amdhsa_float_denorm_mode_16_64 3
		.amdhsa_dx10_clamp 1
		.amdhsa_ieee_mode 1
		.amdhsa_fp16_overflow 0
		.amdhsa_tg_split 0
		.amdhsa_exception_fp_ieee_invalid_op 0
		.amdhsa_exception_fp_denorm_src 0
		.amdhsa_exception_fp_ieee_div_zero 0
		.amdhsa_exception_fp_ieee_overflow 0
		.amdhsa_exception_fp_ieee_underflow 0
		.amdhsa_exception_fp_ieee_inexact 0
		.amdhsa_exception_int_div_zero 0
	.end_amdhsa_kernel
	.section	.text._ZN7rocprim17ROCPRIM_400000_NS6detail17trampoline_kernelINS0_14default_configENS1_35radix_sort_onesweep_config_selectorIssEEZZNS1_29radix_sort_onesweep_iterationIS3_Lb0EN6thrust23THRUST_200600_302600_NS6detail15normal_iteratorINS8_10device_ptrIsEEEESD_SD_SD_jNS0_19identity_decomposerENS1_16block_id_wrapperIjLb1EEEEE10hipError_tT1_PNSt15iterator_traitsISI_E10value_typeET2_T3_PNSJ_ISO_E10value_typeET4_T5_PST_SU_PNS1_23onesweep_lookback_stateEbbT6_jjT7_P12ihipStream_tbENKUlT_T0_SI_SN_E_clISD_SD_SD_SD_EEDaS11_S12_SI_SN_EUlS11_E_NS1_11comp_targetILNS1_3genE10ELNS1_11target_archE1201ELNS1_3gpuE5ELNS1_3repE0EEENS1_47radix_sort_onesweep_sort_config_static_selectorELNS0_4arch9wavefront6targetE1EEEvSI_,"axG",@progbits,_ZN7rocprim17ROCPRIM_400000_NS6detail17trampoline_kernelINS0_14default_configENS1_35radix_sort_onesweep_config_selectorIssEEZZNS1_29radix_sort_onesweep_iterationIS3_Lb0EN6thrust23THRUST_200600_302600_NS6detail15normal_iteratorINS8_10device_ptrIsEEEESD_SD_SD_jNS0_19identity_decomposerENS1_16block_id_wrapperIjLb1EEEEE10hipError_tT1_PNSt15iterator_traitsISI_E10value_typeET2_T3_PNSJ_ISO_E10value_typeET4_T5_PST_SU_PNS1_23onesweep_lookback_stateEbbT6_jjT7_P12ihipStream_tbENKUlT_T0_SI_SN_E_clISD_SD_SD_SD_EEDaS11_S12_SI_SN_EUlS11_E_NS1_11comp_targetILNS1_3genE10ELNS1_11target_archE1201ELNS1_3gpuE5ELNS1_3repE0EEENS1_47radix_sort_onesweep_sort_config_static_selectorELNS0_4arch9wavefront6targetE1EEEvSI_,comdat
.Lfunc_end1648:
	.size	_ZN7rocprim17ROCPRIM_400000_NS6detail17trampoline_kernelINS0_14default_configENS1_35radix_sort_onesweep_config_selectorIssEEZZNS1_29radix_sort_onesweep_iterationIS3_Lb0EN6thrust23THRUST_200600_302600_NS6detail15normal_iteratorINS8_10device_ptrIsEEEESD_SD_SD_jNS0_19identity_decomposerENS1_16block_id_wrapperIjLb1EEEEE10hipError_tT1_PNSt15iterator_traitsISI_E10value_typeET2_T3_PNSJ_ISO_E10value_typeET4_T5_PST_SU_PNS1_23onesweep_lookback_stateEbbT6_jjT7_P12ihipStream_tbENKUlT_T0_SI_SN_E_clISD_SD_SD_SD_EEDaS11_S12_SI_SN_EUlS11_E_NS1_11comp_targetILNS1_3genE10ELNS1_11target_archE1201ELNS1_3gpuE5ELNS1_3repE0EEENS1_47radix_sort_onesweep_sort_config_static_selectorELNS0_4arch9wavefront6targetE1EEEvSI_, .Lfunc_end1648-_ZN7rocprim17ROCPRIM_400000_NS6detail17trampoline_kernelINS0_14default_configENS1_35radix_sort_onesweep_config_selectorIssEEZZNS1_29radix_sort_onesweep_iterationIS3_Lb0EN6thrust23THRUST_200600_302600_NS6detail15normal_iteratorINS8_10device_ptrIsEEEESD_SD_SD_jNS0_19identity_decomposerENS1_16block_id_wrapperIjLb1EEEEE10hipError_tT1_PNSt15iterator_traitsISI_E10value_typeET2_T3_PNSJ_ISO_E10value_typeET4_T5_PST_SU_PNS1_23onesweep_lookback_stateEbbT6_jjT7_P12ihipStream_tbENKUlT_T0_SI_SN_E_clISD_SD_SD_SD_EEDaS11_S12_SI_SN_EUlS11_E_NS1_11comp_targetILNS1_3genE10ELNS1_11target_archE1201ELNS1_3gpuE5ELNS1_3repE0EEENS1_47radix_sort_onesweep_sort_config_static_selectorELNS0_4arch9wavefront6targetE1EEEvSI_
                                        ; -- End function
	.set _ZN7rocprim17ROCPRIM_400000_NS6detail17trampoline_kernelINS0_14default_configENS1_35radix_sort_onesweep_config_selectorIssEEZZNS1_29radix_sort_onesweep_iterationIS3_Lb0EN6thrust23THRUST_200600_302600_NS6detail15normal_iteratorINS8_10device_ptrIsEEEESD_SD_SD_jNS0_19identity_decomposerENS1_16block_id_wrapperIjLb1EEEEE10hipError_tT1_PNSt15iterator_traitsISI_E10value_typeET2_T3_PNSJ_ISO_E10value_typeET4_T5_PST_SU_PNS1_23onesweep_lookback_stateEbbT6_jjT7_P12ihipStream_tbENKUlT_T0_SI_SN_E_clISD_SD_SD_SD_EEDaS11_S12_SI_SN_EUlS11_E_NS1_11comp_targetILNS1_3genE10ELNS1_11target_archE1201ELNS1_3gpuE5ELNS1_3repE0EEENS1_47radix_sort_onesweep_sort_config_static_selectorELNS0_4arch9wavefront6targetE1EEEvSI_.num_vgpr, 0
	.set _ZN7rocprim17ROCPRIM_400000_NS6detail17trampoline_kernelINS0_14default_configENS1_35radix_sort_onesweep_config_selectorIssEEZZNS1_29radix_sort_onesweep_iterationIS3_Lb0EN6thrust23THRUST_200600_302600_NS6detail15normal_iteratorINS8_10device_ptrIsEEEESD_SD_SD_jNS0_19identity_decomposerENS1_16block_id_wrapperIjLb1EEEEE10hipError_tT1_PNSt15iterator_traitsISI_E10value_typeET2_T3_PNSJ_ISO_E10value_typeET4_T5_PST_SU_PNS1_23onesweep_lookback_stateEbbT6_jjT7_P12ihipStream_tbENKUlT_T0_SI_SN_E_clISD_SD_SD_SD_EEDaS11_S12_SI_SN_EUlS11_E_NS1_11comp_targetILNS1_3genE10ELNS1_11target_archE1201ELNS1_3gpuE5ELNS1_3repE0EEENS1_47radix_sort_onesweep_sort_config_static_selectorELNS0_4arch9wavefront6targetE1EEEvSI_.num_agpr, 0
	.set _ZN7rocprim17ROCPRIM_400000_NS6detail17trampoline_kernelINS0_14default_configENS1_35radix_sort_onesweep_config_selectorIssEEZZNS1_29radix_sort_onesweep_iterationIS3_Lb0EN6thrust23THRUST_200600_302600_NS6detail15normal_iteratorINS8_10device_ptrIsEEEESD_SD_SD_jNS0_19identity_decomposerENS1_16block_id_wrapperIjLb1EEEEE10hipError_tT1_PNSt15iterator_traitsISI_E10value_typeET2_T3_PNSJ_ISO_E10value_typeET4_T5_PST_SU_PNS1_23onesweep_lookback_stateEbbT6_jjT7_P12ihipStream_tbENKUlT_T0_SI_SN_E_clISD_SD_SD_SD_EEDaS11_S12_SI_SN_EUlS11_E_NS1_11comp_targetILNS1_3genE10ELNS1_11target_archE1201ELNS1_3gpuE5ELNS1_3repE0EEENS1_47radix_sort_onesweep_sort_config_static_selectorELNS0_4arch9wavefront6targetE1EEEvSI_.numbered_sgpr, 0
	.set _ZN7rocprim17ROCPRIM_400000_NS6detail17trampoline_kernelINS0_14default_configENS1_35radix_sort_onesweep_config_selectorIssEEZZNS1_29radix_sort_onesweep_iterationIS3_Lb0EN6thrust23THRUST_200600_302600_NS6detail15normal_iteratorINS8_10device_ptrIsEEEESD_SD_SD_jNS0_19identity_decomposerENS1_16block_id_wrapperIjLb1EEEEE10hipError_tT1_PNSt15iterator_traitsISI_E10value_typeET2_T3_PNSJ_ISO_E10value_typeET4_T5_PST_SU_PNS1_23onesweep_lookback_stateEbbT6_jjT7_P12ihipStream_tbENKUlT_T0_SI_SN_E_clISD_SD_SD_SD_EEDaS11_S12_SI_SN_EUlS11_E_NS1_11comp_targetILNS1_3genE10ELNS1_11target_archE1201ELNS1_3gpuE5ELNS1_3repE0EEENS1_47radix_sort_onesweep_sort_config_static_selectorELNS0_4arch9wavefront6targetE1EEEvSI_.num_named_barrier, 0
	.set _ZN7rocprim17ROCPRIM_400000_NS6detail17trampoline_kernelINS0_14default_configENS1_35radix_sort_onesweep_config_selectorIssEEZZNS1_29radix_sort_onesweep_iterationIS3_Lb0EN6thrust23THRUST_200600_302600_NS6detail15normal_iteratorINS8_10device_ptrIsEEEESD_SD_SD_jNS0_19identity_decomposerENS1_16block_id_wrapperIjLb1EEEEE10hipError_tT1_PNSt15iterator_traitsISI_E10value_typeET2_T3_PNSJ_ISO_E10value_typeET4_T5_PST_SU_PNS1_23onesweep_lookback_stateEbbT6_jjT7_P12ihipStream_tbENKUlT_T0_SI_SN_E_clISD_SD_SD_SD_EEDaS11_S12_SI_SN_EUlS11_E_NS1_11comp_targetILNS1_3genE10ELNS1_11target_archE1201ELNS1_3gpuE5ELNS1_3repE0EEENS1_47radix_sort_onesweep_sort_config_static_selectorELNS0_4arch9wavefront6targetE1EEEvSI_.private_seg_size, 0
	.set _ZN7rocprim17ROCPRIM_400000_NS6detail17trampoline_kernelINS0_14default_configENS1_35radix_sort_onesweep_config_selectorIssEEZZNS1_29radix_sort_onesweep_iterationIS3_Lb0EN6thrust23THRUST_200600_302600_NS6detail15normal_iteratorINS8_10device_ptrIsEEEESD_SD_SD_jNS0_19identity_decomposerENS1_16block_id_wrapperIjLb1EEEEE10hipError_tT1_PNSt15iterator_traitsISI_E10value_typeET2_T3_PNSJ_ISO_E10value_typeET4_T5_PST_SU_PNS1_23onesweep_lookback_stateEbbT6_jjT7_P12ihipStream_tbENKUlT_T0_SI_SN_E_clISD_SD_SD_SD_EEDaS11_S12_SI_SN_EUlS11_E_NS1_11comp_targetILNS1_3genE10ELNS1_11target_archE1201ELNS1_3gpuE5ELNS1_3repE0EEENS1_47radix_sort_onesweep_sort_config_static_selectorELNS0_4arch9wavefront6targetE1EEEvSI_.uses_vcc, 0
	.set _ZN7rocprim17ROCPRIM_400000_NS6detail17trampoline_kernelINS0_14default_configENS1_35radix_sort_onesweep_config_selectorIssEEZZNS1_29radix_sort_onesweep_iterationIS3_Lb0EN6thrust23THRUST_200600_302600_NS6detail15normal_iteratorINS8_10device_ptrIsEEEESD_SD_SD_jNS0_19identity_decomposerENS1_16block_id_wrapperIjLb1EEEEE10hipError_tT1_PNSt15iterator_traitsISI_E10value_typeET2_T3_PNSJ_ISO_E10value_typeET4_T5_PST_SU_PNS1_23onesweep_lookback_stateEbbT6_jjT7_P12ihipStream_tbENKUlT_T0_SI_SN_E_clISD_SD_SD_SD_EEDaS11_S12_SI_SN_EUlS11_E_NS1_11comp_targetILNS1_3genE10ELNS1_11target_archE1201ELNS1_3gpuE5ELNS1_3repE0EEENS1_47radix_sort_onesweep_sort_config_static_selectorELNS0_4arch9wavefront6targetE1EEEvSI_.uses_flat_scratch, 0
	.set _ZN7rocprim17ROCPRIM_400000_NS6detail17trampoline_kernelINS0_14default_configENS1_35radix_sort_onesweep_config_selectorIssEEZZNS1_29radix_sort_onesweep_iterationIS3_Lb0EN6thrust23THRUST_200600_302600_NS6detail15normal_iteratorINS8_10device_ptrIsEEEESD_SD_SD_jNS0_19identity_decomposerENS1_16block_id_wrapperIjLb1EEEEE10hipError_tT1_PNSt15iterator_traitsISI_E10value_typeET2_T3_PNSJ_ISO_E10value_typeET4_T5_PST_SU_PNS1_23onesweep_lookback_stateEbbT6_jjT7_P12ihipStream_tbENKUlT_T0_SI_SN_E_clISD_SD_SD_SD_EEDaS11_S12_SI_SN_EUlS11_E_NS1_11comp_targetILNS1_3genE10ELNS1_11target_archE1201ELNS1_3gpuE5ELNS1_3repE0EEENS1_47radix_sort_onesweep_sort_config_static_selectorELNS0_4arch9wavefront6targetE1EEEvSI_.has_dyn_sized_stack, 0
	.set _ZN7rocprim17ROCPRIM_400000_NS6detail17trampoline_kernelINS0_14default_configENS1_35radix_sort_onesweep_config_selectorIssEEZZNS1_29radix_sort_onesweep_iterationIS3_Lb0EN6thrust23THRUST_200600_302600_NS6detail15normal_iteratorINS8_10device_ptrIsEEEESD_SD_SD_jNS0_19identity_decomposerENS1_16block_id_wrapperIjLb1EEEEE10hipError_tT1_PNSt15iterator_traitsISI_E10value_typeET2_T3_PNSJ_ISO_E10value_typeET4_T5_PST_SU_PNS1_23onesweep_lookback_stateEbbT6_jjT7_P12ihipStream_tbENKUlT_T0_SI_SN_E_clISD_SD_SD_SD_EEDaS11_S12_SI_SN_EUlS11_E_NS1_11comp_targetILNS1_3genE10ELNS1_11target_archE1201ELNS1_3gpuE5ELNS1_3repE0EEENS1_47radix_sort_onesweep_sort_config_static_selectorELNS0_4arch9wavefront6targetE1EEEvSI_.has_recursion, 0
	.set _ZN7rocprim17ROCPRIM_400000_NS6detail17trampoline_kernelINS0_14default_configENS1_35radix_sort_onesweep_config_selectorIssEEZZNS1_29radix_sort_onesweep_iterationIS3_Lb0EN6thrust23THRUST_200600_302600_NS6detail15normal_iteratorINS8_10device_ptrIsEEEESD_SD_SD_jNS0_19identity_decomposerENS1_16block_id_wrapperIjLb1EEEEE10hipError_tT1_PNSt15iterator_traitsISI_E10value_typeET2_T3_PNSJ_ISO_E10value_typeET4_T5_PST_SU_PNS1_23onesweep_lookback_stateEbbT6_jjT7_P12ihipStream_tbENKUlT_T0_SI_SN_E_clISD_SD_SD_SD_EEDaS11_S12_SI_SN_EUlS11_E_NS1_11comp_targetILNS1_3genE10ELNS1_11target_archE1201ELNS1_3gpuE5ELNS1_3repE0EEENS1_47radix_sort_onesweep_sort_config_static_selectorELNS0_4arch9wavefront6targetE1EEEvSI_.has_indirect_call, 0
	.section	.AMDGPU.csdata,"",@progbits
; Kernel info:
; codeLenInByte = 0
; TotalNumSgprs: 6
; NumVgprs: 0
; NumAgprs: 0
; TotalNumVgprs: 0
; ScratchSize: 0
; MemoryBound: 0
; FloatMode: 240
; IeeeMode: 1
; LDSByteSize: 0 bytes/workgroup (compile time only)
; SGPRBlocks: 0
; VGPRBlocks: 0
; NumSGPRsForWavesPerEU: 6
; NumVGPRsForWavesPerEU: 1
; AccumOffset: 4
; Occupancy: 8
; WaveLimiterHint : 0
; COMPUTE_PGM_RSRC2:SCRATCH_EN: 0
; COMPUTE_PGM_RSRC2:USER_SGPR: 2
; COMPUTE_PGM_RSRC2:TRAP_HANDLER: 0
; COMPUTE_PGM_RSRC2:TGID_X_EN: 1
; COMPUTE_PGM_RSRC2:TGID_Y_EN: 0
; COMPUTE_PGM_RSRC2:TGID_Z_EN: 0
; COMPUTE_PGM_RSRC2:TIDIG_COMP_CNT: 0
; COMPUTE_PGM_RSRC3_GFX90A:ACCUM_OFFSET: 0
; COMPUTE_PGM_RSRC3_GFX90A:TG_SPLIT: 0
	.section	.text._ZN7rocprim17ROCPRIM_400000_NS6detail17trampoline_kernelINS0_14default_configENS1_35radix_sort_onesweep_config_selectorIssEEZZNS1_29radix_sort_onesweep_iterationIS3_Lb0EN6thrust23THRUST_200600_302600_NS6detail15normal_iteratorINS8_10device_ptrIsEEEESD_SD_SD_jNS0_19identity_decomposerENS1_16block_id_wrapperIjLb1EEEEE10hipError_tT1_PNSt15iterator_traitsISI_E10value_typeET2_T3_PNSJ_ISO_E10value_typeET4_T5_PST_SU_PNS1_23onesweep_lookback_stateEbbT6_jjT7_P12ihipStream_tbENKUlT_T0_SI_SN_E_clISD_SD_SD_SD_EEDaS11_S12_SI_SN_EUlS11_E_NS1_11comp_targetILNS1_3genE9ELNS1_11target_archE1100ELNS1_3gpuE3ELNS1_3repE0EEENS1_47radix_sort_onesweep_sort_config_static_selectorELNS0_4arch9wavefront6targetE1EEEvSI_,"axG",@progbits,_ZN7rocprim17ROCPRIM_400000_NS6detail17trampoline_kernelINS0_14default_configENS1_35radix_sort_onesweep_config_selectorIssEEZZNS1_29radix_sort_onesweep_iterationIS3_Lb0EN6thrust23THRUST_200600_302600_NS6detail15normal_iteratorINS8_10device_ptrIsEEEESD_SD_SD_jNS0_19identity_decomposerENS1_16block_id_wrapperIjLb1EEEEE10hipError_tT1_PNSt15iterator_traitsISI_E10value_typeET2_T3_PNSJ_ISO_E10value_typeET4_T5_PST_SU_PNS1_23onesweep_lookback_stateEbbT6_jjT7_P12ihipStream_tbENKUlT_T0_SI_SN_E_clISD_SD_SD_SD_EEDaS11_S12_SI_SN_EUlS11_E_NS1_11comp_targetILNS1_3genE9ELNS1_11target_archE1100ELNS1_3gpuE3ELNS1_3repE0EEENS1_47radix_sort_onesweep_sort_config_static_selectorELNS0_4arch9wavefront6targetE1EEEvSI_,comdat
	.protected	_ZN7rocprim17ROCPRIM_400000_NS6detail17trampoline_kernelINS0_14default_configENS1_35radix_sort_onesweep_config_selectorIssEEZZNS1_29radix_sort_onesweep_iterationIS3_Lb0EN6thrust23THRUST_200600_302600_NS6detail15normal_iteratorINS8_10device_ptrIsEEEESD_SD_SD_jNS0_19identity_decomposerENS1_16block_id_wrapperIjLb1EEEEE10hipError_tT1_PNSt15iterator_traitsISI_E10value_typeET2_T3_PNSJ_ISO_E10value_typeET4_T5_PST_SU_PNS1_23onesweep_lookback_stateEbbT6_jjT7_P12ihipStream_tbENKUlT_T0_SI_SN_E_clISD_SD_SD_SD_EEDaS11_S12_SI_SN_EUlS11_E_NS1_11comp_targetILNS1_3genE9ELNS1_11target_archE1100ELNS1_3gpuE3ELNS1_3repE0EEENS1_47radix_sort_onesweep_sort_config_static_selectorELNS0_4arch9wavefront6targetE1EEEvSI_ ; -- Begin function _ZN7rocprim17ROCPRIM_400000_NS6detail17trampoline_kernelINS0_14default_configENS1_35radix_sort_onesweep_config_selectorIssEEZZNS1_29radix_sort_onesweep_iterationIS3_Lb0EN6thrust23THRUST_200600_302600_NS6detail15normal_iteratorINS8_10device_ptrIsEEEESD_SD_SD_jNS0_19identity_decomposerENS1_16block_id_wrapperIjLb1EEEEE10hipError_tT1_PNSt15iterator_traitsISI_E10value_typeET2_T3_PNSJ_ISO_E10value_typeET4_T5_PST_SU_PNS1_23onesweep_lookback_stateEbbT6_jjT7_P12ihipStream_tbENKUlT_T0_SI_SN_E_clISD_SD_SD_SD_EEDaS11_S12_SI_SN_EUlS11_E_NS1_11comp_targetILNS1_3genE9ELNS1_11target_archE1100ELNS1_3gpuE3ELNS1_3repE0EEENS1_47radix_sort_onesweep_sort_config_static_selectorELNS0_4arch9wavefront6targetE1EEEvSI_
	.globl	_ZN7rocprim17ROCPRIM_400000_NS6detail17trampoline_kernelINS0_14default_configENS1_35radix_sort_onesweep_config_selectorIssEEZZNS1_29radix_sort_onesweep_iterationIS3_Lb0EN6thrust23THRUST_200600_302600_NS6detail15normal_iteratorINS8_10device_ptrIsEEEESD_SD_SD_jNS0_19identity_decomposerENS1_16block_id_wrapperIjLb1EEEEE10hipError_tT1_PNSt15iterator_traitsISI_E10value_typeET2_T3_PNSJ_ISO_E10value_typeET4_T5_PST_SU_PNS1_23onesweep_lookback_stateEbbT6_jjT7_P12ihipStream_tbENKUlT_T0_SI_SN_E_clISD_SD_SD_SD_EEDaS11_S12_SI_SN_EUlS11_E_NS1_11comp_targetILNS1_3genE9ELNS1_11target_archE1100ELNS1_3gpuE3ELNS1_3repE0EEENS1_47radix_sort_onesweep_sort_config_static_selectorELNS0_4arch9wavefront6targetE1EEEvSI_
	.p2align	8
	.type	_ZN7rocprim17ROCPRIM_400000_NS6detail17trampoline_kernelINS0_14default_configENS1_35radix_sort_onesweep_config_selectorIssEEZZNS1_29radix_sort_onesweep_iterationIS3_Lb0EN6thrust23THRUST_200600_302600_NS6detail15normal_iteratorINS8_10device_ptrIsEEEESD_SD_SD_jNS0_19identity_decomposerENS1_16block_id_wrapperIjLb1EEEEE10hipError_tT1_PNSt15iterator_traitsISI_E10value_typeET2_T3_PNSJ_ISO_E10value_typeET4_T5_PST_SU_PNS1_23onesweep_lookback_stateEbbT6_jjT7_P12ihipStream_tbENKUlT_T0_SI_SN_E_clISD_SD_SD_SD_EEDaS11_S12_SI_SN_EUlS11_E_NS1_11comp_targetILNS1_3genE9ELNS1_11target_archE1100ELNS1_3gpuE3ELNS1_3repE0EEENS1_47radix_sort_onesweep_sort_config_static_selectorELNS0_4arch9wavefront6targetE1EEEvSI_,@function
_ZN7rocprim17ROCPRIM_400000_NS6detail17trampoline_kernelINS0_14default_configENS1_35radix_sort_onesweep_config_selectorIssEEZZNS1_29radix_sort_onesweep_iterationIS3_Lb0EN6thrust23THRUST_200600_302600_NS6detail15normal_iteratorINS8_10device_ptrIsEEEESD_SD_SD_jNS0_19identity_decomposerENS1_16block_id_wrapperIjLb1EEEEE10hipError_tT1_PNSt15iterator_traitsISI_E10value_typeET2_T3_PNSJ_ISO_E10value_typeET4_T5_PST_SU_PNS1_23onesweep_lookback_stateEbbT6_jjT7_P12ihipStream_tbENKUlT_T0_SI_SN_E_clISD_SD_SD_SD_EEDaS11_S12_SI_SN_EUlS11_E_NS1_11comp_targetILNS1_3genE9ELNS1_11target_archE1100ELNS1_3gpuE3ELNS1_3repE0EEENS1_47radix_sort_onesweep_sort_config_static_selectorELNS0_4arch9wavefront6targetE1EEEvSI_: ; @_ZN7rocprim17ROCPRIM_400000_NS6detail17trampoline_kernelINS0_14default_configENS1_35radix_sort_onesweep_config_selectorIssEEZZNS1_29radix_sort_onesweep_iterationIS3_Lb0EN6thrust23THRUST_200600_302600_NS6detail15normal_iteratorINS8_10device_ptrIsEEEESD_SD_SD_jNS0_19identity_decomposerENS1_16block_id_wrapperIjLb1EEEEE10hipError_tT1_PNSt15iterator_traitsISI_E10value_typeET2_T3_PNSJ_ISO_E10value_typeET4_T5_PST_SU_PNS1_23onesweep_lookback_stateEbbT6_jjT7_P12ihipStream_tbENKUlT_T0_SI_SN_E_clISD_SD_SD_SD_EEDaS11_S12_SI_SN_EUlS11_E_NS1_11comp_targetILNS1_3genE9ELNS1_11target_archE1100ELNS1_3gpuE3ELNS1_3repE0EEENS1_47radix_sort_onesweep_sort_config_static_selectorELNS0_4arch9wavefront6targetE1EEEvSI_
; %bb.0:
	.section	.rodata,"a",@progbits
	.p2align	6, 0x0
	.amdhsa_kernel _ZN7rocprim17ROCPRIM_400000_NS6detail17trampoline_kernelINS0_14default_configENS1_35radix_sort_onesweep_config_selectorIssEEZZNS1_29radix_sort_onesweep_iterationIS3_Lb0EN6thrust23THRUST_200600_302600_NS6detail15normal_iteratorINS8_10device_ptrIsEEEESD_SD_SD_jNS0_19identity_decomposerENS1_16block_id_wrapperIjLb1EEEEE10hipError_tT1_PNSt15iterator_traitsISI_E10value_typeET2_T3_PNSJ_ISO_E10value_typeET4_T5_PST_SU_PNS1_23onesweep_lookback_stateEbbT6_jjT7_P12ihipStream_tbENKUlT_T0_SI_SN_E_clISD_SD_SD_SD_EEDaS11_S12_SI_SN_EUlS11_E_NS1_11comp_targetILNS1_3genE9ELNS1_11target_archE1100ELNS1_3gpuE3ELNS1_3repE0EEENS1_47radix_sort_onesweep_sort_config_static_selectorELNS0_4arch9wavefront6targetE1EEEvSI_
		.amdhsa_group_segment_fixed_size 0
		.amdhsa_private_segment_fixed_size 0
		.amdhsa_kernarg_size 88
		.amdhsa_user_sgpr_count 2
		.amdhsa_user_sgpr_dispatch_ptr 0
		.amdhsa_user_sgpr_queue_ptr 0
		.amdhsa_user_sgpr_kernarg_segment_ptr 1
		.amdhsa_user_sgpr_dispatch_id 0
		.amdhsa_user_sgpr_kernarg_preload_length 0
		.amdhsa_user_sgpr_kernarg_preload_offset 0
		.amdhsa_user_sgpr_private_segment_size 0
		.amdhsa_uses_dynamic_stack 0
		.amdhsa_enable_private_segment 0
		.amdhsa_system_sgpr_workgroup_id_x 1
		.amdhsa_system_sgpr_workgroup_id_y 0
		.amdhsa_system_sgpr_workgroup_id_z 0
		.amdhsa_system_sgpr_workgroup_info 0
		.amdhsa_system_vgpr_workitem_id 0
		.amdhsa_next_free_vgpr 1
		.amdhsa_next_free_sgpr 0
		.amdhsa_accum_offset 4
		.amdhsa_reserve_vcc 0
		.amdhsa_float_round_mode_32 0
		.amdhsa_float_round_mode_16_64 0
		.amdhsa_float_denorm_mode_32 3
		.amdhsa_float_denorm_mode_16_64 3
		.amdhsa_dx10_clamp 1
		.amdhsa_ieee_mode 1
		.amdhsa_fp16_overflow 0
		.amdhsa_tg_split 0
		.amdhsa_exception_fp_ieee_invalid_op 0
		.amdhsa_exception_fp_denorm_src 0
		.amdhsa_exception_fp_ieee_div_zero 0
		.amdhsa_exception_fp_ieee_overflow 0
		.amdhsa_exception_fp_ieee_underflow 0
		.amdhsa_exception_fp_ieee_inexact 0
		.amdhsa_exception_int_div_zero 0
	.end_amdhsa_kernel
	.section	.text._ZN7rocprim17ROCPRIM_400000_NS6detail17trampoline_kernelINS0_14default_configENS1_35radix_sort_onesweep_config_selectorIssEEZZNS1_29radix_sort_onesweep_iterationIS3_Lb0EN6thrust23THRUST_200600_302600_NS6detail15normal_iteratorINS8_10device_ptrIsEEEESD_SD_SD_jNS0_19identity_decomposerENS1_16block_id_wrapperIjLb1EEEEE10hipError_tT1_PNSt15iterator_traitsISI_E10value_typeET2_T3_PNSJ_ISO_E10value_typeET4_T5_PST_SU_PNS1_23onesweep_lookback_stateEbbT6_jjT7_P12ihipStream_tbENKUlT_T0_SI_SN_E_clISD_SD_SD_SD_EEDaS11_S12_SI_SN_EUlS11_E_NS1_11comp_targetILNS1_3genE9ELNS1_11target_archE1100ELNS1_3gpuE3ELNS1_3repE0EEENS1_47radix_sort_onesweep_sort_config_static_selectorELNS0_4arch9wavefront6targetE1EEEvSI_,"axG",@progbits,_ZN7rocprim17ROCPRIM_400000_NS6detail17trampoline_kernelINS0_14default_configENS1_35radix_sort_onesweep_config_selectorIssEEZZNS1_29radix_sort_onesweep_iterationIS3_Lb0EN6thrust23THRUST_200600_302600_NS6detail15normal_iteratorINS8_10device_ptrIsEEEESD_SD_SD_jNS0_19identity_decomposerENS1_16block_id_wrapperIjLb1EEEEE10hipError_tT1_PNSt15iterator_traitsISI_E10value_typeET2_T3_PNSJ_ISO_E10value_typeET4_T5_PST_SU_PNS1_23onesweep_lookback_stateEbbT6_jjT7_P12ihipStream_tbENKUlT_T0_SI_SN_E_clISD_SD_SD_SD_EEDaS11_S12_SI_SN_EUlS11_E_NS1_11comp_targetILNS1_3genE9ELNS1_11target_archE1100ELNS1_3gpuE3ELNS1_3repE0EEENS1_47radix_sort_onesweep_sort_config_static_selectorELNS0_4arch9wavefront6targetE1EEEvSI_,comdat
.Lfunc_end1649:
	.size	_ZN7rocprim17ROCPRIM_400000_NS6detail17trampoline_kernelINS0_14default_configENS1_35radix_sort_onesweep_config_selectorIssEEZZNS1_29radix_sort_onesweep_iterationIS3_Lb0EN6thrust23THRUST_200600_302600_NS6detail15normal_iteratorINS8_10device_ptrIsEEEESD_SD_SD_jNS0_19identity_decomposerENS1_16block_id_wrapperIjLb1EEEEE10hipError_tT1_PNSt15iterator_traitsISI_E10value_typeET2_T3_PNSJ_ISO_E10value_typeET4_T5_PST_SU_PNS1_23onesweep_lookback_stateEbbT6_jjT7_P12ihipStream_tbENKUlT_T0_SI_SN_E_clISD_SD_SD_SD_EEDaS11_S12_SI_SN_EUlS11_E_NS1_11comp_targetILNS1_3genE9ELNS1_11target_archE1100ELNS1_3gpuE3ELNS1_3repE0EEENS1_47radix_sort_onesweep_sort_config_static_selectorELNS0_4arch9wavefront6targetE1EEEvSI_, .Lfunc_end1649-_ZN7rocprim17ROCPRIM_400000_NS6detail17trampoline_kernelINS0_14default_configENS1_35radix_sort_onesweep_config_selectorIssEEZZNS1_29radix_sort_onesweep_iterationIS3_Lb0EN6thrust23THRUST_200600_302600_NS6detail15normal_iteratorINS8_10device_ptrIsEEEESD_SD_SD_jNS0_19identity_decomposerENS1_16block_id_wrapperIjLb1EEEEE10hipError_tT1_PNSt15iterator_traitsISI_E10value_typeET2_T3_PNSJ_ISO_E10value_typeET4_T5_PST_SU_PNS1_23onesweep_lookback_stateEbbT6_jjT7_P12ihipStream_tbENKUlT_T0_SI_SN_E_clISD_SD_SD_SD_EEDaS11_S12_SI_SN_EUlS11_E_NS1_11comp_targetILNS1_3genE9ELNS1_11target_archE1100ELNS1_3gpuE3ELNS1_3repE0EEENS1_47radix_sort_onesweep_sort_config_static_selectorELNS0_4arch9wavefront6targetE1EEEvSI_
                                        ; -- End function
	.set _ZN7rocprim17ROCPRIM_400000_NS6detail17trampoline_kernelINS0_14default_configENS1_35radix_sort_onesweep_config_selectorIssEEZZNS1_29radix_sort_onesweep_iterationIS3_Lb0EN6thrust23THRUST_200600_302600_NS6detail15normal_iteratorINS8_10device_ptrIsEEEESD_SD_SD_jNS0_19identity_decomposerENS1_16block_id_wrapperIjLb1EEEEE10hipError_tT1_PNSt15iterator_traitsISI_E10value_typeET2_T3_PNSJ_ISO_E10value_typeET4_T5_PST_SU_PNS1_23onesweep_lookback_stateEbbT6_jjT7_P12ihipStream_tbENKUlT_T0_SI_SN_E_clISD_SD_SD_SD_EEDaS11_S12_SI_SN_EUlS11_E_NS1_11comp_targetILNS1_3genE9ELNS1_11target_archE1100ELNS1_3gpuE3ELNS1_3repE0EEENS1_47radix_sort_onesweep_sort_config_static_selectorELNS0_4arch9wavefront6targetE1EEEvSI_.num_vgpr, 0
	.set _ZN7rocprim17ROCPRIM_400000_NS6detail17trampoline_kernelINS0_14default_configENS1_35radix_sort_onesweep_config_selectorIssEEZZNS1_29radix_sort_onesweep_iterationIS3_Lb0EN6thrust23THRUST_200600_302600_NS6detail15normal_iteratorINS8_10device_ptrIsEEEESD_SD_SD_jNS0_19identity_decomposerENS1_16block_id_wrapperIjLb1EEEEE10hipError_tT1_PNSt15iterator_traitsISI_E10value_typeET2_T3_PNSJ_ISO_E10value_typeET4_T5_PST_SU_PNS1_23onesweep_lookback_stateEbbT6_jjT7_P12ihipStream_tbENKUlT_T0_SI_SN_E_clISD_SD_SD_SD_EEDaS11_S12_SI_SN_EUlS11_E_NS1_11comp_targetILNS1_3genE9ELNS1_11target_archE1100ELNS1_3gpuE3ELNS1_3repE0EEENS1_47radix_sort_onesweep_sort_config_static_selectorELNS0_4arch9wavefront6targetE1EEEvSI_.num_agpr, 0
	.set _ZN7rocprim17ROCPRIM_400000_NS6detail17trampoline_kernelINS0_14default_configENS1_35radix_sort_onesweep_config_selectorIssEEZZNS1_29radix_sort_onesweep_iterationIS3_Lb0EN6thrust23THRUST_200600_302600_NS6detail15normal_iteratorINS8_10device_ptrIsEEEESD_SD_SD_jNS0_19identity_decomposerENS1_16block_id_wrapperIjLb1EEEEE10hipError_tT1_PNSt15iterator_traitsISI_E10value_typeET2_T3_PNSJ_ISO_E10value_typeET4_T5_PST_SU_PNS1_23onesweep_lookback_stateEbbT6_jjT7_P12ihipStream_tbENKUlT_T0_SI_SN_E_clISD_SD_SD_SD_EEDaS11_S12_SI_SN_EUlS11_E_NS1_11comp_targetILNS1_3genE9ELNS1_11target_archE1100ELNS1_3gpuE3ELNS1_3repE0EEENS1_47radix_sort_onesweep_sort_config_static_selectorELNS0_4arch9wavefront6targetE1EEEvSI_.numbered_sgpr, 0
	.set _ZN7rocprim17ROCPRIM_400000_NS6detail17trampoline_kernelINS0_14default_configENS1_35radix_sort_onesweep_config_selectorIssEEZZNS1_29radix_sort_onesweep_iterationIS3_Lb0EN6thrust23THRUST_200600_302600_NS6detail15normal_iteratorINS8_10device_ptrIsEEEESD_SD_SD_jNS0_19identity_decomposerENS1_16block_id_wrapperIjLb1EEEEE10hipError_tT1_PNSt15iterator_traitsISI_E10value_typeET2_T3_PNSJ_ISO_E10value_typeET4_T5_PST_SU_PNS1_23onesweep_lookback_stateEbbT6_jjT7_P12ihipStream_tbENKUlT_T0_SI_SN_E_clISD_SD_SD_SD_EEDaS11_S12_SI_SN_EUlS11_E_NS1_11comp_targetILNS1_3genE9ELNS1_11target_archE1100ELNS1_3gpuE3ELNS1_3repE0EEENS1_47radix_sort_onesweep_sort_config_static_selectorELNS0_4arch9wavefront6targetE1EEEvSI_.num_named_barrier, 0
	.set _ZN7rocprim17ROCPRIM_400000_NS6detail17trampoline_kernelINS0_14default_configENS1_35radix_sort_onesweep_config_selectorIssEEZZNS1_29radix_sort_onesweep_iterationIS3_Lb0EN6thrust23THRUST_200600_302600_NS6detail15normal_iteratorINS8_10device_ptrIsEEEESD_SD_SD_jNS0_19identity_decomposerENS1_16block_id_wrapperIjLb1EEEEE10hipError_tT1_PNSt15iterator_traitsISI_E10value_typeET2_T3_PNSJ_ISO_E10value_typeET4_T5_PST_SU_PNS1_23onesweep_lookback_stateEbbT6_jjT7_P12ihipStream_tbENKUlT_T0_SI_SN_E_clISD_SD_SD_SD_EEDaS11_S12_SI_SN_EUlS11_E_NS1_11comp_targetILNS1_3genE9ELNS1_11target_archE1100ELNS1_3gpuE3ELNS1_3repE0EEENS1_47radix_sort_onesweep_sort_config_static_selectorELNS0_4arch9wavefront6targetE1EEEvSI_.private_seg_size, 0
	.set _ZN7rocprim17ROCPRIM_400000_NS6detail17trampoline_kernelINS0_14default_configENS1_35radix_sort_onesweep_config_selectorIssEEZZNS1_29radix_sort_onesweep_iterationIS3_Lb0EN6thrust23THRUST_200600_302600_NS6detail15normal_iteratorINS8_10device_ptrIsEEEESD_SD_SD_jNS0_19identity_decomposerENS1_16block_id_wrapperIjLb1EEEEE10hipError_tT1_PNSt15iterator_traitsISI_E10value_typeET2_T3_PNSJ_ISO_E10value_typeET4_T5_PST_SU_PNS1_23onesweep_lookback_stateEbbT6_jjT7_P12ihipStream_tbENKUlT_T0_SI_SN_E_clISD_SD_SD_SD_EEDaS11_S12_SI_SN_EUlS11_E_NS1_11comp_targetILNS1_3genE9ELNS1_11target_archE1100ELNS1_3gpuE3ELNS1_3repE0EEENS1_47radix_sort_onesweep_sort_config_static_selectorELNS0_4arch9wavefront6targetE1EEEvSI_.uses_vcc, 0
	.set _ZN7rocprim17ROCPRIM_400000_NS6detail17trampoline_kernelINS0_14default_configENS1_35radix_sort_onesweep_config_selectorIssEEZZNS1_29radix_sort_onesweep_iterationIS3_Lb0EN6thrust23THRUST_200600_302600_NS6detail15normal_iteratorINS8_10device_ptrIsEEEESD_SD_SD_jNS0_19identity_decomposerENS1_16block_id_wrapperIjLb1EEEEE10hipError_tT1_PNSt15iterator_traitsISI_E10value_typeET2_T3_PNSJ_ISO_E10value_typeET4_T5_PST_SU_PNS1_23onesweep_lookback_stateEbbT6_jjT7_P12ihipStream_tbENKUlT_T0_SI_SN_E_clISD_SD_SD_SD_EEDaS11_S12_SI_SN_EUlS11_E_NS1_11comp_targetILNS1_3genE9ELNS1_11target_archE1100ELNS1_3gpuE3ELNS1_3repE0EEENS1_47radix_sort_onesweep_sort_config_static_selectorELNS0_4arch9wavefront6targetE1EEEvSI_.uses_flat_scratch, 0
	.set _ZN7rocprim17ROCPRIM_400000_NS6detail17trampoline_kernelINS0_14default_configENS1_35radix_sort_onesweep_config_selectorIssEEZZNS1_29radix_sort_onesweep_iterationIS3_Lb0EN6thrust23THRUST_200600_302600_NS6detail15normal_iteratorINS8_10device_ptrIsEEEESD_SD_SD_jNS0_19identity_decomposerENS1_16block_id_wrapperIjLb1EEEEE10hipError_tT1_PNSt15iterator_traitsISI_E10value_typeET2_T3_PNSJ_ISO_E10value_typeET4_T5_PST_SU_PNS1_23onesweep_lookback_stateEbbT6_jjT7_P12ihipStream_tbENKUlT_T0_SI_SN_E_clISD_SD_SD_SD_EEDaS11_S12_SI_SN_EUlS11_E_NS1_11comp_targetILNS1_3genE9ELNS1_11target_archE1100ELNS1_3gpuE3ELNS1_3repE0EEENS1_47radix_sort_onesweep_sort_config_static_selectorELNS0_4arch9wavefront6targetE1EEEvSI_.has_dyn_sized_stack, 0
	.set _ZN7rocprim17ROCPRIM_400000_NS6detail17trampoline_kernelINS0_14default_configENS1_35radix_sort_onesweep_config_selectorIssEEZZNS1_29radix_sort_onesweep_iterationIS3_Lb0EN6thrust23THRUST_200600_302600_NS6detail15normal_iteratorINS8_10device_ptrIsEEEESD_SD_SD_jNS0_19identity_decomposerENS1_16block_id_wrapperIjLb1EEEEE10hipError_tT1_PNSt15iterator_traitsISI_E10value_typeET2_T3_PNSJ_ISO_E10value_typeET4_T5_PST_SU_PNS1_23onesweep_lookback_stateEbbT6_jjT7_P12ihipStream_tbENKUlT_T0_SI_SN_E_clISD_SD_SD_SD_EEDaS11_S12_SI_SN_EUlS11_E_NS1_11comp_targetILNS1_3genE9ELNS1_11target_archE1100ELNS1_3gpuE3ELNS1_3repE0EEENS1_47radix_sort_onesweep_sort_config_static_selectorELNS0_4arch9wavefront6targetE1EEEvSI_.has_recursion, 0
	.set _ZN7rocprim17ROCPRIM_400000_NS6detail17trampoline_kernelINS0_14default_configENS1_35radix_sort_onesweep_config_selectorIssEEZZNS1_29radix_sort_onesweep_iterationIS3_Lb0EN6thrust23THRUST_200600_302600_NS6detail15normal_iteratorINS8_10device_ptrIsEEEESD_SD_SD_jNS0_19identity_decomposerENS1_16block_id_wrapperIjLb1EEEEE10hipError_tT1_PNSt15iterator_traitsISI_E10value_typeET2_T3_PNSJ_ISO_E10value_typeET4_T5_PST_SU_PNS1_23onesweep_lookback_stateEbbT6_jjT7_P12ihipStream_tbENKUlT_T0_SI_SN_E_clISD_SD_SD_SD_EEDaS11_S12_SI_SN_EUlS11_E_NS1_11comp_targetILNS1_3genE9ELNS1_11target_archE1100ELNS1_3gpuE3ELNS1_3repE0EEENS1_47radix_sort_onesweep_sort_config_static_selectorELNS0_4arch9wavefront6targetE1EEEvSI_.has_indirect_call, 0
	.section	.AMDGPU.csdata,"",@progbits
; Kernel info:
; codeLenInByte = 0
; TotalNumSgprs: 6
; NumVgprs: 0
; NumAgprs: 0
; TotalNumVgprs: 0
; ScratchSize: 0
; MemoryBound: 0
; FloatMode: 240
; IeeeMode: 1
; LDSByteSize: 0 bytes/workgroup (compile time only)
; SGPRBlocks: 0
; VGPRBlocks: 0
; NumSGPRsForWavesPerEU: 6
; NumVGPRsForWavesPerEU: 1
; AccumOffset: 4
; Occupancy: 8
; WaveLimiterHint : 0
; COMPUTE_PGM_RSRC2:SCRATCH_EN: 0
; COMPUTE_PGM_RSRC2:USER_SGPR: 2
; COMPUTE_PGM_RSRC2:TRAP_HANDLER: 0
; COMPUTE_PGM_RSRC2:TGID_X_EN: 1
; COMPUTE_PGM_RSRC2:TGID_Y_EN: 0
; COMPUTE_PGM_RSRC2:TGID_Z_EN: 0
; COMPUTE_PGM_RSRC2:TIDIG_COMP_CNT: 0
; COMPUTE_PGM_RSRC3_GFX90A:ACCUM_OFFSET: 0
; COMPUTE_PGM_RSRC3_GFX90A:TG_SPLIT: 0
	.section	.text._ZN7rocprim17ROCPRIM_400000_NS6detail17trampoline_kernelINS0_14default_configENS1_35radix_sort_onesweep_config_selectorIssEEZZNS1_29radix_sort_onesweep_iterationIS3_Lb0EN6thrust23THRUST_200600_302600_NS6detail15normal_iteratorINS8_10device_ptrIsEEEESD_SD_SD_jNS0_19identity_decomposerENS1_16block_id_wrapperIjLb1EEEEE10hipError_tT1_PNSt15iterator_traitsISI_E10value_typeET2_T3_PNSJ_ISO_E10value_typeET4_T5_PST_SU_PNS1_23onesweep_lookback_stateEbbT6_jjT7_P12ihipStream_tbENKUlT_T0_SI_SN_E_clISD_SD_SD_SD_EEDaS11_S12_SI_SN_EUlS11_E_NS1_11comp_targetILNS1_3genE8ELNS1_11target_archE1030ELNS1_3gpuE2ELNS1_3repE0EEENS1_47radix_sort_onesweep_sort_config_static_selectorELNS0_4arch9wavefront6targetE1EEEvSI_,"axG",@progbits,_ZN7rocprim17ROCPRIM_400000_NS6detail17trampoline_kernelINS0_14default_configENS1_35radix_sort_onesweep_config_selectorIssEEZZNS1_29radix_sort_onesweep_iterationIS3_Lb0EN6thrust23THRUST_200600_302600_NS6detail15normal_iteratorINS8_10device_ptrIsEEEESD_SD_SD_jNS0_19identity_decomposerENS1_16block_id_wrapperIjLb1EEEEE10hipError_tT1_PNSt15iterator_traitsISI_E10value_typeET2_T3_PNSJ_ISO_E10value_typeET4_T5_PST_SU_PNS1_23onesweep_lookback_stateEbbT6_jjT7_P12ihipStream_tbENKUlT_T0_SI_SN_E_clISD_SD_SD_SD_EEDaS11_S12_SI_SN_EUlS11_E_NS1_11comp_targetILNS1_3genE8ELNS1_11target_archE1030ELNS1_3gpuE2ELNS1_3repE0EEENS1_47radix_sort_onesweep_sort_config_static_selectorELNS0_4arch9wavefront6targetE1EEEvSI_,comdat
	.protected	_ZN7rocprim17ROCPRIM_400000_NS6detail17trampoline_kernelINS0_14default_configENS1_35radix_sort_onesweep_config_selectorIssEEZZNS1_29radix_sort_onesweep_iterationIS3_Lb0EN6thrust23THRUST_200600_302600_NS6detail15normal_iteratorINS8_10device_ptrIsEEEESD_SD_SD_jNS0_19identity_decomposerENS1_16block_id_wrapperIjLb1EEEEE10hipError_tT1_PNSt15iterator_traitsISI_E10value_typeET2_T3_PNSJ_ISO_E10value_typeET4_T5_PST_SU_PNS1_23onesweep_lookback_stateEbbT6_jjT7_P12ihipStream_tbENKUlT_T0_SI_SN_E_clISD_SD_SD_SD_EEDaS11_S12_SI_SN_EUlS11_E_NS1_11comp_targetILNS1_3genE8ELNS1_11target_archE1030ELNS1_3gpuE2ELNS1_3repE0EEENS1_47radix_sort_onesweep_sort_config_static_selectorELNS0_4arch9wavefront6targetE1EEEvSI_ ; -- Begin function _ZN7rocprim17ROCPRIM_400000_NS6detail17trampoline_kernelINS0_14default_configENS1_35radix_sort_onesweep_config_selectorIssEEZZNS1_29radix_sort_onesweep_iterationIS3_Lb0EN6thrust23THRUST_200600_302600_NS6detail15normal_iteratorINS8_10device_ptrIsEEEESD_SD_SD_jNS0_19identity_decomposerENS1_16block_id_wrapperIjLb1EEEEE10hipError_tT1_PNSt15iterator_traitsISI_E10value_typeET2_T3_PNSJ_ISO_E10value_typeET4_T5_PST_SU_PNS1_23onesweep_lookback_stateEbbT6_jjT7_P12ihipStream_tbENKUlT_T0_SI_SN_E_clISD_SD_SD_SD_EEDaS11_S12_SI_SN_EUlS11_E_NS1_11comp_targetILNS1_3genE8ELNS1_11target_archE1030ELNS1_3gpuE2ELNS1_3repE0EEENS1_47radix_sort_onesweep_sort_config_static_selectorELNS0_4arch9wavefront6targetE1EEEvSI_
	.globl	_ZN7rocprim17ROCPRIM_400000_NS6detail17trampoline_kernelINS0_14default_configENS1_35radix_sort_onesweep_config_selectorIssEEZZNS1_29radix_sort_onesweep_iterationIS3_Lb0EN6thrust23THRUST_200600_302600_NS6detail15normal_iteratorINS8_10device_ptrIsEEEESD_SD_SD_jNS0_19identity_decomposerENS1_16block_id_wrapperIjLb1EEEEE10hipError_tT1_PNSt15iterator_traitsISI_E10value_typeET2_T3_PNSJ_ISO_E10value_typeET4_T5_PST_SU_PNS1_23onesweep_lookback_stateEbbT6_jjT7_P12ihipStream_tbENKUlT_T0_SI_SN_E_clISD_SD_SD_SD_EEDaS11_S12_SI_SN_EUlS11_E_NS1_11comp_targetILNS1_3genE8ELNS1_11target_archE1030ELNS1_3gpuE2ELNS1_3repE0EEENS1_47radix_sort_onesweep_sort_config_static_selectorELNS0_4arch9wavefront6targetE1EEEvSI_
	.p2align	8
	.type	_ZN7rocprim17ROCPRIM_400000_NS6detail17trampoline_kernelINS0_14default_configENS1_35radix_sort_onesweep_config_selectorIssEEZZNS1_29radix_sort_onesweep_iterationIS3_Lb0EN6thrust23THRUST_200600_302600_NS6detail15normal_iteratorINS8_10device_ptrIsEEEESD_SD_SD_jNS0_19identity_decomposerENS1_16block_id_wrapperIjLb1EEEEE10hipError_tT1_PNSt15iterator_traitsISI_E10value_typeET2_T3_PNSJ_ISO_E10value_typeET4_T5_PST_SU_PNS1_23onesweep_lookback_stateEbbT6_jjT7_P12ihipStream_tbENKUlT_T0_SI_SN_E_clISD_SD_SD_SD_EEDaS11_S12_SI_SN_EUlS11_E_NS1_11comp_targetILNS1_3genE8ELNS1_11target_archE1030ELNS1_3gpuE2ELNS1_3repE0EEENS1_47radix_sort_onesweep_sort_config_static_selectorELNS0_4arch9wavefront6targetE1EEEvSI_,@function
_ZN7rocprim17ROCPRIM_400000_NS6detail17trampoline_kernelINS0_14default_configENS1_35radix_sort_onesweep_config_selectorIssEEZZNS1_29radix_sort_onesweep_iterationIS3_Lb0EN6thrust23THRUST_200600_302600_NS6detail15normal_iteratorINS8_10device_ptrIsEEEESD_SD_SD_jNS0_19identity_decomposerENS1_16block_id_wrapperIjLb1EEEEE10hipError_tT1_PNSt15iterator_traitsISI_E10value_typeET2_T3_PNSJ_ISO_E10value_typeET4_T5_PST_SU_PNS1_23onesweep_lookback_stateEbbT6_jjT7_P12ihipStream_tbENKUlT_T0_SI_SN_E_clISD_SD_SD_SD_EEDaS11_S12_SI_SN_EUlS11_E_NS1_11comp_targetILNS1_3genE8ELNS1_11target_archE1030ELNS1_3gpuE2ELNS1_3repE0EEENS1_47radix_sort_onesweep_sort_config_static_selectorELNS0_4arch9wavefront6targetE1EEEvSI_: ; @_ZN7rocprim17ROCPRIM_400000_NS6detail17trampoline_kernelINS0_14default_configENS1_35radix_sort_onesweep_config_selectorIssEEZZNS1_29radix_sort_onesweep_iterationIS3_Lb0EN6thrust23THRUST_200600_302600_NS6detail15normal_iteratorINS8_10device_ptrIsEEEESD_SD_SD_jNS0_19identity_decomposerENS1_16block_id_wrapperIjLb1EEEEE10hipError_tT1_PNSt15iterator_traitsISI_E10value_typeET2_T3_PNSJ_ISO_E10value_typeET4_T5_PST_SU_PNS1_23onesweep_lookback_stateEbbT6_jjT7_P12ihipStream_tbENKUlT_T0_SI_SN_E_clISD_SD_SD_SD_EEDaS11_S12_SI_SN_EUlS11_E_NS1_11comp_targetILNS1_3genE8ELNS1_11target_archE1030ELNS1_3gpuE2ELNS1_3repE0EEENS1_47radix_sort_onesweep_sort_config_static_selectorELNS0_4arch9wavefront6targetE1EEEvSI_
; %bb.0:
	.section	.rodata,"a",@progbits
	.p2align	6, 0x0
	.amdhsa_kernel _ZN7rocprim17ROCPRIM_400000_NS6detail17trampoline_kernelINS0_14default_configENS1_35radix_sort_onesweep_config_selectorIssEEZZNS1_29radix_sort_onesweep_iterationIS3_Lb0EN6thrust23THRUST_200600_302600_NS6detail15normal_iteratorINS8_10device_ptrIsEEEESD_SD_SD_jNS0_19identity_decomposerENS1_16block_id_wrapperIjLb1EEEEE10hipError_tT1_PNSt15iterator_traitsISI_E10value_typeET2_T3_PNSJ_ISO_E10value_typeET4_T5_PST_SU_PNS1_23onesweep_lookback_stateEbbT6_jjT7_P12ihipStream_tbENKUlT_T0_SI_SN_E_clISD_SD_SD_SD_EEDaS11_S12_SI_SN_EUlS11_E_NS1_11comp_targetILNS1_3genE8ELNS1_11target_archE1030ELNS1_3gpuE2ELNS1_3repE0EEENS1_47radix_sort_onesweep_sort_config_static_selectorELNS0_4arch9wavefront6targetE1EEEvSI_
		.amdhsa_group_segment_fixed_size 0
		.amdhsa_private_segment_fixed_size 0
		.amdhsa_kernarg_size 88
		.amdhsa_user_sgpr_count 2
		.amdhsa_user_sgpr_dispatch_ptr 0
		.amdhsa_user_sgpr_queue_ptr 0
		.amdhsa_user_sgpr_kernarg_segment_ptr 1
		.amdhsa_user_sgpr_dispatch_id 0
		.amdhsa_user_sgpr_kernarg_preload_length 0
		.amdhsa_user_sgpr_kernarg_preload_offset 0
		.amdhsa_user_sgpr_private_segment_size 0
		.amdhsa_uses_dynamic_stack 0
		.amdhsa_enable_private_segment 0
		.amdhsa_system_sgpr_workgroup_id_x 1
		.amdhsa_system_sgpr_workgroup_id_y 0
		.amdhsa_system_sgpr_workgroup_id_z 0
		.amdhsa_system_sgpr_workgroup_info 0
		.amdhsa_system_vgpr_workitem_id 0
		.amdhsa_next_free_vgpr 1
		.amdhsa_next_free_sgpr 0
		.amdhsa_accum_offset 4
		.amdhsa_reserve_vcc 0
		.amdhsa_float_round_mode_32 0
		.amdhsa_float_round_mode_16_64 0
		.amdhsa_float_denorm_mode_32 3
		.amdhsa_float_denorm_mode_16_64 3
		.amdhsa_dx10_clamp 1
		.amdhsa_ieee_mode 1
		.amdhsa_fp16_overflow 0
		.amdhsa_tg_split 0
		.amdhsa_exception_fp_ieee_invalid_op 0
		.amdhsa_exception_fp_denorm_src 0
		.amdhsa_exception_fp_ieee_div_zero 0
		.amdhsa_exception_fp_ieee_overflow 0
		.amdhsa_exception_fp_ieee_underflow 0
		.amdhsa_exception_fp_ieee_inexact 0
		.amdhsa_exception_int_div_zero 0
	.end_amdhsa_kernel
	.section	.text._ZN7rocprim17ROCPRIM_400000_NS6detail17trampoline_kernelINS0_14default_configENS1_35radix_sort_onesweep_config_selectorIssEEZZNS1_29radix_sort_onesweep_iterationIS3_Lb0EN6thrust23THRUST_200600_302600_NS6detail15normal_iteratorINS8_10device_ptrIsEEEESD_SD_SD_jNS0_19identity_decomposerENS1_16block_id_wrapperIjLb1EEEEE10hipError_tT1_PNSt15iterator_traitsISI_E10value_typeET2_T3_PNSJ_ISO_E10value_typeET4_T5_PST_SU_PNS1_23onesweep_lookback_stateEbbT6_jjT7_P12ihipStream_tbENKUlT_T0_SI_SN_E_clISD_SD_SD_SD_EEDaS11_S12_SI_SN_EUlS11_E_NS1_11comp_targetILNS1_3genE8ELNS1_11target_archE1030ELNS1_3gpuE2ELNS1_3repE0EEENS1_47radix_sort_onesweep_sort_config_static_selectorELNS0_4arch9wavefront6targetE1EEEvSI_,"axG",@progbits,_ZN7rocprim17ROCPRIM_400000_NS6detail17trampoline_kernelINS0_14default_configENS1_35radix_sort_onesweep_config_selectorIssEEZZNS1_29radix_sort_onesweep_iterationIS3_Lb0EN6thrust23THRUST_200600_302600_NS6detail15normal_iteratorINS8_10device_ptrIsEEEESD_SD_SD_jNS0_19identity_decomposerENS1_16block_id_wrapperIjLb1EEEEE10hipError_tT1_PNSt15iterator_traitsISI_E10value_typeET2_T3_PNSJ_ISO_E10value_typeET4_T5_PST_SU_PNS1_23onesweep_lookback_stateEbbT6_jjT7_P12ihipStream_tbENKUlT_T0_SI_SN_E_clISD_SD_SD_SD_EEDaS11_S12_SI_SN_EUlS11_E_NS1_11comp_targetILNS1_3genE8ELNS1_11target_archE1030ELNS1_3gpuE2ELNS1_3repE0EEENS1_47radix_sort_onesweep_sort_config_static_selectorELNS0_4arch9wavefront6targetE1EEEvSI_,comdat
.Lfunc_end1650:
	.size	_ZN7rocprim17ROCPRIM_400000_NS6detail17trampoline_kernelINS0_14default_configENS1_35radix_sort_onesweep_config_selectorIssEEZZNS1_29radix_sort_onesweep_iterationIS3_Lb0EN6thrust23THRUST_200600_302600_NS6detail15normal_iteratorINS8_10device_ptrIsEEEESD_SD_SD_jNS0_19identity_decomposerENS1_16block_id_wrapperIjLb1EEEEE10hipError_tT1_PNSt15iterator_traitsISI_E10value_typeET2_T3_PNSJ_ISO_E10value_typeET4_T5_PST_SU_PNS1_23onesweep_lookback_stateEbbT6_jjT7_P12ihipStream_tbENKUlT_T0_SI_SN_E_clISD_SD_SD_SD_EEDaS11_S12_SI_SN_EUlS11_E_NS1_11comp_targetILNS1_3genE8ELNS1_11target_archE1030ELNS1_3gpuE2ELNS1_3repE0EEENS1_47radix_sort_onesweep_sort_config_static_selectorELNS0_4arch9wavefront6targetE1EEEvSI_, .Lfunc_end1650-_ZN7rocprim17ROCPRIM_400000_NS6detail17trampoline_kernelINS0_14default_configENS1_35radix_sort_onesweep_config_selectorIssEEZZNS1_29radix_sort_onesweep_iterationIS3_Lb0EN6thrust23THRUST_200600_302600_NS6detail15normal_iteratorINS8_10device_ptrIsEEEESD_SD_SD_jNS0_19identity_decomposerENS1_16block_id_wrapperIjLb1EEEEE10hipError_tT1_PNSt15iterator_traitsISI_E10value_typeET2_T3_PNSJ_ISO_E10value_typeET4_T5_PST_SU_PNS1_23onesweep_lookback_stateEbbT6_jjT7_P12ihipStream_tbENKUlT_T0_SI_SN_E_clISD_SD_SD_SD_EEDaS11_S12_SI_SN_EUlS11_E_NS1_11comp_targetILNS1_3genE8ELNS1_11target_archE1030ELNS1_3gpuE2ELNS1_3repE0EEENS1_47radix_sort_onesweep_sort_config_static_selectorELNS0_4arch9wavefront6targetE1EEEvSI_
                                        ; -- End function
	.set _ZN7rocprim17ROCPRIM_400000_NS6detail17trampoline_kernelINS0_14default_configENS1_35radix_sort_onesweep_config_selectorIssEEZZNS1_29radix_sort_onesweep_iterationIS3_Lb0EN6thrust23THRUST_200600_302600_NS6detail15normal_iteratorINS8_10device_ptrIsEEEESD_SD_SD_jNS0_19identity_decomposerENS1_16block_id_wrapperIjLb1EEEEE10hipError_tT1_PNSt15iterator_traitsISI_E10value_typeET2_T3_PNSJ_ISO_E10value_typeET4_T5_PST_SU_PNS1_23onesweep_lookback_stateEbbT6_jjT7_P12ihipStream_tbENKUlT_T0_SI_SN_E_clISD_SD_SD_SD_EEDaS11_S12_SI_SN_EUlS11_E_NS1_11comp_targetILNS1_3genE8ELNS1_11target_archE1030ELNS1_3gpuE2ELNS1_3repE0EEENS1_47radix_sort_onesweep_sort_config_static_selectorELNS0_4arch9wavefront6targetE1EEEvSI_.num_vgpr, 0
	.set _ZN7rocprim17ROCPRIM_400000_NS6detail17trampoline_kernelINS0_14default_configENS1_35radix_sort_onesweep_config_selectorIssEEZZNS1_29radix_sort_onesweep_iterationIS3_Lb0EN6thrust23THRUST_200600_302600_NS6detail15normal_iteratorINS8_10device_ptrIsEEEESD_SD_SD_jNS0_19identity_decomposerENS1_16block_id_wrapperIjLb1EEEEE10hipError_tT1_PNSt15iterator_traitsISI_E10value_typeET2_T3_PNSJ_ISO_E10value_typeET4_T5_PST_SU_PNS1_23onesweep_lookback_stateEbbT6_jjT7_P12ihipStream_tbENKUlT_T0_SI_SN_E_clISD_SD_SD_SD_EEDaS11_S12_SI_SN_EUlS11_E_NS1_11comp_targetILNS1_3genE8ELNS1_11target_archE1030ELNS1_3gpuE2ELNS1_3repE0EEENS1_47radix_sort_onesweep_sort_config_static_selectorELNS0_4arch9wavefront6targetE1EEEvSI_.num_agpr, 0
	.set _ZN7rocprim17ROCPRIM_400000_NS6detail17trampoline_kernelINS0_14default_configENS1_35radix_sort_onesweep_config_selectorIssEEZZNS1_29radix_sort_onesweep_iterationIS3_Lb0EN6thrust23THRUST_200600_302600_NS6detail15normal_iteratorINS8_10device_ptrIsEEEESD_SD_SD_jNS0_19identity_decomposerENS1_16block_id_wrapperIjLb1EEEEE10hipError_tT1_PNSt15iterator_traitsISI_E10value_typeET2_T3_PNSJ_ISO_E10value_typeET4_T5_PST_SU_PNS1_23onesweep_lookback_stateEbbT6_jjT7_P12ihipStream_tbENKUlT_T0_SI_SN_E_clISD_SD_SD_SD_EEDaS11_S12_SI_SN_EUlS11_E_NS1_11comp_targetILNS1_3genE8ELNS1_11target_archE1030ELNS1_3gpuE2ELNS1_3repE0EEENS1_47radix_sort_onesweep_sort_config_static_selectorELNS0_4arch9wavefront6targetE1EEEvSI_.numbered_sgpr, 0
	.set _ZN7rocprim17ROCPRIM_400000_NS6detail17trampoline_kernelINS0_14default_configENS1_35radix_sort_onesweep_config_selectorIssEEZZNS1_29radix_sort_onesweep_iterationIS3_Lb0EN6thrust23THRUST_200600_302600_NS6detail15normal_iteratorINS8_10device_ptrIsEEEESD_SD_SD_jNS0_19identity_decomposerENS1_16block_id_wrapperIjLb1EEEEE10hipError_tT1_PNSt15iterator_traitsISI_E10value_typeET2_T3_PNSJ_ISO_E10value_typeET4_T5_PST_SU_PNS1_23onesweep_lookback_stateEbbT6_jjT7_P12ihipStream_tbENKUlT_T0_SI_SN_E_clISD_SD_SD_SD_EEDaS11_S12_SI_SN_EUlS11_E_NS1_11comp_targetILNS1_3genE8ELNS1_11target_archE1030ELNS1_3gpuE2ELNS1_3repE0EEENS1_47radix_sort_onesweep_sort_config_static_selectorELNS0_4arch9wavefront6targetE1EEEvSI_.num_named_barrier, 0
	.set _ZN7rocprim17ROCPRIM_400000_NS6detail17trampoline_kernelINS0_14default_configENS1_35radix_sort_onesweep_config_selectorIssEEZZNS1_29radix_sort_onesweep_iterationIS3_Lb0EN6thrust23THRUST_200600_302600_NS6detail15normal_iteratorINS8_10device_ptrIsEEEESD_SD_SD_jNS0_19identity_decomposerENS1_16block_id_wrapperIjLb1EEEEE10hipError_tT1_PNSt15iterator_traitsISI_E10value_typeET2_T3_PNSJ_ISO_E10value_typeET4_T5_PST_SU_PNS1_23onesweep_lookback_stateEbbT6_jjT7_P12ihipStream_tbENKUlT_T0_SI_SN_E_clISD_SD_SD_SD_EEDaS11_S12_SI_SN_EUlS11_E_NS1_11comp_targetILNS1_3genE8ELNS1_11target_archE1030ELNS1_3gpuE2ELNS1_3repE0EEENS1_47radix_sort_onesweep_sort_config_static_selectorELNS0_4arch9wavefront6targetE1EEEvSI_.private_seg_size, 0
	.set _ZN7rocprim17ROCPRIM_400000_NS6detail17trampoline_kernelINS0_14default_configENS1_35radix_sort_onesweep_config_selectorIssEEZZNS1_29radix_sort_onesweep_iterationIS3_Lb0EN6thrust23THRUST_200600_302600_NS6detail15normal_iteratorINS8_10device_ptrIsEEEESD_SD_SD_jNS0_19identity_decomposerENS1_16block_id_wrapperIjLb1EEEEE10hipError_tT1_PNSt15iterator_traitsISI_E10value_typeET2_T3_PNSJ_ISO_E10value_typeET4_T5_PST_SU_PNS1_23onesweep_lookback_stateEbbT6_jjT7_P12ihipStream_tbENKUlT_T0_SI_SN_E_clISD_SD_SD_SD_EEDaS11_S12_SI_SN_EUlS11_E_NS1_11comp_targetILNS1_3genE8ELNS1_11target_archE1030ELNS1_3gpuE2ELNS1_3repE0EEENS1_47radix_sort_onesweep_sort_config_static_selectorELNS0_4arch9wavefront6targetE1EEEvSI_.uses_vcc, 0
	.set _ZN7rocprim17ROCPRIM_400000_NS6detail17trampoline_kernelINS0_14default_configENS1_35radix_sort_onesweep_config_selectorIssEEZZNS1_29radix_sort_onesweep_iterationIS3_Lb0EN6thrust23THRUST_200600_302600_NS6detail15normal_iteratorINS8_10device_ptrIsEEEESD_SD_SD_jNS0_19identity_decomposerENS1_16block_id_wrapperIjLb1EEEEE10hipError_tT1_PNSt15iterator_traitsISI_E10value_typeET2_T3_PNSJ_ISO_E10value_typeET4_T5_PST_SU_PNS1_23onesweep_lookback_stateEbbT6_jjT7_P12ihipStream_tbENKUlT_T0_SI_SN_E_clISD_SD_SD_SD_EEDaS11_S12_SI_SN_EUlS11_E_NS1_11comp_targetILNS1_3genE8ELNS1_11target_archE1030ELNS1_3gpuE2ELNS1_3repE0EEENS1_47radix_sort_onesweep_sort_config_static_selectorELNS0_4arch9wavefront6targetE1EEEvSI_.uses_flat_scratch, 0
	.set _ZN7rocprim17ROCPRIM_400000_NS6detail17trampoline_kernelINS0_14default_configENS1_35radix_sort_onesweep_config_selectorIssEEZZNS1_29radix_sort_onesweep_iterationIS3_Lb0EN6thrust23THRUST_200600_302600_NS6detail15normal_iteratorINS8_10device_ptrIsEEEESD_SD_SD_jNS0_19identity_decomposerENS1_16block_id_wrapperIjLb1EEEEE10hipError_tT1_PNSt15iterator_traitsISI_E10value_typeET2_T3_PNSJ_ISO_E10value_typeET4_T5_PST_SU_PNS1_23onesweep_lookback_stateEbbT6_jjT7_P12ihipStream_tbENKUlT_T0_SI_SN_E_clISD_SD_SD_SD_EEDaS11_S12_SI_SN_EUlS11_E_NS1_11comp_targetILNS1_3genE8ELNS1_11target_archE1030ELNS1_3gpuE2ELNS1_3repE0EEENS1_47radix_sort_onesweep_sort_config_static_selectorELNS0_4arch9wavefront6targetE1EEEvSI_.has_dyn_sized_stack, 0
	.set _ZN7rocprim17ROCPRIM_400000_NS6detail17trampoline_kernelINS0_14default_configENS1_35radix_sort_onesweep_config_selectorIssEEZZNS1_29radix_sort_onesweep_iterationIS3_Lb0EN6thrust23THRUST_200600_302600_NS6detail15normal_iteratorINS8_10device_ptrIsEEEESD_SD_SD_jNS0_19identity_decomposerENS1_16block_id_wrapperIjLb1EEEEE10hipError_tT1_PNSt15iterator_traitsISI_E10value_typeET2_T3_PNSJ_ISO_E10value_typeET4_T5_PST_SU_PNS1_23onesweep_lookback_stateEbbT6_jjT7_P12ihipStream_tbENKUlT_T0_SI_SN_E_clISD_SD_SD_SD_EEDaS11_S12_SI_SN_EUlS11_E_NS1_11comp_targetILNS1_3genE8ELNS1_11target_archE1030ELNS1_3gpuE2ELNS1_3repE0EEENS1_47radix_sort_onesweep_sort_config_static_selectorELNS0_4arch9wavefront6targetE1EEEvSI_.has_recursion, 0
	.set _ZN7rocprim17ROCPRIM_400000_NS6detail17trampoline_kernelINS0_14default_configENS1_35radix_sort_onesweep_config_selectorIssEEZZNS1_29radix_sort_onesweep_iterationIS3_Lb0EN6thrust23THRUST_200600_302600_NS6detail15normal_iteratorINS8_10device_ptrIsEEEESD_SD_SD_jNS0_19identity_decomposerENS1_16block_id_wrapperIjLb1EEEEE10hipError_tT1_PNSt15iterator_traitsISI_E10value_typeET2_T3_PNSJ_ISO_E10value_typeET4_T5_PST_SU_PNS1_23onesweep_lookback_stateEbbT6_jjT7_P12ihipStream_tbENKUlT_T0_SI_SN_E_clISD_SD_SD_SD_EEDaS11_S12_SI_SN_EUlS11_E_NS1_11comp_targetILNS1_3genE8ELNS1_11target_archE1030ELNS1_3gpuE2ELNS1_3repE0EEENS1_47radix_sort_onesweep_sort_config_static_selectorELNS0_4arch9wavefront6targetE1EEEvSI_.has_indirect_call, 0
	.section	.AMDGPU.csdata,"",@progbits
; Kernel info:
; codeLenInByte = 0
; TotalNumSgprs: 6
; NumVgprs: 0
; NumAgprs: 0
; TotalNumVgprs: 0
; ScratchSize: 0
; MemoryBound: 0
; FloatMode: 240
; IeeeMode: 1
; LDSByteSize: 0 bytes/workgroup (compile time only)
; SGPRBlocks: 0
; VGPRBlocks: 0
; NumSGPRsForWavesPerEU: 6
; NumVGPRsForWavesPerEU: 1
; AccumOffset: 4
; Occupancy: 8
; WaveLimiterHint : 0
; COMPUTE_PGM_RSRC2:SCRATCH_EN: 0
; COMPUTE_PGM_RSRC2:USER_SGPR: 2
; COMPUTE_PGM_RSRC2:TRAP_HANDLER: 0
; COMPUTE_PGM_RSRC2:TGID_X_EN: 1
; COMPUTE_PGM_RSRC2:TGID_Y_EN: 0
; COMPUTE_PGM_RSRC2:TGID_Z_EN: 0
; COMPUTE_PGM_RSRC2:TIDIG_COMP_CNT: 0
; COMPUTE_PGM_RSRC3_GFX90A:ACCUM_OFFSET: 0
; COMPUTE_PGM_RSRC3_GFX90A:TG_SPLIT: 0
	.section	.text._ZN7rocprim17ROCPRIM_400000_NS6detail17trampoline_kernelINS0_14default_configENS1_35radix_sort_onesweep_config_selectorIssEEZZNS1_29radix_sort_onesweep_iterationIS3_Lb0EN6thrust23THRUST_200600_302600_NS6detail15normal_iteratorINS8_10device_ptrIsEEEESD_SD_SD_jNS0_19identity_decomposerENS1_16block_id_wrapperIjLb1EEEEE10hipError_tT1_PNSt15iterator_traitsISI_E10value_typeET2_T3_PNSJ_ISO_E10value_typeET4_T5_PST_SU_PNS1_23onesweep_lookback_stateEbbT6_jjT7_P12ihipStream_tbENKUlT_T0_SI_SN_E_clISD_PsSD_S15_EEDaS11_S12_SI_SN_EUlS11_E_NS1_11comp_targetILNS1_3genE0ELNS1_11target_archE4294967295ELNS1_3gpuE0ELNS1_3repE0EEENS1_47radix_sort_onesweep_sort_config_static_selectorELNS0_4arch9wavefront6targetE1EEEvSI_,"axG",@progbits,_ZN7rocprim17ROCPRIM_400000_NS6detail17trampoline_kernelINS0_14default_configENS1_35radix_sort_onesweep_config_selectorIssEEZZNS1_29radix_sort_onesweep_iterationIS3_Lb0EN6thrust23THRUST_200600_302600_NS6detail15normal_iteratorINS8_10device_ptrIsEEEESD_SD_SD_jNS0_19identity_decomposerENS1_16block_id_wrapperIjLb1EEEEE10hipError_tT1_PNSt15iterator_traitsISI_E10value_typeET2_T3_PNSJ_ISO_E10value_typeET4_T5_PST_SU_PNS1_23onesweep_lookback_stateEbbT6_jjT7_P12ihipStream_tbENKUlT_T0_SI_SN_E_clISD_PsSD_S15_EEDaS11_S12_SI_SN_EUlS11_E_NS1_11comp_targetILNS1_3genE0ELNS1_11target_archE4294967295ELNS1_3gpuE0ELNS1_3repE0EEENS1_47radix_sort_onesweep_sort_config_static_selectorELNS0_4arch9wavefront6targetE1EEEvSI_,comdat
	.protected	_ZN7rocprim17ROCPRIM_400000_NS6detail17trampoline_kernelINS0_14default_configENS1_35radix_sort_onesweep_config_selectorIssEEZZNS1_29radix_sort_onesweep_iterationIS3_Lb0EN6thrust23THRUST_200600_302600_NS6detail15normal_iteratorINS8_10device_ptrIsEEEESD_SD_SD_jNS0_19identity_decomposerENS1_16block_id_wrapperIjLb1EEEEE10hipError_tT1_PNSt15iterator_traitsISI_E10value_typeET2_T3_PNSJ_ISO_E10value_typeET4_T5_PST_SU_PNS1_23onesweep_lookback_stateEbbT6_jjT7_P12ihipStream_tbENKUlT_T0_SI_SN_E_clISD_PsSD_S15_EEDaS11_S12_SI_SN_EUlS11_E_NS1_11comp_targetILNS1_3genE0ELNS1_11target_archE4294967295ELNS1_3gpuE0ELNS1_3repE0EEENS1_47radix_sort_onesweep_sort_config_static_selectorELNS0_4arch9wavefront6targetE1EEEvSI_ ; -- Begin function _ZN7rocprim17ROCPRIM_400000_NS6detail17trampoline_kernelINS0_14default_configENS1_35radix_sort_onesweep_config_selectorIssEEZZNS1_29radix_sort_onesweep_iterationIS3_Lb0EN6thrust23THRUST_200600_302600_NS6detail15normal_iteratorINS8_10device_ptrIsEEEESD_SD_SD_jNS0_19identity_decomposerENS1_16block_id_wrapperIjLb1EEEEE10hipError_tT1_PNSt15iterator_traitsISI_E10value_typeET2_T3_PNSJ_ISO_E10value_typeET4_T5_PST_SU_PNS1_23onesweep_lookback_stateEbbT6_jjT7_P12ihipStream_tbENKUlT_T0_SI_SN_E_clISD_PsSD_S15_EEDaS11_S12_SI_SN_EUlS11_E_NS1_11comp_targetILNS1_3genE0ELNS1_11target_archE4294967295ELNS1_3gpuE0ELNS1_3repE0EEENS1_47radix_sort_onesweep_sort_config_static_selectorELNS0_4arch9wavefront6targetE1EEEvSI_
	.globl	_ZN7rocprim17ROCPRIM_400000_NS6detail17trampoline_kernelINS0_14default_configENS1_35radix_sort_onesweep_config_selectorIssEEZZNS1_29radix_sort_onesweep_iterationIS3_Lb0EN6thrust23THRUST_200600_302600_NS6detail15normal_iteratorINS8_10device_ptrIsEEEESD_SD_SD_jNS0_19identity_decomposerENS1_16block_id_wrapperIjLb1EEEEE10hipError_tT1_PNSt15iterator_traitsISI_E10value_typeET2_T3_PNSJ_ISO_E10value_typeET4_T5_PST_SU_PNS1_23onesweep_lookback_stateEbbT6_jjT7_P12ihipStream_tbENKUlT_T0_SI_SN_E_clISD_PsSD_S15_EEDaS11_S12_SI_SN_EUlS11_E_NS1_11comp_targetILNS1_3genE0ELNS1_11target_archE4294967295ELNS1_3gpuE0ELNS1_3repE0EEENS1_47radix_sort_onesweep_sort_config_static_selectorELNS0_4arch9wavefront6targetE1EEEvSI_
	.p2align	8
	.type	_ZN7rocprim17ROCPRIM_400000_NS6detail17trampoline_kernelINS0_14default_configENS1_35radix_sort_onesweep_config_selectorIssEEZZNS1_29radix_sort_onesweep_iterationIS3_Lb0EN6thrust23THRUST_200600_302600_NS6detail15normal_iteratorINS8_10device_ptrIsEEEESD_SD_SD_jNS0_19identity_decomposerENS1_16block_id_wrapperIjLb1EEEEE10hipError_tT1_PNSt15iterator_traitsISI_E10value_typeET2_T3_PNSJ_ISO_E10value_typeET4_T5_PST_SU_PNS1_23onesweep_lookback_stateEbbT6_jjT7_P12ihipStream_tbENKUlT_T0_SI_SN_E_clISD_PsSD_S15_EEDaS11_S12_SI_SN_EUlS11_E_NS1_11comp_targetILNS1_3genE0ELNS1_11target_archE4294967295ELNS1_3gpuE0ELNS1_3repE0EEENS1_47radix_sort_onesweep_sort_config_static_selectorELNS0_4arch9wavefront6targetE1EEEvSI_,@function
_ZN7rocprim17ROCPRIM_400000_NS6detail17trampoline_kernelINS0_14default_configENS1_35radix_sort_onesweep_config_selectorIssEEZZNS1_29radix_sort_onesweep_iterationIS3_Lb0EN6thrust23THRUST_200600_302600_NS6detail15normal_iteratorINS8_10device_ptrIsEEEESD_SD_SD_jNS0_19identity_decomposerENS1_16block_id_wrapperIjLb1EEEEE10hipError_tT1_PNSt15iterator_traitsISI_E10value_typeET2_T3_PNSJ_ISO_E10value_typeET4_T5_PST_SU_PNS1_23onesweep_lookback_stateEbbT6_jjT7_P12ihipStream_tbENKUlT_T0_SI_SN_E_clISD_PsSD_S15_EEDaS11_S12_SI_SN_EUlS11_E_NS1_11comp_targetILNS1_3genE0ELNS1_11target_archE4294967295ELNS1_3gpuE0ELNS1_3repE0EEENS1_47radix_sort_onesweep_sort_config_static_selectorELNS0_4arch9wavefront6targetE1EEEvSI_: ; @_ZN7rocprim17ROCPRIM_400000_NS6detail17trampoline_kernelINS0_14default_configENS1_35radix_sort_onesweep_config_selectorIssEEZZNS1_29radix_sort_onesweep_iterationIS3_Lb0EN6thrust23THRUST_200600_302600_NS6detail15normal_iteratorINS8_10device_ptrIsEEEESD_SD_SD_jNS0_19identity_decomposerENS1_16block_id_wrapperIjLb1EEEEE10hipError_tT1_PNSt15iterator_traitsISI_E10value_typeET2_T3_PNSJ_ISO_E10value_typeET4_T5_PST_SU_PNS1_23onesweep_lookback_stateEbbT6_jjT7_P12ihipStream_tbENKUlT_T0_SI_SN_E_clISD_PsSD_S15_EEDaS11_S12_SI_SN_EUlS11_E_NS1_11comp_targetILNS1_3genE0ELNS1_11target_archE4294967295ELNS1_3gpuE0ELNS1_3repE0EEENS1_47radix_sort_onesweep_sort_config_static_selectorELNS0_4arch9wavefront6targetE1EEEvSI_
; %bb.0:
	.section	.rodata,"a",@progbits
	.p2align	6, 0x0
	.amdhsa_kernel _ZN7rocprim17ROCPRIM_400000_NS6detail17trampoline_kernelINS0_14default_configENS1_35radix_sort_onesweep_config_selectorIssEEZZNS1_29radix_sort_onesweep_iterationIS3_Lb0EN6thrust23THRUST_200600_302600_NS6detail15normal_iteratorINS8_10device_ptrIsEEEESD_SD_SD_jNS0_19identity_decomposerENS1_16block_id_wrapperIjLb1EEEEE10hipError_tT1_PNSt15iterator_traitsISI_E10value_typeET2_T3_PNSJ_ISO_E10value_typeET4_T5_PST_SU_PNS1_23onesweep_lookback_stateEbbT6_jjT7_P12ihipStream_tbENKUlT_T0_SI_SN_E_clISD_PsSD_S15_EEDaS11_S12_SI_SN_EUlS11_E_NS1_11comp_targetILNS1_3genE0ELNS1_11target_archE4294967295ELNS1_3gpuE0ELNS1_3repE0EEENS1_47radix_sort_onesweep_sort_config_static_selectorELNS0_4arch9wavefront6targetE1EEEvSI_
		.amdhsa_group_segment_fixed_size 0
		.amdhsa_private_segment_fixed_size 0
		.amdhsa_kernarg_size 88
		.amdhsa_user_sgpr_count 2
		.amdhsa_user_sgpr_dispatch_ptr 0
		.amdhsa_user_sgpr_queue_ptr 0
		.amdhsa_user_sgpr_kernarg_segment_ptr 1
		.amdhsa_user_sgpr_dispatch_id 0
		.amdhsa_user_sgpr_kernarg_preload_length 0
		.amdhsa_user_sgpr_kernarg_preload_offset 0
		.amdhsa_user_sgpr_private_segment_size 0
		.amdhsa_uses_dynamic_stack 0
		.amdhsa_enable_private_segment 0
		.amdhsa_system_sgpr_workgroup_id_x 1
		.amdhsa_system_sgpr_workgroup_id_y 0
		.amdhsa_system_sgpr_workgroup_id_z 0
		.amdhsa_system_sgpr_workgroup_info 0
		.amdhsa_system_vgpr_workitem_id 0
		.amdhsa_next_free_vgpr 1
		.amdhsa_next_free_sgpr 0
		.amdhsa_accum_offset 4
		.amdhsa_reserve_vcc 0
		.amdhsa_float_round_mode_32 0
		.amdhsa_float_round_mode_16_64 0
		.amdhsa_float_denorm_mode_32 3
		.amdhsa_float_denorm_mode_16_64 3
		.amdhsa_dx10_clamp 1
		.amdhsa_ieee_mode 1
		.amdhsa_fp16_overflow 0
		.amdhsa_tg_split 0
		.amdhsa_exception_fp_ieee_invalid_op 0
		.amdhsa_exception_fp_denorm_src 0
		.amdhsa_exception_fp_ieee_div_zero 0
		.amdhsa_exception_fp_ieee_overflow 0
		.amdhsa_exception_fp_ieee_underflow 0
		.amdhsa_exception_fp_ieee_inexact 0
		.amdhsa_exception_int_div_zero 0
	.end_amdhsa_kernel
	.section	.text._ZN7rocprim17ROCPRIM_400000_NS6detail17trampoline_kernelINS0_14default_configENS1_35radix_sort_onesweep_config_selectorIssEEZZNS1_29radix_sort_onesweep_iterationIS3_Lb0EN6thrust23THRUST_200600_302600_NS6detail15normal_iteratorINS8_10device_ptrIsEEEESD_SD_SD_jNS0_19identity_decomposerENS1_16block_id_wrapperIjLb1EEEEE10hipError_tT1_PNSt15iterator_traitsISI_E10value_typeET2_T3_PNSJ_ISO_E10value_typeET4_T5_PST_SU_PNS1_23onesweep_lookback_stateEbbT6_jjT7_P12ihipStream_tbENKUlT_T0_SI_SN_E_clISD_PsSD_S15_EEDaS11_S12_SI_SN_EUlS11_E_NS1_11comp_targetILNS1_3genE0ELNS1_11target_archE4294967295ELNS1_3gpuE0ELNS1_3repE0EEENS1_47radix_sort_onesweep_sort_config_static_selectorELNS0_4arch9wavefront6targetE1EEEvSI_,"axG",@progbits,_ZN7rocprim17ROCPRIM_400000_NS6detail17trampoline_kernelINS0_14default_configENS1_35radix_sort_onesweep_config_selectorIssEEZZNS1_29radix_sort_onesweep_iterationIS3_Lb0EN6thrust23THRUST_200600_302600_NS6detail15normal_iteratorINS8_10device_ptrIsEEEESD_SD_SD_jNS0_19identity_decomposerENS1_16block_id_wrapperIjLb1EEEEE10hipError_tT1_PNSt15iterator_traitsISI_E10value_typeET2_T3_PNSJ_ISO_E10value_typeET4_T5_PST_SU_PNS1_23onesweep_lookback_stateEbbT6_jjT7_P12ihipStream_tbENKUlT_T0_SI_SN_E_clISD_PsSD_S15_EEDaS11_S12_SI_SN_EUlS11_E_NS1_11comp_targetILNS1_3genE0ELNS1_11target_archE4294967295ELNS1_3gpuE0ELNS1_3repE0EEENS1_47radix_sort_onesweep_sort_config_static_selectorELNS0_4arch9wavefront6targetE1EEEvSI_,comdat
.Lfunc_end1651:
	.size	_ZN7rocprim17ROCPRIM_400000_NS6detail17trampoline_kernelINS0_14default_configENS1_35radix_sort_onesweep_config_selectorIssEEZZNS1_29radix_sort_onesweep_iterationIS3_Lb0EN6thrust23THRUST_200600_302600_NS6detail15normal_iteratorINS8_10device_ptrIsEEEESD_SD_SD_jNS0_19identity_decomposerENS1_16block_id_wrapperIjLb1EEEEE10hipError_tT1_PNSt15iterator_traitsISI_E10value_typeET2_T3_PNSJ_ISO_E10value_typeET4_T5_PST_SU_PNS1_23onesweep_lookback_stateEbbT6_jjT7_P12ihipStream_tbENKUlT_T0_SI_SN_E_clISD_PsSD_S15_EEDaS11_S12_SI_SN_EUlS11_E_NS1_11comp_targetILNS1_3genE0ELNS1_11target_archE4294967295ELNS1_3gpuE0ELNS1_3repE0EEENS1_47radix_sort_onesweep_sort_config_static_selectorELNS0_4arch9wavefront6targetE1EEEvSI_, .Lfunc_end1651-_ZN7rocprim17ROCPRIM_400000_NS6detail17trampoline_kernelINS0_14default_configENS1_35radix_sort_onesweep_config_selectorIssEEZZNS1_29radix_sort_onesweep_iterationIS3_Lb0EN6thrust23THRUST_200600_302600_NS6detail15normal_iteratorINS8_10device_ptrIsEEEESD_SD_SD_jNS0_19identity_decomposerENS1_16block_id_wrapperIjLb1EEEEE10hipError_tT1_PNSt15iterator_traitsISI_E10value_typeET2_T3_PNSJ_ISO_E10value_typeET4_T5_PST_SU_PNS1_23onesweep_lookback_stateEbbT6_jjT7_P12ihipStream_tbENKUlT_T0_SI_SN_E_clISD_PsSD_S15_EEDaS11_S12_SI_SN_EUlS11_E_NS1_11comp_targetILNS1_3genE0ELNS1_11target_archE4294967295ELNS1_3gpuE0ELNS1_3repE0EEENS1_47radix_sort_onesweep_sort_config_static_selectorELNS0_4arch9wavefront6targetE1EEEvSI_
                                        ; -- End function
	.set _ZN7rocprim17ROCPRIM_400000_NS6detail17trampoline_kernelINS0_14default_configENS1_35radix_sort_onesweep_config_selectorIssEEZZNS1_29radix_sort_onesweep_iterationIS3_Lb0EN6thrust23THRUST_200600_302600_NS6detail15normal_iteratorINS8_10device_ptrIsEEEESD_SD_SD_jNS0_19identity_decomposerENS1_16block_id_wrapperIjLb1EEEEE10hipError_tT1_PNSt15iterator_traitsISI_E10value_typeET2_T3_PNSJ_ISO_E10value_typeET4_T5_PST_SU_PNS1_23onesweep_lookback_stateEbbT6_jjT7_P12ihipStream_tbENKUlT_T0_SI_SN_E_clISD_PsSD_S15_EEDaS11_S12_SI_SN_EUlS11_E_NS1_11comp_targetILNS1_3genE0ELNS1_11target_archE4294967295ELNS1_3gpuE0ELNS1_3repE0EEENS1_47radix_sort_onesweep_sort_config_static_selectorELNS0_4arch9wavefront6targetE1EEEvSI_.num_vgpr, 0
	.set _ZN7rocprim17ROCPRIM_400000_NS6detail17trampoline_kernelINS0_14default_configENS1_35radix_sort_onesweep_config_selectorIssEEZZNS1_29radix_sort_onesweep_iterationIS3_Lb0EN6thrust23THRUST_200600_302600_NS6detail15normal_iteratorINS8_10device_ptrIsEEEESD_SD_SD_jNS0_19identity_decomposerENS1_16block_id_wrapperIjLb1EEEEE10hipError_tT1_PNSt15iterator_traitsISI_E10value_typeET2_T3_PNSJ_ISO_E10value_typeET4_T5_PST_SU_PNS1_23onesweep_lookback_stateEbbT6_jjT7_P12ihipStream_tbENKUlT_T0_SI_SN_E_clISD_PsSD_S15_EEDaS11_S12_SI_SN_EUlS11_E_NS1_11comp_targetILNS1_3genE0ELNS1_11target_archE4294967295ELNS1_3gpuE0ELNS1_3repE0EEENS1_47radix_sort_onesweep_sort_config_static_selectorELNS0_4arch9wavefront6targetE1EEEvSI_.num_agpr, 0
	.set _ZN7rocprim17ROCPRIM_400000_NS6detail17trampoline_kernelINS0_14default_configENS1_35radix_sort_onesweep_config_selectorIssEEZZNS1_29radix_sort_onesweep_iterationIS3_Lb0EN6thrust23THRUST_200600_302600_NS6detail15normal_iteratorINS8_10device_ptrIsEEEESD_SD_SD_jNS0_19identity_decomposerENS1_16block_id_wrapperIjLb1EEEEE10hipError_tT1_PNSt15iterator_traitsISI_E10value_typeET2_T3_PNSJ_ISO_E10value_typeET4_T5_PST_SU_PNS1_23onesweep_lookback_stateEbbT6_jjT7_P12ihipStream_tbENKUlT_T0_SI_SN_E_clISD_PsSD_S15_EEDaS11_S12_SI_SN_EUlS11_E_NS1_11comp_targetILNS1_3genE0ELNS1_11target_archE4294967295ELNS1_3gpuE0ELNS1_3repE0EEENS1_47radix_sort_onesweep_sort_config_static_selectorELNS0_4arch9wavefront6targetE1EEEvSI_.numbered_sgpr, 0
	.set _ZN7rocprim17ROCPRIM_400000_NS6detail17trampoline_kernelINS0_14default_configENS1_35radix_sort_onesweep_config_selectorIssEEZZNS1_29radix_sort_onesweep_iterationIS3_Lb0EN6thrust23THRUST_200600_302600_NS6detail15normal_iteratorINS8_10device_ptrIsEEEESD_SD_SD_jNS0_19identity_decomposerENS1_16block_id_wrapperIjLb1EEEEE10hipError_tT1_PNSt15iterator_traitsISI_E10value_typeET2_T3_PNSJ_ISO_E10value_typeET4_T5_PST_SU_PNS1_23onesweep_lookback_stateEbbT6_jjT7_P12ihipStream_tbENKUlT_T0_SI_SN_E_clISD_PsSD_S15_EEDaS11_S12_SI_SN_EUlS11_E_NS1_11comp_targetILNS1_3genE0ELNS1_11target_archE4294967295ELNS1_3gpuE0ELNS1_3repE0EEENS1_47radix_sort_onesweep_sort_config_static_selectorELNS0_4arch9wavefront6targetE1EEEvSI_.num_named_barrier, 0
	.set _ZN7rocprim17ROCPRIM_400000_NS6detail17trampoline_kernelINS0_14default_configENS1_35radix_sort_onesweep_config_selectorIssEEZZNS1_29radix_sort_onesweep_iterationIS3_Lb0EN6thrust23THRUST_200600_302600_NS6detail15normal_iteratorINS8_10device_ptrIsEEEESD_SD_SD_jNS0_19identity_decomposerENS1_16block_id_wrapperIjLb1EEEEE10hipError_tT1_PNSt15iterator_traitsISI_E10value_typeET2_T3_PNSJ_ISO_E10value_typeET4_T5_PST_SU_PNS1_23onesweep_lookback_stateEbbT6_jjT7_P12ihipStream_tbENKUlT_T0_SI_SN_E_clISD_PsSD_S15_EEDaS11_S12_SI_SN_EUlS11_E_NS1_11comp_targetILNS1_3genE0ELNS1_11target_archE4294967295ELNS1_3gpuE0ELNS1_3repE0EEENS1_47radix_sort_onesweep_sort_config_static_selectorELNS0_4arch9wavefront6targetE1EEEvSI_.private_seg_size, 0
	.set _ZN7rocprim17ROCPRIM_400000_NS6detail17trampoline_kernelINS0_14default_configENS1_35radix_sort_onesweep_config_selectorIssEEZZNS1_29radix_sort_onesweep_iterationIS3_Lb0EN6thrust23THRUST_200600_302600_NS6detail15normal_iteratorINS8_10device_ptrIsEEEESD_SD_SD_jNS0_19identity_decomposerENS1_16block_id_wrapperIjLb1EEEEE10hipError_tT1_PNSt15iterator_traitsISI_E10value_typeET2_T3_PNSJ_ISO_E10value_typeET4_T5_PST_SU_PNS1_23onesweep_lookback_stateEbbT6_jjT7_P12ihipStream_tbENKUlT_T0_SI_SN_E_clISD_PsSD_S15_EEDaS11_S12_SI_SN_EUlS11_E_NS1_11comp_targetILNS1_3genE0ELNS1_11target_archE4294967295ELNS1_3gpuE0ELNS1_3repE0EEENS1_47radix_sort_onesweep_sort_config_static_selectorELNS0_4arch9wavefront6targetE1EEEvSI_.uses_vcc, 0
	.set _ZN7rocprim17ROCPRIM_400000_NS6detail17trampoline_kernelINS0_14default_configENS1_35radix_sort_onesweep_config_selectorIssEEZZNS1_29radix_sort_onesweep_iterationIS3_Lb0EN6thrust23THRUST_200600_302600_NS6detail15normal_iteratorINS8_10device_ptrIsEEEESD_SD_SD_jNS0_19identity_decomposerENS1_16block_id_wrapperIjLb1EEEEE10hipError_tT1_PNSt15iterator_traitsISI_E10value_typeET2_T3_PNSJ_ISO_E10value_typeET4_T5_PST_SU_PNS1_23onesweep_lookback_stateEbbT6_jjT7_P12ihipStream_tbENKUlT_T0_SI_SN_E_clISD_PsSD_S15_EEDaS11_S12_SI_SN_EUlS11_E_NS1_11comp_targetILNS1_3genE0ELNS1_11target_archE4294967295ELNS1_3gpuE0ELNS1_3repE0EEENS1_47radix_sort_onesweep_sort_config_static_selectorELNS0_4arch9wavefront6targetE1EEEvSI_.uses_flat_scratch, 0
	.set _ZN7rocprim17ROCPRIM_400000_NS6detail17trampoline_kernelINS0_14default_configENS1_35radix_sort_onesweep_config_selectorIssEEZZNS1_29radix_sort_onesweep_iterationIS3_Lb0EN6thrust23THRUST_200600_302600_NS6detail15normal_iteratorINS8_10device_ptrIsEEEESD_SD_SD_jNS0_19identity_decomposerENS1_16block_id_wrapperIjLb1EEEEE10hipError_tT1_PNSt15iterator_traitsISI_E10value_typeET2_T3_PNSJ_ISO_E10value_typeET4_T5_PST_SU_PNS1_23onesweep_lookback_stateEbbT6_jjT7_P12ihipStream_tbENKUlT_T0_SI_SN_E_clISD_PsSD_S15_EEDaS11_S12_SI_SN_EUlS11_E_NS1_11comp_targetILNS1_3genE0ELNS1_11target_archE4294967295ELNS1_3gpuE0ELNS1_3repE0EEENS1_47radix_sort_onesweep_sort_config_static_selectorELNS0_4arch9wavefront6targetE1EEEvSI_.has_dyn_sized_stack, 0
	.set _ZN7rocprim17ROCPRIM_400000_NS6detail17trampoline_kernelINS0_14default_configENS1_35radix_sort_onesweep_config_selectorIssEEZZNS1_29radix_sort_onesweep_iterationIS3_Lb0EN6thrust23THRUST_200600_302600_NS6detail15normal_iteratorINS8_10device_ptrIsEEEESD_SD_SD_jNS0_19identity_decomposerENS1_16block_id_wrapperIjLb1EEEEE10hipError_tT1_PNSt15iterator_traitsISI_E10value_typeET2_T3_PNSJ_ISO_E10value_typeET4_T5_PST_SU_PNS1_23onesweep_lookback_stateEbbT6_jjT7_P12ihipStream_tbENKUlT_T0_SI_SN_E_clISD_PsSD_S15_EEDaS11_S12_SI_SN_EUlS11_E_NS1_11comp_targetILNS1_3genE0ELNS1_11target_archE4294967295ELNS1_3gpuE0ELNS1_3repE0EEENS1_47radix_sort_onesweep_sort_config_static_selectorELNS0_4arch9wavefront6targetE1EEEvSI_.has_recursion, 0
	.set _ZN7rocprim17ROCPRIM_400000_NS6detail17trampoline_kernelINS0_14default_configENS1_35radix_sort_onesweep_config_selectorIssEEZZNS1_29radix_sort_onesweep_iterationIS3_Lb0EN6thrust23THRUST_200600_302600_NS6detail15normal_iteratorINS8_10device_ptrIsEEEESD_SD_SD_jNS0_19identity_decomposerENS1_16block_id_wrapperIjLb1EEEEE10hipError_tT1_PNSt15iterator_traitsISI_E10value_typeET2_T3_PNSJ_ISO_E10value_typeET4_T5_PST_SU_PNS1_23onesweep_lookback_stateEbbT6_jjT7_P12ihipStream_tbENKUlT_T0_SI_SN_E_clISD_PsSD_S15_EEDaS11_S12_SI_SN_EUlS11_E_NS1_11comp_targetILNS1_3genE0ELNS1_11target_archE4294967295ELNS1_3gpuE0ELNS1_3repE0EEENS1_47radix_sort_onesweep_sort_config_static_selectorELNS0_4arch9wavefront6targetE1EEEvSI_.has_indirect_call, 0
	.section	.AMDGPU.csdata,"",@progbits
; Kernel info:
; codeLenInByte = 0
; TotalNumSgprs: 6
; NumVgprs: 0
; NumAgprs: 0
; TotalNumVgprs: 0
; ScratchSize: 0
; MemoryBound: 0
; FloatMode: 240
; IeeeMode: 1
; LDSByteSize: 0 bytes/workgroup (compile time only)
; SGPRBlocks: 0
; VGPRBlocks: 0
; NumSGPRsForWavesPerEU: 6
; NumVGPRsForWavesPerEU: 1
; AccumOffset: 4
; Occupancy: 8
; WaveLimiterHint : 0
; COMPUTE_PGM_RSRC2:SCRATCH_EN: 0
; COMPUTE_PGM_RSRC2:USER_SGPR: 2
; COMPUTE_PGM_RSRC2:TRAP_HANDLER: 0
; COMPUTE_PGM_RSRC2:TGID_X_EN: 1
; COMPUTE_PGM_RSRC2:TGID_Y_EN: 0
; COMPUTE_PGM_RSRC2:TGID_Z_EN: 0
; COMPUTE_PGM_RSRC2:TIDIG_COMP_CNT: 0
; COMPUTE_PGM_RSRC3_GFX90A:ACCUM_OFFSET: 0
; COMPUTE_PGM_RSRC3_GFX90A:TG_SPLIT: 0
	.section	.text._ZN7rocprim17ROCPRIM_400000_NS6detail17trampoline_kernelINS0_14default_configENS1_35radix_sort_onesweep_config_selectorIssEEZZNS1_29radix_sort_onesweep_iterationIS3_Lb0EN6thrust23THRUST_200600_302600_NS6detail15normal_iteratorINS8_10device_ptrIsEEEESD_SD_SD_jNS0_19identity_decomposerENS1_16block_id_wrapperIjLb1EEEEE10hipError_tT1_PNSt15iterator_traitsISI_E10value_typeET2_T3_PNSJ_ISO_E10value_typeET4_T5_PST_SU_PNS1_23onesweep_lookback_stateEbbT6_jjT7_P12ihipStream_tbENKUlT_T0_SI_SN_E_clISD_PsSD_S15_EEDaS11_S12_SI_SN_EUlS11_E_NS1_11comp_targetILNS1_3genE6ELNS1_11target_archE950ELNS1_3gpuE13ELNS1_3repE0EEENS1_47radix_sort_onesweep_sort_config_static_selectorELNS0_4arch9wavefront6targetE1EEEvSI_,"axG",@progbits,_ZN7rocprim17ROCPRIM_400000_NS6detail17trampoline_kernelINS0_14default_configENS1_35radix_sort_onesweep_config_selectorIssEEZZNS1_29radix_sort_onesweep_iterationIS3_Lb0EN6thrust23THRUST_200600_302600_NS6detail15normal_iteratorINS8_10device_ptrIsEEEESD_SD_SD_jNS0_19identity_decomposerENS1_16block_id_wrapperIjLb1EEEEE10hipError_tT1_PNSt15iterator_traitsISI_E10value_typeET2_T3_PNSJ_ISO_E10value_typeET4_T5_PST_SU_PNS1_23onesweep_lookback_stateEbbT6_jjT7_P12ihipStream_tbENKUlT_T0_SI_SN_E_clISD_PsSD_S15_EEDaS11_S12_SI_SN_EUlS11_E_NS1_11comp_targetILNS1_3genE6ELNS1_11target_archE950ELNS1_3gpuE13ELNS1_3repE0EEENS1_47radix_sort_onesweep_sort_config_static_selectorELNS0_4arch9wavefront6targetE1EEEvSI_,comdat
	.protected	_ZN7rocprim17ROCPRIM_400000_NS6detail17trampoline_kernelINS0_14default_configENS1_35radix_sort_onesweep_config_selectorIssEEZZNS1_29radix_sort_onesweep_iterationIS3_Lb0EN6thrust23THRUST_200600_302600_NS6detail15normal_iteratorINS8_10device_ptrIsEEEESD_SD_SD_jNS0_19identity_decomposerENS1_16block_id_wrapperIjLb1EEEEE10hipError_tT1_PNSt15iterator_traitsISI_E10value_typeET2_T3_PNSJ_ISO_E10value_typeET4_T5_PST_SU_PNS1_23onesweep_lookback_stateEbbT6_jjT7_P12ihipStream_tbENKUlT_T0_SI_SN_E_clISD_PsSD_S15_EEDaS11_S12_SI_SN_EUlS11_E_NS1_11comp_targetILNS1_3genE6ELNS1_11target_archE950ELNS1_3gpuE13ELNS1_3repE0EEENS1_47radix_sort_onesweep_sort_config_static_selectorELNS0_4arch9wavefront6targetE1EEEvSI_ ; -- Begin function _ZN7rocprim17ROCPRIM_400000_NS6detail17trampoline_kernelINS0_14default_configENS1_35radix_sort_onesweep_config_selectorIssEEZZNS1_29radix_sort_onesweep_iterationIS3_Lb0EN6thrust23THRUST_200600_302600_NS6detail15normal_iteratorINS8_10device_ptrIsEEEESD_SD_SD_jNS0_19identity_decomposerENS1_16block_id_wrapperIjLb1EEEEE10hipError_tT1_PNSt15iterator_traitsISI_E10value_typeET2_T3_PNSJ_ISO_E10value_typeET4_T5_PST_SU_PNS1_23onesweep_lookback_stateEbbT6_jjT7_P12ihipStream_tbENKUlT_T0_SI_SN_E_clISD_PsSD_S15_EEDaS11_S12_SI_SN_EUlS11_E_NS1_11comp_targetILNS1_3genE6ELNS1_11target_archE950ELNS1_3gpuE13ELNS1_3repE0EEENS1_47radix_sort_onesweep_sort_config_static_selectorELNS0_4arch9wavefront6targetE1EEEvSI_
	.globl	_ZN7rocprim17ROCPRIM_400000_NS6detail17trampoline_kernelINS0_14default_configENS1_35radix_sort_onesweep_config_selectorIssEEZZNS1_29radix_sort_onesweep_iterationIS3_Lb0EN6thrust23THRUST_200600_302600_NS6detail15normal_iteratorINS8_10device_ptrIsEEEESD_SD_SD_jNS0_19identity_decomposerENS1_16block_id_wrapperIjLb1EEEEE10hipError_tT1_PNSt15iterator_traitsISI_E10value_typeET2_T3_PNSJ_ISO_E10value_typeET4_T5_PST_SU_PNS1_23onesweep_lookback_stateEbbT6_jjT7_P12ihipStream_tbENKUlT_T0_SI_SN_E_clISD_PsSD_S15_EEDaS11_S12_SI_SN_EUlS11_E_NS1_11comp_targetILNS1_3genE6ELNS1_11target_archE950ELNS1_3gpuE13ELNS1_3repE0EEENS1_47radix_sort_onesweep_sort_config_static_selectorELNS0_4arch9wavefront6targetE1EEEvSI_
	.p2align	8
	.type	_ZN7rocprim17ROCPRIM_400000_NS6detail17trampoline_kernelINS0_14default_configENS1_35radix_sort_onesweep_config_selectorIssEEZZNS1_29radix_sort_onesweep_iterationIS3_Lb0EN6thrust23THRUST_200600_302600_NS6detail15normal_iteratorINS8_10device_ptrIsEEEESD_SD_SD_jNS0_19identity_decomposerENS1_16block_id_wrapperIjLb1EEEEE10hipError_tT1_PNSt15iterator_traitsISI_E10value_typeET2_T3_PNSJ_ISO_E10value_typeET4_T5_PST_SU_PNS1_23onesweep_lookback_stateEbbT6_jjT7_P12ihipStream_tbENKUlT_T0_SI_SN_E_clISD_PsSD_S15_EEDaS11_S12_SI_SN_EUlS11_E_NS1_11comp_targetILNS1_3genE6ELNS1_11target_archE950ELNS1_3gpuE13ELNS1_3repE0EEENS1_47radix_sort_onesweep_sort_config_static_selectorELNS0_4arch9wavefront6targetE1EEEvSI_,@function
_ZN7rocprim17ROCPRIM_400000_NS6detail17trampoline_kernelINS0_14default_configENS1_35radix_sort_onesweep_config_selectorIssEEZZNS1_29radix_sort_onesweep_iterationIS3_Lb0EN6thrust23THRUST_200600_302600_NS6detail15normal_iteratorINS8_10device_ptrIsEEEESD_SD_SD_jNS0_19identity_decomposerENS1_16block_id_wrapperIjLb1EEEEE10hipError_tT1_PNSt15iterator_traitsISI_E10value_typeET2_T3_PNSJ_ISO_E10value_typeET4_T5_PST_SU_PNS1_23onesweep_lookback_stateEbbT6_jjT7_P12ihipStream_tbENKUlT_T0_SI_SN_E_clISD_PsSD_S15_EEDaS11_S12_SI_SN_EUlS11_E_NS1_11comp_targetILNS1_3genE6ELNS1_11target_archE950ELNS1_3gpuE13ELNS1_3repE0EEENS1_47radix_sort_onesweep_sort_config_static_selectorELNS0_4arch9wavefront6targetE1EEEvSI_: ; @_ZN7rocprim17ROCPRIM_400000_NS6detail17trampoline_kernelINS0_14default_configENS1_35radix_sort_onesweep_config_selectorIssEEZZNS1_29radix_sort_onesweep_iterationIS3_Lb0EN6thrust23THRUST_200600_302600_NS6detail15normal_iteratorINS8_10device_ptrIsEEEESD_SD_SD_jNS0_19identity_decomposerENS1_16block_id_wrapperIjLb1EEEEE10hipError_tT1_PNSt15iterator_traitsISI_E10value_typeET2_T3_PNSJ_ISO_E10value_typeET4_T5_PST_SU_PNS1_23onesweep_lookback_stateEbbT6_jjT7_P12ihipStream_tbENKUlT_T0_SI_SN_E_clISD_PsSD_S15_EEDaS11_S12_SI_SN_EUlS11_E_NS1_11comp_targetILNS1_3genE6ELNS1_11target_archE950ELNS1_3gpuE13ELNS1_3repE0EEENS1_47radix_sort_onesweep_sort_config_static_selectorELNS0_4arch9wavefront6targetE1EEEvSI_
; %bb.0:
	s_load_dwordx4 s[4:7], s[0:1], 0x28
                                        ; implicit-def: $vgpr117 : SGPR spill to VGPR lane
	v_and_b32_e32 v2, 0x3ff, v0
	v_cmp_eq_u32_e64 s[94:95], 0, v2
	s_waitcnt lgkmcnt(0)
	v_writelane_b32 v117, s4, 0
	s_nop 1
	v_writelane_b32 v117, s5, 1
	v_writelane_b32 v117, s6, 2
	v_writelane_b32 v117, s7, 3
	s_load_dwordx2 s[6:7], s[0:1], 0x38
	s_load_dwordx4 s[96:99], s[0:1], 0x44
	s_and_saveexec_b64 s[4:5], s[94:95]
	s_cbranch_execz .LBB1652_4
; %bb.1:
	s_mov_b64 s[10:11], exec
	v_mbcnt_lo_u32_b32 v1, s10, 0
	v_mbcnt_hi_u32_b32 v1, s11, v1
	v_cmp_eq_u32_e32 vcc, 0, v1
                                        ; implicit-def: $vgpr3
	s_and_saveexec_b64 s[8:9], vcc
	s_cbranch_execz .LBB1652_3
; %bb.2:
	s_load_dwordx2 s[12:13], s[0:1], 0x50
	s_bcnt1_i32_b64 s3, s[10:11]
	v_mov_b32_e32 v3, 0
	v_mov_b32_e32 v4, s3
	s_waitcnt lgkmcnt(0)
	global_atomic_add v3, v3, v4, s[12:13] sc0
.LBB1652_3:
	s_or_b64 exec, exec, s[8:9]
	s_waitcnt vmcnt(0)
	v_readfirstlane_b32 s3, v3
	v_mov_b32_e32 v3, 0
	s_nop 0
	v_add_u32_e32 v1, s3, v1
	ds_write_b32 v3, v1 offset:22784
.LBB1652_4:
	s_or_b64 exec, exec, s[4:5]
	v_mov_b32_e32 v5, 0
	s_load_dwordx8 s[8:15], s[0:1], 0x0
	s_load_dword s3, s[0:1], 0x20
	s_waitcnt lgkmcnt(0)
	s_barrier
	ds_read_b32 v1, v5 offset:22784
	s_mov_b64 s[16:17], -1
	s_waitcnt lgkmcnt(0)
	s_barrier
	v_readfirstlane_b32 s33, v1
	v_cmp_le_u32_e32 vcc, s98, v1
	s_mul_i32 s4, s33, 0x2c00
	v_mbcnt_lo_u32_b32 v1, -1, 0
	s_cbranch_vccz .LBB1652_292
; %bb.5:
	s_mul_i32 s5, s98, 0xffffd400
	s_add_i32 s3, s5, s3
	s_mov_b32 s5, 0
	s_lshl_b64 s[98:99], s[4:5], 1
	v_mbcnt_hi_u32_b32 v15, -1, v1
	s_add_u32 s16, s8, s98
	v_and_b32_e32 v3, 63, v15
	v_and_b32_e32 v20, 0x3c0, v2
	s_addc_u32 s17, s9, s99
	v_mul_u32_u24_e32 v10, 22, v20
	v_lshlrev_b32_e32 v4, 1, v3
	v_lshl_add_u64 v[8:9], s[16:17], 0, v[4:5]
	v_lshlrev_b32_e32 v6, 1, v10
	v_mov_b32_e32 v7, v5
	v_lshl_add_u64 v[8:9], v[8:9], 0, v[6:7]
	v_or_b32_e32 v10, v3, v10
	v_mov_b32_e32 v3, -1
	v_mov_b32_e32 v5, -1
	v_cmp_gt_u32_e64 s[18:19], s3, v10
	s_mov_b64 s[16:17], exec
	s_nop 0
	v_writelane_b32 v117, s18, 4
	s_nop 1
	v_writelane_b32 v117, s19, 5
	s_and_b64 s[18:19], s[16:17], s[18:19]
	s_mov_b64 exec, s[18:19]
	s_cbranch_execz .LBB1652_7
; %bb.6:
	global_load_ushort v5, v[8:9], off
	s_waitcnt vmcnt(0)
	v_xor_b32_e32 v5, 0xffff8000, v5
.LBB1652_7:
	s_or_b64 exec, exec, s[16:17]
	v_or_b32_e32 v7, 64, v10
	v_cmp_gt_u32_e64 s[18:19], s3, v7
	s_mov_b64 s[16:17], exec
	s_nop 0
	v_writelane_b32 v117, s18, 6
	s_nop 1
	v_writelane_b32 v117, s19, 7
	s_and_b64 s[18:19], s[16:17], s[18:19]
	s_mov_b64 exec, s[18:19]
	s_cbranch_execz .LBB1652_9
; %bb.8:
	global_load_ushort v3, v[8:9], off offset:128
	s_waitcnt vmcnt(0)
	v_xor_b32_e32 v3, 0xffff8000, v3
.LBB1652_9:
	s_or_b64 exec, exec, s[16:17]
	v_add_u32_e32 v7, 0x80, v10
	v_cmp_gt_u32_e64 s[18:19], s3, v7
	v_mov_b32_e32 v7, -1
	v_mov_b32_e32 v12, -1
	s_mov_b64 s[16:17], exec
	v_writelane_b32 v117, s18, 8
	s_nop 1
	v_writelane_b32 v117, s19, 9
	s_and_b64 s[18:19], s[16:17], s[18:19]
	s_mov_b64 exec, s[18:19]
	s_cbranch_execz .LBB1652_11
; %bb.10:
	global_load_ushort v11, v[8:9], off offset:256
	s_waitcnt vmcnt(0)
	v_xor_b32_e32 v12, 0xffff8000, v11
.LBB1652_11:
	s_or_b64 exec, exec, s[16:17]
	v_add_u32_e32 v11, 0xc0, v10
	v_cmp_gt_u32_e64 s[18:19], s3, v11
	s_mov_b64 s[16:17], exec
	s_nop 0
	v_writelane_b32 v117, s18, 10
	s_nop 1
	v_writelane_b32 v117, s19, 11
	s_and_b64 s[18:19], s[16:17], s[18:19]
	s_mov_b64 exec, s[18:19]
	s_cbranch_execz .LBB1652_13
; %bb.12:
	global_load_ushort v7, v[8:9], off offset:384
	s_waitcnt vmcnt(0)
	v_xor_b32_e32 v7, 0xffff8000, v7
.LBB1652_13:
	s_or_b64 exec, exec, s[16:17]
	v_add_u32_e32 v11, 0x100, v10
	v_mov_b32_e32 v13, -1
	v_mov_b32_e32 v14, -1
	v_cmp_gt_u32_e64 s[18:19], s3, v11
	s_mov_b64 s[16:17], exec
	s_nop 0
	v_writelane_b32 v117, s18, 12
	s_nop 1
	v_writelane_b32 v117, s19, 13
	s_and_b64 s[18:19], s[16:17], s[18:19]
	s_mov_b64 exec, s[18:19]
	s_cbranch_execz .LBB1652_15
; %bb.14:
	global_load_ushort v11, v[8:9], off offset:512
	s_waitcnt vmcnt(0)
	v_xor_b32_e32 v14, 0xffff8000, v11
.LBB1652_15:
	s_or_b64 exec, exec, s[16:17]
	v_add_u32_e32 v11, 0x140, v10
	v_cmp_gt_u32_e64 s[18:19], s3, v11
	s_mov_b64 s[16:17], exec
	s_nop 0
	v_writelane_b32 v117, s18, 14
	s_nop 1
	v_writelane_b32 v117, s19, 15
	s_and_b64 s[18:19], s[16:17], s[18:19]
	s_mov_b64 exec, s[18:19]
	s_cbranch_execz .LBB1652_17
; %bb.16:
	global_load_ushort v11, v[8:9], off offset:640
	s_waitcnt vmcnt(0)
	v_xor_b32_e32 v13, 0xffff8000, v11
.LBB1652_17:
	s_or_b64 exec, exec, s[16:17]
	v_add_u32_e32 v11, 0x180, v10
	v_mov_b32_e32 v16, -1
	v_mov_b32_e32 v17, -1
	v_cmp_gt_u32_e64 s[18:19], s3, v11
	s_mov_b64 s[16:17], exec
	s_nop 0
	v_writelane_b32 v117, s18, 16
	s_nop 1
	v_writelane_b32 v117, s19, 17
	s_and_b64 s[18:19], s[16:17], s[18:19]
	s_mov_b64 exec, s[18:19]
	s_cbranch_execz .LBB1652_19
; %bb.18:
	global_load_ushort v11, v[8:9], off offset:768
	s_waitcnt vmcnt(0)
	v_xor_b32_e32 v17, 0xffff8000, v11
.LBB1652_19:
	s_or_b64 exec, exec, s[16:17]
	v_add_u32_e32 v11, 0x1c0, v10
	v_cmp_gt_u32_e64 s[18:19], s3, v11
	s_mov_b64 s[16:17], exec
	s_nop 0
	v_writelane_b32 v117, s18, 18
	s_nop 1
	v_writelane_b32 v117, s19, 19
	s_and_b64 s[18:19], s[16:17], s[18:19]
	s_mov_b64 exec, s[18:19]
	s_cbranch_execz .LBB1652_21
; %bb.20:
	global_load_ushort v11, v[8:9], off offset:896
	s_waitcnt vmcnt(0)
	v_xor_b32_e32 v16, 0xffff8000, v11
.LBB1652_21:
	s_or_b64 exec, exec, s[16:17]
	v_add_u32_e32 v11, 0x200, v10
	v_cmp_gt_u32_e32 vcc, s3, v11
	v_mov_b32_e32 v18, -1
	v_mov_b32_e32 v19, -1
	s_and_saveexec_b64 s[16:17], vcc
	s_cbranch_execz .LBB1652_23
; %bb.22:
	global_load_ushort v11, v[8:9], off offset:1024
	s_waitcnt vmcnt(0)
	v_xor_b32_e32 v19, 0xffff8000, v11
.LBB1652_23:
	s_or_b64 exec, exec, s[16:17]
	v_add_u32_e32 v11, 0x240, v10
	v_cmp_gt_u32_e64 s[20:21], s3, v11
	s_and_saveexec_b64 s[16:17], s[20:21]
	s_cbranch_execz .LBB1652_25
; %bb.24:
	global_load_ushort v11, v[8:9], off offset:1152
	s_waitcnt vmcnt(0)
	v_xor_b32_e32 v18, 0xffff8000, v11
.LBB1652_25:
	s_or_b64 exec, exec, s[16:17]
	v_add_u32_e32 v11, 0x280, v10
	v_cmp_gt_u32_e64 s[22:23], s3, v11
	v_mov_b32_e32 v21, -1
	v_mov_b32_e32 v22, -1
	s_and_saveexec_b64 s[16:17], s[22:23]
	s_cbranch_execz .LBB1652_27
; %bb.26:
	global_load_ushort v11, v[8:9], off offset:1280
	s_waitcnt vmcnt(0)
	v_xor_b32_e32 v22, 0xffff8000, v11
.LBB1652_27:
	s_or_b64 exec, exec, s[16:17]
	v_add_u32_e32 v11, 0x2c0, v10
	v_cmp_gt_u32_e64 s[24:25], s3, v11
	s_and_saveexec_b64 s[16:17], s[24:25]
	s_cbranch_execz .LBB1652_29
; %bb.28:
	global_load_ushort v11, v[8:9], off offset:1408
	s_waitcnt vmcnt(0)
	v_xor_b32_e32 v21, 0xffff8000, v11
.LBB1652_29:
	s_or_b64 exec, exec, s[16:17]
	v_add_u32_e32 v11, 0x300, v10
	v_cmp_gt_u32_e64 s[26:27], s3, v11
	v_mov_b32_e32 v23, -1
	v_mov_b32_e32 v24, -1
	s_and_saveexec_b64 s[16:17], s[26:27]
	;; [unrolled: 22-line block ×6, first 2 shown]
	s_cbranch_execz .LBB1652_47
; %bb.46:
	global_load_ushort v11, v[8:9], off offset:2560
	s_waitcnt vmcnt(0)
	v_xor_b32_e32 v32, 0xffff8000, v11
.LBB1652_47:
	s_or_b64 exec, exec, s[16:17]
	v_add_u32_e32 v10, 0x540, v10
	v_cmp_gt_u32_e64 s[46:47], s3, v10
	s_and_saveexec_b64 s[16:17], s[46:47]
	s_cbranch_execz .LBB1652_49
; %bb.48:
	global_load_ushort v8, v[8:9], off offset:2688
	s_waitcnt vmcnt(0)
	v_xor_b32_e32 v31, 0xffff8000, v8
.LBB1652_49:
	s_or_b64 exec, exec, s[16:17]
	s_load_dword s5, s[0:1], 0x64
	s_load_dword s18, s[0:1], 0x58
	s_add_u32 s16, s0, 0x58
	s_addc_u32 s17, s1, 0
	v_mov_b32_e32 v8, 0
	s_waitcnt lgkmcnt(0)
	s_lshr_b32 s5, s5, 16
	s_cmp_lt_u32 s2, s18
	s_cselect_b32 s18, 12, 18
	s_add_u32 s16, s16, s18
	s_addc_u32 s17, s17, 0
	global_load_ushort v36, v8, s[16:17]
	v_lshrrev_b32_sdwa v35, s96, v5 dst_sel:DWORD dst_unused:UNUSED_PAD src0_sel:DWORD src1_sel:WORD_0
	s_lshl_b32 s16, -1, s97
	v_bfe_u32 v10, v0, 10, 10
	v_bfe_u32 v34, v0, 20, 10
	v_lshlrev_b32_e32 v33, 3, v2
	v_mov_b32_e32 v9, v8
	v_bitop3_b32 v38, v35, s16, v35 bitop3:0x30
	v_mov_b32_e32 v11, v8
	ds_write_b64 v33, v[8:9] offset:32
	v_mad_u32_u24 v37, v34, s5, v10
	v_and_b32_e32 v10, 1, v38
	v_lshlrev_b32_e32 v9, 30, v38
	v_lshl_add_u64 v[34:35], v[10:11], 0, -1
	v_cmp_ne_u32_e64 s[48:49], 0, v10
	v_cmp_gt_i64_e64 s[50:51], 0, v[8:9]
	v_not_b32_e32 v10, v9
	v_lshlrev_b32_e32 v9, 29, v38
	v_xor_b32_e32 v11, s49, v35
	v_xor_b32_e32 v34, s48, v34
	v_ashrrev_i32_e32 v10, 31, v10
	v_cmp_gt_i64_e64 s[48:49], 0, v[8:9]
	v_not_b32_e32 v35, v9
	v_lshlrev_b32_e32 v9, 28, v38
	v_and_b32_e32 v11, exec_hi, v11
	v_and_b32_e32 v34, exec_lo, v34
	v_xor_b32_e32 v39, s51, v10
	v_xor_b32_e32 v10, s50, v10
	v_ashrrev_i32_e32 v35, 31, v35
	v_cmp_gt_i64_e64 s[50:51], 0, v[8:9]
	v_not_b32_e32 v40, v9
	v_lshlrev_b32_e32 v9, 27, v38
	v_and_b32_e32 v11, v11, v39
	v_and_b32_e32 v10, v34, v10
	v_xor_b32_e32 v34, s49, v35
	v_xor_b32_e32 v35, s48, v35
	v_ashrrev_i32_e32 v39, 31, v40
	v_cmp_gt_i64_e64 s[48:49], 0, v[8:9]
	v_not_b32_e32 v40, v9
	v_lshlrev_b32_e32 v9, 26, v38
	v_and_b32_e32 v11, v11, v34
	v_and_b32_e32 v10, v10, v35
	v_xor_b32_e32 v34, s51, v39
	v_xor_b32_e32 v35, s50, v39
	v_ashrrev_i32_e32 v39, 31, v40
	v_cmp_gt_i64_e64 s[50:51], 0, v[8:9]
	v_not_b32_e32 v9, v9
	v_and_b32_e32 v11, v11, v34
	v_and_b32_e32 v10, v10, v35
	v_xor_b32_e32 v34, s49, v39
	v_xor_b32_e32 v35, s48, v39
	v_ashrrev_i32_e32 v9, 31, v9
	v_and_b32_e32 v11, v11, v34
	v_and_b32_e32 v10, v10, v35
	v_xor_b32_e32 v34, s51, v9
	v_xor_b32_e32 v9, s50, v9
	v_and_b32_e32 v10, v10, v9
	s_not_b32 s5, s16
	v_and_b32_e32 v11, v11, v34
	v_mbcnt_lo_u32_b32 v9, v10, 0
	v_mbcnt_hi_u32_b32 v34, v11, v9
	v_cmp_ne_u64_e64 s[48:49], 0, v[10:11]
	v_cmp_eq_u32_e64 s[50:51], 0, v34
	s_and_b64 s[48:49], s[48:49], s[50:51]
	s_waitcnt lgkmcnt(0)
	s_barrier
	s_waitcnt vmcnt(0)
	; wave barrier
	v_mad_u64_u32 v[36:37], s[16:17], v37, v36, v[2:3]
	v_lshrrev_b32_e32 v9, 6, v36
	v_lshlrev_b32_e32 v43, 2, v9
	v_mad_u32_u24 v36, v38, 36, v43
	s_and_saveexec_b64 s[16:17], s[48:49]
; %bb.50:
	v_bcnt_u32_b32 v9, v10, 0
	v_bcnt_u32_b32 v9, v11, v9
	ds_write_b32 v36, v9 offset:32
; %bb.51:
	s_or_b64 exec, exec, s[16:17]
	v_lshrrev_b32_sdwa v9, s96, v3 dst_sel:DWORD dst_unused:UNUSED_PAD src0_sel:DWORD src1_sel:WORD_0
	v_and_b32_e32 v40, s5, v9
	v_and_b32_e32 v10, 1, v40
	v_mov_b32_e32 v11, v8
	v_lshl_add_u64 v[38:39], v[10:11], 0, -1
	v_cmp_ne_u32_e64 s[48:49], 0, v10
	v_mad_u32_u24 v37, v40, 36, v43
	s_nop 0
	v_xor_b32_e32 v9, s49, v39
	v_and_b32_e32 v11, exec_hi, v9
	v_lshlrev_b32_e32 v9, 30, v40
	v_xor_b32_e32 v10, s48, v38
	v_cmp_gt_i64_e64 s[48:49], 0, v[8:9]
	v_not_b32_e32 v9, v9
	v_ashrrev_i32_e32 v9, 31, v9
	v_and_b32_e32 v10, exec_lo, v10
	v_xor_b32_e32 v38, s49, v9
	v_xor_b32_e32 v9, s48, v9
	v_and_b32_e32 v10, v10, v9
	v_lshlrev_b32_e32 v9, 29, v40
	v_cmp_gt_i64_e64 s[48:49], 0, v[8:9]
	v_not_b32_e32 v9, v9
	v_ashrrev_i32_e32 v9, 31, v9
	v_and_b32_e32 v11, v11, v38
	v_xor_b32_e32 v38, s49, v9
	v_xor_b32_e32 v9, s48, v9
	v_and_b32_e32 v10, v10, v9
	v_lshlrev_b32_e32 v9, 28, v40
	v_cmp_gt_i64_e64 s[48:49], 0, v[8:9]
	v_not_b32_e32 v9, v9
	v_ashrrev_i32_e32 v9, 31, v9
	v_and_b32_e32 v11, v11, v38
	;; [unrolled: 8-line block ×3, first 2 shown]
	v_xor_b32_e32 v38, s49, v9
	v_xor_b32_e32 v9, s48, v9
	v_and_b32_e32 v10, v10, v9
	v_lshlrev_b32_e32 v9, 26, v40
	v_cmp_gt_i64_e64 s[48:49], 0, v[8:9]
	v_not_b32_e32 v8, v9
	v_ashrrev_i32_e32 v8, 31, v8
	v_xor_b32_e32 v9, s49, v8
	v_xor_b32_e32 v8, s48, v8
	; wave barrier
	ds_read_b32 v35, v37 offset:32
	v_and_b32_e32 v11, v11, v38
	v_and_b32_e32 v8, v10, v8
	;; [unrolled: 1-line block ×3, first 2 shown]
	v_mbcnt_lo_u32_b32 v10, v8, 0
	v_mbcnt_hi_u32_b32 v38, v9, v10
	v_cmp_eq_u32_e64 s[48:49], 0, v38
	v_cmp_ne_u64_e64 s[50:51], 0, v[8:9]
	s_and_b64 s[48:49], s[50:51], s[48:49]
	; wave barrier
	s_and_saveexec_b64 s[16:17], s[48:49]
	s_cbranch_execz .LBB1652_53
; %bb.52:
	v_bcnt_u32_b32 v8, v8, 0
	v_bcnt_u32_b32 v8, v9, v8
	s_waitcnt lgkmcnt(0)
	v_add_u32_e32 v8, v35, v8
	ds_write_b32 v37, v8 offset:32
.LBB1652_53:
	s_or_b64 exec, exec, s[16:17]
	v_lshrrev_b32_sdwa v8, s96, v12 dst_sel:DWORD dst_unused:UNUSED_PAD src0_sel:DWORD src1_sel:WORD_0
	v_and_b32_e32 v41, s5, v8
	v_and_b32_e32 v8, 1, v41
	v_mov_b32_e32 v9, 0
	v_lshl_add_u64 v[10:11], v[8:9], 0, -1
	v_cmp_ne_u32_e64 s[48:49], 0, v8
	v_mad_u32_u24 v40, v41, 36, v43
	s_nop 0
	v_xor_b32_e32 v10, s48, v10
	v_xor_b32_e32 v8, s49, v11
	v_and_b32_e32 v42, exec_lo, v10
	v_lshlrev_b32_e32 v11, 30, v41
	v_mov_b32_e32 v10, v9
	v_cmp_gt_i64_e64 s[48:49], 0, v[10:11]
	v_not_b32_e32 v10, v11
	v_ashrrev_i32_e32 v10, 31, v10
	v_and_b32_e32 v8, exec_hi, v8
	v_xor_b32_e32 v11, s49, v10
	v_xor_b32_e32 v10, s48, v10
	v_and_b32_e32 v8, v8, v11
	v_and_b32_e32 v42, v42, v10
	v_lshlrev_b32_e32 v11, 29, v41
	v_mov_b32_e32 v10, v9
	v_cmp_gt_i64_e64 s[48:49], 0, v[10:11]
	v_not_b32_e32 v10, v11
	v_ashrrev_i32_e32 v10, 31, v10
	v_xor_b32_e32 v11, s49, v10
	v_xor_b32_e32 v10, s48, v10
	v_and_b32_e32 v8, v8, v11
	v_and_b32_e32 v42, v42, v10
	v_lshlrev_b32_e32 v11, 28, v41
	v_mov_b32_e32 v10, v9
	v_cmp_gt_i64_e64 s[48:49], 0, v[10:11]
	v_not_b32_e32 v10, v11
	v_ashrrev_i32_e32 v10, 31, v10
	v_xor_b32_e32 v11, s49, v10
	v_xor_b32_e32 v10, s48, v10
	v_and_b32_e32 v8, v8, v11
	v_and_b32_e32 v42, v42, v10
	v_lshlrev_b32_e32 v11, 27, v41
	v_mov_b32_e32 v10, v9
	v_cmp_gt_i64_e64 s[48:49], 0, v[10:11]
	v_not_b32_e32 v10, v11
	v_ashrrev_i32_e32 v10, 31, v10
	v_xor_b32_e32 v11, s49, v10
	v_xor_b32_e32 v10, s48, v10
	v_and_b32_e32 v8, v8, v11
	v_and_b32_e32 v42, v42, v10
	v_lshlrev_b32_e32 v11, 26, v41
	v_mov_b32_e32 v10, v9
	v_cmp_gt_i64_e64 s[48:49], 0, v[10:11]
	v_not_b32_e32 v10, v11
	v_ashrrev_i32_e32 v10, 31, v10
	v_xor_b32_e32 v11, s49, v10
	v_xor_b32_e32 v10, s48, v10
	; wave barrier
	ds_read_b32 v39, v40 offset:32
	v_and_b32_e32 v10, v42, v10
	v_and_b32_e32 v11, v8, v11
	v_mbcnt_lo_u32_b32 v8, v10, 0
	v_mbcnt_hi_u32_b32 v41, v11, v8
	v_cmp_eq_u32_e64 s[48:49], 0, v41
	v_cmp_ne_u64_e64 s[50:51], 0, v[10:11]
	s_and_b64 s[48:49], s[50:51], s[48:49]
	; wave barrier
	s_and_saveexec_b64 s[16:17], s[48:49]
	s_cbranch_execz .LBB1652_55
; %bb.54:
	v_bcnt_u32_b32 v8, v10, 0
	v_bcnt_u32_b32 v8, v11, v8
	s_waitcnt lgkmcnt(0)
	v_add_u32_e32 v8, v39, v8
	ds_write_b32 v40, v8 offset:32
.LBB1652_55:
	s_or_b64 exec, exec, s[16:17]
	v_lshrrev_b32_sdwa v8, s96, v7 dst_sel:DWORD dst_unused:UNUSED_PAD src0_sel:DWORD src1_sel:WORD_0
	v_and_b32_e32 v45, s5, v8
	v_and_b32_e32 v8, 1, v45
	v_lshl_add_u64 v[10:11], v[8:9], 0, -1
	v_cmp_ne_u32_e64 s[48:49], 0, v8
	v_mad_u32_u24 v44, v45, 36, v43
	s_nop 0
	v_xor_b32_e32 v10, s48, v10
	v_xor_b32_e32 v8, s49, v11
	v_and_b32_e32 v46, exec_lo, v10
	v_lshlrev_b32_e32 v11, 30, v45
	v_mov_b32_e32 v10, v9
	v_cmp_gt_i64_e64 s[48:49], 0, v[10:11]
	v_not_b32_e32 v10, v11
	v_ashrrev_i32_e32 v10, 31, v10
	v_and_b32_e32 v8, exec_hi, v8
	v_xor_b32_e32 v11, s49, v10
	v_xor_b32_e32 v10, s48, v10
	v_and_b32_e32 v8, v8, v11
	v_and_b32_e32 v46, v46, v10
	v_lshlrev_b32_e32 v11, 29, v45
	v_mov_b32_e32 v10, v9
	v_cmp_gt_i64_e64 s[48:49], 0, v[10:11]
	v_not_b32_e32 v10, v11
	v_ashrrev_i32_e32 v10, 31, v10
	v_xor_b32_e32 v11, s49, v10
	v_xor_b32_e32 v10, s48, v10
	v_and_b32_e32 v8, v8, v11
	v_and_b32_e32 v46, v46, v10
	v_lshlrev_b32_e32 v11, 28, v45
	v_mov_b32_e32 v10, v9
	v_cmp_gt_i64_e64 s[48:49], 0, v[10:11]
	v_not_b32_e32 v10, v11
	v_ashrrev_i32_e32 v10, 31, v10
	v_xor_b32_e32 v11, s49, v10
	v_xor_b32_e32 v10, s48, v10
	v_and_b32_e32 v8, v8, v11
	v_and_b32_e32 v46, v46, v10
	v_lshlrev_b32_e32 v11, 27, v45
	v_mov_b32_e32 v10, v9
	v_cmp_gt_i64_e64 s[48:49], 0, v[10:11]
	v_not_b32_e32 v10, v11
	v_ashrrev_i32_e32 v10, 31, v10
	v_xor_b32_e32 v11, s49, v10
	v_xor_b32_e32 v10, s48, v10
	v_and_b32_e32 v8, v8, v11
	v_lshlrev_b32_e32 v11, 26, v45
	v_and_b32_e32 v46, v46, v10
	v_mov_b32_e32 v10, v9
	v_not_b32_e32 v9, v11
	v_cmp_gt_i64_e64 s[48:49], 0, v[10:11]
	v_ashrrev_i32_e32 v9, 31, v9
	; wave barrier
	s_nop 0
	v_xor_b32_e32 v10, s49, v9
	v_xor_b32_e32 v11, s48, v9
	ds_read_b32 v42, v44 offset:32
	v_and_b32_e32 v9, v8, v10
	v_and_b32_e32 v8, v46, v11
	v_mbcnt_lo_u32_b32 v10, v8, 0
	v_mbcnt_hi_u32_b32 v45, v9, v10
	v_cmp_eq_u32_e64 s[48:49], 0, v45
	v_cmp_ne_u64_e64 s[50:51], 0, v[8:9]
	s_and_b64 s[48:49], s[50:51], s[48:49]
	; wave barrier
	s_and_saveexec_b64 s[16:17], s[48:49]
	s_cbranch_execz .LBB1652_57
; %bb.56:
	v_bcnt_u32_b32 v8, v8, 0
	v_bcnt_u32_b32 v8, v9, v8
	s_waitcnt lgkmcnt(0)
	v_add_u32_e32 v8, v42, v8
	ds_write_b32 v44, v8 offset:32
.LBB1652_57:
	s_or_b64 exec, exec, s[16:17]
	v_lshrrev_b32_sdwa v8, s96, v14 dst_sel:DWORD dst_unused:UNUSED_PAD src0_sel:DWORD src1_sel:WORD_0
	v_and_b32_e32 v48, s5, v8
	v_and_b32_e32 v8, 1, v48
	v_mov_b32_e32 v9, 0
	v_lshl_add_u64 v[10:11], v[8:9], 0, -1
	v_cmp_ne_u32_e64 s[48:49], 0, v8
	v_mad_u32_u24 v47, v48, 36, v43
	s_nop 0
	v_xor_b32_e32 v10, s48, v10
	v_xor_b32_e32 v8, s49, v11
	v_and_b32_e32 v49, exec_lo, v10
	v_lshlrev_b32_e32 v11, 30, v48
	v_mov_b32_e32 v10, v9
	v_cmp_gt_i64_e64 s[48:49], 0, v[10:11]
	v_not_b32_e32 v10, v11
	v_ashrrev_i32_e32 v10, 31, v10
	v_and_b32_e32 v8, exec_hi, v8
	v_xor_b32_e32 v11, s49, v10
	v_xor_b32_e32 v10, s48, v10
	v_and_b32_e32 v8, v8, v11
	v_and_b32_e32 v49, v49, v10
	v_lshlrev_b32_e32 v11, 29, v48
	v_mov_b32_e32 v10, v9
	v_cmp_gt_i64_e64 s[48:49], 0, v[10:11]
	v_not_b32_e32 v10, v11
	v_ashrrev_i32_e32 v10, 31, v10
	v_xor_b32_e32 v11, s49, v10
	v_xor_b32_e32 v10, s48, v10
	v_and_b32_e32 v8, v8, v11
	v_and_b32_e32 v49, v49, v10
	v_lshlrev_b32_e32 v11, 28, v48
	v_mov_b32_e32 v10, v9
	v_cmp_gt_i64_e64 s[48:49], 0, v[10:11]
	v_not_b32_e32 v10, v11
	v_ashrrev_i32_e32 v10, 31, v10
	;; [unrolled: 9-line block ×4, first 2 shown]
	v_xor_b32_e32 v11, s49, v10
	v_xor_b32_e32 v10, s48, v10
	; wave barrier
	ds_read_b32 v46, v47 offset:32
	v_and_b32_e32 v10, v49, v10
	v_and_b32_e32 v11, v8, v11
	v_mbcnt_lo_u32_b32 v8, v10, 0
	v_mbcnt_hi_u32_b32 v48, v11, v8
	v_cmp_eq_u32_e64 s[48:49], 0, v48
	v_cmp_ne_u64_e64 s[50:51], 0, v[10:11]
	s_and_b64 s[48:49], s[50:51], s[48:49]
	; wave barrier
	s_and_saveexec_b64 s[16:17], s[48:49]
	s_cbranch_execz .LBB1652_59
; %bb.58:
	v_bcnt_u32_b32 v8, v10, 0
	v_bcnt_u32_b32 v8, v11, v8
	s_waitcnt lgkmcnt(0)
	v_add_u32_e32 v8, v46, v8
	ds_write_b32 v47, v8 offset:32
.LBB1652_59:
	s_or_b64 exec, exec, s[16:17]
	v_lshrrev_b32_sdwa v8, s96, v13 dst_sel:DWORD dst_unused:UNUSED_PAD src0_sel:DWORD src1_sel:WORD_0
	v_and_b32_e32 v51, s5, v8
	v_and_b32_e32 v8, 1, v51
	v_lshl_add_u64 v[10:11], v[8:9], 0, -1
	v_cmp_ne_u32_e64 s[48:49], 0, v8
	v_mad_u32_u24 v50, v51, 36, v43
	s_nop 0
	v_xor_b32_e32 v10, s48, v10
	v_xor_b32_e32 v8, s49, v11
	v_and_b32_e32 v52, exec_lo, v10
	v_lshlrev_b32_e32 v11, 30, v51
	v_mov_b32_e32 v10, v9
	v_cmp_gt_i64_e64 s[48:49], 0, v[10:11]
	v_not_b32_e32 v10, v11
	v_ashrrev_i32_e32 v10, 31, v10
	v_and_b32_e32 v8, exec_hi, v8
	v_xor_b32_e32 v11, s49, v10
	v_xor_b32_e32 v10, s48, v10
	v_and_b32_e32 v8, v8, v11
	v_and_b32_e32 v52, v52, v10
	v_lshlrev_b32_e32 v11, 29, v51
	v_mov_b32_e32 v10, v9
	v_cmp_gt_i64_e64 s[48:49], 0, v[10:11]
	v_not_b32_e32 v10, v11
	v_ashrrev_i32_e32 v10, 31, v10
	v_xor_b32_e32 v11, s49, v10
	v_xor_b32_e32 v10, s48, v10
	v_and_b32_e32 v8, v8, v11
	v_and_b32_e32 v52, v52, v10
	v_lshlrev_b32_e32 v11, 28, v51
	v_mov_b32_e32 v10, v9
	v_cmp_gt_i64_e64 s[48:49], 0, v[10:11]
	v_not_b32_e32 v10, v11
	v_ashrrev_i32_e32 v10, 31, v10
	;; [unrolled: 9-line block ×3, first 2 shown]
	v_xor_b32_e32 v11, s49, v10
	v_xor_b32_e32 v10, s48, v10
	v_and_b32_e32 v8, v8, v11
	v_lshlrev_b32_e32 v11, 26, v51
	v_and_b32_e32 v52, v52, v10
	v_mov_b32_e32 v10, v9
	v_not_b32_e32 v9, v11
	v_cmp_gt_i64_e64 s[48:49], 0, v[10:11]
	v_ashrrev_i32_e32 v9, 31, v9
	; wave barrier
	s_nop 0
	v_xor_b32_e32 v10, s49, v9
	v_xor_b32_e32 v11, s48, v9
	ds_read_b32 v49, v50 offset:32
	v_and_b32_e32 v9, v8, v10
	v_and_b32_e32 v8, v52, v11
	v_mbcnt_lo_u32_b32 v10, v8, 0
	v_mbcnt_hi_u32_b32 v51, v9, v10
	v_cmp_eq_u32_e64 s[48:49], 0, v51
	v_cmp_ne_u64_e64 s[50:51], 0, v[8:9]
	s_and_b64 s[48:49], s[50:51], s[48:49]
	; wave barrier
	s_and_saveexec_b64 s[16:17], s[48:49]
	s_cbranch_execz .LBB1652_61
; %bb.60:
	v_bcnt_u32_b32 v8, v8, 0
	v_bcnt_u32_b32 v8, v9, v8
	s_waitcnt lgkmcnt(0)
	v_add_u32_e32 v8, v49, v8
	ds_write_b32 v50, v8 offset:32
.LBB1652_61:
	s_or_b64 exec, exec, s[16:17]
	v_lshrrev_b32_sdwa v8, s96, v17 dst_sel:DWORD dst_unused:UNUSED_PAD src0_sel:DWORD src1_sel:WORD_0
	v_and_b32_e32 v54, s5, v8
	v_and_b32_e32 v8, 1, v54
	v_mov_b32_e32 v9, 0
	v_lshl_add_u64 v[10:11], v[8:9], 0, -1
	v_cmp_ne_u32_e64 s[48:49], 0, v8
	v_mad_u32_u24 v53, v54, 36, v43
	s_nop 0
	v_xor_b32_e32 v10, s48, v10
	v_xor_b32_e32 v8, s49, v11
	v_and_b32_e32 v55, exec_lo, v10
	v_lshlrev_b32_e32 v11, 30, v54
	v_mov_b32_e32 v10, v9
	v_cmp_gt_i64_e64 s[48:49], 0, v[10:11]
	v_not_b32_e32 v10, v11
	v_ashrrev_i32_e32 v10, 31, v10
	v_and_b32_e32 v8, exec_hi, v8
	v_xor_b32_e32 v11, s49, v10
	v_xor_b32_e32 v10, s48, v10
	v_and_b32_e32 v8, v8, v11
	v_and_b32_e32 v55, v55, v10
	v_lshlrev_b32_e32 v11, 29, v54
	v_mov_b32_e32 v10, v9
	v_cmp_gt_i64_e64 s[48:49], 0, v[10:11]
	v_not_b32_e32 v10, v11
	v_ashrrev_i32_e32 v10, 31, v10
	v_xor_b32_e32 v11, s49, v10
	v_xor_b32_e32 v10, s48, v10
	v_and_b32_e32 v8, v8, v11
	v_and_b32_e32 v55, v55, v10
	v_lshlrev_b32_e32 v11, 28, v54
	v_mov_b32_e32 v10, v9
	v_cmp_gt_i64_e64 s[48:49], 0, v[10:11]
	v_not_b32_e32 v10, v11
	v_ashrrev_i32_e32 v10, 31, v10
	;; [unrolled: 9-line block ×4, first 2 shown]
	v_xor_b32_e32 v11, s49, v10
	v_xor_b32_e32 v10, s48, v10
	; wave barrier
	ds_read_b32 v52, v53 offset:32
	v_and_b32_e32 v10, v55, v10
	v_and_b32_e32 v11, v8, v11
	v_mbcnt_lo_u32_b32 v8, v10, 0
	v_mbcnt_hi_u32_b32 v54, v11, v8
	v_cmp_eq_u32_e64 s[48:49], 0, v54
	v_cmp_ne_u64_e64 s[50:51], 0, v[10:11]
	s_and_b64 s[48:49], s[50:51], s[48:49]
	; wave barrier
	s_and_saveexec_b64 s[16:17], s[48:49]
	s_cbranch_execz .LBB1652_63
; %bb.62:
	v_bcnt_u32_b32 v8, v10, 0
	v_bcnt_u32_b32 v8, v11, v8
	s_waitcnt lgkmcnt(0)
	v_add_u32_e32 v8, v52, v8
	ds_write_b32 v53, v8 offset:32
.LBB1652_63:
	s_or_b64 exec, exec, s[16:17]
	v_lshrrev_b32_sdwa v8, s96, v16 dst_sel:DWORD dst_unused:UNUSED_PAD src0_sel:DWORD src1_sel:WORD_0
	v_and_b32_e32 v57, s5, v8
	v_and_b32_e32 v8, 1, v57
	v_lshl_add_u64 v[10:11], v[8:9], 0, -1
	v_cmp_ne_u32_e64 s[48:49], 0, v8
	v_mad_u32_u24 v56, v57, 36, v43
	s_nop 0
	v_xor_b32_e32 v10, s48, v10
	v_xor_b32_e32 v8, s49, v11
	v_and_b32_e32 v58, exec_lo, v10
	v_lshlrev_b32_e32 v11, 30, v57
	v_mov_b32_e32 v10, v9
	v_cmp_gt_i64_e64 s[48:49], 0, v[10:11]
	v_not_b32_e32 v10, v11
	v_ashrrev_i32_e32 v10, 31, v10
	v_and_b32_e32 v8, exec_hi, v8
	v_xor_b32_e32 v11, s49, v10
	v_xor_b32_e32 v10, s48, v10
	v_and_b32_e32 v8, v8, v11
	v_and_b32_e32 v58, v58, v10
	v_lshlrev_b32_e32 v11, 29, v57
	v_mov_b32_e32 v10, v9
	v_cmp_gt_i64_e64 s[48:49], 0, v[10:11]
	v_not_b32_e32 v10, v11
	v_ashrrev_i32_e32 v10, 31, v10
	v_xor_b32_e32 v11, s49, v10
	v_xor_b32_e32 v10, s48, v10
	v_and_b32_e32 v8, v8, v11
	v_and_b32_e32 v58, v58, v10
	v_lshlrev_b32_e32 v11, 28, v57
	v_mov_b32_e32 v10, v9
	v_cmp_gt_i64_e64 s[48:49], 0, v[10:11]
	v_not_b32_e32 v10, v11
	v_ashrrev_i32_e32 v10, 31, v10
	;; [unrolled: 9-line block ×3, first 2 shown]
	v_xor_b32_e32 v11, s49, v10
	v_xor_b32_e32 v10, s48, v10
	v_and_b32_e32 v8, v8, v11
	v_lshlrev_b32_e32 v11, 26, v57
	v_and_b32_e32 v58, v58, v10
	v_mov_b32_e32 v10, v9
	v_not_b32_e32 v9, v11
	v_cmp_gt_i64_e64 s[48:49], 0, v[10:11]
	v_ashrrev_i32_e32 v9, 31, v9
	; wave barrier
	s_nop 0
	v_xor_b32_e32 v10, s49, v9
	v_xor_b32_e32 v11, s48, v9
	ds_read_b32 v55, v56 offset:32
	v_and_b32_e32 v9, v8, v10
	v_and_b32_e32 v8, v58, v11
	v_mbcnt_lo_u32_b32 v10, v8, 0
	v_mbcnt_hi_u32_b32 v57, v9, v10
	v_cmp_eq_u32_e64 s[48:49], 0, v57
	v_cmp_ne_u64_e64 s[50:51], 0, v[8:9]
	s_and_b64 s[48:49], s[50:51], s[48:49]
	; wave barrier
	s_and_saveexec_b64 s[16:17], s[48:49]
	s_cbranch_execz .LBB1652_65
; %bb.64:
	v_bcnt_u32_b32 v8, v8, 0
	v_bcnt_u32_b32 v8, v9, v8
	s_waitcnt lgkmcnt(0)
	v_add_u32_e32 v8, v55, v8
	ds_write_b32 v56, v8 offset:32
.LBB1652_65:
	s_or_b64 exec, exec, s[16:17]
	v_lshrrev_b32_sdwa v8, s96, v19 dst_sel:DWORD dst_unused:UNUSED_PAD src0_sel:DWORD src1_sel:WORD_0
	v_and_b32_e32 v60, s5, v8
	v_and_b32_e32 v8, 1, v60
	v_mov_b32_e32 v9, 0
	v_lshl_add_u64 v[10:11], v[8:9], 0, -1
	v_cmp_ne_u32_e64 s[48:49], 0, v8
	v_mad_u32_u24 v59, v60, 36, v43
	s_nop 0
	v_xor_b32_e32 v10, s48, v10
	v_xor_b32_e32 v8, s49, v11
	v_and_b32_e32 v61, exec_lo, v10
	v_lshlrev_b32_e32 v11, 30, v60
	v_mov_b32_e32 v10, v9
	v_cmp_gt_i64_e64 s[48:49], 0, v[10:11]
	v_not_b32_e32 v10, v11
	v_ashrrev_i32_e32 v10, 31, v10
	v_and_b32_e32 v8, exec_hi, v8
	v_xor_b32_e32 v11, s49, v10
	v_xor_b32_e32 v10, s48, v10
	v_and_b32_e32 v8, v8, v11
	v_and_b32_e32 v61, v61, v10
	v_lshlrev_b32_e32 v11, 29, v60
	v_mov_b32_e32 v10, v9
	v_cmp_gt_i64_e64 s[48:49], 0, v[10:11]
	v_not_b32_e32 v10, v11
	v_ashrrev_i32_e32 v10, 31, v10
	v_xor_b32_e32 v11, s49, v10
	v_xor_b32_e32 v10, s48, v10
	v_and_b32_e32 v8, v8, v11
	v_and_b32_e32 v61, v61, v10
	v_lshlrev_b32_e32 v11, 28, v60
	v_mov_b32_e32 v10, v9
	v_cmp_gt_i64_e64 s[48:49], 0, v[10:11]
	v_not_b32_e32 v10, v11
	v_ashrrev_i32_e32 v10, 31, v10
	;; [unrolled: 9-line block ×4, first 2 shown]
	v_xor_b32_e32 v11, s49, v10
	v_xor_b32_e32 v10, s48, v10
	; wave barrier
	ds_read_b32 v58, v59 offset:32
	v_and_b32_e32 v10, v61, v10
	v_and_b32_e32 v11, v8, v11
	v_mbcnt_lo_u32_b32 v8, v10, 0
	v_mbcnt_hi_u32_b32 v60, v11, v8
	v_cmp_eq_u32_e64 s[48:49], 0, v60
	v_cmp_ne_u64_e64 s[50:51], 0, v[10:11]
	s_and_b64 s[48:49], s[50:51], s[48:49]
	; wave barrier
	s_and_saveexec_b64 s[16:17], s[48:49]
	s_cbranch_execz .LBB1652_67
; %bb.66:
	v_bcnt_u32_b32 v8, v10, 0
	v_bcnt_u32_b32 v8, v11, v8
	s_waitcnt lgkmcnt(0)
	v_add_u32_e32 v8, v58, v8
	ds_write_b32 v59, v8 offset:32
.LBB1652_67:
	s_or_b64 exec, exec, s[16:17]
	v_lshrrev_b32_sdwa v8, s96, v18 dst_sel:DWORD dst_unused:UNUSED_PAD src0_sel:DWORD src1_sel:WORD_0
	v_and_b32_e32 v63, s5, v8
	v_and_b32_e32 v8, 1, v63
	v_lshl_add_u64 v[10:11], v[8:9], 0, -1
	v_cmp_ne_u32_e64 s[48:49], 0, v8
	v_mad_u32_u24 v62, v63, 36, v43
	s_nop 0
	v_xor_b32_e32 v10, s48, v10
	v_xor_b32_e32 v8, s49, v11
	v_and_b32_e32 v64, exec_lo, v10
	v_lshlrev_b32_e32 v11, 30, v63
	v_mov_b32_e32 v10, v9
	v_cmp_gt_i64_e64 s[48:49], 0, v[10:11]
	v_not_b32_e32 v10, v11
	v_ashrrev_i32_e32 v10, 31, v10
	v_and_b32_e32 v8, exec_hi, v8
	v_xor_b32_e32 v11, s49, v10
	v_xor_b32_e32 v10, s48, v10
	v_and_b32_e32 v8, v8, v11
	v_and_b32_e32 v64, v64, v10
	v_lshlrev_b32_e32 v11, 29, v63
	v_mov_b32_e32 v10, v9
	v_cmp_gt_i64_e64 s[48:49], 0, v[10:11]
	v_not_b32_e32 v10, v11
	v_ashrrev_i32_e32 v10, 31, v10
	v_xor_b32_e32 v11, s49, v10
	v_xor_b32_e32 v10, s48, v10
	v_and_b32_e32 v8, v8, v11
	v_and_b32_e32 v64, v64, v10
	v_lshlrev_b32_e32 v11, 28, v63
	v_mov_b32_e32 v10, v9
	v_cmp_gt_i64_e64 s[48:49], 0, v[10:11]
	v_not_b32_e32 v10, v11
	v_ashrrev_i32_e32 v10, 31, v10
	;; [unrolled: 9-line block ×3, first 2 shown]
	v_xor_b32_e32 v11, s49, v10
	v_xor_b32_e32 v10, s48, v10
	v_and_b32_e32 v8, v8, v11
	v_lshlrev_b32_e32 v11, 26, v63
	v_and_b32_e32 v64, v64, v10
	v_mov_b32_e32 v10, v9
	v_not_b32_e32 v9, v11
	v_cmp_gt_i64_e64 s[48:49], 0, v[10:11]
	v_ashrrev_i32_e32 v9, 31, v9
	; wave barrier
	s_nop 0
	v_xor_b32_e32 v10, s49, v9
	v_xor_b32_e32 v11, s48, v9
	ds_read_b32 v61, v62 offset:32
	v_and_b32_e32 v9, v8, v10
	v_and_b32_e32 v8, v64, v11
	v_mbcnt_lo_u32_b32 v10, v8, 0
	v_mbcnt_hi_u32_b32 v63, v9, v10
	v_cmp_eq_u32_e64 s[48:49], 0, v63
	v_cmp_ne_u64_e64 s[50:51], 0, v[8:9]
	s_and_b64 s[48:49], s[50:51], s[48:49]
	; wave barrier
	s_and_saveexec_b64 s[16:17], s[48:49]
	s_cbranch_execz .LBB1652_69
; %bb.68:
	v_bcnt_u32_b32 v8, v8, 0
	v_bcnt_u32_b32 v8, v9, v8
	s_waitcnt lgkmcnt(0)
	v_add_u32_e32 v8, v61, v8
	ds_write_b32 v62, v8 offset:32
.LBB1652_69:
	s_or_b64 exec, exec, s[16:17]
	v_lshrrev_b32_sdwa v8, s96, v22 dst_sel:DWORD dst_unused:UNUSED_PAD src0_sel:DWORD src1_sel:WORD_0
	v_and_b32_e32 v66, s5, v8
	v_and_b32_e32 v8, 1, v66
	v_mov_b32_e32 v9, 0
	v_lshl_add_u64 v[10:11], v[8:9], 0, -1
	v_cmp_ne_u32_e64 s[48:49], 0, v8
	v_mad_u32_u24 v65, v66, 36, v43
	s_nop 0
	v_xor_b32_e32 v10, s48, v10
	v_xor_b32_e32 v8, s49, v11
	v_and_b32_e32 v67, exec_lo, v10
	v_lshlrev_b32_e32 v11, 30, v66
	v_mov_b32_e32 v10, v9
	v_cmp_gt_i64_e64 s[48:49], 0, v[10:11]
	v_not_b32_e32 v10, v11
	v_ashrrev_i32_e32 v10, 31, v10
	v_and_b32_e32 v8, exec_hi, v8
	v_xor_b32_e32 v11, s49, v10
	v_xor_b32_e32 v10, s48, v10
	v_and_b32_e32 v8, v8, v11
	v_and_b32_e32 v67, v67, v10
	v_lshlrev_b32_e32 v11, 29, v66
	v_mov_b32_e32 v10, v9
	v_cmp_gt_i64_e64 s[48:49], 0, v[10:11]
	v_not_b32_e32 v10, v11
	v_ashrrev_i32_e32 v10, 31, v10
	v_xor_b32_e32 v11, s49, v10
	v_xor_b32_e32 v10, s48, v10
	v_and_b32_e32 v8, v8, v11
	v_and_b32_e32 v67, v67, v10
	v_lshlrev_b32_e32 v11, 28, v66
	v_mov_b32_e32 v10, v9
	v_cmp_gt_i64_e64 s[48:49], 0, v[10:11]
	v_not_b32_e32 v10, v11
	v_ashrrev_i32_e32 v10, 31, v10
	v_xor_b32_e32 v11, s49, v10
	v_xor_b32_e32 v10, s48, v10
	v_and_b32_e32 v8, v8, v11
	v_and_b32_e32 v67, v67, v10
	v_lshlrev_b32_e32 v11, 27, v66
	v_mov_b32_e32 v10, v9
	v_cmp_gt_i64_e64 s[48:49], 0, v[10:11]
	v_not_b32_e32 v10, v11
	v_ashrrev_i32_e32 v10, 31, v10
	v_xor_b32_e32 v11, s49, v10
	v_xor_b32_e32 v10, s48, v10
	v_and_b32_e32 v8, v8, v11
	v_and_b32_e32 v67, v67, v10
	v_lshlrev_b32_e32 v11, 26, v66
	v_mov_b32_e32 v10, v9
	v_cmp_gt_i64_e64 s[48:49], 0, v[10:11]
	v_not_b32_e32 v10, v11
	v_ashrrev_i32_e32 v10, 31, v10
	v_xor_b32_e32 v11, s49, v10
	v_xor_b32_e32 v10, s48, v10
	; wave barrier
	ds_read_b32 v64, v65 offset:32
	v_and_b32_e32 v10, v67, v10
	v_and_b32_e32 v11, v8, v11
	v_mbcnt_lo_u32_b32 v8, v10, 0
	v_mbcnt_hi_u32_b32 v66, v11, v8
	v_cmp_eq_u32_e64 s[48:49], 0, v66
	v_cmp_ne_u64_e64 s[50:51], 0, v[10:11]
	s_and_b64 s[48:49], s[50:51], s[48:49]
	; wave barrier
	s_and_saveexec_b64 s[16:17], s[48:49]
	s_cbranch_execz .LBB1652_71
; %bb.70:
	v_bcnt_u32_b32 v8, v10, 0
	v_bcnt_u32_b32 v8, v11, v8
	s_waitcnt lgkmcnt(0)
	v_add_u32_e32 v8, v64, v8
	ds_write_b32 v65, v8 offset:32
.LBB1652_71:
	s_or_b64 exec, exec, s[16:17]
	v_lshrrev_b32_sdwa v8, s96, v21 dst_sel:DWORD dst_unused:UNUSED_PAD src0_sel:DWORD src1_sel:WORD_0
	v_and_b32_e32 v69, s5, v8
	v_and_b32_e32 v8, 1, v69
	v_lshl_add_u64 v[10:11], v[8:9], 0, -1
	v_cmp_ne_u32_e64 s[48:49], 0, v8
	v_mad_u32_u24 v68, v69, 36, v43
	s_nop 0
	v_xor_b32_e32 v10, s48, v10
	v_xor_b32_e32 v8, s49, v11
	v_and_b32_e32 v70, exec_lo, v10
	v_lshlrev_b32_e32 v11, 30, v69
	v_mov_b32_e32 v10, v9
	v_cmp_gt_i64_e64 s[48:49], 0, v[10:11]
	v_not_b32_e32 v10, v11
	v_ashrrev_i32_e32 v10, 31, v10
	v_and_b32_e32 v8, exec_hi, v8
	v_xor_b32_e32 v11, s49, v10
	v_xor_b32_e32 v10, s48, v10
	v_and_b32_e32 v8, v8, v11
	v_and_b32_e32 v70, v70, v10
	v_lshlrev_b32_e32 v11, 29, v69
	v_mov_b32_e32 v10, v9
	v_cmp_gt_i64_e64 s[48:49], 0, v[10:11]
	v_not_b32_e32 v10, v11
	v_ashrrev_i32_e32 v10, 31, v10
	v_xor_b32_e32 v11, s49, v10
	v_xor_b32_e32 v10, s48, v10
	v_and_b32_e32 v8, v8, v11
	v_and_b32_e32 v70, v70, v10
	v_lshlrev_b32_e32 v11, 28, v69
	v_mov_b32_e32 v10, v9
	v_cmp_gt_i64_e64 s[48:49], 0, v[10:11]
	v_not_b32_e32 v10, v11
	v_ashrrev_i32_e32 v10, 31, v10
	;; [unrolled: 9-line block ×3, first 2 shown]
	v_xor_b32_e32 v11, s49, v10
	v_xor_b32_e32 v10, s48, v10
	v_and_b32_e32 v8, v8, v11
	v_lshlrev_b32_e32 v11, 26, v69
	v_and_b32_e32 v70, v70, v10
	v_mov_b32_e32 v10, v9
	v_not_b32_e32 v9, v11
	v_cmp_gt_i64_e64 s[48:49], 0, v[10:11]
	v_ashrrev_i32_e32 v9, 31, v9
	; wave barrier
	s_nop 0
	v_xor_b32_e32 v10, s49, v9
	v_xor_b32_e32 v11, s48, v9
	ds_read_b32 v67, v68 offset:32
	v_and_b32_e32 v9, v8, v10
	v_and_b32_e32 v8, v70, v11
	v_mbcnt_lo_u32_b32 v10, v8, 0
	v_mbcnt_hi_u32_b32 v69, v9, v10
	v_cmp_eq_u32_e64 s[48:49], 0, v69
	v_cmp_ne_u64_e64 s[50:51], 0, v[8:9]
	s_and_b64 s[48:49], s[50:51], s[48:49]
	; wave barrier
	s_and_saveexec_b64 s[16:17], s[48:49]
	s_cbranch_execz .LBB1652_73
; %bb.72:
	v_bcnt_u32_b32 v8, v8, 0
	v_bcnt_u32_b32 v8, v9, v8
	s_waitcnt lgkmcnt(0)
	v_add_u32_e32 v8, v67, v8
	ds_write_b32 v68, v8 offset:32
.LBB1652_73:
	s_or_b64 exec, exec, s[16:17]
	v_lshrrev_b32_sdwa v8, s96, v24 dst_sel:DWORD dst_unused:UNUSED_PAD src0_sel:DWORD src1_sel:WORD_0
	v_and_b32_e32 v72, s5, v8
	v_and_b32_e32 v8, 1, v72
	v_mov_b32_e32 v9, 0
	v_lshl_add_u64 v[10:11], v[8:9], 0, -1
	v_cmp_ne_u32_e64 s[48:49], 0, v8
	v_mad_u32_u24 v70, v72, 36, v43
	s_nop 0
	v_xor_b32_e32 v10, s48, v10
	v_xor_b32_e32 v8, s49, v11
	v_and_b32_e32 v73, exec_lo, v10
	v_lshlrev_b32_e32 v11, 30, v72
	v_mov_b32_e32 v10, v9
	v_cmp_gt_i64_e64 s[48:49], 0, v[10:11]
	v_not_b32_e32 v10, v11
	v_ashrrev_i32_e32 v10, 31, v10
	v_and_b32_e32 v8, exec_hi, v8
	v_xor_b32_e32 v11, s49, v10
	v_xor_b32_e32 v10, s48, v10
	v_and_b32_e32 v8, v8, v11
	v_and_b32_e32 v73, v73, v10
	v_lshlrev_b32_e32 v11, 29, v72
	v_mov_b32_e32 v10, v9
	v_cmp_gt_i64_e64 s[48:49], 0, v[10:11]
	v_not_b32_e32 v10, v11
	v_ashrrev_i32_e32 v10, 31, v10
	v_xor_b32_e32 v11, s49, v10
	v_xor_b32_e32 v10, s48, v10
	v_and_b32_e32 v8, v8, v11
	v_and_b32_e32 v73, v73, v10
	v_lshlrev_b32_e32 v11, 28, v72
	v_mov_b32_e32 v10, v9
	v_cmp_gt_i64_e64 s[48:49], 0, v[10:11]
	v_not_b32_e32 v10, v11
	v_ashrrev_i32_e32 v10, 31, v10
	;; [unrolled: 9-line block ×4, first 2 shown]
	v_xor_b32_e32 v11, s49, v10
	v_xor_b32_e32 v10, s48, v10
	; wave barrier
	ds_read_b32 v71, v70 offset:32
	v_and_b32_e32 v10, v73, v10
	v_and_b32_e32 v11, v8, v11
	v_mbcnt_lo_u32_b32 v8, v10, 0
	v_mbcnt_hi_u32_b32 v72, v11, v8
	v_cmp_eq_u32_e64 s[48:49], 0, v72
	v_cmp_ne_u64_e64 s[50:51], 0, v[10:11]
	s_and_b64 s[48:49], s[50:51], s[48:49]
	; wave barrier
	s_and_saveexec_b64 s[16:17], s[48:49]
	s_cbranch_execz .LBB1652_75
; %bb.74:
	v_bcnt_u32_b32 v8, v10, 0
	v_bcnt_u32_b32 v8, v11, v8
	s_waitcnt lgkmcnt(0)
	v_add_u32_e32 v8, v71, v8
	ds_write_b32 v70, v8 offset:32
.LBB1652_75:
	s_or_b64 exec, exec, s[16:17]
	v_lshrrev_b32_sdwa v8, s96, v23 dst_sel:DWORD dst_unused:UNUSED_PAD src0_sel:DWORD src1_sel:WORD_0
	v_and_b32_e32 v75, s5, v8
	v_and_b32_e32 v8, 1, v75
	v_lshl_add_u64 v[10:11], v[8:9], 0, -1
	v_cmp_ne_u32_e64 s[48:49], 0, v8
	v_mad_u32_u24 v74, v75, 36, v43
	s_nop 0
	v_xor_b32_e32 v10, s48, v10
	v_xor_b32_e32 v8, s49, v11
	v_and_b32_e32 v76, exec_lo, v10
	v_lshlrev_b32_e32 v11, 30, v75
	v_mov_b32_e32 v10, v9
	v_cmp_gt_i64_e64 s[48:49], 0, v[10:11]
	v_not_b32_e32 v10, v11
	v_ashrrev_i32_e32 v10, 31, v10
	v_and_b32_e32 v8, exec_hi, v8
	v_xor_b32_e32 v11, s49, v10
	v_xor_b32_e32 v10, s48, v10
	v_and_b32_e32 v8, v8, v11
	v_and_b32_e32 v76, v76, v10
	v_lshlrev_b32_e32 v11, 29, v75
	v_mov_b32_e32 v10, v9
	v_cmp_gt_i64_e64 s[48:49], 0, v[10:11]
	v_not_b32_e32 v10, v11
	v_ashrrev_i32_e32 v10, 31, v10
	v_xor_b32_e32 v11, s49, v10
	v_xor_b32_e32 v10, s48, v10
	v_and_b32_e32 v8, v8, v11
	v_and_b32_e32 v76, v76, v10
	v_lshlrev_b32_e32 v11, 28, v75
	v_mov_b32_e32 v10, v9
	v_cmp_gt_i64_e64 s[48:49], 0, v[10:11]
	v_not_b32_e32 v10, v11
	v_ashrrev_i32_e32 v10, 31, v10
	;; [unrolled: 9-line block ×3, first 2 shown]
	v_xor_b32_e32 v11, s49, v10
	v_xor_b32_e32 v10, s48, v10
	v_and_b32_e32 v8, v8, v11
	v_lshlrev_b32_e32 v11, 26, v75
	v_and_b32_e32 v76, v76, v10
	v_mov_b32_e32 v10, v9
	v_not_b32_e32 v9, v11
	v_cmp_gt_i64_e64 s[48:49], 0, v[10:11]
	v_ashrrev_i32_e32 v9, 31, v9
	; wave barrier
	s_nop 0
	v_xor_b32_e32 v10, s49, v9
	v_xor_b32_e32 v11, s48, v9
	ds_read_b32 v73, v74 offset:32
	v_and_b32_e32 v9, v8, v10
	v_and_b32_e32 v8, v76, v11
	v_mbcnt_lo_u32_b32 v10, v8, 0
	v_mbcnt_hi_u32_b32 v75, v9, v10
	v_cmp_eq_u32_e64 s[48:49], 0, v75
	v_cmp_ne_u64_e64 s[50:51], 0, v[8:9]
	s_and_b64 s[48:49], s[50:51], s[48:49]
	; wave barrier
	s_and_saveexec_b64 s[16:17], s[48:49]
	s_cbranch_execz .LBB1652_77
; %bb.76:
	v_bcnt_u32_b32 v8, v8, 0
	v_bcnt_u32_b32 v8, v9, v8
	s_waitcnt lgkmcnt(0)
	v_add_u32_e32 v8, v73, v8
	ds_write_b32 v74, v8 offset:32
.LBB1652_77:
	s_or_b64 exec, exec, s[16:17]
	v_lshrrev_b32_sdwa v8, s96, v26 dst_sel:DWORD dst_unused:UNUSED_PAD src0_sel:DWORD src1_sel:WORD_0
	v_and_b32_e32 v78, s5, v8
	v_and_b32_e32 v8, 1, v78
	v_mov_b32_e32 v9, 0
	v_lshl_add_u64 v[10:11], v[8:9], 0, -1
	v_cmp_ne_u32_e64 s[48:49], 0, v8
	v_mad_u32_u24 v77, v78, 36, v43
	s_nop 0
	v_xor_b32_e32 v10, s48, v10
	v_xor_b32_e32 v8, s49, v11
	v_and_b32_e32 v79, exec_lo, v10
	v_lshlrev_b32_e32 v11, 30, v78
	v_mov_b32_e32 v10, v9
	v_cmp_gt_i64_e64 s[48:49], 0, v[10:11]
	v_not_b32_e32 v10, v11
	v_ashrrev_i32_e32 v10, 31, v10
	v_and_b32_e32 v8, exec_hi, v8
	v_xor_b32_e32 v11, s49, v10
	v_xor_b32_e32 v10, s48, v10
	v_and_b32_e32 v8, v8, v11
	v_and_b32_e32 v79, v79, v10
	v_lshlrev_b32_e32 v11, 29, v78
	v_mov_b32_e32 v10, v9
	v_cmp_gt_i64_e64 s[48:49], 0, v[10:11]
	v_not_b32_e32 v10, v11
	v_ashrrev_i32_e32 v10, 31, v10
	v_xor_b32_e32 v11, s49, v10
	v_xor_b32_e32 v10, s48, v10
	v_and_b32_e32 v8, v8, v11
	v_and_b32_e32 v79, v79, v10
	v_lshlrev_b32_e32 v11, 28, v78
	v_mov_b32_e32 v10, v9
	v_cmp_gt_i64_e64 s[48:49], 0, v[10:11]
	v_not_b32_e32 v10, v11
	v_ashrrev_i32_e32 v10, 31, v10
	;; [unrolled: 9-line block ×4, first 2 shown]
	v_xor_b32_e32 v11, s49, v10
	v_xor_b32_e32 v10, s48, v10
	; wave barrier
	ds_read_b32 v76, v77 offset:32
	v_and_b32_e32 v10, v79, v10
	v_and_b32_e32 v11, v8, v11
	v_mbcnt_lo_u32_b32 v8, v10, 0
	v_mbcnt_hi_u32_b32 v78, v11, v8
	v_cmp_eq_u32_e64 s[48:49], 0, v78
	v_cmp_ne_u64_e64 s[50:51], 0, v[10:11]
	s_and_b64 s[48:49], s[50:51], s[48:49]
	; wave barrier
	s_and_saveexec_b64 s[16:17], s[48:49]
	s_cbranch_execz .LBB1652_79
; %bb.78:
	v_bcnt_u32_b32 v8, v10, 0
	v_bcnt_u32_b32 v8, v11, v8
	s_waitcnt lgkmcnt(0)
	v_add_u32_e32 v8, v76, v8
	ds_write_b32 v77, v8 offset:32
.LBB1652_79:
	s_or_b64 exec, exec, s[16:17]
	v_lshrrev_b32_sdwa v8, s96, v25 dst_sel:DWORD dst_unused:UNUSED_PAD src0_sel:DWORD src1_sel:WORD_0
	v_and_b32_e32 v81, s5, v8
	v_and_b32_e32 v8, 1, v81
	v_lshl_add_u64 v[10:11], v[8:9], 0, -1
	v_cmp_ne_u32_e64 s[48:49], 0, v8
	v_mad_u32_u24 v80, v81, 36, v43
	s_nop 0
	v_xor_b32_e32 v10, s48, v10
	v_xor_b32_e32 v8, s49, v11
	v_and_b32_e32 v82, exec_lo, v10
	v_lshlrev_b32_e32 v11, 30, v81
	v_mov_b32_e32 v10, v9
	v_cmp_gt_i64_e64 s[48:49], 0, v[10:11]
	v_not_b32_e32 v10, v11
	v_ashrrev_i32_e32 v10, 31, v10
	v_and_b32_e32 v8, exec_hi, v8
	v_xor_b32_e32 v11, s49, v10
	v_xor_b32_e32 v10, s48, v10
	v_and_b32_e32 v8, v8, v11
	v_and_b32_e32 v82, v82, v10
	v_lshlrev_b32_e32 v11, 29, v81
	v_mov_b32_e32 v10, v9
	v_cmp_gt_i64_e64 s[48:49], 0, v[10:11]
	v_not_b32_e32 v10, v11
	v_ashrrev_i32_e32 v10, 31, v10
	v_xor_b32_e32 v11, s49, v10
	v_xor_b32_e32 v10, s48, v10
	v_and_b32_e32 v8, v8, v11
	v_and_b32_e32 v82, v82, v10
	v_lshlrev_b32_e32 v11, 28, v81
	v_mov_b32_e32 v10, v9
	v_cmp_gt_i64_e64 s[48:49], 0, v[10:11]
	v_not_b32_e32 v10, v11
	v_ashrrev_i32_e32 v10, 31, v10
	;; [unrolled: 9-line block ×3, first 2 shown]
	v_xor_b32_e32 v11, s49, v10
	v_xor_b32_e32 v10, s48, v10
	v_and_b32_e32 v8, v8, v11
	v_lshlrev_b32_e32 v11, 26, v81
	v_and_b32_e32 v82, v82, v10
	v_mov_b32_e32 v10, v9
	v_not_b32_e32 v9, v11
	v_cmp_gt_i64_e64 s[48:49], 0, v[10:11]
	v_ashrrev_i32_e32 v9, 31, v9
	; wave barrier
	s_nop 0
	v_xor_b32_e32 v10, s49, v9
	v_xor_b32_e32 v11, s48, v9
	ds_read_b32 v79, v80 offset:32
	v_and_b32_e32 v9, v8, v10
	v_and_b32_e32 v8, v82, v11
	v_mbcnt_lo_u32_b32 v10, v8, 0
	v_mbcnt_hi_u32_b32 v81, v9, v10
	v_cmp_eq_u32_e64 s[48:49], 0, v81
	v_cmp_ne_u64_e64 s[50:51], 0, v[8:9]
	s_and_b64 s[48:49], s[50:51], s[48:49]
	; wave barrier
	s_and_saveexec_b64 s[16:17], s[48:49]
	s_cbranch_execz .LBB1652_81
; %bb.80:
	v_bcnt_u32_b32 v8, v8, 0
	v_bcnt_u32_b32 v8, v9, v8
	s_waitcnt lgkmcnt(0)
	v_add_u32_e32 v8, v79, v8
	ds_write_b32 v80, v8 offset:32
.LBB1652_81:
	s_or_b64 exec, exec, s[16:17]
	v_lshrrev_b32_sdwa v8, s96, v28 dst_sel:DWORD dst_unused:UNUSED_PAD src0_sel:DWORD src1_sel:WORD_0
	v_and_b32_e32 v84, s5, v8
	v_and_b32_e32 v8, 1, v84
	v_mov_b32_e32 v9, 0
	v_lshl_add_u64 v[10:11], v[8:9], 0, -1
	v_cmp_ne_u32_e64 s[48:49], 0, v8
	v_mad_u32_u24 v83, v84, 36, v43
	s_nop 0
	v_xor_b32_e32 v10, s48, v10
	v_xor_b32_e32 v8, s49, v11
	v_and_b32_e32 v85, exec_lo, v10
	v_lshlrev_b32_e32 v11, 30, v84
	v_mov_b32_e32 v10, v9
	v_cmp_gt_i64_e64 s[48:49], 0, v[10:11]
	v_not_b32_e32 v10, v11
	v_ashrrev_i32_e32 v10, 31, v10
	v_and_b32_e32 v8, exec_hi, v8
	v_xor_b32_e32 v11, s49, v10
	v_xor_b32_e32 v10, s48, v10
	v_and_b32_e32 v8, v8, v11
	v_and_b32_e32 v85, v85, v10
	v_lshlrev_b32_e32 v11, 29, v84
	v_mov_b32_e32 v10, v9
	v_cmp_gt_i64_e64 s[48:49], 0, v[10:11]
	v_not_b32_e32 v10, v11
	v_ashrrev_i32_e32 v10, 31, v10
	v_xor_b32_e32 v11, s49, v10
	v_xor_b32_e32 v10, s48, v10
	v_and_b32_e32 v8, v8, v11
	v_and_b32_e32 v85, v85, v10
	v_lshlrev_b32_e32 v11, 28, v84
	v_mov_b32_e32 v10, v9
	v_cmp_gt_i64_e64 s[48:49], 0, v[10:11]
	v_not_b32_e32 v10, v11
	v_ashrrev_i32_e32 v10, 31, v10
	;; [unrolled: 9-line block ×4, first 2 shown]
	v_xor_b32_e32 v11, s49, v10
	v_xor_b32_e32 v10, s48, v10
	; wave barrier
	ds_read_b32 v82, v83 offset:32
	v_and_b32_e32 v10, v85, v10
	v_and_b32_e32 v11, v8, v11
	v_mbcnt_lo_u32_b32 v8, v10, 0
	v_mbcnt_hi_u32_b32 v84, v11, v8
	v_cmp_eq_u32_e64 s[48:49], 0, v84
	v_cmp_ne_u64_e64 s[50:51], 0, v[10:11]
	s_and_b64 s[48:49], s[50:51], s[48:49]
	; wave barrier
	s_and_saveexec_b64 s[16:17], s[48:49]
	s_cbranch_execz .LBB1652_83
; %bb.82:
	v_bcnt_u32_b32 v8, v10, 0
	v_bcnt_u32_b32 v8, v11, v8
	s_waitcnt lgkmcnt(0)
	v_add_u32_e32 v8, v82, v8
	ds_write_b32 v83, v8 offset:32
.LBB1652_83:
	s_or_b64 exec, exec, s[16:17]
	v_lshrrev_b32_sdwa v8, s96, v27 dst_sel:DWORD dst_unused:UNUSED_PAD src0_sel:DWORD src1_sel:WORD_0
	v_and_b32_e32 v87, s5, v8
	v_and_b32_e32 v8, 1, v87
	v_lshl_add_u64 v[10:11], v[8:9], 0, -1
	v_cmp_ne_u32_e64 s[48:49], 0, v8
	v_mad_u32_u24 v86, v87, 36, v43
	s_nop 0
	v_xor_b32_e32 v10, s48, v10
	v_xor_b32_e32 v8, s49, v11
	v_and_b32_e32 v88, exec_lo, v10
	v_lshlrev_b32_e32 v11, 30, v87
	v_mov_b32_e32 v10, v9
	v_cmp_gt_i64_e64 s[48:49], 0, v[10:11]
	v_not_b32_e32 v10, v11
	v_ashrrev_i32_e32 v10, 31, v10
	v_and_b32_e32 v8, exec_hi, v8
	v_xor_b32_e32 v11, s49, v10
	v_xor_b32_e32 v10, s48, v10
	v_and_b32_e32 v8, v8, v11
	v_and_b32_e32 v88, v88, v10
	v_lshlrev_b32_e32 v11, 29, v87
	v_mov_b32_e32 v10, v9
	v_cmp_gt_i64_e64 s[48:49], 0, v[10:11]
	v_not_b32_e32 v10, v11
	v_ashrrev_i32_e32 v10, 31, v10
	v_xor_b32_e32 v11, s49, v10
	v_xor_b32_e32 v10, s48, v10
	v_and_b32_e32 v8, v8, v11
	v_and_b32_e32 v88, v88, v10
	v_lshlrev_b32_e32 v11, 28, v87
	v_mov_b32_e32 v10, v9
	v_cmp_gt_i64_e64 s[48:49], 0, v[10:11]
	v_not_b32_e32 v10, v11
	v_ashrrev_i32_e32 v10, 31, v10
	;; [unrolled: 9-line block ×3, first 2 shown]
	v_xor_b32_e32 v11, s49, v10
	v_xor_b32_e32 v10, s48, v10
	v_and_b32_e32 v8, v8, v11
	v_lshlrev_b32_e32 v11, 26, v87
	v_and_b32_e32 v88, v88, v10
	v_mov_b32_e32 v10, v9
	v_not_b32_e32 v9, v11
	v_cmp_gt_i64_e64 s[48:49], 0, v[10:11]
	v_ashrrev_i32_e32 v9, 31, v9
	; wave barrier
	s_nop 0
	v_xor_b32_e32 v10, s49, v9
	v_xor_b32_e32 v11, s48, v9
	ds_read_b32 v85, v86 offset:32
	v_and_b32_e32 v9, v8, v10
	v_and_b32_e32 v8, v88, v11
	v_mbcnt_lo_u32_b32 v10, v8, 0
	v_mbcnt_hi_u32_b32 v87, v9, v10
	v_cmp_eq_u32_e64 s[48:49], 0, v87
	v_cmp_ne_u64_e64 s[50:51], 0, v[8:9]
	s_and_b64 s[48:49], s[50:51], s[48:49]
	; wave barrier
	s_and_saveexec_b64 s[16:17], s[48:49]
	s_cbranch_execz .LBB1652_85
; %bb.84:
	v_bcnt_u32_b32 v8, v8, 0
	v_bcnt_u32_b32 v8, v9, v8
	s_waitcnt lgkmcnt(0)
	v_add_u32_e32 v8, v85, v8
	ds_write_b32 v86, v8 offset:32
.LBB1652_85:
	s_or_b64 exec, exec, s[16:17]
	v_lshrrev_b32_sdwa v8, s96, v30 dst_sel:DWORD dst_unused:UNUSED_PAD src0_sel:DWORD src1_sel:WORD_0
	v_and_b32_e32 v90, s5, v8
	v_and_b32_e32 v8, 1, v90
	v_mov_b32_e32 v9, 0
	v_lshl_add_u64 v[10:11], v[8:9], 0, -1
	v_cmp_ne_u32_e64 s[48:49], 0, v8
	v_mad_u32_u24 v89, v90, 36, v43
	s_nop 0
	v_xor_b32_e32 v10, s48, v10
	v_xor_b32_e32 v8, s49, v11
	v_and_b32_e32 v91, exec_lo, v10
	v_lshlrev_b32_e32 v11, 30, v90
	v_mov_b32_e32 v10, v9
	v_cmp_gt_i64_e64 s[48:49], 0, v[10:11]
	v_not_b32_e32 v10, v11
	v_ashrrev_i32_e32 v10, 31, v10
	v_and_b32_e32 v8, exec_hi, v8
	v_xor_b32_e32 v11, s49, v10
	v_xor_b32_e32 v10, s48, v10
	v_and_b32_e32 v8, v8, v11
	v_and_b32_e32 v91, v91, v10
	v_lshlrev_b32_e32 v11, 29, v90
	v_mov_b32_e32 v10, v9
	v_cmp_gt_i64_e64 s[48:49], 0, v[10:11]
	v_not_b32_e32 v10, v11
	v_ashrrev_i32_e32 v10, 31, v10
	v_xor_b32_e32 v11, s49, v10
	v_xor_b32_e32 v10, s48, v10
	v_and_b32_e32 v8, v8, v11
	v_and_b32_e32 v91, v91, v10
	v_lshlrev_b32_e32 v11, 28, v90
	v_mov_b32_e32 v10, v9
	v_cmp_gt_i64_e64 s[48:49], 0, v[10:11]
	v_not_b32_e32 v10, v11
	v_ashrrev_i32_e32 v10, 31, v10
	;; [unrolled: 9-line block ×4, first 2 shown]
	v_xor_b32_e32 v11, s49, v10
	v_xor_b32_e32 v10, s48, v10
	; wave barrier
	ds_read_b32 v88, v89 offset:32
	v_and_b32_e32 v10, v91, v10
	v_and_b32_e32 v11, v8, v11
	v_mbcnt_lo_u32_b32 v8, v10, 0
	v_mbcnt_hi_u32_b32 v90, v11, v8
	v_cmp_eq_u32_e64 s[48:49], 0, v90
	v_cmp_ne_u64_e64 s[50:51], 0, v[10:11]
	s_and_b64 s[48:49], s[50:51], s[48:49]
	; wave barrier
	s_and_saveexec_b64 s[16:17], s[48:49]
	s_cbranch_execz .LBB1652_87
; %bb.86:
	v_bcnt_u32_b32 v8, v10, 0
	v_bcnt_u32_b32 v8, v11, v8
	s_waitcnt lgkmcnt(0)
	v_add_u32_e32 v8, v88, v8
	ds_write_b32 v89, v8 offset:32
.LBB1652_87:
	s_or_b64 exec, exec, s[16:17]
	v_lshrrev_b32_sdwa v8, s96, v29 dst_sel:DWORD dst_unused:UNUSED_PAD src0_sel:DWORD src1_sel:WORD_0
	v_and_b32_e32 v93, s5, v8
	v_and_b32_e32 v8, 1, v93
	v_lshl_add_u64 v[10:11], v[8:9], 0, -1
	v_cmp_ne_u32_e64 s[48:49], 0, v8
	v_mad_u32_u24 v92, v93, 36, v43
	s_nop 0
	v_xor_b32_e32 v10, s48, v10
	v_xor_b32_e32 v8, s49, v11
	v_and_b32_e32 v94, exec_lo, v10
	v_lshlrev_b32_e32 v11, 30, v93
	v_mov_b32_e32 v10, v9
	v_cmp_gt_i64_e64 s[48:49], 0, v[10:11]
	v_not_b32_e32 v10, v11
	v_ashrrev_i32_e32 v10, 31, v10
	v_and_b32_e32 v8, exec_hi, v8
	v_xor_b32_e32 v11, s49, v10
	v_xor_b32_e32 v10, s48, v10
	v_and_b32_e32 v8, v8, v11
	v_and_b32_e32 v94, v94, v10
	v_lshlrev_b32_e32 v11, 29, v93
	v_mov_b32_e32 v10, v9
	v_cmp_gt_i64_e64 s[48:49], 0, v[10:11]
	v_not_b32_e32 v10, v11
	v_ashrrev_i32_e32 v10, 31, v10
	v_xor_b32_e32 v11, s49, v10
	v_xor_b32_e32 v10, s48, v10
	v_and_b32_e32 v8, v8, v11
	v_and_b32_e32 v94, v94, v10
	v_lshlrev_b32_e32 v11, 28, v93
	v_mov_b32_e32 v10, v9
	v_cmp_gt_i64_e64 s[48:49], 0, v[10:11]
	v_not_b32_e32 v10, v11
	v_ashrrev_i32_e32 v10, 31, v10
	;; [unrolled: 9-line block ×3, first 2 shown]
	v_xor_b32_e32 v11, s49, v10
	v_xor_b32_e32 v10, s48, v10
	v_and_b32_e32 v8, v8, v11
	v_lshlrev_b32_e32 v11, 26, v93
	v_and_b32_e32 v94, v94, v10
	v_mov_b32_e32 v10, v9
	v_not_b32_e32 v9, v11
	v_cmp_gt_i64_e64 s[48:49], 0, v[10:11]
	v_ashrrev_i32_e32 v9, 31, v9
	; wave barrier
	s_nop 0
	v_xor_b32_e32 v10, s49, v9
	v_xor_b32_e32 v11, s48, v9
	ds_read_b32 v91, v92 offset:32
	v_and_b32_e32 v9, v8, v10
	v_and_b32_e32 v8, v94, v11
	v_mbcnt_lo_u32_b32 v10, v8, 0
	v_mbcnt_hi_u32_b32 v93, v9, v10
	v_cmp_eq_u32_e64 s[48:49], 0, v93
	v_cmp_ne_u64_e64 s[50:51], 0, v[8:9]
	s_and_b64 s[48:49], s[50:51], s[48:49]
	; wave barrier
	s_and_saveexec_b64 s[16:17], s[48:49]
	s_cbranch_execz .LBB1652_89
; %bb.88:
	v_bcnt_u32_b32 v8, v8, 0
	v_bcnt_u32_b32 v8, v9, v8
	s_waitcnt lgkmcnt(0)
	v_add_u32_e32 v8, v91, v8
	ds_write_b32 v92, v8 offset:32
.LBB1652_89:
	s_or_b64 exec, exec, s[16:17]
	v_lshrrev_b32_sdwa v8, s96, v32 dst_sel:DWORD dst_unused:UNUSED_PAD src0_sel:DWORD src1_sel:WORD_0
	v_and_b32_e32 v96, s5, v8
	v_and_b32_e32 v8, 1, v96
	v_mov_b32_e32 v9, 0
	v_lshl_add_u64 v[10:11], v[8:9], 0, -1
	v_cmp_ne_u32_e64 s[48:49], 0, v8
	v_mad_u32_u24 v95, v96, 36, v43
	s_nop 0
	v_xor_b32_e32 v10, s48, v10
	v_xor_b32_e32 v8, s49, v11
	v_and_b32_e32 v97, exec_lo, v10
	v_lshlrev_b32_e32 v11, 30, v96
	v_mov_b32_e32 v10, v9
	v_cmp_gt_i64_e64 s[48:49], 0, v[10:11]
	v_not_b32_e32 v10, v11
	v_ashrrev_i32_e32 v10, 31, v10
	v_and_b32_e32 v8, exec_hi, v8
	v_xor_b32_e32 v11, s49, v10
	v_xor_b32_e32 v10, s48, v10
	v_and_b32_e32 v8, v8, v11
	v_and_b32_e32 v97, v97, v10
	v_lshlrev_b32_e32 v11, 29, v96
	v_mov_b32_e32 v10, v9
	v_cmp_gt_i64_e64 s[48:49], 0, v[10:11]
	v_not_b32_e32 v10, v11
	v_ashrrev_i32_e32 v10, 31, v10
	v_xor_b32_e32 v11, s49, v10
	v_xor_b32_e32 v10, s48, v10
	v_and_b32_e32 v8, v8, v11
	v_and_b32_e32 v97, v97, v10
	v_lshlrev_b32_e32 v11, 28, v96
	v_mov_b32_e32 v10, v9
	v_cmp_gt_i64_e64 s[48:49], 0, v[10:11]
	v_not_b32_e32 v10, v11
	v_ashrrev_i32_e32 v10, 31, v10
	;; [unrolled: 9-line block ×4, first 2 shown]
	v_xor_b32_e32 v11, s49, v10
	v_xor_b32_e32 v10, s48, v10
	; wave barrier
	ds_read_b32 v94, v95 offset:32
	v_and_b32_e32 v10, v97, v10
	v_and_b32_e32 v11, v8, v11
	v_mbcnt_lo_u32_b32 v8, v10, 0
	v_mbcnt_hi_u32_b32 v96, v11, v8
	v_cmp_eq_u32_e64 s[48:49], 0, v96
	v_cmp_ne_u64_e64 s[50:51], 0, v[10:11]
	s_and_b64 s[48:49], s[50:51], s[48:49]
	; wave barrier
	s_and_saveexec_b64 s[16:17], s[48:49]
	s_cbranch_execz .LBB1652_91
; %bb.90:
	v_bcnt_u32_b32 v8, v10, 0
	v_bcnt_u32_b32 v8, v11, v8
	s_waitcnt lgkmcnt(0)
	v_add_u32_e32 v8, v94, v8
	ds_write_b32 v95, v8 offset:32
.LBB1652_91:
	s_or_b64 exec, exec, s[16:17]
	v_lshrrev_b32_sdwa v8, s96, v31 dst_sel:DWORD dst_unused:UNUSED_PAD src0_sel:DWORD src1_sel:WORD_0
	v_and_b32_e32 v97, s5, v8
	v_and_b32_e32 v8, 1, v97
	v_lshl_add_u64 v[98:99], v[8:9], 0, -1
	v_cmp_ne_u32_e64 s[48:49], 0, v8
	v_mad_u32_u24 v11, v97, 36, v43
	s_nop 0
	v_xor_b32_e32 v8, s49, v99
	v_xor_b32_e32 v43, s48, v98
	v_lshlrev_b32_e32 v99, 30, v97
	v_mov_b32_e32 v98, v9
	v_cmp_gt_i64_e64 s[48:49], 0, v[98:99]
	v_not_b32_e32 v98, v99
	v_ashrrev_i32_e32 v98, 31, v98
	v_and_b32_e32 v8, exec_hi, v8
	v_and_b32_e32 v43, exec_lo, v43
	v_xor_b32_e32 v99, s49, v98
	v_xor_b32_e32 v98, s48, v98
	v_and_b32_e32 v8, v8, v99
	v_and_b32_e32 v43, v43, v98
	v_lshlrev_b32_e32 v99, 29, v97
	v_mov_b32_e32 v98, v9
	v_cmp_gt_i64_e64 s[48:49], 0, v[98:99]
	v_not_b32_e32 v98, v99
	v_ashrrev_i32_e32 v98, 31, v98
	v_xor_b32_e32 v99, s49, v98
	v_xor_b32_e32 v98, s48, v98
	v_and_b32_e32 v8, v8, v99
	v_and_b32_e32 v43, v43, v98
	v_lshlrev_b32_e32 v99, 28, v97
	v_mov_b32_e32 v98, v9
	v_cmp_gt_i64_e64 s[48:49], 0, v[98:99]
	v_not_b32_e32 v98, v99
	v_ashrrev_i32_e32 v98, 31, v98
	;; [unrolled: 9-line block ×3, first 2 shown]
	v_xor_b32_e32 v99, s49, v98
	v_xor_b32_e32 v98, s48, v98
	v_and_b32_e32 v8, v8, v99
	v_lshlrev_b32_e32 v99, 26, v97
	v_and_b32_e32 v43, v43, v98
	v_mov_b32_e32 v98, v9
	v_not_b32_e32 v9, v99
	v_cmp_gt_i64_e64 s[48:49], 0, v[98:99]
	v_ashrrev_i32_e32 v9, 31, v9
	; wave barrier
	s_nop 0
	v_xor_b32_e32 v97, s49, v9
	v_xor_b32_e32 v98, s48, v9
	ds_read_b32 v10, v11 offset:32
	v_and_b32_e32 v9, v8, v97
	v_and_b32_e32 v8, v43, v98
	v_mbcnt_lo_u32_b32 v43, v8, 0
	v_mbcnt_hi_u32_b32 v97, v9, v43
	v_cmp_eq_u32_e64 s[48:49], 0, v97
	v_cmp_ne_u64_e64 s[50:51], 0, v[8:9]
	s_and_b64 s[48:49], s[50:51], s[48:49]
	; wave barrier
	s_and_saveexec_b64 s[16:17], s[48:49]
	s_cbranch_execz .LBB1652_93
; %bb.92:
	v_bcnt_u32_b32 v8, v8, 0
	v_bcnt_u32_b32 v8, v9, v8
	s_waitcnt lgkmcnt(0)
	v_add_u32_e32 v8, v10, v8
	ds_write_b32 v11, v8 offset:32
.LBB1652_93:
	s_or_b64 exec, exec, s[16:17]
	; wave barrier
	s_waitcnt lgkmcnt(0)
	s_barrier
	ds_read_b64 v[8:9], v33 offset:32
	v_and_b32_e32 v43, 15, v15
	v_cmp_ne_u32_e64 s[48:49], 0, v43
	v_min_u32_e32 v20, 0x1c0, v20
	v_or_b32_e32 v20, 63, v20
	s_waitcnt lgkmcnt(0)
	v_add_u32_e32 v9, v9, v8
	s_nop 1
	v_mov_b32_dpp v98, v9 row_shr:1 row_mask:0xf bank_mask:0xf
	v_cndmask_b32_e64 v98, 0, v98, s[48:49]
	v_add_u32_e32 v9, v98, v9
	v_cmp_lt_u32_e64 s[48:49], 1, v43
	s_nop 0
	v_mov_b32_dpp v98, v9 row_shr:2 row_mask:0xf bank_mask:0xf
	v_cndmask_b32_e64 v98, 0, v98, s[48:49]
	v_add_u32_e32 v9, v9, v98
	v_cmp_lt_u32_e64 s[48:49], 3, v43
	;; [unrolled: 5-line block ×3, first 2 shown]
	s_nop 0
	v_mov_b32_dpp v98, v9 row_shr:8 row_mask:0xf bank_mask:0xf
	v_cndmask_b32_e64 v43, 0, v98, s[48:49]
	v_add_u32_e32 v9, v9, v43
	v_bfe_i32 v98, v15, 4, 1
	v_cmp_lt_u32_e64 s[48:49], 31, v15
	v_mov_b32_dpp v43, v9 row_bcast:15 row_mask:0xf bank_mask:0xf
	v_and_b32_e32 v43, v98, v43
	v_add_u32_e32 v9, v9, v43
	s_nop 1
	v_mov_b32_dpp v43, v9 row_bcast:31 row_mask:0xf bank_mask:0xf
	v_cndmask_b32_e64 v43, 0, v43, s[48:49]
	v_add_u32_e32 v9, v9, v43
	v_lshrrev_b32_e32 v43, 6, v2
	v_cmp_eq_u32_e64 s[48:49], v2, v20
	s_and_saveexec_b64 s[16:17], s[48:49]
; %bb.94:
	v_lshlrev_b32_e32 v20, 2, v43
	ds_write_b32 v20, v9
; %bb.95:
	s_or_b64 exec, exec, s[16:17]
	v_cmp_gt_u32_e64 s[48:49], 8, v2
	s_waitcnt lgkmcnt(0)
	s_barrier
	s_and_saveexec_b64 s[50:51], s[48:49]
	s_cbranch_execz .LBB1652_97
; %bb.96:
	v_lshlrev_b32_e32 v20, 2, v2
	ds_read_b32 v98, v20
	v_and_b32_e32 v99, 7, v15
	v_cmp_ne_u32_e64 s[48:49], 0, v99
	s_waitcnt lgkmcnt(0)
	v_mov_b32_dpp v100, v98 row_shr:1 row_mask:0xf bank_mask:0xf
	v_cndmask_b32_e64 v100, 0, v100, s[48:49]
	v_add_u32_e32 v98, v100, v98
	v_cmp_lt_u32_e64 s[48:49], 1, v99
	s_nop 0
	v_mov_b32_dpp v100, v98 row_shr:2 row_mask:0xf bank_mask:0xf
	v_cndmask_b32_e64 v100, 0, v100, s[48:49]
	v_add_u32_e32 v98, v98, v100
	v_cmp_lt_u32_e64 s[48:49], 3, v99
	s_nop 0
	v_mov_b32_dpp v100, v98 row_shr:4 row_mask:0xf bank_mask:0xf
	v_cndmask_b32_e64 v99, 0, v100, s[48:49]
	v_add_u32_e32 v98, v98, v99
	ds_write_b32 v20, v98
.LBB1652_97:
	s_or_b64 exec, exec, s[50:51]
	v_cmp_gt_u32_e64 s[50:51], 64, v2
	v_cmp_lt_u32_e64 s[48:49], 63, v2
	v_mov_b32_e32 v20, 0
	s_waitcnt lgkmcnt(0)
	s_barrier
	s_and_saveexec_b64 s[16:17], s[48:49]
; %bb.98:
	v_lshl_add_u32 v20, v43, 2, -4
	ds_read_b32 v20, v20
; %bb.99:
	s_or_b64 exec, exec, s[16:17]
	v_subrev_co_u32_e64 v43, s[52:53], 1, v15
	v_and_b32_e32 v98, 64, v15
	v_cmp_lt_i32_e64 s[54:55], v43, v98
	s_waitcnt lgkmcnt(0)
	v_add_u32_e32 v9, v20, v9
	v_cndmask_b32_e64 v15, v43, v15, s[54:55]
	v_lshlrev_b32_e32 v15, 2, v15
	ds_bpermute_b32 v9, v15, v9
                                        ; implicit-def: $vgpr15
	s_waitcnt lgkmcnt(0)
	v_cndmask_b32_e64 v9, v9, v20, s[52:53]
	v_cndmask_b32_e64 v98, v9, 0, s[94:95]
	v_add_u32_e32 v99, v98, v8
	ds_write_b64 v33, v[98:99] offset:32
	s_waitcnt lgkmcnt(0)
	s_barrier
	ds_read_b32 v8, v36 offset:32
	ds_read_b32 v9, v37 offset:32
	;; [unrolled: 1-line block ×22, first 2 shown]
                                        ; implicit-def: $vgpr20
	s_and_saveexec_b64 s[54:55], s[50:51]
	s_cbranch_execz .LBB1652_103
; %bb.100:
	v_mul_u32_u24_e32 v15, 36, v2
	ds_read_b32 v15, v15 offset:32
	v_add_u32_e32 v50, 1, v2
	v_cmp_ne_u32_e64 s[52:53], 64, v50
	v_mov_b32_e32 v20, 0x2c00
	s_and_saveexec_b64 s[16:17], s[52:53]
; %bb.101:
	v_mul_u32_u24_e32 v20, 36, v50
	ds_read_b32 v20, v20 offset:32
; %bb.102:
	s_or_b64 exec, exec, s[16:17]
	s_waitcnt lgkmcnt(0)
	v_sub_u32_e32 v20, v20, v15
.LBB1652_103:
	s_or_b64 exec, exec, s[54:55]
	s_waitcnt lgkmcnt(14)
	v_add_u32_e32 v70, v8, v34
	v_add3_u32 v68, v38, v35, v9
	v_add3_u32 v65, v41, v39, v33
	;; [unrolled: 1-line block ×7, first 2 shown]
	s_waitcnt lgkmcnt(13)
	v_add3_u32 v47, v60, v58, v47
	s_waitcnt lgkmcnt(12)
	v_add3_u32 v45, v63, v61, v53
	;; [unrolled: 2-line block ×6, first 2 shown]
	v_lshlrev_b32_e32 v74, 1, v70
	v_lshlrev_b32_e32 v72, 1, v68
	;; [unrolled: 1-line block ×13, first 2 shown]
	s_waitcnt lgkmcnt(7)
	v_add3_u32 v40, v78, v76, v77
	s_waitcnt lgkmcnt(6)
	v_add3_u32 v39, v81, v79, v80
	s_waitcnt lgkmcnt(5)
	v_add3_u32 v38, v84, v82, v83
	s_waitcnt lgkmcnt(4)
	v_add3_u32 v37, v87, v85, v86
	s_waitcnt lgkmcnt(3)
	v_add3_u32 v36, v90, v88, v89
	s_waitcnt lgkmcnt(2)
	v_add3_u32 v35, v93, v91, v92
	s_waitcnt lgkmcnt(1)
	v_add3_u32 v34, v96, v94, v95
	s_waitcnt lgkmcnt(0)
	v_add3_u32 v33, v97, v10, v11
	s_barrier
	ds_write_b16 v74, v5 offset:256
	ds_write_b16 v72, v3 offset:256
	;; [unrolled: 1-line block ×13, first 2 shown]
	v_lshlrev_b32_e32 v24, 1, v41
	ds_write_b16 v24, v23 offset:256
	v_lshlrev_b32_e32 v23, 1, v40
	v_lshlrev_b32_e32 v22, 1, v39
	;; [unrolled: 1-line block ×8, first 2 shown]
	v_mov_b32_e32 v9, 0
	v_lshlrev_b32_e32 v3, 2, v2
	ds_write_b16 v23, v26 offset:256
	ds_write_b16 v22, v25 offset:256
	;; [unrolled: 1-line block ×8, first 2 shown]
	s_and_saveexec_b64 s[52:53], s[50:51]
	s_cbranch_execz .LBB1652_113
; %bb.104:
	v_lshl_add_u32 v8, s33, 6, v2
	v_lshl_add_u64 v[10:11], v[8:9], 2, s[6:7]
	v_or_b32_e32 v5, 2.0, v20
	global_store_dword v[10:11], v5, off sc1
	s_mov_b64 s[54:55], 0
	s_brev_b32 s58, -4
	s_mov_b32 s59, s33
	v_mov_b32_e32 v5, 0
                                        ; implicit-def: $sgpr50_sgpr51
	s_branch .LBB1652_107
.LBB1652_105:                           ;   in Loop: Header=BB1652_107 Depth=1
	s_or_b64 exec, exec, s[16:17]
.LBB1652_106:                           ;   in Loop: Header=BB1652_107 Depth=1
	s_or_b64 exec, exec, s[56:57]
	v_and_b32_e32 v8, 0x3fffffff, v7
	v_add_u32_e32 v5, v8, v5
	v_cmp_gt_i32_e64 s[50:51], -2.0, v7
	s_and_b64 s[16:17], exec, s[50:51]
	s_or_b64 s[54:55], s[16:17], s[54:55]
	s_andn2_b64 exec, exec, s[54:55]
	s_cbranch_execz .LBB1652_112
.LBB1652_107:                           ; =>This Loop Header: Depth=1
                                        ;     Child Loop BB1652_110 Depth 2
	s_or_b64 s[50:51], s[50:51], exec
	s_cmp_eq_u32 s59, 0
	s_cbranch_scc1 .LBB1652_111
; %bb.108:                              ;   in Loop: Header=BB1652_107 Depth=1
	s_add_i32 s59, s59, -1
	v_lshl_or_b32 v8, s59, 6, v2
	v_lshl_add_u64 v[12:13], v[8:9], 2, s[6:7]
	global_load_dword v7, v[12:13], off sc1
	s_waitcnt vmcnt(0)
	v_cmp_gt_u32_e64 s[50:51], 2.0, v7
	s_and_saveexec_b64 s[56:57], s[50:51]
	s_cbranch_execz .LBB1652_106
; %bb.109:                              ;   in Loop: Header=BB1652_107 Depth=1
	s_mov_b64 s[16:17], 0
.LBB1652_110:                           ;   Parent Loop BB1652_107 Depth=1
                                        ; =>  This Inner Loop Header: Depth=2
	global_load_dword v7, v[12:13], off sc1
	s_waitcnt vmcnt(0)
	v_cmp_lt_u32_e64 s[50:51], s58, v7
	s_or_b64 s[16:17], s[50:51], s[16:17]
	s_andn2_b64 exec, exec, s[16:17]
	s_cbranch_execnz .LBB1652_110
	s_branch .LBB1652_105
.LBB1652_111:                           ;   in Loop: Header=BB1652_107 Depth=1
                                        ; implicit-def: $sgpr59
	s_and_b64 s[16:17], exec, s[50:51]
	s_or_b64 s[54:55], s[16:17], s[54:55]
	s_andn2_b64 exec, exec, s[54:55]
	s_cbranch_execnz .LBB1652_107
.LBB1652_112:
	s_or_b64 exec, exec, s[54:55]
	s_load_dwordx4 s[16:19], s[0:1], 0x28
	v_add_u32_e32 v7, v5, v20
	v_or_b32_e32 v7, 0x80000000, v7
	global_store_dword v[10:11], v7, off sc1
	v_sub_u32_e32 v5, v5, v15
	s_waitcnt lgkmcnt(0)
	global_load_dword v7, v3, s[16:17]
	s_waitcnt vmcnt(0)
	v_add_u32_e32 v5, v5, v7
	ds_write_b32 v3, v5
.LBB1652_113:
	s_or_b64 exec, exec, s[52:53]
	v_cmp_gt_u32_e64 s[50:51], s3, v2
	v_mov_b32_e32 v8, 0
	v_mov_b32_e32 v11, 0
	s_waitcnt lgkmcnt(0)
	s_barrier
	s_and_saveexec_b64 s[52:53], s[50:51]
	s_cbranch_execz .LBB1652_115
; %bb.114:
	v_lshlrev_b32_e32 v5, 1, v2
	v_sub_u32_e32 v5, v3, v5
	ds_read_u16 v5, v5 offset:256
	v_mov_b32_e32 v13, 0
	s_waitcnt lgkmcnt(0)
	v_lshrrev_b32_sdwa v7, s96, v5 dst_sel:DWORD dst_unused:UNUSED_PAD src0_sel:DWORD src1_sel:WORD_0
	v_and_b32_e32 v11, s5, v7
	v_lshlrev_b32_e32 v7, 2, v11
	ds_read_b32 v7, v7
	v_xor_b32_e32 v5, 0xffff8000, v5
	s_waitcnt lgkmcnt(0)
	v_add_u32_e32 v12, v7, v2
	v_lshl_add_u64 v[12:13], v[12:13], 1, s[10:11]
	global_store_short v[12:13], v5, off
.LBB1652_115:
	s_or_b64 exec, exec, s[52:53]
	v_add_u32_e32 v10, 0x200, v2
	v_cmp_gt_u32_e64 s[52:53], s3, v10
	s_and_saveexec_b64 s[54:55], s[52:53]
	s_cbranch_execz .LBB1652_117
; %bb.116:
	v_lshlrev_b32_e32 v5, 1, v2
	v_sub_u32_e32 v5, v3, v5
	ds_read_u16 v5, v5 offset:1280
	v_mov_b32_e32 v13, 0
	s_waitcnt lgkmcnt(0)
	v_lshrrev_b32_sdwa v7, s96, v5 dst_sel:DWORD dst_unused:UNUSED_PAD src0_sel:DWORD src1_sel:WORD_0
	v_and_b32_e32 v8, s5, v7
	v_lshlrev_b32_e32 v7, 2, v8
	ds_read_b32 v7, v7
	v_xor_b32_e32 v5, 0xffff8000, v5
	s_waitcnt lgkmcnt(0)
	v_add_u32_e32 v12, v7, v10
	v_lshl_add_u64 v[12:13], v[12:13], 1, s[10:11]
	global_store_short v[12:13], v5, off
.LBB1652_117:
	s_or_b64 exec, exec, s[54:55]
	v_or_b32_e32 v12, 0x400, v2
	v_cmp_gt_u32_e64 s[54:55], s3, v12
	v_mov_b32_e32 v9, 0
	v_mov_b32_e32 v26, 0
	s_and_saveexec_b64 s[56:57], s[54:55]
	s_cbranch_execz .LBB1652_119
; %bb.118:
	v_lshlrev_b32_e32 v5, 1, v2
	v_sub_u32_e32 v5, v3, v5
	ds_read_u16 v5, v5 offset:2304
	v_mov_b32_e32 v29, 0
	s_waitcnt lgkmcnt(0)
	v_lshrrev_b32_sdwa v7, s96, v5 dst_sel:DWORD dst_unused:UNUSED_PAD src0_sel:DWORD src1_sel:WORD_0
	v_and_b32_e32 v26, s5, v7
	v_lshlrev_b32_e32 v7, 2, v26
	ds_read_b32 v7, v7
	v_xor_b32_e32 v5, 0xffff8000, v5
	s_waitcnt lgkmcnt(0)
	v_add_u32_e32 v28, v7, v12
	v_lshl_add_u64 v[28:29], v[28:29], 1, s[10:11]
	global_store_short v[28:29], v5, off
.LBB1652_119:
	s_or_b64 exec, exec, s[56:57]
	v_add_u32_e32 v25, 0x600, v2
	v_cmp_gt_u32_e64 s[56:57], s3, v25
	s_and_saveexec_b64 s[58:59], s[56:57]
	s_cbranch_execz .LBB1652_121
; %bb.120:
	v_lshlrev_b32_e32 v5, 1, v2
	v_sub_u32_e32 v5, v3, v5
	ds_read_u16 v5, v5 offset:3328
	v_mov_b32_e32 v29, 0
	s_waitcnt lgkmcnt(0)
	v_lshrrev_b32_sdwa v7, s96, v5 dst_sel:DWORD dst_unused:UNUSED_PAD src0_sel:DWORD src1_sel:WORD_0
	v_and_b32_e32 v9, s5, v7
	v_lshlrev_b32_e32 v7, 2, v9
	ds_read_b32 v7, v7
	v_xor_b32_e32 v5, 0xffff8000, v5
	s_waitcnt lgkmcnt(0)
	v_add_u32_e32 v28, v7, v25
	v_lshl_add_u64 v[28:29], v[28:29], 1, s[10:11]
	global_store_short v[28:29], v5, off
.LBB1652_121:
	s_or_b64 exec, exec, s[58:59]
	v_or_b32_e32 v27, 0x800, v2
	v_cmp_gt_u32_e64 s[58:59], s3, v27
	v_mov_b32_e32 v13, 0
	v_mov_b32_e32 v30, 0
	s_and_saveexec_b64 s[60:61], s[58:59]
	s_cbranch_execz .LBB1652_123
; %bb.122:
	v_lshlrev_b32_e32 v5, 1, v2
	v_sub_u32_e32 v5, v3, v5
	ds_read_u16 v5, v5 offset:4352
	v_mov_b32_e32 v29, 0
	s_waitcnt lgkmcnt(0)
	v_lshrrev_b32_sdwa v7, s96, v5 dst_sel:DWORD dst_unused:UNUSED_PAD src0_sel:DWORD src1_sel:WORD_0
	v_and_b32_e32 v30, s5, v7
	v_lshlrev_b32_e32 v7, 2, v30
	ds_read_b32 v7, v7
	v_xor_b32_e32 v5, 0xffff8000, v5
	s_waitcnt lgkmcnt(0)
	v_add_u32_e32 v28, v7, v27
	v_lshl_add_u64 v[28:29], v[28:29], 1, s[10:11]
	global_store_short v[28:29], v5, off
.LBB1652_123:
	s_or_b64 exec, exec, s[60:61]
	v_add_u32_e32 v29, 0xa00, v2
	v_cmp_gt_u32_e64 s[60:61], s3, v29
	s_and_saveexec_b64 s[62:63], s[60:61]
	s_cbranch_execz .LBB1652_125
; %bb.124:
	v_lshlrev_b32_e32 v5, 1, v2
	v_sub_u32_e32 v5, v3, v5
	ds_read_u16 v5, v5 offset:5376
	v_mov_b32_e32 v77, 0
	s_waitcnt lgkmcnt(0)
	v_lshrrev_b32_sdwa v7, s96, v5 dst_sel:DWORD dst_unused:UNUSED_PAD src0_sel:DWORD src1_sel:WORD_0
	v_and_b32_e32 v13, s5, v7
	v_lshlrev_b32_e32 v7, 2, v13
	ds_read_b32 v7, v7
	v_xor_b32_e32 v5, 0xffff8000, v5
	s_waitcnt lgkmcnt(0)
	v_add_u32_e32 v76, v7, v29
	v_lshl_add_u64 v[76:77], v[76:77], 1, s[10:11]
	global_store_short v[76:77], v5, off
.LBB1652_125:
	s_or_b64 exec, exec, s[62:63]
	v_or_b32_e32 v31, 0xc00, v2
	v_cmp_gt_u32_e64 s[62:63], s3, v31
	v_mov_b32_e32 v28, 0
	v_mov_b32_e32 v63, 0
	s_and_saveexec_b64 s[64:65], s[62:63]
	s_cbranch_execz .LBB1652_127
; %bb.126:
	v_lshlrev_b32_e32 v5, 1, v2
	v_sub_u32_e32 v5, v3, v5
	ds_read_u16 v5, v5 offset:6400
	v_mov_b32_e32 v77, 0
	s_waitcnt lgkmcnt(0)
	v_lshrrev_b32_sdwa v7, s96, v5 dst_sel:DWORD dst_unused:UNUSED_PAD src0_sel:DWORD src1_sel:WORD_0
	v_and_b32_e32 v63, s5, v7
	v_lshlrev_b32_e32 v7, 2, v63
	ds_read_b32 v7, v7
	v_xor_b32_e32 v5, 0xffff8000, v5
	s_waitcnt lgkmcnt(0)
	v_add_u32_e32 v76, v7, v31
	v_lshl_add_u64 v[76:77], v[76:77], 1, s[10:11]
	global_store_short v[76:77], v5, off
.LBB1652_127:
	s_or_b64 exec, exec, s[64:65]
	v_add_u32_e32 v60, 0xe00, v2
	v_cmp_gt_u32_e64 s[64:65], s3, v60
	s_and_saveexec_b64 s[66:67], s[64:65]
	s_cbranch_execz .LBB1652_129
; %bb.128:
	v_lshlrev_b32_e32 v5, 1, v2
	ds_read_u16 v5, v5 offset:7424
	v_mov_b32_e32 v77, 0
	s_waitcnt lgkmcnt(0)
	v_lshrrev_b32_sdwa v7, s96, v5 dst_sel:DWORD dst_unused:UNUSED_PAD src0_sel:DWORD src1_sel:WORD_0
	v_and_b32_e32 v28, s5, v7
	v_lshlrev_b32_e32 v7, 2, v28
	ds_read_b32 v7, v7
	v_xor_b32_e32 v5, 0xffff8000, v5
	s_waitcnt lgkmcnt(0)
	v_add_u32_e32 v76, v7, v60
	v_lshl_add_u64 v[76:77], v[76:77], 1, s[10:11]
	global_store_short v[76:77], v5, off
.LBB1652_129:
	s_or_b64 exec, exec, s[66:67]
	v_or_b32_e32 v64, 0x1000, v2
	v_cmp_gt_u32_e64 s[66:67], s3, v64
	v_mov_b32_e32 v32, 0
	v_mov_b32_e32 v71, 0
	s_and_saveexec_b64 s[68:69], s[66:67]
	s_cbranch_execz .LBB1652_131
; %bb.130:
	v_lshlrev_b32_e32 v5, 1, v2
	ds_read_u16 v5, v5 offset:8448
	v_mov_b32_e32 v77, 0
	s_waitcnt lgkmcnt(0)
	v_lshrrev_b32_sdwa v7, s96, v5 dst_sel:DWORD dst_unused:UNUSED_PAD src0_sel:DWORD src1_sel:WORD_0
	v_and_b32_e32 v71, s5, v7
	v_lshlrev_b32_e32 v7, 2, v71
	ds_read_b32 v7, v7
	v_xor_b32_e32 v5, 0xffff8000, v5
	s_waitcnt lgkmcnt(0)
	v_add_u32_e32 v76, v7, v64
	v_lshl_add_u64 v[76:77], v[76:77], 1, s[10:11]
	global_store_short v[76:77], v5, off
.LBB1652_131:
	s_or_b64 exec, exec, s[68:69]
	v_add_u32_e32 v69, 0x1200, v2
	v_cmp_gt_u32_e64 s[68:69], s3, v69
	s_and_saveexec_b64 s[70:71], s[68:69]
	s_cbranch_execz .LBB1652_133
; %bb.132:
	v_lshlrev_b32_e32 v5, 1, v2
	ds_read_u16 v5, v5 offset:9472
	v_mov_b32_e32 v77, 0
	s_waitcnt lgkmcnt(0)
	v_lshrrev_b32_sdwa v7, s96, v5 dst_sel:DWORD dst_unused:UNUSED_PAD src0_sel:DWORD src1_sel:WORD_0
	v_and_b32_e32 v32, s5, v7
	v_lshlrev_b32_e32 v7, 2, v32
	ds_read_b32 v7, v7
	v_xor_b32_e32 v5, 0xffff8000, v5
	s_waitcnt lgkmcnt(0)
	v_add_u32_e32 v76, v7, v69
	v_lshl_add_u64 v[76:77], v[76:77], 1, s[10:11]
	global_store_short v[76:77], v5, off
.LBB1652_133:
	s_or_b64 exec, exec, s[70:71]
	v_or_b32_e32 v73, 0x1400, v2
	v_cmp_gt_u32_e64 s[70:71], s3, v73
	v_mov_b32_e32 v67, 0
	v_mov_b32_e32 v77, 0
	s_and_saveexec_b64 s[72:73], s[70:71]
	s_cbranch_execz .LBB1652_135
; %bb.134:
	v_lshlrev_b32_e32 v5, 1, v2
	ds_read_u16 v5, v5 offset:10496
	v_mov_b32_e32 v79, 0
	s_waitcnt lgkmcnt(0)
	v_lshrrev_b32_sdwa v7, s96, v5 dst_sel:DWORD dst_unused:UNUSED_PAD src0_sel:DWORD src1_sel:WORD_0
	v_and_b32_e32 v77, s5, v7
	v_lshlrev_b32_e32 v7, 2, v77
	ds_read_b32 v7, v7
	v_xor_b32_e32 v5, 0xffff8000, v5
	s_waitcnt lgkmcnt(0)
	v_add_u32_e32 v78, v7, v73
	v_lshl_add_u64 v[78:79], v[78:79], 1, s[10:11]
	global_store_short v[78:79], v5, off
.LBB1652_135:
	;; [unrolled: 42-line block ×7, first 2 shown]
	s_or_b64 exec, exec, s[92:93]
	v_add_u32_e32 v95, 0x2a00, v2
	v_cmp_gt_u32_e64 s[92:93], s3, v95
	s_and_saveexec_b64 s[16:17], s[92:93]
	s_cbranch_execz .LBB1652_157
; %bb.156:
	v_lshlrev_b32_e32 v5, 1, v2
	ds_read_u16 v5, v5 offset:21760
	v_mov_b32_e32 v99, 0
	s_waitcnt lgkmcnt(0)
	v_lshrrev_b32_sdwa v7, s96, v5 dst_sel:DWORD dst_unused:UNUSED_PAD src0_sel:DWORD src1_sel:WORD_0
	v_and_b32_e32 v91, s5, v7
	v_lshlrev_b32_e32 v7, 2, v91
	ds_read_b32 v7, v7
	v_xor_b32_e32 v5, 0xffff8000, v5
	s_waitcnt lgkmcnt(0)
	v_add_u32_e32 v98, v7, v95
	v_lshl_add_u64 v[98:99], v[98:99], 1, s[10:11]
	global_store_short v[98:99], v5, off
.LBB1652_157:
	s_or_b64 exec, exec, s[16:17]
	s_add_u32 s16, s12, s98
	s_addc_u32 s17, s13, s99
	v_mov_b32_e32 v5, 0
	v_lshl_add_u64 v[98:99], s[16:17], 0, v[4:5]
	v_mov_b32_e32 v7, v5
	v_lshl_add_u64 v[4:5], v[98:99], 0, v[6:7]
                                        ; implicit-def: $vgpr6
	s_mov_b64 s[16:17], exec
	v_readlane_b32 s18, v117, 4
	v_readlane_b32 s19, v117, 5
	s_and_b64 s[18:19], s[16:17], s[18:19]
	s_xor_b64 s[16:17], s[18:19], s[16:17]
	s_mov_b64 exec, s[18:19]
	s_cbranch_execz .LBB1652_159
; %bb.158:
	global_load_ushort v6, v[4:5], off
.LBB1652_159:
	s_or_b64 exec, exec, s[16:17]
	v_readlane_b32 s18, v117, 6
	v_readlane_b32 s19, v117, 7
                                        ; implicit-def: $vgpr7
	s_and_saveexec_b64 s[16:17], s[18:19]
	s_cbranch_execz .LBB1652_161
; %bb.160:
	global_load_ushort v7, v[4:5], off offset:128
.LBB1652_161:
	s_or_b64 exec, exec, s[16:17]
	v_readlane_b32 s18, v117, 8
	v_readlane_b32 s19, v117, 9
                                        ; implicit-def: $vgpr97
	s_and_saveexec_b64 s[16:17], s[18:19]
	s_cbranch_execz .LBB1652_163
; %bb.162:
	global_load_ushort v97, v[4:5], off offset:256
.LBB1652_163:
	s_or_b64 exec, exec, s[16:17]
	v_readlane_b32 s18, v117, 10
	v_readlane_b32 s19, v117, 11
                                        ; implicit-def: $vgpr98
	s_and_saveexec_b64 s[16:17], s[18:19]
	s_cbranch_execz .LBB1652_165
; %bb.164:
	global_load_ushort v98, v[4:5], off offset:384
.LBB1652_165:
	s_or_b64 exec, exec, s[16:17]
	v_readlane_b32 s18, v117, 12
	v_readlane_b32 s19, v117, 13
                                        ; implicit-def: $vgpr99
	s_and_saveexec_b64 s[16:17], s[18:19]
	s_cbranch_execz .LBB1652_167
; %bb.166:
	global_load_ushort v99, v[4:5], off offset:512
.LBB1652_167:
	s_or_b64 exec, exec, s[16:17]
	v_readlane_b32 s18, v117, 14
	v_readlane_b32 s19, v117, 15
                                        ; implicit-def: $vgpr100
	s_and_saveexec_b64 s[16:17], s[18:19]
	s_cbranch_execz .LBB1652_169
; %bb.168:
	global_load_ushort v100, v[4:5], off offset:640
.LBB1652_169:
	s_or_b64 exec, exec, s[16:17]
	v_readlane_b32 s18, v117, 16
	v_readlane_b32 s19, v117, 17
                                        ; implicit-def: $vgpr101
	s_and_saveexec_b64 s[16:17], s[18:19]
	s_cbranch_execz .LBB1652_171
; %bb.170:
	global_load_ushort v101, v[4:5], off offset:768
.LBB1652_171:
	s_or_b64 exec, exec, s[16:17]
	v_readlane_b32 s18, v117, 18
	v_readlane_b32 s19, v117, 19
                                        ; implicit-def: $vgpr102
	s_and_saveexec_b64 s[16:17], s[18:19]
	s_cbranch_execz .LBB1652_209
; %bb.172:
	global_load_ushort v102, v[4:5], off offset:896
	s_or_b64 exec, exec, s[16:17]
                                        ; implicit-def: $vgpr103
	s_and_saveexec_b64 s[16:17], vcc
	s_cbranch_execnz .LBB1652_210
.LBB1652_173:
	s_or_b64 exec, exec, s[16:17]
                                        ; implicit-def: $vgpr104
	s_and_saveexec_b64 s[16:17], s[20:21]
	s_cbranch_execz .LBB1652_211
.LBB1652_174:
	global_load_ushort v104, v[4:5], off offset:1152
	s_or_b64 exec, exec, s[16:17]
                                        ; implicit-def: $vgpr105
	s_and_saveexec_b64 s[16:17], s[22:23]
	s_cbranch_execnz .LBB1652_212
.LBB1652_175:
	s_or_b64 exec, exec, s[16:17]
                                        ; implicit-def: $vgpr106
	s_and_saveexec_b64 s[16:17], s[24:25]
	s_cbranch_execz .LBB1652_213
.LBB1652_176:
	global_load_ushort v106, v[4:5], off offset:1408
	s_or_b64 exec, exec, s[16:17]
                                        ; implicit-def: $vgpr107
	s_and_saveexec_b64 s[16:17], s[26:27]
	s_cbranch_execnz .LBB1652_214
.LBB1652_177:
	s_or_b64 exec, exec, s[16:17]
                                        ; implicit-def: $vgpr108
	s_and_saveexec_b64 s[16:17], s[28:29]
	s_cbranch_execz .LBB1652_215
.LBB1652_178:
	global_load_ushort v108, v[4:5], off offset:1664
	s_or_b64 exec, exec, s[16:17]
                                        ; implicit-def: $vgpr109
	s_and_saveexec_b64 s[16:17], s[30:31]
	s_cbranch_execnz .LBB1652_216
.LBB1652_179:
	s_or_b64 exec, exec, s[16:17]
                                        ; implicit-def: $vgpr110
	s_and_saveexec_b64 s[16:17], s[34:35]
	s_cbranch_execz .LBB1652_217
.LBB1652_180:
	global_load_ushort v110, v[4:5], off offset:1920
	s_or_b64 exec, exec, s[16:17]
                                        ; implicit-def: $vgpr111
	s_and_saveexec_b64 s[16:17], s[36:37]
	s_cbranch_execnz .LBB1652_218
.LBB1652_181:
	s_or_b64 exec, exec, s[16:17]
                                        ; implicit-def: $vgpr112
	s_and_saveexec_b64 s[16:17], s[38:39]
	s_cbranch_execz .LBB1652_219
.LBB1652_182:
	global_load_ushort v112, v[4:5], off offset:2176
	s_or_b64 exec, exec, s[16:17]
                                        ; implicit-def: $vgpr113
	s_and_saveexec_b64 s[16:17], s[40:41]
	s_cbranch_execnz .LBB1652_220
.LBB1652_183:
	s_or_b64 exec, exec, s[16:17]
                                        ; implicit-def: $vgpr114
	s_and_saveexec_b64 s[16:17], s[42:43]
	s_cbranch_execz .LBB1652_221
.LBB1652_184:
	global_load_ushort v114, v[4:5], off offset:2432
	s_or_b64 exec, exec, s[16:17]
                                        ; implicit-def: $vgpr115
	s_and_saveexec_b64 s[16:17], s[44:45]
	s_cbranch_execnz .LBB1652_222
.LBB1652_185:
	s_or_b64 exec, exec, s[16:17]
                                        ; implicit-def: $vgpr116
	s_and_saveexec_b64 s[16:17], s[46:47]
	s_cbranch_execz .LBB1652_187
.LBB1652_186:
	global_load_ushort v116, v[4:5], off offset:2688
.LBB1652_187:
	s_or_b64 exec, exec, s[16:17]
	s_movk_i32 s3, 0x2c00
	v_cmp_gt_u32_e32 vcc, s3, v70
	s_barrier
	s_and_saveexec_b64 s[16:17], vcc
	s_cbranch_execz .LBB1652_223
; %bb.188:
	s_waitcnt vmcnt(0)
	ds_write_b16 v74, v6 offset:256
	s_or_b64 exec, exec, s[16:17]
	v_cmp_gt_u32_e32 vcc, s3, v68
	s_and_saveexec_b64 s[16:17], vcc
	s_cbranch_execnz .LBB1652_224
.LBB1652_189:
	s_or_b64 exec, exec, s[16:17]
	v_cmp_gt_u32_e32 vcc, s3, v65
	s_and_saveexec_b64 s[16:17], vcc
	s_cbranch_execz .LBB1652_225
.LBB1652_190:
	s_waitcnt vmcnt(0)
	ds_write_b16 v66, v97 offset:256
	s_or_b64 exec, exec, s[16:17]
	v_cmp_gt_u32_e32 vcc, s3, v62
	s_and_saveexec_b64 s[16:17], vcc
	s_cbranch_execnz .LBB1652_226
.LBB1652_191:
	s_or_b64 exec, exec, s[16:17]
	v_cmp_gt_u32_e32 vcc, s3, v59
	s_and_saveexec_b64 s[16:17], vcc
	s_cbranch_execz .LBB1652_227
.LBB1652_192:
	s_waitcnt vmcnt(0)
	ds_write_b16 v58, v99 offset:256
	s_or_b64 exec, exec, s[16:17]
	v_cmp_gt_u32_e32 vcc, s3, v56
	s_and_saveexec_b64 s[16:17], vcc
	s_cbranch_execnz .LBB1652_228
.LBB1652_193:
	s_or_b64 exec, exec, s[16:17]
	v_cmp_gt_u32_e32 vcc, s3, v52
	s_and_saveexec_b64 s[16:17], vcc
	s_cbranch_execz .LBB1652_229
.LBB1652_194:
	s_waitcnt vmcnt(0)
	ds_write_b16 v55, v101 offset:256
	s_or_b64 exec, exec, s[16:17]
	v_cmp_gt_u32_e32 vcc, s3, v50
	s_and_saveexec_b64 s[16:17], vcc
	s_cbranch_execnz .LBB1652_230
.LBB1652_195:
	s_or_b64 exec, exec, s[16:17]
	v_cmp_gt_u32_e32 vcc, s3, v47
	s_and_saveexec_b64 s[16:17], vcc
	s_cbranch_execz .LBB1652_231
.LBB1652_196:
	s_waitcnt vmcnt(0)
	ds_write_b16 v53, v103 offset:256
	s_or_b64 exec, exec, s[16:17]
	v_cmp_gt_u32_e32 vcc, s3, v45
	s_and_saveexec_b64 s[16:17], vcc
	s_cbranch_execnz .LBB1652_232
.LBB1652_197:
	s_or_b64 exec, exec, s[16:17]
	v_cmp_gt_u32_e32 vcc, s3, v44
	s_and_saveexec_b64 s[16:17], vcc
	s_cbranch_execz .LBB1652_233
.LBB1652_198:
	s_waitcnt vmcnt(0)
	ds_write_b16 v49, v105 offset:256
	s_or_b64 exec, exec, s[16:17]
	v_cmp_gt_u32_e32 vcc, s3, v43
	s_and_saveexec_b64 s[16:17], vcc
	s_cbranch_execnz .LBB1652_234
.LBB1652_199:
	s_or_b64 exec, exec, s[16:17]
	v_cmp_gt_u32_e32 vcc, s3, v42
	s_and_saveexec_b64 s[16:17], vcc
	s_cbranch_execz .LBB1652_235
.LBB1652_200:
	s_waitcnt vmcnt(0)
	ds_write_b16 v46, v107 offset:256
	s_or_b64 exec, exec, s[16:17]
	v_cmp_gt_u32_e32 vcc, s3, v41
	s_and_saveexec_b64 s[16:17], vcc
	s_cbranch_execnz .LBB1652_236
.LBB1652_201:
	s_or_b64 exec, exec, s[16:17]
	v_cmp_gt_u32_e32 vcc, s3, v40
	s_and_saveexec_b64 s[16:17], vcc
	s_cbranch_execz .LBB1652_237
.LBB1652_202:
	s_waitcnt vmcnt(0)
	ds_write_b16 v23, v109 offset:256
	s_or_b64 exec, exec, s[16:17]
	v_cmp_gt_u32_e32 vcc, s3, v39
	s_and_saveexec_b64 s[16:17], vcc
	s_cbranch_execnz .LBB1652_238
.LBB1652_203:
	s_or_b64 exec, exec, s[16:17]
	v_cmp_gt_u32_e32 vcc, s3, v38
	s_and_saveexec_b64 s[16:17], vcc
	s_cbranch_execz .LBB1652_239
.LBB1652_204:
	s_waitcnt vmcnt(0)
	ds_write_b16 v21, v111 offset:256
	s_or_b64 exec, exec, s[16:17]
	v_cmp_gt_u32_e32 vcc, s3, v37
	s_and_saveexec_b64 s[16:17], vcc
	s_cbranch_execnz .LBB1652_240
.LBB1652_205:
	s_or_b64 exec, exec, s[16:17]
	v_cmp_gt_u32_e32 vcc, s3, v36
	s_and_saveexec_b64 s[16:17], vcc
	s_cbranch_execz .LBB1652_241
.LBB1652_206:
	s_waitcnt vmcnt(0)
	ds_write_b16 v18, v113 offset:256
	s_or_b64 exec, exec, s[16:17]
	v_cmp_gt_u32_e32 vcc, s3, v35
	s_and_saveexec_b64 s[16:17], vcc
	s_cbranch_execnz .LBB1652_242
.LBB1652_207:
	s_or_b64 exec, exec, s[16:17]
	v_cmp_gt_u32_e32 vcc, s3, v34
	s_and_saveexec_b64 s[16:17], vcc
	s_cbranch_execz .LBB1652_243
.LBB1652_208:
	s_waitcnt vmcnt(0)
	ds_write_b16 v16, v115 offset:256
	s_or_b64 exec, exec, s[16:17]
	v_cmp_gt_u32_e32 vcc, s3, v33
	s_and_saveexec_b64 s[16:17], vcc
	s_cbranch_execnz .LBB1652_244
	s_branch .LBB1652_245
.LBB1652_209:
	s_or_b64 exec, exec, s[16:17]
                                        ; implicit-def: $vgpr103
	s_and_saveexec_b64 s[16:17], vcc
	s_cbranch_execz .LBB1652_173
.LBB1652_210:
	global_load_ushort v103, v[4:5], off offset:1024
	s_or_b64 exec, exec, s[16:17]
                                        ; implicit-def: $vgpr104
	s_and_saveexec_b64 s[16:17], s[20:21]
	s_cbranch_execnz .LBB1652_174
.LBB1652_211:
	s_or_b64 exec, exec, s[16:17]
                                        ; implicit-def: $vgpr105
	s_and_saveexec_b64 s[16:17], s[22:23]
	s_cbranch_execz .LBB1652_175
.LBB1652_212:
	global_load_ushort v105, v[4:5], off offset:1280
	s_or_b64 exec, exec, s[16:17]
                                        ; implicit-def: $vgpr106
	s_and_saveexec_b64 s[16:17], s[24:25]
	s_cbranch_execnz .LBB1652_176
.LBB1652_213:
	s_or_b64 exec, exec, s[16:17]
                                        ; implicit-def: $vgpr107
	s_and_saveexec_b64 s[16:17], s[26:27]
	s_cbranch_execz .LBB1652_177
.LBB1652_214:
	global_load_ushort v107, v[4:5], off offset:1536
	s_or_b64 exec, exec, s[16:17]
                                        ; implicit-def: $vgpr108
	s_and_saveexec_b64 s[16:17], s[28:29]
	s_cbranch_execnz .LBB1652_178
.LBB1652_215:
	s_or_b64 exec, exec, s[16:17]
                                        ; implicit-def: $vgpr109
	s_and_saveexec_b64 s[16:17], s[30:31]
	s_cbranch_execz .LBB1652_179
.LBB1652_216:
	global_load_ushort v109, v[4:5], off offset:1792
	s_or_b64 exec, exec, s[16:17]
                                        ; implicit-def: $vgpr110
	s_and_saveexec_b64 s[16:17], s[34:35]
	s_cbranch_execnz .LBB1652_180
.LBB1652_217:
	s_or_b64 exec, exec, s[16:17]
                                        ; implicit-def: $vgpr111
	s_and_saveexec_b64 s[16:17], s[36:37]
	s_cbranch_execz .LBB1652_181
.LBB1652_218:
	global_load_ushort v111, v[4:5], off offset:2048
	s_or_b64 exec, exec, s[16:17]
                                        ; implicit-def: $vgpr112
	s_and_saveexec_b64 s[16:17], s[38:39]
	s_cbranch_execnz .LBB1652_182
.LBB1652_219:
	s_or_b64 exec, exec, s[16:17]
                                        ; implicit-def: $vgpr113
	s_and_saveexec_b64 s[16:17], s[40:41]
	s_cbranch_execz .LBB1652_183
.LBB1652_220:
	global_load_ushort v113, v[4:5], off offset:2304
	s_or_b64 exec, exec, s[16:17]
                                        ; implicit-def: $vgpr114
	s_and_saveexec_b64 s[16:17], s[42:43]
	s_cbranch_execnz .LBB1652_184
.LBB1652_221:
	s_or_b64 exec, exec, s[16:17]
                                        ; implicit-def: $vgpr115
	s_and_saveexec_b64 s[16:17], s[44:45]
	s_cbranch_execz .LBB1652_185
.LBB1652_222:
	global_load_ushort v115, v[4:5], off offset:2560
	s_or_b64 exec, exec, s[16:17]
                                        ; implicit-def: $vgpr116
	s_and_saveexec_b64 s[16:17], s[46:47]
	s_cbranch_execnz .LBB1652_186
	s_branch .LBB1652_187
.LBB1652_223:
	s_or_b64 exec, exec, s[16:17]
	v_cmp_gt_u32_e32 vcc, s3, v68
	s_and_saveexec_b64 s[16:17], vcc
	s_cbranch_execz .LBB1652_189
.LBB1652_224:
	s_waitcnt vmcnt(0)
	ds_write_b16 v72, v7 offset:256
	s_or_b64 exec, exec, s[16:17]
	v_cmp_gt_u32_e32 vcc, s3, v65
	s_and_saveexec_b64 s[16:17], vcc
	s_cbranch_execnz .LBB1652_190
.LBB1652_225:
	s_or_b64 exec, exec, s[16:17]
	v_cmp_gt_u32_e32 vcc, s3, v62
	s_and_saveexec_b64 s[16:17], vcc
	s_cbranch_execz .LBB1652_191
.LBB1652_226:
	s_waitcnt vmcnt(0)
	ds_write_b16 v61, v98 offset:256
	s_or_b64 exec, exec, s[16:17]
	v_cmp_gt_u32_e32 vcc, s3, v59
	s_and_saveexec_b64 s[16:17], vcc
	s_cbranch_execnz .LBB1652_192
.LBB1652_227:
	s_or_b64 exec, exec, s[16:17]
	v_cmp_gt_u32_e32 vcc, s3, v56
	s_and_saveexec_b64 s[16:17], vcc
	s_cbranch_execz .LBB1652_193
.LBB1652_228:
	s_waitcnt vmcnt(0)
	ds_write_b16 v57, v100 offset:256
	s_or_b64 exec, exec, s[16:17]
	v_cmp_gt_u32_e32 vcc, s3, v52
	s_and_saveexec_b64 s[16:17], vcc
	s_cbranch_execnz .LBB1652_194
.LBB1652_229:
	s_or_b64 exec, exec, s[16:17]
	v_cmp_gt_u32_e32 vcc, s3, v50
	s_and_saveexec_b64 s[16:17], vcc
	s_cbranch_execz .LBB1652_195
.LBB1652_230:
	s_waitcnt vmcnt(0)
	ds_write_b16 v54, v102 offset:256
	s_or_b64 exec, exec, s[16:17]
	v_cmp_gt_u32_e32 vcc, s3, v47
	s_and_saveexec_b64 s[16:17], vcc
	s_cbranch_execnz .LBB1652_196
.LBB1652_231:
	s_or_b64 exec, exec, s[16:17]
	v_cmp_gt_u32_e32 vcc, s3, v45
	s_and_saveexec_b64 s[16:17], vcc
	s_cbranch_execz .LBB1652_197
.LBB1652_232:
	s_waitcnt vmcnt(0)
	ds_write_b16 v51, v104 offset:256
	s_or_b64 exec, exec, s[16:17]
	v_cmp_gt_u32_e32 vcc, s3, v44
	s_and_saveexec_b64 s[16:17], vcc
	s_cbranch_execnz .LBB1652_198
.LBB1652_233:
	s_or_b64 exec, exec, s[16:17]
	v_cmp_gt_u32_e32 vcc, s3, v43
	s_and_saveexec_b64 s[16:17], vcc
	s_cbranch_execz .LBB1652_199
.LBB1652_234:
	s_waitcnt vmcnt(0)
	ds_write_b16 v48, v106 offset:256
	s_or_b64 exec, exec, s[16:17]
	v_cmp_gt_u32_e32 vcc, s3, v42
	s_and_saveexec_b64 s[16:17], vcc
	s_cbranch_execnz .LBB1652_200
.LBB1652_235:
	s_or_b64 exec, exec, s[16:17]
	v_cmp_gt_u32_e32 vcc, s3, v41
	s_and_saveexec_b64 s[16:17], vcc
	s_cbranch_execz .LBB1652_201
.LBB1652_236:
	s_waitcnt vmcnt(0)
	ds_write_b16 v24, v108 offset:256
	s_or_b64 exec, exec, s[16:17]
	v_cmp_gt_u32_e32 vcc, s3, v40
	s_and_saveexec_b64 s[16:17], vcc
	s_cbranch_execnz .LBB1652_202
.LBB1652_237:
	s_or_b64 exec, exec, s[16:17]
	v_cmp_gt_u32_e32 vcc, s3, v39
	s_and_saveexec_b64 s[16:17], vcc
	s_cbranch_execz .LBB1652_203
.LBB1652_238:
	s_waitcnt vmcnt(0)
	ds_write_b16 v22, v110 offset:256
	s_or_b64 exec, exec, s[16:17]
	v_cmp_gt_u32_e32 vcc, s3, v38
	s_and_saveexec_b64 s[16:17], vcc
	s_cbranch_execnz .LBB1652_204
.LBB1652_239:
	s_or_b64 exec, exec, s[16:17]
	v_cmp_gt_u32_e32 vcc, s3, v37
	s_and_saveexec_b64 s[16:17], vcc
	s_cbranch_execz .LBB1652_205
.LBB1652_240:
	s_waitcnt vmcnt(0)
	ds_write_b16 v19, v112 offset:256
	s_or_b64 exec, exec, s[16:17]
	v_cmp_gt_u32_e32 vcc, s3, v36
	s_and_saveexec_b64 s[16:17], vcc
	s_cbranch_execnz .LBB1652_206
.LBB1652_241:
	s_or_b64 exec, exec, s[16:17]
	v_cmp_gt_u32_e32 vcc, s3, v35
	s_and_saveexec_b64 s[16:17], vcc
	s_cbranch_execz .LBB1652_207
.LBB1652_242:
	s_waitcnt vmcnt(0)
	ds_write_b16 v17, v114 offset:256
	s_or_b64 exec, exec, s[16:17]
	v_cmp_gt_u32_e32 vcc, s3, v34
	s_and_saveexec_b64 s[16:17], vcc
	s_cbranch_execnz .LBB1652_208
.LBB1652_243:
	s_or_b64 exec, exec, s[16:17]
	v_cmp_gt_u32_e32 vcc, s3, v33
	s_and_saveexec_b64 s[16:17], vcc
	s_cbranch_execz .LBB1652_245
.LBB1652_244:
	s_waitcnt vmcnt(0)
	ds_write_b16 v14, v116 offset:256
.LBB1652_245:
	s_or_b64 exec, exec, s[16:17]
	s_waitcnt lgkmcnt(0)
	s_barrier
	s_and_saveexec_b64 s[16:17], s[50:51]
	s_cbranch_execz .LBB1652_267
; %bb.246:
	v_lshlrev_b32_e32 v4, 2, v11
	ds_read_b32 v4, v4
	v_lshlrev_b32_e32 v5, 1, v2
	s_waitcnt vmcnt(0)
	ds_read_u16 v6, v5 offset:256
	v_mov_b32_e32 v5, 0
	s_waitcnt lgkmcnt(1)
	v_add_u32_e32 v4, v4, v2
	v_lshl_add_u64 v[4:5], v[4:5], 1, s[14:15]
	s_waitcnt lgkmcnt(0)
	global_store_short v[4:5], v6, off
	s_or_b64 exec, exec, s[16:17]
	s_and_saveexec_b64 s[16:17], s[52:53]
	s_cbranch_execnz .LBB1652_268
.LBB1652_247:
	s_or_b64 exec, exec, s[16:17]
	s_and_saveexec_b64 s[16:17], s[54:55]
	s_cbranch_execz .LBB1652_269
.LBB1652_248:
	v_lshlrev_b32_e32 v4, 2, v26
	ds_read_b32 v4, v4
	v_lshlrev_b32_e32 v5, 1, v2
	s_waitcnt vmcnt(0)
	ds_read_u16 v6, v5 offset:2304
	v_mov_b32_e32 v5, 0
	s_waitcnt lgkmcnt(1)
	v_add_u32_e32 v4, v4, v12
	v_lshl_add_u64 v[4:5], v[4:5], 1, s[14:15]
	s_waitcnt lgkmcnt(0)
	global_store_short v[4:5], v6, off
	s_or_b64 exec, exec, s[16:17]
	s_and_saveexec_b64 s[16:17], s[56:57]
	s_cbranch_execnz .LBB1652_270
.LBB1652_249:
	s_or_b64 exec, exec, s[16:17]
	s_and_saveexec_b64 s[16:17], s[58:59]
	s_cbranch_execz .LBB1652_271
.LBB1652_250:
	v_lshlrev_b32_e32 v4, 2, v30
	ds_read_b32 v4, v4
	v_lshlrev_b32_e32 v5, 1, v2
	s_waitcnt vmcnt(0)
	ds_read_u16 v6, v5 offset:4352
	v_mov_b32_e32 v5, 0
	s_waitcnt lgkmcnt(1)
	v_add_u32_e32 v4, v4, v27
	v_lshl_add_u64 v[4:5], v[4:5], 1, s[14:15]
	s_waitcnt lgkmcnt(0)
	global_store_short v[4:5], v6, off
	s_or_b64 exec, exec, s[16:17]
	s_and_saveexec_b64 s[16:17], s[60:61]
	s_cbranch_execnz .LBB1652_272
.LBB1652_251:
	s_or_b64 exec, exec, s[16:17]
	s_and_saveexec_b64 s[16:17], s[62:63]
	s_cbranch_execz .LBB1652_273
.LBB1652_252:
	v_lshlrev_b32_e32 v4, 2, v63
	ds_read_b32 v4, v4
	v_lshlrev_b32_e32 v5, 1, v2
	s_waitcnt vmcnt(0)
	ds_read_u16 v6, v5 offset:6400
	v_mov_b32_e32 v5, 0
	s_waitcnt lgkmcnt(1)
	v_add_u32_e32 v4, v4, v31
	v_lshl_add_u64 v[4:5], v[4:5], 1, s[14:15]
	s_waitcnt lgkmcnt(0)
	global_store_short v[4:5], v6, off
	s_or_b64 exec, exec, s[16:17]
	s_and_saveexec_b64 s[16:17], s[64:65]
	s_cbranch_execnz .LBB1652_274
.LBB1652_253:
	s_or_b64 exec, exec, s[16:17]
	s_and_saveexec_b64 s[16:17], s[66:67]
	s_cbranch_execz .LBB1652_275
.LBB1652_254:
	v_lshlrev_b32_e32 v4, 2, v71
	ds_read_b32 v4, v4
	v_lshlrev_b32_e32 v5, 1, v2
	s_waitcnt vmcnt(0)
	ds_read_u16 v6, v5 offset:8448
	v_mov_b32_e32 v5, 0
	s_waitcnt lgkmcnt(1)
	v_add_u32_e32 v4, v4, v64
	v_lshl_add_u64 v[4:5], v[4:5], 1, s[14:15]
	s_waitcnt lgkmcnt(0)
	global_store_short v[4:5], v6, off
	s_or_b64 exec, exec, s[16:17]
	s_and_saveexec_b64 s[16:17], s[68:69]
	s_cbranch_execnz .LBB1652_276
.LBB1652_255:
	s_or_b64 exec, exec, s[16:17]
	s_and_saveexec_b64 s[16:17], s[70:71]
	s_cbranch_execz .LBB1652_277
.LBB1652_256:
	v_lshlrev_b32_e32 v4, 2, v77
	ds_read_b32 v4, v4
	v_lshlrev_b32_e32 v5, 1, v2
	s_waitcnt vmcnt(0)
	ds_read_u16 v6, v5 offset:10496
	v_mov_b32_e32 v5, 0
	s_waitcnt lgkmcnt(1)
	v_add_u32_e32 v4, v4, v73
	v_lshl_add_u64 v[4:5], v[4:5], 1, s[14:15]
	s_waitcnt lgkmcnt(0)
	global_store_short v[4:5], v6, off
	s_or_b64 exec, exec, s[16:17]
	s_and_saveexec_b64 s[16:17], s[72:73]
	s_cbranch_execnz .LBB1652_278
.LBB1652_257:
	s_or_b64 exec, exec, s[16:17]
	s_and_saveexec_b64 s[16:17], s[74:75]
	s_cbranch_execz .LBB1652_279
.LBB1652_258:
	v_lshlrev_b32_e32 v4, 2, v81
	ds_read_b32 v4, v4
	v_lshlrev_b32_e32 v5, 1, v2
	s_waitcnt vmcnt(0)
	ds_read_u16 v6, v5 offset:12544
	v_mov_b32_e32 v5, 0
	s_waitcnt lgkmcnt(1)
	v_add_u32_e32 v4, v4, v78
	v_lshl_add_u64 v[4:5], v[4:5], 1, s[14:15]
	s_waitcnt lgkmcnt(0)
	global_store_short v[4:5], v6, off
	s_or_b64 exec, exec, s[16:17]
	s_and_saveexec_b64 s[16:17], s[76:77]
	s_cbranch_execnz .LBB1652_280
.LBB1652_259:
	s_or_b64 exec, exec, s[16:17]
	s_and_saveexec_b64 s[16:17], s[78:79]
	s_cbranch_execz .LBB1652_281
.LBB1652_260:
	v_lshlrev_b32_e32 v4, 2, v85
	ds_read_b32 v4, v4
	v_lshlrev_b32_e32 v5, 1, v2
	s_waitcnt vmcnt(0)
	ds_read_u16 v6, v5 offset:14592
	v_mov_b32_e32 v5, 0
	s_waitcnt lgkmcnt(1)
	v_add_u32_e32 v4, v4, v82
	v_lshl_add_u64 v[4:5], v[4:5], 1, s[14:15]
	s_waitcnt lgkmcnt(0)
	global_store_short v[4:5], v6, off
	s_or_b64 exec, exec, s[16:17]
	s_and_saveexec_b64 s[16:17], s[80:81]
	s_cbranch_execnz .LBB1652_282
.LBB1652_261:
	s_or_b64 exec, exec, s[16:17]
	s_and_saveexec_b64 s[16:17], s[82:83]
	s_cbranch_execz .LBB1652_283
.LBB1652_262:
	v_lshlrev_b32_e32 v4, 2, v89
	ds_read_b32 v4, v4
	v_lshlrev_b32_e32 v5, 1, v2
	s_waitcnt vmcnt(0)
	ds_read_u16 v6, v5 offset:16640
	v_mov_b32_e32 v5, 0
	s_waitcnt lgkmcnt(1)
	v_add_u32_e32 v4, v4, v86
	v_lshl_add_u64 v[4:5], v[4:5], 1, s[14:15]
	s_waitcnt lgkmcnt(0)
	global_store_short v[4:5], v6, off
	s_or_b64 exec, exec, s[16:17]
	s_and_saveexec_b64 s[16:17], s[84:85]
	s_cbranch_execnz .LBB1652_284
.LBB1652_263:
	s_or_b64 exec, exec, s[16:17]
	s_and_saveexec_b64 s[16:17], s[86:87]
	s_cbranch_execz .LBB1652_285
.LBB1652_264:
	v_lshlrev_b32_e32 v4, 2, v93
	ds_read_b32 v4, v4
	v_lshlrev_b32_e32 v5, 1, v2
	s_waitcnt vmcnt(0)
	ds_read_u16 v6, v5 offset:18688
	v_mov_b32_e32 v5, 0
	s_waitcnt lgkmcnt(1)
	v_add_u32_e32 v4, v4, v90
	v_lshl_add_u64 v[4:5], v[4:5], 1, s[14:15]
	s_waitcnt lgkmcnt(0)
	global_store_short v[4:5], v6, off
	s_or_b64 exec, exec, s[16:17]
	s_and_saveexec_b64 s[16:17], s[88:89]
	s_cbranch_execnz .LBB1652_286
.LBB1652_265:
	s_or_b64 exec, exec, s[16:17]
	s_and_saveexec_b64 s[16:17], s[90:91]
	s_cbranch_execz .LBB1652_287
.LBB1652_266:
	v_lshlrev_b32_e32 v4, 2, v96
	ds_read_b32 v4, v4
	v_lshlrev_b32_e32 v5, 1, v2
	s_waitcnt vmcnt(0)
	ds_read_u16 v6, v5 offset:20736
	v_mov_b32_e32 v5, 0
	s_waitcnt lgkmcnt(1)
	v_add_u32_e32 v4, v4, v94
	v_lshl_add_u64 v[4:5], v[4:5], 1, s[14:15]
	s_waitcnt lgkmcnt(0)
	global_store_short v[4:5], v6, off
	s_or_b64 exec, exec, s[16:17]
	s_and_saveexec_b64 s[16:17], s[92:93]
	s_cbranch_execnz .LBB1652_288
	s_branch .LBB1652_289
.LBB1652_267:
	s_or_b64 exec, exec, s[16:17]
	s_and_saveexec_b64 s[16:17], s[52:53]
	s_cbranch_execz .LBB1652_247
.LBB1652_268:
	v_lshlrev_b32_e32 v4, 2, v8
	ds_read_b32 v4, v4
	v_lshlrev_b32_e32 v5, 1, v2
	s_waitcnt vmcnt(0)
	ds_read_u16 v6, v5 offset:1280
	v_mov_b32_e32 v5, 0
	s_waitcnt lgkmcnt(1)
	v_add_u32_e32 v4, v4, v10
	v_lshl_add_u64 v[4:5], v[4:5], 1, s[14:15]
	s_waitcnt lgkmcnt(0)
	global_store_short v[4:5], v6, off
	s_or_b64 exec, exec, s[16:17]
	s_and_saveexec_b64 s[16:17], s[54:55]
	s_cbranch_execnz .LBB1652_248
.LBB1652_269:
	s_or_b64 exec, exec, s[16:17]
	s_and_saveexec_b64 s[16:17], s[56:57]
	s_cbranch_execz .LBB1652_249
.LBB1652_270:
	v_lshlrev_b32_e32 v4, 2, v9
	ds_read_b32 v4, v4
	v_lshlrev_b32_e32 v5, 1, v2
	s_waitcnt vmcnt(0)
	ds_read_u16 v6, v5 offset:3328
	v_mov_b32_e32 v5, 0
	s_waitcnt lgkmcnt(1)
	v_add_u32_e32 v4, v4, v25
	v_lshl_add_u64 v[4:5], v[4:5], 1, s[14:15]
	s_waitcnt lgkmcnt(0)
	global_store_short v[4:5], v6, off
	s_or_b64 exec, exec, s[16:17]
	s_and_saveexec_b64 s[16:17], s[58:59]
	s_cbranch_execnz .LBB1652_250
.LBB1652_271:
	s_or_b64 exec, exec, s[16:17]
	s_and_saveexec_b64 s[16:17], s[60:61]
	s_cbranch_execz .LBB1652_251
.LBB1652_272:
	v_lshlrev_b32_e32 v4, 2, v13
	ds_read_b32 v4, v4
	v_lshlrev_b32_e32 v5, 1, v2
	s_waitcnt vmcnt(0)
	ds_read_u16 v6, v5 offset:5376
	v_mov_b32_e32 v5, 0
	s_waitcnt lgkmcnt(1)
	v_add_u32_e32 v4, v4, v29
	v_lshl_add_u64 v[4:5], v[4:5], 1, s[14:15]
	s_waitcnt lgkmcnt(0)
	global_store_short v[4:5], v6, off
	s_or_b64 exec, exec, s[16:17]
	s_and_saveexec_b64 s[16:17], s[62:63]
	s_cbranch_execnz .LBB1652_252
.LBB1652_273:
	s_or_b64 exec, exec, s[16:17]
	s_and_saveexec_b64 s[16:17], s[64:65]
	s_cbranch_execz .LBB1652_253
.LBB1652_274:
	v_lshlrev_b32_e32 v4, 2, v28
	ds_read_b32 v4, v4
	v_lshlrev_b32_e32 v5, 1, v2
	s_waitcnt vmcnt(0)
	ds_read_u16 v6, v5 offset:7424
	v_mov_b32_e32 v5, 0
	s_waitcnt lgkmcnt(1)
	v_add_u32_e32 v4, v4, v60
	v_lshl_add_u64 v[4:5], v[4:5], 1, s[14:15]
	s_waitcnt lgkmcnt(0)
	global_store_short v[4:5], v6, off
	s_or_b64 exec, exec, s[16:17]
	s_and_saveexec_b64 s[16:17], s[66:67]
	s_cbranch_execnz .LBB1652_254
.LBB1652_275:
	s_or_b64 exec, exec, s[16:17]
	s_and_saveexec_b64 s[16:17], s[68:69]
	s_cbranch_execz .LBB1652_255
.LBB1652_276:
	v_lshlrev_b32_e32 v4, 2, v32
	ds_read_b32 v4, v4
	v_lshlrev_b32_e32 v5, 1, v2
	s_waitcnt vmcnt(0)
	ds_read_u16 v6, v5 offset:9472
	v_mov_b32_e32 v5, 0
	s_waitcnt lgkmcnt(1)
	v_add_u32_e32 v4, v4, v69
	v_lshl_add_u64 v[4:5], v[4:5], 1, s[14:15]
	s_waitcnt lgkmcnt(0)
	global_store_short v[4:5], v6, off
	s_or_b64 exec, exec, s[16:17]
	s_and_saveexec_b64 s[16:17], s[70:71]
	s_cbranch_execnz .LBB1652_256
.LBB1652_277:
	s_or_b64 exec, exec, s[16:17]
	s_and_saveexec_b64 s[16:17], s[72:73]
	s_cbranch_execz .LBB1652_257
.LBB1652_278:
	v_lshlrev_b32_e32 v4, 2, v67
	ds_read_b32 v4, v4
	v_lshlrev_b32_e32 v5, 1, v2
	s_waitcnt vmcnt(0)
	ds_read_u16 v6, v5 offset:11520
	v_mov_b32_e32 v5, 0
	s_waitcnt lgkmcnt(1)
	v_add_u32_e32 v4, v4, v76
	v_lshl_add_u64 v[4:5], v[4:5], 1, s[14:15]
	s_waitcnt lgkmcnt(0)
	global_store_short v[4:5], v6, off
	s_or_b64 exec, exec, s[16:17]
	s_and_saveexec_b64 s[16:17], s[74:75]
	s_cbranch_execnz .LBB1652_258
.LBB1652_279:
	s_or_b64 exec, exec, s[16:17]
	s_and_saveexec_b64 s[16:17], s[76:77]
	s_cbranch_execz .LBB1652_259
.LBB1652_280:
	v_lshlrev_b32_e32 v4, 2, v75
	ds_read_b32 v4, v4
	v_lshlrev_b32_e32 v5, 1, v2
	s_waitcnt vmcnt(0)
	ds_read_u16 v6, v5 offset:13568
	v_mov_b32_e32 v5, 0
	s_waitcnt lgkmcnt(1)
	v_add_u32_e32 v4, v4, v80
	v_lshl_add_u64 v[4:5], v[4:5], 1, s[14:15]
	s_waitcnt lgkmcnt(0)
	global_store_short v[4:5], v6, off
	s_or_b64 exec, exec, s[16:17]
	s_and_saveexec_b64 s[16:17], s[78:79]
	s_cbranch_execnz .LBB1652_260
.LBB1652_281:
	s_or_b64 exec, exec, s[16:17]
	s_and_saveexec_b64 s[16:17], s[80:81]
	s_cbranch_execz .LBB1652_261
.LBB1652_282:
	v_lshlrev_b32_e32 v4, 2, v79
	ds_read_b32 v4, v4
	v_lshlrev_b32_e32 v5, 1, v2
	s_waitcnt vmcnt(0)
	ds_read_u16 v6, v5 offset:15616
	v_mov_b32_e32 v5, 0
	s_waitcnt lgkmcnt(1)
	v_add_u32_e32 v4, v4, v84
	v_lshl_add_u64 v[4:5], v[4:5], 1, s[14:15]
	s_waitcnt lgkmcnt(0)
	global_store_short v[4:5], v6, off
	s_or_b64 exec, exec, s[16:17]
	s_and_saveexec_b64 s[16:17], s[82:83]
	s_cbranch_execnz .LBB1652_262
.LBB1652_283:
	s_or_b64 exec, exec, s[16:17]
	s_and_saveexec_b64 s[16:17], s[84:85]
	s_cbranch_execz .LBB1652_263
.LBB1652_284:
	v_lshlrev_b32_e32 v4, 2, v83
	ds_read_b32 v4, v4
	v_lshlrev_b32_e32 v5, 1, v2
	s_waitcnt vmcnt(0)
	ds_read_u16 v6, v5 offset:17664
	v_mov_b32_e32 v5, 0
	s_waitcnt lgkmcnt(1)
	v_add_u32_e32 v4, v4, v88
	v_lshl_add_u64 v[4:5], v[4:5], 1, s[14:15]
	s_waitcnt lgkmcnt(0)
	global_store_short v[4:5], v6, off
	s_or_b64 exec, exec, s[16:17]
	s_and_saveexec_b64 s[16:17], s[86:87]
	s_cbranch_execnz .LBB1652_264
.LBB1652_285:
	s_or_b64 exec, exec, s[16:17]
	s_and_saveexec_b64 s[16:17], s[88:89]
	s_cbranch_execz .LBB1652_265
.LBB1652_286:
	v_lshlrev_b32_e32 v4, 2, v87
	ds_read_b32 v4, v4
	v_lshlrev_b32_e32 v5, 1, v2
	s_waitcnt vmcnt(0)
	ds_read_u16 v6, v5 offset:19712
	v_mov_b32_e32 v5, 0
	s_waitcnt lgkmcnt(1)
	v_add_u32_e32 v4, v4, v92
	v_lshl_add_u64 v[4:5], v[4:5], 1, s[14:15]
	s_waitcnt lgkmcnt(0)
	global_store_short v[4:5], v6, off
	s_or_b64 exec, exec, s[16:17]
	s_and_saveexec_b64 s[16:17], s[90:91]
	s_cbranch_execnz .LBB1652_266
.LBB1652_287:
	s_or_b64 exec, exec, s[16:17]
	s_and_saveexec_b64 s[16:17], s[92:93]
	s_cbranch_execz .LBB1652_289
.LBB1652_288:
	v_lshlrev_b32_e32 v4, 2, v91
	ds_read_b32 v4, v4
	v_lshlrev_b32_e32 v5, 1, v2
	s_waitcnt vmcnt(0)
	ds_read_u16 v6, v5 offset:21760
	v_mov_b32_e32 v5, 0
	s_waitcnt lgkmcnt(1)
	v_add_u32_e32 v4, v4, v95
	v_lshl_add_u64 v[4:5], v[4:5], 1, s[14:15]
	s_waitcnt lgkmcnt(0)
	global_store_short v[4:5], v6, off
.LBB1652_289:
	s_or_b64 exec, exec, s[16:17]
	s_load_dword s3, s[0:1], 0x58
	s_waitcnt lgkmcnt(0)
	s_add_i32 s3, s3, -1
	s_cmp_eq_u32 s33, s3
	s_cselect_b64 s[16:17], -1, 0
	s_xor_b64 s[18:19], s[48:49], -1
	s_and_b64 s[18:19], s[18:19], s[16:17]
	s_and_saveexec_b64 s[16:17], s[18:19]
	s_cbranch_execz .LBB1652_291
; %bb.290:
	ds_read_b32 v4, v3
	s_load_dwordx4 s[20:23], s[0:1], 0x28
	s_waitcnt lgkmcnt(0)
	v_add3_u32 v4, v15, v20, v4
	global_store_dword v3, v4, s[22:23]
.LBB1652_291:
	s_or_b64 exec, exec, s[16:17]
	s_mov_b64 s[16:17], 0
.LBB1652_292:
	s_and_b64 vcc, exec, s[16:17]
	s_cbranch_vccz .LBB1652_383
; %bb.293:
	s_mov_b32 s5, 0
	s_lshl_b64 s[16:17], s[4:5], 1
	v_mbcnt_hi_u32_b32 v3, -1, v1
	s_add_u32 s4, s8, s16
	v_and_b32_e32 v4, 63, v3
	v_and_b32_e32 v10, 0x3c0, v2
	v_mov_b32_e32 v1, 0
	s_addc_u32 s5, s9, s17
	s_waitcnt vmcnt(0)
	v_mul_u32_u24_e32 v6, 22, v10
	v_lshlrev_b32_e32 v4, 1, v4
	v_mov_b32_e32 v5, v1
	v_lshl_add_u64 v[8:9], s[4:5], 0, v[4:5]
	v_lshlrev_b32_e32 v6, 1, v6
	v_mov_b32_e32 v7, v1
	v_lshl_add_u64 v[8:9], v[8:9], 0, v[6:7]
	s_load_dword s20, s[0:1], 0x58
	s_load_dword s3, s[0:1], 0x64
	global_load_ushort v5, v[8:9], off
	s_add_u32 s0, s0, 0x58
	s_addc_u32 s1, s1, 0
	v_bfe_u32 v13, v0, 20, 10
	s_waitcnt lgkmcnt(0)
	s_lshr_b32 s3, s3, 16
	s_cmp_lt_u32 s2, s20
	s_cselect_b32 s2, 12, 18
	s_add_u32 s0, s0, s2
	s_addc_u32 s1, s1, 0
	global_load_ushort v14, v1, s[0:1]
	global_load_ushort v11, v[8:9], off offset:128
	global_load_ushort v15, v[8:9], off offset:256
	;; [unrolled: 1-line block ×14, first 2 shown]
                                        ; kill: killed $sgpr0 killed $sgpr1
	global_load_ushort v50, v[8:9], off offset:1920
	global_load_ushort v45, v[8:9], off offset:2048
	;; [unrolled: 1-line block ×7, first 2 shown]
	v_bfe_u32 v9, v0, 10, 10
	v_lshlrev_b32_e32 v7, 3, v2
	v_mov_b32_e32 v0, v1
	ds_write_b64 v7, v[0:1] offset:32
	s_lshl_b32 s0, -1, s97
	v_mad_u32_u24 v18, v13, s3, v9
	v_mov_b32_e32 v8, v1
	v_mov_b32_e32 v12, v1
	s_not_b32 s21, s0
	v_mov_b32_e32 v16, v1
	s_waitcnt lgkmcnt(0)
	s_barrier
	s_waitcnt vmcnt(22)
	; wave barrier
	v_xor_b32_e32 v5, 0xffff8000, v5
	v_lshrrev_b32_sdwa v0, s96, v5 dst_sel:DWORD dst_unused:UNUSED_PAD src0_sel:DWORD src1_sel:WORD_0
	v_bitop3_b32 v21, v0, s0, v0 bitop3:0x30
	v_and_b32_e32 v0, 1, v21
	v_lshlrev_b32_e32 v9, 30, v21
	v_lshlrev_b32_e32 v13, 29, v21
	s_waitcnt vmcnt(21)
	v_mad_u64_u32 v[22:23], s[0:1], v18, v14, v[2:3]
	v_lshl_add_u64 v[28:29], v[0:1], 0, -1
	v_cmp_ne_u32_e32 vcc, 0, v0
	v_not_b32_e32 v0, v9
	v_lshlrev_b32_e32 v17, 28, v21
	v_cmp_gt_i64_e64 s[0:1], 0, v[8:9]
	v_cmp_gt_i64_e64 s[2:3], 0, v[12:13]
	v_not_b32_e32 v8, v13
	v_lshrrev_b32_e32 v12, 6, v22
	v_xor_b32_e32 v13, vcc_hi, v29
	v_xor_b32_e32 v14, vcc_lo, v28
	v_ashrrev_i32_e32 v0, 31, v0
	v_cmp_gt_i64_e64 s[4:5], 0, v[16:17]
	v_ashrrev_i32_e32 v8, 31, v8
	v_lshlrev_b32_e32 v24, 2, v12
	v_and_b32_e32 v12, exec_hi, v13
	v_and_b32_e32 v13, exec_lo, v14
	v_xor_b32_e32 v16, s1, v0
	v_xor_b32_e32 v0, s0, v0
	v_not_b32_e32 v9, v17
	v_xor_b32_e32 v17, s3, v8
	v_xor_b32_e32 v8, s2, v8
	v_and_b32_e32 v0, v13, v0
	v_and_b32_e32 v12, v12, v16
	;; [unrolled: 1-line block ×3, first 2 shown]
	v_ashrrev_i32_e32 v8, 31, v9
	v_and_b32_e32 v12, v12, v17
	v_xor_b32_e32 v9, s5, v8
	v_xor_b32_e32 v8, s4, v8
	v_and_b32_e32 v12, v12, v9
	v_and_b32_e32 v0, v0, v8
	v_lshlrev_b32_e32 v9, 27, v21
	v_mov_b32_e32 v8, v1
	v_cmp_gt_i64_e32 vcc, 0, v[8:9]
	v_not_b32_e32 v8, v9
	v_ashrrev_i32_e32 v8, 31, v8
	v_xor_b32_e32 v9, vcc_hi, v8
	v_xor_b32_e32 v8, vcc_lo, v8
	v_and_b32_e32 v12, v12, v9
	v_and_b32_e32 v0, v0, v8
	v_lshlrev_b32_e32 v9, 26, v21
	v_mov_b32_e32 v8, v1
	v_cmp_gt_i64_e32 vcc, 0, v[8:9]
	v_not_b32_e32 v8, v9
	v_ashrrev_i32_e32 v8, 31, v8
	v_xor_b32_e32 v9, vcc_hi, v8
	v_xor_b32_e32 v8, vcc_lo, v8
	v_and_b32_e32 v8, v0, v8
	v_and_b32_e32 v9, v12, v9
	v_mbcnt_lo_u32_b32 v0, v8, 0
	v_mbcnt_hi_u32_b32 v12, v9, v0
	v_cmp_eq_u32_e32 vcc, 0, v12
	v_cmp_ne_u64_e64 s[0:1], 0, v[8:9]
	v_mad_u32_u24 v14, v21, 36, v24
	s_and_b64 s[2:3], s[0:1], vcc
	s_and_saveexec_b64 s[0:1], s[2:3]
; %bb.294:
	v_bcnt_u32_b32 v0, v8, 0
	v_bcnt_u32_b32 v0, v9, v0
	ds_write_b32 v14, v0 offset:32
; %bb.295:
	s_or_b64 exec, exec, s[0:1]
	s_waitcnt vmcnt(20)
	v_xor_b32_e32 v11, 0xffff8000, v11
	v_lshrrev_b32_sdwa v0, s96, v11 dst_sel:DWORD dst_unused:UNUSED_PAD src0_sel:DWORD src1_sel:WORD_0
	v_and_b32_e32 v17, s21, v0
	v_and_b32_e32 v0, 1, v17
	v_lshl_add_u64 v[8:9], v[0:1], 0, -1
	v_cmp_ne_u32_e32 vcc, 0, v0
	v_mad_u32_u24 v16, v17, 36, v24
	s_nop 0
	v_xor_b32_e32 v8, vcc_lo, v8
	v_xor_b32_e32 v0, vcc_hi, v9
	v_and_b32_e32 v18, exec_lo, v8
	v_lshlrev_b32_e32 v9, 30, v17
	v_mov_b32_e32 v8, v1
	v_cmp_gt_i64_e32 vcc, 0, v[8:9]
	v_not_b32_e32 v8, v9
	v_ashrrev_i32_e32 v8, 31, v8
	v_and_b32_e32 v0, exec_hi, v0
	v_xor_b32_e32 v9, vcc_hi, v8
	v_xor_b32_e32 v8, vcc_lo, v8
	v_and_b32_e32 v0, v0, v9
	v_and_b32_e32 v18, v18, v8
	v_lshlrev_b32_e32 v9, 29, v17
	v_mov_b32_e32 v8, v1
	v_cmp_gt_i64_e32 vcc, 0, v[8:9]
	v_not_b32_e32 v8, v9
	v_ashrrev_i32_e32 v8, 31, v8
	v_xor_b32_e32 v9, vcc_hi, v8
	v_xor_b32_e32 v8, vcc_lo, v8
	v_and_b32_e32 v0, v0, v9
	v_and_b32_e32 v18, v18, v8
	v_lshlrev_b32_e32 v9, 28, v17
	v_mov_b32_e32 v8, v1
	v_cmp_gt_i64_e32 vcc, 0, v[8:9]
	v_not_b32_e32 v8, v9
	v_ashrrev_i32_e32 v8, 31, v8
	;; [unrolled: 9-line block ×3, first 2 shown]
	v_xor_b32_e32 v9, vcc_hi, v8
	v_xor_b32_e32 v8, vcc_lo, v8
	v_and_b32_e32 v0, v0, v9
	v_lshlrev_b32_e32 v9, 26, v17
	v_and_b32_e32 v18, v18, v8
	v_mov_b32_e32 v8, v1
	v_not_b32_e32 v1, v9
	v_cmp_gt_i64_e32 vcc, 0, v[8:9]
	v_ashrrev_i32_e32 v1, 31, v1
	; wave barrier
	s_nop 0
	v_xor_b32_e32 v8, vcc_hi, v1
	v_xor_b32_e32 v9, vcc_lo, v1
	ds_read_b32 v13, v16 offset:32
	v_and_b32_e32 v1, v0, v8
	v_and_b32_e32 v0, v18, v9
	v_mbcnt_lo_u32_b32 v8, v0, 0
	v_mbcnt_hi_u32_b32 v17, v1, v8
	v_cmp_eq_u32_e32 vcc, 0, v17
	v_cmp_ne_u64_e64 s[0:1], 0, v[0:1]
	s_and_b64 s[2:3], s[0:1], vcc
	; wave barrier
	s_and_saveexec_b64 s[0:1], s[2:3]
	s_cbranch_execz .LBB1652_297
; %bb.296:
	v_bcnt_u32_b32 v0, v0, 0
	v_bcnt_u32_b32 v0, v1, v0
	s_waitcnt lgkmcnt(0)
	v_add_u32_e32 v0, v13, v0
	ds_write_b32 v16, v0 offset:32
.LBB1652_297:
	s_or_b64 exec, exec, s[0:1]
	s_waitcnt vmcnt(19)
	v_xor_b32_e32 v15, 0xffff8000, v15
	v_lshrrev_b32_sdwa v0, s96, v15 dst_sel:DWORD dst_unused:UNUSED_PAD src0_sel:DWORD src1_sel:WORD_0
	v_and_b32_e32 v22, s21, v0
	v_and_b32_e32 v0, 1, v22
	v_mov_b32_e32 v1, 0
	v_lshl_add_u64 v[8:9], v[0:1], 0, -1
	v_cmp_ne_u32_e32 vcc, 0, v0
	v_mad_u32_u24 v21, v22, 36, v24
	s_nop 0
	v_xor_b32_e32 v8, vcc_lo, v8
	v_xor_b32_e32 v0, vcc_hi, v9
	v_and_b32_e32 v23, exec_lo, v8
	v_lshlrev_b32_e32 v9, 30, v22
	v_mov_b32_e32 v8, v1
	v_cmp_gt_i64_e32 vcc, 0, v[8:9]
	v_not_b32_e32 v8, v9
	v_ashrrev_i32_e32 v8, 31, v8
	v_and_b32_e32 v0, exec_hi, v0
	v_xor_b32_e32 v9, vcc_hi, v8
	v_xor_b32_e32 v8, vcc_lo, v8
	v_and_b32_e32 v0, v0, v9
	v_and_b32_e32 v23, v23, v8
	v_lshlrev_b32_e32 v9, 29, v22
	v_mov_b32_e32 v8, v1
	v_cmp_gt_i64_e32 vcc, 0, v[8:9]
	v_not_b32_e32 v8, v9
	v_ashrrev_i32_e32 v8, 31, v8
	v_xor_b32_e32 v9, vcc_hi, v8
	v_xor_b32_e32 v8, vcc_lo, v8
	v_and_b32_e32 v0, v0, v9
	v_and_b32_e32 v23, v23, v8
	v_lshlrev_b32_e32 v9, 28, v22
	v_mov_b32_e32 v8, v1
	v_cmp_gt_i64_e32 vcc, 0, v[8:9]
	v_not_b32_e32 v8, v9
	v_ashrrev_i32_e32 v8, 31, v8
	;; [unrolled: 9-line block ×4, first 2 shown]
	v_xor_b32_e32 v9, vcc_hi, v8
	v_xor_b32_e32 v8, vcc_lo, v8
	; wave barrier
	ds_read_b32 v18, v21 offset:32
	v_and_b32_e32 v8, v23, v8
	v_and_b32_e32 v9, v0, v9
	v_mbcnt_lo_u32_b32 v0, v8, 0
	v_mbcnt_hi_u32_b32 v22, v9, v0
	v_cmp_eq_u32_e32 vcc, 0, v22
	v_cmp_ne_u64_e64 s[0:1], 0, v[8:9]
	s_and_b64 s[2:3], s[0:1], vcc
	; wave barrier
	s_and_saveexec_b64 s[0:1], s[2:3]
	s_cbranch_execz .LBB1652_299
; %bb.298:
	v_bcnt_u32_b32 v0, v8, 0
	v_bcnt_u32_b32 v0, v9, v0
	s_waitcnt lgkmcnt(0)
	v_add_u32_e32 v0, v18, v0
	ds_write_b32 v21, v0 offset:32
.LBB1652_299:
	s_or_b64 exec, exec, s[0:1]
	s_waitcnt vmcnt(18)
	v_xor_b32_e32 v20, 0xffff8000, v20
	v_lshrrev_b32_sdwa v0, s96, v20 dst_sel:DWORD dst_unused:UNUSED_PAD src0_sel:DWORD src1_sel:WORD_0
	v_and_b32_e32 v28, s21, v0
	v_and_b32_e32 v0, 1, v28
	v_lshl_add_u64 v[8:9], v[0:1], 0, -1
	v_cmp_ne_u32_e32 vcc, 0, v0
	v_mad_u32_u24 v27, v28, 36, v24
	s_nop 0
	v_xor_b32_e32 v8, vcc_lo, v8
	v_xor_b32_e32 v0, vcc_hi, v9
	v_and_b32_e32 v29, exec_lo, v8
	v_lshlrev_b32_e32 v9, 30, v28
	v_mov_b32_e32 v8, v1
	v_cmp_gt_i64_e32 vcc, 0, v[8:9]
	v_not_b32_e32 v8, v9
	v_ashrrev_i32_e32 v8, 31, v8
	v_and_b32_e32 v0, exec_hi, v0
	v_xor_b32_e32 v9, vcc_hi, v8
	v_xor_b32_e32 v8, vcc_lo, v8
	v_and_b32_e32 v0, v0, v9
	v_and_b32_e32 v29, v29, v8
	v_lshlrev_b32_e32 v9, 29, v28
	v_mov_b32_e32 v8, v1
	v_cmp_gt_i64_e32 vcc, 0, v[8:9]
	v_not_b32_e32 v8, v9
	v_ashrrev_i32_e32 v8, 31, v8
	v_xor_b32_e32 v9, vcc_hi, v8
	v_xor_b32_e32 v8, vcc_lo, v8
	v_and_b32_e32 v0, v0, v9
	v_and_b32_e32 v29, v29, v8
	v_lshlrev_b32_e32 v9, 28, v28
	v_mov_b32_e32 v8, v1
	v_cmp_gt_i64_e32 vcc, 0, v[8:9]
	v_not_b32_e32 v8, v9
	v_ashrrev_i32_e32 v8, 31, v8
	;; [unrolled: 9-line block ×3, first 2 shown]
	v_xor_b32_e32 v9, vcc_hi, v8
	v_xor_b32_e32 v8, vcc_lo, v8
	v_and_b32_e32 v0, v0, v9
	v_lshlrev_b32_e32 v9, 26, v28
	v_and_b32_e32 v29, v29, v8
	v_mov_b32_e32 v8, v1
	v_not_b32_e32 v1, v9
	v_cmp_gt_i64_e32 vcc, 0, v[8:9]
	v_ashrrev_i32_e32 v1, 31, v1
	; wave barrier
	s_nop 0
	v_xor_b32_e32 v8, vcc_hi, v1
	v_xor_b32_e32 v9, vcc_lo, v1
	ds_read_b32 v23, v27 offset:32
	v_and_b32_e32 v1, v0, v8
	v_and_b32_e32 v0, v29, v9
	v_mbcnt_lo_u32_b32 v8, v0, 0
	v_mbcnt_hi_u32_b32 v28, v1, v8
	v_cmp_eq_u32_e32 vcc, 0, v28
	v_cmp_ne_u64_e64 s[0:1], 0, v[0:1]
	s_and_b64 s[2:3], s[0:1], vcc
	; wave barrier
	s_and_saveexec_b64 s[0:1], s[2:3]
	s_cbranch_execz .LBB1652_301
; %bb.300:
	v_bcnt_u32_b32 v0, v0, 0
	v_bcnt_u32_b32 v0, v1, v0
	s_waitcnt lgkmcnt(0)
	v_add_u32_e32 v0, v23, v0
	ds_write_b32 v27, v0 offset:32
.LBB1652_301:
	s_or_b64 exec, exec, s[0:1]
	s_waitcnt vmcnt(17)
	v_xor_b32_e32 v26, 0xffff8000, v26
	v_lshrrev_b32_sdwa v0, s96, v26 dst_sel:DWORD dst_unused:UNUSED_PAD src0_sel:DWORD src1_sel:WORD_0
	v_and_b32_e32 v33, s21, v0
	v_and_b32_e32 v0, 1, v33
	v_mov_b32_e32 v1, 0
	v_lshl_add_u64 v[8:9], v[0:1], 0, -1
	v_cmp_ne_u32_e32 vcc, 0, v0
	v_mad_u32_u24 v32, v33, 36, v24
	s_nop 0
	v_xor_b32_e32 v8, vcc_lo, v8
	v_xor_b32_e32 v0, vcc_hi, v9
	v_and_b32_e32 v34, exec_lo, v8
	v_lshlrev_b32_e32 v9, 30, v33
	v_mov_b32_e32 v8, v1
	v_cmp_gt_i64_e32 vcc, 0, v[8:9]
	v_not_b32_e32 v8, v9
	v_ashrrev_i32_e32 v8, 31, v8
	v_and_b32_e32 v0, exec_hi, v0
	v_xor_b32_e32 v9, vcc_hi, v8
	v_xor_b32_e32 v8, vcc_lo, v8
	v_and_b32_e32 v0, v0, v9
	v_and_b32_e32 v34, v34, v8
	v_lshlrev_b32_e32 v9, 29, v33
	v_mov_b32_e32 v8, v1
	v_cmp_gt_i64_e32 vcc, 0, v[8:9]
	v_not_b32_e32 v8, v9
	v_ashrrev_i32_e32 v8, 31, v8
	v_xor_b32_e32 v9, vcc_hi, v8
	v_xor_b32_e32 v8, vcc_lo, v8
	v_and_b32_e32 v0, v0, v9
	v_and_b32_e32 v34, v34, v8
	v_lshlrev_b32_e32 v9, 28, v33
	v_mov_b32_e32 v8, v1
	v_cmp_gt_i64_e32 vcc, 0, v[8:9]
	v_not_b32_e32 v8, v9
	v_ashrrev_i32_e32 v8, 31, v8
	;; [unrolled: 9-line block ×4, first 2 shown]
	v_xor_b32_e32 v9, vcc_hi, v8
	v_xor_b32_e32 v8, vcc_lo, v8
	; wave barrier
	ds_read_b32 v29, v32 offset:32
	v_and_b32_e32 v8, v34, v8
	v_and_b32_e32 v9, v0, v9
	v_mbcnt_lo_u32_b32 v0, v8, 0
	v_mbcnt_hi_u32_b32 v33, v9, v0
	v_cmp_eq_u32_e32 vcc, 0, v33
	v_cmp_ne_u64_e64 s[0:1], 0, v[8:9]
	s_and_b64 s[2:3], s[0:1], vcc
	; wave barrier
	s_and_saveexec_b64 s[0:1], s[2:3]
	s_cbranch_execz .LBB1652_303
; %bb.302:
	v_bcnt_u32_b32 v0, v8, 0
	v_bcnt_u32_b32 v0, v9, v0
	s_waitcnt lgkmcnt(0)
	v_add_u32_e32 v0, v29, v0
	ds_write_b32 v32, v0 offset:32
.LBB1652_303:
	s_or_b64 exec, exec, s[0:1]
	s_waitcnt vmcnt(16)
	v_xor_b32_e32 v31, 0xffff8000, v31
	v_lshrrev_b32_sdwa v0, s96, v31 dst_sel:DWORD dst_unused:UNUSED_PAD src0_sel:DWORD src1_sel:WORD_0
	v_and_b32_e32 v38, s21, v0
	v_and_b32_e32 v0, 1, v38
	v_lshl_add_u64 v[8:9], v[0:1], 0, -1
	v_cmp_ne_u32_e32 vcc, 0, v0
	v_mad_u32_u24 v37, v38, 36, v24
	s_nop 0
	v_xor_b32_e32 v8, vcc_lo, v8
	v_xor_b32_e32 v0, vcc_hi, v9
	v_and_b32_e32 v39, exec_lo, v8
	v_lshlrev_b32_e32 v9, 30, v38
	v_mov_b32_e32 v8, v1
	v_cmp_gt_i64_e32 vcc, 0, v[8:9]
	v_not_b32_e32 v8, v9
	v_ashrrev_i32_e32 v8, 31, v8
	v_and_b32_e32 v0, exec_hi, v0
	v_xor_b32_e32 v9, vcc_hi, v8
	v_xor_b32_e32 v8, vcc_lo, v8
	v_and_b32_e32 v0, v0, v9
	v_and_b32_e32 v39, v39, v8
	v_lshlrev_b32_e32 v9, 29, v38
	v_mov_b32_e32 v8, v1
	v_cmp_gt_i64_e32 vcc, 0, v[8:9]
	v_not_b32_e32 v8, v9
	v_ashrrev_i32_e32 v8, 31, v8
	v_xor_b32_e32 v9, vcc_hi, v8
	v_xor_b32_e32 v8, vcc_lo, v8
	v_and_b32_e32 v0, v0, v9
	v_and_b32_e32 v39, v39, v8
	v_lshlrev_b32_e32 v9, 28, v38
	v_mov_b32_e32 v8, v1
	v_cmp_gt_i64_e32 vcc, 0, v[8:9]
	v_not_b32_e32 v8, v9
	v_ashrrev_i32_e32 v8, 31, v8
	;; [unrolled: 9-line block ×3, first 2 shown]
	v_xor_b32_e32 v9, vcc_hi, v8
	v_xor_b32_e32 v8, vcc_lo, v8
	v_and_b32_e32 v0, v0, v9
	v_lshlrev_b32_e32 v9, 26, v38
	v_and_b32_e32 v39, v39, v8
	v_mov_b32_e32 v8, v1
	v_not_b32_e32 v1, v9
	v_cmp_gt_i64_e32 vcc, 0, v[8:9]
	v_ashrrev_i32_e32 v1, 31, v1
	; wave barrier
	s_nop 0
	v_xor_b32_e32 v8, vcc_hi, v1
	v_xor_b32_e32 v9, vcc_lo, v1
	ds_read_b32 v34, v37 offset:32
	v_and_b32_e32 v1, v0, v8
	v_and_b32_e32 v0, v39, v9
	v_mbcnt_lo_u32_b32 v8, v0, 0
	v_mbcnt_hi_u32_b32 v38, v1, v8
	v_cmp_eq_u32_e32 vcc, 0, v38
	v_cmp_ne_u64_e64 s[0:1], 0, v[0:1]
	s_and_b64 s[2:3], s[0:1], vcc
	; wave barrier
	s_and_saveexec_b64 s[0:1], s[2:3]
	s_cbranch_execz .LBB1652_305
; %bb.304:
	v_bcnt_u32_b32 v0, v0, 0
	v_bcnt_u32_b32 v0, v1, v0
	s_waitcnt lgkmcnt(0)
	v_add_u32_e32 v0, v34, v0
	ds_write_b32 v37, v0 offset:32
.LBB1652_305:
	s_or_b64 exec, exec, s[0:1]
	s_waitcnt vmcnt(15)
	v_xor_b32_e32 v36, 0xffff8000, v36
	v_lshrrev_b32_sdwa v0, s96, v36 dst_sel:DWORD dst_unused:UNUSED_PAD src0_sel:DWORD src1_sel:WORD_0
	v_and_b32_e32 v43, s21, v0
	v_and_b32_e32 v0, 1, v43
	v_mov_b32_e32 v1, 0
	v_lshl_add_u64 v[8:9], v[0:1], 0, -1
	v_cmp_ne_u32_e32 vcc, 0, v0
	v_mad_u32_u24 v42, v43, 36, v24
	s_nop 0
	v_xor_b32_e32 v8, vcc_lo, v8
	v_xor_b32_e32 v0, vcc_hi, v9
	v_and_b32_e32 v44, exec_lo, v8
	v_lshlrev_b32_e32 v9, 30, v43
	v_mov_b32_e32 v8, v1
	v_cmp_gt_i64_e32 vcc, 0, v[8:9]
	v_not_b32_e32 v8, v9
	v_ashrrev_i32_e32 v8, 31, v8
	v_and_b32_e32 v0, exec_hi, v0
	v_xor_b32_e32 v9, vcc_hi, v8
	v_xor_b32_e32 v8, vcc_lo, v8
	v_and_b32_e32 v0, v0, v9
	v_and_b32_e32 v44, v44, v8
	v_lshlrev_b32_e32 v9, 29, v43
	v_mov_b32_e32 v8, v1
	v_cmp_gt_i64_e32 vcc, 0, v[8:9]
	v_not_b32_e32 v8, v9
	v_ashrrev_i32_e32 v8, 31, v8
	v_xor_b32_e32 v9, vcc_hi, v8
	v_xor_b32_e32 v8, vcc_lo, v8
	v_and_b32_e32 v0, v0, v9
	v_and_b32_e32 v44, v44, v8
	v_lshlrev_b32_e32 v9, 28, v43
	v_mov_b32_e32 v8, v1
	v_cmp_gt_i64_e32 vcc, 0, v[8:9]
	v_not_b32_e32 v8, v9
	v_ashrrev_i32_e32 v8, 31, v8
	;; [unrolled: 9-line block ×4, first 2 shown]
	v_xor_b32_e32 v9, vcc_hi, v8
	v_xor_b32_e32 v8, vcc_lo, v8
	; wave barrier
	ds_read_b32 v39, v42 offset:32
	v_and_b32_e32 v8, v44, v8
	v_and_b32_e32 v9, v0, v9
	v_mbcnt_lo_u32_b32 v0, v8, 0
	v_mbcnt_hi_u32_b32 v43, v9, v0
	v_cmp_eq_u32_e32 vcc, 0, v43
	v_cmp_ne_u64_e64 s[0:1], 0, v[8:9]
	s_and_b64 s[2:3], s[0:1], vcc
	; wave barrier
	s_and_saveexec_b64 s[0:1], s[2:3]
	s_cbranch_execz .LBB1652_307
; %bb.306:
	v_bcnt_u32_b32 v0, v8, 0
	v_bcnt_u32_b32 v0, v9, v0
	s_waitcnt lgkmcnt(0)
	v_add_u32_e32 v0, v39, v0
	ds_write_b32 v42, v0 offset:32
.LBB1652_307:
	s_or_b64 exec, exec, s[0:1]
	s_waitcnt vmcnt(14)
	v_xor_b32_e32 v41, 0xffff8000, v41
	v_lshrrev_b32_sdwa v0, s96, v41 dst_sel:DWORD dst_unused:UNUSED_PAD src0_sel:DWORD src1_sel:WORD_0
	v_and_b32_e32 v48, s21, v0
	v_and_b32_e32 v0, 1, v48
	v_lshl_add_u64 v[8:9], v[0:1], 0, -1
	v_cmp_ne_u32_e32 vcc, 0, v0
	v_mad_u32_u24 v47, v48, 36, v24
	s_nop 0
	v_xor_b32_e32 v8, vcc_lo, v8
	v_xor_b32_e32 v0, vcc_hi, v9
	v_and_b32_e32 v49, exec_lo, v8
	v_lshlrev_b32_e32 v9, 30, v48
	v_mov_b32_e32 v8, v1
	v_cmp_gt_i64_e32 vcc, 0, v[8:9]
	v_not_b32_e32 v8, v9
	v_ashrrev_i32_e32 v8, 31, v8
	v_and_b32_e32 v0, exec_hi, v0
	v_xor_b32_e32 v9, vcc_hi, v8
	v_xor_b32_e32 v8, vcc_lo, v8
	v_and_b32_e32 v0, v0, v9
	v_and_b32_e32 v49, v49, v8
	v_lshlrev_b32_e32 v9, 29, v48
	v_mov_b32_e32 v8, v1
	v_cmp_gt_i64_e32 vcc, 0, v[8:9]
	v_not_b32_e32 v8, v9
	v_ashrrev_i32_e32 v8, 31, v8
	v_xor_b32_e32 v9, vcc_hi, v8
	v_xor_b32_e32 v8, vcc_lo, v8
	v_and_b32_e32 v0, v0, v9
	v_and_b32_e32 v49, v49, v8
	v_lshlrev_b32_e32 v9, 28, v48
	v_mov_b32_e32 v8, v1
	v_cmp_gt_i64_e32 vcc, 0, v[8:9]
	v_not_b32_e32 v8, v9
	v_ashrrev_i32_e32 v8, 31, v8
	;; [unrolled: 9-line block ×3, first 2 shown]
	v_xor_b32_e32 v9, vcc_hi, v8
	v_xor_b32_e32 v8, vcc_lo, v8
	v_and_b32_e32 v0, v0, v9
	v_lshlrev_b32_e32 v9, 26, v48
	v_and_b32_e32 v49, v49, v8
	v_mov_b32_e32 v8, v1
	v_not_b32_e32 v1, v9
	v_cmp_gt_i64_e32 vcc, 0, v[8:9]
	v_ashrrev_i32_e32 v1, 31, v1
	; wave barrier
	s_nop 0
	v_xor_b32_e32 v8, vcc_hi, v1
	v_xor_b32_e32 v9, vcc_lo, v1
	ds_read_b32 v44, v47 offset:32
	v_and_b32_e32 v1, v0, v8
	v_and_b32_e32 v0, v49, v9
	v_mbcnt_lo_u32_b32 v8, v0, 0
	v_mbcnt_hi_u32_b32 v48, v1, v8
	v_cmp_eq_u32_e32 vcc, 0, v48
	v_cmp_ne_u64_e64 s[0:1], 0, v[0:1]
	s_and_b64 s[2:3], s[0:1], vcc
	; wave barrier
	s_and_saveexec_b64 s[0:1], s[2:3]
	s_cbranch_execz .LBB1652_309
; %bb.308:
	v_bcnt_u32_b32 v0, v0, 0
	v_bcnt_u32_b32 v0, v1, v0
	s_waitcnt lgkmcnt(0)
	v_add_u32_e32 v0, v44, v0
	ds_write_b32 v47, v0 offset:32
.LBB1652_309:
	s_or_b64 exec, exec, s[0:1]
	s_waitcnt vmcnt(13)
	v_xor_b32_e32 v46, 0xffff8000, v46
	v_lshrrev_b32_sdwa v0, s96, v46 dst_sel:DWORD dst_unused:UNUSED_PAD src0_sel:DWORD src1_sel:WORD_0
	v_and_b32_e32 v53, s21, v0
	v_and_b32_e32 v0, 1, v53
	v_mov_b32_e32 v1, 0
	v_lshl_add_u64 v[8:9], v[0:1], 0, -1
	v_cmp_ne_u32_e32 vcc, 0, v0
	v_mad_u32_u24 v52, v53, 36, v24
	s_nop 0
	v_xor_b32_e32 v8, vcc_lo, v8
	v_xor_b32_e32 v0, vcc_hi, v9
	v_and_b32_e32 v54, exec_lo, v8
	v_lshlrev_b32_e32 v9, 30, v53
	v_mov_b32_e32 v8, v1
	v_cmp_gt_i64_e32 vcc, 0, v[8:9]
	v_not_b32_e32 v8, v9
	v_ashrrev_i32_e32 v8, 31, v8
	v_and_b32_e32 v0, exec_hi, v0
	v_xor_b32_e32 v9, vcc_hi, v8
	v_xor_b32_e32 v8, vcc_lo, v8
	v_and_b32_e32 v0, v0, v9
	v_and_b32_e32 v54, v54, v8
	v_lshlrev_b32_e32 v9, 29, v53
	v_mov_b32_e32 v8, v1
	v_cmp_gt_i64_e32 vcc, 0, v[8:9]
	v_not_b32_e32 v8, v9
	v_ashrrev_i32_e32 v8, 31, v8
	v_xor_b32_e32 v9, vcc_hi, v8
	v_xor_b32_e32 v8, vcc_lo, v8
	v_and_b32_e32 v0, v0, v9
	v_and_b32_e32 v54, v54, v8
	v_lshlrev_b32_e32 v9, 28, v53
	v_mov_b32_e32 v8, v1
	v_cmp_gt_i64_e32 vcc, 0, v[8:9]
	v_not_b32_e32 v8, v9
	v_ashrrev_i32_e32 v8, 31, v8
	;; [unrolled: 9-line block ×4, first 2 shown]
	v_xor_b32_e32 v9, vcc_hi, v8
	v_xor_b32_e32 v8, vcc_lo, v8
	; wave barrier
	ds_read_b32 v49, v52 offset:32
	v_and_b32_e32 v8, v54, v8
	v_and_b32_e32 v9, v0, v9
	v_mbcnt_lo_u32_b32 v0, v8, 0
	v_mbcnt_hi_u32_b32 v53, v9, v0
	v_cmp_eq_u32_e32 vcc, 0, v53
	v_cmp_ne_u64_e64 s[0:1], 0, v[8:9]
	s_and_b64 s[2:3], s[0:1], vcc
	; wave barrier
	s_and_saveexec_b64 s[0:1], s[2:3]
	s_cbranch_execz .LBB1652_311
; %bb.310:
	v_bcnt_u32_b32 v0, v8, 0
	v_bcnt_u32_b32 v0, v9, v0
	s_waitcnt lgkmcnt(0)
	v_add_u32_e32 v0, v49, v0
	ds_write_b32 v52, v0 offset:32
.LBB1652_311:
	s_or_b64 exec, exec, s[0:1]
	s_waitcnt vmcnt(12)
	v_xor_b32_e32 v51, 0xffff8000, v51
	v_lshrrev_b32_sdwa v0, s96, v51 dst_sel:DWORD dst_unused:UNUSED_PAD src0_sel:DWORD src1_sel:WORD_0
	v_and_b32_e32 v58, s21, v0
	v_and_b32_e32 v0, 1, v58
	v_lshl_add_u64 v[8:9], v[0:1], 0, -1
	v_cmp_ne_u32_e32 vcc, 0, v0
	v_mad_u32_u24 v57, v58, 36, v24
	s_nop 0
	v_xor_b32_e32 v8, vcc_lo, v8
	v_xor_b32_e32 v0, vcc_hi, v9
	v_and_b32_e32 v59, exec_lo, v8
	v_lshlrev_b32_e32 v9, 30, v58
	v_mov_b32_e32 v8, v1
	v_cmp_gt_i64_e32 vcc, 0, v[8:9]
	v_not_b32_e32 v8, v9
	v_ashrrev_i32_e32 v8, 31, v8
	v_and_b32_e32 v0, exec_hi, v0
	v_xor_b32_e32 v9, vcc_hi, v8
	v_xor_b32_e32 v8, vcc_lo, v8
	v_and_b32_e32 v0, v0, v9
	v_and_b32_e32 v59, v59, v8
	v_lshlrev_b32_e32 v9, 29, v58
	v_mov_b32_e32 v8, v1
	v_cmp_gt_i64_e32 vcc, 0, v[8:9]
	v_not_b32_e32 v8, v9
	v_ashrrev_i32_e32 v8, 31, v8
	v_xor_b32_e32 v9, vcc_hi, v8
	v_xor_b32_e32 v8, vcc_lo, v8
	v_and_b32_e32 v0, v0, v9
	v_and_b32_e32 v59, v59, v8
	v_lshlrev_b32_e32 v9, 28, v58
	v_mov_b32_e32 v8, v1
	v_cmp_gt_i64_e32 vcc, 0, v[8:9]
	v_not_b32_e32 v8, v9
	v_ashrrev_i32_e32 v8, 31, v8
	;; [unrolled: 9-line block ×3, first 2 shown]
	v_xor_b32_e32 v9, vcc_hi, v8
	v_xor_b32_e32 v8, vcc_lo, v8
	v_and_b32_e32 v0, v0, v9
	v_lshlrev_b32_e32 v9, 26, v58
	v_and_b32_e32 v59, v59, v8
	v_mov_b32_e32 v8, v1
	v_not_b32_e32 v1, v9
	v_cmp_gt_i64_e32 vcc, 0, v[8:9]
	v_ashrrev_i32_e32 v1, 31, v1
	; wave barrier
	s_nop 0
	v_xor_b32_e32 v8, vcc_hi, v1
	v_xor_b32_e32 v9, vcc_lo, v1
	ds_read_b32 v54, v57 offset:32
	v_and_b32_e32 v1, v0, v8
	v_and_b32_e32 v0, v59, v9
	v_mbcnt_lo_u32_b32 v8, v0, 0
	v_mbcnt_hi_u32_b32 v58, v1, v8
	v_cmp_eq_u32_e32 vcc, 0, v58
	v_cmp_ne_u64_e64 s[0:1], 0, v[0:1]
	s_and_b64 s[2:3], s[0:1], vcc
	; wave barrier
	s_and_saveexec_b64 s[0:1], s[2:3]
	s_cbranch_execz .LBB1652_313
; %bb.312:
	v_bcnt_u32_b32 v0, v0, 0
	v_bcnt_u32_b32 v0, v1, v0
	s_waitcnt lgkmcnt(0)
	v_add_u32_e32 v0, v54, v0
	ds_write_b32 v57, v0 offset:32
.LBB1652_313:
	s_or_b64 exec, exec, s[0:1]
	s_waitcnt vmcnt(11)
	v_xor_b32_e32 v56, 0xffff8000, v56
	v_lshrrev_b32_sdwa v0, s96, v56 dst_sel:DWORD dst_unused:UNUSED_PAD src0_sel:DWORD src1_sel:WORD_0
	v_and_b32_e32 v63, s21, v0
	v_and_b32_e32 v0, 1, v63
	v_mov_b32_e32 v1, 0
	v_lshl_add_u64 v[8:9], v[0:1], 0, -1
	v_cmp_ne_u32_e32 vcc, 0, v0
	v_mad_u32_u24 v62, v63, 36, v24
	s_nop 0
	v_xor_b32_e32 v8, vcc_lo, v8
	v_xor_b32_e32 v0, vcc_hi, v9
	v_and_b32_e32 v64, exec_lo, v8
	v_lshlrev_b32_e32 v9, 30, v63
	v_mov_b32_e32 v8, v1
	v_cmp_gt_i64_e32 vcc, 0, v[8:9]
	v_not_b32_e32 v8, v9
	v_ashrrev_i32_e32 v8, 31, v8
	v_and_b32_e32 v0, exec_hi, v0
	v_xor_b32_e32 v9, vcc_hi, v8
	v_xor_b32_e32 v8, vcc_lo, v8
	v_and_b32_e32 v0, v0, v9
	v_and_b32_e32 v64, v64, v8
	v_lshlrev_b32_e32 v9, 29, v63
	v_mov_b32_e32 v8, v1
	v_cmp_gt_i64_e32 vcc, 0, v[8:9]
	v_not_b32_e32 v8, v9
	v_ashrrev_i32_e32 v8, 31, v8
	v_xor_b32_e32 v9, vcc_hi, v8
	v_xor_b32_e32 v8, vcc_lo, v8
	v_and_b32_e32 v0, v0, v9
	v_and_b32_e32 v64, v64, v8
	v_lshlrev_b32_e32 v9, 28, v63
	v_mov_b32_e32 v8, v1
	v_cmp_gt_i64_e32 vcc, 0, v[8:9]
	v_not_b32_e32 v8, v9
	v_ashrrev_i32_e32 v8, 31, v8
	;; [unrolled: 9-line block ×4, first 2 shown]
	v_xor_b32_e32 v9, vcc_hi, v8
	v_xor_b32_e32 v8, vcc_lo, v8
	; wave barrier
	ds_read_b32 v59, v62 offset:32
	v_and_b32_e32 v8, v64, v8
	v_and_b32_e32 v9, v0, v9
	v_mbcnt_lo_u32_b32 v0, v8, 0
	v_mbcnt_hi_u32_b32 v63, v9, v0
	v_cmp_eq_u32_e32 vcc, 0, v63
	v_cmp_ne_u64_e64 s[0:1], 0, v[8:9]
	s_and_b64 s[2:3], s[0:1], vcc
	; wave barrier
	s_and_saveexec_b64 s[0:1], s[2:3]
	s_cbranch_execz .LBB1652_315
; %bb.314:
	v_bcnt_u32_b32 v0, v8, 0
	v_bcnt_u32_b32 v0, v9, v0
	s_waitcnt lgkmcnt(0)
	v_add_u32_e32 v0, v59, v0
	ds_write_b32 v62, v0 offset:32
.LBB1652_315:
	s_or_b64 exec, exec, s[0:1]
	s_waitcnt vmcnt(10)
	v_xor_b32_e32 v61, 0xffff8000, v61
	v_lshrrev_b32_sdwa v0, s96, v61 dst_sel:DWORD dst_unused:UNUSED_PAD src0_sel:DWORD src1_sel:WORD_0
	v_and_b32_e32 v67, s21, v0
	v_and_b32_e32 v0, 1, v67
	v_lshl_add_u64 v[8:9], v[0:1], 0, -1
	v_cmp_ne_u32_e32 vcc, 0, v0
	v_mad_u32_u24 v66, v67, 36, v24
	s_nop 0
	v_xor_b32_e32 v8, vcc_lo, v8
	v_xor_b32_e32 v0, vcc_hi, v9
	v_and_b32_e32 v68, exec_lo, v8
	v_lshlrev_b32_e32 v9, 30, v67
	v_mov_b32_e32 v8, v1
	v_cmp_gt_i64_e32 vcc, 0, v[8:9]
	v_not_b32_e32 v8, v9
	v_ashrrev_i32_e32 v8, 31, v8
	v_and_b32_e32 v0, exec_hi, v0
	v_xor_b32_e32 v9, vcc_hi, v8
	v_xor_b32_e32 v8, vcc_lo, v8
	v_and_b32_e32 v0, v0, v9
	v_and_b32_e32 v68, v68, v8
	v_lshlrev_b32_e32 v9, 29, v67
	v_mov_b32_e32 v8, v1
	v_cmp_gt_i64_e32 vcc, 0, v[8:9]
	v_not_b32_e32 v8, v9
	v_ashrrev_i32_e32 v8, 31, v8
	v_xor_b32_e32 v9, vcc_hi, v8
	v_xor_b32_e32 v8, vcc_lo, v8
	v_and_b32_e32 v0, v0, v9
	v_and_b32_e32 v68, v68, v8
	v_lshlrev_b32_e32 v9, 28, v67
	v_mov_b32_e32 v8, v1
	v_cmp_gt_i64_e32 vcc, 0, v[8:9]
	v_not_b32_e32 v8, v9
	v_ashrrev_i32_e32 v8, 31, v8
	;; [unrolled: 9-line block ×3, first 2 shown]
	v_xor_b32_e32 v9, vcc_hi, v8
	v_xor_b32_e32 v8, vcc_lo, v8
	v_and_b32_e32 v0, v0, v9
	v_lshlrev_b32_e32 v9, 26, v67
	v_and_b32_e32 v68, v68, v8
	v_mov_b32_e32 v8, v1
	v_not_b32_e32 v1, v9
	v_cmp_gt_i64_e32 vcc, 0, v[8:9]
	v_ashrrev_i32_e32 v1, 31, v1
	; wave barrier
	s_nop 0
	v_xor_b32_e32 v8, vcc_hi, v1
	v_xor_b32_e32 v9, vcc_lo, v1
	ds_read_b32 v64, v66 offset:32
	v_and_b32_e32 v1, v0, v8
	v_and_b32_e32 v0, v68, v9
	v_mbcnt_lo_u32_b32 v8, v0, 0
	v_mbcnt_hi_u32_b32 v67, v1, v8
	v_cmp_eq_u32_e32 vcc, 0, v67
	v_cmp_ne_u64_e64 s[0:1], 0, v[0:1]
	s_and_b64 s[2:3], s[0:1], vcc
	; wave barrier
	s_and_saveexec_b64 s[0:1], s[2:3]
	s_cbranch_execz .LBB1652_317
; %bb.316:
	v_bcnt_u32_b32 v0, v0, 0
	v_bcnt_u32_b32 v0, v1, v0
	s_waitcnt lgkmcnt(0)
	v_add_u32_e32 v0, v64, v0
	ds_write_b32 v66, v0 offset:32
.LBB1652_317:
	s_or_b64 exec, exec, s[0:1]
	s_waitcnt vmcnt(9)
	v_xor_b32_e32 v65, 0xffff8000, v65
	v_lshrrev_b32_sdwa v0, s96, v65 dst_sel:DWORD dst_unused:UNUSED_PAD src0_sel:DWORD src1_sel:WORD_0
	v_and_b32_e32 v70, s21, v0
	v_and_b32_e32 v0, 1, v70
	v_mov_b32_e32 v1, 0
	v_lshl_add_u64 v[8:9], v[0:1], 0, -1
	v_cmp_ne_u32_e32 vcc, 0, v0
	v_mad_u32_u24 v69, v70, 36, v24
	s_nop 0
	v_xor_b32_e32 v8, vcc_lo, v8
	v_xor_b32_e32 v0, vcc_hi, v9
	v_and_b32_e32 v71, exec_lo, v8
	v_lshlrev_b32_e32 v9, 30, v70
	v_mov_b32_e32 v8, v1
	v_cmp_gt_i64_e32 vcc, 0, v[8:9]
	v_not_b32_e32 v8, v9
	v_ashrrev_i32_e32 v8, 31, v8
	v_and_b32_e32 v0, exec_hi, v0
	v_xor_b32_e32 v9, vcc_hi, v8
	v_xor_b32_e32 v8, vcc_lo, v8
	v_and_b32_e32 v0, v0, v9
	v_and_b32_e32 v71, v71, v8
	v_lshlrev_b32_e32 v9, 29, v70
	v_mov_b32_e32 v8, v1
	v_cmp_gt_i64_e32 vcc, 0, v[8:9]
	v_not_b32_e32 v8, v9
	v_ashrrev_i32_e32 v8, 31, v8
	v_xor_b32_e32 v9, vcc_hi, v8
	v_xor_b32_e32 v8, vcc_lo, v8
	v_and_b32_e32 v0, v0, v9
	v_and_b32_e32 v71, v71, v8
	v_lshlrev_b32_e32 v9, 28, v70
	v_mov_b32_e32 v8, v1
	v_cmp_gt_i64_e32 vcc, 0, v[8:9]
	v_not_b32_e32 v8, v9
	v_ashrrev_i32_e32 v8, 31, v8
	;; [unrolled: 9-line block ×4, first 2 shown]
	v_xor_b32_e32 v9, vcc_hi, v8
	v_xor_b32_e32 v8, vcc_lo, v8
	; wave barrier
	ds_read_b32 v68, v69 offset:32
	v_and_b32_e32 v8, v71, v8
	v_and_b32_e32 v9, v0, v9
	v_mbcnt_lo_u32_b32 v0, v8, 0
	v_mbcnt_hi_u32_b32 v70, v9, v0
	v_cmp_eq_u32_e32 vcc, 0, v70
	v_cmp_ne_u64_e64 s[0:1], 0, v[8:9]
	s_and_b64 s[2:3], s[0:1], vcc
	; wave barrier
	s_and_saveexec_b64 s[0:1], s[2:3]
	s_cbranch_execz .LBB1652_319
; %bb.318:
	v_bcnt_u32_b32 v0, v8, 0
	v_bcnt_u32_b32 v0, v9, v0
	s_waitcnt lgkmcnt(0)
	v_add_u32_e32 v0, v68, v0
	ds_write_b32 v69, v0 offset:32
.LBB1652_319:
	s_or_b64 exec, exec, s[0:1]
	s_waitcnt vmcnt(8)
	v_xor_b32_e32 v60, 0xffff8000, v60
	v_lshrrev_b32_sdwa v0, s96, v60 dst_sel:DWORD dst_unused:UNUSED_PAD src0_sel:DWORD src1_sel:WORD_0
	v_and_b32_e32 v73, s21, v0
	v_and_b32_e32 v0, 1, v73
	v_lshl_add_u64 v[8:9], v[0:1], 0, -1
	v_cmp_ne_u32_e32 vcc, 0, v0
	v_mad_u32_u24 v72, v73, 36, v24
	s_nop 0
	v_xor_b32_e32 v8, vcc_lo, v8
	v_xor_b32_e32 v0, vcc_hi, v9
	v_and_b32_e32 v74, exec_lo, v8
	v_lshlrev_b32_e32 v9, 30, v73
	v_mov_b32_e32 v8, v1
	v_cmp_gt_i64_e32 vcc, 0, v[8:9]
	v_not_b32_e32 v8, v9
	v_ashrrev_i32_e32 v8, 31, v8
	v_and_b32_e32 v0, exec_hi, v0
	v_xor_b32_e32 v9, vcc_hi, v8
	v_xor_b32_e32 v8, vcc_lo, v8
	v_and_b32_e32 v0, v0, v9
	v_and_b32_e32 v74, v74, v8
	v_lshlrev_b32_e32 v9, 29, v73
	v_mov_b32_e32 v8, v1
	v_cmp_gt_i64_e32 vcc, 0, v[8:9]
	v_not_b32_e32 v8, v9
	v_ashrrev_i32_e32 v8, 31, v8
	v_xor_b32_e32 v9, vcc_hi, v8
	v_xor_b32_e32 v8, vcc_lo, v8
	v_and_b32_e32 v0, v0, v9
	v_and_b32_e32 v74, v74, v8
	v_lshlrev_b32_e32 v9, 28, v73
	v_mov_b32_e32 v8, v1
	v_cmp_gt_i64_e32 vcc, 0, v[8:9]
	v_not_b32_e32 v8, v9
	v_ashrrev_i32_e32 v8, 31, v8
	;; [unrolled: 9-line block ×3, first 2 shown]
	v_xor_b32_e32 v9, vcc_hi, v8
	v_xor_b32_e32 v8, vcc_lo, v8
	v_and_b32_e32 v0, v0, v9
	v_lshlrev_b32_e32 v9, 26, v73
	v_and_b32_e32 v74, v74, v8
	v_mov_b32_e32 v8, v1
	v_not_b32_e32 v1, v9
	v_cmp_gt_i64_e32 vcc, 0, v[8:9]
	v_ashrrev_i32_e32 v1, 31, v1
	; wave barrier
	s_nop 0
	v_xor_b32_e32 v8, vcc_hi, v1
	v_xor_b32_e32 v9, vcc_lo, v1
	ds_read_b32 v71, v72 offset:32
	v_and_b32_e32 v1, v0, v8
	v_and_b32_e32 v0, v74, v9
	v_mbcnt_lo_u32_b32 v8, v0, 0
	v_mbcnt_hi_u32_b32 v73, v1, v8
	v_cmp_eq_u32_e32 vcc, 0, v73
	v_cmp_ne_u64_e64 s[0:1], 0, v[0:1]
	s_and_b64 s[2:3], s[0:1], vcc
	; wave barrier
	s_and_saveexec_b64 s[0:1], s[2:3]
	s_cbranch_execz .LBB1652_321
; %bb.320:
	v_bcnt_u32_b32 v0, v0, 0
	v_bcnt_u32_b32 v0, v1, v0
	s_waitcnt lgkmcnt(0)
	v_add_u32_e32 v0, v71, v0
	ds_write_b32 v72, v0 offset:32
.LBB1652_321:
	s_or_b64 exec, exec, s[0:1]
	s_waitcnt vmcnt(7)
	v_xor_b32_e32 v55, 0xffff8000, v55
	v_lshrrev_b32_sdwa v0, s96, v55 dst_sel:DWORD dst_unused:UNUSED_PAD src0_sel:DWORD src1_sel:WORD_0
	v_and_b32_e32 v76, s21, v0
	v_and_b32_e32 v0, 1, v76
	v_mov_b32_e32 v1, 0
	v_lshl_add_u64 v[8:9], v[0:1], 0, -1
	v_cmp_ne_u32_e32 vcc, 0, v0
	v_mad_u32_u24 v75, v76, 36, v24
	s_nop 0
	v_xor_b32_e32 v8, vcc_lo, v8
	v_xor_b32_e32 v0, vcc_hi, v9
	v_and_b32_e32 v77, exec_lo, v8
	v_lshlrev_b32_e32 v9, 30, v76
	v_mov_b32_e32 v8, v1
	v_cmp_gt_i64_e32 vcc, 0, v[8:9]
	v_not_b32_e32 v8, v9
	v_ashrrev_i32_e32 v8, 31, v8
	v_and_b32_e32 v0, exec_hi, v0
	v_xor_b32_e32 v9, vcc_hi, v8
	v_xor_b32_e32 v8, vcc_lo, v8
	v_and_b32_e32 v0, v0, v9
	v_and_b32_e32 v77, v77, v8
	v_lshlrev_b32_e32 v9, 29, v76
	v_mov_b32_e32 v8, v1
	v_cmp_gt_i64_e32 vcc, 0, v[8:9]
	v_not_b32_e32 v8, v9
	v_ashrrev_i32_e32 v8, 31, v8
	v_xor_b32_e32 v9, vcc_hi, v8
	v_xor_b32_e32 v8, vcc_lo, v8
	v_and_b32_e32 v0, v0, v9
	v_and_b32_e32 v77, v77, v8
	v_lshlrev_b32_e32 v9, 28, v76
	v_mov_b32_e32 v8, v1
	v_cmp_gt_i64_e32 vcc, 0, v[8:9]
	v_not_b32_e32 v8, v9
	v_ashrrev_i32_e32 v8, 31, v8
	;; [unrolled: 9-line block ×4, first 2 shown]
	v_xor_b32_e32 v9, vcc_hi, v8
	v_xor_b32_e32 v8, vcc_lo, v8
	; wave barrier
	ds_read_b32 v74, v75 offset:32
	v_and_b32_e32 v8, v77, v8
	v_and_b32_e32 v9, v0, v9
	v_mbcnt_lo_u32_b32 v0, v8, 0
	v_mbcnt_hi_u32_b32 v76, v9, v0
	v_cmp_eq_u32_e32 vcc, 0, v76
	v_cmp_ne_u64_e64 s[0:1], 0, v[8:9]
	s_and_b64 s[2:3], s[0:1], vcc
	; wave barrier
	s_and_saveexec_b64 s[0:1], s[2:3]
	s_cbranch_execz .LBB1652_323
; %bb.322:
	v_bcnt_u32_b32 v0, v8, 0
	v_bcnt_u32_b32 v0, v9, v0
	s_waitcnt lgkmcnt(0)
	v_add_u32_e32 v0, v74, v0
	ds_write_b32 v75, v0 offset:32
.LBB1652_323:
	s_or_b64 exec, exec, s[0:1]
	s_waitcnt vmcnt(6)
	v_xor_b32_e32 v50, 0xffff8000, v50
	v_lshrrev_b32_sdwa v0, s96, v50 dst_sel:DWORD dst_unused:UNUSED_PAD src0_sel:DWORD src1_sel:WORD_0
	v_and_b32_e32 v79, s21, v0
	v_and_b32_e32 v0, 1, v79
	v_lshl_add_u64 v[8:9], v[0:1], 0, -1
	v_cmp_ne_u32_e32 vcc, 0, v0
	v_mad_u32_u24 v78, v79, 36, v24
	s_nop 0
	v_xor_b32_e32 v8, vcc_lo, v8
	v_xor_b32_e32 v0, vcc_hi, v9
	v_and_b32_e32 v80, exec_lo, v8
	v_lshlrev_b32_e32 v9, 30, v79
	v_mov_b32_e32 v8, v1
	v_cmp_gt_i64_e32 vcc, 0, v[8:9]
	v_not_b32_e32 v8, v9
	v_ashrrev_i32_e32 v8, 31, v8
	v_and_b32_e32 v0, exec_hi, v0
	v_xor_b32_e32 v9, vcc_hi, v8
	v_xor_b32_e32 v8, vcc_lo, v8
	v_and_b32_e32 v0, v0, v9
	v_and_b32_e32 v80, v80, v8
	v_lshlrev_b32_e32 v9, 29, v79
	v_mov_b32_e32 v8, v1
	v_cmp_gt_i64_e32 vcc, 0, v[8:9]
	v_not_b32_e32 v8, v9
	v_ashrrev_i32_e32 v8, 31, v8
	v_xor_b32_e32 v9, vcc_hi, v8
	v_xor_b32_e32 v8, vcc_lo, v8
	v_and_b32_e32 v0, v0, v9
	v_and_b32_e32 v80, v80, v8
	v_lshlrev_b32_e32 v9, 28, v79
	v_mov_b32_e32 v8, v1
	v_cmp_gt_i64_e32 vcc, 0, v[8:9]
	v_not_b32_e32 v8, v9
	v_ashrrev_i32_e32 v8, 31, v8
	;; [unrolled: 9-line block ×3, first 2 shown]
	v_xor_b32_e32 v9, vcc_hi, v8
	v_xor_b32_e32 v8, vcc_lo, v8
	v_and_b32_e32 v0, v0, v9
	v_lshlrev_b32_e32 v9, 26, v79
	v_and_b32_e32 v80, v80, v8
	v_mov_b32_e32 v8, v1
	v_not_b32_e32 v1, v9
	v_cmp_gt_i64_e32 vcc, 0, v[8:9]
	v_ashrrev_i32_e32 v1, 31, v1
	; wave barrier
	s_nop 0
	v_xor_b32_e32 v8, vcc_hi, v1
	v_xor_b32_e32 v9, vcc_lo, v1
	ds_read_b32 v77, v78 offset:32
	v_and_b32_e32 v1, v0, v8
	v_and_b32_e32 v0, v80, v9
	v_mbcnt_lo_u32_b32 v8, v0, 0
	v_mbcnt_hi_u32_b32 v79, v1, v8
	v_cmp_eq_u32_e32 vcc, 0, v79
	v_cmp_ne_u64_e64 s[0:1], 0, v[0:1]
	s_and_b64 s[2:3], s[0:1], vcc
	; wave barrier
	s_and_saveexec_b64 s[0:1], s[2:3]
	s_cbranch_execz .LBB1652_325
; %bb.324:
	v_bcnt_u32_b32 v0, v0, 0
	v_bcnt_u32_b32 v0, v1, v0
	s_waitcnt lgkmcnt(0)
	v_add_u32_e32 v0, v77, v0
	ds_write_b32 v78, v0 offset:32
.LBB1652_325:
	s_or_b64 exec, exec, s[0:1]
	s_waitcnt vmcnt(5)
	v_xor_b32_e32 v45, 0xffff8000, v45
	v_lshrrev_b32_sdwa v0, s96, v45 dst_sel:DWORD dst_unused:UNUSED_PAD src0_sel:DWORD src1_sel:WORD_0
	v_and_b32_e32 v81, s21, v0
	v_and_b32_e32 v0, 1, v81
	v_mov_b32_e32 v1, 0
	v_lshl_add_u64 v[8:9], v[0:1], 0, -1
	v_cmp_ne_u32_e32 vcc, 0, v0
	v_mad_u32_u24 v82, v81, 36, v24
	s_nop 0
	v_xor_b32_e32 v8, vcc_lo, v8
	v_xor_b32_e32 v0, vcc_hi, v9
	v_and_b32_e32 v83, exec_lo, v8
	v_lshlrev_b32_e32 v9, 30, v81
	v_mov_b32_e32 v8, v1
	v_cmp_gt_i64_e32 vcc, 0, v[8:9]
	v_not_b32_e32 v8, v9
	v_ashrrev_i32_e32 v8, 31, v8
	v_and_b32_e32 v0, exec_hi, v0
	v_xor_b32_e32 v9, vcc_hi, v8
	v_xor_b32_e32 v8, vcc_lo, v8
	v_and_b32_e32 v0, v0, v9
	v_and_b32_e32 v83, v83, v8
	v_lshlrev_b32_e32 v9, 29, v81
	v_mov_b32_e32 v8, v1
	v_cmp_gt_i64_e32 vcc, 0, v[8:9]
	v_not_b32_e32 v8, v9
	v_ashrrev_i32_e32 v8, 31, v8
	v_xor_b32_e32 v9, vcc_hi, v8
	v_xor_b32_e32 v8, vcc_lo, v8
	v_and_b32_e32 v0, v0, v9
	v_and_b32_e32 v83, v83, v8
	v_lshlrev_b32_e32 v9, 28, v81
	v_mov_b32_e32 v8, v1
	v_cmp_gt_i64_e32 vcc, 0, v[8:9]
	v_not_b32_e32 v8, v9
	v_ashrrev_i32_e32 v8, 31, v8
	;; [unrolled: 9-line block ×4, first 2 shown]
	v_xor_b32_e32 v9, vcc_hi, v8
	v_xor_b32_e32 v8, vcc_lo, v8
	; wave barrier
	ds_read_b32 v80, v82 offset:32
	v_and_b32_e32 v8, v83, v8
	v_and_b32_e32 v9, v0, v9
	v_mbcnt_lo_u32_b32 v0, v8, 0
	v_mbcnt_hi_u32_b32 v83, v9, v0
	v_cmp_eq_u32_e32 vcc, 0, v83
	v_cmp_ne_u64_e64 s[0:1], 0, v[8:9]
	s_and_b64 s[2:3], s[0:1], vcc
	; wave barrier
	s_and_saveexec_b64 s[0:1], s[2:3]
	s_cbranch_execz .LBB1652_327
; %bb.326:
	v_bcnt_u32_b32 v0, v8, 0
	v_bcnt_u32_b32 v0, v9, v0
	s_waitcnt lgkmcnt(0)
	v_add_u32_e32 v0, v80, v0
	ds_write_b32 v82, v0 offset:32
.LBB1652_327:
	s_or_b64 exec, exec, s[0:1]
	s_waitcnt vmcnt(4)
	v_xor_b32_e32 v81, 0xffff8000, v40
	v_lshrrev_b32_sdwa v0, s96, v81 dst_sel:DWORD dst_unused:UNUSED_PAD src0_sel:DWORD src1_sel:WORD_0
	v_and_b32_e32 v85, s21, v0
	v_and_b32_e32 v0, 1, v85
	v_lshl_add_u64 v[8:9], v[0:1], 0, -1
	v_cmp_ne_u32_e32 vcc, 0, v0
	v_mad_u32_u24 v40, v85, 36, v24
	s_nop 0
	v_xor_b32_e32 v8, vcc_lo, v8
	v_xor_b32_e32 v0, vcc_hi, v9
	v_and_b32_e32 v86, exec_lo, v8
	v_lshlrev_b32_e32 v9, 30, v85
	v_mov_b32_e32 v8, v1
	v_cmp_gt_i64_e32 vcc, 0, v[8:9]
	v_not_b32_e32 v8, v9
	v_ashrrev_i32_e32 v8, 31, v8
	v_and_b32_e32 v0, exec_hi, v0
	v_xor_b32_e32 v9, vcc_hi, v8
	v_xor_b32_e32 v8, vcc_lo, v8
	v_and_b32_e32 v0, v0, v9
	v_and_b32_e32 v86, v86, v8
	v_lshlrev_b32_e32 v9, 29, v85
	v_mov_b32_e32 v8, v1
	v_cmp_gt_i64_e32 vcc, 0, v[8:9]
	v_not_b32_e32 v8, v9
	v_ashrrev_i32_e32 v8, 31, v8
	v_xor_b32_e32 v9, vcc_hi, v8
	v_xor_b32_e32 v8, vcc_lo, v8
	v_and_b32_e32 v0, v0, v9
	v_and_b32_e32 v86, v86, v8
	v_lshlrev_b32_e32 v9, 28, v85
	v_mov_b32_e32 v8, v1
	v_cmp_gt_i64_e32 vcc, 0, v[8:9]
	v_not_b32_e32 v8, v9
	v_ashrrev_i32_e32 v8, 31, v8
	;; [unrolled: 9-line block ×3, first 2 shown]
	v_xor_b32_e32 v9, vcc_hi, v8
	v_xor_b32_e32 v8, vcc_lo, v8
	v_and_b32_e32 v0, v0, v9
	v_lshlrev_b32_e32 v9, 26, v85
	v_and_b32_e32 v86, v86, v8
	v_mov_b32_e32 v8, v1
	v_not_b32_e32 v1, v9
	v_cmp_gt_i64_e32 vcc, 0, v[8:9]
	v_ashrrev_i32_e32 v1, 31, v1
	; wave barrier
	s_nop 0
	v_xor_b32_e32 v8, vcc_hi, v1
	v_xor_b32_e32 v9, vcc_lo, v1
	ds_read_b32 v84, v40 offset:32
	v_and_b32_e32 v1, v0, v8
	v_and_b32_e32 v0, v86, v9
	v_mbcnt_lo_u32_b32 v8, v0, 0
	v_mbcnt_hi_u32_b32 v86, v1, v8
	v_cmp_eq_u32_e32 vcc, 0, v86
	v_cmp_ne_u64_e64 s[0:1], 0, v[0:1]
	s_and_b64 s[2:3], s[0:1], vcc
	; wave barrier
	s_and_saveexec_b64 s[0:1], s[2:3]
	s_cbranch_execz .LBB1652_329
; %bb.328:
	v_bcnt_u32_b32 v0, v0, 0
	v_bcnt_u32_b32 v0, v1, v0
	s_waitcnt lgkmcnt(0)
	v_add_u32_e32 v0, v84, v0
	ds_write_b32 v40, v0 offset:32
.LBB1652_329:
	s_or_b64 exec, exec, s[0:1]
	s_waitcnt vmcnt(3)
	v_xor_b32_e32 v85, 0xffff8000, v35
	v_lshrrev_b32_sdwa v0, s96, v85 dst_sel:DWORD dst_unused:UNUSED_PAD src0_sel:DWORD src1_sel:WORD_0
	v_and_b32_e32 v88, s21, v0
	v_and_b32_e32 v0, 1, v88
	v_mov_b32_e32 v1, 0
	v_lshl_add_u64 v[8:9], v[0:1], 0, -1
	v_cmp_ne_u32_e32 vcc, 0, v0
	v_mad_u32_u24 v35, v88, 36, v24
	s_nop 0
	v_xor_b32_e32 v8, vcc_lo, v8
	v_xor_b32_e32 v0, vcc_hi, v9
	v_and_b32_e32 v89, exec_lo, v8
	v_lshlrev_b32_e32 v9, 30, v88
	v_mov_b32_e32 v8, v1
	v_cmp_gt_i64_e32 vcc, 0, v[8:9]
	v_not_b32_e32 v8, v9
	v_ashrrev_i32_e32 v8, 31, v8
	v_and_b32_e32 v0, exec_hi, v0
	v_xor_b32_e32 v9, vcc_hi, v8
	v_xor_b32_e32 v8, vcc_lo, v8
	v_and_b32_e32 v0, v0, v9
	v_and_b32_e32 v89, v89, v8
	v_lshlrev_b32_e32 v9, 29, v88
	v_mov_b32_e32 v8, v1
	v_cmp_gt_i64_e32 vcc, 0, v[8:9]
	v_not_b32_e32 v8, v9
	v_ashrrev_i32_e32 v8, 31, v8
	v_xor_b32_e32 v9, vcc_hi, v8
	v_xor_b32_e32 v8, vcc_lo, v8
	v_and_b32_e32 v0, v0, v9
	v_and_b32_e32 v89, v89, v8
	v_lshlrev_b32_e32 v9, 28, v88
	v_mov_b32_e32 v8, v1
	v_cmp_gt_i64_e32 vcc, 0, v[8:9]
	v_not_b32_e32 v8, v9
	v_ashrrev_i32_e32 v8, 31, v8
	;; [unrolled: 9-line block ×4, first 2 shown]
	v_xor_b32_e32 v9, vcc_hi, v8
	v_xor_b32_e32 v8, vcc_lo, v8
	; wave barrier
	ds_read_b32 v87, v35 offset:32
	v_and_b32_e32 v8, v89, v8
	v_and_b32_e32 v9, v0, v9
	v_mbcnt_lo_u32_b32 v0, v8, 0
	v_mbcnt_hi_u32_b32 v89, v9, v0
	v_cmp_eq_u32_e32 vcc, 0, v89
	v_cmp_ne_u64_e64 s[0:1], 0, v[8:9]
	s_and_b64 s[2:3], s[0:1], vcc
	; wave barrier
	s_and_saveexec_b64 s[0:1], s[2:3]
	s_cbranch_execz .LBB1652_331
; %bb.330:
	v_bcnt_u32_b32 v0, v8, 0
	v_bcnt_u32_b32 v0, v9, v0
	s_waitcnt lgkmcnt(0)
	v_add_u32_e32 v0, v87, v0
	ds_write_b32 v35, v0 offset:32
.LBB1652_331:
	s_or_b64 exec, exec, s[0:1]
	s_waitcnt vmcnt(2)
	v_xor_b32_e32 v88, 0xffff8000, v30
	v_lshrrev_b32_sdwa v0, s96, v88 dst_sel:DWORD dst_unused:UNUSED_PAD src0_sel:DWORD src1_sel:WORD_0
	v_and_b32_e32 v90, s21, v0
	v_and_b32_e32 v0, 1, v90
	v_lshl_add_u64 v[8:9], v[0:1], 0, -1
	v_cmp_ne_u32_e32 vcc, 0, v0
	v_mad_u32_u24 v91, v90, 36, v24
	s_nop 0
	v_xor_b32_e32 v8, vcc_lo, v8
	v_xor_b32_e32 v0, vcc_hi, v9
	v_and_b32_e32 v92, exec_lo, v8
	v_lshlrev_b32_e32 v9, 30, v90
	v_mov_b32_e32 v8, v1
	v_cmp_gt_i64_e32 vcc, 0, v[8:9]
	v_not_b32_e32 v8, v9
	v_ashrrev_i32_e32 v8, 31, v8
	v_and_b32_e32 v0, exec_hi, v0
	v_xor_b32_e32 v9, vcc_hi, v8
	v_xor_b32_e32 v8, vcc_lo, v8
	v_and_b32_e32 v0, v0, v9
	v_and_b32_e32 v92, v92, v8
	v_lshlrev_b32_e32 v9, 29, v90
	v_mov_b32_e32 v8, v1
	v_cmp_gt_i64_e32 vcc, 0, v[8:9]
	v_not_b32_e32 v8, v9
	v_ashrrev_i32_e32 v8, 31, v8
	v_xor_b32_e32 v9, vcc_hi, v8
	v_xor_b32_e32 v8, vcc_lo, v8
	v_and_b32_e32 v0, v0, v9
	v_and_b32_e32 v92, v92, v8
	v_lshlrev_b32_e32 v9, 28, v90
	v_mov_b32_e32 v8, v1
	v_cmp_gt_i64_e32 vcc, 0, v[8:9]
	v_not_b32_e32 v8, v9
	v_ashrrev_i32_e32 v8, 31, v8
	;; [unrolled: 9-line block ×3, first 2 shown]
	v_xor_b32_e32 v9, vcc_hi, v8
	v_xor_b32_e32 v8, vcc_lo, v8
	v_and_b32_e32 v0, v0, v9
	v_lshlrev_b32_e32 v9, 26, v90
	v_and_b32_e32 v92, v92, v8
	v_mov_b32_e32 v8, v1
	v_not_b32_e32 v1, v9
	v_cmp_gt_i64_e32 vcc, 0, v[8:9]
	v_ashrrev_i32_e32 v1, 31, v1
	; wave barrier
	s_nop 0
	v_xor_b32_e32 v8, vcc_hi, v1
	v_xor_b32_e32 v9, vcc_lo, v1
	ds_read_b32 v30, v91 offset:32
	v_and_b32_e32 v1, v0, v8
	v_and_b32_e32 v0, v92, v9
	v_mbcnt_lo_u32_b32 v8, v0, 0
	v_mbcnt_hi_u32_b32 v92, v1, v8
	v_cmp_eq_u32_e32 vcc, 0, v92
	v_cmp_ne_u64_e64 s[0:1], 0, v[0:1]
	s_and_b64 s[2:3], s[0:1], vcc
	; wave barrier
	s_and_saveexec_b64 s[0:1], s[2:3]
	s_cbranch_execz .LBB1652_333
; %bb.332:
	v_bcnt_u32_b32 v0, v0, 0
	v_bcnt_u32_b32 v0, v1, v0
	s_waitcnt lgkmcnt(0)
	v_add_u32_e32 v0, v30, v0
	ds_write_b32 v91, v0 offset:32
.LBB1652_333:
	s_or_b64 exec, exec, s[0:1]
	s_waitcnt vmcnt(1)
	v_xor_b32_e32 v90, 0xffff8000, v25
	v_lshrrev_b32_sdwa v0, s96, v90 dst_sel:DWORD dst_unused:UNUSED_PAD src0_sel:DWORD src1_sel:WORD_0
	v_and_b32_e32 v94, s21, v0
	v_and_b32_e32 v0, 1, v94
	v_mov_b32_e32 v1, 0
	v_lshl_add_u64 v[8:9], v[0:1], 0, -1
	v_cmp_ne_u32_e32 vcc, 0, v0
	v_mad_u32_u24 v25, v94, 36, v24
	s_nop 0
	v_xor_b32_e32 v8, vcc_lo, v8
	v_xor_b32_e32 v0, vcc_hi, v9
	v_and_b32_e32 v95, exec_lo, v8
	v_lshlrev_b32_e32 v9, 30, v94
	v_mov_b32_e32 v8, v1
	v_cmp_gt_i64_e32 vcc, 0, v[8:9]
	v_not_b32_e32 v8, v9
	v_ashrrev_i32_e32 v8, 31, v8
	v_and_b32_e32 v0, exec_hi, v0
	v_xor_b32_e32 v9, vcc_hi, v8
	v_xor_b32_e32 v8, vcc_lo, v8
	v_and_b32_e32 v0, v0, v9
	v_and_b32_e32 v95, v95, v8
	v_lshlrev_b32_e32 v9, 29, v94
	v_mov_b32_e32 v8, v1
	v_cmp_gt_i64_e32 vcc, 0, v[8:9]
	v_not_b32_e32 v8, v9
	v_ashrrev_i32_e32 v8, 31, v8
	v_xor_b32_e32 v9, vcc_hi, v8
	v_xor_b32_e32 v8, vcc_lo, v8
	v_and_b32_e32 v0, v0, v9
	v_and_b32_e32 v95, v95, v8
	v_lshlrev_b32_e32 v9, 28, v94
	v_mov_b32_e32 v8, v1
	v_cmp_gt_i64_e32 vcc, 0, v[8:9]
	v_not_b32_e32 v8, v9
	v_ashrrev_i32_e32 v8, 31, v8
	;; [unrolled: 9-line block ×4, first 2 shown]
	v_xor_b32_e32 v9, vcc_hi, v8
	v_xor_b32_e32 v8, vcc_lo, v8
	; wave barrier
	ds_read_b32 v93, v25 offset:32
	v_and_b32_e32 v8, v95, v8
	v_and_b32_e32 v9, v0, v9
	v_mbcnt_lo_u32_b32 v0, v8, 0
	v_mbcnt_hi_u32_b32 v94, v9, v0
	v_cmp_eq_u32_e32 vcc, 0, v94
	v_cmp_ne_u64_e64 s[0:1], 0, v[8:9]
	s_and_b64 s[2:3], s[0:1], vcc
	; wave barrier
	s_and_saveexec_b64 s[0:1], s[2:3]
	s_cbranch_execz .LBB1652_335
; %bb.334:
	v_bcnt_u32_b32 v0, v8, 0
	v_bcnt_u32_b32 v0, v9, v0
	s_waitcnt lgkmcnt(0)
	v_add_u32_e32 v0, v93, v0
	ds_write_b32 v25, v0 offset:32
.LBB1652_335:
	s_or_b64 exec, exec, s[0:1]
	s_waitcnt vmcnt(0)
	v_xor_b32_e32 v8, 0xffff8000, v19
	v_lshrrev_b32_sdwa v0, s96, v8 dst_sel:DWORD dst_unused:UNUSED_PAD src0_sel:DWORD src1_sel:WORD_0
	v_and_b32_e32 v19, s21, v0
	v_and_b32_e32 v0, 1, v19
	v_lshl_add_u64 v[96:97], v[0:1], 0, -1
	v_cmp_ne_u32_e32 vcc, 0, v0
	v_mad_u32_u24 v24, v19, 36, v24
	s_nop 0
	v_xor_b32_e32 v0, vcc_hi, v97
	v_xor_b32_e32 v95, vcc_lo, v96
	v_lshlrev_b32_e32 v97, 30, v19
	v_mov_b32_e32 v96, v1
	v_cmp_gt_i64_e32 vcc, 0, v[96:97]
	v_not_b32_e32 v96, v97
	v_ashrrev_i32_e32 v96, 31, v96
	v_and_b32_e32 v0, exec_hi, v0
	v_and_b32_e32 v95, exec_lo, v95
	v_xor_b32_e32 v97, vcc_hi, v96
	v_xor_b32_e32 v96, vcc_lo, v96
	v_and_b32_e32 v0, v0, v97
	v_and_b32_e32 v95, v95, v96
	v_lshlrev_b32_e32 v97, 29, v19
	v_mov_b32_e32 v96, v1
	v_cmp_gt_i64_e32 vcc, 0, v[96:97]
	v_not_b32_e32 v96, v97
	v_ashrrev_i32_e32 v96, 31, v96
	v_xor_b32_e32 v97, vcc_hi, v96
	v_xor_b32_e32 v96, vcc_lo, v96
	v_and_b32_e32 v0, v0, v97
	v_and_b32_e32 v95, v95, v96
	v_lshlrev_b32_e32 v97, 28, v19
	v_mov_b32_e32 v96, v1
	v_cmp_gt_i64_e32 vcc, 0, v[96:97]
	v_not_b32_e32 v96, v97
	v_ashrrev_i32_e32 v96, 31, v96
	;; [unrolled: 9-line block ×3, first 2 shown]
	v_xor_b32_e32 v97, vcc_hi, v96
	v_xor_b32_e32 v96, vcc_lo, v96
	v_and_b32_e32 v0, v0, v97
	v_lshlrev_b32_e32 v97, 26, v19
	v_and_b32_e32 v95, v95, v96
	v_mov_b32_e32 v96, v1
	v_not_b32_e32 v1, v97
	v_cmp_gt_i64_e32 vcc, 0, v[96:97]
	v_ashrrev_i32_e32 v1, 31, v1
	; wave barrier
	s_nop 0
	v_xor_b32_e32 v19, vcc_hi, v1
	v_xor_b32_e32 v96, vcc_lo, v1
	ds_read_b32 v9, v24 offset:32
	v_and_b32_e32 v1, v0, v19
	v_and_b32_e32 v0, v95, v96
	v_mbcnt_lo_u32_b32 v19, v0, 0
	v_mbcnt_hi_u32_b32 v95, v1, v19
	v_cmp_eq_u32_e32 vcc, 0, v95
	v_cmp_ne_u64_e64 s[0:1], 0, v[0:1]
	s_and_b64 s[2:3], s[0:1], vcc
	; wave barrier
	s_and_saveexec_b64 s[0:1], s[2:3]
	s_cbranch_execz .LBB1652_337
; %bb.336:
	v_bcnt_u32_b32 v0, v0, 0
	v_bcnt_u32_b32 v0, v1, v0
	s_waitcnt lgkmcnt(0)
	v_add_u32_e32 v0, v9, v0
	ds_write_b32 v24, v0 offset:32
.LBB1652_337:
	s_or_b64 exec, exec, s[0:1]
	; wave barrier
	s_waitcnt lgkmcnt(0)
	s_barrier
	ds_read_b64 v[0:1], v7 offset:32
	v_and_b32_e32 v19, 15, v3
	v_cmp_ne_u32_e32 vcc, 0, v19
	v_min_u32_e32 v10, 0x1c0, v10
	v_or_b32_e32 v10, 63, v10
	s_waitcnt lgkmcnt(0)
	v_add_u32_e32 v1, v1, v0
	s_nop 1
	v_mov_b32_dpp v96, v1 row_shr:1 row_mask:0xf bank_mask:0xf
	v_cndmask_b32_e32 v96, 0, v96, vcc
	v_add_u32_e32 v1, v96, v1
	v_cmp_lt_u32_e32 vcc, 1, v19
	s_nop 0
	v_mov_b32_dpp v96, v1 row_shr:2 row_mask:0xf bank_mask:0xf
	v_cndmask_b32_e32 v96, 0, v96, vcc
	v_add_u32_e32 v1, v1, v96
	v_cmp_lt_u32_e32 vcc, 3, v19
	;; [unrolled: 5-line block ×3, first 2 shown]
	s_nop 0
	v_mov_b32_dpp v96, v1 row_shr:8 row_mask:0xf bank_mask:0xf
	v_cndmask_b32_e32 v19, 0, v96, vcc
	v_add_u32_e32 v1, v1, v19
	v_bfe_i32 v96, v3, 4, 1
	v_cmp_lt_u32_e32 vcc, 31, v3
	v_mov_b32_dpp v19, v1 row_bcast:15 row_mask:0xf bank_mask:0xf
	v_and_b32_e32 v19, v96, v19
	v_add_u32_e32 v1, v1, v19
	v_lshrrev_b32_e32 v96, 6, v2
	s_nop 0
	v_mov_b32_dpp v19, v1 row_bcast:31 row_mask:0xf bank_mask:0xf
	v_cndmask_b32_e32 v19, 0, v19, vcc
	v_add_u32_e32 v1, v1, v19
	v_cmp_eq_u32_e32 vcc, v2, v10
	s_and_saveexec_b64 s[0:1], vcc
; %bb.338:
	v_lshlrev_b32_e32 v10, 2, v96
	ds_write_b32 v10, v1
; %bb.339:
	s_or_b64 exec, exec, s[0:1]
	v_cmp_gt_u32_e32 vcc, 8, v2
	v_lshlrev_b32_e32 v19, 2, v2
	s_waitcnt lgkmcnt(0)
	s_barrier
	s_and_saveexec_b64 s[0:1], vcc
	s_cbranch_execz .LBB1652_341
; %bb.340:
	ds_read_b32 v10, v19
	v_and_b32_e32 v97, 7, v3
	v_cmp_ne_u32_e32 vcc, 0, v97
	s_waitcnt lgkmcnt(0)
	v_mov_b32_dpp v98, v10 row_shr:1 row_mask:0xf bank_mask:0xf
	v_cndmask_b32_e32 v98, 0, v98, vcc
	v_add_u32_e32 v10, v98, v10
	v_cmp_lt_u32_e32 vcc, 1, v97
	s_nop 0
	v_mov_b32_dpp v98, v10 row_shr:2 row_mask:0xf bank_mask:0xf
	v_cndmask_b32_e32 v98, 0, v98, vcc
	v_add_u32_e32 v10, v10, v98
	v_cmp_lt_u32_e32 vcc, 3, v97
	s_nop 0
	v_mov_b32_dpp v98, v10 row_shr:4 row_mask:0xf bank_mask:0xf
	v_cndmask_b32_e32 v97, 0, v98, vcc
	v_add_u32_e32 v10, v10, v97
	ds_write_b32 v19, v10
.LBB1652_341:
	s_or_b64 exec, exec, s[0:1]
	v_cmp_gt_u32_e64 s[0:1], 64, v2
	v_cmp_lt_u32_e32 vcc, 63, v2
	v_mov_b32_e32 v10, 0
	s_waitcnt lgkmcnt(0)
	s_barrier
	s_and_saveexec_b64 s[2:3], vcc
; %bb.342:
	v_lshl_add_u32 v10, v96, 2, -4
	ds_read_b32 v10, v10
; %bb.343:
	s_or_b64 exec, exec, s[2:3]
	v_subrev_co_u32_e64 v96, s[2:3], 1, v3
	v_and_b32_e32 v97, 64, v3
	v_cmp_lt_i32_e64 s[4:5], v96, v97
	s_waitcnt lgkmcnt(0)
	v_add_u32_e32 v1, v10, v1
	v_cndmask_b32_e64 v3, v96, v3, s[4:5]
	v_lshlrev_b32_e32 v3, 2, v3
	ds_bpermute_b32 v1, v3, v1
                                        ; implicit-def: $vgpr3
	s_waitcnt lgkmcnt(0)
	v_cndmask_b32_e64 v1, v1, v10, s[2:3]
	v_cndmask_b32_e64 v96, v1, 0, s[94:95]
	v_add_u32_e32 v97, v96, v0
	ds_write_b64 v7, v[96:97] offset:32
	s_waitcnt lgkmcnt(0)
	s_barrier
	ds_read_b32 v0, v14 offset:32
	ds_read_b32 v1, v16 offset:32
	;; [unrolled: 1-line block ×22, first 2 shown]
                                        ; implicit-def: $vgpr14
	s_and_saveexec_b64 s[4:5], s[0:1]
	s_cbranch_execz .LBB1652_347
; %bb.344:
	v_mul_u32_u24_e32 v3, 36, v2
	ds_read_b32 v3, v3 offset:32
	v_add_u32_e32 v25, 1, v2
	v_cmp_ne_u32_e64 s[2:3], 64, v25
	v_mov_b32_e32 v14, 0x2c00
	s_and_saveexec_b64 s[8:9], s[2:3]
; %bb.345:
	v_mul_u32_u24_e32 v14, 36, v25
	ds_read_b32 v14, v14 offset:32
; %bb.346:
	s_or_b64 exec, exec, s[8:9]
	s_waitcnt lgkmcnt(0)
	v_sub_u32_e32 v14, v14, v3
.LBB1652_347:
	s_or_b64 exec, exec, s[4:5]
	s_waitcnt lgkmcnt(14)
	v_add_u32_e32 v69, v0, v12
	v_add3_u32 v66, v17, v13, v1
	v_add3_u32 v62, v22, v18, v7
	;; [unrolled: 1-line block ×7, first 2 shown]
	s_waitcnt lgkmcnt(13)
	v_add3_u32 v37, v53, v49, v37
	s_waitcnt lgkmcnt(12)
	v_add3_u32 v35, v58, v54, v96
	;; [unrolled: 2-line block ×14, first 2 shown]
	v_lshlrev_b32_e32 v63, 1, v69
	v_lshlrev_b32_e32 v59, 1, v66
	;; [unrolled: 1-line block ×8, first 2 shown]
	s_barrier
	ds_write_b16 v63, v5 offset:256
	ds_write_b16 v59, v11 offset:256
	;; [unrolled: 1-line block ×8, first 2 shown]
	v_lshlrev_b32_e32 v43, 1, v37
	v_lshlrev_b32_e32 v41, 1, v35
	;; [unrolled: 1-line block ×14, first 2 shown]
	v_mov_b32_e32 v1, 0
	ds_write_b16 v43, v46 offset:256
	ds_write_b16 v41, v51 offset:256
	;; [unrolled: 1-line block ×14, first 2 shown]
	s_and_saveexec_b64 s[2:3], s[0:1]
	s_cbranch_execz .LBB1652_357
; %bb.348:
	v_lshl_add_u32 v0, s33, 6, v2
	v_lshl_add_u64 v[8:9], v[0:1], 2, s[6:7]
	v_or_b32_e32 v0, 2.0, v14
	s_mov_b64 s[4:5], 0
	s_brev_b32 s22, -4
	s_mov_b32 s23, s33
	v_mov_b32_e32 v5, 0
	global_store_dword v[8:9], v0, off sc1
                                        ; implicit-def: $sgpr0_sgpr1
	s_branch .LBB1652_351
.LBB1652_349:                           ;   in Loop: Header=BB1652_351 Depth=1
	s_or_b64 exec, exec, s[18:19]
.LBB1652_350:                           ;   in Loop: Header=BB1652_351 Depth=1
	s_or_b64 exec, exec, s[8:9]
	v_and_b32_e32 v7, 0x3fffffff, v0
	v_add_u32_e32 v5, v7, v5
	v_cmp_gt_i32_e64 s[0:1], -2.0, v0
	s_and_b64 s[8:9], exec, s[0:1]
	s_or_b64 s[4:5], s[8:9], s[4:5]
	s_andn2_b64 exec, exec, s[4:5]
	s_cbranch_execz .LBB1652_356
.LBB1652_351:                           ; =>This Loop Header: Depth=1
                                        ;     Child Loop BB1652_354 Depth 2
	s_or_b64 s[0:1], s[0:1], exec
	s_cmp_eq_u32 s23, 0
	s_cbranch_scc1 .LBB1652_355
; %bb.352:                              ;   in Loop: Header=BB1652_351 Depth=1
	s_add_i32 s23, s23, -1
	v_lshl_or_b32 v0, s23, 6, v2
	v_lshl_add_u64 v[10:11], v[0:1], 2, s[6:7]
	global_load_dword v0, v[10:11], off sc1
	s_waitcnt vmcnt(0)
	v_cmp_gt_u32_e64 s[0:1], 2.0, v0
	s_and_saveexec_b64 s[8:9], s[0:1]
	s_cbranch_execz .LBB1652_350
; %bb.353:                              ;   in Loop: Header=BB1652_351 Depth=1
	s_mov_b64 s[18:19], 0
.LBB1652_354:                           ;   Parent Loop BB1652_351 Depth=1
                                        ; =>  This Inner Loop Header: Depth=2
	global_load_dword v0, v[10:11], off sc1
	s_waitcnt vmcnt(0)
	v_cmp_lt_u32_e64 s[0:1], s22, v0
	s_or_b64 s[18:19], s[0:1], s[18:19]
	s_andn2_b64 exec, exec, s[18:19]
	s_cbranch_execnz .LBB1652_354
	s_branch .LBB1652_349
.LBB1652_355:                           ;   in Loop: Header=BB1652_351 Depth=1
                                        ; implicit-def: $sgpr23
	s_and_b64 s[8:9], exec, s[0:1]
	s_or_b64 s[4:5], s[8:9], s[4:5]
	s_andn2_b64 exec, exec, s[4:5]
	s_cbranch_execnz .LBB1652_351
.LBB1652_356:
	s_or_b64 exec, exec, s[4:5]
	v_add_u32_e32 v0, v5, v14
	v_or_b32_e32 v0, 0x80000000, v0
	v_readlane_b32 s4, v117, 0
	global_store_dword v[8:9], v0, off sc1
	v_readlane_b32 s5, v117, 1
	v_sub_u32_e32 v1, v5, v3
	v_readlane_b32 s6, v117, 2
	v_readlane_b32 s7, v117, 3
	s_nop 1
	global_load_dword v0, v19, s[4:5]
	s_waitcnt vmcnt(0)
	v_add_u32_e32 v0, v1, v0
	ds_write_b32 v19, v0
.LBB1652_357:
	s_or_b64 exec, exec, s[2:3]
	v_lshlrev_b32_e32 v0, 1, v2
	v_sub_u32_e32 v5, v19, v0
	s_waitcnt lgkmcnt(0)
	s_barrier
	ds_read_u16 v7, v5 offset:10496
	ds_read_u16 v82, v5 offset:11520
	;; [unrolled: 1-line block ×12, first 2 shown]
	s_waitcnt lgkmcnt(8)
	v_lshrrev_b32_sdwa v1, s96, v84 dst_sel:DWORD dst_unused:UNUSED_PAD src0_sel:DWORD src1_sel:WORD_0
	s_waitcnt lgkmcnt(5)
	v_lshrrev_b32_sdwa v8, s96, v87 dst_sel:DWORD dst_unused:UNUSED_PAD src0_sel:DWORD src1_sel:WORD_0
	v_and_b32_e32 v1, s21, v1
	s_waitcnt lgkmcnt(3)
	v_lshrrev_b32_sdwa v9, s96, v99 dst_sel:DWORD dst_unused:UNUSED_PAD src0_sel:DWORD src1_sel:WORD_0
	v_and_b32_e32 v9, s21, v9
	v_lshlrev_b32_e32 v45, 2, v9
	s_waitcnt lgkmcnt(2)
	v_lshrrev_b32_sdwa v9, s96, v100 dst_sel:DWORD dst_unused:UNUSED_PAD src0_sel:DWORD src1_sel:WORD_0
	v_and_b32_e32 v9, s21, v9
	v_lshlrev_b32_e32 v11, 2, v9
	;; [unrolled: 4-line block ×3, first 2 shown]
	s_waitcnt lgkmcnt(0)
	v_lshrrev_b32_sdwa v9, s96, v102 dst_sel:DWORD dst_unused:UNUSED_PAD src0_sel:DWORD src1_sel:WORD_0
	v_and_b32_e32 v8, s21, v8
	v_and_b32_e32 v9, s21, v9
	v_lshlrev_b32_e32 v1, 2, v1
	v_lshlrev_b32_e32 v8, 2, v8
	;; [unrolled: 1-line block ×3, first 2 shown]
	ds_read_u16 v46, v5 offset:256
	ds_read_u16 v56, v5 offset:1280
	ds_read_b32 v103, v1
	ds_read_b32 v104, v8
	;; [unrolled: 1-line block ×6, first 2 shown]
	s_waitcnt lgkmcnt(7)
	v_lshrrev_b32_sdwa v50, s96, v46 dst_sel:DWORD dst_unused:UNUSED_PAD src0_sel:DWORD src1_sel:WORD_0
	v_and_b32_e32 v50, s21, v50
	v_lshlrev_b32_e32 v95, 2, v50
	s_waitcnt lgkmcnt(6)
	v_lshrrev_b32_sdwa v50, s96, v56 dst_sel:DWORD dst_unused:UNUSED_PAD src0_sel:DWORD src1_sel:WORD_0
	v_and_b32_e32 v50, s21, v50
	v_lshlrev_b32_e32 v92, 2, v50
	ds_read_u16 v61, v5 offset:2304
	ds_read_u16 v64, v5 offset:3328
	;; [unrolled: 1-line block ×8, first 2 shown]
	s_waitcnt lgkmcnt(7)
	v_lshrrev_b32_sdwa v50, s96, v61 dst_sel:DWORD dst_unused:UNUSED_PAD src0_sel:DWORD src1_sel:WORD_0
	v_and_b32_e32 v50, s21, v50
	v_lshlrev_b32_e32 v94, 2, v50
	s_waitcnt lgkmcnt(6)
	v_lshrrev_b32_sdwa v50, s96, v64 dst_sel:DWORD dst_unused:UNUSED_PAD src0_sel:DWORD src1_sel:WORD_0
	v_and_b32_e32 v50, s21, v50
	v_lshlrev_b32_e32 v93, 2, v50
	;; [unrolled: 4-line block ×6, first 2 shown]
	ds_read_b32 v50, v95
	ds_read_b32 v60, v92
	;; [unrolled: 1-line block ×8, first 2 shown]
	s_waitcnt lgkmcnt(7)
	v_add_u32_e32 v96, v50, v2
	v_mov_b32_e32 v97, 0
	v_add_u32_e32 v55, 0x200, v2
	v_xor_b32_e32 v46, 0xffff8000, v46
	v_lshl_add_u64 v[50:51], v[96:97], 1, s[10:11]
	s_waitcnt lgkmcnt(6)
	v_add_u32_e32 v96, v60, v55
	v_or_b32_e32 v60, 0x400, v2
	global_store_short v[50:51], v46, off
	v_xor_b32_e32 v46, 0xffff8000, v56
	v_lshl_add_u64 v[50:51], v[96:97], 1, s[10:11]
	s_waitcnt lgkmcnt(5)
	v_add_u32_e32 v96, v71, v60
	global_store_short v[50:51], v46, off
	v_xor_b32_e32 v46, 0xffff8000, v61
	v_lshl_add_u64 v[50:51], v[96:97], 1, s[10:11]
	global_store_short v[50:51], v46, off
	v_add_u32_e32 v46, 0x600, v2
	s_waitcnt lgkmcnt(4)
	v_add_u32_e32 v96, v73, v46
	v_xor_b32_e32 v56, 0xffff8000, v64
	v_lshl_add_u64 v[50:51], v[96:97], 1, s[10:11]
	global_store_short v[50:51], v56, off
	v_or_b32_e32 v50, 0x800, v2
	s_waitcnt lgkmcnt(3)
	v_add_u32_e32 v96, v74, v50
	v_add_u32_e32 v56, 0xa00, v2
	v_xor_b32_e32 v51, 0xffff8000, v65
	v_lshl_add_u64 v[64:65], v[96:97], 1, s[10:11]
	s_waitcnt lgkmcnt(2)
	v_add_u32_e32 v96, v75, v56
	v_or_b32_e32 v61, 0xc00, v2
	global_store_short v[64:65], v51, off
	v_xor_b32_e32 v51, 0xffff8000, v67
	v_lshl_add_u64 v[64:65], v[96:97], 1, s[10:11]
	s_waitcnt lgkmcnt(1)
	v_add_u32_e32 v96, v76, v61
	global_store_short v[64:65], v51, off
	v_xor_b32_e32 v51, 0xffff8000, v68
	v_lshl_add_u64 v[64:65], v[96:97], 1, s[10:11]
	global_store_short v[64:65], v51, off
	v_add_u32_e32 v64, 0xe00, v2
	s_waitcnt lgkmcnt(0)
	v_add_u32_e32 v96, v77, v64
	v_xor_b32_e32 v51, 0xffff8000, v70
	v_lshl_add_u64 v[70:71], v[96:97], 1, s[10:11]
	v_lshrrev_b32_sdwa v65, s96, v72 dst_sel:DWORD dst_unused:UNUSED_PAD src0_sel:DWORD src1_sel:WORD_0
	global_store_short v[70:71], v51, off
	v_and_b32_e32 v65, s21, v65
	v_xor_b32_e32 v75, 0xffff8000, v72
	v_lshrrev_b32_sdwa v67, s96, v5 dst_sel:DWORD dst_unused:UNUSED_PAD src0_sel:DWORD src1_sel:WORD_0
	v_lshrrev_b32_sdwa v68, s96, v7 dst_sel:DWORD dst_unused:UNUSED_PAD src0_sel:DWORD src1_sel:WORD_0
	;; [unrolled: 1-line block ×7, first 2 shown]
	v_or_b32_e32 v51, 0x1000, v2
	v_lshlrev_b32_e32 v65, 2, v65
	v_and_b32_e32 v67, s21, v67
	v_and_b32_e32 v68, s21, v68
	;; [unrolled: 1-line block ×7, first 2 shown]
	v_lshlrev_b32_e32 v67, 2, v67
	v_lshlrev_b32_e32 v68, 2, v68
	;; [unrolled: 1-line block ×7, first 2 shown]
	ds_read_b32 v76, v65
	ds_read_b32 v78, v67
	;; [unrolled: 1-line block ×8, first 2 shown]
	s_waitcnt lgkmcnt(7)
	v_add_u32_e32 v96, v76, v51
	v_lshl_add_u64 v[76:77], v[96:97], 1, s[10:11]
	global_store_short v[76:77], v75, off
	v_add_u32_e32 v77, 0x1200, v2
	s_waitcnt lgkmcnt(6)
	v_add_u32_e32 v96, v78, v77
	v_xor_b32_e32 v5, 0xffff8000, v5
	v_lshl_add_u64 v[78:79], v[96:97], 1, s[10:11]
	global_store_short v[78:79], v5, off
	v_or_b32_e32 v79, 0x1400, v2
	s_waitcnt lgkmcnt(5)
	v_add_u32_e32 v96, v80, v79
	v_add_u32_e32 v75, 0x1600, v2
	v_xor_b32_e32 v5, 0xffff8000, v7
	v_lshl_add_u64 v[80:81], v[96:97], 1, s[10:11]
	s_waitcnt lgkmcnt(4)
	v_add_u32_e32 v96, v109, v75
	v_or_b32_e32 v76, 0x1800, v2
	global_store_short v[80:81], v5, off
	v_xor_b32_e32 v5, 0xffff8000, v82
	v_lshl_add_u64 v[80:81], v[96:97], 1, s[10:11]
	s_waitcnt lgkmcnt(3)
	v_add_u32_e32 v96, v110, v76
	v_add_u32_e32 v78, 0x1a00, v2
	global_store_short v[80:81], v5, off
	v_xor_b32_e32 v5, 0xffff8000, v83
	v_lshl_add_u64 v[80:81], v[96:97], 1, s[10:11]
	s_waitcnt lgkmcnt(2)
	v_add_u32_e32 v96, v111, v78
	global_store_short v[80:81], v5, off
	v_xor_b32_e32 v5, 0xffff8000, v85
	v_lshl_add_u64 v[80:81], v[96:97], 1, s[10:11]
	global_store_short v[80:81], v5, off
	v_or_b32_e32 v80, 0x1c00, v2
	s_waitcnt lgkmcnt(1)
	v_add_u32_e32 v96, v112, v80
	v_add_u32_e32 v81, 0x1e00, v2
	v_xor_b32_e32 v5, 0xffff8000, v86
	v_lshl_add_u64 v[82:83], v[96:97], 1, s[10:11]
	s_waitcnt lgkmcnt(0)
	v_add_u32_e32 v96, v113, v81
	global_store_short v[82:83], v5, off
	v_xor_b32_e32 v5, 0xffff8000, v98
	v_lshl_add_u64 v[82:83], v[96:97], 1, s[10:11]
	global_store_short v[82:83], v5, off
	v_or_b32_e32 v82, 0x2000, v2
	v_add_u32_e32 v96, v103, v82
	v_add_u32_e32 v83, 0x2200, v2
	v_xor_b32_e32 v5, 0xffff8000, v84
	v_lshl_add_u64 v[84:85], v[96:97], 1, s[10:11]
	v_add_u32_e32 v96, v104, v83
	global_store_short v[84:85], v5, off
	v_xor_b32_e32 v5, 0xffff8000, v87
	v_lshl_add_u64 v[84:85], v[96:97], 1, s[10:11]
	global_store_short v[84:85], v5, off
	v_or_b32_e32 v85, 0x2400, v2
	v_add_u32_e32 v96, v105, v85
	v_add_u32_e32 v84, 0x2600, v2
	v_xor_b32_e32 v5, 0xffff8000, v99
	v_lshl_add_u64 v[86:87], v[96:97], 1, s[10:11]
	;; [unrolled: 10-line block ×3, first 2 shown]
	v_add_u32_e32 v96, v108, v87
	global_store_short v[98:99], v5, off
	v_xor_b32_e32 v5, 0xffff8000, v102
	v_lshl_add_u64 v[98:99], v[96:97], 1, s[10:11]
	s_add_u32 s0, s12, s16
	global_store_short v[98:99], v5, off
	s_addc_u32 s1, s13, s17
	v_mov_b32_e32 v5, v97
	v_lshl_add_u64 v[4:5], s[0:1], 0, v[4:5]
	v_mov_b32_e32 v7, v97
	v_lshl_add_u64 v[114:115], v[4:5], 0, v[6:7]
	global_load_ushort v113, v[114:115], off
	global_load_ushort v112, v[114:115], off offset:128
	global_load_ushort v111, v[114:115], off offset:256
	;; [unrolled: 1-line block ×21, first 2 shown]
	s_movk_i32 s4, 0x2c00
	v_cmp_gt_u32_e64 s[0:1], s4, v69
	s_barrier
	s_and_saveexec_b64 s[2:3], s[0:1]
	s_cbranch_execz .LBB1652_384
; %bb.358:
	s_waitcnt vmcnt(21)
	ds_write_b16 v63, v113 offset:256
	s_or_b64 exec, exec, s[2:3]
	v_cmp_gt_u32_e64 s[0:1], s4, v66
	s_and_saveexec_b64 s[2:3], s[0:1]
	s_cbranch_execnz .LBB1652_385
.LBB1652_359:
	s_or_b64 exec, exec, s[2:3]
	v_cmp_gt_u32_e64 s[0:1], s4, v62
	s_and_saveexec_b64 s[2:3], s[0:1]
	s_cbranch_execz .LBB1652_386
.LBB1652_360:
	s_waitcnt vmcnt(19)
	ds_write_b16 v58, v111 offset:256
	s_or_b64 exec, exec, s[2:3]
	v_cmp_gt_u32_e64 s[0:1], s4, v57
	s_and_saveexec_b64 s[2:3], s[0:1]
	s_cbranch_execnz .LBB1652_387
.LBB1652_361:
	s_or_b64 exec, exec, s[2:3]
	v_cmp_gt_u32_e64 s[0:1], s4, v52
	s_and_saveexec_b64 s[2:3], s[0:1]
	s_cbranch_execz .LBB1652_388
.LBB1652_362:
	s_waitcnt vmcnt(17)
	ds_write_b16 v53, v109 offset:256
	s_or_b64 exec, exec, s[2:3]
	v_cmp_gt_u32_e64 s[0:1], s4, v47
	s_and_saveexec_b64 s[2:3], s[0:1]
	s_cbranch_execnz .LBB1652_389
.LBB1652_363:
	s_or_b64 exec, exec, s[2:3]
	v_cmp_gt_u32_e64 s[0:1], s4, v42
	s_and_saveexec_b64 s[2:3], s[0:1]
	s_cbranch_execz .LBB1652_390
.LBB1652_364:
	s_waitcnt vmcnt(15)
	ds_write_b16 v48, v107 offset:256
	s_or_b64 exec, exec, s[2:3]
	v_cmp_gt_u32_e64 s[0:1], s4, v40
	s_and_saveexec_b64 s[2:3], s[0:1]
	s_cbranch_execnz .LBB1652_391
.LBB1652_365:
	s_or_b64 exec, exec, s[2:3]
	v_cmp_gt_u32_e64 s[0:1], s4, v37
	s_and_saveexec_b64 s[2:3], s[0:1]
	s_cbranch_execz .LBB1652_392
.LBB1652_366:
	s_waitcnt vmcnt(13)
	ds_write_b16 v43, v105 offset:256
	s_or_b64 exec, exec, s[2:3]
	v_cmp_gt_u32_e64 s[0:1], s4, v35
	s_and_saveexec_b64 s[2:3], s[0:1]
	s_cbranch_execnz .LBB1652_393
.LBB1652_367:
	s_or_b64 exec, exec, s[2:3]
	v_cmp_gt_u32_e64 s[0:1], s4, v33
	s_and_saveexec_b64 s[2:3], s[0:1]
	s_cbranch_execz .LBB1652_394
.LBB1652_368:
	s_waitcnt vmcnt(11)
	ds_write_b16 v39, v103 offset:256
	s_or_b64 exec, exec, s[2:3]
	v_cmp_gt_u32_e64 s[0:1], s4, v32
	s_and_saveexec_b64 s[2:3], s[0:1]
	s_cbranch_execnz .LBB1652_395
.LBB1652_369:
	s_or_b64 exec, exec, s[2:3]
	v_cmp_gt_u32_e64 s[0:1], s4, v29
	s_and_saveexec_b64 s[2:3], s[0:1]
	s_cbranch_execz .LBB1652_396
.LBB1652_370:
	s_waitcnt vmcnt(9)
	ds_write_b16 v36, v101 offset:256
	s_or_b64 exec, exec, s[2:3]
	v_cmp_gt_u32_e64 s[0:1], s4, v27
	s_and_saveexec_b64 s[2:3], s[0:1]
	s_cbranch_execnz .LBB1652_397
.LBB1652_371:
	s_or_b64 exec, exec, s[2:3]
	v_cmp_gt_u32_e64 s[0:1], s4, v25
	s_and_saveexec_b64 s[2:3], s[0:1]
	s_cbranch_execz .LBB1652_398
.LBB1652_372:
	s_waitcnt vmcnt(7)
	ds_write_b16 v31, v99 offset:256
	s_or_b64 exec, exec, s[2:3]
	v_cmp_gt_u32_e64 s[0:1], s4, v23
	s_and_saveexec_b64 s[2:3], s[0:1]
	s_cbranch_execnz .LBB1652_399
.LBB1652_373:
	s_or_b64 exec, exec, s[2:3]
	v_cmp_gt_u32_e64 s[0:1], s4, v21
	s_and_saveexec_b64 s[2:3], s[0:1]
	s_cbranch_execz .LBB1652_400
.LBB1652_374:
	s_waitcnt vmcnt(5)
	ds_write_b16 v28, v97 offset:256
	s_or_b64 exec, exec, s[2:3]
	v_cmp_gt_u32_e64 s[0:1], s4, v18
	s_and_saveexec_b64 s[2:3], s[0:1]
	s_cbranch_execnz .LBB1652_401
.LBB1652_375:
	s_or_b64 exec, exec, s[2:3]
	v_cmp_gt_u32_e64 s[0:1], s4, v17
	s_and_saveexec_b64 s[2:3], s[0:1]
	s_cbranch_execz .LBB1652_402
.LBB1652_376:
	s_waitcnt vmcnt(3)
	ds_write_b16 v24, v7 offset:256
	s_or_b64 exec, exec, s[2:3]
	v_cmp_gt_u32_e64 s[0:1], s4, v16
	s_and_saveexec_b64 s[2:3], s[0:1]
	s_cbranch_execnz .LBB1652_403
.LBB1652_377:
	s_or_b64 exec, exec, s[2:3]
	v_cmp_gt_u32_e64 s[0:1], s4, v13
	s_and_saveexec_b64 s[2:3], s[0:1]
	s_cbranch_execz .LBB1652_379
.LBB1652_378:
	s_waitcnt vmcnt(1)
	ds_write_b16 v20, v5 offset:256
.LBB1652_379:
	s_or_b64 exec, exec, s[2:3]
	v_sub_u32_e32 v0, 0, v0
	v_cmp_gt_u32_e64 s[0:1], s4, v12
	s_and_saveexec_b64 s[2:3], s[0:1]
	s_cbranch_execz .LBB1652_381
; %bb.380:
	s_waitcnt vmcnt(0)
	ds_write_b16 v15, v4 offset:256
.LBB1652_381:
	s_or_b64 exec, exec, s[2:3]
	s_waitcnt lgkmcnt(0)
	s_barrier
	v_add_u32_e32 v12, v19, v0
	ds_read_b32 v0, v95
	ds_read_b32 v13, v92
	;; [unrolled: 1-line block ×8, first 2 shown]
	s_waitcnt vmcnt(0) lgkmcnt(7)
	v_add_u32_e32 v4, v0, v2
	v_mov_b32_e32 v5, 0
	v_lshl_add_u64 v[6:7], v[4:5], 1, s[14:15]
	ds_read_u16 v0, v12 offset:256
	ds_read_u16 v2, v12 offset:1280
	ds_read_b32 v22, v1
	ds_read_b32 v8, v8
	;; [unrolled: 1-line block ×6, first 2 shown]
	s_waitcnt lgkmcnt(14)
	v_add_u32_e32 v4, v13, v55
	s_waitcnt lgkmcnt(7)
	global_store_short v[6:7], v0, off
	v_lshl_add_u64 v[0:1], v[4:5], 1, s[14:15]
	v_add_u32_e32 v4, v15, v60
	s_waitcnt lgkmcnt(6)
	global_store_short v[0:1], v2, off
	v_lshl_add_u64 v[0:1], v[4:5], 1, s[14:15]
	v_add_u32_e32 v4, v16, v46
	ds_read_u16 v2, v12 offset:2304
	ds_read_u16 v6, v12 offset:3328
	;; [unrolled: 1-line block ×8, first 2 shown]
	s_waitcnt lgkmcnt(7)
	global_store_short v[0:1], v2, off
	v_lshl_add_u64 v[0:1], v[4:5], 1, s[14:15]
	v_add_u32_e32 v4, v17, v50
	s_waitcnt lgkmcnt(6)
	global_store_short v[0:1], v6, off
	v_lshl_add_u64 v[0:1], v[4:5], 1, s[14:15]
	v_add_u32_e32 v4, v18, v56
	;; [unrolled: 4-line block ×4, first 2 shown]
	s_waitcnt lgkmcnt(3)
	global_store_short v[0:1], v15, off
	v_lshl_add_u64 v[0:1], v[4:5], 1, s[14:15]
	s_waitcnt lgkmcnt(2)
	global_store_short v[0:1], v24, off
	ds_read_b32 v0, v65
	ds_read_b32 v2, v67
	;; [unrolled: 1-line block ×8, first 2 shown]
	s_waitcnt lgkmcnt(7)
	v_add_u32_e32 v4, v0, v51
	v_lshl_add_u64 v[0:1], v[4:5], 1, s[14:15]
	s_waitcnt lgkmcnt(6)
	v_add_u32_e32 v4, v2, v77
	global_store_short v[0:1], v25, off
	v_lshl_add_u64 v[0:1], v[4:5], 1, s[14:15]
	s_waitcnt lgkmcnt(5)
	v_add_u32_e32 v4, v6, v79
	global_store_short v[0:1], v26, off
	v_lshl_add_u64 v[0:1], v[4:5], 1, s[14:15]
	s_waitcnt lgkmcnt(4)
	v_add_u32_e32 v4, v7, v75
	ds_read_u16 v2, v12 offset:10496
	ds_read_u16 v6, v12 offset:11520
	;; [unrolled: 1-line block ×8, first 2 shown]
	s_waitcnt lgkmcnt(7)
	global_store_short v[0:1], v2, off
	v_lshl_add_u64 v[0:1], v[4:5], 1, s[14:15]
	v_add_u32_e32 v4, v13, v76
	s_waitcnt lgkmcnt(6)
	global_store_short v[0:1], v6, off
	v_lshl_add_u64 v[0:1], v[4:5], 1, s[14:15]
	v_add_u32_e32 v4, v15, v78
	;; [unrolled: 4-line block ×6, first 2 shown]
	ds_read_u16 v2, v12 offset:18688
	s_waitcnt lgkmcnt(2)
	global_store_short v[0:1], v25, off
	v_lshl_add_u64 v[0:1], v[4:5], 1, s[14:15]
	s_waitcnt lgkmcnt(1)
	global_store_short v[0:1], v26, off
	v_add_u32_e32 v4, v23, v85
	ds_read_u16 v6, v12 offset:19712
	ds_read_u16 v7, v12 offset:20736
	;; [unrolled: 1-line block ×3, first 2 shown]
	v_lshl_add_u64 v[0:1], v[4:5], 1, s[14:15]
	v_add_u32_e32 v4, v11, v84
	s_add_i32 s20, s20, -1
	s_waitcnt lgkmcnt(3)
	global_store_short v[0:1], v2, off
	v_lshl_add_u64 v[0:1], v[4:5], 1, s[14:15]
	v_add_u32_e32 v4, v10, v86
	s_cmp_eq_u32 s33, s20
	s_waitcnt lgkmcnt(2)
	global_store_short v[0:1], v6, off
	v_lshl_add_u64 v[0:1], v[4:5], 1, s[14:15]
	v_add_u32_e32 v4, v9, v87
	s_cselect_b64 s[0:1], -1, 0
	s_xor_b64 s[2:3], vcc, -1
	s_waitcnt lgkmcnt(1)
	global_store_short v[0:1], v7, off
	v_lshl_add_u64 v[0:1], v[4:5], 1, s[14:15]
	s_and_b64 s[0:1], s[2:3], s[0:1]
	s_waitcnt lgkmcnt(0)
	global_store_short v[0:1], v8, off
	s_and_saveexec_b64 s[2:3], s[0:1]
	s_cbranch_execz .LBB1652_383
; %bb.382:
	ds_read_b32 v0, v19
	v_readlane_b32 s0, v117, 0
	v_readlane_b32 s2, v117, 2
	;; [unrolled: 1-line block ×4, first 2 shown]
	s_waitcnt lgkmcnt(0)
	v_add3_u32 v0, v3, v14, v0
	s_nop 1
	global_store_dword v19, v0, s[2:3]
.LBB1652_383:
	s_endpgm
.LBB1652_384:
	s_or_b64 exec, exec, s[2:3]
	v_cmp_gt_u32_e64 s[0:1], s4, v66
	s_and_saveexec_b64 s[2:3], s[0:1]
	s_cbranch_execz .LBB1652_359
.LBB1652_385:
	s_waitcnt vmcnt(20)
	ds_write_b16 v59, v112 offset:256
	s_or_b64 exec, exec, s[2:3]
	v_cmp_gt_u32_e64 s[0:1], s4, v62
	s_and_saveexec_b64 s[2:3], s[0:1]
	s_cbranch_execnz .LBB1652_360
.LBB1652_386:
	s_or_b64 exec, exec, s[2:3]
	v_cmp_gt_u32_e64 s[0:1], s4, v57
	s_and_saveexec_b64 s[2:3], s[0:1]
	s_cbranch_execz .LBB1652_361
.LBB1652_387:
	s_waitcnt vmcnt(18)
	ds_write_b16 v54, v110 offset:256
	s_or_b64 exec, exec, s[2:3]
	v_cmp_gt_u32_e64 s[0:1], s4, v52
	s_and_saveexec_b64 s[2:3], s[0:1]
	s_cbranch_execnz .LBB1652_362
.LBB1652_388:
	s_or_b64 exec, exec, s[2:3]
	v_cmp_gt_u32_e64 s[0:1], s4, v47
	s_and_saveexec_b64 s[2:3], s[0:1]
	s_cbranch_execz .LBB1652_363
.LBB1652_389:
	s_waitcnt vmcnt(16)
	ds_write_b16 v49, v108 offset:256
	s_or_b64 exec, exec, s[2:3]
	v_cmp_gt_u32_e64 s[0:1], s4, v42
	s_and_saveexec_b64 s[2:3], s[0:1]
	s_cbranch_execnz .LBB1652_364
.LBB1652_390:
	s_or_b64 exec, exec, s[2:3]
	v_cmp_gt_u32_e64 s[0:1], s4, v40
	s_and_saveexec_b64 s[2:3], s[0:1]
	s_cbranch_execz .LBB1652_365
.LBB1652_391:
	s_waitcnt vmcnt(14)
	ds_write_b16 v44, v106 offset:256
	s_or_b64 exec, exec, s[2:3]
	v_cmp_gt_u32_e64 s[0:1], s4, v37
	s_and_saveexec_b64 s[2:3], s[0:1]
	s_cbranch_execnz .LBB1652_366
.LBB1652_392:
	s_or_b64 exec, exec, s[2:3]
	v_cmp_gt_u32_e64 s[0:1], s4, v35
	s_and_saveexec_b64 s[2:3], s[0:1]
	s_cbranch_execz .LBB1652_367
.LBB1652_393:
	s_waitcnt vmcnt(12)
	ds_write_b16 v41, v104 offset:256
	s_or_b64 exec, exec, s[2:3]
	v_cmp_gt_u32_e64 s[0:1], s4, v33
	s_and_saveexec_b64 s[2:3], s[0:1]
	s_cbranch_execnz .LBB1652_368
.LBB1652_394:
	s_or_b64 exec, exec, s[2:3]
	v_cmp_gt_u32_e64 s[0:1], s4, v32
	s_and_saveexec_b64 s[2:3], s[0:1]
	s_cbranch_execz .LBB1652_369
.LBB1652_395:
	s_waitcnt vmcnt(10)
	ds_write_b16 v38, v102 offset:256
	s_or_b64 exec, exec, s[2:3]
	v_cmp_gt_u32_e64 s[0:1], s4, v29
	s_and_saveexec_b64 s[2:3], s[0:1]
	s_cbranch_execnz .LBB1652_370
.LBB1652_396:
	s_or_b64 exec, exec, s[2:3]
	v_cmp_gt_u32_e64 s[0:1], s4, v27
	s_and_saveexec_b64 s[2:3], s[0:1]
	s_cbranch_execz .LBB1652_371
.LBB1652_397:
	s_waitcnt vmcnt(8)
	ds_write_b16 v34, v100 offset:256
	s_or_b64 exec, exec, s[2:3]
	v_cmp_gt_u32_e64 s[0:1], s4, v25
	s_and_saveexec_b64 s[2:3], s[0:1]
	s_cbranch_execnz .LBB1652_372
.LBB1652_398:
	s_or_b64 exec, exec, s[2:3]
	v_cmp_gt_u32_e64 s[0:1], s4, v23
	s_and_saveexec_b64 s[2:3], s[0:1]
	s_cbranch_execz .LBB1652_373
.LBB1652_399:
	s_waitcnt vmcnt(6)
	ds_write_b16 v30, v98 offset:256
	s_or_b64 exec, exec, s[2:3]
	v_cmp_gt_u32_e64 s[0:1], s4, v21
	s_and_saveexec_b64 s[2:3], s[0:1]
	s_cbranch_execnz .LBB1652_374
.LBB1652_400:
	s_or_b64 exec, exec, s[2:3]
	v_cmp_gt_u32_e64 s[0:1], s4, v18
	s_and_saveexec_b64 s[2:3], s[0:1]
	s_cbranch_execz .LBB1652_375
.LBB1652_401:
	s_waitcnt vmcnt(4)
	ds_write_b16 v26, v96 offset:256
	s_or_b64 exec, exec, s[2:3]
	v_cmp_gt_u32_e64 s[0:1], s4, v17
	s_and_saveexec_b64 s[2:3], s[0:1]
	s_cbranch_execnz .LBB1652_376
.LBB1652_402:
	s_or_b64 exec, exec, s[2:3]
	v_cmp_gt_u32_e64 s[0:1], s4, v16
	s_and_saveexec_b64 s[2:3], s[0:1]
	s_cbranch_execz .LBB1652_377
.LBB1652_403:
	s_waitcnt vmcnt(2)
	ds_write_b16 v22, v6 offset:256
	s_or_b64 exec, exec, s[2:3]
	v_cmp_gt_u32_e64 s[0:1], s4, v13
	s_and_saveexec_b64 s[2:3], s[0:1]
	s_cbranch_execnz .LBB1652_378
	s_branch .LBB1652_379
	.section	.rodata,"a",@progbits
	.p2align	6, 0x0
	.amdhsa_kernel _ZN7rocprim17ROCPRIM_400000_NS6detail17trampoline_kernelINS0_14default_configENS1_35radix_sort_onesweep_config_selectorIssEEZZNS1_29radix_sort_onesweep_iterationIS3_Lb0EN6thrust23THRUST_200600_302600_NS6detail15normal_iteratorINS8_10device_ptrIsEEEESD_SD_SD_jNS0_19identity_decomposerENS1_16block_id_wrapperIjLb1EEEEE10hipError_tT1_PNSt15iterator_traitsISI_E10value_typeET2_T3_PNSJ_ISO_E10value_typeET4_T5_PST_SU_PNS1_23onesweep_lookback_stateEbbT6_jjT7_P12ihipStream_tbENKUlT_T0_SI_SN_E_clISD_PsSD_S15_EEDaS11_S12_SI_SN_EUlS11_E_NS1_11comp_targetILNS1_3genE6ELNS1_11target_archE950ELNS1_3gpuE13ELNS1_3repE0EEENS1_47radix_sort_onesweep_sort_config_static_selectorELNS0_4arch9wavefront6targetE1EEEvSI_
		.amdhsa_group_segment_fixed_size 22792
		.amdhsa_private_segment_fixed_size 0
		.amdhsa_kernarg_size 344
		.amdhsa_user_sgpr_count 2
		.amdhsa_user_sgpr_dispatch_ptr 0
		.amdhsa_user_sgpr_queue_ptr 0
		.amdhsa_user_sgpr_kernarg_segment_ptr 1
		.amdhsa_user_sgpr_dispatch_id 0
		.amdhsa_user_sgpr_kernarg_preload_length 0
		.amdhsa_user_sgpr_kernarg_preload_offset 0
		.amdhsa_user_sgpr_private_segment_size 0
		.amdhsa_uses_dynamic_stack 0
		.amdhsa_enable_private_segment 0
		.amdhsa_system_sgpr_workgroup_id_x 1
		.amdhsa_system_sgpr_workgroup_id_y 0
		.amdhsa_system_sgpr_workgroup_id_z 0
		.amdhsa_system_sgpr_workgroup_info 0
		.amdhsa_system_vgpr_workitem_id 2
		.amdhsa_next_free_vgpr 118
		.amdhsa_next_free_sgpr 100
		.amdhsa_accum_offset 120
		.amdhsa_reserve_vcc 1
		.amdhsa_float_round_mode_32 0
		.amdhsa_float_round_mode_16_64 0
		.amdhsa_float_denorm_mode_32 3
		.amdhsa_float_denorm_mode_16_64 3
		.amdhsa_dx10_clamp 1
		.amdhsa_ieee_mode 1
		.amdhsa_fp16_overflow 0
		.amdhsa_tg_split 0
		.amdhsa_exception_fp_ieee_invalid_op 0
		.amdhsa_exception_fp_denorm_src 0
		.amdhsa_exception_fp_ieee_div_zero 0
		.amdhsa_exception_fp_ieee_overflow 0
		.amdhsa_exception_fp_ieee_underflow 0
		.amdhsa_exception_fp_ieee_inexact 0
		.amdhsa_exception_int_div_zero 0
	.end_amdhsa_kernel
	.section	.text._ZN7rocprim17ROCPRIM_400000_NS6detail17trampoline_kernelINS0_14default_configENS1_35radix_sort_onesweep_config_selectorIssEEZZNS1_29radix_sort_onesweep_iterationIS3_Lb0EN6thrust23THRUST_200600_302600_NS6detail15normal_iteratorINS8_10device_ptrIsEEEESD_SD_SD_jNS0_19identity_decomposerENS1_16block_id_wrapperIjLb1EEEEE10hipError_tT1_PNSt15iterator_traitsISI_E10value_typeET2_T3_PNSJ_ISO_E10value_typeET4_T5_PST_SU_PNS1_23onesweep_lookback_stateEbbT6_jjT7_P12ihipStream_tbENKUlT_T0_SI_SN_E_clISD_PsSD_S15_EEDaS11_S12_SI_SN_EUlS11_E_NS1_11comp_targetILNS1_3genE6ELNS1_11target_archE950ELNS1_3gpuE13ELNS1_3repE0EEENS1_47radix_sort_onesweep_sort_config_static_selectorELNS0_4arch9wavefront6targetE1EEEvSI_,"axG",@progbits,_ZN7rocprim17ROCPRIM_400000_NS6detail17trampoline_kernelINS0_14default_configENS1_35radix_sort_onesweep_config_selectorIssEEZZNS1_29radix_sort_onesweep_iterationIS3_Lb0EN6thrust23THRUST_200600_302600_NS6detail15normal_iteratorINS8_10device_ptrIsEEEESD_SD_SD_jNS0_19identity_decomposerENS1_16block_id_wrapperIjLb1EEEEE10hipError_tT1_PNSt15iterator_traitsISI_E10value_typeET2_T3_PNSJ_ISO_E10value_typeET4_T5_PST_SU_PNS1_23onesweep_lookback_stateEbbT6_jjT7_P12ihipStream_tbENKUlT_T0_SI_SN_E_clISD_PsSD_S15_EEDaS11_S12_SI_SN_EUlS11_E_NS1_11comp_targetILNS1_3genE6ELNS1_11target_archE950ELNS1_3gpuE13ELNS1_3repE0EEENS1_47radix_sort_onesweep_sort_config_static_selectorELNS0_4arch9wavefront6targetE1EEEvSI_,comdat
.Lfunc_end1652:
	.size	_ZN7rocprim17ROCPRIM_400000_NS6detail17trampoline_kernelINS0_14default_configENS1_35radix_sort_onesweep_config_selectorIssEEZZNS1_29radix_sort_onesweep_iterationIS3_Lb0EN6thrust23THRUST_200600_302600_NS6detail15normal_iteratorINS8_10device_ptrIsEEEESD_SD_SD_jNS0_19identity_decomposerENS1_16block_id_wrapperIjLb1EEEEE10hipError_tT1_PNSt15iterator_traitsISI_E10value_typeET2_T3_PNSJ_ISO_E10value_typeET4_T5_PST_SU_PNS1_23onesweep_lookback_stateEbbT6_jjT7_P12ihipStream_tbENKUlT_T0_SI_SN_E_clISD_PsSD_S15_EEDaS11_S12_SI_SN_EUlS11_E_NS1_11comp_targetILNS1_3genE6ELNS1_11target_archE950ELNS1_3gpuE13ELNS1_3repE0EEENS1_47radix_sort_onesweep_sort_config_static_selectorELNS0_4arch9wavefront6targetE1EEEvSI_, .Lfunc_end1652-_ZN7rocprim17ROCPRIM_400000_NS6detail17trampoline_kernelINS0_14default_configENS1_35radix_sort_onesweep_config_selectorIssEEZZNS1_29radix_sort_onesweep_iterationIS3_Lb0EN6thrust23THRUST_200600_302600_NS6detail15normal_iteratorINS8_10device_ptrIsEEEESD_SD_SD_jNS0_19identity_decomposerENS1_16block_id_wrapperIjLb1EEEEE10hipError_tT1_PNSt15iterator_traitsISI_E10value_typeET2_T3_PNSJ_ISO_E10value_typeET4_T5_PST_SU_PNS1_23onesweep_lookback_stateEbbT6_jjT7_P12ihipStream_tbENKUlT_T0_SI_SN_E_clISD_PsSD_S15_EEDaS11_S12_SI_SN_EUlS11_E_NS1_11comp_targetILNS1_3genE6ELNS1_11target_archE950ELNS1_3gpuE13ELNS1_3repE0EEENS1_47radix_sort_onesweep_sort_config_static_selectorELNS0_4arch9wavefront6targetE1EEEvSI_
                                        ; -- End function
	.set _ZN7rocprim17ROCPRIM_400000_NS6detail17trampoline_kernelINS0_14default_configENS1_35radix_sort_onesweep_config_selectorIssEEZZNS1_29radix_sort_onesweep_iterationIS3_Lb0EN6thrust23THRUST_200600_302600_NS6detail15normal_iteratorINS8_10device_ptrIsEEEESD_SD_SD_jNS0_19identity_decomposerENS1_16block_id_wrapperIjLb1EEEEE10hipError_tT1_PNSt15iterator_traitsISI_E10value_typeET2_T3_PNSJ_ISO_E10value_typeET4_T5_PST_SU_PNS1_23onesweep_lookback_stateEbbT6_jjT7_P12ihipStream_tbENKUlT_T0_SI_SN_E_clISD_PsSD_S15_EEDaS11_S12_SI_SN_EUlS11_E_NS1_11comp_targetILNS1_3genE6ELNS1_11target_archE950ELNS1_3gpuE13ELNS1_3repE0EEENS1_47radix_sort_onesweep_sort_config_static_selectorELNS0_4arch9wavefront6targetE1EEEvSI_.num_vgpr, 118
	.set _ZN7rocprim17ROCPRIM_400000_NS6detail17trampoline_kernelINS0_14default_configENS1_35radix_sort_onesweep_config_selectorIssEEZZNS1_29radix_sort_onesweep_iterationIS3_Lb0EN6thrust23THRUST_200600_302600_NS6detail15normal_iteratorINS8_10device_ptrIsEEEESD_SD_SD_jNS0_19identity_decomposerENS1_16block_id_wrapperIjLb1EEEEE10hipError_tT1_PNSt15iterator_traitsISI_E10value_typeET2_T3_PNSJ_ISO_E10value_typeET4_T5_PST_SU_PNS1_23onesweep_lookback_stateEbbT6_jjT7_P12ihipStream_tbENKUlT_T0_SI_SN_E_clISD_PsSD_S15_EEDaS11_S12_SI_SN_EUlS11_E_NS1_11comp_targetILNS1_3genE6ELNS1_11target_archE950ELNS1_3gpuE13ELNS1_3repE0EEENS1_47radix_sort_onesweep_sort_config_static_selectorELNS0_4arch9wavefront6targetE1EEEvSI_.num_agpr, 0
	.set _ZN7rocprim17ROCPRIM_400000_NS6detail17trampoline_kernelINS0_14default_configENS1_35radix_sort_onesweep_config_selectorIssEEZZNS1_29radix_sort_onesweep_iterationIS3_Lb0EN6thrust23THRUST_200600_302600_NS6detail15normal_iteratorINS8_10device_ptrIsEEEESD_SD_SD_jNS0_19identity_decomposerENS1_16block_id_wrapperIjLb1EEEEE10hipError_tT1_PNSt15iterator_traitsISI_E10value_typeET2_T3_PNSJ_ISO_E10value_typeET4_T5_PST_SU_PNS1_23onesweep_lookback_stateEbbT6_jjT7_P12ihipStream_tbENKUlT_T0_SI_SN_E_clISD_PsSD_S15_EEDaS11_S12_SI_SN_EUlS11_E_NS1_11comp_targetILNS1_3genE6ELNS1_11target_archE950ELNS1_3gpuE13ELNS1_3repE0EEENS1_47radix_sort_onesweep_sort_config_static_selectorELNS0_4arch9wavefront6targetE1EEEvSI_.numbered_sgpr, 100
	.set _ZN7rocprim17ROCPRIM_400000_NS6detail17trampoline_kernelINS0_14default_configENS1_35radix_sort_onesweep_config_selectorIssEEZZNS1_29radix_sort_onesweep_iterationIS3_Lb0EN6thrust23THRUST_200600_302600_NS6detail15normal_iteratorINS8_10device_ptrIsEEEESD_SD_SD_jNS0_19identity_decomposerENS1_16block_id_wrapperIjLb1EEEEE10hipError_tT1_PNSt15iterator_traitsISI_E10value_typeET2_T3_PNSJ_ISO_E10value_typeET4_T5_PST_SU_PNS1_23onesweep_lookback_stateEbbT6_jjT7_P12ihipStream_tbENKUlT_T0_SI_SN_E_clISD_PsSD_S15_EEDaS11_S12_SI_SN_EUlS11_E_NS1_11comp_targetILNS1_3genE6ELNS1_11target_archE950ELNS1_3gpuE13ELNS1_3repE0EEENS1_47radix_sort_onesweep_sort_config_static_selectorELNS0_4arch9wavefront6targetE1EEEvSI_.num_named_barrier, 0
	.set _ZN7rocprim17ROCPRIM_400000_NS6detail17trampoline_kernelINS0_14default_configENS1_35radix_sort_onesweep_config_selectorIssEEZZNS1_29radix_sort_onesweep_iterationIS3_Lb0EN6thrust23THRUST_200600_302600_NS6detail15normal_iteratorINS8_10device_ptrIsEEEESD_SD_SD_jNS0_19identity_decomposerENS1_16block_id_wrapperIjLb1EEEEE10hipError_tT1_PNSt15iterator_traitsISI_E10value_typeET2_T3_PNSJ_ISO_E10value_typeET4_T5_PST_SU_PNS1_23onesweep_lookback_stateEbbT6_jjT7_P12ihipStream_tbENKUlT_T0_SI_SN_E_clISD_PsSD_S15_EEDaS11_S12_SI_SN_EUlS11_E_NS1_11comp_targetILNS1_3genE6ELNS1_11target_archE950ELNS1_3gpuE13ELNS1_3repE0EEENS1_47radix_sort_onesweep_sort_config_static_selectorELNS0_4arch9wavefront6targetE1EEEvSI_.private_seg_size, 0
	.set _ZN7rocprim17ROCPRIM_400000_NS6detail17trampoline_kernelINS0_14default_configENS1_35radix_sort_onesweep_config_selectorIssEEZZNS1_29radix_sort_onesweep_iterationIS3_Lb0EN6thrust23THRUST_200600_302600_NS6detail15normal_iteratorINS8_10device_ptrIsEEEESD_SD_SD_jNS0_19identity_decomposerENS1_16block_id_wrapperIjLb1EEEEE10hipError_tT1_PNSt15iterator_traitsISI_E10value_typeET2_T3_PNSJ_ISO_E10value_typeET4_T5_PST_SU_PNS1_23onesweep_lookback_stateEbbT6_jjT7_P12ihipStream_tbENKUlT_T0_SI_SN_E_clISD_PsSD_S15_EEDaS11_S12_SI_SN_EUlS11_E_NS1_11comp_targetILNS1_3genE6ELNS1_11target_archE950ELNS1_3gpuE13ELNS1_3repE0EEENS1_47radix_sort_onesweep_sort_config_static_selectorELNS0_4arch9wavefront6targetE1EEEvSI_.uses_vcc, 1
	.set _ZN7rocprim17ROCPRIM_400000_NS6detail17trampoline_kernelINS0_14default_configENS1_35radix_sort_onesweep_config_selectorIssEEZZNS1_29radix_sort_onesweep_iterationIS3_Lb0EN6thrust23THRUST_200600_302600_NS6detail15normal_iteratorINS8_10device_ptrIsEEEESD_SD_SD_jNS0_19identity_decomposerENS1_16block_id_wrapperIjLb1EEEEE10hipError_tT1_PNSt15iterator_traitsISI_E10value_typeET2_T3_PNSJ_ISO_E10value_typeET4_T5_PST_SU_PNS1_23onesweep_lookback_stateEbbT6_jjT7_P12ihipStream_tbENKUlT_T0_SI_SN_E_clISD_PsSD_S15_EEDaS11_S12_SI_SN_EUlS11_E_NS1_11comp_targetILNS1_3genE6ELNS1_11target_archE950ELNS1_3gpuE13ELNS1_3repE0EEENS1_47radix_sort_onesweep_sort_config_static_selectorELNS0_4arch9wavefront6targetE1EEEvSI_.uses_flat_scratch, 0
	.set _ZN7rocprim17ROCPRIM_400000_NS6detail17trampoline_kernelINS0_14default_configENS1_35radix_sort_onesweep_config_selectorIssEEZZNS1_29radix_sort_onesweep_iterationIS3_Lb0EN6thrust23THRUST_200600_302600_NS6detail15normal_iteratorINS8_10device_ptrIsEEEESD_SD_SD_jNS0_19identity_decomposerENS1_16block_id_wrapperIjLb1EEEEE10hipError_tT1_PNSt15iterator_traitsISI_E10value_typeET2_T3_PNSJ_ISO_E10value_typeET4_T5_PST_SU_PNS1_23onesweep_lookback_stateEbbT6_jjT7_P12ihipStream_tbENKUlT_T0_SI_SN_E_clISD_PsSD_S15_EEDaS11_S12_SI_SN_EUlS11_E_NS1_11comp_targetILNS1_3genE6ELNS1_11target_archE950ELNS1_3gpuE13ELNS1_3repE0EEENS1_47radix_sort_onesweep_sort_config_static_selectorELNS0_4arch9wavefront6targetE1EEEvSI_.has_dyn_sized_stack, 0
	.set _ZN7rocprim17ROCPRIM_400000_NS6detail17trampoline_kernelINS0_14default_configENS1_35radix_sort_onesweep_config_selectorIssEEZZNS1_29radix_sort_onesweep_iterationIS3_Lb0EN6thrust23THRUST_200600_302600_NS6detail15normal_iteratorINS8_10device_ptrIsEEEESD_SD_SD_jNS0_19identity_decomposerENS1_16block_id_wrapperIjLb1EEEEE10hipError_tT1_PNSt15iterator_traitsISI_E10value_typeET2_T3_PNSJ_ISO_E10value_typeET4_T5_PST_SU_PNS1_23onesweep_lookback_stateEbbT6_jjT7_P12ihipStream_tbENKUlT_T0_SI_SN_E_clISD_PsSD_S15_EEDaS11_S12_SI_SN_EUlS11_E_NS1_11comp_targetILNS1_3genE6ELNS1_11target_archE950ELNS1_3gpuE13ELNS1_3repE0EEENS1_47radix_sort_onesweep_sort_config_static_selectorELNS0_4arch9wavefront6targetE1EEEvSI_.has_recursion, 0
	.set _ZN7rocprim17ROCPRIM_400000_NS6detail17trampoline_kernelINS0_14default_configENS1_35radix_sort_onesweep_config_selectorIssEEZZNS1_29radix_sort_onesweep_iterationIS3_Lb0EN6thrust23THRUST_200600_302600_NS6detail15normal_iteratorINS8_10device_ptrIsEEEESD_SD_SD_jNS0_19identity_decomposerENS1_16block_id_wrapperIjLb1EEEEE10hipError_tT1_PNSt15iterator_traitsISI_E10value_typeET2_T3_PNSJ_ISO_E10value_typeET4_T5_PST_SU_PNS1_23onesweep_lookback_stateEbbT6_jjT7_P12ihipStream_tbENKUlT_T0_SI_SN_E_clISD_PsSD_S15_EEDaS11_S12_SI_SN_EUlS11_E_NS1_11comp_targetILNS1_3genE6ELNS1_11target_archE950ELNS1_3gpuE13ELNS1_3repE0EEENS1_47radix_sort_onesweep_sort_config_static_selectorELNS0_4arch9wavefront6targetE1EEEvSI_.has_indirect_call, 0
	.section	.AMDGPU.csdata,"",@progbits
; Kernel info:
; codeLenInByte = 30492
; TotalNumSgprs: 106
; NumVgprs: 118
; NumAgprs: 0
; TotalNumVgprs: 118
; ScratchSize: 0
; MemoryBound: 0
; FloatMode: 240
; IeeeMode: 1
; LDSByteSize: 22792 bytes/workgroup (compile time only)
; SGPRBlocks: 13
; VGPRBlocks: 14
; NumSGPRsForWavesPerEU: 106
; NumVGPRsForWavesPerEU: 118
; AccumOffset: 120
; Occupancy: 4
; WaveLimiterHint : 1
; COMPUTE_PGM_RSRC2:SCRATCH_EN: 0
; COMPUTE_PGM_RSRC2:USER_SGPR: 2
; COMPUTE_PGM_RSRC2:TRAP_HANDLER: 0
; COMPUTE_PGM_RSRC2:TGID_X_EN: 1
; COMPUTE_PGM_RSRC2:TGID_Y_EN: 0
; COMPUTE_PGM_RSRC2:TGID_Z_EN: 0
; COMPUTE_PGM_RSRC2:TIDIG_COMP_CNT: 2
; COMPUTE_PGM_RSRC3_GFX90A:ACCUM_OFFSET: 29
; COMPUTE_PGM_RSRC3_GFX90A:TG_SPLIT: 0
	.section	.text._ZN7rocprim17ROCPRIM_400000_NS6detail17trampoline_kernelINS0_14default_configENS1_35radix_sort_onesweep_config_selectorIssEEZZNS1_29radix_sort_onesweep_iterationIS3_Lb0EN6thrust23THRUST_200600_302600_NS6detail15normal_iteratorINS8_10device_ptrIsEEEESD_SD_SD_jNS0_19identity_decomposerENS1_16block_id_wrapperIjLb1EEEEE10hipError_tT1_PNSt15iterator_traitsISI_E10value_typeET2_T3_PNSJ_ISO_E10value_typeET4_T5_PST_SU_PNS1_23onesweep_lookback_stateEbbT6_jjT7_P12ihipStream_tbENKUlT_T0_SI_SN_E_clISD_PsSD_S15_EEDaS11_S12_SI_SN_EUlS11_E_NS1_11comp_targetILNS1_3genE5ELNS1_11target_archE942ELNS1_3gpuE9ELNS1_3repE0EEENS1_47radix_sort_onesweep_sort_config_static_selectorELNS0_4arch9wavefront6targetE1EEEvSI_,"axG",@progbits,_ZN7rocprim17ROCPRIM_400000_NS6detail17trampoline_kernelINS0_14default_configENS1_35radix_sort_onesweep_config_selectorIssEEZZNS1_29radix_sort_onesweep_iterationIS3_Lb0EN6thrust23THRUST_200600_302600_NS6detail15normal_iteratorINS8_10device_ptrIsEEEESD_SD_SD_jNS0_19identity_decomposerENS1_16block_id_wrapperIjLb1EEEEE10hipError_tT1_PNSt15iterator_traitsISI_E10value_typeET2_T3_PNSJ_ISO_E10value_typeET4_T5_PST_SU_PNS1_23onesweep_lookback_stateEbbT6_jjT7_P12ihipStream_tbENKUlT_T0_SI_SN_E_clISD_PsSD_S15_EEDaS11_S12_SI_SN_EUlS11_E_NS1_11comp_targetILNS1_3genE5ELNS1_11target_archE942ELNS1_3gpuE9ELNS1_3repE0EEENS1_47radix_sort_onesweep_sort_config_static_selectorELNS0_4arch9wavefront6targetE1EEEvSI_,comdat
	.protected	_ZN7rocprim17ROCPRIM_400000_NS6detail17trampoline_kernelINS0_14default_configENS1_35radix_sort_onesweep_config_selectorIssEEZZNS1_29radix_sort_onesweep_iterationIS3_Lb0EN6thrust23THRUST_200600_302600_NS6detail15normal_iteratorINS8_10device_ptrIsEEEESD_SD_SD_jNS0_19identity_decomposerENS1_16block_id_wrapperIjLb1EEEEE10hipError_tT1_PNSt15iterator_traitsISI_E10value_typeET2_T3_PNSJ_ISO_E10value_typeET4_T5_PST_SU_PNS1_23onesweep_lookback_stateEbbT6_jjT7_P12ihipStream_tbENKUlT_T0_SI_SN_E_clISD_PsSD_S15_EEDaS11_S12_SI_SN_EUlS11_E_NS1_11comp_targetILNS1_3genE5ELNS1_11target_archE942ELNS1_3gpuE9ELNS1_3repE0EEENS1_47radix_sort_onesweep_sort_config_static_selectorELNS0_4arch9wavefront6targetE1EEEvSI_ ; -- Begin function _ZN7rocprim17ROCPRIM_400000_NS6detail17trampoline_kernelINS0_14default_configENS1_35radix_sort_onesweep_config_selectorIssEEZZNS1_29radix_sort_onesweep_iterationIS3_Lb0EN6thrust23THRUST_200600_302600_NS6detail15normal_iteratorINS8_10device_ptrIsEEEESD_SD_SD_jNS0_19identity_decomposerENS1_16block_id_wrapperIjLb1EEEEE10hipError_tT1_PNSt15iterator_traitsISI_E10value_typeET2_T3_PNSJ_ISO_E10value_typeET4_T5_PST_SU_PNS1_23onesweep_lookback_stateEbbT6_jjT7_P12ihipStream_tbENKUlT_T0_SI_SN_E_clISD_PsSD_S15_EEDaS11_S12_SI_SN_EUlS11_E_NS1_11comp_targetILNS1_3genE5ELNS1_11target_archE942ELNS1_3gpuE9ELNS1_3repE0EEENS1_47radix_sort_onesweep_sort_config_static_selectorELNS0_4arch9wavefront6targetE1EEEvSI_
	.globl	_ZN7rocprim17ROCPRIM_400000_NS6detail17trampoline_kernelINS0_14default_configENS1_35radix_sort_onesweep_config_selectorIssEEZZNS1_29radix_sort_onesweep_iterationIS3_Lb0EN6thrust23THRUST_200600_302600_NS6detail15normal_iteratorINS8_10device_ptrIsEEEESD_SD_SD_jNS0_19identity_decomposerENS1_16block_id_wrapperIjLb1EEEEE10hipError_tT1_PNSt15iterator_traitsISI_E10value_typeET2_T3_PNSJ_ISO_E10value_typeET4_T5_PST_SU_PNS1_23onesweep_lookback_stateEbbT6_jjT7_P12ihipStream_tbENKUlT_T0_SI_SN_E_clISD_PsSD_S15_EEDaS11_S12_SI_SN_EUlS11_E_NS1_11comp_targetILNS1_3genE5ELNS1_11target_archE942ELNS1_3gpuE9ELNS1_3repE0EEENS1_47radix_sort_onesweep_sort_config_static_selectorELNS0_4arch9wavefront6targetE1EEEvSI_
	.p2align	8
	.type	_ZN7rocprim17ROCPRIM_400000_NS6detail17trampoline_kernelINS0_14default_configENS1_35radix_sort_onesweep_config_selectorIssEEZZNS1_29radix_sort_onesweep_iterationIS3_Lb0EN6thrust23THRUST_200600_302600_NS6detail15normal_iteratorINS8_10device_ptrIsEEEESD_SD_SD_jNS0_19identity_decomposerENS1_16block_id_wrapperIjLb1EEEEE10hipError_tT1_PNSt15iterator_traitsISI_E10value_typeET2_T3_PNSJ_ISO_E10value_typeET4_T5_PST_SU_PNS1_23onesweep_lookback_stateEbbT6_jjT7_P12ihipStream_tbENKUlT_T0_SI_SN_E_clISD_PsSD_S15_EEDaS11_S12_SI_SN_EUlS11_E_NS1_11comp_targetILNS1_3genE5ELNS1_11target_archE942ELNS1_3gpuE9ELNS1_3repE0EEENS1_47radix_sort_onesweep_sort_config_static_selectorELNS0_4arch9wavefront6targetE1EEEvSI_,@function
_ZN7rocprim17ROCPRIM_400000_NS6detail17trampoline_kernelINS0_14default_configENS1_35radix_sort_onesweep_config_selectorIssEEZZNS1_29radix_sort_onesweep_iterationIS3_Lb0EN6thrust23THRUST_200600_302600_NS6detail15normal_iteratorINS8_10device_ptrIsEEEESD_SD_SD_jNS0_19identity_decomposerENS1_16block_id_wrapperIjLb1EEEEE10hipError_tT1_PNSt15iterator_traitsISI_E10value_typeET2_T3_PNSJ_ISO_E10value_typeET4_T5_PST_SU_PNS1_23onesweep_lookback_stateEbbT6_jjT7_P12ihipStream_tbENKUlT_T0_SI_SN_E_clISD_PsSD_S15_EEDaS11_S12_SI_SN_EUlS11_E_NS1_11comp_targetILNS1_3genE5ELNS1_11target_archE942ELNS1_3gpuE9ELNS1_3repE0EEENS1_47radix_sort_onesweep_sort_config_static_selectorELNS0_4arch9wavefront6targetE1EEEvSI_: ; @_ZN7rocprim17ROCPRIM_400000_NS6detail17trampoline_kernelINS0_14default_configENS1_35radix_sort_onesweep_config_selectorIssEEZZNS1_29radix_sort_onesweep_iterationIS3_Lb0EN6thrust23THRUST_200600_302600_NS6detail15normal_iteratorINS8_10device_ptrIsEEEESD_SD_SD_jNS0_19identity_decomposerENS1_16block_id_wrapperIjLb1EEEEE10hipError_tT1_PNSt15iterator_traitsISI_E10value_typeET2_T3_PNSJ_ISO_E10value_typeET4_T5_PST_SU_PNS1_23onesweep_lookback_stateEbbT6_jjT7_P12ihipStream_tbENKUlT_T0_SI_SN_E_clISD_PsSD_S15_EEDaS11_S12_SI_SN_EUlS11_E_NS1_11comp_targetILNS1_3genE5ELNS1_11target_archE942ELNS1_3gpuE9ELNS1_3repE0EEENS1_47radix_sort_onesweep_sort_config_static_selectorELNS0_4arch9wavefront6targetE1EEEvSI_
; %bb.0:
	.section	.rodata,"a",@progbits
	.p2align	6, 0x0
	.amdhsa_kernel _ZN7rocprim17ROCPRIM_400000_NS6detail17trampoline_kernelINS0_14default_configENS1_35radix_sort_onesweep_config_selectorIssEEZZNS1_29radix_sort_onesweep_iterationIS3_Lb0EN6thrust23THRUST_200600_302600_NS6detail15normal_iteratorINS8_10device_ptrIsEEEESD_SD_SD_jNS0_19identity_decomposerENS1_16block_id_wrapperIjLb1EEEEE10hipError_tT1_PNSt15iterator_traitsISI_E10value_typeET2_T3_PNSJ_ISO_E10value_typeET4_T5_PST_SU_PNS1_23onesweep_lookback_stateEbbT6_jjT7_P12ihipStream_tbENKUlT_T0_SI_SN_E_clISD_PsSD_S15_EEDaS11_S12_SI_SN_EUlS11_E_NS1_11comp_targetILNS1_3genE5ELNS1_11target_archE942ELNS1_3gpuE9ELNS1_3repE0EEENS1_47radix_sort_onesweep_sort_config_static_selectorELNS0_4arch9wavefront6targetE1EEEvSI_
		.amdhsa_group_segment_fixed_size 0
		.amdhsa_private_segment_fixed_size 0
		.amdhsa_kernarg_size 88
		.amdhsa_user_sgpr_count 2
		.amdhsa_user_sgpr_dispatch_ptr 0
		.amdhsa_user_sgpr_queue_ptr 0
		.amdhsa_user_sgpr_kernarg_segment_ptr 1
		.amdhsa_user_sgpr_dispatch_id 0
		.amdhsa_user_sgpr_kernarg_preload_length 0
		.amdhsa_user_sgpr_kernarg_preload_offset 0
		.amdhsa_user_sgpr_private_segment_size 0
		.amdhsa_uses_dynamic_stack 0
		.amdhsa_enable_private_segment 0
		.amdhsa_system_sgpr_workgroup_id_x 1
		.amdhsa_system_sgpr_workgroup_id_y 0
		.amdhsa_system_sgpr_workgroup_id_z 0
		.amdhsa_system_sgpr_workgroup_info 0
		.amdhsa_system_vgpr_workitem_id 0
		.amdhsa_next_free_vgpr 1
		.amdhsa_next_free_sgpr 0
		.amdhsa_accum_offset 4
		.amdhsa_reserve_vcc 0
		.amdhsa_float_round_mode_32 0
		.amdhsa_float_round_mode_16_64 0
		.amdhsa_float_denorm_mode_32 3
		.amdhsa_float_denorm_mode_16_64 3
		.amdhsa_dx10_clamp 1
		.amdhsa_ieee_mode 1
		.amdhsa_fp16_overflow 0
		.amdhsa_tg_split 0
		.amdhsa_exception_fp_ieee_invalid_op 0
		.amdhsa_exception_fp_denorm_src 0
		.amdhsa_exception_fp_ieee_div_zero 0
		.amdhsa_exception_fp_ieee_overflow 0
		.amdhsa_exception_fp_ieee_underflow 0
		.amdhsa_exception_fp_ieee_inexact 0
		.amdhsa_exception_int_div_zero 0
	.end_amdhsa_kernel
	.section	.text._ZN7rocprim17ROCPRIM_400000_NS6detail17trampoline_kernelINS0_14default_configENS1_35radix_sort_onesweep_config_selectorIssEEZZNS1_29radix_sort_onesweep_iterationIS3_Lb0EN6thrust23THRUST_200600_302600_NS6detail15normal_iteratorINS8_10device_ptrIsEEEESD_SD_SD_jNS0_19identity_decomposerENS1_16block_id_wrapperIjLb1EEEEE10hipError_tT1_PNSt15iterator_traitsISI_E10value_typeET2_T3_PNSJ_ISO_E10value_typeET4_T5_PST_SU_PNS1_23onesweep_lookback_stateEbbT6_jjT7_P12ihipStream_tbENKUlT_T0_SI_SN_E_clISD_PsSD_S15_EEDaS11_S12_SI_SN_EUlS11_E_NS1_11comp_targetILNS1_3genE5ELNS1_11target_archE942ELNS1_3gpuE9ELNS1_3repE0EEENS1_47radix_sort_onesweep_sort_config_static_selectorELNS0_4arch9wavefront6targetE1EEEvSI_,"axG",@progbits,_ZN7rocprim17ROCPRIM_400000_NS6detail17trampoline_kernelINS0_14default_configENS1_35radix_sort_onesweep_config_selectorIssEEZZNS1_29radix_sort_onesweep_iterationIS3_Lb0EN6thrust23THRUST_200600_302600_NS6detail15normal_iteratorINS8_10device_ptrIsEEEESD_SD_SD_jNS0_19identity_decomposerENS1_16block_id_wrapperIjLb1EEEEE10hipError_tT1_PNSt15iterator_traitsISI_E10value_typeET2_T3_PNSJ_ISO_E10value_typeET4_T5_PST_SU_PNS1_23onesweep_lookback_stateEbbT6_jjT7_P12ihipStream_tbENKUlT_T0_SI_SN_E_clISD_PsSD_S15_EEDaS11_S12_SI_SN_EUlS11_E_NS1_11comp_targetILNS1_3genE5ELNS1_11target_archE942ELNS1_3gpuE9ELNS1_3repE0EEENS1_47radix_sort_onesweep_sort_config_static_selectorELNS0_4arch9wavefront6targetE1EEEvSI_,comdat
.Lfunc_end1653:
	.size	_ZN7rocprim17ROCPRIM_400000_NS6detail17trampoline_kernelINS0_14default_configENS1_35radix_sort_onesweep_config_selectorIssEEZZNS1_29radix_sort_onesweep_iterationIS3_Lb0EN6thrust23THRUST_200600_302600_NS6detail15normal_iteratorINS8_10device_ptrIsEEEESD_SD_SD_jNS0_19identity_decomposerENS1_16block_id_wrapperIjLb1EEEEE10hipError_tT1_PNSt15iterator_traitsISI_E10value_typeET2_T3_PNSJ_ISO_E10value_typeET4_T5_PST_SU_PNS1_23onesweep_lookback_stateEbbT6_jjT7_P12ihipStream_tbENKUlT_T0_SI_SN_E_clISD_PsSD_S15_EEDaS11_S12_SI_SN_EUlS11_E_NS1_11comp_targetILNS1_3genE5ELNS1_11target_archE942ELNS1_3gpuE9ELNS1_3repE0EEENS1_47radix_sort_onesweep_sort_config_static_selectorELNS0_4arch9wavefront6targetE1EEEvSI_, .Lfunc_end1653-_ZN7rocprim17ROCPRIM_400000_NS6detail17trampoline_kernelINS0_14default_configENS1_35radix_sort_onesweep_config_selectorIssEEZZNS1_29radix_sort_onesweep_iterationIS3_Lb0EN6thrust23THRUST_200600_302600_NS6detail15normal_iteratorINS8_10device_ptrIsEEEESD_SD_SD_jNS0_19identity_decomposerENS1_16block_id_wrapperIjLb1EEEEE10hipError_tT1_PNSt15iterator_traitsISI_E10value_typeET2_T3_PNSJ_ISO_E10value_typeET4_T5_PST_SU_PNS1_23onesweep_lookback_stateEbbT6_jjT7_P12ihipStream_tbENKUlT_T0_SI_SN_E_clISD_PsSD_S15_EEDaS11_S12_SI_SN_EUlS11_E_NS1_11comp_targetILNS1_3genE5ELNS1_11target_archE942ELNS1_3gpuE9ELNS1_3repE0EEENS1_47radix_sort_onesweep_sort_config_static_selectorELNS0_4arch9wavefront6targetE1EEEvSI_
                                        ; -- End function
	.set _ZN7rocprim17ROCPRIM_400000_NS6detail17trampoline_kernelINS0_14default_configENS1_35radix_sort_onesweep_config_selectorIssEEZZNS1_29radix_sort_onesweep_iterationIS3_Lb0EN6thrust23THRUST_200600_302600_NS6detail15normal_iteratorINS8_10device_ptrIsEEEESD_SD_SD_jNS0_19identity_decomposerENS1_16block_id_wrapperIjLb1EEEEE10hipError_tT1_PNSt15iterator_traitsISI_E10value_typeET2_T3_PNSJ_ISO_E10value_typeET4_T5_PST_SU_PNS1_23onesweep_lookback_stateEbbT6_jjT7_P12ihipStream_tbENKUlT_T0_SI_SN_E_clISD_PsSD_S15_EEDaS11_S12_SI_SN_EUlS11_E_NS1_11comp_targetILNS1_3genE5ELNS1_11target_archE942ELNS1_3gpuE9ELNS1_3repE0EEENS1_47radix_sort_onesweep_sort_config_static_selectorELNS0_4arch9wavefront6targetE1EEEvSI_.num_vgpr, 0
	.set _ZN7rocprim17ROCPRIM_400000_NS6detail17trampoline_kernelINS0_14default_configENS1_35radix_sort_onesweep_config_selectorIssEEZZNS1_29radix_sort_onesweep_iterationIS3_Lb0EN6thrust23THRUST_200600_302600_NS6detail15normal_iteratorINS8_10device_ptrIsEEEESD_SD_SD_jNS0_19identity_decomposerENS1_16block_id_wrapperIjLb1EEEEE10hipError_tT1_PNSt15iterator_traitsISI_E10value_typeET2_T3_PNSJ_ISO_E10value_typeET4_T5_PST_SU_PNS1_23onesweep_lookback_stateEbbT6_jjT7_P12ihipStream_tbENKUlT_T0_SI_SN_E_clISD_PsSD_S15_EEDaS11_S12_SI_SN_EUlS11_E_NS1_11comp_targetILNS1_3genE5ELNS1_11target_archE942ELNS1_3gpuE9ELNS1_3repE0EEENS1_47radix_sort_onesweep_sort_config_static_selectorELNS0_4arch9wavefront6targetE1EEEvSI_.num_agpr, 0
	.set _ZN7rocprim17ROCPRIM_400000_NS6detail17trampoline_kernelINS0_14default_configENS1_35radix_sort_onesweep_config_selectorIssEEZZNS1_29radix_sort_onesweep_iterationIS3_Lb0EN6thrust23THRUST_200600_302600_NS6detail15normal_iteratorINS8_10device_ptrIsEEEESD_SD_SD_jNS0_19identity_decomposerENS1_16block_id_wrapperIjLb1EEEEE10hipError_tT1_PNSt15iterator_traitsISI_E10value_typeET2_T3_PNSJ_ISO_E10value_typeET4_T5_PST_SU_PNS1_23onesweep_lookback_stateEbbT6_jjT7_P12ihipStream_tbENKUlT_T0_SI_SN_E_clISD_PsSD_S15_EEDaS11_S12_SI_SN_EUlS11_E_NS1_11comp_targetILNS1_3genE5ELNS1_11target_archE942ELNS1_3gpuE9ELNS1_3repE0EEENS1_47radix_sort_onesweep_sort_config_static_selectorELNS0_4arch9wavefront6targetE1EEEvSI_.numbered_sgpr, 0
	.set _ZN7rocprim17ROCPRIM_400000_NS6detail17trampoline_kernelINS0_14default_configENS1_35radix_sort_onesweep_config_selectorIssEEZZNS1_29radix_sort_onesweep_iterationIS3_Lb0EN6thrust23THRUST_200600_302600_NS6detail15normal_iteratorINS8_10device_ptrIsEEEESD_SD_SD_jNS0_19identity_decomposerENS1_16block_id_wrapperIjLb1EEEEE10hipError_tT1_PNSt15iterator_traitsISI_E10value_typeET2_T3_PNSJ_ISO_E10value_typeET4_T5_PST_SU_PNS1_23onesweep_lookback_stateEbbT6_jjT7_P12ihipStream_tbENKUlT_T0_SI_SN_E_clISD_PsSD_S15_EEDaS11_S12_SI_SN_EUlS11_E_NS1_11comp_targetILNS1_3genE5ELNS1_11target_archE942ELNS1_3gpuE9ELNS1_3repE0EEENS1_47radix_sort_onesweep_sort_config_static_selectorELNS0_4arch9wavefront6targetE1EEEvSI_.num_named_barrier, 0
	.set _ZN7rocprim17ROCPRIM_400000_NS6detail17trampoline_kernelINS0_14default_configENS1_35radix_sort_onesweep_config_selectorIssEEZZNS1_29radix_sort_onesweep_iterationIS3_Lb0EN6thrust23THRUST_200600_302600_NS6detail15normal_iteratorINS8_10device_ptrIsEEEESD_SD_SD_jNS0_19identity_decomposerENS1_16block_id_wrapperIjLb1EEEEE10hipError_tT1_PNSt15iterator_traitsISI_E10value_typeET2_T3_PNSJ_ISO_E10value_typeET4_T5_PST_SU_PNS1_23onesweep_lookback_stateEbbT6_jjT7_P12ihipStream_tbENKUlT_T0_SI_SN_E_clISD_PsSD_S15_EEDaS11_S12_SI_SN_EUlS11_E_NS1_11comp_targetILNS1_3genE5ELNS1_11target_archE942ELNS1_3gpuE9ELNS1_3repE0EEENS1_47radix_sort_onesweep_sort_config_static_selectorELNS0_4arch9wavefront6targetE1EEEvSI_.private_seg_size, 0
	.set _ZN7rocprim17ROCPRIM_400000_NS6detail17trampoline_kernelINS0_14default_configENS1_35radix_sort_onesweep_config_selectorIssEEZZNS1_29radix_sort_onesweep_iterationIS3_Lb0EN6thrust23THRUST_200600_302600_NS6detail15normal_iteratorINS8_10device_ptrIsEEEESD_SD_SD_jNS0_19identity_decomposerENS1_16block_id_wrapperIjLb1EEEEE10hipError_tT1_PNSt15iterator_traitsISI_E10value_typeET2_T3_PNSJ_ISO_E10value_typeET4_T5_PST_SU_PNS1_23onesweep_lookback_stateEbbT6_jjT7_P12ihipStream_tbENKUlT_T0_SI_SN_E_clISD_PsSD_S15_EEDaS11_S12_SI_SN_EUlS11_E_NS1_11comp_targetILNS1_3genE5ELNS1_11target_archE942ELNS1_3gpuE9ELNS1_3repE0EEENS1_47radix_sort_onesweep_sort_config_static_selectorELNS0_4arch9wavefront6targetE1EEEvSI_.uses_vcc, 0
	.set _ZN7rocprim17ROCPRIM_400000_NS6detail17trampoline_kernelINS0_14default_configENS1_35radix_sort_onesweep_config_selectorIssEEZZNS1_29radix_sort_onesweep_iterationIS3_Lb0EN6thrust23THRUST_200600_302600_NS6detail15normal_iteratorINS8_10device_ptrIsEEEESD_SD_SD_jNS0_19identity_decomposerENS1_16block_id_wrapperIjLb1EEEEE10hipError_tT1_PNSt15iterator_traitsISI_E10value_typeET2_T3_PNSJ_ISO_E10value_typeET4_T5_PST_SU_PNS1_23onesweep_lookback_stateEbbT6_jjT7_P12ihipStream_tbENKUlT_T0_SI_SN_E_clISD_PsSD_S15_EEDaS11_S12_SI_SN_EUlS11_E_NS1_11comp_targetILNS1_3genE5ELNS1_11target_archE942ELNS1_3gpuE9ELNS1_3repE0EEENS1_47radix_sort_onesweep_sort_config_static_selectorELNS0_4arch9wavefront6targetE1EEEvSI_.uses_flat_scratch, 0
	.set _ZN7rocprim17ROCPRIM_400000_NS6detail17trampoline_kernelINS0_14default_configENS1_35radix_sort_onesweep_config_selectorIssEEZZNS1_29radix_sort_onesweep_iterationIS3_Lb0EN6thrust23THRUST_200600_302600_NS6detail15normal_iteratorINS8_10device_ptrIsEEEESD_SD_SD_jNS0_19identity_decomposerENS1_16block_id_wrapperIjLb1EEEEE10hipError_tT1_PNSt15iterator_traitsISI_E10value_typeET2_T3_PNSJ_ISO_E10value_typeET4_T5_PST_SU_PNS1_23onesweep_lookback_stateEbbT6_jjT7_P12ihipStream_tbENKUlT_T0_SI_SN_E_clISD_PsSD_S15_EEDaS11_S12_SI_SN_EUlS11_E_NS1_11comp_targetILNS1_3genE5ELNS1_11target_archE942ELNS1_3gpuE9ELNS1_3repE0EEENS1_47radix_sort_onesweep_sort_config_static_selectorELNS0_4arch9wavefront6targetE1EEEvSI_.has_dyn_sized_stack, 0
	.set _ZN7rocprim17ROCPRIM_400000_NS6detail17trampoline_kernelINS0_14default_configENS1_35radix_sort_onesweep_config_selectorIssEEZZNS1_29radix_sort_onesweep_iterationIS3_Lb0EN6thrust23THRUST_200600_302600_NS6detail15normal_iteratorINS8_10device_ptrIsEEEESD_SD_SD_jNS0_19identity_decomposerENS1_16block_id_wrapperIjLb1EEEEE10hipError_tT1_PNSt15iterator_traitsISI_E10value_typeET2_T3_PNSJ_ISO_E10value_typeET4_T5_PST_SU_PNS1_23onesweep_lookback_stateEbbT6_jjT7_P12ihipStream_tbENKUlT_T0_SI_SN_E_clISD_PsSD_S15_EEDaS11_S12_SI_SN_EUlS11_E_NS1_11comp_targetILNS1_3genE5ELNS1_11target_archE942ELNS1_3gpuE9ELNS1_3repE0EEENS1_47radix_sort_onesweep_sort_config_static_selectorELNS0_4arch9wavefront6targetE1EEEvSI_.has_recursion, 0
	.set _ZN7rocprim17ROCPRIM_400000_NS6detail17trampoline_kernelINS0_14default_configENS1_35radix_sort_onesweep_config_selectorIssEEZZNS1_29radix_sort_onesweep_iterationIS3_Lb0EN6thrust23THRUST_200600_302600_NS6detail15normal_iteratorINS8_10device_ptrIsEEEESD_SD_SD_jNS0_19identity_decomposerENS1_16block_id_wrapperIjLb1EEEEE10hipError_tT1_PNSt15iterator_traitsISI_E10value_typeET2_T3_PNSJ_ISO_E10value_typeET4_T5_PST_SU_PNS1_23onesweep_lookback_stateEbbT6_jjT7_P12ihipStream_tbENKUlT_T0_SI_SN_E_clISD_PsSD_S15_EEDaS11_S12_SI_SN_EUlS11_E_NS1_11comp_targetILNS1_3genE5ELNS1_11target_archE942ELNS1_3gpuE9ELNS1_3repE0EEENS1_47radix_sort_onesweep_sort_config_static_selectorELNS0_4arch9wavefront6targetE1EEEvSI_.has_indirect_call, 0
	.section	.AMDGPU.csdata,"",@progbits
; Kernel info:
; codeLenInByte = 0
; TotalNumSgprs: 6
; NumVgprs: 0
; NumAgprs: 0
; TotalNumVgprs: 0
; ScratchSize: 0
; MemoryBound: 0
; FloatMode: 240
; IeeeMode: 1
; LDSByteSize: 0 bytes/workgroup (compile time only)
; SGPRBlocks: 0
; VGPRBlocks: 0
; NumSGPRsForWavesPerEU: 6
; NumVGPRsForWavesPerEU: 1
; AccumOffset: 4
; Occupancy: 8
; WaveLimiterHint : 0
; COMPUTE_PGM_RSRC2:SCRATCH_EN: 0
; COMPUTE_PGM_RSRC2:USER_SGPR: 2
; COMPUTE_PGM_RSRC2:TRAP_HANDLER: 0
; COMPUTE_PGM_RSRC2:TGID_X_EN: 1
; COMPUTE_PGM_RSRC2:TGID_Y_EN: 0
; COMPUTE_PGM_RSRC2:TGID_Z_EN: 0
; COMPUTE_PGM_RSRC2:TIDIG_COMP_CNT: 0
; COMPUTE_PGM_RSRC3_GFX90A:ACCUM_OFFSET: 0
; COMPUTE_PGM_RSRC3_GFX90A:TG_SPLIT: 0
	.section	.text._ZN7rocprim17ROCPRIM_400000_NS6detail17trampoline_kernelINS0_14default_configENS1_35radix_sort_onesweep_config_selectorIssEEZZNS1_29radix_sort_onesweep_iterationIS3_Lb0EN6thrust23THRUST_200600_302600_NS6detail15normal_iteratorINS8_10device_ptrIsEEEESD_SD_SD_jNS0_19identity_decomposerENS1_16block_id_wrapperIjLb1EEEEE10hipError_tT1_PNSt15iterator_traitsISI_E10value_typeET2_T3_PNSJ_ISO_E10value_typeET4_T5_PST_SU_PNS1_23onesweep_lookback_stateEbbT6_jjT7_P12ihipStream_tbENKUlT_T0_SI_SN_E_clISD_PsSD_S15_EEDaS11_S12_SI_SN_EUlS11_E_NS1_11comp_targetILNS1_3genE2ELNS1_11target_archE906ELNS1_3gpuE6ELNS1_3repE0EEENS1_47radix_sort_onesweep_sort_config_static_selectorELNS0_4arch9wavefront6targetE1EEEvSI_,"axG",@progbits,_ZN7rocprim17ROCPRIM_400000_NS6detail17trampoline_kernelINS0_14default_configENS1_35radix_sort_onesweep_config_selectorIssEEZZNS1_29radix_sort_onesweep_iterationIS3_Lb0EN6thrust23THRUST_200600_302600_NS6detail15normal_iteratorINS8_10device_ptrIsEEEESD_SD_SD_jNS0_19identity_decomposerENS1_16block_id_wrapperIjLb1EEEEE10hipError_tT1_PNSt15iterator_traitsISI_E10value_typeET2_T3_PNSJ_ISO_E10value_typeET4_T5_PST_SU_PNS1_23onesweep_lookback_stateEbbT6_jjT7_P12ihipStream_tbENKUlT_T0_SI_SN_E_clISD_PsSD_S15_EEDaS11_S12_SI_SN_EUlS11_E_NS1_11comp_targetILNS1_3genE2ELNS1_11target_archE906ELNS1_3gpuE6ELNS1_3repE0EEENS1_47radix_sort_onesweep_sort_config_static_selectorELNS0_4arch9wavefront6targetE1EEEvSI_,comdat
	.protected	_ZN7rocprim17ROCPRIM_400000_NS6detail17trampoline_kernelINS0_14default_configENS1_35radix_sort_onesweep_config_selectorIssEEZZNS1_29radix_sort_onesweep_iterationIS3_Lb0EN6thrust23THRUST_200600_302600_NS6detail15normal_iteratorINS8_10device_ptrIsEEEESD_SD_SD_jNS0_19identity_decomposerENS1_16block_id_wrapperIjLb1EEEEE10hipError_tT1_PNSt15iterator_traitsISI_E10value_typeET2_T3_PNSJ_ISO_E10value_typeET4_T5_PST_SU_PNS1_23onesweep_lookback_stateEbbT6_jjT7_P12ihipStream_tbENKUlT_T0_SI_SN_E_clISD_PsSD_S15_EEDaS11_S12_SI_SN_EUlS11_E_NS1_11comp_targetILNS1_3genE2ELNS1_11target_archE906ELNS1_3gpuE6ELNS1_3repE0EEENS1_47radix_sort_onesweep_sort_config_static_selectorELNS0_4arch9wavefront6targetE1EEEvSI_ ; -- Begin function _ZN7rocprim17ROCPRIM_400000_NS6detail17trampoline_kernelINS0_14default_configENS1_35radix_sort_onesweep_config_selectorIssEEZZNS1_29radix_sort_onesweep_iterationIS3_Lb0EN6thrust23THRUST_200600_302600_NS6detail15normal_iteratorINS8_10device_ptrIsEEEESD_SD_SD_jNS0_19identity_decomposerENS1_16block_id_wrapperIjLb1EEEEE10hipError_tT1_PNSt15iterator_traitsISI_E10value_typeET2_T3_PNSJ_ISO_E10value_typeET4_T5_PST_SU_PNS1_23onesweep_lookback_stateEbbT6_jjT7_P12ihipStream_tbENKUlT_T0_SI_SN_E_clISD_PsSD_S15_EEDaS11_S12_SI_SN_EUlS11_E_NS1_11comp_targetILNS1_3genE2ELNS1_11target_archE906ELNS1_3gpuE6ELNS1_3repE0EEENS1_47radix_sort_onesweep_sort_config_static_selectorELNS0_4arch9wavefront6targetE1EEEvSI_
	.globl	_ZN7rocprim17ROCPRIM_400000_NS6detail17trampoline_kernelINS0_14default_configENS1_35radix_sort_onesweep_config_selectorIssEEZZNS1_29radix_sort_onesweep_iterationIS3_Lb0EN6thrust23THRUST_200600_302600_NS6detail15normal_iteratorINS8_10device_ptrIsEEEESD_SD_SD_jNS0_19identity_decomposerENS1_16block_id_wrapperIjLb1EEEEE10hipError_tT1_PNSt15iterator_traitsISI_E10value_typeET2_T3_PNSJ_ISO_E10value_typeET4_T5_PST_SU_PNS1_23onesweep_lookback_stateEbbT6_jjT7_P12ihipStream_tbENKUlT_T0_SI_SN_E_clISD_PsSD_S15_EEDaS11_S12_SI_SN_EUlS11_E_NS1_11comp_targetILNS1_3genE2ELNS1_11target_archE906ELNS1_3gpuE6ELNS1_3repE0EEENS1_47radix_sort_onesweep_sort_config_static_selectorELNS0_4arch9wavefront6targetE1EEEvSI_
	.p2align	8
	.type	_ZN7rocprim17ROCPRIM_400000_NS6detail17trampoline_kernelINS0_14default_configENS1_35radix_sort_onesweep_config_selectorIssEEZZNS1_29radix_sort_onesweep_iterationIS3_Lb0EN6thrust23THRUST_200600_302600_NS6detail15normal_iteratorINS8_10device_ptrIsEEEESD_SD_SD_jNS0_19identity_decomposerENS1_16block_id_wrapperIjLb1EEEEE10hipError_tT1_PNSt15iterator_traitsISI_E10value_typeET2_T3_PNSJ_ISO_E10value_typeET4_T5_PST_SU_PNS1_23onesweep_lookback_stateEbbT6_jjT7_P12ihipStream_tbENKUlT_T0_SI_SN_E_clISD_PsSD_S15_EEDaS11_S12_SI_SN_EUlS11_E_NS1_11comp_targetILNS1_3genE2ELNS1_11target_archE906ELNS1_3gpuE6ELNS1_3repE0EEENS1_47radix_sort_onesweep_sort_config_static_selectorELNS0_4arch9wavefront6targetE1EEEvSI_,@function
_ZN7rocprim17ROCPRIM_400000_NS6detail17trampoline_kernelINS0_14default_configENS1_35radix_sort_onesweep_config_selectorIssEEZZNS1_29radix_sort_onesweep_iterationIS3_Lb0EN6thrust23THRUST_200600_302600_NS6detail15normal_iteratorINS8_10device_ptrIsEEEESD_SD_SD_jNS0_19identity_decomposerENS1_16block_id_wrapperIjLb1EEEEE10hipError_tT1_PNSt15iterator_traitsISI_E10value_typeET2_T3_PNSJ_ISO_E10value_typeET4_T5_PST_SU_PNS1_23onesweep_lookback_stateEbbT6_jjT7_P12ihipStream_tbENKUlT_T0_SI_SN_E_clISD_PsSD_S15_EEDaS11_S12_SI_SN_EUlS11_E_NS1_11comp_targetILNS1_3genE2ELNS1_11target_archE906ELNS1_3gpuE6ELNS1_3repE0EEENS1_47radix_sort_onesweep_sort_config_static_selectorELNS0_4arch9wavefront6targetE1EEEvSI_: ; @_ZN7rocprim17ROCPRIM_400000_NS6detail17trampoline_kernelINS0_14default_configENS1_35radix_sort_onesweep_config_selectorIssEEZZNS1_29radix_sort_onesweep_iterationIS3_Lb0EN6thrust23THRUST_200600_302600_NS6detail15normal_iteratorINS8_10device_ptrIsEEEESD_SD_SD_jNS0_19identity_decomposerENS1_16block_id_wrapperIjLb1EEEEE10hipError_tT1_PNSt15iterator_traitsISI_E10value_typeET2_T3_PNSJ_ISO_E10value_typeET4_T5_PST_SU_PNS1_23onesweep_lookback_stateEbbT6_jjT7_P12ihipStream_tbENKUlT_T0_SI_SN_E_clISD_PsSD_S15_EEDaS11_S12_SI_SN_EUlS11_E_NS1_11comp_targetILNS1_3genE2ELNS1_11target_archE906ELNS1_3gpuE6ELNS1_3repE0EEENS1_47radix_sort_onesweep_sort_config_static_selectorELNS0_4arch9wavefront6targetE1EEEvSI_
; %bb.0:
	.section	.rodata,"a",@progbits
	.p2align	6, 0x0
	.amdhsa_kernel _ZN7rocprim17ROCPRIM_400000_NS6detail17trampoline_kernelINS0_14default_configENS1_35radix_sort_onesweep_config_selectorIssEEZZNS1_29radix_sort_onesweep_iterationIS3_Lb0EN6thrust23THRUST_200600_302600_NS6detail15normal_iteratorINS8_10device_ptrIsEEEESD_SD_SD_jNS0_19identity_decomposerENS1_16block_id_wrapperIjLb1EEEEE10hipError_tT1_PNSt15iterator_traitsISI_E10value_typeET2_T3_PNSJ_ISO_E10value_typeET4_T5_PST_SU_PNS1_23onesweep_lookback_stateEbbT6_jjT7_P12ihipStream_tbENKUlT_T0_SI_SN_E_clISD_PsSD_S15_EEDaS11_S12_SI_SN_EUlS11_E_NS1_11comp_targetILNS1_3genE2ELNS1_11target_archE906ELNS1_3gpuE6ELNS1_3repE0EEENS1_47radix_sort_onesweep_sort_config_static_selectorELNS0_4arch9wavefront6targetE1EEEvSI_
		.amdhsa_group_segment_fixed_size 0
		.amdhsa_private_segment_fixed_size 0
		.amdhsa_kernarg_size 88
		.amdhsa_user_sgpr_count 2
		.amdhsa_user_sgpr_dispatch_ptr 0
		.amdhsa_user_sgpr_queue_ptr 0
		.amdhsa_user_sgpr_kernarg_segment_ptr 1
		.amdhsa_user_sgpr_dispatch_id 0
		.amdhsa_user_sgpr_kernarg_preload_length 0
		.amdhsa_user_sgpr_kernarg_preload_offset 0
		.amdhsa_user_sgpr_private_segment_size 0
		.amdhsa_uses_dynamic_stack 0
		.amdhsa_enable_private_segment 0
		.amdhsa_system_sgpr_workgroup_id_x 1
		.amdhsa_system_sgpr_workgroup_id_y 0
		.amdhsa_system_sgpr_workgroup_id_z 0
		.amdhsa_system_sgpr_workgroup_info 0
		.amdhsa_system_vgpr_workitem_id 0
		.amdhsa_next_free_vgpr 1
		.amdhsa_next_free_sgpr 0
		.amdhsa_accum_offset 4
		.amdhsa_reserve_vcc 0
		.amdhsa_float_round_mode_32 0
		.amdhsa_float_round_mode_16_64 0
		.amdhsa_float_denorm_mode_32 3
		.amdhsa_float_denorm_mode_16_64 3
		.amdhsa_dx10_clamp 1
		.amdhsa_ieee_mode 1
		.amdhsa_fp16_overflow 0
		.amdhsa_tg_split 0
		.amdhsa_exception_fp_ieee_invalid_op 0
		.amdhsa_exception_fp_denorm_src 0
		.amdhsa_exception_fp_ieee_div_zero 0
		.amdhsa_exception_fp_ieee_overflow 0
		.amdhsa_exception_fp_ieee_underflow 0
		.amdhsa_exception_fp_ieee_inexact 0
		.amdhsa_exception_int_div_zero 0
	.end_amdhsa_kernel
	.section	.text._ZN7rocprim17ROCPRIM_400000_NS6detail17trampoline_kernelINS0_14default_configENS1_35radix_sort_onesweep_config_selectorIssEEZZNS1_29radix_sort_onesweep_iterationIS3_Lb0EN6thrust23THRUST_200600_302600_NS6detail15normal_iteratorINS8_10device_ptrIsEEEESD_SD_SD_jNS0_19identity_decomposerENS1_16block_id_wrapperIjLb1EEEEE10hipError_tT1_PNSt15iterator_traitsISI_E10value_typeET2_T3_PNSJ_ISO_E10value_typeET4_T5_PST_SU_PNS1_23onesweep_lookback_stateEbbT6_jjT7_P12ihipStream_tbENKUlT_T0_SI_SN_E_clISD_PsSD_S15_EEDaS11_S12_SI_SN_EUlS11_E_NS1_11comp_targetILNS1_3genE2ELNS1_11target_archE906ELNS1_3gpuE6ELNS1_3repE0EEENS1_47radix_sort_onesweep_sort_config_static_selectorELNS0_4arch9wavefront6targetE1EEEvSI_,"axG",@progbits,_ZN7rocprim17ROCPRIM_400000_NS6detail17trampoline_kernelINS0_14default_configENS1_35radix_sort_onesweep_config_selectorIssEEZZNS1_29radix_sort_onesweep_iterationIS3_Lb0EN6thrust23THRUST_200600_302600_NS6detail15normal_iteratorINS8_10device_ptrIsEEEESD_SD_SD_jNS0_19identity_decomposerENS1_16block_id_wrapperIjLb1EEEEE10hipError_tT1_PNSt15iterator_traitsISI_E10value_typeET2_T3_PNSJ_ISO_E10value_typeET4_T5_PST_SU_PNS1_23onesweep_lookback_stateEbbT6_jjT7_P12ihipStream_tbENKUlT_T0_SI_SN_E_clISD_PsSD_S15_EEDaS11_S12_SI_SN_EUlS11_E_NS1_11comp_targetILNS1_3genE2ELNS1_11target_archE906ELNS1_3gpuE6ELNS1_3repE0EEENS1_47radix_sort_onesweep_sort_config_static_selectorELNS0_4arch9wavefront6targetE1EEEvSI_,comdat
.Lfunc_end1654:
	.size	_ZN7rocprim17ROCPRIM_400000_NS6detail17trampoline_kernelINS0_14default_configENS1_35radix_sort_onesweep_config_selectorIssEEZZNS1_29radix_sort_onesweep_iterationIS3_Lb0EN6thrust23THRUST_200600_302600_NS6detail15normal_iteratorINS8_10device_ptrIsEEEESD_SD_SD_jNS0_19identity_decomposerENS1_16block_id_wrapperIjLb1EEEEE10hipError_tT1_PNSt15iterator_traitsISI_E10value_typeET2_T3_PNSJ_ISO_E10value_typeET4_T5_PST_SU_PNS1_23onesweep_lookback_stateEbbT6_jjT7_P12ihipStream_tbENKUlT_T0_SI_SN_E_clISD_PsSD_S15_EEDaS11_S12_SI_SN_EUlS11_E_NS1_11comp_targetILNS1_3genE2ELNS1_11target_archE906ELNS1_3gpuE6ELNS1_3repE0EEENS1_47radix_sort_onesweep_sort_config_static_selectorELNS0_4arch9wavefront6targetE1EEEvSI_, .Lfunc_end1654-_ZN7rocprim17ROCPRIM_400000_NS6detail17trampoline_kernelINS0_14default_configENS1_35radix_sort_onesweep_config_selectorIssEEZZNS1_29radix_sort_onesweep_iterationIS3_Lb0EN6thrust23THRUST_200600_302600_NS6detail15normal_iteratorINS8_10device_ptrIsEEEESD_SD_SD_jNS0_19identity_decomposerENS1_16block_id_wrapperIjLb1EEEEE10hipError_tT1_PNSt15iterator_traitsISI_E10value_typeET2_T3_PNSJ_ISO_E10value_typeET4_T5_PST_SU_PNS1_23onesweep_lookback_stateEbbT6_jjT7_P12ihipStream_tbENKUlT_T0_SI_SN_E_clISD_PsSD_S15_EEDaS11_S12_SI_SN_EUlS11_E_NS1_11comp_targetILNS1_3genE2ELNS1_11target_archE906ELNS1_3gpuE6ELNS1_3repE0EEENS1_47radix_sort_onesweep_sort_config_static_selectorELNS0_4arch9wavefront6targetE1EEEvSI_
                                        ; -- End function
	.set _ZN7rocprim17ROCPRIM_400000_NS6detail17trampoline_kernelINS0_14default_configENS1_35radix_sort_onesweep_config_selectorIssEEZZNS1_29radix_sort_onesweep_iterationIS3_Lb0EN6thrust23THRUST_200600_302600_NS6detail15normal_iteratorINS8_10device_ptrIsEEEESD_SD_SD_jNS0_19identity_decomposerENS1_16block_id_wrapperIjLb1EEEEE10hipError_tT1_PNSt15iterator_traitsISI_E10value_typeET2_T3_PNSJ_ISO_E10value_typeET4_T5_PST_SU_PNS1_23onesweep_lookback_stateEbbT6_jjT7_P12ihipStream_tbENKUlT_T0_SI_SN_E_clISD_PsSD_S15_EEDaS11_S12_SI_SN_EUlS11_E_NS1_11comp_targetILNS1_3genE2ELNS1_11target_archE906ELNS1_3gpuE6ELNS1_3repE0EEENS1_47radix_sort_onesweep_sort_config_static_selectorELNS0_4arch9wavefront6targetE1EEEvSI_.num_vgpr, 0
	.set _ZN7rocprim17ROCPRIM_400000_NS6detail17trampoline_kernelINS0_14default_configENS1_35radix_sort_onesweep_config_selectorIssEEZZNS1_29radix_sort_onesweep_iterationIS3_Lb0EN6thrust23THRUST_200600_302600_NS6detail15normal_iteratorINS8_10device_ptrIsEEEESD_SD_SD_jNS0_19identity_decomposerENS1_16block_id_wrapperIjLb1EEEEE10hipError_tT1_PNSt15iterator_traitsISI_E10value_typeET2_T3_PNSJ_ISO_E10value_typeET4_T5_PST_SU_PNS1_23onesweep_lookback_stateEbbT6_jjT7_P12ihipStream_tbENKUlT_T0_SI_SN_E_clISD_PsSD_S15_EEDaS11_S12_SI_SN_EUlS11_E_NS1_11comp_targetILNS1_3genE2ELNS1_11target_archE906ELNS1_3gpuE6ELNS1_3repE0EEENS1_47radix_sort_onesweep_sort_config_static_selectorELNS0_4arch9wavefront6targetE1EEEvSI_.num_agpr, 0
	.set _ZN7rocprim17ROCPRIM_400000_NS6detail17trampoline_kernelINS0_14default_configENS1_35radix_sort_onesweep_config_selectorIssEEZZNS1_29radix_sort_onesweep_iterationIS3_Lb0EN6thrust23THRUST_200600_302600_NS6detail15normal_iteratorINS8_10device_ptrIsEEEESD_SD_SD_jNS0_19identity_decomposerENS1_16block_id_wrapperIjLb1EEEEE10hipError_tT1_PNSt15iterator_traitsISI_E10value_typeET2_T3_PNSJ_ISO_E10value_typeET4_T5_PST_SU_PNS1_23onesweep_lookback_stateEbbT6_jjT7_P12ihipStream_tbENKUlT_T0_SI_SN_E_clISD_PsSD_S15_EEDaS11_S12_SI_SN_EUlS11_E_NS1_11comp_targetILNS1_3genE2ELNS1_11target_archE906ELNS1_3gpuE6ELNS1_3repE0EEENS1_47radix_sort_onesweep_sort_config_static_selectorELNS0_4arch9wavefront6targetE1EEEvSI_.numbered_sgpr, 0
	.set _ZN7rocprim17ROCPRIM_400000_NS6detail17trampoline_kernelINS0_14default_configENS1_35radix_sort_onesweep_config_selectorIssEEZZNS1_29radix_sort_onesweep_iterationIS3_Lb0EN6thrust23THRUST_200600_302600_NS6detail15normal_iteratorINS8_10device_ptrIsEEEESD_SD_SD_jNS0_19identity_decomposerENS1_16block_id_wrapperIjLb1EEEEE10hipError_tT1_PNSt15iterator_traitsISI_E10value_typeET2_T3_PNSJ_ISO_E10value_typeET4_T5_PST_SU_PNS1_23onesweep_lookback_stateEbbT6_jjT7_P12ihipStream_tbENKUlT_T0_SI_SN_E_clISD_PsSD_S15_EEDaS11_S12_SI_SN_EUlS11_E_NS1_11comp_targetILNS1_3genE2ELNS1_11target_archE906ELNS1_3gpuE6ELNS1_3repE0EEENS1_47radix_sort_onesweep_sort_config_static_selectorELNS0_4arch9wavefront6targetE1EEEvSI_.num_named_barrier, 0
	.set _ZN7rocprim17ROCPRIM_400000_NS6detail17trampoline_kernelINS0_14default_configENS1_35radix_sort_onesweep_config_selectorIssEEZZNS1_29radix_sort_onesweep_iterationIS3_Lb0EN6thrust23THRUST_200600_302600_NS6detail15normal_iteratorINS8_10device_ptrIsEEEESD_SD_SD_jNS0_19identity_decomposerENS1_16block_id_wrapperIjLb1EEEEE10hipError_tT1_PNSt15iterator_traitsISI_E10value_typeET2_T3_PNSJ_ISO_E10value_typeET4_T5_PST_SU_PNS1_23onesweep_lookback_stateEbbT6_jjT7_P12ihipStream_tbENKUlT_T0_SI_SN_E_clISD_PsSD_S15_EEDaS11_S12_SI_SN_EUlS11_E_NS1_11comp_targetILNS1_3genE2ELNS1_11target_archE906ELNS1_3gpuE6ELNS1_3repE0EEENS1_47radix_sort_onesweep_sort_config_static_selectorELNS0_4arch9wavefront6targetE1EEEvSI_.private_seg_size, 0
	.set _ZN7rocprim17ROCPRIM_400000_NS6detail17trampoline_kernelINS0_14default_configENS1_35radix_sort_onesweep_config_selectorIssEEZZNS1_29radix_sort_onesweep_iterationIS3_Lb0EN6thrust23THRUST_200600_302600_NS6detail15normal_iteratorINS8_10device_ptrIsEEEESD_SD_SD_jNS0_19identity_decomposerENS1_16block_id_wrapperIjLb1EEEEE10hipError_tT1_PNSt15iterator_traitsISI_E10value_typeET2_T3_PNSJ_ISO_E10value_typeET4_T5_PST_SU_PNS1_23onesweep_lookback_stateEbbT6_jjT7_P12ihipStream_tbENKUlT_T0_SI_SN_E_clISD_PsSD_S15_EEDaS11_S12_SI_SN_EUlS11_E_NS1_11comp_targetILNS1_3genE2ELNS1_11target_archE906ELNS1_3gpuE6ELNS1_3repE0EEENS1_47radix_sort_onesweep_sort_config_static_selectorELNS0_4arch9wavefront6targetE1EEEvSI_.uses_vcc, 0
	.set _ZN7rocprim17ROCPRIM_400000_NS6detail17trampoline_kernelINS0_14default_configENS1_35radix_sort_onesweep_config_selectorIssEEZZNS1_29radix_sort_onesweep_iterationIS3_Lb0EN6thrust23THRUST_200600_302600_NS6detail15normal_iteratorINS8_10device_ptrIsEEEESD_SD_SD_jNS0_19identity_decomposerENS1_16block_id_wrapperIjLb1EEEEE10hipError_tT1_PNSt15iterator_traitsISI_E10value_typeET2_T3_PNSJ_ISO_E10value_typeET4_T5_PST_SU_PNS1_23onesweep_lookback_stateEbbT6_jjT7_P12ihipStream_tbENKUlT_T0_SI_SN_E_clISD_PsSD_S15_EEDaS11_S12_SI_SN_EUlS11_E_NS1_11comp_targetILNS1_3genE2ELNS1_11target_archE906ELNS1_3gpuE6ELNS1_3repE0EEENS1_47radix_sort_onesweep_sort_config_static_selectorELNS0_4arch9wavefront6targetE1EEEvSI_.uses_flat_scratch, 0
	.set _ZN7rocprim17ROCPRIM_400000_NS6detail17trampoline_kernelINS0_14default_configENS1_35radix_sort_onesweep_config_selectorIssEEZZNS1_29radix_sort_onesweep_iterationIS3_Lb0EN6thrust23THRUST_200600_302600_NS6detail15normal_iteratorINS8_10device_ptrIsEEEESD_SD_SD_jNS0_19identity_decomposerENS1_16block_id_wrapperIjLb1EEEEE10hipError_tT1_PNSt15iterator_traitsISI_E10value_typeET2_T3_PNSJ_ISO_E10value_typeET4_T5_PST_SU_PNS1_23onesweep_lookback_stateEbbT6_jjT7_P12ihipStream_tbENKUlT_T0_SI_SN_E_clISD_PsSD_S15_EEDaS11_S12_SI_SN_EUlS11_E_NS1_11comp_targetILNS1_3genE2ELNS1_11target_archE906ELNS1_3gpuE6ELNS1_3repE0EEENS1_47radix_sort_onesweep_sort_config_static_selectorELNS0_4arch9wavefront6targetE1EEEvSI_.has_dyn_sized_stack, 0
	.set _ZN7rocprim17ROCPRIM_400000_NS6detail17trampoline_kernelINS0_14default_configENS1_35radix_sort_onesweep_config_selectorIssEEZZNS1_29radix_sort_onesweep_iterationIS3_Lb0EN6thrust23THRUST_200600_302600_NS6detail15normal_iteratorINS8_10device_ptrIsEEEESD_SD_SD_jNS0_19identity_decomposerENS1_16block_id_wrapperIjLb1EEEEE10hipError_tT1_PNSt15iterator_traitsISI_E10value_typeET2_T3_PNSJ_ISO_E10value_typeET4_T5_PST_SU_PNS1_23onesweep_lookback_stateEbbT6_jjT7_P12ihipStream_tbENKUlT_T0_SI_SN_E_clISD_PsSD_S15_EEDaS11_S12_SI_SN_EUlS11_E_NS1_11comp_targetILNS1_3genE2ELNS1_11target_archE906ELNS1_3gpuE6ELNS1_3repE0EEENS1_47radix_sort_onesweep_sort_config_static_selectorELNS0_4arch9wavefront6targetE1EEEvSI_.has_recursion, 0
	.set _ZN7rocprim17ROCPRIM_400000_NS6detail17trampoline_kernelINS0_14default_configENS1_35radix_sort_onesweep_config_selectorIssEEZZNS1_29radix_sort_onesweep_iterationIS3_Lb0EN6thrust23THRUST_200600_302600_NS6detail15normal_iteratorINS8_10device_ptrIsEEEESD_SD_SD_jNS0_19identity_decomposerENS1_16block_id_wrapperIjLb1EEEEE10hipError_tT1_PNSt15iterator_traitsISI_E10value_typeET2_T3_PNSJ_ISO_E10value_typeET4_T5_PST_SU_PNS1_23onesweep_lookback_stateEbbT6_jjT7_P12ihipStream_tbENKUlT_T0_SI_SN_E_clISD_PsSD_S15_EEDaS11_S12_SI_SN_EUlS11_E_NS1_11comp_targetILNS1_3genE2ELNS1_11target_archE906ELNS1_3gpuE6ELNS1_3repE0EEENS1_47radix_sort_onesweep_sort_config_static_selectorELNS0_4arch9wavefront6targetE1EEEvSI_.has_indirect_call, 0
	.section	.AMDGPU.csdata,"",@progbits
; Kernel info:
; codeLenInByte = 0
; TotalNumSgprs: 6
; NumVgprs: 0
; NumAgprs: 0
; TotalNumVgprs: 0
; ScratchSize: 0
; MemoryBound: 0
; FloatMode: 240
; IeeeMode: 1
; LDSByteSize: 0 bytes/workgroup (compile time only)
; SGPRBlocks: 0
; VGPRBlocks: 0
; NumSGPRsForWavesPerEU: 6
; NumVGPRsForWavesPerEU: 1
; AccumOffset: 4
; Occupancy: 8
; WaveLimiterHint : 0
; COMPUTE_PGM_RSRC2:SCRATCH_EN: 0
; COMPUTE_PGM_RSRC2:USER_SGPR: 2
; COMPUTE_PGM_RSRC2:TRAP_HANDLER: 0
; COMPUTE_PGM_RSRC2:TGID_X_EN: 1
; COMPUTE_PGM_RSRC2:TGID_Y_EN: 0
; COMPUTE_PGM_RSRC2:TGID_Z_EN: 0
; COMPUTE_PGM_RSRC2:TIDIG_COMP_CNT: 0
; COMPUTE_PGM_RSRC3_GFX90A:ACCUM_OFFSET: 0
; COMPUTE_PGM_RSRC3_GFX90A:TG_SPLIT: 0
	.section	.text._ZN7rocprim17ROCPRIM_400000_NS6detail17trampoline_kernelINS0_14default_configENS1_35radix_sort_onesweep_config_selectorIssEEZZNS1_29radix_sort_onesweep_iterationIS3_Lb0EN6thrust23THRUST_200600_302600_NS6detail15normal_iteratorINS8_10device_ptrIsEEEESD_SD_SD_jNS0_19identity_decomposerENS1_16block_id_wrapperIjLb1EEEEE10hipError_tT1_PNSt15iterator_traitsISI_E10value_typeET2_T3_PNSJ_ISO_E10value_typeET4_T5_PST_SU_PNS1_23onesweep_lookback_stateEbbT6_jjT7_P12ihipStream_tbENKUlT_T0_SI_SN_E_clISD_PsSD_S15_EEDaS11_S12_SI_SN_EUlS11_E_NS1_11comp_targetILNS1_3genE4ELNS1_11target_archE910ELNS1_3gpuE8ELNS1_3repE0EEENS1_47radix_sort_onesweep_sort_config_static_selectorELNS0_4arch9wavefront6targetE1EEEvSI_,"axG",@progbits,_ZN7rocprim17ROCPRIM_400000_NS6detail17trampoline_kernelINS0_14default_configENS1_35radix_sort_onesweep_config_selectorIssEEZZNS1_29radix_sort_onesweep_iterationIS3_Lb0EN6thrust23THRUST_200600_302600_NS6detail15normal_iteratorINS8_10device_ptrIsEEEESD_SD_SD_jNS0_19identity_decomposerENS1_16block_id_wrapperIjLb1EEEEE10hipError_tT1_PNSt15iterator_traitsISI_E10value_typeET2_T3_PNSJ_ISO_E10value_typeET4_T5_PST_SU_PNS1_23onesweep_lookback_stateEbbT6_jjT7_P12ihipStream_tbENKUlT_T0_SI_SN_E_clISD_PsSD_S15_EEDaS11_S12_SI_SN_EUlS11_E_NS1_11comp_targetILNS1_3genE4ELNS1_11target_archE910ELNS1_3gpuE8ELNS1_3repE0EEENS1_47radix_sort_onesweep_sort_config_static_selectorELNS0_4arch9wavefront6targetE1EEEvSI_,comdat
	.protected	_ZN7rocprim17ROCPRIM_400000_NS6detail17trampoline_kernelINS0_14default_configENS1_35radix_sort_onesweep_config_selectorIssEEZZNS1_29radix_sort_onesweep_iterationIS3_Lb0EN6thrust23THRUST_200600_302600_NS6detail15normal_iteratorINS8_10device_ptrIsEEEESD_SD_SD_jNS0_19identity_decomposerENS1_16block_id_wrapperIjLb1EEEEE10hipError_tT1_PNSt15iterator_traitsISI_E10value_typeET2_T3_PNSJ_ISO_E10value_typeET4_T5_PST_SU_PNS1_23onesweep_lookback_stateEbbT6_jjT7_P12ihipStream_tbENKUlT_T0_SI_SN_E_clISD_PsSD_S15_EEDaS11_S12_SI_SN_EUlS11_E_NS1_11comp_targetILNS1_3genE4ELNS1_11target_archE910ELNS1_3gpuE8ELNS1_3repE0EEENS1_47radix_sort_onesweep_sort_config_static_selectorELNS0_4arch9wavefront6targetE1EEEvSI_ ; -- Begin function _ZN7rocprim17ROCPRIM_400000_NS6detail17trampoline_kernelINS0_14default_configENS1_35radix_sort_onesweep_config_selectorIssEEZZNS1_29radix_sort_onesweep_iterationIS3_Lb0EN6thrust23THRUST_200600_302600_NS6detail15normal_iteratorINS8_10device_ptrIsEEEESD_SD_SD_jNS0_19identity_decomposerENS1_16block_id_wrapperIjLb1EEEEE10hipError_tT1_PNSt15iterator_traitsISI_E10value_typeET2_T3_PNSJ_ISO_E10value_typeET4_T5_PST_SU_PNS1_23onesweep_lookback_stateEbbT6_jjT7_P12ihipStream_tbENKUlT_T0_SI_SN_E_clISD_PsSD_S15_EEDaS11_S12_SI_SN_EUlS11_E_NS1_11comp_targetILNS1_3genE4ELNS1_11target_archE910ELNS1_3gpuE8ELNS1_3repE0EEENS1_47radix_sort_onesweep_sort_config_static_selectorELNS0_4arch9wavefront6targetE1EEEvSI_
	.globl	_ZN7rocprim17ROCPRIM_400000_NS6detail17trampoline_kernelINS0_14default_configENS1_35radix_sort_onesweep_config_selectorIssEEZZNS1_29radix_sort_onesweep_iterationIS3_Lb0EN6thrust23THRUST_200600_302600_NS6detail15normal_iteratorINS8_10device_ptrIsEEEESD_SD_SD_jNS0_19identity_decomposerENS1_16block_id_wrapperIjLb1EEEEE10hipError_tT1_PNSt15iterator_traitsISI_E10value_typeET2_T3_PNSJ_ISO_E10value_typeET4_T5_PST_SU_PNS1_23onesweep_lookback_stateEbbT6_jjT7_P12ihipStream_tbENKUlT_T0_SI_SN_E_clISD_PsSD_S15_EEDaS11_S12_SI_SN_EUlS11_E_NS1_11comp_targetILNS1_3genE4ELNS1_11target_archE910ELNS1_3gpuE8ELNS1_3repE0EEENS1_47radix_sort_onesweep_sort_config_static_selectorELNS0_4arch9wavefront6targetE1EEEvSI_
	.p2align	8
	.type	_ZN7rocprim17ROCPRIM_400000_NS6detail17trampoline_kernelINS0_14default_configENS1_35radix_sort_onesweep_config_selectorIssEEZZNS1_29radix_sort_onesweep_iterationIS3_Lb0EN6thrust23THRUST_200600_302600_NS6detail15normal_iteratorINS8_10device_ptrIsEEEESD_SD_SD_jNS0_19identity_decomposerENS1_16block_id_wrapperIjLb1EEEEE10hipError_tT1_PNSt15iterator_traitsISI_E10value_typeET2_T3_PNSJ_ISO_E10value_typeET4_T5_PST_SU_PNS1_23onesweep_lookback_stateEbbT6_jjT7_P12ihipStream_tbENKUlT_T0_SI_SN_E_clISD_PsSD_S15_EEDaS11_S12_SI_SN_EUlS11_E_NS1_11comp_targetILNS1_3genE4ELNS1_11target_archE910ELNS1_3gpuE8ELNS1_3repE0EEENS1_47radix_sort_onesweep_sort_config_static_selectorELNS0_4arch9wavefront6targetE1EEEvSI_,@function
_ZN7rocprim17ROCPRIM_400000_NS6detail17trampoline_kernelINS0_14default_configENS1_35radix_sort_onesweep_config_selectorIssEEZZNS1_29radix_sort_onesweep_iterationIS3_Lb0EN6thrust23THRUST_200600_302600_NS6detail15normal_iteratorINS8_10device_ptrIsEEEESD_SD_SD_jNS0_19identity_decomposerENS1_16block_id_wrapperIjLb1EEEEE10hipError_tT1_PNSt15iterator_traitsISI_E10value_typeET2_T3_PNSJ_ISO_E10value_typeET4_T5_PST_SU_PNS1_23onesweep_lookback_stateEbbT6_jjT7_P12ihipStream_tbENKUlT_T0_SI_SN_E_clISD_PsSD_S15_EEDaS11_S12_SI_SN_EUlS11_E_NS1_11comp_targetILNS1_3genE4ELNS1_11target_archE910ELNS1_3gpuE8ELNS1_3repE0EEENS1_47radix_sort_onesweep_sort_config_static_selectorELNS0_4arch9wavefront6targetE1EEEvSI_: ; @_ZN7rocprim17ROCPRIM_400000_NS6detail17trampoline_kernelINS0_14default_configENS1_35radix_sort_onesweep_config_selectorIssEEZZNS1_29radix_sort_onesweep_iterationIS3_Lb0EN6thrust23THRUST_200600_302600_NS6detail15normal_iteratorINS8_10device_ptrIsEEEESD_SD_SD_jNS0_19identity_decomposerENS1_16block_id_wrapperIjLb1EEEEE10hipError_tT1_PNSt15iterator_traitsISI_E10value_typeET2_T3_PNSJ_ISO_E10value_typeET4_T5_PST_SU_PNS1_23onesweep_lookback_stateEbbT6_jjT7_P12ihipStream_tbENKUlT_T0_SI_SN_E_clISD_PsSD_S15_EEDaS11_S12_SI_SN_EUlS11_E_NS1_11comp_targetILNS1_3genE4ELNS1_11target_archE910ELNS1_3gpuE8ELNS1_3repE0EEENS1_47radix_sort_onesweep_sort_config_static_selectorELNS0_4arch9wavefront6targetE1EEEvSI_
; %bb.0:
	.section	.rodata,"a",@progbits
	.p2align	6, 0x0
	.amdhsa_kernel _ZN7rocprim17ROCPRIM_400000_NS6detail17trampoline_kernelINS0_14default_configENS1_35radix_sort_onesweep_config_selectorIssEEZZNS1_29radix_sort_onesweep_iterationIS3_Lb0EN6thrust23THRUST_200600_302600_NS6detail15normal_iteratorINS8_10device_ptrIsEEEESD_SD_SD_jNS0_19identity_decomposerENS1_16block_id_wrapperIjLb1EEEEE10hipError_tT1_PNSt15iterator_traitsISI_E10value_typeET2_T3_PNSJ_ISO_E10value_typeET4_T5_PST_SU_PNS1_23onesweep_lookback_stateEbbT6_jjT7_P12ihipStream_tbENKUlT_T0_SI_SN_E_clISD_PsSD_S15_EEDaS11_S12_SI_SN_EUlS11_E_NS1_11comp_targetILNS1_3genE4ELNS1_11target_archE910ELNS1_3gpuE8ELNS1_3repE0EEENS1_47radix_sort_onesweep_sort_config_static_selectorELNS0_4arch9wavefront6targetE1EEEvSI_
		.amdhsa_group_segment_fixed_size 0
		.amdhsa_private_segment_fixed_size 0
		.amdhsa_kernarg_size 88
		.amdhsa_user_sgpr_count 2
		.amdhsa_user_sgpr_dispatch_ptr 0
		.amdhsa_user_sgpr_queue_ptr 0
		.amdhsa_user_sgpr_kernarg_segment_ptr 1
		.amdhsa_user_sgpr_dispatch_id 0
		.amdhsa_user_sgpr_kernarg_preload_length 0
		.amdhsa_user_sgpr_kernarg_preload_offset 0
		.amdhsa_user_sgpr_private_segment_size 0
		.amdhsa_uses_dynamic_stack 0
		.amdhsa_enable_private_segment 0
		.amdhsa_system_sgpr_workgroup_id_x 1
		.amdhsa_system_sgpr_workgroup_id_y 0
		.amdhsa_system_sgpr_workgroup_id_z 0
		.amdhsa_system_sgpr_workgroup_info 0
		.amdhsa_system_vgpr_workitem_id 0
		.amdhsa_next_free_vgpr 1
		.amdhsa_next_free_sgpr 0
		.amdhsa_accum_offset 4
		.amdhsa_reserve_vcc 0
		.amdhsa_float_round_mode_32 0
		.amdhsa_float_round_mode_16_64 0
		.amdhsa_float_denorm_mode_32 3
		.amdhsa_float_denorm_mode_16_64 3
		.amdhsa_dx10_clamp 1
		.amdhsa_ieee_mode 1
		.amdhsa_fp16_overflow 0
		.amdhsa_tg_split 0
		.amdhsa_exception_fp_ieee_invalid_op 0
		.amdhsa_exception_fp_denorm_src 0
		.amdhsa_exception_fp_ieee_div_zero 0
		.amdhsa_exception_fp_ieee_overflow 0
		.amdhsa_exception_fp_ieee_underflow 0
		.amdhsa_exception_fp_ieee_inexact 0
		.amdhsa_exception_int_div_zero 0
	.end_amdhsa_kernel
	.section	.text._ZN7rocprim17ROCPRIM_400000_NS6detail17trampoline_kernelINS0_14default_configENS1_35radix_sort_onesweep_config_selectorIssEEZZNS1_29radix_sort_onesweep_iterationIS3_Lb0EN6thrust23THRUST_200600_302600_NS6detail15normal_iteratorINS8_10device_ptrIsEEEESD_SD_SD_jNS0_19identity_decomposerENS1_16block_id_wrapperIjLb1EEEEE10hipError_tT1_PNSt15iterator_traitsISI_E10value_typeET2_T3_PNSJ_ISO_E10value_typeET4_T5_PST_SU_PNS1_23onesweep_lookback_stateEbbT6_jjT7_P12ihipStream_tbENKUlT_T0_SI_SN_E_clISD_PsSD_S15_EEDaS11_S12_SI_SN_EUlS11_E_NS1_11comp_targetILNS1_3genE4ELNS1_11target_archE910ELNS1_3gpuE8ELNS1_3repE0EEENS1_47radix_sort_onesweep_sort_config_static_selectorELNS0_4arch9wavefront6targetE1EEEvSI_,"axG",@progbits,_ZN7rocprim17ROCPRIM_400000_NS6detail17trampoline_kernelINS0_14default_configENS1_35radix_sort_onesweep_config_selectorIssEEZZNS1_29radix_sort_onesweep_iterationIS3_Lb0EN6thrust23THRUST_200600_302600_NS6detail15normal_iteratorINS8_10device_ptrIsEEEESD_SD_SD_jNS0_19identity_decomposerENS1_16block_id_wrapperIjLb1EEEEE10hipError_tT1_PNSt15iterator_traitsISI_E10value_typeET2_T3_PNSJ_ISO_E10value_typeET4_T5_PST_SU_PNS1_23onesweep_lookback_stateEbbT6_jjT7_P12ihipStream_tbENKUlT_T0_SI_SN_E_clISD_PsSD_S15_EEDaS11_S12_SI_SN_EUlS11_E_NS1_11comp_targetILNS1_3genE4ELNS1_11target_archE910ELNS1_3gpuE8ELNS1_3repE0EEENS1_47radix_sort_onesweep_sort_config_static_selectorELNS0_4arch9wavefront6targetE1EEEvSI_,comdat
.Lfunc_end1655:
	.size	_ZN7rocprim17ROCPRIM_400000_NS6detail17trampoline_kernelINS0_14default_configENS1_35radix_sort_onesweep_config_selectorIssEEZZNS1_29radix_sort_onesweep_iterationIS3_Lb0EN6thrust23THRUST_200600_302600_NS6detail15normal_iteratorINS8_10device_ptrIsEEEESD_SD_SD_jNS0_19identity_decomposerENS1_16block_id_wrapperIjLb1EEEEE10hipError_tT1_PNSt15iterator_traitsISI_E10value_typeET2_T3_PNSJ_ISO_E10value_typeET4_T5_PST_SU_PNS1_23onesweep_lookback_stateEbbT6_jjT7_P12ihipStream_tbENKUlT_T0_SI_SN_E_clISD_PsSD_S15_EEDaS11_S12_SI_SN_EUlS11_E_NS1_11comp_targetILNS1_3genE4ELNS1_11target_archE910ELNS1_3gpuE8ELNS1_3repE0EEENS1_47radix_sort_onesweep_sort_config_static_selectorELNS0_4arch9wavefront6targetE1EEEvSI_, .Lfunc_end1655-_ZN7rocprim17ROCPRIM_400000_NS6detail17trampoline_kernelINS0_14default_configENS1_35radix_sort_onesweep_config_selectorIssEEZZNS1_29radix_sort_onesweep_iterationIS3_Lb0EN6thrust23THRUST_200600_302600_NS6detail15normal_iteratorINS8_10device_ptrIsEEEESD_SD_SD_jNS0_19identity_decomposerENS1_16block_id_wrapperIjLb1EEEEE10hipError_tT1_PNSt15iterator_traitsISI_E10value_typeET2_T3_PNSJ_ISO_E10value_typeET4_T5_PST_SU_PNS1_23onesweep_lookback_stateEbbT6_jjT7_P12ihipStream_tbENKUlT_T0_SI_SN_E_clISD_PsSD_S15_EEDaS11_S12_SI_SN_EUlS11_E_NS1_11comp_targetILNS1_3genE4ELNS1_11target_archE910ELNS1_3gpuE8ELNS1_3repE0EEENS1_47radix_sort_onesweep_sort_config_static_selectorELNS0_4arch9wavefront6targetE1EEEvSI_
                                        ; -- End function
	.set _ZN7rocprim17ROCPRIM_400000_NS6detail17trampoline_kernelINS0_14default_configENS1_35radix_sort_onesweep_config_selectorIssEEZZNS1_29radix_sort_onesweep_iterationIS3_Lb0EN6thrust23THRUST_200600_302600_NS6detail15normal_iteratorINS8_10device_ptrIsEEEESD_SD_SD_jNS0_19identity_decomposerENS1_16block_id_wrapperIjLb1EEEEE10hipError_tT1_PNSt15iterator_traitsISI_E10value_typeET2_T3_PNSJ_ISO_E10value_typeET4_T5_PST_SU_PNS1_23onesweep_lookback_stateEbbT6_jjT7_P12ihipStream_tbENKUlT_T0_SI_SN_E_clISD_PsSD_S15_EEDaS11_S12_SI_SN_EUlS11_E_NS1_11comp_targetILNS1_3genE4ELNS1_11target_archE910ELNS1_3gpuE8ELNS1_3repE0EEENS1_47radix_sort_onesweep_sort_config_static_selectorELNS0_4arch9wavefront6targetE1EEEvSI_.num_vgpr, 0
	.set _ZN7rocprim17ROCPRIM_400000_NS6detail17trampoline_kernelINS0_14default_configENS1_35radix_sort_onesweep_config_selectorIssEEZZNS1_29radix_sort_onesweep_iterationIS3_Lb0EN6thrust23THRUST_200600_302600_NS6detail15normal_iteratorINS8_10device_ptrIsEEEESD_SD_SD_jNS0_19identity_decomposerENS1_16block_id_wrapperIjLb1EEEEE10hipError_tT1_PNSt15iterator_traitsISI_E10value_typeET2_T3_PNSJ_ISO_E10value_typeET4_T5_PST_SU_PNS1_23onesweep_lookback_stateEbbT6_jjT7_P12ihipStream_tbENKUlT_T0_SI_SN_E_clISD_PsSD_S15_EEDaS11_S12_SI_SN_EUlS11_E_NS1_11comp_targetILNS1_3genE4ELNS1_11target_archE910ELNS1_3gpuE8ELNS1_3repE0EEENS1_47radix_sort_onesweep_sort_config_static_selectorELNS0_4arch9wavefront6targetE1EEEvSI_.num_agpr, 0
	.set _ZN7rocprim17ROCPRIM_400000_NS6detail17trampoline_kernelINS0_14default_configENS1_35radix_sort_onesweep_config_selectorIssEEZZNS1_29radix_sort_onesweep_iterationIS3_Lb0EN6thrust23THRUST_200600_302600_NS6detail15normal_iteratorINS8_10device_ptrIsEEEESD_SD_SD_jNS0_19identity_decomposerENS1_16block_id_wrapperIjLb1EEEEE10hipError_tT1_PNSt15iterator_traitsISI_E10value_typeET2_T3_PNSJ_ISO_E10value_typeET4_T5_PST_SU_PNS1_23onesweep_lookback_stateEbbT6_jjT7_P12ihipStream_tbENKUlT_T0_SI_SN_E_clISD_PsSD_S15_EEDaS11_S12_SI_SN_EUlS11_E_NS1_11comp_targetILNS1_3genE4ELNS1_11target_archE910ELNS1_3gpuE8ELNS1_3repE0EEENS1_47radix_sort_onesweep_sort_config_static_selectorELNS0_4arch9wavefront6targetE1EEEvSI_.numbered_sgpr, 0
	.set _ZN7rocprim17ROCPRIM_400000_NS6detail17trampoline_kernelINS0_14default_configENS1_35radix_sort_onesweep_config_selectorIssEEZZNS1_29radix_sort_onesweep_iterationIS3_Lb0EN6thrust23THRUST_200600_302600_NS6detail15normal_iteratorINS8_10device_ptrIsEEEESD_SD_SD_jNS0_19identity_decomposerENS1_16block_id_wrapperIjLb1EEEEE10hipError_tT1_PNSt15iterator_traitsISI_E10value_typeET2_T3_PNSJ_ISO_E10value_typeET4_T5_PST_SU_PNS1_23onesweep_lookback_stateEbbT6_jjT7_P12ihipStream_tbENKUlT_T0_SI_SN_E_clISD_PsSD_S15_EEDaS11_S12_SI_SN_EUlS11_E_NS1_11comp_targetILNS1_3genE4ELNS1_11target_archE910ELNS1_3gpuE8ELNS1_3repE0EEENS1_47radix_sort_onesweep_sort_config_static_selectorELNS0_4arch9wavefront6targetE1EEEvSI_.num_named_barrier, 0
	.set _ZN7rocprim17ROCPRIM_400000_NS6detail17trampoline_kernelINS0_14default_configENS1_35radix_sort_onesweep_config_selectorIssEEZZNS1_29radix_sort_onesweep_iterationIS3_Lb0EN6thrust23THRUST_200600_302600_NS6detail15normal_iteratorINS8_10device_ptrIsEEEESD_SD_SD_jNS0_19identity_decomposerENS1_16block_id_wrapperIjLb1EEEEE10hipError_tT1_PNSt15iterator_traitsISI_E10value_typeET2_T3_PNSJ_ISO_E10value_typeET4_T5_PST_SU_PNS1_23onesweep_lookback_stateEbbT6_jjT7_P12ihipStream_tbENKUlT_T0_SI_SN_E_clISD_PsSD_S15_EEDaS11_S12_SI_SN_EUlS11_E_NS1_11comp_targetILNS1_3genE4ELNS1_11target_archE910ELNS1_3gpuE8ELNS1_3repE0EEENS1_47radix_sort_onesweep_sort_config_static_selectorELNS0_4arch9wavefront6targetE1EEEvSI_.private_seg_size, 0
	.set _ZN7rocprim17ROCPRIM_400000_NS6detail17trampoline_kernelINS0_14default_configENS1_35radix_sort_onesweep_config_selectorIssEEZZNS1_29radix_sort_onesweep_iterationIS3_Lb0EN6thrust23THRUST_200600_302600_NS6detail15normal_iteratorINS8_10device_ptrIsEEEESD_SD_SD_jNS0_19identity_decomposerENS1_16block_id_wrapperIjLb1EEEEE10hipError_tT1_PNSt15iterator_traitsISI_E10value_typeET2_T3_PNSJ_ISO_E10value_typeET4_T5_PST_SU_PNS1_23onesweep_lookback_stateEbbT6_jjT7_P12ihipStream_tbENKUlT_T0_SI_SN_E_clISD_PsSD_S15_EEDaS11_S12_SI_SN_EUlS11_E_NS1_11comp_targetILNS1_3genE4ELNS1_11target_archE910ELNS1_3gpuE8ELNS1_3repE0EEENS1_47radix_sort_onesweep_sort_config_static_selectorELNS0_4arch9wavefront6targetE1EEEvSI_.uses_vcc, 0
	.set _ZN7rocprim17ROCPRIM_400000_NS6detail17trampoline_kernelINS0_14default_configENS1_35radix_sort_onesweep_config_selectorIssEEZZNS1_29radix_sort_onesweep_iterationIS3_Lb0EN6thrust23THRUST_200600_302600_NS6detail15normal_iteratorINS8_10device_ptrIsEEEESD_SD_SD_jNS0_19identity_decomposerENS1_16block_id_wrapperIjLb1EEEEE10hipError_tT1_PNSt15iterator_traitsISI_E10value_typeET2_T3_PNSJ_ISO_E10value_typeET4_T5_PST_SU_PNS1_23onesweep_lookback_stateEbbT6_jjT7_P12ihipStream_tbENKUlT_T0_SI_SN_E_clISD_PsSD_S15_EEDaS11_S12_SI_SN_EUlS11_E_NS1_11comp_targetILNS1_3genE4ELNS1_11target_archE910ELNS1_3gpuE8ELNS1_3repE0EEENS1_47radix_sort_onesweep_sort_config_static_selectorELNS0_4arch9wavefront6targetE1EEEvSI_.uses_flat_scratch, 0
	.set _ZN7rocprim17ROCPRIM_400000_NS6detail17trampoline_kernelINS0_14default_configENS1_35radix_sort_onesweep_config_selectorIssEEZZNS1_29radix_sort_onesweep_iterationIS3_Lb0EN6thrust23THRUST_200600_302600_NS6detail15normal_iteratorINS8_10device_ptrIsEEEESD_SD_SD_jNS0_19identity_decomposerENS1_16block_id_wrapperIjLb1EEEEE10hipError_tT1_PNSt15iterator_traitsISI_E10value_typeET2_T3_PNSJ_ISO_E10value_typeET4_T5_PST_SU_PNS1_23onesweep_lookback_stateEbbT6_jjT7_P12ihipStream_tbENKUlT_T0_SI_SN_E_clISD_PsSD_S15_EEDaS11_S12_SI_SN_EUlS11_E_NS1_11comp_targetILNS1_3genE4ELNS1_11target_archE910ELNS1_3gpuE8ELNS1_3repE0EEENS1_47radix_sort_onesweep_sort_config_static_selectorELNS0_4arch9wavefront6targetE1EEEvSI_.has_dyn_sized_stack, 0
	.set _ZN7rocprim17ROCPRIM_400000_NS6detail17trampoline_kernelINS0_14default_configENS1_35radix_sort_onesweep_config_selectorIssEEZZNS1_29radix_sort_onesweep_iterationIS3_Lb0EN6thrust23THRUST_200600_302600_NS6detail15normal_iteratorINS8_10device_ptrIsEEEESD_SD_SD_jNS0_19identity_decomposerENS1_16block_id_wrapperIjLb1EEEEE10hipError_tT1_PNSt15iterator_traitsISI_E10value_typeET2_T3_PNSJ_ISO_E10value_typeET4_T5_PST_SU_PNS1_23onesweep_lookback_stateEbbT6_jjT7_P12ihipStream_tbENKUlT_T0_SI_SN_E_clISD_PsSD_S15_EEDaS11_S12_SI_SN_EUlS11_E_NS1_11comp_targetILNS1_3genE4ELNS1_11target_archE910ELNS1_3gpuE8ELNS1_3repE0EEENS1_47radix_sort_onesweep_sort_config_static_selectorELNS0_4arch9wavefront6targetE1EEEvSI_.has_recursion, 0
	.set _ZN7rocprim17ROCPRIM_400000_NS6detail17trampoline_kernelINS0_14default_configENS1_35radix_sort_onesweep_config_selectorIssEEZZNS1_29radix_sort_onesweep_iterationIS3_Lb0EN6thrust23THRUST_200600_302600_NS6detail15normal_iteratorINS8_10device_ptrIsEEEESD_SD_SD_jNS0_19identity_decomposerENS1_16block_id_wrapperIjLb1EEEEE10hipError_tT1_PNSt15iterator_traitsISI_E10value_typeET2_T3_PNSJ_ISO_E10value_typeET4_T5_PST_SU_PNS1_23onesweep_lookback_stateEbbT6_jjT7_P12ihipStream_tbENKUlT_T0_SI_SN_E_clISD_PsSD_S15_EEDaS11_S12_SI_SN_EUlS11_E_NS1_11comp_targetILNS1_3genE4ELNS1_11target_archE910ELNS1_3gpuE8ELNS1_3repE0EEENS1_47radix_sort_onesweep_sort_config_static_selectorELNS0_4arch9wavefront6targetE1EEEvSI_.has_indirect_call, 0
	.section	.AMDGPU.csdata,"",@progbits
; Kernel info:
; codeLenInByte = 0
; TotalNumSgprs: 6
; NumVgprs: 0
; NumAgprs: 0
; TotalNumVgprs: 0
; ScratchSize: 0
; MemoryBound: 0
; FloatMode: 240
; IeeeMode: 1
; LDSByteSize: 0 bytes/workgroup (compile time only)
; SGPRBlocks: 0
; VGPRBlocks: 0
; NumSGPRsForWavesPerEU: 6
; NumVGPRsForWavesPerEU: 1
; AccumOffset: 4
; Occupancy: 8
; WaveLimiterHint : 0
; COMPUTE_PGM_RSRC2:SCRATCH_EN: 0
; COMPUTE_PGM_RSRC2:USER_SGPR: 2
; COMPUTE_PGM_RSRC2:TRAP_HANDLER: 0
; COMPUTE_PGM_RSRC2:TGID_X_EN: 1
; COMPUTE_PGM_RSRC2:TGID_Y_EN: 0
; COMPUTE_PGM_RSRC2:TGID_Z_EN: 0
; COMPUTE_PGM_RSRC2:TIDIG_COMP_CNT: 0
; COMPUTE_PGM_RSRC3_GFX90A:ACCUM_OFFSET: 0
; COMPUTE_PGM_RSRC3_GFX90A:TG_SPLIT: 0
	.section	.text._ZN7rocprim17ROCPRIM_400000_NS6detail17trampoline_kernelINS0_14default_configENS1_35radix_sort_onesweep_config_selectorIssEEZZNS1_29radix_sort_onesweep_iterationIS3_Lb0EN6thrust23THRUST_200600_302600_NS6detail15normal_iteratorINS8_10device_ptrIsEEEESD_SD_SD_jNS0_19identity_decomposerENS1_16block_id_wrapperIjLb1EEEEE10hipError_tT1_PNSt15iterator_traitsISI_E10value_typeET2_T3_PNSJ_ISO_E10value_typeET4_T5_PST_SU_PNS1_23onesweep_lookback_stateEbbT6_jjT7_P12ihipStream_tbENKUlT_T0_SI_SN_E_clISD_PsSD_S15_EEDaS11_S12_SI_SN_EUlS11_E_NS1_11comp_targetILNS1_3genE3ELNS1_11target_archE908ELNS1_3gpuE7ELNS1_3repE0EEENS1_47radix_sort_onesweep_sort_config_static_selectorELNS0_4arch9wavefront6targetE1EEEvSI_,"axG",@progbits,_ZN7rocprim17ROCPRIM_400000_NS6detail17trampoline_kernelINS0_14default_configENS1_35radix_sort_onesweep_config_selectorIssEEZZNS1_29radix_sort_onesweep_iterationIS3_Lb0EN6thrust23THRUST_200600_302600_NS6detail15normal_iteratorINS8_10device_ptrIsEEEESD_SD_SD_jNS0_19identity_decomposerENS1_16block_id_wrapperIjLb1EEEEE10hipError_tT1_PNSt15iterator_traitsISI_E10value_typeET2_T3_PNSJ_ISO_E10value_typeET4_T5_PST_SU_PNS1_23onesweep_lookback_stateEbbT6_jjT7_P12ihipStream_tbENKUlT_T0_SI_SN_E_clISD_PsSD_S15_EEDaS11_S12_SI_SN_EUlS11_E_NS1_11comp_targetILNS1_3genE3ELNS1_11target_archE908ELNS1_3gpuE7ELNS1_3repE0EEENS1_47radix_sort_onesweep_sort_config_static_selectorELNS0_4arch9wavefront6targetE1EEEvSI_,comdat
	.protected	_ZN7rocprim17ROCPRIM_400000_NS6detail17trampoline_kernelINS0_14default_configENS1_35radix_sort_onesweep_config_selectorIssEEZZNS1_29radix_sort_onesweep_iterationIS3_Lb0EN6thrust23THRUST_200600_302600_NS6detail15normal_iteratorINS8_10device_ptrIsEEEESD_SD_SD_jNS0_19identity_decomposerENS1_16block_id_wrapperIjLb1EEEEE10hipError_tT1_PNSt15iterator_traitsISI_E10value_typeET2_T3_PNSJ_ISO_E10value_typeET4_T5_PST_SU_PNS1_23onesweep_lookback_stateEbbT6_jjT7_P12ihipStream_tbENKUlT_T0_SI_SN_E_clISD_PsSD_S15_EEDaS11_S12_SI_SN_EUlS11_E_NS1_11comp_targetILNS1_3genE3ELNS1_11target_archE908ELNS1_3gpuE7ELNS1_3repE0EEENS1_47radix_sort_onesweep_sort_config_static_selectorELNS0_4arch9wavefront6targetE1EEEvSI_ ; -- Begin function _ZN7rocprim17ROCPRIM_400000_NS6detail17trampoline_kernelINS0_14default_configENS1_35radix_sort_onesweep_config_selectorIssEEZZNS1_29radix_sort_onesweep_iterationIS3_Lb0EN6thrust23THRUST_200600_302600_NS6detail15normal_iteratorINS8_10device_ptrIsEEEESD_SD_SD_jNS0_19identity_decomposerENS1_16block_id_wrapperIjLb1EEEEE10hipError_tT1_PNSt15iterator_traitsISI_E10value_typeET2_T3_PNSJ_ISO_E10value_typeET4_T5_PST_SU_PNS1_23onesweep_lookback_stateEbbT6_jjT7_P12ihipStream_tbENKUlT_T0_SI_SN_E_clISD_PsSD_S15_EEDaS11_S12_SI_SN_EUlS11_E_NS1_11comp_targetILNS1_3genE3ELNS1_11target_archE908ELNS1_3gpuE7ELNS1_3repE0EEENS1_47radix_sort_onesweep_sort_config_static_selectorELNS0_4arch9wavefront6targetE1EEEvSI_
	.globl	_ZN7rocprim17ROCPRIM_400000_NS6detail17trampoline_kernelINS0_14default_configENS1_35radix_sort_onesweep_config_selectorIssEEZZNS1_29radix_sort_onesweep_iterationIS3_Lb0EN6thrust23THRUST_200600_302600_NS6detail15normal_iteratorINS8_10device_ptrIsEEEESD_SD_SD_jNS0_19identity_decomposerENS1_16block_id_wrapperIjLb1EEEEE10hipError_tT1_PNSt15iterator_traitsISI_E10value_typeET2_T3_PNSJ_ISO_E10value_typeET4_T5_PST_SU_PNS1_23onesweep_lookback_stateEbbT6_jjT7_P12ihipStream_tbENKUlT_T0_SI_SN_E_clISD_PsSD_S15_EEDaS11_S12_SI_SN_EUlS11_E_NS1_11comp_targetILNS1_3genE3ELNS1_11target_archE908ELNS1_3gpuE7ELNS1_3repE0EEENS1_47radix_sort_onesweep_sort_config_static_selectorELNS0_4arch9wavefront6targetE1EEEvSI_
	.p2align	8
	.type	_ZN7rocprim17ROCPRIM_400000_NS6detail17trampoline_kernelINS0_14default_configENS1_35radix_sort_onesweep_config_selectorIssEEZZNS1_29radix_sort_onesweep_iterationIS3_Lb0EN6thrust23THRUST_200600_302600_NS6detail15normal_iteratorINS8_10device_ptrIsEEEESD_SD_SD_jNS0_19identity_decomposerENS1_16block_id_wrapperIjLb1EEEEE10hipError_tT1_PNSt15iterator_traitsISI_E10value_typeET2_T3_PNSJ_ISO_E10value_typeET4_T5_PST_SU_PNS1_23onesweep_lookback_stateEbbT6_jjT7_P12ihipStream_tbENKUlT_T0_SI_SN_E_clISD_PsSD_S15_EEDaS11_S12_SI_SN_EUlS11_E_NS1_11comp_targetILNS1_3genE3ELNS1_11target_archE908ELNS1_3gpuE7ELNS1_3repE0EEENS1_47radix_sort_onesweep_sort_config_static_selectorELNS0_4arch9wavefront6targetE1EEEvSI_,@function
_ZN7rocprim17ROCPRIM_400000_NS6detail17trampoline_kernelINS0_14default_configENS1_35radix_sort_onesweep_config_selectorIssEEZZNS1_29radix_sort_onesweep_iterationIS3_Lb0EN6thrust23THRUST_200600_302600_NS6detail15normal_iteratorINS8_10device_ptrIsEEEESD_SD_SD_jNS0_19identity_decomposerENS1_16block_id_wrapperIjLb1EEEEE10hipError_tT1_PNSt15iterator_traitsISI_E10value_typeET2_T3_PNSJ_ISO_E10value_typeET4_T5_PST_SU_PNS1_23onesweep_lookback_stateEbbT6_jjT7_P12ihipStream_tbENKUlT_T0_SI_SN_E_clISD_PsSD_S15_EEDaS11_S12_SI_SN_EUlS11_E_NS1_11comp_targetILNS1_3genE3ELNS1_11target_archE908ELNS1_3gpuE7ELNS1_3repE0EEENS1_47radix_sort_onesweep_sort_config_static_selectorELNS0_4arch9wavefront6targetE1EEEvSI_: ; @_ZN7rocprim17ROCPRIM_400000_NS6detail17trampoline_kernelINS0_14default_configENS1_35radix_sort_onesweep_config_selectorIssEEZZNS1_29radix_sort_onesweep_iterationIS3_Lb0EN6thrust23THRUST_200600_302600_NS6detail15normal_iteratorINS8_10device_ptrIsEEEESD_SD_SD_jNS0_19identity_decomposerENS1_16block_id_wrapperIjLb1EEEEE10hipError_tT1_PNSt15iterator_traitsISI_E10value_typeET2_T3_PNSJ_ISO_E10value_typeET4_T5_PST_SU_PNS1_23onesweep_lookback_stateEbbT6_jjT7_P12ihipStream_tbENKUlT_T0_SI_SN_E_clISD_PsSD_S15_EEDaS11_S12_SI_SN_EUlS11_E_NS1_11comp_targetILNS1_3genE3ELNS1_11target_archE908ELNS1_3gpuE7ELNS1_3repE0EEENS1_47radix_sort_onesweep_sort_config_static_selectorELNS0_4arch9wavefront6targetE1EEEvSI_
; %bb.0:
	.section	.rodata,"a",@progbits
	.p2align	6, 0x0
	.amdhsa_kernel _ZN7rocprim17ROCPRIM_400000_NS6detail17trampoline_kernelINS0_14default_configENS1_35radix_sort_onesweep_config_selectorIssEEZZNS1_29radix_sort_onesweep_iterationIS3_Lb0EN6thrust23THRUST_200600_302600_NS6detail15normal_iteratorINS8_10device_ptrIsEEEESD_SD_SD_jNS0_19identity_decomposerENS1_16block_id_wrapperIjLb1EEEEE10hipError_tT1_PNSt15iterator_traitsISI_E10value_typeET2_T3_PNSJ_ISO_E10value_typeET4_T5_PST_SU_PNS1_23onesweep_lookback_stateEbbT6_jjT7_P12ihipStream_tbENKUlT_T0_SI_SN_E_clISD_PsSD_S15_EEDaS11_S12_SI_SN_EUlS11_E_NS1_11comp_targetILNS1_3genE3ELNS1_11target_archE908ELNS1_3gpuE7ELNS1_3repE0EEENS1_47radix_sort_onesweep_sort_config_static_selectorELNS0_4arch9wavefront6targetE1EEEvSI_
		.amdhsa_group_segment_fixed_size 0
		.amdhsa_private_segment_fixed_size 0
		.amdhsa_kernarg_size 88
		.amdhsa_user_sgpr_count 2
		.amdhsa_user_sgpr_dispatch_ptr 0
		.amdhsa_user_sgpr_queue_ptr 0
		.amdhsa_user_sgpr_kernarg_segment_ptr 1
		.amdhsa_user_sgpr_dispatch_id 0
		.amdhsa_user_sgpr_kernarg_preload_length 0
		.amdhsa_user_sgpr_kernarg_preload_offset 0
		.amdhsa_user_sgpr_private_segment_size 0
		.amdhsa_uses_dynamic_stack 0
		.amdhsa_enable_private_segment 0
		.amdhsa_system_sgpr_workgroup_id_x 1
		.amdhsa_system_sgpr_workgroup_id_y 0
		.amdhsa_system_sgpr_workgroup_id_z 0
		.amdhsa_system_sgpr_workgroup_info 0
		.amdhsa_system_vgpr_workitem_id 0
		.amdhsa_next_free_vgpr 1
		.amdhsa_next_free_sgpr 0
		.amdhsa_accum_offset 4
		.amdhsa_reserve_vcc 0
		.amdhsa_float_round_mode_32 0
		.amdhsa_float_round_mode_16_64 0
		.amdhsa_float_denorm_mode_32 3
		.amdhsa_float_denorm_mode_16_64 3
		.amdhsa_dx10_clamp 1
		.amdhsa_ieee_mode 1
		.amdhsa_fp16_overflow 0
		.amdhsa_tg_split 0
		.amdhsa_exception_fp_ieee_invalid_op 0
		.amdhsa_exception_fp_denorm_src 0
		.amdhsa_exception_fp_ieee_div_zero 0
		.amdhsa_exception_fp_ieee_overflow 0
		.amdhsa_exception_fp_ieee_underflow 0
		.amdhsa_exception_fp_ieee_inexact 0
		.amdhsa_exception_int_div_zero 0
	.end_amdhsa_kernel
	.section	.text._ZN7rocprim17ROCPRIM_400000_NS6detail17trampoline_kernelINS0_14default_configENS1_35radix_sort_onesweep_config_selectorIssEEZZNS1_29radix_sort_onesweep_iterationIS3_Lb0EN6thrust23THRUST_200600_302600_NS6detail15normal_iteratorINS8_10device_ptrIsEEEESD_SD_SD_jNS0_19identity_decomposerENS1_16block_id_wrapperIjLb1EEEEE10hipError_tT1_PNSt15iterator_traitsISI_E10value_typeET2_T3_PNSJ_ISO_E10value_typeET4_T5_PST_SU_PNS1_23onesweep_lookback_stateEbbT6_jjT7_P12ihipStream_tbENKUlT_T0_SI_SN_E_clISD_PsSD_S15_EEDaS11_S12_SI_SN_EUlS11_E_NS1_11comp_targetILNS1_3genE3ELNS1_11target_archE908ELNS1_3gpuE7ELNS1_3repE0EEENS1_47radix_sort_onesweep_sort_config_static_selectorELNS0_4arch9wavefront6targetE1EEEvSI_,"axG",@progbits,_ZN7rocprim17ROCPRIM_400000_NS6detail17trampoline_kernelINS0_14default_configENS1_35radix_sort_onesweep_config_selectorIssEEZZNS1_29radix_sort_onesweep_iterationIS3_Lb0EN6thrust23THRUST_200600_302600_NS6detail15normal_iteratorINS8_10device_ptrIsEEEESD_SD_SD_jNS0_19identity_decomposerENS1_16block_id_wrapperIjLb1EEEEE10hipError_tT1_PNSt15iterator_traitsISI_E10value_typeET2_T3_PNSJ_ISO_E10value_typeET4_T5_PST_SU_PNS1_23onesweep_lookback_stateEbbT6_jjT7_P12ihipStream_tbENKUlT_T0_SI_SN_E_clISD_PsSD_S15_EEDaS11_S12_SI_SN_EUlS11_E_NS1_11comp_targetILNS1_3genE3ELNS1_11target_archE908ELNS1_3gpuE7ELNS1_3repE0EEENS1_47radix_sort_onesweep_sort_config_static_selectorELNS0_4arch9wavefront6targetE1EEEvSI_,comdat
.Lfunc_end1656:
	.size	_ZN7rocprim17ROCPRIM_400000_NS6detail17trampoline_kernelINS0_14default_configENS1_35radix_sort_onesweep_config_selectorIssEEZZNS1_29radix_sort_onesweep_iterationIS3_Lb0EN6thrust23THRUST_200600_302600_NS6detail15normal_iteratorINS8_10device_ptrIsEEEESD_SD_SD_jNS0_19identity_decomposerENS1_16block_id_wrapperIjLb1EEEEE10hipError_tT1_PNSt15iterator_traitsISI_E10value_typeET2_T3_PNSJ_ISO_E10value_typeET4_T5_PST_SU_PNS1_23onesweep_lookback_stateEbbT6_jjT7_P12ihipStream_tbENKUlT_T0_SI_SN_E_clISD_PsSD_S15_EEDaS11_S12_SI_SN_EUlS11_E_NS1_11comp_targetILNS1_3genE3ELNS1_11target_archE908ELNS1_3gpuE7ELNS1_3repE0EEENS1_47radix_sort_onesweep_sort_config_static_selectorELNS0_4arch9wavefront6targetE1EEEvSI_, .Lfunc_end1656-_ZN7rocprim17ROCPRIM_400000_NS6detail17trampoline_kernelINS0_14default_configENS1_35radix_sort_onesweep_config_selectorIssEEZZNS1_29radix_sort_onesweep_iterationIS3_Lb0EN6thrust23THRUST_200600_302600_NS6detail15normal_iteratorINS8_10device_ptrIsEEEESD_SD_SD_jNS0_19identity_decomposerENS1_16block_id_wrapperIjLb1EEEEE10hipError_tT1_PNSt15iterator_traitsISI_E10value_typeET2_T3_PNSJ_ISO_E10value_typeET4_T5_PST_SU_PNS1_23onesweep_lookback_stateEbbT6_jjT7_P12ihipStream_tbENKUlT_T0_SI_SN_E_clISD_PsSD_S15_EEDaS11_S12_SI_SN_EUlS11_E_NS1_11comp_targetILNS1_3genE3ELNS1_11target_archE908ELNS1_3gpuE7ELNS1_3repE0EEENS1_47radix_sort_onesweep_sort_config_static_selectorELNS0_4arch9wavefront6targetE1EEEvSI_
                                        ; -- End function
	.set _ZN7rocprim17ROCPRIM_400000_NS6detail17trampoline_kernelINS0_14default_configENS1_35radix_sort_onesweep_config_selectorIssEEZZNS1_29radix_sort_onesweep_iterationIS3_Lb0EN6thrust23THRUST_200600_302600_NS6detail15normal_iteratorINS8_10device_ptrIsEEEESD_SD_SD_jNS0_19identity_decomposerENS1_16block_id_wrapperIjLb1EEEEE10hipError_tT1_PNSt15iterator_traitsISI_E10value_typeET2_T3_PNSJ_ISO_E10value_typeET4_T5_PST_SU_PNS1_23onesweep_lookback_stateEbbT6_jjT7_P12ihipStream_tbENKUlT_T0_SI_SN_E_clISD_PsSD_S15_EEDaS11_S12_SI_SN_EUlS11_E_NS1_11comp_targetILNS1_3genE3ELNS1_11target_archE908ELNS1_3gpuE7ELNS1_3repE0EEENS1_47radix_sort_onesweep_sort_config_static_selectorELNS0_4arch9wavefront6targetE1EEEvSI_.num_vgpr, 0
	.set _ZN7rocprim17ROCPRIM_400000_NS6detail17trampoline_kernelINS0_14default_configENS1_35radix_sort_onesweep_config_selectorIssEEZZNS1_29radix_sort_onesweep_iterationIS3_Lb0EN6thrust23THRUST_200600_302600_NS6detail15normal_iteratorINS8_10device_ptrIsEEEESD_SD_SD_jNS0_19identity_decomposerENS1_16block_id_wrapperIjLb1EEEEE10hipError_tT1_PNSt15iterator_traitsISI_E10value_typeET2_T3_PNSJ_ISO_E10value_typeET4_T5_PST_SU_PNS1_23onesweep_lookback_stateEbbT6_jjT7_P12ihipStream_tbENKUlT_T0_SI_SN_E_clISD_PsSD_S15_EEDaS11_S12_SI_SN_EUlS11_E_NS1_11comp_targetILNS1_3genE3ELNS1_11target_archE908ELNS1_3gpuE7ELNS1_3repE0EEENS1_47radix_sort_onesweep_sort_config_static_selectorELNS0_4arch9wavefront6targetE1EEEvSI_.num_agpr, 0
	.set _ZN7rocprim17ROCPRIM_400000_NS6detail17trampoline_kernelINS0_14default_configENS1_35radix_sort_onesweep_config_selectorIssEEZZNS1_29radix_sort_onesweep_iterationIS3_Lb0EN6thrust23THRUST_200600_302600_NS6detail15normal_iteratorINS8_10device_ptrIsEEEESD_SD_SD_jNS0_19identity_decomposerENS1_16block_id_wrapperIjLb1EEEEE10hipError_tT1_PNSt15iterator_traitsISI_E10value_typeET2_T3_PNSJ_ISO_E10value_typeET4_T5_PST_SU_PNS1_23onesweep_lookback_stateEbbT6_jjT7_P12ihipStream_tbENKUlT_T0_SI_SN_E_clISD_PsSD_S15_EEDaS11_S12_SI_SN_EUlS11_E_NS1_11comp_targetILNS1_3genE3ELNS1_11target_archE908ELNS1_3gpuE7ELNS1_3repE0EEENS1_47radix_sort_onesweep_sort_config_static_selectorELNS0_4arch9wavefront6targetE1EEEvSI_.numbered_sgpr, 0
	.set _ZN7rocprim17ROCPRIM_400000_NS6detail17trampoline_kernelINS0_14default_configENS1_35radix_sort_onesweep_config_selectorIssEEZZNS1_29radix_sort_onesweep_iterationIS3_Lb0EN6thrust23THRUST_200600_302600_NS6detail15normal_iteratorINS8_10device_ptrIsEEEESD_SD_SD_jNS0_19identity_decomposerENS1_16block_id_wrapperIjLb1EEEEE10hipError_tT1_PNSt15iterator_traitsISI_E10value_typeET2_T3_PNSJ_ISO_E10value_typeET4_T5_PST_SU_PNS1_23onesweep_lookback_stateEbbT6_jjT7_P12ihipStream_tbENKUlT_T0_SI_SN_E_clISD_PsSD_S15_EEDaS11_S12_SI_SN_EUlS11_E_NS1_11comp_targetILNS1_3genE3ELNS1_11target_archE908ELNS1_3gpuE7ELNS1_3repE0EEENS1_47radix_sort_onesweep_sort_config_static_selectorELNS0_4arch9wavefront6targetE1EEEvSI_.num_named_barrier, 0
	.set _ZN7rocprim17ROCPRIM_400000_NS6detail17trampoline_kernelINS0_14default_configENS1_35radix_sort_onesweep_config_selectorIssEEZZNS1_29radix_sort_onesweep_iterationIS3_Lb0EN6thrust23THRUST_200600_302600_NS6detail15normal_iteratorINS8_10device_ptrIsEEEESD_SD_SD_jNS0_19identity_decomposerENS1_16block_id_wrapperIjLb1EEEEE10hipError_tT1_PNSt15iterator_traitsISI_E10value_typeET2_T3_PNSJ_ISO_E10value_typeET4_T5_PST_SU_PNS1_23onesweep_lookback_stateEbbT6_jjT7_P12ihipStream_tbENKUlT_T0_SI_SN_E_clISD_PsSD_S15_EEDaS11_S12_SI_SN_EUlS11_E_NS1_11comp_targetILNS1_3genE3ELNS1_11target_archE908ELNS1_3gpuE7ELNS1_3repE0EEENS1_47radix_sort_onesweep_sort_config_static_selectorELNS0_4arch9wavefront6targetE1EEEvSI_.private_seg_size, 0
	.set _ZN7rocprim17ROCPRIM_400000_NS6detail17trampoline_kernelINS0_14default_configENS1_35radix_sort_onesweep_config_selectorIssEEZZNS1_29radix_sort_onesweep_iterationIS3_Lb0EN6thrust23THRUST_200600_302600_NS6detail15normal_iteratorINS8_10device_ptrIsEEEESD_SD_SD_jNS0_19identity_decomposerENS1_16block_id_wrapperIjLb1EEEEE10hipError_tT1_PNSt15iterator_traitsISI_E10value_typeET2_T3_PNSJ_ISO_E10value_typeET4_T5_PST_SU_PNS1_23onesweep_lookback_stateEbbT6_jjT7_P12ihipStream_tbENKUlT_T0_SI_SN_E_clISD_PsSD_S15_EEDaS11_S12_SI_SN_EUlS11_E_NS1_11comp_targetILNS1_3genE3ELNS1_11target_archE908ELNS1_3gpuE7ELNS1_3repE0EEENS1_47radix_sort_onesweep_sort_config_static_selectorELNS0_4arch9wavefront6targetE1EEEvSI_.uses_vcc, 0
	.set _ZN7rocprim17ROCPRIM_400000_NS6detail17trampoline_kernelINS0_14default_configENS1_35radix_sort_onesweep_config_selectorIssEEZZNS1_29radix_sort_onesweep_iterationIS3_Lb0EN6thrust23THRUST_200600_302600_NS6detail15normal_iteratorINS8_10device_ptrIsEEEESD_SD_SD_jNS0_19identity_decomposerENS1_16block_id_wrapperIjLb1EEEEE10hipError_tT1_PNSt15iterator_traitsISI_E10value_typeET2_T3_PNSJ_ISO_E10value_typeET4_T5_PST_SU_PNS1_23onesweep_lookback_stateEbbT6_jjT7_P12ihipStream_tbENKUlT_T0_SI_SN_E_clISD_PsSD_S15_EEDaS11_S12_SI_SN_EUlS11_E_NS1_11comp_targetILNS1_3genE3ELNS1_11target_archE908ELNS1_3gpuE7ELNS1_3repE0EEENS1_47radix_sort_onesweep_sort_config_static_selectorELNS0_4arch9wavefront6targetE1EEEvSI_.uses_flat_scratch, 0
	.set _ZN7rocprim17ROCPRIM_400000_NS6detail17trampoline_kernelINS0_14default_configENS1_35radix_sort_onesweep_config_selectorIssEEZZNS1_29radix_sort_onesweep_iterationIS3_Lb0EN6thrust23THRUST_200600_302600_NS6detail15normal_iteratorINS8_10device_ptrIsEEEESD_SD_SD_jNS0_19identity_decomposerENS1_16block_id_wrapperIjLb1EEEEE10hipError_tT1_PNSt15iterator_traitsISI_E10value_typeET2_T3_PNSJ_ISO_E10value_typeET4_T5_PST_SU_PNS1_23onesweep_lookback_stateEbbT6_jjT7_P12ihipStream_tbENKUlT_T0_SI_SN_E_clISD_PsSD_S15_EEDaS11_S12_SI_SN_EUlS11_E_NS1_11comp_targetILNS1_3genE3ELNS1_11target_archE908ELNS1_3gpuE7ELNS1_3repE0EEENS1_47radix_sort_onesweep_sort_config_static_selectorELNS0_4arch9wavefront6targetE1EEEvSI_.has_dyn_sized_stack, 0
	.set _ZN7rocprim17ROCPRIM_400000_NS6detail17trampoline_kernelINS0_14default_configENS1_35radix_sort_onesweep_config_selectorIssEEZZNS1_29radix_sort_onesweep_iterationIS3_Lb0EN6thrust23THRUST_200600_302600_NS6detail15normal_iteratorINS8_10device_ptrIsEEEESD_SD_SD_jNS0_19identity_decomposerENS1_16block_id_wrapperIjLb1EEEEE10hipError_tT1_PNSt15iterator_traitsISI_E10value_typeET2_T3_PNSJ_ISO_E10value_typeET4_T5_PST_SU_PNS1_23onesweep_lookback_stateEbbT6_jjT7_P12ihipStream_tbENKUlT_T0_SI_SN_E_clISD_PsSD_S15_EEDaS11_S12_SI_SN_EUlS11_E_NS1_11comp_targetILNS1_3genE3ELNS1_11target_archE908ELNS1_3gpuE7ELNS1_3repE0EEENS1_47radix_sort_onesweep_sort_config_static_selectorELNS0_4arch9wavefront6targetE1EEEvSI_.has_recursion, 0
	.set _ZN7rocprim17ROCPRIM_400000_NS6detail17trampoline_kernelINS0_14default_configENS1_35radix_sort_onesweep_config_selectorIssEEZZNS1_29radix_sort_onesweep_iterationIS3_Lb0EN6thrust23THRUST_200600_302600_NS6detail15normal_iteratorINS8_10device_ptrIsEEEESD_SD_SD_jNS0_19identity_decomposerENS1_16block_id_wrapperIjLb1EEEEE10hipError_tT1_PNSt15iterator_traitsISI_E10value_typeET2_T3_PNSJ_ISO_E10value_typeET4_T5_PST_SU_PNS1_23onesweep_lookback_stateEbbT6_jjT7_P12ihipStream_tbENKUlT_T0_SI_SN_E_clISD_PsSD_S15_EEDaS11_S12_SI_SN_EUlS11_E_NS1_11comp_targetILNS1_3genE3ELNS1_11target_archE908ELNS1_3gpuE7ELNS1_3repE0EEENS1_47radix_sort_onesweep_sort_config_static_selectorELNS0_4arch9wavefront6targetE1EEEvSI_.has_indirect_call, 0
	.section	.AMDGPU.csdata,"",@progbits
; Kernel info:
; codeLenInByte = 0
; TotalNumSgprs: 6
; NumVgprs: 0
; NumAgprs: 0
; TotalNumVgprs: 0
; ScratchSize: 0
; MemoryBound: 0
; FloatMode: 240
; IeeeMode: 1
; LDSByteSize: 0 bytes/workgroup (compile time only)
; SGPRBlocks: 0
; VGPRBlocks: 0
; NumSGPRsForWavesPerEU: 6
; NumVGPRsForWavesPerEU: 1
; AccumOffset: 4
; Occupancy: 8
; WaveLimiterHint : 0
; COMPUTE_PGM_RSRC2:SCRATCH_EN: 0
; COMPUTE_PGM_RSRC2:USER_SGPR: 2
; COMPUTE_PGM_RSRC2:TRAP_HANDLER: 0
; COMPUTE_PGM_RSRC2:TGID_X_EN: 1
; COMPUTE_PGM_RSRC2:TGID_Y_EN: 0
; COMPUTE_PGM_RSRC2:TGID_Z_EN: 0
; COMPUTE_PGM_RSRC2:TIDIG_COMP_CNT: 0
; COMPUTE_PGM_RSRC3_GFX90A:ACCUM_OFFSET: 0
; COMPUTE_PGM_RSRC3_GFX90A:TG_SPLIT: 0
	.section	.text._ZN7rocprim17ROCPRIM_400000_NS6detail17trampoline_kernelINS0_14default_configENS1_35radix_sort_onesweep_config_selectorIssEEZZNS1_29radix_sort_onesweep_iterationIS3_Lb0EN6thrust23THRUST_200600_302600_NS6detail15normal_iteratorINS8_10device_ptrIsEEEESD_SD_SD_jNS0_19identity_decomposerENS1_16block_id_wrapperIjLb1EEEEE10hipError_tT1_PNSt15iterator_traitsISI_E10value_typeET2_T3_PNSJ_ISO_E10value_typeET4_T5_PST_SU_PNS1_23onesweep_lookback_stateEbbT6_jjT7_P12ihipStream_tbENKUlT_T0_SI_SN_E_clISD_PsSD_S15_EEDaS11_S12_SI_SN_EUlS11_E_NS1_11comp_targetILNS1_3genE10ELNS1_11target_archE1201ELNS1_3gpuE5ELNS1_3repE0EEENS1_47radix_sort_onesweep_sort_config_static_selectorELNS0_4arch9wavefront6targetE1EEEvSI_,"axG",@progbits,_ZN7rocprim17ROCPRIM_400000_NS6detail17trampoline_kernelINS0_14default_configENS1_35radix_sort_onesweep_config_selectorIssEEZZNS1_29radix_sort_onesweep_iterationIS3_Lb0EN6thrust23THRUST_200600_302600_NS6detail15normal_iteratorINS8_10device_ptrIsEEEESD_SD_SD_jNS0_19identity_decomposerENS1_16block_id_wrapperIjLb1EEEEE10hipError_tT1_PNSt15iterator_traitsISI_E10value_typeET2_T3_PNSJ_ISO_E10value_typeET4_T5_PST_SU_PNS1_23onesweep_lookback_stateEbbT6_jjT7_P12ihipStream_tbENKUlT_T0_SI_SN_E_clISD_PsSD_S15_EEDaS11_S12_SI_SN_EUlS11_E_NS1_11comp_targetILNS1_3genE10ELNS1_11target_archE1201ELNS1_3gpuE5ELNS1_3repE0EEENS1_47radix_sort_onesweep_sort_config_static_selectorELNS0_4arch9wavefront6targetE1EEEvSI_,comdat
	.protected	_ZN7rocprim17ROCPRIM_400000_NS6detail17trampoline_kernelINS0_14default_configENS1_35radix_sort_onesweep_config_selectorIssEEZZNS1_29radix_sort_onesweep_iterationIS3_Lb0EN6thrust23THRUST_200600_302600_NS6detail15normal_iteratorINS8_10device_ptrIsEEEESD_SD_SD_jNS0_19identity_decomposerENS1_16block_id_wrapperIjLb1EEEEE10hipError_tT1_PNSt15iterator_traitsISI_E10value_typeET2_T3_PNSJ_ISO_E10value_typeET4_T5_PST_SU_PNS1_23onesweep_lookback_stateEbbT6_jjT7_P12ihipStream_tbENKUlT_T0_SI_SN_E_clISD_PsSD_S15_EEDaS11_S12_SI_SN_EUlS11_E_NS1_11comp_targetILNS1_3genE10ELNS1_11target_archE1201ELNS1_3gpuE5ELNS1_3repE0EEENS1_47radix_sort_onesweep_sort_config_static_selectorELNS0_4arch9wavefront6targetE1EEEvSI_ ; -- Begin function _ZN7rocprim17ROCPRIM_400000_NS6detail17trampoline_kernelINS0_14default_configENS1_35radix_sort_onesweep_config_selectorIssEEZZNS1_29radix_sort_onesweep_iterationIS3_Lb0EN6thrust23THRUST_200600_302600_NS6detail15normal_iteratorINS8_10device_ptrIsEEEESD_SD_SD_jNS0_19identity_decomposerENS1_16block_id_wrapperIjLb1EEEEE10hipError_tT1_PNSt15iterator_traitsISI_E10value_typeET2_T3_PNSJ_ISO_E10value_typeET4_T5_PST_SU_PNS1_23onesweep_lookback_stateEbbT6_jjT7_P12ihipStream_tbENKUlT_T0_SI_SN_E_clISD_PsSD_S15_EEDaS11_S12_SI_SN_EUlS11_E_NS1_11comp_targetILNS1_3genE10ELNS1_11target_archE1201ELNS1_3gpuE5ELNS1_3repE0EEENS1_47radix_sort_onesweep_sort_config_static_selectorELNS0_4arch9wavefront6targetE1EEEvSI_
	.globl	_ZN7rocprim17ROCPRIM_400000_NS6detail17trampoline_kernelINS0_14default_configENS1_35radix_sort_onesweep_config_selectorIssEEZZNS1_29radix_sort_onesweep_iterationIS3_Lb0EN6thrust23THRUST_200600_302600_NS6detail15normal_iteratorINS8_10device_ptrIsEEEESD_SD_SD_jNS0_19identity_decomposerENS1_16block_id_wrapperIjLb1EEEEE10hipError_tT1_PNSt15iterator_traitsISI_E10value_typeET2_T3_PNSJ_ISO_E10value_typeET4_T5_PST_SU_PNS1_23onesweep_lookback_stateEbbT6_jjT7_P12ihipStream_tbENKUlT_T0_SI_SN_E_clISD_PsSD_S15_EEDaS11_S12_SI_SN_EUlS11_E_NS1_11comp_targetILNS1_3genE10ELNS1_11target_archE1201ELNS1_3gpuE5ELNS1_3repE0EEENS1_47radix_sort_onesweep_sort_config_static_selectorELNS0_4arch9wavefront6targetE1EEEvSI_
	.p2align	8
	.type	_ZN7rocprim17ROCPRIM_400000_NS6detail17trampoline_kernelINS0_14default_configENS1_35radix_sort_onesweep_config_selectorIssEEZZNS1_29radix_sort_onesweep_iterationIS3_Lb0EN6thrust23THRUST_200600_302600_NS6detail15normal_iteratorINS8_10device_ptrIsEEEESD_SD_SD_jNS0_19identity_decomposerENS1_16block_id_wrapperIjLb1EEEEE10hipError_tT1_PNSt15iterator_traitsISI_E10value_typeET2_T3_PNSJ_ISO_E10value_typeET4_T5_PST_SU_PNS1_23onesweep_lookback_stateEbbT6_jjT7_P12ihipStream_tbENKUlT_T0_SI_SN_E_clISD_PsSD_S15_EEDaS11_S12_SI_SN_EUlS11_E_NS1_11comp_targetILNS1_3genE10ELNS1_11target_archE1201ELNS1_3gpuE5ELNS1_3repE0EEENS1_47radix_sort_onesweep_sort_config_static_selectorELNS0_4arch9wavefront6targetE1EEEvSI_,@function
_ZN7rocprim17ROCPRIM_400000_NS6detail17trampoline_kernelINS0_14default_configENS1_35radix_sort_onesweep_config_selectorIssEEZZNS1_29radix_sort_onesweep_iterationIS3_Lb0EN6thrust23THRUST_200600_302600_NS6detail15normal_iteratorINS8_10device_ptrIsEEEESD_SD_SD_jNS0_19identity_decomposerENS1_16block_id_wrapperIjLb1EEEEE10hipError_tT1_PNSt15iterator_traitsISI_E10value_typeET2_T3_PNSJ_ISO_E10value_typeET4_T5_PST_SU_PNS1_23onesweep_lookback_stateEbbT6_jjT7_P12ihipStream_tbENKUlT_T0_SI_SN_E_clISD_PsSD_S15_EEDaS11_S12_SI_SN_EUlS11_E_NS1_11comp_targetILNS1_3genE10ELNS1_11target_archE1201ELNS1_3gpuE5ELNS1_3repE0EEENS1_47radix_sort_onesweep_sort_config_static_selectorELNS0_4arch9wavefront6targetE1EEEvSI_: ; @_ZN7rocprim17ROCPRIM_400000_NS6detail17trampoline_kernelINS0_14default_configENS1_35radix_sort_onesweep_config_selectorIssEEZZNS1_29radix_sort_onesweep_iterationIS3_Lb0EN6thrust23THRUST_200600_302600_NS6detail15normal_iteratorINS8_10device_ptrIsEEEESD_SD_SD_jNS0_19identity_decomposerENS1_16block_id_wrapperIjLb1EEEEE10hipError_tT1_PNSt15iterator_traitsISI_E10value_typeET2_T3_PNSJ_ISO_E10value_typeET4_T5_PST_SU_PNS1_23onesweep_lookback_stateEbbT6_jjT7_P12ihipStream_tbENKUlT_T0_SI_SN_E_clISD_PsSD_S15_EEDaS11_S12_SI_SN_EUlS11_E_NS1_11comp_targetILNS1_3genE10ELNS1_11target_archE1201ELNS1_3gpuE5ELNS1_3repE0EEENS1_47radix_sort_onesweep_sort_config_static_selectorELNS0_4arch9wavefront6targetE1EEEvSI_
; %bb.0:
	.section	.rodata,"a",@progbits
	.p2align	6, 0x0
	.amdhsa_kernel _ZN7rocprim17ROCPRIM_400000_NS6detail17trampoline_kernelINS0_14default_configENS1_35radix_sort_onesweep_config_selectorIssEEZZNS1_29radix_sort_onesweep_iterationIS3_Lb0EN6thrust23THRUST_200600_302600_NS6detail15normal_iteratorINS8_10device_ptrIsEEEESD_SD_SD_jNS0_19identity_decomposerENS1_16block_id_wrapperIjLb1EEEEE10hipError_tT1_PNSt15iterator_traitsISI_E10value_typeET2_T3_PNSJ_ISO_E10value_typeET4_T5_PST_SU_PNS1_23onesweep_lookback_stateEbbT6_jjT7_P12ihipStream_tbENKUlT_T0_SI_SN_E_clISD_PsSD_S15_EEDaS11_S12_SI_SN_EUlS11_E_NS1_11comp_targetILNS1_3genE10ELNS1_11target_archE1201ELNS1_3gpuE5ELNS1_3repE0EEENS1_47radix_sort_onesweep_sort_config_static_selectorELNS0_4arch9wavefront6targetE1EEEvSI_
		.amdhsa_group_segment_fixed_size 0
		.amdhsa_private_segment_fixed_size 0
		.amdhsa_kernarg_size 88
		.amdhsa_user_sgpr_count 2
		.amdhsa_user_sgpr_dispatch_ptr 0
		.amdhsa_user_sgpr_queue_ptr 0
		.amdhsa_user_sgpr_kernarg_segment_ptr 1
		.amdhsa_user_sgpr_dispatch_id 0
		.amdhsa_user_sgpr_kernarg_preload_length 0
		.amdhsa_user_sgpr_kernarg_preload_offset 0
		.amdhsa_user_sgpr_private_segment_size 0
		.amdhsa_uses_dynamic_stack 0
		.amdhsa_enable_private_segment 0
		.amdhsa_system_sgpr_workgroup_id_x 1
		.amdhsa_system_sgpr_workgroup_id_y 0
		.amdhsa_system_sgpr_workgroup_id_z 0
		.amdhsa_system_sgpr_workgroup_info 0
		.amdhsa_system_vgpr_workitem_id 0
		.amdhsa_next_free_vgpr 1
		.amdhsa_next_free_sgpr 0
		.amdhsa_accum_offset 4
		.amdhsa_reserve_vcc 0
		.amdhsa_float_round_mode_32 0
		.amdhsa_float_round_mode_16_64 0
		.amdhsa_float_denorm_mode_32 3
		.amdhsa_float_denorm_mode_16_64 3
		.amdhsa_dx10_clamp 1
		.amdhsa_ieee_mode 1
		.amdhsa_fp16_overflow 0
		.amdhsa_tg_split 0
		.amdhsa_exception_fp_ieee_invalid_op 0
		.amdhsa_exception_fp_denorm_src 0
		.amdhsa_exception_fp_ieee_div_zero 0
		.amdhsa_exception_fp_ieee_overflow 0
		.amdhsa_exception_fp_ieee_underflow 0
		.amdhsa_exception_fp_ieee_inexact 0
		.amdhsa_exception_int_div_zero 0
	.end_amdhsa_kernel
	.section	.text._ZN7rocprim17ROCPRIM_400000_NS6detail17trampoline_kernelINS0_14default_configENS1_35radix_sort_onesweep_config_selectorIssEEZZNS1_29radix_sort_onesweep_iterationIS3_Lb0EN6thrust23THRUST_200600_302600_NS6detail15normal_iteratorINS8_10device_ptrIsEEEESD_SD_SD_jNS0_19identity_decomposerENS1_16block_id_wrapperIjLb1EEEEE10hipError_tT1_PNSt15iterator_traitsISI_E10value_typeET2_T3_PNSJ_ISO_E10value_typeET4_T5_PST_SU_PNS1_23onesweep_lookback_stateEbbT6_jjT7_P12ihipStream_tbENKUlT_T0_SI_SN_E_clISD_PsSD_S15_EEDaS11_S12_SI_SN_EUlS11_E_NS1_11comp_targetILNS1_3genE10ELNS1_11target_archE1201ELNS1_3gpuE5ELNS1_3repE0EEENS1_47radix_sort_onesweep_sort_config_static_selectorELNS0_4arch9wavefront6targetE1EEEvSI_,"axG",@progbits,_ZN7rocprim17ROCPRIM_400000_NS6detail17trampoline_kernelINS0_14default_configENS1_35radix_sort_onesweep_config_selectorIssEEZZNS1_29radix_sort_onesweep_iterationIS3_Lb0EN6thrust23THRUST_200600_302600_NS6detail15normal_iteratorINS8_10device_ptrIsEEEESD_SD_SD_jNS0_19identity_decomposerENS1_16block_id_wrapperIjLb1EEEEE10hipError_tT1_PNSt15iterator_traitsISI_E10value_typeET2_T3_PNSJ_ISO_E10value_typeET4_T5_PST_SU_PNS1_23onesweep_lookback_stateEbbT6_jjT7_P12ihipStream_tbENKUlT_T0_SI_SN_E_clISD_PsSD_S15_EEDaS11_S12_SI_SN_EUlS11_E_NS1_11comp_targetILNS1_3genE10ELNS1_11target_archE1201ELNS1_3gpuE5ELNS1_3repE0EEENS1_47radix_sort_onesweep_sort_config_static_selectorELNS0_4arch9wavefront6targetE1EEEvSI_,comdat
.Lfunc_end1657:
	.size	_ZN7rocprim17ROCPRIM_400000_NS6detail17trampoline_kernelINS0_14default_configENS1_35radix_sort_onesweep_config_selectorIssEEZZNS1_29radix_sort_onesweep_iterationIS3_Lb0EN6thrust23THRUST_200600_302600_NS6detail15normal_iteratorINS8_10device_ptrIsEEEESD_SD_SD_jNS0_19identity_decomposerENS1_16block_id_wrapperIjLb1EEEEE10hipError_tT1_PNSt15iterator_traitsISI_E10value_typeET2_T3_PNSJ_ISO_E10value_typeET4_T5_PST_SU_PNS1_23onesweep_lookback_stateEbbT6_jjT7_P12ihipStream_tbENKUlT_T0_SI_SN_E_clISD_PsSD_S15_EEDaS11_S12_SI_SN_EUlS11_E_NS1_11comp_targetILNS1_3genE10ELNS1_11target_archE1201ELNS1_3gpuE5ELNS1_3repE0EEENS1_47radix_sort_onesweep_sort_config_static_selectorELNS0_4arch9wavefront6targetE1EEEvSI_, .Lfunc_end1657-_ZN7rocprim17ROCPRIM_400000_NS6detail17trampoline_kernelINS0_14default_configENS1_35radix_sort_onesweep_config_selectorIssEEZZNS1_29radix_sort_onesweep_iterationIS3_Lb0EN6thrust23THRUST_200600_302600_NS6detail15normal_iteratorINS8_10device_ptrIsEEEESD_SD_SD_jNS0_19identity_decomposerENS1_16block_id_wrapperIjLb1EEEEE10hipError_tT1_PNSt15iterator_traitsISI_E10value_typeET2_T3_PNSJ_ISO_E10value_typeET4_T5_PST_SU_PNS1_23onesweep_lookback_stateEbbT6_jjT7_P12ihipStream_tbENKUlT_T0_SI_SN_E_clISD_PsSD_S15_EEDaS11_S12_SI_SN_EUlS11_E_NS1_11comp_targetILNS1_3genE10ELNS1_11target_archE1201ELNS1_3gpuE5ELNS1_3repE0EEENS1_47radix_sort_onesweep_sort_config_static_selectorELNS0_4arch9wavefront6targetE1EEEvSI_
                                        ; -- End function
	.set _ZN7rocprim17ROCPRIM_400000_NS6detail17trampoline_kernelINS0_14default_configENS1_35radix_sort_onesweep_config_selectorIssEEZZNS1_29radix_sort_onesweep_iterationIS3_Lb0EN6thrust23THRUST_200600_302600_NS6detail15normal_iteratorINS8_10device_ptrIsEEEESD_SD_SD_jNS0_19identity_decomposerENS1_16block_id_wrapperIjLb1EEEEE10hipError_tT1_PNSt15iterator_traitsISI_E10value_typeET2_T3_PNSJ_ISO_E10value_typeET4_T5_PST_SU_PNS1_23onesweep_lookback_stateEbbT6_jjT7_P12ihipStream_tbENKUlT_T0_SI_SN_E_clISD_PsSD_S15_EEDaS11_S12_SI_SN_EUlS11_E_NS1_11comp_targetILNS1_3genE10ELNS1_11target_archE1201ELNS1_3gpuE5ELNS1_3repE0EEENS1_47radix_sort_onesweep_sort_config_static_selectorELNS0_4arch9wavefront6targetE1EEEvSI_.num_vgpr, 0
	.set _ZN7rocprim17ROCPRIM_400000_NS6detail17trampoline_kernelINS0_14default_configENS1_35radix_sort_onesweep_config_selectorIssEEZZNS1_29radix_sort_onesweep_iterationIS3_Lb0EN6thrust23THRUST_200600_302600_NS6detail15normal_iteratorINS8_10device_ptrIsEEEESD_SD_SD_jNS0_19identity_decomposerENS1_16block_id_wrapperIjLb1EEEEE10hipError_tT1_PNSt15iterator_traitsISI_E10value_typeET2_T3_PNSJ_ISO_E10value_typeET4_T5_PST_SU_PNS1_23onesweep_lookback_stateEbbT6_jjT7_P12ihipStream_tbENKUlT_T0_SI_SN_E_clISD_PsSD_S15_EEDaS11_S12_SI_SN_EUlS11_E_NS1_11comp_targetILNS1_3genE10ELNS1_11target_archE1201ELNS1_3gpuE5ELNS1_3repE0EEENS1_47radix_sort_onesweep_sort_config_static_selectorELNS0_4arch9wavefront6targetE1EEEvSI_.num_agpr, 0
	.set _ZN7rocprim17ROCPRIM_400000_NS6detail17trampoline_kernelINS0_14default_configENS1_35radix_sort_onesweep_config_selectorIssEEZZNS1_29radix_sort_onesweep_iterationIS3_Lb0EN6thrust23THRUST_200600_302600_NS6detail15normal_iteratorINS8_10device_ptrIsEEEESD_SD_SD_jNS0_19identity_decomposerENS1_16block_id_wrapperIjLb1EEEEE10hipError_tT1_PNSt15iterator_traitsISI_E10value_typeET2_T3_PNSJ_ISO_E10value_typeET4_T5_PST_SU_PNS1_23onesweep_lookback_stateEbbT6_jjT7_P12ihipStream_tbENKUlT_T0_SI_SN_E_clISD_PsSD_S15_EEDaS11_S12_SI_SN_EUlS11_E_NS1_11comp_targetILNS1_3genE10ELNS1_11target_archE1201ELNS1_3gpuE5ELNS1_3repE0EEENS1_47radix_sort_onesweep_sort_config_static_selectorELNS0_4arch9wavefront6targetE1EEEvSI_.numbered_sgpr, 0
	.set _ZN7rocprim17ROCPRIM_400000_NS6detail17trampoline_kernelINS0_14default_configENS1_35radix_sort_onesweep_config_selectorIssEEZZNS1_29radix_sort_onesweep_iterationIS3_Lb0EN6thrust23THRUST_200600_302600_NS6detail15normal_iteratorINS8_10device_ptrIsEEEESD_SD_SD_jNS0_19identity_decomposerENS1_16block_id_wrapperIjLb1EEEEE10hipError_tT1_PNSt15iterator_traitsISI_E10value_typeET2_T3_PNSJ_ISO_E10value_typeET4_T5_PST_SU_PNS1_23onesweep_lookback_stateEbbT6_jjT7_P12ihipStream_tbENKUlT_T0_SI_SN_E_clISD_PsSD_S15_EEDaS11_S12_SI_SN_EUlS11_E_NS1_11comp_targetILNS1_3genE10ELNS1_11target_archE1201ELNS1_3gpuE5ELNS1_3repE0EEENS1_47radix_sort_onesweep_sort_config_static_selectorELNS0_4arch9wavefront6targetE1EEEvSI_.num_named_barrier, 0
	.set _ZN7rocprim17ROCPRIM_400000_NS6detail17trampoline_kernelINS0_14default_configENS1_35radix_sort_onesweep_config_selectorIssEEZZNS1_29radix_sort_onesweep_iterationIS3_Lb0EN6thrust23THRUST_200600_302600_NS6detail15normal_iteratorINS8_10device_ptrIsEEEESD_SD_SD_jNS0_19identity_decomposerENS1_16block_id_wrapperIjLb1EEEEE10hipError_tT1_PNSt15iterator_traitsISI_E10value_typeET2_T3_PNSJ_ISO_E10value_typeET4_T5_PST_SU_PNS1_23onesweep_lookback_stateEbbT6_jjT7_P12ihipStream_tbENKUlT_T0_SI_SN_E_clISD_PsSD_S15_EEDaS11_S12_SI_SN_EUlS11_E_NS1_11comp_targetILNS1_3genE10ELNS1_11target_archE1201ELNS1_3gpuE5ELNS1_3repE0EEENS1_47radix_sort_onesweep_sort_config_static_selectorELNS0_4arch9wavefront6targetE1EEEvSI_.private_seg_size, 0
	.set _ZN7rocprim17ROCPRIM_400000_NS6detail17trampoline_kernelINS0_14default_configENS1_35radix_sort_onesweep_config_selectorIssEEZZNS1_29radix_sort_onesweep_iterationIS3_Lb0EN6thrust23THRUST_200600_302600_NS6detail15normal_iteratorINS8_10device_ptrIsEEEESD_SD_SD_jNS0_19identity_decomposerENS1_16block_id_wrapperIjLb1EEEEE10hipError_tT1_PNSt15iterator_traitsISI_E10value_typeET2_T3_PNSJ_ISO_E10value_typeET4_T5_PST_SU_PNS1_23onesweep_lookback_stateEbbT6_jjT7_P12ihipStream_tbENKUlT_T0_SI_SN_E_clISD_PsSD_S15_EEDaS11_S12_SI_SN_EUlS11_E_NS1_11comp_targetILNS1_3genE10ELNS1_11target_archE1201ELNS1_3gpuE5ELNS1_3repE0EEENS1_47radix_sort_onesweep_sort_config_static_selectorELNS0_4arch9wavefront6targetE1EEEvSI_.uses_vcc, 0
	.set _ZN7rocprim17ROCPRIM_400000_NS6detail17trampoline_kernelINS0_14default_configENS1_35radix_sort_onesweep_config_selectorIssEEZZNS1_29radix_sort_onesweep_iterationIS3_Lb0EN6thrust23THRUST_200600_302600_NS6detail15normal_iteratorINS8_10device_ptrIsEEEESD_SD_SD_jNS0_19identity_decomposerENS1_16block_id_wrapperIjLb1EEEEE10hipError_tT1_PNSt15iterator_traitsISI_E10value_typeET2_T3_PNSJ_ISO_E10value_typeET4_T5_PST_SU_PNS1_23onesweep_lookback_stateEbbT6_jjT7_P12ihipStream_tbENKUlT_T0_SI_SN_E_clISD_PsSD_S15_EEDaS11_S12_SI_SN_EUlS11_E_NS1_11comp_targetILNS1_3genE10ELNS1_11target_archE1201ELNS1_3gpuE5ELNS1_3repE0EEENS1_47radix_sort_onesweep_sort_config_static_selectorELNS0_4arch9wavefront6targetE1EEEvSI_.uses_flat_scratch, 0
	.set _ZN7rocprim17ROCPRIM_400000_NS6detail17trampoline_kernelINS0_14default_configENS1_35radix_sort_onesweep_config_selectorIssEEZZNS1_29radix_sort_onesweep_iterationIS3_Lb0EN6thrust23THRUST_200600_302600_NS6detail15normal_iteratorINS8_10device_ptrIsEEEESD_SD_SD_jNS0_19identity_decomposerENS1_16block_id_wrapperIjLb1EEEEE10hipError_tT1_PNSt15iterator_traitsISI_E10value_typeET2_T3_PNSJ_ISO_E10value_typeET4_T5_PST_SU_PNS1_23onesweep_lookback_stateEbbT6_jjT7_P12ihipStream_tbENKUlT_T0_SI_SN_E_clISD_PsSD_S15_EEDaS11_S12_SI_SN_EUlS11_E_NS1_11comp_targetILNS1_3genE10ELNS1_11target_archE1201ELNS1_3gpuE5ELNS1_3repE0EEENS1_47radix_sort_onesweep_sort_config_static_selectorELNS0_4arch9wavefront6targetE1EEEvSI_.has_dyn_sized_stack, 0
	.set _ZN7rocprim17ROCPRIM_400000_NS6detail17trampoline_kernelINS0_14default_configENS1_35radix_sort_onesweep_config_selectorIssEEZZNS1_29radix_sort_onesweep_iterationIS3_Lb0EN6thrust23THRUST_200600_302600_NS6detail15normal_iteratorINS8_10device_ptrIsEEEESD_SD_SD_jNS0_19identity_decomposerENS1_16block_id_wrapperIjLb1EEEEE10hipError_tT1_PNSt15iterator_traitsISI_E10value_typeET2_T3_PNSJ_ISO_E10value_typeET4_T5_PST_SU_PNS1_23onesweep_lookback_stateEbbT6_jjT7_P12ihipStream_tbENKUlT_T0_SI_SN_E_clISD_PsSD_S15_EEDaS11_S12_SI_SN_EUlS11_E_NS1_11comp_targetILNS1_3genE10ELNS1_11target_archE1201ELNS1_3gpuE5ELNS1_3repE0EEENS1_47radix_sort_onesweep_sort_config_static_selectorELNS0_4arch9wavefront6targetE1EEEvSI_.has_recursion, 0
	.set _ZN7rocprim17ROCPRIM_400000_NS6detail17trampoline_kernelINS0_14default_configENS1_35radix_sort_onesweep_config_selectorIssEEZZNS1_29radix_sort_onesweep_iterationIS3_Lb0EN6thrust23THRUST_200600_302600_NS6detail15normal_iteratorINS8_10device_ptrIsEEEESD_SD_SD_jNS0_19identity_decomposerENS1_16block_id_wrapperIjLb1EEEEE10hipError_tT1_PNSt15iterator_traitsISI_E10value_typeET2_T3_PNSJ_ISO_E10value_typeET4_T5_PST_SU_PNS1_23onesweep_lookback_stateEbbT6_jjT7_P12ihipStream_tbENKUlT_T0_SI_SN_E_clISD_PsSD_S15_EEDaS11_S12_SI_SN_EUlS11_E_NS1_11comp_targetILNS1_3genE10ELNS1_11target_archE1201ELNS1_3gpuE5ELNS1_3repE0EEENS1_47radix_sort_onesweep_sort_config_static_selectorELNS0_4arch9wavefront6targetE1EEEvSI_.has_indirect_call, 0
	.section	.AMDGPU.csdata,"",@progbits
; Kernel info:
; codeLenInByte = 0
; TotalNumSgprs: 6
; NumVgprs: 0
; NumAgprs: 0
; TotalNumVgprs: 0
; ScratchSize: 0
; MemoryBound: 0
; FloatMode: 240
; IeeeMode: 1
; LDSByteSize: 0 bytes/workgroup (compile time only)
; SGPRBlocks: 0
; VGPRBlocks: 0
; NumSGPRsForWavesPerEU: 6
; NumVGPRsForWavesPerEU: 1
; AccumOffset: 4
; Occupancy: 8
; WaveLimiterHint : 0
; COMPUTE_PGM_RSRC2:SCRATCH_EN: 0
; COMPUTE_PGM_RSRC2:USER_SGPR: 2
; COMPUTE_PGM_RSRC2:TRAP_HANDLER: 0
; COMPUTE_PGM_RSRC2:TGID_X_EN: 1
; COMPUTE_PGM_RSRC2:TGID_Y_EN: 0
; COMPUTE_PGM_RSRC2:TGID_Z_EN: 0
; COMPUTE_PGM_RSRC2:TIDIG_COMP_CNT: 0
; COMPUTE_PGM_RSRC3_GFX90A:ACCUM_OFFSET: 0
; COMPUTE_PGM_RSRC3_GFX90A:TG_SPLIT: 0
	.section	.text._ZN7rocprim17ROCPRIM_400000_NS6detail17trampoline_kernelINS0_14default_configENS1_35radix_sort_onesweep_config_selectorIssEEZZNS1_29radix_sort_onesweep_iterationIS3_Lb0EN6thrust23THRUST_200600_302600_NS6detail15normal_iteratorINS8_10device_ptrIsEEEESD_SD_SD_jNS0_19identity_decomposerENS1_16block_id_wrapperIjLb1EEEEE10hipError_tT1_PNSt15iterator_traitsISI_E10value_typeET2_T3_PNSJ_ISO_E10value_typeET4_T5_PST_SU_PNS1_23onesweep_lookback_stateEbbT6_jjT7_P12ihipStream_tbENKUlT_T0_SI_SN_E_clISD_PsSD_S15_EEDaS11_S12_SI_SN_EUlS11_E_NS1_11comp_targetILNS1_3genE9ELNS1_11target_archE1100ELNS1_3gpuE3ELNS1_3repE0EEENS1_47radix_sort_onesweep_sort_config_static_selectorELNS0_4arch9wavefront6targetE1EEEvSI_,"axG",@progbits,_ZN7rocprim17ROCPRIM_400000_NS6detail17trampoline_kernelINS0_14default_configENS1_35radix_sort_onesweep_config_selectorIssEEZZNS1_29radix_sort_onesweep_iterationIS3_Lb0EN6thrust23THRUST_200600_302600_NS6detail15normal_iteratorINS8_10device_ptrIsEEEESD_SD_SD_jNS0_19identity_decomposerENS1_16block_id_wrapperIjLb1EEEEE10hipError_tT1_PNSt15iterator_traitsISI_E10value_typeET2_T3_PNSJ_ISO_E10value_typeET4_T5_PST_SU_PNS1_23onesweep_lookback_stateEbbT6_jjT7_P12ihipStream_tbENKUlT_T0_SI_SN_E_clISD_PsSD_S15_EEDaS11_S12_SI_SN_EUlS11_E_NS1_11comp_targetILNS1_3genE9ELNS1_11target_archE1100ELNS1_3gpuE3ELNS1_3repE0EEENS1_47radix_sort_onesweep_sort_config_static_selectorELNS0_4arch9wavefront6targetE1EEEvSI_,comdat
	.protected	_ZN7rocprim17ROCPRIM_400000_NS6detail17trampoline_kernelINS0_14default_configENS1_35radix_sort_onesweep_config_selectorIssEEZZNS1_29radix_sort_onesweep_iterationIS3_Lb0EN6thrust23THRUST_200600_302600_NS6detail15normal_iteratorINS8_10device_ptrIsEEEESD_SD_SD_jNS0_19identity_decomposerENS1_16block_id_wrapperIjLb1EEEEE10hipError_tT1_PNSt15iterator_traitsISI_E10value_typeET2_T3_PNSJ_ISO_E10value_typeET4_T5_PST_SU_PNS1_23onesweep_lookback_stateEbbT6_jjT7_P12ihipStream_tbENKUlT_T0_SI_SN_E_clISD_PsSD_S15_EEDaS11_S12_SI_SN_EUlS11_E_NS1_11comp_targetILNS1_3genE9ELNS1_11target_archE1100ELNS1_3gpuE3ELNS1_3repE0EEENS1_47radix_sort_onesweep_sort_config_static_selectorELNS0_4arch9wavefront6targetE1EEEvSI_ ; -- Begin function _ZN7rocprim17ROCPRIM_400000_NS6detail17trampoline_kernelINS0_14default_configENS1_35radix_sort_onesweep_config_selectorIssEEZZNS1_29radix_sort_onesweep_iterationIS3_Lb0EN6thrust23THRUST_200600_302600_NS6detail15normal_iteratorINS8_10device_ptrIsEEEESD_SD_SD_jNS0_19identity_decomposerENS1_16block_id_wrapperIjLb1EEEEE10hipError_tT1_PNSt15iterator_traitsISI_E10value_typeET2_T3_PNSJ_ISO_E10value_typeET4_T5_PST_SU_PNS1_23onesweep_lookback_stateEbbT6_jjT7_P12ihipStream_tbENKUlT_T0_SI_SN_E_clISD_PsSD_S15_EEDaS11_S12_SI_SN_EUlS11_E_NS1_11comp_targetILNS1_3genE9ELNS1_11target_archE1100ELNS1_3gpuE3ELNS1_3repE0EEENS1_47radix_sort_onesweep_sort_config_static_selectorELNS0_4arch9wavefront6targetE1EEEvSI_
	.globl	_ZN7rocprim17ROCPRIM_400000_NS6detail17trampoline_kernelINS0_14default_configENS1_35radix_sort_onesweep_config_selectorIssEEZZNS1_29radix_sort_onesweep_iterationIS3_Lb0EN6thrust23THRUST_200600_302600_NS6detail15normal_iteratorINS8_10device_ptrIsEEEESD_SD_SD_jNS0_19identity_decomposerENS1_16block_id_wrapperIjLb1EEEEE10hipError_tT1_PNSt15iterator_traitsISI_E10value_typeET2_T3_PNSJ_ISO_E10value_typeET4_T5_PST_SU_PNS1_23onesweep_lookback_stateEbbT6_jjT7_P12ihipStream_tbENKUlT_T0_SI_SN_E_clISD_PsSD_S15_EEDaS11_S12_SI_SN_EUlS11_E_NS1_11comp_targetILNS1_3genE9ELNS1_11target_archE1100ELNS1_3gpuE3ELNS1_3repE0EEENS1_47radix_sort_onesweep_sort_config_static_selectorELNS0_4arch9wavefront6targetE1EEEvSI_
	.p2align	8
	.type	_ZN7rocprim17ROCPRIM_400000_NS6detail17trampoline_kernelINS0_14default_configENS1_35radix_sort_onesweep_config_selectorIssEEZZNS1_29radix_sort_onesweep_iterationIS3_Lb0EN6thrust23THRUST_200600_302600_NS6detail15normal_iteratorINS8_10device_ptrIsEEEESD_SD_SD_jNS0_19identity_decomposerENS1_16block_id_wrapperIjLb1EEEEE10hipError_tT1_PNSt15iterator_traitsISI_E10value_typeET2_T3_PNSJ_ISO_E10value_typeET4_T5_PST_SU_PNS1_23onesweep_lookback_stateEbbT6_jjT7_P12ihipStream_tbENKUlT_T0_SI_SN_E_clISD_PsSD_S15_EEDaS11_S12_SI_SN_EUlS11_E_NS1_11comp_targetILNS1_3genE9ELNS1_11target_archE1100ELNS1_3gpuE3ELNS1_3repE0EEENS1_47radix_sort_onesweep_sort_config_static_selectorELNS0_4arch9wavefront6targetE1EEEvSI_,@function
_ZN7rocprim17ROCPRIM_400000_NS6detail17trampoline_kernelINS0_14default_configENS1_35radix_sort_onesweep_config_selectorIssEEZZNS1_29radix_sort_onesweep_iterationIS3_Lb0EN6thrust23THRUST_200600_302600_NS6detail15normal_iteratorINS8_10device_ptrIsEEEESD_SD_SD_jNS0_19identity_decomposerENS1_16block_id_wrapperIjLb1EEEEE10hipError_tT1_PNSt15iterator_traitsISI_E10value_typeET2_T3_PNSJ_ISO_E10value_typeET4_T5_PST_SU_PNS1_23onesweep_lookback_stateEbbT6_jjT7_P12ihipStream_tbENKUlT_T0_SI_SN_E_clISD_PsSD_S15_EEDaS11_S12_SI_SN_EUlS11_E_NS1_11comp_targetILNS1_3genE9ELNS1_11target_archE1100ELNS1_3gpuE3ELNS1_3repE0EEENS1_47radix_sort_onesweep_sort_config_static_selectorELNS0_4arch9wavefront6targetE1EEEvSI_: ; @_ZN7rocprim17ROCPRIM_400000_NS6detail17trampoline_kernelINS0_14default_configENS1_35radix_sort_onesweep_config_selectorIssEEZZNS1_29radix_sort_onesweep_iterationIS3_Lb0EN6thrust23THRUST_200600_302600_NS6detail15normal_iteratorINS8_10device_ptrIsEEEESD_SD_SD_jNS0_19identity_decomposerENS1_16block_id_wrapperIjLb1EEEEE10hipError_tT1_PNSt15iterator_traitsISI_E10value_typeET2_T3_PNSJ_ISO_E10value_typeET4_T5_PST_SU_PNS1_23onesweep_lookback_stateEbbT6_jjT7_P12ihipStream_tbENKUlT_T0_SI_SN_E_clISD_PsSD_S15_EEDaS11_S12_SI_SN_EUlS11_E_NS1_11comp_targetILNS1_3genE9ELNS1_11target_archE1100ELNS1_3gpuE3ELNS1_3repE0EEENS1_47radix_sort_onesweep_sort_config_static_selectorELNS0_4arch9wavefront6targetE1EEEvSI_
; %bb.0:
	.section	.rodata,"a",@progbits
	.p2align	6, 0x0
	.amdhsa_kernel _ZN7rocprim17ROCPRIM_400000_NS6detail17trampoline_kernelINS0_14default_configENS1_35radix_sort_onesweep_config_selectorIssEEZZNS1_29radix_sort_onesweep_iterationIS3_Lb0EN6thrust23THRUST_200600_302600_NS6detail15normal_iteratorINS8_10device_ptrIsEEEESD_SD_SD_jNS0_19identity_decomposerENS1_16block_id_wrapperIjLb1EEEEE10hipError_tT1_PNSt15iterator_traitsISI_E10value_typeET2_T3_PNSJ_ISO_E10value_typeET4_T5_PST_SU_PNS1_23onesweep_lookback_stateEbbT6_jjT7_P12ihipStream_tbENKUlT_T0_SI_SN_E_clISD_PsSD_S15_EEDaS11_S12_SI_SN_EUlS11_E_NS1_11comp_targetILNS1_3genE9ELNS1_11target_archE1100ELNS1_3gpuE3ELNS1_3repE0EEENS1_47radix_sort_onesweep_sort_config_static_selectorELNS0_4arch9wavefront6targetE1EEEvSI_
		.amdhsa_group_segment_fixed_size 0
		.amdhsa_private_segment_fixed_size 0
		.amdhsa_kernarg_size 88
		.amdhsa_user_sgpr_count 2
		.amdhsa_user_sgpr_dispatch_ptr 0
		.amdhsa_user_sgpr_queue_ptr 0
		.amdhsa_user_sgpr_kernarg_segment_ptr 1
		.amdhsa_user_sgpr_dispatch_id 0
		.amdhsa_user_sgpr_kernarg_preload_length 0
		.amdhsa_user_sgpr_kernarg_preload_offset 0
		.amdhsa_user_sgpr_private_segment_size 0
		.amdhsa_uses_dynamic_stack 0
		.amdhsa_enable_private_segment 0
		.amdhsa_system_sgpr_workgroup_id_x 1
		.amdhsa_system_sgpr_workgroup_id_y 0
		.amdhsa_system_sgpr_workgroup_id_z 0
		.amdhsa_system_sgpr_workgroup_info 0
		.amdhsa_system_vgpr_workitem_id 0
		.amdhsa_next_free_vgpr 1
		.amdhsa_next_free_sgpr 0
		.amdhsa_accum_offset 4
		.amdhsa_reserve_vcc 0
		.amdhsa_float_round_mode_32 0
		.amdhsa_float_round_mode_16_64 0
		.amdhsa_float_denorm_mode_32 3
		.amdhsa_float_denorm_mode_16_64 3
		.amdhsa_dx10_clamp 1
		.amdhsa_ieee_mode 1
		.amdhsa_fp16_overflow 0
		.amdhsa_tg_split 0
		.amdhsa_exception_fp_ieee_invalid_op 0
		.amdhsa_exception_fp_denorm_src 0
		.amdhsa_exception_fp_ieee_div_zero 0
		.amdhsa_exception_fp_ieee_overflow 0
		.amdhsa_exception_fp_ieee_underflow 0
		.amdhsa_exception_fp_ieee_inexact 0
		.amdhsa_exception_int_div_zero 0
	.end_amdhsa_kernel
	.section	.text._ZN7rocprim17ROCPRIM_400000_NS6detail17trampoline_kernelINS0_14default_configENS1_35radix_sort_onesweep_config_selectorIssEEZZNS1_29radix_sort_onesweep_iterationIS3_Lb0EN6thrust23THRUST_200600_302600_NS6detail15normal_iteratorINS8_10device_ptrIsEEEESD_SD_SD_jNS0_19identity_decomposerENS1_16block_id_wrapperIjLb1EEEEE10hipError_tT1_PNSt15iterator_traitsISI_E10value_typeET2_T3_PNSJ_ISO_E10value_typeET4_T5_PST_SU_PNS1_23onesweep_lookback_stateEbbT6_jjT7_P12ihipStream_tbENKUlT_T0_SI_SN_E_clISD_PsSD_S15_EEDaS11_S12_SI_SN_EUlS11_E_NS1_11comp_targetILNS1_3genE9ELNS1_11target_archE1100ELNS1_3gpuE3ELNS1_3repE0EEENS1_47radix_sort_onesweep_sort_config_static_selectorELNS0_4arch9wavefront6targetE1EEEvSI_,"axG",@progbits,_ZN7rocprim17ROCPRIM_400000_NS6detail17trampoline_kernelINS0_14default_configENS1_35radix_sort_onesweep_config_selectorIssEEZZNS1_29radix_sort_onesweep_iterationIS3_Lb0EN6thrust23THRUST_200600_302600_NS6detail15normal_iteratorINS8_10device_ptrIsEEEESD_SD_SD_jNS0_19identity_decomposerENS1_16block_id_wrapperIjLb1EEEEE10hipError_tT1_PNSt15iterator_traitsISI_E10value_typeET2_T3_PNSJ_ISO_E10value_typeET4_T5_PST_SU_PNS1_23onesweep_lookback_stateEbbT6_jjT7_P12ihipStream_tbENKUlT_T0_SI_SN_E_clISD_PsSD_S15_EEDaS11_S12_SI_SN_EUlS11_E_NS1_11comp_targetILNS1_3genE9ELNS1_11target_archE1100ELNS1_3gpuE3ELNS1_3repE0EEENS1_47radix_sort_onesweep_sort_config_static_selectorELNS0_4arch9wavefront6targetE1EEEvSI_,comdat
.Lfunc_end1658:
	.size	_ZN7rocprim17ROCPRIM_400000_NS6detail17trampoline_kernelINS0_14default_configENS1_35radix_sort_onesweep_config_selectorIssEEZZNS1_29radix_sort_onesweep_iterationIS3_Lb0EN6thrust23THRUST_200600_302600_NS6detail15normal_iteratorINS8_10device_ptrIsEEEESD_SD_SD_jNS0_19identity_decomposerENS1_16block_id_wrapperIjLb1EEEEE10hipError_tT1_PNSt15iterator_traitsISI_E10value_typeET2_T3_PNSJ_ISO_E10value_typeET4_T5_PST_SU_PNS1_23onesweep_lookback_stateEbbT6_jjT7_P12ihipStream_tbENKUlT_T0_SI_SN_E_clISD_PsSD_S15_EEDaS11_S12_SI_SN_EUlS11_E_NS1_11comp_targetILNS1_3genE9ELNS1_11target_archE1100ELNS1_3gpuE3ELNS1_3repE0EEENS1_47radix_sort_onesweep_sort_config_static_selectorELNS0_4arch9wavefront6targetE1EEEvSI_, .Lfunc_end1658-_ZN7rocprim17ROCPRIM_400000_NS6detail17trampoline_kernelINS0_14default_configENS1_35radix_sort_onesweep_config_selectorIssEEZZNS1_29radix_sort_onesweep_iterationIS3_Lb0EN6thrust23THRUST_200600_302600_NS6detail15normal_iteratorINS8_10device_ptrIsEEEESD_SD_SD_jNS0_19identity_decomposerENS1_16block_id_wrapperIjLb1EEEEE10hipError_tT1_PNSt15iterator_traitsISI_E10value_typeET2_T3_PNSJ_ISO_E10value_typeET4_T5_PST_SU_PNS1_23onesweep_lookback_stateEbbT6_jjT7_P12ihipStream_tbENKUlT_T0_SI_SN_E_clISD_PsSD_S15_EEDaS11_S12_SI_SN_EUlS11_E_NS1_11comp_targetILNS1_3genE9ELNS1_11target_archE1100ELNS1_3gpuE3ELNS1_3repE0EEENS1_47radix_sort_onesweep_sort_config_static_selectorELNS0_4arch9wavefront6targetE1EEEvSI_
                                        ; -- End function
	.set _ZN7rocprim17ROCPRIM_400000_NS6detail17trampoline_kernelINS0_14default_configENS1_35radix_sort_onesweep_config_selectorIssEEZZNS1_29radix_sort_onesweep_iterationIS3_Lb0EN6thrust23THRUST_200600_302600_NS6detail15normal_iteratorINS8_10device_ptrIsEEEESD_SD_SD_jNS0_19identity_decomposerENS1_16block_id_wrapperIjLb1EEEEE10hipError_tT1_PNSt15iterator_traitsISI_E10value_typeET2_T3_PNSJ_ISO_E10value_typeET4_T5_PST_SU_PNS1_23onesweep_lookback_stateEbbT6_jjT7_P12ihipStream_tbENKUlT_T0_SI_SN_E_clISD_PsSD_S15_EEDaS11_S12_SI_SN_EUlS11_E_NS1_11comp_targetILNS1_3genE9ELNS1_11target_archE1100ELNS1_3gpuE3ELNS1_3repE0EEENS1_47radix_sort_onesweep_sort_config_static_selectorELNS0_4arch9wavefront6targetE1EEEvSI_.num_vgpr, 0
	.set _ZN7rocprim17ROCPRIM_400000_NS6detail17trampoline_kernelINS0_14default_configENS1_35radix_sort_onesweep_config_selectorIssEEZZNS1_29radix_sort_onesweep_iterationIS3_Lb0EN6thrust23THRUST_200600_302600_NS6detail15normal_iteratorINS8_10device_ptrIsEEEESD_SD_SD_jNS0_19identity_decomposerENS1_16block_id_wrapperIjLb1EEEEE10hipError_tT1_PNSt15iterator_traitsISI_E10value_typeET2_T3_PNSJ_ISO_E10value_typeET4_T5_PST_SU_PNS1_23onesweep_lookback_stateEbbT6_jjT7_P12ihipStream_tbENKUlT_T0_SI_SN_E_clISD_PsSD_S15_EEDaS11_S12_SI_SN_EUlS11_E_NS1_11comp_targetILNS1_3genE9ELNS1_11target_archE1100ELNS1_3gpuE3ELNS1_3repE0EEENS1_47radix_sort_onesweep_sort_config_static_selectorELNS0_4arch9wavefront6targetE1EEEvSI_.num_agpr, 0
	.set _ZN7rocprim17ROCPRIM_400000_NS6detail17trampoline_kernelINS0_14default_configENS1_35radix_sort_onesweep_config_selectorIssEEZZNS1_29radix_sort_onesweep_iterationIS3_Lb0EN6thrust23THRUST_200600_302600_NS6detail15normal_iteratorINS8_10device_ptrIsEEEESD_SD_SD_jNS0_19identity_decomposerENS1_16block_id_wrapperIjLb1EEEEE10hipError_tT1_PNSt15iterator_traitsISI_E10value_typeET2_T3_PNSJ_ISO_E10value_typeET4_T5_PST_SU_PNS1_23onesweep_lookback_stateEbbT6_jjT7_P12ihipStream_tbENKUlT_T0_SI_SN_E_clISD_PsSD_S15_EEDaS11_S12_SI_SN_EUlS11_E_NS1_11comp_targetILNS1_3genE9ELNS1_11target_archE1100ELNS1_3gpuE3ELNS1_3repE0EEENS1_47radix_sort_onesweep_sort_config_static_selectorELNS0_4arch9wavefront6targetE1EEEvSI_.numbered_sgpr, 0
	.set _ZN7rocprim17ROCPRIM_400000_NS6detail17trampoline_kernelINS0_14default_configENS1_35radix_sort_onesweep_config_selectorIssEEZZNS1_29radix_sort_onesweep_iterationIS3_Lb0EN6thrust23THRUST_200600_302600_NS6detail15normal_iteratorINS8_10device_ptrIsEEEESD_SD_SD_jNS0_19identity_decomposerENS1_16block_id_wrapperIjLb1EEEEE10hipError_tT1_PNSt15iterator_traitsISI_E10value_typeET2_T3_PNSJ_ISO_E10value_typeET4_T5_PST_SU_PNS1_23onesweep_lookback_stateEbbT6_jjT7_P12ihipStream_tbENKUlT_T0_SI_SN_E_clISD_PsSD_S15_EEDaS11_S12_SI_SN_EUlS11_E_NS1_11comp_targetILNS1_3genE9ELNS1_11target_archE1100ELNS1_3gpuE3ELNS1_3repE0EEENS1_47radix_sort_onesweep_sort_config_static_selectorELNS0_4arch9wavefront6targetE1EEEvSI_.num_named_barrier, 0
	.set _ZN7rocprim17ROCPRIM_400000_NS6detail17trampoline_kernelINS0_14default_configENS1_35radix_sort_onesweep_config_selectorIssEEZZNS1_29radix_sort_onesweep_iterationIS3_Lb0EN6thrust23THRUST_200600_302600_NS6detail15normal_iteratorINS8_10device_ptrIsEEEESD_SD_SD_jNS0_19identity_decomposerENS1_16block_id_wrapperIjLb1EEEEE10hipError_tT1_PNSt15iterator_traitsISI_E10value_typeET2_T3_PNSJ_ISO_E10value_typeET4_T5_PST_SU_PNS1_23onesweep_lookback_stateEbbT6_jjT7_P12ihipStream_tbENKUlT_T0_SI_SN_E_clISD_PsSD_S15_EEDaS11_S12_SI_SN_EUlS11_E_NS1_11comp_targetILNS1_3genE9ELNS1_11target_archE1100ELNS1_3gpuE3ELNS1_3repE0EEENS1_47radix_sort_onesweep_sort_config_static_selectorELNS0_4arch9wavefront6targetE1EEEvSI_.private_seg_size, 0
	.set _ZN7rocprim17ROCPRIM_400000_NS6detail17trampoline_kernelINS0_14default_configENS1_35radix_sort_onesweep_config_selectorIssEEZZNS1_29radix_sort_onesweep_iterationIS3_Lb0EN6thrust23THRUST_200600_302600_NS6detail15normal_iteratorINS8_10device_ptrIsEEEESD_SD_SD_jNS0_19identity_decomposerENS1_16block_id_wrapperIjLb1EEEEE10hipError_tT1_PNSt15iterator_traitsISI_E10value_typeET2_T3_PNSJ_ISO_E10value_typeET4_T5_PST_SU_PNS1_23onesweep_lookback_stateEbbT6_jjT7_P12ihipStream_tbENKUlT_T0_SI_SN_E_clISD_PsSD_S15_EEDaS11_S12_SI_SN_EUlS11_E_NS1_11comp_targetILNS1_3genE9ELNS1_11target_archE1100ELNS1_3gpuE3ELNS1_3repE0EEENS1_47radix_sort_onesweep_sort_config_static_selectorELNS0_4arch9wavefront6targetE1EEEvSI_.uses_vcc, 0
	.set _ZN7rocprim17ROCPRIM_400000_NS6detail17trampoline_kernelINS0_14default_configENS1_35radix_sort_onesweep_config_selectorIssEEZZNS1_29radix_sort_onesweep_iterationIS3_Lb0EN6thrust23THRUST_200600_302600_NS6detail15normal_iteratorINS8_10device_ptrIsEEEESD_SD_SD_jNS0_19identity_decomposerENS1_16block_id_wrapperIjLb1EEEEE10hipError_tT1_PNSt15iterator_traitsISI_E10value_typeET2_T3_PNSJ_ISO_E10value_typeET4_T5_PST_SU_PNS1_23onesweep_lookback_stateEbbT6_jjT7_P12ihipStream_tbENKUlT_T0_SI_SN_E_clISD_PsSD_S15_EEDaS11_S12_SI_SN_EUlS11_E_NS1_11comp_targetILNS1_3genE9ELNS1_11target_archE1100ELNS1_3gpuE3ELNS1_3repE0EEENS1_47radix_sort_onesweep_sort_config_static_selectorELNS0_4arch9wavefront6targetE1EEEvSI_.uses_flat_scratch, 0
	.set _ZN7rocprim17ROCPRIM_400000_NS6detail17trampoline_kernelINS0_14default_configENS1_35radix_sort_onesweep_config_selectorIssEEZZNS1_29radix_sort_onesweep_iterationIS3_Lb0EN6thrust23THRUST_200600_302600_NS6detail15normal_iteratorINS8_10device_ptrIsEEEESD_SD_SD_jNS0_19identity_decomposerENS1_16block_id_wrapperIjLb1EEEEE10hipError_tT1_PNSt15iterator_traitsISI_E10value_typeET2_T3_PNSJ_ISO_E10value_typeET4_T5_PST_SU_PNS1_23onesweep_lookback_stateEbbT6_jjT7_P12ihipStream_tbENKUlT_T0_SI_SN_E_clISD_PsSD_S15_EEDaS11_S12_SI_SN_EUlS11_E_NS1_11comp_targetILNS1_3genE9ELNS1_11target_archE1100ELNS1_3gpuE3ELNS1_3repE0EEENS1_47radix_sort_onesweep_sort_config_static_selectorELNS0_4arch9wavefront6targetE1EEEvSI_.has_dyn_sized_stack, 0
	.set _ZN7rocprim17ROCPRIM_400000_NS6detail17trampoline_kernelINS0_14default_configENS1_35radix_sort_onesweep_config_selectorIssEEZZNS1_29radix_sort_onesweep_iterationIS3_Lb0EN6thrust23THRUST_200600_302600_NS6detail15normal_iteratorINS8_10device_ptrIsEEEESD_SD_SD_jNS0_19identity_decomposerENS1_16block_id_wrapperIjLb1EEEEE10hipError_tT1_PNSt15iterator_traitsISI_E10value_typeET2_T3_PNSJ_ISO_E10value_typeET4_T5_PST_SU_PNS1_23onesweep_lookback_stateEbbT6_jjT7_P12ihipStream_tbENKUlT_T0_SI_SN_E_clISD_PsSD_S15_EEDaS11_S12_SI_SN_EUlS11_E_NS1_11comp_targetILNS1_3genE9ELNS1_11target_archE1100ELNS1_3gpuE3ELNS1_3repE0EEENS1_47radix_sort_onesweep_sort_config_static_selectorELNS0_4arch9wavefront6targetE1EEEvSI_.has_recursion, 0
	.set _ZN7rocprim17ROCPRIM_400000_NS6detail17trampoline_kernelINS0_14default_configENS1_35radix_sort_onesweep_config_selectorIssEEZZNS1_29radix_sort_onesweep_iterationIS3_Lb0EN6thrust23THRUST_200600_302600_NS6detail15normal_iteratorINS8_10device_ptrIsEEEESD_SD_SD_jNS0_19identity_decomposerENS1_16block_id_wrapperIjLb1EEEEE10hipError_tT1_PNSt15iterator_traitsISI_E10value_typeET2_T3_PNSJ_ISO_E10value_typeET4_T5_PST_SU_PNS1_23onesweep_lookback_stateEbbT6_jjT7_P12ihipStream_tbENKUlT_T0_SI_SN_E_clISD_PsSD_S15_EEDaS11_S12_SI_SN_EUlS11_E_NS1_11comp_targetILNS1_3genE9ELNS1_11target_archE1100ELNS1_3gpuE3ELNS1_3repE0EEENS1_47radix_sort_onesweep_sort_config_static_selectorELNS0_4arch9wavefront6targetE1EEEvSI_.has_indirect_call, 0
	.section	.AMDGPU.csdata,"",@progbits
; Kernel info:
; codeLenInByte = 0
; TotalNumSgprs: 6
; NumVgprs: 0
; NumAgprs: 0
; TotalNumVgprs: 0
; ScratchSize: 0
; MemoryBound: 0
; FloatMode: 240
; IeeeMode: 1
; LDSByteSize: 0 bytes/workgroup (compile time only)
; SGPRBlocks: 0
; VGPRBlocks: 0
; NumSGPRsForWavesPerEU: 6
; NumVGPRsForWavesPerEU: 1
; AccumOffset: 4
; Occupancy: 8
; WaveLimiterHint : 0
; COMPUTE_PGM_RSRC2:SCRATCH_EN: 0
; COMPUTE_PGM_RSRC2:USER_SGPR: 2
; COMPUTE_PGM_RSRC2:TRAP_HANDLER: 0
; COMPUTE_PGM_RSRC2:TGID_X_EN: 1
; COMPUTE_PGM_RSRC2:TGID_Y_EN: 0
; COMPUTE_PGM_RSRC2:TGID_Z_EN: 0
; COMPUTE_PGM_RSRC2:TIDIG_COMP_CNT: 0
; COMPUTE_PGM_RSRC3_GFX90A:ACCUM_OFFSET: 0
; COMPUTE_PGM_RSRC3_GFX90A:TG_SPLIT: 0
	.section	.text._ZN7rocprim17ROCPRIM_400000_NS6detail17trampoline_kernelINS0_14default_configENS1_35radix_sort_onesweep_config_selectorIssEEZZNS1_29radix_sort_onesweep_iterationIS3_Lb0EN6thrust23THRUST_200600_302600_NS6detail15normal_iteratorINS8_10device_ptrIsEEEESD_SD_SD_jNS0_19identity_decomposerENS1_16block_id_wrapperIjLb1EEEEE10hipError_tT1_PNSt15iterator_traitsISI_E10value_typeET2_T3_PNSJ_ISO_E10value_typeET4_T5_PST_SU_PNS1_23onesweep_lookback_stateEbbT6_jjT7_P12ihipStream_tbENKUlT_T0_SI_SN_E_clISD_PsSD_S15_EEDaS11_S12_SI_SN_EUlS11_E_NS1_11comp_targetILNS1_3genE8ELNS1_11target_archE1030ELNS1_3gpuE2ELNS1_3repE0EEENS1_47radix_sort_onesweep_sort_config_static_selectorELNS0_4arch9wavefront6targetE1EEEvSI_,"axG",@progbits,_ZN7rocprim17ROCPRIM_400000_NS6detail17trampoline_kernelINS0_14default_configENS1_35radix_sort_onesweep_config_selectorIssEEZZNS1_29radix_sort_onesweep_iterationIS3_Lb0EN6thrust23THRUST_200600_302600_NS6detail15normal_iteratorINS8_10device_ptrIsEEEESD_SD_SD_jNS0_19identity_decomposerENS1_16block_id_wrapperIjLb1EEEEE10hipError_tT1_PNSt15iterator_traitsISI_E10value_typeET2_T3_PNSJ_ISO_E10value_typeET4_T5_PST_SU_PNS1_23onesweep_lookback_stateEbbT6_jjT7_P12ihipStream_tbENKUlT_T0_SI_SN_E_clISD_PsSD_S15_EEDaS11_S12_SI_SN_EUlS11_E_NS1_11comp_targetILNS1_3genE8ELNS1_11target_archE1030ELNS1_3gpuE2ELNS1_3repE0EEENS1_47radix_sort_onesweep_sort_config_static_selectorELNS0_4arch9wavefront6targetE1EEEvSI_,comdat
	.protected	_ZN7rocprim17ROCPRIM_400000_NS6detail17trampoline_kernelINS0_14default_configENS1_35radix_sort_onesweep_config_selectorIssEEZZNS1_29radix_sort_onesweep_iterationIS3_Lb0EN6thrust23THRUST_200600_302600_NS6detail15normal_iteratorINS8_10device_ptrIsEEEESD_SD_SD_jNS0_19identity_decomposerENS1_16block_id_wrapperIjLb1EEEEE10hipError_tT1_PNSt15iterator_traitsISI_E10value_typeET2_T3_PNSJ_ISO_E10value_typeET4_T5_PST_SU_PNS1_23onesweep_lookback_stateEbbT6_jjT7_P12ihipStream_tbENKUlT_T0_SI_SN_E_clISD_PsSD_S15_EEDaS11_S12_SI_SN_EUlS11_E_NS1_11comp_targetILNS1_3genE8ELNS1_11target_archE1030ELNS1_3gpuE2ELNS1_3repE0EEENS1_47radix_sort_onesweep_sort_config_static_selectorELNS0_4arch9wavefront6targetE1EEEvSI_ ; -- Begin function _ZN7rocprim17ROCPRIM_400000_NS6detail17trampoline_kernelINS0_14default_configENS1_35radix_sort_onesweep_config_selectorIssEEZZNS1_29radix_sort_onesweep_iterationIS3_Lb0EN6thrust23THRUST_200600_302600_NS6detail15normal_iteratorINS8_10device_ptrIsEEEESD_SD_SD_jNS0_19identity_decomposerENS1_16block_id_wrapperIjLb1EEEEE10hipError_tT1_PNSt15iterator_traitsISI_E10value_typeET2_T3_PNSJ_ISO_E10value_typeET4_T5_PST_SU_PNS1_23onesweep_lookback_stateEbbT6_jjT7_P12ihipStream_tbENKUlT_T0_SI_SN_E_clISD_PsSD_S15_EEDaS11_S12_SI_SN_EUlS11_E_NS1_11comp_targetILNS1_3genE8ELNS1_11target_archE1030ELNS1_3gpuE2ELNS1_3repE0EEENS1_47radix_sort_onesweep_sort_config_static_selectorELNS0_4arch9wavefront6targetE1EEEvSI_
	.globl	_ZN7rocprim17ROCPRIM_400000_NS6detail17trampoline_kernelINS0_14default_configENS1_35radix_sort_onesweep_config_selectorIssEEZZNS1_29radix_sort_onesweep_iterationIS3_Lb0EN6thrust23THRUST_200600_302600_NS6detail15normal_iteratorINS8_10device_ptrIsEEEESD_SD_SD_jNS0_19identity_decomposerENS1_16block_id_wrapperIjLb1EEEEE10hipError_tT1_PNSt15iterator_traitsISI_E10value_typeET2_T3_PNSJ_ISO_E10value_typeET4_T5_PST_SU_PNS1_23onesweep_lookback_stateEbbT6_jjT7_P12ihipStream_tbENKUlT_T0_SI_SN_E_clISD_PsSD_S15_EEDaS11_S12_SI_SN_EUlS11_E_NS1_11comp_targetILNS1_3genE8ELNS1_11target_archE1030ELNS1_3gpuE2ELNS1_3repE0EEENS1_47radix_sort_onesweep_sort_config_static_selectorELNS0_4arch9wavefront6targetE1EEEvSI_
	.p2align	8
	.type	_ZN7rocprim17ROCPRIM_400000_NS6detail17trampoline_kernelINS0_14default_configENS1_35radix_sort_onesweep_config_selectorIssEEZZNS1_29radix_sort_onesweep_iterationIS3_Lb0EN6thrust23THRUST_200600_302600_NS6detail15normal_iteratorINS8_10device_ptrIsEEEESD_SD_SD_jNS0_19identity_decomposerENS1_16block_id_wrapperIjLb1EEEEE10hipError_tT1_PNSt15iterator_traitsISI_E10value_typeET2_T3_PNSJ_ISO_E10value_typeET4_T5_PST_SU_PNS1_23onesweep_lookback_stateEbbT6_jjT7_P12ihipStream_tbENKUlT_T0_SI_SN_E_clISD_PsSD_S15_EEDaS11_S12_SI_SN_EUlS11_E_NS1_11comp_targetILNS1_3genE8ELNS1_11target_archE1030ELNS1_3gpuE2ELNS1_3repE0EEENS1_47radix_sort_onesweep_sort_config_static_selectorELNS0_4arch9wavefront6targetE1EEEvSI_,@function
_ZN7rocprim17ROCPRIM_400000_NS6detail17trampoline_kernelINS0_14default_configENS1_35radix_sort_onesweep_config_selectorIssEEZZNS1_29radix_sort_onesweep_iterationIS3_Lb0EN6thrust23THRUST_200600_302600_NS6detail15normal_iteratorINS8_10device_ptrIsEEEESD_SD_SD_jNS0_19identity_decomposerENS1_16block_id_wrapperIjLb1EEEEE10hipError_tT1_PNSt15iterator_traitsISI_E10value_typeET2_T3_PNSJ_ISO_E10value_typeET4_T5_PST_SU_PNS1_23onesweep_lookback_stateEbbT6_jjT7_P12ihipStream_tbENKUlT_T0_SI_SN_E_clISD_PsSD_S15_EEDaS11_S12_SI_SN_EUlS11_E_NS1_11comp_targetILNS1_3genE8ELNS1_11target_archE1030ELNS1_3gpuE2ELNS1_3repE0EEENS1_47radix_sort_onesweep_sort_config_static_selectorELNS0_4arch9wavefront6targetE1EEEvSI_: ; @_ZN7rocprim17ROCPRIM_400000_NS6detail17trampoline_kernelINS0_14default_configENS1_35radix_sort_onesweep_config_selectorIssEEZZNS1_29radix_sort_onesweep_iterationIS3_Lb0EN6thrust23THRUST_200600_302600_NS6detail15normal_iteratorINS8_10device_ptrIsEEEESD_SD_SD_jNS0_19identity_decomposerENS1_16block_id_wrapperIjLb1EEEEE10hipError_tT1_PNSt15iterator_traitsISI_E10value_typeET2_T3_PNSJ_ISO_E10value_typeET4_T5_PST_SU_PNS1_23onesweep_lookback_stateEbbT6_jjT7_P12ihipStream_tbENKUlT_T0_SI_SN_E_clISD_PsSD_S15_EEDaS11_S12_SI_SN_EUlS11_E_NS1_11comp_targetILNS1_3genE8ELNS1_11target_archE1030ELNS1_3gpuE2ELNS1_3repE0EEENS1_47radix_sort_onesweep_sort_config_static_selectorELNS0_4arch9wavefront6targetE1EEEvSI_
; %bb.0:
	.section	.rodata,"a",@progbits
	.p2align	6, 0x0
	.amdhsa_kernel _ZN7rocprim17ROCPRIM_400000_NS6detail17trampoline_kernelINS0_14default_configENS1_35radix_sort_onesweep_config_selectorIssEEZZNS1_29radix_sort_onesweep_iterationIS3_Lb0EN6thrust23THRUST_200600_302600_NS6detail15normal_iteratorINS8_10device_ptrIsEEEESD_SD_SD_jNS0_19identity_decomposerENS1_16block_id_wrapperIjLb1EEEEE10hipError_tT1_PNSt15iterator_traitsISI_E10value_typeET2_T3_PNSJ_ISO_E10value_typeET4_T5_PST_SU_PNS1_23onesweep_lookback_stateEbbT6_jjT7_P12ihipStream_tbENKUlT_T0_SI_SN_E_clISD_PsSD_S15_EEDaS11_S12_SI_SN_EUlS11_E_NS1_11comp_targetILNS1_3genE8ELNS1_11target_archE1030ELNS1_3gpuE2ELNS1_3repE0EEENS1_47radix_sort_onesweep_sort_config_static_selectorELNS0_4arch9wavefront6targetE1EEEvSI_
		.amdhsa_group_segment_fixed_size 0
		.amdhsa_private_segment_fixed_size 0
		.amdhsa_kernarg_size 88
		.amdhsa_user_sgpr_count 2
		.amdhsa_user_sgpr_dispatch_ptr 0
		.amdhsa_user_sgpr_queue_ptr 0
		.amdhsa_user_sgpr_kernarg_segment_ptr 1
		.amdhsa_user_sgpr_dispatch_id 0
		.amdhsa_user_sgpr_kernarg_preload_length 0
		.amdhsa_user_sgpr_kernarg_preload_offset 0
		.amdhsa_user_sgpr_private_segment_size 0
		.amdhsa_uses_dynamic_stack 0
		.amdhsa_enable_private_segment 0
		.amdhsa_system_sgpr_workgroup_id_x 1
		.amdhsa_system_sgpr_workgroup_id_y 0
		.amdhsa_system_sgpr_workgroup_id_z 0
		.amdhsa_system_sgpr_workgroup_info 0
		.amdhsa_system_vgpr_workitem_id 0
		.amdhsa_next_free_vgpr 1
		.amdhsa_next_free_sgpr 0
		.amdhsa_accum_offset 4
		.amdhsa_reserve_vcc 0
		.amdhsa_float_round_mode_32 0
		.amdhsa_float_round_mode_16_64 0
		.amdhsa_float_denorm_mode_32 3
		.amdhsa_float_denorm_mode_16_64 3
		.amdhsa_dx10_clamp 1
		.amdhsa_ieee_mode 1
		.amdhsa_fp16_overflow 0
		.amdhsa_tg_split 0
		.amdhsa_exception_fp_ieee_invalid_op 0
		.amdhsa_exception_fp_denorm_src 0
		.amdhsa_exception_fp_ieee_div_zero 0
		.amdhsa_exception_fp_ieee_overflow 0
		.amdhsa_exception_fp_ieee_underflow 0
		.amdhsa_exception_fp_ieee_inexact 0
		.amdhsa_exception_int_div_zero 0
	.end_amdhsa_kernel
	.section	.text._ZN7rocprim17ROCPRIM_400000_NS6detail17trampoline_kernelINS0_14default_configENS1_35radix_sort_onesweep_config_selectorIssEEZZNS1_29radix_sort_onesweep_iterationIS3_Lb0EN6thrust23THRUST_200600_302600_NS6detail15normal_iteratorINS8_10device_ptrIsEEEESD_SD_SD_jNS0_19identity_decomposerENS1_16block_id_wrapperIjLb1EEEEE10hipError_tT1_PNSt15iterator_traitsISI_E10value_typeET2_T3_PNSJ_ISO_E10value_typeET4_T5_PST_SU_PNS1_23onesweep_lookback_stateEbbT6_jjT7_P12ihipStream_tbENKUlT_T0_SI_SN_E_clISD_PsSD_S15_EEDaS11_S12_SI_SN_EUlS11_E_NS1_11comp_targetILNS1_3genE8ELNS1_11target_archE1030ELNS1_3gpuE2ELNS1_3repE0EEENS1_47radix_sort_onesweep_sort_config_static_selectorELNS0_4arch9wavefront6targetE1EEEvSI_,"axG",@progbits,_ZN7rocprim17ROCPRIM_400000_NS6detail17trampoline_kernelINS0_14default_configENS1_35radix_sort_onesweep_config_selectorIssEEZZNS1_29radix_sort_onesweep_iterationIS3_Lb0EN6thrust23THRUST_200600_302600_NS6detail15normal_iteratorINS8_10device_ptrIsEEEESD_SD_SD_jNS0_19identity_decomposerENS1_16block_id_wrapperIjLb1EEEEE10hipError_tT1_PNSt15iterator_traitsISI_E10value_typeET2_T3_PNSJ_ISO_E10value_typeET4_T5_PST_SU_PNS1_23onesweep_lookback_stateEbbT6_jjT7_P12ihipStream_tbENKUlT_T0_SI_SN_E_clISD_PsSD_S15_EEDaS11_S12_SI_SN_EUlS11_E_NS1_11comp_targetILNS1_3genE8ELNS1_11target_archE1030ELNS1_3gpuE2ELNS1_3repE0EEENS1_47radix_sort_onesweep_sort_config_static_selectorELNS0_4arch9wavefront6targetE1EEEvSI_,comdat
.Lfunc_end1659:
	.size	_ZN7rocprim17ROCPRIM_400000_NS6detail17trampoline_kernelINS0_14default_configENS1_35radix_sort_onesweep_config_selectorIssEEZZNS1_29radix_sort_onesweep_iterationIS3_Lb0EN6thrust23THRUST_200600_302600_NS6detail15normal_iteratorINS8_10device_ptrIsEEEESD_SD_SD_jNS0_19identity_decomposerENS1_16block_id_wrapperIjLb1EEEEE10hipError_tT1_PNSt15iterator_traitsISI_E10value_typeET2_T3_PNSJ_ISO_E10value_typeET4_T5_PST_SU_PNS1_23onesweep_lookback_stateEbbT6_jjT7_P12ihipStream_tbENKUlT_T0_SI_SN_E_clISD_PsSD_S15_EEDaS11_S12_SI_SN_EUlS11_E_NS1_11comp_targetILNS1_3genE8ELNS1_11target_archE1030ELNS1_3gpuE2ELNS1_3repE0EEENS1_47radix_sort_onesweep_sort_config_static_selectorELNS0_4arch9wavefront6targetE1EEEvSI_, .Lfunc_end1659-_ZN7rocprim17ROCPRIM_400000_NS6detail17trampoline_kernelINS0_14default_configENS1_35radix_sort_onesweep_config_selectorIssEEZZNS1_29radix_sort_onesweep_iterationIS3_Lb0EN6thrust23THRUST_200600_302600_NS6detail15normal_iteratorINS8_10device_ptrIsEEEESD_SD_SD_jNS0_19identity_decomposerENS1_16block_id_wrapperIjLb1EEEEE10hipError_tT1_PNSt15iterator_traitsISI_E10value_typeET2_T3_PNSJ_ISO_E10value_typeET4_T5_PST_SU_PNS1_23onesweep_lookback_stateEbbT6_jjT7_P12ihipStream_tbENKUlT_T0_SI_SN_E_clISD_PsSD_S15_EEDaS11_S12_SI_SN_EUlS11_E_NS1_11comp_targetILNS1_3genE8ELNS1_11target_archE1030ELNS1_3gpuE2ELNS1_3repE0EEENS1_47radix_sort_onesweep_sort_config_static_selectorELNS0_4arch9wavefront6targetE1EEEvSI_
                                        ; -- End function
	.set _ZN7rocprim17ROCPRIM_400000_NS6detail17trampoline_kernelINS0_14default_configENS1_35radix_sort_onesweep_config_selectorIssEEZZNS1_29radix_sort_onesweep_iterationIS3_Lb0EN6thrust23THRUST_200600_302600_NS6detail15normal_iteratorINS8_10device_ptrIsEEEESD_SD_SD_jNS0_19identity_decomposerENS1_16block_id_wrapperIjLb1EEEEE10hipError_tT1_PNSt15iterator_traitsISI_E10value_typeET2_T3_PNSJ_ISO_E10value_typeET4_T5_PST_SU_PNS1_23onesweep_lookback_stateEbbT6_jjT7_P12ihipStream_tbENKUlT_T0_SI_SN_E_clISD_PsSD_S15_EEDaS11_S12_SI_SN_EUlS11_E_NS1_11comp_targetILNS1_3genE8ELNS1_11target_archE1030ELNS1_3gpuE2ELNS1_3repE0EEENS1_47radix_sort_onesweep_sort_config_static_selectorELNS0_4arch9wavefront6targetE1EEEvSI_.num_vgpr, 0
	.set _ZN7rocprim17ROCPRIM_400000_NS6detail17trampoline_kernelINS0_14default_configENS1_35radix_sort_onesweep_config_selectorIssEEZZNS1_29radix_sort_onesweep_iterationIS3_Lb0EN6thrust23THRUST_200600_302600_NS6detail15normal_iteratorINS8_10device_ptrIsEEEESD_SD_SD_jNS0_19identity_decomposerENS1_16block_id_wrapperIjLb1EEEEE10hipError_tT1_PNSt15iterator_traitsISI_E10value_typeET2_T3_PNSJ_ISO_E10value_typeET4_T5_PST_SU_PNS1_23onesweep_lookback_stateEbbT6_jjT7_P12ihipStream_tbENKUlT_T0_SI_SN_E_clISD_PsSD_S15_EEDaS11_S12_SI_SN_EUlS11_E_NS1_11comp_targetILNS1_3genE8ELNS1_11target_archE1030ELNS1_3gpuE2ELNS1_3repE0EEENS1_47radix_sort_onesweep_sort_config_static_selectorELNS0_4arch9wavefront6targetE1EEEvSI_.num_agpr, 0
	.set _ZN7rocprim17ROCPRIM_400000_NS6detail17trampoline_kernelINS0_14default_configENS1_35radix_sort_onesweep_config_selectorIssEEZZNS1_29radix_sort_onesweep_iterationIS3_Lb0EN6thrust23THRUST_200600_302600_NS6detail15normal_iteratorINS8_10device_ptrIsEEEESD_SD_SD_jNS0_19identity_decomposerENS1_16block_id_wrapperIjLb1EEEEE10hipError_tT1_PNSt15iterator_traitsISI_E10value_typeET2_T3_PNSJ_ISO_E10value_typeET4_T5_PST_SU_PNS1_23onesweep_lookback_stateEbbT6_jjT7_P12ihipStream_tbENKUlT_T0_SI_SN_E_clISD_PsSD_S15_EEDaS11_S12_SI_SN_EUlS11_E_NS1_11comp_targetILNS1_3genE8ELNS1_11target_archE1030ELNS1_3gpuE2ELNS1_3repE0EEENS1_47radix_sort_onesweep_sort_config_static_selectorELNS0_4arch9wavefront6targetE1EEEvSI_.numbered_sgpr, 0
	.set _ZN7rocprim17ROCPRIM_400000_NS6detail17trampoline_kernelINS0_14default_configENS1_35radix_sort_onesweep_config_selectorIssEEZZNS1_29radix_sort_onesweep_iterationIS3_Lb0EN6thrust23THRUST_200600_302600_NS6detail15normal_iteratorINS8_10device_ptrIsEEEESD_SD_SD_jNS0_19identity_decomposerENS1_16block_id_wrapperIjLb1EEEEE10hipError_tT1_PNSt15iterator_traitsISI_E10value_typeET2_T3_PNSJ_ISO_E10value_typeET4_T5_PST_SU_PNS1_23onesweep_lookback_stateEbbT6_jjT7_P12ihipStream_tbENKUlT_T0_SI_SN_E_clISD_PsSD_S15_EEDaS11_S12_SI_SN_EUlS11_E_NS1_11comp_targetILNS1_3genE8ELNS1_11target_archE1030ELNS1_3gpuE2ELNS1_3repE0EEENS1_47radix_sort_onesweep_sort_config_static_selectorELNS0_4arch9wavefront6targetE1EEEvSI_.num_named_barrier, 0
	.set _ZN7rocprim17ROCPRIM_400000_NS6detail17trampoline_kernelINS0_14default_configENS1_35radix_sort_onesweep_config_selectorIssEEZZNS1_29radix_sort_onesweep_iterationIS3_Lb0EN6thrust23THRUST_200600_302600_NS6detail15normal_iteratorINS8_10device_ptrIsEEEESD_SD_SD_jNS0_19identity_decomposerENS1_16block_id_wrapperIjLb1EEEEE10hipError_tT1_PNSt15iterator_traitsISI_E10value_typeET2_T3_PNSJ_ISO_E10value_typeET4_T5_PST_SU_PNS1_23onesweep_lookback_stateEbbT6_jjT7_P12ihipStream_tbENKUlT_T0_SI_SN_E_clISD_PsSD_S15_EEDaS11_S12_SI_SN_EUlS11_E_NS1_11comp_targetILNS1_3genE8ELNS1_11target_archE1030ELNS1_3gpuE2ELNS1_3repE0EEENS1_47radix_sort_onesweep_sort_config_static_selectorELNS0_4arch9wavefront6targetE1EEEvSI_.private_seg_size, 0
	.set _ZN7rocprim17ROCPRIM_400000_NS6detail17trampoline_kernelINS0_14default_configENS1_35radix_sort_onesweep_config_selectorIssEEZZNS1_29radix_sort_onesweep_iterationIS3_Lb0EN6thrust23THRUST_200600_302600_NS6detail15normal_iteratorINS8_10device_ptrIsEEEESD_SD_SD_jNS0_19identity_decomposerENS1_16block_id_wrapperIjLb1EEEEE10hipError_tT1_PNSt15iterator_traitsISI_E10value_typeET2_T3_PNSJ_ISO_E10value_typeET4_T5_PST_SU_PNS1_23onesweep_lookback_stateEbbT6_jjT7_P12ihipStream_tbENKUlT_T0_SI_SN_E_clISD_PsSD_S15_EEDaS11_S12_SI_SN_EUlS11_E_NS1_11comp_targetILNS1_3genE8ELNS1_11target_archE1030ELNS1_3gpuE2ELNS1_3repE0EEENS1_47radix_sort_onesweep_sort_config_static_selectorELNS0_4arch9wavefront6targetE1EEEvSI_.uses_vcc, 0
	.set _ZN7rocprim17ROCPRIM_400000_NS6detail17trampoline_kernelINS0_14default_configENS1_35radix_sort_onesweep_config_selectorIssEEZZNS1_29radix_sort_onesweep_iterationIS3_Lb0EN6thrust23THRUST_200600_302600_NS6detail15normal_iteratorINS8_10device_ptrIsEEEESD_SD_SD_jNS0_19identity_decomposerENS1_16block_id_wrapperIjLb1EEEEE10hipError_tT1_PNSt15iterator_traitsISI_E10value_typeET2_T3_PNSJ_ISO_E10value_typeET4_T5_PST_SU_PNS1_23onesweep_lookback_stateEbbT6_jjT7_P12ihipStream_tbENKUlT_T0_SI_SN_E_clISD_PsSD_S15_EEDaS11_S12_SI_SN_EUlS11_E_NS1_11comp_targetILNS1_3genE8ELNS1_11target_archE1030ELNS1_3gpuE2ELNS1_3repE0EEENS1_47radix_sort_onesweep_sort_config_static_selectorELNS0_4arch9wavefront6targetE1EEEvSI_.uses_flat_scratch, 0
	.set _ZN7rocprim17ROCPRIM_400000_NS6detail17trampoline_kernelINS0_14default_configENS1_35radix_sort_onesweep_config_selectorIssEEZZNS1_29radix_sort_onesweep_iterationIS3_Lb0EN6thrust23THRUST_200600_302600_NS6detail15normal_iteratorINS8_10device_ptrIsEEEESD_SD_SD_jNS0_19identity_decomposerENS1_16block_id_wrapperIjLb1EEEEE10hipError_tT1_PNSt15iterator_traitsISI_E10value_typeET2_T3_PNSJ_ISO_E10value_typeET4_T5_PST_SU_PNS1_23onesweep_lookback_stateEbbT6_jjT7_P12ihipStream_tbENKUlT_T0_SI_SN_E_clISD_PsSD_S15_EEDaS11_S12_SI_SN_EUlS11_E_NS1_11comp_targetILNS1_3genE8ELNS1_11target_archE1030ELNS1_3gpuE2ELNS1_3repE0EEENS1_47radix_sort_onesweep_sort_config_static_selectorELNS0_4arch9wavefront6targetE1EEEvSI_.has_dyn_sized_stack, 0
	.set _ZN7rocprim17ROCPRIM_400000_NS6detail17trampoline_kernelINS0_14default_configENS1_35radix_sort_onesweep_config_selectorIssEEZZNS1_29radix_sort_onesweep_iterationIS3_Lb0EN6thrust23THRUST_200600_302600_NS6detail15normal_iteratorINS8_10device_ptrIsEEEESD_SD_SD_jNS0_19identity_decomposerENS1_16block_id_wrapperIjLb1EEEEE10hipError_tT1_PNSt15iterator_traitsISI_E10value_typeET2_T3_PNSJ_ISO_E10value_typeET4_T5_PST_SU_PNS1_23onesweep_lookback_stateEbbT6_jjT7_P12ihipStream_tbENKUlT_T0_SI_SN_E_clISD_PsSD_S15_EEDaS11_S12_SI_SN_EUlS11_E_NS1_11comp_targetILNS1_3genE8ELNS1_11target_archE1030ELNS1_3gpuE2ELNS1_3repE0EEENS1_47radix_sort_onesweep_sort_config_static_selectorELNS0_4arch9wavefront6targetE1EEEvSI_.has_recursion, 0
	.set _ZN7rocprim17ROCPRIM_400000_NS6detail17trampoline_kernelINS0_14default_configENS1_35radix_sort_onesweep_config_selectorIssEEZZNS1_29radix_sort_onesweep_iterationIS3_Lb0EN6thrust23THRUST_200600_302600_NS6detail15normal_iteratorINS8_10device_ptrIsEEEESD_SD_SD_jNS0_19identity_decomposerENS1_16block_id_wrapperIjLb1EEEEE10hipError_tT1_PNSt15iterator_traitsISI_E10value_typeET2_T3_PNSJ_ISO_E10value_typeET4_T5_PST_SU_PNS1_23onesweep_lookback_stateEbbT6_jjT7_P12ihipStream_tbENKUlT_T0_SI_SN_E_clISD_PsSD_S15_EEDaS11_S12_SI_SN_EUlS11_E_NS1_11comp_targetILNS1_3genE8ELNS1_11target_archE1030ELNS1_3gpuE2ELNS1_3repE0EEENS1_47radix_sort_onesweep_sort_config_static_selectorELNS0_4arch9wavefront6targetE1EEEvSI_.has_indirect_call, 0
	.section	.AMDGPU.csdata,"",@progbits
; Kernel info:
; codeLenInByte = 0
; TotalNumSgprs: 6
; NumVgprs: 0
; NumAgprs: 0
; TotalNumVgprs: 0
; ScratchSize: 0
; MemoryBound: 0
; FloatMode: 240
; IeeeMode: 1
; LDSByteSize: 0 bytes/workgroup (compile time only)
; SGPRBlocks: 0
; VGPRBlocks: 0
; NumSGPRsForWavesPerEU: 6
; NumVGPRsForWavesPerEU: 1
; AccumOffset: 4
; Occupancy: 8
; WaveLimiterHint : 0
; COMPUTE_PGM_RSRC2:SCRATCH_EN: 0
; COMPUTE_PGM_RSRC2:USER_SGPR: 2
; COMPUTE_PGM_RSRC2:TRAP_HANDLER: 0
; COMPUTE_PGM_RSRC2:TGID_X_EN: 1
; COMPUTE_PGM_RSRC2:TGID_Y_EN: 0
; COMPUTE_PGM_RSRC2:TGID_Z_EN: 0
; COMPUTE_PGM_RSRC2:TIDIG_COMP_CNT: 0
; COMPUTE_PGM_RSRC3_GFX90A:ACCUM_OFFSET: 0
; COMPUTE_PGM_RSRC3_GFX90A:TG_SPLIT: 0
	.section	.text._ZN7rocprim17ROCPRIM_400000_NS6detail17trampoline_kernelINS0_14default_configENS1_35radix_sort_onesweep_config_selectorIssEEZZNS1_29radix_sort_onesweep_iterationIS3_Lb0EN6thrust23THRUST_200600_302600_NS6detail15normal_iteratorINS8_10device_ptrIsEEEESD_SD_SD_jNS0_19identity_decomposerENS1_16block_id_wrapperIjLb1EEEEE10hipError_tT1_PNSt15iterator_traitsISI_E10value_typeET2_T3_PNSJ_ISO_E10value_typeET4_T5_PST_SU_PNS1_23onesweep_lookback_stateEbbT6_jjT7_P12ihipStream_tbENKUlT_T0_SI_SN_E_clIPsSD_S15_SD_EEDaS11_S12_SI_SN_EUlS11_E_NS1_11comp_targetILNS1_3genE0ELNS1_11target_archE4294967295ELNS1_3gpuE0ELNS1_3repE0EEENS1_47radix_sort_onesweep_sort_config_static_selectorELNS0_4arch9wavefront6targetE1EEEvSI_,"axG",@progbits,_ZN7rocprim17ROCPRIM_400000_NS6detail17trampoline_kernelINS0_14default_configENS1_35radix_sort_onesweep_config_selectorIssEEZZNS1_29radix_sort_onesweep_iterationIS3_Lb0EN6thrust23THRUST_200600_302600_NS6detail15normal_iteratorINS8_10device_ptrIsEEEESD_SD_SD_jNS0_19identity_decomposerENS1_16block_id_wrapperIjLb1EEEEE10hipError_tT1_PNSt15iterator_traitsISI_E10value_typeET2_T3_PNSJ_ISO_E10value_typeET4_T5_PST_SU_PNS1_23onesweep_lookback_stateEbbT6_jjT7_P12ihipStream_tbENKUlT_T0_SI_SN_E_clIPsSD_S15_SD_EEDaS11_S12_SI_SN_EUlS11_E_NS1_11comp_targetILNS1_3genE0ELNS1_11target_archE4294967295ELNS1_3gpuE0ELNS1_3repE0EEENS1_47radix_sort_onesweep_sort_config_static_selectorELNS0_4arch9wavefront6targetE1EEEvSI_,comdat
	.protected	_ZN7rocprim17ROCPRIM_400000_NS6detail17trampoline_kernelINS0_14default_configENS1_35radix_sort_onesweep_config_selectorIssEEZZNS1_29radix_sort_onesweep_iterationIS3_Lb0EN6thrust23THRUST_200600_302600_NS6detail15normal_iteratorINS8_10device_ptrIsEEEESD_SD_SD_jNS0_19identity_decomposerENS1_16block_id_wrapperIjLb1EEEEE10hipError_tT1_PNSt15iterator_traitsISI_E10value_typeET2_T3_PNSJ_ISO_E10value_typeET4_T5_PST_SU_PNS1_23onesweep_lookback_stateEbbT6_jjT7_P12ihipStream_tbENKUlT_T0_SI_SN_E_clIPsSD_S15_SD_EEDaS11_S12_SI_SN_EUlS11_E_NS1_11comp_targetILNS1_3genE0ELNS1_11target_archE4294967295ELNS1_3gpuE0ELNS1_3repE0EEENS1_47radix_sort_onesweep_sort_config_static_selectorELNS0_4arch9wavefront6targetE1EEEvSI_ ; -- Begin function _ZN7rocprim17ROCPRIM_400000_NS6detail17trampoline_kernelINS0_14default_configENS1_35radix_sort_onesweep_config_selectorIssEEZZNS1_29radix_sort_onesweep_iterationIS3_Lb0EN6thrust23THRUST_200600_302600_NS6detail15normal_iteratorINS8_10device_ptrIsEEEESD_SD_SD_jNS0_19identity_decomposerENS1_16block_id_wrapperIjLb1EEEEE10hipError_tT1_PNSt15iterator_traitsISI_E10value_typeET2_T3_PNSJ_ISO_E10value_typeET4_T5_PST_SU_PNS1_23onesweep_lookback_stateEbbT6_jjT7_P12ihipStream_tbENKUlT_T0_SI_SN_E_clIPsSD_S15_SD_EEDaS11_S12_SI_SN_EUlS11_E_NS1_11comp_targetILNS1_3genE0ELNS1_11target_archE4294967295ELNS1_3gpuE0ELNS1_3repE0EEENS1_47radix_sort_onesweep_sort_config_static_selectorELNS0_4arch9wavefront6targetE1EEEvSI_
	.globl	_ZN7rocprim17ROCPRIM_400000_NS6detail17trampoline_kernelINS0_14default_configENS1_35radix_sort_onesweep_config_selectorIssEEZZNS1_29radix_sort_onesweep_iterationIS3_Lb0EN6thrust23THRUST_200600_302600_NS6detail15normal_iteratorINS8_10device_ptrIsEEEESD_SD_SD_jNS0_19identity_decomposerENS1_16block_id_wrapperIjLb1EEEEE10hipError_tT1_PNSt15iterator_traitsISI_E10value_typeET2_T3_PNSJ_ISO_E10value_typeET4_T5_PST_SU_PNS1_23onesweep_lookback_stateEbbT6_jjT7_P12ihipStream_tbENKUlT_T0_SI_SN_E_clIPsSD_S15_SD_EEDaS11_S12_SI_SN_EUlS11_E_NS1_11comp_targetILNS1_3genE0ELNS1_11target_archE4294967295ELNS1_3gpuE0ELNS1_3repE0EEENS1_47radix_sort_onesweep_sort_config_static_selectorELNS0_4arch9wavefront6targetE1EEEvSI_
	.p2align	8
	.type	_ZN7rocprim17ROCPRIM_400000_NS6detail17trampoline_kernelINS0_14default_configENS1_35radix_sort_onesweep_config_selectorIssEEZZNS1_29radix_sort_onesweep_iterationIS3_Lb0EN6thrust23THRUST_200600_302600_NS6detail15normal_iteratorINS8_10device_ptrIsEEEESD_SD_SD_jNS0_19identity_decomposerENS1_16block_id_wrapperIjLb1EEEEE10hipError_tT1_PNSt15iterator_traitsISI_E10value_typeET2_T3_PNSJ_ISO_E10value_typeET4_T5_PST_SU_PNS1_23onesweep_lookback_stateEbbT6_jjT7_P12ihipStream_tbENKUlT_T0_SI_SN_E_clIPsSD_S15_SD_EEDaS11_S12_SI_SN_EUlS11_E_NS1_11comp_targetILNS1_3genE0ELNS1_11target_archE4294967295ELNS1_3gpuE0ELNS1_3repE0EEENS1_47radix_sort_onesweep_sort_config_static_selectorELNS0_4arch9wavefront6targetE1EEEvSI_,@function
_ZN7rocprim17ROCPRIM_400000_NS6detail17trampoline_kernelINS0_14default_configENS1_35radix_sort_onesweep_config_selectorIssEEZZNS1_29radix_sort_onesweep_iterationIS3_Lb0EN6thrust23THRUST_200600_302600_NS6detail15normal_iteratorINS8_10device_ptrIsEEEESD_SD_SD_jNS0_19identity_decomposerENS1_16block_id_wrapperIjLb1EEEEE10hipError_tT1_PNSt15iterator_traitsISI_E10value_typeET2_T3_PNSJ_ISO_E10value_typeET4_T5_PST_SU_PNS1_23onesweep_lookback_stateEbbT6_jjT7_P12ihipStream_tbENKUlT_T0_SI_SN_E_clIPsSD_S15_SD_EEDaS11_S12_SI_SN_EUlS11_E_NS1_11comp_targetILNS1_3genE0ELNS1_11target_archE4294967295ELNS1_3gpuE0ELNS1_3repE0EEENS1_47radix_sort_onesweep_sort_config_static_selectorELNS0_4arch9wavefront6targetE1EEEvSI_: ; @_ZN7rocprim17ROCPRIM_400000_NS6detail17trampoline_kernelINS0_14default_configENS1_35radix_sort_onesweep_config_selectorIssEEZZNS1_29radix_sort_onesweep_iterationIS3_Lb0EN6thrust23THRUST_200600_302600_NS6detail15normal_iteratorINS8_10device_ptrIsEEEESD_SD_SD_jNS0_19identity_decomposerENS1_16block_id_wrapperIjLb1EEEEE10hipError_tT1_PNSt15iterator_traitsISI_E10value_typeET2_T3_PNSJ_ISO_E10value_typeET4_T5_PST_SU_PNS1_23onesweep_lookback_stateEbbT6_jjT7_P12ihipStream_tbENKUlT_T0_SI_SN_E_clIPsSD_S15_SD_EEDaS11_S12_SI_SN_EUlS11_E_NS1_11comp_targetILNS1_3genE0ELNS1_11target_archE4294967295ELNS1_3gpuE0ELNS1_3repE0EEENS1_47radix_sort_onesweep_sort_config_static_selectorELNS0_4arch9wavefront6targetE1EEEvSI_
; %bb.0:
	.section	.rodata,"a",@progbits
	.p2align	6, 0x0
	.amdhsa_kernel _ZN7rocprim17ROCPRIM_400000_NS6detail17trampoline_kernelINS0_14default_configENS1_35radix_sort_onesweep_config_selectorIssEEZZNS1_29radix_sort_onesweep_iterationIS3_Lb0EN6thrust23THRUST_200600_302600_NS6detail15normal_iteratorINS8_10device_ptrIsEEEESD_SD_SD_jNS0_19identity_decomposerENS1_16block_id_wrapperIjLb1EEEEE10hipError_tT1_PNSt15iterator_traitsISI_E10value_typeET2_T3_PNSJ_ISO_E10value_typeET4_T5_PST_SU_PNS1_23onesweep_lookback_stateEbbT6_jjT7_P12ihipStream_tbENKUlT_T0_SI_SN_E_clIPsSD_S15_SD_EEDaS11_S12_SI_SN_EUlS11_E_NS1_11comp_targetILNS1_3genE0ELNS1_11target_archE4294967295ELNS1_3gpuE0ELNS1_3repE0EEENS1_47radix_sort_onesweep_sort_config_static_selectorELNS0_4arch9wavefront6targetE1EEEvSI_
		.amdhsa_group_segment_fixed_size 0
		.amdhsa_private_segment_fixed_size 0
		.amdhsa_kernarg_size 88
		.amdhsa_user_sgpr_count 2
		.amdhsa_user_sgpr_dispatch_ptr 0
		.amdhsa_user_sgpr_queue_ptr 0
		.amdhsa_user_sgpr_kernarg_segment_ptr 1
		.amdhsa_user_sgpr_dispatch_id 0
		.amdhsa_user_sgpr_kernarg_preload_length 0
		.amdhsa_user_sgpr_kernarg_preload_offset 0
		.amdhsa_user_sgpr_private_segment_size 0
		.amdhsa_uses_dynamic_stack 0
		.amdhsa_enable_private_segment 0
		.amdhsa_system_sgpr_workgroup_id_x 1
		.amdhsa_system_sgpr_workgroup_id_y 0
		.amdhsa_system_sgpr_workgroup_id_z 0
		.amdhsa_system_sgpr_workgroup_info 0
		.amdhsa_system_vgpr_workitem_id 0
		.amdhsa_next_free_vgpr 1
		.amdhsa_next_free_sgpr 0
		.amdhsa_accum_offset 4
		.amdhsa_reserve_vcc 0
		.amdhsa_float_round_mode_32 0
		.amdhsa_float_round_mode_16_64 0
		.amdhsa_float_denorm_mode_32 3
		.amdhsa_float_denorm_mode_16_64 3
		.amdhsa_dx10_clamp 1
		.amdhsa_ieee_mode 1
		.amdhsa_fp16_overflow 0
		.amdhsa_tg_split 0
		.amdhsa_exception_fp_ieee_invalid_op 0
		.amdhsa_exception_fp_denorm_src 0
		.amdhsa_exception_fp_ieee_div_zero 0
		.amdhsa_exception_fp_ieee_overflow 0
		.amdhsa_exception_fp_ieee_underflow 0
		.amdhsa_exception_fp_ieee_inexact 0
		.amdhsa_exception_int_div_zero 0
	.end_amdhsa_kernel
	.section	.text._ZN7rocprim17ROCPRIM_400000_NS6detail17trampoline_kernelINS0_14default_configENS1_35radix_sort_onesweep_config_selectorIssEEZZNS1_29radix_sort_onesweep_iterationIS3_Lb0EN6thrust23THRUST_200600_302600_NS6detail15normal_iteratorINS8_10device_ptrIsEEEESD_SD_SD_jNS0_19identity_decomposerENS1_16block_id_wrapperIjLb1EEEEE10hipError_tT1_PNSt15iterator_traitsISI_E10value_typeET2_T3_PNSJ_ISO_E10value_typeET4_T5_PST_SU_PNS1_23onesweep_lookback_stateEbbT6_jjT7_P12ihipStream_tbENKUlT_T0_SI_SN_E_clIPsSD_S15_SD_EEDaS11_S12_SI_SN_EUlS11_E_NS1_11comp_targetILNS1_3genE0ELNS1_11target_archE4294967295ELNS1_3gpuE0ELNS1_3repE0EEENS1_47radix_sort_onesweep_sort_config_static_selectorELNS0_4arch9wavefront6targetE1EEEvSI_,"axG",@progbits,_ZN7rocprim17ROCPRIM_400000_NS6detail17trampoline_kernelINS0_14default_configENS1_35radix_sort_onesweep_config_selectorIssEEZZNS1_29radix_sort_onesweep_iterationIS3_Lb0EN6thrust23THRUST_200600_302600_NS6detail15normal_iteratorINS8_10device_ptrIsEEEESD_SD_SD_jNS0_19identity_decomposerENS1_16block_id_wrapperIjLb1EEEEE10hipError_tT1_PNSt15iterator_traitsISI_E10value_typeET2_T3_PNSJ_ISO_E10value_typeET4_T5_PST_SU_PNS1_23onesweep_lookback_stateEbbT6_jjT7_P12ihipStream_tbENKUlT_T0_SI_SN_E_clIPsSD_S15_SD_EEDaS11_S12_SI_SN_EUlS11_E_NS1_11comp_targetILNS1_3genE0ELNS1_11target_archE4294967295ELNS1_3gpuE0ELNS1_3repE0EEENS1_47radix_sort_onesweep_sort_config_static_selectorELNS0_4arch9wavefront6targetE1EEEvSI_,comdat
.Lfunc_end1660:
	.size	_ZN7rocprim17ROCPRIM_400000_NS6detail17trampoline_kernelINS0_14default_configENS1_35radix_sort_onesweep_config_selectorIssEEZZNS1_29radix_sort_onesweep_iterationIS3_Lb0EN6thrust23THRUST_200600_302600_NS6detail15normal_iteratorINS8_10device_ptrIsEEEESD_SD_SD_jNS0_19identity_decomposerENS1_16block_id_wrapperIjLb1EEEEE10hipError_tT1_PNSt15iterator_traitsISI_E10value_typeET2_T3_PNSJ_ISO_E10value_typeET4_T5_PST_SU_PNS1_23onesweep_lookback_stateEbbT6_jjT7_P12ihipStream_tbENKUlT_T0_SI_SN_E_clIPsSD_S15_SD_EEDaS11_S12_SI_SN_EUlS11_E_NS1_11comp_targetILNS1_3genE0ELNS1_11target_archE4294967295ELNS1_3gpuE0ELNS1_3repE0EEENS1_47radix_sort_onesweep_sort_config_static_selectorELNS0_4arch9wavefront6targetE1EEEvSI_, .Lfunc_end1660-_ZN7rocprim17ROCPRIM_400000_NS6detail17trampoline_kernelINS0_14default_configENS1_35radix_sort_onesweep_config_selectorIssEEZZNS1_29radix_sort_onesweep_iterationIS3_Lb0EN6thrust23THRUST_200600_302600_NS6detail15normal_iteratorINS8_10device_ptrIsEEEESD_SD_SD_jNS0_19identity_decomposerENS1_16block_id_wrapperIjLb1EEEEE10hipError_tT1_PNSt15iterator_traitsISI_E10value_typeET2_T3_PNSJ_ISO_E10value_typeET4_T5_PST_SU_PNS1_23onesweep_lookback_stateEbbT6_jjT7_P12ihipStream_tbENKUlT_T0_SI_SN_E_clIPsSD_S15_SD_EEDaS11_S12_SI_SN_EUlS11_E_NS1_11comp_targetILNS1_3genE0ELNS1_11target_archE4294967295ELNS1_3gpuE0ELNS1_3repE0EEENS1_47radix_sort_onesweep_sort_config_static_selectorELNS0_4arch9wavefront6targetE1EEEvSI_
                                        ; -- End function
	.set _ZN7rocprim17ROCPRIM_400000_NS6detail17trampoline_kernelINS0_14default_configENS1_35radix_sort_onesweep_config_selectorIssEEZZNS1_29radix_sort_onesweep_iterationIS3_Lb0EN6thrust23THRUST_200600_302600_NS6detail15normal_iteratorINS8_10device_ptrIsEEEESD_SD_SD_jNS0_19identity_decomposerENS1_16block_id_wrapperIjLb1EEEEE10hipError_tT1_PNSt15iterator_traitsISI_E10value_typeET2_T3_PNSJ_ISO_E10value_typeET4_T5_PST_SU_PNS1_23onesweep_lookback_stateEbbT6_jjT7_P12ihipStream_tbENKUlT_T0_SI_SN_E_clIPsSD_S15_SD_EEDaS11_S12_SI_SN_EUlS11_E_NS1_11comp_targetILNS1_3genE0ELNS1_11target_archE4294967295ELNS1_3gpuE0ELNS1_3repE0EEENS1_47radix_sort_onesweep_sort_config_static_selectorELNS0_4arch9wavefront6targetE1EEEvSI_.num_vgpr, 0
	.set _ZN7rocprim17ROCPRIM_400000_NS6detail17trampoline_kernelINS0_14default_configENS1_35radix_sort_onesweep_config_selectorIssEEZZNS1_29radix_sort_onesweep_iterationIS3_Lb0EN6thrust23THRUST_200600_302600_NS6detail15normal_iteratorINS8_10device_ptrIsEEEESD_SD_SD_jNS0_19identity_decomposerENS1_16block_id_wrapperIjLb1EEEEE10hipError_tT1_PNSt15iterator_traitsISI_E10value_typeET2_T3_PNSJ_ISO_E10value_typeET4_T5_PST_SU_PNS1_23onesweep_lookback_stateEbbT6_jjT7_P12ihipStream_tbENKUlT_T0_SI_SN_E_clIPsSD_S15_SD_EEDaS11_S12_SI_SN_EUlS11_E_NS1_11comp_targetILNS1_3genE0ELNS1_11target_archE4294967295ELNS1_3gpuE0ELNS1_3repE0EEENS1_47radix_sort_onesweep_sort_config_static_selectorELNS0_4arch9wavefront6targetE1EEEvSI_.num_agpr, 0
	.set _ZN7rocprim17ROCPRIM_400000_NS6detail17trampoline_kernelINS0_14default_configENS1_35radix_sort_onesweep_config_selectorIssEEZZNS1_29radix_sort_onesweep_iterationIS3_Lb0EN6thrust23THRUST_200600_302600_NS6detail15normal_iteratorINS8_10device_ptrIsEEEESD_SD_SD_jNS0_19identity_decomposerENS1_16block_id_wrapperIjLb1EEEEE10hipError_tT1_PNSt15iterator_traitsISI_E10value_typeET2_T3_PNSJ_ISO_E10value_typeET4_T5_PST_SU_PNS1_23onesweep_lookback_stateEbbT6_jjT7_P12ihipStream_tbENKUlT_T0_SI_SN_E_clIPsSD_S15_SD_EEDaS11_S12_SI_SN_EUlS11_E_NS1_11comp_targetILNS1_3genE0ELNS1_11target_archE4294967295ELNS1_3gpuE0ELNS1_3repE0EEENS1_47radix_sort_onesweep_sort_config_static_selectorELNS0_4arch9wavefront6targetE1EEEvSI_.numbered_sgpr, 0
	.set _ZN7rocprim17ROCPRIM_400000_NS6detail17trampoline_kernelINS0_14default_configENS1_35radix_sort_onesweep_config_selectorIssEEZZNS1_29radix_sort_onesweep_iterationIS3_Lb0EN6thrust23THRUST_200600_302600_NS6detail15normal_iteratorINS8_10device_ptrIsEEEESD_SD_SD_jNS0_19identity_decomposerENS1_16block_id_wrapperIjLb1EEEEE10hipError_tT1_PNSt15iterator_traitsISI_E10value_typeET2_T3_PNSJ_ISO_E10value_typeET4_T5_PST_SU_PNS1_23onesweep_lookback_stateEbbT6_jjT7_P12ihipStream_tbENKUlT_T0_SI_SN_E_clIPsSD_S15_SD_EEDaS11_S12_SI_SN_EUlS11_E_NS1_11comp_targetILNS1_3genE0ELNS1_11target_archE4294967295ELNS1_3gpuE0ELNS1_3repE0EEENS1_47radix_sort_onesweep_sort_config_static_selectorELNS0_4arch9wavefront6targetE1EEEvSI_.num_named_barrier, 0
	.set _ZN7rocprim17ROCPRIM_400000_NS6detail17trampoline_kernelINS0_14default_configENS1_35radix_sort_onesweep_config_selectorIssEEZZNS1_29radix_sort_onesweep_iterationIS3_Lb0EN6thrust23THRUST_200600_302600_NS6detail15normal_iteratorINS8_10device_ptrIsEEEESD_SD_SD_jNS0_19identity_decomposerENS1_16block_id_wrapperIjLb1EEEEE10hipError_tT1_PNSt15iterator_traitsISI_E10value_typeET2_T3_PNSJ_ISO_E10value_typeET4_T5_PST_SU_PNS1_23onesweep_lookback_stateEbbT6_jjT7_P12ihipStream_tbENKUlT_T0_SI_SN_E_clIPsSD_S15_SD_EEDaS11_S12_SI_SN_EUlS11_E_NS1_11comp_targetILNS1_3genE0ELNS1_11target_archE4294967295ELNS1_3gpuE0ELNS1_3repE0EEENS1_47radix_sort_onesweep_sort_config_static_selectorELNS0_4arch9wavefront6targetE1EEEvSI_.private_seg_size, 0
	.set _ZN7rocprim17ROCPRIM_400000_NS6detail17trampoline_kernelINS0_14default_configENS1_35radix_sort_onesweep_config_selectorIssEEZZNS1_29radix_sort_onesweep_iterationIS3_Lb0EN6thrust23THRUST_200600_302600_NS6detail15normal_iteratorINS8_10device_ptrIsEEEESD_SD_SD_jNS0_19identity_decomposerENS1_16block_id_wrapperIjLb1EEEEE10hipError_tT1_PNSt15iterator_traitsISI_E10value_typeET2_T3_PNSJ_ISO_E10value_typeET4_T5_PST_SU_PNS1_23onesweep_lookback_stateEbbT6_jjT7_P12ihipStream_tbENKUlT_T0_SI_SN_E_clIPsSD_S15_SD_EEDaS11_S12_SI_SN_EUlS11_E_NS1_11comp_targetILNS1_3genE0ELNS1_11target_archE4294967295ELNS1_3gpuE0ELNS1_3repE0EEENS1_47radix_sort_onesweep_sort_config_static_selectorELNS0_4arch9wavefront6targetE1EEEvSI_.uses_vcc, 0
	.set _ZN7rocprim17ROCPRIM_400000_NS6detail17trampoline_kernelINS0_14default_configENS1_35radix_sort_onesweep_config_selectorIssEEZZNS1_29radix_sort_onesweep_iterationIS3_Lb0EN6thrust23THRUST_200600_302600_NS6detail15normal_iteratorINS8_10device_ptrIsEEEESD_SD_SD_jNS0_19identity_decomposerENS1_16block_id_wrapperIjLb1EEEEE10hipError_tT1_PNSt15iterator_traitsISI_E10value_typeET2_T3_PNSJ_ISO_E10value_typeET4_T5_PST_SU_PNS1_23onesweep_lookback_stateEbbT6_jjT7_P12ihipStream_tbENKUlT_T0_SI_SN_E_clIPsSD_S15_SD_EEDaS11_S12_SI_SN_EUlS11_E_NS1_11comp_targetILNS1_3genE0ELNS1_11target_archE4294967295ELNS1_3gpuE0ELNS1_3repE0EEENS1_47radix_sort_onesweep_sort_config_static_selectorELNS0_4arch9wavefront6targetE1EEEvSI_.uses_flat_scratch, 0
	.set _ZN7rocprim17ROCPRIM_400000_NS6detail17trampoline_kernelINS0_14default_configENS1_35radix_sort_onesweep_config_selectorIssEEZZNS1_29radix_sort_onesweep_iterationIS3_Lb0EN6thrust23THRUST_200600_302600_NS6detail15normal_iteratorINS8_10device_ptrIsEEEESD_SD_SD_jNS0_19identity_decomposerENS1_16block_id_wrapperIjLb1EEEEE10hipError_tT1_PNSt15iterator_traitsISI_E10value_typeET2_T3_PNSJ_ISO_E10value_typeET4_T5_PST_SU_PNS1_23onesweep_lookback_stateEbbT6_jjT7_P12ihipStream_tbENKUlT_T0_SI_SN_E_clIPsSD_S15_SD_EEDaS11_S12_SI_SN_EUlS11_E_NS1_11comp_targetILNS1_3genE0ELNS1_11target_archE4294967295ELNS1_3gpuE0ELNS1_3repE0EEENS1_47radix_sort_onesweep_sort_config_static_selectorELNS0_4arch9wavefront6targetE1EEEvSI_.has_dyn_sized_stack, 0
	.set _ZN7rocprim17ROCPRIM_400000_NS6detail17trampoline_kernelINS0_14default_configENS1_35radix_sort_onesweep_config_selectorIssEEZZNS1_29radix_sort_onesweep_iterationIS3_Lb0EN6thrust23THRUST_200600_302600_NS6detail15normal_iteratorINS8_10device_ptrIsEEEESD_SD_SD_jNS0_19identity_decomposerENS1_16block_id_wrapperIjLb1EEEEE10hipError_tT1_PNSt15iterator_traitsISI_E10value_typeET2_T3_PNSJ_ISO_E10value_typeET4_T5_PST_SU_PNS1_23onesweep_lookback_stateEbbT6_jjT7_P12ihipStream_tbENKUlT_T0_SI_SN_E_clIPsSD_S15_SD_EEDaS11_S12_SI_SN_EUlS11_E_NS1_11comp_targetILNS1_3genE0ELNS1_11target_archE4294967295ELNS1_3gpuE0ELNS1_3repE0EEENS1_47radix_sort_onesweep_sort_config_static_selectorELNS0_4arch9wavefront6targetE1EEEvSI_.has_recursion, 0
	.set _ZN7rocprim17ROCPRIM_400000_NS6detail17trampoline_kernelINS0_14default_configENS1_35radix_sort_onesweep_config_selectorIssEEZZNS1_29radix_sort_onesweep_iterationIS3_Lb0EN6thrust23THRUST_200600_302600_NS6detail15normal_iteratorINS8_10device_ptrIsEEEESD_SD_SD_jNS0_19identity_decomposerENS1_16block_id_wrapperIjLb1EEEEE10hipError_tT1_PNSt15iterator_traitsISI_E10value_typeET2_T3_PNSJ_ISO_E10value_typeET4_T5_PST_SU_PNS1_23onesweep_lookback_stateEbbT6_jjT7_P12ihipStream_tbENKUlT_T0_SI_SN_E_clIPsSD_S15_SD_EEDaS11_S12_SI_SN_EUlS11_E_NS1_11comp_targetILNS1_3genE0ELNS1_11target_archE4294967295ELNS1_3gpuE0ELNS1_3repE0EEENS1_47radix_sort_onesweep_sort_config_static_selectorELNS0_4arch9wavefront6targetE1EEEvSI_.has_indirect_call, 0
	.section	.AMDGPU.csdata,"",@progbits
; Kernel info:
; codeLenInByte = 0
; TotalNumSgprs: 6
; NumVgprs: 0
; NumAgprs: 0
; TotalNumVgprs: 0
; ScratchSize: 0
; MemoryBound: 0
; FloatMode: 240
; IeeeMode: 1
; LDSByteSize: 0 bytes/workgroup (compile time only)
; SGPRBlocks: 0
; VGPRBlocks: 0
; NumSGPRsForWavesPerEU: 6
; NumVGPRsForWavesPerEU: 1
; AccumOffset: 4
; Occupancy: 8
; WaveLimiterHint : 0
; COMPUTE_PGM_RSRC2:SCRATCH_EN: 0
; COMPUTE_PGM_RSRC2:USER_SGPR: 2
; COMPUTE_PGM_RSRC2:TRAP_HANDLER: 0
; COMPUTE_PGM_RSRC2:TGID_X_EN: 1
; COMPUTE_PGM_RSRC2:TGID_Y_EN: 0
; COMPUTE_PGM_RSRC2:TGID_Z_EN: 0
; COMPUTE_PGM_RSRC2:TIDIG_COMP_CNT: 0
; COMPUTE_PGM_RSRC3_GFX90A:ACCUM_OFFSET: 0
; COMPUTE_PGM_RSRC3_GFX90A:TG_SPLIT: 0
	.section	.text._ZN7rocprim17ROCPRIM_400000_NS6detail17trampoline_kernelINS0_14default_configENS1_35radix_sort_onesweep_config_selectorIssEEZZNS1_29radix_sort_onesweep_iterationIS3_Lb0EN6thrust23THRUST_200600_302600_NS6detail15normal_iteratorINS8_10device_ptrIsEEEESD_SD_SD_jNS0_19identity_decomposerENS1_16block_id_wrapperIjLb1EEEEE10hipError_tT1_PNSt15iterator_traitsISI_E10value_typeET2_T3_PNSJ_ISO_E10value_typeET4_T5_PST_SU_PNS1_23onesweep_lookback_stateEbbT6_jjT7_P12ihipStream_tbENKUlT_T0_SI_SN_E_clIPsSD_S15_SD_EEDaS11_S12_SI_SN_EUlS11_E_NS1_11comp_targetILNS1_3genE6ELNS1_11target_archE950ELNS1_3gpuE13ELNS1_3repE0EEENS1_47radix_sort_onesweep_sort_config_static_selectorELNS0_4arch9wavefront6targetE1EEEvSI_,"axG",@progbits,_ZN7rocprim17ROCPRIM_400000_NS6detail17trampoline_kernelINS0_14default_configENS1_35radix_sort_onesweep_config_selectorIssEEZZNS1_29radix_sort_onesweep_iterationIS3_Lb0EN6thrust23THRUST_200600_302600_NS6detail15normal_iteratorINS8_10device_ptrIsEEEESD_SD_SD_jNS0_19identity_decomposerENS1_16block_id_wrapperIjLb1EEEEE10hipError_tT1_PNSt15iterator_traitsISI_E10value_typeET2_T3_PNSJ_ISO_E10value_typeET4_T5_PST_SU_PNS1_23onesweep_lookback_stateEbbT6_jjT7_P12ihipStream_tbENKUlT_T0_SI_SN_E_clIPsSD_S15_SD_EEDaS11_S12_SI_SN_EUlS11_E_NS1_11comp_targetILNS1_3genE6ELNS1_11target_archE950ELNS1_3gpuE13ELNS1_3repE0EEENS1_47radix_sort_onesweep_sort_config_static_selectorELNS0_4arch9wavefront6targetE1EEEvSI_,comdat
	.protected	_ZN7rocprim17ROCPRIM_400000_NS6detail17trampoline_kernelINS0_14default_configENS1_35radix_sort_onesweep_config_selectorIssEEZZNS1_29radix_sort_onesweep_iterationIS3_Lb0EN6thrust23THRUST_200600_302600_NS6detail15normal_iteratorINS8_10device_ptrIsEEEESD_SD_SD_jNS0_19identity_decomposerENS1_16block_id_wrapperIjLb1EEEEE10hipError_tT1_PNSt15iterator_traitsISI_E10value_typeET2_T3_PNSJ_ISO_E10value_typeET4_T5_PST_SU_PNS1_23onesweep_lookback_stateEbbT6_jjT7_P12ihipStream_tbENKUlT_T0_SI_SN_E_clIPsSD_S15_SD_EEDaS11_S12_SI_SN_EUlS11_E_NS1_11comp_targetILNS1_3genE6ELNS1_11target_archE950ELNS1_3gpuE13ELNS1_3repE0EEENS1_47radix_sort_onesweep_sort_config_static_selectorELNS0_4arch9wavefront6targetE1EEEvSI_ ; -- Begin function _ZN7rocprim17ROCPRIM_400000_NS6detail17trampoline_kernelINS0_14default_configENS1_35radix_sort_onesweep_config_selectorIssEEZZNS1_29radix_sort_onesweep_iterationIS3_Lb0EN6thrust23THRUST_200600_302600_NS6detail15normal_iteratorINS8_10device_ptrIsEEEESD_SD_SD_jNS0_19identity_decomposerENS1_16block_id_wrapperIjLb1EEEEE10hipError_tT1_PNSt15iterator_traitsISI_E10value_typeET2_T3_PNSJ_ISO_E10value_typeET4_T5_PST_SU_PNS1_23onesweep_lookback_stateEbbT6_jjT7_P12ihipStream_tbENKUlT_T0_SI_SN_E_clIPsSD_S15_SD_EEDaS11_S12_SI_SN_EUlS11_E_NS1_11comp_targetILNS1_3genE6ELNS1_11target_archE950ELNS1_3gpuE13ELNS1_3repE0EEENS1_47radix_sort_onesweep_sort_config_static_selectorELNS0_4arch9wavefront6targetE1EEEvSI_
	.globl	_ZN7rocprim17ROCPRIM_400000_NS6detail17trampoline_kernelINS0_14default_configENS1_35radix_sort_onesweep_config_selectorIssEEZZNS1_29radix_sort_onesweep_iterationIS3_Lb0EN6thrust23THRUST_200600_302600_NS6detail15normal_iteratorINS8_10device_ptrIsEEEESD_SD_SD_jNS0_19identity_decomposerENS1_16block_id_wrapperIjLb1EEEEE10hipError_tT1_PNSt15iterator_traitsISI_E10value_typeET2_T3_PNSJ_ISO_E10value_typeET4_T5_PST_SU_PNS1_23onesweep_lookback_stateEbbT6_jjT7_P12ihipStream_tbENKUlT_T0_SI_SN_E_clIPsSD_S15_SD_EEDaS11_S12_SI_SN_EUlS11_E_NS1_11comp_targetILNS1_3genE6ELNS1_11target_archE950ELNS1_3gpuE13ELNS1_3repE0EEENS1_47radix_sort_onesweep_sort_config_static_selectorELNS0_4arch9wavefront6targetE1EEEvSI_
	.p2align	8
	.type	_ZN7rocprim17ROCPRIM_400000_NS6detail17trampoline_kernelINS0_14default_configENS1_35radix_sort_onesweep_config_selectorIssEEZZNS1_29radix_sort_onesweep_iterationIS3_Lb0EN6thrust23THRUST_200600_302600_NS6detail15normal_iteratorINS8_10device_ptrIsEEEESD_SD_SD_jNS0_19identity_decomposerENS1_16block_id_wrapperIjLb1EEEEE10hipError_tT1_PNSt15iterator_traitsISI_E10value_typeET2_T3_PNSJ_ISO_E10value_typeET4_T5_PST_SU_PNS1_23onesweep_lookback_stateEbbT6_jjT7_P12ihipStream_tbENKUlT_T0_SI_SN_E_clIPsSD_S15_SD_EEDaS11_S12_SI_SN_EUlS11_E_NS1_11comp_targetILNS1_3genE6ELNS1_11target_archE950ELNS1_3gpuE13ELNS1_3repE0EEENS1_47radix_sort_onesweep_sort_config_static_selectorELNS0_4arch9wavefront6targetE1EEEvSI_,@function
_ZN7rocprim17ROCPRIM_400000_NS6detail17trampoline_kernelINS0_14default_configENS1_35radix_sort_onesweep_config_selectorIssEEZZNS1_29radix_sort_onesweep_iterationIS3_Lb0EN6thrust23THRUST_200600_302600_NS6detail15normal_iteratorINS8_10device_ptrIsEEEESD_SD_SD_jNS0_19identity_decomposerENS1_16block_id_wrapperIjLb1EEEEE10hipError_tT1_PNSt15iterator_traitsISI_E10value_typeET2_T3_PNSJ_ISO_E10value_typeET4_T5_PST_SU_PNS1_23onesweep_lookback_stateEbbT6_jjT7_P12ihipStream_tbENKUlT_T0_SI_SN_E_clIPsSD_S15_SD_EEDaS11_S12_SI_SN_EUlS11_E_NS1_11comp_targetILNS1_3genE6ELNS1_11target_archE950ELNS1_3gpuE13ELNS1_3repE0EEENS1_47radix_sort_onesweep_sort_config_static_selectorELNS0_4arch9wavefront6targetE1EEEvSI_: ; @_ZN7rocprim17ROCPRIM_400000_NS6detail17trampoline_kernelINS0_14default_configENS1_35radix_sort_onesweep_config_selectorIssEEZZNS1_29radix_sort_onesweep_iterationIS3_Lb0EN6thrust23THRUST_200600_302600_NS6detail15normal_iteratorINS8_10device_ptrIsEEEESD_SD_SD_jNS0_19identity_decomposerENS1_16block_id_wrapperIjLb1EEEEE10hipError_tT1_PNSt15iterator_traitsISI_E10value_typeET2_T3_PNSJ_ISO_E10value_typeET4_T5_PST_SU_PNS1_23onesweep_lookback_stateEbbT6_jjT7_P12ihipStream_tbENKUlT_T0_SI_SN_E_clIPsSD_S15_SD_EEDaS11_S12_SI_SN_EUlS11_E_NS1_11comp_targetILNS1_3genE6ELNS1_11target_archE950ELNS1_3gpuE13ELNS1_3repE0EEENS1_47radix_sort_onesweep_sort_config_static_selectorELNS0_4arch9wavefront6targetE1EEEvSI_
; %bb.0:
	s_load_dwordx4 s[4:7], s[0:1], 0x28
                                        ; implicit-def: $vgpr117 : SGPR spill to VGPR lane
	v_and_b32_e32 v2, 0x3ff, v0
	v_cmp_eq_u32_e64 s[94:95], 0, v2
	s_waitcnt lgkmcnt(0)
	v_writelane_b32 v117, s4, 0
	s_nop 1
	v_writelane_b32 v117, s5, 1
	v_writelane_b32 v117, s6, 2
	;; [unrolled: 1-line block ×3, first 2 shown]
	s_load_dwordx2 s[6:7], s[0:1], 0x38
	s_load_dwordx4 s[96:99], s[0:1], 0x44
	s_and_saveexec_b64 s[4:5], s[94:95]
	s_cbranch_execz .LBB1661_4
; %bb.1:
	s_mov_b64 s[10:11], exec
	v_mbcnt_lo_u32_b32 v1, s10, 0
	v_mbcnt_hi_u32_b32 v1, s11, v1
	v_cmp_eq_u32_e32 vcc, 0, v1
                                        ; implicit-def: $vgpr3
	s_and_saveexec_b64 s[8:9], vcc
	s_cbranch_execz .LBB1661_3
; %bb.2:
	s_load_dwordx2 s[12:13], s[0:1], 0x50
	s_bcnt1_i32_b64 s3, s[10:11]
	v_mov_b32_e32 v3, 0
	v_mov_b32_e32 v4, s3
	s_waitcnt lgkmcnt(0)
	global_atomic_add v3, v3, v4, s[12:13] sc0
.LBB1661_3:
	s_or_b64 exec, exec, s[8:9]
	s_waitcnt vmcnt(0)
	v_readfirstlane_b32 s3, v3
	v_mov_b32_e32 v3, 0
	s_nop 0
	v_add_u32_e32 v1, s3, v1
	ds_write_b32 v3, v1 offset:22784
.LBB1661_4:
	s_or_b64 exec, exec, s[4:5]
	v_mov_b32_e32 v5, 0
	s_load_dwordx8 s[8:15], s[0:1], 0x0
	s_load_dword s3, s[0:1], 0x20
	s_waitcnt lgkmcnt(0)
	s_barrier
	ds_read_b32 v1, v5 offset:22784
	s_mov_b64 s[16:17], -1
	s_waitcnt lgkmcnt(0)
	s_barrier
	v_readfirstlane_b32 s33, v1
	v_cmp_le_u32_e32 vcc, s98, v1
	s_mul_i32 s4, s33, 0x2c00
	v_mbcnt_lo_u32_b32 v1, -1, 0
	s_cbranch_vccz .LBB1661_292
; %bb.5:
	s_mul_i32 s5, s98, 0xffffd400
	s_add_i32 s3, s5, s3
	s_mov_b32 s5, 0
	s_lshl_b64 s[98:99], s[4:5], 1
	v_mbcnt_hi_u32_b32 v15, -1, v1
	s_add_u32 s16, s8, s98
	v_and_b32_e32 v3, 63, v15
	v_and_b32_e32 v20, 0x3c0, v2
	s_addc_u32 s17, s9, s99
	v_mul_u32_u24_e32 v10, 22, v20
	v_lshlrev_b32_e32 v4, 1, v3
	v_lshl_add_u64 v[8:9], s[16:17], 0, v[4:5]
	v_lshlrev_b32_e32 v6, 1, v10
	v_mov_b32_e32 v7, v5
	v_lshl_add_u64 v[8:9], v[8:9], 0, v[6:7]
	v_or_b32_e32 v10, v3, v10
	v_mov_b32_e32 v3, -1
	v_mov_b32_e32 v5, -1
	v_cmp_gt_u32_e64 s[18:19], s3, v10
	s_mov_b64 s[16:17], exec
	s_nop 0
	v_writelane_b32 v117, s18, 4
	s_nop 1
	v_writelane_b32 v117, s19, 5
	s_and_b64 s[18:19], s[16:17], s[18:19]
	s_mov_b64 exec, s[18:19]
	s_cbranch_execz .LBB1661_7
; %bb.6:
	global_load_ushort v5, v[8:9], off
	s_waitcnt vmcnt(0)
	v_xor_b32_e32 v5, 0xffff8000, v5
.LBB1661_7:
	s_or_b64 exec, exec, s[16:17]
	v_or_b32_e32 v7, 64, v10
	v_cmp_gt_u32_e64 s[18:19], s3, v7
	s_mov_b64 s[16:17], exec
	s_nop 0
	v_writelane_b32 v117, s18, 6
	s_nop 1
	v_writelane_b32 v117, s19, 7
	s_and_b64 s[18:19], s[16:17], s[18:19]
	s_mov_b64 exec, s[18:19]
	s_cbranch_execz .LBB1661_9
; %bb.8:
	global_load_ushort v3, v[8:9], off offset:128
	s_waitcnt vmcnt(0)
	v_xor_b32_e32 v3, 0xffff8000, v3
.LBB1661_9:
	s_or_b64 exec, exec, s[16:17]
	v_add_u32_e32 v7, 0x80, v10
	v_cmp_gt_u32_e64 s[18:19], s3, v7
	v_mov_b32_e32 v7, -1
	v_mov_b32_e32 v12, -1
	s_mov_b64 s[16:17], exec
	v_writelane_b32 v117, s18, 8
	s_nop 1
	v_writelane_b32 v117, s19, 9
	s_and_b64 s[18:19], s[16:17], s[18:19]
	s_mov_b64 exec, s[18:19]
	s_cbranch_execz .LBB1661_11
; %bb.10:
	global_load_ushort v11, v[8:9], off offset:256
	s_waitcnt vmcnt(0)
	v_xor_b32_e32 v12, 0xffff8000, v11
.LBB1661_11:
	s_or_b64 exec, exec, s[16:17]
	v_add_u32_e32 v11, 0xc0, v10
	v_cmp_gt_u32_e64 s[18:19], s3, v11
	s_mov_b64 s[16:17], exec
	s_nop 0
	v_writelane_b32 v117, s18, 10
	s_nop 1
	v_writelane_b32 v117, s19, 11
	s_and_b64 s[18:19], s[16:17], s[18:19]
	s_mov_b64 exec, s[18:19]
	s_cbranch_execz .LBB1661_13
; %bb.12:
	global_load_ushort v7, v[8:9], off offset:384
	s_waitcnt vmcnt(0)
	v_xor_b32_e32 v7, 0xffff8000, v7
.LBB1661_13:
	s_or_b64 exec, exec, s[16:17]
	v_add_u32_e32 v11, 0x100, v10
	v_mov_b32_e32 v13, -1
	v_mov_b32_e32 v14, -1
	v_cmp_gt_u32_e64 s[18:19], s3, v11
	s_mov_b64 s[16:17], exec
	s_nop 0
	v_writelane_b32 v117, s18, 12
	s_nop 1
	v_writelane_b32 v117, s19, 13
	s_and_b64 s[18:19], s[16:17], s[18:19]
	s_mov_b64 exec, s[18:19]
	s_cbranch_execz .LBB1661_15
; %bb.14:
	global_load_ushort v11, v[8:9], off offset:512
	s_waitcnt vmcnt(0)
	v_xor_b32_e32 v14, 0xffff8000, v11
.LBB1661_15:
	s_or_b64 exec, exec, s[16:17]
	v_add_u32_e32 v11, 0x140, v10
	v_cmp_gt_u32_e64 s[18:19], s3, v11
	s_mov_b64 s[16:17], exec
	s_nop 0
	v_writelane_b32 v117, s18, 14
	s_nop 1
	v_writelane_b32 v117, s19, 15
	s_and_b64 s[18:19], s[16:17], s[18:19]
	s_mov_b64 exec, s[18:19]
	s_cbranch_execz .LBB1661_17
; %bb.16:
	global_load_ushort v11, v[8:9], off offset:640
	s_waitcnt vmcnt(0)
	v_xor_b32_e32 v13, 0xffff8000, v11
.LBB1661_17:
	s_or_b64 exec, exec, s[16:17]
	v_add_u32_e32 v11, 0x180, v10
	v_mov_b32_e32 v16, -1
	v_mov_b32_e32 v17, -1
	v_cmp_gt_u32_e64 s[18:19], s3, v11
	s_mov_b64 s[16:17], exec
	s_nop 0
	v_writelane_b32 v117, s18, 16
	s_nop 1
	v_writelane_b32 v117, s19, 17
	s_and_b64 s[18:19], s[16:17], s[18:19]
	s_mov_b64 exec, s[18:19]
	s_cbranch_execz .LBB1661_19
; %bb.18:
	global_load_ushort v11, v[8:9], off offset:768
	s_waitcnt vmcnt(0)
	v_xor_b32_e32 v17, 0xffff8000, v11
.LBB1661_19:
	s_or_b64 exec, exec, s[16:17]
	v_add_u32_e32 v11, 0x1c0, v10
	v_cmp_gt_u32_e64 s[18:19], s3, v11
	s_mov_b64 s[16:17], exec
	s_nop 0
	v_writelane_b32 v117, s18, 18
	s_nop 1
	v_writelane_b32 v117, s19, 19
	s_and_b64 s[18:19], s[16:17], s[18:19]
	s_mov_b64 exec, s[18:19]
	s_cbranch_execz .LBB1661_21
; %bb.20:
	global_load_ushort v11, v[8:9], off offset:896
	s_waitcnt vmcnt(0)
	v_xor_b32_e32 v16, 0xffff8000, v11
.LBB1661_21:
	s_or_b64 exec, exec, s[16:17]
	v_add_u32_e32 v11, 0x200, v10
	v_cmp_gt_u32_e32 vcc, s3, v11
	v_mov_b32_e32 v18, -1
	v_mov_b32_e32 v19, -1
	s_and_saveexec_b64 s[16:17], vcc
	s_cbranch_execz .LBB1661_23
; %bb.22:
	global_load_ushort v11, v[8:9], off offset:1024
	s_waitcnt vmcnt(0)
	v_xor_b32_e32 v19, 0xffff8000, v11
.LBB1661_23:
	s_or_b64 exec, exec, s[16:17]
	v_add_u32_e32 v11, 0x240, v10
	v_cmp_gt_u32_e64 s[20:21], s3, v11
	s_and_saveexec_b64 s[16:17], s[20:21]
	s_cbranch_execz .LBB1661_25
; %bb.24:
	global_load_ushort v11, v[8:9], off offset:1152
	s_waitcnt vmcnt(0)
	v_xor_b32_e32 v18, 0xffff8000, v11
.LBB1661_25:
	s_or_b64 exec, exec, s[16:17]
	v_add_u32_e32 v11, 0x280, v10
	v_cmp_gt_u32_e64 s[22:23], s3, v11
	v_mov_b32_e32 v21, -1
	v_mov_b32_e32 v22, -1
	s_and_saveexec_b64 s[16:17], s[22:23]
	s_cbranch_execz .LBB1661_27
; %bb.26:
	global_load_ushort v11, v[8:9], off offset:1280
	s_waitcnt vmcnt(0)
	v_xor_b32_e32 v22, 0xffff8000, v11
.LBB1661_27:
	s_or_b64 exec, exec, s[16:17]
	v_add_u32_e32 v11, 0x2c0, v10
	v_cmp_gt_u32_e64 s[24:25], s3, v11
	s_and_saveexec_b64 s[16:17], s[24:25]
	s_cbranch_execz .LBB1661_29
; %bb.28:
	global_load_ushort v11, v[8:9], off offset:1408
	s_waitcnt vmcnt(0)
	v_xor_b32_e32 v21, 0xffff8000, v11
.LBB1661_29:
	s_or_b64 exec, exec, s[16:17]
	v_add_u32_e32 v11, 0x300, v10
	v_cmp_gt_u32_e64 s[26:27], s3, v11
	v_mov_b32_e32 v23, -1
	v_mov_b32_e32 v24, -1
	s_and_saveexec_b64 s[16:17], s[26:27]
	;; [unrolled: 22-line block ×6, first 2 shown]
	s_cbranch_execz .LBB1661_47
; %bb.46:
	global_load_ushort v11, v[8:9], off offset:2560
	s_waitcnt vmcnt(0)
	v_xor_b32_e32 v32, 0xffff8000, v11
.LBB1661_47:
	s_or_b64 exec, exec, s[16:17]
	v_add_u32_e32 v10, 0x540, v10
	v_cmp_gt_u32_e64 s[46:47], s3, v10
	s_and_saveexec_b64 s[16:17], s[46:47]
	s_cbranch_execz .LBB1661_49
; %bb.48:
	global_load_ushort v8, v[8:9], off offset:2688
	s_waitcnt vmcnt(0)
	v_xor_b32_e32 v31, 0xffff8000, v8
.LBB1661_49:
	s_or_b64 exec, exec, s[16:17]
	s_load_dword s5, s[0:1], 0x64
	s_load_dword s18, s[0:1], 0x58
	s_add_u32 s16, s0, 0x58
	s_addc_u32 s17, s1, 0
	v_mov_b32_e32 v8, 0
	s_waitcnt lgkmcnt(0)
	s_lshr_b32 s5, s5, 16
	s_cmp_lt_u32 s2, s18
	s_cselect_b32 s18, 12, 18
	s_add_u32 s16, s16, s18
	s_addc_u32 s17, s17, 0
	global_load_ushort v36, v8, s[16:17]
	v_lshrrev_b32_sdwa v35, s96, v5 dst_sel:DWORD dst_unused:UNUSED_PAD src0_sel:DWORD src1_sel:WORD_0
	s_lshl_b32 s16, -1, s97
	v_bfe_u32 v10, v0, 10, 10
	v_bfe_u32 v34, v0, 20, 10
	v_lshlrev_b32_e32 v33, 3, v2
	v_mov_b32_e32 v9, v8
	v_bitop3_b32 v38, v35, s16, v35 bitop3:0x30
	v_mov_b32_e32 v11, v8
	ds_write_b64 v33, v[8:9] offset:32
	v_mad_u32_u24 v37, v34, s5, v10
	v_and_b32_e32 v10, 1, v38
	v_lshlrev_b32_e32 v9, 30, v38
	v_lshl_add_u64 v[34:35], v[10:11], 0, -1
	v_cmp_ne_u32_e64 s[48:49], 0, v10
	v_cmp_gt_i64_e64 s[50:51], 0, v[8:9]
	v_not_b32_e32 v10, v9
	v_lshlrev_b32_e32 v9, 29, v38
	v_xor_b32_e32 v11, s49, v35
	v_xor_b32_e32 v34, s48, v34
	v_ashrrev_i32_e32 v10, 31, v10
	v_cmp_gt_i64_e64 s[48:49], 0, v[8:9]
	v_not_b32_e32 v35, v9
	v_lshlrev_b32_e32 v9, 28, v38
	v_and_b32_e32 v11, exec_hi, v11
	v_and_b32_e32 v34, exec_lo, v34
	v_xor_b32_e32 v39, s51, v10
	v_xor_b32_e32 v10, s50, v10
	v_ashrrev_i32_e32 v35, 31, v35
	v_cmp_gt_i64_e64 s[50:51], 0, v[8:9]
	v_not_b32_e32 v40, v9
	v_lshlrev_b32_e32 v9, 27, v38
	v_and_b32_e32 v11, v11, v39
	v_and_b32_e32 v10, v34, v10
	v_xor_b32_e32 v34, s49, v35
	v_xor_b32_e32 v35, s48, v35
	v_ashrrev_i32_e32 v39, 31, v40
	v_cmp_gt_i64_e64 s[48:49], 0, v[8:9]
	v_not_b32_e32 v40, v9
	v_lshlrev_b32_e32 v9, 26, v38
	v_and_b32_e32 v11, v11, v34
	v_and_b32_e32 v10, v10, v35
	v_xor_b32_e32 v34, s51, v39
	v_xor_b32_e32 v35, s50, v39
	v_ashrrev_i32_e32 v39, 31, v40
	v_cmp_gt_i64_e64 s[50:51], 0, v[8:9]
	v_not_b32_e32 v9, v9
	v_and_b32_e32 v11, v11, v34
	v_and_b32_e32 v10, v10, v35
	v_xor_b32_e32 v34, s49, v39
	v_xor_b32_e32 v35, s48, v39
	v_ashrrev_i32_e32 v9, 31, v9
	v_and_b32_e32 v11, v11, v34
	v_and_b32_e32 v10, v10, v35
	v_xor_b32_e32 v34, s51, v9
	v_xor_b32_e32 v9, s50, v9
	v_and_b32_e32 v10, v10, v9
	s_not_b32 s5, s16
	v_and_b32_e32 v11, v11, v34
	v_mbcnt_lo_u32_b32 v9, v10, 0
	v_mbcnt_hi_u32_b32 v34, v11, v9
	v_cmp_ne_u64_e64 s[48:49], 0, v[10:11]
	v_cmp_eq_u32_e64 s[50:51], 0, v34
	s_and_b64 s[48:49], s[48:49], s[50:51]
	s_waitcnt lgkmcnt(0)
	s_barrier
	s_waitcnt vmcnt(0)
	; wave barrier
	v_mad_u64_u32 v[36:37], s[16:17], v37, v36, v[2:3]
	v_lshrrev_b32_e32 v9, 6, v36
	v_lshlrev_b32_e32 v43, 2, v9
	v_mad_u32_u24 v36, v38, 36, v43
	s_and_saveexec_b64 s[16:17], s[48:49]
; %bb.50:
	v_bcnt_u32_b32 v9, v10, 0
	v_bcnt_u32_b32 v9, v11, v9
	ds_write_b32 v36, v9 offset:32
; %bb.51:
	s_or_b64 exec, exec, s[16:17]
	v_lshrrev_b32_sdwa v9, s96, v3 dst_sel:DWORD dst_unused:UNUSED_PAD src0_sel:DWORD src1_sel:WORD_0
	v_and_b32_e32 v40, s5, v9
	v_and_b32_e32 v10, 1, v40
	v_mov_b32_e32 v11, v8
	v_lshl_add_u64 v[38:39], v[10:11], 0, -1
	v_cmp_ne_u32_e64 s[48:49], 0, v10
	v_mad_u32_u24 v37, v40, 36, v43
	s_nop 0
	v_xor_b32_e32 v9, s49, v39
	v_and_b32_e32 v11, exec_hi, v9
	v_lshlrev_b32_e32 v9, 30, v40
	v_xor_b32_e32 v10, s48, v38
	v_cmp_gt_i64_e64 s[48:49], 0, v[8:9]
	v_not_b32_e32 v9, v9
	v_ashrrev_i32_e32 v9, 31, v9
	v_and_b32_e32 v10, exec_lo, v10
	v_xor_b32_e32 v38, s49, v9
	v_xor_b32_e32 v9, s48, v9
	v_and_b32_e32 v10, v10, v9
	v_lshlrev_b32_e32 v9, 29, v40
	v_cmp_gt_i64_e64 s[48:49], 0, v[8:9]
	v_not_b32_e32 v9, v9
	v_ashrrev_i32_e32 v9, 31, v9
	v_and_b32_e32 v11, v11, v38
	v_xor_b32_e32 v38, s49, v9
	v_xor_b32_e32 v9, s48, v9
	v_and_b32_e32 v10, v10, v9
	v_lshlrev_b32_e32 v9, 28, v40
	v_cmp_gt_i64_e64 s[48:49], 0, v[8:9]
	v_not_b32_e32 v9, v9
	v_ashrrev_i32_e32 v9, 31, v9
	v_and_b32_e32 v11, v11, v38
	;; [unrolled: 8-line block ×3, first 2 shown]
	v_xor_b32_e32 v38, s49, v9
	v_xor_b32_e32 v9, s48, v9
	v_and_b32_e32 v10, v10, v9
	v_lshlrev_b32_e32 v9, 26, v40
	v_cmp_gt_i64_e64 s[48:49], 0, v[8:9]
	v_not_b32_e32 v8, v9
	v_ashrrev_i32_e32 v8, 31, v8
	v_xor_b32_e32 v9, s49, v8
	v_xor_b32_e32 v8, s48, v8
	; wave barrier
	ds_read_b32 v35, v37 offset:32
	v_and_b32_e32 v11, v11, v38
	v_and_b32_e32 v8, v10, v8
	;; [unrolled: 1-line block ×3, first 2 shown]
	v_mbcnt_lo_u32_b32 v10, v8, 0
	v_mbcnt_hi_u32_b32 v38, v9, v10
	v_cmp_eq_u32_e64 s[48:49], 0, v38
	v_cmp_ne_u64_e64 s[50:51], 0, v[8:9]
	s_and_b64 s[48:49], s[50:51], s[48:49]
	; wave barrier
	s_and_saveexec_b64 s[16:17], s[48:49]
	s_cbranch_execz .LBB1661_53
; %bb.52:
	v_bcnt_u32_b32 v8, v8, 0
	v_bcnt_u32_b32 v8, v9, v8
	s_waitcnt lgkmcnt(0)
	v_add_u32_e32 v8, v35, v8
	ds_write_b32 v37, v8 offset:32
.LBB1661_53:
	s_or_b64 exec, exec, s[16:17]
	v_lshrrev_b32_sdwa v8, s96, v12 dst_sel:DWORD dst_unused:UNUSED_PAD src0_sel:DWORD src1_sel:WORD_0
	v_and_b32_e32 v41, s5, v8
	v_and_b32_e32 v8, 1, v41
	v_mov_b32_e32 v9, 0
	v_lshl_add_u64 v[10:11], v[8:9], 0, -1
	v_cmp_ne_u32_e64 s[48:49], 0, v8
	v_mad_u32_u24 v40, v41, 36, v43
	s_nop 0
	v_xor_b32_e32 v10, s48, v10
	v_xor_b32_e32 v8, s49, v11
	v_and_b32_e32 v42, exec_lo, v10
	v_lshlrev_b32_e32 v11, 30, v41
	v_mov_b32_e32 v10, v9
	v_cmp_gt_i64_e64 s[48:49], 0, v[10:11]
	v_not_b32_e32 v10, v11
	v_ashrrev_i32_e32 v10, 31, v10
	v_and_b32_e32 v8, exec_hi, v8
	v_xor_b32_e32 v11, s49, v10
	v_xor_b32_e32 v10, s48, v10
	v_and_b32_e32 v8, v8, v11
	v_and_b32_e32 v42, v42, v10
	v_lshlrev_b32_e32 v11, 29, v41
	v_mov_b32_e32 v10, v9
	v_cmp_gt_i64_e64 s[48:49], 0, v[10:11]
	v_not_b32_e32 v10, v11
	v_ashrrev_i32_e32 v10, 31, v10
	v_xor_b32_e32 v11, s49, v10
	v_xor_b32_e32 v10, s48, v10
	v_and_b32_e32 v8, v8, v11
	v_and_b32_e32 v42, v42, v10
	v_lshlrev_b32_e32 v11, 28, v41
	v_mov_b32_e32 v10, v9
	v_cmp_gt_i64_e64 s[48:49], 0, v[10:11]
	v_not_b32_e32 v10, v11
	v_ashrrev_i32_e32 v10, 31, v10
	;; [unrolled: 9-line block ×4, first 2 shown]
	v_xor_b32_e32 v11, s49, v10
	v_xor_b32_e32 v10, s48, v10
	; wave barrier
	ds_read_b32 v39, v40 offset:32
	v_and_b32_e32 v10, v42, v10
	v_and_b32_e32 v11, v8, v11
	v_mbcnt_lo_u32_b32 v8, v10, 0
	v_mbcnt_hi_u32_b32 v41, v11, v8
	v_cmp_eq_u32_e64 s[48:49], 0, v41
	v_cmp_ne_u64_e64 s[50:51], 0, v[10:11]
	s_and_b64 s[48:49], s[50:51], s[48:49]
	; wave barrier
	s_and_saveexec_b64 s[16:17], s[48:49]
	s_cbranch_execz .LBB1661_55
; %bb.54:
	v_bcnt_u32_b32 v8, v10, 0
	v_bcnt_u32_b32 v8, v11, v8
	s_waitcnt lgkmcnt(0)
	v_add_u32_e32 v8, v39, v8
	ds_write_b32 v40, v8 offset:32
.LBB1661_55:
	s_or_b64 exec, exec, s[16:17]
	v_lshrrev_b32_sdwa v8, s96, v7 dst_sel:DWORD dst_unused:UNUSED_PAD src0_sel:DWORD src1_sel:WORD_0
	v_and_b32_e32 v45, s5, v8
	v_and_b32_e32 v8, 1, v45
	v_lshl_add_u64 v[10:11], v[8:9], 0, -1
	v_cmp_ne_u32_e64 s[48:49], 0, v8
	v_mad_u32_u24 v44, v45, 36, v43
	s_nop 0
	v_xor_b32_e32 v10, s48, v10
	v_xor_b32_e32 v8, s49, v11
	v_and_b32_e32 v46, exec_lo, v10
	v_lshlrev_b32_e32 v11, 30, v45
	v_mov_b32_e32 v10, v9
	v_cmp_gt_i64_e64 s[48:49], 0, v[10:11]
	v_not_b32_e32 v10, v11
	v_ashrrev_i32_e32 v10, 31, v10
	v_and_b32_e32 v8, exec_hi, v8
	v_xor_b32_e32 v11, s49, v10
	v_xor_b32_e32 v10, s48, v10
	v_and_b32_e32 v8, v8, v11
	v_and_b32_e32 v46, v46, v10
	v_lshlrev_b32_e32 v11, 29, v45
	v_mov_b32_e32 v10, v9
	v_cmp_gt_i64_e64 s[48:49], 0, v[10:11]
	v_not_b32_e32 v10, v11
	v_ashrrev_i32_e32 v10, 31, v10
	v_xor_b32_e32 v11, s49, v10
	v_xor_b32_e32 v10, s48, v10
	v_and_b32_e32 v8, v8, v11
	v_and_b32_e32 v46, v46, v10
	v_lshlrev_b32_e32 v11, 28, v45
	v_mov_b32_e32 v10, v9
	v_cmp_gt_i64_e64 s[48:49], 0, v[10:11]
	v_not_b32_e32 v10, v11
	v_ashrrev_i32_e32 v10, 31, v10
	v_xor_b32_e32 v11, s49, v10
	v_xor_b32_e32 v10, s48, v10
	v_and_b32_e32 v8, v8, v11
	v_and_b32_e32 v46, v46, v10
	v_lshlrev_b32_e32 v11, 27, v45
	v_mov_b32_e32 v10, v9
	v_cmp_gt_i64_e64 s[48:49], 0, v[10:11]
	v_not_b32_e32 v10, v11
	v_ashrrev_i32_e32 v10, 31, v10
	v_xor_b32_e32 v11, s49, v10
	v_xor_b32_e32 v10, s48, v10
	v_and_b32_e32 v8, v8, v11
	v_lshlrev_b32_e32 v11, 26, v45
	v_and_b32_e32 v46, v46, v10
	v_mov_b32_e32 v10, v9
	v_not_b32_e32 v9, v11
	v_cmp_gt_i64_e64 s[48:49], 0, v[10:11]
	v_ashrrev_i32_e32 v9, 31, v9
	; wave barrier
	s_nop 0
	v_xor_b32_e32 v10, s49, v9
	v_xor_b32_e32 v11, s48, v9
	ds_read_b32 v42, v44 offset:32
	v_and_b32_e32 v9, v8, v10
	v_and_b32_e32 v8, v46, v11
	v_mbcnt_lo_u32_b32 v10, v8, 0
	v_mbcnt_hi_u32_b32 v45, v9, v10
	v_cmp_eq_u32_e64 s[48:49], 0, v45
	v_cmp_ne_u64_e64 s[50:51], 0, v[8:9]
	s_and_b64 s[48:49], s[50:51], s[48:49]
	; wave barrier
	s_and_saveexec_b64 s[16:17], s[48:49]
	s_cbranch_execz .LBB1661_57
; %bb.56:
	v_bcnt_u32_b32 v8, v8, 0
	v_bcnt_u32_b32 v8, v9, v8
	s_waitcnt lgkmcnt(0)
	v_add_u32_e32 v8, v42, v8
	ds_write_b32 v44, v8 offset:32
.LBB1661_57:
	s_or_b64 exec, exec, s[16:17]
	v_lshrrev_b32_sdwa v8, s96, v14 dst_sel:DWORD dst_unused:UNUSED_PAD src0_sel:DWORD src1_sel:WORD_0
	v_and_b32_e32 v48, s5, v8
	v_and_b32_e32 v8, 1, v48
	v_mov_b32_e32 v9, 0
	v_lshl_add_u64 v[10:11], v[8:9], 0, -1
	v_cmp_ne_u32_e64 s[48:49], 0, v8
	v_mad_u32_u24 v47, v48, 36, v43
	s_nop 0
	v_xor_b32_e32 v10, s48, v10
	v_xor_b32_e32 v8, s49, v11
	v_and_b32_e32 v49, exec_lo, v10
	v_lshlrev_b32_e32 v11, 30, v48
	v_mov_b32_e32 v10, v9
	v_cmp_gt_i64_e64 s[48:49], 0, v[10:11]
	v_not_b32_e32 v10, v11
	v_ashrrev_i32_e32 v10, 31, v10
	v_and_b32_e32 v8, exec_hi, v8
	v_xor_b32_e32 v11, s49, v10
	v_xor_b32_e32 v10, s48, v10
	v_and_b32_e32 v8, v8, v11
	v_and_b32_e32 v49, v49, v10
	v_lshlrev_b32_e32 v11, 29, v48
	v_mov_b32_e32 v10, v9
	v_cmp_gt_i64_e64 s[48:49], 0, v[10:11]
	v_not_b32_e32 v10, v11
	v_ashrrev_i32_e32 v10, 31, v10
	v_xor_b32_e32 v11, s49, v10
	v_xor_b32_e32 v10, s48, v10
	v_and_b32_e32 v8, v8, v11
	v_and_b32_e32 v49, v49, v10
	v_lshlrev_b32_e32 v11, 28, v48
	v_mov_b32_e32 v10, v9
	v_cmp_gt_i64_e64 s[48:49], 0, v[10:11]
	v_not_b32_e32 v10, v11
	v_ashrrev_i32_e32 v10, 31, v10
	;; [unrolled: 9-line block ×4, first 2 shown]
	v_xor_b32_e32 v11, s49, v10
	v_xor_b32_e32 v10, s48, v10
	; wave barrier
	ds_read_b32 v46, v47 offset:32
	v_and_b32_e32 v10, v49, v10
	v_and_b32_e32 v11, v8, v11
	v_mbcnt_lo_u32_b32 v8, v10, 0
	v_mbcnt_hi_u32_b32 v48, v11, v8
	v_cmp_eq_u32_e64 s[48:49], 0, v48
	v_cmp_ne_u64_e64 s[50:51], 0, v[10:11]
	s_and_b64 s[48:49], s[50:51], s[48:49]
	; wave barrier
	s_and_saveexec_b64 s[16:17], s[48:49]
	s_cbranch_execz .LBB1661_59
; %bb.58:
	v_bcnt_u32_b32 v8, v10, 0
	v_bcnt_u32_b32 v8, v11, v8
	s_waitcnt lgkmcnt(0)
	v_add_u32_e32 v8, v46, v8
	ds_write_b32 v47, v8 offset:32
.LBB1661_59:
	s_or_b64 exec, exec, s[16:17]
	v_lshrrev_b32_sdwa v8, s96, v13 dst_sel:DWORD dst_unused:UNUSED_PAD src0_sel:DWORD src1_sel:WORD_0
	v_and_b32_e32 v51, s5, v8
	v_and_b32_e32 v8, 1, v51
	v_lshl_add_u64 v[10:11], v[8:9], 0, -1
	v_cmp_ne_u32_e64 s[48:49], 0, v8
	v_mad_u32_u24 v50, v51, 36, v43
	s_nop 0
	v_xor_b32_e32 v10, s48, v10
	v_xor_b32_e32 v8, s49, v11
	v_and_b32_e32 v52, exec_lo, v10
	v_lshlrev_b32_e32 v11, 30, v51
	v_mov_b32_e32 v10, v9
	v_cmp_gt_i64_e64 s[48:49], 0, v[10:11]
	v_not_b32_e32 v10, v11
	v_ashrrev_i32_e32 v10, 31, v10
	v_and_b32_e32 v8, exec_hi, v8
	v_xor_b32_e32 v11, s49, v10
	v_xor_b32_e32 v10, s48, v10
	v_and_b32_e32 v8, v8, v11
	v_and_b32_e32 v52, v52, v10
	v_lshlrev_b32_e32 v11, 29, v51
	v_mov_b32_e32 v10, v9
	v_cmp_gt_i64_e64 s[48:49], 0, v[10:11]
	v_not_b32_e32 v10, v11
	v_ashrrev_i32_e32 v10, 31, v10
	v_xor_b32_e32 v11, s49, v10
	v_xor_b32_e32 v10, s48, v10
	v_and_b32_e32 v8, v8, v11
	v_and_b32_e32 v52, v52, v10
	v_lshlrev_b32_e32 v11, 28, v51
	v_mov_b32_e32 v10, v9
	v_cmp_gt_i64_e64 s[48:49], 0, v[10:11]
	v_not_b32_e32 v10, v11
	v_ashrrev_i32_e32 v10, 31, v10
	;; [unrolled: 9-line block ×3, first 2 shown]
	v_xor_b32_e32 v11, s49, v10
	v_xor_b32_e32 v10, s48, v10
	v_and_b32_e32 v8, v8, v11
	v_lshlrev_b32_e32 v11, 26, v51
	v_and_b32_e32 v52, v52, v10
	v_mov_b32_e32 v10, v9
	v_not_b32_e32 v9, v11
	v_cmp_gt_i64_e64 s[48:49], 0, v[10:11]
	v_ashrrev_i32_e32 v9, 31, v9
	; wave barrier
	s_nop 0
	v_xor_b32_e32 v10, s49, v9
	v_xor_b32_e32 v11, s48, v9
	ds_read_b32 v49, v50 offset:32
	v_and_b32_e32 v9, v8, v10
	v_and_b32_e32 v8, v52, v11
	v_mbcnt_lo_u32_b32 v10, v8, 0
	v_mbcnt_hi_u32_b32 v51, v9, v10
	v_cmp_eq_u32_e64 s[48:49], 0, v51
	v_cmp_ne_u64_e64 s[50:51], 0, v[8:9]
	s_and_b64 s[48:49], s[50:51], s[48:49]
	; wave barrier
	s_and_saveexec_b64 s[16:17], s[48:49]
	s_cbranch_execz .LBB1661_61
; %bb.60:
	v_bcnt_u32_b32 v8, v8, 0
	v_bcnt_u32_b32 v8, v9, v8
	s_waitcnt lgkmcnt(0)
	v_add_u32_e32 v8, v49, v8
	ds_write_b32 v50, v8 offset:32
.LBB1661_61:
	s_or_b64 exec, exec, s[16:17]
	v_lshrrev_b32_sdwa v8, s96, v17 dst_sel:DWORD dst_unused:UNUSED_PAD src0_sel:DWORD src1_sel:WORD_0
	v_and_b32_e32 v54, s5, v8
	v_and_b32_e32 v8, 1, v54
	v_mov_b32_e32 v9, 0
	v_lshl_add_u64 v[10:11], v[8:9], 0, -1
	v_cmp_ne_u32_e64 s[48:49], 0, v8
	v_mad_u32_u24 v53, v54, 36, v43
	s_nop 0
	v_xor_b32_e32 v10, s48, v10
	v_xor_b32_e32 v8, s49, v11
	v_and_b32_e32 v55, exec_lo, v10
	v_lshlrev_b32_e32 v11, 30, v54
	v_mov_b32_e32 v10, v9
	v_cmp_gt_i64_e64 s[48:49], 0, v[10:11]
	v_not_b32_e32 v10, v11
	v_ashrrev_i32_e32 v10, 31, v10
	v_and_b32_e32 v8, exec_hi, v8
	v_xor_b32_e32 v11, s49, v10
	v_xor_b32_e32 v10, s48, v10
	v_and_b32_e32 v8, v8, v11
	v_and_b32_e32 v55, v55, v10
	v_lshlrev_b32_e32 v11, 29, v54
	v_mov_b32_e32 v10, v9
	v_cmp_gt_i64_e64 s[48:49], 0, v[10:11]
	v_not_b32_e32 v10, v11
	v_ashrrev_i32_e32 v10, 31, v10
	v_xor_b32_e32 v11, s49, v10
	v_xor_b32_e32 v10, s48, v10
	v_and_b32_e32 v8, v8, v11
	v_and_b32_e32 v55, v55, v10
	v_lshlrev_b32_e32 v11, 28, v54
	v_mov_b32_e32 v10, v9
	v_cmp_gt_i64_e64 s[48:49], 0, v[10:11]
	v_not_b32_e32 v10, v11
	v_ashrrev_i32_e32 v10, 31, v10
	;; [unrolled: 9-line block ×4, first 2 shown]
	v_xor_b32_e32 v11, s49, v10
	v_xor_b32_e32 v10, s48, v10
	; wave barrier
	ds_read_b32 v52, v53 offset:32
	v_and_b32_e32 v10, v55, v10
	v_and_b32_e32 v11, v8, v11
	v_mbcnt_lo_u32_b32 v8, v10, 0
	v_mbcnt_hi_u32_b32 v54, v11, v8
	v_cmp_eq_u32_e64 s[48:49], 0, v54
	v_cmp_ne_u64_e64 s[50:51], 0, v[10:11]
	s_and_b64 s[48:49], s[50:51], s[48:49]
	; wave barrier
	s_and_saveexec_b64 s[16:17], s[48:49]
	s_cbranch_execz .LBB1661_63
; %bb.62:
	v_bcnt_u32_b32 v8, v10, 0
	v_bcnt_u32_b32 v8, v11, v8
	s_waitcnt lgkmcnt(0)
	v_add_u32_e32 v8, v52, v8
	ds_write_b32 v53, v8 offset:32
.LBB1661_63:
	s_or_b64 exec, exec, s[16:17]
	v_lshrrev_b32_sdwa v8, s96, v16 dst_sel:DWORD dst_unused:UNUSED_PAD src0_sel:DWORD src1_sel:WORD_0
	v_and_b32_e32 v57, s5, v8
	v_and_b32_e32 v8, 1, v57
	v_lshl_add_u64 v[10:11], v[8:9], 0, -1
	v_cmp_ne_u32_e64 s[48:49], 0, v8
	v_mad_u32_u24 v56, v57, 36, v43
	s_nop 0
	v_xor_b32_e32 v10, s48, v10
	v_xor_b32_e32 v8, s49, v11
	v_and_b32_e32 v58, exec_lo, v10
	v_lshlrev_b32_e32 v11, 30, v57
	v_mov_b32_e32 v10, v9
	v_cmp_gt_i64_e64 s[48:49], 0, v[10:11]
	v_not_b32_e32 v10, v11
	v_ashrrev_i32_e32 v10, 31, v10
	v_and_b32_e32 v8, exec_hi, v8
	v_xor_b32_e32 v11, s49, v10
	v_xor_b32_e32 v10, s48, v10
	v_and_b32_e32 v8, v8, v11
	v_and_b32_e32 v58, v58, v10
	v_lshlrev_b32_e32 v11, 29, v57
	v_mov_b32_e32 v10, v9
	v_cmp_gt_i64_e64 s[48:49], 0, v[10:11]
	v_not_b32_e32 v10, v11
	v_ashrrev_i32_e32 v10, 31, v10
	v_xor_b32_e32 v11, s49, v10
	v_xor_b32_e32 v10, s48, v10
	v_and_b32_e32 v8, v8, v11
	v_and_b32_e32 v58, v58, v10
	v_lshlrev_b32_e32 v11, 28, v57
	v_mov_b32_e32 v10, v9
	v_cmp_gt_i64_e64 s[48:49], 0, v[10:11]
	v_not_b32_e32 v10, v11
	v_ashrrev_i32_e32 v10, 31, v10
	;; [unrolled: 9-line block ×3, first 2 shown]
	v_xor_b32_e32 v11, s49, v10
	v_xor_b32_e32 v10, s48, v10
	v_and_b32_e32 v8, v8, v11
	v_lshlrev_b32_e32 v11, 26, v57
	v_and_b32_e32 v58, v58, v10
	v_mov_b32_e32 v10, v9
	v_not_b32_e32 v9, v11
	v_cmp_gt_i64_e64 s[48:49], 0, v[10:11]
	v_ashrrev_i32_e32 v9, 31, v9
	; wave barrier
	s_nop 0
	v_xor_b32_e32 v10, s49, v9
	v_xor_b32_e32 v11, s48, v9
	ds_read_b32 v55, v56 offset:32
	v_and_b32_e32 v9, v8, v10
	v_and_b32_e32 v8, v58, v11
	v_mbcnt_lo_u32_b32 v10, v8, 0
	v_mbcnt_hi_u32_b32 v57, v9, v10
	v_cmp_eq_u32_e64 s[48:49], 0, v57
	v_cmp_ne_u64_e64 s[50:51], 0, v[8:9]
	s_and_b64 s[48:49], s[50:51], s[48:49]
	; wave barrier
	s_and_saveexec_b64 s[16:17], s[48:49]
	s_cbranch_execz .LBB1661_65
; %bb.64:
	v_bcnt_u32_b32 v8, v8, 0
	v_bcnt_u32_b32 v8, v9, v8
	s_waitcnt lgkmcnt(0)
	v_add_u32_e32 v8, v55, v8
	ds_write_b32 v56, v8 offset:32
.LBB1661_65:
	s_or_b64 exec, exec, s[16:17]
	v_lshrrev_b32_sdwa v8, s96, v19 dst_sel:DWORD dst_unused:UNUSED_PAD src0_sel:DWORD src1_sel:WORD_0
	v_and_b32_e32 v60, s5, v8
	v_and_b32_e32 v8, 1, v60
	v_mov_b32_e32 v9, 0
	v_lshl_add_u64 v[10:11], v[8:9], 0, -1
	v_cmp_ne_u32_e64 s[48:49], 0, v8
	v_mad_u32_u24 v59, v60, 36, v43
	s_nop 0
	v_xor_b32_e32 v10, s48, v10
	v_xor_b32_e32 v8, s49, v11
	v_and_b32_e32 v61, exec_lo, v10
	v_lshlrev_b32_e32 v11, 30, v60
	v_mov_b32_e32 v10, v9
	v_cmp_gt_i64_e64 s[48:49], 0, v[10:11]
	v_not_b32_e32 v10, v11
	v_ashrrev_i32_e32 v10, 31, v10
	v_and_b32_e32 v8, exec_hi, v8
	v_xor_b32_e32 v11, s49, v10
	v_xor_b32_e32 v10, s48, v10
	v_and_b32_e32 v8, v8, v11
	v_and_b32_e32 v61, v61, v10
	v_lshlrev_b32_e32 v11, 29, v60
	v_mov_b32_e32 v10, v9
	v_cmp_gt_i64_e64 s[48:49], 0, v[10:11]
	v_not_b32_e32 v10, v11
	v_ashrrev_i32_e32 v10, 31, v10
	v_xor_b32_e32 v11, s49, v10
	v_xor_b32_e32 v10, s48, v10
	v_and_b32_e32 v8, v8, v11
	v_and_b32_e32 v61, v61, v10
	v_lshlrev_b32_e32 v11, 28, v60
	v_mov_b32_e32 v10, v9
	v_cmp_gt_i64_e64 s[48:49], 0, v[10:11]
	v_not_b32_e32 v10, v11
	v_ashrrev_i32_e32 v10, 31, v10
	;; [unrolled: 9-line block ×4, first 2 shown]
	v_xor_b32_e32 v11, s49, v10
	v_xor_b32_e32 v10, s48, v10
	; wave barrier
	ds_read_b32 v58, v59 offset:32
	v_and_b32_e32 v10, v61, v10
	v_and_b32_e32 v11, v8, v11
	v_mbcnt_lo_u32_b32 v8, v10, 0
	v_mbcnt_hi_u32_b32 v60, v11, v8
	v_cmp_eq_u32_e64 s[48:49], 0, v60
	v_cmp_ne_u64_e64 s[50:51], 0, v[10:11]
	s_and_b64 s[48:49], s[50:51], s[48:49]
	; wave barrier
	s_and_saveexec_b64 s[16:17], s[48:49]
	s_cbranch_execz .LBB1661_67
; %bb.66:
	v_bcnt_u32_b32 v8, v10, 0
	v_bcnt_u32_b32 v8, v11, v8
	s_waitcnt lgkmcnt(0)
	v_add_u32_e32 v8, v58, v8
	ds_write_b32 v59, v8 offset:32
.LBB1661_67:
	s_or_b64 exec, exec, s[16:17]
	v_lshrrev_b32_sdwa v8, s96, v18 dst_sel:DWORD dst_unused:UNUSED_PAD src0_sel:DWORD src1_sel:WORD_0
	v_and_b32_e32 v63, s5, v8
	v_and_b32_e32 v8, 1, v63
	v_lshl_add_u64 v[10:11], v[8:9], 0, -1
	v_cmp_ne_u32_e64 s[48:49], 0, v8
	v_mad_u32_u24 v62, v63, 36, v43
	s_nop 0
	v_xor_b32_e32 v10, s48, v10
	v_xor_b32_e32 v8, s49, v11
	v_and_b32_e32 v64, exec_lo, v10
	v_lshlrev_b32_e32 v11, 30, v63
	v_mov_b32_e32 v10, v9
	v_cmp_gt_i64_e64 s[48:49], 0, v[10:11]
	v_not_b32_e32 v10, v11
	v_ashrrev_i32_e32 v10, 31, v10
	v_and_b32_e32 v8, exec_hi, v8
	v_xor_b32_e32 v11, s49, v10
	v_xor_b32_e32 v10, s48, v10
	v_and_b32_e32 v8, v8, v11
	v_and_b32_e32 v64, v64, v10
	v_lshlrev_b32_e32 v11, 29, v63
	v_mov_b32_e32 v10, v9
	v_cmp_gt_i64_e64 s[48:49], 0, v[10:11]
	v_not_b32_e32 v10, v11
	v_ashrrev_i32_e32 v10, 31, v10
	v_xor_b32_e32 v11, s49, v10
	v_xor_b32_e32 v10, s48, v10
	v_and_b32_e32 v8, v8, v11
	v_and_b32_e32 v64, v64, v10
	v_lshlrev_b32_e32 v11, 28, v63
	v_mov_b32_e32 v10, v9
	v_cmp_gt_i64_e64 s[48:49], 0, v[10:11]
	v_not_b32_e32 v10, v11
	v_ashrrev_i32_e32 v10, 31, v10
	;; [unrolled: 9-line block ×3, first 2 shown]
	v_xor_b32_e32 v11, s49, v10
	v_xor_b32_e32 v10, s48, v10
	v_and_b32_e32 v8, v8, v11
	v_lshlrev_b32_e32 v11, 26, v63
	v_and_b32_e32 v64, v64, v10
	v_mov_b32_e32 v10, v9
	v_not_b32_e32 v9, v11
	v_cmp_gt_i64_e64 s[48:49], 0, v[10:11]
	v_ashrrev_i32_e32 v9, 31, v9
	; wave barrier
	s_nop 0
	v_xor_b32_e32 v10, s49, v9
	v_xor_b32_e32 v11, s48, v9
	ds_read_b32 v61, v62 offset:32
	v_and_b32_e32 v9, v8, v10
	v_and_b32_e32 v8, v64, v11
	v_mbcnt_lo_u32_b32 v10, v8, 0
	v_mbcnt_hi_u32_b32 v63, v9, v10
	v_cmp_eq_u32_e64 s[48:49], 0, v63
	v_cmp_ne_u64_e64 s[50:51], 0, v[8:9]
	s_and_b64 s[48:49], s[50:51], s[48:49]
	; wave barrier
	s_and_saveexec_b64 s[16:17], s[48:49]
	s_cbranch_execz .LBB1661_69
; %bb.68:
	v_bcnt_u32_b32 v8, v8, 0
	v_bcnt_u32_b32 v8, v9, v8
	s_waitcnt lgkmcnt(0)
	v_add_u32_e32 v8, v61, v8
	ds_write_b32 v62, v8 offset:32
.LBB1661_69:
	s_or_b64 exec, exec, s[16:17]
	v_lshrrev_b32_sdwa v8, s96, v22 dst_sel:DWORD dst_unused:UNUSED_PAD src0_sel:DWORD src1_sel:WORD_0
	v_and_b32_e32 v66, s5, v8
	v_and_b32_e32 v8, 1, v66
	v_mov_b32_e32 v9, 0
	v_lshl_add_u64 v[10:11], v[8:9], 0, -1
	v_cmp_ne_u32_e64 s[48:49], 0, v8
	v_mad_u32_u24 v65, v66, 36, v43
	s_nop 0
	v_xor_b32_e32 v10, s48, v10
	v_xor_b32_e32 v8, s49, v11
	v_and_b32_e32 v67, exec_lo, v10
	v_lshlrev_b32_e32 v11, 30, v66
	v_mov_b32_e32 v10, v9
	v_cmp_gt_i64_e64 s[48:49], 0, v[10:11]
	v_not_b32_e32 v10, v11
	v_ashrrev_i32_e32 v10, 31, v10
	v_and_b32_e32 v8, exec_hi, v8
	v_xor_b32_e32 v11, s49, v10
	v_xor_b32_e32 v10, s48, v10
	v_and_b32_e32 v8, v8, v11
	v_and_b32_e32 v67, v67, v10
	v_lshlrev_b32_e32 v11, 29, v66
	v_mov_b32_e32 v10, v9
	v_cmp_gt_i64_e64 s[48:49], 0, v[10:11]
	v_not_b32_e32 v10, v11
	v_ashrrev_i32_e32 v10, 31, v10
	v_xor_b32_e32 v11, s49, v10
	v_xor_b32_e32 v10, s48, v10
	v_and_b32_e32 v8, v8, v11
	v_and_b32_e32 v67, v67, v10
	v_lshlrev_b32_e32 v11, 28, v66
	v_mov_b32_e32 v10, v9
	v_cmp_gt_i64_e64 s[48:49], 0, v[10:11]
	v_not_b32_e32 v10, v11
	v_ashrrev_i32_e32 v10, 31, v10
	;; [unrolled: 9-line block ×4, first 2 shown]
	v_xor_b32_e32 v11, s49, v10
	v_xor_b32_e32 v10, s48, v10
	; wave barrier
	ds_read_b32 v64, v65 offset:32
	v_and_b32_e32 v10, v67, v10
	v_and_b32_e32 v11, v8, v11
	v_mbcnt_lo_u32_b32 v8, v10, 0
	v_mbcnt_hi_u32_b32 v66, v11, v8
	v_cmp_eq_u32_e64 s[48:49], 0, v66
	v_cmp_ne_u64_e64 s[50:51], 0, v[10:11]
	s_and_b64 s[48:49], s[50:51], s[48:49]
	; wave barrier
	s_and_saveexec_b64 s[16:17], s[48:49]
	s_cbranch_execz .LBB1661_71
; %bb.70:
	v_bcnt_u32_b32 v8, v10, 0
	v_bcnt_u32_b32 v8, v11, v8
	s_waitcnt lgkmcnt(0)
	v_add_u32_e32 v8, v64, v8
	ds_write_b32 v65, v8 offset:32
.LBB1661_71:
	s_or_b64 exec, exec, s[16:17]
	v_lshrrev_b32_sdwa v8, s96, v21 dst_sel:DWORD dst_unused:UNUSED_PAD src0_sel:DWORD src1_sel:WORD_0
	v_and_b32_e32 v69, s5, v8
	v_and_b32_e32 v8, 1, v69
	v_lshl_add_u64 v[10:11], v[8:9], 0, -1
	v_cmp_ne_u32_e64 s[48:49], 0, v8
	v_mad_u32_u24 v68, v69, 36, v43
	s_nop 0
	v_xor_b32_e32 v10, s48, v10
	v_xor_b32_e32 v8, s49, v11
	v_and_b32_e32 v70, exec_lo, v10
	v_lshlrev_b32_e32 v11, 30, v69
	v_mov_b32_e32 v10, v9
	v_cmp_gt_i64_e64 s[48:49], 0, v[10:11]
	v_not_b32_e32 v10, v11
	v_ashrrev_i32_e32 v10, 31, v10
	v_and_b32_e32 v8, exec_hi, v8
	v_xor_b32_e32 v11, s49, v10
	v_xor_b32_e32 v10, s48, v10
	v_and_b32_e32 v8, v8, v11
	v_and_b32_e32 v70, v70, v10
	v_lshlrev_b32_e32 v11, 29, v69
	v_mov_b32_e32 v10, v9
	v_cmp_gt_i64_e64 s[48:49], 0, v[10:11]
	v_not_b32_e32 v10, v11
	v_ashrrev_i32_e32 v10, 31, v10
	v_xor_b32_e32 v11, s49, v10
	v_xor_b32_e32 v10, s48, v10
	v_and_b32_e32 v8, v8, v11
	v_and_b32_e32 v70, v70, v10
	v_lshlrev_b32_e32 v11, 28, v69
	v_mov_b32_e32 v10, v9
	v_cmp_gt_i64_e64 s[48:49], 0, v[10:11]
	v_not_b32_e32 v10, v11
	v_ashrrev_i32_e32 v10, 31, v10
	;; [unrolled: 9-line block ×3, first 2 shown]
	v_xor_b32_e32 v11, s49, v10
	v_xor_b32_e32 v10, s48, v10
	v_and_b32_e32 v8, v8, v11
	v_lshlrev_b32_e32 v11, 26, v69
	v_and_b32_e32 v70, v70, v10
	v_mov_b32_e32 v10, v9
	v_not_b32_e32 v9, v11
	v_cmp_gt_i64_e64 s[48:49], 0, v[10:11]
	v_ashrrev_i32_e32 v9, 31, v9
	; wave barrier
	s_nop 0
	v_xor_b32_e32 v10, s49, v9
	v_xor_b32_e32 v11, s48, v9
	ds_read_b32 v67, v68 offset:32
	v_and_b32_e32 v9, v8, v10
	v_and_b32_e32 v8, v70, v11
	v_mbcnt_lo_u32_b32 v10, v8, 0
	v_mbcnt_hi_u32_b32 v69, v9, v10
	v_cmp_eq_u32_e64 s[48:49], 0, v69
	v_cmp_ne_u64_e64 s[50:51], 0, v[8:9]
	s_and_b64 s[48:49], s[50:51], s[48:49]
	; wave barrier
	s_and_saveexec_b64 s[16:17], s[48:49]
	s_cbranch_execz .LBB1661_73
; %bb.72:
	v_bcnt_u32_b32 v8, v8, 0
	v_bcnt_u32_b32 v8, v9, v8
	s_waitcnt lgkmcnt(0)
	v_add_u32_e32 v8, v67, v8
	ds_write_b32 v68, v8 offset:32
.LBB1661_73:
	s_or_b64 exec, exec, s[16:17]
	v_lshrrev_b32_sdwa v8, s96, v24 dst_sel:DWORD dst_unused:UNUSED_PAD src0_sel:DWORD src1_sel:WORD_0
	v_and_b32_e32 v72, s5, v8
	v_and_b32_e32 v8, 1, v72
	v_mov_b32_e32 v9, 0
	v_lshl_add_u64 v[10:11], v[8:9], 0, -1
	v_cmp_ne_u32_e64 s[48:49], 0, v8
	v_mad_u32_u24 v70, v72, 36, v43
	s_nop 0
	v_xor_b32_e32 v10, s48, v10
	v_xor_b32_e32 v8, s49, v11
	v_and_b32_e32 v73, exec_lo, v10
	v_lshlrev_b32_e32 v11, 30, v72
	v_mov_b32_e32 v10, v9
	v_cmp_gt_i64_e64 s[48:49], 0, v[10:11]
	v_not_b32_e32 v10, v11
	v_ashrrev_i32_e32 v10, 31, v10
	v_and_b32_e32 v8, exec_hi, v8
	v_xor_b32_e32 v11, s49, v10
	v_xor_b32_e32 v10, s48, v10
	v_and_b32_e32 v8, v8, v11
	v_and_b32_e32 v73, v73, v10
	v_lshlrev_b32_e32 v11, 29, v72
	v_mov_b32_e32 v10, v9
	v_cmp_gt_i64_e64 s[48:49], 0, v[10:11]
	v_not_b32_e32 v10, v11
	v_ashrrev_i32_e32 v10, 31, v10
	v_xor_b32_e32 v11, s49, v10
	v_xor_b32_e32 v10, s48, v10
	v_and_b32_e32 v8, v8, v11
	v_and_b32_e32 v73, v73, v10
	v_lshlrev_b32_e32 v11, 28, v72
	v_mov_b32_e32 v10, v9
	v_cmp_gt_i64_e64 s[48:49], 0, v[10:11]
	v_not_b32_e32 v10, v11
	v_ashrrev_i32_e32 v10, 31, v10
	;; [unrolled: 9-line block ×4, first 2 shown]
	v_xor_b32_e32 v11, s49, v10
	v_xor_b32_e32 v10, s48, v10
	; wave barrier
	ds_read_b32 v71, v70 offset:32
	v_and_b32_e32 v10, v73, v10
	v_and_b32_e32 v11, v8, v11
	v_mbcnt_lo_u32_b32 v8, v10, 0
	v_mbcnt_hi_u32_b32 v72, v11, v8
	v_cmp_eq_u32_e64 s[48:49], 0, v72
	v_cmp_ne_u64_e64 s[50:51], 0, v[10:11]
	s_and_b64 s[48:49], s[50:51], s[48:49]
	; wave barrier
	s_and_saveexec_b64 s[16:17], s[48:49]
	s_cbranch_execz .LBB1661_75
; %bb.74:
	v_bcnt_u32_b32 v8, v10, 0
	v_bcnt_u32_b32 v8, v11, v8
	s_waitcnt lgkmcnt(0)
	v_add_u32_e32 v8, v71, v8
	ds_write_b32 v70, v8 offset:32
.LBB1661_75:
	s_or_b64 exec, exec, s[16:17]
	v_lshrrev_b32_sdwa v8, s96, v23 dst_sel:DWORD dst_unused:UNUSED_PAD src0_sel:DWORD src1_sel:WORD_0
	v_and_b32_e32 v75, s5, v8
	v_and_b32_e32 v8, 1, v75
	v_lshl_add_u64 v[10:11], v[8:9], 0, -1
	v_cmp_ne_u32_e64 s[48:49], 0, v8
	v_mad_u32_u24 v74, v75, 36, v43
	s_nop 0
	v_xor_b32_e32 v10, s48, v10
	v_xor_b32_e32 v8, s49, v11
	v_and_b32_e32 v76, exec_lo, v10
	v_lshlrev_b32_e32 v11, 30, v75
	v_mov_b32_e32 v10, v9
	v_cmp_gt_i64_e64 s[48:49], 0, v[10:11]
	v_not_b32_e32 v10, v11
	v_ashrrev_i32_e32 v10, 31, v10
	v_and_b32_e32 v8, exec_hi, v8
	v_xor_b32_e32 v11, s49, v10
	v_xor_b32_e32 v10, s48, v10
	v_and_b32_e32 v8, v8, v11
	v_and_b32_e32 v76, v76, v10
	v_lshlrev_b32_e32 v11, 29, v75
	v_mov_b32_e32 v10, v9
	v_cmp_gt_i64_e64 s[48:49], 0, v[10:11]
	v_not_b32_e32 v10, v11
	v_ashrrev_i32_e32 v10, 31, v10
	v_xor_b32_e32 v11, s49, v10
	v_xor_b32_e32 v10, s48, v10
	v_and_b32_e32 v8, v8, v11
	v_and_b32_e32 v76, v76, v10
	v_lshlrev_b32_e32 v11, 28, v75
	v_mov_b32_e32 v10, v9
	v_cmp_gt_i64_e64 s[48:49], 0, v[10:11]
	v_not_b32_e32 v10, v11
	v_ashrrev_i32_e32 v10, 31, v10
	;; [unrolled: 9-line block ×3, first 2 shown]
	v_xor_b32_e32 v11, s49, v10
	v_xor_b32_e32 v10, s48, v10
	v_and_b32_e32 v8, v8, v11
	v_lshlrev_b32_e32 v11, 26, v75
	v_and_b32_e32 v76, v76, v10
	v_mov_b32_e32 v10, v9
	v_not_b32_e32 v9, v11
	v_cmp_gt_i64_e64 s[48:49], 0, v[10:11]
	v_ashrrev_i32_e32 v9, 31, v9
	; wave barrier
	s_nop 0
	v_xor_b32_e32 v10, s49, v9
	v_xor_b32_e32 v11, s48, v9
	ds_read_b32 v73, v74 offset:32
	v_and_b32_e32 v9, v8, v10
	v_and_b32_e32 v8, v76, v11
	v_mbcnt_lo_u32_b32 v10, v8, 0
	v_mbcnt_hi_u32_b32 v75, v9, v10
	v_cmp_eq_u32_e64 s[48:49], 0, v75
	v_cmp_ne_u64_e64 s[50:51], 0, v[8:9]
	s_and_b64 s[48:49], s[50:51], s[48:49]
	; wave barrier
	s_and_saveexec_b64 s[16:17], s[48:49]
	s_cbranch_execz .LBB1661_77
; %bb.76:
	v_bcnt_u32_b32 v8, v8, 0
	v_bcnt_u32_b32 v8, v9, v8
	s_waitcnt lgkmcnt(0)
	v_add_u32_e32 v8, v73, v8
	ds_write_b32 v74, v8 offset:32
.LBB1661_77:
	s_or_b64 exec, exec, s[16:17]
	v_lshrrev_b32_sdwa v8, s96, v26 dst_sel:DWORD dst_unused:UNUSED_PAD src0_sel:DWORD src1_sel:WORD_0
	v_and_b32_e32 v78, s5, v8
	v_and_b32_e32 v8, 1, v78
	v_mov_b32_e32 v9, 0
	v_lshl_add_u64 v[10:11], v[8:9], 0, -1
	v_cmp_ne_u32_e64 s[48:49], 0, v8
	v_mad_u32_u24 v77, v78, 36, v43
	s_nop 0
	v_xor_b32_e32 v10, s48, v10
	v_xor_b32_e32 v8, s49, v11
	v_and_b32_e32 v79, exec_lo, v10
	v_lshlrev_b32_e32 v11, 30, v78
	v_mov_b32_e32 v10, v9
	v_cmp_gt_i64_e64 s[48:49], 0, v[10:11]
	v_not_b32_e32 v10, v11
	v_ashrrev_i32_e32 v10, 31, v10
	v_and_b32_e32 v8, exec_hi, v8
	v_xor_b32_e32 v11, s49, v10
	v_xor_b32_e32 v10, s48, v10
	v_and_b32_e32 v8, v8, v11
	v_and_b32_e32 v79, v79, v10
	v_lshlrev_b32_e32 v11, 29, v78
	v_mov_b32_e32 v10, v9
	v_cmp_gt_i64_e64 s[48:49], 0, v[10:11]
	v_not_b32_e32 v10, v11
	v_ashrrev_i32_e32 v10, 31, v10
	v_xor_b32_e32 v11, s49, v10
	v_xor_b32_e32 v10, s48, v10
	v_and_b32_e32 v8, v8, v11
	v_and_b32_e32 v79, v79, v10
	v_lshlrev_b32_e32 v11, 28, v78
	v_mov_b32_e32 v10, v9
	v_cmp_gt_i64_e64 s[48:49], 0, v[10:11]
	v_not_b32_e32 v10, v11
	v_ashrrev_i32_e32 v10, 31, v10
	;; [unrolled: 9-line block ×4, first 2 shown]
	v_xor_b32_e32 v11, s49, v10
	v_xor_b32_e32 v10, s48, v10
	; wave barrier
	ds_read_b32 v76, v77 offset:32
	v_and_b32_e32 v10, v79, v10
	v_and_b32_e32 v11, v8, v11
	v_mbcnt_lo_u32_b32 v8, v10, 0
	v_mbcnt_hi_u32_b32 v78, v11, v8
	v_cmp_eq_u32_e64 s[48:49], 0, v78
	v_cmp_ne_u64_e64 s[50:51], 0, v[10:11]
	s_and_b64 s[48:49], s[50:51], s[48:49]
	; wave barrier
	s_and_saveexec_b64 s[16:17], s[48:49]
	s_cbranch_execz .LBB1661_79
; %bb.78:
	v_bcnt_u32_b32 v8, v10, 0
	v_bcnt_u32_b32 v8, v11, v8
	s_waitcnt lgkmcnt(0)
	v_add_u32_e32 v8, v76, v8
	ds_write_b32 v77, v8 offset:32
.LBB1661_79:
	s_or_b64 exec, exec, s[16:17]
	v_lshrrev_b32_sdwa v8, s96, v25 dst_sel:DWORD dst_unused:UNUSED_PAD src0_sel:DWORD src1_sel:WORD_0
	v_and_b32_e32 v81, s5, v8
	v_and_b32_e32 v8, 1, v81
	v_lshl_add_u64 v[10:11], v[8:9], 0, -1
	v_cmp_ne_u32_e64 s[48:49], 0, v8
	v_mad_u32_u24 v80, v81, 36, v43
	s_nop 0
	v_xor_b32_e32 v10, s48, v10
	v_xor_b32_e32 v8, s49, v11
	v_and_b32_e32 v82, exec_lo, v10
	v_lshlrev_b32_e32 v11, 30, v81
	v_mov_b32_e32 v10, v9
	v_cmp_gt_i64_e64 s[48:49], 0, v[10:11]
	v_not_b32_e32 v10, v11
	v_ashrrev_i32_e32 v10, 31, v10
	v_and_b32_e32 v8, exec_hi, v8
	v_xor_b32_e32 v11, s49, v10
	v_xor_b32_e32 v10, s48, v10
	v_and_b32_e32 v8, v8, v11
	v_and_b32_e32 v82, v82, v10
	v_lshlrev_b32_e32 v11, 29, v81
	v_mov_b32_e32 v10, v9
	v_cmp_gt_i64_e64 s[48:49], 0, v[10:11]
	v_not_b32_e32 v10, v11
	v_ashrrev_i32_e32 v10, 31, v10
	v_xor_b32_e32 v11, s49, v10
	v_xor_b32_e32 v10, s48, v10
	v_and_b32_e32 v8, v8, v11
	v_and_b32_e32 v82, v82, v10
	v_lshlrev_b32_e32 v11, 28, v81
	v_mov_b32_e32 v10, v9
	v_cmp_gt_i64_e64 s[48:49], 0, v[10:11]
	v_not_b32_e32 v10, v11
	v_ashrrev_i32_e32 v10, 31, v10
	;; [unrolled: 9-line block ×3, first 2 shown]
	v_xor_b32_e32 v11, s49, v10
	v_xor_b32_e32 v10, s48, v10
	v_and_b32_e32 v8, v8, v11
	v_lshlrev_b32_e32 v11, 26, v81
	v_and_b32_e32 v82, v82, v10
	v_mov_b32_e32 v10, v9
	v_not_b32_e32 v9, v11
	v_cmp_gt_i64_e64 s[48:49], 0, v[10:11]
	v_ashrrev_i32_e32 v9, 31, v9
	; wave barrier
	s_nop 0
	v_xor_b32_e32 v10, s49, v9
	v_xor_b32_e32 v11, s48, v9
	ds_read_b32 v79, v80 offset:32
	v_and_b32_e32 v9, v8, v10
	v_and_b32_e32 v8, v82, v11
	v_mbcnt_lo_u32_b32 v10, v8, 0
	v_mbcnt_hi_u32_b32 v81, v9, v10
	v_cmp_eq_u32_e64 s[48:49], 0, v81
	v_cmp_ne_u64_e64 s[50:51], 0, v[8:9]
	s_and_b64 s[48:49], s[50:51], s[48:49]
	; wave barrier
	s_and_saveexec_b64 s[16:17], s[48:49]
	s_cbranch_execz .LBB1661_81
; %bb.80:
	v_bcnt_u32_b32 v8, v8, 0
	v_bcnt_u32_b32 v8, v9, v8
	s_waitcnt lgkmcnt(0)
	v_add_u32_e32 v8, v79, v8
	ds_write_b32 v80, v8 offset:32
.LBB1661_81:
	s_or_b64 exec, exec, s[16:17]
	v_lshrrev_b32_sdwa v8, s96, v28 dst_sel:DWORD dst_unused:UNUSED_PAD src0_sel:DWORD src1_sel:WORD_0
	v_and_b32_e32 v84, s5, v8
	v_and_b32_e32 v8, 1, v84
	v_mov_b32_e32 v9, 0
	v_lshl_add_u64 v[10:11], v[8:9], 0, -1
	v_cmp_ne_u32_e64 s[48:49], 0, v8
	v_mad_u32_u24 v83, v84, 36, v43
	s_nop 0
	v_xor_b32_e32 v10, s48, v10
	v_xor_b32_e32 v8, s49, v11
	v_and_b32_e32 v85, exec_lo, v10
	v_lshlrev_b32_e32 v11, 30, v84
	v_mov_b32_e32 v10, v9
	v_cmp_gt_i64_e64 s[48:49], 0, v[10:11]
	v_not_b32_e32 v10, v11
	v_ashrrev_i32_e32 v10, 31, v10
	v_and_b32_e32 v8, exec_hi, v8
	v_xor_b32_e32 v11, s49, v10
	v_xor_b32_e32 v10, s48, v10
	v_and_b32_e32 v8, v8, v11
	v_and_b32_e32 v85, v85, v10
	v_lshlrev_b32_e32 v11, 29, v84
	v_mov_b32_e32 v10, v9
	v_cmp_gt_i64_e64 s[48:49], 0, v[10:11]
	v_not_b32_e32 v10, v11
	v_ashrrev_i32_e32 v10, 31, v10
	v_xor_b32_e32 v11, s49, v10
	v_xor_b32_e32 v10, s48, v10
	v_and_b32_e32 v8, v8, v11
	v_and_b32_e32 v85, v85, v10
	v_lshlrev_b32_e32 v11, 28, v84
	v_mov_b32_e32 v10, v9
	v_cmp_gt_i64_e64 s[48:49], 0, v[10:11]
	v_not_b32_e32 v10, v11
	v_ashrrev_i32_e32 v10, 31, v10
	;; [unrolled: 9-line block ×4, first 2 shown]
	v_xor_b32_e32 v11, s49, v10
	v_xor_b32_e32 v10, s48, v10
	; wave barrier
	ds_read_b32 v82, v83 offset:32
	v_and_b32_e32 v10, v85, v10
	v_and_b32_e32 v11, v8, v11
	v_mbcnt_lo_u32_b32 v8, v10, 0
	v_mbcnt_hi_u32_b32 v84, v11, v8
	v_cmp_eq_u32_e64 s[48:49], 0, v84
	v_cmp_ne_u64_e64 s[50:51], 0, v[10:11]
	s_and_b64 s[48:49], s[50:51], s[48:49]
	; wave barrier
	s_and_saveexec_b64 s[16:17], s[48:49]
	s_cbranch_execz .LBB1661_83
; %bb.82:
	v_bcnt_u32_b32 v8, v10, 0
	v_bcnt_u32_b32 v8, v11, v8
	s_waitcnt lgkmcnt(0)
	v_add_u32_e32 v8, v82, v8
	ds_write_b32 v83, v8 offset:32
.LBB1661_83:
	s_or_b64 exec, exec, s[16:17]
	v_lshrrev_b32_sdwa v8, s96, v27 dst_sel:DWORD dst_unused:UNUSED_PAD src0_sel:DWORD src1_sel:WORD_0
	v_and_b32_e32 v87, s5, v8
	v_and_b32_e32 v8, 1, v87
	v_lshl_add_u64 v[10:11], v[8:9], 0, -1
	v_cmp_ne_u32_e64 s[48:49], 0, v8
	v_mad_u32_u24 v86, v87, 36, v43
	s_nop 0
	v_xor_b32_e32 v10, s48, v10
	v_xor_b32_e32 v8, s49, v11
	v_and_b32_e32 v88, exec_lo, v10
	v_lshlrev_b32_e32 v11, 30, v87
	v_mov_b32_e32 v10, v9
	v_cmp_gt_i64_e64 s[48:49], 0, v[10:11]
	v_not_b32_e32 v10, v11
	v_ashrrev_i32_e32 v10, 31, v10
	v_and_b32_e32 v8, exec_hi, v8
	v_xor_b32_e32 v11, s49, v10
	v_xor_b32_e32 v10, s48, v10
	v_and_b32_e32 v8, v8, v11
	v_and_b32_e32 v88, v88, v10
	v_lshlrev_b32_e32 v11, 29, v87
	v_mov_b32_e32 v10, v9
	v_cmp_gt_i64_e64 s[48:49], 0, v[10:11]
	v_not_b32_e32 v10, v11
	v_ashrrev_i32_e32 v10, 31, v10
	v_xor_b32_e32 v11, s49, v10
	v_xor_b32_e32 v10, s48, v10
	v_and_b32_e32 v8, v8, v11
	v_and_b32_e32 v88, v88, v10
	v_lshlrev_b32_e32 v11, 28, v87
	v_mov_b32_e32 v10, v9
	v_cmp_gt_i64_e64 s[48:49], 0, v[10:11]
	v_not_b32_e32 v10, v11
	v_ashrrev_i32_e32 v10, 31, v10
	;; [unrolled: 9-line block ×3, first 2 shown]
	v_xor_b32_e32 v11, s49, v10
	v_xor_b32_e32 v10, s48, v10
	v_and_b32_e32 v8, v8, v11
	v_lshlrev_b32_e32 v11, 26, v87
	v_and_b32_e32 v88, v88, v10
	v_mov_b32_e32 v10, v9
	v_not_b32_e32 v9, v11
	v_cmp_gt_i64_e64 s[48:49], 0, v[10:11]
	v_ashrrev_i32_e32 v9, 31, v9
	; wave barrier
	s_nop 0
	v_xor_b32_e32 v10, s49, v9
	v_xor_b32_e32 v11, s48, v9
	ds_read_b32 v85, v86 offset:32
	v_and_b32_e32 v9, v8, v10
	v_and_b32_e32 v8, v88, v11
	v_mbcnt_lo_u32_b32 v10, v8, 0
	v_mbcnt_hi_u32_b32 v87, v9, v10
	v_cmp_eq_u32_e64 s[48:49], 0, v87
	v_cmp_ne_u64_e64 s[50:51], 0, v[8:9]
	s_and_b64 s[48:49], s[50:51], s[48:49]
	; wave barrier
	s_and_saveexec_b64 s[16:17], s[48:49]
	s_cbranch_execz .LBB1661_85
; %bb.84:
	v_bcnt_u32_b32 v8, v8, 0
	v_bcnt_u32_b32 v8, v9, v8
	s_waitcnt lgkmcnt(0)
	v_add_u32_e32 v8, v85, v8
	ds_write_b32 v86, v8 offset:32
.LBB1661_85:
	s_or_b64 exec, exec, s[16:17]
	v_lshrrev_b32_sdwa v8, s96, v30 dst_sel:DWORD dst_unused:UNUSED_PAD src0_sel:DWORD src1_sel:WORD_0
	v_and_b32_e32 v90, s5, v8
	v_and_b32_e32 v8, 1, v90
	v_mov_b32_e32 v9, 0
	v_lshl_add_u64 v[10:11], v[8:9], 0, -1
	v_cmp_ne_u32_e64 s[48:49], 0, v8
	v_mad_u32_u24 v89, v90, 36, v43
	s_nop 0
	v_xor_b32_e32 v10, s48, v10
	v_xor_b32_e32 v8, s49, v11
	v_and_b32_e32 v91, exec_lo, v10
	v_lshlrev_b32_e32 v11, 30, v90
	v_mov_b32_e32 v10, v9
	v_cmp_gt_i64_e64 s[48:49], 0, v[10:11]
	v_not_b32_e32 v10, v11
	v_ashrrev_i32_e32 v10, 31, v10
	v_and_b32_e32 v8, exec_hi, v8
	v_xor_b32_e32 v11, s49, v10
	v_xor_b32_e32 v10, s48, v10
	v_and_b32_e32 v8, v8, v11
	v_and_b32_e32 v91, v91, v10
	v_lshlrev_b32_e32 v11, 29, v90
	v_mov_b32_e32 v10, v9
	v_cmp_gt_i64_e64 s[48:49], 0, v[10:11]
	v_not_b32_e32 v10, v11
	v_ashrrev_i32_e32 v10, 31, v10
	v_xor_b32_e32 v11, s49, v10
	v_xor_b32_e32 v10, s48, v10
	v_and_b32_e32 v8, v8, v11
	v_and_b32_e32 v91, v91, v10
	v_lshlrev_b32_e32 v11, 28, v90
	v_mov_b32_e32 v10, v9
	v_cmp_gt_i64_e64 s[48:49], 0, v[10:11]
	v_not_b32_e32 v10, v11
	v_ashrrev_i32_e32 v10, 31, v10
	;; [unrolled: 9-line block ×4, first 2 shown]
	v_xor_b32_e32 v11, s49, v10
	v_xor_b32_e32 v10, s48, v10
	; wave barrier
	ds_read_b32 v88, v89 offset:32
	v_and_b32_e32 v10, v91, v10
	v_and_b32_e32 v11, v8, v11
	v_mbcnt_lo_u32_b32 v8, v10, 0
	v_mbcnt_hi_u32_b32 v90, v11, v8
	v_cmp_eq_u32_e64 s[48:49], 0, v90
	v_cmp_ne_u64_e64 s[50:51], 0, v[10:11]
	s_and_b64 s[48:49], s[50:51], s[48:49]
	; wave barrier
	s_and_saveexec_b64 s[16:17], s[48:49]
	s_cbranch_execz .LBB1661_87
; %bb.86:
	v_bcnt_u32_b32 v8, v10, 0
	v_bcnt_u32_b32 v8, v11, v8
	s_waitcnt lgkmcnt(0)
	v_add_u32_e32 v8, v88, v8
	ds_write_b32 v89, v8 offset:32
.LBB1661_87:
	s_or_b64 exec, exec, s[16:17]
	v_lshrrev_b32_sdwa v8, s96, v29 dst_sel:DWORD dst_unused:UNUSED_PAD src0_sel:DWORD src1_sel:WORD_0
	v_and_b32_e32 v93, s5, v8
	v_and_b32_e32 v8, 1, v93
	v_lshl_add_u64 v[10:11], v[8:9], 0, -1
	v_cmp_ne_u32_e64 s[48:49], 0, v8
	v_mad_u32_u24 v92, v93, 36, v43
	s_nop 0
	v_xor_b32_e32 v10, s48, v10
	v_xor_b32_e32 v8, s49, v11
	v_and_b32_e32 v94, exec_lo, v10
	v_lshlrev_b32_e32 v11, 30, v93
	v_mov_b32_e32 v10, v9
	v_cmp_gt_i64_e64 s[48:49], 0, v[10:11]
	v_not_b32_e32 v10, v11
	v_ashrrev_i32_e32 v10, 31, v10
	v_and_b32_e32 v8, exec_hi, v8
	v_xor_b32_e32 v11, s49, v10
	v_xor_b32_e32 v10, s48, v10
	v_and_b32_e32 v8, v8, v11
	v_and_b32_e32 v94, v94, v10
	v_lshlrev_b32_e32 v11, 29, v93
	v_mov_b32_e32 v10, v9
	v_cmp_gt_i64_e64 s[48:49], 0, v[10:11]
	v_not_b32_e32 v10, v11
	v_ashrrev_i32_e32 v10, 31, v10
	v_xor_b32_e32 v11, s49, v10
	v_xor_b32_e32 v10, s48, v10
	v_and_b32_e32 v8, v8, v11
	v_and_b32_e32 v94, v94, v10
	v_lshlrev_b32_e32 v11, 28, v93
	v_mov_b32_e32 v10, v9
	v_cmp_gt_i64_e64 s[48:49], 0, v[10:11]
	v_not_b32_e32 v10, v11
	v_ashrrev_i32_e32 v10, 31, v10
	;; [unrolled: 9-line block ×3, first 2 shown]
	v_xor_b32_e32 v11, s49, v10
	v_xor_b32_e32 v10, s48, v10
	v_and_b32_e32 v8, v8, v11
	v_lshlrev_b32_e32 v11, 26, v93
	v_and_b32_e32 v94, v94, v10
	v_mov_b32_e32 v10, v9
	v_not_b32_e32 v9, v11
	v_cmp_gt_i64_e64 s[48:49], 0, v[10:11]
	v_ashrrev_i32_e32 v9, 31, v9
	; wave barrier
	s_nop 0
	v_xor_b32_e32 v10, s49, v9
	v_xor_b32_e32 v11, s48, v9
	ds_read_b32 v91, v92 offset:32
	v_and_b32_e32 v9, v8, v10
	v_and_b32_e32 v8, v94, v11
	v_mbcnt_lo_u32_b32 v10, v8, 0
	v_mbcnt_hi_u32_b32 v93, v9, v10
	v_cmp_eq_u32_e64 s[48:49], 0, v93
	v_cmp_ne_u64_e64 s[50:51], 0, v[8:9]
	s_and_b64 s[48:49], s[50:51], s[48:49]
	; wave barrier
	s_and_saveexec_b64 s[16:17], s[48:49]
	s_cbranch_execz .LBB1661_89
; %bb.88:
	v_bcnt_u32_b32 v8, v8, 0
	v_bcnt_u32_b32 v8, v9, v8
	s_waitcnt lgkmcnt(0)
	v_add_u32_e32 v8, v91, v8
	ds_write_b32 v92, v8 offset:32
.LBB1661_89:
	s_or_b64 exec, exec, s[16:17]
	v_lshrrev_b32_sdwa v8, s96, v32 dst_sel:DWORD dst_unused:UNUSED_PAD src0_sel:DWORD src1_sel:WORD_0
	v_and_b32_e32 v96, s5, v8
	v_and_b32_e32 v8, 1, v96
	v_mov_b32_e32 v9, 0
	v_lshl_add_u64 v[10:11], v[8:9], 0, -1
	v_cmp_ne_u32_e64 s[48:49], 0, v8
	v_mad_u32_u24 v95, v96, 36, v43
	s_nop 0
	v_xor_b32_e32 v10, s48, v10
	v_xor_b32_e32 v8, s49, v11
	v_and_b32_e32 v97, exec_lo, v10
	v_lshlrev_b32_e32 v11, 30, v96
	v_mov_b32_e32 v10, v9
	v_cmp_gt_i64_e64 s[48:49], 0, v[10:11]
	v_not_b32_e32 v10, v11
	v_ashrrev_i32_e32 v10, 31, v10
	v_and_b32_e32 v8, exec_hi, v8
	v_xor_b32_e32 v11, s49, v10
	v_xor_b32_e32 v10, s48, v10
	v_and_b32_e32 v8, v8, v11
	v_and_b32_e32 v97, v97, v10
	v_lshlrev_b32_e32 v11, 29, v96
	v_mov_b32_e32 v10, v9
	v_cmp_gt_i64_e64 s[48:49], 0, v[10:11]
	v_not_b32_e32 v10, v11
	v_ashrrev_i32_e32 v10, 31, v10
	v_xor_b32_e32 v11, s49, v10
	v_xor_b32_e32 v10, s48, v10
	v_and_b32_e32 v8, v8, v11
	v_and_b32_e32 v97, v97, v10
	v_lshlrev_b32_e32 v11, 28, v96
	v_mov_b32_e32 v10, v9
	v_cmp_gt_i64_e64 s[48:49], 0, v[10:11]
	v_not_b32_e32 v10, v11
	v_ashrrev_i32_e32 v10, 31, v10
	;; [unrolled: 9-line block ×4, first 2 shown]
	v_xor_b32_e32 v11, s49, v10
	v_xor_b32_e32 v10, s48, v10
	; wave barrier
	ds_read_b32 v94, v95 offset:32
	v_and_b32_e32 v10, v97, v10
	v_and_b32_e32 v11, v8, v11
	v_mbcnt_lo_u32_b32 v8, v10, 0
	v_mbcnt_hi_u32_b32 v96, v11, v8
	v_cmp_eq_u32_e64 s[48:49], 0, v96
	v_cmp_ne_u64_e64 s[50:51], 0, v[10:11]
	s_and_b64 s[48:49], s[50:51], s[48:49]
	; wave barrier
	s_and_saveexec_b64 s[16:17], s[48:49]
	s_cbranch_execz .LBB1661_91
; %bb.90:
	v_bcnt_u32_b32 v8, v10, 0
	v_bcnt_u32_b32 v8, v11, v8
	s_waitcnt lgkmcnt(0)
	v_add_u32_e32 v8, v94, v8
	ds_write_b32 v95, v8 offset:32
.LBB1661_91:
	s_or_b64 exec, exec, s[16:17]
	v_lshrrev_b32_sdwa v8, s96, v31 dst_sel:DWORD dst_unused:UNUSED_PAD src0_sel:DWORD src1_sel:WORD_0
	v_and_b32_e32 v97, s5, v8
	v_and_b32_e32 v8, 1, v97
	v_lshl_add_u64 v[98:99], v[8:9], 0, -1
	v_cmp_ne_u32_e64 s[48:49], 0, v8
	v_mad_u32_u24 v11, v97, 36, v43
	s_nop 0
	v_xor_b32_e32 v8, s49, v99
	v_xor_b32_e32 v43, s48, v98
	v_lshlrev_b32_e32 v99, 30, v97
	v_mov_b32_e32 v98, v9
	v_cmp_gt_i64_e64 s[48:49], 0, v[98:99]
	v_not_b32_e32 v98, v99
	v_ashrrev_i32_e32 v98, 31, v98
	v_and_b32_e32 v8, exec_hi, v8
	v_and_b32_e32 v43, exec_lo, v43
	v_xor_b32_e32 v99, s49, v98
	v_xor_b32_e32 v98, s48, v98
	v_and_b32_e32 v8, v8, v99
	v_and_b32_e32 v43, v43, v98
	v_lshlrev_b32_e32 v99, 29, v97
	v_mov_b32_e32 v98, v9
	v_cmp_gt_i64_e64 s[48:49], 0, v[98:99]
	v_not_b32_e32 v98, v99
	v_ashrrev_i32_e32 v98, 31, v98
	v_xor_b32_e32 v99, s49, v98
	v_xor_b32_e32 v98, s48, v98
	v_and_b32_e32 v8, v8, v99
	v_and_b32_e32 v43, v43, v98
	v_lshlrev_b32_e32 v99, 28, v97
	v_mov_b32_e32 v98, v9
	v_cmp_gt_i64_e64 s[48:49], 0, v[98:99]
	v_not_b32_e32 v98, v99
	v_ashrrev_i32_e32 v98, 31, v98
	;; [unrolled: 9-line block ×3, first 2 shown]
	v_xor_b32_e32 v99, s49, v98
	v_xor_b32_e32 v98, s48, v98
	v_and_b32_e32 v8, v8, v99
	v_lshlrev_b32_e32 v99, 26, v97
	v_and_b32_e32 v43, v43, v98
	v_mov_b32_e32 v98, v9
	v_not_b32_e32 v9, v99
	v_cmp_gt_i64_e64 s[48:49], 0, v[98:99]
	v_ashrrev_i32_e32 v9, 31, v9
	; wave barrier
	s_nop 0
	v_xor_b32_e32 v97, s49, v9
	v_xor_b32_e32 v98, s48, v9
	ds_read_b32 v10, v11 offset:32
	v_and_b32_e32 v9, v8, v97
	v_and_b32_e32 v8, v43, v98
	v_mbcnt_lo_u32_b32 v43, v8, 0
	v_mbcnt_hi_u32_b32 v97, v9, v43
	v_cmp_eq_u32_e64 s[48:49], 0, v97
	v_cmp_ne_u64_e64 s[50:51], 0, v[8:9]
	s_and_b64 s[48:49], s[50:51], s[48:49]
	; wave barrier
	s_and_saveexec_b64 s[16:17], s[48:49]
	s_cbranch_execz .LBB1661_93
; %bb.92:
	v_bcnt_u32_b32 v8, v8, 0
	v_bcnt_u32_b32 v8, v9, v8
	s_waitcnt lgkmcnt(0)
	v_add_u32_e32 v8, v10, v8
	ds_write_b32 v11, v8 offset:32
.LBB1661_93:
	s_or_b64 exec, exec, s[16:17]
	; wave barrier
	s_waitcnt lgkmcnt(0)
	s_barrier
	ds_read_b64 v[8:9], v33 offset:32
	v_and_b32_e32 v43, 15, v15
	v_cmp_ne_u32_e64 s[48:49], 0, v43
	v_min_u32_e32 v20, 0x1c0, v20
	v_or_b32_e32 v20, 63, v20
	s_waitcnt lgkmcnt(0)
	v_add_u32_e32 v9, v9, v8
	s_nop 1
	v_mov_b32_dpp v98, v9 row_shr:1 row_mask:0xf bank_mask:0xf
	v_cndmask_b32_e64 v98, 0, v98, s[48:49]
	v_add_u32_e32 v9, v98, v9
	v_cmp_lt_u32_e64 s[48:49], 1, v43
	s_nop 0
	v_mov_b32_dpp v98, v9 row_shr:2 row_mask:0xf bank_mask:0xf
	v_cndmask_b32_e64 v98, 0, v98, s[48:49]
	v_add_u32_e32 v9, v9, v98
	v_cmp_lt_u32_e64 s[48:49], 3, v43
	;; [unrolled: 5-line block ×3, first 2 shown]
	s_nop 0
	v_mov_b32_dpp v98, v9 row_shr:8 row_mask:0xf bank_mask:0xf
	v_cndmask_b32_e64 v43, 0, v98, s[48:49]
	v_add_u32_e32 v9, v9, v43
	v_bfe_i32 v98, v15, 4, 1
	v_cmp_lt_u32_e64 s[48:49], 31, v15
	v_mov_b32_dpp v43, v9 row_bcast:15 row_mask:0xf bank_mask:0xf
	v_and_b32_e32 v43, v98, v43
	v_add_u32_e32 v9, v9, v43
	s_nop 1
	v_mov_b32_dpp v43, v9 row_bcast:31 row_mask:0xf bank_mask:0xf
	v_cndmask_b32_e64 v43, 0, v43, s[48:49]
	v_add_u32_e32 v9, v9, v43
	v_lshrrev_b32_e32 v43, 6, v2
	v_cmp_eq_u32_e64 s[48:49], v2, v20
	s_and_saveexec_b64 s[16:17], s[48:49]
; %bb.94:
	v_lshlrev_b32_e32 v20, 2, v43
	ds_write_b32 v20, v9
; %bb.95:
	s_or_b64 exec, exec, s[16:17]
	v_cmp_gt_u32_e64 s[48:49], 8, v2
	s_waitcnt lgkmcnt(0)
	s_barrier
	s_and_saveexec_b64 s[50:51], s[48:49]
	s_cbranch_execz .LBB1661_97
; %bb.96:
	v_lshlrev_b32_e32 v20, 2, v2
	ds_read_b32 v98, v20
	v_and_b32_e32 v99, 7, v15
	v_cmp_ne_u32_e64 s[48:49], 0, v99
	s_waitcnt lgkmcnt(0)
	v_mov_b32_dpp v100, v98 row_shr:1 row_mask:0xf bank_mask:0xf
	v_cndmask_b32_e64 v100, 0, v100, s[48:49]
	v_add_u32_e32 v98, v100, v98
	v_cmp_lt_u32_e64 s[48:49], 1, v99
	s_nop 0
	v_mov_b32_dpp v100, v98 row_shr:2 row_mask:0xf bank_mask:0xf
	v_cndmask_b32_e64 v100, 0, v100, s[48:49]
	v_add_u32_e32 v98, v98, v100
	v_cmp_lt_u32_e64 s[48:49], 3, v99
	s_nop 0
	v_mov_b32_dpp v100, v98 row_shr:4 row_mask:0xf bank_mask:0xf
	v_cndmask_b32_e64 v99, 0, v100, s[48:49]
	v_add_u32_e32 v98, v98, v99
	ds_write_b32 v20, v98
.LBB1661_97:
	s_or_b64 exec, exec, s[50:51]
	v_cmp_gt_u32_e64 s[50:51], 64, v2
	v_cmp_lt_u32_e64 s[48:49], 63, v2
	v_mov_b32_e32 v20, 0
	s_waitcnt lgkmcnt(0)
	s_barrier
	s_and_saveexec_b64 s[16:17], s[48:49]
; %bb.98:
	v_lshl_add_u32 v20, v43, 2, -4
	ds_read_b32 v20, v20
; %bb.99:
	s_or_b64 exec, exec, s[16:17]
	v_subrev_co_u32_e64 v43, s[52:53], 1, v15
	v_and_b32_e32 v98, 64, v15
	v_cmp_lt_i32_e64 s[54:55], v43, v98
	s_waitcnt lgkmcnt(0)
	v_add_u32_e32 v9, v20, v9
	v_cndmask_b32_e64 v15, v43, v15, s[54:55]
	v_lshlrev_b32_e32 v15, 2, v15
	ds_bpermute_b32 v9, v15, v9
                                        ; implicit-def: $vgpr15
	s_waitcnt lgkmcnt(0)
	v_cndmask_b32_e64 v9, v9, v20, s[52:53]
	v_cndmask_b32_e64 v98, v9, 0, s[94:95]
	v_add_u32_e32 v99, v98, v8
	ds_write_b64 v33, v[98:99] offset:32
	s_waitcnt lgkmcnt(0)
	s_barrier
	ds_read_b32 v8, v36 offset:32
	ds_read_b32 v9, v37 offset:32
	;; [unrolled: 1-line block ×22, first 2 shown]
                                        ; implicit-def: $vgpr20
	s_and_saveexec_b64 s[54:55], s[50:51]
	s_cbranch_execz .LBB1661_103
; %bb.100:
	v_mul_u32_u24_e32 v15, 36, v2
	ds_read_b32 v15, v15 offset:32
	v_add_u32_e32 v50, 1, v2
	v_cmp_ne_u32_e64 s[52:53], 64, v50
	v_mov_b32_e32 v20, 0x2c00
	s_and_saveexec_b64 s[16:17], s[52:53]
; %bb.101:
	v_mul_u32_u24_e32 v20, 36, v50
	ds_read_b32 v20, v20 offset:32
; %bb.102:
	s_or_b64 exec, exec, s[16:17]
	s_waitcnt lgkmcnt(0)
	v_sub_u32_e32 v20, v20, v15
.LBB1661_103:
	s_or_b64 exec, exec, s[54:55]
	s_waitcnt lgkmcnt(14)
	v_add_u32_e32 v70, v8, v34
	v_add3_u32 v68, v38, v35, v9
	v_add3_u32 v65, v41, v39, v33
	v_add3_u32 v62, v45, v42, v36
	v_add3_u32 v59, v48, v46, v37
	v_add3_u32 v56, v51, v49, v40
	v_add3_u32 v52, v54, v52, v43
	v_add3_u32 v50, v57, v55, v44
	s_waitcnt lgkmcnt(13)
	v_add3_u32 v47, v60, v58, v47
	s_waitcnt lgkmcnt(12)
	v_add3_u32 v45, v63, v61, v53
	;; [unrolled: 2-line block ×6, first 2 shown]
	v_lshlrev_b32_e32 v74, 1, v70
	v_lshlrev_b32_e32 v72, 1, v68
	;; [unrolled: 1-line block ×13, first 2 shown]
	s_waitcnt lgkmcnt(7)
	v_add3_u32 v40, v78, v76, v77
	s_waitcnt lgkmcnt(6)
	v_add3_u32 v39, v81, v79, v80
	;; [unrolled: 2-line block ×8, first 2 shown]
	s_barrier
	ds_write_b16 v74, v5 offset:256
	ds_write_b16 v72, v3 offset:256
	;; [unrolled: 1-line block ×13, first 2 shown]
	v_lshlrev_b32_e32 v24, 1, v41
	ds_write_b16 v24, v23 offset:256
	v_lshlrev_b32_e32 v23, 1, v40
	v_lshlrev_b32_e32 v22, 1, v39
	;; [unrolled: 1-line block ×8, first 2 shown]
	v_mov_b32_e32 v9, 0
	v_lshlrev_b32_e32 v3, 2, v2
	ds_write_b16 v23, v26 offset:256
	ds_write_b16 v22, v25 offset:256
	;; [unrolled: 1-line block ×8, first 2 shown]
	s_and_saveexec_b64 s[52:53], s[50:51]
	s_cbranch_execz .LBB1661_113
; %bb.104:
	v_lshl_add_u32 v8, s33, 6, v2
	v_lshl_add_u64 v[10:11], v[8:9], 2, s[6:7]
	v_or_b32_e32 v5, 2.0, v20
	global_store_dword v[10:11], v5, off sc1
	s_mov_b64 s[54:55], 0
	s_brev_b32 s58, -4
	s_mov_b32 s59, s33
	v_mov_b32_e32 v5, 0
                                        ; implicit-def: $sgpr50_sgpr51
	s_branch .LBB1661_107
.LBB1661_105:                           ;   in Loop: Header=BB1661_107 Depth=1
	s_or_b64 exec, exec, s[16:17]
.LBB1661_106:                           ;   in Loop: Header=BB1661_107 Depth=1
	s_or_b64 exec, exec, s[56:57]
	v_and_b32_e32 v8, 0x3fffffff, v7
	v_add_u32_e32 v5, v8, v5
	v_cmp_gt_i32_e64 s[50:51], -2.0, v7
	s_and_b64 s[16:17], exec, s[50:51]
	s_or_b64 s[54:55], s[16:17], s[54:55]
	s_andn2_b64 exec, exec, s[54:55]
	s_cbranch_execz .LBB1661_112
.LBB1661_107:                           ; =>This Loop Header: Depth=1
                                        ;     Child Loop BB1661_110 Depth 2
	s_or_b64 s[50:51], s[50:51], exec
	s_cmp_eq_u32 s59, 0
	s_cbranch_scc1 .LBB1661_111
; %bb.108:                              ;   in Loop: Header=BB1661_107 Depth=1
	s_add_i32 s59, s59, -1
	v_lshl_or_b32 v8, s59, 6, v2
	v_lshl_add_u64 v[12:13], v[8:9], 2, s[6:7]
	global_load_dword v7, v[12:13], off sc1
	s_waitcnt vmcnt(0)
	v_cmp_gt_u32_e64 s[50:51], 2.0, v7
	s_and_saveexec_b64 s[56:57], s[50:51]
	s_cbranch_execz .LBB1661_106
; %bb.109:                              ;   in Loop: Header=BB1661_107 Depth=1
	s_mov_b64 s[16:17], 0
.LBB1661_110:                           ;   Parent Loop BB1661_107 Depth=1
                                        ; =>  This Inner Loop Header: Depth=2
	global_load_dword v7, v[12:13], off sc1
	s_waitcnt vmcnt(0)
	v_cmp_lt_u32_e64 s[50:51], s58, v7
	s_or_b64 s[16:17], s[50:51], s[16:17]
	s_andn2_b64 exec, exec, s[16:17]
	s_cbranch_execnz .LBB1661_110
	s_branch .LBB1661_105
.LBB1661_111:                           ;   in Loop: Header=BB1661_107 Depth=1
                                        ; implicit-def: $sgpr59
	s_and_b64 s[16:17], exec, s[50:51]
	s_or_b64 s[54:55], s[16:17], s[54:55]
	s_andn2_b64 exec, exec, s[54:55]
	s_cbranch_execnz .LBB1661_107
.LBB1661_112:
	s_or_b64 exec, exec, s[54:55]
	s_load_dwordx4 s[16:19], s[0:1], 0x28
	v_add_u32_e32 v7, v5, v20
	v_or_b32_e32 v7, 0x80000000, v7
	global_store_dword v[10:11], v7, off sc1
	v_sub_u32_e32 v5, v5, v15
	s_waitcnt lgkmcnt(0)
	global_load_dword v7, v3, s[16:17]
	s_waitcnt vmcnt(0)
	v_add_u32_e32 v5, v5, v7
	ds_write_b32 v3, v5
.LBB1661_113:
	s_or_b64 exec, exec, s[52:53]
	v_cmp_gt_u32_e64 s[50:51], s3, v2
	v_mov_b32_e32 v8, 0
	v_mov_b32_e32 v11, 0
	s_waitcnt lgkmcnt(0)
	s_barrier
	s_and_saveexec_b64 s[52:53], s[50:51]
	s_cbranch_execz .LBB1661_115
; %bb.114:
	v_lshlrev_b32_e32 v5, 1, v2
	v_sub_u32_e32 v5, v3, v5
	ds_read_u16 v5, v5 offset:256
	v_mov_b32_e32 v13, 0
	s_waitcnt lgkmcnt(0)
	v_lshrrev_b32_sdwa v7, s96, v5 dst_sel:DWORD dst_unused:UNUSED_PAD src0_sel:DWORD src1_sel:WORD_0
	v_and_b32_e32 v11, s5, v7
	v_lshlrev_b32_e32 v7, 2, v11
	ds_read_b32 v7, v7
	v_xor_b32_e32 v5, 0xffff8000, v5
	s_waitcnt lgkmcnt(0)
	v_add_u32_e32 v12, v7, v2
	v_lshl_add_u64 v[12:13], v[12:13], 1, s[10:11]
	global_store_short v[12:13], v5, off
.LBB1661_115:
	s_or_b64 exec, exec, s[52:53]
	v_add_u32_e32 v10, 0x200, v2
	v_cmp_gt_u32_e64 s[52:53], s3, v10
	s_and_saveexec_b64 s[54:55], s[52:53]
	s_cbranch_execz .LBB1661_117
; %bb.116:
	v_lshlrev_b32_e32 v5, 1, v2
	v_sub_u32_e32 v5, v3, v5
	ds_read_u16 v5, v5 offset:1280
	v_mov_b32_e32 v13, 0
	s_waitcnt lgkmcnt(0)
	v_lshrrev_b32_sdwa v7, s96, v5 dst_sel:DWORD dst_unused:UNUSED_PAD src0_sel:DWORD src1_sel:WORD_0
	v_and_b32_e32 v8, s5, v7
	v_lshlrev_b32_e32 v7, 2, v8
	ds_read_b32 v7, v7
	v_xor_b32_e32 v5, 0xffff8000, v5
	s_waitcnt lgkmcnt(0)
	v_add_u32_e32 v12, v7, v10
	v_lshl_add_u64 v[12:13], v[12:13], 1, s[10:11]
	global_store_short v[12:13], v5, off
.LBB1661_117:
	s_or_b64 exec, exec, s[54:55]
	v_or_b32_e32 v12, 0x400, v2
	v_cmp_gt_u32_e64 s[54:55], s3, v12
	v_mov_b32_e32 v9, 0
	v_mov_b32_e32 v26, 0
	s_and_saveexec_b64 s[56:57], s[54:55]
	s_cbranch_execz .LBB1661_119
; %bb.118:
	v_lshlrev_b32_e32 v5, 1, v2
	v_sub_u32_e32 v5, v3, v5
	ds_read_u16 v5, v5 offset:2304
	v_mov_b32_e32 v29, 0
	s_waitcnt lgkmcnt(0)
	v_lshrrev_b32_sdwa v7, s96, v5 dst_sel:DWORD dst_unused:UNUSED_PAD src0_sel:DWORD src1_sel:WORD_0
	v_and_b32_e32 v26, s5, v7
	v_lshlrev_b32_e32 v7, 2, v26
	ds_read_b32 v7, v7
	v_xor_b32_e32 v5, 0xffff8000, v5
	s_waitcnt lgkmcnt(0)
	v_add_u32_e32 v28, v7, v12
	v_lshl_add_u64 v[28:29], v[28:29], 1, s[10:11]
	global_store_short v[28:29], v5, off
.LBB1661_119:
	s_or_b64 exec, exec, s[56:57]
	v_add_u32_e32 v25, 0x600, v2
	v_cmp_gt_u32_e64 s[56:57], s3, v25
	s_and_saveexec_b64 s[58:59], s[56:57]
	s_cbranch_execz .LBB1661_121
; %bb.120:
	v_lshlrev_b32_e32 v5, 1, v2
	v_sub_u32_e32 v5, v3, v5
	ds_read_u16 v5, v5 offset:3328
	v_mov_b32_e32 v29, 0
	s_waitcnt lgkmcnt(0)
	v_lshrrev_b32_sdwa v7, s96, v5 dst_sel:DWORD dst_unused:UNUSED_PAD src0_sel:DWORD src1_sel:WORD_0
	v_and_b32_e32 v9, s5, v7
	v_lshlrev_b32_e32 v7, 2, v9
	ds_read_b32 v7, v7
	v_xor_b32_e32 v5, 0xffff8000, v5
	s_waitcnt lgkmcnt(0)
	v_add_u32_e32 v28, v7, v25
	v_lshl_add_u64 v[28:29], v[28:29], 1, s[10:11]
	global_store_short v[28:29], v5, off
.LBB1661_121:
	s_or_b64 exec, exec, s[58:59]
	v_or_b32_e32 v27, 0x800, v2
	v_cmp_gt_u32_e64 s[58:59], s3, v27
	v_mov_b32_e32 v13, 0
	v_mov_b32_e32 v30, 0
	;; [unrolled: 44-line block ×3, first 2 shown]
	s_and_saveexec_b64 s[64:65], s[62:63]
	s_cbranch_execz .LBB1661_127
; %bb.126:
	v_lshlrev_b32_e32 v5, 1, v2
	v_sub_u32_e32 v5, v3, v5
	ds_read_u16 v5, v5 offset:6400
	v_mov_b32_e32 v77, 0
	s_waitcnt lgkmcnt(0)
	v_lshrrev_b32_sdwa v7, s96, v5 dst_sel:DWORD dst_unused:UNUSED_PAD src0_sel:DWORD src1_sel:WORD_0
	v_and_b32_e32 v63, s5, v7
	v_lshlrev_b32_e32 v7, 2, v63
	ds_read_b32 v7, v7
	v_xor_b32_e32 v5, 0xffff8000, v5
	s_waitcnt lgkmcnt(0)
	v_add_u32_e32 v76, v7, v31
	v_lshl_add_u64 v[76:77], v[76:77], 1, s[10:11]
	global_store_short v[76:77], v5, off
.LBB1661_127:
	s_or_b64 exec, exec, s[64:65]
	v_add_u32_e32 v60, 0xe00, v2
	v_cmp_gt_u32_e64 s[64:65], s3, v60
	s_and_saveexec_b64 s[66:67], s[64:65]
	s_cbranch_execz .LBB1661_129
; %bb.128:
	v_lshlrev_b32_e32 v5, 1, v2
	ds_read_u16 v5, v5 offset:7424
	v_mov_b32_e32 v77, 0
	s_waitcnt lgkmcnt(0)
	v_lshrrev_b32_sdwa v7, s96, v5 dst_sel:DWORD dst_unused:UNUSED_PAD src0_sel:DWORD src1_sel:WORD_0
	v_and_b32_e32 v28, s5, v7
	v_lshlrev_b32_e32 v7, 2, v28
	ds_read_b32 v7, v7
	v_xor_b32_e32 v5, 0xffff8000, v5
	s_waitcnt lgkmcnt(0)
	v_add_u32_e32 v76, v7, v60
	v_lshl_add_u64 v[76:77], v[76:77], 1, s[10:11]
	global_store_short v[76:77], v5, off
.LBB1661_129:
	s_or_b64 exec, exec, s[66:67]
	v_or_b32_e32 v64, 0x1000, v2
	v_cmp_gt_u32_e64 s[66:67], s3, v64
	v_mov_b32_e32 v32, 0
	v_mov_b32_e32 v71, 0
	s_and_saveexec_b64 s[68:69], s[66:67]
	s_cbranch_execz .LBB1661_131
; %bb.130:
	v_lshlrev_b32_e32 v5, 1, v2
	ds_read_u16 v5, v5 offset:8448
	v_mov_b32_e32 v77, 0
	s_waitcnt lgkmcnt(0)
	v_lshrrev_b32_sdwa v7, s96, v5 dst_sel:DWORD dst_unused:UNUSED_PAD src0_sel:DWORD src1_sel:WORD_0
	v_and_b32_e32 v71, s5, v7
	v_lshlrev_b32_e32 v7, 2, v71
	ds_read_b32 v7, v7
	v_xor_b32_e32 v5, 0xffff8000, v5
	s_waitcnt lgkmcnt(0)
	v_add_u32_e32 v76, v7, v64
	v_lshl_add_u64 v[76:77], v[76:77], 1, s[10:11]
	global_store_short v[76:77], v5, off
.LBB1661_131:
	s_or_b64 exec, exec, s[68:69]
	v_add_u32_e32 v69, 0x1200, v2
	v_cmp_gt_u32_e64 s[68:69], s3, v69
	s_and_saveexec_b64 s[70:71], s[68:69]
	s_cbranch_execz .LBB1661_133
; %bb.132:
	v_lshlrev_b32_e32 v5, 1, v2
	ds_read_u16 v5, v5 offset:9472
	v_mov_b32_e32 v77, 0
	s_waitcnt lgkmcnt(0)
	v_lshrrev_b32_sdwa v7, s96, v5 dst_sel:DWORD dst_unused:UNUSED_PAD src0_sel:DWORD src1_sel:WORD_0
	v_and_b32_e32 v32, s5, v7
	v_lshlrev_b32_e32 v7, 2, v32
	ds_read_b32 v7, v7
	v_xor_b32_e32 v5, 0xffff8000, v5
	s_waitcnt lgkmcnt(0)
	v_add_u32_e32 v76, v7, v69
	v_lshl_add_u64 v[76:77], v[76:77], 1, s[10:11]
	global_store_short v[76:77], v5, off
.LBB1661_133:
	s_or_b64 exec, exec, s[70:71]
	v_or_b32_e32 v73, 0x1400, v2
	v_cmp_gt_u32_e64 s[70:71], s3, v73
	v_mov_b32_e32 v67, 0
	v_mov_b32_e32 v77, 0
	s_and_saveexec_b64 s[72:73], s[70:71]
	s_cbranch_execz .LBB1661_135
; %bb.134:
	v_lshlrev_b32_e32 v5, 1, v2
	ds_read_u16 v5, v5 offset:10496
	v_mov_b32_e32 v79, 0
	s_waitcnt lgkmcnt(0)
	v_lshrrev_b32_sdwa v7, s96, v5 dst_sel:DWORD dst_unused:UNUSED_PAD src0_sel:DWORD src1_sel:WORD_0
	v_and_b32_e32 v77, s5, v7
	v_lshlrev_b32_e32 v7, 2, v77
	ds_read_b32 v7, v7
	v_xor_b32_e32 v5, 0xffff8000, v5
	s_waitcnt lgkmcnt(0)
	v_add_u32_e32 v78, v7, v73
	v_lshl_add_u64 v[78:79], v[78:79], 1, s[10:11]
	global_store_short v[78:79], v5, off
.LBB1661_135:
	s_or_b64 exec, exec, s[72:73]
	v_add_u32_e32 v76, 0x1600, v2
	v_cmp_gt_u32_e64 s[72:73], s3, v76
	s_and_saveexec_b64 s[74:75], s[72:73]
	s_cbranch_execz .LBB1661_137
; %bb.136:
	v_lshlrev_b32_e32 v5, 1, v2
	ds_read_u16 v5, v5 offset:11520
	v_mov_b32_e32 v79, 0
	s_waitcnt lgkmcnt(0)
	v_lshrrev_b32_sdwa v7, s96, v5 dst_sel:DWORD dst_unused:UNUSED_PAD src0_sel:DWORD src1_sel:WORD_0
	v_and_b32_e32 v67, s5, v7
	v_lshlrev_b32_e32 v7, 2, v67
	ds_read_b32 v7, v7
	v_xor_b32_e32 v5, 0xffff8000, v5
	s_waitcnt lgkmcnt(0)
	v_add_u32_e32 v78, v7, v76
	v_lshl_add_u64 v[78:79], v[78:79], 1, s[10:11]
	global_store_short v[78:79], v5, off
.LBB1661_137:
	s_or_b64 exec, exec, s[74:75]
	v_or_b32_e32 v78, 0x1800, v2
	v_cmp_gt_u32_e64 s[74:75], s3, v78
	v_mov_b32_e32 v75, 0
	v_mov_b32_e32 v81, 0
	s_and_saveexec_b64 s[76:77], s[74:75]
	s_cbranch_execz .LBB1661_139
; %bb.138:
	v_lshlrev_b32_e32 v5, 1, v2
	ds_read_u16 v5, v5 offset:12544
	v_mov_b32_e32 v83, 0
	s_waitcnt lgkmcnt(0)
	v_lshrrev_b32_sdwa v7, s96, v5 dst_sel:DWORD dst_unused:UNUSED_PAD src0_sel:DWORD src1_sel:WORD_0
	v_and_b32_e32 v81, s5, v7
	v_lshlrev_b32_e32 v7, 2, v81
	ds_read_b32 v7, v7
	v_xor_b32_e32 v5, 0xffff8000, v5
	s_waitcnt lgkmcnt(0)
	v_add_u32_e32 v82, v7, v78
	v_lshl_add_u64 v[82:83], v[82:83], 1, s[10:11]
	global_store_short v[82:83], v5, off
.LBB1661_139:
	s_or_b64 exec, exec, s[76:77]
	v_add_u32_e32 v80, 0x1a00, v2
	v_cmp_gt_u32_e64 s[76:77], s3, v80
	s_and_saveexec_b64 s[78:79], s[76:77]
	s_cbranch_execz .LBB1661_141
; %bb.140:
	v_lshlrev_b32_e32 v5, 1, v2
	ds_read_u16 v5, v5 offset:13568
	v_mov_b32_e32 v83, 0
	s_waitcnt lgkmcnt(0)
	v_lshrrev_b32_sdwa v7, s96, v5 dst_sel:DWORD dst_unused:UNUSED_PAD src0_sel:DWORD src1_sel:WORD_0
	v_and_b32_e32 v75, s5, v7
	v_lshlrev_b32_e32 v7, 2, v75
	ds_read_b32 v7, v7
	v_xor_b32_e32 v5, 0xffff8000, v5
	s_waitcnt lgkmcnt(0)
	v_add_u32_e32 v82, v7, v80
	v_lshl_add_u64 v[82:83], v[82:83], 1, s[10:11]
	global_store_short v[82:83], v5, off
.LBB1661_141:
	s_or_b64 exec, exec, s[78:79]
	v_or_b32_e32 v82, 0x1c00, v2
	v_cmp_gt_u32_e64 s[78:79], s3, v82
	v_mov_b32_e32 v79, 0
	v_mov_b32_e32 v85, 0
	s_and_saveexec_b64 s[80:81], s[78:79]
	s_cbranch_execz .LBB1661_143
; %bb.142:
	v_lshlrev_b32_e32 v5, 1, v2
	ds_read_u16 v5, v5 offset:14592
	v_mov_b32_e32 v87, 0
	s_waitcnt lgkmcnt(0)
	v_lshrrev_b32_sdwa v7, s96, v5 dst_sel:DWORD dst_unused:UNUSED_PAD src0_sel:DWORD src1_sel:WORD_0
	v_and_b32_e32 v85, s5, v7
	v_lshlrev_b32_e32 v7, 2, v85
	ds_read_b32 v7, v7
	v_xor_b32_e32 v5, 0xffff8000, v5
	s_waitcnt lgkmcnt(0)
	v_add_u32_e32 v86, v7, v82
	v_lshl_add_u64 v[86:87], v[86:87], 1, s[10:11]
	global_store_short v[86:87], v5, off
.LBB1661_143:
	s_or_b64 exec, exec, s[80:81]
	v_add_u32_e32 v84, 0x1e00, v2
	v_cmp_gt_u32_e64 s[80:81], s3, v84
	s_and_saveexec_b64 s[82:83], s[80:81]
	s_cbranch_execz .LBB1661_145
; %bb.144:
	v_lshlrev_b32_e32 v5, 1, v2
	ds_read_u16 v5, v5 offset:15616
	v_mov_b32_e32 v87, 0
	s_waitcnt lgkmcnt(0)
	v_lshrrev_b32_sdwa v7, s96, v5 dst_sel:DWORD dst_unused:UNUSED_PAD src0_sel:DWORD src1_sel:WORD_0
	v_and_b32_e32 v79, s5, v7
	v_lshlrev_b32_e32 v7, 2, v79
	ds_read_b32 v7, v7
	v_xor_b32_e32 v5, 0xffff8000, v5
	s_waitcnt lgkmcnt(0)
	v_add_u32_e32 v86, v7, v84
	v_lshl_add_u64 v[86:87], v[86:87], 1, s[10:11]
	global_store_short v[86:87], v5, off
.LBB1661_145:
	s_or_b64 exec, exec, s[82:83]
	v_or_b32_e32 v86, 0x2000, v2
	v_cmp_gt_u32_e64 s[82:83], s3, v86
	v_mov_b32_e32 v83, 0
	v_mov_b32_e32 v89, 0
	s_and_saveexec_b64 s[84:85], s[82:83]
	s_cbranch_execz .LBB1661_147
; %bb.146:
	v_lshlrev_b32_e32 v5, 1, v2
	ds_read_u16 v5, v5 offset:16640
	v_mov_b32_e32 v91, 0
	s_waitcnt lgkmcnt(0)
	v_lshrrev_b32_sdwa v7, s96, v5 dst_sel:DWORD dst_unused:UNUSED_PAD src0_sel:DWORD src1_sel:WORD_0
	v_and_b32_e32 v89, s5, v7
	v_lshlrev_b32_e32 v7, 2, v89
	ds_read_b32 v7, v7
	v_xor_b32_e32 v5, 0xffff8000, v5
	s_waitcnt lgkmcnt(0)
	v_add_u32_e32 v90, v7, v86
	v_lshl_add_u64 v[90:91], v[90:91], 1, s[10:11]
	global_store_short v[90:91], v5, off
.LBB1661_147:
	s_or_b64 exec, exec, s[84:85]
	v_add_u32_e32 v88, 0x2200, v2
	v_cmp_gt_u32_e64 s[84:85], s3, v88
	s_and_saveexec_b64 s[86:87], s[84:85]
	s_cbranch_execz .LBB1661_149
; %bb.148:
	v_lshlrev_b32_e32 v5, 1, v2
	ds_read_u16 v5, v5 offset:17664
	v_mov_b32_e32 v91, 0
	s_waitcnt lgkmcnt(0)
	v_lshrrev_b32_sdwa v7, s96, v5 dst_sel:DWORD dst_unused:UNUSED_PAD src0_sel:DWORD src1_sel:WORD_0
	v_and_b32_e32 v83, s5, v7
	v_lshlrev_b32_e32 v7, 2, v83
	ds_read_b32 v7, v7
	v_xor_b32_e32 v5, 0xffff8000, v5
	s_waitcnt lgkmcnt(0)
	v_add_u32_e32 v90, v7, v88
	v_lshl_add_u64 v[90:91], v[90:91], 1, s[10:11]
	global_store_short v[90:91], v5, off
.LBB1661_149:
	s_or_b64 exec, exec, s[86:87]
	v_or_b32_e32 v90, 0x2400, v2
	v_cmp_gt_u32_e64 s[86:87], s3, v90
	v_mov_b32_e32 v87, 0
	v_mov_b32_e32 v93, 0
	s_and_saveexec_b64 s[88:89], s[86:87]
	s_cbranch_execz .LBB1661_151
; %bb.150:
	v_lshlrev_b32_e32 v5, 1, v2
	ds_read_u16 v5, v5 offset:18688
	v_mov_b32_e32 v95, 0
	s_waitcnt lgkmcnt(0)
	v_lshrrev_b32_sdwa v7, s96, v5 dst_sel:DWORD dst_unused:UNUSED_PAD src0_sel:DWORD src1_sel:WORD_0
	v_and_b32_e32 v93, s5, v7
	v_lshlrev_b32_e32 v7, 2, v93
	ds_read_b32 v7, v7
	v_xor_b32_e32 v5, 0xffff8000, v5
	s_waitcnt lgkmcnt(0)
	v_add_u32_e32 v94, v7, v90
	v_lshl_add_u64 v[94:95], v[94:95], 1, s[10:11]
	global_store_short v[94:95], v5, off
.LBB1661_151:
	s_or_b64 exec, exec, s[88:89]
	v_add_u32_e32 v92, 0x2600, v2
	v_cmp_gt_u32_e64 s[88:89], s3, v92
	s_and_saveexec_b64 s[90:91], s[88:89]
	s_cbranch_execz .LBB1661_153
; %bb.152:
	v_lshlrev_b32_e32 v5, 1, v2
	ds_read_u16 v5, v5 offset:19712
	v_mov_b32_e32 v95, 0
	s_waitcnt lgkmcnt(0)
	v_lshrrev_b32_sdwa v7, s96, v5 dst_sel:DWORD dst_unused:UNUSED_PAD src0_sel:DWORD src1_sel:WORD_0
	v_and_b32_e32 v87, s5, v7
	v_lshlrev_b32_e32 v7, 2, v87
	ds_read_b32 v7, v7
	v_xor_b32_e32 v5, 0xffff8000, v5
	s_waitcnt lgkmcnt(0)
	v_add_u32_e32 v94, v7, v92
	v_lshl_add_u64 v[94:95], v[94:95], 1, s[10:11]
	global_store_short v[94:95], v5, off
.LBB1661_153:
	s_or_b64 exec, exec, s[90:91]
	v_or_b32_e32 v94, 0x2800, v2
	v_cmp_gt_u32_e64 s[90:91], s3, v94
	v_mov_b32_e32 v91, 0
	v_mov_b32_e32 v96, 0
	s_and_saveexec_b64 s[92:93], s[90:91]
	s_cbranch_execz .LBB1661_155
; %bb.154:
	v_lshlrev_b32_e32 v5, 1, v2
	ds_read_u16 v5, v5 offset:20736
	v_mov_b32_e32 v99, 0
	s_waitcnt lgkmcnt(0)
	v_lshrrev_b32_sdwa v7, s96, v5 dst_sel:DWORD dst_unused:UNUSED_PAD src0_sel:DWORD src1_sel:WORD_0
	v_and_b32_e32 v96, s5, v7
	v_lshlrev_b32_e32 v7, 2, v96
	ds_read_b32 v7, v7
	v_xor_b32_e32 v5, 0xffff8000, v5
	s_waitcnt lgkmcnt(0)
	v_add_u32_e32 v98, v7, v94
	v_lshl_add_u64 v[98:99], v[98:99], 1, s[10:11]
	global_store_short v[98:99], v5, off
.LBB1661_155:
	s_or_b64 exec, exec, s[92:93]
	v_add_u32_e32 v95, 0x2a00, v2
	v_cmp_gt_u32_e64 s[92:93], s3, v95
	s_and_saveexec_b64 s[16:17], s[92:93]
	s_cbranch_execz .LBB1661_157
; %bb.156:
	v_lshlrev_b32_e32 v5, 1, v2
	ds_read_u16 v5, v5 offset:21760
	v_mov_b32_e32 v99, 0
	s_waitcnt lgkmcnt(0)
	v_lshrrev_b32_sdwa v7, s96, v5 dst_sel:DWORD dst_unused:UNUSED_PAD src0_sel:DWORD src1_sel:WORD_0
	v_and_b32_e32 v91, s5, v7
	v_lshlrev_b32_e32 v7, 2, v91
	ds_read_b32 v7, v7
	v_xor_b32_e32 v5, 0xffff8000, v5
	s_waitcnt lgkmcnt(0)
	v_add_u32_e32 v98, v7, v95
	v_lshl_add_u64 v[98:99], v[98:99], 1, s[10:11]
	global_store_short v[98:99], v5, off
.LBB1661_157:
	s_or_b64 exec, exec, s[16:17]
	s_add_u32 s16, s12, s98
	s_addc_u32 s17, s13, s99
	v_mov_b32_e32 v5, 0
	v_lshl_add_u64 v[98:99], s[16:17], 0, v[4:5]
	v_mov_b32_e32 v7, v5
	v_lshl_add_u64 v[4:5], v[98:99], 0, v[6:7]
                                        ; implicit-def: $vgpr6
	s_mov_b64 s[16:17], exec
	v_readlane_b32 s18, v117, 4
	v_readlane_b32 s19, v117, 5
	s_and_b64 s[18:19], s[16:17], s[18:19]
	s_xor_b64 s[16:17], s[18:19], s[16:17]
	s_mov_b64 exec, s[18:19]
	s_cbranch_execz .LBB1661_159
; %bb.158:
	global_load_ushort v6, v[4:5], off
.LBB1661_159:
	s_or_b64 exec, exec, s[16:17]
	v_readlane_b32 s18, v117, 6
	v_readlane_b32 s19, v117, 7
                                        ; implicit-def: $vgpr7
	s_and_saveexec_b64 s[16:17], s[18:19]
	s_cbranch_execz .LBB1661_161
; %bb.160:
	global_load_ushort v7, v[4:5], off offset:128
.LBB1661_161:
	s_or_b64 exec, exec, s[16:17]
	v_readlane_b32 s18, v117, 8
	v_readlane_b32 s19, v117, 9
                                        ; implicit-def: $vgpr97
	s_and_saveexec_b64 s[16:17], s[18:19]
	s_cbranch_execz .LBB1661_163
; %bb.162:
	global_load_ushort v97, v[4:5], off offset:256
.LBB1661_163:
	s_or_b64 exec, exec, s[16:17]
	v_readlane_b32 s18, v117, 10
	v_readlane_b32 s19, v117, 11
                                        ; implicit-def: $vgpr98
	s_and_saveexec_b64 s[16:17], s[18:19]
	s_cbranch_execz .LBB1661_165
; %bb.164:
	global_load_ushort v98, v[4:5], off offset:384
.LBB1661_165:
	s_or_b64 exec, exec, s[16:17]
	v_readlane_b32 s18, v117, 12
	v_readlane_b32 s19, v117, 13
                                        ; implicit-def: $vgpr99
	s_and_saveexec_b64 s[16:17], s[18:19]
	s_cbranch_execz .LBB1661_167
; %bb.166:
	global_load_ushort v99, v[4:5], off offset:512
.LBB1661_167:
	s_or_b64 exec, exec, s[16:17]
	v_readlane_b32 s18, v117, 14
	v_readlane_b32 s19, v117, 15
                                        ; implicit-def: $vgpr100
	s_and_saveexec_b64 s[16:17], s[18:19]
	s_cbranch_execz .LBB1661_169
; %bb.168:
	global_load_ushort v100, v[4:5], off offset:640
.LBB1661_169:
	s_or_b64 exec, exec, s[16:17]
	v_readlane_b32 s18, v117, 16
	v_readlane_b32 s19, v117, 17
                                        ; implicit-def: $vgpr101
	s_and_saveexec_b64 s[16:17], s[18:19]
	s_cbranch_execz .LBB1661_171
; %bb.170:
	global_load_ushort v101, v[4:5], off offset:768
.LBB1661_171:
	s_or_b64 exec, exec, s[16:17]
	v_readlane_b32 s18, v117, 18
	v_readlane_b32 s19, v117, 19
                                        ; implicit-def: $vgpr102
	s_and_saveexec_b64 s[16:17], s[18:19]
	s_cbranch_execz .LBB1661_209
; %bb.172:
	global_load_ushort v102, v[4:5], off offset:896
	s_or_b64 exec, exec, s[16:17]
                                        ; implicit-def: $vgpr103
	s_and_saveexec_b64 s[16:17], vcc
	s_cbranch_execnz .LBB1661_210
.LBB1661_173:
	s_or_b64 exec, exec, s[16:17]
                                        ; implicit-def: $vgpr104
	s_and_saveexec_b64 s[16:17], s[20:21]
	s_cbranch_execz .LBB1661_211
.LBB1661_174:
	global_load_ushort v104, v[4:5], off offset:1152
	s_or_b64 exec, exec, s[16:17]
                                        ; implicit-def: $vgpr105
	s_and_saveexec_b64 s[16:17], s[22:23]
	s_cbranch_execnz .LBB1661_212
.LBB1661_175:
	s_or_b64 exec, exec, s[16:17]
                                        ; implicit-def: $vgpr106
	s_and_saveexec_b64 s[16:17], s[24:25]
	s_cbranch_execz .LBB1661_213
.LBB1661_176:
	global_load_ushort v106, v[4:5], off offset:1408
	s_or_b64 exec, exec, s[16:17]
                                        ; implicit-def: $vgpr107
	s_and_saveexec_b64 s[16:17], s[26:27]
	s_cbranch_execnz .LBB1661_214
.LBB1661_177:
	s_or_b64 exec, exec, s[16:17]
                                        ; implicit-def: $vgpr108
	s_and_saveexec_b64 s[16:17], s[28:29]
	s_cbranch_execz .LBB1661_215
.LBB1661_178:
	global_load_ushort v108, v[4:5], off offset:1664
	s_or_b64 exec, exec, s[16:17]
                                        ; implicit-def: $vgpr109
	s_and_saveexec_b64 s[16:17], s[30:31]
	s_cbranch_execnz .LBB1661_216
.LBB1661_179:
	s_or_b64 exec, exec, s[16:17]
                                        ; implicit-def: $vgpr110
	s_and_saveexec_b64 s[16:17], s[34:35]
	s_cbranch_execz .LBB1661_217
.LBB1661_180:
	global_load_ushort v110, v[4:5], off offset:1920
	s_or_b64 exec, exec, s[16:17]
                                        ; implicit-def: $vgpr111
	s_and_saveexec_b64 s[16:17], s[36:37]
	s_cbranch_execnz .LBB1661_218
.LBB1661_181:
	s_or_b64 exec, exec, s[16:17]
                                        ; implicit-def: $vgpr112
	s_and_saveexec_b64 s[16:17], s[38:39]
	s_cbranch_execz .LBB1661_219
.LBB1661_182:
	global_load_ushort v112, v[4:5], off offset:2176
	s_or_b64 exec, exec, s[16:17]
                                        ; implicit-def: $vgpr113
	s_and_saveexec_b64 s[16:17], s[40:41]
	s_cbranch_execnz .LBB1661_220
.LBB1661_183:
	s_or_b64 exec, exec, s[16:17]
                                        ; implicit-def: $vgpr114
	s_and_saveexec_b64 s[16:17], s[42:43]
	s_cbranch_execz .LBB1661_221
.LBB1661_184:
	global_load_ushort v114, v[4:5], off offset:2432
	s_or_b64 exec, exec, s[16:17]
                                        ; implicit-def: $vgpr115
	s_and_saveexec_b64 s[16:17], s[44:45]
	s_cbranch_execnz .LBB1661_222
.LBB1661_185:
	s_or_b64 exec, exec, s[16:17]
                                        ; implicit-def: $vgpr116
	s_and_saveexec_b64 s[16:17], s[46:47]
	s_cbranch_execz .LBB1661_187
.LBB1661_186:
	global_load_ushort v116, v[4:5], off offset:2688
.LBB1661_187:
	s_or_b64 exec, exec, s[16:17]
	s_movk_i32 s3, 0x2c00
	v_cmp_gt_u32_e32 vcc, s3, v70
	s_barrier
	s_and_saveexec_b64 s[16:17], vcc
	s_cbranch_execz .LBB1661_223
; %bb.188:
	s_waitcnt vmcnt(0)
	ds_write_b16 v74, v6 offset:256
	s_or_b64 exec, exec, s[16:17]
	v_cmp_gt_u32_e32 vcc, s3, v68
	s_and_saveexec_b64 s[16:17], vcc
	s_cbranch_execnz .LBB1661_224
.LBB1661_189:
	s_or_b64 exec, exec, s[16:17]
	v_cmp_gt_u32_e32 vcc, s3, v65
	s_and_saveexec_b64 s[16:17], vcc
	s_cbranch_execz .LBB1661_225
.LBB1661_190:
	s_waitcnt vmcnt(0)
	ds_write_b16 v66, v97 offset:256
	s_or_b64 exec, exec, s[16:17]
	v_cmp_gt_u32_e32 vcc, s3, v62
	s_and_saveexec_b64 s[16:17], vcc
	s_cbranch_execnz .LBB1661_226
.LBB1661_191:
	s_or_b64 exec, exec, s[16:17]
	v_cmp_gt_u32_e32 vcc, s3, v59
	s_and_saveexec_b64 s[16:17], vcc
	s_cbranch_execz .LBB1661_227
.LBB1661_192:
	s_waitcnt vmcnt(0)
	ds_write_b16 v58, v99 offset:256
	s_or_b64 exec, exec, s[16:17]
	v_cmp_gt_u32_e32 vcc, s3, v56
	s_and_saveexec_b64 s[16:17], vcc
	s_cbranch_execnz .LBB1661_228
.LBB1661_193:
	s_or_b64 exec, exec, s[16:17]
	v_cmp_gt_u32_e32 vcc, s3, v52
	s_and_saveexec_b64 s[16:17], vcc
	s_cbranch_execz .LBB1661_229
.LBB1661_194:
	s_waitcnt vmcnt(0)
	ds_write_b16 v55, v101 offset:256
	s_or_b64 exec, exec, s[16:17]
	v_cmp_gt_u32_e32 vcc, s3, v50
	s_and_saveexec_b64 s[16:17], vcc
	s_cbranch_execnz .LBB1661_230
.LBB1661_195:
	s_or_b64 exec, exec, s[16:17]
	v_cmp_gt_u32_e32 vcc, s3, v47
	s_and_saveexec_b64 s[16:17], vcc
	s_cbranch_execz .LBB1661_231
.LBB1661_196:
	s_waitcnt vmcnt(0)
	ds_write_b16 v53, v103 offset:256
	s_or_b64 exec, exec, s[16:17]
	v_cmp_gt_u32_e32 vcc, s3, v45
	s_and_saveexec_b64 s[16:17], vcc
	s_cbranch_execnz .LBB1661_232
.LBB1661_197:
	s_or_b64 exec, exec, s[16:17]
	v_cmp_gt_u32_e32 vcc, s3, v44
	s_and_saveexec_b64 s[16:17], vcc
	s_cbranch_execz .LBB1661_233
.LBB1661_198:
	s_waitcnt vmcnt(0)
	ds_write_b16 v49, v105 offset:256
	s_or_b64 exec, exec, s[16:17]
	v_cmp_gt_u32_e32 vcc, s3, v43
	s_and_saveexec_b64 s[16:17], vcc
	s_cbranch_execnz .LBB1661_234
.LBB1661_199:
	s_or_b64 exec, exec, s[16:17]
	v_cmp_gt_u32_e32 vcc, s3, v42
	s_and_saveexec_b64 s[16:17], vcc
	s_cbranch_execz .LBB1661_235
.LBB1661_200:
	s_waitcnt vmcnt(0)
	ds_write_b16 v46, v107 offset:256
	s_or_b64 exec, exec, s[16:17]
	v_cmp_gt_u32_e32 vcc, s3, v41
	s_and_saveexec_b64 s[16:17], vcc
	s_cbranch_execnz .LBB1661_236
.LBB1661_201:
	s_or_b64 exec, exec, s[16:17]
	v_cmp_gt_u32_e32 vcc, s3, v40
	s_and_saveexec_b64 s[16:17], vcc
	s_cbranch_execz .LBB1661_237
.LBB1661_202:
	s_waitcnt vmcnt(0)
	ds_write_b16 v23, v109 offset:256
	s_or_b64 exec, exec, s[16:17]
	v_cmp_gt_u32_e32 vcc, s3, v39
	s_and_saveexec_b64 s[16:17], vcc
	s_cbranch_execnz .LBB1661_238
.LBB1661_203:
	s_or_b64 exec, exec, s[16:17]
	v_cmp_gt_u32_e32 vcc, s3, v38
	s_and_saveexec_b64 s[16:17], vcc
	s_cbranch_execz .LBB1661_239
.LBB1661_204:
	s_waitcnt vmcnt(0)
	ds_write_b16 v21, v111 offset:256
	s_or_b64 exec, exec, s[16:17]
	v_cmp_gt_u32_e32 vcc, s3, v37
	s_and_saveexec_b64 s[16:17], vcc
	s_cbranch_execnz .LBB1661_240
.LBB1661_205:
	s_or_b64 exec, exec, s[16:17]
	v_cmp_gt_u32_e32 vcc, s3, v36
	s_and_saveexec_b64 s[16:17], vcc
	s_cbranch_execz .LBB1661_241
.LBB1661_206:
	s_waitcnt vmcnt(0)
	ds_write_b16 v18, v113 offset:256
	s_or_b64 exec, exec, s[16:17]
	v_cmp_gt_u32_e32 vcc, s3, v35
	s_and_saveexec_b64 s[16:17], vcc
	s_cbranch_execnz .LBB1661_242
.LBB1661_207:
	s_or_b64 exec, exec, s[16:17]
	v_cmp_gt_u32_e32 vcc, s3, v34
	s_and_saveexec_b64 s[16:17], vcc
	s_cbranch_execz .LBB1661_243
.LBB1661_208:
	s_waitcnt vmcnt(0)
	ds_write_b16 v16, v115 offset:256
	s_or_b64 exec, exec, s[16:17]
	v_cmp_gt_u32_e32 vcc, s3, v33
	s_and_saveexec_b64 s[16:17], vcc
	s_cbranch_execnz .LBB1661_244
	s_branch .LBB1661_245
.LBB1661_209:
	s_or_b64 exec, exec, s[16:17]
                                        ; implicit-def: $vgpr103
	s_and_saveexec_b64 s[16:17], vcc
	s_cbranch_execz .LBB1661_173
.LBB1661_210:
	global_load_ushort v103, v[4:5], off offset:1024
	s_or_b64 exec, exec, s[16:17]
                                        ; implicit-def: $vgpr104
	s_and_saveexec_b64 s[16:17], s[20:21]
	s_cbranch_execnz .LBB1661_174
.LBB1661_211:
	s_or_b64 exec, exec, s[16:17]
                                        ; implicit-def: $vgpr105
	s_and_saveexec_b64 s[16:17], s[22:23]
	s_cbranch_execz .LBB1661_175
.LBB1661_212:
	global_load_ushort v105, v[4:5], off offset:1280
	s_or_b64 exec, exec, s[16:17]
                                        ; implicit-def: $vgpr106
	s_and_saveexec_b64 s[16:17], s[24:25]
	s_cbranch_execnz .LBB1661_176
.LBB1661_213:
	s_or_b64 exec, exec, s[16:17]
                                        ; implicit-def: $vgpr107
	s_and_saveexec_b64 s[16:17], s[26:27]
	s_cbranch_execz .LBB1661_177
.LBB1661_214:
	global_load_ushort v107, v[4:5], off offset:1536
	s_or_b64 exec, exec, s[16:17]
                                        ; implicit-def: $vgpr108
	s_and_saveexec_b64 s[16:17], s[28:29]
	s_cbranch_execnz .LBB1661_178
.LBB1661_215:
	s_or_b64 exec, exec, s[16:17]
                                        ; implicit-def: $vgpr109
	s_and_saveexec_b64 s[16:17], s[30:31]
	s_cbranch_execz .LBB1661_179
.LBB1661_216:
	global_load_ushort v109, v[4:5], off offset:1792
	s_or_b64 exec, exec, s[16:17]
                                        ; implicit-def: $vgpr110
	s_and_saveexec_b64 s[16:17], s[34:35]
	s_cbranch_execnz .LBB1661_180
.LBB1661_217:
	s_or_b64 exec, exec, s[16:17]
                                        ; implicit-def: $vgpr111
	s_and_saveexec_b64 s[16:17], s[36:37]
	s_cbranch_execz .LBB1661_181
.LBB1661_218:
	global_load_ushort v111, v[4:5], off offset:2048
	s_or_b64 exec, exec, s[16:17]
                                        ; implicit-def: $vgpr112
	s_and_saveexec_b64 s[16:17], s[38:39]
	s_cbranch_execnz .LBB1661_182
.LBB1661_219:
	s_or_b64 exec, exec, s[16:17]
                                        ; implicit-def: $vgpr113
	s_and_saveexec_b64 s[16:17], s[40:41]
	s_cbranch_execz .LBB1661_183
.LBB1661_220:
	global_load_ushort v113, v[4:5], off offset:2304
	s_or_b64 exec, exec, s[16:17]
                                        ; implicit-def: $vgpr114
	s_and_saveexec_b64 s[16:17], s[42:43]
	s_cbranch_execnz .LBB1661_184
.LBB1661_221:
	s_or_b64 exec, exec, s[16:17]
                                        ; implicit-def: $vgpr115
	s_and_saveexec_b64 s[16:17], s[44:45]
	s_cbranch_execz .LBB1661_185
.LBB1661_222:
	global_load_ushort v115, v[4:5], off offset:2560
	s_or_b64 exec, exec, s[16:17]
                                        ; implicit-def: $vgpr116
	s_and_saveexec_b64 s[16:17], s[46:47]
	s_cbranch_execnz .LBB1661_186
	s_branch .LBB1661_187
.LBB1661_223:
	s_or_b64 exec, exec, s[16:17]
	v_cmp_gt_u32_e32 vcc, s3, v68
	s_and_saveexec_b64 s[16:17], vcc
	s_cbranch_execz .LBB1661_189
.LBB1661_224:
	s_waitcnt vmcnt(0)
	ds_write_b16 v72, v7 offset:256
	s_or_b64 exec, exec, s[16:17]
	v_cmp_gt_u32_e32 vcc, s3, v65
	s_and_saveexec_b64 s[16:17], vcc
	s_cbranch_execnz .LBB1661_190
.LBB1661_225:
	s_or_b64 exec, exec, s[16:17]
	v_cmp_gt_u32_e32 vcc, s3, v62
	s_and_saveexec_b64 s[16:17], vcc
	s_cbranch_execz .LBB1661_191
.LBB1661_226:
	s_waitcnt vmcnt(0)
	ds_write_b16 v61, v98 offset:256
	s_or_b64 exec, exec, s[16:17]
	v_cmp_gt_u32_e32 vcc, s3, v59
	s_and_saveexec_b64 s[16:17], vcc
	s_cbranch_execnz .LBB1661_192
.LBB1661_227:
	s_or_b64 exec, exec, s[16:17]
	v_cmp_gt_u32_e32 vcc, s3, v56
	s_and_saveexec_b64 s[16:17], vcc
	s_cbranch_execz .LBB1661_193
.LBB1661_228:
	s_waitcnt vmcnt(0)
	ds_write_b16 v57, v100 offset:256
	s_or_b64 exec, exec, s[16:17]
	v_cmp_gt_u32_e32 vcc, s3, v52
	s_and_saveexec_b64 s[16:17], vcc
	s_cbranch_execnz .LBB1661_194
.LBB1661_229:
	s_or_b64 exec, exec, s[16:17]
	v_cmp_gt_u32_e32 vcc, s3, v50
	s_and_saveexec_b64 s[16:17], vcc
	s_cbranch_execz .LBB1661_195
.LBB1661_230:
	s_waitcnt vmcnt(0)
	ds_write_b16 v54, v102 offset:256
	s_or_b64 exec, exec, s[16:17]
	v_cmp_gt_u32_e32 vcc, s3, v47
	s_and_saveexec_b64 s[16:17], vcc
	s_cbranch_execnz .LBB1661_196
.LBB1661_231:
	s_or_b64 exec, exec, s[16:17]
	v_cmp_gt_u32_e32 vcc, s3, v45
	s_and_saveexec_b64 s[16:17], vcc
	s_cbranch_execz .LBB1661_197
.LBB1661_232:
	s_waitcnt vmcnt(0)
	ds_write_b16 v51, v104 offset:256
	s_or_b64 exec, exec, s[16:17]
	v_cmp_gt_u32_e32 vcc, s3, v44
	s_and_saveexec_b64 s[16:17], vcc
	s_cbranch_execnz .LBB1661_198
.LBB1661_233:
	s_or_b64 exec, exec, s[16:17]
	v_cmp_gt_u32_e32 vcc, s3, v43
	s_and_saveexec_b64 s[16:17], vcc
	s_cbranch_execz .LBB1661_199
.LBB1661_234:
	s_waitcnt vmcnt(0)
	ds_write_b16 v48, v106 offset:256
	s_or_b64 exec, exec, s[16:17]
	v_cmp_gt_u32_e32 vcc, s3, v42
	s_and_saveexec_b64 s[16:17], vcc
	s_cbranch_execnz .LBB1661_200
.LBB1661_235:
	s_or_b64 exec, exec, s[16:17]
	v_cmp_gt_u32_e32 vcc, s3, v41
	s_and_saveexec_b64 s[16:17], vcc
	s_cbranch_execz .LBB1661_201
.LBB1661_236:
	s_waitcnt vmcnt(0)
	ds_write_b16 v24, v108 offset:256
	s_or_b64 exec, exec, s[16:17]
	v_cmp_gt_u32_e32 vcc, s3, v40
	s_and_saveexec_b64 s[16:17], vcc
	s_cbranch_execnz .LBB1661_202
.LBB1661_237:
	s_or_b64 exec, exec, s[16:17]
	v_cmp_gt_u32_e32 vcc, s3, v39
	s_and_saveexec_b64 s[16:17], vcc
	s_cbranch_execz .LBB1661_203
.LBB1661_238:
	s_waitcnt vmcnt(0)
	ds_write_b16 v22, v110 offset:256
	s_or_b64 exec, exec, s[16:17]
	v_cmp_gt_u32_e32 vcc, s3, v38
	s_and_saveexec_b64 s[16:17], vcc
	s_cbranch_execnz .LBB1661_204
.LBB1661_239:
	s_or_b64 exec, exec, s[16:17]
	v_cmp_gt_u32_e32 vcc, s3, v37
	s_and_saveexec_b64 s[16:17], vcc
	s_cbranch_execz .LBB1661_205
.LBB1661_240:
	s_waitcnt vmcnt(0)
	ds_write_b16 v19, v112 offset:256
	s_or_b64 exec, exec, s[16:17]
	v_cmp_gt_u32_e32 vcc, s3, v36
	s_and_saveexec_b64 s[16:17], vcc
	s_cbranch_execnz .LBB1661_206
.LBB1661_241:
	s_or_b64 exec, exec, s[16:17]
	v_cmp_gt_u32_e32 vcc, s3, v35
	s_and_saveexec_b64 s[16:17], vcc
	s_cbranch_execz .LBB1661_207
.LBB1661_242:
	s_waitcnt vmcnt(0)
	ds_write_b16 v17, v114 offset:256
	s_or_b64 exec, exec, s[16:17]
	v_cmp_gt_u32_e32 vcc, s3, v34
	s_and_saveexec_b64 s[16:17], vcc
	s_cbranch_execnz .LBB1661_208
.LBB1661_243:
	s_or_b64 exec, exec, s[16:17]
	v_cmp_gt_u32_e32 vcc, s3, v33
	s_and_saveexec_b64 s[16:17], vcc
	s_cbranch_execz .LBB1661_245
.LBB1661_244:
	s_waitcnt vmcnt(0)
	ds_write_b16 v14, v116 offset:256
.LBB1661_245:
	s_or_b64 exec, exec, s[16:17]
	s_waitcnt lgkmcnt(0)
	s_barrier
	s_and_saveexec_b64 s[16:17], s[50:51]
	s_cbranch_execz .LBB1661_267
; %bb.246:
	v_lshlrev_b32_e32 v4, 2, v11
	ds_read_b32 v4, v4
	v_lshlrev_b32_e32 v5, 1, v2
	s_waitcnt vmcnt(0)
	ds_read_u16 v6, v5 offset:256
	v_mov_b32_e32 v5, 0
	s_waitcnt lgkmcnt(1)
	v_add_u32_e32 v4, v4, v2
	v_lshl_add_u64 v[4:5], v[4:5], 1, s[14:15]
	s_waitcnt lgkmcnt(0)
	global_store_short v[4:5], v6, off
	s_or_b64 exec, exec, s[16:17]
	s_and_saveexec_b64 s[16:17], s[52:53]
	s_cbranch_execnz .LBB1661_268
.LBB1661_247:
	s_or_b64 exec, exec, s[16:17]
	s_and_saveexec_b64 s[16:17], s[54:55]
	s_cbranch_execz .LBB1661_269
.LBB1661_248:
	v_lshlrev_b32_e32 v4, 2, v26
	ds_read_b32 v4, v4
	v_lshlrev_b32_e32 v5, 1, v2
	s_waitcnt vmcnt(0)
	ds_read_u16 v6, v5 offset:2304
	v_mov_b32_e32 v5, 0
	s_waitcnt lgkmcnt(1)
	v_add_u32_e32 v4, v4, v12
	v_lshl_add_u64 v[4:5], v[4:5], 1, s[14:15]
	s_waitcnt lgkmcnt(0)
	global_store_short v[4:5], v6, off
	s_or_b64 exec, exec, s[16:17]
	s_and_saveexec_b64 s[16:17], s[56:57]
	s_cbranch_execnz .LBB1661_270
.LBB1661_249:
	s_or_b64 exec, exec, s[16:17]
	s_and_saveexec_b64 s[16:17], s[58:59]
	s_cbranch_execz .LBB1661_271
.LBB1661_250:
	v_lshlrev_b32_e32 v4, 2, v30
	ds_read_b32 v4, v4
	v_lshlrev_b32_e32 v5, 1, v2
	s_waitcnt vmcnt(0)
	ds_read_u16 v6, v5 offset:4352
	v_mov_b32_e32 v5, 0
	s_waitcnt lgkmcnt(1)
	v_add_u32_e32 v4, v4, v27
	v_lshl_add_u64 v[4:5], v[4:5], 1, s[14:15]
	s_waitcnt lgkmcnt(0)
	global_store_short v[4:5], v6, off
	s_or_b64 exec, exec, s[16:17]
	s_and_saveexec_b64 s[16:17], s[60:61]
	s_cbranch_execnz .LBB1661_272
.LBB1661_251:
	s_or_b64 exec, exec, s[16:17]
	s_and_saveexec_b64 s[16:17], s[62:63]
	s_cbranch_execz .LBB1661_273
.LBB1661_252:
	v_lshlrev_b32_e32 v4, 2, v63
	ds_read_b32 v4, v4
	v_lshlrev_b32_e32 v5, 1, v2
	s_waitcnt vmcnt(0)
	ds_read_u16 v6, v5 offset:6400
	v_mov_b32_e32 v5, 0
	s_waitcnt lgkmcnt(1)
	v_add_u32_e32 v4, v4, v31
	v_lshl_add_u64 v[4:5], v[4:5], 1, s[14:15]
	s_waitcnt lgkmcnt(0)
	global_store_short v[4:5], v6, off
	s_or_b64 exec, exec, s[16:17]
	s_and_saveexec_b64 s[16:17], s[64:65]
	s_cbranch_execnz .LBB1661_274
.LBB1661_253:
	s_or_b64 exec, exec, s[16:17]
	s_and_saveexec_b64 s[16:17], s[66:67]
	s_cbranch_execz .LBB1661_275
.LBB1661_254:
	v_lshlrev_b32_e32 v4, 2, v71
	ds_read_b32 v4, v4
	v_lshlrev_b32_e32 v5, 1, v2
	s_waitcnt vmcnt(0)
	ds_read_u16 v6, v5 offset:8448
	v_mov_b32_e32 v5, 0
	s_waitcnt lgkmcnt(1)
	v_add_u32_e32 v4, v4, v64
	v_lshl_add_u64 v[4:5], v[4:5], 1, s[14:15]
	s_waitcnt lgkmcnt(0)
	global_store_short v[4:5], v6, off
	s_or_b64 exec, exec, s[16:17]
	s_and_saveexec_b64 s[16:17], s[68:69]
	s_cbranch_execnz .LBB1661_276
.LBB1661_255:
	s_or_b64 exec, exec, s[16:17]
	s_and_saveexec_b64 s[16:17], s[70:71]
	s_cbranch_execz .LBB1661_277
.LBB1661_256:
	v_lshlrev_b32_e32 v4, 2, v77
	ds_read_b32 v4, v4
	v_lshlrev_b32_e32 v5, 1, v2
	s_waitcnt vmcnt(0)
	ds_read_u16 v6, v5 offset:10496
	v_mov_b32_e32 v5, 0
	s_waitcnt lgkmcnt(1)
	v_add_u32_e32 v4, v4, v73
	v_lshl_add_u64 v[4:5], v[4:5], 1, s[14:15]
	s_waitcnt lgkmcnt(0)
	global_store_short v[4:5], v6, off
	s_or_b64 exec, exec, s[16:17]
	s_and_saveexec_b64 s[16:17], s[72:73]
	s_cbranch_execnz .LBB1661_278
.LBB1661_257:
	s_or_b64 exec, exec, s[16:17]
	s_and_saveexec_b64 s[16:17], s[74:75]
	s_cbranch_execz .LBB1661_279
.LBB1661_258:
	v_lshlrev_b32_e32 v4, 2, v81
	ds_read_b32 v4, v4
	v_lshlrev_b32_e32 v5, 1, v2
	s_waitcnt vmcnt(0)
	ds_read_u16 v6, v5 offset:12544
	v_mov_b32_e32 v5, 0
	s_waitcnt lgkmcnt(1)
	v_add_u32_e32 v4, v4, v78
	v_lshl_add_u64 v[4:5], v[4:5], 1, s[14:15]
	s_waitcnt lgkmcnt(0)
	global_store_short v[4:5], v6, off
	s_or_b64 exec, exec, s[16:17]
	s_and_saveexec_b64 s[16:17], s[76:77]
	s_cbranch_execnz .LBB1661_280
.LBB1661_259:
	s_or_b64 exec, exec, s[16:17]
	s_and_saveexec_b64 s[16:17], s[78:79]
	s_cbranch_execz .LBB1661_281
.LBB1661_260:
	v_lshlrev_b32_e32 v4, 2, v85
	ds_read_b32 v4, v4
	v_lshlrev_b32_e32 v5, 1, v2
	s_waitcnt vmcnt(0)
	ds_read_u16 v6, v5 offset:14592
	v_mov_b32_e32 v5, 0
	s_waitcnt lgkmcnt(1)
	v_add_u32_e32 v4, v4, v82
	v_lshl_add_u64 v[4:5], v[4:5], 1, s[14:15]
	s_waitcnt lgkmcnt(0)
	global_store_short v[4:5], v6, off
	s_or_b64 exec, exec, s[16:17]
	s_and_saveexec_b64 s[16:17], s[80:81]
	s_cbranch_execnz .LBB1661_282
.LBB1661_261:
	s_or_b64 exec, exec, s[16:17]
	s_and_saveexec_b64 s[16:17], s[82:83]
	s_cbranch_execz .LBB1661_283
.LBB1661_262:
	v_lshlrev_b32_e32 v4, 2, v89
	ds_read_b32 v4, v4
	v_lshlrev_b32_e32 v5, 1, v2
	s_waitcnt vmcnt(0)
	ds_read_u16 v6, v5 offset:16640
	v_mov_b32_e32 v5, 0
	s_waitcnt lgkmcnt(1)
	v_add_u32_e32 v4, v4, v86
	v_lshl_add_u64 v[4:5], v[4:5], 1, s[14:15]
	s_waitcnt lgkmcnt(0)
	global_store_short v[4:5], v6, off
	s_or_b64 exec, exec, s[16:17]
	s_and_saveexec_b64 s[16:17], s[84:85]
	s_cbranch_execnz .LBB1661_284
.LBB1661_263:
	s_or_b64 exec, exec, s[16:17]
	s_and_saveexec_b64 s[16:17], s[86:87]
	s_cbranch_execz .LBB1661_285
.LBB1661_264:
	v_lshlrev_b32_e32 v4, 2, v93
	ds_read_b32 v4, v4
	v_lshlrev_b32_e32 v5, 1, v2
	s_waitcnt vmcnt(0)
	ds_read_u16 v6, v5 offset:18688
	v_mov_b32_e32 v5, 0
	s_waitcnt lgkmcnt(1)
	v_add_u32_e32 v4, v4, v90
	v_lshl_add_u64 v[4:5], v[4:5], 1, s[14:15]
	s_waitcnt lgkmcnt(0)
	global_store_short v[4:5], v6, off
	s_or_b64 exec, exec, s[16:17]
	s_and_saveexec_b64 s[16:17], s[88:89]
	s_cbranch_execnz .LBB1661_286
.LBB1661_265:
	s_or_b64 exec, exec, s[16:17]
	s_and_saveexec_b64 s[16:17], s[90:91]
	s_cbranch_execz .LBB1661_287
.LBB1661_266:
	v_lshlrev_b32_e32 v4, 2, v96
	ds_read_b32 v4, v4
	v_lshlrev_b32_e32 v5, 1, v2
	s_waitcnt vmcnt(0)
	ds_read_u16 v6, v5 offset:20736
	v_mov_b32_e32 v5, 0
	s_waitcnt lgkmcnt(1)
	v_add_u32_e32 v4, v4, v94
	v_lshl_add_u64 v[4:5], v[4:5], 1, s[14:15]
	s_waitcnt lgkmcnt(0)
	global_store_short v[4:5], v6, off
	s_or_b64 exec, exec, s[16:17]
	s_and_saveexec_b64 s[16:17], s[92:93]
	s_cbranch_execnz .LBB1661_288
	s_branch .LBB1661_289
.LBB1661_267:
	s_or_b64 exec, exec, s[16:17]
	s_and_saveexec_b64 s[16:17], s[52:53]
	s_cbranch_execz .LBB1661_247
.LBB1661_268:
	v_lshlrev_b32_e32 v4, 2, v8
	ds_read_b32 v4, v4
	v_lshlrev_b32_e32 v5, 1, v2
	s_waitcnt vmcnt(0)
	ds_read_u16 v6, v5 offset:1280
	v_mov_b32_e32 v5, 0
	s_waitcnt lgkmcnt(1)
	v_add_u32_e32 v4, v4, v10
	v_lshl_add_u64 v[4:5], v[4:5], 1, s[14:15]
	s_waitcnt lgkmcnt(0)
	global_store_short v[4:5], v6, off
	s_or_b64 exec, exec, s[16:17]
	s_and_saveexec_b64 s[16:17], s[54:55]
	s_cbranch_execnz .LBB1661_248
.LBB1661_269:
	s_or_b64 exec, exec, s[16:17]
	s_and_saveexec_b64 s[16:17], s[56:57]
	s_cbranch_execz .LBB1661_249
.LBB1661_270:
	v_lshlrev_b32_e32 v4, 2, v9
	ds_read_b32 v4, v4
	v_lshlrev_b32_e32 v5, 1, v2
	s_waitcnt vmcnt(0)
	ds_read_u16 v6, v5 offset:3328
	v_mov_b32_e32 v5, 0
	s_waitcnt lgkmcnt(1)
	v_add_u32_e32 v4, v4, v25
	v_lshl_add_u64 v[4:5], v[4:5], 1, s[14:15]
	s_waitcnt lgkmcnt(0)
	global_store_short v[4:5], v6, off
	s_or_b64 exec, exec, s[16:17]
	s_and_saveexec_b64 s[16:17], s[58:59]
	s_cbranch_execnz .LBB1661_250
.LBB1661_271:
	s_or_b64 exec, exec, s[16:17]
	s_and_saveexec_b64 s[16:17], s[60:61]
	s_cbranch_execz .LBB1661_251
.LBB1661_272:
	v_lshlrev_b32_e32 v4, 2, v13
	ds_read_b32 v4, v4
	v_lshlrev_b32_e32 v5, 1, v2
	s_waitcnt vmcnt(0)
	ds_read_u16 v6, v5 offset:5376
	v_mov_b32_e32 v5, 0
	s_waitcnt lgkmcnt(1)
	v_add_u32_e32 v4, v4, v29
	v_lshl_add_u64 v[4:5], v[4:5], 1, s[14:15]
	s_waitcnt lgkmcnt(0)
	global_store_short v[4:5], v6, off
	s_or_b64 exec, exec, s[16:17]
	s_and_saveexec_b64 s[16:17], s[62:63]
	s_cbranch_execnz .LBB1661_252
.LBB1661_273:
	s_or_b64 exec, exec, s[16:17]
	s_and_saveexec_b64 s[16:17], s[64:65]
	s_cbranch_execz .LBB1661_253
.LBB1661_274:
	v_lshlrev_b32_e32 v4, 2, v28
	ds_read_b32 v4, v4
	v_lshlrev_b32_e32 v5, 1, v2
	s_waitcnt vmcnt(0)
	ds_read_u16 v6, v5 offset:7424
	v_mov_b32_e32 v5, 0
	s_waitcnt lgkmcnt(1)
	v_add_u32_e32 v4, v4, v60
	v_lshl_add_u64 v[4:5], v[4:5], 1, s[14:15]
	s_waitcnt lgkmcnt(0)
	global_store_short v[4:5], v6, off
	s_or_b64 exec, exec, s[16:17]
	s_and_saveexec_b64 s[16:17], s[66:67]
	s_cbranch_execnz .LBB1661_254
.LBB1661_275:
	s_or_b64 exec, exec, s[16:17]
	s_and_saveexec_b64 s[16:17], s[68:69]
	s_cbranch_execz .LBB1661_255
.LBB1661_276:
	v_lshlrev_b32_e32 v4, 2, v32
	ds_read_b32 v4, v4
	v_lshlrev_b32_e32 v5, 1, v2
	s_waitcnt vmcnt(0)
	ds_read_u16 v6, v5 offset:9472
	v_mov_b32_e32 v5, 0
	s_waitcnt lgkmcnt(1)
	v_add_u32_e32 v4, v4, v69
	v_lshl_add_u64 v[4:5], v[4:5], 1, s[14:15]
	s_waitcnt lgkmcnt(0)
	global_store_short v[4:5], v6, off
	s_or_b64 exec, exec, s[16:17]
	s_and_saveexec_b64 s[16:17], s[70:71]
	s_cbranch_execnz .LBB1661_256
.LBB1661_277:
	s_or_b64 exec, exec, s[16:17]
	s_and_saveexec_b64 s[16:17], s[72:73]
	s_cbranch_execz .LBB1661_257
.LBB1661_278:
	v_lshlrev_b32_e32 v4, 2, v67
	ds_read_b32 v4, v4
	v_lshlrev_b32_e32 v5, 1, v2
	s_waitcnt vmcnt(0)
	ds_read_u16 v6, v5 offset:11520
	v_mov_b32_e32 v5, 0
	s_waitcnt lgkmcnt(1)
	v_add_u32_e32 v4, v4, v76
	v_lshl_add_u64 v[4:5], v[4:5], 1, s[14:15]
	s_waitcnt lgkmcnt(0)
	global_store_short v[4:5], v6, off
	s_or_b64 exec, exec, s[16:17]
	s_and_saveexec_b64 s[16:17], s[74:75]
	s_cbranch_execnz .LBB1661_258
.LBB1661_279:
	s_or_b64 exec, exec, s[16:17]
	s_and_saveexec_b64 s[16:17], s[76:77]
	s_cbranch_execz .LBB1661_259
.LBB1661_280:
	v_lshlrev_b32_e32 v4, 2, v75
	ds_read_b32 v4, v4
	v_lshlrev_b32_e32 v5, 1, v2
	s_waitcnt vmcnt(0)
	ds_read_u16 v6, v5 offset:13568
	v_mov_b32_e32 v5, 0
	s_waitcnt lgkmcnt(1)
	v_add_u32_e32 v4, v4, v80
	v_lshl_add_u64 v[4:5], v[4:5], 1, s[14:15]
	s_waitcnt lgkmcnt(0)
	global_store_short v[4:5], v6, off
	s_or_b64 exec, exec, s[16:17]
	s_and_saveexec_b64 s[16:17], s[78:79]
	s_cbranch_execnz .LBB1661_260
.LBB1661_281:
	s_or_b64 exec, exec, s[16:17]
	s_and_saveexec_b64 s[16:17], s[80:81]
	s_cbranch_execz .LBB1661_261
.LBB1661_282:
	v_lshlrev_b32_e32 v4, 2, v79
	ds_read_b32 v4, v4
	v_lshlrev_b32_e32 v5, 1, v2
	s_waitcnt vmcnt(0)
	ds_read_u16 v6, v5 offset:15616
	v_mov_b32_e32 v5, 0
	s_waitcnt lgkmcnt(1)
	v_add_u32_e32 v4, v4, v84
	v_lshl_add_u64 v[4:5], v[4:5], 1, s[14:15]
	s_waitcnt lgkmcnt(0)
	global_store_short v[4:5], v6, off
	s_or_b64 exec, exec, s[16:17]
	s_and_saveexec_b64 s[16:17], s[82:83]
	s_cbranch_execnz .LBB1661_262
.LBB1661_283:
	s_or_b64 exec, exec, s[16:17]
	s_and_saveexec_b64 s[16:17], s[84:85]
	s_cbranch_execz .LBB1661_263
.LBB1661_284:
	v_lshlrev_b32_e32 v4, 2, v83
	ds_read_b32 v4, v4
	v_lshlrev_b32_e32 v5, 1, v2
	s_waitcnt vmcnt(0)
	ds_read_u16 v6, v5 offset:17664
	v_mov_b32_e32 v5, 0
	s_waitcnt lgkmcnt(1)
	v_add_u32_e32 v4, v4, v88
	v_lshl_add_u64 v[4:5], v[4:5], 1, s[14:15]
	s_waitcnt lgkmcnt(0)
	global_store_short v[4:5], v6, off
	s_or_b64 exec, exec, s[16:17]
	s_and_saveexec_b64 s[16:17], s[86:87]
	s_cbranch_execnz .LBB1661_264
.LBB1661_285:
	s_or_b64 exec, exec, s[16:17]
	s_and_saveexec_b64 s[16:17], s[88:89]
	s_cbranch_execz .LBB1661_265
.LBB1661_286:
	v_lshlrev_b32_e32 v4, 2, v87
	ds_read_b32 v4, v4
	v_lshlrev_b32_e32 v5, 1, v2
	s_waitcnt vmcnt(0)
	ds_read_u16 v6, v5 offset:19712
	v_mov_b32_e32 v5, 0
	s_waitcnt lgkmcnt(1)
	v_add_u32_e32 v4, v4, v92
	v_lshl_add_u64 v[4:5], v[4:5], 1, s[14:15]
	s_waitcnt lgkmcnt(0)
	global_store_short v[4:5], v6, off
	s_or_b64 exec, exec, s[16:17]
	s_and_saveexec_b64 s[16:17], s[90:91]
	s_cbranch_execnz .LBB1661_266
.LBB1661_287:
	s_or_b64 exec, exec, s[16:17]
	s_and_saveexec_b64 s[16:17], s[92:93]
	s_cbranch_execz .LBB1661_289
.LBB1661_288:
	v_lshlrev_b32_e32 v4, 2, v91
	ds_read_b32 v4, v4
	v_lshlrev_b32_e32 v5, 1, v2
	s_waitcnt vmcnt(0)
	ds_read_u16 v6, v5 offset:21760
	v_mov_b32_e32 v5, 0
	s_waitcnt lgkmcnt(1)
	v_add_u32_e32 v4, v4, v95
	v_lshl_add_u64 v[4:5], v[4:5], 1, s[14:15]
	s_waitcnt lgkmcnt(0)
	global_store_short v[4:5], v6, off
.LBB1661_289:
	s_or_b64 exec, exec, s[16:17]
	s_load_dword s3, s[0:1], 0x58
	s_waitcnt lgkmcnt(0)
	s_add_i32 s3, s3, -1
	s_cmp_eq_u32 s33, s3
	s_cselect_b64 s[16:17], -1, 0
	s_xor_b64 s[18:19], s[48:49], -1
	s_and_b64 s[18:19], s[18:19], s[16:17]
	s_and_saveexec_b64 s[16:17], s[18:19]
	s_cbranch_execz .LBB1661_291
; %bb.290:
	ds_read_b32 v4, v3
	s_load_dwordx4 s[20:23], s[0:1], 0x28
	s_waitcnt lgkmcnt(0)
	v_add3_u32 v4, v15, v20, v4
	global_store_dword v3, v4, s[22:23]
.LBB1661_291:
	s_or_b64 exec, exec, s[16:17]
	s_mov_b64 s[16:17], 0
.LBB1661_292:
	s_and_b64 vcc, exec, s[16:17]
	s_cbranch_vccz .LBB1661_383
; %bb.293:
	s_mov_b32 s5, 0
	s_lshl_b64 s[16:17], s[4:5], 1
	v_mbcnt_hi_u32_b32 v3, -1, v1
	s_add_u32 s4, s8, s16
	v_and_b32_e32 v4, 63, v3
	v_and_b32_e32 v10, 0x3c0, v2
	v_mov_b32_e32 v1, 0
	s_addc_u32 s5, s9, s17
	s_waitcnt vmcnt(0)
	v_mul_u32_u24_e32 v6, 22, v10
	v_lshlrev_b32_e32 v4, 1, v4
	v_mov_b32_e32 v5, v1
	v_lshl_add_u64 v[8:9], s[4:5], 0, v[4:5]
	v_lshlrev_b32_e32 v6, 1, v6
	v_mov_b32_e32 v7, v1
	v_lshl_add_u64 v[8:9], v[8:9], 0, v[6:7]
	s_load_dword s20, s[0:1], 0x58
	s_load_dword s3, s[0:1], 0x64
	global_load_ushort v5, v[8:9], off
	s_add_u32 s0, s0, 0x58
	s_addc_u32 s1, s1, 0
	v_bfe_u32 v13, v0, 20, 10
	s_waitcnt lgkmcnt(0)
	s_lshr_b32 s3, s3, 16
	s_cmp_lt_u32 s2, s20
	s_cselect_b32 s2, 12, 18
	s_add_u32 s0, s0, s2
	s_addc_u32 s1, s1, 0
	global_load_ushort v14, v1, s[0:1]
	global_load_ushort v11, v[8:9], off offset:128
	global_load_ushort v15, v[8:9], off offset:256
	;; [unrolled: 1-line block ×14, first 2 shown]
                                        ; kill: killed $sgpr0 killed $sgpr1
	global_load_ushort v50, v[8:9], off offset:1920
	global_load_ushort v45, v[8:9], off offset:2048
	;; [unrolled: 1-line block ×7, first 2 shown]
	v_bfe_u32 v9, v0, 10, 10
	v_lshlrev_b32_e32 v7, 3, v2
	v_mov_b32_e32 v0, v1
	ds_write_b64 v7, v[0:1] offset:32
	s_lshl_b32 s0, -1, s97
	v_mad_u32_u24 v18, v13, s3, v9
	v_mov_b32_e32 v8, v1
	v_mov_b32_e32 v12, v1
	s_not_b32 s21, s0
	v_mov_b32_e32 v16, v1
	s_waitcnt lgkmcnt(0)
	s_barrier
	s_waitcnt vmcnt(22)
	; wave barrier
	v_xor_b32_e32 v5, 0xffff8000, v5
	v_lshrrev_b32_sdwa v0, s96, v5 dst_sel:DWORD dst_unused:UNUSED_PAD src0_sel:DWORD src1_sel:WORD_0
	v_bitop3_b32 v21, v0, s0, v0 bitop3:0x30
	v_and_b32_e32 v0, 1, v21
	v_lshlrev_b32_e32 v9, 30, v21
	v_lshlrev_b32_e32 v13, 29, v21
	s_waitcnt vmcnt(21)
	v_mad_u64_u32 v[22:23], s[0:1], v18, v14, v[2:3]
	v_lshl_add_u64 v[28:29], v[0:1], 0, -1
	v_cmp_ne_u32_e32 vcc, 0, v0
	v_not_b32_e32 v0, v9
	v_lshlrev_b32_e32 v17, 28, v21
	v_cmp_gt_i64_e64 s[0:1], 0, v[8:9]
	v_cmp_gt_i64_e64 s[2:3], 0, v[12:13]
	v_not_b32_e32 v8, v13
	v_lshrrev_b32_e32 v12, 6, v22
	v_xor_b32_e32 v13, vcc_hi, v29
	v_xor_b32_e32 v14, vcc_lo, v28
	v_ashrrev_i32_e32 v0, 31, v0
	v_cmp_gt_i64_e64 s[4:5], 0, v[16:17]
	v_ashrrev_i32_e32 v8, 31, v8
	v_lshlrev_b32_e32 v24, 2, v12
	v_and_b32_e32 v12, exec_hi, v13
	v_and_b32_e32 v13, exec_lo, v14
	v_xor_b32_e32 v16, s1, v0
	v_xor_b32_e32 v0, s0, v0
	v_not_b32_e32 v9, v17
	v_xor_b32_e32 v17, s3, v8
	v_xor_b32_e32 v8, s2, v8
	v_and_b32_e32 v0, v13, v0
	v_and_b32_e32 v12, v12, v16
	;; [unrolled: 1-line block ×3, first 2 shown]
	v_ashrrev_i32_e32 v8, 31, v9
	v_and_b32_e32 v12, v12, v17
	v_xor_b32_e32 v9, s5, v8
	v_xor_b32_e32 v8, s4, v8
	v_and_b32_e32 v12, v12, v9
	v_and_b32_e32 v0, v0, v8
	v_lshlrev_b32_e32 v9, 27, v21
	v_mov_b32_e32 v8, v1
	v_cmp_gt_i64_e32 vcc, 0, v[8:9]
	v_not_b32_e32 v8, v9
	v_ashrrev_i32_e32 v8, 31, v8
	v_xor_b32_e32 v9, vcc_hi, v8
	v_xor_b32_e32 v8, vcc_lo, v8
	v_and_b32_e32 v12, v12, v9
	v_and_b32_e32 v0, v0, v8
	v_lshlrev_b32_e32 v9, 26, v21
	v_mov_b32_e32 v8, v1
	v_cmp_gt_i64_e32 vcc, 0, v[8:9]
	v_not_b32_e32 v8, v9
	v_ashrrev_i32_e32 v8, 31, v8
	v_xor_b32_e32 v9, vcc_hi, v8
	v_xor_b32_e32 v8, vcc_lo, v8
	v_and_b32_e32 v8, v0, v8
	v_and_b32_e32 v9, v12, v9
	v_mbcnt_lo_u32_b32 v0, v8, 0
	v_mbcnt_hi_u32_b32 v12, v9, v0
	v_cmp_eq_u32_e32 vcc, 0, v12
	v_cmp_ne_u64_e64 s[0:1], 0, v[8:9]
	v_mad_u32_u24 v14, v21, 36, v24
	s_and_b64 s[2:3], s[0:1], vcc
	s_and_saveexec_b64 s[0:1], s[2:3]
; %bb.294:
	v_bcnt_u32_b32 v0, v8, 0
	v_bcnt_u32_b32 v0, v9, v0
	ds_write_b32 v14, v0 offset:32
; %bb.295:
	s_or_b64 exec, exec, s[0:1]
	s_waitcnt vmcnt(20)
	v_xor_b32_e32 v11, 0xffff8000, v11
	v_lshrrev_b32_sdwa v0, s96, v11 dst_sel:DWORD dst_unused:UNUSED_PAD src0_sel:DWORD src1_sel:WORD_0
	v_and_b32_e32 v17, s21, v0
	v_and_b32_e32 v0, 1, v17
	v_lshl_add_u64 v[8:9], v[0:1], 0, -1
	v_cmp_ne_u32_e32 vcc, 0, v0
	v_mad_u32_u24 v16, v17, 36, v24
	s_nop 0
	v_xor_b32_e32 v8, vcc_lo, v8
	v_xor_b32_e32 v0, vcc_hi, v9
	v_and_b32_e32 v18, exec_lo, v8
	v_lshlrev_b32_e32 v9, 30, v17
	v_mov_b32_e32 v8, v1
	v_cmp_gt_i64_e32 vcc, 0, v[8:9]
	v_not_b32_e32 v8, v9
	v_ashrrev_i32_e32 v8, 31, v8
	v_and_b32_e32 v0, exec_hi, v0
	v_xor_b32_e32 v9, vcc_hi, v8
	v_xor_b32_e32 v8, vcc_lo, v8
	v_and_b32_e32 v0, v0, v9
	v_and_b32_e32 v18, v18, v8
	v_lshlrev_b32_e32 v9, 29, v17
	v_mov_b32_e32 v8, v1
	v_cmp_gt_i64_e32 vcc, 0, v[8:9]
	v_not_b32_e32 v8, v9
	v_ashrrev_i32_e32 v8, 31, v8
	v_xor_b32_e32 v9, vcc_hi, v8
	v_xor_b32_e32 v8, vcc_lo, v8
	v_and_b32_e32 v0, v0, v9
	v_and_b32_e32 v18, v18, v8
	v_lshlrev_b32_e32 v9, 28, v17
	v_mov_b32_e32 v8, v1
	v_cmp_gt_i64_e32 vcc, 0, v[8:9]
	v_not_b32_e32 v8, v9
	v_ashrrev_i32_e32 v8, 31, v8
	;; [unrolled: 9-line block ×3, first 2 shown]
	v_xor_b32_e32 v9, vcc_hi, v8
	v_xor_b32_e32 v8, vcc_lo, v8
	v_and_b32_e32 v0, v0, v9
	v_lshlrev_b32_e32 v9, 26, v17
	v_and_b32_e32 v18, v18, v8
	v_mov_b32_e32 v8, v1
	v_not_b32_e32 v1, v9
	v_cmp_gt_i64_e32 vcc, 0, v[8:9]
	v_ashrrev_i32_e32 v1, 31, v1
	; wave barrier
	s_nop 0
	v_xor_b32_e32 v8, vcc_hi, v1
	v_xor_b32_e32 v9, vcc_lo, v1
	ds_read_b32 v13, v16 offset:32
	v_and_b32_e32 v1, v0, v8
	v_and_b32_e32 v0, v18, v9
	v_mbcnt_lo_u32_b32 v8, v0, 0
	v_mbcnt_hi_u32_b32 v17, v1, v8
	v_cmp_eq_u32_e32 vcc, 0, v17
	v_cmp_ne_u64_e64 s[0:1], 0, v[0:1]
	s_and_b64 s[2:3], s[0:1], vcc
	; wave barrier
	s_and_saveexec_b64 s[0:1], s[2:3]
	s_cbranch_execz .LBB1661_297
; %bb.296:
	v_bcnt_u32_b32 v0, v0, 0
	v_bcnt_u32_b32 v0, v1, v0
	s_waitcnt lgkmcnt(0)
	v_add_u32_e32 v0, v13, v0
	ds_write_b32 v16, v0 offset:32
.LBB1661_297:
	s_or_b64 exec, exec, s[0:1]
	s_waitcnt vmcnt(19)
	v_xor_b32_e32 v15, 0xffff8000, v15
	v_lshrrev_b32_sdwa v0, s96, v15 dst_sel:DWORD dst_unused:UNUSED_PAD src0_sel:DWORD src1_sel:WORD_0
	v_and_b32_e32 v22, s21, v0
	v_and_b32_e32 v0, 1, v22
	v_mov_b32_e32 v1, 0
	v_lshl_add_u64 v[8:9], v[0:1], 0, -1
	v_cmp_ne_u32_e32 vcc, 0, v0
	v_mad_u32_u24 v21, v22, 36, v24
	s_nop 0
	v_xor_b32_e32 v8, vcc_lo, v8
	v_xor_b32_e32 v0, vcc_hi, v9
	v_and_b32_e32 v23, exec_lo, v8
	v_lshlrev_b32_e32 v9, 30, v22
	v_mov_b32_e32 v8, v1
	v_cmp_gt_i64_e32 vcc, 0, v[8:9]
	v_not_b32_e32 v8, v9
	v_ashrrev_i32_e32 v8, 31, v8
	v_and_b32_e32 v0, exec_hi, v0
	v_xor_b32_e32 v9, vcc_hi, v8
	v_xor_b32_e32 v8, vcc_lo, v8
	v_and_b32_e32 v0, v0, v9
	v_and_b32_e32 v23, v23, v8
	v_lshlrev_b32_e32 v9, 29, v22
	v_mov_b32_e32 v8, v1
	v_cmp_gt_i64_e32 vcc, 0, v[8:9]
	v_not_b32_e32 v8, v9
	v_ashrrev_i32_e32 v8, 31, v8
	v_xor_b32_e32 v9, vcc_hi, v8
	v_xor_b32_e32 v8, vcc_lo, v8
	v_and_b32_e32 v0, v0, v9
	v_and_b32_e32 v23, v23, v8
	v_lshlrev_b32_e32 v9, 28, v22
	v_mov_b32_e32 v8, v1
	v_cmp_gt_i64_e32 vcc, 0, v[8:9]
	v_not_b32_e32 v8, v9
	v_ashrrev_i32_e32 v8, 31, v8
	;; [unrolled: 9-line block ×4, first 2 shown]
	v_xor_b32_e32 v9, vcc_hi, v8
	v_xor_b32_e32 v8, vcc_lo, v8
	; wave barrier
	ds_read_b32 v18, v21 offset:32
	v_and_b32_e32 v8, v23, v8
	v_and_b32_e32 v9, v0, v9
	v_mbcnt_lo_u32_b32 v0, v8, 0
	v_mbcnt_hi_u32_b32 v22, v9, v0
	v_cmp_eq_u32_e32 vcc, 0, v22
	v_cmp_ne_u64_e64 s[0:1], 0, v[8:9]
	s_and_b64 s[2:3], s[0:1], vcc
	; wave barrier
	s_and_saveexec_b64 s[0:1], s[2:3]
	s_cbranch_execz .LBB1661_299
; %bb.298:
	v_bcnt_u32_b32 v0, v8, 0
	v_bcnt_u32_b32 v0, v9, v0
	s_waitcnt lgkmcnt(0)
	v_add_u32_e32 v0, v18, v0
	ds_write_b32 v21, v0 offset:32
.LBB1661_299:
	s_or_b64 exec, exec, s[0:1]
	s_waitcnt vmcnt(18)
	v_xor_b32_e32 v20, 0xffff8000, v20
	v_lshrrev_b32_sdwa v0, s96, v20 dst_sel:DWORD dst_unused:UNUSED_PAD src0_sel:DWORD src1_sel:WORD_0
	v_and_b32_e32 v28, s21, v0
	v_and_b32_e32 v0, 1, v28
	v_lshl_add_u64 v[8:9], v[0:1], 0, -1
	v_cmp_ne_u32_e32 vcc, 0, v0
	v_mad_u32_u24 v27, v28, 36, v24
	s_nop 0
	v_xor_b32_e32 v8, vcc_lo, v8
	v_xor_b32_e32 v0, vcc_hi, v9
	v_and_b32_e32 v29, exec_lo, v8
	v_lshlrev_b32_e32 v9, 30, v28
	v_mov_b32_e32 v8, v1
	v_cmp_gt_i64_e32 vcc, 0, v[8:9]
	v_not_b32_e32 v8, v9
	v_ashrrev_i32_e32 v8, 31, v8
	v_and_b32_e32 v0, exec_hi, v0
	v_xor_b32_e32 v9, vcc_hi, v8
	v_xor_b32_e32 v8, vcc_lo, v8
	v_and_b32_e32 v0, v0, v9
	v_and_b32_e32 v29, v29, v8
	v_lshlrev_b32_e32 v9, 29, v28
	v_mov_b32_e32 v8, v1
	v_cmp_gt_i64_e32 vcc, 0, v[8:9]
	v_not_b32_e32 v8, v9
	v_ashrrev_i32_e32 v8, 31, v8
	v_xor_b32_e32 v9, vcc_hi, v8
	v_xor_b32_e32 v8, vcc_lo, v8
	v_and_b32_e32 v0, v0, v9
	v_and_b32_e32 v29, v29, v8
	v_lshlrev_b32_e32 v9, 28, v28
	v_mov_b32_e32 v8, v1
	v_cmp_gt_i64_e32 vcc, 0, v[8:9]
	v_not_b32_e32 v8, v9
	v_ashrrev_i32_e32 v8, 31, v8
	;; [unrolled: 9-line block ×3, first 2 shown]
	v_xor_b32_e32 v9, vcc_hi, v8
	v_xor_b32_e32 v8, vcc_lo, v8
	v_and_b32_e32 v0, v0, v9
	v_lshlrev_b32_e32 v9, 26, v28
	v_and_b32_e32 v29, v29, v8
	v_mov_b32_e32 v8, v1
	v_not_b32_e32 v1, v9
	v_cmp_gt_i64_e32 vcc, 0, v[8:9]
	v_ashrrev_i32_e32 v1, 31, v1
	; wave barrier
	s_nop 0
	v_xor_b32_e32 v8, vcc_hi, v1
	v_xor_b32_e32 v9, vcc_lo, v1
	ds_read_b32 v23, v27 offset:32
	v_and_b32_e32 v1, v0, v8
	v_and_b32_e32 v0, v29, v9
	v_mbcnt_lo_u32_b32 v8, v0, 0
	v_mbcnt_hi_u32_b32 v28, v1, v8
	v_cmp_eq_u32_e32 vcc, 0, v28
	v_cmp_ne_u64_e64 s[0:1], 0, v[0:1]
	s_and_b64 s[2:3], s[0:1], vcc
	; wave barrier
	s_and_saveexec_b64 s[0:1], s[2:3]
	s_cbranch_execz .LBB1661_301
; %bb.300:
	v_bcnt_u32_b32 v0, v0, 0
	v_bcnt_u32_b32 v0, v1, v0
	s_waitcnt lgkmcnt(0)
	v_add_u32_e32 v0, v23, v0
	ds_write_b32 v27, v0 offset:32
.LBB1661_301:
	s_or_b64 exec, exec, s[0:1]
	s_waitcnt vmcnt(17)
	v_xor_b32_e32 v26, 0xffff8000, v26
	v_lshrrev_b32_sdwa v0, s96, v26 dst_sel:DWORD dst_unused:UNUSED_PAD src0_sel:DWORD src1_sel:WORD_0
	v_and_b32_e32 v33, s21, v0
	v_and_b32_e32 v0, 1, v33
	v_mov_b32_e32 v1, 0
	v_lshl_add_u64 v[8:9], v[0:1], 0, -1
	v_cmp_ne_u32_e32 vcc, 0, v0
	v_mad_u32_u24 v32, v33, 36, v24
	s_nop 0
	v_xor_b32_e32 v8, vcc_lo, v8
	v_xor_b32_e32 v0, vcc_hi, v9
	v_and_b32_e32 v34, exec_lo, v8
	v_lshlrev_b32_e32 v9, 30, v33
	v_mov_b32_e32 v8, v1
	v_cmp_gt_i64_e32 vcc, 0, v[8:9]
	v_not_b32_e32 v8, v9
	v_ashrrev_i32_e32 v8, 31, v8
	v_and_b32_e32 v0, exec_hi, v0
	v_xor_b32_e32 v9, vcc_hi, v8
	v_xor_b32_e32 v8, vcc_lo, v8
	v_and_b32_e32 v0, v0, v9
	v_and_b32_e32 v34, v34, v8
	v_lshlrev_b32_e32 v9, 29, v33
	v_mov_b32_e32 v8, v1
	v_cmp_gt_i64_e32 vcc, 0, v[8:9]
	v_not_b32_e32 v8, v9
	v_ashrrev_i32_e32 v8, 31, v8
	v_xor_b32_e32 v9, vcc_hi, v8
	v_xor_b32_e32 v8, vcc_lo, v8
	v_and_b32_e32 v0, v0, v9
	v_and_b32_e32 v34, v34, v8
	v_lshlrev_b32_e32 v9, 28, v33
	v_mov_b32_e32 v8, v1
	v_cmp_gt_i64_e32 vcc, 0, v[8:9]
	v_not_b32_e32 v8, v9
	v_ashrrev_i32_e32 v8, 31, v8
	;; [unrolled: 9-line block ×4, first 2 shown]
	v_xor_b32_e32 v9, vcc_hi, v8
	v_xor_b32_e32 v8, vcc_lo, v8
	; wave barrier
	ds_read_b32 v29, v32 offset:32
	v_and_b32_e32 v8, v34, v8
	v_and_b32_e32 v9, v0, v9
	v_mbcnt_lo_u32_b32 v0, v8, 0
	v_mbcnt_hi_u32_b32 v33, v9, v0
	v_cmp_eq_u32_e32 vcc, 0, v33
	v_cmp_ne_u64_e64 s[0:1], 0, v[8:9]
	s_and_b64 s[2:3], s[0:1], vcc
	; wave barrier
	s_and_saveexec_b64 s[0:1], s[2:3]
	s_cbranch_execz .LBB1661_303
; %bb.302:
	v_bcnt_u32_b32 v0, v8, 0
	v_bcnt_u32_b32 v0, v9, v0
	s_waitcnt lgkmcnt(0)
	v_add_u32_e32 v0, v29, v0
	ds_write_b32 v32, v0 offset:32
.LBB1661_303:
	s_or_b64 exec, exec, s[0:1]
	s_waitcnt vmcnt(16)
	v_xor_b32_e32 v31, 0xffff8000, v31
	v_lshrrev_b32_sdwa v0, s96, v31 dst_sel:DWORD dst_unused:UNUSED_PAD src0_sel:DWORD src1_sel:WORD_0
	v_and_b32_e32 v38, s21, v0
	v_and_b32_e32 v0, 1, v38
	v_lshl_add_u64 v[8:9], v[0:1], 0, -1
	v_cmp_ne_u32_e32 vcc, 0, v0
	v_mad_u32_u24 v37, v38, 36, v24
	s_nop 0
	v_xor_b32_e32 v8, vcc_lo, v8
	v_xor_b32_e32 v0, vcc_hi, v9
	v_and_b32_e32 v39, exec_lo, v8
	v_lshlrev_b32_e32 v9, 30, v38
	v_mov_b32_e32 v8, v1
	v_cmp_gt_i64_e32 vcc, 0, v[8:9]
	v_not_b32_e32 v8, v9
	v_ashrrev_i32_e32 v8, 31, v8
	v_and_b32_e32 v0, exec_hi, v0
	v_xor_b32_e32 v9, vcc_hi, v8
	v_xor_b32_e32 v8, vcc_lo, v8
	v_and_b32_e32 v0, v0, v9
	v_and_b32_e32 v39, v39, v8
	v_lshlrev_b32_e32 v9, 29, v38
	v_mov_b32_e32 v8, v1
	v_cmp_gt_i64_e32 vcc, 0, v[8:9]
	v_not_b32_e32 v8, v9
	v_ashrrev_i32_e32 v8, 31, v8
	v_xor_b32_e32 v9, vcc_hi, v8
	v_xor_b32_e32 v8, vcc_lo, v8
	v_and_b32_e32 v0, v0, v9
	v_and_b32_e32 v39, v39, v8
	v_lshlrev_b32_e32 v9, 28, v38
	v_mov_b32_e32 v8, v1
	v_cmp_gt_i64_e32 vcc, 0, v[8:9]
	v_not_b32_e32 v8, v9
	v_ashrrev_i32_e32 v8, 31, v8
	v_xor_b32_e32 v9, vcc_hi, v8
	v_xor_b32_e32 v8, vcc_lo, v8
	v_and_b32_e32 v0, v0, v9
	v_and_b32_e32 v39, v39, v8
	v_lshlrev_b32_e32 v9, 27, v38
	v_mov_b32_e32 v8, v1
	v_cmp_gt_i64_e32 vcc, 0, v[8:9]
	v_not_b32_e32 v8, v9
	v_ashrrev_i32_e32 v8, 31, v8
	v_xor_b32_e32 v9, vcc_hi, v8
	v_xor_b32_e32 v8, vcc_lo, v8
	v_and_b32_e32 v0, v0, v9
	v_lshlrev_b32_e32 v9, 26, v38
	v_and_b32_e32 v39, v39, v8
	v_mov_b32_e32 v8, v1
	v_not_b32_e32 v1, v9
	v_cmp_gt_i64_e32 vcc, 0, v[8:9]
	v_ashrrev_i32_e32 v1, 31, v1
	; wave barrier
	s_nop 0
	v_xor_b32_e32 v8, vcc_hi, v1
	v_xor_b32_e32 v9, vcc_lo, v1
	ds_read_b32 v34, v37 offset:32
	v_and_b32_e32 v1, v0, v8
	v_and_b32_e32 v0, v39, v9
	v_mbcnt_lo_u32_b32 v8, v0, 0
	v_mbcnt_hi_u32_b32 v38, v1, v8
	v_cmp_eq_u32_e32 vcc, 0, v38
	v_cmp_ne_u64_e64 s[0:1], 0, v[0:1]
	s_and_b64 s[2:3], s[0:1], vcc
	; wave barrier
	s_and_saveexec_b64 s[0:1], s[2:3]
	s_cbranch_execz .LBB1661_305
; %bb.304:
	v_bcnt_u32_b32 v0, v0, 0
	v_bcnt_u32_b32 v0, v1, v0
	s_waitcnt lgkmcnt(0)
	v_add_u32_e32 v0, v34, v0
	ds_write_b32 v37, v0 offset:32
.LBB1661_305:
	s_or_b64 exec, exec, s[0:1]
	s_waitcnt vmcnt(15)
	v_xor_b32_e32 v36, 0xffff8000, v36
	v_lshrrev_b32_sdwa v0, s96, v36 dst_sel:DWORD dst_unused:UNUSED_PAD src0_sel:DWORD src1_sel:WORD_0
	v_and_b32_e32 v43, s21, v0
	v_and_b32_e32 v0, 1, v43
	v_mov_b32_e32 v1, 0
	v_lshl_add_u64 v[8:9], v[0:1], 0, -1
	v_cmp_ne_u32_e32 vcc, 0, v0
	v_mad_u32_u24 v42, v43, 36, v24
	s_nop 0
	v_xor_b32_e32 v8, vcc_lo, v8
	v_xor_b32_e32 v0, vcc_hi, v9
	v_and_b32_e32 v44, exec_lo, v8
	v_lshlrev_b32_e32 v9, 30, v43
	v_mov_b32_e32 v8, v1
	v_cmp_gt_i64_e32 vcc, 0, v[8:9]
	v_not_b32_e32 v8, v9
	v_ashrrev_i32_e32 v8, 31, v8
	v_and_b32_e32 v0, exec_hi, v0
	v_xor_b32_e32 v9, vcc_hi, v8
	v_xor_b32_e32 v8, vcc_lo, v8
	v_and_b32_e32 v0, v0, v9
	v_and_b32_e32 v44, v44, v8
	v_lshlrev_b32_e32 v9, 29, v43
	v_mov_b32_e32 v8, v1
	v_cmp_gt_i64_e32 vcc, 0, v[8:9]
	v_not_b32_e32 v8, v9
	v_ashrrev_i32_e32 v8, 31, v8
	v_xor_b32_e32 v9, vcc_hi, v8
	v_xor_b32_e32 v8, vcc_lo, v8
	v_and_b32_e32 v0, v0, v9
	v_and_b32_e32 v44, v44, v8
	v_lshlrev_b32_e32 v9, 28, v43
	v_mov_b32_e32 v8, v1
	v_cmp_gt_i64_e32 vcc, 0, v[8:9]
	v_not_b32_e32 v8, v9
	v_ashrrev_i32_e32 v8, 31, v8
	;; [unrolled: 9-line block ×4, first 2 shown]
	v_xor_b32_e32 v9, vcc_hi, v8
	v_xor_b32_e32 v8, vcc_lo, v8
	; wave barrier
	ds_read_b32 v39, v42 offset:32
	v_and_b32_e32 v8, v44, v8
	v_and_b32_e32 v9, v0, v9
	v_mbcnt_lo_u32_b32 v0, v8, 0
	v_mbcnt_hi_u32_b32 v43, v9, v0
	v_cmp_eq_u32_e32 vcc, 0, v43
	v_cmp_ne_u64_e64 s[0:1], 0, v[8:9]
	s_and_b64 s[2:3], s[0:1], vcc
	; wave barrier
	s_and_saveexec_b64 s[0:1], s[2:3]
	s_cbranch_execz .LBB1661_307
; %bb.306:
	v_bcnt_u32_b32 v0, v8, 0
	v_bcnt_u32_b32 v0, v9, v0
	s_waitcnt lgkmcnt(0)
	v_add_u32_e32 v0, v39, v0
	ds_write_b32 v42, v0 offset:32
.LBB1661_307:
	s_or_b64 exec, exec, s[0:1]
	s_waitcnt vmcnt(14)
	v_xor_b32_e32 v41, 0xffff8000, v41
	v_lshrrev_b32_sdwa v0, s96, v41 dst_sel:DWORD dst_unused:UNUSED_PAD src0_sel:DWORD src1_sel:WORD_0
	v_and_b32_e32 v48, s21, v0
	v_and_b32_e32 v0, 1, v48
	v_lshl_add_u64 v[8:9], v[0:1], 0, -1
	v_cmp_ne_u32_e32 vcc, 0, v0
	v_mad_u32_u24 v47, v48, 36, v24
	s_nop 0
	v_xor_b32_e32 v8, vcc_lo, v8
	v_xor_b32_e32 v0, vcc_hi, v9
	v_and_b32_e32 v49, exec_lo, v8
	v_lshlrev_b32_e32 v9, 30, v48
	v_mov_b32_e32 v8, v1
	v_cmp_gt_i64_e32 vcc, 0, v[8:9]
	v_not_b32_e32 v8, v9
	v_ashrrev_i32_e32 v8, 31, v8
	v_and_b32_e32 v0, exec_hi, v0
	v_xor_b32_e32 v9, vcc_hi, v8
	v_xor_b32_e32 v8, vcc_lo, v8
	v_and_b32_e32 v0, v0, v9
	v_and_b32_e32 v49, v49, v8
	v_lshlrev_b32_e32 v9, 29, v48
	v_mov_b32_e32 v8, v1
	v_cmp_gt_i64_e32 vcc, 0, v[8:9]
	v_not_b32_e32 v8, v9
	v_ashrrev_i32_e32 v8, 31, v8
	v_xor_b32_e32 v9, vcc_hi, v8
	v_xor_b32_e32 v8, vcc_lo, v8
	v_and_b32_e32 v0, v0, v9
	v_and_b32_e32 v49, v49, v8
	v_lshlrev_b32_e32 v9, 28, v48
	v_mov_b32_e32 v8, v1
	v_cmp_gt_i64_e32 vcc, 0, v[8:9]
	v_not_b32_e32 v8, v9
	v_ashrrev_i32_e32 v8, 31, v8
	;; [unrolled: 9-line block ×3, first 2 shown]
	v_xor_b32_e32 v9, vcc_hi, v8
	v_xor_b32_e32 v8, vcc_lo, v8
	v_and_b32_e32 v0, v0, v9
	v_lshlrev_b32_e32 v9, 26, v48
	v_and_b32_e32 v49, v49, v8
	v_mov_b32_e32 v8, v1
	v_not_b32_e32 v1, v9
	v_cmp_gt_i64_e32 vcc, 0, v[8:9]
	v_ashrrev_i32_e32 v1, 31, v1
	; wave barrier
	s_nop 0
	v_xor_b32_e32 v8, vcc_hi, v1
	v_xor_b32_e32 v9, vcc_lo, v1
	ds_read_b32 v44, v47 offset:32
	v_and_b32_e32 v1, v0, v8
	v_and_b32_e32 v0, v49, v9
	v_mbcnt_lo_u32_b32 v8, v0, 0
	v_mbcnt_hi_u32_b32 v48, v1, v8
	v_cmp_eq_u32_e32 vcc, 0, v48
	v_cmp_ne_u64_e64 s[0:1], 0, v[0:1]
	s_and_b64 s[2:3], s[0:1], vcc
	; wave barrier
	s_and_saveexec_b64 s[0:1], s[2:3]
	s_cbranch_execz .LBB1661_309
; %bb.308:
	v_bcnt_u32_b32 v0, v0, 0
	v_bcnt_u32_b32 v0, v1, v0
	s_waitcnt lgkmcnt(0)
	v_add_u32_e32 v0, v44, v0
	ds_write_b32 v47, v0 offset:32
.LBB1661_309:
	s_or_b64 exec, exec, s[0:1]
	s_waitcnt vmcnt(13)
	v_xor_b32_e32 v46, 0xffff8000, v46
	v_lshrrev_b32_sdwa v0, s96, v46 dst_sel:DWORD dst_unused:UNUSED_PAD src0_sel:DWORD src1_sel:WORD_0
	v_and_b32_e32 v53, s21, v0
	v_and_b32_e32 v0, 1, v53
	v_mov_b32_e32 v1, 0
	v_lshl_add_u64 v[8:9], v[0:1], 0, -1
	v_cmp_ne_u32_e32 vcc, 0, v0
	v_mad_u32_u24 v52, v53, 36, v24
	s_nop 0
	v_xor_b32_e32 v8, vcc_lo, v8
	v_xor_b32_e32 v0, vcc_hi, v9
	v_and_b32_e32 v54, exec_lo, v8
	v_lshlrev_b32_e32 v9, 30, v53
	v_mov_b32_e32 v8, v1
	v_cmp_gt_i64_e32 vcc, 0, v[8:9]
	v_not_b32_e32 v8, v9
	v_ashrrev_i32_e32 v8, 31, v8
	v_and_b32_e32 v0, exec_hi, v0
	v_xor_b32_e32 v9, vcc_hi, v8
	v_xor_b32_e32 v8, vcc_lo, v8
	v_and_b32_e32 v0, v0, v9
	v_and_b32_e32 v54, v54, v8
	v_lshlrev_b32_e32 v9, 29, v53
	v_mov_b32_e32 v8, v1
	v_cmp_gt_i64_e32 vcc, 0, v[8:9]
	v_not_b32_e32 v8, v9
	v_ashrrev_i32_e32 v8, 31, v8
	v_xor_b32_e32 v9, vcc_hi, v8
	v_xor_b32_e32 v8, vcc_lo, v8
	v_and_b32_e32 v0, v0, v9
	v_and_b32_e32 v54, v54, v8
	v_lshlrev_b32_e32 v9, 28, v53
	v_mov_b32_e32 v8, v1
	v_cmp_gt_i64_e32 vcc, 0, v[8:9]
	v_not_b32_e32 v8, v9
	v_ashrrev_i32_e32 v8, 31, v8
	;; [unrolled: 9-line block ×4, first 2 shown]
	v_xor_b32_e32 v9, vcc_hi, v8
	v_xor_b32_e32 v8, vcc_lo, v8
	; wave barrier
	ds_read_b32 v49, v52 offset:32
	v_and_b32_e32 v8, v54, v8
	v_and_b32_e32 v9, v0, v9
	v_mbcnt_lo_u32_b32 v0, v8, 0
	v_mbcnt_hi_u32_b32 v53, v9, v0
	v_cmp_eq_u32_e32 vcc, 0, v53
	v_cmp_ne_u64_e64 s[0:1], 0, v[8:9]
	s_and_b64 s[2:3], s[0:1], vcc
	; wave barrier
	s_and_saveexec_b64 s[0:1], s[2:3]
	s_cbranch_execz .LBB1661_311
; %bb.310:
	v_bcnt_u32_b32 v0, v8, 0
	v_bcnt_u32_b32 v0, v9, v0
	s_waitcnt lgkmcnt(0)
	v_add_u32_e32 v0, v49, v0
	ds_write_b32 v52, v0 offset:32
.LBB1661_311:
	s_or_b64 exec, exec, s[0:1]
	s_waitcnt vmcnt(12)
	v_xor_b32_e32 v51, 0xffff8000, v51
	v_lshrrev_b32_sdwa v0, s96, v51 dst_sel:DWORD dst_unused:UNUSED_PAD src0_sel:DWORD src1_sel:WORD_0
	v_and_b32_e32 v58, s21, v0
	v_and_b32_e32 v0, 1, v58
	v_lshl_add_u64 v[8:9], v[0:1], 0, -1
	v_cmp_ne_u32_e32 vcc, 0, v0
	v_mad_u32_u24 v57, v58, 36, v24
	s_nop 0
	v_xor_b32_e32 v8, vcc_lo, v8
	v_xor_b32_e32 v0, vcc_hi, v9
	v_and_b32_e32 v59, exec_lo, v8
	v_lshlrev_b32_e32 v9, 30, v58
	v_mov_b32_e32 v8, v1
	v_cmp_gt_i64_e32 vcc, 0, v[8:9]
	v_not_b32_e32 v8, v9
	v_ashrrev_i32_e32 v8, 31, v8
	v_and_b32_e32 v0, exec_hi, v0
	v_xor_b32_e32 v9, vcc_hi, v8
	v_xor_b32_e32 v8, vcc_lo, v8
	v_and_b32_e32 v0, v0, v9
	v_and_b32_e32 v59, v59, v8
	v_lshlrev_b32_e32 v9, 29, v58
	v_mov_b32_e32 v8, v1
	v_cmp_gt_i64_e32 vcc, 0, v[8:9]
	v_not_b32_e32 v8, v9
	v_ashrrev_i32_e32 v8, 31, v8
	v_xor_b32_e32 v9, vcc_hi, v8
	v_xor_b32_e32 v8, vcc_lo, v8
	v_and_b32_e32 v0, v0, v9
	v_and_b32_e32 v59, v59, v8
	v_lshlrev_b32_e32 v9, 28, v58
	v_mov_b32_e32 v8, v1
	v_cmp_gt_i64_e32 vcc, 0, v[8:9]
	v_not_b32_e32 v8, v9
	v_ashrrev_i32_e32 v8, 31, v8
	;; [unrolled: 9-line block ×3, first 2 shown]
	v_xor_b32_e32 v9, vcc_hi, v8
	v_xor_b32_e32 v8, vcc_lo, v8
	v_and_b32_e32 v0, v0, v9
	v_lshlrev_b32_e32 v9, 26, v58
	v_and_b32_e32 v59, v59, v8
	v_mov_b32_e32 v8, v1
	v_not_b32_e32 v1, v9
	v_cmp_gt_i64_e32 vcc, 0, v[8:9]
	v_ashrrev_i32_e32 v1, 31, v1
	; wave barrier
	s_nop 0
	v_xor_b32_e32 v8, vcc_hi, v1
	v_xor_b32_e32 v9, vcc_lo, v1
	ds_read_b32 v54, v57 offset:32
	v_and_b32_e32 v1, v0, v8
	v_and_b32_e32 v0, v59, v9
	v_mbcnt_lo_u32_b32 v8, v0, 0
	v_mbcnt_hi_u32_b32 v58, v1, v8
	v_cmp_eq_u32_e32 vcc, 0, v58
	v_cmp_ne_u64_e64 s[0:1], 0, v[0:1]
	s_and_b64 s[2:3], s[0:1], vcc
	; wave barrier
	s_and_saveexec_b64 s[0:1], s[2:3]
	s_cbranch_execz .LBB1661_313
; %bb.312:
	v_bcnt_u32_b32 v0, v0, 0
	v_bcnt_u32_b32 v0, v1, v0
	s_waitcnt lgkmcnt(0)
	v_add_u32_e32 v0, v54, v0
	ds_write_b32 v57, v0 offset:32
.LBB1661_313:
	s_or_b64 exec, exec, s[0:1]
	s_waitcnt vmcnt(11)
	v_xor_b32_e32 v56, 0xffff8000, v56
	v_lshrrev_b32_sdwa v0, s96, v56 dst_sel:DWORD dst_unused:UNUSED_PAD src0_sel:DWORD src1_sel:WORD_0
	v_and_b32_e32 v63, s21, v0
	v_and_b32_e32 v0, 1, v63
	v_mov_b32_e32 v1, 0
	v_lshl_add_u64 v[8:9], v[0:1], 0, -1
	v_cmp_ne_u32_e32 vcc, 0, v0
	v_mad_u32_u24 v62, v63, 36, v24
	s_nop 0
	v_xor_b32_e32 v8, vcc_lo, v8
	v_xor_b32_e32 v0, vcc_hi, v9
	v_and_b32_e32 v64, exec_lo, v8
	v_lshlrev_b32_e32 v9, 30, v63
	v_mov_b32_e32 v8, v1
	v_cmp_gt_i64_e32 vcc, 0, v[8:9]
	v_not_b32_e32 v8, v9
	v_ashrrev_i32_e32 v8, 31, v8
	v_and_b32_e32 v0, exec_hi, v0
	v_xor_b32_e32 v9, vcc_hi, v8
	v_xor_b32_e32 v8, vcc_lo, v8
	v_and_b32_e32 v0, v0, v9
	v_and_b32_e32 v64, v64, v8
	v_lshlrev_b32_e32 v9, 29, v63
	v_mov_b32_e32 v8, v1
	v_cmp_gt_i64_e32 vcc, 0, v[8:9]
	v_not_b32_e32 v8, v9
	v_ashrrev_i32_e32 v8, 31, v8
	v_xor_b32_e32 v9, vcc_hi, v8
	v_xor_b32_e32 v8, vcc_lo, v8
	v_and_b32_e32 v0, v0, v9
	v_and_b32_e32 v64, v64, v8
	v_lshlrev_b32_e32 v9, 28, v63
	v_mov_b32_e32 v8, v1
	v_cmp_gt_i64_e32 vcc, 0, v[8:9]
	v_not_b32_e32 v8, v9
	v_ashrrev_i32_e32 v8, 31, v8
	;; [unrolled: 9-line block ×4, first 2 shown]
	v_xor_b32_e32 v9, vcc_hi, v8
	v_xor_b32_e32 v8, vcc_lo, v8
	; wave barrier
	ds_read_b32 v59, v62 offset:32
	v_and_b32_e32 v8, v64, v8
	v_and_b32_e32 v9, v0, v9
	v_mbcnt_lo_u32_b32 v0, v8, 0
	v_mbcnt_hi_u32_b32 v63, v9, v0
	v_cmp_eq_u32_e32 vcc, 0, v63
	v_cmp_ne_u64_e64 s[0:1], 0, v[8:9]
	s_and_b64 s[2:3], s[0:1], vcc
	; wave barrier
	s_and_saveexec_b64 s[0:1], s[2:3]
	s_cbranch_execz .LBB1661_315
; %bb.314:
	v_bcnt_u32_b32 v0, v8, 0
	v_bcnt_u32_b32 v0, v9, v0
	s_waitcnt lgkmcnt(0)
	v_add_u32_e32 v0, v59, v0
	ds_write_b32 v62, v0 offset:32
.LBB1661_315:
	s_or_b64 exec, exec, s[0:1]
	s_waitcnt vmcnt(10)
	v_xor_b32_e32 v61, 0xffff8000, v61
	v_lshrrev_b32_sdwa v0, s96, v61 dst_sel:DWORD dst_unused:UNUSED_PAD src0_sel:DWORD src1_sel:WORD_0
	v_and_b32_e32 v67, s21, v0
	v_and_b32_e32 v0, 1, v67
	v_lshl_add_u64 v[8:9], v[0:1], 0, -1
	v_cmp_ne_u32_e32 vcc, 0, v0
	v_mad_u32_u24 v66, v67, 36, v24
	s_nop 0
	v_xor_b32_e32 v8, vcc_lo, v8
	v_xor_b32_e32 v0, vcc_hi, v9
	v_and_b32_e32 v68, exec_lo, v8
	v_lshlrev_b32_e32 v9, 30, v67
	v_mov_b32_e32 v8, v1
	v_cmp_gt_i64_e32 vcc, 0, v[8:9]
	v_not_b32_e32 v8, v9
	v_ashrrev_i32_e32 v8, 31, v8
	v_and_b32_e32 v0, exec_hi, v0
	v_xor_b32_e32 v9, vcc_hi, v8
	v_xor_b32_e32 v8, vcc_lo, v8
	v_and_b32_e32 v0, v0, v9
	v_and_b32_e32 v68, v68, v8
	v_lshlrev_b32_e32 v9, 29, v67
	v_mov_b32_e32 v8, v1
	v_cmp_gt_i64_e32 vcc, 0, v[8:9]
	v_not_b32_e32 v8, v9
	v_ashrrev_i32_e32 v8, 31, v8
	v_xor_b32_e32 v9, vcc_hi, v8
	v_xor_b32_e32 v8, vcc_lo, v8
	v_and_b32_e32 v0, v0, v9
	v_and_b32_e32 v68, v68, v8
	v_lshlrev_b32_e32 v9, 28, v67
	v_mov_b32_e32 v8, v1
	v_cmp_gt_i64_e32 vcc, 0, v[8:9]
	v_not_b32_e32 v8, v9
	v_ashrrev_i32_e32 v8, 31, v8
	v_xor_b32_e32 v9, vcc_hi, v8
	v_xor_b32_e32 v8, vcc_lo, v8
	v_and_b32_e32 v0, v0, v9
	v_and_b32_e32 v68, v68, v8
	v_lshlrev_b32_e32 v9, 27, v67
	v_mov_b32_e32 v8, v1
	v_cmp_gt_i64_e32 vcc, 0, v[8:9]
	v_not_b32_e32 v8, v9
	v_ashrrev_i32_e32 v8, 31, v8
	v_xor_b32_e32 v9, vcc_hi, v8
	v_xor_b32_e32 v8, vcc_lo, v8
	v_and_b32_e32 v0, v0, v9
	v_lshlrev_b32_e32 v9, 26, v67
	v_and_b32_e32 v68, v68, v8
	v_mov_b32_e32 v8, v1
	v_not_b32_e32 v1, v9
	v_cmp_gt_i64_e32 vcc, 0, v[8:9]
	v_ashrrev_i32_e32 v1, 31, v1
	; wave barrier
	s_nop 0
	v_xor_b32_e32 v8, vcc_hi, v1
	v_xor_b32_e32 v9, vcc_lo, v1
	ds_read_b32 v64, v66 offset:32
	v_and_b32_e32 v1, v0, v8
	v_and_b32_e32 v0, v68, v9
	v_mbcnt_lo_u32_b32 v8, v0, 0
	v_mbcnt_hi_u32_b32 v67, v1, v8
	v_cmp_eq_u32_e32 vcc, 0, v67
	v_cmp_ne_u64_e64 s[0:1], 0, v[0:1]
	s_and_b64 s[2:3], s[0:1], vcc
	; wave barrier
	s_and_saveexec_b64 s[0:1], s[2:3]
	s_cbranch_execz .LBB1661_317
; %bb.316:
	v_bcnt_u32_b32 v0, v0, 0
	v_bcnt_u32_b32 v0, v1, v0
	s_waitcnt lgkmcnt(0)
	v_add_u32_e32 v0, v64, v0
	ds_write_b32 v66, v0 offset:32
.LBB1661_317:
	s_or_b64 exec, exec, s[0:1]
	s_waitcnt vmcnt(9)
	v_xor_b32_e32 v65, 0xffff8000, v65
	v_lshrrev_b32_sdwa v0, s96, v65 dst_sel:DWORD dst_unused:UNUSED_PAD src0_sel:DWORD src1_sel:WORD_0
	v_and_b32_e32 v70, s21, v0
	v_and_b32_e32 v0, 1, v70
	v_mov_b32_e32 v1, 0
	v_lshl_add_u64 v[8:9], v[0:1], 0, -1
	v_cmp_ne_u32_e32 vcc, 0, v0
	v_mad_u32_u24 v69, v70, 36, v24
	s_nop 0
	v_xor_b32_e32 v8, vcc_lo, v8
	v_xor_b32_e32 v0, vcc_hi, v9
	v_and_b32_e32 v71, exec_lo, v8
	v_lshlrev_b32_e32 v9, 30, v70
	v_mov_b32_e32 v8, v1
	v_cmp_gt_i64_e32 vcc, 0, v[8:9]
	v_not_b32_e32 v8, v9
	v_ashrrev_i32_e32 v8, 31, v8
	v_and_b32_e32 v0, exec_hi, v0
	v_xor_b32_e32 v9, vcc_hi, v8
	v_xor_b32_e32 v8, vcc_lo, v8
	v_and_b32_e32 v0, v0, v9
	v_and_b32_e32 v71, v71, v8
	v_lshlrev_b32_e32 v9, 29, v70
	v_mov_b32_e32 v8, v1
	v_cmp_gt_i64_e32 vcc, 0, v[8:9]
	v_not_b32_e32 v8, v9
	v_ashrrev_i32_e32 v8, 31, v8
	v_xor_b32_e32 v9, vcc_hi, v8
	v_xor_b32_e32 v8, vcc_lo, v8
	v_and_b32_e32 v0, v0, v9
	v_and_b32_e32 v71, v71, v8
	v_lshlrev_b32_e32 v9, 28, v70
	v_mov_b32_e32 v8, v1
	v_cmp_gt_i64_e32 vcc, 0, v[8:9]
	v_not_b32_e32 v8, v9
	v_ashrrev_i32_e32 v8, 31, v8
	;; [unrolled: 9-line block ×4, first 2 shown]
	v_xor_b32_e32 v9, vcc_hi, v8
	v_xor_b32_e32 v8, vcc_lo, v8
	; wave barrier
	ds_read_b32 v68, v69 offset:32
	v_and_b32_e32 v8, v71, v8
	v_and_b32_e32 v9, v0, v9
	v_mbcnt_lo_u32_b32 v0, v8, 0
	v_mbcnt_hi_u32_b32 v70, v9, v0
	v_cmp_eq_u32_e32 vcc, 0, v70
	v_cmp_ne_u64_e64 s[0:1], 0, v[8:9]
	s_and_b64 s[2:3], s[0:1], vcc
	; wave barrier
	s_and_saveexec_b64 s[0:1], s[2:3]
	s_cbranch_execz .LBB1661_319
; %bb.318:
	v_bcnt_u32_b32 v0, v8, 0
	v_bcnt_u32_b32 v0, v9, v0
	s_waitcnt lgkmcnt(0)
	v_add_u32_e32 v0, v68, v0
	ds_write_b32 v69, v0 offset:32
.LBB1661_319:
	s_or_b64 exec, exec, s[0:1]
	s_waitcnt vmcnt(8)
	v_xor_b32_e32 v60, 0xffff8000, v60
	v_lshrrev_b32_sdwa v0, s96, v60 dst_sel:DWORD dst_unused:UNUSED_PAD src0_sel:DWORD src1_sel:WORD_0
	v_and_b32_e32 v73, s21, v0
	v_and_b32_e32 v0, 1, v73
	v_lshl_add_u64 v[8:9], v[0:1], 0, -1
	v_cmp_ne_u32_e32 vcc, 0, v0
	v_mad_u32_u24 v72, v73, 36, v24
	s_nop 0
	v_xor_b32_e32 v8, vcc_lo, v8
	v_xor_b32_e32 v0, vcc_hi, v9
	v_and_b32_e32 v74, exec_lo, v8
	v_lshlrev_b32_e32 v9, 30, v73
	v_mov_b32_e32 v8, v1
	v_cmp_gt_i64_e32 vcc, 0, v[8:9]
	v_not_b32_e32 v8, v9
	v_ashrrev_i32_e32 v8, 31, v8
	v_and_b32_e32 v0, exec_hi, v0
	v_xor_b32_e32 v9, vcc_hi, v8
	v_xor_b32_e32 v8, vcc_lo, v8
	v_and_b32_e32 v0, v0, v9
	v_and_b32_e32 v74, v74, v8
	v_lshlrev_b32_e32 v9, 29, v73
	v_mov_b32_e32 v8, v1
	v_cmp_gt_i64_e32 vcc, 0, v[8:9]
	v_not_b32_e32 v8, v9
	v_ashrrev_i32_e32 v8, 31, v8
	v_xor_b32_e32 v9, vcc_hi, v8
	v_xor_b32_e32 v8, vcc_lo, v8
	v_and_b32_e32 v0, v0, v9
	v_and_b32_e32 v74, v74, v8
	v_lshlrev_b32_e32 v9, 28, v73
	v_mov_b32_e32 v8, v1
	v_cmp_gt_i64_e32 vcc, 0, v[8:9]
	v_not_b32_e32 v8, v9
	v_ashrrev_i32_e32 v8, 31, v8
	;; [unrolled: 9-line block ×3, first 2 shown]
	v_xor_b32_e32 v9, vcc_hi, v8
	v_xor_b32_e32 v8, vcc_lo, v8
	v_and_b32_e32 v0, v0, v9
	v_lshlrev_b32_e32 v9, 26, v73
	v_and_b32_e32 v74, v74, v8
	v_mov_b32_e32 v8, v1
	v_not_b32_e32 v1, v9
	v_cmp_gt_i64_e32 vcc, 0, v[8:9]
	v_ashrrev_i32_e32 v1, 31, v1
	; wave barrier
	s_nop 0
	v_xor_b32_e32 v8, vcc_hi, v1
	v_xor_b32_e32 v9, vcc_lo, v1
	ds_read_b32 v71, v72 offset:32
	v_and_b32_e32 v1, v0, v8
	v_and_b32_e32 v0, v74, v9
	v_mbcnt_lo_u32_b32 v8, v0, 0
	v_mbcnt_hi_u32_b32 v73, v1, v8
	v_cmp_eq_u32_e32 vcc, 0, v73
	v_cmp_ne_u64_e64 s[0:1], 0, v[0:1]
	s_and_b64 s[2:3], s[0:1], vcc
	; wave barrier
	s_and_saveexec_b64 s[0:1], s[2:3]
	s_cbranch_execz .LBB1661_321
; %bb.320:
	v_bcnt_u32_b32 v0, v0, 0
	v_bcnt_u32_b32 v0, v1, v0
	s_waitcnt lgkmcnt(0)
	v_add_u32_e32 v0, v71, v0
	ds_write_b32 v72, v0 offset:32
.LBB1661_321:
	s_or_b64 exec, exec, s[0:1]
	s_waitcnt vmcnt(7)
	v_xor_b32_e32 v55, 0xffff8000, v55
	v_lshrrev_b32_sdwa v0, s96, v55 dst_sel:DWORD dst_unused:UNUSED_PAD src0_sel:DWORD src1_sel:WORD_0
	v_and_b32_e32 v76, s21, v0
	v_and_b32_e32 v0, 1, v76
	v_mov_b32_e32 v1, 0
	v_lshl_add_u64 v[8:9], v[0:1], 0, -1
	v_cmp_ne_u32_e32 vcc, 0, v0
	v_mad_u32_u24 v75, v76, 36, v24
	s_nop 0
	v_xor_b32_e32 v8, vcc_lo, v8
	v_xor_b32_e32 v0, vcc_hi, v9
	v_and_b32_e32 v77, exec_lo, v8
	v_lshlrev_b32_e32 v9, 30, v76
	v_mov_b32_e32 v8, v1
	v_cmp_gt_i64_e32 vcc, 0, v[8:9]
	v_not_b32_e32 v8, v9
	v_ashrrev_i32_e32 v8, 31, v8
	v_and_b32_e32 v0, exec_hi, v0
	v_xor_b32_e32 v9, vcc_hi, v8
	v_xor_b32_e32 v8, vcc_lo, v8
	v_and_b32_e32 v0, v0, v9
	v_and_b32_e32 v77, v77, v8
	v_lshlrev_b32_e32 v9, 29, v76
	v_mov_b32_e32 v8, v1
	v_cmp_gt_i64_e32 vcc, 0, v[8:9]
	v_not_b32_e32 v8, v9
	v_ashrrev_i32_e32 v8, 31, v8
	v_xor_b32_e32 v9, vcc_hi, v8
	v_xor_b32_e32 v8, vcc_lo, v8
	v_and_b32_e32 v0, v0, v9
	v_and_b32_e32 v77, v77, v8
	v_lshlrev_b32_e32 v9, 28, v76
	v_mov_b32_e32 v8, v1
	v_cmp_gt_i64_e32 vcc, 0, v[8:9]
	v_not_b32_e32 v8, v9
	v_ashrrev_i32_e32 v8, 31, v8
	;; [unrolled: 9-line block ×4, first 2 shown]
	v_xor_b32_e32 v9, vcc_hi, v8
	v_xor_b32_e32 v8, vcc_lo, v8
	; wave barrier
	ds_read_b32 v74, v75 offset:32
	v_and_b32_e32 v8, v77, v8
	v_and_b32_e32 v9, v0, v9
	v_mbcnt_lo_u32_b32 v0, v8, 0
	v_mbcnt_hi_u32_b32 v76, v9, v0
	v_cmp_eq_u32_e32 vcc, 0, v76
	v_cmp_ne_u64_e64 s[0:1], 0, v[8:9]
	s_and_b64 s[2:3], s[0:1], vcc
	; wave barrier
	s_and_saveexec_b64 s[0:1], s[2:3]
	s_cbranch_execz .LBB1661_323
; %bb.322:
	v_bcnt_u32_b32 v0, v8, 0
	v_bcnt_u32_b32 v0, v9, v0
	s_waitcnt lgkmcnt(0)
	v_add_u32_e32 v0, v74, v0
	ds_write_b32 v75, v0 offset:32
.LBB1661_323:
	s_or_b64 exec, exec, s[0:1]
	s_waitcnt vmcnt(6)
	v_xor_b32_e32 v50, 0xffff8000, v50
	v_lshrrev_b32_sdwa v0, s96, v50 dst_sel:DWORD dst_unused:UNUSED_PAD src0_sel:DWORD src1_sel:WORD_0
	v_and_b32_e32 v79, s21, v0
	v_and_b32_e32 v0, 1, v79
	v_lshl_add_u64 v[8:9], v[0:1], 0, -1
	v_cmp_ne_u32_e32 vcc, 0, v0
	v_mad_u32_u24 v78, v79, 36, v24
	s_nop 0
	v_xor_b32_e32 v8, vcc_lo, v8
	v_xor_b32_e32 v0, vcc_hi, v9
	v_and_b32_e32 v80, exec_lo, v8
	v_lshlrev_b32_e32 v9, 30, v79
	v_mov_b32_e32 v8, v1
	v_cmp_gt_i64_e32 vcc, 0, v[8:9]
	v_not_b32_e32 v8, v9
	v_ashrrev_i32_e32 v8, 31, v8
	v_and_b32_e32 v0, exec_hi, v0
	v_xor_b32_e32 v9, vcc_hi, v8
	v_xor_b32_e32 v8, vcc_lo, v8
	v_and_b32_e32 v0, v0, v9
	v_and_b32_e32 v80, v80, v8
	v_lshlrev_b32_e32 v9, 29, v79
	v_mov_b32_e32 v8, v1
	v_cmp_gt_i64_e32 vcc, 0, v[8:9]
	v_not_b32_e32 v8, v9
	v_ashrrev_i32_e32 v8, 31, v8
	v_xor_b32_e32 v9, vcc_hi, v8
	v_xor_b32_e32 v8, vcc_lo, v8
	v_and_b32_e32 v0, v0, v9
	v_and_b32_e32 v80, v80, v8
	v_lshlrev_b32_e32 v9, 28, v79
	v_mov_b32_e32 v8, v1
	v_cmp_gt_i64_e32 vcc, 0, v[8:9]
	v_not_b32_e32 v8, v9
	v_ashrrev_i32_e32 v8, 31, v8
	;; [unrolled: 9-line block ×3, first 2 shown]
	v_xor_b32_e32 v9, vcc_hi, v8
	v_xor_b32_e32 v8, vcc_lo, v8
	v_and_b32_e32 v0, v0, v9
	v_lshlrev_b32_e32 v9, 26, v79
	v_and_b32_e32 v80, v80, v8
	v_mov_b32_e32 v8, v1
	v_not_b32_e32 v1, v9
	v_cmp_gt_i64_e32 vcc, 0, v[8:9]
	v_ashrrev_i32_e32 v1, 31, v1
	; wave barrier
	s_nop 0
	v_xor_b32_e32 v8, vcc_hi, v1
	v_xor_b32_e32 v9, vcc_lo, v1
	ds_read_b32 v77, v78 offset:32
	v_and_b32_e32 v1, v0, v8
	v_and_b32_e32 v0, v80, v9
	v_mbcnt_lo_u32_b32 v8, v0, 0
	v_mbcnt_hi_u32_b32 v79, v1, v8
	v_cmp_eq_u32_e32 vcc, 0, v79
	v_cmp_ne_u64_e64 s[0:1], 0, v[0:1]
	s_and_b64 s[2:3], s[0:1], vcc
	; wave barrier
	s_and_saveexec_b64 s[0:1], s[2:3]
	s_cbranch_execz .LBB1661_325
; %bb.324:
	v_bcnt_u32_b32 v0, v0, 0
	v_bcnt_u32_b32 v0, v1, v0
	s_waitcnt lgkmcnt(0)
	v_add_u32_e32 v0, v77, v0
	ds_write_b32 v78, v0 offset:32
.LBB1661_325:
	s_or_b64 exec, exec, s[0:1]
	s_waitcnt vmcnt(5)
	v_xor_b32_e32 v45, 0xffff8000, v45
	v_lshrrev_b32_sdwa v0, s96, v45 dst_sel:DWORD dst_unused:UNUSED_PAD src0_sel:DWORD src1_sel:WORD_0
	v_and_b32_e32 v81, s21, v0
	v_and_b32_e32 v0, 1, v81
	v_mov_b32_e32 v1, 0
	v_lshl_add_u64 v[8:9], v[0:1], 0, -1
	v_cmp_ne_u32_e32 vcc, 0, v0
	v_mad_u32_u24 v82, v81, 36, v24
	s_nop 0
	v_xor_b32_e32 v8, vcc_lo, v8
	v_xor_b32_e32 v0, vcc_hi, v9
	v_and_b32_e32 v83, exec_lo, v8
	v_lshlrev_b32_e32 v9, 30, v81
	v_mov_b32_e32 v8, v1
	v_cmp_gt_i64_e32 vcc, 0, v[8:9]
	v_not_b32_e32 v8, v9
	v_ashrrev_i32_e32 v8, 31, v8
	v_and_b32_e32 v0, exec_hi, v0
	v_xor_b32_e32 v9, vcc_hi, v8
	v_xor_b32_e32 v8, vcc_lo, v8
	v_and_b32_e32 v0, v0, v9
	v_and_b32_e32 v83, v83, v8
	v_lshlrev_b32_e32 v9, 29, v81
	v_mov_b32_e32 v8, v1
	v_cmp_gt_i64_e32 vcc, 0, v[8:9]
	v_not_b32_e32 v8, v9
	v_ashrrev_i32_e32 v8, 31, v8
	v_xor_b32_e32 v9, vcc_hi, v8
	v_xor_b32_e32 v8, vcc_lo, v8
	v_and_b32_e32 v0, v0, v9
	v_and_b32_e32 v83, v83, v8
	v_lshlrev_b32_e32 v9, 28, v81
	v_mov_b32_e32 v8, v1
	v_cmp_gt_i64_e32 vcc, 0, v[8:9]
	v_not_b32_e32 v8, v9
	v_ashrrev_i32_e32 v8, 31, v8
	;; [unrolled: 9-line block ×4, first 2 shown]
	v_xor_b32_e32 v9, vcc_hi, v8
	v_xor_b32_e32 v8, vcc_lo, v8
	; wave barrier
	ds_read_b32 v80, v82 offset:32
	v_and_b32_e32 v8, v83, v8
	v_and_b32_e32 v9, v0, v9
	v_mbcnt_lo_u32_b32 v0, v8, 0
	v_mbcnt_hi_u32_b32 v83, v9, v0
	v_cmp_eq_u32_e32 vcc, 0, v83
	v_cmp_ne_u64_e64 s[0:1], 0, v[8:9]
	s_and_b64 s[2:3], s[0:1], vcc
	; wave barrier
	s_and_saveexec_b64 s[0:1], s[2:3]
	s_cbranch_execz .LBB1661_327
; %bb.326:
	v_bcnt_u32_b32 v0, v8, 0
	v_bcnt_u32_b32 v0, v9, v0
	s_waitcnt lgkmcnt(0)
	v_add_u32_e32 v0, v80, v0
	ds_write_b32 v82, v0 offset:32
.LBB1661_327:
	s_or_b64 exec, exec, s[0:1]
	s_waitcnt vmcnt(4)
	v_xor_b32_e32 v81, 0xffff8000, v40
	v_lshrrev_b32_sdwa v0, s96, v81 dst_sel:DWORD dst_unused:UNUSED_PAD src0_sel:DWORD src1_sel:WORD_0
	v_and_b32_e32 v85, s21, v0
	v_and_b32_e32 v0, 1, v85
	v_lshl_add_u64 v[8:9], v[0:1], 0, -1
	v_cmp_ne_u32_e32 vcc, 0, v0
	v_mad_u32_u24 v40, v85, 36, v24
	s_nop 0
	v_xor_b32_e32 v8, vcc_lo, v8
	v_xor_b32_e32 v0, vcc_hi, v9
	v_and_b32_e32 v86, exec_lo, v8
	v_lshlrev_b32_e32 v9, 30, v85
	v_mov_b32_e32 v8, v1
	v_cmp_gt_i64_e32 vcc, 0, v[8:9]
	v_not_b32_e32 v8, v9
	v_ashrrev_i32_e32 v8, 31, v8
	v_and_b32_e32 v0, exec_hi, v0
	v_xor_b32_e32 v9, vcc_hi, v8
	v_xor_b32_e32 v8, vcc_lo, v8
	v_and_b32_e32 v0, v0, v9
	v_and_b32_e32 v86, v86, v8
	v_lshlrev_b32_e32 v9, 29, v85
	v_mov_b32_e32 v8, v1
	v_cmp_gt_i64_e32 vcc, 0, v[8:9]
	v_not_b32_e32 v8, v9
	v_ashrrev_i32_e32 v8, 31, v8
	v_xor_b32_e32 v9, vcc_hi, v8
	v_xor_b32_e32 v8, vcc_lo, v8
	v_and_b32_e32 v0, v0, v9
	v_and_b32_e32 v86, v86, v8
	v_lshlrev_b32_e32 v9, 28, v85
	v_mov_b32_e32 v8, v1
	v_cmp_gt_i64_e32 vcc, 0, v[8:9]
	v_not_b32_e32 v8, v9
	v_ashrrev_i32_e32 v8, 31, v8
	;; [unrolled: 9-line block ×3, first 2 shown]
	v_xor_b32_e32 v9, vcc_hi, v8
	v_xor_b32_e32 v8, vcc_lo, v8
	v_and_b32_e32 v0, v0, v9
	v_lshlrev_b32_e32 v9, 26, v85
	v_and_b32_e32 v86, v86, v8
	v_mov_b32_e32 v8, v1
	v_not_b32_e32 v1, v9
	v_cmp_gt_i64_e32 vcc, 0, v[8:9]
	v_ashrrev_i32_e32 v1, 31, v1
	; wave barrier
	s_nop 0
	v_xor_b32_e32 v8, vcc_hi, v1
	v_xor_b32_e32 v9, vcc_lo, v1
	ds_read_b32 v84, v40 offset:32
	v_and_b32_e32 v1, v0, v8
	v_and_b32_e32 v0, v86, v9
	v_mbcnt_lo_u32_b32 v8, v0, 0
	v_mbcnt_hi_u32_b32 v86, v1, v8
	v_cmp_eq_u32_e32 vcc, 0, v86
	v_cmp_ne_u64_e64 s[0:1], 0, v[0:1]
	s_and_b64 s[2:3], s[0:1], vcc
	; wave barrier
	s_and_saveexec_b64 s[0:1], s[2:3]
	s_cbranch_execz .LBB1661_329
; %bb.328:
	v_bcnt_u32_b32 v0, v0, 0
	v_bcnt_u32_b32 v0, v1, v0
	s_waitcnt lgkmcnt(0)
	v_add_u32_e32 v0, v84, v0
	ds_write_b32 v40, v0 offset:32
.LBB1661_329:
	s_or_b64 exec, exec, s[0:1]
	s_waitcnt vmcnt(3)
	v_xor_b32_e32 v85, 0xffff8000, v35
	v_lshrrev_b32_sdwa v0, s96, v85 dst_sel:DWORD dst_unused:UNUSED_PAD src0_sel:DWORD src1_sel:WORD_0
	v_and_b32_e32 v88, s21, v0
	v_and_b32_e32 v0, 1, v88
	v_mov_b32_e32 v1, 0
	v_lshl_add_u64 v[8:9], v[0:1], 0, -1
	v_cmp_ne_u32_e32 vcc, 0, v0
	v_mad_u32_u24 v35, v88, 36, v24
	s_nop 0
	v_xor_b32_e32 v8, vcc_lo, v8
	v_xor_b32_e32 v0, vcc_hi, v9
	v_and_b32_e32 v89, exec_lo, v8
	v_lshlrev_b32_e32 v9, 30, v88
	v_mov_b32_e32 v8, v1
	v_cmp_gt_i64_e32 vcc, 0, v[8:9]
	v_not_b32_e32 v8, v9
	v_ashrrev_i32_e32 v8, 31, v8
	v_and_b32_e32 v0, exec_hi, v0
	v_xor_b32_e32 v9, vcc_hi, v8
	v_xor_b32_e32 v8, vcc_lo, v8
	v_and_b32_e32 v0, v0, v9
	v_and_b32_e32 v89, v89, v8
	v_lshlrev_b32_e32 v9, 29, v88
	v_mov_b32_e32 v8, v1
	v_cmp_gt_i64_e32 vcc, 0, v[8:9]
	v_not_b32_e32 v8, v9
	v_ashrrev_i32_e32 v8, 31, v8
	v_xor_b32_e32 v9, vcc_hi, v8
	v_xor_b32_e32 v8, vcc_lo, v8
	v_and_b32_e32 v0, v0, v9
	v_and_b32_e32 v89, v89, v8
	v_lshlrev_b32_e32 v9, 28, v88
	v_mov_b32_e32 v8, v1
	v_cmp_gt_i64_e32 vcc, 0, v[8:9]
	v_not_b32_e32 v8, v9
	v_ashrrev_i32_e32 v8, 31, v8
	;; [unrolled: 9-line block ×4, first 2 shown]
	v_xor_b32_e32 v9, vcc_hi, v8
	v_xor_b32_e32 v8, vcc_lo, v8
	; wave barrier
	ds_read_b32 v87, v35 offset:32
	v_and_b32_e32 v8, v89, v8
	v_and_b32_e32 v9, v0, v9
	v_mbcnt_lo_u32_b32 v0, v8, 0
	v_mbcnt_hi_u32_b32 v89, v9, v0
	v_cmp_eq_u32_e32 vcc, 0, v89
	v_cmp_ne_u64_e64 s[0:1], 0, v[8:9]
	s_and_b64 s[2:3], s[0:1], vcc
	; wave barrier
	s_and_saveexec_b64 s[0:1], s[2:3]
	s_cbranch_execz .LBB1661_331
; %bb.330:
	v_bcnt_u32_b32 v0, v8, 0
	v_bcnt_u32_b32 v0, v9, v0
	s_waitcnt lgkmcnt(0)
	v_add_u32_e32 v0, v87, v0
	ds_write_b32 v35, v0 offset:32
.LBB1661_331:
	s_or_b64 exec, exec, s[0:1]
	s_waitcnt vmcnt(2)
	v_xor_b32_e32 v88, 0xffff8000, v30
	v_lshrrev_b32_sdwa v0, s96, v88 dst_sel:DWORD dst_unused:UNUSED_PAD src0_sel:DWORD src1_sel:WORD_0
	v_and_b32_e32 v90, s21, v0
	v_and_b32_e32 v0, 1, v90
	v_lshl_add_u64 v[8:9], v[0:1], 0, -1
	v_cmp_ne_u32_e32 vcc, 0, v0
	v_mad_u32_u24 v91, v90, 36, v24
	s_nop 0
	v_xor_b32_e32 v8, vcc_lo, v8
	v_xor_b32_e32 v0, vcc_hi, v9
	v_and_b32_e32 v92, exec_lo, v8
	v_lshlrev_b32_e32 v9, 30, v90
	v_mov_b32_e32 v8, v1
	v_cmp_gt_i64_e32 vcc, 0, v[8:9]
	v_not_b32_e32 v8, v9
	v_ashrrev_i32_e32 v8, 31, v8
	v_and_b32_e32 v0, exec_hi, v0
	v_xor_b32_e32 v9, vcc_hi, v8
	v_xor_b32_e32 v8, vcc_lo, v8
	v_and_b32_e32 v0, v0, v9
	v_and_b32_e32 v92, v92, v8
	v_lshlrev_b32_e32 v9, 29, v90
	v_mov_b32_e32 v8, v1
	v_cmp_gt_i64_e32 vcc, 0, v[8:9]
	v_not_b32_e32 v8, v9
	v_ashrrev_i32_e32 v8, 31, v8
	v_xor_b32_e32 v9, vcc_hi, v8
	v_xor_b32_e32 v8, vcc_lo, v8
	v_and_b32_e32 v0, v0, v9
	v_and_b32_e32 v92, v92, v8
	v_lshlrev_b32_e32 v9, 28, v90
	v_mov_b32_e32 v8, v1
	v_cmp_gt_i64_e32 vcc, 0, v[8:9]
	v_not_b32_e32 v8, v9
	v_ashrrev_i32_e32 v8, 31, v8
	;; [unrolled: 9-line block ×3, first 2 shown]
	v_xor_b32_e32 v9, vcc_hi, v8
	v_xor_b32_e32 v8, vcc_lo, v8
	v_and_b32_e32 v0, v0, v9
	v_lshlrev_b32_e32 v9, 26, v90
	v_and_b32_e32 v92, v92, v8
	v_mov_b32_e32 v8, v1
	v_not_b32_e32 v1, v9
	v_cmp_gt_i64_e32 vcc, 0, v[8:9]
	v_ashrrev_i32_e32 v1, 31, v1
	; wave barrier
	s_nop 0
	v_xor_b32_e32 v8, vcc_hi, v1
	v_xor_b32_e32 v9, vcc_lo, v1
	ds_read_b32 v30, v91 offset:32
	v_and_b32_e32 v1, v0, v8
	v_and_b32_e32 v0, v92, v9
	v_mbcnt_lo_u32_b32 v8, v0, 0
	v_mbcnt_hi_u32_b32 v92, v1, v8
	v_cmp_eq_u32_e32 vcc, 0, v92
	v_cmp_ne_u64_e64 s[0:1], 0, v[0:1]
	s_and_b64 s[2:3], s[0:1], vcc
	; wave barrier
	s_and_saveexec_b64 s[0:1], s[2:3]
	s_cbranch_execz .LBB1661_333
; %bb.332:
	v_bcnt_u32_b32 v0, v0, 0
	v_bcnt_u32_b32 v0, v1, v0
	s_waitcnt lgkmcnt(0)
	v_add_u32_e32 v0, v30, v0
	ds_write_b32 v91, v0 offset:32
.LBB1661_333:
	s_or_b64 exec, exec, s[0:1]
	s_waitcnt vmcnt(1)
	v_xor_b32_e32 v90, 0xffff8000, v25
	v_lshrrev_b32_sdwa v0, s96, v90 dst_sel:DWORD dst_unused:UNUSED_PAD src0_sel:DWORD src1_sel:WORD_0
	v_and_b32_e32 v94, s21, v0
	v_and_b32_e32 v0, 1, v94
	v_mov_b32_e32 v1, 0
	v_lshl_add_u64 v[8:9], v[0:1], 0, -1
	v_cmp_ne_u32_e32 vcc, 0, v0
	v_mad_u32_u24 v25, v94, 36, v24
	s_nop 0
	v_xor_b32_e32 v8, vcc_lo, v8
	v_xor_b32_e32 v0, vcc_hi, v9
	v_and_b32_e32 v95, exec_lo, v8
	v_lshlrev_b32_e32 v9, 30, v94
	v_mov_b32_e32 v8, v1
	v_cmp_gt_i64_e32 vcc, 0, v[8:9]
	v_not_b32_e32 v8, v9
	v_ashrrev_i32_e32 v8, 31, v8
	v_and_b32_e32 v0, exec_hi, v0
	v_xor_b32_e32 v9, vcc_hi, v8
	v_xor_b32_e32 v8, vcc_lo, v8
	v_and_b32_e32 v0, v0, v9
	v_and_b32_e32 v95, v95, v8
	v_lshlrev_b32_e32 v9, 29, v94
	v_mov_b32_e32 v8, v1
	v_cmp_gt_i64_e32 vcc, 0, v[8:9]
	v_not_b32_e32 v8, v9
	v_ashrrev_i32_e32 v8, 31, v8
	v_xor_b32_e32 v9, vcc_hi, v8
	v_xor_b32_e32 v8, vcc_lo, v8
	v_and_b32_e32 v0, v0, v9
	v_and_b32_e32 v95, v95, v8
	v_lshlrev_b32_e32 v9, 28, v94
	v_mov_b32_e32 v8, v1
	v_cmp_gt_i64_e32 vcc, 0, v[8:9]
	v_not_b32_e32 v8, v9
	v_ashrrev_i32_e32 v8, 31, v8
	;; [unrolled: 9-line block ×4, first 2 shown]
	v_xor_b32_e32 v9, vcc_hi, v8
	v_xor_b32_e32 v8, vcc_lo, v8
	; wave barrier
	ds_read_b32 v93, v25 offset:32
	v_and_b32_e32 v8, v95, v8
	v_and_b32_e32 v9, v0, v9
	v_mbcnt_lo_u32_b32 v0, v8, 0
	v_mbcnt_hi_u32_b32 v94, v9, v0
	v_cmp_eq_u32_e32 vcc, 0, v94
	v_cmp_ne_u64_e64 s[0:1], 0, v[8:9]
	s_and_b64 s[2:3], s[0:1], vcc
	; wave barrier
	s_and_saveexec_b64 s[0:1], s[2:3]
	s_cbranch_execz .LBB1661_335
; %bb.334:
	v_bcnt_u32_b32 v0, v8, 0
	v_bcnt_u32_b32 v0, v9, v0
	s_waitcnt lgkmcnt(0)
	v_add_u32_e32 v0, v93, v0
	ds_write_b32 v25, v0 offset:32
.LBB1661_335:
	s_or_b64 exec, exec, s[0:1]
	s_waitcnt vmcnt(0)
	v_xor_b32_e32 v8, 0xffff8000, v19
	v_lshrrev_b32_sdwa v0, s96, v8 dst_sel:DWORD dst_unused:UNUSED_PAD src0_sel:DWORD src1_sel:WORD_0
	v_and_b32_e32 v19, s21, v0
	v_and_b32_e32 v0, 1, v19
	v_lshl_add_u64 v[96:97], v[0:1], 0, -1
	v_cmp_ne_u32_e32 vcc, 0, v0
	v_mad_u32_u24 v24, v19, 36, v24
	s_nop 0
	v_xor_b32_e32 v0, vcc_hi, v97
	v_xor_b32_e32 v95, vcc_lo, v96
	v_lshlrev_b32_e32 v97, 30, v19
	v_mov_b32_e32 v96, v1
	v_cmp_gt_i64_e32 vcc, 0, v[96:97]
	v_not_b32_e32 v96, v97
	v_ashrrev_i32_e32 v96, 31, v96
	v_and_b32_e32 v0, exec_hi, v0
	v_and_b32_e32 v95, exec_lo, v95
	v_xor_b32_e32 v97, vcc_hi, v96
	v_xor_b32_e32 v96, vcc_lo, v96
	v_and_b32_e32 v0, v0, v97
	v_and_b32_e32 v95, v95, v96
	v_lshlrev_b32_e32 v97, 29, v19
	v_mov_b32_e32 v96, v1
	v_cmp_gt_i64_e32 vcc, 0, v[96:97]
	v_not_b32_e32 v96, v97
	v_ashrrev_i32_e32 v96, 31, v96
	v_xor_b32_e32 v97, vcc_hi, v96
	v_xor_b32_e32 v96, vcc_lo, v96
	v_and_b32_e32 v0, v0, v97
	v_and_b32_e32 v95, v95, v96
	v_lshlrev_b32_e32 v97, 28, v19
	v_mov_b32_e32 v96, v1
	v_cmp_gt_i64_e32 vcc, 0, v[96:97]
	v_not_b32_e32 v96, v97
	v_ashrrev_i32_e32 v96, 31, v96
	;; [unrolled: 9-line block ×3, first 2 shown]
	v_xor_b32_e32 v97, vcc_hi, v96
	v_xor_b32_e32 v96, vcc_lo, v96
	v_and_b32_e32 v0, v0, v97
	v_lshlrev_b32_e32 v97, 26, v19
	v_and_b32_e32 v95, v95, v96
	v_mov_b32_e32 v96, v1
	v_not_b32_e32 v1, v97
	v_cmp_gt_i64_e32 vcc, 0, v[96:97]
	v_ashrrev_i32_e32 v1, 31, v1
	; wave barrier
	s_nop 0
	v_xor_b32_e32 v19, vcc_hi, v1
	v_xor_b32_e32 v96, vcc_lo, v1
	ds_read_b32 v9, v24 offset:32
	v_and_b32_e32 v1, v0, v19
	v_and_b32_e32 v0, v95, v96
	v_mbcnt_lo_u32_b32 v19, v0, 0
	v_mbcnt_hi_u32_b32 v95, v1, v19
	v_cmp_eq_u32_e32 vcc, 0, v95
	v_cmp_ne_u64_e64 s[0:1], 0, v[0:1]
	s_and_b64 s[2:3], s[0:1], vcc
	; wave barrier
	s_and_saveexec_b64 s[0:1], s[2:3]
	s_cbranch_execz .LBB1661_337
; %bb.336:
	v_bcnt_u32_b32 v0, v0, 0
	v_bcnt_u32_b32 v0, v1, v0
	s_waitcnt lgkmcnt(0)
	v_add_u32_e32 v0, v9, v0
	ds_write_b32 v24, v0 offset:32
.LBB1661_337:
	s_or_b64 exec, exec, s[0:1]
	; wave barrier
	s_waitcnt lgkmcnt(0)
	s_barrier
	ds_read_b64 v[0:1], v7 offset:32
	v_and_b32_e32 v19, 15, v3
	v_cmp_ne_u32_e32 vcc, 0, v19
	v_min_u32_e32 v10, 0x1c0, v10
	v_or_b32_e32 v10, 63, v10
	s_waitcnt lgkmcnt(0)
	v_add_u32_e32 v1, v1, v0
	s_nop 1
	v_mov_b32_dpp v96, v1 row_shr:1 row_mask:0xf bank_mask:0xf
	v_cndmask_b32_e32 v96, 0, v96, vcc
	v_add_u32_e32 v1, v96, v1
	v_cmp_lt_u32_e32 vcc, 1, v19
	s_nop 0
	v_mov_b32_dpp v96, v1 row_shr:2 row_mask:0xf bank_mask:0xf
	v_cndmask_b32_e32 v96, 0, v96, vcc
	v_add_u32_e32 v1, v1, v96
	v_cmp_lt_u32_e32 vcc, 3, v19
	;; [unrolled: 5-line block ×3, first 2 shown]
	s_nop 0
	v_mov_b32_dpp v96, v1 row_shr:8 row_mask:0xf bank_mask:0xf
	v_cndmask_b32_e32 v19, 0, v96, vcc
	v_add_u32_e32 v1, v1, v19
	v_bfe_i32 v96, v3, 4, 1
	v_cmp_lt_u32_e32 vcc, 31, v3
	v_mov_b32_dpp v19, v1 row_bcast:15 row_mask:0xf bank_mask:0xf
	v_and_b32_e32 v19, v96, v19
	v_add_u32_e32 v1, v1, v19
	v_lshrrev_b32_e32 v96, 6, v2
	s_nop 0
	v_mov_b32_dpp v19, v1 row_bcast:31 row_mask:0xf bank_mask:0xf
	v_cndmask_b32_e32 v19, 0, v19, vcc
	v_add_u32_e32 v1, v1, v19
	v_cmp_eq_u32_e32 vcc, v2, v10
	s_and_saveexec_b64 s[0:1], vcc
; %bb.338:
	v_lshlrev_b32_e32 v10, 2, v96
	ds_write_b32 v10, v1
; %bb.339:
	s_or_b64 exec, exec, s[0:1]
	v_cmp_gt_u32_e32 vcc, 8, v2
	v_lshlrev_b32_e32 v19, 2, v2
	s_waitcnt lgkmcnt(0)
	s_barrier
	s_and_saveexec_b64 s[0:1], vcc
	s_cbranch_execz .LBB1661_341
; %bb.340:
	ds_read_b32 v10, v19
	v_and_b32_e32 v97, 7, v3
	v_cmp_ne_u32_e32 vcc, 0, v97
	s_waitcnt lgkmcnt(0)
	v_mov_b32_dpp v98, v10 row_shr:1 row_mask:0xf bank_mask:0xf
	v_cndmask_b32_e32 v98, 0, v98, vcc
	v_add_u32_e32 v10, v98, v10
	v_cmp_lt_u32_e32 vcc, 1, v97
	s_nop 0
	v_mov_b32_dpp v98, v10 row_shr:2 row_mask:0xf bank_mask:0xf
	v_cndmask_b32_e32 v98, 0, v98, vcc
	v_add_u32_e32 v10, v10, v98
	v_cmp_lt_u32_e32 vcc, 3, v97
	s_nop 0
	v_mov_b32_dpp v98, v10 row_shr:4 row_mask:0xf bank_mask:0xf
	v_cndmask_b32_e32 v97, 0, v98, vcc
	v_add_u32_e32 v10, v10, v97
	ds_write_b32 v19, v10
.LBB1661_341:
	s_or_b64 exec, exec, s[0:1]
	v_cmp_gt_u32_e64 s[0:1], 64, v2
	v_cmp_lt_u32_e32 vcc, 63, v2
	v_mov_b32_e32 v10, 0
	s_waitcnt lgkmcnt(0)
	s_barrier
	s_and_saveexec_b64 s[2:3], vcc
; %bb.342:
	v_lshl_add_u32 v10, v96, 2, -4
	ds_read_b32 v10, v10
; %bb.343:
	s_or_b64 exec, exec, s[2:3]
	v_subrev_co_u32_e64 v96, s[2:3], 1, v3
	v_and_b32_e32 v97, 64, v3
	v_cmp_lt_i32_e64 s[4:5], v96, v97
	s_waitcnt lgkmcnt(0)
	v_add_u32_e32 v1, v10, v1
	v_cndmask_b32_e64 v3, v96, v3, s[4:5]
	v_lshlrev_b32_e32 v3, 2, v3
	ds_bpermute_b32 v1, v3, v1
                                        ; implicit-def: $vgpr3
	s_waitcnt lgkmcnt(0)
	v_cndmask_b32_e64 v1, v1, v10, s[2:3]
	v_cndmask_b32_e64 v96, v1, 0, s[94:95]
	v_add_u32_e32 v97, v96, v0
	ds_write_b64 v7, v[96:97] offset:32
	s_waitcnt lgkmcnt(0)
	s_barrier
	ds_read_b32 v0, v14 offset:32
	ds_read_b32 v1, v16 offset:32
	;; [unrolled: 1-line block ×22, first 2 shown]
                                        ; implicit-def: $vgpr14
	s_and_saveexec_b64 s[4:5], s[0:1]
	s_cbranch_execz .LBB1661_347
; %bb.344:
	v_mul_u32_u24_e32 v3, 36, v2
	ds_read_b32 v3, v3 offset:32
	v_add_u32_e32 v25, 1, v2
	v_cmp_ne_u32_e64 s[2:3], 64, v25
	v_mov_b32_e32 v14, 0x2c00
	s_and_saveexec_b64 s[8:9], s[2:3]
; %bb.345:
	v_mul_u32_u24_e32 v14, 36, v25
	ds_read_b32 v14, v14 offset:32
; %bb.346:
	s_or_b64 exec, exec, s[8:9]
	s_waitcnt lgkmcnt(0)
	v_sub_u32_e32 v14, v14, v3
.LBB1661_347:
	s_or_b64 exec, exec, s[4:5]
	s_waitcnt lgkmcnt(14)
	v_add_u32_e32 v69, v0, v12
	v_add3_u32 v66, v17, v13, v1
	v_add3_u32 v62, v22, v18, v7
	v_add3_u32 v57, v28, v23, v10
	v_add3_u32 v52, v33, v29, v16
	v_add3_u32 v47, v38, v34, v21
	v_add3_u32 v42, v43, v39, v27
	v_add3_u32 v40, v48, v44, v32
	s_waitcnt lgkmcnt(13)
	v_add3_u32 v37, v53, v49, v37
	s_waitcnt lgkmcnt(12)
	v_add3_u32 v35, v58, v54, v96
	;; [unrolled: 2-line block ×14, first 2 shown]
	v_lshlrev_b32_e32 v63, 1, v69
	v_lshlrev_b32_e32 v59, 1, v66
	v_lshlrev_b32_e32 v58, 1, v62
	v_lshlrev_b32_e32 v54, 1, v57
	v_lshlrev_b32_e32 v53, 1, v52
	v_lshlrev_b32_e32 v49, 1, v47
	v_lshlrev_b32_e32 v48, 1, v42
	v_lshlrev_b32_e32 v44, 1, v40
	s_barrier
	ds_write_b16 v63, v5 offset:256
	ds_write_b16 v59, v11 offset:256
	;; [unrolled: 1-line block ×8, first 2 shown]
	v_lshlrev_b32_e32 v43, 1, v37
	v_lshlrev_b32_e32 v41, 1, v35
	;; [unrolled: 1-line block ×14, first 2 shown]
	v_mov_b32_e32 v1, 0
	ds_write_b16 v43, v46 offset:256
	ds_write_b16 v41, v51 offset:256
	;; [unrolled: 1-line block ×14, first 2 shown]
	s_and_saveexec_b64 s[2:3], s[0:1]
	s_cbranch_execz .LBB1661_357
; %bb.348:
	v_lshl_add_u32 v0, s33, 6, v2
	v_lshl_add_u64 v[8:9], v[0:1], 2, s[6:7]
	v_or_b32_e32 v0, 2.0, v14
	s_mov_b64 s[4:5], 0
	s_brev_b32 s22, -4
	s_mov_b32 s23, s33
	v_mov_b32_e32 v5, 0
	global_store_dword v[8:9], v0, off sc1
                                        ; implicit-def: $sgpr0_sgpr1
	s_branch .LBB1661_351
.LBB1661_349:                           ;   in Loop: Header=BB1661_351 Depth=1
	s_or_b64 exec, exec, s[18:19]
.LBB1661_350:                           ;   in Loop: Header=BB1661_351 Depth=1
	s_or_b64 exec, exec, s[8:9]
	v_and_b32_e32 v7, 0x3fffffff, v0
	v_add_u32_e32 v5, v7, v5
	v_cmp_gt_i32_e64 s[0:1], -2.0, v0
	s_and_b64 s[8:9], exec, s[0:1]
	s_or_b64 s[4:5], s[8:9], s[4:5]
	s_andn2_b64 exec, exec, s[4:5]
	s_cbranch_execz .LBB1661_356
.LBB1661_351:                           ; =>This Loop Header: Depth=1
                                        ;     Child Loop BB1661_354 Depth 2
	s_or_b64 s[0:1], s[0:1], exec
	s_cmp_eq_u32 s23, 0
	s_cbranch_scc1 .LBB1661_355
; %bb.352:                              ;   in Loop: Header=BB1661_351 Depth=1
	s_add_i32 s23, s23, -1
	v_lshl_or_b32 v0, s23, 6, v2
	v_lshl_add_u64 v[10:11], v[0:1], 2, s[6:7]
	global_load_dword v0, v[10:11], off sc1
	s_waitcnt vmcnt(0)
	v_cmp_gt_u32_e64 s[0:1], 2.0, v0
	s_and_saveexec_b64 s[8:9], s[0:1]
	s_cbranch_execz .LBB1661_350
; %bb.353:                              ;   in Loop: Header=BB1661_351 Depth=1
	s_mov_b64 s[18:19], 0
.LBB1661_354:                           ;   Parent Loop BB1661_351 Depth=1
                                        ; =>  This Inner Loop Header: Depth=2
	global_load_dword v0, v[10:11], off sc1
	s_waitcnt vmcnt(0)
	v_cmp_lt_u32_e64 s[0:1], s22, v0
	s_or_b64 s[18:19], s[0:1], s[18:19]
	s_andn2_b64 exec, exec, s[18:19]
	s_cbranch_execnz .LBB1661_354
	s_branch .LBB1661_349
.LBB1661_355:                           ;   in Loop: Header=BB1661_351 Depth=1
                                        ; implicit-def: $sgpr23
	s_and_b64 s[8:9], exec, s[0:1]
	s_or_b64 s[4:5], s[8:9], s[4:5]
	s_andn2_b64 exec, exec, s[4:5]
	s_cbranch_execnz .LBB1661_351
.LBB1661_356:
	s_or_b64 exec, exec, s[4:5]
	v_add_u32_e32 v0, v5, v14
	v_or_b32_e32 v0, 0x80000000, v0
	v_readlane_b32 s4, v117, 0
	global_store_dword v[8:9], v0, off sc1
	v_readlane_b32 s5, v117, 1
	v_sub_u32_e32 v1, v5, v3
	v_readlane_b32 s6, v117, 2
	v_readlane_b32 s7, v117, 3
	s_nop 1
	global_load_dword v0, v19, s[4:5]
	s_waitcnt vmcnt(0)
	v_add_u32_e32 v0, v1, v0
	ds_write_b32 v19, v0
.LBB1661_357:
	s_or_b64 exec, exec, s[2:3]
	v_lshlrev_b32_e32 v0, 1, v2
	v_sub_u32_e32 v5, v19, v0
	s_waitcnt lgkmcnt(0)
	s_barrier
	ds_read_u16 v7, v5 offset:10496
	ds_read_u16 v82, v5 offset:11520
	;; [unrolled: 1-line block ×12, first 2 shown]
	s_waitcnt lgkmcnt(8)
	v_lshrrev_b32_sdwa v1, s96, v84 dst_sel:DWORD dst_unused:UNUSED_PAD src0_sel:DWORD src1_sel:WORD_0
	s_waitcnt lgkmcnt(5)
	v_lshrrev_b32_sdwa v8, s96, v87 dst_sel:DWORD dst_unused:UNUSED_PAD src0_sel:DWORD src1_sel:WORD_0
	v_and_b32_e32 v1, s21, v1
	s_waitcnt lgkmcnt(3)
	v_lshrrev_b32_sdwa v9, s96, v99 dst_sel:DWORD dst_unused:UNUSED_PAD src0_sel:DWORD src1_sel:WORD_0
	v_and_b32_e32 v9, s21, v9
	v_lshlrev_b32_e32 v45, 2, v9
	s_waitcnt lgkmcnt(2)
	v_lshrrev_b32_sdwa v9, s96, v100 dst_sel:DWORD dst_unused:UNUSED_PAD src0_sel:DWORD src1_sel:WORD_0
	v_and_b32_e32 v9, s21, v9
	v_lshlrev_b32_e32 v11, 2, v9
	;; [unrolled: 4-line block ×3, first 2 shown]
	s_waitcnt lgkmcnt(0)
	v_lshrrev_b32_sdwa v9, s96, v102 dst_sel:DWORD dst_unused:UNUSED_PAD src0_sel:DWORD src1_sel:WORD_0
	v_and_b32_e32 v8, s21, v8
	v_and_b32_e32 v9, s21, v9
	v_lshlrev_b32_e32 v1, 2, v1
	v_lshlrev_b32_e32 v8, 2, v8
	;; [unrolled: 1-line block ×3, first 2 shown]
	ds_read_u16 v46, v5 offset:256
	ds_read_u16 v56, v5 offset:1280
	ds_read_b32 v103, v1
	ds_read_b32 v104, v8
	;; [unrolled: 1-line block ×6, first 2 shown]
	s_waitcnt lgkmcnt(7)
	v_lshrrev_b32_sdwa v50, s96, v46 dst_sel:DWORD dst_unused:UNUSED_PAD src0_sel:DWORD src1_sel:WORD_0
	v_and_b32_e32 v50, s21, v50
	v_lshlrev_b32_e32 v95, 2, v50
	s_waitcnt lgkmcnt(6)
	v_lshrrev_b32_sdwa v50, s96, v56 dst_sel:DWORD dst_unused:UNUSED_PAD src0_sel:DWORD src1_sel:WORD_0
	v_and_b32_e32 v50, s21, v50
	v_lshlrev_b32_e32 v92, 2, v50
	ds_read_u16 v61, v5 offset:2304
	ds_read_u16 v64, v5 offset:3328
	;; [unrolled: 1-line block ×8, first 2 shown]
	s_waitcnt lgkmcnt(7)
	v_lshrrev_b32_sdwa v50, s96, v61 dst_sel:DWORD dst_unused:UNUSED_PAD src0_sel:DWORD src1_sel:WORD_0
	v_and_b32_e32 v50, s21, v50
	v_lshlrev_b32_e32 v94, 2, v50
	s_waitcnt lgkmcnt(6)
	v_lshrrev_b32_sdwa v50, s96, v64 dst_sel:DWORD dst_unused:UNUSED_PAD src0_sel:DWORD src1_sel:WORD_0
	v_and_b32_e32 v50, s21, v50
	v_lshlrev_b32_e32 v93, 2, v50
	;; [unrolled: 4-line block ×6, first 2 shown]
	ds_read_b32 v50, v95
	ds_read_b32 v60, v92
	;; [unrolled: 1-line block ×8, first 2 shown]
	s_waitcnt lgkmcnt(7)
	v_add_u32_e32 v96, v50, v2
	v_mov_b32_e32 v97, 0
	v_add_u32_e32 v55, 0x200, v2
	v_xor_b32_e32 v46, 0xffff8000, v46
	v_lshl_add_u64 v[50:51], v[96:97], 1, s[10:11]
	s_waitcnt lgkmcnt(6)
	v_add_u32_e32 v96, v60, v55
	v_or_b32_e32 v60, 0x400, v2
	global_store_short v[50:51], v46, off
	v_xor_b32_e32 v46, 0xffff8000, v56
	v_lshl_add_u64 v[50:51], v[96:97], 1, s[10:11]
	s_waitcnt lgkmcnt(5)
	v_add_u32_e32 v96, v71, v60
	global_store_short v[50:51], v46, off
	v_xor_b32_e32 v46, 0xffff8000, v61
	v_lshl_add_u64 v[50:51], v[96:97], 1, s[10:11]
	global_store_short v[50:51], v46, off
	v_add_u32_e32 v46, 0x600, v2
	s_waitcnt lgkmcnt(4)
	v_add_u32_e32 v96, v73, v46
	v_xor_b32_e32 v56, 0xffff8000, v64
	v_lshl_add_u64 v[50:51], v[96:97], 1, s[10:11]
	global_store_short v[50:51], v56, off
	v_or_b32_e32 v50, 0x800, v2
	s_waitcnt lgkmcnt(3)
	v_add_u32_e32 v96, v74, v50
	v_add_u32_e32 v56, 0xa00, v2
	v_xor_b32_e32 v51, 0xffff8000, v65
	v_lshl_add_u64 v[64:65], v[96:97], 1, s[10:11]
	s_waitcnt lgkmcnt(2)
	v_add_u32_e32 v96, v75, v56
	v_or_b32_e32 v61, 0xc00, v2
	global_store_short v[64:65], v51, off
	v_xor_b32_e32 v51, 0xffff8000, v67
	v_lshl_add_u64 v[64:65], v[96:97], 1, s[10:11]
	s_waitcnt lgkmcnt(1)
	v_add_u32_e32 v96, v76, v61
	global_store_short v[64:65], v51, off
	v_xor_b32_e32 v51, 0xffff8000, v68
	v_lshl_add_u64 v[64:65], v[96:97], 1, s[10:11]
	global_store_short v[64:65], v51, off
	v_add_u32_e32 v64, 0xe00, v2
	s_waitcnt lgkmcnt(0)
	v_add_u32_e32 v96, v77, v64
	v_xor_b32_e32 v51, 0xffff8000, v70
	v_lshl_add_u64 v[70:71], v[96:97], 1, s[10:11]
	v_lshrrev_b32_sdwa v65, s96, v72 dst_sel:DWORD dst_unused:UNUSED_PAD src0_sel:DWORD src1_sel:WORD_0
	global_store_short v[70:71], v51, off
	v_and_b32_e32 v65, s21, v65
	v_xor_b32_e32 v75, 0xffff8000, v72
	v_lshrrev_b32_sdwa v67, s96, v5 dst_sel:DWORD dst_unused:UNUSED_PAD src0_sel:DWORD src1_sel:WORD_0
	v_lshrrev_b32_sdwa v68, s96, v7 dst_sel:DWORD dst_unused:UNUSED_PAD src0_sel:DWORD src1_sel:WORD_0
	;; [unrolled: 1-line block ×7, first 2 shown]
	v_or_b32_e32 v51, 0x1000, v2
	v_lshlrev_b32_e32 v65, 2, v65
	v_and_b32_e32 v67, s21, v67
	v_and_b32_e32 v68, s21, v68
	;; [unrolled: 1-line block ×7, first 2 shown]
	v_lshlrev_b32_e32 v67, 2, v67
	v_lshlrev_b32_e32 v68, 2, v68
	;; [unrolled: 1-line block ×7, first 2 shown]
	ds_read_b32 v76, v65
	ds_read_b32 v78, v67
	;; [unrolled: 1-line block ×8, first 2 shown]
	s_waitcnt lgkmcnt(7)
	v_add_u32_e32 v96, v76, v51
	v_lshl_add_u64 v[76:77], v[96:97], 1, s[10:11]
	global_store_short v[76:77], v75, off
	v_add_u32_e32 v77, 0x1200, v2
	s_waitcnt lgkmcnt(6)
	v_add_u32_e32 v96, v78, v77
	v_xor_b32_e32 v5, 0xffff8000, v5
	v_lshl_add_u64 v[78:79], v[96:97], 1, s[10:11]
	global_store_short v[78:79], v5, off
	v_or_b32_e32 v79, 0x1400, v2
	s_waitcnt lgkmcnt(5)
	v_add_u32_e32 v96, v80, v79
	v_add_u32_e32 v75, 0x1600, v2
	v_xor_b32_e32 v5, 0xffff8000, v7
	v_lshl_add_u64 v[80:81], v[96:97], 1, s[10:11]
	s_waitcnt lgkmcnt(4)
	v_add_u32_e32 v96, v109, v75
	v_or_b32_e32 v76, 0x1800, v2
	global_store_short v[80:81], v5, off
	v_xor_b32_e32 v5, 0xffff8000, v82
	v_lshl_add_u64 v[80:81], v[96:97], 1, s[10:11]
	s_waitcnt lgkmcnt(3)
	v_add_u32_e32 v96, v110, v76
	v_add_u32_e32 v78, 0x1a00, v2
	global_store_short v[80:81], v5, off
	v_xor_b32_e32 v5, 0xffff8000, v83
	v_lshl_add_u64 v[80:81], v[96:97], 1, s[10:11]
	s_waitcnt lgkmcnt(2)
	v_add_u32_e32 v96, v111, v78
	global_store_short v[80:81], v5, off
	v_xor_b32_e32 v5, 0xffff8000, v85
	v_lshl_add_u64 v[80:81], v[96:97], 1, s[10:11]
	global_store_short v[80:81], v5, off
	v_or_b32_e32 v80, 0x1c00, v2
	s_waitcnt lgkmcnt(1)
	v_add_u32_e32 v96, v112, v80
	v_add_u32_e32 v81, 0x1e00, v2
	v_xor_b32_e32 v5, 0xffff8000, v86
	v_lshl_add_u64 v[82:83], v[96:97], 1, s[10:11]
	s_waitcnt lgkmcnt(0)
	v_add_u32_e32 v96, v113, v81
	global_store_short v[82:83], v5, off
	v_xor_b32_e32 v5, 0xffff8000, v98
	v_lshl_add_u64 v[82:83], v[96:97], 1, s[10:11]
	global_store_short v[82:83], v5, off
	v_or_b32_e32 v82, 0x2000, v2
	v_add_u32_e32 v96, v103, v82
	v_add_u32_e32 v83, 0x2200, v2
	v_xor_b32_e32 v5, 0xffff8000, v84
	v_lshl_add_u64 v[84:85], v[96:97], 1, s[10:11]
	v_add_u32_e32 v96, v104, v83
	global_store_short v[84:85], v5, off
	v_xor_b32_e32 v5, 0xffff8000, v87
	v_lshl_add_u64 v[84:85], v[96:97], 1, s[10:11]
	global_store_short v[84:85], v5, off
	v_or_b32_e32 v85, 0x2400, v2
	v_add_u32_e32 v96, v105, v85
	v_add_u32_e32 v84, 0x2600, v2
	v_xor_b32_e32 v5, 0xffff8000, v99
	v_lshl_add_u64 v[86:87], v[96:97], 1, s[10:11]
	;; [unrolled: 10-line block ×3, first 2 shown]
	v_add_u32_e32 v96, v108, v87
	global_store_short v[98:99], v5, off
	v_xor_b32_e32 v5, 0xffff8000, v102
	v_lshl_add_u64 v[98:99], v[96:97], 1, s[10:11]
	s_add_u32 s0, s12, s16
	global_store_short v[98:99], v5, off
	s_addc_u32 s1, s13, s17
	v_mov_b32_e32 v5, v97
	v_lshl_add_u64 v[4:5], s[0:1], 0, v[4:5]
	v_mov_b32_e32 v7, v97
	v_lshl_add_u64 v[114:115], v[4:5], 0, v[6:7]
	global_load_ushort v113, v[114:115], off
	global_load_ushort v112, v[114:115], off offset:128
	global_load_ushort v111, v[114:115], off offset:256
	;; [unrolled: 1-line block ×21, first 2 shown]
	s_movk_i32 s4, 0x2c00
	v_cmp_gt_u32_e64 s[0:1], s4, v69
	s_barrier
	s_and_saveexec_b64 s[2:3], s[0:1]
	s_cbranch_execz .LBB1661_384
; %bb.358:
	s_waitcnt vmcnt(21)
	ds_write_b16 v63, v113 offset:256
	s_or_b64 exec, exec, s[2:3]
	v_cmp_gt_u32_e64 s[0:1], s4, v66
	s_and_saveexec_b64 s[2:3], s[0:1]
	s_cbranch_execnz .LBB1661_385
.LBB1661_359:
	s_or_b64 exec, exec, s[2:3]
	v_cmp_gt_u32_e64 s[0:1], s4, v62
	s_and_saveexec_b64 s[2:3], s[0:1]
	s_cbranch_execz .LBB1661_386
.LBB1661_360:
	s_waitcnt vmcnt(19)
	ds_write_b16 v58, v111 offset:256
	s_or_b64 exec, exec, s[2:3]
	v_cmp_gt_u32_e64 s[0:1], s4, v57
	s_and_saveexec_b64 s[2:3], s[0:1]
	s_cbranch_execnz .LBB1661_387
.LBB1661_361:
	s_or_b64 exec, exec, s[2:3]
	v_cmp_gt_u32_e64 s[0:1], s4, v52
	s_and_saveexec_b64 s[2:3], s[0:1]
	s_cbranch_execz .LBB1661_388
.LBB1661_362:
	s_waitcnt vmcnt(17)
	ds_write_b16 v53, v109 offset:256
	s_or_b64 exec, exec, s[2:3]
	v_cmp_gt_u32_e64 s[0:1], s4, v47
	s_and_saveexec_b64 s[2:3], s[0:1]
	s_cbranch_execnz .LBB1661_389
.LBB1661_363:
	s_or_b64 exec, exec, s[2:3]
	v_cmp_gt_u32_e64 s[0:1], s4, v42
	s_and_saveexec_b64 s[2:3], s[0:1]
	s_cbranch_execz .LBB1661_390
.LBB1661_364:
	s_waitcnt vmcnt(15)
	ds_write_b16 v48, v107 offset:256
	s_or_b64 exec, exec, s[2:3]
	v_cmp_gt_u32_e64 s[0:1], s4, v40
	s_and_saveexec_b64 s[2:3], s[0:1]
	s_cbranch_execnz .LBB1661_391
.LBB1661_365:
	s_or_b64 exec, exec, s[2:3]
	v_cmp_gt_u32_e64 s[0:1], s4, v37
	s_and_saveexec_b64 s[2:3], s[0:1]
	s_cbranch_execz .LBB1661_392
.LBB1661_366:
	s_waitcnt vmcnt(13)
	ds_write_b16 v43, v105 offset:256
	s_or_b64 exec, exec, s[2:3]
	v_cmp_gt_u32_e64 s[0:1], s4, v35
	s_and_saveexec_b64 s[2:3], s[0:1]
	s_cbranch_execnz .LBB1661_393
.LBB1661_367:
	s_or_b64 exec, exec, s[2:3]
	v_cmp_gt_u32_e64 s[0:1], s4, v33
	s_and_saveexec_b64 s[2:3], s[0:1]
	s_cbranch_execz .LBB1661_394
.LBB1661_368:
	s_waitcnt vmcnt(11)
	ds_write_b16 v39, v103 offset:256
	s_or_b64 exec, exec, s[2:3]
	v_cmp_gt_u32_e64 s[0:1], s4, v32
	s_and_saveexec_b64 s[2:3], s[0:1]
	s_cbranch_execnz .LBB1661_395
.LBB1661_369:
	s_or_b64 exec, exec, s[2:3]
	v_cmp_gt_u32_e64 s[0:1], s4, v29
	s_and_saveexec_b64 s[2:3], s[0:1]
	s_cbranch_execz .LBB1661_396
.LBB1661_370:
	s_waitcnt vmcnt(9)
	ds_write_b16 v36, v101 offset:256
	s_or_b64 exec, exec, s[2:3]
	v_cmp_gt_u32_e64 s[0:1], s4, v27
	s_and_saveexec_b64 s[2:3], s[0:1]
	s_cbranch_execnz .LBB1661_397
.LBB1661_371:
	s_or_b64 exec, exec, s[2:3]
	v_cmp_gt_u32_e64 s[0:1], s4, v25
	s_and_saveexec_b64 s[2:3], s[0:1]
	s_cbranch_execz .LBB1661_398
.LBB1661_372:
	s_waitcnt vmcnt(7)
	ds_write_b16 v31, v99 offset:256
	s_or_b64 exec, exec, s[2:3]
	v_cmp_gt_u32_e64 s[0:1], s4, v23
	s_and_saveexec_b64 s[2:3], s[0:1]
	s_cbranch_execnz .LBB1661_399
.LBB1661_373:
	s_or_b64 exec, exec, s[2:3]
	v_cmp_gt_u32_e64 s[0:1], s4, v21
	s_and_saveexec_b64 s[2:3], s[0:1]
	s_cbranch_execz .LBB1661_400
.LBB1661_374:
	s_waitcnt vmcnt(5)
	ds_write_b16 v28, v97 offset:256
	s_or_b64 exec, exec, s[2:3]
	v_cmp_gt_u32_e64 s[0:1], s4, v18
	s_and_saveexec_b64 s[2:3], s[0:1]
	s_cbranch_execnz .LBB1661_401
.LBB1661_375:
	s_or_b64 exec, exec, s[2:3]
	v_cmp_gt_u32_e64 s[0:1], s4, v17
	s_and_saveexec_b64 s[2:3], s[0:1]
	s_cbranch_execz .LBB1661_402
.LBB1661_376:
	s_waitcnt vmcnt(3)
	ds_write_b16 v24, v7 offset:256
	s_or_b64 exec, exec, s[2:3]
	v_cmp_gt_u32_e64 s[0:1], s4, v16
	s_and_saveexec_b64 s[2:3], s[0:1]
	s_cbranch_execnz .LBB1661_403
.LBB1661_377:
	s_or_b64 exec, exec, s[2:3]
	v_cmp_gt_u32_e64 s[0:1], s4, v13
	s_and_saveexec_b64 s[2:3], s[0:1]
	s_cbranch_execz .LBB1661_379
.LBB1661_378:
	s_waitcnt vmcnt(1)
	ds_write_b16 v20, v5 offset:256
.LBB1661_379:
	s_or_b64 exec, exec, s[2:3]
	v_sub_u32_e32 v0, 0, v0
	v_cmp_gt_u32_e64 s[0:1], s4, v12
	s_and_saveexec_b64 s[2:3], s[0:1]
	s_cbranch_execz .LBB1661_381
; %bb.380:
	s_waitcnt vmcnt(0)
	ds_write_b16 v15, v4 offset:256
.LBB1661_381:
	s_or_b64 exec, exec, s[2:3]
	s_waitcnt lgkmcnt(0)
	s_barrier
	v_add_u32_e32 v12, v19, v0
	ds_read_b32 v0, v95
	ds_read_b32 v13, v92
	;; [unrolled: 1-line block ×8, first 2 shown]
	s_waitcnt vmcnt(0) lgkmcnt(7)
	v_add_u32_e32 v4, v0, v2
	v_mov_b32_e32 v5, 0
	v_lshl_add_u64 v[6:7], v[4:5], 1, s[14:15]
	ds_read_u16 v0, v12 offset:256
	ds_read_u16 v2, v12 offset:1280
	ds_read_b32 v22, v1
	ds_read_b32 v8, v8
	;; [unrolled: 1-line block ×6, first 2 shown]
	s_waitcnt lgkmcnt(14)
	v_add_u32_e32 v4, v13, v55
	s_waitcnt lgkmcnt(7)
	global_store_short v[6:7], v0, off
	v_lshl_add_u64 v[0:1], v[4:5], 1, s[14:15]
	v_add_u32_e32 v4, v15, v60
	s_waitcnt lgkmcnt(6)
	global_store_short v[0:1], v2, off
	v_lshl_add_u64 v[0:1], v[4:5], 1, s[14:15]
	v_add_u32_e32 v4, v16, v46
	ds_read_u16 v2, v12 offset:2304
	ds_read_u16 v6, v12 offset:3328
	;; [unrolled: 1-line block ×8, first 2 shown]
	s_waitcnt lgkmcnt(7)
	global_store_short v[0:1], v2, off
	v_lshl_add_u64 v[0:1], v[4:5], 1, s[14:15]
	v_add_u32_e32 v4, v17, v50
	s_waitcnt lgkmcnt(6)
	global_store_short v[0:1], v6, off
	v_lshl_add_u64 v[0:1], v[4:5], 1, s[14:15]
	v_add_u32_e32 v4, v18, v56
	;; [unrolled: 4-line block ×4, first 2 shown]
	s_waitcnt lgkmcnt(3)
	global_store_short v[0:1], v15, off
	v_lshl_add_u64 v[0:1], v[4:5], 1, s[14:15]
	s_waitcnt lgkmcnt(2)
	global_store_short v[0:1], v24, off
	ds_read_b32 v0, v65
	ds_read_b32 v2, v67
	;; [unrolled: 1-line block ×8, first 2 shown]
	s_waitcnt lgkmcnt(7)
	v_add_u32_e32 v4, v0, v51
	v_lshl_add_u64 v[0:1], v[4:5], 1, s[14:15]
	s_waitcnt lgkmcnt(6)
	v_add_u32_e32 v4, v2, v77
	global_store_short v[0:1], v25, off
	v_lshl_add_u64 v[0:1], v[4:5], 1, s[14:15]
	s_waitcnt lgkmcnt(5)
	v_add_u32_e32 v4, v6, v79
	global_store_short v[0:1], v26, off
	v_lshl_add_u64 v[0:1], v[4:5], 1, s[14:15]
	s_waitcnt lgkmcnt(4)
	v_add_u32_e32 v4, v7, v75
	ds_read_u16 v2, v12 offset:10496
	ds_read_u16 v6, v12 offset:11520
	;; [unrolled: 1-line block ×8, first 2 shown]
	s_waitcnt lgkmcnt(7)
	global_store_short v[0:1], v2, off
	v_lshl_add_u64 v[0:1], v[4:5], 1, s[14:15]
	v_add_u32_e32 v4, v13, v76
	s_waitcnt lgkmcnt(6)
	global_store_short v[0:1], v6, off
	v_lshl_add_u64 v[0:1], v[4:5], 1, s[14:15]
	v_add_u32_e32 v4, v15, v78
	s_waitcnt lgkmcnt(5)
	global_store_short v[0:1], v18, off
	v_lshl_add_u64 v[0:1], v[4:5], 1, s[14:15]
	v_add_u32_e32 v4, v16, v80
	s_waitcnt lgkmcnt(4)
	global_store_short v[0:1], v20, off
	v_lshl_add_u64 v[0:1], v[4:5], 1, s[14:15]
	v_add_u32_e32 v4, v17, v81
	s_waitcnt lgkmcnt(3)
	global_store_short v[0:1], v21, off
	v_lshl_add_u64 v[0:1], v[4:5], 1, s[14:15]
	v_add_u32_e32 v4, v22, v82
	s_waitcnt lgkmcnt(2)
	global_store_short v[0:1], v24, off
	v_lshl_add_u64 v[0:1], v[4:5], 1, s[14:15]
	v_add_u32_e32 v4, v8, v83
	ds_read_u16 v2, v12 offset:18688
	s_waitcnt lgkmcnt(2)
	global_store_short v[0:1], v25, off
	v_lshl_add_u64 v[0:1], v[4:5], 1, s[14:15]
	s_waitcnt lgkmcnt(1)
	global_store_short v[0:1], v26, off
	v_add_u32_e32 v4, v23, v85
	ds_read_u16 v6, v12 offset:19712
	ds_read_u16 v7, v12 offset:20736
	;; [unrolled: 1-line block ×3, first 2 shown]
	v_lshl_add_u64 v[0:1], v[4:5], 1, s[14:15]
	v_add_u32_e32 v4, v11, v84
	s_add_i32 s20, s20, -1
	s_waitcnt lgkmcnt(3)
	global_store_short v[0:1], v2, off
	v_lshl_add_u64 v[0:1], v[4:5], 1, s[14:15]
	v_add_u32_e32 v4, v10, v86
	s_cmp_eq_u32 s33, s20
	s_waitcnt lgkmcnt(2)
	global_store_short v[0:1], v6, off
	v_lshl_add_u64 v[0:1], v[4:5], 1, s[14:15]
	v_add_u32_e32 v4, v9, v87
	s_cselect_b64 s[0:1], -1, 0
	s_xor_b64 s[2:3], vcc, -1
	s_waitcnt lgkmcnt(1)
	global_store_short v[0:1], v7, off
	v_lshl_add_u64 v[0:1], v[4:5], 1, s[14:15]
	s_and_b64 s[0:1], s[2:3], s[0:1]
	s_waitcnt lgkmcnt(0)
	global_store_short v[0:1], v8, off
	s_and_saveexec_b64 s[2:3], s[0:1]
	s_cbranch_execz .LBB1661_383
; %bb.382:
	ds_read_b32 v0, v19
	v_readlane_b32 s0, v117, 0
	v_readlane_b32 s2, v117, 2
	;; [unrolled: 1-line block ×4, first 2 shown]
	s_waitcnt lgkmcnt(0)
	v_add3_u32 v0, v3, v14, v0
	s_nop 1
	global_store_dword v19, v0, s[2:3]
.LBB1661_383:
	s_endpgm
.LBB1661_384:
	s_or_b64 exec, exec, s[2:3]
	v_cmp_gt_u32_e64 s[0:1], s4, v66
	s_and_saveexec_b64 s[2:3], s[0:1]
	s_cbranch_execz .LBB1661_359
.LBB1661_385:
	s_waitcnt vmcnt(20)
	ds_write_b16 v59, v112 offset:256
	s_or_b64 exec, exec, s[2:3]
	v_cmp_gt_u32_e64 s[0:1], s4, v62
	s_and_saveexec_b64 s[2:3], s[0:1]
	s_cbranch_execnz .LBB1661_360
.LBB1661_386:
	s_or_b64 exec, exec, s[2:3]
	v_cmp_gt_u32_e64 s[0:1], s4, v57
	s_and_saveexec_b64 s[2:3], s[0:1]
	s_cbranch_execz .LBB1661_361
.LBB1661_387:
	s_waitcnt vmcnt(18)
	ds_write_b16 v54, v110 offset:256
	s_or_b64 exec, exec, s[2:3]
	v_cmp_gt_u32_e64 s[0:1], s4, v52
	s_and_saveexec_b64 s[2:3], s[0:1]
	s_cbranch_execnz .LBB1661_362
.LBB1661_388:
	s_or_b64 exec, exec, s[2:3]
	v_cmp_gt_u32_e64 s[0:1], s4, v47
	s_and_saveexec_b64 s[2:3], s[0:1]
	s_cbranch_execz .LBB1661_363
.LBB1661_389:
	s_waitcnt vmcnt(16)
	ds_write_b16 v49, v108 offset:256
	s_or_b64 exec, exec, s[2:3]
	v_cmp_gt_u32_e64 s[0:1], s4, v42
	s_and_saveexec_b64 s[2:3], s[0:1]
	s_cbranch_execnz .LBB1661_364
.LBB1661_390:
	s_or_b64 exec, exec, s[2:3]
	v_cmp_gt_u32_e64 s[0:1], s4, v40
	s_and_saveexec_b64 s[2:3], s[0:1]
	s_cbranch_execz .LBB1661_365
.LBB1661_391:
	s_waitcnt vmcnt(14)
	ds_write_b16 v44, v106 offset:256
	s_or_b64 exec, exec, s[2:3]
	v_cmp_gt_u32_e64 s[0:1], s4, v37
	s_and_saveexec_b64 s[2:3], s[0:1]
	s_cbranch_execnz .LBB1661_366
.LBB1661_392:
	s_or_b64 exec, exec, s[2:3]
	v_cmp_gt_u32_e64 s[0:1], s4, v35
	s_and_saveexec_b64 s[2:3], s[0:1]
	s_cbranch_execz .LBB1661_367
.LBB1661_393:
	s_waitcnt vmcnt(12)
	ds_write_b16 v41, v104 offset:256
	s_or_b64 exec, exec, s[2:3]
	v_cmp_gt_u32_e64 s[0:1], s4, v33
	s_and_saveexec_b64 s[2:3], s[0:1]
	s_cbranch_execnz .LBB1661_368
.LBB1661_394:
	s_or_b64 exec, exec, s[2:3]
	v_cmp_gt_u32_e64 s[0:1], s4, v32
	s_and_saveexec_b64 s[2:3], s[0:1]
	s_cbranch_execz .LBB1661_369
.LBB1661_395:
	s_waitcnt vmcnt(10)
	ds_write_b16 v38, v102 offset:256
	s_or_b64 exec, exec, s[2:3]
	v_cmp_gt_u32_e64 s[0:1], s4, v29
	s_and_saveexec_b64 s[2:3], s[0:1]
	s_cbranch_execnz .LBB1661_370
.LBB1661_396:
	s_or_b64 exec, exec, s[2:3]
	v_cmp_gt_u32_e64 s[0:1], s4, v27
	s_and_saveexec_b64 s[2:3], s[0:1]
	s_cbranch_execz .LBB1661_371
.LBB1661_397:
	s_waitcnt vmcnt(8)
	ds_write_b16 v34, v100 offset:256
	s_or_b64 exec, exec, s[2:3]
	v_cmp_gt_u32_e64 s[0:1], s4, v25
	s_and_saveexec_b64 s[2:3], s[0:1]
	s_cbranch_execnz .LBB1661_372
.LBB1661_398:
	s_or_b64 exec, exec, s[2:3]
	v_cmp_gt_u32_e64 s[0:1], s4, v23
	s_and_saveexec_b64 s[2:3], s[0:1]
	s_cbranch_execz .LBB1661_373
.LBB1661_399:
	s_waitcnt vmcnt(6)
	ds_write_b16 v30, v98 offset:256
	s_or_b64 exec, exec, s[2:3]
	v_cmp_gt_u32_e64 s[0:1], s4, v21
	s_and_saveexec_b64 s[2:3], s[0:1]
	s_cbranch_execnz .LBB1661_374
.LBB1661_400:
	s_or_b64 exec, exec, s[2:3]
	v_cmp_gt_u32_e64 s[0:1], s4, v18
	s_and_saveexec_b64 s[2:3], s[0:1]
	s_cbranch_execz .LBB1661_375
.LBB1661_401:
	s_waitcnt vmcnt(4)
	ds_write_b16 v26, v96 offset:256
	s_or_b64 exec, exec, s[2:3]
	v_cmp_gt_u32_e64 s[0:1], s4, v17
	s_and_saveexec_b64 s[2:3], s[0:1]
	s_cbranch_execnz .LBB1661_376
.LBB1661_402:
	s_or_b64 exec, exec, s[2:3]
	v_cmp_gt_u32_e64 s[0:1], s4, v16
	s_and_saveexec_b64 s[2:3], s[0:1]
	s_cbranch_execz .LBB1661_377
.LBB1661_403:
	s_waitcnt vmcnt(2)
	ds_write_b16 v22, v6 offset:256
	s_or_b64 exec, exec, s[2:3]
	v_cmp_gt_u32_e64 s[0:1], s4, v13
	s_and_saveexec_b64 s[2:3], s[0:1]
	s_cbranch_execnz .LBB1661_378
	s_branch .LBB1661_379
	.section	.rodata,"a",@progbits
	.p2align	6, 0x0
	.amdhsa_kernel _ZN7rocprim17ROCPRIM_400000_NS6detail17trampoline_kernelINS0_14default_configENS1_35radix_sort_onesweep_config_selectorIssEEZZNS1_29radix_sort_onesweep_iterationIS3_Lb0EN6thrust23THRUST_200600_302600_NS6detail15normal_iteratorINS8_10device_ptrIsEEEESD_SD_SD_jNS0_19identity_decomposerENS1_16block_id_wrapperIjLb1EEEEE10hipError_tT1_PNSt15iterator_traitsISI_E10value_typeET2_T3_PNSJ_ISO_E10value_typeET4_T5_PST_SU_PNS1_23onesweep_lookback_stateEbbT6_jjT7_P12ihipStream_tbENKUlT_T0_SI_SN_E_clIPsSD_S15_SD_EEDaS11_S12_SI_SN_EUlS11_E_NS1_11comp_targetILNS1_3genE6ELNS1_11target_archE950ELNS1_3gpuE13ELNS1_3repE0EEENS1_47radix_sort_onesweep_sort_config_static_selectorELNS0_4arch9wavefront6targetE1EEEvSI_
		.amdhsa_group_segment_fixed_size 22792
		.amdhsa_private_segment_fixed_size 0
		.amdhsa_kernarg_size 344
		.amdhsa_user_sgpr_count 2
		.amdhsa_user_sgpr_dispatch_ptr 0
		.amdhsa_user_sgpr_queue_ptr 0
		.amdhsa_user_sgpr_kernarg_segment_ptr 1
		.amdhsa_user_sgpr_dispatch_id 0
		.amdhsa_user_sgpr_kernarg_preload_length 0
		.amdhsa_user_sgpr_kernarg_preload_offset 0
		.amdhsa_user_sgpr_private_segment_size 0
		.amdhsa_uses_dynamic_stack 0
		.amdhsa_enable_private_segment 0
		.amdhsa_system_sgpr_workgroup_id_x 1
		.amdhsa_system_sgpr_workgroup_id_y 0
		.amdhsa_system_sgpr_workgroup_id_z 0
		.amdhsa_system_sgpr_workgroup_info 0
		.amdhsa_system_vgpr_workitem_id 2
		.amdhsa_next_free_vgpr 118
		.amdhsa_next_free_sgpr 100
		.amdhsa_accum_offset 120
		.amdhsa_reserve_vcc 1
		.amdhsa_float_round_mode_32 0
		.amdhsa_float_round_mode_16_64 0
		.amdhsa_float_denorm_mode_32 3
		.amdhsa_float_denorm_mode_16_64 3
		.amdhsa_dx10_clamp 1
		.amdhsa_ieee_mode 1
		.amdhsa_fp16_overflow 0
		.amdhsa_tg_split 0
		.amdhsa_exception_fp_ieee_invalid_op 0
		.amdhsa_exception_fp_denorm_src 0
		.amdhsa_exception_fp_ieee_div_zero 0
		.amdhsa_exception_fp_ieee_overflow 0
		.amdhsa_exception_fp_ieee_underflow 0
		.amdhsa_exception_fp_ieee_inexact 0
		.amdhsa_exception_int_div_zero 0
	.end_amdhsa_kernel
	.section	.text._ZN7rocprim17ROCPRIM_400000_NS6detail17trampoline_kernelINS0_14default_configENS1_35radix_sort_onesweep_config_selectorIssEEZZNS1_29radix_sort_onesweep_iterationIS3_Lb0EN6thrust23THRUST_200600_302600_NS6detail15normal_iteratorINS8_10device_ptrIsEEEESD_SD_SD_jNS0_19identity_decomposerENS1_16block_id_wrapperIjLb1EEEEE10hipError_tT1_PNSt15iterator_traitsISI_E10value_typeET2_T3_PNSJ_ISO_E10value_typeET4_T5_PST_SU_PNS1_23onesweep_lookback_stateEbbT6_jjT7_P12ihipStream_tbENKUlT_T0_SI_SN_E_clIPsSD_S15_SD_EEDaS11_S12_SI_SN_EUlS11_E_NS1_11comp_targetILNS1_3genE6ELNS1_11target_archE950ELNS1_3gpuE13ELNS1_3repE0EEENS1_47radix_sort_onesweep_sort_config_static_selectorELNS0_4arch9wavefront6targetE1EEEvSI_,"axG",@progbits,_ZN7rocprim17ROCPRIM_400000_NS6detail17trampoline_kernelINS0_14default_configENS1_35radix_sort_onesweep_config_selectorIssEEZZNS1_29radix_sort_onesweep_iterationIS3_Lb0EN6thrust23THRUST_200600_302600_NS6detail15normal_iteratorINS8_10device_ptrIsEEEESD_SD_SD_jNS0_19identity_decomposerENS1_16block_id_wrapperIjLb1EEEEE10hipError_tT1_PNSt15iterator_traitsISI_E10value_typeET2_T3_PNSJ_ISO_E10value_typeET4_T5_PST_SU_PNS1_23onesweep_lookback_stateEbbT6_jjT7_P12ihipStream_tbENKUlT_T0_SI_SN_E_clIPsSD_S15_SD_EEDaS11_S12_SI_SN_EUlS11_E_NS1_11comp_targetILNS1_3genE6ELNS1_11target_archE950ELNS1_3gpuE13ELNS1_3repE0EEENS1_47radix_sort_onesweep_sort_config_static_selectorELNS0_4arch9wavefront6targetE1EEEvSI_,comdat
.Lfunc_end1661:
	.size	_ZN7rocprim17ROCPRIM_400000_NS6detail17trampoline_kernelINS0_14default_configENS1_35radix_sort_onesweep_config_selectorIssEEZZNS1_29radix_sort_onesweep_iterationIS3_Lb0EN6thrust23THRUST_200600_302600_NS6detail15normal_iteratorINS8_10device_ptrIsEEEESD_SD_SD_jNS0_19identity_decomposerENS1_16block_id_wrapperIjLb1EEEEE10hipError_tT1_PNSt15iterator_traitsISI_E10value_typeET2_T3_PNSJ_ISO_E10value_typeET4_T5_PST_SU_PNS1_23onesweep_lookback_stateEbbT6_jjT7_P12ihipStream_tbENKUlT_T0_SI_SN_E_clIPsSD_S15_SD_EEDaS11_S12_SI_SN_EUlS11_E_NS1_11comp_targetILNS1_3genE6ELNS1_11target_archE950ELNS1_3gpuE13ELNS1_3repE0EEENS1_47radix_sort_onesweep_sort_config_static_selectorELNS0_4arch9wavefront6targetE1EEEvSI_, .Lfunc_end1661-_ZN7rocprim17ROCPRIM_400000_NS6detail17trampoline_kernelINS0_14default_configENS1_35radix_sort_onesweep_config_selectorIssEEZZNS1_29radix_sort_onesweep_iterationIS3_Lb0EN6thrust23THRUST_200600_302600_NS6detail15normal_iteratorINS8_10device_ptrIsEEEESD_SD_SD_jNS0_19identity_decomposerENS1_16block_id_wrapperIjLb1EEEEE10hipError_tT1_PNSt15iterator_traitsISI_E10value_typeET2_T3_PNSJ_ISO_E10value_typeET4_T5_PST_SU_PNS1_23onesweep_lookback_stateEbbT6_jjT7_P12ihipStream_tbENKUlT_T0_SI_SN_E_clIPsSD_S15_SD_EEDaS11_S12_SI_SN_EUlS11_E_NS1_11comp_targetILNS1_3genE6ELNS1_11target_archE950ELNS1_3gpuE13ELNS1_3repE0EEENS1_47radix_sort_onesweep_sort_config_static_selectorELNS0_4arch9wavefront6targetE1EEEvSI_
                                        ; -- End function
	.set _ZN7rocprim17ROCPRIM_400000_NS6detail17trampoline_kernelINS0_14default_configENS1_35radix_sort_onesweep_config_selectorIssEEZZNS1_29radix_sort_onesweep_iterationIS3_Lb0EN6thrust23THRUST_200600_302600_NS6detail15normal_iteratorINS8_10device_ptrIsEEEESD_SD_SD_jNS0_19identity_decomposerENS1_16block_id_wrapperIjLb1EEEEE10hipError_tT1_PNSt15iterator_traitsISI_E10value_typeET2_T3_PNSJ_ISO_E10value_typeET4_T5_PST_SU_PNS1_23onesweep_lookback_stateEbbT6_jjT7_P12ihipStream_tbENKUlT_T0_SI_SN_E_clIPsSD_S15_SD_EEDaS11_S12_SI_SN_EUlS11_E_NS1_11comp_targetILNS1_3genE6ELNS1_11target_archE950ELNS1_3gpuE13ELNS1_3repE0EEENS1_47radix_sort_onesweep_sort_config_static_selectorELNS0_4arch9wavefront6targetE1EEEvSI_.num_vgpr, 118
	.set _ZN7rocprim17ROCPRIM_400000_NS6detail17trampoline_kernelINS0_14default_configENS1_35radix_sort_onesweep_config_selectorIssEEZZNS1_29radix_sort_onesweep_iterationIS3_Lb0EN6thrust23THRUST_200600_302600_NS6detail15normal_iteratorINS8_10device_ptrIsEEEESD_SD_SD_jNS0_19identity_decomposerENS1_16block_id_wrapperIjLb1EEEEE10hipError_tT1_PNSt15iterator_traitsISI_E10value_typeET2_T3_PNSJ_ISO_E10value_typeET4_T5_PST_SU_PNS1_23onesweep_lookback_stateEbbT6_jjT7_P12ihipStream_tbENKUlT_T0_SI_SN_E_clIPsSD_S15_SD_EEDaS11_S12_SI_SN_EUlS11_E_NS1_11comp_targetILNS1_3genE6ELNS1_11target_archE950ELNS1_3gpuE13ELNS1_3repE0EEENS1_47radix_sort_onesweep_sort_config_static_selectorELNS0_4arch9wavefront6targetE1EEEvSI_.num_agpr, 0
	.set _ZN7rocprim17ROCPRIM_400000_NS6detail17trampoline_kernelINS0_14default_configENS1_35radix_sort_onesweep_config_selectorIssEEZZNS1_29radix_sort_onesweep_iterationIS3_Lb0EN6thrust23THRUST_200600_302600_NS6detail15normal_iteratorINS8_10device_ptrIsEEEESD_SD_SD_jNS0_19identity_decomposerENS1_16block_id_wrapperIjLb1EEEEE10hipError_tT1_PNSt15iterator_traitsISI_E10value_typeET2_T3_PNSJ_ISO_E10value_typeET4_T5_PST_SU_PNS1_23onesweep_lookback_stateEbbT6_jjT7_P12ihipStream_tbENKUlT_T0_SI_SN_E_clIPsSD_S15_SD_EEDaS11_S12_SI_SN_EUlS11_E_NS1_11comp_targetILNS1_3genE6ELNS1_11target_archE950ELNS1_3gpuE13ELNS1_3repE0EEENS1_47radix_sort_onesweep_sort_config_static_selectorELNS0_4arch9wavefront6targetE1EEEvSI_.numbered_sgpr, 100
	.set _ZN7rocprim17ROCPRIM_400000_NS6detail17trampoline_kernelINS0_14default_configENS1_35radix_sort_onesweep_config_selectorIssEEZZNS1_29radix_sort_onesweep_iterationIS3_Lb0EN6thrust23THRUST_200600_302600_NS6detail15normal_iteratorINS8_10device_ptrIsEEEESD_SD_SD_jNS0_19identity_decomposerENS1_16block_id_wrapperIjLb1EEEEE10hipError_tT1_PNSt15iterator_traitsISI_E10value_typeET2_T3_PNSJ_ISO_E10value_typeET4_T5_PST_SU_PNS1_23onesweep_lookback_stateEbbT6_jjT7_P12ihipStream_tbENKUlT_T0_SI_SN_E_clIPsSD_S15_SD_EEDaS11_S12_SI_SN_EUlS11_E_NS1_11comp_targetILNS1_3genE6ELNS1_11target_archE950ELNS1_3gpuE13ELNS1_3repE0EEENS1_47radix_sort_onesweep_sort_config_static_selectorELNS0_4arch9wavefront6targetE1EEEvSI_.num_named_barrier, 0
	.set _ZN7rocprim17ROCPRIM_400000_NS6detail17trampoline_kernelINS0_14default_configENS1_35radix_sort_onesweep_config_selectorIssEEZZNS1_29radix_sort_onesweep_iterationIS3_Lb0EN6thrust23THRUST_200600_302600_NS6detail15normal_iteratorINS8_10device_ptrIsEEEESD_SD_SD_jNS0_19identity_decomposerENS1_16block_id_wrapperIjLb1EEEEE10hipError_tT1_PNSt15iterator_traitsISI_E10value_typeET2_T3_PNSJ_ISO_E10value_typeET4_T5_PST_SU_PNS1_23onesweep_lookback_stateEbbT6_jjT7_P12ihipStream_tbENKUlT_T0_SI_SN_E_clIPsSD_S15_SD_EEDaS11_S12_SI_SN_EUlS11_E_NS1_11comp_targetILNS1_3genE6ELNS1_11target_archE950ELNS1_3gpuE13ELNS1_3repE0EEENS1_47radix_sort_onesweep_sort_config_static_selectorELNS0_4arch9wavefront6targetE1EEEvSI_.private_seg_size, 0
	.set _ZN7rocprim17ROCPRIM_400000_NS6detail17trampoline_kernelINS0_14default_configENS1_35radix_sort_onesweep_config_selectorIssEEZZNS1_29radix_sort_onesweep_iterationIS3_Lb0EN6thrust23THRUST_200600_302600_NS6detail15normal_iteratorINS8_10device_ptrIsEEEESD_SD_SD_jNS0_19identity_decomposerENS1_16block_id_wrapperIjLb1EEEEE10hipError_tT1_PNSt15iterator_traitsISI_E10value_typeET2_T3_PNSJ_ISO_E10value_typeET4_T5_PST_SU_PNS1_23onesweep_lookback_stateEbbT6_jjT7_P12ihipStream_tbENKUlT_T0_SI_SN_E_clIPsSD_S15_SD_EEDaS11_S12_SI_SN_EUlS11_E_NS1_11comp_targetILNS1_3genE6ELNS1_11target_archE950ELNS1_3gpuE13ELNS1_3repE0EEENS1_47radix_sort_onesweep_sort_config_static_selectorELNS0_4arch9wavefront6targetE1EEEvSI_.uses_vcc, 1
	.set _ZN7rocprim17ROCPRIM_400000_NS6detail17trampoline_kernelINS0_14default_configENS1_35radix_sort_onesweep_config_selectorIssEEZZNS1_29radix_sort_onesweep_iterationIS3_Lb0EN6thrust23THRUST_200600_302600_NS6detail15normal_iteratorINS8_10device_ptrIsEEEESD_SD_SD_jNS0_19identity_decomposerENS1_16block_id_wrapperIjLb1EEEEE10hipError_tT1_PNSt15iterator_traitsISI_E10value_typeET2_T3_PNSJ_ISO_E10value_typeET4_T5_PST_SU_PNS1_23onesweep_lookback_stateEbbT6_jjT7_P12ihipStream_tbENKUlT_T0_SI_SN_E_clIPsSD_S15_SD_EEDaS11_S12_SI_SN_EUlS11_E_NS1_11comp_targetILNS1_3genE6ELNS1_11target_archE950ELNS1_3gpuE13ELNS1_3repE0EEENS1_47radix_sort_onesweep_sort_config_static_selectorELNS0_4arch9wavefront6targetE1EEEvSI_.uses_flat_scratch, 0
	.set _ZN7rocprim17ROCPRIM_400000_NS6detail17trampoline_kernelINS0_14default_configENS1_35radix_sort_onesweep_config_selectorIssEEZZNS1_29radix_sort_onesweep_iterationIS3_Lb0EN6thrust23THRUST_200600_302600_NS6detail15normal_iteratorINS8_10device_ptrIsEEEESD_SD_SD_jNS0_19identity_decomposerENS1_16block_id_wrapperIjLb1EEEEE10hipError_tT1_PNSt15iterator_traitsISI_E10value_typeET2_T3_PNSJ_ISO_E10value_typeET4_T5_PST_SU_PNS1_23onesweep_lookback_stateEbbT6_jjT7_P12ihipStream_tbENKUlT_T0_SI_SN_E_clIPsSD_S15_SD_EEDaS11_S12_SI_SN_EUlS11_E_NS1_11comp_targetILNS1_3genE6ELNS1_11target_archE950ELNS1_3gpuE13ELNS1_3repE0EEENS1_47radix_sort_onesweep_sort_config_static_selectorELNS0_4arch9wavefront6targetE1EEEvSI_.has_dyn_sized_stack, 0
	.set _ZN7rocprim17ROCPRIM_400000_NS6detail17trampoline_kernelINS0_14default_configENS1_35radix_sort_onesweep_config_selectorIssEEZZNS1_29radix_sort_onesweep_iterationIS3_Lb0EN6thrust23THRUST_200600_302600_NS6detail15normal_iteratorINS8_10device_ptrIsEEEESD_SD_SD_jNS0_19identity_decomposerENS1_16block_id_wrapperIjLb1EEEEE10hipError_tT1_PNSt15iterator_traitsISI_E10value_typeET2_T3_PNSJ_ISO_E10value_typeET4_T5_PST_SU_PNS1_23onesweep_lookback_stateEbbT6_jjT7_P12ihipStream_tbENKUlT_T0_SI_SN_E_clIPsSD_S15_SD_EEDaS11_S12_SI_SN_EUlS11_E_NS1_11comp_targetILNS1_3genE6ELNS1_11target_archE950ELNS1_3gpuE13ELNS1_3repE0EEENS1_47radix_sort_onesweep_sort_config_static_selectorELNS0_4arch9wavefront6targetE1EEEvSI_.has_recursion, 0
	.set _ZN7rocprim17ROCPRIM_400000_NS6detail17trampoline_kernelINS0_14default_configENS1_35radix_sort_onesweep_config_selectorIssEEZZNS1_29radix_sort_onesweep_iterationIS3_Lb0EN6thrust23THRUST_200600_302600_NS6detail15normal_iteratorINS8_10device_ptrIsEEEESD_SD_SD_jNS0_19identity_decomposerENS1_16block_id_wrapperIjLb1EEEEE10hipError_tT1_PNSt15iterator_traitsISI_E10value_typeET2_T3_PNSJ_ISO_E10value_typeET4_T5_PST_SU_PNS1_23onesweep_lookback_stateEbbT6_jjT7_P12ihipStream_tbENKUlT_T0_SI_SN_E_clIPsSD_S15_SD_EEDaS11_S12_SI_SN_EUlS11_E_NS1_11comp_targetILNS1_3genE6ELNS1_11target_archE950ELNS1_3gpuE13ELNS1_3repE0EEENS1_47radix_sort_onesweep_sort_config_static_selectorELNS0_4arch9wavefront6targetE1EEEvSI_.has_indirect_call, 0
	.section	.AMDGPU.csdata,"",@progbits
; Kernel info:
; codeLenInByte = 30492
; TotalNumSgprs: 106
; NumVgprs: 118
; NumAgprs: 0
; TotalNumVgprs: 118
; ScratchSize: 0
; MemoryBound: 0
; FloatMode: 240
; IeeeMode: 1
; LDSByteSize: 22792 bytes/workgroup (compile time only)
; SGPRBlocks: 13
; VGPRBlocks: 14
; NumSGPRsForWavesPerEU: 106
; NumVGPRsForWavesPerEU: 118
; AccumOffset: 120
; Occupancy: 4
; WaveLimiterHint : 1
; COMPUTE_PGM_RSRC2:SCRATCH_EN: 0
; COMPUTE_PGM_RSRC2:USER_SGPR: 2
; COMPUTE_PGM_RSRC2:TRAP_HANDLER: 0
; COMPUTE_PGM_RSRC2:TGID_X_EN: 1
; COMPUTE_PGM_RSRC2:TGID_Y_EN: 0
; COMPUTE_PGM_RSRC2:TGID_Z_EN: 0
; COMPUTE_PGM_RSRC2:TIDIG_COMP_CNT: 2
; COMPUTE_PGM_RSRC3_GFX90A:ACCUM_OFFSET: 29
; COMPUTE_PGM_RSRC3_GFX90A:TG_SPLIT: 0
	.section	.text._ZN7rocprim17ROCPRIM_400000_NS6detail17trampoline_kernelINS0_14default_configENS1_35radix_sort_onesweep_config_selectorIssEEZZNS1_29radix_sort_onesweep_iterationIS3_Lb0EN6thrust23THRUST_200600_302600_NS6detail15normal_iteratorINS8_10device_ptrIsEEEESD_SD_SD_jNS0_19identity_decomposerENS1_16block_id_wrapperIjLb1EEEEE10hipError_tT1_PNSt15iterator_traitsISI_E10value_typeET2_T3_PNSJ_ISO_E10value_typeET4_T5_PST_SU_PNS1_23onesweep_lookback_stateEbbT6_jjT7_P12ihipStream_tbENKUlT_T0_SI_SN_E_clIPsSD_S15_SD_EEDaS11_S12_SI_SN_EUlS11_E_NS1_11comp_targetILNS1_3genE5ELNS1_11target_archE942ELNS1_3gpuE9ELNS1_3repE0EEENS1_47radix_sort_onesweep_sort_config_static_selectorELNS0_4arch9wavefront6targetE1EEEvSI_,"axG",@progbits,_ZN7rocprim17ROCPRIM_400000_NS6detail17trampoline_kernelINS0_14default_configENS1_35radix_sort_onesweep_config_selectorIssEEZZNS1_29radix_sort_onesweep_iterationIS3_Lb0EN6thrust23THRUST_200600_302600_NS6detail15normal_iteratorINS8_10device_ptrIsEEEESD_SD_SD_jNS0_19identity_decomposerENS1_16block_id_wrapperIjLb1EEEEE10hipError_tT1_PNSt15iterator_traitsISI_E10value_typeET2_T3_PNSJ_ISO_E10value_typeET4_T5_PST_SU_PNS1_23onesweep_lookback_stateEbbT6_jjT7_P12ihipStream_tbENKUlT_T0_SI_SN_E_clIPsSD_S15_SD_EEDaS11_S12_SI_SN_EUlS11_E_NS1_11comp_targetILNS1_3genE5ELNS1_11target_archE942ELNS1_3gpuE9ELNS1_3repE0EEENS1_47radix_sort_onesweep_sort_config_static_selectorELNS0_4arch9wavefront6targetE1EEEvSI_,comdat
	.protected	_ZN7rocprim17ROCPRIM_400000_NS6detail17trampoline_kernelINS0_14default_configENS1_35radix_sort_onesweep_config_selectorIssEEZZNS1_29radix_sort_onesweep_iterationIS3_Lb0EN6thrust23THRUST_200600_302600_NS6detail15normal_iteratorINS8_10device_ptrIsEEEESD_SD_SD_jNS0_19identity_decomposerENS1_16block_id_wrapperIjLb1EEEEE10hipError_tT1_PNSt15iterator_traitsISI_E10value_typeET2_T3_PNSJ_ISO_E10value_typeET4_T5_PST_SU_PNS1_23onesweep_lookback_stateEbbT6_jjT7_P12ihipStream_tbENKUlT_T0_SI_SN_E_clIPsSD_S15_SD_EEDaS11_S12_SI_SN_EUlS11_E_NS1_11comp_targetILNS1_3genE5ELNS1_11target_archE942ELNS1_3gpuE9ELNS1_3repE0EEENS1_47radix_sort_onesweep_sort_config_static_selectorELNS0_4arch9wavefront6targetE1EEEvSI_ ; -- Begin function _ZN7rocprim17ROCPRIM_400000_NS6detail17trampoline_kernelINS0_14default_configENS1_35radix_sort_onesweep_config_selectorIssEEZZNS1_29radix_sort_onesweep_iterationIS3_Lb0EN6thrust23THRUST_200600_302600_NS6detail15normal_iteratorINS8_10device_ptrIsEEEESD_SD_SD_jNS0_19identity_decomposerENS1_16block_id_wrapperIjLb1EEEEE10hipError_tT1_PNSt15iterator_traitsISI_E10value_typeET2_T3_PNSJ_ISO_E10value_typeET4_T5_PST_SU_PNS1_23onesweep_lookback_stateEbbT6_jjT7_P12ihipStream_tbENKUlT_T0_SI_SN_E_clIPsSD_S15_SD_EEDaS11_S12_SI_SN_EUlS11_E_NS1_11comp_targetILNS1_3genE5ELNS1_11target_archE942ELNS1_3gpuE9ELNS1_3repE0EEENS1_47radix_sort_onesweep_sort_config_static_selectorELNS0_4arch9wavefront6targetE1EEEvSI_
	.globl	_ZN7rocprim17ROCPRIM_400000_NS6detail17trampoline_kernelINS0_14default_configENS1_35radix_sort_onesweep_config_selectorIssEEZZNS1_29radix_sort_onesweep_iterationIS3_Lb0EN6thrust23THRUST_200600_302600_NS6detail15normal_iteratorINS8_10device_ptrIsEEEESD_SD_SD_jNS0_19identity_decomposerENS1_16block_id_wrapperIjLb1EEEEE10hipError_tT1_PNSt15iterator_traitsISI_E10value_typeET2_T3_PNSJ_ISO_E10value_typeET4_T5_PST_SU_PNS1_23onesweep_lookback_stateEbbT6_jjT7_P12ihipStream_tbENKUlT_T0_SI_SN_E_clIPsSD_S15_SD_EEDaS11_S12_SI_SN_EUlS11_E_NS1_11comp_targetILNS1_3genE5ELNS1_11target_archE942ELNS1_3gpuE9ELNS1_3repE0EEENS1_47radix_sort_onesweep_sort_config_static_selectorELNS0_4arch9wavefront6targetE1EEEvSI_
	.p2align	8
	.type	_ZN7rocprim17ROCPRIM_400000_NS6detail17trampoline_kernelINS0_14default_configENS1_35radix_sort_onesweep_config_selectorIssEEZZNS1_29radix_sort_onesweep_iterationIS3_Lb0EN6thrust23THRUST_200600_302600_NS6detail15normal_iteratorINS8_10device_ptrIsEEEESD_SD_SD_jNS0_19identity_decomposerENS1_16block_id_wrapperIjLb1EEEEE10hipError_tT1_PNSt15iterator_traitsISI_E10value_typeET2_T3_PNSJ_ISO_E10value_typeET4_T5_PST_SU_PNS1_23onesweep_lookback_stateEbbT6_jjT7_P12ihipStream_tbENKUlT_T0_SI_SN_E_clIPsSD_S15_SD_EEDaS11_S12_SI_SN_EUlS11_E_NS1_11comp_targetILNS1_3genE5ELNS1_11target_archE942ELNS1_3gpuE9ELNS1_3repE0EEENS1_47radix_sort_onesweep_sort_config_static_selectorELNS0_4arch9wavefront6targetE1EEEvSI_,@function
_ZN7rocprim17ROCPRIM_400000_NS6detail17trampoline_kernelINS0_14default_configENS1_35radix_sort_onesweep_config_selectorIssEEZZNS1_29radix_sort_onesweep_iterationIS3_Lb0EN6thrust23THRUST_200600_302600_NS6detail15normal_iteratorINS8_10device_ptrIsEEEESD_SD_SD_jNS0_19identity_decomposerENS1_16block_id_wrapperIjLb1EEEEE10hipError_tT1_PNSt15iterator_traitsISI_E10value_typeET2_T3_PNSJ_ISO_E10value_typeET4_T5_PST_SU_PNS1_23onesweep_lookback_stateEbbT6_jjT7_P12ihipStream_tbENKUlT_T0_SI_SN_E_clIPsSD_S15_SD_EEDaS11_S12_SI_SN_EUlS11_E_NS1_11comp_targetILNS1_3genE5ELNS1_11target_archE942ELNS1_3gpuE9ELNS1_3repE0EEENS1_47radix_sort_onesweep_sort_config_static_selectorELNS0_4arch9wavefront6targetE1EEEvSI_: ; @_ZN7rocprim17ROCPRIM_400000_NS6detail17trampoline_kernelINS0_14default_configENS1_35radix_sort_onesweep_config_selectorIssEEZZNS1_29radix_sort_onesweep_iterationIS3_Lb0EN6thrust23THRUST_200600_302600_NS6detail15normal_iteratorINS8_10device_ptrIsEEEESD_SD_SD_jNS0_19identity_decomposerENS1_16block_id_wrapperIjLb1EEEEE10hipError_tT1_PNSt15iterator_traitsISI_E10value_typeET2_T3_PNSJ_ISO_E10value_typeET4_T5_PST_SU_PNS1_23onesweep_lookback_stateEbbT6_jjT7_P12ihipStream_tbENKUlT_T0_SI_SN_E_clIPsSD_S15_SD_EEDaS11_S12_SI_SN_EUlS11_E_NS1_11comp_targetILNS1_3genE5ELNS1_11target_archE942ELNS1_3gpuE9ELNS1_3repE0EEENS1_47radix_sort_onesweep_sort_config_static_selectorELNS0_4arch9wavefront6targetE1EEEvSI_
; %bb.0:
	.section	.rodata,"a",@progbits
	.p2align	6, 0x0
	.amdhsa_kernel _ZN7rocprim17ROCPRIM_400000_NS6detail17trampoline_kernelINS0_14default_configENS1_35radix_sort_onesweep_config_selectorIssEEZZNS1_29radix_sort_onesweep_iterationIS3_Lb0EN6thrust23THRUST_200600_302600_NS6detail15normal_iteratorINS8_10device_ptrIsEEEESD_SD_SD_jNS0_19identity_decomposerENS1_16block_id_wrapperIjLb1EEEEE10hipError_tT1_PNSt15iterator_traitsISI_E10value_typeET2_T3_PNSJ_ISO_E10value_typeET4_T5_PST_SU_PNS1_23onesweep_lookback_stateEbbT6_jjT7_P12ihipStream_tbENKUlT_T0_SI_SN_E_clIPsSD_S15_SD_EEDaS11_S12_SI_SN_EUlS11_E_NS1_11comp_targetILNS1_3genE5ELNS1_11target_archE942ELNS1_3gpuE9ELNS1_3repE0EEENS1_47radix_sort_onesweep_sort_config_static_selectorELNS0_4arch9wavefront6targetE1EEEvSI_
		.amdhsa_group_segment_fixed_size 0
		.amdhsa_private_segment_fixed_size 0
		.amdhsa_kernarg_size 88
		.amdhsa_user_sgpr_count 2
		.amdhsa_user_sgpr_dispatch_ptr 0
		.amdhsa_user_sgpr_queue_ptr 0
		.amdhsa_user_sgpr_kernarg_segment_ptr 1
		.amdhsa_user_sgpr_dispatch_id 0
		.amdhsa_user_sgpr_kernarg_preload_length 0
		.amdhsa_user_sgpr_kernarg_preload_offset 0
		.amdhsa_user_sgpr_private_segment_size 0
		.amdhsa_uses_dynamic_stack 0
		.amdhsa_enable_private_segment 0
		.amdhsa_system_sgpr_workgroup_id_x 1
		.amdhsa_system_sgpr_workgroup_id_y 0
		.amdhsa_system_sgpr_workgroup_id_z 0
		.amdhsa_system_sgpr_workgroup_info 0
		.amdhsa_system_vgpr_workitem_id 0
		.amdhsa_next_free_vgpr 1
		.amdhsa_next_free_sgpr 0
		.amdhsa_accum_offset 4
		.amdhsa_reserve_vcc 0
		.amdhsa_float_round_mode_32 0
		.amdhsa_float_round_mode_16_64 0
		.amdhsa_float_denorm_mode_32 3
		.amdhsa_float_denorm_mode_16_64 3
		.amdhsa_dx10_clamp 1
		.amdhsa_ieee_mode 1
		.amdhsa_fp16_overflow 0
		.amdhsa_tg_split 0
		.amdhsa_exception_fp_ieee_invalid_op 0
		.amdhsa_exception_fp_denorm_src 0
		.amdhsa_exception_fp_ieee_div_zero 0
		.amdhsa_exception_fp_ieee_overflow 0
		.amdhsa_exception_fp_ieee_underflow 0
		.amdhsa_exception_fp_ieee_inexact 0
		.amdhsa_exception_int_div_zero 0
	.end_amdhsa_kernel
	.section	.text._ZN7rocprim17ROCPRIM_400000_NS6detail17trampoline_kernelINS0_14default_configENS1_35radix_sort_onesweep_config_selectorIssEEZZNS1_29radix_sort_onesweep_iterationIS3_Lb0EN6thrust23THRUST_200600_302600_NS6detail15normal_iteratorINS8_10device_ptrIsEEEESD_SD_SD_jNS0_19identity_decomposerENS1_16block_id_wrapperIjLb1EEEEE10hipError_tT1_PNSt15iterator_traitsISI_E10value_typeET2_T3_PNSJ_ISO_E10value_typeET4_T5_PST_SU_PNS1_23onesweep_lookback_stateEbbT6_jjT7_P12ihipStream_tbENKUlT_T0_SI_SN_E_clIPsSD_S15_SD_EEDaS11_S12_SI_SN_EUlS11_E_NS1_11comp_targetILNS1_3genE5ELNS1_11target_archE942ELNS1_3gpuE9ELNS1_3repE0EEENS1_47radix_sort_onesweep_sort_config_static_selectorELNS0_4arch9wavefront6targetE1EEEvSI_,"axG",@progbits,_ZN7rocprim17ROCPRIM_400000_NS6detail17trampoline_kernelINS0_14default_configENS1_35radix_sort_onesweep_config_selectorIssEEZZNS1_29radix_sort_onesweep_iterationIS3_Lb0EN6thrust23THRUST_200600_302600_NS6detail15normal_iteratorINS8_10device_ptrIsEEEESD_SD_SD_jNS0_19identity_decomposerENS1_16block_id_wrapperIjLb1EEEEE10hipError_tT1_PNSt15iterator_traitsISI_E10value_typeET2_T3_PNSJ_ISO_E10value_typeET4_T5_PST_SU_PNS1_23onesweep_lookback_stateEbbT6_jjT7_P12ihipStream_tbENKUlT_T0_SI_SN_E_clIPsSD_S15_SD_EEDaS11_S12_SI_SN_EUlS11_E_NS1_11comp_targetILNS1_3genE5ELNS1_11target_archE942ELNS1_3gpuE9ELNS1_3repE0EEENS1_47radix_sort_onesweep_sort_config_static_selectorELNS0_4arch9wavefront6targetE1EEEvSI_,comdat
.Lfunc_end1662:
	.size	_ZN7rocprim17ROCPRIM_400000_NS6detail17trampoline_kernelINS0_14default_configENS1_35radix_sort_onesweep_config_selectorIssEEZZNS1_29radix_sort_onesweep_iterationIS3_Lb0EN6thrust23THRUST_200600_302600_NS6detail15normal_iteratorINS8_10device_ptrIsEEEESD_SD_SD_jNS0_19identity_decomposerENS1_16block_id_wrapperIjLb1EEEEE10hipError_tT1_PNSt15iterator_traitsISI_E10value_typeET2_T3_PNSJ_ISO_E10value_typeET4_T5_PST_SU_PNS1_23onesweep_lookback_stateEbbT6_jjT7_P12ihipStream_tbENKUlT_T0_SI_SN_E_clIPsSD_S15_SD_EEDaS11_S12_SI_SN_EUlS11_E_NS1_11comp_targetILNS1_3genE5ELNS1_11target_archE942ELNS1_3gpuE9ELNS1_3repE0EEENS1_47radix_sort_onesweep_sort_config_static_selectorELNS0_4arch9wavefront6targetE1EEEvSI_, .Lfunc_end1662-_ZN7rocprim17ROCPRIM_400000_NS6detail17trampoline_kernelINS0_14default_configENS1_35radix_sort_onesweep_config_selectorIssEEZZNS1_29radix_sort_onesweep_iterationIS3_Lb0EN6thrust23THRUST_200600_302600_NS6detail15normal_iteratorINS8_10device_ptrIsEEEESD_SD_SD_jNS0_19identity_decomposerENS1_16block_id_wrapperIjLb1EEEEE10hipError_tT1_PNSt15iterator_traitsISI_E10value_typeET2_T3_PNSJ_ISO_E10value_typeET4_T5_PST_SU_PNS1_23onesweep_lookback_stateEbbT6_jjT7_P12ihipStream_tbENKUlT_T0_SI_SN_E_clIPsSD_S15_SD_EEDaS11_S12_SI_SN_EUlS11_E_NS1_11comp_targetILNS1_3genE5ELNS1_11target_archE942ELNS1_3gpuE9ELNS1_3repE0EEENS1_47radix_sort_onesweep_sort_config_static_selectorELNS0_4arch9wavefront6targetE1EEEvSI_
                                        ; -- End function
	.set _ZN7rocprim17ROCPRIM_400000_NS6detail17trampoline_kernelINS0_14default_configENS1_35radix_sort_onesweep_config_selectorIssEEZZNS1_29radix_sort_onesweep_iterationIS3_Lb0EN6thrust23THRUST_200600_302600_NS6detail15normal_iteratorINS8_10device_ptrIsEEEESD_SD_SD_jNS0_19identity_decomposerENS1_16block_id_wrapperIjLb1EEEEE10hipError_tT1_PNSt15iterator_traitsISI_E10value_typeET2_T3_PNSJ_ISO_E10value_typeET4_T5_PST_SU_PNS1_23onesweep_lookback_stateEbbT6_jjT7_P12ihipStream_tbENKUlT_T0_SI_SN_E_clIPsSD_S15_SD_EEDaS11_S12_SI_SN_EUlS11_E_NS1_11comp_targetILNS1_3genE5ELNS1_11target_archE942ELNS1_3gpuE9ELNS1_3repE0EEENS1_47radix_sort_onesweep_sort_config_static_selectorELNS0_4arch9wavefront6targetE1EEEvSI_.num_vgpr, 0
	.set _ZN7rocprim17ROCPRIM_400000_NS6detail17trampoline_kernelINS0_14default_configENS1_35radix_sort_onesweep_config_selectorIssEEZZNS1_29radix_sort_onesweep_iterationIS3_Lb0EN6thrust23THRUST_200600_302600_NS6detail15normal_iteratorINS8_10device_ptrIsEEEESD_SD_SD_jNS0_19identity_decomposerENS1_16block_id_wrapperIjLb1EEEEE10hipError_tT1_PNSt15iterator_traitsISI_E10value_typeET2_T3_PNSJ_ISO_E10value_typeET4_T5_PST_SU_PNS1_23onesweep_lookback_stateEbbT6_jjT7_P12ihipStream_tbENKUlT_T0_SI_SN_E_clIPsSD_S15_SD_EEDaS11_S12_SI_SN_EUlS11_E_NS1_11comp_targetILNS1_3genE5ELNS1_11target_archE942ELNS1_3gpuE9ELNS1_3repE0EEENS1_47radix_sort_onesweep_sort_config_static_selectorELNS0_4arch9wavefront6targetE1EEEvSI_.num_agpr, 0
	.set _ZN7rocprim17ROCPRIM_400000_NS6detail17trampoline_kernelINS0_14default_configENS1_35radix_sort_onesweep_config_selectorIssEEZZNS1_29radix_sort_onesweep_iterationIS3_Lb0EN6thrust23THRUST_200600_302600_NS6detail15normal_iteratorINS8_10device_ptrIsEEEESD_SD_SD_jNS0_19identity_decomposerENS1_16block_id_wrapperIjLb1EEEEE10hipError_tT1_PNSt15iterator_traitsISI_E10value_typeET2_T3_PNSJ_ISO_E10value_typeET4_T5_PST_SU_PNS1_23onesweep_lookback_stateEbbT6_jjT7_P12ihipStream_tbENKUlT_T0_SI_SN_E_clIPsSD_S15_SD_EEDaS11_S12_SI_SN_EUlS11_E_NS1_11comp_targetILNS1_3genE5ELNS1_11target_archE942ELNS1_3gpuE9ELNS1_3repE0EEENS1_47radix_sort_onesweep_sort_config_static_selectorELNS0_4arch9wavefront6targetE1EEEvSI_.numbered_sgpr, 0
	.set _ZN7rocprim17ROCPRIM_400000_NS6detail17trampoline_kernelINS0_14default_configENS1_35radix_sort_onesweep_config_selectorIssEEZZNS1_29radix_sort_onesweep_iterationIS3_Lb0EN6thrust23THRUST_200600_302600_NS6detail15normal_iteratorINS8_10device_ptrIsEEEESD_SD_SD_jNS0_19identity_decomposerENS1_16block_id_wrapperIjLb1EEEEE10hipError_tT1_PNSt15iterator_traitsISI_E10value_typeET2_T3_PNSJ_ISO_E10value_typeET4_T5_PST_SU_PNS1_23onesweep_lookback_stateEbbT6_jjT7_P12ihipStream_tbENKUlT_T0_SI_SN_E_clIPsSD_S15_SD_EEDaS11_S12_SI_SN_EUlS11_E_NS1_11comp_targetILNS1_3genE5ELNS1_11target_archE942ELNS1_3gpuE9ELNS1_3repE0EEENS1_47radix_sort_onesweep_sort_config_static_selectorELNS0_4arch9wavefront6targetE1EEEvSI_.num_named_barrier, 0
	.set _ZN7rocprim17ROCPRIM_400000_NS6detail17trampoline_kernelINS0_14default_configENS1_35radix_sort_onesweep_config_selectorIssEEZZNS1_29radix_sort_onesweep_iterationIS3_Lb0EN6thrust23THRUST_200600_302600_NS6detail15normal_iteratorINS8_10device_ptrIsEEEESD_SD_SD_jNS0_19identity_decomposerENS1_16block_id_wrapperIjLb1EEEEE10hipError_tT1_PNSt15iterator_traitsISI_E10value_typeET2_T3_PNSJ_ISO_E10value_typeET4_T5_PST_SU_PNS1_23onesweep_lookback_stateEbbT6_jjT7_P12ihipStream_tbENKUlT_T0_SI_SN_E_clIPsSD_S15_SD_EEDaS11_S12_SI_SN_EUlS11_E_NS1_11comp_targetILNS1_3genE5ELNS1_11target_archE942ELNS1_3gpuE9ELNS1_3repE0EEENS1_47radix_sort_onesweep_sort_config_static_selectorELNS0_4arch9wavefront6targetE1EEEvSI_.private_seg_size, 0
	.set _ZN7rocprim17ROCPRIM_400000_NS6detail17trampoline_kernelINS0_14default_configENS1_35radix_sort_onesweep_config_selectorIssEEZZNS1_29radix_sort_onesweep_iterationIS3_Lb0EN6thrust23THRUST_200600_302600_NS6detail15normal_iteratorINS8_10device_ptrIsEEEESD_SD_SD_jNS0_19identity_decomposerENS1_16block_id_wrapperIjLb1EEEEE10hipError_tT1_PNSt15iterator_traitsISI_E10value_typeET2_T3_PNSJ_ISO_E10value_typeET4_T5_PST_SU_PNS1_23onesweep_lookback_stateEbbT6_jjT7_P12ihipStream_tbENKUlT_T0_SI_SN_E_clIPsSD_S15_SD_EEDaS11_S12_SI_SN_EUlS11_E_NS1_11comp_targetILNS1_3genE5ELNS1_11target_archE942ELNS1_3gpuE9ELNS1_3repE0EEENS1_47radix_sort_onesweep_sort_config_static_selectorELNS0_4arch9wavefront6targetE1EEEvSI_.uses_vcc, 0
	.set _ZN7rocprim17ROCPRIM_400000_NS6detail17trampoline_kernelINS0_14default_configENS1_35radix_sort_onesweep_config_selectorIssEEZZNS1_29radix_sort_onesweep_iterationIS3_Lb0EN6thrust23THRUST_200600_302600_NS6detail15normal_iteratorINS8_10device_ptrIsEEEESD_SD_SD_jNS0_19identity_decomposerENS1_16block_id_wrapperIjLb1EEEEE10hipError_tT1_PNSt15iterator_traitsISI_E10value_typeET2_T3_PNSJ_ISO_E10value_typeET4_T5_PST_SU_PNS1_23onesweep_lookback_stateEbbT6_jjT7_P12ihipStream_tbENKUlT_T0_SI_SN_E_clIPsSD_S15_SD_EEDaS11_S12_SI_SN_EUlS11_E_NS1_11comp_targetILNS1_3genE5ELNS1_11target_archE942ELNS1_3gpuE9ELNS1_3repE0EEENS1_47radix_sort_onesweep_sort_config_static_selectorELNS0_4arch9wavefront6targetE1EEEvSI_.uses_flat_scratch, 0
	.set _ZN7rocprim17ROCPRIM_400000_NS6detail17trampoline_kernelINS0_14default_configENS1_35radix_sort_onesweep_config_selectorIssEEZZNS1_29radix_sort_onesweep_iterationIS3_Lb0EN6thrust23THRUST_200600_302600_NS6detail15normal_iteratorINS8_10device_ptrIsEEEESD_SD_SD_jNS0_19identity_decomposerENS1_16block_id_wrapperIjLb1EEEEE10hipError_tT1_PNSt15iterator_traitsISI_E10value_typeET2_T3_PNSJ_ISO_E10value_typeET4_T5_PST_SU_PNS1_23onesweep_lookback_stateEbbT6_jjT7_P12ihipStream_tbENKUlT_T0_SI_SN_E_clIPsSD_S15_SD_EEDaS11_S12_SI_SN_EUlS11_E_NS1_11comp_targetILNS1_3genE5ELNS1_11target_archE942ELNS1_3gpuE9ELNS1_3repE0EEENS1_47radix_sort_onesweep_sort_config_static_selectorELNS0_4arch9wavefront6targetE1EEEvSI_.has_dyn_sized_stack, 0
	.set _ZN7rocprim17ROCPRIM_400000_NS6detail17trampoline_kernelINS0_14default_configENS1_35radix_sort_onesweep_config_selectorIssEEZZNS1_29radix_sort_onesweep_iterationIS3_Lb0EN6thrust23THRUST_200600_302600_NS6detail15normal_iteratorINS8_10device_ptrIsEEEESD_SD_SD_jNS0_19identity_decomposerENS1_16block_id_wrapperIjLb1EEEEE10hipError_tT1_PNSt15iterator_traitsISI_E10value_typeET2_T3_PNSJ_ISO_E10value_typeET4_T5_PST_SU_PNS1_23onesweep_lookback_stateEbbT6_jjT7_P12ihipStream_tbENKUlT_T0_SI_SN_E_clIPsSD_S15_SD_EEDaS11_S12_SI_SN_EUlS11_E_NS1_11comp_targetILNS1_3genE5ELNS1_11target_archE942ELNS1_3gpuE9ELNS1_3repE0EEENS1_47radix_sort_onesweep_sort_config_static_selectorELNS0_4arch9wavefront6targetE1EEEvSI_.has_recursion, 0
	.set _ZN7rocprim17ROCPRIM_400000_NS6detail17trampoline_kernelINS0_14default_configENS1_35radix_sort_onesweep_config_selectorIssEEZZNS1_29radix_sort_onesweep_iterationIS3_Lb0EN6thrust23THRUST_200600_302600_NS6detail15normal_iteratorINS8_10device_ptrIsEEEESD_SD_SD_jNS0_19identity_decomposerENS1_16block_id_wrapperIjLb1EEEEE10hipError_tT1_PNSt15iterator_traitsISI_E10value_typeET2_T3_PNSJ_ISO_E10value_typeET4_T5_PST_SU_PNS1_23onesweep_lookback_stateEbbT6_jjT7_P12ihipStream_tbENKUlT_T0_SI_SN_E_clIPsSD_S15_SD_EEDaS11_S12_SI_SN_EUlS11_E_NS1_11comp_targetILNS1_3genE5ELNS1_11target_archE942ELNS1_3gpuE9ELNS1_3repE0EEENS1_47radix_sort_onesweep_sort_config_static_selectorELNS0_4arch9wavefront6targetE1EEEvSI_.has_indirect_call, 0
	.section	.AMDGPU.csdata,"",@progbits
; Kernel info:
; codeLenInByte = 0
; TotalNumSgprs: 6
; NumVgprs: 0
; NumAgprs: 0
; TotalNumVgprs: 0
; ScratchSize: 0
; MemoryBound: 0
; FloatMode: 240
; IeeeMode: 1
; LDSByteSize: 0 bytes/workgroup (compile time only)
; SGPRBlocks: 0
; VGPRBlocks: 0
; NumSGPRsForWavesPerEU: 6
; NumVGPRsForWavesPerEU: 1
; AccumOffset: 4
; Occupancy: 8
; WaveLimiterHint : 0
; COMPUTE_PGM_RSRC2:SCRATCH_EN: 0
; COMPUTE_PGM_RSRC2:USER_SGPR: 2
; COMPUTE_PGM_RSRC2:TRAP_HANDLER: 0
; COMPUTE_PGM_RSRC2:TGID_X_EN: 1
; COMPUTE_PGM_RSRC2:TGID_Y_EN: 0
; COMPUTE_PGM_RSRC2:TGID_Z_EN: 0
; COMPUTE_PGM_RSRC2:TIDIG_COMP_CNT: 0
; COMPUTE_PGM_RSRC3_GFX90A:ACCUM_OFFSET: 0
; COMPUTE_PGM_RSRC3_GFX90A:TG_SPLIT: 0
	.section	.text._ZN7rocprim17ROCPRIM_400000_NS6detail17trampoline_kernelINS0_14default_configENS1_35radix_sort_onesweep_config_selectorIssEEZZNS1_29radix_sort_onesweep_iterationIS3_Lb0EN6thrust23THRUST_200600_302600_NS6detail15normal_iteratorINS8_10device_ptrIsEEEESD_SD_SD_jNS0_19identity_decomposerENS1_16block_id_wrapperIjLb1EEEEE10hipError_tT1_PNSt15iterator_traitsISI_E10value_typeET2_T3_PNSJ_ISO_E10value_typeET4_T5_PST_SU_PNS1_23onesweep_lookback_stateEbbT6_jjT7_P12ihipStream_tbENKUlT_T0_SI_SN_E_clIPsSD_S15_SD_EEDaS11_S12_SI_SN_EUlS11_E_NS1_11comp_targetILNS1_3genE2ELNS1_11target_archE906ELNS1_3gpuE6ELNS1_3repE0EEENS1_47radix_sort_onesweep_sort_config_static_selectorELNS0_4arch9wavefront6targetE1EEEvSI_,"axG",@progbits,_ZN7rocprim17ROCPRIM_400000_NS6detail17trampoline_kernelINS0_14default_configENS1_35radix_sort_onesweep_config_selectorIssEEZZNS1_29radix_sort_onesweep_iterationIS3_Lb0EN6thrust23THRUST_200600_302600_NS6detail15normal_iteratorINS8_10device_ptrIsEEEESD_SD_SD_jNS0_19identity_decomposerENS1_16block_id_wrapperIjLb1EEEEE10hipError_tT1_PNSt15iterator_traitsISI_E10value_typeET2_T3_PNSJ_ISO_E10value_typeET4_T5_PST_SU_PNS1_23onesweep_lookback_stateEbbT6_jjT7_P12ihipStream_tbENKUlT_T0_SI_SN_E_clIPsSD_S15_SD_EEDaS11_S12_SI_SN_EUlS11_E_NS1_11comp_targetILNS1_3genE2ELNS1_11target_archE906ELNS1_3gpuE6ELNS1_3repE0EEENS1_47radix_sort_onesweep_sort_config_static_selectorELNS0_4arch9wavefront6targetE1EEEvSI_,comdat
	.protected	_ZN7rocprim17ROCPRIM_400000_NS6detail17trampoline_kernelINS0_14default_configENS1_35radix_sort_onesweep_config_selectorIssEEZZNS1_29radix_sort_onesweep_iterationIS3_Lb0EN6thrust23THRUST_200600_302600_NS6detail15normal_iteratorINS8_10device_ptrIsEEEESD_SD_SD_jNS0_19identity_decomposerENS1_16block_id_wrapperIjLb1EEEEE10hipError_tT1_PNSt15iterator_traitsISI_E10value_typeET2_T3_PNSJ_ISO_E10value_typeET4_T5_PST_SU_PNS1_23onesweep_lookback_stateEbbT6_jjT7_P12ihipStream_tbENKUlT_T0_SI_SN_E_clIPsSD_S15_SD_EEDaS11_S12_SI_SN_EUlS11_E_NS1_11comp_targetILNS1_3genE2ELNS1_11target_archE906ELNS1_3gpuE6ELNS1_3repE0EEENS1_47radix_sort_onesweep_sort_config_static_selectorELNS0_4arch9wavefront6targetE1EEEvSI_ ; -- Begin function _ZN7rocprim17ROCPRIM_400000_NS6detail17trampoline_kernelINS0_14default_configENS1_35radix_sort_onesweep_config_selectorIssEEZZNS1_29radix_sort_onesweep_iterationIS3_Lb0EN6thrust23THRUST_200600_302600_NS6detail15normal_iteratorINS8_10device_ptrIsEEEESD_SD_SD_jNS0_19identity_decomposerENS1_16block_id_wrapperIjLb1EEEEE10hipError_tT1_PNSt15iterator_traitsISI_E10value_typeET2_T3_PNSJ_ISO_E10value_typeET4_T5_PST_SU_PNS1_23onesweep_lookback_stateEbbT6_jjT7_P12ihipStream_tbENKUlT_T0_SI_SN_E_clIPsSD_S15_SD_EEDaS11_S12_SI_SN_EUlS11_E_NS1_11comp_targetILNS1_3genE2ELNS1_11target_archE906ELNS1_3gpuE6ELNS1_3repE0EEENS1_47radix_sort_onesweep_sort_config_static_selectorELNS0_4arch9wavefront6targetE1EEEvSI_
	.globl	_ZN7rocprim17ROCPRIM_400000_NS6detail17trampoline_kernelINS0_14default_configENS1_35radix_sort_onesweep_config_selectorIssEEZZNS1_29radix_sort_onesweep_iterationIS3_Lb0EN6thrust23THRUST_200600_302600_NS6detail15normal_iteratorINS8_10device_ptrIsEEEESD_SD_SD_jNS0_19identity_decomposerENS1_16block_id_wrapperIjLb1EEEEE10hipError_tT1_PNSt15iterator_traitsISI_E10value_typeET2_T3_PNSJ_ISO_E10value_typeET4_T5_PST_SU_PNS1_23onesweep_lookback_stateEbbT6_jjT7_P12ihipStream_tbENKUlT_T0_SI_SN_E_clIPsSD_S15_SD_EEDaS11_S12_SI_SN_EUlS11_E_NS1_11comp_targetILNS1_3genE2ELNS1_11target_archE906ELNS1_3gpuE6ELNS1_3repE0EEENS1_47radix_sort_onesweep_sort_config_static_selectorELNS0_4arch9wavefront6targetE1EEEvSI_
	.p2align	8
	.type	_ZN7rocprim17ROCPRIM_400000_NS6detail17trampoline_kernelINS0_14default_configENS1_35radix_sort_onesweep_config_selectorIssEEZZNS1_29radix_sort_onesweep_iterationIS3_Lb0EN6thrust23THRUST_200600_302600_NS6detail15normal_iteratorINS8_10device_ptrIsEEEESD_SD_SD_jNS0_19identity_decomposerENS1_16block_id_wrapperIjLb1EEEEE10hipError_tT1_PNSt15iterator_traitsISI_E10value_typeET2_T3_PNSJ_ISO_E10value_typeET4_T5_PST_SU_PNS1_23onesweep_lookback_stateEbbT6_jjT7_P12ihipStream_tbENKUlT_T0_SI_SN_E_clIPsSD_S15_SD_EEDaS11_S12_SI_SN_EUlS11_E_NS1_11comp_targetILNS1_3genE2ELNS1_11target_archE906ELNS1_3gpuE6ELNS1_3repE0EEENS1_47radix_sort_onesweep_sort_config_static_selectorELNS0_4arch9wavefront6targetE1EEEvSI_,@function
_ZN7rocprim17ROCPRIM_400000_NS6detail17trampoline_kernelINS0_14default_configENS1_35radix_sort_onesweep_config_selectorIssEEZZNS1_29radix_sort_onesweep_iterationIS3_Lb0EN6thrust23THRUST_200600_302600_NS6detail15normal_iteratorINS8_10device_ptrIsEEEESD_SD_SD_jNS0_19identity_decomposerENS1_16block_id_wrapperIjLb1EEEEE10hipError_tT1_PNSt15iterator_traitsISI_E10value_typeET2_T3_PNSJ_ISO_E10value_typeET4_T5_PST_SU_PNS1_23onesweep_lookback_stateEbbT6_jjT7_P12ihipStream_tbENKUlT_T0_SI_SN_E_clIPsSD_S15_SD_EEDaS11_S12_SI_SN_EUlS11_E_NS1_11comp_targetILNS1_3genE2ELNS1_11target_archE906ELNS1_3gpuE6ELNS1_3repE0EEENS1_47radix_sort_onesweep_sort_config_static_selectorELNS0_4arch9wavefront6targetE1EEEvSI_: ; @_ZN7rocprim17ROCPRIM_400000_NS6detail17trampoline_kernelINS0_14default_configENS1_35radix_sort_onesweep_config_selectorIssEEZZNS1_29radix_sort_onesweep_iterationIS3_Lb0EN6thrust23THRUST_200600_302600_NS6detail15normal_iteratorINS8_10device_ptrIsEEEESD_SD_SD_jNS0_19identity_decomposerENS1_16block_id_wrapperIjLb1EEEEE10hipError_tT1_PNSt15iterator_traitsISI_E10value_typeET2_T3_PNSJ_ISO_E10value_typeET4_T5_PST_SU_PNS1_23onesweep_lookback_stateEbbT6_jjT7_P12ihipStream_tbENKUlT_T0_SI_SN_E_clIPsSD_S15_SD_EEDaS11_S12_SI_SN_EUlS11_E_NS1_11comp_targetILNS1_3genE2ELNS1_11target_archE906ELNS1_3gpuE6ELNS1_3repE0EEENS1_47radix_sort_onesweep_sort_config_static_selectorELNS0_4arch9wavefront6targetE1EEEvSI_
; %bb.0:
	.section	.rodata,"a",@progbits
	.p2align	6, 0x0
	.amdhsa_kernel _ZN7rocprim17ROCPRIM_400000_NS6detail17trampoline_kernelINS0_14default_configENS1_35radix_sort_onesweep_config_selectorIssEEZZNS1_29radix_sort_onesweep_iterationIS3_Lb0EN6thrust23THRUST_200600_302600_NS6detail15normal_iteratorINS8_10device_ptrIsEEEESD_SD_SD_jNS0_19identity_decomposerENS1_16block_id_wrapperIjLb1EEEEE10hipError_tT1_PNSt15iterator_traitsISI_E10value_typeET2_T3_PNSJ_ISO_E10value_typeET4_T5_PST_SU_PNS1_23onesweep_lookback_stateEbbT6_jjT7_P12ihipStream_tbENKUlT_T0_SI_SN_E_clIPsSD_S15_SD_EEDaS11_S12_SI_SN_EUlS11_E_NS1_11comp_targetILNS1_3genE2ELNS1_11target_archE906ELNS1_3gpuE6ELNS1_3repE0EEENS1_47radix_sort_onesweep_sort_config_static_selectorELNS0_4arch9wavefront6targetE1EEEvSI_
		.amdhsa_group_segment_fixed_size 0
		.amdhsa_private_segment_fixed_size 0
		.amdhsa_kernarg_size 88
		.amdhsa_user_sgpr_count 2
		.amdhsa_user_sgpr_dispatch_ptr 0
		.amdhsa_user_sgpr_queue_ptr 0
		.amdhsa_user_sgpr_kernarg_segment_ptr 1
		.amdhsa_user_sgpr_dispatch_id 0
		.amdhsa_user_sgpr_kernarg_preload_length 0
		.amdhsa_user_sgpr_kernarg_preload_offset 0
		.amdhsa_user_sgpr_private_segment_size 0
		.amdhsa_uses_dynamic_stack 0
		.amdhsa_enable_private_segment 0
		.amdhsa_system_sgpr_workgroup_id_x 1
		.amdhsa_system_sgpr_workgroup_id_y 0
		.amdhsa_system_sgpr_workgroup_id_z 0
		.amdhsa_system_sgpr_workgroup_info 0
		.amdhsa_system_vgpr_workitem_id 0
		.amdhsa_next_free_vgpr 1
		.amdhsa_next_free_sgpr 0
		.amdhsa_accum_offset 4
		.amdhsa_reserve_vcc 0
		.amdhsa_float_round_mode_32 0
		.amdhsa_float_round_mode_16_64 0
		.amdhsa_float_denorm_mode_32 3
		.amdhsa_float_denorm_mode_16_64 3
		.amdhsa_dx10_clamp 1
		.amdhsa_ieee_mode 1
		.amdhsa_fp16_overflow 0
		.amdhsa_tg_split 0
		.amdhsa_exception_fp_ieee_invalid_op 0
		.amdhsa_exception_fp_denorm_src 0
		.amdhsa_exception_fp_ieee_div_zero 0
		.amdhsa_exception_fp_ieee_overflow 0
		.amdhsa_exception_fp_ieee_underflow 0
		.amdhsa_exception_fp_ieee_inexact 0
		.amdhsa_exception_int_div_zero 0
	.end_amdhsa_kernel
	.section	.text._ZN7rocprim17ROCPRIM_400000_NS6detail17trampoline_kernelINS0_14default_configENS1_35radix_sort_onesweep_config_selectorIssEEZZNS1_29radix_sort_onesweep_iterationIS3_Lb0EN6thrust23THRUST_200600_302600_NS6detail15normal_iteratorINS8_10device_ptrIsEEEESD_SD_SD_jNS0_19identity_decomposerENS1_16block_id_wrapperIjLb1EEEEE10hipError_tT1_PNSt15iterator_traitsISI_E10value_typeET2_T3_PNSJ_ISO_E10value_typeET4_T5_PST_SU_PNS1_23onesweep_lookback_stateEbbT6_jjT7_P12ihipStream_tbENKUlT_T0_SI_SN_E_clIPsSD_S15_SD_EEDaS11_S12_SI_SN_EUlS11_E_NS1_11comp_targetILNS1_3genE2ELNS1_11target_archE906ELNS1_3gpuE6ELNS1_3repE0EEENS1_47radix_sort_onesweep_sort_config_static_selectorELNS0_4arch9wavefront6targetE1EEEvSI_,"axG",@progbits,_ZN7rocprim17ROCPRIM_400000_NS6detail17trampoline_kernelINS0_14default_configENS1_35radix_sort_onesweep_config_selectorIssEEZZNS1_29radix_sort_onesweep_iterationIS3_Lb0EN6thrust23THRUST_200600_302600_NS6detail15normal_iteratorINS8_10device_ptrIsEEEESD_SD_SD_jNS0_19identity_decomposerENS1_16block_id_wrapperIjLb1EEEEE10hipError_tT1_PNSt15iterator_traitsISI_E10value_typeET2_T3_PNSJ_ISO_E10value_typeET4_T5_PST_SU_PNS1_23onesweep_lookback_stateEbbT6_jjT7_P12ihipStream_tbENKUlT_T0_SI_SN_E_clIPsSD_S15_SD_EEDaS11_S12_SI_SN_EUlS11_E_NS1_11comp_targetILNS1_3genE2ELNS1_11target_archE906ELNS1_3gpuE6ELNS1_3repE0EEENS1_47radix_sort_onesweep_sort_config_static_selectorELNS0_4arch9wavefront6targetE1EEEvSI_,comdat
.Lfunc_end1663:
	.size	_ZN7rocprim17ROCPRIM_400000_NS6detail17trampoline_kernelINS0_14default_configENS1_35radix_sort_onesweep_config_selectorIssEEZZNS1_29radix_sort_onesweep_iterationIS3_Lb0EN6thrust23THRUST_200600_302600_NS6detail15normal_iteratorINS8_10device_ptrIsEEEESD_SD_SD_jNS0_19identity_decomposerENS1_16block_id_wrapperIjLb1EEEEE10hipError_tT1_PNSt15iterator_traitsISI_E10value_typeET2_T3_PNSJ_ISO_E10value_typeET4_T5_PST_SU_PNS1_23onesweep_lookback_stateEbbT6_jjT7_P12ihipStream_tbENKUlT_T0_SI_SN_E_clIPsSD_S15_SD_EEDaS11_S12_SI_SN_EUlS11_E_NS1_11comp_targetILNS1_3genE2ELNS1_11target_archE906ELNS1_3gpuE6ELNS1_3repE0EEENS1_47radix_sort_onesweep_sort_config_static_selectorELNS0_4arch9wavefront6targetE1EEEvSI_, .Lfunc_end1663-_ZN7rocprim17ROCPRIM_400000_NS6detail17trampoline_kernelINS0_14default_configENS1_35radix_sort_onesweep_config_selectorIssEEZZNS1_29radix_sort_onesweep_iterationIS3_Lb0EN6thrust23THRUST_200600_302600_NS6detail15normal_iteratorINS8_10device_ptrIsEEEESD_SD_SD_jNS0_19identity_decomposerENS1_16block_id_wrapperIjLb1EEEEE10hipError_tT1_PNSt15iterator_traitsISI_E10value_typeET2_T3_PNSJ_ISO_E10value_typeET4_T5_PST_SU_PNS1_23onesweep_lookback_stateEbbT6_jjT7_P12ihipStream_tbENKUlT_T0_SI_SN_E_clIPsSD_S15_SD_EEDaS11_S12_SI_SN_EUlS11_E_NS1_11comp_targetILNS1_3genE2ELNS1_11target_archE906ELNS1_3gpuE6ELNS1_3repE0EEENS1_47radix_sort_onesweep_sort_config_static_selectorELNS0_4arch9wavefront6targetE1EEEvSI_
                                        ; -- End function
	.set _ZN7rocprim17ROCPRIM_400000_NS6detail17trampoline_kernelINS0_14default_configENS1_35radix_sort_onesweep_config_selectorIssEEZZNS1_29radix_sort_onesweep_iterationIS3_Lb0EN6thrust23THRUST_200600_302600_NS6detail15normal_iteratorINS8_10device_ptrIsEEEESD_SD_SD_jNS0_19identity_decomposerENS1_16block_id_wrapperIjLb1EEEEE10hipError_tT1_PNSt15iterator_traitsISI_E10value_typeET2_T3_PNSJ_ISO_E10value_typeET4_T5_PST_SU_PNS1_23onesweep_lookback_stateEbbT6_jjT7_P12ihipStream_tbENKUlT_T0_SI_SN_E_clIPsSD_S15_SD_EEDaS11_S12_SI_SN_EUlS11_E_NS1_11comp_targetILNS1_3genE2ELNS1_11target_archE906ELNS1_3gpuE6ELNS1_3repE0EEENS1_47radix_sort_onesweep_sort_config_static_selectorELNS0_4arch9wavefront6targetE1EEEvSI_.num_vgpr, 0
	.set _ZN7rocprim17ROCPRIM_400000_NS6detail17trampoline_kernelINS0_14default_configENS1_35radix_sort_onesweep_config_selectorIssEEZZNS1_29radix_sort_onesweep_iterationIS3_Lb0EN6thrust23THRUST_200600_302600_NS6detail15normal_iteratorINS8_10device_ptrIsEEEESD_SD_SD_jNS0_19identity_decomposerENS1_16block_id_wrapperIjLb1EEEEE10hipError_tT1_PNSt15iterator_traitsISI_E10value_typeET2_T3_PNSJ_ISO_E10value_typeET4_T5_PST_SU_PNS1_23onesweep_lookback_stateEbbT6_jjT7_P12ihipStream_tbENKUlT_T0_SI_SN_E_clIPsSD_S15_SD_EEDaS11_S12_SI_SN_EUlS11_E_NS1_11comp_targetILNS1_3genE2ELNS1_11target_archE906ELNS1_3gpuE6ELNS1_3repE0EEENS1_47radix_sort_onesweep_sort_config_static_selectorELNS0_4arch9wavefront6targetE1EEEvSI_.num_agpr, 0
	.set _ZN7rocprim17ROCPRIM_400000_NS6detail17trampoline_kernelINS0_14default_configENS1_35radix_sort_onesweep_config_selectorIssEEZZNS1_29radix_sort_onesweep_iterationIS3_Lb0EN6thrust23THRUST_200600_302600_NS6detail15normal_iteratorINS8_10device_ptrIsEEEESD_SD_SD_jNS0_19identity_decomposerENS1_16block_id_wrapperIjLb1EEEEE10hipError_tT1_PNSt15iterator_traitsISI_E10value_typeET2_T3_PNSJ_ISO_E10value_typeET4_T5_PST_SU_PNS1_23onesweep_lookback_stateEbbT6_jjT7_P12ihipStream_tbENKUlT_T0_SI_SN_E_clIPsSD_S15_SD_EEDaS11_S12_SI_SN_EUlS11_E_NS1_11comp_targetILNS1_3genE2ELNS1_11target_archE906ELNS1_3gpuE6ELNS1_3repE0EEENS1_47radix_sort_onesweep_sort_config_static_selectorELNS0_4arch9wavefront6targetE1EEEvSI_.numbered_sgpr, 0
	.set _ZN7rocprim17ROCPRIM_400000_NS6detail17trampoline_kernelINS0_14default_configENS1_35radix_sort_onesweep_config_selectorIssEEZZNS1_29radix_sort_onesweep_iterationIS3_Lb0EN6thrust23THRUST_200600_302600_NS6detail15normal_iteratorINS8_10device_ptrIsEEEESD_SD_SD_jNS0_19identity_decomposerENS1_16block_id_wrapperIjLb1EEEEE10hipError_tT1_PNSt15iterator_traitsISI_E10value_typeET2_T3_PNSJ_ISO_E10value_typeET4_T5_PST_SU_PNS1_23onesweep_lookback_stateEbbT6_jjT7_P12ihipStream_tbENKUlT_T0_SI_SN_E_clIPsSD_S15_SD_EEDaS11_S12_SI_SN_EUlS11_E_NS1_11comp_targetILNS1_3genE2ELNS1_11target_archE906ELNS1_3gpuE6ELNS1_3repE0EEENS1_47radix_sort_onesweep_sort_config_static_selectorELNS0_4arch9wavefront6targetE1EEEvSI_.num_named_barrier, 0
	.set _ZN7rocprim17ROCPRIM_400000_NS6detail17trampoline_kernelINS0_14default_configENS1_35radix_sort_onesweep_config_selectorIssEEZZNS1_29radix_sort_onesweep_iterationIS3_Lb0EN6thrust23THRUST_200600_302600_NS6detail15normal_iteratorINS8_10device_ptrIsEEEESD_SD_SD_jNS0_19identity_decomposerENS1_16block_id_wrapperIjLb1EEEEE10hipError_tT1_PNSt15iterator_traitsISI_E10value_typeET2_T3_PNSJ_ISO_E10value_typeET4_T5_PST_SU_PNS1_23onesweep_lookback_stateEbbT6_jjT7_P12ihipStream_tbENKUlT_T0_SI_SN_E_clIPsSD_S15_SD_EEDaS11_S12_SI_SN_EUlS11_E_NS1_11comp_targetILNS1_3genE2ELNS1_11target_archE906ELNS1_3gpuE6ELNS1_3repE0EEENS1_47radix_sort_onesweep_sort_config_static_selectorELNS0_4arch9wavefront6targetE1EEEvSI_.private_seg_size, 0
	.set _ZN7rocprim17ROCPRIM_400000_NS6detail17trampoline_kernelINS0_14default_configENS1_35radix_sort_onesweep_config_selectorIssEEZZNS1_29radix_sort_onesweep_iterationIS3_Lb0EN6thrust23THRUST_200600_302600_NS6detail15normal_iteratorINS8_10device_ptrIsEEEESD_SD_SD_jNS0_19identity_decomposerENS1_16block_id_wrapperIjLb1EEEEE10hipError_tT1_PNSt15iterator_traitsISI_E10value_typeET2_T3_PNSJ_ISO_E10value_typeET4_T5_PST_SU_PNS1_23onesweep_lookback_stateEbbT6_jjT7_P12ihipStream_tbENKUlT_T0_SI_SN_E_clIPsSD_S15_SD_EEDaS11_S12_SI_SN_EUlS11_E_NS1_11comp_targetILNS1_3genE2ELNS1_11target_archE906ELNS1_3gpuE6ELNS1_3repE0EEENS1_47radix_sort_onesweep_sort_config_static_selectorELNS0_4arch9wavefront6targetE1EEEvSI_.uses_vcc, 0
	.set _ZN7rocprim17ROCPRIM_400000_NS6detail17trampoline_kernelINS0_14default_configENS1_35radix_sort_onesweep_config_selectorIssEEZZNS1_29radix_sort_onesweep_iterationIS3_Lb0EN6thrust23THRUST_200600_302600_NS6detail15normal_iteratorINS8_10device_ptrIsEEEESD_SD_SD_jNS0_19identity_decomposerENS1_16block_id_wrapperIjLb1EEEEE10hipError_tT1_PNSt15iterator_traitsISI_E10value_typeET2_T3_PNSJ_ISO_E10value_typeET4_T5_PST_SU_PNS1_23onesweep_lookback_stateEbbT6_jjT7_P12ihipStream_tbENKUlT_T0_SI_SN_E_clIPsSD_S15_SD_EEDaS11_S12_SI_SN_EUlS11_E_NS1_11comp_targetILNS1_3genE2ELNS1_11target_archE906ELNS1_3gpuE6ELNS1_3repE0EEENS1_47radix_sort_onesweep_sort_config_static_selectorELNS0_4arch9wavefront6targetE1EEEvSI_.uses_flat_scratch, 0
	.set _ZN7rocprim17ROCPRIM_400000_NS6detail17trampoline_kernelINS0_14default_configENS1_35radix_sort_onesweep_config_selectorIssEEZZNS1_29radix_sort_onesweep_iterationIS3_Lb0EN6thrust23THRUST_200600_302600_NS6detail15normal_iteratorINS8_10device_ptrIsEEEESD_SD_SD_jNS0_19identity_decomposerENS1_16block_id_wrapperIjLb1EEEEE10hipError_tT1_PNSt15iterator_traitsISI_E10value_typeET2_T3_PNSJ_ISO_E10value_typeET4_T5_PST_SU_PNS1_23onesweep_lookback_stateEbbT6_jjT7_P12ihipStream_tbENKUlT_T0_SI_SN_E_clIPsSD_S15_SD_EEDaS11_S12_SI_SN_EUlS11_E_NS1_11comp_targetILNS1_3genE2ELNS1_11target_archE906ELNS1_3gpuE6ELNS1_3repE0EEENS1_47radix_sort_onesweep_sort_config_static_selectorELNS0_4arch9wavefront6targetE1EEEvSI_.has_dyn_sized_stack, 0
	.set _ZN7rocprim17ROCPRIM_400000_NS6detail17trampoline_kernelINS0_14default_configENS1_35radix_sort_onesweep_config_selectorIssEEZZNS1_29radix_sort_onesweep_iterationIS3_Lb0EN6thrust23THRUST_200600_302600_NS6detail15normal_iteratorINS8_10device_ptrIsEEEESD_SD_SD_jNS0_19identity_decomposerENS1_16block_id_wrapperIjLb1EEEEE10hipError_tT1_PNSt15iterator_traitsISI_E10value_typeET2_T3_PNSJ_ISO_E10value_typeET4_T5_PST_SU_PNS1_23onesweep_lookback_stateEbbT6_jjT7_P12ihipStream_tbENKUlT_T0_SI_SN_E_clIPsSD_S15_SD_EEDaS11_S12_SI_SN_EUlS11_E_NS1_11comp_targetILNS1_3genE2ELNS1_11target_archE906ELNS1_3gpuE6ELNS1_3repE0EEENS1_47radix_sort_onesweep_sort_config_static_selectorELNS0_4arch9wavefront6targetE1EEEvSI_.has_recursion, 0
	.set _ZN7rocprim17ROCPRIM_400000_NS6detail17trampoline_kernelINS0_14default_configENS1_35radix_sort_onesweep_config_selectorIssEEZZNS1_29radix_sort_onesweep_iterationIS3_Lb0EN6thrust23THRUST_200600_302600_NS6detail15normal_iteratorINS8_10device_ptrIsEEEESD_SD_SD_jNS0_19identity_decomposerENS1_16block_id_wrapperIjLb1EEEEE10hipError_tT1_PNSt15iterator_traitsISI_E10value_typeET2_T3_PNSJ_ISO_E10value_typeET4_T5_PST_SU_PNS1_23onesweep_lookback_stateEbbT6_jjT7_P12ihipStream_tbENKUlT_T0_SI_SN_E_clIPsSD_S15_SD_EEDaS11_S12_SI_SN_EUlS11_E_NS1_11comp_targetILNS1_3genE2ELNS1_11target_archE906ELNS1_3gpuE6ELNS1_3repE0EEENS1_47radix_sort_onesweep_sort_config_static_selectorELNS0_4arch9wavefront6targetE1EEEvSI_.has_indirect_call, 0
	.section	.AMDGPU.csdata,"",@progbits
; Kernel info:
; codeLenInByte = 0
; TotalNumSgprs: 6
; NumVgprs: 0
; NumAgprs: 0
; TotalNumVgprs: 0
; ScratchSize: 0
; MemoryBound: 0
; FloatMode: 240
; IeeeMode: 1
; LDSByteSize: 0 bytes/workgroup (compile time only)
; SGPRBlocks: 0
; VGPRBlocks: 0
; NumSGPRsForWavesPerEU: 6
; NumVGPRsForWavesPerEU: 1
; AccumOffset: 4
; Occupancy: 8
; WaveLimiterHint : 0
; COMPUTE_PGM_RSRC2:SCRATCH_EN: 0
; COMPUTE_PGM_RSRC2:USER_SGPR: 2
; COMPUTE_PGM_RSRC2:TRAP_HANDLER: 0
; COMPUTE_PGM_RSRC2:TGID_X_EN: 1
; COMPUTE_PGM_RSRC2:TGID_Y_EN: 0
; COMPUTE_PGM_RSRC2:TGID_Z_EN: 0
; COMPUTE_PGM_RSRC2:TIDIG_COMP_CNT: 0
; COMPUTE_PGM_RSRC3_GFX90A:ACCUM_OFFSET: 0
; COMPUTE_PGM_RSRC3_GFX90A:TG_SPLIT: 0
	.section	.text._ZN7rocprim17ROCPRIM_400000_NS6detail17trampoline_kernelINS0_14default_configENS1_35radix_sort_onesweep_config_selectorIssEEZZNS1_29radix_sort_onesweep_iterationIS3_Lb0EN6thrust23THRUST_200600_302600_NS6detail15normal_iteratorINS8_10device_ptrIsEEEESD_SD_SD_jNS0_19identity_decomposerENS1_16block_id_wrapperIjLb1EEEEE10hipError_tT1_PNSt15iterator_traitsISI_E10value_typeET2_T3_PNSJ_ISO_E10value_typeET4_T5_PST_SU_PNS1_23onesweep_lookback_stateEbbT6_jjT7_P12ihipStream_tbENKUlT_T0_SI_SN_E_clIPsSD_S15_SD_EEDaS11_S12_SI_SN_EUlS11_E_NS1_11comp_targetILNS1_3genE4ELNS1_11target_archE910ELNS1_3gpuE8ELNS1_3repE0EEENS1_47radix_sort_onesweep_sort_config_static_selectorELNS0_4arch9wavefront6targetE1EEEvSI_,"axG",@progbits,_ZN7rocprim17ROCPRIM_400000_NS6detail17trampoline_kernelINS0_14default_configENS1_35radix_sort_onesweep_config_selectorIssEEZZNS1_29radix_sort_onesweep_iterationIS3_Lb0EN6thrust23THRUST_200600_302600_NS6detail15normal_iteratorINS8_10device_ptrIsEEEESD_SD_SD_jNS0_19identity_decomposerENS1_16block_id_wrapperIjLb1EEEEE10hipError_tT1_PNSt15iterator_traitsISI_E10value_typeET2_T3_PNSJ_ISO_E10value_typeET4_T5_PST_SU_PNS1_23onesweep_lookback_stateEbbT6_jjT7_P12ihipStream_tbENKUlT_T0_SI_SN_E_clIPsSD_S15_SD_EEDaS11_S12_SI_SN_EUlS11_E_NS1_11comp_targetILNS1_3genE4ELNS1_11target_archE910ELNS1_3gpuE8ELNS1_3repE0EEENS1_47radix_sort_onesweep_sort_config_static_selectorELNS0_4arch9wavefront6targetE1EEEvSI_,comdat
	.protected	_ZN7rocprim17ROCPRIM_400000_NS6detail17trampoline_kernelINS0_14default_configENS1_35radix_sort_onesweep_config_selectorIssEEZZNS1_29radix_sort_onesweep_iterationIS3_Lb0EN6thrust23THRUST_200600_302600_NS6detail15normal_iteratorINS8_10device_ptrIsEEEESD_SD_SD_jNS0_19identity_decomposerENS1_16block_id_wrapperIjLb1EEEEE10hipError_tT1_PNSt15iterator_traitsISI_E10value_typeET2_T3_PNSJ_ISO_E10value_typeET4_T5_PST_SU_PNS1_23onesweep_lookback_stateEbbT6_jjT7_P12ihipStream_tbENKUlT_T0_SI_SN_E_clIPsSD_S15_SD_EEDaS11_S12_SI_SN_EUlS11_E_NS1_11comp_targetILNS1_3genE4ELNS1_11target_archE910ELNS1_3gpuE8ELNS1_3repE0EEENS1_47radix_sort_onesweep_sort_config_static_selectorELNS0_4arch9wavefront6targetE1EEEvSI_ ; -- Begin function _ZN7rocprim17ROCPRIM_400000_NS6detail17trampoline_kernelINS0_14default_configENS1_35radix_sort_onesweep_config_selectorIssEEZZNS1_29radix_sort_onesweep_iterationIS3_Lb0EN6thrust23THRUST_200600_302600_NS6detail15normal_iteratorINS8_10device_ptrIsEEEESD_SD_SD_jNS0_19identity_decomposerENS1_16block_id_wrapperIjLb1EEEEE10hipError_tT1_PNSt15iterator_traitsISI_E10value_typeET2_T3_PNSJ_ISO_E10value_typeET4_T5_PST_SU_PNS1_23onesweep_lookback_stateEbbT6_jjT7_P12ihipStream_tbENKUlT_T0_SI_SN_E_clIPsSD_S15_SD_EEDaS11_S12_SI_SN_EUlS11_E_NS1_11comp_targetILNS1_3genE4ELNS1_11target_archE910ELNS1_3gpuE8ELNS1_3repE0EEENS1_47radix_sort_onesweep_sort_config_static_selectorELNS0_4arch9wavefront6targetE1EEEvSI_
	.globl	_ZN7rocprim17ROCPRIM_400000_NS6detail17trampoline_kernelINS0_14default_configENS1_35radix_sort_onesweep_config_selectorIssEEZZNS1_29radix_sort_onesweep_iterationIS3_Lb0EN6thrust23THRUST_200600_302600_NS6detail15normal_iteratorINS8_10device_ptrIsEEEESD_SD_SD_jNS0_19identity_decomposerENS1_16block_id_wrapperIjLb1EEEEE10hipError_tT1_PNSt15iterator_traitsISI_E10value_typeET2_T3_PNSJ_ISO_E10value_typeET4_T5_PST_SU_PNS1_23onesweep_lookback_stateEbbT6_jjT7_P12ihipStream_tbENKUlT_T0_SI_SN_E_clIPsSD_S15_SD_EEDaS11_S12_SI_SN_EUlS11_E_NS1_11comp_targetILNS1_3genE4ELNS1_11target_archE910ELNS1_3gpuE8ELNS1_3repE0EEENS1_47radix_sort_onesweep_sort_config_static_selectorELNS0_4arch9wavefront6targetE1EEEvSI_
	.p2align	8
	.type	_ZN7rocprim17ROCPRIM_400000_NS6detail17trampoline_kernelINS0_14default_configENS1_35radix_sort_onesweep_config_selectorIssEEZZNS1_29radix_sort_onesweep_iterationIS3_Lb0EN6thrust23THRUST_200600_302600_NS6detail15normal_iteratorINS8_10device_ptrIsEEEESD_SD_SD_jNS0_19identity_decomposerENS1_16block_id_wrapperIjLb1EEEEE10hipError_tT1_PNSt15iterator_traitsISI_E10value_typeET2_T3_PNSJ_ISO_E10value_typeET4_T5_PST_SU_PNS1_23onesweep_lookback_stateEbbT6_jjT7_P12ihipStream_tbENKUlT_T0_SI_SN_E_clIPsSD_S15_SD_EEDaS11_S12_SI_SN_EUlS11_E_NS1_11comp_targetILNS1_3genE4ELNS1_11target_archE910ELNS1_3gpuE8ELNS1_3repE0EEENS1_47radix_sort_onesweep_sort_config_static_selectorELNS0_4arch9wavefront6targetE1EEEvSI_,@function
_ZN7rocprim17ROCPRIM_400000_NS6detail17trampoline_kernelINS0_14default_configENS1_35radix_sort_onesweep_config_selectorIssEEZZNS1_29radix_sort_onesweep_iterationIS3_Lb0EN6thrust23THRUST_200600_302600_NS6detail15normal_iteratorINS8_10device_ptrIsEEEESD_SD_SD_jNS0_19identity_decomposerENS1_16block_id_wrapperIjLb1EEEEE10hipError_tT1_PNSt15iterator_traitsISI_E10value_typeET2_T3_PNSJ_ISO_E10value_typeET4_T5_PST_SU_PNS1_23onesweep_lookback_stateEbbT6_jjT7_P12ihipStream_tbENKUlT_T0_SI_SN_E_clIPsSD_S15_SD_EEDaS11_S12_SI_SN_EUlS11_E_NS1_11comp_targetILNS1_3genE4ELNS1_11target_archE910ELNS1_3gpuE8ELNS1_3repE0EEENS1_47radix_sort_onesweep_sort_config_static_selectorELNS0_4arch9wavefront6targetE1EEEvSI_: ; @_ZN7rocprim17ROCPRIM_400000_NS6detail17trampoline_kernelINS0_14default_configENS1_35radix_sort_onesweep_config_selectorIssEEZZNS1_29radix_sort_onesweep_iterationIS3_Lb0EN6thrust23THRUST_200600_302600_NS6detail15normal_iteratorINS8_10device_ptrIsEEEESD_SD_SD_jNS0_19identity_decomposerENS1_16block_id_wrapperIjLb1EEEEE10hipError_tT1_PNSt15iterator_traitsISI_E10value_typeET2_T3_PNSJ_ISO_E10value_typeET4_T5_PST_SU_PNS1_23onesweep_lookback_stateEbbT6_jjT7_P12ihipStream_tbENKUlT_T0_SI_SN_E_clIPsSD_S15_SD_EEDaS11_S12_SI_SN_EUlS11_E_NS1_11comp_targetILNS1_3genE4ELNS1_11target_archE910ELNS1_3gpuE8ELNS1_3repE0EEENS1_47radix_sort_onesweep_sort_config_static_selectorELNS0_4arch9wavefront6targetE1EEEvSI_
; %bb.0:
	.section	.rodata,"a",@progbits
	.p2align	6, 0x0
	.amdhsa_kernel _ZN7rocprim17ROCPRIM_400000_NS6detail17trampoline_kernelINS0_14default_configENS1_35radix_sort_onesweep_config_selectorIssEEZZNS1_29radix_sort_onesweep_iterationIS3_Lb0EN6thrust23THRUST_200600_302600_NS6detail15normal_iteratorINS8_10device_ptrIsEEEESD_SD_SD_jNS0_19identity_decomposerENS1_16block_id_wrapperIjLb1EEEEE10hipError_tT1_PNSt15iterator_traitsISI_E10value_typeET2_T3_PNSJ_ISO_E10value_typeET4_T5_PST_SU_PNS1_23onesweep_lookback_stateEbbT6_jjT7_P12ihipStream_tbENKUlT_T0_SI_SN_E_clIPsSD_S15_SD_EEDaS11_S12_SI_SN_EUlS11_E_NS1_11comp_targetILNS1_3genE4ELNS1_11target_archE910ELNS1_3gpuE8ELNS1_3repE0EEENS1_47radix_sort_onesweep_sort_config_static_selectorELNS0_4arch9wavefront6targetE1EEEvSI_
		.amdhsa_group_segment_fixed_size 0
		.amdhsa_private_segment_fixed_size 0
		.amdhsa_kernarg_size 88
		.amdhsa_user_sgpr_count 2
		.amdhsa_user_sgpr_dispatch_ptr 0
		.amdhsa_user_sgpr_queue_ptr 0
		.amdhsa_user_sgpr_kernarg_segment_ptr 1
		.amdhsa_user_sgpr_dispatch_id 0
		.amdhsa_user_sgpr_kernarg_preload_length 0
		.amdhsa_user_sgpr_kernarg_preload_offset 0
		.amdhsa_user_sgpr_private_segment_size 0
		.amdhsa_uses_dynamic_stack 0
		.amdhsa_enable_private_segment 0
		.amdhsa_system_sgpr_workgroup_id_x 1
		.amdhsa_system_sgpr_workgroup_id_y 0
		.amdhsa_system_sgpr_workgroup_id_z 0
		.amdhsa_system_sgpr_workgroup_info 0
		.amdhsa_system_vgpr_workitem_id 0
		.amdhsa_next_free_vgpr 1
		.amdhsa_next_free_sgpr 0
		.amdhsa_accum_offset 4
		.amdhsa_reserve_vcc 0
		.amdhsa_float_round_mode_32 0
		.amdhsa_float_round_mode_16_64 0
		.amdhsa_float_denorm_mode_32 3
		.amdhsa_float_denorm_mode_16_64 3
		.amdhsa_dx10_clamp 1
		.amdhsa_ieee_mode 1
		.amdhsa_fp16_overflow 0
		.amdhsa_tg_split 0
		.amdhsa_exception_fp_ieee_invalid_op 0
		.amdhsa_exception_fp_denorm_src 0
		.amdhsa_exception_fp_ieee_div_zero 0
		.amdhsa_exception_fp_ieee_overflow 0
		.amdhsa_exception_fp_ieee_underflow 0
		.amdhsa_exception_fp_ieee_inexact 0
		.amdhsa_exception_int_div_zero 0
	.end_amdhsa_kernel
	.section	.text._ZN7rocprim17ROCPRIM_400000_NS6detail17trampoline_kernelINS0_14default_configENS1_35radix_sort_onesweep_config_selectorIssEEZZNS1_29radix_sort_onesweep_iterationIS3_Lb0EN6thrust23THRUST_200600_302600_NS6detail15normal_iteratorINS8_10device_ptrIsEEEESD_SD_SD_jNS0_19identity_decomposerENS1_16block_id_wrapperIjLb1EEEEE10hipError_tT1_PNSt15iterator_traitsISI_E10value_typeET2_T3_PNSJ_ISO_E10value_typeET4_T5_PST_SU_PNS1_23onesweep_lookback_stateEbbT6_jjT7_P12ihipStream_tbENKUlT_T0_SI_SN_E_clIPsSD_S15_SD_EEDaS11_S12_SI_SN_EUlS11_E_NS1_11comp_targetILNS1_3genE4ELNS1_11target_archE910ELNS1_3gpuE8ELNS1_3repE0EEENS1_47radix_sort_onesweep_sort_config_static_selectorELNS0_4arch9wavefront6targetE1EEEvSI_,"axG",@progbits,_ZN7rocprim17ROCPRIM_400000_NS6detail17trampoline_kernelINS0_14default_configENS1_35radix_sort_onesweep_config_selectorIssEEZZNS1_29radix_sort_onesweep_iterationIS3_Lb0EN6thrust23THRUST_200600_302600_NS6detail15normal_iteratorINS8_10device_ptrIsEEEESD_SD_SD_jNS0_19identity_decomposerENS1_16block_id_wrapperIjLb1EEEEE10hipError_tT1_PNSt15iterator_traitsISI_E10value_typeET2_T3_PNSJ_ISO_E10value_typeET4_T5_PST_SU_PNS1_23onesweep_lookback_stateEbbT6_jjT7_P12ihipStream_tbENKUlT_T0_SI_SN_E_clIPsSD_S15_SD_EEDaS11_S12_SI_SN_EUlS11_E_NS1_11comp_targetILNS1_3genE4ELNS1_11target_archE910ELNS1_3gpuE8ELNS1_3repE0EEENS1_47radix_sort_onesweep_sort_config_static_selectorELNS0_4arch9wavefront6targetE1EEEvSI_,comdat
.Lfunc_end1664:
	.size	_ZN7rocprim17ROCPRIM_400000_NS6detail17trampoline_kernelINS0_14default_configENS1_35radix_sort_onesweep_config_selectorIssEEZZNS1_29radix_sort_onesweep_iterationIS3_Lb0EN6thrust23THRUST_200600_302600_NS6detail15normal_iteratorINS8_10device_ptrIsEEEESD_SD_SD_jNS0_19identity_decomposerENS1_16block_id_wrapperIjLb1EEEEE10hipError_tT1_PNSt15iterator_traitsISI_E10value_typeET2_T3_PNSJ_ISO_E10value_typeET4_T5_PST_SU_PNS1_23onesweep_lookback_stateEbbT6_jjT7_P12ihipStream_tbENKUlT_T0_SI_SN_E_clIPsSD_S15_SD_EEDaS11_S12_SI_SN_EUlS11_E_NS1_11comp_targetILNS1_3genE4ELNS1_11target_archE910ELNS1_3gpuE8ELNS1_3repE0EEENS1_47radix_sort_onesweep_sort_config_static_selectorELNS0_4arch9wavefront6targetE1EEEvSI_, .Lfunc_end1664-_ZN7rocprim17ROCPRIM_400000_NS6detail17trampoline_kernelINS0_14default_configENS1_35radix_sort_onesweep_config_selectorIssEEZZNS1_29radix_sort_onesweep_iterationIS3_Lb0EN6thrust23THRUST_200600_302600_NS6detail15normal_iteratorINS8_10device_ptrIsEEEESD_SD_SD_jNS0_19identity_decomposerENS1_16block_id_wrapperIjLb1EEEEE10hipError_tT1_PNSt15iterator_traitsISI_E10value_typeET2_T3_PNSJ_ISO_E10value_typeET4_T5_PST_SU_PNS1_23onesweep_lookback_stateEbbT6_jjT7_P12ihipStream_tbENKUlT_T0_SI_SN_E_clIPsSD_S15_SD_EEDaS11_S12_SI_SN_EUlS11_E_NS1_11comp_targetILNS1_3genE4ELNS1_11target_archE910ELNS1_3gpuE8ELNS1_3repE0EEENS1_47radix_sort_onesweep_sort_config_static_selectorELNS0_4arch9wavefront6targetE1EEEvSI_
                                        ; -- End function
	.set _ZN7rocprim17ROCPRIM_400000_NS6detail17trampoline_kernelINS0_14default_configENS1_35radix_sort_onesweep_config_selectorIssEEZZNS1_29radix_sort_onesweep_iterationIS3_Lb0EN6thrust23THRUST_200600_302600_NS6detail15normal_iteratorINS8_10device_ptrIsEEEESD_SD_SD_jNS0_19identity_decomposerENS1_16block_id_wrapperIjLb1EEEEE10hipError_tT1_PNSt15iterator_traitsISI_E10value_typeET2_T3_PNSJ_ISO_E10value_typeET4_T5_PST_SU_PNS1_23onesweep_lookback_stateEbbT6_jjT7_P12ihipStream_tbENKUlT_T0_SI_SN_E_clIPsSD_S15_SD_EEDaS11_S12_SI_SN_EUlS11_E_NS1_11comp_targetILNS1_3genE4ELNS1_11target_archE910ELNS1_3gpuE8ELNS1_3repE0EEENS1_47radix_sort_onesweep_sort_config_static_selectorELNS0_4arch9wavefront6targetE1EEEvSI_.num_vgpr, 0
	.set _ZN7rocprim17ROCPRIM_400000_NS6detail17trampoline_kernelINS0_14default_configENS1_35radix_sort_onesweep_config_selectorIssEEZZNS1_29radix_sort_onesweep_iterationIS3_Lb0EN6thrust23THRUST_200600_302600_NS6detail15normal_iteratorINS8_10device_ptrIsEEEESD_SD_SD_jNS0_19identity_decomposerENS1_16block_id_wrapperIjLb1EEEEE10hipError_tT1_PNSt15iterator_traitsISI_E10value_typeET2_T3_PNSJ_ISO_E10value_typeET4_T5_PST_SU_PNS1_23onesweep_lookback_stateEbbT6_jjT7_P12ihipStream_tbENKUlT_T0_SI_SN_E_clIPsSD_S15_SD_EEDaS11_S12_SI_SN_EUlS11_E_NS1_11comp_targetILNS1_3genE4ELNS1_11target_archE910ELNS1_3gpuE8ELNS1_3repE0EEENS1_47radix_sort_onesweep_sort_config_static_selectorELNS0_4arch9wavefront6targetE1EEEvSI_.num_agpr, 0
	.set _ZN7rocprim17ROCPRIM_400000_NS6detail17trampoline_kernelINS0_14default_configENS1_35radix_sort_onesweep_config_selectorIssEEZZNS1_29radix_sort_onesweep_iterationIS3_Lb0EN6thrust23THRUST_200600_302600_NS6detail15normal_iteratorINS8_10device_ptrIsEEEESD_SD_SD_jNS0_19identity_decomposerENS1_16block_id_wrapperIjLb1EEEEE10hipError_tT1_PNSt15iterator_traitsISI_E10value_typeET2_T3_PNSJ_ISO_E10value_typeET4_T5_PST_SU_PNS1_23onesweep_lookback_stateEbbT6_jjT7_P12ihipStream_tbENKUlT_T0_SI_SN_E_clIPsSD_S15_SD_EEDaS11_S12_SI_SN_EUlS11_E_NS1_11comp_targetILNS1_3genE4ELNS1_11target_archE910ELNS1_3gpuE8ELNS1_3repE0EEENS1_47radix_sort_onesweep_sort_config_static_selectorELNS0_4arch9wavefront6targetE1EEEvSI_.numbered_sgpr, 0
	.set _ZN7rocprim17ROCPRIM_400000_NS6detail17trampoline_kernelINS0_14default_configENS1_35radix_sort_onesweep_config_selectorIssEEZZNS1_29radix_sort_onesweep_iterationIS3_Lb0EN6thrust23THRUST_200600_302600_NS6detail15normal_iteratorINS8_10device_ptrIsEEEESD_SD_SD_jNS0_19identity_decomposerENS1_16block_id_wrapperIjLb1EEEEE10hipError_tT1_PNSt15iterator_traitsISI_E10value_typeET2_T3_PNSJ_ISO_E10value_typeET4_T5_PST_SU_PNS1_23onesweep_lookback_stateEbbT6_jjT7_P12ihipStream_tbENKUlT_T0_SI_SN_E_clIPsSD_S15_SD_EEDaS11_S12_SI_SN_EUlS11_E_NS1_11comp_targetILNS1_3genE4ELNS1_11target_archE910ELNS1_3gpuE8ELNS1_3repE0EEENS1_47radix_sort_onesweep_sort_config_static_selectorELNS0_4arch9wavefront6targetE1EEEvSI_.num_named_barrier, 0
	.set _ZN7rocprim17ROCPRIM_400000_NS6detail17trampoline_kernelINS0_14default_configENS1_35radix_sort_onesweep_config_selectorIssEEZZNS1_29radix_sort_onesweep_iterationIS3_Lb0EN6thrust23THRUST_200600_302600_NS6detail15normal_iteratorINS8_10device_ptrIsEEEESD_SD_SD_jNS0_19identity_decomposerENS1_16block_id_wrapperIjLb1EEEEE10hipError_tT1_PNSt15iterator_traitsISI_E10value_typeET2_T3_PNSJ_ISO_E10value_typeET4_T5_PST_SU_PNS1_23onesweep_lookback_stateEbbT6_jjT7_P12ihipStream_tbENKUlT_T0_SI_SN_E_clIPsSD_S15_SD_EEDaS11_S12_SI_SN_EUlS11_E_NS1_11comp_targetILNS1_3genE4ELNS1_11target_archE910ELNS1_3gpuE8ELNS1_3repE0EEENS1_47radix_sort_onesweep_sort_config_static_selectorELNS0_4arch9wavefront6targetE1EEEvSI_.private_seg_size, 0
	.set _ZN7rocprim17ROCPRIM_400000_NS6detail17trampoline_kernelINS0_14default_configENS1_35radix_sort_onesweep_config_selectorIssEEZZNS1_29radix_sort_onesweep_iterationIS3_Lb0EN6thrust23THRUST_200600_302600_NS6detail15normal_iteratorINS8_10device_ptrIsEEEESD_SD_SD_jNS0_19identity_decomposerENS1_16block_id_wrapperIjLb1EEEEE10hipError_tT1_PNSt15iterator_traitsISI_E10value_typeET2_T3_PNSJ_ISO_E10value_typeET4_T5_PST_SU_PNS1_23onesweep_lookback_stateEbbT6_jjT7_P12ihipStream_tbENKUlT_T0_SI_SN_E_clIPsSD_S15_SD_EEDaS11_S12_SI_SN_EUlS11_E_NS1_11comp_targetILNS1_3genE4ELNS1_11target_archE910ELNS1_3gpuE8ELNS1_3repE0EEENS1_47radix_sort_onesweep_sort_config_static_selectorELNS0_4arch9wavefront6targetE1EEEvSI_.uses_vcc, 0
	.set _ZN7rocprim17ROCPRIM_400000_NS6detail17trampoline_kernelINS0_14default_configENS1_35radix_sort_onesweep_config_selectorIssEEZZNS1_29radix_sort_onesweep_iterationIS3_Lb0EN6thrust23THRUST_200600_302600_NS6detail15normal_iteratorINS8_10device_ptrIsEEEESD_SD_SD_jNS0_19identity_decomposerENS1_16block_id_wrapperIjLb1EEEEE10hipError_tT1_PNSt15iterator_traitsISI_E10value_typeET2_T3_PNSJ_ISO_E10value_typeET4_T5_PST_SU_PNS1_23onesweep_lookback_stateEbbT6_jjT7_P12ihipStream_tbENKUlT_T0_SI_SN_E_clIPsSD_S15_SD_EEDaS11_S12_SI_SN_EUlS11_E_NS1_11comp_targetILNS1_3genE4ELNS1_11target_archE910ELNS1_3gpuE8ELNS1_3repE0EEENS1_47radix_sort_onesweep_sort_config_static_selectorELNS0_4arch9wavefront6targetE1EEEvSI_.uses_flat_scratch, 0
	.set _ZN7rocprim17ROCPRIM_400000_NS6detail17trampoline_kernelINS0_14default_configENS1_35radix_sort_onesweep_config_selectorIssEEZZNS1_29radix_sort_onesweep_iterationIS3_Lb0EN6thrust23THRUST_200600_302600_NS6detail15normal_iteratorINS8_10device_ptrIsEEEESD_SD_SD_jNS0_19identity_decomposerENS1_16block_id_wrapperIjLb1EEEEE10hipError_tT1_PNSt15iterator_traitsISI_E10value_typeET2_T3_PNSJ_ISO_E10value_typeET4_T5_PST_SU_PNS1_23onesweep_lookback_stateEbbT6_jjT7_P12ihipStream_tbENKUlT_T0_SI_SN_E_clIPsSD_S15_SD_EEDaS11_S12_SI_SN_EUlS11_E_NS1_11comp_targetILNS1_3genE4ELNS1_11target_archE910ELNS1_3gpuE8ELNS1_3repE0EEENS1_47radix_sort_onesweep_sort_config_static_selectorELNS0_4arch9wavefront6targetE1EEEvSI_.has_dyn_sized_stack, 0
	.set _ZN7rocprim17ROCPRIM_400000_NS6detail17trampoline_kernelINS0_14default_configENS1_35radix_sort_onesweep_config_selectorIssEEZZNS1_29radix_sort_onesweep_iterationIS3_Lb0EN6thrust23THRUST_200600_302600_NS6detail15normal_iteratorINS8_10device_ptrIsEEEESD_SD_SD_jNS0_19identity_decomposerENS1_16block_id_wrapperIjLb1EEEEE10hipError_tT1_PNSt15iterator_traitsISI_E10value_typeET2_T3_PNSJ_ISO_E10value_typeET4_T5_PST_SU_PNS1_23onesweep_lookback_stateEbbT6_jjT7_P12ihipStream_tbENKUlT_T0_SI_SN_E_clIPsSD_S15_SD_EEDaS11_S12_SI_SN_EUlS11_E_NS1_11comp_targetILNS1_3genE4ELNS1_11target_archE910ELNS1_3gpuE8ELNS1_3repE0EEENS1_47radix_sort_onesweep_sort_config_static_selectorELNS0_4arch9wavefront6targetE1EEEvSI_.has_recursion, 0
	.set _ZN7rocprim17ROCPRIM_400000_NS6detail17trampoline_kernelINS0_14default_configENS1_35radix_sort_onesweep_config_selectorIssEEZZNS1_29radix_sort_onesweep_iterationIS3_Lb0EN6thrust23THRUST_200600_302600_NS6detail15normal_iteratorINS8_10device_ptrIsEEEESD_SD_SD_jNS0_19identity_decomposerENS1_16block_id_wrapperIjLb1EEEEE10hipError_tT1_PNSt15iterator_traitsISI_E10value_typeET2_T3_PNSJ_ISO_E10value_typeET4_T5_PST_SU_PNS1_23onesweep_lookback_stateEbbT6_jjT7_P12ihipStream_tbENKUlT_T0_SI_SN_E_clIPsSD_S15_SD_EEDaS11_S12_SI_SN_EUlS11_E_NS1_11comp_targetILNS1_3genE4ELNS1_11target_archE910ELNS1_3gpuE8ELNS1_3repE0EEENS1_47radix_sort_onesweep_sort_config_static_selectorELNS0_4arch9wavefront6targetE1EEEvSI_.has_indirect_call, 0
	.section	.AMDGPU.csdata,"",@progbits
; Kernel info:
; codeLenInByte = 0
; TotalNumSgprs: 6
; NumVgprs: 0
; NumAgprs: 0
; TotalNumVgprs: 0
; ScratchSize: 0
; MemoryBound: 0
; FloatMode: 240
; IeeeMode: 1
; LDSByteSize: 0 bytes/workgroup (compile time only)
; SGPRBlocks: 0
; VGPRBlocks: 0
; NumSGPRsForWavesPerEU: 6
; NumVGPRsForWavesPerEU: 1
; AccumOffset: 4
; Occupancy: 8
; WaveLimiterHint : 0
; COMPUTE_PGM_RSRC2:SCRATCH_EN: 0
; COMPUTE_PGM_RSRC2:USER_SGPR: 2
; COMPUTE_PGM_RSRC2:TRAP_HANDLER: 0
; COMPUTE_PGM_RSRC2:TGID_X_EN: 1
; COMPUTE_PGM_RSRC2:TGID_Y_EN: 0
; COMPUTE_PGM_RSRC2:TGID_Z_EN: 0
; COMPUTE_PGM_RSRC2:TIDIG_COMP_CNT: 0
; COMPUTE_PGM_RSRC3_GFX90A:ACCUM_OFFSET: 0
; COMPUTE_PGM_RSRC3_GFX90A:TG_SPLIT: 0
	.section	.text._ZN7rocprim17ROCPRIM_400000_NS6detail17trampoline_kernelINS0_14default_configENS1_35radix_sort_onesweep_config_selectorIssEEZZNS1_29radix_sort_onesweep_iterationIS3_Lb0EN6thrust23THRUST_200600_302600_NS6detail15normal_iteratorINS8_10device_ptrIsEEEESD_SD_SD_jNS0_19identity_decomposerENS1_16block_id_wrapperIjLb1EEEEE10hipError_tT1_PNSt15iterator_traitsISI_E10value_typeET2_T3_PNSJ_ISO_E10value_typeET4_T5_PST_SU_PNS1_23onesweep_lookback_stateEbbT6_jjT7_P12ihipStream_tbENKUlT_T0_SI_SN_E_clIPsSD_S15_SD_EEDaS11_S12_SI_SN_EUlS11_E_NS1_11comp_targetILNS1_3genE3ELNS1_11target_archE908ELNS1_3gpuE7ELNS1_3repE0EEENS1_47radix_sort_onesweep_sort_config_static_selectorELNS0_4arch9wavefront6targetE1EEEvSI_,"axG",@progbits,_ZN7rocprim17ROCPRIM_400000_NS6detail17trampoline_kernelINS0_14default_configENS1_35radix_sort_onesweep_config_selectorIssEEZZNS1_29radix_sort_onesweep_iterationIS3_Lb0EN6thrust23THRUST_200600_302600_NS6detail15normal_iteratorINS8_10device_ptrIsEEEESD_SD_SD_jNS0_19identity_decomposerENS1_16block_id_wrapperIjLb1EEEEE10hipError_tT1_PNSt15iterator_traitsISI_E10value_typeET2_T3_PNSJ_ISO_E10value_typeET4_T5_PST_SU_PNS1_23onesweep_lookback_stateEbbT6_jjT7_P12ihipStream_tbENKUlT_T0_SI_SN_E_clIPsSD_S15_SD_EEDaS11_S12_SI_SN_EUlS11_E_NS1_11comp_targetILNS1_3genE3ELNS1_11target_archE908ELNS1_3gpuE7ELNS1_3repE0EEENS1_47radix_sort_onesweep_sort_config_static_selectorELNS0_4arch9wavefront6targetE1EEEvSI_,comdat
	.protected	_ZN7rocprim17ROCPRIM_400000_NS6detail17trampoline_kernelINS0_14default_configENS1_35radix_sort_onesweep_config_selectorIssEEZZNS1_29radix_sort_onesweep_iterationIS3_Lb0EN6thrust23THRUST_200600_302600_NS6detail15normal_iteratorINS8_10device_ptrIsEEEESD_SD_SD_jNS0_19identity_decomposerENS1_16block_id_wrapperIjLb1EEEEE10hipError_tT1_PNSt15iterator_traitsISI_E10value_typeET2_T3_PNSJ_ISO_E10value_typeET4_T5_PST_SU_PNS1_23onesweep_lookback_stateEbbT6_jjT7_P12ihipStream_tbENKUlT_T0_SI_SN_E_clIPsSD_S15_SD_EEDaS11_S12_SI_SN_EUlS11_E_NS1_11comp_targetILNS1_3genE3ELNS1_11target_archE908ELNS1_3gpuE7ELNS1_3repE0EEENS1_47radix_sort_onesweep_sort_config_static_selectorELNS0_4arch9wavefront6targetE1EEEvSI_ ; -- Begin function _ZN7rocprim17ROCPRIM_400000_NS6detail17trampoline_kernelINS0_14default_configENS1_35radix_sort_onesweep_config_selectorIssEEZZNS1_29radix_sort_onesweep_iterationIS3_Lb0EN6thrust23THRUST_200600_302600_NS6detail15normal_iteratorINS8_10device_ptrIsEEEESD_SD_SD_jNS0_19identity_decomposerENS1_16block_id_wrapperIjLb1EEEEE10hipError_tT1_PNSt15iterator_traitsISI_E10value_typeET2_T3_PNSJ_ISO_E10value_typeET4_T5_PST_SU_PNS1_23onesweep_lookback_stateEbbT6_jjT7_P12ihipStream_tbENKUlT_T0_SI_SN_E_clIPsSD_S15_SD_EEDaS11_S12_SI_SN_EUlS11_E_NS1_11comp_targetILNS1_3genE3ELNS1_11target_archE908ELNS1_3gpuE7ELNS1_3repE0EEENS1_47radix_sort_onesweep_sort_config_static_selectorELNS0_4arch9wavefront6targetE1EEEvSI_
	.globl	_ZN7rocprim17ROCPRIM_400000_NS6detail17trampoline_kernelINS0_14default_configENS1_35radix_sort_onesweep_config_selectorIssEEZZNS1_29radix_sort_onesweep_iterationIS3_Lb0EN6thrust23THRUST_200600_302600_NS6detail15normal_iteratorINS8_10device_ptrIsEEEESD_SD_SD_jNS0_19identity_decomposerENS1_16block_id_wrapperIjLb1EEEEE10hipError_tT1_PNSt15iterator_traitsISI_E10value_typeET2_T3_PNSJ_ISO_E10value_typeET4_T5_PST_SU_PNS1_23onesweep_lookback_stateEbbT6_jjT7_P12ihipStream_tbENKUlT_T0_SI_SN_E_clIPsSD_S15_SD_EEDaS11_S12_SI_SN_EUlS11_E_NS1_11comp_targetILNS1_3genE3ELNS1_11target_archE908ELNS1_3gpuE7ELNS1_3repE0EEENS1_47radix_sort_onesweep_sort_config_static_selectorELNS0_4arch9wavefront6targetE1EEEvSI_
	.p2align	8
	.type	_ZN7rocprim17ROCPRIM_400000_NS6detail17trampoline_kernelINS0_14default_configENS1_35radix_sort_onesweep_config_selectorIssEEZZNS1_29radix_sort_onesweep_iterationIS3_Lb0EN6thrust23THRUST_200600_302600_NS6detail15normal_iteratorINS8_10device_ptrIsEEEESD_SD_SD_jNS0_19identity_decomposerENS1_16block_id_wrapperIjLb1EEEEE10hipError_tT1_PNSt15iterator_traitsISI_E10value_typeET2_T3_PNSJ_ISO_E10value_typeET4_T5_PST_SU_PNS1_23onesweep_lookback_stateEbbT6_jjT7_P12ihipStream_tbENKUlT_T0_SI_SN_E_clIPsSD_S15_SD_EEDaS11_S12_SI_SN_EUlS11_E_NS1_11comp_targetILNS1_3genE3ELNS1_11target_archE908ELNS1_3gpuE7ELNS1_3repE0EEENS1_47radix_sort_onesweep_sort_config_static_selectorELNS0_4arch9wavefront6targetE1EEEvSI_,@function
_ZN7rocprim17ROCPRIM_400000_NS6detail17trampoline_kernelINS0_14default_configENS1_35radix_sort_onesweep_config_selectorIssEEZZNS1_29radix_sort_onesweep_iterationIS3_Lb0EN6thrust23THRUST_200600_302600_NS6detail15normal_iteratorINS8_10device_ptrIsEEEESD_SD_SD_jNS0_19identity_decomposerENS1_16block_id_wrapperIjLb1EEEEE10hipError_tT1_PNSt15iterator_traitsISI_E10value_typeET2_T3_PNSJ_ISO_E10value_typeET4_T5_PST_SU_PNS1_23onesweep_lookback_stateEbbT6_jjT7_P12ihipStream_tbENKUlT_T0_SI_SN_E_clIPsSD_S15_SD_EEDaS11_S12_SI_SN_EUlS11_E_NS1_11comp_targetILNS1_3genE3ELNS1_11target_archE908ELNS1_3gpuE7ELNS1_3repE0EEENS1_47radix_sort_onesweep_sort_config_static_selectorELNS0_4arch9wavefront6targetE1EEEvSI_: ; @_ZN7rocprim17ROCPRIM_400000_NS6detail17trampoline_kernelINS0_14default_configENS1_35radix_sort_onesweep_config_selectorIssEEZZNS1_29radix_sort_onesweep_iterationIS3_Lb0EN6thrust23THRUST_200600_302600_NS6detail15normal_iteratorINS8_10device_ptrIsEEEESD_SD_SD_jNS0_19identity_decomposerENS1_16block_id_wrapperIjLb1EEEEE10hipError_tT1_PNSt15iterator_traitsISI_E10value_typeET2_T3_PNSJ_ISO_E10value_typeET4_T5_PST_SU_PNS1_23onesweep_lookback_stateEbbT6_jjT7_P12ihipStream_tbENKUlT_T0_SI_SN_E_clIPsSD_S15_SD_EEDaS11_S12_SI_SN_EUlS11_E_NS1_11comp_targetILNS1_3genE3ELNS1_11target_archE908ELNS1_3gpuE7ELNS1_3repE0EEENS1_47radix_sort_onesweep_sort_config_static_selectorELNS0_4arch9wavefront6targetE1EEEvSI_
; %bb.0:
	.section	.rodata,"a",@progbits
	.p2align	6, 0x0
	.amdhsa_kernel _ZN7rocprim17ROCPRIM_400000_NS6detail17trampoline_kernelINS0_14default_configENS1_35radix_sort_onesweep_config_selectorIssEEZZNS1_29radix_sort_onesweep_iterationIS3_Lb0EN6thrust23THRUST_200600_302600_NS6detail15normal_iteratorINS8_10device_ptrIsEEEESD_SD_SD_jNS0_19identity_decomposerENS1_16block_id_wrapperIjLb1EEEEE10hipError_tT1_PNSt15iterator_traitsISI_E10value_typeET2_T3_PNSJ_ISO_E10value_typeET4_T5_PST_SU_PNS1_23onesweep_lookback_stateEbbT6_jjT7_P12ihipStream_tbENKUlT_T0_SI_SN_E_clIPsSD_S15_SD_EEDaS11_S12_SI_SN_EUlS11_E_NS1_11comp_targetILNS1_3genE3ELNS1_11target_archE908ELNS1_3gpuE7ELNS1_3repE0EEENS1_47radix_sort_onesweep_sort_config_static_selectorELNS0_4arch9wavefront6targetE1EEEvSI_
		.amdhsa_group_segment_fixed_size 0
		.amdhsa_private_segment_fixed_size 0
		.amdhsa_kernarg_size 88
		.amdhsa_user_sgpr_count 2
		.amdhsa_user_sgpr_dispatch_ptr 0
		.amdhsa_user_sgpr_queue_ptr 0
		.amdhsa_user_sgpr_kernarg_segment_ptr 1
		.amdhsa_user_sgpr_dispatch_id 0
		.amdhsa_user_sgpr_kernarg_preload_length 0
		.amdhsa_user_sgpr_kernarg_preload_offset 0
		.amdhsa_user_sgpr_private_segment_size 0
		.amdhsa_uses_dynamic_stack 0
		.amdhsa_enable_private_segment 0
		.amdhsa_system_sgpr_workgroup_id_x 1
		.amdhsa_system_sgpr_workgroup_id_y 0
		.amdhsa_system_sgpr_workgroup_id_z 0
		.amdhsa_system_sgpr_workgroup_info 0
		.amdhsa_system_vgpr_workitem_id 0
		.amdhsa_next_free_vgpr 1
		.amdhsa_next_free_sgpr 0
		.amdhsa_accum_offset 4
		.amdhsa_reserve_vcc 0
		.amdhsa_float_round_mode_32 0
		.amdhsa_float_round_mode_16_64 0
		.amdhsa_float_denorm_mode_32 3
		.amdhsa_float_denorm_mode_16_64 3
		.amdhsa_dx10_clamp 1
		.amdhsa_ieee_mode 1
		.amdhsa_fp16_overflow 0
		.amdhsa_tg_split 0
		.amdhsa_exception_fp_ieee_invalid_op 0
		.amdhsa_exception_fp_denorm_src 0
		.amdhsa_exception_fp_ieee_div_zero 0
		.amdhsa_exception_fp_ieee_overflow 0
		.amdhsa_exception_fp_ieee_underflow 0
		.amdhsa_exception_fp_ieee_inexact 0
		.amdhsa_exception_int_div_zero 0
	.end_amdhsa_kernel
	.section	.text._ZN7rocprim17ROCPRIM_400000_NS6detail17trampoline_kernelINS0_14default_configENS1_35radix_sort_onesweep_config_selectorIssEEZZNS1_29radix_sort_onesweep_iterationIS3_Lb0EN6thrust23THRUST_200600_302600_NS6detail15normal_iteratorINS8_10device_ptrIsEEEESD_SD_SD_jNS0_19identity_decomposerENS1_16block_id_wrapperIjLb1EEEEE10hipError_tT1_PNSt15iterator_traitsISI_E10value_typeET2_T3_PNSJ_ISO_E10value_typeET4_T5_PST_SU_PNS1_23onesweep_lookback_stateEbbT6_jjT7_P12ihipStream_tbENKUlT_T0_SI_SN_E_clIPsSD_S15_SD_EEDaS11_S12_SI_SN_EUlS11_E_NS1_11comp_targetILNS1_3genE3ELNS1_11target_archE908ELNS1_3gpuE7ELNS1_3repE0EEENS1_47radix_sort_onesweep_sort_config_static_selectorELNS0_4arch9wavefront6targetE1EEEvSI_,"axG",@progbits,_ZN7rocprim17ROCPRIM_400000_NS6detail17trampoline_kernelINS0_14default_configENS1_35radix_sort_onesweep_config_selectorIssEEZZNS1_29radix_sort_onesweep_iterationIS3_Lb0EN6thrust23THRUST_200600_302600_NS6detail15normal_iteratorINS8_10device_ptrIsEEEESD_SD_SD_jNS0_19identity_decomposerENS1_16block_id_wrapperIjLb1EEEEE10hipError_tT1_PNSt15iterator_traitsISI_E10value_typeET2_T3_PNSJ_ISO_E10value_typeET4_T5_PST_SU_PNS1_23onesweep_lookback_stateEbbT6_jjT7_P12ihipStream_tbENKUlT_T0_SI_SN_E_clIPsSD_S15_SD_EEDaS11_S12_SI_SN_EUlS11_E_NS1_11comp_targetILNS1_3genE3ELNS1_11target_archE908ELNS1_3gpuE7ELNS1_3repE0EEENS1_47radix_sort_onesweep_sort_config_static_selectorELNS0_4arch9wavefront6targetE1EEEvSI_,comdat
.Lfunc_end1665:
	.size	_ZN7rocprim17ROCPRIM_400000_NS6detail17trampoline_kernelINS0_14default_configENS1_35radix_sort_onesweep_config_selectorIssEEZZNS1_29radix_sort_onesweep_iterationIS3_Lb0EN6thrust23THRUST_200600_302600_NS6detail15normal_iteratorINS8_10device_ptrIsEEEESD_SD_SD_jNS0_19identity_decomposerENS1_16block_id_wrapperIjLb1EEEEE10hipError_tT1_PNSt15iterator_traitsISI_E10value_typeET2_T3_PNSJ_ISO_E10value_typeET4_T5_PST_SU_PNS1_23onesweep_lookback_stateEbbT6_jjT7_P12ihipStream_tbENKUlT_T0_SI_SN_E_clIPsSD_S15_SD_EEDaS11_S12_SI_SN_EUlS11_E_NS1_11comp_targetILNS1_3genE3ELNS1_11target_archE908ELNS1_3gpuE7ELNS1_3repE0EEENS1_47radix_sort_onesweep_sort_config_static_selectorELNS0_4arch9wavefront6targetE1EEEvSI_, .Lfunc_end1665-_ZN7rocprim17ROCPRIM_400000_NS6detail17trampoline_kernelINS0_14default_configENS1_35radix_sort_onesweep_config_selectorIssEEZZNS1_29radix_sort_onesweep_iterationIS3_Lb0EN6thrust23THRUST_200600_302600_NS6detail15normal_iteratorINS8_10device_ptrIsEEEESD_SD_SD_jNS0_19identity_decomposerENS1_16block_id_wrapperIjLb1EEEEE10hipError_tT1_PNSt15iterator_traitsISI_E10value_typeET2_T3_PNSJ_ISO_E10value_typeET4_T5_PST_SU_PNS1_23onesweep_lookback_stateEbbT6_jjT7_P12ihipStream_tbENKUlT_T0_SI_SN_E_clIPsSD_S15_SD_EEDaS11_S12_SI_SN_EUlS11_E_NS1_11comp_targetILNS1_3genE3ELNS1_11target_archE908ELNS1_3gpuE7ELNS1_3repE0EEENS1_47radix_sort_onesweep_sort_config_static_selectorELNS0_4arch9wavefront6targetE1EEEvSI_
                                        ; -- End function
	.set _ZN7rocprim17ROCPRIM_400000_NS6detail17trampoline_kernelINS0_14default_configENS1_35radix_sort_onesweep_config_selectorIssEEZZNS1_29radix_sort_onesweep_iterationIS3_Lb0EN6thrust23THRUST_200600_302600_NS6detail15normal_iteratorINS8_10device_ptrIsEEEESD_SD_SD_jNS0_19identity_decomposerENS1_16block_id_wrapperIjLb1EEEEE10hipError_tT1_PNSt15iterator_traitsISI_E10value_typeET2_T3_PNSJ_ISO_E10value_typeET4_T5_PST_SU_PNS1_23onesweep_lookback_stateEbbT6_jjT7_P12ihipStream_tbENKUlT_T0_SI_SN_E_clIPsSD_S15_SD_EEDaS11_S12_SI_SN_EUlS11_E_NS1_11comp_targetILNS1_3genE3ELNS1_11target_archE908ELNS1_3gpuE7ELNS1_3repE0EEENS1_47radix_sort_onesweep_sort_config_static_selectorELNS0_4arch9wavefront6targetE1EEEvSI_.num_vgpr, 0
	.set _ZN7rocprim17ROCPRIM_400000_NS6detail17trampoline_kernelINS0_14default_configENS1_35radix_sort_onesweep_config_selectorIssEEZZNS1_29radix_sort_onesweep_iterationIS3_Lb0EN6thrust23THRUST_200600_302600_NS6detail15normal_iteratorINS8_10device_ptrIsEEEESD_SD_SD_jNS0_19identity_decomposerENS1_16block_id_wrapperIjLb1EEEEE10hipError_tT1_PNSt15iterator_traitsISI_E10value_typeET2_T3_PNSJ_ISO_E10value_typeET4_T5_PST_SU_PNS1_23onesweep_lookback_stateEbbT6_jjT7_P12ihipStream_tbENKUlT_T0_SI_SN_E_clIPsSD_S15_SD_EEDaS11_S12_SI_SN_EUlS11_E_NS1_11comp_targetILNS1_3genE3ELNS1_11target_archE908ELNS1_3gpuE7ELNS1_3repE0EEENS1_47radix_sort_onesweep_sort_config_static_selectorELNS0_4arch9wavefront6targetE1EEEvSI_.num_agpr, 0
	.set _ZN7rocprim17ROCPRIM_400000_NS6detail17trampoline_kernelINS0_14default_configENS1_35radix_sort_onesweep_config_selectorIssEEZZNS1_29radix_sort_onesweep_iterationIS3_Lb0EN6thrust23THRUST_200600_302600_NS6detail15normal_iteratorINS8_10device_ptrIsEEEESD_SD_SD_jNS0_19identity_decomposerENS1_16block_id_wrapperIjLb1EEEEE10hipError_tT1_PNSt15iterator_traitsISI_E10value_typeET2_T3_PNSJ_ISO_E10value_typeET4_T5_PST_SU_PNS1_23onesweep_lookback_stateEbbT6_jjT7_P12ihipStream_tbENKUlT_T0_SI_SN_E_clIPsSD_S15_SD_EEDaS11_S12_SI_SN_EUlS11_E_NS1_11comp_targetILNS1_3genE3ELNS1_11target_archE908ELNS1_3gpuE7ELNS1_3repE0EEENS1_47radix_sort_onesweep_sort_config_static_selectorELNS0_4arch9wavefront6targetE1EEEvSI_.numbered_sgpr, 0
	.set _ZN7rocprim17ROCPRIM_400000_NS6detail17trampoline_kernelINS0_14default_configENS1_35radix_sort_onesweep_config_selectorIssEEZZNS1_29radix_sort_onesweep_iterationIS3_Lb0EN6thrust23THRUST_200600_302600_NS6detail15normal_iteratorINS8_10device_ptrIsEEEESD_SD_SD_jNS0_19identity_decomposerENS1_16block_id_wrapperIjLb1EEEEE10hipError_tT1_PNSt15iterator_traitsISI_E10value_typeET2_T3_PNSJ_ISO_E10value_typeET4_T5_PST_SU_PNS1_23onesweep_lookback_stateEbbT6_jjT7_P12ihipStream_tbENKUlT_T0_SI_SN_E_clIPsSD_S15_SD_EEDaS11_S12_SI_SN_EUlS11_E_NS1_11comp_targetILNS1_3genE3ELNS1_11target_archE908ELNS1_3gpuE7ELNS1_3repE0EEENS1_47radix_sort_onesweep_sort_config_static_selectorELNS0_4arch9wavefront6targetE1EEEvSI_.num_named_barrier, 0
	.set _ZN7rocprim17ROCPRIM_400000_NS6detail17trampoline_kernelINS0_14default_configENS1_35radix_sort_onesweep_config_selectorIssEEZZNS1_29radix_sort_onesweep_iterationIS3_Lb0EN6thrust23THRUST_200600_302600_NS6detail15normal_iteratorINS8_10device_ptrIsEEEESD_SD_SD_jNS0_19identity_decomposerENS1_16block_id_wrapperIjLb1EEEEE10hipError_tT1_PNSt15iterator_traitsISI_E10value_typeET2_T3_PNSJ_ISO_E10value_typeET4_T5_PST_SU_PNS1_23onesweep_lookback_stateEbbT6_jjT7_P12ihipStream_tbENKUlT_T0_SI_SN_E_clIPsSD_S15_SD_EEDaS11_S12_SI_SN_EUlS11_E_NS1_11comp_targetILNS1_3genE3ELNS1_11target_archE908ELNS1_3gpuE7ELNS1_3repE0EEENS1_47radix_sort_onesweep_sort_config_static_selectorELNS0_4arch9wavefront6targetE1EEEvSI_.private_seg_size, 0
	.set _ZN7rocprim17ROCPRIM_400000_NS6detail17trampoline_kernelINS0_14default_configENS1_35radix_sort_onesweep_config_selectorIssEEZZNS1_29radix_sort_onesweep_iterationIS3_Lb0EN6thrust23THRUST_200600_302600_NS6detail15normal_iteratorINS8_10device_ptrIsEEEESD_SD_SD_jNS0_19identity_decomposerENS1_16block_id_wrapperIjLb1EEEEE10hipError_tT1_PNSt15iterator_traitsISI_E10value_typeET2_T3_PNSJ_ISO_E10value_typeET4_T5_PST_SU_PNS1_23onesweep_lookback_stateEbbT6_jjT7_P12ihipStream_tbENKUlT_T0_SI_SN_E_clIPsSD_S15_SD_EEDaS11_S12_SI_SN_EUlS11_E_NS1_11comp_targetILNS1_3genE3ELNS1_11target_archE908ELNS1_3gpuE7ELNS1_3repE0EEENS1_47radix_sort_onesweep_sort_config_static_selectorELNS0_4arch9wavefront6targetE1EEEvSI_.uses_vcc, 0
	.set _ZN7rocprim17ROCPRIM_400000_NS6detail17trampoline_kernelINS0_14default_configENS1_35radix_sort_onesweep_config_selectorIssEEZZNS1_29radix_sort_onesweep_iterationIS3_Lb0EN6thrust23THRUST_200600_302600_NS6detail15normal_iteratorINS8_10device_ptrIsEEEESD_SD_SD_jNS0_19identity_decomposerENS1_16block_id_wrapperIjLb1EEEEE10hipError_tT1_PNSt15iterator_traitsISI_E10value_typeET2_T3_PNSJ_ISO_E10value_typeET4_T5_PST_SU_PNS1_23onesweep_lookback_stateEbbT6_jjT7_P12ihipStream_tbENKUlT_T0_SI_SN_E_clIPsSD_S15_SD_EEDaS11_S12_SI_SN_EUlS11_E_NS1_11comp_targetILNS1_3genE3ELNS1_11target_archE908ELNS1_3gpuE7ELNS1_3repE0EEENS1_47radix_sort_onesweep_sort_config_static_selectorELNS0_4arch9wavefront6targetE1EEEvSI_.uses_flat_scratch, 0
	.set _ZN7rocprim17ROCPRIM_400000_NS6detail17trampoline_kernelINS0_14default_configENS1_35radix_sort_onesweep_config_selectorIssEEZZNS1_29radix_sort_onesweep_iterationIS3_Lb0EN6thrust23THRUST_200600_302600_NS6detail15normal_iteratorINS8_10device_ptrIsEEEESD_SD_SD_jNS0_19identity_decomposerENS1_16block_id_wrapperIjLb1EEEEE10hipError_tT1_PNSt15iterator_traitsISI_E10value_typeET2_T3_PNSJ_ISO_E10value_typeET4_T5_PST_SU_PNS1_23onesweep_lookback_stateEbbT6_jjT7_P12ihipStream_tbENKUlT_T0_SI_SN_E_clIPsSD_S15_SD_EEDaS11_S12_SI_SN_EUlS11_E_NS1_11comp_targetILNS1_3genE3ELNS1_11target_archE908ELNS1_3gpuE7ELNS1_3repE0EEENS1_47radix_sort_onesweep_sort_config_static_selectorELNS0_4arch9wavefront6targetE1EEEvSI_.has_dyn_sized_stack, 0
	.set _ZN7rocprim17ROCPRIM_400000_NS6detail17trampoline_kernelINS0_14default_configENS1_35radix_sort_onesweep_config_selectorIssEEZZNS1_29radix_sort_onesweep_iterationIS3_Lb0EN6thrust23THRUST_200600_302600_NS6detail15normal_iteratorINS8_10device_ptrIsEEEESD_SD_SD_jNS0_19identity_decomposerENS1_16block_id_wrapperIjLb1EEEEE10hipError_tT1_PNSt15iterator_traitsISI_E10value_typeET2_T3_PNSJ_ISO_E10value_typeET4_T5_PST_SU_PNS1_23onesweep_lookback_stateEbbT6_jjT7_P12ihipStream_tbENKUlT_T0_SI_SN_E_clIPsSD_S15_SD_EEDaS11_S12_SI_SN_EUlS11_E_NS1_11comp_targetILNS1_3genE3ELNS1_11target_archE908ELNS1_3gpuE7ELNS1_3repE0EEENS1_47radix_sort_onesweep_sort_config_static_selectorELNS0_4arch9wavefront6targetE1EEEvSI_.has_recursion, 0
	.set _ZN7rocprim17ROCPRIM_400000_NS6detail17trampoline_kernelINS0_14default_configENS1_35radix_sort_onesweep_config_selectorIssEEZZNS1_29radix_sort_onesweep_iterationIS3_Lb0EN6thrust23THRUST_200600_302600_NS6detail15normal_iteratorINS8_10device_ptrIsEEEESD_SD_SD_jNS0_19identity_decomposerENS1_16block_id_wrapperIjLb1EEEEE10hipError_tT1_PNSt15iterator_traitsISI_E10value_typeET2_T3_PNSJ_ISO_E10value_typeET4_T5_PST_SU_PNS1_23onesweep_lookback_stateEbbT6_jjT7_P12ihipStream_tbENKUlT_T0_SI_SN_E_clIPsSD_S15_SD_EEDaS11_S12_SI_SN_EUlS11_E_NS1_11comp_targetILNS1_3genE3ELNS1_11target_archE908ELNS1_3gpuE7ELNS1_3repE0EEENS1_47radix_sort_onesweep_sort_config_static_selectorELNS0_4arch9wavefront6targetE1EEEvSI_.has_indirect_call, 0
	.section	.AMDGPU.csdata,"",@progbits
; Kernel info:
; codeLenInByte = 0
; TotalNumSgprs: 6
; NumVgprs: 0
; NumAgprs: 0
; TotalNumVgprs: 0
; ScratchSize: 0
; MemoryBound: 0
; FloatMode: 240
; IeeeMode: 1
; LDSByteSize: 0 bytes/workgroup (compile time only)
; SGPRBlocks: 0
; VGPRBlocks: 0
; NumSGPRsForWavesPerEU: 6
; NumVGPRsForWavesPerEU: 1
; AccumOffset: 4
; Occupancy: 8
; WaveLimiterHint : 0
; COMPUTE_PGM_RSRC2:SCRATCH_EN: 0
; COMPUTE_PGM_RSRC2:USER_SGPR: 2
; COMPUTE_PGM_RSRC2:TRAP_HANDLER: 0
; COMPUTE_PGM_RSRC2:TGID_X_EN: 1
; COMPUTE_PGM_RSRC2:TGID_Y_EN: 0
; COMPUTE_PGM_RSRC2:TGID_Z_EN: 0
; COMPUTE_PGM_RSRC2:TIDIG_COMP_CNT: 0
; COMPUTE_PGM_RSRC3_GFX90A:ACCUM_OFFSET: 0
; COMPUTE_PGM_RSRC3_GFX90A:TG_SPLIT: 0
	.section	.text._ZN7rocprim17ROCPRIM_400000_NS6detail17trampoline_kernelINS0_14default_configENS1_35radix_sort_onesweep_config_selectorIssEEZZNS1_29radix_sort_onesweep_iterationIS3_Lb0EN6thrust23THRUST_200600_302600_NS6detail15normal_iteratorINS8_10device_ptrIsEEEESD_SD_SD_jNS0_19identity_decomposerENS1_16block_id_wrapperIjLb1EEEEE10hipError_tT1_PNSt15iterator_traitsISI_E10value_typeET2_T3_PNSJ_ISO_E10value_typeET4_T5_PST_SU_PNS1_23onesweep_lookback_stateEbbT6_jjT7_P12ihipStream_tbENKUlT_T0_SI_SN_E_clIPsSD_S15_SD_EEDaS11_S12_SI_SN_EUlS11_E_NS1_11comp_targetILNS1_3genE10ELNS1_11target_archE1201ELNS1_3gpuE5ELNS1_3repE0EEENS1_47radix_sort_onesweep_sort_config_static_selectorELNS0_4arch9wavefront6targetE1EEEvSI_,"axG",@progbits,_ZN7rocprim17ROCPRIM_400000_NS6detail17trampoline_kernelINS0_14default_configENS1_35radix_sort_onesweep_config_selectorIssEEZZNS1_29radix_sort_onesweep_iterationIS3_Lb0EN6thrust23THRUST_200600_302600_NS6detail15normal_iteratorINS8_10device_ptrIsEEEESD_SD_SD_jNS0_19identity_decomposerENS1_16block_id_wrapperIjLb1EEEEE10hipError_tT1_PNSt15iterator_traitsISI_E10value_typeET2_T3_PNSJ_ISO_E10value_typeET4_T5_PST_SU_PNS1_23onesweep_lookback_stateEbbT6_jjT7_P12ihipStream_tbENKUlT_T0_SI_SN_E_clIPsSD_S15_SD_EEDaS11_S12_SI_SN_EUlS11_E_NS1_11comp_targetILNS1_3genE10ELNS1_11target_archE1201ELNS1_3gpuE5ELNS1_3repE0EEENS1_47radix_sort_onesweep_sort_config_static_selectorELNS0_4arch9wavefront6targetE1EEEvSI_,comdat
	.protected	_ZN7rocprim17ROCPRIM_400000_NS6detail17trampoline_kernelINS0_14default_configENS1_35radix_sort_onesweep_config_selectorIssEEZZNS1_29radix_sort_onesweep_iterationIS3_Lb0EN6thrust23THRUST_200600_302600_NS6detail15normal_iteratorINS8_10device_ptrIsEEEESD_SD_SD_jNS0_19identity_decomposerENS1_16block_id_wrapperIjLb1EEEEE10hipError_tT1_PNSt15iterator_traitsISI_E10value_typeET2_T3_PNSJ_ISO_E10value_typeET4_T5_PST_SU_PNS1_23onesweep_lookback_stateEbbT6_jjT7_P12ihipStream_tbENKUlT_T0_SI_SN_E_clIPsSD_S15_SD_EEDaS11_S12_SI_SN_EUlS11_E_NS1_11comp_targetILNS1_3genE10ELNS1_11target_archE1201ELNS1_3gpuE5ELNS1_3repE0EEENS1_47radix_sort_onesweep_sort_config_static_selectorELNS0_4arch9wavefront6targetE1EEEvSI_ ; -- Begin function _ZN7rocprim17ROCPRIM_400000_NS6detail17trampoline_kernelINS0_14default_configENS1_35radix_sort_onesweep_config_selectorIssEEZZNS1_29radix_sort_onesweep_iterationIS3_Lb0EN6thrust23THRUST_200600_302600_NS6detail15normal_iteratorINS8_10device_ptrIsEEEESD_SD_SD_jNS0_19identity_decomposerENS1_16block_id_wrapperIjLb1EEEEE10hipError_tT1_PNSt15iterator_traitsISI_E10value_typeET2_T3_PNSJ_ISO_E10value_typeET4_T5_PST_SU_PNS1_23onesweep_lookback_stateEbbT6_jjT7_P12ihipStream_tbENKUlT_T0_SI_SN_E_clIPsSD_S15_SD_EEDaS11_S12_SI_SN_EUlS11_E_NS1_11comp_targetILNS1_3genE10ELNS1_11target_archE1201ELNS1_3gpuE5ELNS1_3repE0EEENS1_47radix_sort_onesweep_sort_config_static_selectorELNS0_4arch9wavefront6targetE1EEEvSI_
	.globl	_ZN7rocprim17ROCPRIM_400000_NS6detail17trampoline_kernelINS0_14default_configENS1_35radix_sort_onesweep_config_selectorIssEEZZNS1_29radix_sort_onesweep_iterationIS3_Lb0EN6thrust23THRUST_200600_302600_NS6detail15normal_iteratorINS8_10device_ptrIsEEEESD_SD_SD_jNS0_19identity_decomposerENS1_16block_id_wrapperIjLb1EEEEE10hipError_tT1_PNSt15iterator_traitsISI_E10value_typeET2_T3_PNSJ_ISO_E10value_typeET4_T5_PST_SU_PNS1_23onesweep_lookback_stateEbbT6_jjT7_P12ihipStream_tbENKUlT_T0_SI_SN_E_clIPsSD_S15_SD_EEDaS11_S12_SI_SN_EUlS11_E_NS1_11comp_targetILNS1_3genE10ELNS1_11target_archE1201ELNS1_3gpuE5ELNS1_3repE0EEENS1_47radix_sort_onesweep_sort_config_static_selectorELNS0_4arch9wavefront6targetE1EEEvSI_
	.p2align	8
	.type	_ZN7rocprim17ROCPRIM_400000_NS6detail17trampoline_kernelINS0_14default_configENS1_35radix_sort_onesweep_config_selectorIssEEZZNS1_29radix_sort_onesweep_iterationIS3_Lb0EN6thrust23THRUST_200600_302600_NS6detail15normal_iteratorINS8_10device_ptrIsEEEESD_SD_SD_jNS0_19identity_decomposerENS1_16block_id_wrapperIjLb1EEEEE10hipError_tT1_PNSt15iterator_traitsISI_E10value_typeET2_T3_PNSJ_ISO_E10value_typeET4_T5_PST_SU_PNS1_23onesweep_lookback_stateEbbT6_jjT7_P12ihipStream_tbENKUlT_T0_SI_SN_E_clIPsSD_S15_SD_EEDaS11_S12_SI_SN_EUlS11_E_NS1_11comp_targetILNS1_3genE10ELNS1_11target_archE1201ELNS1_3gpuE5ELNS1_3repE0EEENS1_47radix_sort_onesweep_sort_config_static_selectorELNS0_4arch9wavefront6targetE1EEEvSI_,@function
_ZN7rocprim17ROCPRIM_400000_NS6detail17trampoline_kernelINS0_14default_configENS1_35radix_sort_onesweep_config_selectorIssEEZZNS1_29radix_sort_onesweep_iterationIS3_Lb0EN6thrust23THRUST_200600_302600_NS6detail15normal_iteratorINS8_10device_ptrIsEEEESD_SD_SD_jNS0_19identity_decomposerENS1_16block_id_wrapperIjLb1EEEEE10hipError_tT1_PNSt15iterator_traitsISI_E10value_typeET2_T3_PNSJ_ISO_E10value_typeET4_T5_PST_SU_PNS1_23onesweep_lookback_stateEbbT6_jjT7_P12ihipStream_tbENKUlT_T0_SI_SN_E_clIPsSD_S15_SD_EEDaS11_S12_SI_SN_EUlS11_E_NS1_11comp_targetILNS1_3genE10ELNS1_11target_archE1201ELNS1_3gpuE5ELNS1_3repE0EEENS1_47radix_sort_onesweep_sort_config_static_selectorELNS0_4arch9wavefront6targetE1EEEvSI_: ; @_ZN7rocprim17ROCPRIM_400000_NS6detail17trampoline_kernelINS0_14default_configENS1_35radix_sort_onesweep_config_selectorIssEEZZNS1_29radix_sort_onesweep_iterationIS3_Lb0EN6thrust23THRUST_200600_302600_NS6detail15normal_iteratorINS8_10device_ptrIsEEEESD_SD_SD_jNS0_19identity_decomposerENS1_16block_id_wrapperIjLb1EEEEE10hipError_tT1_PNSt15iterator_traitsISI_E10value_typeET2_T3_PNSJ_ISO_E10value_typeET4_T5_PST_SU_PNS1_23onesweep_lookback_stateEbbT6_jjT7_P12ihipStream_tbENKUlT_T0_SI_SN_E_clIPsSD_S15_SD_EEDaS11_S12_SI_SN_EUlS11_E_NS1_11comp_targetILNS1_3genE10ELNS1_11target_archE1201ELNS1_3gpuE5ELNS1_3repE0EEENS1_47radix_sort_onesweep_sort_config_static_selectorELNS0_4arch9wavefront6targetE1EEEvSI_
; %bb.0:
	.section	.rodata,"a",@progbits
	.p2align	6, 0x0
	.amdhsa_kernel _ZN7rocprim17ROCPRIM_400000_NS6detail17trampoline_kernelINS0_14default_configENS1_35radix_sort_onesweep_config_selectorIssEEZZNS1_29radix_sort_onesweep_iterationIS3_Lb0EN6thrust23THRUST_200600_302600_NS6detail15normal_iteratorINS8_10device_ptrIsEEEESD_SD_SD_jNS0_19identity_decomposerENS1_16block_id_wrapperIjLb1EEEEE10hipError_tT1_PNSt15iterator_traitsISI_E10value_typeET2_T3_PNSJ_ISO_E10value_typeET4_T5_PST_SU_PNS1_23onesweep_lookback_stateEbbT6_jjT7_P12ihipStream_tbENKUlT_T0_SI_SN_E_clIPsSD_S15_SD_EEDaS11_S12_SI_SN_EUlS11_E_NS1_11comp_targetILNS1_3genE10ELNS1_11target_archE1201ELNS1_3gpuE5ELNS1_3repE0EEENS1_47radix_sort_onesweep_sort_config_static_selectorELNS0_4arch9wavefront6targetE1EEEvSI_
		.amdhsa_group_segment_fixed_size 0
		.amdhsa_private_segment_fixed_size 0
		.amdhsa_kernarg_size 88
		.amdhsa_user_sgpr_count 2
		.amdhsa_user_sgpr_dispatch_ptr 0
		.amdhsa_user_sgpr_queue_ptr 0
		.amdhsa_user_sgpr_kernarg_segment_ptr 1
		.amdhsa_user_sgpr_dispatch_id 0
		.amdhsa_user_sgpr_kernarg_preload_length 0
		.amdhsa_user_sgpr_kernarg_preload_offset 0
		.amdhsa_user_sgpr_private_segment_size 0
		.amdhsa_uses_dynamic_stack 0
		.amdhsa_enable_private_segment 0
		.amdhsa_system_sgpr_workgroup_id_x 1
		.amdhsa_system_sgpr_workgroup_id_y 0
		.amdhsa_system_sgpr_workgroup_id_z 0
		.amdhsa_system_sgpr_workgroup_info 0
		.amdhsa_system_vgpr_workitem_id 0
		.amdhsa_next_free_vgpr 1
		.amdhsa_next_free_sgpr 0
		.amdhsa_accum_offset 4
		.amdhsa_reserve_vcc 0
		.amdhsa_float_round_mode_32 0
		.amdhsa_float_round_mode_16_64 0
		.amdhsa_float_denorm_mode_32 3
		.amdhsa_float_denorm_mode_16_64 3
		.amdhsa_dx10_clamp 1
		.amdhsa_ieee_mode 1
		.amdhsa_fp16_overflow 0
		.amdhsa_tg_split 0
		.amdhsa_exception_fp_ieee_invalid_op 0
		.amdhsa_exception_fp_denorm_src 0
		.amdhsa_exception_fp_ieee_div_zero 0
		.amdhsa_exception_fp_ieee_overflow 0
		.amdhsa_exception_fp_ieee_underflow 0
		.amdhsa_exception_fp_ieee_inexact 0
		.amdhsa_exception_int_div_zero 0
	.end_amdhsa_kernel
	.section	.text._ZN7rocprim17ROCPRIM_400000_NS6detail17trampoline_kernelINS0_14default_configENS1_35radix_sort_onesweep_config_selectorIssEEZZNS1_29radix_sort_onesweep_iterationIS3_Lb0EN6thrust23THRUST_200600_302600_NS6detail15normal_iteratorINS8_10device_ptrIsEEEESD_SD_SD_jNS0_19identity_decomposerENS1_16block_id_wrapperIjLb1EEEEE10hipError_tT1_PNSt15iterator_traitsISI_E10value_typeET2_T3_PNSJ_ISO_E10value_typeET4_T5_PST_SU_PNS1_23onesweep_lookback_stateEbbT6_jjT7_P12ihipStream_tbENKUlT_T0_SI_SN_E_clIPsSD_S15_SD_EEDaS11_S12_SI_SN_EUlS11_E_NS1_11comp_targetILNS1_3genE10ELNS1_11target_archE1201ELNS1_3gpuE5ELNS1_3repE0EEENS1_47radix_sort_onesweep_sort_config_static_selectorELNS0_4arch9wavefront6targetE1EEEvSI_,"axG",@progbits,_ZN7rocprim17ROCPRIM_400000_NS6detail17trampoline_kernelINS0_14default_configENS1_35radix_sort_onesweep_config_selectorIssEEZZNS1_29radix_sort_onesweep_iterationIS3_Lb0EN6thrust23THRUST_200600_302600_NS6detail15normal_iteratorINS8_10device_ptrIsEEEESD_SD_SD_jNS0_19identity_decomposerENS1_16block_id_wrapperIjLb1EEEEE10hipError_tT1_PNSt15iterator_traitsISI_E10value_typeET2_T3_PNSJ_ISO_E10value_typeET4_T5_PST_SU_PNS1_23onesweep_lookback_stateEbbT6_jjT7_P12ihipStream_tbENKUlT_T0_SI_SN_E_clIPsSD_S15_SD_EEDaS11_S12_SI_SN_EUlS11_E_NS1_11comp_targetILNS1_3genE10ELNS1_11target_archE1201ELNS1_3gpuE5ELNS1_3repE0EEENS1_47radix_sort_onesweep_sort_config_static_selectorELNS0_4arch9wavefront6targetE1EEEvSI_,comdat
.Lfunc_end1666:
	.size	_ZN7rocprim17ROCPRIM_400000_NS6detail17trampoline_kernelINS0_14default_configENS1_35radix_sort_onesweep_config_selectorIssEEZZNS1_29radix_sort_onesweep_iterationIS3_Lb0EN6thrust23THRUST_200600_302600_NS6detail15normal_iteratorINS8_10device_ptrIsEEEESD_SD_SD_jNS0_19identity_decomposerENS1_16block_id_wrapperIjLb1EEEEE10hipError_tT1_PNSt15iterator_traitsISI_E10value_typeET2_T3_PNSJ_ISO_E10value_typeET4_T5_PST_SU_PNS1_23onesweep_lookback_stateEbbT6_jjT7_P12ihipStream_tbENKUlT_T0_SI_SN_E_clIPsSD_S15_SD_EEDaS11_S12_SI_SN_EUlS11_E_NS1_11comp_targetILNS1_3genE10ELNS1_11target_archE1201ELNS1_3gpuE5ELNS1_3repE0EEENS1_47radix_sort_onesweep_sort_config_static_selectorELNS0_4arch9wavefront6targetE1EEEvSI_, .Lfunc_end1666-_ZN7rocprim17ROCPRIM_400000_NS6detail17trampoline_kernelINS0_14default_configENS1_35radix_sort_onesweep_config_selectorIssEEZZNS1_29radix_sort_onesweep_iterationIS3_Lb0EN6thrust23THRUST_200600_302600_NS6detail15normal_iteratorINS8_10device_ptrIsEEEESD_SD_SD_jNS0_19identity_decomposerENS1_16block_id_wrapperIjLb1EEEEE10hipError_tT1_PNSt15iterator_traitsISI_E10value_typeET2_T3_PNSJ_ISO_E10value_typeET4_T5_PST_SU_PNS1_23onesweep_lookback_stateEbbT6_jjT7_P12ihipStream_tbENKUlT_T0_SI_SN_E_clIPsSD_S15_SD_EEDaS11_S12_SI_SN_EUlS11_E_NS1_11comp_targetILNS1_3genE10ELNS1_11target_archE1201ELNS1_3gpuE5ELNS1_3repE0EEENS1_47radix_sort_onesweep_sort_config_static_selectorELNS0_4arch9wavefront6targetE1EEEvSI_
                                        ; -- End function
	.set _ZN7rocprim17ROCPRIM_400000_NS6detail17trampoline_kernelINS0_14default_configENS1_35radix_sort_onesweep_config_selectorIssEEZZNS1_29radix_sort_onesweep_iterationIS3_Lb0EN6thrust23THRUST_200600_302600_NS6detail15normal_iteratorINS8_10device_ptrIsEEEESD_SD_SD_jNS0_19identity_decomposerENS1_16block_id_wrapperIjLb1EEEEE10hipError_tT1_PNSt15iterator_traitsISI_E10value_typeET2_T3_PNSJ_ISO_E10value_typeET4_T5_PST_SU_PNS1_23onesweep_lookback_stateEbbT6_jjT7_P12ihipStream_tbENKUlT_T0_SI_SN_E_clIPsSD_S15_SD_EEDaS11_S12_SI_SN_EUlS11_E_NS1_11comp_targetILNS1_3genE10ELNS1_11target_archE1201ELNS1_3gpuE5ELNS1_3repE0EEENS1_47radix_sort_onesweep_sort_config_static_selectorELNS0_4arch9wavefront6targetE1EEEvSI_.num_vgpr, 0
	.set _ZN7rocprim17ROCPRIM_400000_NS6detail17trampoline_kernelINS0_14default_configENS1_35radix_sort_onesweep_config_selectorIssEEZZNS1_29radix_sort_onesweep_iterationIS3_Lb0EN6thrust23THRUST_200600_302600_NS6detail15normal_iteratorINS8_10device_ptrIsEEEESD_SD_SD_jNS0_19identity_decomposerENS1_16block_id_wrapperIjLb1EEEEE10hipError_tT1_PNSt15iterator_traitsISI_E10value_typeET2_T3_PNSJ_ISO_E10value_typeET4_T5_PST_SU_PNS1_23onesweep_lookback_stateEbbT6_jjT7_P12ihipStream_tbENKUlT_T0_SI_SN_E_clIPsSD_S15_SD_EEDaS11_S12_SI_SN_EUlS11_E_NS1_11comp_targetILNS1_3genE10ELNS1_11target_archE1201ELNS1_3gpuE5ELNS1_3repE0EEENS1_47radix_sort_onesweep_sort_config_static_selectorELNS0_4arch9wavefront6targetE1EEEvSI_.num_agpr, 0
	.set _ZN7rocprim17ROCPRIM_400000_NS6detail17trampoline_kernelINS0_14default_configENS1_35radix_sort_onesweep_config_selectorIssEEZZNS1_29radix_sort_onesweep_iterationIS3_Lb0EN6thrust23THRUST_200600_302600_NS6detail15normal_iteratorINS8_10device_ptrIsEEEESD_SD_SD_jNS0_19identity_decomposerENS1_16block_id_wrapperIjLb1EEEEE10hipError_tT1_PNSt15iterator_traitsISI_E10value_typeET2_T3_PNSJ_ISO_E10value_typeET4_T5_PST_SU_PNS1_23onesweep_lookback_stateEbbT6_jjT7_P12ihipStream_tbENKUlT_T0_SI_SN_E_clIPsSD_S15_SD_EEDaS11_S12_SI_SN_EUlS11_E_NS1_11comp_targetILNS1_3genE10ELNS1_11target_archE1201ELNS1_3gpuE5ELNS1_3repE0EEENS1_47radix_sort_onesweep_sort_config_static_selectorELNS0_4arch9wavefront6targetE1EEEvSI_.numbered_sgpr, 0
	.set _ZN7rocprim17ROCPRIM_400000_NS6detail17trampoline_kernelINS0_14default_configENS1_35radix_sort_onesweep_config_selectorIssEEZZNS1_29radix_sort_onesweep_iterationIS3_Lb0EN6thrust23THRUST_200600_302600_NS6detail15normal_iteratorINS8_10device_ptrIsEEEESD_SD_SD_jNS0_19identity_decomposerENS1_16block_id_wrapperIjLb1EEEEE10hipError_tT1_PNSt15iterator_traitsISI_E10value_typeET2_T3_PNSJ_ISO_E10value_typeET4_T5_PST_SU_PNS1_23onesweep_lookback_stateEbbT6_jjT7_P12ihipStream_tbENKUlT_T0_SI_SN_E_clIPsSD_S15_SD_EEDaS11_S12_SI_SN_EUlS11_E_NS1_11comp_targetILNS1_3genE10ELNS1_11target_archE1201ELNS1_3gpuE5ELNS1_3repE0EEENS1_47radix_sort_onesweep_sort_config_static_selectorELNS0_4arch9wavefront6targetE1EEEvSI_.num_named_barrier, 0
	.set _ZN7rocprim17ROCPRIM_400000_NS6detail17trampoline_kernelINS0_14default_configENS1_35radix_sort_onesweep_config_selectorIssEEZZNS1_29radix_sort_onesweep_iterationIS3_Lb0EN6thrust23THRUST_200600_302600_NS6detail15normal_iteratorINS8_10device_ptrIsEEEESD_SD_SD_jNS0_19identity_decomposerENS1_16block_id_wrapperIjLb1EEEEE10hipError_tT1_PNSt15iterator_traitsISI_E10value_typeET2_T3_PNSJ_ISO_E10value_typeET4_T5_PST_SU_PNS1_23onesweep_lookback_stateEbbT6_jjT7_P12ihipStream_tbENKUlT_T0_SI_SN_E_clIPsSD_S15_SD_EEDaS11_S12_SI_SN_EUlS11_E_NS1_11comp_targetILNS1_3genE10ELNS1_11target_archE1201ELNS1_3gpuE5ELNS1_3repE0EEENS1_47radix_sort_onesweep_sort_config_static_selectorELNS0_4arch9wavefront6targetE1EEEvSI_.private_seg_size, 0
	.set _ZN7rocprim17ROCPRIM_400000_NS6detail17trampoline_kernelINS0_14default_configENS1_35radix_sort_onesweep_config_selectorIssEEZZNS1_29radix_sort_onesweep_iterationIS3_Lb0EN6thrust23THRUST_200600_302600_NS6detail15normal_iteratorINS8_10device_ptrIsEEEESD_SD_SD_jNS0_19identity_decomposerENS1_16block_id_wrapperIjLb1EEEEE10hipError_tT1_PNSt15iterator_traitsISI_E10value_typeET2_T3_PNSJ_ISO_E10value_typeET4_T5_PST_SU_PNS1_23onesweep_lookback_stateEbbT6_jjT7_P12ihipStream_tbENKUlT_T0_SI_SN_E_clIPsSD_S15_SD_EEDaS11_S12_SI_SN_EUlS11_E_NS1_11comp_targetILNS1_3genE10ELNS1_11target_archE1201ELNS1_3gpuE5ELNS1_3repE0EEENS1_47radix_sort_onesweep_sort_config_static_selectorELNS0_4arch9wavefront6targetE1EEEvSI_.uses_vcc, 0
	.set _ZN7rocprim17ROCPRIM_400000_NS6detail17trampoline_kernelINS0_14default_configENS1_35radix_sort_onesweep_config_selectorIssEEZZNS1_29radix_sort_onesweep_iterationIS3_Lb0EN6thrust23THRUST_200600_302600_NS6detail15normal_iteratorINS8_10device_ptrIsEEEESD_SD_SD_jNS0_19identity_decomposerENS1_16block_id_wrapperIjLb1EEEEE10hipError_tT1_PNSt15iterator_traitsISI_E10value_typeET2_T3_PNSJ_ISO_E10value_typeET4_T5_PST_SU_PNS1_23onesweep_lookback_stateEbbT6_jjT7_P12ihipStream_tbENKUlT_T0_SI_SN_E_clIPsSD_S15_SD_EEDaS11_S12_SI_SN_EUlS11_E_NS1_11comp_targetILNS1_3genE10ELNS1_11target_archE1201ELNS1_3gpuE5ELNS1_3repE0EEENS1_47radix_sort_onesweep_sort_config_static_selectorELNS0_4arch9wavefront6targetE1EEEvSI_.uses_flat_scratch, 0
	.set _ZN7rocprim17ROCPRIM_400000_NS6detail17trampoline_kernelINS0_14default_configENS1_35radix_sort_onesweep_config_selectorIssEEZZNS1_29radix_sort_onesweep_iterationIS3_Lb0EN6thrust23THRUST_200600_302600_NS6detail15normal_iteratorINS8_10device_ptrIsEEEESD_SD_SD_jNS0_19identity_decomposerENS1_16block_id_wrapperIjLb1EEEEE10hipError_tT1_PNSt15iterator_traitsISI_E10value_typeET2_T3_PNSJ_ISO_E10value_typeET4_T5_PST_SU_PNS1_23onesweep_lookback_stateEbbT6_jjT7_P12ihipStream_tbENKUlT_T0_SI_SN_E_clIPsSD_S15_SD_EEDaS11_S12_SI_SN_EUlS11_E_NS1_11comp_targetILNS1_3genE10ELNS1_11target_archE1201ELNS1_3gpuE5ELNS1_3repE0EEENS1_47radix_sort_onesweep_sort_config_static_selectorELNS0_4arch9wavefront6targetE1EEEvSI_.has_dyn_sized_stack, 0
	.set _ZN7rocprim17ROCPRIM_400000_NS6detail17trampoline_kernelINS0_14default_configENS1_35radix_sort_onesweep_config_selectorIssEEZZNS1_29radix_sort_onesweep_iterationIS3_Lb0EN6thrust23THRUST_200600_302600_NS6detail15normal_iteratorINS8_10device_ptrIsEEEESD_SD_SD_jNS0_19identity_decomposerENS1_16block_id_wrapperIjLb1EEEEE10hipError_tT1_PNSt15iterator_traitsISI_E10value_typeET2_T3_PNSJ_ISO_E10value_typeET4_T5_PST_SU_PNS1_23onesweep_lookback_stateEbbT6_jjT7_P12ihipStream_tbENKUlT_T0_SI_SN_E_clIPsSD_S15_SD_EEDaS11_S12_SI_SN_EUlS11_E_NS1_11comp_targetILNS1_3genE10ELNS1_11target_archE1201ELNS1_3gpuE5ELNS1_3repE0EEENS1_47radix_sort_onesweep_sort_config_static_selectorELNS0_4arch9wavefront6targetE1EEEvSI_.has_recursion, 0
	.set _ZN7rocprim17ROCPRIM_400000_NS6detail17trampoline_kernelINS0_14default_configENS1_35radix_sort_onesweep_config_selectorIssEEZZNS1_29radix_sort_onesweep_iterationIS3_Lb0EN6thrust23THRUST_200600_302600_NS6detail15normal_iteratorINS8_10device_ptrIsEEEESD_SD_SD_jNS0_19identity_decomposerENS1_16block_id_wrapperIjLb1EEEEE10hipError_tT1_PNSt15iterator_traitsISI_E10value_typeET2_T3_PNSJ_ISO_E10value_typeET4_T5_PST_SU_PNS1_23onesweep_lookback_stateEbbT6_jjT7_P12ihipStream_tbENKUlT_T0_SI_SN_E_clIPsSD_S15_SD_EEDaS11_S12_SI_SN_EUlS11_E_NS1_11comp_targetILNS1_3genE10ELNS1_11target_archE1201ELNS1_3gpuE5ELNS1_3repE0EEENS1_47radix_sort_onesweep_sort_config_static_selectorELNS0_4arch9wavefront6targetE1EEEvSI_.has_indirect_call, 0
	.section	.AMDGPU.csdata,"",@progbits
; Kernel info:
; codeLenInByte = 0
; TotalNumSgprs: 6
; NumVgprs: 0
; NumAgprs: 0
; TotalNumVgprs: 0
; ScratchSize: 0
; MemoryBound: 0
; FloatMode: 240
; IeeeMode: 1
; LDSByteSize: 0 bytes/workgroup (compile time only)
; SGPRBlocks: 0
; VGPRBlocks: 0
; NumSGPRsForWavesPerEU: 6
; NumVGPRsForWavesPerEU: 1
; AccumOffset: 4
; Occupancy: 8
; WaveLimiterHint : 0
; COMPUTE_PGM_RSRC2:SCRATCH_EN: 0
; COMPUTE_PGM_RSRC2:USER_SGPR: 2
; COMPUTE_PGM_RSRC2:TRAP_HANDLER: 0
; COMPUTE_PGM_RSRC2:TGID_X_EN: 1
; COMPUTE_PGM_RSRC2:TGID_Y_EN: 0
; COMPUTE_PGM_RSRC2:TGID_Z_EN: 0
; COMPUTE_PGM_RSRC2:TIDIG_COMP_CNT: 0
; COMPUTE_PGM_RSRC3_GFX90A:ACCUM_OFFSET: 0
; COMPUTE_PGM_RSRC3_GFX90A:TG_SPLIT: 0
	.section	.text._ZN7rocprim17ROCPRIM_400000_NS6detail17trampoline_kernelINS0_14default_configENS1_35radix_sort_onesweep_config_selectorIssEEZZNS1_29radix_sort_onesweep_iterationIS3_Lb0EN6thrust23THRUST_200600_302600_NS6detail15normal_iteratorINS8_10device_ptrIsEEEESD_SD_SD_jNS0_19identity_decomposerENS1_16block_id_wrapperIjLb1EEEEE10hipError_tT1_PNSt15iterator_traitsISI_E10value_typeET2_T3_PNSJ_ISO_E10value_typeET4_T5_PST_SU_PNS1_23onesweep_lookback_stateEbbT6_jjT7_P12ihipStream_tbENKUlT_T0_SI_SN_E_clIPsSD_S15_SD_EEDaS11_S12_SI_SN_EUlS11_E_NS1_11comp_targetILNS1_3genE9ELNS1_11target_archE1100ELNS1_3gpuE3ELNS1_3repE0EEENS1_47radix_sort_onesweep_sort_config_static_selectorELNS0_4arch9wavefront6targetE1EEEvSI_,"axG",@progbits,_ZN7rocprim17ROCPRIM_400000_NS6detail17trampoline_kernelINS0_14default_configENS1_35radix_sort_onesweep_config_selectorIssEEZZNS1_29radix_sort_onesweep_iterationIS3_Lb0EN6thrust23THRUST_200600_302600_NS6detail15normal_iteratorINS8_10device_ptrIsEEEESD_SD_SD_jNS0_19identity_decomposerENS1_16block_id_wrapperIjLb1EEEEE10hipError_tT1_PNSt15iterator_traitsISI_E10value_typeET2_T3_PNSJ_ISO_E10value_typeET4_T5_PST_SU_PNS1_23onesweep_lookback_stateEbbT6_jjT7_P12ihipStream_tbENKUlT_T0_SI_SN_E_clIPsSD_S15_SD_EEDaS11_S12_SI_SN_EUlS11_E_NS1_11comp_targetILNS1_3genE9ELNS1_11target_archE1100ELNS1_3gpuE3ELNS1_3repE0EEENS1_47radix_sort_onesweep_sort_config_static_selectorELNS0_4arch9wavefront6targetE1EEEvSI_,comdat
	.protected	_ZN7rocprim17ROCPRIM_400000_NS6detail17trampoline_kernelINS0_14default_configENS1_35radix_sort_onesweep_config_selectorIssEEZZNS1_29radix_sort_onesweep_iterationIS3_Lb0EN6thrust23THRUST_200600_302600_NS6detail15normal_iteratorINS8_10device_ptrIsEEEESD_SD_SD_jNS0_19identity_decomposerENS1_16block_id_wrapperIjLb1EEEEE10hipError_tT1_PNSt15iterator_traitsISI_E10value_typeET2_T3_PNSJ_ISO_E10value_typeET4_T5_PST_SU_PNS1_23onesweep_lookback_stateEbbT6_jjT7_P12ihipStream_tbENKUlT_T0_SI_SN_E_clIPsSD_S15_SD_EEDaS11_S12_SI_SN_EUlS11_E_NS1_11comp_targetILNS1_3genE9ELNS1_11target_archE1100ELNS1_3gpuE3ELNS1_3repE0EEENS1_47radix_sort_onesweep_sort_config_static_selectorELNS0_4arch9wavefront6targetE1EEEvSI_ ; -- Begin function _ZN7rocprim17ROCPRIM_400000_NS6detail17trampoline_kernelINS0_14default_configENS1_35radix_sort_onesweep_config_selectorIssEEZZNS1_29radix_sort_onesweep_iterationIS3_Lb0EN6thrust23THRUST_200600_302600_NS6detail15normal_iteratorINS8_10device_ptrIsEEEESD_SD_SD_jNS0_19identity_decomposerENS1_16block_id_wrapperIjLb1EEEEE10hipError_tT1_PNSt15iterator_traitsISI_E10value_typeET2_T3_PNSJ_ISO_E10value_typeET4_T5_PST_SU_PNS1_23onesweep_lookback_stateEbbT6_jjT7_P12ihipStream_tbENKUlT_T0_SI_SN_E_clIPsSD_S15_SD_EEDaS11_S12_SI_SN_EUlS11_E_NS1_11comp_targetILNS1_3genE9ELNS1_11target_archE1100ELNS1_3gpuE3ELNS1_3repE0EEENS1_47radix_sort_onesweep_sort_config_static_selectorELNS0_4arch9wavefront6targetE1EEEvSI_
	.globl	_ZN7rocprim17ROCPRIM_400000_NS6detail17trampoline_kernelINS0_14default_configENS1_35radix_sort_onesweep_config_selectorIssEEZZNS1_29radix_sort_onesweep_iterationIS3_Lb0EN6thrust23THRUST_200600_302600_NS6detail15normal_iteratorINS8_10device_ptrIsEEEESD_SD_SD_jNS0_19identity_decomposerENS1_16block_id_wrapperIjLb1EEEEE10hipError_tT1_PNSt15iterator_traitsISI_E10value_typeET2_T3_PNSJ_ISO_E10value_typeET4_T5_PST_SU_PNS1_23onesweep_lookback_stateEbbT6_jjT7_P12ihipStream_tbENKUlT_T0_SI_SN_E_clIPsSD_S15_SD_EEDaS11_S12_SI_SN_EUlS11_E_NS1_11comp_targetILNS1_3genE9ELNS1_11target_archE1100ELNS1_3gpuE3ELNS1_3repE0EEENS1_47radix_sort_onesweep_sort_config_static_selectorELNS0_4arch9wavefront6targetE1EEEvSI_
	.p2align	8
	.type	_ZN7rocprim17ROCPRIM_400000_NS6detail17trampoline_kernelINS0_14default_configENS1_35radix_sort_onesweep_config_selectorIssEEZZNS1_29radix_sort_onesweep_iterationIS3_Lb0EN6thrust23THRUST_200600_302600_NS6detail15normal_iteratorINS8_10device_ptrIsEEEESD_SD_SD_jNS0_19identity_decomposerENS1_16block_id_wrapperIjLb1EEEEE10hipError_tT1_PNSt15iterator_traitsISI_E10value_typeET2_T3_PNSJ_ISO_E10value_typeET4_T5_PST_SU_PNS1_23onesweep_lookback_stateEbbT6_jjT7_P12ihipStream_tbENKUlT_T0_SI_SN_E_clIPsSD_S15_SD_EEDaS11_S12_SI_SN_EUlS11_E_NS1_11comp_targetILNS1_3genE9ELNS1_11target_archE1100ELNS1_3gpuE3ELNS1_3repE0EEENS1_47radix_sort_onesweep_sort_config_static_selectorELNS0_4arch9wavefront6targetE1EEEvSI_,@function
_ZN7rocprim17ROCPRIM_400000_NS6detail17trampoline_kernelINS0_14default_configENS1_35radix_sort_onesweep_config_selectorIssEEZZNS1_29radix_sort_onesweep_iterationIS3_Lb0EN6thrust23THRUST_200600_302600_NS6detail15normal_iteratorINS8_10device_ptrIsEEEESD_SD_SD_jNS0_19identity_decomposerENS1_16block_id_wrapperIjLb1EEEEE10hipError_tT1_PNSt15iterator_traitsISI_E10value_typeET2_T3_PNSJ_ISO_E10value_typeET4_T5_PST_SU_PNS1_23onesweep_lookback_stateEbbT6_jjT7_P12ihipStream_tbENKUlT_T0_SI_SN_E_clIPsSD_S15_SD_EEDaS11_S12_SI_SN_EUlS11_E_NS1_11comp_targetILNS1_3genE9ELNS1_11target_archE1100ELNS1_3gpuE3ELNS1_3repE0EEENS1_47radix_sort_onesweep_sort_config_static_selectorELNS0_4arch9wavefront6targetE1EEEvSI_: ; @_ZN7rocprim17ROCPRIM_400000_NS6detail17trampoline_kernelINS0_14default_configENS1_35radix_sort_onesweep_config_selectorIssEEZZNS1_29radix_sort_onesweep_iterationIS3_Lb0EN6thrust23THRUST_200600_302600_NS6detail15normal_iteratorINS8_10device_ptrIsEEEESD_SD_SD_jNS0_19identity_decomposerENS1_16block_id_wrapperIjLb1EEEEE10hipError_tT1_PNSt15iterator_traitsISI_E10value_typeET2_T3_PNSJ_ISO_E10value_typeET4_T5_PST_SU_PNS1_23onesweep_lookback_stateEbbT6_jjT7_P12ihipStream_tbENKUlT_T0_SI_SN_E_clIPsSD_S15_SD_EEDaS11_S12_SI_SN_EUlS11_E_NS1_11comp_targetILNS1_3genE9ELNS1_11target_archE1100ELNS1_3gpuE3ELNS1_3repE0EEENS1_47radix_sort_onesweep_sort_config_static_selectorELNS0_4arch9wavefront6targetE1EEEvSI_
; %bb.0:
	.section	.rodata,"a",@progbits
	.p2align	6, 0x0
	.amdhsa_kernel _ZN7rocprim17ROCPRIM_400000_NS6detail17trampoline_kernelINS0_14default_configENS1_35radix_sort_onesweep_config_selectorIssEEZZNS1_29radix_sort_onesweep_iterationIS3_Lb0EN6thrust23THRUST_200600_302600_NS6detail15normal_iteratorINS8_10device_ptrIsEEEESD_SD_SD_jNS0_19identity_decomposerENS1_16block_id_wrapperIjLb1EEEEE10hipError_tT1_PNSt15iterator_traitsISI_E10value_typeET2_T3_PNSJ_ISO_E10value_typeET4_T5_PST_SU_PNS1_23onesweep_lookback_stateEbbT6_jjT7_P12ihipStream_tbENKUlT_T0_SI_SN_E_clIPsSD_S15_SD_EEDaS11_S12_SI_SN_EUlS11_E_NS1_11comp_targetILNS1_3genE9ELNS1_11target_archE1100ELNS1_3gpuE3ELNS1_3repE0EEENS1_47radix_sort_onesweep_sort_config_static_selectorELNS0_4arch9wavefront6targetE1EEEvSI_
		.amdhsa_group_segment_fixed_size 0
		.amdhsa_private_segment_fixed_size 0
		.amdhsa_kernarg_size 88
		.amdhsa_user_sgpr_count 2
		.amdhsa_user_sgpr_dispatch_ptr 0
		.amdhsa_user_sgpr_queue_ptr 0
		.amdhsa_user_sgpr_kernarg_segment_ptr 1
		.amdhsa_user_sgpr_dispatch_id 0
		.amdhsa_user_sgpr_kernarg_preload_length 0
		.amdhsa_user_sgpr_kernarg_preload_offset 0
		.amdhsa_user_sgpr_private_segment_size 0
		.amdhsa_uses_dynamic_stack 0
		.amdhsa_enable_private_segment 0
		.amdhsa_system_sgpr_workgroup_id_x 1
		.amdhsa_system_sgpr_workgroup_id_y 0
		.amdhsa_system_sgpr_workgroup_id_z 0
		.amdhsa_system_sgpr_workgroup_info 0
		.amdhsa_system_vgpr_workitem_id 0
		.amdhsa_next_free_vgpr 1
		.amdhsa_next_free_sgpr 0
		.amdhsa_accum_offset 4
		.amdhsa_reserve_vcc 0
		.amdhsa_float_round_mode_32 0
		.amdhsa_float_round_mode_16_64 0
		.amdhsa_float_denorm_mode_32 3
		.amdhsa_float_denorm_mode_16_64 3
		.amdhsa_dx10_clamp 1
		.amdhsa_ieee_mode 1
		.amdhsa_fp16_overflow 0
		.amdhsa_tg_split 0
		.amdhsa_exception_fp_ieee_invalid_op 0
		.amdhsa_exception_fp_denorm_src 0
		.amdhsa_exception_fp_ieee_div_zero 0
		.amdhsa_exception_fp_ieee_overflow 0
		.amdhsa_exception_fp_ieee_underflow 0
		.amdhsa_exception_fp_ieee_inexact 0
		.amdhsa_exception_int_div_zero 0
	.end_amdhsa_kernel
	.section	.text._ZN7rocprim17ROCPRIM_400000_NS6detail17trampoline_kernelINS0_14default_configENS1_35radix_sort_onesweep_config_selectorIssEEZZNS1_29radix_sort_onesweep_iterationIS3_Lb0EN6thrust23THRUST_200600_302600_NS6detail15normal_iteratorINS8_10device_ptrIsEEEESD_SD_SD_jNS0_19identity_decomposerENS1_16block_id_wrapperIjLb1EEEEE10hipError_tT1_PNSt15iterator_traitsISI_E10value_typeET2_T3_PNSJ_ISO_E10value_typeET4_T5_PST_SU_PNS1_23onesweep_lookback_stateEbbT6_jjT7_P12ihipStream_tbENKUlT_T0_SI_SN_E_clIPsSD_S15_SD_EEDaS11_S12_SI_SN_EUlS11_E_NS1_11comp_targetILNS1_3genE9ELNS1_11target_archE1100ELNS1_3gpuE3ELNS1_3repE0EEENS1_47radix_sort_onesweep_sort_config_static_selectorELNS0_4arch9wavefront6targetE1EEEvSI_,"axG",@progbits,_ZN7rocprim17ROCPRIM_400000_NS6detail17trampoline_kernelINS0_14default_configENS1_35radix_sort_onesweep_config_selectorIssEEZZNS1_29radix_sort_onesweep_iterationIS3_Lb0EN6thrust23THRUST_200600_302600_NS6detail15normal_iteratorINS8_10device_ptrIsEEEESD_SD_SD_jNS0_19identity_decomposerENS1_16block_id_wrapperIjLb1EEEEE10hipError_tT1_PNSt15iterator_traitsISI_E10value_typeET2_T3_PNSJ_ISO_E10value_typeET4_T5_PST_SU_PNS1_23onesweep_lookback_stateEbbT6_jjT7_P12ihipStream_tbENKUlT_T0_SI_SN_E_clIPsSD_S15_SD_EEDaS11_S12_SI_SN_EUlS11_E_NS1_11comp_targetILNS1_3genE9ELNS1_11target_archE1100ELNS1_3gpuE3ELNS1_3repE0EEENS1_47radix_sort_onesweep_sort_config_static_selectorELNS0_4arch9wavefront6targetE1EEEvSI_,comdat
.Lfunc_end1667:
	.size	_ZN7rocprim17ROCPRIM_400000_NS6detail17trampoline_kernelINS0_14default_configENS1_35radix_sort_onesweep_config_selectorIssEEZZNS1_29radix_sort_onesweep_iterationIS3_Lb0EN6thrust23THRUST_200600_302600_NS6detail15normal_iteratorINS8_10device_ptrIsEEEESD_SD_SD_jNS0_19identity_decomposerENS1_16block_id_wrapperIjLb1EEEEE10hipError_tT1_PNSt15iterator_traitsISI_E10value_typeET2_T3_PNSJ_ISO_E10value_typeET4_T5_PST_SU_PNS1_23onesweep_lookback_stateEbbT6_jjT7_P12ihipStream_tbENKUlT_T0_SI_SN_E_clIPsSD_S15_SD_EEDaS11_S12_SI_SN_EUlS11_E_NS1_11comp_targetILNS1_3genE9ELNS1_11target_archE1100ELNS1_3gpuE3ELNS1_3repE0EEENS1_47radix_sort_onesweep_sort_config_static_selectorELNS0_4arch9wavefront6targetE1EEEvSI_, .Lfunc_end1667-_ZN7rocprim17ROCPRIM_400000_NS6detail17trampoline_kernelINS0_14default_configENS1_35radix_sort_onesweep_config_selectorIssEEZZNS1_29radix_sort_onesweep_iterationIS3_Lb0EN6thrust23THRUST_200600_302600_NS6detail15normal_iteratorINS8_10device_ptrIsEEEESD_SD_SD_jNS0_19identity_decomposerENS1_16block_id_wrapperIjLb1EEEEE10hipError_tT1_PNSt15iterator_traitsISI_E10value_typeET2_T3_PNSJ_ISO_E10value_typeET4_T5_PST_SU_PNS1_23onesweep_lookback_stateEbbT6_jjT7_P12ihipStream_tbENKUlT_T0_SI_SN_E_clIPsSD_S15_SD_EEDaS11_S12_SI_SN_EUlS11_E_NS1_11comp_targetILNS1_3genE9ELNS1_11target_archE1100ELNS1_3gpuE3ELNS1_3repE0EEENS1_47radix_sort_onesweep_sort_config_static_selectorELNS0_4arch9wavefront6targetE1EEEvSI_
                                        ; -- End function
	.set _ZN7rocprim17ROCPRIM_400000_NS6detail17trampoline_kernelINS0_14default_configENS1_35radix_sort_onesweep_config_selectorIssEEZZNS1_29radix_sort_onesweep_iterationIS3_Lb0EN6thrust23THRUST_200600_302600_NS6detail15normal_iteratorINS8_10device_ptrIsEEEESD_SD_SD_jNS0_19identity_decomposerENS1_16block_id_wrapperIjLb1EEEEE10hipError_tT1_PNSt15iterator_traitsISI_E10value_typeET2_T3_PNSJ_ISO_E10value_typeET4_T5_PST_SU_PNS1_23onesweep_lookback_stateEbbT6_jjT7_P12ihipStream_tbENKUlT_T0_SI_SN_E_clIPsSD_S15_SD_EEDaS11_S12_SI_SN_EUlS11_E_NS1_11comp_targetILNS1_3genE9ELNS1_11target_archE1100ELNS1_3gpuE3ELNS1_3repE0EEENS1_47radix_sort_onesweep_sort_config_static_selectorELNS0_4arch9wavefront6targetE1EEEvSI_.num_vgpr, 0
	.set _ZN7rocprim17ROCPRIM_400000_NS6detail17trampoline_kernelINS0_14default_configENS1_35radix_sort_onesweep_config_selectorIssEEZZNS1_29radix_sort_onesweep_iterationIS3_Lb0EN6thrust23THRUST_200600_302600_NS6detail15normal_iteratorINS8_10device_ptrIsEEEESD_SD_SD_jNS0_19identity_decomposerENS1_16block_id_wrapperIjLb1EEEEE10hipError_tT1_PNSt15iterator_traitsISI_E10value_typeET2_T3_PNSJ_ISO_E10value_typeET4_T5_PST_SU_PNS1_23onesweep_lookback_stateEbbT6_jjT7_P12ihipStream_tbENKUlT_T0_SI_SN_E_clIPsSD_S15_SD_EEDaS11_S12_SI_SN_EUlS11_E_NS1_11comp_targetILNS1_3genE9ELNS1_11target_archE1100ELNS1_3gpuE3ELNS1_3repE0EEENS1_47radix_sort_onesweep_sort_config_static_selectorELNS0_4arch9wavefront6targetE1EEEvSI_.num_agpr, 0
	.set _ZN7rocprim17ROCPRIM_400000_NS6detail17trampoline_kernelINS0_14default_configENS1_35radix_sort_onesweep_config_selectorIssEEZZNS1_29radix_sort_onesweep_iterationIS3_Lb0EN6thrust23THRUST_200600_302600_NS6detail15normal_iteratorINS8_10device_ptrIsEEEESD_SD_SD_jNS0_19identity_decomposerENS1_16block_id_wrapperIjLb1EEEEE10hipError_tT1_PNSt15iterator_traitsISI_E10value_typeET2_T3_PNSJ_ISO_E10value_typeET4_T5_PST_SU_PNS1_23onesweep_lookback_stateEbbT6_jjT7_P12ihipStream_tbENKUlT_T0_SI_SN_E_clIPsSD_S15_SD_EEDaS11_S12_SI_SN_EUlS11_E_NS1_11comp_targetILNS1_3genE9ELNS1_11target_archE1100ELNS1_3gpuE3ELNS1_3repE0EEENS1_47radix_sort_onesweep_sort_config_static_selectorELNS0_4arch9wavefront6targetE1EEEvSI_.numbered_sgpr, 0
	.set _ZN7rocprim17ROCPRIM_400000_NS6detail17trampoline_kernelINS0_14default_configENS1_35radix_sort_onesweep_config_selectorIssEEZZNS1_29radix_sort_onesweep_iterationIS3_Lb0EN6thrust23THRUST_200600_302600_NS6detail15normal_iteratorINS8_10device_ptrIsEEEESD_SD_SD_jNS0_19identity_decomposerENS1_16block_id_wrapperIjLb1EEEEE10hipError_tT1_PNSt15iterator_traitsISI_E10value_typeET2_T3_PNSJ_ISO_E10value_typeET4_T5_PST_SU_PNS1_23onesweep_lookback_stateEbbT6_jjT7_P12ihipStream_tbENKUlT_T0_SI_SN_E_clIPsSD_S15_SD_EEDaS11_S12_SI_SN_EUlS11_E_NS1_11comp_targetILNS1_3genE9ELNS1_11target_archE1100ELNS1_3gpuE3ELNS1_3repE0EEENS1_47radix_sort_onesweep_sort_config_static_selectorELNS0_4arch9wavefront6targetE1EEEvSI_.num_named_barrier, 0
	.set _ZN7rocprim17ROCPRIM_400000_NS6detail17trampoline_kernelINS0_14default_configENS1_35radix_sort_onesweep_config_selectorIssEEZZNS1_29radix_sort_onesweep_iterationIS3_Lb0EN6thrust23THRUST_200600_302600_NS6detail15normal_iteratorINS8_10device_ptrIsEEEESD_SD_SD_jNS0_19identity_decomposerENS1_16block_id_wrapperIjLb1EEEEE10hipError_tT1_PNSt15iterator_traitsISI_E10value_typeET2_T3_PNSJ_ISO_E10value_typeET4_T5_PST_SU_PNS1_23onesweep_lookback_stateEbbT6_jjT7_P12ihipStream_tbENKUlT_T0_SI_SN_E_clIPsSD_S15_SD_EEDaS11_S12_SI_SN_EUlS11_E_NS1_11comp_targetILNS1_3genE9ELNS1_11target_archE1100ELNS1_3gpuE3ELNS1_3repE0EEENS1_47radix_sort_onesweep_sort_config_static_selectorELNS0_4arch9wavefront6targetE1EEEvSI_.private_seg_size, 0
	.set _ZN7rocprim17ROCPRIM_400000_NS6detail17trampoline_kernelINS0_14default_configENS1_35radix_sort_onesweep_config_selectorIssEEZZNS1_29radix_sort_onesweep_iterationIS3_Lb0EN6thrust23THRUST_200600_302600_NS6detail15normal_iteratorINS8_10device_ptrIsEEEESD_SD_SD_jNS0_19identity_decomposerENS1_16block_id_wrapperIjLb1EEEEE10hipError_tT1_PNSt15iterator_traitsISI_E10value_typeET2_T3_PNSJ_ISO_E10value_typeET4_T5_PST_SU_PNS1_23onesweep_lookback_stateEbbT6_jjT7_P12ihipStream_tbENKUlT_T0_SI_SN_E_clIPsSD_S15_SD_EEDaS11_S12_SI_SN_EUlS11_E_NS1_11comp_targetILNS1_3genE9ELNS1_11target_archE1100ELNS1_3gpuE3ELNS1_3repE0EEENS1_47radix_sort_onesweep_sort_config_static_selectorELNS0_4arch9wavefront6targetE1EEEvSI_.uses_vcc, 0
	.set _ZN7rocprim17ROCPRIM_400000_NS6detail17trampoline_kernelINS0_14default_configENS1_35radix_sort_onesweep_config_selectorIssEEZZNS1_29radix_sort_onesweep_iterationIS3_Lb0EN6thrust23THRUST_200600_302600_NS6detail15normal_iteratorINS8_10device_ptrIsEEEESD_SD_SD_jNS0_19identity_decomposerENS1_16block_id_wrapperIjLb1EEEEE10hipError_tT1_PNSt15iterator_traitsISI_E10value_typeET2_T3_PNSJ_ISO_E10value_typeET4_T5_PST_SU_PNS1_23onesweep_lookback_stateEbbT6_jjT7_P12ihipStream_tbENKUlT_T0_SI_SN_E_clIPsSD_S15_SD_EEDaS11_S12_SI_SN_EUlS11_E_NS1_11comp_targetILNS1_3genE9ELNS1_11target_archE1100ELNS1_3gpuE3ELNS1_3repE0EEENS1_47radix_sort_onesweep_sort_config_static_selectorELNS0_4arch9wavefront6targetE1EEEvSI_.uses_flat_scratch, 0
	.set _ZN7rocprim17ROCPRIM_400000_NS6detail17trampoline_kernelINS0_14default_configENS1_35radix_sort_onesweep_config_selectorIssEEZZNS1_29radix_sort_onesweep_iterationIS3_Lb0EN6thrust23THRUST_200600_302600_NS6detail15normal_iteratorINS8_10device_ptrIsEEEESD_SD_SD_jNS0_19identity_decomposerENS1_16block_id_wrapperIjLb1EEEEE10hipError_tT1_PNSt15iterator_traitsISI_E10value_typeET2_T3_PNSJ_ISO_E10value_typeET4_T5_PST_SU_PNS1_23onesweep_lookback_stateEbbT6_jjT7_P12ihipStream_tbENKUlT_T0_SI_SN_E_clIPsSD_S15_SD_EEDaS11_S12_SI_SN_EUlS11_E_NS1_11comp_targetILNS1_3genE9ELNS1_11target_archE1100ELNS1_3gpuE3ELNS1_3repE0EEENS1_47radix_sort_onesweep_sort_config_static_selectorELNS0_4arch9wavefront6targetE1EEEvSI_.has_dyn_sized_stack, 0
	.set _ZN7rocprim17ROCPRIM_400000_NS6detail17trampoline_kernelINS0_14default_configENS1_35radix_sort_onesweep_config_selectorIssEEZZNS1_29radix_sort_onesweep_iterationIS3_Lb0EN6thrust23THRUST_200600_302600_NS6detail15normal_iteratorINS8_10device_ptrIsEEEESD_SD_SD_jNS0_19identity_decomposerENS1_16block_id_wrapperIjLb1EEEEE10hipError_tT1_PNSt15iterator_traitsISI_E10value_typeET2_T3_PNSJ_ISO_E10value_typeET4_T5_PST_SU_PNS1_23onesweep_lookback_stateEbbT6_jjT7_P12ihipStream_tbENKUlT_T0_SI_SN_E_clIPsSD_S15_SD_EEDaS11_S12_SI_SN_EUlS11_E_NS1_11comp_targetILNS1_3genE9ELNS1_11target_archE1100ELNS1_3gpuE3ELNS1_3repE0EEENS1_47radix_sort_onesweep_sort_config_static_selectorELNS0_4arch9wavefront6targetE1EEEvSI_.has_recursion, 0
	.set _ZN7rocprim17ROCPRIM_400000_NS6detail17trampoline_kernelINS0_14default_configENS1_35radix_sort_onesweep_config_selectorIssEEZZNS1_29radix_sort_onesweep_iterationIS3_Lb0EN6thrust23THRUST_200600_302600_NS6detail15normal_iteratorINS8_10device_ptrIsEEEESD_SD_SD_jNS0_19identity_decomposerENS1_16block_id_wrapperIjLb1EEEEE10hipError_tT1_PNSt15iterator_traitsISI_E10value_typeET2_T3_PNSJ_ISO_E10value_typeET4_T5_PST_SU_PNS1_23onesweep_lookback_stateEbbT6_jjT7_P12ihipStream_tbENKUlT_T0_SI_SN_E_clIPsSD_S15_SD_EEDaS11_S12_SI_SN_EUlS11_E_NS1_11comp_targetILNS1_3genE9ELNS1_11target_archE1100ELNS1_3gpuE3ELNS1_3repE0EEENS1_47radix_sort_onesweep_sort_config_static_selectorELNS0_4arch9wavefront6targetE1EEEvSI_.has_indirect_call, 0
	.section	.AMDGPU.csdata,"",@progbits
; Kernel info:
; codeLenInByte = 0
; TotalNumSgprs: 6
; NumVgprs: 0
; NumAgprs: 0
; TotalNumVgprs: 0
; ScratchSize: 0
; MemoryBound: 0
; FloatMode: 240
; IeeeMode: 1
; LDSByteSize: 0 bytes/workgroup (compile time only)
; SGPRBlocks: 0
; VGPRBlocks: 0
; NumSGPRsForWavesPerEU: 6
; NumVGPRsForWavesPerEU: 1
; AccumOffset: 4
; Occupancy: 8
; WaveLimiterHint : 0
; COMPUTE_PGM_RSRC2:SCRATCH_EN: 0
; COMPUTE_PGM_RSRC2:USER_SGPR: 2
; COMPUTE_PGM_RSRC2:TRAP_HANDLER: 0
; COMPUTE_PGM_RSRC2:TGID_X_EN: 1
; COMPUTE_PGM_RSRC2:TGID_Y_EN: 0
; COMPUTE_PGM_RSRC2:TGID_Z_EN: 0
; COMPUTE_PGM_RSRC2:TIDIG_COMP_CNT: 0
; COMPUTE_PGM_RSRC3_GFX90A:ACCUM_OFFSET: 0
; COMPUTE_PGM_RSRC3_GFX90A:TG_SPLIT: 0
	.section	.text._ZN7rocprim17ROCPRIM_400000_NS6detail17trampoline_kernelINS0_14default_configENS1_35radix_sort_onesweep_config_selectorIssEEZZNS1_29radix_sort_onesweep_iterationIS3_Lb0EN6thrust23THRUST_200600_302600_NS6detail15normal_iteratorINS8_10device_ptrIsEEEESD_SD_SD_jNS0_19identity_decomposerENS1_16block_id_wrapperIjLb1EEEEE10hipError_tT1_PNSt15iterator_traitsISI_E10value_typeET2_T3_PNSJ_ISO_E10value_typeET4_T5_PST_SU_PNS1_23onesweep_lookback_stateEbbT6_jjT7_P12ihipStream_tbENKUlT_T0_SI_SN_E_clIPsSD_S15_SD_EEDaS11_S12_SI_SN_EUlS11_E_NS1_11comp_targetILNS1_3genE8ELNS1_11target_archE1030ELNS1_3gpuE2ELNS1_3repE0EEENS1_47radix_sort_onesweep_sort_config_static_selectorELNS0_4arch9wavefront6targetE1EEEvSI_,"axG",@progbits,_ZN7rocprim17ROCPRIM_400000_NS6detail17trampoline_kernelINS0_14default_configENS1_35radix_sort_onesweep_config_selectorIssEEZZNS1_29radix_sort_onesweep_iterationIS3_Lb0EN6thrust23THRUST_200600_302600_NS6detail15normal_iteratorINS8_10device_ptrIsEEEESD_SD_SD_jNS0_19identity_decomposerENS1_16block_id_wrapperIjLb1EEEEE10hipError_tT1_PNSt15iterator_traitsISI_E10value_typeET2_T3_PNSJ_ISO_E10value_typeET4_T5_PST_SU_PNS1_23onesweep_lookback_stateEbbT6_jjT7_P12ihipStream_tbENKUlT_T0_SI_SN_E_clIPsSD_S15_SD_EEDaS11_S12_SI_SN_EUlS11_E_NS1_11comp_targetILNS1_3genE8ELNS1_11target_archE1030ELNS1_3gpuE2ELNS1_3repE0EEENS1_47radix_sort_onesweep_sort_config_static_selectorELNS0_4arch9wavefront6targetE1EEEvSI_,comdat
	.protected	_ZN7rocprim17ROCPRIM_400000_NS6detail17trampoline_kernelINS0_14default_configENS1_35radix_sort_onesweep_config_selectorIssEEZZNS1_29radix_sort_onesweep_iterationIS3_Lb0EN6thrust23THRUST_200600_302600_NS6detail15normal_iteratorINS8_10device_ptrIsEEEESD_SD_SD_jNS0_19identity_decomposerENS1_16block_id_wrapperIjLb1EEEEE10hipError_tT1_PNSt15iterator_traitsISI_E10value_typeET2_T3_PNSJ_ISO_E10value_typeET4_T5_PST_SU_PNS1_23onesweep_lookback_stateEbbT6_jjT7_P12ihipStream_tbENKUlT_T0_SI_SN_E_clIPsSD_S15_SD_EEDaS11_S12_SI_SN_EUlS11_E_NS1_11comp_targetILNS1_3genE8ELNS1_11target_archE1030ELNS1_3gpuE2ELNS1_3repE0EEENS1_47radix_sort_onesweep_sort_config_static_selectorELNS0_4arch9wavefront6targetE1EEEvSI_ ; -- Begin function _ZN7rocprim17ROCPRIM_400000_NS6detail17trampoline_kernelINS0_14default_configENS1_35radix_sort_onesweep_config_selectorIssEEZZNS1_29radix_sort_onesweep_iterationIS3_Lb0EN6thrust23THRUST_200600_302600_NS6detail15normal_iteratorINS8_10device_ptrIsEEEESD_SD_SD_jNS0_19identity_decomposerENS1_16block_id_wrapperIjLb1EEEEE10hipError_tT1_PNSt15iterator_traitsISI_E10value_typeET2_T3_PNSJ_ISO_E10value_typeET4_T5_PST_SU_PNS1_23onesweep_lookback_stateEbbT6_jjT7_P12ihipStream_tbENKUlT_T0_SI_SN_E_clIPsSD_S15_SD_EEDaS11_S12_SI_SN_EUlS11_E_NS1_11comp_targetILNS1_3genE8ELNS1_11target_archE1030ELNS1_3gpuE2ELNS1_3repE0EEENS1_47radix_sort_onesweep_sort_config_static_selectorELNS0_4arch9wavefront6targetE1EEEvSI_
	.globl	_ZN7rocprim17ROCPRIM_400000_NS6detail17trampoline_kernelINS0_14default_configENS1_35radix_sort_onesweep_config_selectorIssEEZZNS1_29radix_sort_onesweep_iterationIS3_Lb0EN6thrust23THRUST_200600_302600_NS6detail15normal_iteratorINS8_10device_ptrIsEEEESD_SD_SD_jNS0_19identity_decomposerENS1_16block_id_wrapperIjLb1EEEEE10hipError_tT1_PNSt15iterator_traitsISI_E10value_typeET2_T3_PNSJ_ISO_E10value_typeET4_T5_PST_SU_PNS1_23onesweep_lookback_stateEbbT6_jjT7_P12ihipStream_tbENKUlT_T0_SI_SN_E_clIPsSD_S15_SD_EEDaS11_S12_SI_SN_EUlS11_E_NS1_11comp_targetILNS1_3genE8ELNS1_11target_archE1030ELNS1_3gpuE2ELNS1_3repE0EEENS1_47radix_sort_onesweep_sort_config_static_selectorELNS0_4arch9wavefront6targetE1EEEvSI_
	.p2align	8
	.type	_ZN7rocprim17ROCPRIM_400000_NS6detail17trampoline_kernelINS0_14default_configENS1_35radix_sort_onesweep_config_selectorIssEEZZNS1_29radix_sort_onesweep_iterationIS3_Lb0EN6thrust23THRUST_200600_302600_NS6detail15normal_iteratorINS8_10device_ptrIsEEEESD_SD_SD_jNS0_19identity_decomposerENS1_16block_id_wrapperIjLb1EEEEE10hipError_tT1_PNSt15iterator_traitsISI_E10value_typeET2_T3_PNSJ_ISO_E10value_typeET4_T5_PST_SU_PNS1_23onesweep_lookback_stateEbbT6_jjT7_P12ihipStream_tbENKUlT_T0_SI_SN_E_clIPsSD_S15_SD_EEDaS11_S12_SI_SN_EUlS11_E_NS1_11comp_targetILNS1_3genE8ELNS1_11target_archE1030ELNS1_3gpuE2ELNS1_3repE0EEENS1_47radix_sort_onesweep_sort_config_static_selectorELNS0_4arch9wavefront6targetE1EEEvSI_,@function
_ZN7rocprim17ROCPRIM_400000_NS6detail17trampoline_kernelINS0_14default_configENS1_35radix_sort_onesweep_config_selectorIssEEZZNS1_29radix_sort_onesweep_iterationIS3_Lb0EN6thrust23THRUST_200600_302600_NS6detail15normal_iteratorINS8_10device_ptrIsEEEESD_SD_SD_jNS0_19identity_decomposerENS1_16block_id_wrapperIjLb1EEEEE10hipError_tT1_PNSt15iterator_traitsISI_E10value_typeET2_T3_PNSJ_ISO_E10value_typeET4_T5_PST_SU_PNS1_23onesweep_lookback_stateEbbT6_jjT7_P12ihipStream_tbENKUlT_T0_SI_SN_E_clIPsSD_S15_SD_EEDaS11_S12_SI_SN_EUlS11_E_NS1_11comp_targetILNS1_3genE8ELNS1_11target_archE1030ELNS1_3gpuE2ELNS1_3repE0EEENS1_47radix_sort_onesweep_sort_config_static_selectorELNS0_4arch9wavefront6targetE1EEEvSI_: ; @_ZN7rocprim17ROCPRIM_400000_NS6detail17trampoline_kernelINS0_14default_configENS1_35radix_sort_onesweep_config_selectorIssEEZZNS1_29radix_sort_onesweep_iterationIS3_Lb0EN6thrust23THRUST_200600_302600_NS6detail15normal_iteratorINS8_10device_ptrIsEEEESD_SD_SD_jNS0_19identity_decomposerENS1_16block_id_wrapperIjLb1EEEEE10hipError_tT1_PNSt15iterator_traitsISI_E10value_typeET2_T3_PNSJ_ISO_E10value_typeET4_T5_PST_SU_PNS1_23onesweep_lookback_stateEbbT6_jjT7_P12ihipStream_tbENKUlT_T0_SI_SN_E_clIPsSD_S15_SD_EEDaS11_S12_SI_SN_EUlS11_E_NS1_11comp_targetILNS1_3genE8ELNS1_11target_archE1030ELNS1_3gpuE2ELNS1_3repE0EEENS1_47radix_sort_onesweep_sort_config_static_selectorELNS0_4arch9wavefront6targetE1EEEvSI_
; %bb.0:
	.section	.rodata,"a",@progbits
	.p2align	6, 0x0
	.amdhsa_kernel _ZN7rocprim17ROCPRIM_400000_NS6detail17trampoline_kernelINS0_14default_configENS1_35radix_sort_onesweep_config_selectorIssEEZZNS1_29radix_sort_onesweep_iterationIS3_Lb0EN6thrust23THRUST_200600_302600_NS6detail15normal_iteratorINS8_10device_ptrIsEEEESD_SD_SD_jNS0_19identity_decomposerENS1_16block_id_wrapperIjLb1EEEEE10hipError_tT1_PNSt15iterator_traitsISI_E10value_typeET2_T3_PNSJ_ISO_E10value_typeET4_T5_PST_SU_PNS1_23onesweep_lookback_stateEbbT6_jjT7_P12ihipStream_tbENKUlT_T0_SI_SN_E_clIPsSD_S15_SD_EEDaS11_S12_SI_SN_EUlS11_E_NS1_11comp_targetILNS1_3genE8ELNS1_11target_archE1030ELNS1_3gpuE2ELNS1_3repE0EEENS1_47radix_sort_onesweep_sort_config_static_selectorELNS0_4arch9wavefront6targetE1EEEvSI_
		.amdhsa_group_segment_fixed_size 0
		.amdhsa_private_segment_fixed_size 0
		.amdhsa_kernarg_size 88
		.amdhsa_user_sgpr_count 2
		.amdhsa_user_sgpr_dispatch_ptr 0
		.amdhsa_user_sgpr_queue_ptr 0
		.amdhsa_user_sgpr_kernarg_segment_ptr 1
		.amdhsa_user_sgpr_dispatch_id 0
		.amdhsa_user_sgpr_kernarg_preload_length 0
		.amdhsa_user_sgpr_kernarg_preload_offset 0
		.amdhsa_user_sgpr_private_segment_size 0
		.amdhsa_uses_dynamic_stack 0
		.amdhsa_enable_private_segment 0
		.amdhsa_system_sgpr_workgroup_id_x 1
		.amdhsa_system_sgpr_workgroup_id_y 0
		.amdhsa_system_sgpr_workgroup_id_z 0
		.amdhsa_system_sgpr_workgroup_info 0
		.amdhsa_system_vgpr_workitem_id 0
		.amdhsa_next_free_vgpr 1
		.amdhsa_next_free_sgpr 0
		.amdhsa_accum_offset 4
		.amdhsa_reserve_vcc 0
		.amdhsa_float_round_mode_32 0
		.amdhsa_float_round_mode_16_64 0
		.amdhsa_float_denorm_mode_32 3
		.amdhsa_float_denorm_mode_16_64 3
		.amdhsa_dx10_clamp 1
		.amdhsa_ieee_mode 1
		.amdhsa_fp16_overflow 0
		.amdhsa_tg_split 0
		.amdhsa_exception_fp_ieee_invalid_op 0
		.amdhsa_exception_fp_denorm_src 0
		.amdhsa_exception_fp_ieee_div_zero 0
		.amdhsa_exception_fp_ieee_overflow 0
		.amdhsa_exception_fp_ieee_underflow 0
		.amdhsa_exception_fp_ieee_inexact 0
		.amdhsa_exception_int_div_zero 0
	.end_amdhsa_kernel
	.section	.text._ZN7rocprim17ROCPRIM_400000_NS6detail17trampoline_kernelINS0_14default_configENS1_35radix_sort_onesweep_config_selectorIssEEZZNS1_29radix_sort_onesweep_iterationIS3_Lb0EN6thrust23THRUST_200600_302600_NS6detail15normal_iteratorINS8_10device_ptrIsEEEESD_SD_SD_jNS0_19identity_decomposerENS1_16block_id_wrapperIjLb1EEEEE10hipError_tT1_PNSt15iterator_traitsISI_E10value_typeET2_T3_PNSJ_ISO_E10value_typeET4_T5_PST_SU_PNS1_23onesweep_lookback_stateEbbT6_jjT7_P12ihipStream_tbENKUlT_T0_SI_SN_E_clIPsSD_S15_SD_EEDaS11_S12_SI_SN_EUlS11_E_NS1_11comp_targetILNS1_3genE8ELNS1_11target_archE1030ELNS1_3gpuE2ELNS1_3repE0EEENS1_47radix_sort_onesweep_sort_config_static_selectorELNS0_4arch9wavefront6targetE1EEEvSI_,"axG",@progbits,_ZN7rocprim17ROCPRIM_400000_NS6detail17trampoline_kernelINS0_14default_configENS1_35radix_sort_onesweep_config_selectorIssEEZZNS1_29radix_sort_onesweep_iterationIS3_Lb0EN6thrust23THRUST_200600_302600_NS6detail15normal_iteratorINS8_10device_ptrIsEEEESD_SD_SD_jNS0_19identity_decomposerENS1_16block_id_wrapperIjLb1EEEEE10hipError_tT1_PNSt15iterator_traitsISI_E10value_typeET2_T3_PNSJ_ISO_E10value_typeET4_T5_PST_SU_PNS1_23onesweep_lookback_stateEbbT6_jjT7_P12ihipStream_tbENKUlT_T0_SI_SN_E_clIPsSD_S15_SD_EEDaS11_S12_SI_SN_EUlS11_E_NS1_11comp_targetILNS1_3genE8ELNS1_11target_archE1030ELNS1_3gpuE2ELNS1_3repE0EEENS1_47radix_sort_onesweep_sort_config_static_selectorELNS0_4arch9wavefront6targetE1EEEvSI_,comdat
.Lfunc_end1668:
	.size	_ZN7rocprim17ROCPRIM_400000_NS6detail17trampoline_kernelINS0_14default_configENS1_35radix_sort_onesweep_config_selectorIssEEZZNS1_29radix_sort_onesweep_iterationIS3_Lb0EN6thrust23THRUST_200600_302600_NS6detail15normal_iteratorINS8_10device_ptrIsEEEESD_SD_SD_jNS0_19identity_decomposerENS1_16block_id_wrapperIjLb1EEEEE10hipError_tT1_PNSt15iterator_traitsISI_E10value_typeET2_T3_PNSJ_ISO_E10value_typeET4_T5_PST_SU_PNS1_23onesweep_lookback_stateEbbT6_jjT7_P12ihipStream_tbENKUlT_T0_SI_SN_E_clIPsSD_S15_SD_EEDaS11_S12_SI_SN_EUlS11_E_NS1_11comp_targetILNS1_3genE8ELNS1_11target_archE1030ELNS1_3gpuE2ELNS1_3repE0EEENS1_47radix_sort_onesweep_sort_config_static_selectorELNS0_4arch9wavefront6targetE1EEEvSI_, .Lfunc_end1668-_ZN7rocprim17ROCPRIM_400000_NS6detail17trampoline_kernelINS0_14default_configENS1_35radix_sort_onesweep_config_selectorIssEEZZNS1_29radix_sort_onesweep_iterationIS3_Lb0EN6thrust23THRUST_200600_302600_NS6detail15normal_iteratorINS8_10device_ptrIsEEEESD_SD_SD_jNS0_19identity_decomposerENS1_16block_id_wrapperIjLb1EEEEE10hipError_tT1_PNSt15iterator_traitsISI_E10value_typeET2_T3_PNSJ_ISO_E10value_typeET4_T5_PST_SU_PNS1_23onesweep_lookback_stateEbbT6_jjT7_P12ihipStream_tbENKUlT_T0_SI_SN_E_clIPsSD_S15_SD_EEDaS11_S12_SI_SN_EUlS11_E_NS1_11comp_targetILNS1_3genE8ELNS1_11target_archE1030ELNS1_3gpuE2ELNS1_3repE0EEENS1_47radix_sort_onesweep_sort_config_static_selectorELNS0_4arch9wavefront6targetE1EEEvSI_
                                        ; -- End function
	.set _ZN7rocprim17ROCPRIM_400000_NS6detail17trampoline_kernelINS0_14default_configENS1_35radix_sort_onesweep_config_selectorIssEEZZNS1_29radix_sort_onesweep_iterationIS3_Lb0EN6thrust23THRUST_200600_302600_NS6detail15normal_iteratorINS8_10device_ptrIsEEEESD_SD_SD_jNS0_19identity_decomposerENS1_16block_id_wrapperIjLb1EEEEE10hipError_tT1_PNSt15iterator_traitsISI_E10value_typeET2_T3_PNSJ_ISO_E10value_typeET4_T5_PST_SU_PNS1_23onesweep_lookback_stateEbbT6_jjT7_P12ihipStream_tbENKUlT_T0_SI_SN_E_clIPsSD_S15_SD_EEDaS11_S12_SI_SN_EUlS11_E_NS1_11comp_targetILNS1_3genE8ELNS1_11target_archE1030ELNS1_3gpuE2ELNS1_3repE0EEENS1_47radix_sort_onesweep_sort_config_static_selectorELNS0_4arch9wavefront6targetE1EEEvSI_.num_vgpr, 0
	.set _ZN7rocprim17ROCPRIM_400000_NS6detail17trampoline_kernelINS0_14default_configENS1_35radix_sort_onesweep_config_selectorIssEEZZNS1_29radix_sort_onesweep_iterationIS3_Lb0EN6thrust23THRUST_200600_302600_NS6detail15normal_iteratorINS8_10device_ptrIsEEEESD_SD_SD_jNS0_19identity_decomposerENS1_16block_id_wrapperIjLb1EEEEE10hipError_tT1_PNSt15iterator_traitsISI_E10value_typeET2_T3_PNSJ_ISO_E10value_typeET4_T5_PST_SU_PNS1_23onesweep_lookback_stateEbbT6_jjT7_P12ihipStream_tbENKUlT_T0_SI_SN_E_clIPsSD_S15_SD_EEDaS11_S12_SI_SN_EUlS11_E_NS1_11comp_targetILNS1_3genE8ELNS1_11target_archE1030ELNS1_3gpuE2ELNS1_3repE0EEENS1_47radix_sort_onesweep_sort_config_static_selectorELNS0_4arch9wavefront6targetE1EEEvSI_.num_agpr, 0
	.set _ZN7rocprim17ROCPRIM_400000_NS6detail17trampoline_kernelINS0_14default_configENS1_35radix_sort_onesweep_config_selectorIssEEZZNS1_29radix_sort_onesweep_iterationIS3_Lb0EN6thrust23THRUST_200600_302600_NS6detail15normal_iteratorINS8_10device_ptrIsEEEESD_SD_SD_jNS0_19identity_decomposerENS1_16block_id_wrapperIjLb1EEEEE10hipError_tT1_PNSt15iterator_traitsISI_E10value_typeET2_T3_PNSJ_ISO_E10value_typeET4_T5_PST_SU_PNS1_23onesweep_lookback_stateEbbT6_jjT7_P12ihipStream_tbENKUlT_T0_SI_SN_E_clIPsSD_S15_SD_EEDaS11_S12_SI_SN_EUlS11_E_NS1_11comp_targetILNS1_3genE8ELNS1_11target_archE1030ELNS1_3gpuE2ELNS1_3repE0EEENS1_47radix_sort_onesweep_sort_config_static_selectorELNS0_4arch9wavefront6targetE1EEEvSI_.numbered_sgpr, 0
	.set _ZN7rocprim17ROCPRIM_400000_NS6detail17trampoline_kernelINS0_14default_configENS1_35radix_sort_onesweep_config_selectorIssEEZZNS1_29radix_sort_onesweep_iterationIS3_Lb0EN6thrust23THRUST_200600_302600_NS6detail15normal_iteratorINS8_10device_ptrIsEEEESD_SD_SD_jNS0_19identity_decomposerENS1_16block_id_wrapperIjLb1EEEEE10hipError_tT1_PNSt15iterator_traitsISI_E10value_typeET2_T3_PNSJ_ISO_E10value_typeET4_T5_PST_SU_PNS1_23onesweep_lookback_stateEbbT6_jjT7_P12ihipStream_tbENKUlT_T0_SI_SN_E_clIPsSD_S15_SD_EEDaS11_S12_SI_SN_EUlS11_E_NS1_11comp_targetILNS1_3genE8ELNS1_11target_archE1030ELNS1_3gpuE2ELNS1_3repE0EEENS1_47radix_sort_onesweep_sort_config_static_selectorELNS0_4arch9wavefront6targetE1EEEvSI_.num_named_barrier, 0
	.set _ZN7rocprim17ROCPRIM_400000_NS6detail17trampoline_kernelINS0_14default_configENS1_35radix_sort_onesweep_config_selectorIssEEZZNS1_29radix_sort_onesweep_iterationIS3_Lb0EN6thrust23THRUST_200600_302600_NS6detail15normal_iteratorINS8_10device_ptrIsEEEESD_SD_SD_jNS0_19identity_decomposerENS1_16block_id_wrapperIjLb1EEEEE10hipError_tT1_PNSt15iterator_traitsISI_E10value_typeET2_T3_PNSJ_ISO_E10value_typeET4_T5_PST_SU_PNS1_23onesweep_lookback_stateEbbT6_jjT7_P12ihipStream_tbENKUlT_T0_SI_SN_E_clIPsSD_S15_SD_EEDaS11_S12_SI_SN_EUlS11_E_NS1_11comp_targetILNS1_3genE8ELNS1_11target_archE1030ELNS1_3gpuE2ELNS1_3repE0EEENS1_47radix_sort_onesweep_sort_config_static_selectorELNS0_4arch9wavefront6targetE1EEEvSI_.private_seg_size, 0
	.set _ZN7rocprim17ROCPRIM_400000_NS6detail17trampoline_kernelINS0_14default_configENS1_35radix_sort_onesweep_config_selectorIssEEZZNS1_29radix_sort_onesweep_iterationIS3_Lb0EN6thrust23THRUST_200600_302600_NS6detail15normal_iteratorINS8_10device_ptrIsEEEESD_SD_SD_jNS0_19identity_decomposerENS1_16block_id_wrapperIjLb1EEEEE10hipError_tT1_PNSt15iterator_traitsISI_E10value_typeET2_T3_PNSJ_ISO_E10value_typeET4_T5_PST_SU_PNS1_23onesweep_lookback_stateEbbT6_jjT7_P12ihipStream_tbENKUlT_T0_SI_SN_E_clIPsSD_S15_SD_EEDaS11_S12_SI_SN_EUlS11_E_NS1_11comp_targetILNS1_3genE8ELNS1_11target_archE1030ELNS1_3gpuE2ELNS1_3repE0EEENS1_47radix_sort_onesweep_sort_config_static_selectorELNS0_4arch9wavefront6targetE1EEEvSI_.uses_vcc, 0
	.set _ZN7rocprim17ROCPRIM_400000_NS6detail17trampoline_kernelINS0_14default_configENS1_35radix_sort_onesweep_config_selectorIssEEZZNS1_29radix_sort_onesweep_iterationIS3_Lb0EN6thrust23THRUST_200600_302600_NS6detail15normal_iteratorINS8_10device_ptrIsEEEESD_SD_SD_jNS0_19identity_decomposerENS1_16block_id_wrapperIjLb1EEEEE10hipError_tT1_PNSt15iterator_traitsISI_E10value_typeET2_T3_PNSJ_ISO_E10value_typeET4_T5_PST_SU_PNS1_23onesweep_lookback_stateEbbT6_jjT7_P12ihipStream_tbENKUlT_T0_SI_SN_E_clIPsSD_S15_SD_EEDaS11_S12_SI_SN_EUlS11_E_NS1_11comp_targetILNS1_3genE8ELNS1_11target_archE1030ELNS1_3gpuE2ELNS1_3repE0EEENS1_47radix_sort_onesweep_sort_config_static_selectorELNS0_4arch9wavefront6targetE1EEEvSI_.uses_flat_scratch, 0
	.set _ZN7rocprim17ROCPRIM_400000_NS6detail17trampoline_kernelINS0_14default_configENS1_35radix_sort_onesweep_config_selectorIssEEZZNS1_29radix_sort_onesweep_iterationIS3_Lb0EN6thrust23THRUST_200600_302600_NS6detail15normal_iteratorINS8_10device_ptrIsEEEESD_SD_SD_jNS0_19identity_decomposerENS1_16block_id_wrapperIjLb1EEEEE10hipError_tT1_PNSt15iterator_traitsISI_E10value_typeET2_T3_PNSJ_ISO_E10value_typeET4_T5_PST_SU_PNS1_23onesweep_lookback_stateEbbT6_jjT7_P12ihipStream_tbENKUlT_T0_SI_SN_E_clIPsSD_S15_SD_EEDaS11_S12_SI_SN_EUlS11_E_NS1_11comp_targetILNS1_3genE8ELNS1_11target_archE1030ELNS1_3gpuE2ELNS1_3repE0EEENS1_47radix_sort_onesweep_sort_config_static_selectorELNS0_4arch9wavefront6targetE1EEEvSI_.has_dyn_sized_stack, 0
	.set _ZN7rocprim17ROCPRIM_400000_NS6detail17trampoline_kernelINS0_14default_configENS1_35radix_sort_onesweep_config_selectorIssEEZZNS1_29radix_sort_onesweep_iterationIS3_Lb0EN6thrust23THRUST_200600_302600_NS6detail15normal_iteratorINS8_10device_ptrIsEEEESD_SD_SD_jNS0_19identity_decomposerENS1_16block_id_wrapperIjLb1EEEEE10hipError_tT1_PNSt15iterator_traitsISI_E10value_typeET2_T3_PNSJ_ISO_E10value_typeET4_T5_PST_SU_PNS1_23onesweep_lookback_stateEbbT6_jjT7_P12ihipStream_tbENKUlT_T0_SI_SN_E_clIPsSD_S15_SD_EEDaS11_S12_SI_SN_EUlS11_E_NS1_11comp_targetILNS1_3genE8ELNS1_11target_archE1030ELNS1_3gpuE2ELNS1_3repE0EEENS1_47radix_sort_onesweep_sort_config_static_selectorELNS0_4arch9wavefront6targetE1EEEvSI_.has_recursion, 0
	.set _ZN7rocprim17ROCPRIM_400000_NS6detail17trampoline_kernelINS0_14default_configENS1_35radix_sort_onesweep_config_selectorIssEEZZNS1_29radix_sort_onesweep_iterationIS3_Lb0EN6thrust23THRUST_200600_302600_NS6detail15normal_iteratorINS8_10device_ptrIsEEEESD_SD_SD_jNS0_19identity_decomposerENS1_16block_id_wrapperIjLb1EEEEE10hipError_tT1_PNSt15iterator_traitsISI_E10value_typeET2_T3_PNSJ_ISO_E10value_typeET4_T5_PST_SU_PNS1_23onesweep_lookback_stateEbbT6_jjT7_P12ihipStream_tbENKUlT_T0_SI_SN_E_clIPsSD_S15_SD_EEDaS11_S12_SI_SN_EUlS11_E_NS1_11comp_targetILNS1_3genE8ELNS1_11target_archE1030ELNS1_3gpuE2ELNS1_3repE0EEENS1_47radix_sort_onesweep_sort_config_static_selectorELNS0_4arch9wavefront6targetE1EEEvSI_.has_indirect_call, 0
	.section	.AMDGPU.csdata,"",@progbits
; Kernel info:
; codeLenInByte = 0
; TotalNumSgprs: 6
; NumVgprs: 0
; NumAgprs: 0
; TotalNumVgprs: 0
; ScratchSize: 0
; MemoryBound: 0
; FloatMode: 240
; IeeeMode: 1
; LDSByteSize: 0 bytes/workgroup (compile time only)
; SGPRBlocks: 0
; VGPRBlocks: 0
; NumSGPRsForWavesPerEU: 6
; NumVGPRsForWavesPerEU: 1
; AccumOffset: 4
; Occupancy: 8
; WaveLimiterHint : 0
; COMPUTE_PGM_RSRC2:SCRATCH_EN: 0
; COMPUTE_PGM_RSRC2:USER_SGPR: 2
; COMPUTE_PGM_RSRC2:TRAP_HANDLER: 0
; COMPUTE_PGM_RSRC2:TGID_X_EN: 1
; COMPUTE_PGM_RSRC2:TGID_Y_EN: 0
; COMPUTE_PGM_RSRC2:TGID_Z_EN: 0
; COMPUTE_PGM_RSRC2:TIDIG_COMP_CNT: 0
; COMPUTE_PGM_RSRC3_GFX90A:ACCUM_OFFSET: 0
; COMPUTE_PGM_RSRC3_GFX90A:TG_SPLIT: 0
	.section	.text._ZN7rocprim17ROCPRIM_400000_NS6detail17trampoline_kernelINS0_14default_configENS1_35radix_sort_onesweep_config_selectorIssEEZZNS1_29radix_sort_onesweep_iterationIS3_Lb0EN6thrust23THRUST_200600_302600_NS6detail15normal_iteratorINS8_10device_ptrIsEEEESD_SD_SD_jNS0_19identity_decomposerENS1_16block_id_wrapperIjLb0EEEEE10hipError_tT1_PNSt15iterator_traitsISI_E10value_typeET2_T3_PNSJ_ISO_E10value_typeET4_T5_PST_SU_PNS1_23onesweep_lookback_stateEbbT6_jjT7_P12ihipStream_tbENKUlT_T0_SI_SN_E_clISD_SD_SD_SD_EEDaS11_S12_SI_SN_EUlS11_E_NS1_11comp_targetILNS1_3genE0ELNS1_11target_archE4294967295ELNS1_3gpuE0ELNS1_3repE0EEENS1_47radix_sort_onesweep_sort_config_static_selectorELNS0_4arch9wavefront6targetE1EEEvSI_,"axG",@progbits,_ZN7rocprim17ROCPRIM_400000_NS6detail17trampoline_kernelINS0_14default_configENS1_35radix_sort_onesweep_config_selectorIssEEZZNS1_29radix_sort_onesweep_iterationIS3_Lb0EN6thrust23THRUST_200600_302600_NS6detail15normal_iteratorINS8_10device_ptrIsEEEESD_SD_SD_jNS0_19identity_decomposerENS1_16block_id_wrapperIjLb0EEEEE10hipError_tT1_PNSt15iterator_traitsISI_E10value_typeET2_T3_PNSJ_ISO_E10value_typeET4_T5_PST_SU_PNS1_23onesweep_lookback_stateEbbT6_jjT7_P12ihipStream_tbENKUlT_T0_SI_SN_E_clISD_SD_SD_SD_EEDaS11_S12_SI_SN_EUlS11_E_NS1_11comp_targetILNS1_3genE0ELNS1_11target_archE4294967295ELNS1_3gpuE0ELNS1_3repE0EEENS1_47radix_sort_onesweep_sort_config_static_selectorELNS0_4arch9wavefront6targetE1EEEvSI_,comdat
	.protected	_ZN7rocprim17ROCPRIM_400000_NS6detail17trampoline_kernelINS0_14default_configENS1_35radix_sort_onesweep_config_selectorIssEEZZNS1_29radix_sort_onesweep_iterationIS3_Lb0EN6thrust23THRUST_200600_302600_NS6detail15normal_iteratorINS8_10device_ptrIsEEEESD_SD_SD_jNS0_19identity_decomposerENS1_16block_id_wrapperIjLb0EEEEE10hipError_tT1_PNSt15iterator_traitsISI_E10value_typeET2_T3_PNSJ_ISO_E10value_typeET4_T5_PST_SU_PNS1_23onesweep_lookback_stateEbbT6_jjT7_P12ihipStream_tbENKUlT_T0_SI_SN_E_clISD_SD_SD_SD_EEDaS11_S12_SI_SN_EUlS11_E_NS1_11comp_targetILNS1_3genE0ELNS1_11target_archE4294967295ELNS1_3gpuE0ELNS1_3repE0EEENS1_47radix_sort_onesweep_sort_config_static_selectorELNS0_4arch9wavefront6targetE1EEEvSI_ ; -- Begin function _ZN7rocprim17ROCPRIM_400000_NS6detail17trampoline_kernelINS0_14default_configENS1_35radix_sort_onesweep_config_selectorIssEEZZNS1_29radix_sort_onesweep_iterationIS3_Lb0EN6thrust23THRUST_200600_302600_NS6detail15normal_iteratorINS8_10device_ptrIsEEEESD_SD_SD_jNS0_19identity_decomposerENS1_16block_id_wrapperIjLb0EEEEE10hipError_tT1_PNSt15iterator_traitsISI_E10value_typeET2_T3_PNSJ_ISO_E10value_typeET4_T5_PST_SU_PNS1_23onesweep_lookback_stateEbbT6_jjT7_P12ihipStream_tbENKUlT_T0_SI_SN_E_clISD_SD_SD_SD_EEDaS11_S12_SI_SN_EUlS11_E_NS1_11comp_targetILNS1_3genE0ELNS1_11target_archE4294967295ELNS1_3gpuE0ELNS1_3repE0EEENS1_47radix_sort_onesweep_sort_config_static_selectorELNS0_4arch9wavefront6targetE1EEEvSI_
	.globl	_ZN7rocprim17ROCPRIM_400000_NS6detail17trampoline_kernelINS0_14default_configENS1_35radix_sort_onesweep_config_selectorIssEEZZNS1_29radix_sort_onesweep_iterationIS3_Lb0EN6thrust23THRUST_200600_302600_NS6detail15normal_iteratorINS8_10device_ptrIsEEEESD_SD_SD_jNS0_19identity_decomposerENS1_16block_id_wrapperIjLb0EEEEE10hipError_tT1_PNSt15iterator_traitsISI_E10value_typeET2_T3_PNSJ_ISO_E10value_typeET4_T5_PST_SU_PNS1_23onesweep_lookback_stateEbbT6_jjT7_P12ihipStream_tbENKUlT_T0_SI_SN_E_clISD_SD_SD_SD_EEDaS11_S12_SI_SN_EUlS11_E_NS1_11comp_targetILNS1_3genE0ELNS1_11target_archE4294967295ELNS1_3gpuE0ELNS1_3repE0EEENS1_47radix_sort_onesweep_sort_config_static_selectorELNS0_4arch9wavefront6targetE1EEEvSI_
	.p2align	8
	.type	_ZN7rocprim17ROCPRIM_400000_NS6detail17trampoline_kernelINS0_14default_configENS1_35radix_sort_onesweep_config_selectorIssEEZZNS1_29radix_sort_onesweep_iterationIS3_Lb0EN6thrust23THRUST_200600_302600_NS6detail15normal_iteratorINS8_10device_ptrIsEEEESD_SD_SD_jNS0_19identity_decomposerENS1_16block_id_wrapperIjLb0EEEEE10hipError_tT1_PNSt15iterator_traitsISI_E10value_typeET2_T3_PNSJ_ISO_E10value_typeET4_T5_PST_SU_PNS1_23onesweep_lookback_stateEbbT6_jjT7_P12ihipStream_tbENKUlT_T0_SI_SN_E_clISD_SD_SD_SD_EEDaS11_S12_SI_SN_EUlS11_E_NS1_11comp_targetILNS1_3genE0ELNS1_11target_archE4294967295ELNS1_3gpuE0ELNS1_3repE0EEENS1_47radix_sort_onesweep_sort_config_static_selectorELNS0_4arch9wavefront6targetE1EEEvSI_,@function
_ZN7rocprim17ROCPRIM_400000_NS6detail17trampoline_kernelINS0_14default_configENS1_35radix_sort_onesweep_config_selectorIssEEZZNS1_29radix_sort_onesweep_iterationIS3_Lb0EN6thrust23THRUST_200600_302600_NS6detail15normal_iteratorINS8_10device_ptrIsEEEESD_SD_SD_jNS0_19identity_decomposerENS1_16block_id_wrapperIjLb0EEEEE10hipError_tT1_PNSt15iterator_traitsISI_E10value_typeET2_T3_PNSJ_ISO_E10value_typeET4_T5_PST_SU_PNS1_23onesweep_lookback_stateEbbT6_jjT7_P12ihipStream_tbENKUlT_T0_SI_SN_E_clISD_SD_SD_SD_EEDaS11_S12_SI_SN_EUlS11_E_NS1_11comp_targetILNS1_3genE0ELNS1_11target_archE4294967295ELNS1_3gpuE0ELNS1_3repE0EEENS1_47radix_sort_onesweep_sort_config_static_selectorELNS0_4arch9wavefront6targetE1EEEvSI_: ; @_ZN7rocprim17ROCPRIM_400000_NS6detail17trampoline_kernelINS0_14default_configENS1_35radix_sort_onesweep_config_selectorIssEEZZNS1_29radix_sort_onesweep_iterationIS3_Lb0EN6thrust23THRUST_200600_302600_NS6detail15normal_iteratorINS8_10device_ptrIsEEEESD_SD_SD_jNS0_19identity_decomposerENS1_16block_id_wrapperIjLb0EEEEE10hipError_tT1_PNSt15iterator_traitsISI_E10value_typeET2_T3_PNSJ_ISO_E10value_typeET4_T5_PST_SU_PNS1_23onesweep_lookback_stateEbbT6_jjT7_P12ihipStream_tbENKUlT_T0_SI_SN_E_clISD_SD_SD_SD_EEDaS11_S12_SI_SN_EUlS11_E_NS1_11comp_targetILNS1_3genE0ELNS1_11target_archE4294967295ELNS1_3gpuE0ELNS1_3repE0EEENS1_47radix_sort_onesweep_sort_config_static_selectorELNS0_4arch9wavefront6targetE1EEEvSI_
; %bb.0:
	.section	.rodata,"a",@progbits
	.p2align	6, 0x0
	.amdhsa_kernel _ZN7rocprim17ROCPRIM_400000_NS6detail17trampoline_kernelINS0_14default_configENS1_35radix_sort_onesweep_config_selectorIssEEZZNS1_29radix_sort_onesweep_iterationIS3_Lb0EN6thrust23THRUST_200600_302600_NS6detail15normal_iteratorINS8_10device_ptrIsEEEESD_SD_SD_jNS0_19identity_decomposerENS1_16block_id_wrapperIjLb0EEEEE10hipError_tT1_PNSt15iterator_traitsISI_E10value_typeET2_T3_PNSJ_ISO_E10value_typeET4_T5_PST_SU_PNS1_23onesweep_lookback_stateEbbT6_jjT7_P12ihipStream_tbENKUlT_T0_SI_SN_E_clISD_SD_SD_SD_EEDaS11_S12_SI_SN_EUlS11_E_NS1_11comp_targetILNS1_3genE0ELNS1_11target_archE4294967295ELNS1_3gpuE0ELNS1_3repE0EEENS1_47radix_sort_onesweep_sort_config_static_selectorELNS0_4arch9wavefront6targetE1EEEvSI_
		.amdhsa_group_segment_fixed_size 0
		.amdhsa_private_segment_fixed_size 0
		.amdhsa_kernarg_size 88
		.amdhsa_user_sgpr_count 2
		.amdhsa_user_sgpr_dispatch_ptr 0
		.amdhsa_user_sgpr_queue_ptr 0
		.amdhsa_user_sgpr_kernarg_segment_ptr 1
		.amdhsa_user_sgpr_dispatch_id 0
		.amdhsa_user_sgpr_kernarg_preload_length 0
		.amdhsa_user_sgpr_kernarg_preload_offset 0
		.amdhsa_user_sgpr_private_segment_size 0
		.amdhsa_uses_dynamic_stack 0
		.amdhsa_enable_private_segment 0
		.amdhsa_system_sgpr_workgroup_id_x 1
		.amdhsa_system_sgpr_workgroup_id_y 0
		.amdhsa_system_sgpr_workgroup_id_z 0
		.amdhsa_system_sgpr_workgroup_info 0
		.amdhsa_system_vgpr_workitem_id 0
		.amdhsa_next_free_vgpr 1
		.amdhsa_next_free_sgpr 0
		.amdhsa_accum_offset 4
		.amdhsa_reserve_vcc 0
		.amdhsa_float_round_mode_32 0
		.amdhsa_float_round_mode_16_64 0
		.amdhsa_float_denorm_mode_32 3
		.amdhsa_float_denorm_mode_16_64 3
		.amdhsa_dx10_clamp 1
		.amdhsa_ieee_mode 1
		.amdhsa_fp16_overflow 0
		.amdhsa_tg_split 0
		.amdhsa_exception_fp_ieee_invalid_op 0
		.amdhsa_exception_fp_denorm_src 0
		.amdhsa_exception_fp_ieee_div_zero 0
		.amdhsa_exception_fp_ieee_overflow 0
		.amdhsa_exception_fp_ieee_underflow 0
		.amdhsa_exception_fp_ieee_inexact 0
		.amdhsa_exception_int_div_zero 0
	.end_amdhsa_kernel
	.section	.text._ZN7rocprim17ROCPRIM_400000_NS6detail17trampoline_kernelINS0_14default_configENS1_35radix_sort_onesweep_config_selectorIssEEZZNS1_29radix_sort_onesweep_iterationIS3_Lb0EN6thrust23THRUST_200600_302600_NS6detail15normal_iteratorINS8_10device_ptrIsEEEESD_SD_SD_jNS0_19identity_decomposerENS1_16block_id_wrapperIjLb0EEEEE10hipError_tT1_PNSt15iterator_traitsISI_E10value_typeET2_T3_PNSJ_ISO_E10value_typeET4_T5_PST_SU_PNS1_23onesweep_lookback_stateEbbT6_jjT7_P12ihipStream_tbENKUlT_T0_SI_SN_E_clISD_SD_SD_SD_EEDaS11_S12_SI_SN_EUlS11_E_NS1_11comp_targetILNS1_3genE0ELNS1_11target_archE4294967295ELNS1_3gpuE0ELNS1_3repE0EEENS1_47radix_sort_onesweep_sort_config_static_selectorELNS0_4arch9wavefront6targetE1EEEvSI_,"axG",@progbits,_ZN7rocprim17ROCPRIM_400000_NS6detail17trampoline_kernelINS0_14default_configENS1_35radix_sort_onesweep_config_selectorIssEEZZNS1_29radix_sort_onesweep_iterationIS3_Lb0EN6thrust23THRUST_200600_302600_NS6detail15normal_iteratorINS8_10device_ptrIsEEEESD_SD_SD_jNS0_19identity_decomposerENS1_16block_id_wrapperIjLb0EEEEE10hipError_tT1_PNSt15iterator_traitsISI_E10value_typeET2_T3_PNSJ_ISO_E10value_typeET4_T5_PST_SU_PNS1_23onesweep_lookback_stateEbbT6_jjT7_P12ihipStream_tbENKUlT_T0_SI_SN_E_clISD_SD_SD_SD_EEDaS11_S12_SI_SN_EUlS11_E_NS1_11comp_targetILNS1_3genE0ELNS1_11target_archE4294967295ELNS1_3gpuE0ELNS1_3repE0EEENS1_47radix_sort_onesweep_sort_config_static_selectorELNS0_4arch9wavefront6targetE1EEEvSI_,comdat
.Lfunc_end1669:
	.size	_ZN7rocprim17ROCPRIM_400000_NS6detail17trampoline_kernelINS0_14default_configENS1_35radix_sort_onesweep_config_selectorIssEEZZNS1_29radix_sort_onesweep_iterationIS3_Lb0EN6thrust23THRUST_200600_302600_NS6detail15normal_iteratorINS8_10device_ptrIsEEEESD_SD_SD_jNS0_19identity_decomposerENS1_16block_id_wrapperIjLb0EEEEE10hipError_tT1_PNSt15iterator_traitsISI_E10value_typeET2_T3_PNSJ_ISO_E10value_typeET4_T5_PST_SU_PNS1_23onesweep_lookback_stateEbbT6_jjT7_P12ihipStream_tbENKUlT_T0_SI_SN_E_clISD_SD_SD_SD_EEDaS11_S12_SI_SN_EUlS11_E_NS1_11comp_targetILNS1_3genE0ELNS1_11target_archE4294967295ELNS1_3gpuE0ELNS1_3repE0EEENS1_47radix_sort_onesweep_sort_config_static_selectorELNS0_4arch9wavefront6targetE1EEEvSI_, .Lfunc_end1669-_ZN7rocprim17ROCPRIM_400000_NS6detail17trampoline_kernelINS0_14default_configENS1_35radix_sort_onesweep_config_selectorIssEEZZNS1_29radix_sort_onesweep_iterationIS3_Lb0EN6thrust23THRUST_200600_302600_NS6detail15normal_iteratorINS8_10device_ptrIsEEEESD_SD_SD_jNS0_19identity_decomposerENS1_16block_id_wrapperIjLb0EEEEE10hipError_tT1_PNSt15iterator_traitsISI_E10value_typeET2_T3_PNSJ_ISO_E10value_typeET4_T5_PST_SU_PNS1_23onesweep_lookback_stateEbbT6_jjT7_P12ihipStream_tbENKUlT_T0_SI_SN_E_clISD_SD_SD_SD_EEDaS11_S12_SI_SN_EUlS11_E_NS1_11comp_targetILNS1_3genE0ELNS1_11target_archE4294967295ELNS1_3gpuE0ELNS1_3repE0EEENS1_47radix_sort_onesweep_sort_config_static_selectorELNS0_4arch9wavefront6targetE1EEEvSI_
                                        ; -- End function
	.set _ZN7rocprim17ROCPRIM_400000_NS6detail17trampoline_kernelINS0_14default_configENS1_35radix_sort_onesweep_config_selectorIssEEZZNS1_29radix_sort_onesweep_iterationIS3_Lb0EN6thrust23THRUST_200600_302600_NS6detail15normal_iteratorINS8_10device_ptrIsEEEESD_SD_SD_jNS0_19identity_decomposerENS1_16block_id_wrapperIjLb0EEEEE10hipError_tT1_PNSt15iterator_traitsISI_E10value_typeET2_T3_PNSJ_ISO_E10value_typeET4_T5_PST_SU_PNS1_23onesweep_lookback_stateEbbT6_jjT7_P12ihipStream_tbENKUlT_T0_SI_SN_E_clISD_SD_SD_SD_EEDaS11_S12_SI_SN_EUlS11_E_NS1_11comp_targetILNS1_3genE0ELNS1_11target_archE4294967295ELNS1_3gpuE0ELNS1_3repE0EEENS1_47radix_sort_onesweep_sort_config_static_selectorELNS0_4arch9wavefront6targetE1EEEvSI_.num_vgpr, 0
	.set _ZN7rocprim17ROCPRIM_400000_NS6detail17trampoline_kernelINS0_14default_configENS1_35radix_sort_onesweep_config_selectorIssEEZZNS1_29radix_sort_onesweep_iterationIS3_Lb0EN6thrust23THRUST_200600_302600_NS6detail15normal_iteratorINS8_10device_ptrIsEEEESD_SD_SD_jNS0_19identity_decomposerENS1_16block_id_wrapperIjLb0EEEEE10hipError_tT1_PNSt15iterator_traitsISI_E10value_typeET2_T3_PNSJ_ISO_E10value_typeET4_T5_PST_SU_PNS1_23onesweep_lookback_stateEbbT6_jjT7_P12ihipStream_tbENKUlT_T0_SI_SN_E_clISD_SD_SD_SD_EEDaS11_S12_SI_SN_EUlS11_E_NS1_11comp_targetILNS1_3genE0ELNS1_11target_archE4294967295ELNS1_3gpuE0ELNS1_3repE0EEENS1_47radix_sort_onesweep_sort_config_static_selectorELNS0_4arch9wavefront6targetE1EEEvSI_.num_agpr, 0
	.set _ZN7rocprim17ROCPRIM_400000_NS6detail17trampoline_kernelINS0_14default_configENS1_35radix_sort_onesweep_config_selectorIssEEZZNS1_29radix_sort_onesweep_iterationIS3_Lb0EN6thrust23THRUST_200600_302600_NS6detail15normal_iteratorINS8_10device_ptrIsEEEESD_SD_SD_jNS0_19identity_decomposerENS1_16block_id_wrapperIjLb0EEEEE10hipError_tT1_PNSt15iterator_traitsISI_E10value_typeET2_T3_PNSJ_ISO_E10value_typeET4_T5_PST_SU_PNS1_23onesweep_lookback_stateEbbT6_jjT7_P12ihipStream_tbENKUlT_T0_SI_SN_E_clISD_SD_SD_SD_EEDaS11_S12_SI_SN_EUlS11_E_NS1_11comp_targetILNS1_3genE0ELNS1_11target_archE4294967295ELNS1_3gpuE0ELNS1_3repE0EEENS1_47radix_sort_onesweep_sort_config_static_selectorELNS0_4arch9wavefront6targetE1EEEvSI_.numbered_sgpr, 0
	.set _ZN7rocprim17ROCPRIM_400000_NS6detail17trampoline_kernelINS0_14default_configENS1_35radix_sort_onesweep_config_selectorIssEEZZNS1_29radix_sort_onesweep_iterationIS3_Lb0EN6thrust23THRUST_200600_302600_NS6detail15normal_iteratorINS8_10device_ptrIsEEEESD_SD_SD_jNS0_19identity_decomposerENS1_16block_id_wrapperIjLb0EEEEE10hipError_tT1_PNSt15iterator_traitsISI_E10value_typeET2_T3_PNSJ_ISO_E10value_typeET4_T5_PST_SU_PNS1_23onesweep_lookback_stateEbbT6_jjT7_P12ihipStream_tbENKUlT_T0_SI_SN_E_clISD_SD_SD_SD_EEDaS11_S12_SI_SN_EUlS11_E_NS1_11comp_targetILNS1_3genE0ELNS1_11target_archE4294967295ELNS1_3gpuE0ELNS1_3repE0EEENS1_47radix_sort_onesweep_sort_config_static_selectorELNS0_4arch9wavefront6targetE1EEEvSI_.num_named_barrier, 0
	.set _ZN7rocprim17ROCPRIM_400000_NS6detail17trampoline_kernelINS0_14default_configENS1_35radix_sort_onesweep_config_selectorIssEEZZNS1_29radix_sort_onesweep_iterationIS3_Lb0EN6thrust23THRUST_200600_302600_NS6detail15normal_iteratorINS8_10device_ptrIsEEEESD_SD_SD_jNS0_19identity_decomposerENS1_16block_id_wrapperIjLb0EEEEE10hipError_tT1_PNSt15iterator_traitsISI_E10value_typeET2_T3_PNSJ_ISO_E10value_typeET4_T5_PST_SU_PNS1_23onesweep_lookback_stateEbbT6_jjT7_P12ihipStream_tbENKUlT_T0_SI_SN_E_clISD_SD_SD_SD_EEDaS11_S12_SI_SN_EUlS11_E_NS1_11comp_targetILNS1_3genE0ELNS1_11target_archE4294967295ELNS1_3gpuE0ELNS1_3repE0EEENS1_47radix_sort_onesweep_sort_config_static_selectorELNS0_4arch9wavefront6targetE1EEEvSI_.private_seg_size, 0
	.set _ZN7rocprim17ROCPRIM_400000_NS6detail17trampoline_kernelINS0_14default_configENS1_35radix_sort_onesweep_config_selectorIssEEZZNS1_29radix_sort_onesweep_iterationIS3_Lb0EN6thrust23THRUST_200600_302600_NS6detail15normal_iteratorINS8_10device_ptrIsEEEESD_SD_SD_jNS0_19identity_decomposerENS1_16block_id_wrapperIjLb0EEEEE10hipError_tT1_PNSt15iterator_traitsISI_E10value_typeET2_T3_PNSJ_ISO_E10value_typeET4_T5_PST_SU_PNS1_23onesweep_lookback_stateEbbT6_jjT7_P12ihipStream_tbENKUlT_T0_SI_SN_E_clISD_SD_SD_SD_EEDaS11_S12_SI_SN_EUlS11_E_NS1_11comp_targetILNS1_3genE0ELNS1_11target_archE4294967295ELNS1_3gpuE0ELNS1_3repE0EEENS1_47radix_sort_onesweep_sort_config_static_selectorELNS0_4arch9wavefront6targetE1EEEvSI_.uses_vcc, 0
	.set _ZN7rocprim17ROCPRIM_400000_NS6detail17trampoline_kernelINS0_14default_configENS1_35radix_sort_onesweep_config_selectorIssEEZZNS1_29radix_sort_onesweep_iterationIS3_Lb0EN6thrust23THRUST_200600_302600_NS6detail15normal_iteratorINS8_10device_ptrIsEEEESD_SD_SD_jNS0_19identity_decomposerENS1_16block_id_wrapperIjLb0EEEEE10hipError_tT1_PNSt15iterator_traitsISI_E10value_typeET2_T3_PNSJ_ISO_E10value_typeET4_T5_PST_SU_PNS1_23onesweep_lookback_stateEbbT6_jjT7_P12ihipStream_tbENKUlT_T0_SI_SN_E_clISD_SD_SD_SD_EEDaS11_S12_SI_SN_EUlS11_E_NS1_11comp_targetILNS1_3genE0ELNS1_11target_archE4294967295ELNS1_3gpuE0ELNS1_3repE0EEENS1_47radix_sort_onesweep_sort_config_static_selectorELNS0_4arch9wavefront6targetE1EEEvSI_.uses_flat_scratch, 0
	.set _ZN7rocprim17ROCPRIM_400000_NS6detail17trampoline_kernelINS0_14default_configENS1_35radix_sort_onesweep_config_selectorIssEEZZNS1_29radix_sort_onesweep_iterationIS3_Lb0EN6thrust23THRUST_200600_302600_NS6detail15normal_iteratorINS8_10device_ptrIsEEEESD_SD_SD_jNS0_19identity_decomposerENS1_16block_id_wrapperIjLb0EEEEE10hipError_tT1_PNSt15iterator_traitsISI_E10value_typeET2_T3_PNSJ_ISO_E10value_typeET4_T5_PST_SU_PNS1_23onesweep_lookback_stateEbbT6_jjT7_P12ihipStream_tbENKUlT_T0_SI_SN_E_clISD_SD_SD_SD_EEDaS11_S12_SI_SN_EUlS11_E_NS1_11comp_targetILNS1_3genE0ELNS1_11target_archE4294967295ELNS1_3gpuE0ELNS1_3repE0EEENS1_47radix_sort_onesweep_sort_config_static_selectorELNS0_4arch9wavefront6targetE1EEEvSI_.has_dyn_sized_stack, 0
	.set _ZN7rocprim17ROCPRIM_400000_NS6detail17trampoline_kernelINS0_14default_configENS1_35radix_sort_onesweep_config_selectorIssEEZZNS1_29radix_sort_onesweep_iterationIS3_Lb0EN6thrust23THRUST_200600_302600_NS6detail15normal_iteratorINS8_10device_ptrIsEEEESD_SD_SD_jNS0_19identity_decomposerENS1_16block_id_wrapperIjLb0EEEEE10hipError_tT1_PNSt15iterator_traitsISI_E10value_typeET2_T3_PNSJ_ISO_E10value_typeET4_T5_PST_SU_PNS1_23onesweep_lookback_stateEbbT6_jjT7_P12ihipStream_tbENKUlT_T0_SI_SN_E_clISD_SD_SD_SD_EEDaS11_S12_SI_SN_EUlS11_E_NS1_11comp_targetILNS1_3genE0ELNS1_11target_archE4294967295ELNS1_3gpuE0ELNS1_3repE0EEENS1_47radix_sort_onesweep_sort_config_static_selectorELNS0_4arch9wavefront6targetE1EEEvSI_.has_recursion, 0
	.set _ZN7rocprim17ROCPRIM_400000_NS6detail17trampoline_kernelINS0_14default_configENS1_35radix_sort_onesweep_config_selectorIssEEZZNS1_29radix_sort_onesweep_iterationIS3_Lb0EN6thrust23THRUST_200600_302600_NS6detail15normal_iteratorINS8_10device_ptrIsEEEESD_SD_SD_jNS0_19identity_decomposerENS1_16block_id_wrapperIjLb0EEEEE10hipError_tT1_PNSt15iterator_traitsISI_E10value_typeET2_T3_PNSJ_ISO_E10value_typeET4_T5_PST_SU_PNS1_23onesweep_lookback_stateEbbT6_jjT7_P12ihipStream_tbENKUlT_T0_SI_SN_E_clISD_SD_SD_SD_EEDaS11_S12_SI_SN_EUlS11_E_NS1_11comp_targetILNS1_3genE0ELNS1_11target_archE4294967295ELNS1_3gpuE0ELNS1_3repE0EEENS1_47radix_sort_onesweep_sort_config_static_selectorELNS0_4arch9wavefront6targetE1EEEvSI_.has_indirect_call, 0
	.section	.AMDGPU.csdata,"",@progbits
; Kernel info:
; codeLenInByte = 0
; TotalNumSgprs: 6
; NumVgprs: 0
; NumAgprs: 0
; TotalNumVgprs: 0
; ScratchSize: 0
; MemoryBound: 0
; FloatMode: 240
; IeeeMode: 1
; LDSByteSize: 0 bytes/workgroup (compile time only)
; SGPRBlocks: 0
; VGPRBlocks: 0
; NumSGPRsForWavesPerEU: 6
; NumVGPRsForWavesPerEU: 1
; AccumOffset: 4
; Occupancy: 8
; WaveLimiterHint : 0
; COMPUTE_PGM_RSRC2:SCRATCH_EN: 0
; COMPUTE_PGM_RSRC2:USER_SGPR: 2
; COMPUTE_PGM_RSRC2:TRAP_HANDLER: 0
; COMPUTE_PGM_RSRC2:TGID_X_EN: 1
; COMPUTE_PGM_RSRC2:TGID_Y_EN: 0
; COMPUTE_PGM_RSRC2:TGID_Z_EN: 0
; COMPUTE_PGM_RSRC2:TIDIG_COMP_CNT: 0
; COMPUTE_PGM_RSRC3_GFX90A:ACCUM_OFFSET: 0
; COMPUTE_PGM_RSRC3_GFX90A:TG_SPLIT: 0
	.section	.text._ZN7rocprim17ROCPRIM_400000_NS6detail17trampoline_kernelINS0_14default_configENS1_35radix_sort_onesweep_config_selectorIssEEZZNS1_29radix_sort_onesweep_iterationIS3_Lb0EN6thrust23THRUST_200600_302600_NS6detail15normal_iteratorINS8_10device_ptrIsEEEESD_SD_SD_jNS0_19identity_decomposerENS1_16block_id_wrapperIjLb0EEEEE10hipError_tT1_PNSt15iterator_traitsISI_E10value_typeET2_T3_PNSJ_ISO_E10value_typeET4_T5_PST_SU_PNS1_23onesweep_lookback_stateEbbT6_jjT7_P12ihipStream_tbENKUlT_T0_SI_SN_E_clISD_SD_SD_SD_EEDaS11_S12_SI_SN_EUlS11_E_NS1_11comp_targetILNS1_3genE6ELNS1_11target_archE950ELNS1_3gpuE13ELNS1_3repE0EEENS1_47radix_sort_onesweep_sort_config_static_selectorELNS0_4arch9wavefront6targetE1EEEvSI_,"axG",@progbits,_ZN7rocprim17ROCPRIM_400000_NS6detail17trampoline_kernelINS0_14default_configENS1_35radix_sort_onesweep_config_selectorIssEEZZNS1_29radix_sort_onesweep_iterationIS3_Lb0EN6thrust23THRUST_200600_302600_NS6detail15normal_iteratorINS8_10device_ptrIsEEEESD_SD_SD_jNS0_19identity_decomposerENS1_16block_id_wrapperIjLb0EEEEE10hipError_tT1_PNSt15iterator_traitsISI_E10value_typeET2_T3_PNSJ_ISO_E10value_typeET4_T5_PST_SU_PNS1_23onesweep_lookback_stateEbbT6_jjT7_P12ihipStream_tbENKUlT_T0_SI_SN_E_clISD_SD_SD_SD_EEDaS11_S12_SI_SN_EUlS11_E_NS1_11comp_targetILNS1_3genE6ELNS1_11target_archE950ELNS1_3gpuE13ELNS1_3repE0EEENS1_47radix_sort_onesweep_sort_config_static_selectorELNS0_4arch9wavefront6targetE1EEEvSI_,comdat
	.protected	_ZN7rocprim17ROCPRIM_400000_NS6detail17trampoline_kernelINS0_14default_configENS1_35radix_sort_onesweep_config_selectorIssEEZZNS1_29radix_sort_onesweep_iterationIS3_Lb0EN6thrust23THRUST_200600_302600_NS6detail15normal_iteratorINS8_10device_ptrIsEEEESD_SD_SD_jNS0_19identity_decomposerENS1_16block_id_wrapperIjLb0EEEEE10hipError_tT1_PNSt15iterator_traitsISI_E10value_typeET2_T3_PNSJ_ISO_E10value_typeET4_T5_PST_SU_PNS1_23onesweep_lookback_stateEbbT6_jjT7_P12ihipStream_tbENKUlT_T0_SI_SN_E_clISD_SD_SD_SD_EEDaS11_S12_SI_SN_EUlS11_E_NS1_11comp_targetILNS1_3genE6ELNS1_11target_archE950ELNS1_3gpuE13ELNS1_3repE0EEENS1_47radix_sort_onesweep_sort_config_static_selectorELNS0_4arch9wavefront6targetE1EEEvSI_ ; -- Begin function _ZN7rocprim17ROCPRIM_400000_NS6detail17trampoline_kernelINS0_14default_configENS1_35radix_sort_onesweep_config_selectorIssEEZZNS1_29radix_sort_onesweep_iterationIS3_Lb0EN6thrust23THRUST_200600_302600_NS6detail15normal_iteratorINS8_10device_ptrIsEEEESD_SD_SD_jNS0_19identity_decomposerENS1_16block_id_wrapperIjLb0EEEEE10hipError_tT1_PNSt15iterator_traitsISI_E10value_typeET2_T3_PNSJ_ISO_E10value_typeET4_T5_PST_SU_PNS1_23onesweep_lookback_stateEbbT6_jjT7_P12ihipStream_tbENKUlT_T0_SI_SN_E_clISD_SD_SD_SD_EEDaS11_S12_SI_SN_EUlS11_E_NS1_11comp_targetILNS1_3genE6ELNS1_11target_archE950ELNS1_3gpuE13ELNS1_3repE0EEENS1_47radix_sort_onesweep_sort_config_static_selectorELNS0_4arch9wavefront6targetE1EEEvSI_
	.globl	_ZN7rocprim17ROCPRIM_400000_NS6detail17trampoline_kernelINS0_14default_configENS1_35radix_sort_onesweep_config_selectorIssEEZZNS1_29radix_sort_onesweep_iterationIS3_Lb0EN6thrust23THRUST_200600_302600_NS6detail15normal_iteratorINS8_10device_ptrIsEEEESD_SD_SD_jNS0_19identity_decomposerENS1_16block_id_wrapperIjLb0EEEEE10hipError_tT1_PNSt15iterator_traitsISI_E10value_typeET2_T3_PNSJ_ISO_E10value_typeET4_T5_PST_SU_PNS1_23onesweep_lookback_stateEbbT6_jjT7_P12ihipStream_tbENKUlT_T0_SI_SN_E_clISD_SD_SD_SD_EEDaS11_S12_SI_SN_EUlS11_E_NS1_11comp_targetILNS1_3genE6ELNS1_11target_archE950ELNS1_3gpuE13ELNS1_3repE0EEENS1_47radix_sort_onesweep_sort_config_static_selectorELNS0_4arch9wavefront6targetE1EEEvSI_
	.p2align	8
	.type	_ZN7rocprim17ROCPRIM_400000_NS6detail17trampoline_kernelINS0_14default_configENS1_35radix_sort_onesweep_config_selectorIssEEZZNS1_29radix_sort_onesweep_iterationIS3_Lb0EN6thrust23THRUST_200600_302600_NS6detail15normal_iteratorINS8_10device_ptrIsEEEESD_SD_SD_jNS0_19identity_decomposerENS1_16block_id_wrapperIjLb0EEEEE10hipError_tT1_PNSt15iterator_traitsISI_E10value_typeET2_T3_PNSJ_ISO_E10value_typeET4_T5_PST_SU_PNS1_23onesweep_lookback_stateEbbT6_jjT7_P12ihipStream_tbENKUlT_T0_SI_SN_E_clISD_SD_SD_SD_EEDaS11_S12_SI_SN_EUlS11_E_NS1_11comp_targetILNS1_3genE6ELNS1_11target_archE950ELNS1_3gpuE13ELNS1_3repE0EEENS1_47radix_sort_onesweep_sort_config_static_selectorELNS0_4arch9wavefront6targetE1EEEvSI_,@function
_ZN7rocprim17ROCPRIM_400000_NS6detail17trampoline_kernelINS0_14default_configENS1_35radix_sort_onesweep_config_selectorIssEEZZNS1_29radix_sort_onesweep_iterationIS3_Lb0EN6thrust23THRUST_200600_302600_NS6detail15normal_iteratorINS8_10device_ptrIsEEEESD_SD_SD_jNS0_19identity_decomposerENS1_16block_id_wrapperIjLb0EEEEE10hipError_tT1_PNSt15iterator_traitsISI_E10value_typeET2_T3_PNSJ_ISO_E10value_typeET4_T5_PST_SU_PNS1_23onesweep_lookback_stateEbbT6_jjT7_P12ihipStream_tbENKUlT_T0_SI_SN_E_clISD_SD_SD_SD_EEDaS11_S12_SI_SN_EUlS11_E_NS1_11comp_targetILNS1_3genE6ELNS1_11target_archE950ELNS1_3gpuE13ELNS1_3repE0EEENS1_47radix_sort_onesweep_sort_config_static_selectorELNS0_4arch9wavefront6targetE1EEEvSI_: ; @_ZN7rocprim17ROCPRIM_400000_NS6detail17trampoline_kernelINS0_14default_configENS1_35radix_sort_onesweep_config_selectorIssEEZZNS1_29radix_sort_onesweep_iterationIS3_Lb0EN6thrust23THRUST_200600_302600_NS6detail15normal_iteratorINS8_10device_ptrIsEEEESD_SD_SD_jNS0_19identity_decomposerENS1_16block_id_wrapperIjLb0EEEEE10hipError_tT1_PNSt15iterator_traitsISI_E10value_typeET2_T3_PNSJ_ISO_E10value_typeET4_T5_PST_SU_PNS1_23onesweep_lookback_stateEbbT6_jjT7_P12ihipStream_tbENKUlT_T0_SI_SN_E_clISD_SD_SD_SD_EEDaS11_S12_SI_SN_EUlS11_E_NS1_11comp_targetILNS1_3genE6ELNS1_11target_archE950ELNS1_3gpuE13ELNS1_3repE0EEENS1_47radix_sort_onesweep_sort_config_static_selectorELNS0_4arch9wavefront6targetE1EEEvSI_
; %bb.0:
	s_load_dwordx4 s[8:11], s[0:1], 0x44
	s_load_dwordx8 s[92:99], s[0:1], 0x0
	s_load_dwordx4 s[4:7], s[0:1], 0x28
                                        ; implicit-def: $vgpr118 : SGPR spill to VGPR lane
	s_load_dwordx2 s[12:13], s[0:1], 0x38
	v_mbcnt_lo_u32_b32 v1, -1, 0
	s_waitcnt lgkmcnt(0)
	s_cmp_ge_u32 s2, s10
	v_writelane_b32 v118, s4, 0
	s_nop 1
	v_writelane_b32 v118, s5, 1
	v_writelane_b32 v118, s6, 2
	v_writelane_b32 v118, s7, 3
	s_mov_b64 s[4:5], -1
	s_mul_i32 s6, s2, 0x2c00
	s_cbranch_scc0 .LBB1670_288
; %bb.1:
	s_load_dword s3, s[0:1], 0x20
	s_mul_i32 s4, s10, 0xffffd400
	s_mov_b32 s7, 0
	v_mbcnt_hi_u32_b32 v15, -1, v1
	s_lshl_b64 s[10:11], s[6:7], 1
	s_waitcnt lgkmcnt(0)
	s_add_i32 s7, s3, s4
	s_add_u32 s4, s92, s10
	v_and_b32_e32 v10, 63, v15
	v_and_b32_e32 v21, 0x1c0, v0
	s_addc_u32 s5, s93, s11
	v_mul_u32_u24_e32 v11, 22, v21
	v_mov_b32_e32 v5, 0
	v_lshlrev_b32_e32 v4, 1, v10
	v_lshl_add_u64 v[2:3], s[4:5], 0, v[4:5]
	v_lshlrev_b32_e32 v6, 1, v11
	v_mov_b32_e32 v7, v5
	v_lshl_add_u64 v[8:9], v[2:3], 0, v[6:7]
	v_or_b32_e32 v10, v10, v11
	v_mov_b32_e32 v3, -1
	v_mov_b32_e32 v5, -1
	v_cmp_gt_u32_e64 s[14:15], s7, v10
	s_mov_b64 s[4:5], exec
	s_nop 0
	v_writelane_b32 v118, s14, 4
	s_nop 1
	v_writelane_b32 v118, s15, 5
	s_and_b64 s[14:15], s[4:5], s[14:15]
	s_mov_b64 exec, s[14:15]
	s_cbranch_execz .LBB1670_3
; %bb.2:
	global_load_ushort v2, v[8:9], off
	s_waitcnt vmcnt(0)
	v_xor_b32_e32 v5, 0xffff8000, v2
.LBB1670_3:
	s_or_b64 exec, exec, s[4:5]
	v_or_b32_e32 v2, 64, v10
	v_cmp_gt_u32_e64 s[14:15], s7, v2
	s_mov_b64 s[4:5], exec
	s_nop 0
	v_writelane_b32 v118, s14, 6
	s_nop 1
	v_writelane_b32 v118, s15, 7
	s_and_b64 s[14:15], s[4:5], s[14:15]
	s_mov_b64 exec, s[14:15]
	s_cbranch_execz .LBB1670_5
; %bb.4:
	global_load_ushort v2, v[8:9], off offset:128
	s_waitcnt vmcnt(0)
	v_xor_b32_e32 v3, 0xffff8000, v2
.LBB1670_5:
	s_or_b64 exec, exec, s[4:5]
	v_add_u32_e32 v2, 0x80, v10
	v_mov_b32_e32 v7, -1
	v_mov_b32_e32 v12, -1
	v_cmp_gt_u32_e64 s[14:15], s7, v2
	s_mov_b64 s[4:5], exec
	s_nop 0
	v_writelane_b32 v118, s14, 8
	s_nop 1
	v_writelane_b32 v118, s15, 9
	s_and_b64 s[14:15], s[4:5], s[14:15]
	s_mov_b64 exec, s[14:15]
	s_cbranch_execz .LBB1670_7
; %bb.6:
	global_load_ushort v2, v[8:9], off offset:256
	s_waitcnt vmcnt(0)
	v_xor_b32_e32 v12, 0xffff8000, v2
.LBB1670_7:
	s_or_b64 exec, exec, s[4:5]
	v_add_u32_e32 v2, 0xc0, v10
	v_cmp_gt_u32_e64 s[14:15], s7, v2
	s_mov_b64 s[4:5], exec
	s_nop 0
	v_writelane_b32 v118, s14, 10
	s_nop 1
	v_writelane_b32 v118, s15, 11
	s_and_b64 s[14:15], s[4:5], s[14:15]
	s_mov_b64 exec, s[14:15]
	s_cbranch_execz .LBB1670_9
; %bb.8:
	global_load_ushort v2, v[8:9], off offset:384
	s_waitcnt vmcnt(0)
	v_xor_b32_e32 v7, 0xffff8000, v2
.LBB1670_9:
	s_or_b64 exec, exec, s[4:5]
	v_add_u32_e32 v2, 0x100, v10
	v_mov_b32_e32 v13, -1
	v_mov_b32_e32 v14, -1
	v_cmp_gt_u32_e64 s[14:15], s7, v2
	s_mov_b64 s[4:5], exec
	s_nop 0
	v_writelane_b32 v118, s14, 12
	s_nop 1
	v_writelane_b32 v118, s15, 13
	s_and_b64 s[14:15], s[4:5], s[14:15]
	s_mov_b64 exec, s[14:15]
	s_cbranch_execz .LBB1670_11
; %bb.10:
	global_load_ushort v2, v[8:9], off offset:512
	s_waitcnt vmcnt(0)
	v_xor_b32_e32 v14, 0xffff8000, v2
.LBB1670_11:
	s_or_b64 exec, exec, s[4:5]
	v_add_u32_e32 v2, 0x140, v10
	;; [unrolled: 34-line block ×3, first 2 shown]
	v_cmp_gt_u32_e32 vcc, s7, v2
	s_and_saveexec_b64 s[4:5], vcc
	s_cbranch_execz .LBB1670_17
; %bb.16:
	global_load_ushort v2, v[8:9], off offset:896
	s_waitcnt vmcnt(0)
	v_xor_b32_e32 v16, 0xffff8000, v2
.LBB1670_17:
	s_or_b64 exec, exec, s[4:5]
	v_add_u32_e32 v2, 0x200, v10
	v_cmp_gt_u32_e64 s[16:17], s7, v2
	v_mov_b32_e32 v18, -1
	v_mov_b32_e32 v19, -1
	s_and_saveexec_b64 s[4:5], s[16:17]
	s_cbranch_execz .LBB1670_19
; %bb.18:
	global_load_ushort v2, v[8:9], off offset:1024
	s_waitcnt vmcnt(0)
	v_xor_b32_e32 v19, 0xffff8000, v2
.LBB1670_19:
	s_or_b64 exec, exec, s[4:5]
	v_add_u32_e32 v2, 0x240, v10
	v_cmp_gt_u32_e64 s[18:19], s7, v2
	s_and_saveexec_b64 s[4:5], s[18:19]
	s_cbranch_execz .LBB1670_21
; %bb.20:
	global_load_ushort v2, v[8:9], off offset:1152
	s_waitcnt vmcnt(0)
	v_xor_b32_e32 v18, 0xffff8000, v2
.LBB1670_21:
	s_or_b64 exec, exec, s[4:5]
	v_add_u32_e32 v2, 0x280, v10
	v_cmp_gt_u32_e64 s[20:21], s7, v2
	v_mov_b32_e32 v20, -1
	v_mov_b32_e32 v22, -1
	s_and_saveexec_b64 s[4:5], s[20:21]
	s_cbranch_execz .LBB1670_23
; %bb.22:
	global_load_ushort v2, v[8:9], off offset:1280
	s_waitcnt vmcnt(0)
	v_xor_b32_e32 v22, 0xffff8000, v2
.LBB1670_23:
	s_or_b64 exec, exec, s[4:5]
	v_add_u32_e32 v2, 0x2c0, v10
	v_cmp_gt_u32_e64 s[22:23], s7, v2
	s_and_saveexec_b64 s[4:5], s[22:23]
	s_cbranch_execz .LBB1670_25
; %bb.24:
	global_load_ushort v2, v[8:9], off offset:1408
	s_waitcnt vmcnt(0)
	v_xor_b32_e32 v20, 0xffff8000, v2
.LBB1670_25:
	s_or_b64 exec, exec, s[4:5]
	v_add_u32_e32 v2, 0x300, v10
	v_cmp_gt_u32_e64 s[24:25], s7, v2
	v_mov_b32_e32 v23, -1
	v_mov_b32_e32 v24, -1
	s_and_saveexec_b64 s[4:5], s[24:25]
	s_cbranch_execz .LBB1670_27
; %bb.26:
	global_load_ushort v2, v[8:9], off offset:1536
	s_waitcnt vmcnt(0)
	v_xor_b32_e32 v24, 0xffff8000, v2
.LBB1670_27:
	s_or_b64 exec, exec, s[4:5]
	v_add_u32_e32 v2, 0x340, v10
	v_cmp_gt_u32_e64 s[26:27], s7, v2
	s_and_saveexec_b64 s[4:5], s[26:27]
	s_cbranch_execz .LBB1670_29
; %bb.28:
	global_load_ushort v2, v[8:9], off offset:1664
	s_waitcnt vmcnt(0)
	v_xor_b32_e32 v23, 0xffff8000, v2
.LBB1670_29:
	s_or_b64 exec, exec, s[4:5]
	v_add_u32_e32 v2, 0x380, v10
	v_cmp_gt_u32_e64 s[28:29], s7, v2
	v_mov_b32_e32 v25, -1
	v_mov_b32_e32 v26, -1
	s_and_saveexec_b64 s[4:5], s[28:29]
	s_cbranch_execz .LBB1670_31
; %bb.30:
	global_load_ushort v2, v[8:9], off offset:1792
	s_waitcnt vmcnt(0)
	v_xor_b32_e32 v26, 0xffff8000, v2
.LBB1670_31:
	s_or_b64 exec, exec, s[4:5]
	v_add_u32_e32 v2, 0x3c0, v10
	v_cmp_gt_u32_e64 s[30:31], s7, v2
	s_and_saveexec_b64 s[4:5], s[30:31]
	s_cbranch_execz .LBB1670_33
; %bb.32:
	global_load_ushort v2, v[8:9], off offset:1920
	s_waitcnt vmcnt(0)
	v_xor_b32_e32 v25, 0xffff8000, v2
.LBB1670_33:
	s_or_b64 exec, exec, s[4:5]
	v_add_u32_e32 v2, 0x400, v10
	v_cmp_gt_u32_e64 s[34:35], s7, v2
	v_mov_b32_e32 v27, -1
	v_mov_b32_e32 v28, -1
	s_and_saveexec_b64 s[4:5], s[34:35]
	s_cbranch_execz .LBB1670_35
; %bb.34:
	global_load_ushort v2, v[8:9], off offset:2048
	s_waitcnt vmcnt(0)
	v_xor_b32_e32 v28, 0xffff8000, v2
.LBB1670_35:
	s_or_b64 exec, exec, s[4:5]
	v_add_u32_e32 v2, 0x440, v10
	v_cmp_gt_u32_e64 s[36:37], s7, v2
	s_and_saveexec_b64 s[4:5], s[36:37]
	s_cbranch_execz .LBB1670_37
; %bb.36:
	global_load_ushort v2, v[8:9], off offset:2176
	s_waitcnt vmcnt(0)
	v_xor_b32_e32 v27, 0xffff8000, v2
.LBB1670_37:
	s_or_b64 exec, exec, s[4:5]
	v_add_u32_e32 v2, 0x480, v10
	v_cmp_gt_u32_e64 s[38:39], s7, v2
	v_mov_b32_e32 v29, -1
	v_mov_b32_e32 v30, -1
	s_and_saveexec_b64 s[4:5], s[38:39]
	s_cbranch_execz .LBB1670_39
; %bb.38:
	global_load_ushort v2, v[8:9], off offset:2304
	s_waitcnt vmcnt(0)
	v_xor_b32_e32 v30, 0xffff8000, v2
.LBB1670_39:
	s_or_b64 exec, exec, s[4:5]
	v_add_u32_e32 v2, 0x4c0, v10
	v_cmp_gt_u32_e64 s[40:41], s7, v2
	s_and_saveexec_b64 s[4:5], s[40:41]
	s_cbranch_execz .LBB1670_41
; %bb.40:
	global_load_ushort v2, v[8:9], off offset:2432
	s_waitcnt vmcnt(0)
	v_xor_b32_e32 v29, 0xffff8000, v2
.LBB1670_41:
	s_or_b64 exec, exec, s[4:5]
	v_add_u32_e32 v2, 0x500, v10
	v_cmp_gt_u32_e64 s[42:43], s7, v2
	v_mov_b32_e32 v31, -1
	v_mov_b32_e32 v32, -1
	s_and_saveexec_b64 s[4:5], s[42:43]
	s_cbranch_execz .LBB1670_43
; %bb.42:
	global_load_ushort v2, v[8:9], off offset:2560
	s_waitcnt vmcnt(0)
	v_xor_b32_e32 v32, 0xffff8000, v2
.LBB1670_43:
	s_or_b64 exec, exec, s[4:5]
	v_add_u32_e32 v10, 0x540, v10
	v_and_b32_e32 v2, 0x3ff, v0
	v_cmp_gt_u32_e64 s[44:45], s7, v10
	s_and_saveexec_b64 s[4:5], s[44:45]
	s_cbranch_execz .LBB1670_45
; %bb.44:
	global_load_ushort v8, v[8:9], off offset:2688
	s_waitcnt vmcnt(0)
	v_xor_b32_e32 v31, 0xffff8000, v8
.LBB1670_45:
	s_or_b64 exec, exec, s[4:5]
	s_load_dword s4, s[0:1], 0x64
	s_load_dword s3, s[0:1], 0x58
	s_add_u32 s5, s0, 0x58
	s_addc_u32 s14, s1, 0
	v_mov_b32_e32 v8, 0
	s_waitcnt lgkmcnt(0)
	s_lshr_b32 s15, s4, 16
	s_cmp_lt_u32 s2, s3
	s_cselect_b32 s4, 12, 18
	s_add_u32 s4, s5, s4
	s_addc_u32 s5, s14, 0
	global_load_ushort v36, v8, s[4:5]
	v_lshrrev_b32_sdwa v35, s8, v5 dst_sel:DWORD dst_unused:UNUSED_PAD src0_sel:DWORD src1_sel:WORD_0
	s_lshl_b32 s4, -1, s9
	v_bfe_u32 v10, v0, 10, 10
	v_bfe_u32 v34, v0, 20, 10
	v_lshlrev_b32_e32 v33, 3, v2
	v_mov_b32_e32 v9, v8
	v_bitop3_b32 v38, v35, s4, v35 bitop3:0x30
	v_mov_b32_e32 v11, v8
	ds_write_b64 v33, v[8:9] offset:32
	v_mad_u32_u24 v37, v34, s15, v10
	v_and_b32_e32 v10, 1, v38
	v_lshlrev_b32_e32 v9, 30, v38
	v_lshl_add_u64 v[34:35], v[10:11], 0, -1
	v_cmp_ne_u32_e64 s[46:47], 0, v10
	v_cmp_gt_i64_e64 s[48:49], 0, v[8:9]
	v_not_b32_e32 v10, v9
	v_lshlrev_b32_e32 v9, 29, v38
	v_xor_b32_e32 v11, s47, v35
	v_xor_b32_e32 v34, s46, v34
	v_ashrrev_i32_e32 v10, 31, v10
	v_cmp_gt_i64_e64 s[46:47], 0, v[8:9]
	v_not_b32_e32 v35, v9
	v_lshlrev_b32_e32 v9, 28, v38
	v_and_b32_e32 v11, exec_hi, v11
	v_and_b32_e32 v34, exec_lo, v34
	v_xor_b32_e32 v39, s49, v10
	v_xor_b32_e32 v10, s48, v10
	v_ashrrev_i32_e32 v35, 31, v35
	v_cmp_gt_i64_e64 s[48:49], 0, v[8:9]
	v_not_b32_e32 v40, v9
	v_lshlrev_b32_e32 v9, 27, v38
	v_and_b32_e32 v11, v11, v39
	v_and_b32_e32 v10, v34, v10
	v_xor_b32_e32 v34, s47, v35
	v_xor_b32_e32 v35, s46, v35
	v_ashrrev_i32_e32 v39, 31, v40
	v_cmp_gt_i64_e64 s[46:47], 0, v[8:9]
	v_not_b32_e32 v40, v9
	v_lshlrev_b32_e32 v9, 26, v38
	v_and_b32_e32 v11, v11, v34
	v_and_b32_e32 v10, v10, v35
	v_xor_b32_e32 v34, s49, v39
	v_xor_b32_e32 v35, s48, v39
	v_ashrrev_i32_e32 v39, 31, v40
	v_cmp_gt_i64_e64 s[48:49], 0, v[8:9]
	v_not_b32_e32 v9, v9
	v_and_b32_e32 v11, v11, v34
	v_and_b32_e32 v10, v10, v35
	v_xor_b32_e32 v34, s47, v39
	v_xor_b32_e32 v35, s46, v39
	v_ashrrev_i32_e32 v9, 31, v9
	v_and_b32_e32 v11, v11, v34
	v_and_b32_e32 v10, v10, v35
	v_xor_b32_e32 v34, s49, v9
	v_xor_b32_e32 v9, s48, v9
	v_and_b32_e32 v10, v10, v9
	s_not_b32 s33, s4
	v_and_b32_e32 v11, v11, v34
	v_mbcnt_lo_u32_b32 v9, v10, 0
	v_mbcnt_hi_u32_b32 v34, v11, v9
	v_cmp_ne_u64_e64 s[46:47], 0, v[10:11]
	v_cmp_eq_u32_e64 s[48:49], 0, v34
	s_and_b64 s[46:47], s[46:47], s[48:49]
	s_waitcnt lgkmcnt(0)
	s_barrier
	s_waitcnt vmcnt(0)
	; wave barrier
	v_mad_u64_u32 v[36:37], s[4:5], v37, v36, v[2:3]
	v_lshrrev_b32_e32 v9, 6, v36
	v_lshlrev_b32_e32 v44, 2, v9
	v_mad_u32_u24 v36, v38, 36, v44
	s_and_saveexec_b64 s[4:5], s[46:47]
; %bb.46:
	v_bcnt_u32_b32 v9, v10, 0
	v_bcnt_u32_b32 v9, v11, v9
	ds_write_b32 v36, v9 offset:32
; %bb.47:
	s_or_b64 exec, exec, s[4:5]
	v_lshrrev_b32_sdwa v9, s8, v3 dst_sel:DWORD dst_unused:UNUSED_PAD src0_sel:DWORD src1_sel:WORD_0
	v_and_b32_e32 v40, s33, v9
	v_and_b32_e32 v10, 1, v40
	v_mov_b32_e32 v11, v8
	v_lshl_add_u64 v[38:39], v[10:11], 0, -1
	v_cmp_ne_u32_e64 s[46:47], 0, v10
	v_mad_u32_u24 v37, v40, 36, v44
	s_nop 0
	v_xor_b32_e32 v9, s47, v39
	v_and_b32_e32 v11, exec_hi, v9
	v_lshlrev_b32_e32 v9, 30, v40
	v_xor_b32_e32 v10, s46, v38
	v_cmp_gt_i64_e64 s[46:47], 0, v[8:9]
	v_not_b32_e32 v9, v9
	v_ashrrev_i32_e32 v9, 31, v9
	v_and_b32_e32 v10, exec_lo, v10
	v_xor_b32_e32 v38, s47, v9
	v_xor_b32_e32 v9, s46, v9
	v_and_b32_e32 v10, v10, v9
	v_lshlrev_b32_e32 v9, 29, v40
	v_cmp_gt_i64_e64 s[46:47], 0, v[8:9]
	v_not_b32_e32 v9, v9
	v_ashrrev_i32_e32 v9, 31, v9
	v_and_b32_e32 v11, v11, v38
	v_xor_b32_e32 v38, s47, v9
	v_xor_b32_e32 v9, s46, v9
	v_and_b32_e32 v10, v10, v9
	v_lshlrev_b32_e32 v9, 28, v40
	v_cmp_gt_i64_e64 s[46:47], 0, v[8:9]
	v_not_b32_e32 v9, v9
	v_ashrrev_i32_e32 v9, 31, v9
	v_and_b32_e32 v11, v11, v38
	;; [unrolled: 8-line block ×3, first 2 shown]
	v_xor_b32_e32 v38, s47, v9
	v_xor_b32_e32 v9, s46, v9
	v_and_b32_e32 v10, v10, v9
	v_lshlrev_b32_e32 v9, 26, v40
	v_cmp_gt_i64_e64 s[46:47], 0, v[8:9]
	v_not_b32_e32 v8, v9
	v_ashrrev_i32_e32 v8, 31, v8
	v_xor_b32_e32 v9, s47, v8
	v_xor_b32_e32 v8, s46, v8
	; wave barrier
	ds_read_b32 v35, v37 offset:32
	v_and_b32_e32 v11, v11, v38
	v_and_b32_e32 v8, v10, v8
	;; [unrolled: 1-line block ×3, first 2 shown]
	v_mbcnt_lo_u32_b32 v10, v8, 0
	v_mbcnt_hi_u32_b32 v38, v9, v10
	v_cmp_eq_u32_e64 s[46:47], 0, v38
	v_cmp_ne_u64_e64 s[48:49], 0, v[8:9]
	s_and_b64 s[46:47], s[48:49], s[46:47]
	; wave barrier
	s_and_saveexec_b64 s[4:5], s[46:47]
	s_cbranch_execz .LBB1670_49
; %bb.48:
	v_bcnt_u32_b32 v8, v8, 0
	v_bcnt_u32_b32 v8, v9, v8
	s_waitcnt lgkmcnt(0)
	v_add_u32_e32 v8, v35, v8
	ds_write_b32 v37, v8 offset:32
.LBB1670_49:
	s_or_b64 exec, exec, s[4:5]
	v_lshrrev_b32_sdwa v8, s8, v12 dst_sel:DWORD dst_unused:UNUSED_PAD src0_sel:DWORD src1_sel:WORD_0
	v_and_b32_e32 v41, s33, v8
	v_and_b32_e32 v8, 1, v41
	v_mov_b32_e32 v9, 0
	v_lshl_add_u64 v[10:11], v[8:9], 0, -1
	v_cmp_ne_u32_e64 s[46:47], 0, v8
	v_mad_u32_u24 v40, v41, 36, v44
	s_nop 0
	v_xor_b32_e32 v10, s46, v10
	v_xor_b32_e32 v8, s47, v11
	v_and_b32_e32 v42, exec_lo, v10
	v_lshlrev_b32_e32 v11, 30, v41
	v_mov_b32_e32 v10, v9
	v_cmp_gt_i64_e64 s[46:47], 0, v[10:11]
	v_not_b32_e32 v10, v11
	v_ashrrev_i32_e32 v10, 31, v10
	v_and_b32_e32 v8, exec_hi, v8
	v_xor_b32_e32 v11, s47, v10
	v_xor_b32_e32 v10, s46, v10
	v_and_b32_e32 v8, v8, v11
	v_and_b32_e32 v42, v42, v10
	v_lshlrev_b32_e32 v11, 29, v41
	v_mov_b32_e32 v10, v9
	v_cmp_gt_i64_e64 s[46:47], 0, v[10:11]
	v_not_b32_e32 v10, v11
	v_ashrrev_i32_e32 v10, 31, v10
	v_xor_b32_e32 v11, s47, v10
	v_xor_b32_e32 v10, s46, v10
	v_and_b32_e32 v8, v8, v11
	v_and_b32_e32 v42, v42, v10
	v_lshlrev_b32_e32 v11, 28, v41
	v_mov_b32_e32 v10, v9
	v_cmp_gt_i64_e64 s[46:47], 0, v[10:11]
	v_not_b32_e32 v10, v11
	v_ashrrev_i32_e32 v10, 31, v10
	;; [unrolled: 9-line block ×4, first 2 shown]
	v_xor_b32_e32 v11, s47, v10
	v_xor_b32_e32 v10, s46, v10
	; wave barrier
	ds_read_b32 v39, v40 offset:32
	v_and_b32_e32 v10, v42, v10
	v_and_b32_e32 v11, v8, v11
	v_mbcnt_lo_u32_b32 v8, v10, 0
	v_mbcnt_hi_u32_b32 v41, v11, v8
	v_cmp_eq_u32_e64 s[46:47], 0, v41
	v_cmp_ne_u64_e64 s[48:49], 0, v[10:11]
	s_and_b64 s[46:47], s[48:49], s[46:47]
	; wave barrier
	s_and_saveexec_b64 s[4:5], s[46:47]
	s_cbranch_execz .LBB1670_51
; %bb.50:
	v_bcnt_u32_b32 v8, v10, 0
	v_bcnt_u32_b32 v8, v11, v8
	s_waitcnt lgkmcnt(0)
	v_add_u32_e32 v8, v39, v8
	ds_write_b32 v40, v8 offset:32
.LBB1670_51:
	s_or_b64 exec, exec, s[4:5]
	v_lshrrev_b32_sdwa v8, s8, v7 dst_sel:DWORD dst_unused:UNUSED_PAD src0_sel:DWORD src1_sel:WORD_0
	v_and_b32_e32 v45, s33, v8
	v_and_b32_e32 v8, 1, v45
	v_lshl_add_u64 v[10:11], v[8:9], 0, -1
	v_cmp_ne_u32_e64 s[46:47], 0, v8
	v_mad_u32_u24 v43, v45, 36, v44
	s_nop 0
	v_xor_b32_e32 v10, s46, v10
	v_xor_b32_e32 v8, s47, v11
	v_and_b32_e32 v46, exec_lo, v10
	v_lshlrev_b32_e32 v11, 30, v45
	v_mov_b32_e32 v10, v9
	v_cmp_gt_i64_e64 s[46:47], 0, v[10:11]
	v_not_b32_e32 v10, v11
	v_ashrrev_i32_e32 v10, 31, v10
	v_and_b32_e32 v8, exec_hi, v8
	v_xor_b32_e32 v11, s47, v10
	v_xor_b32_e32 v10, s46, v10
	v_and_b32_e32 v8, v8, v11
	v_and_b32_e32 v46, v46, v10
	v_lshlrev_b32_e32 v11, 29, v45
	v_mov_b32_e32 v10, v9
	v_cmp_gt_i64_e64 s[46:47], 0, v[10:11]
	v_not_b32_e32 v10, v11
	v_ashrrev_i32_e32 v10, 31, v10
	v_xor_b32_e32 v11, s47, v10
	v_xor_b32_e32 v10, s46, v10
	v_and_b32_e32 v8, v8, v11
	v_and_b32_e32 v46, v46, v10
	v_lshlrev_b32_e32 v11, 28, v45
	v_mov_b32_e32 v10, v9
	v_cmp_gt_i64_e64 s[46:47], 0, v[10:11]
	v_not_b32_e32 v10, v11
	v_ashrrev_i32_e32 v10, 31, v10
	;; [unrolled: 9-line block ×3, first 2 shown]
	v_xor_b32_e32 v11, s47, v10
	v_xor_b32_e32 v10, s46, v10
	v_and_b32_e32 v8, v8, v11
	v_lshlrev_b32_e32 v11, 26, v45
	v_and_b32_e32 v46, v46, v10
	v_mov_b32_e32 v10, v9
	v_not_b32_e32 v9, v11
	v_cmp_gt_i64_e64 s[46:47], 0, v[10:11]
	v_ashrrev_i32_e32 v9, 31, v9
	; wave barrier
	s_nop 0
	v_xor_b32_e32 v10, s47, v9
	v_xor_b32_e32 v11, s46, v9
	ds_read_b32 v42, v43 offset:32
	v_and_b32_e32 v9, v8, v10
	v_and_b32_e32 v8, v46, v11
	v_mbcnt_lo_u32_b32 v10, v8, 0
	v_mbcnt_hi_u32_b32 v45, v9, v10
	v_cmp_eq_u32_e64 s[46:47], 0, v45
	v_cmp_ne_u64_e64 s[48:49], 0, v[8:9]
	s_and_b64 s[46:47], s[48:49], s[46:47]
	; wave barrier
	s_and_saveexec_b64 s[4:5], s[46:47]
	s_cbranch_execz .LBB1670_53
; %bb.52:
	v_bcnt_u32_b32 v8, v8, 0
	v_bcnt_u32_b32 v8, v9, v8
	s_waitcnt lgkmcnt(0)
	v_add_u32_e32 v8, v42, v8
	ds_write_b32 v43, v8 offset:32
.LBB1670_53:
	s_or_b64 exec, exec, s[4:5]
	v_lshrrev_b32_sdwa v8, s8, v14 dst_sel:DWORD dst_unused:UNUSED_PAD src0_sel:DWORD src1_sel:WORD_0
	v_and_b32_e32 v48, s33, v8
	v_and_b32_e32 v8, 1, v48
	v_mov_b32_e32 v9, 0
	v_lshl_add_u64 v[10:11], v[8:9], 0, -1
	v_cmp_ne_u32_e64 s[46:47], 0, v8
	v_mad_u32_u24 v47, v48, 36, v44
	s_nop 0
	v_xor_b32_e32 v10, s46, v10
	v_xor_b32_e32 v8, s47, v11
	v_and_b32_e32 v49, exec_lo, v10
	v_lshlrev_b32_e32 v11, 30, v48
	v_mov_b32_e32 v10, v9
	v_cmp_gt_i64_e64 s[46:47], 0, v[10:11]
	v_not_b32_e32 v10, v11
	v_ashrrev_i32_e32 v10, 31, v10
	v_and_b32_e32 v8, exec_hi, v8
	v_xor_b32_e32 v11, s47, v10
	v_xor_b32_e32 v10, s46, v10
	v_and_b32_e32 v8, v8, v11
	v_and_b32_e32 v49, v49, v10
	v_lshlrev_b32_e32 v11, 29, v48
	v_mov_b32_e32 v10, v9
	v_cmp_gt_i64_e64 s[46:47], 0, v[10:11]
	v_not_b32_e32 v10, v11
	v_ashrrev_i32_e32 v10, 31, v10
	v_xor_b32_e32 v11, s47, v10
	v_xor_b32_e32 v10, s46, v10
	v_and_b32_e32 v8, v8, v11
	v_and_b32_e32 v49, v49, v10
	v_lshlrev_b32_e32 v11, 28, v48
	v_mov_b32_e32 v10, v9
	v_cmp_gt_i64_e64 s[46:47], 0, v[10:11]
	v_not_b32_e32 v10, v11
	v_ashrrev_i32_e32 v10, 31, v10
	;; [unrolled: 9-line block ×4, first 2 shown]
	v_xor_b32_e32 v11, s47, v10
	v_xor_b32_e32 v10, s46, v10
	; wave barrier
	ds_read_b32 v46, v47 offset:32
	v_and_b32_e32 v10, v49, v10
	v_and_b32_e32 v11, v8, v11
	v_mbcnt_lo_u32_b32 v8, v10, 0
	v_mbcnt_hi_u32_b32 v48, v11, v8
	v_cmp_eq_u32_e64 s[46:47], 0, v48
	v_cmp_ne_u64_e64 s[48:49], 0, v[10:11]
	s_and_b64 s[46:47], s[48:49], s[46:47]
	; wave barrier
	s_and_saveexec_b64 s[4:5], s[46:47]
	s_cbranch_execz .LBB1670_55
; %bb.54:
	v_bcnt_u32_b32 v8, v10, 0
	v_bcnt_u32_b32 v8, v11, v8
	s_waitcnt lgkmcnt(0)
	v_add_u32_e32 v8, v46, v8
	ds_write_b32 v47, v8 offset:32
.LBB1670_55:
	s_or_b64 exec, exec, s[4:5]
	v_lshrrev_b32_sdwa v8, s8, v13 dst_sel:DWORD dst_unused:UNUSED_PAD src0_sel:DWORD src1_sel:WORD_0
	v_and_b32_e32 v51, s33, v8
	v_and_b32_e32 v8, 1, v51
	v_lshl_add_u64 v[10:11], v[8:9], 0, -1
	v_cmp_ne_u32_e64 s[46:47], 0, v8
	v_mad_u32_u24 v50, v51, 36, v44
	s_nop 0
	v_xor_b32_e32 v10, s46, v10
	v_xor_b32_e32 v8, s47, v11
	v_and_b32_e32 v52, exec_lo, v10
	v_lshlrev_b32_e32 v11, 30, v51
	v_mov_b32_e32 v10, v9
	v_cmp_gt_i64_e64 s[46:47], 0, v[10:11]
	v_not_b32_e32 v10, v11
	v_ashrrev_i32_e32 v10, 31, v10
	v_and_b32_e32 v8, exec_hi, v8
	v_xor_b32_e32 v11, s47, v10
	v_xor_b32_e32 v10, s46, v10
	v_and_b32_e32 v8, v8, v11
	v_and_b32_e32 v52, v52, v10
	v_lshlrev_b32_e32 v11, 29, v51
	v_mov_b32_e32 v10, v9
	v_cmp_gt_i64_e64 s[46:47], 0, v[10:11]
	v_not_b32_e32 v10, v11
	v_ashrrev_i32_e32 v10, 31, v10
	v_xor_b32_e32 v11, s47, v10
	v_xor_b32_e32 v10, s46, v10
	v_and_b32_e32 v8, v8, v11
	v_and_b32_e32 v52, v52, v10
	v_lshlrev_b32_e32 v11, 28, v51
	v_mov_b32_e32 v10, v9
	v_cmp_gt_i64_e64 s[46:47], 0, v[10:11]
	v_not_b32_e32 v10, v11
	v_ashrrev_i32_e32 v10, 31, v10
	;; [unrolled: 9-line block ×3, first 2 shown]
	v_xor_b32_e32 v11, s47, v10
	v_xor_b32_e32 v10, s46, v10
	v_and_b32_e32 v8, v8, v11
	v_lshlrev_b32_e32 v11, 26, v51
	v_and_b32_e32 v52, v52, v10
	v_mov_b32_e32 v10, v9
	v_not_b32_e32 v9, v11
	v_cmp_gt_i64_e64 s[46:47], 0, v[10:11]
	v_ashrrev_i32_e32 v9, 31, v9
	; wave barrier
	s_nop 0
	v_xor_b32_e32 v10, s47, v9
	v_xor_b32_e32 v11, s46, v9
	ds_read_b32 v49, v50 offset:32
	v_and_b32_e32 v9, v8, v10
	v_and_b32_e32 v8, v52, v11
	v_mbcnt_lo_u32_b32 v10, v8, 0
	v_mbcnt_hi_u32_b32 v51, v9, v10
	v_cmp_eq_u32_e64 s[46:47], 0, v51
	v_cmp_ne_u64_e64 s[48:49], 0, v[8:9]
	s_and_b64 s[46:47], s[48:49], s[46:47]
	; wave barrier
	s_and_saveexec_b64 s[4:5], s[46:47]
	s_cbranch_execz .LBB1670_57
; %bb.56:
	v_bcnt_u32_b32 v8, v8, 0
	v_bcnt_u32_b32 v8, v9, v8
	s_waitcnt lgkmcnt(0)
	v_add_u32_e32 v8, v49, v8
	ds_write_b32 v50, v8 offset:32
.LBB1670_57:
	s_or_b64 exec, exec, s[4:5]
	v_lshrrev_b32_sdwa v8, s8, v17 dst_sel:DWORD dst_unused:UNUSED_PAD src0_sel:DWORD src1_sel:WORD_0
	v_and_b32_e32 v54, s33, v8
	v_and_b32_e32 v8, 1, v54
	v_mov_b32_e32 v9, 0
	v_lshl_add_u64 v[10:11], v[8:9], 0, -1
	v_cmp_ne_u32_e64 s[46:47], 0, v8
	v_mad_u32_u24 v53, v54, 36, v44
	s_nop 0
	v_xor_b32_e32 v10, s46, v10
	v_xor_b32_e32 v8, s47, v11
	v_and_b32_e32 v55, exec_lo, v10
	v_lshlrev_b32_e32 v11, 30, v54
	v_mov_b32_e32 v10, v9
	v_cmp_gt_i64_e64 s[46:47], 0, v[10:11]
	v_not_b32_e32 v10, v11
	v_ashrrev_i32_e32 v10, 31, v10
	v_and_b32_e32 v8, exec_hi, v8
	v_xor_b32_e32 v11, s47, v10
	v_xor_b32_e32 v10, s46, v10
	v_and_b32_e32 v8, v8, v11
	v_and_b32_e32 v55, v55, v10
	v_lshlrev_b32_e32 v11, 29, v54
	v_mov_b32_e32 v10, v9
	v_cmp_gt_i64_e64 s[46:47], 0, v[10:11]
	v_not_b32_e32 v10, v11
	v_ashrrev_i32_e32 v10, 31, v10
	v_xor_b32_e32 v11, s47, v10
	v_xor_b32_e32 v10, s46, v10
	v_and_b32_e32 v8, v8, v11
	v_and_b32_e32 v55, v55, v10
	v_lshlrev_b32_e32 v11, 28, v54
	v_mov_b32_e32 v10, v9
	v_cmp_gt_i64_e64 s[46:47], 0, v[10:11]
	v_not_b32_e32 v10, v11
	v_ashrrev_i32_e32 v10, 31, v10
	;; [unrolled: 9-line block ×4, first 2 shown]
	v_xor_b32_e32 v11, s47, v10
	v_xor_b32_e32 v10, s46, v10
	; wave barrier
	ds_read_b32 v52, v53 offset:32
	v_and_b32_e32 v10, v55, v10
	v_and_b32_e32 v11, v8, v11
	v_mbcnt_lo_u32_b32 v8, v10, 0
	v_mbcnt_hi_u32_b32 v54, v11, v8
	v_cmp_eq_u32_e64 s[46:47], 0, v54
	v_cmp_ne_u64_e64 s[48:49], 0, v[10:11]
	s_and_b64 s[46:47], s[48:49], s[46:47]
	; wave barrier
	s_and_saveexec_b64 s[4:5], s[46:47]
	s_cbranch_execz .LBB1670_59
; %bb.58:
	v_bcnt_u32_b32 v8, v10, 0
	v_bcnt_u32_b32 v8, v11, v8
	s_waitcnt lgkmcnt(0)
	v_add_u32_e32 v8, v52, v8
	ds_write_b32 v53, v8 offset:32
.LBB1670_59:
	s_or_b64 exec, exec, s[4:5]
	v_lshrrev_b32_sdwa v8, s8, v16 dst_sel:DWORD dst_unused:UNUSED_PAD src0_sel:DWORD src1_sel:WORD_0
	v_and_b32_e32 v57, s33, v8
	v_and_b32_e32 v8, 1, v57
	v_lshl_add_u64 v[10:11], v[8:9], 0, -1
	v_cmp_ne_u32_e64 s[46:47], 0, v8
	v_mad_u32_u24 v56, v57, 36, v44
	s_nop 0
	v_xor_b32_e32 v10, s46, v10
	v_xor_b32_e32 v8, s47, v11
	v_and_b32_e32 v58, exec_lo, v10
	v_lshlrev_b32_e32 v11, 30, v57
	v_mov_b32_e32 v10, v9
	v_cmp_gt_i64_e64 s[46:47], 0, v[10:11]
	v_not_b32_e32 v10, v11
	v_ashrrev_i32_e32 v10, 31, v10
	v_and_b32_e32 v8, exec_hi, v8
	v_xor_b32_e32 v11, s47, v10
	v_xor_b32_e32 v10, s46, v10
	v_and_b32_e32 v8, v8, v11
	v_and_b32_e32 v58, v58, v10
	v_lshlrev_b32_e32 v11, 29, v57
	v_mov_b32_e32 v10, v9
	v_cmp_gt_i64_e64 s[46:47], 0, v[10:11]
	v_not_b32_e32 v10, v11
	v_ashrrev_i32_e32 v10, 31, v10
	v_xor_b32_e32 v11, s47, v10
	v_xor_b32_e32 v10, s46, v10
	v_and_b32_e32 v8, v8, v11
	v_and_b32_e32 v58, v58, v10
	v_lshlrev_b32_e32 v11, 28, v57
	v_mov_b32_e32 v10, v9
	v_cmp_gt_i64_e64 s[46:47], 0, v[10:11]
	v_not_b32_e32 v10, v11
	v_ashrrev_i32_e32 v10, 31, v10
	;; [unrolled: 9-line block ×3, first 2 shown]
	v_xor_b32_e32 v11, s47, v10
	v_xor_b32_e32 v10, s46, v10
	v_and_b32_e32 v8, v8, v11
	v_lshlrev_b32_e32 v11, 26, v57
	v_and_b32_e32 v58, v58, v10
	v_mov_b32_e32 v10, v9
	v_not_b32_e32 v9, v11
	v_cmp_gt_i64_e64 s[46:47], 0, v[10:11]
	v_ashrrev_i32_e32 v9, 31, v9
	; wave barrier
	s_nop 0
	v_xor_b32_e32 v10, s47, v9
	v_xor_b32_e32 v11, s46, v9
	ds_read_b32 v55, v56 offset:32
	v_and_b32_e32 v9, v8, v10
	v_and_b32_e32 v8, v58, v11
	v_mbcnt_lo_u32_b32 v10, v8, 0
	v_mbcnt_hi_u32_b32 v57, v9, v10
	v_cmp_eq_u32_e64 s[46:47], 0, v57
	v_cmp_ne_u64_e64 s[48:49], 0, v[8:9]
	s_and_b64 s[46:47], s[48:49], s[46:47]
	; wave barrier
	s_and_saveexec_b64 s[4:5], s[46:47]
	s_cbranch_execz .LBB1670_61
; %bb.60:
	v_bcnt_u32_b32 v8, v8, 0
	v_bcnt_u32_b32 v8, v9, v8
	s_waitcnt lgkmcnt(0)
	v_add_u32_e32 v8, v55, v8
	ds_write_b32 v56, v8 offset:32
.LBB1670_61:
	s_or_b64 exec, exec, s[4:5]
	v_lshrrev_b32_sdwa v8, s8, v19 dst_sel:DWORD dst_unused:UNUSED_PAD src0_sel:DWORD src1_sel:WORD_0
	v_and_b32_e32 v60, s33, v8
	v_and_b32_e32 v8, 1, v60
	v_mov_b32_e32 v9, 0
	v_lshl_add_u64 v[10:11], v[8:9], 0, -1
	v_cmp_ne_u32_e64 s[46:47], 0, v8
	v_mad_u32_u24 v59, v60, 36, v44
	s_nop 0
	v_xor_b32_e32 v10, s46, v10
	v_xor_b32_e32 v8, s47, v11
	v_and_b32_e32 v61, exec_lo, v10
	v_lshlrev_b32_e32 v11, 30, v60
	v_mov_b32_e32 v10, v9
	v_cmp_gt_i64_e64 s[46:47], 0, v[10:11]
	v_not_b32_e32 v10, v11
	v_ashrrev_i32_e32 v10, 31, v10
	v_and_b32_e32 v8, exec_hi, v8
	v_xor_b32_e32 v11, s47, v10
	v_xor_b32_e32 v10, s46, v10
	v_and_b32_e32 v8, v8, v11
	v_and_b32_e32 v61, v61, v10
	v_lshlrev_b32_e32 v11, 29, v60
	v_mov_b32_e32 v10, v9
	v_cmp_gt_i64_e64 s[46:47], 0, v[10:11]
	v_not_b32_e32 v10, v11
	v_ashrrev_i32_e32 v10, 31, v10
	v_xor_b32_e32 v11, s47, v10
	v_xor_b32_e32 v10, s46, v10
	v_and_b32_e32 v8, v8, v11
	v_and_b32_e32 v61, v61, v10
	v_lshlrev_b32_e32 v11, 28, v60
	v_mov_b32_e32 v10, v9
	v_cmp_gt_i64_e64 s[46:47], 0, v[10:11]
	v_not_b32_e32 v10, v11
	v_ashrrev_i32_e32 v10, 31, v10
	;; [unrolled: 9-line block ×4, first 2 shown]
	v_xor_b32_e32 v11, s47, v10
	v_xor_b32_e32 v10, s46, v10
	; wave barrier
	ds_read_b32 v58, v59 offset:32
	v_and_b32_e32 v10, v61, v10
	v_and_b32_e32 v11, v8, v11
	v_mbcnt_lo_u32_b32 v8, v10, 0
	v_mbcnt_hi_u32_b32 v60, v11, v8
	v_cmp_eq_u32_e64 s[46:47], 0, v60
	v_cmp_ne_u64_e64 s[48:49], 0, v[10:11]
	s_and_b64 s[46:47], s[48:49], s[46:47]
	; wave barrier
	s_and_saveexec_b64 s[4:5], s[46:47]
	s_cbranch_execz .LBB1670_63
; %bb.62:
	v_bcnt_u32_b32 v8, v10, 0
	v_bcnt_u32_b32 v8, v11, v8
	s_waitcnt lgkmcnt(0)
	v_add_u32_e32 v8, v58, v8
	ds_write_b32 v59, v8 offset:32
.LBB1670_63:
	s_or_b64 exec, exec, s[4:5]
	v_lshrrev_b32_sdwa v8, s8, v18 dst_sel:DWORD dst_unused:UNUSED_PAD src0_sel:DWORD src1_sel:WORD_0
	v_and_b32_e32 v63, s33, v8
	v_and_b32_e32 v8, 1, v63
	v_lshl_add_u64 v[10:11], v[8:9], 0, -1
	v_cmp_ne_u32_e64 s[46:47], 0, v8
	v_mad_u32_u24 v62, v63, 36, v44
	s_nop 0
	v_xor_b32_e32 v10, s46, v10
	v_xor_b32_e32 v8, s47, v11
	v_and_b32_e32 v64, exec_lo, v10
	v_lshlrev_b32_e32 v11, 30, v63
	v_mov_b32_e32 v10, v9
	v_cmp_gt_i64_e64 s[46:47], 0, v[10:11]
	v_not_b32_e32 v10, v11
	v_ashrrev_i32_e32 v10, 31, v10
	v_and_b32_e32 v8, exec_hi, v8
	v_xor_b32_e32 v11, s47, v10
	v_xor_b32_e32 v10, s46, v10
	v_and_b32_e32 v8, v8, v11
	v_and_b32_e32 v64, v64, v10
	v_lshlrev_b32_e32 v11, 29, v63
	v_mov_b32_e32 v10, v9
	v_cmp_gt_i64_e64 s[46:47], 0, v[10:11]
	v_not_b32_e32 v10, v11
	v_ashrrev_i32_e32 v10, 31, v10
	v_xor_b32_e32 v11, s47, v10
	v_xor_b32_e32 v10, s46, v10
	v_and_b32_e32 v8, v8, v11
	v_and_b32_e32 v64, v64, v10
	v_lshlrev_b32_e32 v11, 28, v63
	v_mov_b32_e32 v10, v9
	v_cmp_gt_i64_e64 s[46:47], 0, v[10:11]
	v_not_b32_e32 v10, v11
	v_ashrrev_i32_e32 v10, 31, v10
	;; [unrolled: 9-line block ×3, first 2 shown]
	v_xor_b32_e32 v11, s47, v10
	v_xor_b32_e32 v10, s46, v10
	v_and_b32_e32 v8, v8, v11
	v_lshlrev_b32_e32 v11, 26, v63
	v_and_b32_e32 v64, v64, v10
	v_mov_b32_e32 v10, v9
	v_not_b32_e32 v9, v11
	v_cmp_gt_i64_e64 s[46:47], 0, v[10:11]
	v_ashrrev_i32_e32 v9, 31, v9
	; wave barrier
	s_nop 0
	v_xor_b32_e32 v10, s47, v9
	v_xor_b32_e32 v11, s46, v9
	ds_read_b32 v61, v62 offset:32
	v_and_b32_e32 v9, v8, v10
	v_and_b32_e32 v8, v64, v11
	v_mbcnt_lo_u32_b32 v10, v8, 0
	v_mbcnt_hi_u32_b32 v63, v9, v10
	v_cmp_eq_u32_e64 s[46:47], 0, v63
	v_cmp_ne_u64_e64 s[48:49], 0, v[8:9]
	s_and_b64 s[46:47], s[48:49], s[46:47]
	; wave barrier
	s_and_saveexec_b64 s[4:5], s[46:47]
	s_cbranch_execz .LBB1670_65
; %bb.64:
	v_bcnt_u32_b32 v8, v8, 0
	v_bcnt_u32_b32 v8, v9, v8
	s_waitcnt lgkmcnt(0)
	v_add_u32_e32 v8, v61, v8
	ds_write_b32 v62, v8 offset:32
.LBB1670_65:
	s_or_b64 exec, exec, s[4:5]
	v_lshrrev_b32_sdwa v8, s8, v22 dst_sel:DWORD dst_unused:UNUSED_PAD src0_sel:DWORD src1_sel:WORD_0
	v_and_b32_e32 v66, s33, v8
	v_and_b32_e32 v8, 1, v66
	v_mov_b32_e32 v9, 0
	v_lshl_add_u64 v[10:11], v[8:9], 0, -1
	v_cmp_ne_u32_e64 s[46:47], 0, v8
	v_mad_u32_u24 v65, v66, 36, v44
	s_nop 0
	v_xor_b32_e32 v10, s46, v10
	v_xor_b32_e32 v8, s47, v11
	v_and_b32_e32 v67, exec_lo, v10
	v_lshlrev_b32_e32 v11, 30, v66
	v_mov_b32_e32 v10, v9
	v_cmp_gt_i64_e64 s[46:47], 0, v[10:11]
	v_not_b32_e32 v10, v11
	v_ashrrev_i32_e32 v10, 31, v10
	v_and_b32_e32 v8, exec_hi, v8
	v_xor_b32_e32 v11, s47, v10
	v_xor_b32_e32 v10, s46, v10
	v_and_b32_e32 v8, v8, v11
	v_and_b32_e32 v67, v67, v10
	v_lshlrev_b32_e32 v11, 29, v66
	v_mov_b32_e32 v10, v9
	v_cmp_gt_i64_e64 s[46:47], 0, v[10:11]
	v_not_b32_e32 v10, v11
	v_ashrrev_i32_e32 v10, 31, v10
	v_xor_b32_e32 v11, s47, v10
	v_xor_b32_e32 v10, s46, v10
	v_and_b32_e32 v8, v8, v11
	v_and_b32_e32 v67, v67, v10
	v_lshlrev_b32_e32 v11, 28, v66
	v_mov_b32_e32 v10, v9
	v_cmp_gt_i64_e64 s[46:47], 0, v[10:11]
	v_not_b32_e32 v10, v11
	v_ashrrev_i32_e32 v10, 31, v10
	;; [unrolled: 9-line block ×4, first 2 shown]
	v_xor_b32_e32 v11, s47, v10
	v_xor_b32_e32 v10, s46, v10
	; wave barrier
	ds_read_b32 v64, v65 offset:32
	v_and_b32_e32 v10, v67, v10
	v_and_b32_e32 v11, v8, v11
	v_mbcnt_lo_u32_b32 v8, v10, 0
	v_mbcnt_hi_u32_b32 v66, v11, v8
	v_cmp_eq_u32_e64 s[46:47], 0, v66
	v_cmp_ne_u64_e64 s[48:49], 0, v[10:11]
	s_and_b64 s[46:47], s[48:49], s[46:47]
	; wave barrier
	s_and_saveexec_b64 s[4:5], s[46:47]
	s_cbranch_execz .LBB1670_67
; %bb.66:
	v_bcnt_u32_b32 v8, v10, 0
	v_bcnt_u32_b32 v8, v11, v8
	s_waitcnt lgkmcnt(0)
	v_add_u32_e32 v8, v64, v8
	ds_write_b32 v65, v8 offset:32
.LBB1670_67:
	s_or_b64 exec, exec, s[4:5]
	v_lshrrev_b32_sdwa v8, s8, v20 dst_sel:DWORD dst_unused:UNUSED_PAD src0_sel:DWORD src1_sel:WORD_0
	v_and_b32_e32 v69, s33, v8
	v_and_b32_e32 v8, 1, v69
	v_lshl_add_u64 v[10:11], v[8:9], 0, -1
	v_cmp_ne_u32_e64 s[46:47], 0, v8
	v_mad_u32_u24 v68, v69, 36, v44
	s_nop 0
	v_xor_b32_e32 v10, s46, v10
	v_xor_b32_e32 v8, s47, v11
	v_and_b32_e32 v70, exec_lo, v10
	v_lshlrev_b32_e32 v11, 30, v69
	v_mov_b32_e32 v10, v9
	v_cmp_gt_i64_e64 s[46:47], 0, v[10:11]
	v_not_b32_e32 v10, v11
	v_ashrrev_i32_e32 v10, 31, v10
	v_and_b32_e32 v8, exec_hi, v8
	v_xor_b32_e32 v11, s47, v10
	v_xor_b32_e32 v10, s46, v10
	v_and_b32_e32 v8, v8, v11
	v_and_b32_e32 v70, v70, v10
	v_lshlrev_b32_e32 v11, 29, v69
	v_mov_b32_e32 v10, v9
	v_cmp_gt_i64_e64 s[46:47], 0, v[10:11]
	v_not_b32_e32 v10, v11
	v_ashrrev_i32_e32 v10, 31, v10
	v_xor_b32_e32 v11, s47, v10
	v_xor_b32_e32 v10, s46, v10
	v_and_b32_e32 v8, v8, v11
	v_and_b32_e32 v70, v70, v10
	v_lshlrev_b32_e32 v11, 28, v69
	v_mov_b32_e32 v10, v9
	v_cmp_gt_i64_e64 s[46:47], 0, v[10:11]
	v_not_b32_e32 v10, v11
	v_ashrrev_i32_e32 v10, 31, v10
	v_xor_b32_e32 v11, s47, v10
	v_xor_b32_e32 v10, s46, v10
	v_and_b32_e32 v8, v8, v11
	v_and_b32_e32 v70, v70, v10
	v_lshlrev_b32_e32 v11, 27, v69
	v_mov_b32_e32 v10, v9
	v_cmp_gt_i64_e64 s[46:47], 0, v[10:11]
	v_not_b32_e32 v10, v11
	v_ashrrev_i32_e32 v10, 31, v10
	v_xor_b32_e32 v11, s47, v10
	v_xor_b32_e32 v10, s46, v10
	v_and_b32_e32 v8, v8, v11
	v_lshlrev_b32_e32 v11, 26, v69
	v_and_b32_e32 v70, v70, v10
	v_mov_b32_e32 v10, v9
	v_not_b32_e32 v9, v11
	v_cmp_gt_i64_e64 s[46:47], 0, v[10:11]
	v_ashrrev_i32_e32 v9, 31, v9
	; wave barrier
	s_nop 0
	v_xor_b32_e32 v10, s47, v9
	v_xor_b32_e32 v11, s46, v9
	ds_read_b32 v67, v68 offset:32
	v_and_b32_e32 v9, v8, v10
	v_and_b32_e32 v8, v70, v11
	v_mbcnt_lo_u32_b32 v10, v8, 0
	v_mbcnt_hi_u32_b32 v69, v9, v10
	v_cmp_eq_u32_e64 s[46:47], 0, v69
	v_cmp_ne_u64_e64 s[48:49], 0, v[8:9]
	s_and_b64 s[46:47], s[48:49], s[46:47]
	; wave barrier
	s_and_saveexec_b64 s[4:5], s[46:47]
	s_cbranch_execz .LBB1670_69
; %bb.68:
	v_bcnt_u32_b32 v8, v8, 0
	v_bcnt_u32_b32 v8, v9, v8
	s_waitcnt lgkmcnt(0)
	v_add_u32_e32 v8, v67, v8
	ds_write_b32 v68, v8 offset:32
.LBB1670_69:
	s_or_b64 exec, exec, s[4:5]
	v_lshrrev_b32_sdwa v8, s8, v24 dst_sel:DWORD dst_unused:UNUSED_PAD src0_sel:DWORD src1_sel:WORD_0
	v_and_b32_e32 v72, s33, v8
	v_and_b32_e32 v8, 1, v72
	v_mov_b32_e32 v9, 0
	v_lshl_add_u64 v[10:11], v[8:9], 0, -1
	v_cmp_ne_u32_e64 s[46:47], 0, v8
	v_mad_u32_u24 v71, v72, 36, v44
	s_nop 0
	v_xor_b32_e32 v10, s46, v10
	v_xor_b32_e32 v8, s47, v11
	v_and_b32_e32 v73, exec_lo, v10
	v_lshlrev_b32_e32 v11, 30, v72
	v_mov_b32_e32 v10, v9
	v_cmp_gt_i64_e64 s[46:47], 0, v[10:11]
	v_not_b32_e32 v10, v11
	v_ashrrev_i32_e32 v10, 31, v10
	v_and_b32_e32 v8, exec_hi, v8
	v_xor_b32_e32 v11, s47, v10
	v_xor_b32_e32 v10, s46, v10
	v_and_b32_e32 v8, v8, v11
	v_and_b32_e32 v73, v73, v10
	v_lshlrev_b32_e32 v11, 29, v72
	v_mov_b32_e32 v10, v9
	v_cmp_gt_i64_e64 s[46:47], 0, v[10:11]
	v_not_b32_e32 v10, v11
	v_ashrrev_i32_e32 v10, 31, v10
	v_xor_b32_e32 v11, s47, v10
	v_xor_b32_e32 v10, s46, v10
	v_and_b32_e32 v8, v8, v11
	v_and_b32_e32 v73, v73, v10
	v_lshlrev_b32_e32 v11, 28, v72
	v_mov_b32_e32 v10, v9
	v_cmp_gt_i64_e64 s[46:47], 0, v[10:11]
	v_not_b32_e32 v10, v11
	v_ashrrev_i32_e32 v10, 31, v10
	v_xor_b32_e32 v11, s47, v10
	v_xor_b32_e32 v10, s46, v10
	v_and_b32_e32 v8, v8, v11
	v_and_b32_e32 v73, v73, v10
	v_lshlrev_b32_e32 v11, 27, v72
	v_mov_b32_e32 v10, v9
	v_cmp_gt_i64_e64 s[46:47], 0, v[10:11]
	v_not_b32_e32 v10, v11
	v_ashrrev_i32_e32 v10, 31, v10
	v_xor_b32_e32 v11, s47, v10
	v_xor_b32_e32 v10, s46, v10
	v_and_b32_e32 v8, v8, v11
	v_and_b32_e32 v73, v73, v10
	v_lshlrev_b32_e32 v11, 26, v72
	v_mov_b32_e32 v10, v9
	v_cmp_gt_i64_e64 s[46:47], 0, v[10:11]
	v_not_b32_e32 v10, v11
	v_ashrrev_i32_e32 v10, 31, v10
	v_xor_b32_e32 v11, s47, v10
	v_xor_b32_e32 v10, s46, v10
	; wave barrier
	ds_read_b32 v70, v71 offset:32
	v_and_b32_e32 v10, v73, v10
	v_and_b32_e32 v11, v8, v11
	v_mbcnt_lo_u32_b32 v8, v10, 0
	v_mbcnt_hi_u32_b32 v72, v11, v8
	v_cmp_eq_u32_e64 s[46:47], 0, v72
	v_cmp_ne_u64_e64 s[48:49], 0, v[10:11]
	s_and_b64 s[46:47], s[48:49], s[46:47]
	; wave barrier
	s_and_saveexec_b64 s[4:5], s[46:47]
	s_cbranch_execz .LBB1670_71
; %bb.70:
	v_bcnt_u32_b32 v8, v10, 0
	v_bcnt_u32_b32 v8, v11, v8
	s_waitcnt lgkmcnt(0)
	v_add_u32_e32 v8, v70, v8
	ds_write_b32 v71, v8 offset:32
.LBB1670_71:
	s_or_b64 exec, exec, s[4:5]
	v_lshrrev_b32_sdwa v8, s8, v23 dst_sel:DWORD dst_unused:UNUSED_PAD src0_sel:DWORD src1_sel:WORD_0
	v_and_b32_e32 v75, s33, v8
	v_and_b32_e32 v8, 1, v75
	v_lshl_add_u64 v[10:11], v[8:9], 0, -1
	v_cmp_ne_u32_e64 s[46:47], 0, v8
	v_mad_u32_u24 v74, v75, 36, v44
	s_nop 0
	v_xor_b32_e32 v10, s46, v10
	v_xor_b32_e32 v8, s47, v11
	v_and_b32_e32 v76, exec_lo, v10
	v_lshlrev_b32_e32 v11, 30, v75
	v_mov_b32_e32 v10, v9
	v_cmp_gt_i64_e64 s[46:47], 0, v[10:11]
	v_not_b32_e32 v10, v11
	v_ashrrev_i32_e32 v10, 31, v10
	v_and_b32_e32 v8, exec_hi, v8
	v_xor_b32_e32 v11, s47, v10
	v_xor_b32_e32 v10, s46, v10
	v_and_b32_e32 v8, v8, v11
	v_and_b32_e32 v76, v76, v10
	v_lshlrev_b32_e32 v11, 29, v75
	v_mov_b32_e32 v10, v9
	v_cmp_gt_i64_e64 s[46:47], 0, v[10:11]
	v_not_b32_e32 v10, v11
	v_ashrrev_i32_e32 v10, 31, v10
	v_xor_b32_e32 v11, s47, v10
	v_xor_b32_e32 v10, s46, v10
	v_and_b32_e32 v8, v8, v11
	v_and_b32_e32 v76, v76, v10
	v_lshlrev_b32_e32 v11, 28, v75
	v_mov_b32_e32 v10, v9
	v_cmp_gt_i64_e64 s[46:47], 0, v[10:11]
	v_not_b32_e32 v10, v11
	v_ashrrev_i32_e32 v10, 31, v10
	;; [unrolled: 9-line block ×3, first 2 shown]
	v_xor_b32_e32 v11, s47, v10
	v_xor_b32_e32 v10, s46, v10
	v_and_b32_e32 v8, v8, v11
	v_lshlrev_b32_e32 v11, 26, v75
	v_and_b32_e32 v76, v76, v10
	v_mov_b32_e32 v10, v9
	v_not_b32_e32 v9, v11
	v_cmp_gt_i64_e64 s[46:47], 0, v[10:11]
	v_ashrrev_i32_e32 v9, 31, v9
	; wave barrier
	s_nop 0
	v_xor_b32_e32 v10, s47, v9
	v_xor_b32_e32 v11, s46, v9
	ds_read_b32 v73, v74 offset:32
	v_and_b32_e32 v9, v8, v10
	v_and_b32_e32 v8, v76, v11
	v_mbcnt_lo_u32_b32 v10, v8, 0
	v_mbcnt_hi_u32_b32 v75, v9, v10
	v_cmp_eq_u32_e64 s[46:47], 0, v75
	v_cmp_ne_u64_e64 s[48:49], 0, v[8:9]
	s_and_b64 s[46:47], s[48:49], s[46:47]
	; wave barrier
	s_and_saveexec_b64 s[4:5], s[46:47]
	s_cbranch_execz .LBB1670_73
; %bb.72:
	v_bcnt_u32_b32 v8, v8, 0
	v_bcnt_u32_b32 v8, v9, v8
	s_waitcnt lgkmcnt(0)
	v_add_u32_e32 v8, v73, v8
	ds_write_b32 v74, v8 offset:32
.LBB1670_73:
	s_or_b64 exec, exec, s[4:5]
	v_lshrrev_b32_sdwa v8, s8, v26 dst_sel:DWORD dst_unused:UNUSED_PAD src0_sel:DWORD src1_sel:WORD_0
	v_and_b32_e32 v78, s33, v8
	v_and_b32_e32 v8, 1, v78
	v_mov_b32_e32 v9, 0
	v_lshl_add_u64 v[10:11], v[8:9], 0, -1
	v_cmp_ne_u32_e64 s[46:47], 0, v8
	v_mad_u32_u24 v77, v78, 36, v44
	s_nop 0
	v_xor_b32_e32 v10, s46, v10
	v_xor_b32_e32 v8, s47, v11
	v_and_b32_e32 v79, exec_lo, v10
	v_lshlrev_b32_e32 v11, 30, v78
	v_mov_b32_e32 v10, v9
	v_cmp_gt_i64_e64 s[46:47], 0, v[10:11]
	v_not_b32_e32 v10, v11
	v_ashrrev_i32_e32 v10, 31, v10
	v_and_b32_e32 v8, exec_hi, v8
	v_xor_b32_e32 v11, s47, v10
	v_xor_b32_e32 v10, s46, v10
	v_and_b32_e32 v8, v8, v11
	v_and_b32_e32 v79, v79, v10
	v_lshlrev_b32_e32 v11, 29, v78
	v_mov_b32_e32 v10, v9
	v_cmp_gt_i64_e64 s[46:47], 0, v[10:11]
	v_not_b32_e32 v10, v11
	v_ashrrev_i32_e32 v10, 31, v10
	v_xor_b32_e32 v11, s47, v10
	v_xor_b32_e32 v10, s46, v10
	v_and_b32_e32 v8, v8, v11
	v_and_b32_e32 v79, v79, v10
	v_lshlrev_b32_e32 v11, 28, v78
	v_mov_b32_e32 v10, v9
	v_cmp_gt_i64_e64 s[46:47], 0, v[10:11]
	v_not_b32_e32 v10, v11
	v_ashrrev_i32_e32 v10, 31, v10
	;; [unrolled: 9-line block ×4, first 2 shown]
	v_xor_b32_e32 v11, s47, v10
	v_xor_b32_e32 v10, s46, v10
	; wave barrier
	ds_read_b32 v76, v77 offset:32
	v_and_b32_e32 v10, v79, v10
	v_and_b32_e32 v11, v8, v11
	v_mbcnt_lo_u32_b32 v8, v10, 0
	v_mbcnt_hi_u32_b32 v78, v11, v8
	v_cmp_eq_u32_e64 s[46:47], 0, v78
	v_cmp_ne_u64_e64 s[48:49], 0, v[10:11]
	s_and_b64 s[46:47], s[48:49], s[46:47]
	; wave barrier
	s_and_saveexec_b64 s[4:5], s[46:47]
	s_cbranch_execz .LBB1670_75
; %bb.74:
	v_bcnt_u32_b32 v8, v10, 0
	v_bcnt_u32_b32 v8, v11, v8
	s_waitcnt lgkmcnt(0)
	v_add_u32_e32 v8, v76, v8
	ds_write_b32 v77, v8 offset:32
.LBB1670_75:
	s_or_b64 exec, exec, s[4:5]
	v_lshrrev_b32_sdwa v8, s8, v25 dst_sel:DWORD dst_unused:UNUSED_PAD src0_sel:DWORD src1_sel:WORD_0
	v_and_b32_e32 v81, s33, v8
	v_and_b32_e32 v8, 1, v81
	v_lshl_add_u64 v[10:11], v[8:9], 0, -1
	v_cmp_ne_u32_e64 s[46:47], 0, v8
	v_mad_u32_u24 v80, v81, 36, v44
	s_nop 0
	v_xor_b32_e32 v10, s46, v10
	v_xor_b32_e32 v8, s47, v11
	v_and_b32_e32 v82, exec_lo, v10
	v_lshlrev_b32_e32 v11, 30, v81
	v_mov_b32_e32 v10, v9
	v_cmp_gt_i64_e64 s[46:47], 0, v[10:11]
	v_not_b32_e32 v10, v11
	v_ashrrev_i32_e32 v10, 31, v10
	v_and_b32_e32 v8, exec_hi, v8
	v_xor_b32_e32 v11, s47, v10
	v_xor_b32_e32 v10, s46, v10
	v_and_b32_e32 v8, v8, v11
	v_and_b32_e32 v82, v82, v10
	v_lshlrev_b32_e32 v11, 29, v81
	v_mov_b32_e32 v10, v9
	v_cmp_gt_i64_e64 s[46:47], 0, v[10:11]
	v_not_b32_e32 v10, v11
	v_ashrrev_i32_e32 v10, 31, v10
	v_xor_b32_e32 v11, s47, v10
	v_xor_b32_e32 v10, s46, v10
	v_and_b32_e32 v8, v8, v11
	v_and_b32_e32 v82, v82, v10
	v_lshlrev_b32_e32 v11, 28, v81
	v_mov_b32_e32 v10, v9
	v_cmp_gt_i64_e64 s[46:47], 0, v[10:11]
	v_not_b32_e32 v10, v11
	v_ashrrev_i32_e32 v10, 31, v10
	;; [unrolled: 9-line block ×3, first 2 shown]
	v_xor_b32_e32 v11, s47, v10
	v_xor_b32_e32 v10, s46, v10
	v_and_b32_e32 v8, v8, v11
	v_lshlrev_b32_e32 v11, 26, v81
	v_and_b32_e32 v82, v82, v10
	v_mov_b32_e32 v10, v9
	v_not_b32_e32 v9, v11
	v_cmp_gt_i64_e64 s[46:47], 0, v[10:11]
	v_ashrrev_i32_e32 v9, 31, v9
	; wave barrier
	s_nop 0
	v_xor_b32_e32 v10, s47, v9
	v_xor_b32_e32 v11, s46, v9
	ds_read_b32 v79, v80 offset:32
	v_and_b32_e32 v9, v8, v10
	v_and_b32_e32 v8, v82, v11
	v_mbcnt_lo_u32_b32 v10, v8, 0
	v_mbcnt_hi_u32_b32 v81, v9, v10
	v_cmp_eq_u32_e64 s[46:47], 0, v81
	v_cmp_ne_u64_e64 s[48:49], 0, v[8:9]
	s_and_b64 s[46:47], s[48:49], s[46:47]
	; wave barrier
	s_and_saveexec_b64 s[4:5], s[46:47]
	s_cbranch_execz .LBB1670_77
; %bb.76:
	v_bcnt_u32_b32 v8, v8, 0
	v_bcnt_u32_b32 v8, v9, v8
	s_waitcnt lgkmcnt(0)
	v_add_u32_e32 v8, v79, v8
	ds_write_b32 v80, v8 offset:32
.LBB1670_77:
	s_or_b64 exec, exec, s[4:5]
	v_lshrrev_b32_sdwa v8, s8, v28 dst_sel:DWORD dst_unused:UNUSED_PAD src0_sel:DWORD src1_sel:WORD_0
	v_and_b32_e32 v84, s33, v8
	v_and_b32_e32 v8, 1, v84
	v_mov_b32_e32 v9, 0
	v_lshl_add_u64 v[10:11], v[8:9], 0, -1
	v_cmp_ne_u32_e64 s[46:47], 0, v8
	v_mad_u32_u24 v83, v84, 36, v44
	s_nop 0
	v_xor_b32_e32 v10, s46, v10
	v_xor_b32_e32 v8, s47, v11
	v_and_b32_e32 v85, exec_lo, v10
	v_lshlrev_b32_e32 v11, 30, v84
	v_mov_b32_e32 v10, v9
	v_cmp_gt_i64_e64 s[46:47], 0, v[10:11]
	v_not_b32_e32 v10, v11
	v_ashrrev_i32_e32 v10, 31, v10
	v_and_b32_e32 v8, exec_hi, v8
	v_xor_b32_e32 v11, s47, v10
	v_xor_b32_e32 v10, s46, v10
	v_and_b32_e32 v8, v8, v11
	v_and_b32_e32 v85, v85, v10
	v_lshlrev_b32_e32 v11, 29, v84
	v_mov_b32_e32 v10, v9
	v_cmp_gt_i64_e64 s[46:47], 0, v[10:11]
	v_not_b32_e32 v10, v11
	v_ashrrev_i32_e32 v10, 31, v10
	v_xor_b32_e32 v11, s47, v10
	v_xor_b32_e32 v10, s46, v10
	v_and_b32_e32 v8, v8, v11
	v_and_b32_e32 v85, v85, v10
	v_lshlrev_b32_e32 v11, 28, v84
	v_mov_b32_e32 v10, v9
	v_cmp_gt_i64_e64 s[46:47], 0, v[10:11]
	v_not_b32_e32 v10, v11
	v_ashrrev_i32_e32 v10, 31, v10
	;; [unrolled: 9-line block ×4, first 2 shown]
	v_xor_b32_e32 v11, s47, v10
	v_xor_b32_e32 v10, s46, v10
	; wave barrier
	ds_read_b32 v82, v83 offset:32
	v_and_b32_e32 v10, v85, v10
	v_and_b32_e32 v11, v8, v11
	v_mbcnt_lo_u32_b32 v8, v10, 0
	v_mbcnt_hi_u32_b32 v84, v11, v8
	v_cmp_eq_u32_e64 s[46:47], 0, v84
	v_cmp_ne_u64_e64 s[48:49], 0, v[10:11]
	s_and_b64 s[46:47], s[48:49], s[46:47]
	; wave barrier
	s_and_saveexec_b64 s[4:5], s[46:47]
	s_cbranch_execz .LBB1670_79
; %bb.78:
	v_bcnt_u32_b32 v8, v10, 0
	v_bcnt_u32_b32 v8, v11, v8
	s_waitcnt lgkmcnt(0)
	v_add_u32_e32 v8, v82, v8
	ds_write_b32 v83, v8 offset:32
.LBB1670_79:
	s_or_b64 exec, exec, s[4:5]
	v_lshrrev_b32_sdwa v8, s8, v27 dst_sel:DWORD dst_unused:UNUSED_PAD src0_sel:DWORD src1_sel:WORD_0
	v_and_b32_e32 v87, s33, v8
	v_and_b32_e32 v8, 1, v87
	v_lshl_add_u64 v[10:11], v[8:9], 0, -1
	v_cmp_ne_u32_e64 s[46:47], 0, v8
	v_mad_u32_u24 v86, v87, 36, v44
	s_nop 0
	v_xor_b32_e32 v10, s46, v10
	v_xor_b32_e32 v8, s47, v11
	v_and_b32_e32 v88, exec_lo, v10
	v_lshlrev_b32_e32 v11, 30, v87
	v_mov_b32_e32 v10, v9
	v_cmp_gt_i64_e64 s[46:47], 0, v[10:11]
	v_not_b32_e32 v10, v11
	v_ashrrev_i32_e32 v10, 31, v10
	v_and_b32_e32 v8, exec_hi, v8
	v_xor_b32_e32 v11, s47, v10
	v_xor_b32_e32 v10, s46, v10
	v_and_b32_e32 v8, v8, v11
	v_and_b32_e32 v88, v88, v10
	v_lshlrev_b32_e32 v11, 29, v87
	v_mov_b32_e32 v10, v9
	v_cmp_gt_i64_e64 s[46:47], 0, v[10:11]
	v_not_b32_e32 v10, v11
	v_ashrrev_i32_e32 v10, 31, v10
	v_xor_b32_e32 v11, s47, v10
	v_xor_b32_e32 v10, s46, v10
	v_and_b32_e32 v8, v8, v11
	v_and_b32_e32 v88, v88, v10
	v_lshlrev_b32_e32 v11, 28, v87
	v_mov_b32_e32 v10, v9
	v_cmp_gt_i64_e64 s[46:47], 0, v[10:11]
	v_not_b32_e32 v10, v11
	v_ashrrev_i32_e32 v10, 31, v10
	;; [unrolled: 9-line block ×3, first 2 shown]
	v_xor_b32_e32 v11, s47, v10
	v_xor_b32_e32 v10, s46, v10
	v_and_b32_e32 v8, v8, v11
	v_lshlrev_b32_e32 v11, 26, v87
	v_and_b32_e32 v88, v88, v10
	v_mov_b32_e32 v10, v9
	v_not_b32_e32 v9, v11
	v_cmp_gt_i64_e64 s[46:47], 0, v[10:11]
	v_ashrrev_i32_e32 v9, 31, v9
	; wave barrier
	s_nop 0
	v_xor_b32_e32 v10, s47, v9
	v_xor_b32_e32 v11, s46, v9
	ds_read_b32 v85, v86 offset:32
	v_and_b32_e32 v9, v8, v10
	v_and_b32_e32 v8, v88, v11
	v_mbcnt_lo_u32_b32 v10, v8, 0
	v_mbcnt_hi_u32_b32 v87, v9, v10
	v_cmp_eq_u32_e64 s[46:47], 0, v87
	v_cmp_ne_u64_e64 s[48:49], 0, v[8:9]
	s_and_b64 s[46:47], s[48:49], s[46:47]
	; wave barrier
	s_and_saveexec_b64 s[4:5], s[46:47]
	s_cbranch_execz .LBB1670_81
; %bb.80:
	v_bcnt_u32_b32 v8, v8, 0
	v_bcnt_u32_b32 v8, v9, v8
	s_waitcnt lgkmcnt(0)
	v_add_u32_e32 v8, v85, v8
	ds_write_b32 v86, v8 offset:32
.LBB1670_81:
	s_or_b64 exec, exec, s[4:5]
	v_lshrrev_b32_sdwa v8, s8, v30 dst_sel:DWORD dst_unused:UNUSED_PAD src0_sel:DWORD src1_sel:WORD_0
	v_and_b32_e32 v90, s33, v8
	v_and_b32_e32 v8, 1, v90
	v_mov_b32_e32 v9, 0
	v_lshl_add_u64 v[10:11], v[8:9], 0, -1
	v_cmp_ne_u32_e64 s[46:47], 0, v8
	v_mad_u32_u24 v89, v90, 36, v44
	s_nop 0
	v_xor_b32_e32 v10, s46, v10
	v_xor_b32_e32 v8, s47, v11
	v_and_b32_e32 v91, exec_lo, v10
	v_lshlrev_b32_e32 v11, 30, v90
	v_mov_b32_e32 v10, v9
	v_cmp_gt_i64_e64 s[46:47], 0, v[10:11]
	v_not_b32_e32 v10, v11
	v_ashrrev_i32_e32 v10, 31, v10
	v_and_b32_e32 v8, exec_hi, v8
	v_xor_b32_e32 v11, s47, v10
	v_xor_b32_e32 v10, s46, v10
	v_and_b32_e32 v8, v8, v11
	v_and_b32_e32 v91, v91, v10
	v_lshlrev_b32_e32 v11, 29, v90
	v_mov_b32_e32 v10, v9
	v_cmp_gt_i64_e64 s[46:47], 0, v[10:11]
	v_not_b32_e32 v10, v11
	v_ashrrev_i32_e32 v10, 31, v10
	v_xor_b32_e32 v11, s47, v10
	v_xor_b32_e32 v10, s46, v10
	v_and_b32_e32 v8, v8, v11
	v_and_b32_e32 v91, v91, v10
	v_lshlrev_b32_e32 v11, 28, v90
	v_mov_b32_e32 v10, v9
	v_cmp_gt_i64_e64 s[46:47], 0, v[10:11]
	v_not_b32_e32 v10, v11
	v_ashrrev_i32_e32 v10, 31, v10
	;; [unrolled: 9-line block ×4, first 2 shown]
	v_xor_b32_e32 v11, s47, v10
	v_xor_b32_e32 v10, s46, v10
	; wave barrier
	ds_read_b32 v88, v89 offset:32
	v_and_b32_e32 v10, v91, v10
	v_and_b32_e32 v11, v8, v11
	v_mbcnt_lo_u32_b32 v8, v10, 0
	v_mbcnt_hi_u32_b32 v90, v11, v8
	v_cmp_eq_u32_e64 s[46:47], 0, v90
	v_cmp_ne_u64_e64 s[48:49], 0, v[10:11]
	s_and_b64 s[46:47], s[48:49], s[46:47]
	; wave barrier
	s_and_saveexec_b64 s[4:5], s[46:47]
	s_cbranch_execz .LBB1670_83
; %bb.82:
	v_bcnt_u32_b32 v8, v10, 0
	v_bcnt_u32_b32 v8, v11, v8
	s_waitcnt lgkmcnt(0)
	v_add_u32_e32 v8, v88, v8
	ds_write_b32 v89, v8 offset:32
.LBB1670_83:
	s_or_b64 exec, exec, s[4:5]
	v_lshrrev_b32_sdwa v8, s8, v29 dst_sel:DWORD dst_unused:UNUSED_PAD src0_sel:DWORD src1_sel:WORD_0
	v_and_b32_e32 v93, s33, v8
	v_and_b32_e32 v8, 1, v93
	v_lshl_add_u64 v[10:11], v[8:9], 0, -1
	v_cmp_ne_u32_e64 s[46:47], 0, v8
	v_mad_u32_u24 v92, v93, 36, v44
	s_nop 0
	v_xor_b32_e32 v10, s46, v10
	v_xor_b32_e32 v8, s47, v11
	v_and_b32_e32 v94, exec_lo, v10
	v_lshlrev_b32_e32 v11, 30, v93
	v_mov_b32_e32 v10, v9
	v_cmp_gt_i64_e64 s[46:47], 0, v[10:11]
	v_not_b32_e32 v10, v11
	v_ashrrev_i32_e32 v10, 31, v10
	v_and_b32_e32 v8, exec_hi, v8
	v_xor_b32_e32 v11, s47, v10
	v_xor_b32_e32 v10, s46, v10
	v_and_b32_e32 v8, v8, v11
	v_and_b32_e32 v94, v94, v10
	v_lshlrev_b32_e32 v11, 29, v93
	v_mov_b32_e32 v10, v9
	v_cmp_gt_i64_e64 s[46:47], 0, v[10:11]
	v_not_b32_e32 v10, v11
	v_ashrrev_i32_e32 v10, 31, v10
	v_xor_b32_e32 v11, s47, v10
	v_xor_b32_e32 v10, s46, v10
	v_and_b32_e32 v8, v8, v11
	v_and_b32_e32 v94, v94, v10
	v_lshlrev_b32_e32 v11, 28, v93
	v_mov_b32_e32 v10, v9
	v_cmp_gt_i64_e64 s[46:47], 0, v[10:11]
	v_not_b32_e32 v10, v11
	v_ashrrev_i32_e32 v10, 31, v10
	;; [unrolled: 9-line block ×3, first 2 shown]
	v_xor_b32_e32 v11, s47, v10
	v_xor_b32_e32 v10, s46, v10
	v_and_b32_e32 v8, v8, v11
	v_lshlrev_b32_e32 v11, 26, v93
	v_and_b32_e32 v94, v94, v10
	v_mov_b32_e32 v10, v9
	v_not_b32_e32 v9, v11
	v_cmp_gt_i64_e64 s[46:47], 0, v[10:11]
	v_ashrrev_i32_e32 v9, 31, v9
	; wave barrier
	s_nop 0
	v_xor_b32_e32 v10, s47, v9
	v_xor_b32_e32 v11, s46, v9
	ds_read_b32 v91, v92 offset:32
	v_and_b32_e32 v9, v8, v10
	v_and_b32_e32 v8, v94, v11
	v_mbcnt_lo_u32_b32 v10, v8, 0
	v_mbcnt_hi_u32_b32 v93, v9, v10
	v_cmp_eq_u32_e64 s[46:47], 0, v93
	v_cmp_ne_u64_e64 s[48:49], 0, v[8:9]
	s_and_b64 s[46:47], s[48:49], s[46:47]
	; wave barrier
	s_and_saveexec_b64 s[4:5], s[46:47]
	s_cbranch_execz .LBB1670_85
; %bb.84:
	v_bcnt_u32_b32 v8, v8, 0
	v_bcnt_u32_b32 v8, v9, v8
	s_waitcnt lgkmcnt(0)
	v_add_u32_e32 v8, v91, v8
	ds_write_b32 v92, v8 offset:32
.LBB1670_85:
	s_or_b64 exec, exec, s[4:5]
	v_lshrrev_b32_sdwa v8, s8, v32 dst_sel:DWORD dst_unused:UNUSED_PAD src0_sel:DWORD src1_sel:WORD_0
	v_and_b32_e32 v96, s33, v8
	v_and_b32_e32 v8, 1, v96
	v_mov_b32_e32 v9, 0
	v_lshl_add_u64 v[10:11], v[8:9], 0, -1
	v_cmp_ne_u32_e64 s[46:47], 0, v8
	v_mad_u32_u24 v95, v96, 36, v44
	s_nop 0
	v_xor_b32_e32 v10, s46, v10
	v_xor_b32_e32 v8, s47, v11
	v_and_b32_e32 v97, exec_lo, v10
	v_lshlrev_b32_e32 v11, 30, v96
	v_mov_b32_e32 v10, v9
	v_cmp_gt_i64_e64 s[46:47], 0, v[10:11]
	v_not_b32_e32 v10, v11
	v_ashrrev_i32_e32 v10, 31, v10
	v_and_b32_e32 v8, exec_hi, v8
	v_xor_b32_e32 v11, s47, v10
	v_xor_b32_e32 v10, s46, v10
	v_and_b32_e32 v8, v8, v11
	v_and_b32_e32 v97, v97, v10
	v_lshlrev_b32_e32 v11, 29, v96
	v_mov_b32_e32 v10, v9
	v_cmp_gt_i64_e64 s[46:47], 0, v[10:11]
	v_not_b32_e32 v10, v11
	v_ashrrev_i32_e32 v10, 31, v10
	v_xor_b32_e32 v11, s47, v10
	v_xor_b32_e32 v10, s46, v10
	v_and_b32_e32 v8, v8, v11
	v_and_b32_e32 v97, v97, v10
	v_lshlrev_b32_e32 v11, 28, v96
	v_mov_b32_e32 v10, v9
	v_cmp_gt_i64_e64 s[46:47], 0, v[10:11]
	v_not_b32_e32 v10, v11
	v_ashrrev_i32_e32 v10, 31, v10
	;; [unrolled: 9-line block ×4, first 2 shown]
	v_xor_b32_e32 v11, s47, v10
	v_xor_b32_e32 v10, s46, v10
	; wave barrier
	ds_read_b32 v94, v95 offset:32
	v_and_b32_e32 v10, v97, v10
	v_and_b32_e32 v11, v8, v11
	v_mbcnt_lo_u32_b32 v8, v10, 0
	v_mbcnt_hi_u32_b32 v96, v11, v8
	v_cmp_eq_u32_e64 s[46:47], 0, v96
	v_cmp_ne_u64_e64 s[48:49], 0, v[10:11]
	s_and_b64 s[46:47], s[48:49], s[46:47]
	; wave barrier
	s_and_saveexec_b64 s[4:5], s[46:47]
	s_cbranch_execz .LBB1670_87
; %bb.86:
	v_bcnt_u32_b32 v8, v10, 0
	v_bcnt_u32_b32 v8, v11, v8
	s_waitcnt lgkmcnt(0)
	v_add_u32_e32 v8, v94, v8
	ds_write_b32 v95, v8 offset:32
.LBB1670_87:
	s_or_b64 exec, exec, s[4:5]
	v_lshrrev_b32_sdwa v8, s8, v31 dst_sel:DWORD dst_unused:UNUSED_PAD src0_sel:DWORD src1_sel:WORD_0
	v_and_b32_e32 v97, s33, v8
	v_and_b32_e32 v8, 1, v97
	v_lshl_add_u64 v[98:99], v[8:9], 0, -1
	v_cmp_ne_u32_e64 s[46:47], 0, v8
	v_mad_u32_u24 v11, v97, 36, v44
	s_nop 0
	v_xor_b32_e32 v8, s47, v99
	v_xor_b32_e32 v44, s46, v98
	v_lshlrev_b32_e32 v99, 30, v97
	v_mov_b32_e32 v98, v9
	v_cmp_gt_i64_e64 s[46:47], 0, v[98:99]
	v_not_b32_e32 v98, v99
	v_ashrrev_i32_e32 v98, 31, v98
	v_and_b32_e32 v8, exec_hi, v8
	v_and_b32_e32 v44, exec_lo, v44
	v_xor_b32_e32 v99, s47, v98
	v_xor_b32_e32 v98, s46, v98
	v_and_b32_e32 v8, v8, v99
	v_and_b32_e32 v44, v44, v98
	v_lshlrev_b32_e32 v99, 29, v97
	v_mov_b32_e32 v98, v9
	v_cmp_gt_i64_e64 s[46:47], 0, v[98:99]
	v_not_b32_e32 v98, v99
	v_ashrrev_i32_e32 v98, 31, v98
	v_xor_b32_e32 v99, s47, v98
	v_xor_b32_e32 v98, s46, v98
	v_and_b32_e32 v8, v8, v99
	v_and_b32_e32 v44, v44, v98
	v_lshlrev_b32_e32 v99, 28, v97
	v_mov_b32_e32 v98, v9
	v_cmp_gt_i64_e64 s[46:47], 0, v[98:99]
	v_not_b32_e32 v98, v99
	v_ashrrev_i32_e32 v98, 31, v98
	;; [unrolled: 9-line block ×3, first 2 shown]
	v_xor_b32_e32 v99, s47, v98
	v_xor_b32_e32 v98, s46, v98
	v_and_b32_e32 v8, v8, v99
	v_lshlrev_b32_e32 v99, 26, v97
	v_and_b32_e32 v44, v44, v98
	v_mov_b32_e32 v98, v9
	v_not_b32_e32 v9, v99
	v_cmp_gt_i64_e64 s[46:47], 0, v[98:99]
	v_ashrrev_i32_e32 v9, 31, v9
	; wave barrier
	s_nop 0
	v_xor_b32_e32 v97, s47, v9
	v_xor_b32_e32 v98, s46, v9
	ds_read_b32 v10, v11 offset:32
	v_and_b32_e32 v9, v8, v97
	v_and_b32_e32 v8, v44, v98
	v_mbcnt_lo_u32_b32 v44, v8, 0
	v_mbcnt_hi_u32_b32 v97, v9, v44
	v_cmp_eq_u32_e64 s[46:47], 0, v97
	v_cmp_ne_u64_e64 s[48:49], 0, v[8:9]
	s_and_b64 s[46:47], s[48:49], s[46:47]
	; wave barrier
	s_and_saveexec_b64 s[4:5], s[46:47]
	s_cbranch_execz .LBB1670_89
; %bb.88:
	v_bcnt_u32_b32 v8, v8, 0
	v_bcnt_u32_b32 v8, v9, v8
	s_waitcnt lgkmcnt(0)
	v_add_u32_e32 v8, v10, v8
	ds_write_b32 v11, v8 offset:32
.LBB1670_89:
	s_or_b64 exec, exec, s[4:5]
	; wave barrier
	s_waitcnt lgkmcnt(0)
	s_barrier
	ds_read_b64 v[8:9], v33 offset:32
	v_and_b32_e32 v44, 15, v15
	v_cmp_ne_u32_e64 s[46:47], 0, v44
	v_min_u32_e32 v21, 0x1c0, v21
	v_or_b32_e32 v21, 63, v21
	s_waitcnt lgkmcnt(0)
	v_add_u32_e32 v9, v9, v8
	s_nop 1
	v_mov_b32_dpp v98, v9 row_shr:1 row_mask:0xf bank_mask:0xf
	v_cndmask_b32_e64 v98, 0, v98, s[46:47]
	v_add_u32_e32 v9, v98, v9
	v_cmp_lt_u32_e64 s[46:47], 1, v44
	s_nop 0
	v_mov_b32_dpp v98, v9 row_shr:2 row_mask:0xf bank_mask:0xf
	v_cndmask_b32_e64 v98, 0, v98, s[46:47]
	v_add_u32_e32 v9, v9, v98
	v_cmp_lt_u32_e64 s[46:47], 3, v44
	;; [unrolled: 5-line block ×3, first 2 shown]
	s_nop 0
	v_mov_b32_dpp v98, v9 row_shr:8 row_mask:0xf bank_mask:0xf
	v_cndmask_b32_e64 v44, 0, v98, s[46:47]
	v_add_u32_e32 v9, v9, v44
	v_bfe_i32 v98, v15, 4, 1
	v_cmp_lt_u32_e64 s[46:47], 31, v15
	v_mov_b32_dpp v44, v9 row_bcast:15 row_mask:0xf bank_mask:0xf
	v_and_b32_e32 v44, v98, v44
	v_add_u32_e32 v9, v9, v44
	s_nop 1
	v_mov_b32_dpp v44, v9 row_bcast:31 row_mask:0xf bank_mask:0xf
	v_cndmask_b32_e64 v44, 0, v44, s[46:47]
	v_add_u32_e32 v9, v9, v44
	v_lshrrev_b32_e32 v44, 6, v2
	v_cmp_eq_u32_e64 s[46:47], v2, v21
	s_and_saveexec_b64 s[4:5], s[46:47]
; %bb.90:
	v_lshlrev_b32_e32 v21, 2, v44
	ds_write_b32 v21, v9
; %bb.91:
	s_or_b64 exec, exec, s[4:5]
	v_cmp_gt_u32_e64 s[46:47], 8, v2
	v_lshlrev_b32_e32 v21, 2, v2
	s_waitcnt lgkmcnt(0)
	s_barrier
	s_and_saveexec_b64 s[48:49], s[46:47]
	s_cbranch_execz .LBB1670_93
; %bb.92:
	ds_read_b32 v98, v21
	v_and_b32_e32 v99, 7, v15
	v_cmp_ne_u32_e64 s[46:47], 0, v99
	s_waitcnt lgkmcnt(0)
	v_mov_b32_dpp v100, v98 row_shr:1 row_mask:0xf bank_mask:0xf
	v_cndmask_b32_e64 v100, 0, v100, s[46:47]
	v_add_u32_e32 v98, v100, v98
	v_cmp_lt_u32_e64 s[46:47], 1, v99
	s_nop 0
	v_mov_b32_dpp v100, v98 row_shr:2 row_mask:0xf bank_mask:0xf
	v_cndmask_b32_e64 v100, 0, v100, s[46:47]
	v_add_u32_e32 v98, v98, v100
	v_cmp_lt_u32_e64 s[46:47], 3, v99
	s_nop 0
	v_mov_b32_dpp v100, v98 row_shr:4 row_mask:0xf bank_mask:0xf
	v_cndmask_b32_e64 v99, 0, v100, s[46:47]
	v_add_u32_e32 v98, v98, v99
	ds_write_b32 v21, v98
.LBB1670_93:
	s_or_b64 exec, exec, s[48:49]
	v_cmp_gt_u32_e64 s[48:49], 64, v2
	v_cmp_lt_u32_e64 s[46:47], 63, v2
	v_mov_b32_e32 v98, 0
	s_waitcnt lgkmcnt(0)
	s_barrier
	s_and_saveexec_b64 s[4:5], s[46:47]
; %bb.94:
	v_lshl_add_u32 v44, v44, 2, -4
	ds_read_b32 v98, v44
; %bb.95:
	s_or_b64 exec, exec, s[4:5]
	v_subrev_co_u32_e64 v44, s[50:51], 1, v15
	v_and_b32_e32 v99, 64, v15
	v_cmp_lt_i32_e64 s[52:53], v44, v99
	s_waitcnt lgkmcnt(0)
	v_add_u32_e32 v9, v98, v9
	v_cndmask_b32_e64 v15, v44, v15, s[52:53]
	v_lshlrev_b32_e32 v15, 2, v15
	ds_bpermute_b32 v9, v15, v9
                                        ; implicit-def: $vgpr15
	s_waitcnt lgkmcnt(0)
	v_cndmask_b32_e64 v9, v9, v98, s[50:51]
	v_cmp_ne_u32_e64 s[50:51], 0, v2
	s_nop 1
	v_cndmask_b32_e64 v98, 0, v9, s[50:51]
	v_add_u32_e32 v99, v98, v8
	ds_write_b64 v33, v[98:99] offset:32
	s_waitcnt lgkmcnt(0)
	s_barrier
	ds_read_b32 v8, v36 offset:32
	ds_read_b32 v9, v37 offset:32
	;; [unrolled: 1-line block ×22, first 2 shown]
                                        ; implicit-def: $vgpr33
	s_and_saveexec_b64 s[52:53], s[48:49]
	s_cbranch_execz .LBB1670_99
; %bb.96:
	v_mul_u32_u24_e32 v15, 36, v2
	ds_read_b32 v15, v15 offset:32
	v_add_u32_e32 v53, 1, v2
	v_cmp_ne_u32_e64 s[50:51], 64, v53
	v_mov_b32_e32 v33, 0x2c00
	s_and_saveexec_b64 s[4:5], s[50:51]
; %bb.97:
	v_mul_u32_u24_e32 v33, 36, v53
	ds_read_b32 v33, v33 offset:32
; %bb.98:
	s_or_b64 exec, exec, s[4:5]
	s_waitcnt lgkmcnt(0)
	v_sub_u32_e32 v33, v33, v15
.LBB1670_99:
	s_or_b64 exec, exec, s[52:53]
	s_waitcnt lgkmcnt(14)
	v_add_u32_e32 v71, v8, v34
	v_add3_u32 v68, v38, v35, v9
	v_add3_u32 v65, v41, v39, v36
	;; [unrolled: 1-line block ×7, first 2 shown]
	s_waitcnt lgkmcnt(13)
	v_add3_u32 v48, v60, v58, v50
	s_waitcnt lgkmcnt(12)
	v_add3_u32 v46, v63, v61, v98
	;; [unrolled: 2-line block ×6, first 2 shown]
	v_lshlrev_b32_e32 v74, 1, v71
	v_lshlrev_b32_e32 v69, 1, v68
	;; [unrolled: 1-line block ×13, first 2 shown]
	s_waitcnt lgkmcnt(7)
	v_add3_u32 v41, v78, v76, v77
	s_waitcnt lgkmcnt(6)
	v_add3_u32 v40, v81, v79, v80
	;; [unrolled: 2-line block ×8, first 2 shown]
	s_barrier
	ds_write_b16 v74, v5 offset:256
	ds_write_b16 v69, v3 offset:256
	;; [unrolled: 1-line block ×13, first 2 shown]
	v_lshlrev_b32_e32 v24, 1, v42
	ds_write_b16 v24, v23 offset:256
	v_lshlrev_b32_e32 v23, 1, v41
	v_lshlrev_b32_e32 v22, 1, v40
	;; [unrolled: 1-line block ×8, first 2 shown]
	v_mov_b32_e32 v9, 0
	ds_write_b16 v23, v26 offset:256
	ds_write_b16 v22, v25 offset:256
	;; [unrolled: 1-line block ×8, first 2 shown]
	s_and_saveexec_b64 s[50:51], s[48:49]
	s_cbranch_execz .LBB1670_109
; %bb.100:
	v_lshl_add_u32 v8, s2, 6, v2
	v_lshl_add_u64 v[10:11], v[8:9], 2, s[12:13]
	v_or_b32_e32 v3, 2.0, v33
	global_store_dword v[10:11], v3, off sc1
	s_mov_b64 s[52:53], 0
	s_brev_b32 s56, -4
	s_mov_b32 s57, s2
	v_mov_b32_e32 v3, 0
                                        ; implicit-def: $sgpr48_sgpr49
	s_branch .LBB1670_103
.LBB1670_101:                           ;   in Loop: Header=BB1670_103 Depth=1
	s_or_b64 exec, exec, s[4:5]
.LBB1670_102:                           ;   in Loop: Header=BB1670_103 Depth=1
	s_or_b64 exec, exec, s[54:55]
	v_and_b32_e32 v7, 0x3fffffff, v5
	v_add_u32_e32 v3, v7, v3
	v_cmp_gt_i32_e64 s[48:49], -2.0, v5
	s_and_b64 s[4:5], exec, s[48:49]
	s_or_b64 s[52:53], s[4:5], s[52:53]
	s_andn2_b64 exec, exec, s[52:53]
	s_cbranch_execz .LBB1670_108
.LBB1670_103:                           ; =>This Loop Header: Depth=1
                                        ;     Child Loop BB1670_106 Depth 2
	s_or_b64 s[48:49], s[48:49], exec
	s_cmp_eq_u32 s57, 0
	s_cbranch_scc1 .LBB1670_107
; %bb.104:                              ;   in Loop: Header=BB1670_103 Depth=1
	s_add_i32 s57, s57, -1
	v_lshl_or_b32 v8, s57, 6, v2
	v_lshl_add_u64 v[12:13], v[8:9], 2, s[12:13]
	global_load_dword v5, v[12:13], off sc1
	s_waitcnt vmcnt(0)
	v_cmp_gt_u32_e64 s[48:49], 2.0, v5
	s_and_saveexec_b64 s[54:55], s[48:49]
	s_cbranch_execz .LBB1670_102
; %bb.105:                              ;   in Loop: Header=BB1670_103 Depth=1
	s_mov_b64 s[4:5], 0
.LBB1670_106:                           ;   Parent Loop BB1670_103 Depth=1
                                        ; =>  This Inner Loop Header: Depth=2
	global_load_dword v5, v[12:13], off sc1
	s_waitcnt vmcnt(0)
	v_cmp_lt_u32_e64 s[48:49], s56, v5
	s_or_b64 s[4:5], s[48:49], s[4:5]
	s_andn2_b64 exec, exec, s[4:5]
	s_cbranch_execnz .LBB1670_106
	s_branch .LBB1670_101
.LBB1670_107:                           ;   in Loop: Header=BB1670_103 Depth=1
                                        ; implicit-def: $sgpr57
	s_and_b64 s[4:5], exec, s[48:49]
	s_or_b64 s[52:53], s[4:5], s[52:53]
	s_andn2_b64 exec, exec, s[52:53]
	s_cbranch_execnz .LBB1670_103
.LBB1670_108:
	s_or_b64 exec, exec, s[52:53]
	s_load_dwordx4 s[52:55], s[0:1], 0x28
	v_add_u32_e32 v5, v3, v33
	v_or_b32_e32 v5, 0x80000000, v5
	global_store_dword v[10:11], v5, off sc1
	v_sub_u32_e32 v3, v3, v15
	s_waitcnt lgkmcnt(0)
	global_load_dword v5, v21, s[52:53]
	s_waitcnt vmcnt(0)
	v_add_u32_e32 v3, v3, v5
	ds_write_b32 v21, v3
.LBB1670_109:
	s_or_b64 exec, exec, s[50:51]
	v_cmp_gt_u32_e64 s[48:49], s7, v2
	v_mov_b32_e32 v8, 0
	v_lshlrev_b32_e32 v3, 1, v2
	v_mov_b32_e32 v10, 0
	s_waitcnt lgkmcnt(0)
	s_barrier
	s_and_saveexec_b64 s[50:51], s[48:49]
	s_cbranch_execz .LBB1670_111
; %bb.110:
	v_sub_u32_e32 v5, v21, v3
	ds_read_u16 v5, v5 offset:256
	v_mov_b32_e32 v13, 0
	s_waitcnt lgkmcnt(0)
	v_lshrrev_b32_sdwa v7, s8, v5 dst_sel:DWORD dst_unused:UNUSED_PAD src0_sel:DWORD src1_sel:WORD_0
	v_and_b32_e32 v10, s33, v7
	v_lshlrev_b32_e32 v7, 2, v10
	ds_read_b32 v7, v7
	v_xor_b32_e32 v5, 0xffff8000, v5
	s_waitcnt lgkmcnt(0)
	v_add_u32_e32 v12, v7, v2
	v_lshl_add_u64 v[12:13], v[12:13], 1, s[94:95]
	global_store_short v[12:13], v5, off
.LBB1670_111:
	s_or_b64 exec, exec, s[50:51]
	v_add_u32_e32 v9, 0x200, v2
	v_cmp_gt_u32_e64 s[50:51], s7, v9
	s_and_saveexec_b64 s[52:53], s[50:51]
	s_cbranch_execz .LBB1670_113
; %bb.112:
	v_sub_u32_e32 v5, v21, v3
	ds_read_u16 v5, v5 offset:1280
	v_mov_b32_e32 v13, 0
	s_waitcnt lgkmcnt(0)
	v_lshrrev_b32_sdwa v7, s8, v5 dst_sel:DWORD dst_unused:UNUSED_PAD src0_sel:DWORD src1_sel:WORD_0
	v_and_b32_e32 v8, s33, v7
	v_lshlrev_b32_e32 v7, 2, v8
	ds_read_b32 v7, v7
	v_xor_b32_e32 v5, 0xffff8000, v5
	s_waitcnt lgkmcnt(0)
	v_add_u32_e32 v12, v7, v9
	v_lshl_add_u64 v[12:13], v[12:13], 1, s[94:95]
	global_store_short v[12:13], v5, off
.LBB1670_113:
	s_or_b64 exec, exec, s[52:53]
	v_or_b32_e32 v12, 0x400, v2
	v_cmp_gt_u32_e64 s[52:53], s7, v12
	v_mov_b32_e32 v11, 0
	v_mov_b32_e32 v25, 0
	s_and_saveexec_b64 s[54:55], s[52:53]
	s_cbranch_execz .LBB1670_115
; %bb.114:
	v_sub_u32_e32 v5, v21, v3
	ds_read_u16 v5, v5 offset:2304
	v_mov_b32_e32 v27, 0
	s_waitcnt lgkmcnt(0)
	v_lshrrev_b32_sdwa v7, s8, v5 dst_sel:DWORD dst_unused:UNUSED_PAD src0_sel:DWORD src1_sel:WORD_0
	v_and_b32_e32 v25, s33, v7
	v_lshlrev_b32_e32 v7, 2, v25
	ds_read_b32 v7, v7
	v_xor_b32_e32 v5, 0xffff8000, v5
	s_waitcnt lgkmcnt(0)
	v_add_u32_e32 v26, v7, v12
	v_lshl_add_u64 v[26:27], v[26:27], 1, s[94:95]
	global_store_short v[26:27], v5, off
.LBB1670_115:
	s_or_b64 exec, exec, s[54:55]
	v_add_u32_e32 v13, 0x600, v2
	v_cmp_gt_u32_e64 s[54:55], s7, v13
	s_and_saveexec_b64 s[56:57], s[54:55]
	s_cbranch_execz .LBB1670_117
; %bb.116:
	v_sub_u32_e32 v5, v21, v3
	ds_read_u16 v5, v5 offset:3328
	v_mov_b32_e32 v27, 0
	s_waitcnt lgkmcnt(0)
	v_lshrrev_b32_sdwa v7, s8, v5 dst_sel:DWORD dst_unused:UNUSED_PAD src0_sel:DWORD src1_sel:WORD_0
	v_and_b32_e32 v11, s33, v7
	v_lshlrev_b32_e32 v7, 2, v11
	ds_read_b32 v7, v7
	v_xor_b32_e32 v5, 0xffff8000, v5
	s_waitcnt lgkmcnt(0)
	v_add_u32_e32 v26, v7, v13
	v_lshl_add_u64 v[26:27], v[26:27], 1, s[94:95]
	global_store_short v[26:27], v5, off
.LBB1670_117:
	s_or_b64 exec, exec, s[56:57]
	v_or_b32_e32 v27, 0x800, v2
	v_cmp_gt_u32_e64 s[56:57], s7, v27
	v_mov_b32_e32 v26, 0
	v_mov_b32_e32 v30, 0
	;; [unrolled: 42-line block ×3, first 2 shown]
	s_and_saveexec_b64 s[62:63], s[60:61]
	s_cbranch_execz .LBB1670_123
; %bb.122:
	v_sub_u32_e32 v5, v21, v3
	ds_read_u16 v5, v5 offset:6400
	v_mov_b32_e32 v73, 0
	s_waitcnt lgkmcnt(0)
	v_lshrrev_b32_sdwa v7, s8, v5 dst_sel:DWORD dst_unused:UNUSED_PAD src0_sel:DWORD src1_sel:WORD_0
	v_and_b32_e32 v64, s33, v7
	v_lshlrev_b32_e32 v7, 2, v64
	ds_read_b32 v7, v7
	v_xor_b32_e32 v5, 0xffff8000, v5
	s_waitcnt lgkmcnt(0)
	v_add_u32_e32 v72, v7, v31
	v_lshl_add_u64 v[72:73], v[72:73], 1, s[94:95]
	global_store_short v[72:73], v5, off
.LBB1670_123:
	s_or_b64 exec, exec, s[62:63]
	v_add_u32_e32 v63, 0xe00, v2
	v_cmp_gt_u32_e64 s[62:63], s7, v63
	s_and_saveexec_b64 s[64:65], s[62:63]
	s_cbranch_execz .LBB1670_125
; %bb.124:
	ds_read_u16 v5, v3 offset:7424
	v_mov_b32_e32 v73, 0
	s_waitcnt lgkmcnt(0)
	v_lshrrev_b32_sdwa v7, s8, v5 dst_sel:DWORD dst_unused:UNUSED_PAD src0_sel:DWORD src1_sel:WORD_0
	v_and_b32_e32 v28, s33, v7
	v_lshlrev_b32_e32 v7, 2, v28
	ds_read_b32 v7, v7
	v_xor_b32_e32 v5, 0xffff8000, v5
	s_waitcnt lgkmcnt(0)
	v_add_u32_e32 v72, v7, v63
	v_lshl_add_u64 v[72:73], v[72:73], 1, s[94:95]
	global_store_short v[72:73], v5, off
.LBB1670_125:
	s_or_b64 exec, exec, s[64:65]
	v_or_b32_e32 v67, 0x1000, v2
	v_cmp_gt_u32_e64 s[64:65], s7, v67
	v_mov_b32_e32 v32, 0
	v_mov_b32_e32 v73, 0
	s_and_saveexec_b64 s[66:67], s[64:65]
	s_cbranch_execz .LBB1670_127
; %bb.126:
	ds_read_u16 v5, v3 offset:8448
	v_mov_b32_e32 v77, 0
	s_waitcnt lgkmcnt(0)
	v_lshrrev_b32_sdwa v7, s8, v5 dst_sel:DWORD dst_unused:UNUSED_PAD src0_sel:DWORD src1_sel:WORD_0
	v_and_b32_e32 v73, s33, v7
	v_lshlrev_b32_e32 v7, 2, v73
	ds_read_b32 v7, v7
	v_xor_b32_e32 v5, 0xffff8000, v5
	s_waitcnt lgkmcnt(0)
	v_add_u32_e32 v76, v7, v67
	v_lshl_add_u64 v[76:77], v[76:77], 1, s[94:95]
	global_store_short v[76:77], v5, off
.LBB1670_127:
	s_or_b64 exec, exec, s[66:67]
	v_add_u32_e32 v72, 0x1200, v2
	v_cmp_gt_u32_e64 s[66:67], s7, v72
	s_and_saveexec_b64 s[68:69], s[66:67]
	s_cbranch_execz .LBB1670_129
; %bb.128:
	ds_read_u16 v5, v3 offset:9472
	v_mov_b32_e32 v77, 0
	s_waitcnt lgkmcnt(0)
	v_lshrrev_b32_sdwa v7, s8, v5 dst_sel:DWORD dst_unused:UNUSED_PAD src0_sel:DWORD src1_sel:WORD_0
	v_and_b32_e32 v32, s33, v7
	v_lshlrev_b32_e32 v7, 2, v32
	ds_read_b32 v7, v7
	v_xor_b32_e32 v5, 0xffff8000, v5
	s_waitcnt lgkmcnt(0)
	v_add_u32_e32 v76, v7, v72
	v_lshl_add_u64 v[76:77], v[76:77], 1, s[94:95]
	global_store_short v[76:77], v5, off
.LBB1670_129:
	s_or_b64 exec, exec, s[68:69]
	v_or_b32_e32 v75, 0x1400, v2
	v_cmp_gt_u32_e64 s[68:69], s7, v75
	v_mov_b32_e32 v70, 0
	v_mov_b32_e32 v78, 0
	s_and_saveexec_b64 s[70:71], s[68:69]
	s_cbranch_execz .LBB1670_131
; %bb.130:
	ds_read_u16 v5, v3 offset:10496
	v_mov_b32_e32 v77, 0
	s_waitcnt lgkmcnt(0)
	v_lshrrev_b32_sdwa v7, s8, v5 dst_sel:DWORD dst_unused:UNUSED_PAD src0_sel:DWORD src1_sel:WORD_0
	v_and_b32_e32 v78, s33, v7
	v_lshlrev_b32_e32 v7, 2, v78
	ds_read_b32 v7, v7
	v_xor_b32_e32 v5, 0xffff8000, v5
	s_waitcnt lgkmcnt(0)
	v_add_u32_e32 v76, v7, v75
	v_lshl_add_u64 v[76:77], v[76:77], 1, s[94:95]
	global_store_short v[76:77], v5, off
.LBB1670_131:
	;; [unrolled: 40-line block ×7, first 2 shown]
	s_or_b64 exec, exec, s[90:91]
	v_add_u32_e32 v96, 0x2a00, v2
	v_cmp_gt_u32_e64 s[90:91], s7, v96
	s_and_saveexec_b64 s[4:5], s[90:91]
	s_cbranch_execz .LBB1670_153
; %bb.152:
	ds_read_u16 v5, v3 offset:21760
	v_mov_b32_e32 v99, 0
	s_waitcnt lgkmcnt(0)
	v_lshrrev_b32_sdwa v7, s8, v5 dst_sel:DWORD dst_unused:UNUSED_PAD src0_sel:DWORD src1_sel:WORD_0
	v_and_b32_e32 v92, s33, v7
	v_lshlrev_b32_e32 v7, 2, v92
	ds_read_b32 v7, v7
	v_xor_b32_e32 v5, 0xffff8000, v5
	s_waitcnt lgkmcnt(0)
	v_add_u32_e32 v98, v7, v96
	v_lshl_add_u64 v[98:99], v[98:99], 1, s[94:95]
	global_store_short v[98:99], v5, off
.LBB1670_153:
	s_or_b64 exec, exec, s[4:5]
	s_add_u32 s4, s96, s10
	s_addc_u32 s5, s97, s11
	v_mov_b32_e32 v5, 0
	v_lshl_add_u64 v[98:99], s[4:5], 0, v[4:5]
	v_mov_b32_e32 v7, v5
	v_lshl_add_u64 v[4:5], v[98:99], 0, v[6:7]
                                        ; implicit-def: $vgpr6
	s_mov_b64 s[4:5], exec
	v_readlane_b32 s10, v118, 4
	v_readlane_b32 s11, v118, 5
	s_and_b64 s[10:11], s[4:5], s[10:11]
	s_xor_b64 s[4:5], s[10:11], s[4:5]
	s_mov_b64 exec, s[10:11]
	s_cbranch_execz .LBB1670_155
; %bb.154:
	global_load_ushort v6, v[4:5], off
.LBB1670_155:
	s_or_b64 exec, exec, s[4:5]
                                        ; implicit-def: $vgpr7
	s_mov_b64 s[4:5], exec
	v_readlane_b32 s10, v118, 6
	v_readlane_b32 s11, v118, 7
	s_and_b64 s[10:11], s[4:5], s[10:11]
	s_mov_b64 exec, s[10:11]
	s_cbranch_execz .LBB1670_157
; %bb.156:
	global_load_ushort v7, v[4:5], off offset:128
.LBB1670_157:
	s_or_b64 exec, exec, s[4:5]
                                        ; implicit-def: $vgpr98
	s_mov_b64 s[4:5], exec
	v_readlane_b32 s10, v118, 8
	v_readlane_b32 s11, v118, 9
	s_and_b64 s[10:11], s[4:5], s[10:11]
	s_mov_b64 exec, s[10:11]
	s_cbranch_execz .LBB1670_159
; %bb.158:
	global_load_ushort v98, v[4:5], off offset:256
.LBB1670_159:
	s_or_b64 exec, exec, s[4:5]
                                        ; implicit-def: $vgpr99
	s_mov_b64 s[4:5], exec
	v_readlane_b32 s10, v118, 10
	v_readlane_b32 s11, v118, 11
	s_and_b64 s[10:11], s[4:5], s[10:11]
	s_mov_b64 exec, s[10:11]
	s_cbranch_execz .LBB1670_161
; %bb.160:
	global_load_ushort v99, v[4:5], off offset:384
.LBB1670_161:
	s_or_b64 exec, exec, s[4:5]
                                        ; implicit-def: $vgpr100
	s_mov_b64 s[4:5], exec
	v_readlane_b32 s10, v118, 12
	v_readlane_b32 s11, v118, 13
	s_and_b64 s[10:11], s[4:5], s[10:11]
	s_mov_b64 exec, s[10:11]
	s_cbranch_execz .LBB1670_163
; %bb.162:
	global_load_ushort v100, v[4:5], off offset:512
.LBB1670_163:
	s_or_b64 exec, exec, s[4:5]
                                        ; implicit-def: $vgpr101
	s_mov_b64 s[4:5], exec
	v_readlane_b32 s10, v118, 14
	v_readlane_b32 s11, v118, 15
	s_and_b64 s[10:11], s[4:5], s[10:11]
	s_mov_b64 exec, s[10:11]
	s_cbranch_execz .LBB1670_165
; %bb.164:
	global_load_ushort v101, v[4:5], off offset:640
.LBB1670_165:
	s_or_b64 exec, exec, s[4:5]
                                        ; implicit-def: $vgpr102
	s_mov_b64 s[4:5], exec
	v_readlane_b32 s10, v118, 16
	v_readlane_b32 s11, v118, 17
	s_and_b64 s[10:11], s[4:5], s[10:11]
	s_mov_b64 exec, s[10:11]
	s_cbranch_execz .LBB1670_181
; %bb.166:
	global_load_ushort v102, v[4:5], off offset:768
	s_or_b64 exec, exec, s[4:5]
                                        ; implicit-def: $vgpr103
	s_and_saveexec_b64 s[4:5], vcc
	s_cbranch_execnz .LBB1670_182
.LBB1670_167:
	s_or_b64 exec, exec, s[4:5]
                                        ; implicit-def: $vgpr104
	s_and_saveexec_b64 s[4:5], s[16:17]
	s_cbranch_execz .LBB1670_183
.LBB1670_168:
	global_load_ushort v104, v[4:5], off offset:1024
	s_or_b64 exec, exec, s[4:5]
                                        ; implicit-def: $vgpr105
	s_and_saveexec_b64 s[4:5], s[18:19]
	s_cbranch_execnz .LBB1670_184
.LBB1670_169:
	s_or_b64 exec, exec, s[4:5]
                                        ; implicit-def: $vgpr106
	s_and_saveexec_b64 s[4:5], s[20:21]
	s_cbranch_execz .LBB1670_185
.LBB1670_170:
	global_load_ushort v106, v[4:5], off offset:1280
	s_or_b64 exec, exec, s[4:5]
                                        ; implicit-def: $vgpr107
	s_and_saveexec_b64 s[4:5], s[22:23]
	s_cbranch_execnz .LBB1670_186
.LBB1670_171:
	s_or_b64 exec, exec, s[4:5]
                                        ; implicit-def: $vgpr108
	s_and_saveexec_b64 s[4:5], s[24:25]
	s_cbranch_execz .LBB1670_187
.LBB1670_172:
	global_load_ushort v108, v[4:5], off offset:1536
	s_or_b64 exec, exec, s[4:5]
                                        ; implicit-def: $vgpr109
	s_and_saveexec_b64 s[4:5], s[26:27]
	s_cbranch_execnz .LBB1670_188
.LBB1670_173:
	s_or_b64 exec, exec, s[4:5]
                                        ; implicit-def: $vgpr110
	s_and_saveexec_b64 s[4:5], s[28:29]
	s_cbranch_execz .LBB1670_189
.LBB1670_174:
	global_load_ushort v110, v[4:5], off offset:1792
	s_or_b64 exec, exec, s[4:5]
                                        ; implicit-def: $vgpr111
	s_and_saveexec_b64 s[4:5], s[30:31]
	s_cbranch_execnz .LBB1670_190
.LBB1670_175:
	s_or_b64 exec, exec, s[4:5]
                                        ; implicit-def: $vgpr112
	s_and_saveexec_b64 s[4:5], s[34:35]
	s_cbranch_execz .LBB1670_191
.LBB1670_176:
	global_load_ushort v112, v[4:5], off offset:2048
	s_or_b64 exec, exec, s[4:5]
                                        ; implicit-def: $vgpr113
	s_and_saveexec_b64 s[4:5], s[36:37]
	s_cbranch_execnz .LBB1670_192
.LBB1670_177:
	s_or_b64 exec, exec, s[4:5]
                                        ; implicit-def: $vgpr114
	s_and_saveexec_b64 s[4:5], s[38:39]
	s_cbranch_execz .LBB1670_193
.LBB1670_178:
	global_load_ushort v114, v[4:5], off offset:2304
	s_or_b64 exec, exec, s[4:5]
                                        ; implicit-def: $vgpr115
	s_and_saveexec_b64 s[4:5], s[40:41]
	s_cbranch_execnz .LBB1670_194
.LBB1670_179:
	s_or_b64 exec, exec, s[4:5]
                                        ; implicit-def: $vgpr116
	s_and_saveexec_b64 s[4:5], s[42:43]
	s_cbranch_execz .LBB1670_195
.LBB1670_180:
	global_load_ushort v116, v[4:5], off offset:2560
	s_or_b64 exec, exec, s[4:5]
                                        ; implicit-def: $vgpr117
	s_and_saveexec_b64 s[4:5], s[44:45]
	s_cbranch_execnz .LBB1670_196
	s_branch .LBB1670_197
.LBB1670_181:
	s_or_b64 exec, exec, s[4:5]
                                        ; implicit-def: $vgpr103
	s_and_saveexec_b64 s[4:5], vcc
	s_cbranch_execz .LBB1670_167
.LBB1670_182:
	global_load_ushort v103, v[4:5], off offset:896
	s_or_b64 exec, exec, s[4:5]
                                        ; implicit-def: $vgpr104
	s_and_saveexec_b64 s[4:5], s[16:17]
	s_cbranch_execnz .LBB1670_168
.LBB1670_183:
	s_or_b64 exec, exec, s[4:5]
                                        ; implicit-def: $vgpr105
	s_and_saveexec_b64 s[4:5], s[18:19]
	s_cbranch_execz .LBB1670_169
.LBB1670_184:
	global_load_ushort v105, v[4:5], off offset:1152
	s_or_b64 exec, exec, s[4:5]
                                        ; implicit-def: $vgpr106
	s_and_saveexec_b64 s[4:5], s[20:21]
	s_cbranch_execnz .LBB1670_170
.LBB1670_185:
	s_or_b64 exec, exec, s[4:5]
                                        ; implicit-def: $vgpr107
	s_and_saveexec_b64 s[4:5], s[22:23]
	s_cbranch_execz .LBB1670_171
.LBB1670_186:
	global_load_ushort v107, v[4:5], off offset:1408
	s_or_b64 exec, exec, s[4:5]
                                        ; implicit-def: $vgpr108
	s_and_saveexec_b64 s[4:5], s[24:25]
	s_cbranch_execnz .LBB1670_172
.LBB1670_187:
	s_or_b64 exec, exec, s[4:5]
                                        ; implicit-def: $vgpr109
	s_and_saveexec_b64 s[4:5], s[26:27]
	s_cbranch_execz .LBB1670_173
.LBB1670_188:
	global_load_ushort v109, v[4:5], off offset:1664
	s_or_b64 exec, exec, s[4:5]
                                        ; implicit-def: $vgpr110
	s_and_saveexec_b64 s[4:5], s[28:29]
	s_cbranch_execnz .LBB1670_174
.LBB1670_189:
	s_or_b64 exec, exec, s[4:5]
                                        ; implicit-def: $vgpr111
	s_and_saveexec_b64 s[4:5], s[30:31]
	s_cbranch_execz .LBB1670_175
.LBB1670_190:
	global_load_ushort v111, v[4:5], off offset:1920
	s_or_b64 exec, exec, s[4:5]
                                        ; implicit-def: $vgpr112
	s_and_saveexec_b64 s[4:5], s[34:35]
	s_cbranch_execnz .LBB1670_176
.LBB1670_191:
	s_or_b64 exec, exec, s[4:5]
                                        ; implicit-def: $vgpr113
	s_and_saveexec_b64 s[4:5], s[36:37]
	s_cbranch_execz .LBB1670_177
.LBB1670_192:
	global_load_ushort v113, v[4:5], off offset:2176
	s_or_b64 exec, exec, s[4:5]
                                        ; implicit-def: $vgpr114
	s_and_saveexec_b64 s[4:5], s[38:39]
	s_cbranch_execnz .LBB1670_178
.LBB1670_193:
	s_or_b64 exec, exec, s[4:5]
                                        ; implicit-def: $vgpr115
	s_and_saveexec_b64 s[4:5], s[40:41]
	s_cbranch_execz .LBB1670_179
.LBB1670_194:
	global_load_ushort v115, v[4:5], off offset:2432
	s_or_b64 exec, exec, s[4:5]
                                        ; implicit-def: $vgpr116
	s_and_saveexec_b64 s[4:5], s[42:43]
	s_cbranch_execnz .LBB1670_180
.LBB1670_195:
	s_or_b64 exec, exec, s[4:5]
                                        ; implicit-def: $vgpr117
	s_and_saveexec_b64 s[4:5], s[44:45]
	s_cbranch_execz .LBB1670_197
.LBB1670_196:
	global_load_ushort v117, v[4:5], off offset:2688
.LBB1670_197:
	s_or_b64 exec, exec, s[4:5]
	s_movk_i32 s7, 0x2c00
	v_cmp_gt_u32_e32 vcc, s7, v71
	s_barrier
	s_and_saveexec_b64 s[4:5], vcc
	s_cbranch_execz .LBB1670_219
; %bb.198:
	s_waitcnt vmcnt(0)
	ds_write_b16 v74, v6 offset:256
	s_or_b64 exec, exec, s[4:5]
	v_cmp_gt_u32_e32 vcc, s7, v68
	s_and_saveexec_b64 s[4:5], vcc
	s_cbranch_execnz .LBB1670_220
.LBB1670_199:
	s_or_b64 exec, exec, s[4:5]
	v_cmp_gt_u32_e32 vcc, s7, v65
	s_and_saveexec_b64 s[4:5], vcc
	s_cbranch_execz .LBB1670_221
.LBB1670_200:
	s_waitcnt vmcnt(0)
	ds_write_b16 v66, v98 offset:256
	s_or_b64 exec, exec, s[4:5]
	v_cmp_gt_u32_e32 vcc, s7, v62
	s_and_saveexec_b64 s[4:5], vcc
	s_cbranch_execnz .LBB1670_222
.LBB1670_201:
	s_or_b64 exec, exec, s[4:5]
	v_cmp_gt_u32_e32 vcc, s7, v59
	s_and_saveexec_b64 s[4:5], vcc
	s_cbranch_execz .LBB1670_223
.LBB1670_202:
	s_waitcnt vmcnt(0)
	ds_write_b16 v60, v100 offset:256
	s_or_b64 exec, exec, s[4:5]
	v_cmp_gt_u32_e32 vcc, s7, v56
	s_and_saveexec_b64 s[4:5], vcc
	s_cbranch_execnz .LBB1670_224
.LBB1670_203:
	s_or_b64 exec, exec, s[4:5]
	v_cmp_gt_u32_e32 vcc, s7, v53
	s_and_saveexec_b64 s[4:5], vcc
	s_cbranch_execz .LBB1670_225
.LBB1670_204:
	s_waitcnt vmcnt(0)
	ds_write_b16 v57, v102 offset:256
	s_or_b64 exec, exec, s[4:5]
	v_cmp_gt_u32_e32 vcc, s7, v51
	s_and_saveexec_b64 s[4:5], vcc
	s_cbranch_execnz .LBB1670_226
.LBB1670_205:
	s_or_b64 exec, exec, s[4:5]
	v_cmp_gt_u32_e32 vcc, s7, v48
	s_and_saveexec_b64 s[4:5], vcc
	s_cbranch_execz .LBB1670_227
.LBB1670_206:
	s_waitcnt vmcnt(0)
	ds_write_b16 v54, v104 offset:256
	s_or_b64 exec, exec, s[4:5]
	v_cmp_gt_u32_e32 vcc, s7, v46
	s_and_saveexec_b64 s[4:5], vcc
	s_cbranch_execnz .LBB1670_228
.LBB1670_207:
	s_or_b64 exec, exec, s[4:5]
	v_cmp_gt_u32_e32 vcc, s7, v45
	s_and_saveexec_b64 s[4:5], vcc
	s_cbranch_execz .LBB1670_229
.LBB1670_208:
	s_waitcnt vmcnt(0)
	ds_write_b16 v50, v106 offset:256
	s_or_b64 exec, exec, s[4:5]
	v_cmp_gt_u32_e32 vcc, s7, v44
	s_and_saveexec_b64 s[4:5], vcc
	s_cbranch_execnz .LBB1670_230
.LBB1670_209:
	s_or_b64 exec, exec, s[4:5]
	v_cmp_gt_u32_e32 vcc, s7, v43
	s_and_saveexec_b64 s[4:5], vcc
	s_cbranch_execz .LBB1670_231
.LBB1670_210:
	s_waitcnt vmcnt(0)
	ds_write_b16 v47, v108 offset:256
	s_or_b64 exec, exec, s[4:5]
	v_cmp_gt_u32_e32 vcc, s7, v42
	s_and_saveexec_b64 s[4:5], vcc
	s_cbranch_execnz .LBB1670_232
.LBB1670_211:
	s_or_b64 exec, exec, s[4:5]
	v_cmp_gt_u32_e32 vcc, s7, v41
	s_and_saveexec_b64 s[4:5], vcc
	s_cbranch_execz .LBB1670_233
.LBB1670_212:
	s_waitcnt vmcnt(0)
	ds_write_b16 v23, v110 offset:256
	s_or_b64 exec, exec, s[4:5]
	v_cmp_gt_u32_e32 vcc, s7, v40
	s_and_saveexec_b64 s[4:5], vcc
	s_cbranch_execnz .LBB1670_234
.LBB1670_213:
	s_or_b64 exec, exec, s[4:5]
	v_cmp_gt_u32_e32 vcc, s7, v39
	s_and_saveexec_b64 s[4:5], vcc
	s_cbranch_execz .LBB1670_235
.LBB1670_214:
	s_waitcnt vmcnt(0)
	ds_write_b16 v20, v112 offset:256
	s_or_b64 exec, exec, s[4:5]
	v_cmp_gt_u32_e32 vcc, s7, v38
	s_and_saveexec_b64 s[4:5], vcc
	s_cbranch_execnz .LBB1670_236
.LBB1670_215:
	s_or_b64 exec, exec, s[4:5]
	v_cmp_gt_u32_e32 vcc, s7, v37
	s_and_saveexec_b64 s[4:5], vcc
	s_cbranch_execz .LBB1670_237
.LBB1670_216:
	s_waitcnt vmcnt(0)
	ds_write_b16 v18, v114 offset:256
	s_or_b64 exec, exec, s[4:5]
	v_cmp_gt_u32_e32 vcc, s7, v36
	s_and_saveexec_b64 s[4:5], vcc
	s_cbranch_execnz .LBB1670_238
.LBB1670_217:
	s_or_b64 exec, exec, s[4:5]
	v_cmp_gt_u32_e32 vcc, s7, v35
	s_and_saveexec_b64 s[4:5], vcc
	s_cbranch_execz .LBB1670_239
.LBB1670_218:
	s_waitcnt vmcnt(0)
	ds_write_b16 v16, v116 offset:256
	s_or_b64 exec, exec, s[4:5]
	v_cmp_gt_u32_e32 vcc, s7, v34
	s_and_saveexec_b64 s[4:5], vcc
	s_cbranch_execnz .LBB1670_240
	s_branch .LBB1670_241
.LBB1670_219:
	s_or_b64 exec, exec, s[4:5]
	v_cmp_gt_u32_e32 vcc, s7, v68
	s_and_saveexec_b64 s[4:5], vcc
	s_cbranch_execz .LBB1670_199
.LBB1670_220:
	s_waitcnt vmcnt(0)
	ds_write_b16 v69, v7 offset:256
	s_or_b64 exec, exec, s[4:5]
	v_cmp_gt_u32_e32 vcc, s7, v65
	s_and_saveexec_b64 s[4:5], vcc
	s_cbranch_execnz .LBB1670_200
.LBB1670_221:
	s_or_b64 exec, exec, s[4:5]
	v_cmp_gt_u32_e32 vcc, s7, v62
	s_and_saveexec_b64 s[4:5], vcc
	s_cbranch_execz .LBB1670_201
.LBB1670_222:
	s_waitcnt vmcnt(0)
	ds_write_b16 v61, v99 offset:256
	s_or_b64 exec, exec, s[4:5]
	v_cmp_gt_u32_e32 vcc, s7, v59
	s_and_saveexec_b64 s[4:5], vcc
	s_cbranch_execnz .LBB1670_202
.LBB1670_223:
	s_or_b64 exec, exec, s[4:5]
	v_cmp_gt_u32_e32 vcc, s7, v56
	s_and_saveexec_b64 s[4:5], vcc
	s_cbranch_execz .LBB1670_203
.LBB1670_224:
	s_waitcnt vmcnt(0)
	ds_write_b16 v58, v101 offset:256
	s_or_b64 exec, exec, s[4:5]
	v_cmp_gt_u32_e32 vcc, s7, v53
	s_and_saveexec_b64 s[4:5], vcc
	s_cbranch_execnz .LBB1670_204
.LBB1670_225:
	s_or_b64 exec, exec, s[4:5]
	v_cmp_gt_u32_e32 vcc, s7, v51
	s_and_saveexec_b64 s[4:5], vcc
	s_cbranch_execz .LBB1670_205
.LBB1670_226:
	s_waitcnt vmcnt(0)
	ds_write_b16 v55, v103 offset:256
	s_or_b64 exec, exec, s[4:5]
	v_cmp_gt_u32_e32 vcc, s7, v48
	s_and_saveexec_b64 s[4:5], vcc
	s_cbranch_execnz .LBB1670_206
.LBB1670_227:
	s_or_b64 exec, exec, s[4:5]
	v_cmp_gt_u32_e32 vcc, s7, v46
	s_and_saveexec_b64 s[4:5], vcc
	s_cbranch_execz .LBB1670_207
.LBB1670_228:
	s_waitcnt vmcnt(0)
	ds_write_b16 v52, v105 offset:256
	s_or_b64 exec, exec, s[4:5]
	v_cmp_gt_u32_e32 vcc, s7, v45
	s_and_saveexec_b64 s[4:5], vcc
	s_cbranch_execnz .LBB1670_208
.LBB1670_229:
	s_or_b64 exec, exec, s[4:5]
	v_cmp_gt_u32_e32 vcc, s7, v44
	s_and_saveexec_b64 s[4:5], vcc
	s_cbranch_execz .LBB1670_209
.LBB1670_230:
	s_waitcnt vmcnt(0)
	ds_write_b16 v49, v107 offset:256
	s_or_b64 exec, exec, s[4:5]
	v_cmp_gt_u32_e32 vcc, s7, v43
	s_and_saveexec_b64 s[4:5], vcc
	s_cbranch_execnz .LBB1670_210
.LBB1670_231:
	s_or_b64 exec, exec, s[4:5]
	v_cmp_gt_u32_e32 vcc, s7, v42
	s_and_saveexec_b64 s[4:5], vcc
	s_cbranch_execz .LBB1670_211
.LBB1670_232:
	s_waitcnt vmcnt(0)
	ds_write_b16 v24, v109 offset:256
	s_or_b64 exec, exec, s[4:5]
	v_cmp_gt_u32_e32 vcc, s7, v41
	s_and_saveexec_b64 s[4:5], vcc
	s_cbranch_execnz .LBB1670_212
.LBB1670_233:
	s_or_b64 exec, exec, s[4:5]
	v_cmp_gt_u32_e32 vcc, s7, v40
	s_and_saveexec_b64 s[4:5], vcc
	s_cbranch_execz .LBB1670_213
.LBB1670_234:
	s_waitcnt vmcnt(0)
	ds_write_b16 v22, v111 offset:256
	s_or_b64 exec, exec, s[4:5]
	v_cmp_gt_u32_e32 vcc, s7, v39
	s_and_saveexec_b64 s[4:5], vcc
	s_cbranch_execnz .LBB1670_214
.LBB1670_235:
	s_or_b64 exec, exec, s[4:5]
	v_cmp_gt_u32_e32 vcc, s7, v38
	s_and_saveexec_b64 s[4:5], vcc
	s_cbranch_execz .LBB1670_215
.LBB1670_236:
	s_waitcnt vmcnt(0)
	ds_write_b16 v19, v113 offset:256
	s_or_b64 exec, exec, s[4:5]
	v_cmp_gt_u32_e32 vcc, s7, v37
	s_and_saveexec_b64 s[4:5], vcc
	s_cbranch_execnz .LBB1670_216
.LBB1670_237:
	s_or_b64 exec, exec, s[4:5]
	v_cmp_gt_u32_e32 vcc, s7, v36
	s_and_saveexec_b64 s[4:5], vcc
	s_cbranch_execz .LBB1670_217
.LBB1670_238:
	s_waitcnt vmcnt(0)
	ds_write_b16 v17, v115 offset:256
	s_or_b64 exec, exec, s[4:5]
	v_cmp_gt_u32_e32 vcc, s7, v35
	s_and_saveexec_b64 s[4:5], vcc
	s_cbranch_execnz .LBB1670_218
.LBB1670_239:
	s_or_b64 exec, exec, s[4:5]
	v_cmp_gt_u32_e32 vcc, s7, v34
	s_and_saveexec_b64 s[4:5], vcc
	s_cbranch_execz .LBB1670_241
.LBB1670_240:
	s_waitcnt vmcnt(0)
	ds_write_b16 v14, v117 offset:256
.LBB1670_241:
	s_or_b64 exec, exec, s[4:5]
	s_waitcnt lgkmcnt(0)
	s_barrier
	s_and_saveexec_b64 s[4:5], s[48:49]
	s_cbranch_execz .LBB1670_263
; %bb.242:
	v_lshlrev_b32_e32 v4, 2, v10
	ds_read_b32 v4, v4
	s_waitcnt vmcnt(0)
	ds_read_u16 v6, v3 offset:256
	v_mov_b32_e32 v5, 0
	s_waitcnt lgkmcnt(1)
	v_add_u32_e32 v4, v4, v2
	v_lshl_add_u64 v[4:5], v[4:5], 1, s[98:99]
	s_waitcnt lgkmcnt(0)
	global_store_short v[4:5], v6, off
	s_or_b64 exec, exec, s[4:5]
	s_and_saveexec_b64 s[4:5], s[50:51]
	s_cbranch_execnz .LBB1670_264
.LBB1670_243:
	s_or_b64 exec, exec, s[4:5]
	s_and_saveexec_b64 s[4:5], s[52:53]
	s_cbranch_execz .LBB1670_265
.LBB1670_244:
	v_lshlrev_b32_e32 v2, 2, v25
	ds_read_b32 v2, v2
	s_waitcnt vmcnt(0)
	ds_read_u16 v6, v3 offset:2304
	v_mov_b32_e32 v5, 0
	s_waitcnt lgkmcnt(1)
	v_add_u32_e32 v4, v2, v12
	v_lshl_add_u64 v[4:5], v[4:5], 1, s[98:99]
	s_waitcnt lgkmcnt(0)
	global_store_short v[4:5], v6, off
	s_or_b64 exec, exec, s[4:5]
	s_and_saveexec_b64 s[4:5], s[54:55]
	s_cbranch_execnz .LBB1670_266
.LBB1670_245:
	s_or_b64 exec, exec, s[4:5]
	s_and_saveexec_b64 s[4:5], s[56:57]
	s_cbranch_execz .LBB1670_267
.LBB1670_246:
	v_lshlrev_b32_e32 v2, 2, v30
	ds_read_b32 v2, v2
	s_waitcnt vmcnt(0)
	ds_read_u16 v6, v3 offset:4352
	v_mov_b32_e32 v5, 0
	s_waitcnt lgkmcnt(1)
	v_add_u32_e32 v4, v2, v27
	v_lshl_add_u64 v[4:5], v[4:5], 1, s[98:99]
	s_waitcnt lgkmcnt(0)
	global_store_short v[4:5], v6, off
	s_or_b64 exec, exec, s[4:5]
	s_and_saveexec_b64 s[4:5], s[58:59]
	s_cbranch_execnz .LBB1670_268
.LBB1670_247:
	s_or_b64 exec, exec, s[4:5]
	s_and_saveexec_b64 s[4:5], s[60:61]
	s_cbranch_execz .LBB1670_269
.LBB1670_248:
	v_lshlrev_b32_e32 v2, 2, v64
	ds_read_b32 v2, v2
	s_waitcnt vmcnt(0)
	ds_read_u16 v6, v3 offset:6400
	v_mov_b32_e32 v5, 0
	s_waitcnt lgkmcnt(1)
	v_add_u32_e32 v4, v2, v31
	v_lshl_add_u64 v[4:5], v[4:5], 1, s[98:99]
	s_waitcnt lgkmcnt(0)
	global_store_short v[4:5], v6, off
	s_or_b64 exec, exec, s[4:5]
	s_and_saveexec_b64 s[4:5], s[62:63]
	s_cbranch_execnz .LBB1670_270
.LBB1670_249:
	s_or_b64 exec, exec, s[4:5]
	s_and_saveexec_b64 s[4:5], s[64:65]
	s_cbranch_execz .LBB1670_271
.LBB1670_250:
	v_lshlrev_b32_e32 v2, 2, v73
	ds_read_b32 v2, v2
	s_waitcnt vmcnt(0)
	ds_read_u16 v6, v3 offset:8448
	v_mov_b32_e32 v5, 0
	s_waitcnt lgkmcnt(1)
	v_add_u32_e32 v4, v2, v67
	v_lshl_add_u64 v[4:5], v[4:5], 1, s[98:99]
	s_waitcnt lgkmcnt(0)
	global_store_short v[4:5], v6, off
	s_or_b64 exec, exec, s[4:5]
	s_and_saveexec_b64 s[4:5], s[66:67]
	s_cbranch_execnz .LBB1670_272
.LBB1670_251:
	s_or_b64 exec, exec, s[4:5]
	s_and_saveexec_b64 s[4:5], s[68:69]
	s_cbranch_execz .LBB1670_273
.LBB1670_252:
	v_lshlrev_b32_e32 v2, 2, v78
	ds_read_b32 v2, v2
	s_waitcnt vmcnt(0)
	ds_read_u16 v6, v3 offset:10496
	v_mov_b32_e32 v5, 0
	s_waitcnt lgkmcnt(1)
	v_add_u32_e32 v4, v2, v75
	v_lshl_add_u64 v[4:5], v[4:5], 1, s[98:99]
	s_waitcnt lgkmcnt(0)
	global_store_short v[4:5], v6, off
	s_or_b64 exec, exec, s[4:5]
	s_and_saveexec_b64 s[4:5], s[70:71]
	s_cbranch_execnz .LBB1670_274
.LBB1670_253:
	s_or_b64 exec, exec, s[4:5]
	s_and_saveexec_b64 s[4:5], s[72:73]
	s_cbranch_execz .LBB1670_275
.LBB1670_254:
	v_lshlrev_b32_e32 v2, 2, v82
	ds_read_b32 v2, v2
	s_waitcnt vmcnt(0)
	ds_read_u16 v6, v3 offset:12544
	v_mov_b32_e32 v5, 0
	s_waitcnt lgkmcnt(1)
	v_add_u32_e32 v4, v2, v79
	v_lshl_add_u64 v[4:5], v[4:5], 1, s[98:99]
	s_waitcnt lgkmcnt(0)
	global_store_short v[4:5], v6, off
	s_or_b64 exec, exec, s[4:5]
	s_and_saveexec_b64 s[4:5], s[74:75]
	s_cbranch_execnz .LBB1670_276
.LBB1670_255:
	s_or_b64 exec, exec, s[4:5]
	s_and_saveexec_b64 s[4:5], s[76:77]
	s_cbranch_execz .LBB1670_277
.LBB1670_256:
	v_lshlrev_b32_e32 v2, 2, v86
	ds_read_b32 v2, v2
	s_waitcnt vmcnt(0)
	ds_read_u16 v6, v3 offset:14592
	v_mov_b32_e32 v5, 0
	s_waitcnt lgkmcnt(1)
	v_add_u32_e32 v4, v2, v83
	v_lshl_add_u64 v[4:5], v[4:5], 1, s[98:99]
	s_waitcnt lgkmcnt(0)
	global_store_short v[4:5], v6, off
	s_or_b64 exec, exec, s[4:5]
	s_and_saveexec_b64 s[4:5], s[78:79]
	s_cbranch_execnz .LBB1670_278
.LBB1670_257:
	s_or_b64 exec, exec, s[4:5]
	s_and_saveexec_b64 s[4:5], s[80:81]
	s_cbranch_execz .LBB1670_279
.LBB1670_258:
	v_lshlrev_b32_e32 v2, 2, v90
	ds_read_b32 v2, v2
	s_waitcnt vmcnt(0)
	ds_read_u16 v6, v3 offset:16640
	v_mov_b32_e32 v5, 0
	s_waitcnt lgkmcnt(1)
	v_add_u32_e32 v4, v2, v87
	v_lshl_add_u64 v[4:5], v[4:5], 1, s[98:99]
	s_waitcnt lgkmcnt(0)
	global_store_short v[4:5], v6, off
	s_or_b64 exec, exec, s[4:5]
	s_and_saveexec_b64 s[4:5], s[82:83]
	s_cbranch_execnz .LBB1670_280
.LBB1670_259:
	s_or_b64 exec, exec, s[4:5]
	s_and_saveexec_b64 s[4:5], s[84:85]
	s_cbranch_execz .LBB1670_281
.LBB1670_260:
	v_lshlrev_b32_e32 v2, 2, v94
	ds_read_b32 v2, v2
	s_waitcnt vmcnt(0)
	ds_read_u16 v6, v3 offset:18688
	v_mov_b32_e32 v5, 0
	s_waitcnt lgkmcnt(1)
	v_add_u32_e32 v4, v2, v91
	v_lshl_add_u64 v[4:5], v[4:5], 1, s[98:99]
	s_waitcnt lgkmcnt(0)
	global_store_short v[4:5], v6, off
	s_or_b64 exec, exec, s[4:5]
	s_and_saveexec_b64 s[4:5], s[86:87]
	s_cbranch_execnz .LBB1670_282
.LBB1670_261:
	s_or_b64 exec, exec, s[4:5]
	s_and_saveexec_b64 s[4:5], s[88:89]
	s_cbranch_execz .LBB1670_283
.LBB1670_262:
	v_lshlrev_b32_e32 v2, 2, v97
	ds_read_b32 v2, v2
	s_waitcnt vmcnt(0)
	ds_read_u16 v6, v3 offset:20736
	v_mov_b32_e32 v5, 0
	s_waitcnt lgkmcnt(1)
	v_add_u32_e32 v4, v2, v95
	v_lshl_add_u64 v[4:5], v[4:5], 1, s[98:99]
	s_waitcnt lgkmcnt(0)
	global_store_short v[4:5], v6, off
	s_or_b64 exec, exec, s[4:5]
	s_and_saveexec_b64 s[4:5], s[90:91]
	s_cbranch_execnz .LBB1670_284
	s_branch .LBB1670_285
.LBB1670_263:
	s_or_b64 exec, exec, s[4:5]
	s_and_saveexec_b64 s[4:5], s[50:51]
	s_cbranch_execz .LBB1670_243
.LBB1670_264:
	v_lshlrev_b32_e32 v2, 2, v8
	ds_read_b32 v2, v2
	s_waitcnt vmcnt(0)
	ds_read_u16 v6, v3 offset:1280
	v_mov_b32_e32 v5, 0
	s_waitcnt lgkmcnt(1)
	v_add_u32_e32 v4, v2, v9
	v_lshl_add_u64 v[4:5], v[4:5], 1, s[98:99]
	s_waitcnt lgkmcnt(0)
	global_store_short v[4:5], v6, off
	s_or_b64 exec, exec, s[4:5]
	s_and_saveexec_b64 s[4:5], s[52:53]
	s_cbranch_execnz .LBB1670_244
.LBB1670_265:
	s_or_b64 exec, exec, s[4:5]
	s_and_saveexec_b64 s[4:5], s[54:55]
	s_cbranch_execz .LBB1670_245
.LBB1670_266:
	v_lshlrev_b32_e32 v2, 2, v11
	ds_read_b32 v2, v2
	s_waitcnt vmcnt(0)
	ds_read_u16 v6, v3 offset:3328
	v_mov_b32_e32 v5, 0
	s_waitcnt lgkmcnt(1)
	v_add_u32_e32 v4, v2, v13
	v_lshl_add_u64 v[4:5], v[4:5], 1, s[98:99]
	s_waitcnt lgkmcnt(0)
	global_store_short v[4:5], v6, off
	s_or_b64 exec, exec, s[4:5]
	s_and_saveexec_b64 s[4:5], s[56:57]
	s_cbranch_execnz .LBB1670_246
.LBB1670_267:
	s_or_b64 exec, exec, s[4:5]
	s_and_saveexec_b64 s[4:5], s[58:59]
	s_cbranch_execz .LBB1670_247
.LBB1670_268:
	v_lshlrev_b32_e32 v2, 2, v26
	ds_read_b32 v2, v2
	s_waitcnt vmcnt(0)
	ds_read_u16 v6, v3 offset:5376
	v_mov_b32_e32 v5, 0
	s_waitcnt lgkmcnt(1)
	v_add_u32_e32 v4, v2, v29
	v_lshl_add_u64 v[4:5], v[4:5], 1, s[98:99]
	s_waitcnt lgkmcnt(0)
	global_store_short v[4:5], v6, off
	s_or_b64 exec, exec, s[4:5]
	s_and_saveexec_b64 s[4:5], s[60:61]
	s_cbranch_execnz .LBB1670_248
.LBB1670_269:
	s_or_b64 exec, exec, s[4:5]
	s_and_saveexec_b64 s[4:5], s[62:63]
	s_cbranch_execz .LBB1670_249
.LBB1670_270:
	v_lshlrev_b32_e32 v2, 2, v28
	ds_read_b32 v2, v2
	s_waitcnt vmcnt(0)
	ds_read_u16 v6, v3 offset:7424
	v_mov_b32_e32 v5, 0
	s_waitcnt lgkmcnt(1)
	v_add_u32_e32 v4, v2, v63
	v_lshl_add_u64 v[4:5], v[4:5], 1, s[98:99]
	s_waitcnt lgkmcnt(0)
	global_store_short v[4:5], v6, off
	s_or_b64 exec, exec, s[4:5]
	s_and_saveexec_b64 s[4:5], s[64:65]
	s_cbranch_execnz .LBB1670_250
.LBB1670_271:
	s_or_b64 exec, exec, s[4:5]
	s_and_saveexec_b64 s[4:5], s[66:67]
	s_cbranch_execz .LBB1670_251
.LBB1670_272:
	v_lshlrev_b32_e32 v2, 2, v32
	ds_read_b32 v2, v2
	s_waitcnt vmcnt(0)
	ds_read_u16 v6, v3 offset:9472
	v_mov_b32_e32 v5, 0
	s_waitcnt lgkmcnt(1)
	v_add_u32_e32 v4, v2, v72
	v_lshl_add_u64 v[4:5], v[4:5], 1, s[98:99]
	s_waitcnt lgkmcnt(0)
	global_store_short v[4:5], v6, off
	s_or_b64 exec, exec, s[4:5]
	s_and_saveexec_b64 s[4:5], s[68:69]
	s_cbranch_execnz .LBB1670_252
.LBB1670_273:
	s_or_b64 exec, exec, s[4:5]
	s_and_saveexec_b64 s[4:5], s[70:71]
	s_cbranch_execz .LBB1670_253
.LBB1670_274:
	v_lshlrev_b32_e32 v2, 2, v70
	ds_read_b32 v2, v2
	s_waitcnt vmcnt(0)
	ds_read_u16 v6, v3 offset:11520
	v_mov_b32_e32 v5, 0
	s_waitcnt lgkmcnt(1)
	v_add_u32_e32 v4, v2, v77
	v_lshl_add_u64 v[4:5], v[4:5], 1, s[98:99]
	s_waitcnt lgkmcnt(0)
	global_store_short v[4:5], v6, off
	s_or_b64 exec, exec, s[4:5]
	s_and_saveexec_b64 s[4:5], s[72:73]
	s_cbranch_execnz .LBB1670_254
.LBB1670_275:
	s_or_b64 exec, exec, s[4:5]
	s_and_saveexec_b64 s[4:5], s[74:75]
	s_cbranch_execz .LBB1670_255
.LBB1670_276:
	v_lshlrev_b32_e32 v2, 2, v76
	ds_read_b32 v2, v2
	s_waitcnt vmcnt(0)
	ds_read_u16 v6, v3 offset:13568
	v_mov_b32_e32 v5, 0
	s_waitcnt lgkmcnt(1)
	v_add_u32_e32 v4, v2, v81
	v_lshl_add_u64 v[4:5], v[4:5], 1, s[98:99]
	s_waitcnt lgkmcnt(0)
	global_store_short v[4:5], v6, off
	s_or_b64 exec, exec, s[4:5]
	s_and_saveexec_b64 s[4:5], s[76:77]
	s_cbranch_execnz .LBB1670_256
.LBB1670_277:
	s_or_b64 exec, exec, s[4:5]
	s_and_saveexec_b64 s[4:5], s[78:79]
	s_cbranch_execz .LBB1670_257
.LBB1670_278:
	v_lshlrev_b32_e32 v2, 2, v80
	ds_read_b32 v2, v2
	s_waitcnt vmcnt(0)
	ds_read_u16 v6, v3 offset:15616
	v_mov_b32_e32 v5, 0
	s_waitcnt lgkmcnt(1)
	v_add_u32_e32 v4, v2, v85
	v_lshl_add_u64 v[4:5], v[4:5], 1, s[98:99]
	s_waitcnt lgkmcnt(0)
	global_store_short v[4:5], v6, off
	s_or_b64 exec, exec, s[4:5]
	s_and_saveexec_b64 s[4:5], s[80:81]
	s_cbranch_execnz .LBB1670_258
.LBB1670_279:
	s_or_b64 exec, exec, s[4:5]
	s_and_saveexec_b64 s[4:5], s[82:83]
	s_cbranch_execz .LBB1670_259
.LBB1670_280:
	v_lshlrev_b32_e32 v2, 2, v84
	ds_read_b32 v2, v2
	s_waitcnt vmcnt(0)
	ds_read_u16 v6, v3 offset:17664
	v_mov_b32_e32 v5, 0
	s_waitcnt lgkmcnt(1)
	v_add_u32_e32 v4, v2, v89
	v_lshl_add_u64 v[4:5], v[4:5], 1, s[98:99]
	s_waitcnt lgkmcnt(0)
	global_store_short v[4:5], v6, off
	s_or_b64 exec, exec, s[4:5]
	s_and_saveexec_b64 s[4:5], s[84:85]
	s_cbranch_execnz .LBB1670_260
.LBB1670_281:
	s_or_b64 exec, exec, s[4:5]
	s_and_saveexec_b64 s[4:5], s[86:87]
	s_cbranch_execz .LBB1670_261
.LBB1670_282:
	v_lshlrev_b32_e32 v2, 2, v88
	ds_read_b32 v2, v2
	s_waitcnt vmcnt(0)
	ds_read_u16 v6, v3 offset:19712
	v_mov_b32_e32 v5, 0
	s_waitcnt lgkmcnt(1)
	v_add_u32_e32 v4, v2, v93
	v_lshl_add_u64 v[4:5], v[4:5], 1, s[98:99]
	s_waitcnt lgkmcnt(0)
	global_store_short v[4:5], v6, off
	s_or_b64 exec, exec, s[4:5]
	s_and_saveexec_b64 s[4:5], s[88:89]
	s_cbranch_execnz .LBB1670_262
.LBB1670_283:
	s_or_b64 exec, exec, s[4:5]
	s_and_saveexec_b64 s[4:5], s[90:91]
	s_cbranch_execz .LBB1670_285
.LBB1670_284:
	v_lshlrev_b32_e32 v2, 2, v92
	ds_read_b32 v2, v2
	ds_read_u16 v4, v3 offset:21760
	v_mov_b32_e32 v3, 0
	s_waitcnt lgkmcnt(1)
	v_add_u32_e32 v2, v2, v96
	v_lshl_add_u64 v[2:3], v[2:3], 1, s[98:99]
	s_waitcnt lgkmcnt(0)
	global_store_short v[2:3], v4, off
.LBB1670_285:
	s_or_b64 exec, exec, s[4:5]
	s_add_i32 s3, s3, -1
	s_cmp_eq_u32 s2, s3
	s_cselect_b64 s[4:5], -1, 0
	s_xor_b64 s[10:11], s[46:47], -1
	s_and_b64 s[10:11], s[10:11], s[4:5]
	s_and_saveexec_b64 s[4:5], s[10:11]
	s_cbranch_execz .LBB1670_287
; %bb.286:
	ds_read_b32 v2, v21
	s_load_dwordx4 s[16:19], s[0:1], 0x28
	s_waitcnt lgkmcnt(0)
	v_add3_u32 v2, v15, v33, v2
	global_store_dword v21, v2, s[18:19]
.LBB1670_287:
	s_or_b64 exec, exec, s[4:5]
	s_mov_b64 s[4:5], 0
.LBB1670_288:
	s_and_b64 vcc, exec, s[4:5]
	s_cbranch_vccz .LBB1670_379
; %bb.289:
	s_mov_b32 s7, 0
	s_lshl_b64 s[10:11], s[6:7], 1
	v_mbcnt_hi_u32_b32 v3, -1, v1
	s_add_u32 s4, s92, s10
	v_and_b32_e32 v2, 63, v3
	v_and_b32_e32 v10, 0x1c0, v0
	v_mov_b32_e32 v1, 0
	s_addc_u32 s5, s93, s11
	s_waitcnt vmcnt(0)
	v_mul_u32_u24_e32 v6, 22, v10
	v_lshlrev_b32_e32 v4, 1, v2
	v_mov_b32_e32 v5, v1
	v_lshl_add_u64 v[8:9], s[4:5], 0, v[4:5]
	v_lshlrev_b32_e32 v6, 1, v6
	v_mov_b32_e32 v7, v1
	v_lshl_add_u64 v[8:9], v[8:9], 0, v[6:7]
	s_load_dword s3, s[0:1], 0x58
	s_load_dword s4, s[0:1], 0x64
	global_load_ushort v5, v[8:9], off
	s_add_u32 s0, s0, 0x58
	s_addc_u32 s1, s1, 0
	v_and_b32_e32 v2, 0x3ff, v0
	s_waitcnt lgkmcnt(0)
	s_lshr_b32 s4, s4, 16
	s_cmp_lt_u32 s2, s3
	s_cselect_b32 s5, 12, 18
	s_add_u32 s0, s0, s5
	s_addc_u32 s1, s1, 0
	global_load_ushort v14, v1, s[0:1]
	global_load_ushort v11, v[8:9], off offset:128
	global_load_ushort v15, v[8:9], off offset:256
	;; [unrolled: 1-line block ×14, first 2 shown]
                                        ; kill: killed $sgpr0 killed $sgpr1
	global_load_ushort v50, v[8:9], off offset:1920
	global_load_ushort v45, v[8:9], off offset:2048
	;; [unrolled: 1-line block ×7, first 2 shown]
	v_bfe_u32 v9, v0, 10, 10
	v_bfe_u32 v13, v0, 20, 10
	v_lshlrev_b32_e32 v7, 3, v2
	v_mov_b32_e32 v0, v1
	ds_write_b64 v7, v[0:1] offset:32
	s_lshl_b32 s0, -1, s9
	v_mad_u32_u24 v18, v13, s4, v9
	v_mov_b32_e32 v8, v1
	v_mov_b32_e32 v12, v1
	s_not_b32 s9, s0
	v_mov_b32_e32 v16, v1
	s_waitcnt lgkmcnt(0)
	s_barrier
	s_waitcnt vmcnt(22)
	; wave barrier
	v_xor_b32_e32 v5, 0xffff8000, v5
	v_lshrrev_b32_sdwa v0, s8, v5 dst_sel:DWORD dst_unused:UNUSED_PAD src0_sel:DWORD src1_sel:WORD_0
	v_bitop3_b32 v21, v0, s0, v0 bitop3:0x30
	v_and_b32_e32 v0, 1, v21
	v_lshlrev_b32_e32 v9, 30, v21
	v_lshlrev_b32_e32 v13, 29, v21
	s_waitcnt vmcnt(21)
	v_mad_u64_u32 v[22:23], s[0:1], v18, v14, v[2:3]
	v_lshl_add_u64 v[28:29], v[0:1], 0, -1
	v_cmp_ne_u32_e32 vcc, 0, v0
	v_not_b32_e32 v0, v9
	v_cmp_gt_i64_e64 s[0:1], 0, v[8:9]
	v_cmp_gt_i64_e64 s[4:5], 0, v[12:13]
	v_not_b32_e32 v8, v13
	v_lshrrev_b32_e32 v9, 6, v22
	v_xor_b32_e32 v12, vcc_hi, v29
	v_xor_b32_e32 v13, vcc_lo, v28
	v_ashrrev_i32_e32 v0, 31, v0
	v_lshlrev_b32_e32 v17, 28, v21
	v_ashrrev_i32_e32 v8, 31, v8
	v_lshlrev_b32_e32 v24, 2, v9
	v_and_b32_e32 v9, exec_hi, v12
	v_and_b32_e32 v12, exec_lo, v13
	v_xor_b32_e32 v13, s1, v0
	v_xor_b32_e32 v0, s0, v0
	v_cmp_gt_i64_e64 s[6:7], 0, v[16:17]
	v_xor_b32_e32 v16, s5, v8
	v_xor_b32_e32 v8, s4, v8
	v_and_b32_e32 v0, v12, v0
	v_and_b32_e32 v0, v0, v8
	v_not_b32_e32 v8, v17
	v_and_b32_e32 v9, v9, v13
	v_ashrrev_i32_e32 v8, 31, v8
	v_and_b32_e32 v9, v9, v16
	v_xor_b32_e32 v12, s7, v8
	v_xor_b32_e32 v8, s6, v8
	v_and_b32_e32 v12, v9, v12
	v_and_b32_e32 v0, v0, v8
	v_lshlrev_b32_e32 v9, 27, v21
	v_mov_b32_e32 v8, v1
	v_cmp_gt_i64_e32 vcc, 0, v[8:9]
	v_not_b32_e32 v8, v9
	v_ashrrev_i32_e32 v8, 31, v8
	v_xor_b32_e32 v9, vcc_hi, v8
	v_xor_b32_e32 v8, vcc_lo, v8
	v_and_b32_e32 v12, v12, v9
	v_and_b32_e32 v0, v0, v8
	v_lshlrev_b32_e32 v9, 26, v21
	v_mov_b32_e32 v8, v1
	v_cmp_gt_i64_e32 vcc, 0, v[8:9]
	v_not_b32_e32 v8, v9
	v_ashrrev_i32_e32 v8, 31, v8
	v_xor_b32_e32 v9, vcc_hi, v8
	v_xor_b32_e32 v8, vcc_lo, v8
	v_and_b32_e32 v8, v0, v8
	v_and_b32_e32 v9, v12, v9
	v_mbcnt_lo_u32_b32 v0, v8, 0
	v_mbcnt_hi_u32_b32 v12, v9, v0
	v_cmp_eq_u32_e32 vcc, 0, v12
	v_cmp_ne_u64_e64 s[0:1], 0, v[8:9]
	v_mad_u32_u24 v14, v21, 36, v24
	s_and_b64 s[4:5], s[0:1], vcc
	s_and_saveexec_b64 s[0:1], s[4:5]
; %bb.290:
	v_bcnt_u32_b32 v0, v8, 0
	v_bcnt_u32_b32 v0, v9, v0
	ds_write_b32 v14, v0 offset:32
; %bb.291:
	s_or_b64 exec, exec, s[0:1]
	s_waitcnt vmcnt(20)
	v_xor_b32_e32 v11, 0xffff8000, v11
	v_lshrrev_b32_sdwa v0, s8, v11 dst_sel:DWORD dst_unused:UNUSED_PAD src0_sel:DWORD src1_sel:WORD_0
	v_and_b32_e32 v17, s9, v0
	v_and_b32_e32 v0, 1, v17
	v_lshl_add_u64 v[8:9], v[0:1], 0, -1
	v_cmp_ne_u32_e32 vcc, 0, v0
	v_mad_u32_u24 v16, v17, 36, v24
	s_nop 0
	v_xor_b32_e32 v8, vcc_lo, v8
	v_xor_b32_e32 v0, vcc_hi, v9
	v_and_b32_e32 v18, exec_lo, v8
	v_lshlrev_b32_e32 v9, 30, v17
	v_mov_b32_e32 v8, v1
	v_cmp_gt_i64_e32 vcc, 0, v[8:9]
	v_not_b32_e32 v8, v9
	v_ashrrev_i32_e32 v8, 31, v8
	v_and_b32_e32 v0, exec_hi, v0
	v_xor_b32_e32 v9, vcc_hi, v8
	v_xor_b32_e32 v8, vcc_lo, v8
	v_and_b32_e32 v0, v0, v9
	v_and_b32_e32 v18, v18, v8
	v_lshlrev_b32_e32 v9, 29, v17
	v_mov_b32_e32 v8, v1
	v_cmp_gt_i64_e32 vcc, 0, v[8:9]
	v_not_b32_e32 v8, v9
	v_ashrrev_i32_e32 v8, 31, v8
	v_xor_b32_e32 v9, vcc_hi, v8
	v_xor_b32_e32 v8, vcc_lo, v8
	v_and_b32_e32 v0, v0, v9
	v_and_b32_e32 v18, v18, v8
	v_lshlrev_b32_e32 v9, 28, v17
	v_mov_b32_e32 v8, v1
	v_cmp_gt_i64_e32 vcc, 0, v[8:9]
	v_not_b32_e32 v8, v9
	v_ashrrev_i32_e32 v8, 31, v8
	;; [unrolled: 9-line block ×3, first 2 shown]
	v_xor_b32_e32 v9, vcc_hi, v8
	v_xor_b32_e32 v8, vcc_lo, v8
	v_and_b32_e32 v0, v0, v9
	v_lshlrev_b32_e32 v9, 26, v17
	v_and_b32_e32 v18, v18, v8
	v_mov_b32_e32 v8, v1
	v_not_b32_e32 v1, v9
	v_cmp_gt_i64_e32 vcc, 0, v[8:9]
	v_ashrrev_i32_e32 v1, 31, v1
	; wave barrier
	s_nop 0
	v_xor_b32_e32 v8, vcc_hi, v1
	v_xor_b32_e32 v9, vcc_lo, v1
	ds_read_b32 v13, v16 offset:32
	v_and_b32_e32 v1, v0, v8
	v_and_b32_e32 v0, v18, v9
	v_mbcnt_lo_u32_b32 v8, v0, 0
	v_mbcnt_hi_u32_b32 v17, v1, v8
	v_cmp_eq_u32_e32 vcc, 0, v17
	v_cmp_ne_u64_e64 s[0:1], 0, v[0:1]
	s_and_b64 s[4:5], s[0:1], vcc
	; wave barrier
	s_and_saveexec_b64 s[0:1], s[4:5]
	s_cbranch_execz .LBB1670_293
; %bb.292:
	v_bcnt_u32_b32 v0, v0, 0
	v_bcnt_u32_b32 v0, v1, v0
	s_waitcnt lgkmcnt(0)
	v_add_u32_e32 v0, v13, v0
	ds_write_b32 v16, v0 offset:32
.LBB1670_293:
	s_or_b64 exec, exec, s[0:1]
	s_waitcnt vmcnt(19)
	v_xor_b32_e32 v15, 0xffff8000, v15
	v_lshrrev_b32_sdwa v0, s8, v15 dst_sel:DWORD dst_unused:UNUSED_PAD src0_sel:DWORD src1_sel:WORD_0
	v_and_b32_e32 v22, s9, v0
	v_and_b32_e32 v0, 1, v22
	v_mov_b32_e32 v1, 0
	v_lshl_add_u64 v[8:9], v[0:1], 0, -1
	v_cmp_ne_u32_e32 vcc, 0, v0
	v_mad_u32_u24 v21, v22, 36, v24
	s_nop 0
	v_xor_b32_e32 v8, vcc_lo, v8
	v_xor_b32_e32 v0, vcc_hi, v9
	v_and_b32_e32 v23, exec_lo, v8
	v_lshlrev_b32_e32 v9, 30, v22
	v_mov_b32_e32 v8, v1
	v_cmp_gt_i64_e32 vcc, 0, v[8:9]
	v_not_b32_e32 v8, v9
	v_ashrrev_i32_e32 v8, 31, v8
	v_and_b32_e32 v0, exec_hi, v0
	v_xor_b32_e32 v9, vcc_hi, v8
	v_xor_b32_e32 v8, vcc_lo, v8
	v_and_b32_e32 v0, v0, v9
	v_and_b32_e32 v23, v23, v8
	v_lshlrev_b32_e32 v9, 29, v22
	v_mov_b32_e32 v8, v1
	v_cmp_gt_i64_e32 vcc, 0, v[8:9]
	v_not_b32_e32 v8, v9
	v_ashrrev_i32_e32 v8, 31, v8
	v_xor_b32_e32 v9, vcc_hi, v8
	v_xor_b32_e32 v8, vcc_lo, v8
	v_and_b32_e32 v0, v0, v9
	v_and_b32_e32 v23, v23, v8
	v_lshlrev_b32_e32 v9, 28, v22
	v_mov_b32_e32 v8, v1
	v_cmp_gt_i64_e32 vcc, 0, v[8:9]
	v_not_b32_e32 v8, v9
	v_ashrrev_i32_e32 v8, 31, v8
	;; [unrolled: 9-line block ×4, first 2 shown]
	v_xor_b32_e32 v9, vcc_hi, v8
	v_xor_b32_e32 v8, vcc_lo, v8
	; wave barrier
	ds_read_b32 v18, v21 offset:32
	v_and_b32_e32 v8, v23, v8
	v_and_b32_e32 v9, v0, v9
	v_mbcnt_lo_u32_b32 v0, v8, 0
	v_mbcnt_hi_u32_b32 v22, v9, v0
	v_cmp_eq_u32_e32 vcc, 0, v22
	v_cmp_ne_u64_e64 s[0:1], 0, v[8:9]
	s_and_b64 s[4:5], s[0:1], vcc
	; wave barrier
	s_and_saveexec_b64 s[0:1], s[4:5]
	s_cbranch_execz .LBB1670_295
; %bb.294:
	v_bcnt_u32_b32 v0, v8, 0
	v_bcnt_u32_b32 v0, v9, v0
	s_waitcnt lgkmcnt(0)
	v_add_u32_e32 v0, v18, v0
	ds_write_b32 v21, v0 offset:32
.LBB1670_295:
	s_or_b64 exec, exec, s[0:1]
	s_waitcnt vmcnt(18)
	v_xor_b32_e32 v20, 0xffff8000, v20
	v_lshrrev_b32_sdwa v0, s8, v20 dst_sel:DWORD dst_unused:UNUSED_PAD src0_sel:DWORD src1_sel:WORD_0
	v_and_b32_e32 v28, s9, v0
	v_and_b32_e32 v0, 1, v28
	v_lshl_add_u64 v[8:9], v[0:1], 0, -1
	v_cmp_ne_u32_e32 vcc, 0, v0
	v_mad_u32_u24 v27, v28, 36, v24
	s_nop 0
	v_xor_b32_e32 v8, vcc_lo, v8
	v_xor_b32_e32 v0, vcc_hi, v9
	v_and_b32_e32 v29, exec_lo, v8
	v_lshlrev_b32_e32 v9, 30, v28
	v_mov_b32_e32 v8, v1
	v_cmp_gt_i64_e32 vcc, 0, v[8:9]
	v_not_b32_e32 v8, v9
	v_ashrrev_i32_e32 v8, 31, v8
	v_and_b32_e32 v0, exec_hi, v0
	v_xor_b32_e32 v9, vcc_hi, v8
	v_xor_b32_e32 v8, vcc_lo, v8
	v_and_b32_e32 v0, v0, v9
	v_and_b32_e32 v29, v29, v8
	v_lshlrev_b32_e32 v9, 29, v28
	v_mov_b32_e32 v8, v1
	v_cmp_gt_i64_e32 vcc, 0, v[8:9]
	v_not_b32_e32 v8, v9
	v_ashrrev_i32_e32 v8, 31, v8
	v_xor_b32_e32 v9, vcc_hi, v8
	v_xor_b32_e32 v8, vcc_lo, v8
	v_and_b32_e32 v0, v0, v9
	v_and_b32_e32 v29, v29, v8
	v_lshlrev_b32_e32 v9, 28, v28
	v_mov_b32_e32 v8, v1
	v_cmp_gt_i64_e32 vcc, 0, v[8:9]
	v_not_b32_e32 v8, v9
	v_ashrrev_i32_e32 v8, 31, v8
	;; [unrolled: 9-line block ×3, first 2 shown]
	v_xor_b32_e32 v9, vcc_hi, v8
	v_xor_b32_e32 v8, vcc_lo, v8
	v_and_b32_e32 v0, v0, v9
	v_lshlrev_b32_e32 v9, 26, v28
	v_and_b32_e32 v29, v29, v8
	v_mov_b32_e32 v8, v1
	v_not_b32_e32 v1, v9
	v_cmp_gt_i64_e32 vcc, 0, v[8:9]
	v_ashrrev_i32_e32 v1, 31, v1
	; wave barrier
	s_nop 0
	v_xor_b32_e32 v8, vcc_hi, v1
	v_xor_b32_e32 v9, vcc_lo, v1
	ds_read_b32 v23, v27 offset:32
	v_and_b32_e32 v1, v0, v8
	v_and_b32_e32 v0, v29, v9
	v_mbcnt_lo_u32_b32 v8, v0, 0
	v_mbcnt_hi_u32_b32 v28, v1, v8
	v_cmp_eq_u32_e32 vcc, 0, v28
	v_cmp_ne_u64_e64 s[0:1], 0, v[0:1]
	s_and_b64 s[4:5], s[0:1], vcc
	; wave barrier
	s_and_saveexec_b64 s[0:1], s[4:5]
	s_cbranch_execz .LBB1670_297
; %bb.296:
	v_bcnt_u32_b32 v0, v0, 0
	v_bcnt_u32_b32 v0, v1, v0
	s_waitcnt lgkmcnt(0)
	v_add_u32_e32 v0, v23, v0
	ds_write_b32 v27, v0 offset:32
.LBB1670_297:
	s_or_b64 exec, exec, s[0:1]
	s_waitcnt vmcnt(17)
	v_xor_b32_e32 v26, 0xffff8000, v26
	v_lshrrev_b32_sdwa v0, s8, v26 dst_sel:DWORD dst_unused:UNUSED_PAD src0_sel:DWORD src1_sel:WORD_0
	v_and_b32_e32 v33, s9, v0
	v_and_b32_e32 v0, 1, v33
	v_mov_b32_e32 v1, 0
	v_lshl_add_u64 v[8:9], v[0:1], 0, -1
	v_cmp_ne_u32_e32 vcc, 0, v0
	v_mad_u32_u24 v32, v33, 36, v24
	s_nop 0
	v_xor_b32_e32 v8, vcc_lo, v8
	v_xor_b32_e32 v0, vcc_hi, v9
	v_and_b32_e32 v34, exec_lo, v8
	v_lshlrev_b32_e32 v9, 30, v33
	v_mov_b32_e32 v8, v1
	v_cmp_gt_i64_e32 vcc, 0, v[8:9]
	v_not_b32_e32 v8, v9
	v_ashrrev_i32_e32 v8, 31, v8
	v_and_b32_e32 v0, exec_hi, v0
	v_xor_b32_e32 v9, vcc_hi, v8
	v_xor_b32_e32 v8, vcc_lo, v8
	v_and_b32_e32 v0, v0, v9
	v_and_b32_e32 v34, v34, v8
	v_lshlrev_b32_e32 v9, 29, v33
	v_mov_b32_e32 v8, v1
	v_cmp_gt_i64_e32 vcc, 0, v[8:9]
	v_not_b32_e32 v8, v9
	v_ashrrev_i32_e32 v8, 31, v8
	v_xor_b32_e32 v9, vcc_hi, v8
	v_xor_b32_e32 v8, vcc_lo, v8
	v_and_b32_e32 v0, v0, v9
	v_and_b32_e32 v34, v34, v8
	v_lshlrev_b32_e32 v9, 28, v33
	v_mov_b32_e32 v8, v1
	v_cmp_gt_i64_e32 vcc, 0, v[8:9]
	v_not_b32_e32 v8, v9
	v_ashrrev_i32_e32 v8, 31, v8
	;; [unrolled: 9-line block ×4, first 2 shown]
	v_xor_b32_e32 v9, vcc_hi, v8
	v_xor_b32_e32 v8, vcc_lo, v8
	; wave barrier
	ds_read_b32 v29, v32 offset:32
	v_and_b32_e32 v8, v34, v8
	v_and_b32_e32 v9, v0, v9
	v_mbcnt_lo_u32_b32 v0, v8, 0
	v_mbcnt_hi_u32_b32 v33, v9, v0
	v_cmp_eq_u32_e32 vcc, 0, v33
	v_cmp_ne_u64_e64 s[0:1], 0, v[8:9]
	s_and_b64 s[4:5], s[0:1], vcc
	; wave barrier
	s_and_saveexec_b64 s[0:1], s[4:5]
	s_cbranch_execz .LBB1670_299
; %bb.298:
	v_bcnt_u32_b32 v0, v8, 0
	v_bcnt_u32_b32 v0, v9, v0
	s_waitcnt lgkmcnt(0)
	v_add_u32_e32 v0, v29, v0
	ds_write_b32 v32, v0 offset:32
.LBB1670_299:
	s_or_b64 exec, exec, s[0:1]
	s_waitcnt vmcnt(16)
	v_xor_b32_e32 v31, 0xffff8000, v31
	v_lshrrev_b32_sdwa v0, s8, v31 dst_sel:DWORD dst_unused:UNUSED_PAD src0_sel:DWORD src1_sel:WORD_0
	v_and_b32_e32 v38, s9, v0
	v_and_b32_e32 v0, 1, v38
	v_lshl_add_u64 v[8:9], v[0:1], 0, -1
	v_cmp_ne_u32_e32 vcc, 0, v0
	v_mad_u32_u24 v37, v38, 36, v24
	s_nop 0
	v_xor_b32_e32 v8, vcc_lo, v8
	v_xor_b32_e32 v0, vcc_hi, v9
	v_and_b32_e32 v39, exec_lo, v8
	v_lshlrev_b32_e32 v9, 30, v38
	v_mov_b32_e32 v8, v1
	v_cmp_gt_i64_e32 vcc, 0, v[8:9]
	v_not_b32_e32 v8, v9
	v_ashrrev_i32_e32 v8, 31, v8
	v_and_b32_e32 v0, exec_hi, v0
	v_xor_b32_e32 v9, vcc_hi, v8
	v_xor_b32_e32 v8, vcc_lo, v8
	v_and_b32_e32 v0, v0, v9
	v_and_b32_e32 v39, v39, v8
	v_lshlrev_b32_e32 v9, 29, v38
	v_mov_b32_e32 v8, v1
	v_cmp_gt_i64_e32 vcc, 0, v[8:9]
	v_not_b32_e32 v8, v9
	v_ashrrev_i32_e32 v8, 31, v8
	v_xor_b32_e32 v9, vcc_hi, v8
	v_xor_b32_e32 v8, vcc_lo, v8
	v_and_b32_e32 v0, v0, v9
	v_and_b32_e32 v39, v39, v8
	v_lshlrev_b32_e32 v9, 28, v38
	v_mov_b32_e32 v8, v1
	v_cmp_gt_i64_e32 vcc, 0, v[8:9]
	v_not_b32_e32 v8, v9
	v_ashrrev_i32_e32 v8, 31, v8
	;; [unrolled: 9-line block ×3, first 2 shown]
	v_xor_b32_e32 v9, vcc_hi, v8
	v_xor_b32_e32 v8, vcc_lo, v8
	v_and_b32_e32 v0, v0, v9
	v_lshlrev_b32_e32 v9, 26, v38
	v_and_b32_e32 v39, v39, v8
	v_mov_b32_e32 v8, v1
	v_not_b32_e32 v1, v9
	v_cmp_gt_i64_e32 vcc, 0, v[8:9]
	v_ashrrev_i32_e32 v1, 31, v1
	; wave barrier
	s_nop 0
	v_xor_b32_e32 v8, vcc_hi, v1
	v_xor_b32_e32 v9, vcc_lo, v1
	ds_read_b32 v34, v37 offset:32
	v_and_b32_e32 v1, v0, v8
	v_and_b32_e32 v0, v39, v9
	v_mbcnt_lo_u32_b32 v8, v0, 0
	v_mbcnt_hi_u32_b32 v38, v1, v8
	v_cmp_eq_u32_e32 vcc, 0, v38
	v_cmp_ne_u64_e64 s[0:1], 0, v[0:1]
	s_and_b64 s[4:5], s[0:1], vcc
	; wave barrier
	s_and_saveexec_b64 s[0:1], s[4:5]
	s_cbranch_execz .LBB1670_301
; %bb.300:
	v_bcnt_u32_b32 v0, v0, 0
	v_bcnt_u32_b32 v0, v1, v0
	s_waitcnt lgkmcnt(0)
	v_add_u32_e32 v0, v34, v0
	ds_write_b32 v37, v0 offset:32
.LBB1670_301:
	s_or_b64 exec, exec, s[0:1]
	s_waitcnt vmcnt(15)
	v_xor_b32_e32 v36, 0xffff8000, v36
	v_lshrrev_b32_sdwa v0, s8, v36 dst_sel:DWORD dst_unused:UNUSED_PAD src0_sel:DWORD src1_sel:WORD_0
	v_and_b32_e32 v43, s9, v0
	v_and_b32_e32 v0, 1, v43
	v_mov_b32_e32 v1, 0
	v_lshl_add_u64 v[8:9], v[0:1], 0, -1
	v_cmp_ne_u32_e32 vcc, 0, v0
	v_mad_u32_u24 v42, v43, 36, v24
	s_nop 0
	v_xor_b32_e32 v8, vcc_lo, v8
	v_xor_b32_e32 v0, vcc_hi, v9
	v_and_b32_e32 v44, exec_lo, v8
	v_lshlrev_b32_e32 v9, 30, v43
	v_mov_b32_e32 v8, v1
	v_cmp_gt_i64_e32 vcc, 0, v[8:9]
	v_not_b32_e32 v8, v9
	v_ashrrev_i32_e32 v8, 31, v8
	v_and_b32_e32 v0, exec_hi, v0
	v_xor_b32_e32 v9, vcc_hi, v8
	v_xor_b32_e32 v8, vcc_lo, v8
	v_and_b32_e32 v0, v0, v9
	v_and_b32_e32 v44, v44, v8
	v_lshlrev_b32_e32 v9, 29, v43
	v_mov_b32_e32 v8, v1
	v_cmp_gt_i64_e32 vcc, 0, v[8:9]
	v_not_b32_e32 v8, v9
	v_ashrrev_i32_e32 v8, 31, v8
	v_xor_b32_e32 v9, vcc_hi, v8
	v_xor_b32_e32 v8, vcc_lo, v8
	v_and_b32_e32 v0, v0, v9
	v_and_b32_e32 v44, v44, v8
	v_lshlrev_b32_e32 v9, 28, v43
	v_mov_b32_e32 v8, v1
	v_cmp_gt_i64_e32 vcc, 0, v[8:9]
	v_not_b32_e32 v8, v9
	v_ashrrev_i32_e32 v8, 31, v8
	;; [unrolled: 9-line block ×4, first 2 shown]
	v_xor_b32_e32 v9, vcc_hi, v8
	v_xor_b32_e32 v8, vcc_lo, v8
	; wave barrier
	ds_read_b32 v39, v42 offset:32
	v_and_b32_e32 v8, v44, v8
	v_and_b32_e32 v9, v0, v9
	v_mbcnt_lo_u32_b32 v0, v8, 0
	v_mbcnt_hi_u32_b32 v43, v9, v0
	v_cmp_eq_u32_e32 vcc, 0, v43
	v_cmp_ne_u64_e64 s[0:1], 0, v[8:9]
	s_and_b64 s[4:5], s[0:1], vcc
	; wave barrier
	s_and_saveexec_b64 s[0:1], s[4:5]
	s_cbranch_execz .LBB1670_303
; %bb.302:
	v_bcnt_u32_b32 v0, v8, 0
	v_bcnt_u32_b32 v0, v9, v0
	s_waitcnt lgkmcnt(0)
	v_add_u32_e32 v0, v39, v0
	ds_write_b32 v42, v0 offset:32
.LBB1670_303:
	s_or_b64 exec, exec, s[0:1]
	s_waitcnt vmcnt(14)
	v_xor_b32_e32 v41, 0xffff8000, v41
	v_lshrrev_b32_sdwa v0, s8, v41 dst_sel:DWORD dst_unused:UNUSED_PAD src0_sel:DWORD src1_sel:WORD_0
	v_and_b32_e32 v48, s9, v0
	v_and_b32_e32 v0, 1, v48
	v_lshl_add_u64 v[8:9], v[0:1], 0, -1
	v_cmp_ne_u32_e32 vcc, 0, v0
	v_mad_u32_u24 v47, v48, 36, v24
	s_nop 0
	v_xor_b32_e32 v8, vcc_lo, v8
	v_xor_b32_e32 v0, vcc_hi, v9
	v_and_b32_e32 v49, exec_lo, v8
	v_lshlrev_b32_e32 v9, 30, v48
	v_mov_b32_e32 v8, v1
	v_cmp_gt_i64_e32 vcc, 0, v[8:9]
	v_not_b32_e32 v8, v9
	v_ashrrev_i32_e32 v8, 31, v8
	v_and_b32_e32 v0, exec_hi, v0
	v_xor_b32_e32 v9, vcc_hi, v8
	v_xor_b32_e32 v8, vcc_lo, v8
	v_and_b32_e32 v0, v0, v9
	v_and_b32_e32 v49, v49, v8
	v_lshlrev_b32_e32 v9, 29, v48
	v_mov_b32_e32 v8, v1
	v_cmp_gt_i64_e32 vcc, 0, v[8:9]
	v_not_b32_e32 v8, v9
	v_ashrrev_i32_e32 v8, 31, v8
	v_xor_b32_e32 v9, vcc_hi, v8
	v_xor_b32_e32 v8, vcc_lo, v8
	v_and_b32_e32 v0, v0, v9
	v_and_b32_e32 v49, v49, v8
	v_lshlrev_b32_e32 v9, 28, v48
	v_mov_b32_e32 v8, v1
	v_cmp_gt_i64_e32 vcc, 0, v[8:9]
	v_not_b32_e32 v8, v9
	v_ashrrev_i32_e32 v8, 31, v8
	;; [unrolled: 9-line block ×3, first 2 shown]
	v_xor_b32_e32 v9, vcc_hi, v8
	v_xor_b32_e32 v8, vcc_lo, v8
	v_and_b32_e32 v0, v0, v9
	v_lshlrev_b32_e32 v9, 26, v48
	v_and_b32_e32 v49, v49, v8
	v_mov_b32_e32 v8, v1
	v_not_b32_e32 v1, v9
	v_cmp_gt_i64_e32 vcc, 0, v[8:9]
	v_ashrrev_i32_e32 v1, 31, v1
	; wave barrier
	s_nop 0
	v_xor_b32_e32 v8, vcc_hi, v1
	v_xor_b32_e32 v9, vcc_lo, v1
	ds_read_b32 v44, v47 offset:32
	v_and_b32_e32 v1, v0, v8
	v_and_b32_e32 v0, v49, v9
	v_mbcnt_lo_u32_b32 v8, v0, 0
	v_mbcnt_hi_u32_b32 v48, v1, v8
	v_cmp_eq_u32_e32 vcc, 0, v48
	v_cmp_ne_u64_e64 s[0:1], 0, v[0:1]
	s_and_b64 s[4:5], s[0:1], vcc
	; wave barrier
	s_and_saveexec_b64 s[0:1], s[4:5]
	s_cbranch_execz .LBB1670_305
; %bb.304:
	v_bcnt_u32_b32 v0, v0, 0
	v_bcnt_u32_b32 v0, v1, v0
	s_waitcnt lgkmcnt(0)
	v_add_u32_e32 v0, v44, v0
	ds_write_b32 v47, v0 offset:32
.LBB1670_305:
	s_or_b64 exec, exec, s[0:1]
	s_waitcnt vmcnt(13)
	v_xor_b32_e32 v46, 0xffff8000, v46
	v_lshrrev_b32_sdwa v0, s8, v46 dst_sel:DWORD dst_unused:UNUSED_PAD src0_sel:DWORD src1_sel:WORD_0
	v_and_b32_e32 v53, s9, v0
	v_and_b32_e32 v0, 1, v53
	v_mov_b32_e32 v1, 0
	v_lshl_add_u64 v[8:9], v[0:1], 0, -1
	v_cmp_ne_u32_e32 vcc, 0, v0
	v_mad_u32_u24 v52, v53, 36, v24
	s_nop 0
	v_xor_b32_e32 v8, vcc_lo, v8
	v_xor_b32_e32 v0, vcc_hi, v9
	v_and_b32_e32 v54, exec_lo, v8
	v_lshlrev_b32_e32 v9, 30, v53
	v_mov_b32_e32 v8, v1
	v_cmp_gt_i64_e32 vcc, 0, v[8:9]
	v_not_b32_e32 v8, v9
	v_ashrrev_i32_e32 v8, 31, v8
	v_and_b32_e32 v0, exec_hi, v0
	v_xor_b32_e32 v9, vcc_hi, v8
	v_xor_b32_e32 v8, vcc_lo, v8
	v_and_b32_e32 v0, v0, v9
	v_and_b32_e32 v54, v54, v8
	v_lshlrev_b32_e32 v9, 29, v53
	v_mov_b32_e32 v8, v1
	v_cmp_gt_i64_e32 vcc, 0, v[8:9]
	v_not_b32_e32 v8, v9
	v_ashrrev_i32_e32 v8, 31, v8
	v_xor_b32_e32 v9, vcc_hi, v8
	v_xor_b32_e32 v8, vcc_lo, v8
	v_and_b32_e32 v0, v0, v9
	v_and_b32_e32 v54, v54, v8
	v_lshlrev_b32_e32 v9, 28, v53
	v_mov_b32_e32 v8, v1
	v_cmp_gt_i64_e32 vcc, 0, v[8:9]
	v_not_b32_e32 v8, v9
	v_ashrrev_i32_e32 v8, 31, v8
	;; [unrolled: 9-line block ×4, first 2 shown]
	v_xor_b32_e32 v9, vcc_hi, v8
	v_xor_b32_e32 v8, vcc_lo, v8
	; wave barrier
	ds_read_b32 v49, v52 offset:32
	v_and_b32_e32 v8, v54, v8
	v_and_b32_e32 v9, v0, v9
	v_mbcnt_lo_u32_b32 v0, v8, 0
	v_mbcnt_hi_u32_b32 v53, v9, v0
	v_cmp_eq_u32_e32 vcc, 0, v53
	v_cmp_ne_u64_e64 s[0:1], 0, v[8:9]
	s_and_b64 s[4:5], s[0:1], vcc
	; wave barrier
	s_and_saveexec_b64 s[0:1], s[4:5]
	s_cbranch_execz .LBB1670_307
; %bb.306:
	v_bcnt_u32_b32 v0, v8, 0
	v_bcnt_u32_b32 v0, v9, v0
	s_waitcnt lgkmcnt(0)
	v_add_u32_e32 v0, v49, v0
	ds_write_b32 v52, v0 offset:32
.LBB1670_307:
	s_or_b64 exec, exec, s[0:1]
	s_waitcnt vmcnt(12)
	v_xor_b32_e32 v51, 0xffff8000, v51
	v_lshrrev_b32_sdwa v0, s8, v51 dst_sel:DWORD dst_unused:UNUSED_PAD src0_sel:DWORD src1_sel:WORD_0
	v_and_b32_e32 v58, s9, v0
	v_and_b32_e32 v0, 1, v58
	v_lshl_add_u64 v[8:9], v[0:1], 0, -1
	v_cmp_ne_u32_e32 vcc, 0, v0
	v_mad_u32_u24 v57, v58, 36, v24
	s_nop 0
	v_xor_b32_e32 v8, vcc_lo, v8
	v_xor_b32_e32 v0, vcc_hi, v9
	v_and_b32_e32 v59, exec_lo, v8
	v_lshlrev_b32_e32 v9, 30, v58
	v_mov_b32_e32 v8, v1
	v_cmp_gt_i64_e32 vcc, 0, v[8:9]
	v_not_b32_e32 v8, v9
	v_ashrrev_i32_e32 v8, 31, v8
	v_and_b32_e32 v0, exec_hi, v0
	v_xor_b32_e32 v9, vcc_hi, v8
	v_xor_b32_e32 v8, vcc_lo, v8
	v_and_b32_e32 v0, v0, v9
	v_and_b32_e32 v59, v59, v8
	v_lshlrev_b32_e32 v9, 29, v58
	v_mov_b32_e32 v8, v1
	v_cmp_gt_i64_e32 vcc, 0, v[8:9]
	v_not_b32_e32 v8, v9
	v_ashrrev_i32_e32 v8, 31, v8
	v_xor_b32_e32 v9, vcc_hi, v8
	v_xor_b32_e32 v8, vcc_lo, v8
	v_and_b32_e32 v0, v0, v9
	v_and_b32_e32 v59, v59, v8
	v_lshlrev_b32_e32 v9, 28, v58
	v_mov_b32_e32 v8, v1
	v_cmp_gt_i64_e32 vcc, 0, v[8:9]
	v_not_b32_e32 v8, v9
	v_ashrrev_i32_e32 v8, 31, v8
	v_xor_b32_e32 v9, vcc_hi, v8
	v_xor_b32_e32 v8, vcc_lo, v8
	v_and_b32_e32 v0, v0, v9
	v_and_b32_e32 v59, v59, v8
	v_lshlrev_b32_e32 v9, 27, v58
	v_mov_b32_e32 v8, v1
	v_cmp_gt_i64_e32 vcc, 0, v[8:9]
	v_not_b32_e32 v8, v9
	v_ashrrev_i32_e32 v8, 31, v8
	v_xor_b32_e32 v9, vcc_hi, v8
	v_xor_b32_e32 v8, vcc_lo, v8
	v_and_b32_e32 v0, v0, v9
	v_lshlrev_b32_e32 v9, 26, v58
	v_and_b32_e32 v59, v59, v8
	v_mov_b32_e32 v8, v1
	v_not_b32_e32 v1, v9
	v_cmp_gt_i64_e32 vcc, 0, v[8:9]
	v_ashrrev_i32_e32 v1, 31, v1
	; wave barrier
	s_nop 0
	v_xor_b32_e32 v8, vcc_hi, v1
	v_xor_b32_e32 v9, vcc_lo, v1
	ds_read_b32 v54, v57 offset:32
	v_and_b32_e32 v1, v0, v8
	v_and_b32_e32 v0, v59, v9
	v_mbcnt_lo_u32_b32 v8, v0, 0
	v_mbcnt_hi_u32_b32 v58, v1, v8
	v_cmp_eq_u32_e32 vcc, 0, v58
	v_cmp_ne_u64_e64 s[0:1], 0, v[0:1]
	s_and_b64 s[4:5], s[0:1], vcc
	; wave barrier
	s_and_saveexec_b64 s[0:1], s[4:5]
	s_cbranch_execz .LBB1670_309
; %bb.308:
	v_bcnt_u32_b32 v0, v0, 0
	v_bcnt_u32_b32 v0, v1, v0
	s_waitcnt lgkmcnt(0)
	v_add_u32_e32 v0, v54, v0
	ds_write_b32 v57, v0 offset:32
.LBB1670_309:
	s_or_b64 exec, exec, s[0:1]
	s_waitcnt vmcnt(11)
	v_xor_b32_e32 v56, 0xffff8000, v56
	v_lshrrev_b32_sdwa v0, s8, v56 dst_sel:DWORD dst_unused:UNUSED_PAD src0_sel:DWORD src1_sel:WORD_0
	v_and_b32_e32 v63, s9, v0
	v_and_b32_e32 v0, 1, v63
	v_mov_b32_e32 v1, 0
	v_lshl_add_u64 v[8:9], v[0:1], 0, -1
	v_cmp_ne_u32_e32 vcc, 0, v0
	v_mad_u32_u24 v62, v63, 36, v24
	s_nop 0
	v_xor_b32_e32 v8, vcc_lo, v8
	v_xor_b32_e32 v0, vcc_hi, v9
	v_and_b32_e32 v64, exec_lo, v8
	v_lshlrev_b32_e32 v9, 30, v63
	v_mov_b32_e32 v8, v1
	v_cmp_gt_i64_e32 vcc, 0, v[8:9]
	v_not_b32_e32 v8, v9
	v_ashrrev_i32_e32 v8, 31, v8
	v_and_b32_e32 v0, exec_hi, v0
	v_xor_b32_e32 v9, vcc_hi, v8
	v_xor_b32_e32 v8, vcc_lo, v8
	v_and_b32_e32 v0, v0, v9
	v_and_b32_e32 v64, v64, v8
	v_lshlrev_b32_e32 v9, 29, v63
	v_mov_b32_e32 v8, v1
	v_cmp_gt_i64_e32 vcc, 0, v[8:9]
	v_not_b32_e32 v8, v9
	v_ashrrev_i32_e32 v8, 31, v8
	v_xor_b32_e32 v9, vcc_hi, v8
	v_xor_b32_e32 v8, vcc_lo, v8
	v_and_b32_e32 v0, v0, v9
	v_and_b32_e32 v64, v64, v8
	v_lshlrev_b32_e32 v9, 28, v63
	v_mov_b32_e32 v8, v1
	v_cmp_gt_i64_e32 vcc, 0, v[8:9]
	v_not_b32_e32 v8, v9
	v_ashrrev_i32_e32 v8, 31, v8
	;; [unrolled: 9-line block ×4, first 2 shown]
	v_xor_b32_e32 v9, vcc_hi, v8
	v_xor_b32_e32 v8, vcc_lo, v8
	; wave barrier
	ds_read_b32 v59, v62 offset:32
	v_and_b32_e32 v8, v64, v8
	v_and_b32_e32 v9, v0, v9
	v_mbcnt_lo_u32_b32 v0, v8, 0
	v_mbcnt_hi_u32_b32 v63, v9, v0
	v_cmp_eq_u32_e32 vcc, 0, v63
	v_cmp_ne_u64_e64 s[0:1], 0, v[8:9]
	s_and_b64 s[4:5], s[0:1], vcc
	; wave barrier
	s_and_saveexec_b64 s[0:1], s[4:5]
	s_cbranch_execz .LBB1670_311
; %bb.310:
	v_bcnt_u32_b32 v0, v8, 0
	v_bcnt_u32_b32 v0, v9, v0
	s_waitcnt lgkmcnt(0)
	v_add_u32_e32 v0, v59, v0
	ds_write_b32 v62, v0 offset:32
.LBB1670_311:
	s_or_b64 exec, exec, s[0:1]
	s_waitcnt vmcnt(10)
	v_xor_b32_e32 v61, 0xffff8000, v61
	v_lshrrev_b32_sdwa v0, s8, v61 dst_sel:DWORD dst_unused:UNUSED_PAD src0_sel:DWORD src1_sel:WORD_0
	v_and_b32_e32 v67, s9, v0
	v_and_b32_e32 v0, 1, v67
	v_lshl_add_u64 v[8:9], v[0:1], 0, -1
	v_cmp_ne_u32_e32 vcc, 0, v0
	v_mad_u32_u24 v66, v67, 36, v24
	s_nop 0
	v_xor_b32_e32 v8, vcc_lo, v8
	v_xor_b32_e32 v0, vcc_hi, v9
	v_and_b32_e32 v68, exec_lo, v8
	v_lshlrev_b32_e32 v9, 30, v67
	v_mov_b32_e32 v8, v1
	v_cmp_gt_i64_e32 vcc, 0, v[8:9]
	v_not_b32_e32 v8, v9
	v_ashrrev_i32_e32 v8, 31, v8
	v_and_b32_e32 v0, exec_hi, v0
	v_xor_b32_e32 v9, vcc_hi, v8
	v_xor_b32_e32 v8, vcc_lo, v8
	v_and_b32_e32 v0, v0, v9
	v_and_b32_e32 v68, v68, v8
	v_lshlrev_b32_e32 v9, 29, v67
	v_mov_b32_e32 v8, v1
	v_cmp_gt_i64_e32 vcc, 0, v[8:9]
	v_not_b32_e32 v8, v9
	v_ashrrev_i32_e32 v8, 31, v8
	v_xor_b32_e32 v9, vcc_hi, v8
	v_xor_b32_e32 v8, vcc_lo, v8
	v_and_b32_e32 v0, v0, v9
	v_and_b32_e32 v68, v68, v8
	v_lshlrev_b32_e32 v9, 28, v67
	v_mov_b32_e32 v8, v1
	v_cmp_gt_i64_e32 vcc, 0, v[8:9]
	v_not_b32_e32 v8, v9
	v_ashrrev_i32_e32 v8, 31, v8
	v_xor_b32_e32 v9, vcc_hi, v8
	v_xor_b32_e32 v8, vcc_lo, v8
	v_and_b32_e32 v0, v0, v9
	v_and_b32_e32 v68, v68, v8
	v_lshlrev_b32_e32 v9, 27, v67
	v_mov_b32_e32 v8, v1
	v_cmp_gt_i64_e32 vcc, 0, v[8:9]
	v_not_b32_e32 v8, v9
	v_ashrrev_i32_e32 v8, 31, v8
	v_xor_b32_e32 v9, vcc_hi, v8
	v_xor_b32_e32 v8, vcc_lo, v8
	v_and_b32_e32 v0, v0, v9
	v_lshlrev_b32_e32 v9, 26, v67
	v_and_b32_e32 v68, v68, v8
	v_mov_b32_e32 v8, v1
	v_not_b32_e32 v1, v9
	v_cmp_gt_i64_e32 vcc, 0, v[8:9]
	v_ashrrev_i32_e32 v1, 31, v1
	; wave barrier
	s_nop 0
	v_xor_b32_e32 v8, vcc_hi, v1
	v_xor_b32_e32 v9, vcc_lo, v1
	ds_read_b32 v64, v66 offset:32
	v_and_b32_e32 v1, v0, v8
	v_and_b32_e32 v0, v68, v9
	v_mbcnt_lo_u32_b32 v8, v0, 0
	v_mbcnt_hi_u32_b32 v67, v1, v8
	v_cmp_eq_u32_e32 vcc, 0, v67
	v_cmp_ne_u64_e64 s[0:1], 0, v[0:1]
	s_and_b64 s[4:5], s[0:1], vcc
	; wave barrier
	s_and_saveexec_b64 s[0:1], s[4:5]
	s_cbranch_execz .LBB1670_313
; %bb.312:
	v_bcnt_u32_b32 v0, v0, 0
	v_bcnt_u32_b32 v0, v1, v0
	s_waitcnt lgkmcnt(0)
	v_add_u32_e32 v0, v64, v0
	ds_write_b32 v66, v0 offset:32
.LBB1670_313:
	s_or_b64 exec, exec, s[0:1]
	s_waitcnt vmcnt(9)
	v_xor_b32_e32 v65, 0xffff8000, v65
	v_lshrrev_b32_sdwa v0, s8, v65 dst_sel:DWORD dst_unused:UNUSED_PAD src0_sel:DWORD src1_sel:WORD_0
	v_and_b32_e32 v70, s9, v0
	v_and_b32_e32 v0, 1, v70
	v_mov_b32_e32 v1, 0
	v_lshl_add_u64 v[8:9], v[0:1], 0, -1
	v_cmp_ne_u32_e32 vcc, 0, v0
	v_mad_u32_u24 v69, v70, 36, v24
	s_nop 0
	v_xor_b32_e32 v8, vcc_lo, v8
	v_xor_b32_e32 v0, vcc_hi, v9
	v_and_b32_e32 v71, exec_lo, v8
	v_lshlrev_b32_e32 v9, 30, v70
	v_mov_b32_e32 v8, v1
	v_cmp_gt_i64_e32 vcc, 0, v[8:9]
	v_not_b32_e32 v8, v9
	v_ashrrev_i32_e32 v8, 31, v8
	v_and_b32_e32 v0, exec_hi, v0
	v_xor_b32_e32 v9, vcc_hi, v8
	v_xor_b32_e32 v8, vcc_lo, v8
	v_and_b32_e32 v0, v0, v9
	v_and_b32_e32 v71, v71, v8
	v_lshlrev_b32_e32 v9, 29, v70
	v_mov_b32_e32 v8, v1
	v_cmp_gt_i64_e32 vcc, 0, v[8:9]
	v_not_b32_e32 v8, v9
	v_ashrrev_i32_e32 v8, 31, v8
	v_xor_b32_e32 v9, vcc_hi, v8
	v_xor_b32_e32 v8, vcc_lo, v8
	v_and_b32_e32 v0, v0, v9
	v_and_b32_e32 v71, v71, v8
	v_lshlrev_b32_e32 v9, 28, v70
	v_mov_b32_e32 v8, v1
	v_cmp_gt_i64_e32 vcc, 0, v[8:9]
	v_not_b32_e32 v8, v9
	v_ashrrev_i32_e32 v8, 31, v8
	;; [unrolled: 9-line block ×4, first 2 shown]
	v_xor_b32_e32 v9, vcc_hi, v8
	v_xor_b32_e32 v8, vcc_lo, v8
	; wave barrier
	ds_read_b32 v68, v69 offset:32
	v_and_b32_e32 v8, v71, v8
	v_and_b32_e32 v9, v0, v9
	v_mbcnt_lo_u32_b32 v0, v8, 0
	v_mbcnt_hi_u32_b32 v70, v9, v0
	v_cmp_eq_u32_e32 vcc, 0, v70
	v_cmp_ne_u64_e64 s[0:1], 0, v[8:9]
	s_and_b64 s[4:5], s[0:1], vcc
	; wave barrier
	s_and_saveexec_b64 s[0:1], s[4:5]
	s_cbranch_execz .LBB1670_315
; %bb.314:
	v_bcnt_u32_b32 v0, v8, 0
	v_bcnt_u32_b32 v0, v9, v0
	s_waitcnt lgkmcnt(0)
	v_add_u32_e32 v0, v68, v0
	ds_write_b32 v69, v0 offset:32
.LBB1670_315:
	s_or_b64 exec, exec, s[0:1]
	s_waitcnt vmcnt(8)
	v_xor_b32_e32 v60, 0xffff8000, v60
	v_lshrrev_b32_sdwa v0, s8, v60 dst_sel:DWORD dst_unused:UNUSED_PAD src0_sel:DWORD src1_sel:WORD_0
	v_and_b32_e32 v73, s9, v0
	v_and_b32_e32 v0, 1, v73
	v_lshl_add_u64 v[8:9], v[0:1], 0, -1
	v_cmp_ne_u32_e32 vcc, 0, v0
	v_mad_u32_u24 v72, v73, 36, v24
	s_nop 0
	v_xor_b32_e32 v8, vcc_lo, v8
	v_xor_b32_e32 v0, vcc_hi, v9
	v_and_b32_e32 v74, exec_lo, v8
	v_lshlrev_b32_e32 v9, 30, v73
	v_mov_b32_e32 v8, v1
	v_cmp_gt_i64_e32 vcc, 0, v[8:9]
	v_not_b32_e32 v8, v9
	v_ashrrev_i32_e32 v8, 31, v8
	v_and_b32_e32 v0, exec_hi, v0
	v_xor_b32_e32 v9, vcc_hi, v8
	v_xor_b32_e32 v8, vcc_lo, v8
	v_and_b32_e32 v0, v0, v9
	v_and_b32_e32 v74, v74, v8
	v_lshlrev_b32_e32 v9, 29, v73
	v_mov_b32_e32 v8, v1
	v_cmp_gt_i64_e32 vcc, 0, v[8:9]
	v_not_b32_e32 v8, v9
	v_ashrrev_i32_e32 v8, 31, v8
	v_xor_b32_e32 v9, vcc_hi, v8
	v_xor_b32_e32 v8, vcc_lo, v8
	v_and_b32_e32 v0, v0, v9
	v_and_b32_e32 v74, v74, v8
	v_lshlrev_b32_e32 v9, 28, v73
	v_mov_b32_e32 v8, v1
	v_cmp_gt_i64_e32 vcc, 0, v[8:9]
	v_not_b32_e32 v8, v9
	v_ashrrev_i32_e32 v8, 31, v8
	;; [unrolled: 9-line block ×3, first 2 shown]
	v_xor_b32_e32 v9, vcc_hi, v8
	v_xor_b32_e32 v8, vcc_lo, v8
	v_and_b32_e32 v0, v0, v9
	v_lshlrev_b32_e32 v9, 26, v73
	v_and_b32_e32 v74, v74, v8
	v_mov_b32_e32 v8, v1
	v_not_b32_e32 v1, v9
	v_cmp_gt_i64_e32 vcc, 0, v[8:9]
	v_ashrrev_i32_e32 v1, 31, v1
	; wave barrier
	s_nop 0
	v_xor_b32_e32 v8, vcc_hi, v1
	v_xor_b32_e32 v9, vcc_lo, v1
	ds_read_b32 v71, v72 offset:32
	v_and_b32_e32 v1, v0, v8
	v_and_b32_e32 v0, v74, v9
	v_mbcnt_lo_u32_b32 v8, v0, 0
	v_mbcnt_hi_u32_b32 v73, v1, v8
	v_cmp_eq_u32_e32 vcc, 0, v73
	v_cmp_ne_u64_e64 s[0:1], 0, v[0:1]
	s_and_b64 s[4:5], s[0:1], vcc
	; wave barrier
	s_and_saveexec_b64 s[0:1], s[4:5]
	s_cbranch_execz .LBB1670_317
; %bb.316:
	v_bcnt_u32_b32 v0, v0, 0
	v_bcnt_u32_b32 v0, v1, v0
	s_waitcnt lgkmcnt(0)
	v_add_u32_e32 v0, v71, v0
	ds_write_b32 v72, v0 offset:32
.LBB1670_317:
	s_or_b64 exec, exec, s[0:1]
	s_waitcnt vmcnt(7)
	v_xor_b32_e32 v55, 0xffff8000, v55
	v_lshrrev_b32_sdwa v0, s8, v55 dst_sel:DWORD dst_unused:UNUSED_PAD src0_sel:DWORD src1_sel:WORD_0
	v_and_b32_e32 v76, s9, v0
	v_and_b32_e32 v0, 1, v76
	v_mov_b32_e32 v1, 0
	v_lshl_add_u64 v[8:9], v[0:1], 0, -1
	v_cmp_ne_u32_e32 vcc, 0, v0
	v_mad_u32_u24 v75, v76, 36, v24
	s_nop 0
	v_xor_b32_e32 v8, vcc_lo, v8
	v_xor_b32_e32 v0, vcc_hi, v9
	v_and_b32_e32 v77, exec_lo, v8
	v_lshlrev_b32_e32 v9, 30, v76
	v_mov_b32_e32 v8, v1
	v_cmp_gt_i64_e32 vcc, 0, v[8:9]
	v_not_b32_e32 v8, v9
	v_ashrrev_i32_e32 v8, 31, v8
	v_and_b32_e32 v0, exec_hi, v0
	v_xor_b32_e32 v9, vcc_hi, v8
	v_xor_b32_e32 v8, vcc_lo, v8
	v_and_b32_e32 v0, v0, v9
	v_and_b32_e32 v77, v77, v8
	v_lshlrev_b32_e32 v9, 29, v76
	v_mov_b32_e32 v8, v1
	v_cmp_gt_i64_e32 vcc, 0, v[8:9]
	v_not_b32_e32 v8, v9
	v_ashrrev_i32_e32 v8, 31, v8
	v_xor_b32_e32 v9, vcc_hi, v8
	v_xor_b32_e32 v8, vcc_lo, v8
	v_and_b32_e32 v0, v0, v9
	v_and_b32_e32 v77, v77, v8
	v_lshlrev_b32_e32 v9, 28, v76
	v_mov_b32_e32 v8, v1
	v_cmp_gt_i64_e32 vcc, 0, v[8:9]
	v_not_b32_e32 v8, v9
	v_ashrrev_i32_e32 v8, 31, v8
	;; [unrolled: 9-line block ×4, first 2 shown]
	v_xor_b32_e32 v9, vcc_hi, v8
	v_xor_b32_e32 v8, vcc_lo, v8
	; wave barrier
	ds_read_b32 v74, v75 offset:32
	v_and_b32_e32 v8, v77, v8
	v_and_b32_e32 v9, v0, v9
	v_mbcnt_lo_u32_b32 v0, v8, 0
	v_mbcnt_hi_u32_b32 v76, v9, v0
	v_cmp_eq_u32_e32 vcc, 0, v76
	v_cmp_ne_u64_e64 s[0:1], 0, v[8:9]
	s_and_b64 s[4:5], s[0:1], vcc
	; wave barrier
	s_and_saveexec_b64 s[0:1], s[4:5]
	s_cbranch_execz .LBB1670_319
; %bb.318:
	v_bcnt_u32_b32 v0, v8, 0
	v_bcnt_u32_b32 v0, v9, v0
	s_waitcnt lgkmcnt(0)
	v_add_u32_e32 v0, v74, v0
	ds_write_b32 v75, v0 offset:32
.LBB1670_319:
	s_or_b64 exec, exec, s[0:1]
	s_waitcnt vmcnt(6)
	v_xor_b32_e32 v50, 0xffff8000, v50
	v_lshrrev_b32_sdwa v0, s8, v50 dst_sel:DWORD dst_unused:UNUSED_PAD src0_sel:DWORD src1_sel:WORD_0
	v_and_b32_e32 v79, s9, v0
	v_and_b32_e32 v0, 1, v79
	v_lshl_add_u64 v[8:9], v[0:1], 0, -1
	v_cmp_ne_u32_e32 vcc, 0, v0
	v_mad_u32_u24 v78, v79, 36, v24
	s_nop 0
	v_xor_b32_e32 v8, vcc_lo, v8
	v_xor_b32_e32 v0, vcc_hi, v9
	v_and_b32_e32 v80, exec_lo, v8
	v_lshlrev_b32_e32 v9, 30, v79
	v_mov_b32_e32 v8, v1
	v_cmp_gt_i64_e32 vcc, 0, v[8:9]
	v_not_b32_e32 v8, v9
	v_ashrrev_i32_e32 v8, 31, v8
	v_and_b32_e32 v0, exec_hi, v0
	v_xor_b32_e32 v9, vcc_hi, v8
	v_xor_b32_e32 v8, vcc_lo, v8
	v_and_b32_e32 v0, v0, v9
	v_and_b32_e32 v80, v80, v8
	v_lshlrev_b32_e32 v9, 29, v79
	v_mov_b32_e32 v8, v1
	v_cmp_gt_i64_e32 vcc, 0, v[8:9]
	v_not_b32_e32 v8, v9
	v_ashrrev_i32_e32 v8, 31, v8
	v_xor_b32_e32 v9, vcc_hi, v8
	v_xor_b32_e32 v8, vcc_lo, v8
	v_and_b32_e32 v0, v0, v9
	v_and_b32_e32 v80, v80, v8
	v_lshlrev_b32_e32 v9, 28, v79
	v_mov_b32_e32 v8, v1
	v_cmp_gt_i64_e32 vcc, 0, v[8:9]
	v_not_b32_e32 v8, v9
	v_ashrrev_i32_e32 v8, 31, v8
	;; [unrolled: 9-line block ×3, first 2 shown]
	v_xor_b32_e32 v9, vcc_hi, v8
	v_xor_b32_e32 v8, vcc_lo, v8
	v_and_b32_e32 v0, v0, v9
	v_lshlrev_b32_e32 v9, 26, v79
	v_and_b32_e32 v80, v80, v8
	v_mov_b32_e32 v8, v1
	v_not_b32_e32 v1, v9
	v_cmp_gt_i64_e32 vcc, 0, v[8:9]
	v_ashrrev_i32_e32 v1, 31, v1
	; wave barrier
	s_nop 0
	v_xor_b32_e32 v8, vcc_hi, v1
	v_xor_b32_e32 v9, vcc_lo, v1
	ds_read_b32 v77, v78 offset:32
	v_and_b32_e32 v1, v0, v8
	v_and_b32_e32 v0, v80, v9
	v_mbcnt_lo_u32_b32 v8, v0, 0
	v_mbcnt_hi_u32_b32 v79, v1, v8
	v_cmp_eq_u32_e32 vcc, 0, v79
	v_cmp_ne_u64_e64 s[0:1], 0, v[0:1]
	s_and_b64 s[4:5], s[0:1], vcc
	; wave barrier
	s_and_saveexec_b64 s[0:1], s[4:5]
	s_cbranch_execz .LBB1670_321
; %bb.320:
	v_bcnt_u32_b32 v0, v0, 0
	v_bcnt_u32_b32 v0, v1, v0
	s_waitcnt lgkmcnt(0)
	v_add_u32_e32 v0, v77, v0
	ds_write_b32 v78, v0 offset:32
.LBB1670_321:
	s_or_b64 exec, exec, s[0:1]
	s_waitcnt vmcnt(5)
	v_xor_b32_e32 v45, 0xffff8000, v45
	v_lshrrev_b32_sdwa v0, s8, v45 dst_sel:DWORD dst_unused:UNUSED_PAD src0_sel:DWORD src1_sel:WORD_0
	v_and_b32_e32 v81, s9, v0
	v_and_b32_e32 v0, 1, v81
	v_mov_b32_e32 v1, 0
	v_lshl_add_u64 v[8:9], v[0:1], 0, -1
	v_cmp_ne_u32_e32 vcc, 0, v0
	v_mad_u32_u24 v82, v81, 36, v24
	s_nop 0
	v_xor_b32_e32 v8, vcc_lo, v8
	v_xor_b32_e32 v0, vcc_hi, v9
	v_and_b32_e32 v83, exec_lo, v8
	v_lshlrev_b32_e32 v9, 30, v81
	v_mov_b32_e32 v8, v1
	v_cmp_gt_i64_e32 vcc, 0, v[8:9]
	v_not_b32_e32 v8, v9
	v_ashrrev_i32_e32 v8, 31, v8
	v_and_b32_e32 v0, exec_hi, v0
	v_xor_b32_e32 v9, vcc_hi, v8
	v_xor_b32_e32 v8, vcc_lo, v8
	v_and_b32_e32 v0, v0, v9
	v_and_b32_e32 v83, v83, v8
	v_lshlrev_b32_e32 v9, 29, v81
	v_mov_b32_e32 v8, v1
	v_cmp_gt_i64_e32 vcc, 0, v[8:9]
	v_not_b32_e32 v8, v9
	v_ashrrev_i32_e32 v8, 31, v8
	v_xor_b32_e32 v9, vcc_hi, v8
	v_xor_b32_e32 v8, vcc_lo, v8
	v_and_b32_e32 v0, v0, v9
	v_and_b32_e32 v83, v83, v8
	v_lshlrev_b32_e32 v9, 28, v81
	v_mov_b32_e32 v8, v1
	v_cmp_gt_i64_e32 vcc, 0, v[8:9]
	v_not_b32_e32 v8, v9
	v_ashrrev_i32_e32 v8, 31, v8
	;; [unrolled: 9-line block ×4, first 2 shown]
	v_xor_b32_e32 v9, vcc_hi, v8
	v_xor_b32_e32 v8, vcc_lo, v8
	; wave barrier
	ds_read_b32 v80, v82 offset:32
	v_and_b32_e32 v8, v83, v8
	v_and_b32_e32 v9, v0, v9
	v_mbcnt_lo_u32_b32 v0, v8, 0
	v_mbcnt_hi_u32_b32 v83, v9, v0
	v_cmp_eq_u32_e32 vcc, 0, v83
	v_cmp_ne_u64_e64 s[0:1], 0, v[8:9]
	s_and_b64 s[4:5], s[0:1], vcc
	; wave barrier
	s_and_saveexec_b64 s[0:1], s[4:5]
	s_cbranch_execz .LBB1670_323
; %bb.322:
	v_bcnt_u32_b32 v0, v8, 0
	v_bcnt_u32_b32 v0, v9, v0
	s_waitcnt lgkmcnt(0)
	v_add_u32_e32 v0, v80, v0
	ds_write_b32 v82, v0 offset:32
.LBB1670_323:
	s_or_b64 exec, exec, s[0:1]
	s_waitcnt vmcnt(4)
	v_xor_b32_e32 v81, 0xffff8000, v40
	v_lshrrev_b32_sdwa v0, s8, v81 dst_sel:DWORD dst_unused:UNUSED_PAD src0_sel:DWORD src1_sel:WORD_0
	v_and_b32_e32 v85, s9, v0
	v_and_b32_e32 v0, 1, v85
	v_lshl_add_u64 v[8:9], v[0:1], 0, -1
	v_cmp_ne_u32_e32 vcc, 0, v0
	v_mad_u32_u24 v40, v85, 36, v24
	s_nop 0
	v_xor_b32_e32 v8, vcc_lo, v8
	v_xor_b32_e32 v0, vcc_hi, v9
	v_and_b32_e32 v86, exec_lo, v8
	v_lshlrev_b32_e32 v9, 30, v85
	v_mov_b32_e32 v8, v1
	v_cmp_gt_i64_e32 vcc, 0, v[8:9]
	v_not_b32_e32 v8, v9
	v_ashrrev_i32_e32 v8, 31, v8
	v_and_b32_e32 v0, exec_hi, v0
	v_xor_b32_e32 v9, vcc_hi, v8
	v_xor_b32_e32 v8, vcc_lo, v8
	v_and_b32_e32 v0, v0, v9
	v_and_b32_e32 v86, v86, v8
	v_lshlrev_b32_e32 v9, 29, v85
	v_mov_b32_e32 v8, v1
	v_cmp_gt_i64_e32 vcc, 0, v[8:9]
	v_not_b32_e32 v8, v9
	v_ashrrev_i32_e32 v8, 31, v8
	v_xor_b32_e32 v9, vcc_hi, v8
	v_xor_b32_e32 v8, vcc_lo, v8
	v_and_b32_e32 v0, v0, v9
	v_and_b32_e32 v86, v86, v8
	v_lshlrev_b32_e32 v9, 28, v85
	v_mov_b32_e32 v8, v1
	v_cmp_gt_i64_e32 vcc, 0, v[8:9]
	v_not_b32_e32 v8, v9
	v_ashrrev_i32_e32 v8, 31, v8
	;; [unrolled: 9-line block ×3, first 2 shown]
	v_xor_b32_e32 v9, vcc_hi, v8
	v_xor_b32_e32 v8, vcc_lo, v8
	v_and_b32_e32 v0, v0, v9
	v_lshlrev_b32_e32 v9, 26, v85
	v_and_b32_e32 v86, v86, v8
	v_mov_b32_e32 v8, v1
	v_not_b32_e32 v1, v9
	v_cmp_gt_i64_e32 vcc, 0, v[8:9]
	v_ashrrev_i32_e32 v1, 31, v1
	; wave barrier
	s_nop 0
	v_xor_b32_e32 v8, vcc_hi, v1
	v_xor_b32_e32 v9, vcc_lo, v1
	ds_read_b32 v84, v40 offset:32
	v_and_b32_e32 v1, v0, v8
	v_and_b32_e32 v0, v86, v9
	v_mbcnt_lo_u32_b32 v8, v0, 0
	v_mbcnt_hi_u32_b32 v86, v1, v8
	v_cmp_eq_u32_e32 vcc, 0, v86
	v_cmp_ne_u64_e64 s[0:1], 0, v[0:1]
	s_and_b64 s[4:5], s[0:1], vcc
	; wave barrier
	s_and_saveexec_b64 s[0:1], s[4:5]
	s_cbranch_execz .LBB1670_325
; %bb.324:
	v_bcnt_u32_b32 v0, v0, 0
	v_bcnt_u32_b32 v0, v1, v0
	s_waitcnt lgkmcnt(0)
	v_add_u32_e32 v0, v84, v0
	ds_write_b32 v40, v0 offset:32
.LBB1670_325:
	s_or_b64 exec, exec, s[0:1]
	s_waitcnt vmcnt(3)
	v_xor_b32_e32 v85, 0xffff8000, v35
	v_lshrrev_b32_sdwa v0, s8, v85 dst_sel:DWORD dst_unused:UNUSED_PAD src0_sel:DWORD src1_sel:WORD_0
	v_and_b32_e32 v88, s9, v0
	v_and_b32_e32 v0, 1, v88
	v_mov_b32_e32 v1, 0
	v_lshl_add_u64 v[8:9], v[0:1], 0, -1
	v_cmp_ne_u32_e32 vcc, 0, v0
	v_mad_u32_u24 v35, v88, 36, v24
	s_nop 0
	v_xor_b32_e32 v8, vcc_lo, v8
	v_xor_b32_e32 v0, vcc_hi, v9
	v_and_b32_e32 v89, exec_lo, v8
	v_lshlrev_b32_e32 v9, 30, v88
	v_mov_b32_e32 v8, v1
	v_cmp_gt_i64_e32 vcc, 0, v[8:9]
	v_not_b32_e32 v8, v9
	v_ashrrev_i32_e32 v8, 31, v8
	v_and_b32_e32 v0, exec_hi, v0
	v_xor_b32_e32 v9, vcc_hi, v8
	v_xor_b32_e32 v8, vcc_lo, v8
	v_and_b32_e32 v0, v0, v9
	v_and_b32_e32 v89, v89, v8
	v_lshlrev_b32_e32 v9, 29, v88
	v_mov_b32_e32 v8, v1
	v_cmp_gt_i64_e32 vcc, 0, v[8:9]
	v_not_b32_e32 v8, v9
	v_ashrrev_i32_e32 v8, 31, v8
	v_xor_b32_e32 v9, vcc_hi, v8
	v_xor_b32_e32 v8, vcc_lo, v8
	v_and_b32_e32 v0, v0, v9
	v_and_b32_e32 v89, v89, v8
	v_lshlrev_b32_e32 v9, 28, v88
	v_mov_b32_e32 v8, v1
	v_cmp_gt_i64_e32 vcc, 0, v[8:9]
	v_not_b32_e32 v8, v9
	v_ashrrev_i32_e32 v8, 31, v8
	;; [unrolled: 9-line block ×4, first 2 shown]
	v_xor_b32_e32 v9, vcc_hi, v8
	v_xor_b32_e32 v8, vcc_lo, v8
	; wave barrier
	ds_read_b32 v87, v35 offset:32
	v_and_b32_e32 v8, v89, v8
	v_and_b32_e32 v9, v0, v9
	v_mbcnt_lo_u32_b32 v0, v8, 0
	v_mbcnt_hi_u32_b32 v89, v9, v0
	v_cmp_eq_u32_e32 vcc, 0, v89
	v_cmp_ne_u64_e64 s[0:1], 0, v[8:9]
	s_and_b64 s[4:5], s[0:1], vcc
	; wave barrier
	s_and_saveexec_b64 s[0:1], s[4:5]
	s_cbranch_execz .LBB1670_327
; %bb.326:
	v_bcnt_u32_b32 v0, v8, 0
	v_bcnt_u32_b32 v0, v9, v0
	s_waitcnt lgkmcnt(0)
	v_add_u32_e32 v0, v87, v0
	ds_write_b32 v35, v0 offset:32
.LBB1670_327:
	s_or_b64 exec, exec, s[0:1]
	s_waitcnt vmcnt(2)
	v_xor_b32_e32 v88, 0xffff8000, v30
	v_lshrrev_b32_sdwa v0, s8, v88 dst_sel:DWORD dst_unused:UNUSED_PAD src0_sel:DWORD src1_sel:WORD_0
	v_and_b32_e32 v90, s9, v0
	v_and_b32_e32 v0, 1, v90
	v_lshl_add_u64 v[8:9], v[0:1], 0, -1
	v_cmp_ne_u32_e32 vcc, 0, v0
	v_mad_u32_u24 v91, v90, 36, v24
	s_nop 0
	v_xor_b32_e32 v8, vcc_lo, v8
	v_xor_b32_e32 v0, vcc_hi, v9
	v_and_b32_e32 v92, exec_lo, v8
	v_lshlrev_b32_e32 v9, 30, v90
	v_mov_b32_e32 v8, v1
	v_cmp_gt_i64_e32 vcc, 0, v[8:9]
	v_not_b32_e32 v8, v9
	v_ashrrev_i32_e32 v8, 31, v8
	v_and_b32_e32 v0, exec_hi, v0
	v_xor_b32_e32 v9, vcc_hi, v8
	v_xor_b32_e32 v8, vcc_lo, v8
	v_and_b32_e32 v0, v0, v9
	v_and_b32_e32 v92, v92, v8
	v_lshlrev_b32_e32 v9, 29, v90
	v_mov_b32_e32 v8, v1
	v_cmp_gt_i64_e32 vcc, 0, v[8:9]
	v_not_b32_e32 v8, v9
	v_ashrrev_i32_e32 v8, 31, v8
	v_xor_b32_e32 v9, vcc_hi, v8
	v_xor_b32_e32 v8, vcc_lo, v8
	v_and_b32_e32 v0, v0, v9
	v_and_b32_e32 v92, v92, v8
	v_lshlrev_b32_e32 v9, 28, v90
	v_mov_b32_e32 v8, v1
	v_cmp_gt_i64_e32 vcc, 0, v[8:9]
	v_not_b32_e32 v8, v9
	v_ashrrev_i32_e32 v8, 31, v8
	;; [unrolled: 9-line block ×3, first 2 shown]
	v_xor_b32_e32 v9, vcc_hi, v8
	v_xor_b32_e32 v8, vcc_lo, v8
	v_and_b32_e32 v0, v0, v9
	v_lshlrev_b32_e32 v9, 26, v90
	v_and_b32_e32 v92, v92, v8
	v_mov_b32_e32 v8, v1
	v_not_b32_e32 v1, v9
	v_cmp_gt_i64_e32 vcc, 0, v[8:9]
	v_ashrrev_i32_e32 v1, 31, v1
	; wave barrier
	s_nop 0
	v_xor_b32_e32 v8, vcc_hi, v1
	v_xor_b32_e32 v9, vcc_lo, v1
	ds_read_b32 v30, v91 offset:32
	v_and_b32_e32 v1, v0, v8
	v_and_b32_e32 v0, v92, v9
	v_mbcnt_lo_u32_b32 v8, v0, 0
	v_mbcnt_hi_u32_b32 v92, v1, v8
	v_cmp_eq_u32_e32 vcc, 0, v92
	v_cmp_ne_u64_e64 s[0:1], 0, v[0:1]
	s_and_b64 s[4:5], s[0:1], vcc
	; wave barrier
	s_and_saveexec_b64 s[0:1], s[4:5]
	s_cbranch_execz .LBB1670_329
; %bb.328:
	v_bcnt_u32_b32 v0, v0, 0
	v_bcnt_u32_b32 v0, v1, v0
	s_waitcnt lgkmcnt(0)
	v_add_u32_e32 v0, v30, v0
	ds_write_b32 v91, v0 offset:32
.LBB1670_329:
	s_or_b64 exec, exec, s[0:1]
	s_waitcnt vmcnt(1)
	v_xor_b32_e32 v90, 0xffff8000, v25
	v_lshrrev_b32_sdwa v0, s8, v90 dst_sel:DWORD dst_unused:UNUSED_PAD src0_sel:DWORD src1_sel:WORD_0
	v_and_b32_e32 v94, s9, v0
	v_and_b32_e32 v0, 1, v94
	v_mov_b32_e32 v1, 0
	v_lshl_add_u64 v[8:9], v[0:1], 0, -1
	v_cmp_ne_u32_e32 vcc, 0, v0
	v_mad_u32_u24 v25, v94, 36, v24
	s_nop 0
	v_xor_b32_e32 v8, vcc_lo, v8
	v_xor_b32_e32 v0, vcc_hi, v9
	v_and_b32_e32 v95, exec_lo, v8
	v_lshlrev_b32_e32 v9, 30, v94
	v_mov_b32_e32 v8, v1
	v_cmp_gt_i64_e32 vcc, 0, v[8:9]
	v_not_b32_e32 v8, v9
	v_ashrrev_i32_e32 v8, 31, v8
	v_and_b32_e32 v0, exec_hi, v0
	v_xor_b32_e32 v9, vcc_hi, v8
	v_xor_b32_e32 v8, vcc_lo, v8
	v_and_b32_e32 v0, v0, v9
	v_and_b32_e32 v95, v95, v8
	v_lshlrev_b32_e32 v9, 29, v94
	v_mov_b32_e32 v8, v1
	v_cmp_gt_i64_e32 vcc, 0, v[8:9]
	v_not_b32_e32 v8, v9
	v_ashrrev_i32_e32 v8, 31, v8
	v_xor_b32_e32 v9, vcc_hi, v8
	v_xor_b32_e32 v8, vcc_lo, v8
	v_and_b32_e32 v0, v0, v9
	v_and_b32_e32 v95, v95, v8
	v_lshlrev_b32_e32 v9, 28, v94
	v_mov_b32_e32 v8, v1
	v_cmp_gt_i64_e32 vcc, 0, v[8:9]
	v_not_b32_e32 v8, v9
	v_ashrrev_i32_e32 v8, 31, v8
	v_xor_b32_e32 v9, vcc_hi, v8
	v_xor_b32_e32 v8, vcc_lo, v8
	v_and_b32_e32 v0, v0, v9
	v_and_b32_e32 v95, v95, v8
	v_lshlrev_b32_e32 v9, 27, v94
	v_mov_b32_e32 v8, v1
	v_cmp_gt_i64_e32 vcc, 0, v[8:9]
	v_not_b32_e32 v8, v9
	v_ashrrev_i32_e32 v8, 31, v8
	v_xor_b32_e32 v9, vcc_hi, v8
	v_xor_b32_e32 v8, vcc_lo, v8
	v_and_b32_e32 v0, v0, v9
	v_and_b32_e32 v95, v95, v8
	v_lshlrev_b32_e32 v9, 26, v94
	v_mov_b32_e32 v8, v1
	v_cmp_gt_i64_e32 vcc, 0, v[8:9]
	v_not_b32_e32 v8, v9
	v_ashrrev_i32_e32 v8, 31, v8
	v_xor_b32_e32 v9, vcc_hi, v8
	v_xor_b32_e32 v8, vcc_lo, v8
	; wave barrier
	ds_read_b32 v93, v25 offset:32
	v_and_b32_e32 v8, v95, v8
	v_and_b32_e32 v9, v0, v9
	v_mbcnt_lo_u32_b32 v0, v8, 0
	v_mbcnt_hi_u32_b32 v94, v9, v0
	v_cmp_eq_u32_e32 vcc, 0, v94
	v_cmp_ne_u64_e64 s[0:1], 0, v[8:9]
	s_and_b64 s[4:5], s[0:1], vcc
	; wave barrier
	s_and_saveexec_b64 s[0:1], s[4:5]
	s_cbranch_execz .LBB1670_331
; %bb.330:
	v_bcnt_u32_b32 v0, v8, 0
	v_bcnt_u32_b32 v0, v9, v0
	s_waitcnt lgkmcnt(0)
	v_add_u32_e32 v0, v93, v0
	ds_write_b32 v25, v0 offset:32
.LBB1670_331:
	s_or_b64 exec, exec, s[0:1]
	s_waitcnt vmcnt(0)
	v_xor_b32_e32 v8, 0xffff8000, v19
	v_lshrrev_b32_sdwa v0, s8, v8 dst_sel:DWORD dst_unused:UNUSED_PAD src0_sel:DWORD src1_sel:WORD_0
	v_and_b32_e32 v19, s9, v0
	v_and_b32_e32 v0, 1, v19
	v_lshl_add_u64 v[96:97], v[0:1], 0, -1
	v_cmp_ne_u32_e32 vcc, 0, v0
	v_mad_u32_u24 v24, v19, 36, v24
	s_nop 0
	v_xor_b32_e32 v0, vcc_hi, v97
	v_xor_b32_e32 v95, vcc_lo, v96
	v_lshlrev_b32_e32 v97, 30, v19
	v_mov_b32_e32 v96, v1
	v_cmp_gt_i64_e32 vcc, 0, v[96:97]
	v_not_b32_e32 v96, v97
	v_ashrrev_i32_e32 v96, 31, v96
	v_and_b32_e32 v0, exec_hi, v0
	v_and_b32_e32 v95, exec_lo, v95
	v_xor_b32_e32 v97, vcc_hi, v96
	v_xor_b32_e32 v96, vcc_lo, v96
	v_and_b32_e32 v0, v0, v97
	v_and_b32_e32 v95, v95, v96
	v_lshlrev_b32_e32 v97, 29, v19
	v_mov_b32_e32 v96, v1
	v_cmp_gt_i64_e32 vcc, 0, v[96:97]
	v_not_b32_e32 v96, v97
	v_ashrrev_i32_e32 v96, 31, v96
	v_xor_b32_e32 v97, vcc_hi, v96
	v_xor_b32_e32 v96, vcc_lo, v96
	v_and_b32_e32 v0, v0, v97
	v_and_b32_e32 v95, v95, v96
	v_lshlrev_b32_e32 v97, 28, v19
	v_mov_b32_e32 v96, v1
	v_cmp_gt_i64_e32 vcc, 0, v[96:97]
	v_not_b32_e32 v96, v97
	v_ashrrev_i32_e32 v96, 31, v96
	;; [unrolled: 9-line block ×3, first 2 shown]
	v_xor_b32_e32 v97, vcc_hi, v96
	v_xor_b32_e32 v96, vcc_lo, v96
	v_and_b32_e32 v0, v0, v97
	v_lshlrev_b32_e32 v97, 26, v19
	v_and_b32_e32 v95, v95, v96
	v_mov_b32_e32 v96, v1
	v_not_b32_e32 v1, v97
	v_cmp_gt_i64_e32 vcc, 0, v[96:97]
	v_ashrrev_i32_e32 v1, 31, v1
	; wave barrier
	s_nop 0
	v_xor_b32_e32 v19, vcc_hi, v1
	v_xor_b32_e32 v96, vcc_lo, v1
	ds_read_b32 v9, v24 offset:32
	v_and_b32_e32 v1, v0, v19
	v_and_b32_e32 v0, v95, v96
	v_mbcnt_lo_u32_b32 v19, v0, 0
	v_mbcnt_hi_u32_b32 v95, v1, v19
	v_cmp_eq_u32_e32 vcc, 0, v95
	v_cmp_ne_u64_e64 s[0:1], 0, v[0:1]
	s_and_b64 s[4:5], s[0:1], vcc
	; wave barrier
	s_and_saveexec_b64 s[0:1], s[4:5]
	s_cbranch_execz .LBB1670_333
; %bb.332:
	v_bcnt_u32_b32 v0, v0, 0
	v_bcnt_u32_b32 v0, v1, v0
	s_waitcnt lgkmcnt(0)
	v_add_u32_e32 v0, v9, v0
	ds_write_b32 v24, v0 offset:32
.LBB1670_333:
	s_or_b64 exec, exec, s[0:1]
	; wave barrier
	s_waitcnt lgkmcnt(0)
	s_barrier
	ds_read_b64 v[0:1], v7 offset:32
	v_and_b32_e32 v19, 15, v3
	v_cmp_ne_u32_e32 vcc, 0, v19
	v_min_u32_e32 v10, 0x1c0, v10
	v_or_b32_e32 v10, 63, v10
	s_waitcnt lgkmcnt(0)
	v_add_u32_e32 v1, v1, v0
	s_nop 1
	v_mov_b32_dpp v96, v1 row_shr:1 row_mask:0xf bank_mask:0xf
	v_cndmask_b32_e32 v96, 0, v96, vcc
	v_add_u32_e32 v1, v96, v1
	v_cmp_lt_u32_e32 vcc, 1, v19
	s_nop 0
	v_mov_b32_dpp v96, v1 row_shr:2 row_mask:0xf bank_mask:0xf
	v_cndmask_b32_e32 v96, 0, v96, vcc
	v_add_u32_e32 v1, v1, v96
	v_cmp_lt_u32_e32 vcc, 3, v19
	;; [unrolled: 5-line block ×3, first 2 shown]
	s_nop 0
	v_mov_b32_dpp v96, v1 row_shr:8 row_mask:0xf bank_mask:0xf
	v_cndmask_b32_e32 v19, 0, v96, vcc
	v_add_u32_e32 v1, v1, v19
	v_bfe_i32 v96, v3, 4, 1
	v_cmp_lt_u32_e32 vcc, 31, v3
	v_mov_b32_dpp v19, v1 row_bcast:15 row_mask:0xf bank_mask:0xf
	v_and_b32_e32 v19, v96, v19
	v_add_u32_e32 v1, v1, v19
	v_lshrrev_b32_e32 v96, 6, v2
	s_nop 0
	v_mov_b32_dpp v19, v1 row_bcast:31 row_mask:0xf bank_mask:0xf
	v_cndmask_b32_e32 v19, 0, v19, vcc
	v_add_u32_e32 v1, v1, v19
	v_cmp_eq_u32_e32 vcc, v2, v10
	s_and_saveexec_b64 s[0:1], vcc
; %bb.334:
	v_lshlrev_b32_e32 v10, 2, v96
	ds_write_b32 v10, v1
; %bb.335:
	s_or_b64 exec, exec, s[0:1]
	v_cmp_gt_u32_e32 vcc, 8, v2
	v_lshlrev_b32_e32 v19, 2, v2
	s_waitcnt lgkmcnt(0)
	s_barrier
	s_and_saveexec_b64 s[0:1], vcc
	s_cbranch_execz .LBB1670_337
; %bb.336:
	ds_read_b32 v10, v19
	v_and_b32_e32 v97, 7, v3
	v_cmp_ne_u32_e32 vcc, 0, v97
	s_waitcnt lgkmcnt(0)
	v_mov_b32_dpp v98, v10 row_shr:1 row_mask:0xf bank_mask:0xf
	v_cndmask_b32_e32 v98, 0, v98, vcc
	v_add_u32_e32 v10, v98, v10
	v_cmp_lt_u32_e32 vcc, 1, v97
	s_nop 0
	v_mov_b32_dpp v98, v10 row_shr:2 row_mask:0xf bank_mask:0xf
	v_cndmask_b32_e32 v98, 0, v98, vcc
	v_add_u32_e32 v10, v10, v98
	v_cmp_lt_u32_e32 vcc, 3, v97
	s_nop 0
	v_mov_b32_dpp v98, v10 row_shr:4 row_mask:0xf bank_mask:0xf
	v_cndmask_b32_e32 v97, 0, v98, vcc
	v_add_u32_e32 v10, v10, v97
	ds_write_b32 v19, v10
.LBB1670_337:
	s_or_b64 exec, exec, s[0:1]
	v_cmp_gt_u32_e64 s[0:1], 64, v2
	v_cmp_lt_u32_e32 vcc, 63, v2
	v_mov_b32_e32 v10, 0
	s_waitcnt lgkmcnt(0)
	s_barrier
	s_and_saveexec_b64 s[4:5], vcc
; %bb.338:
	v_lshl_add_u32 v10, v96, 2, -4
	ds_read_b32 v10, v10
; %bb.339:
	s_or_b64 exec, exec, s[4:5]
	v_subrev_co_u32_e64 v96, s[4:5], 1, v3
	v_and_b32_e32 v97, 64, v3
	v_cmp_lt_i32_e64 s[6:7], v96, v97
	s_waitcnt lgkmcnt(0)
	v_add_u32_e32 v1, v10, v1
	v_cndmask_b32_e64 v3, v96, v3, s[6:7]
	v_lshlrev_b32_e32 v3, 2, v3
	ds_bpermute_b32 v1, v3, v1
                                        ; implicit-def: $vgpr3
	s_waitcnt lgkmcnt(0)
	v_cndmask_b32_e64 v1, v1, v10, s[4:5]
	v_cmp_ne_u32_e64 s[4:5], 0, v2
	s_nop 1
	v_cndmask_b32_e64 v96, 0, v1, s[4:5]
	v_add_u32_e32 v97, v96, v0
	ds_write_b64 v7, v[96:97] offset:32
	s_waitcnt lgkmcnt(0)
	s_barrier
	ds_read_b32 v0, v14 offset:32
	ds_read_b32 v1, v16 offset:32
	;; [unrolled: 1-line block ×22, first 2 shown]
                                        ; implicit-def: $vgpr14
	s_and_saveexec_b64 s[6:7], s[0:1]
	s_cbranch_execz .LBB1670_343
; %bb.340:
	v_mul_u32_u24_e32 v3, 36, v2
	ds_read_b32 v3, v3 offset:32
	v_add_u32_e32 v25, 1, v2
	v_cmp_ne_u32_e64 s[4:5], 64, v25
	v_mov_b32_e32 v14, 0x2c00
	s_and_saveexec_b64 s[14:15], s[4:5]
; %bb.341:
	v_mul_u32_u24_e32 v14, 36, v25
	ds_read_b32 v14, v14 offset:32
; %bb.342:
	s_or_b64 exec, exec, s[14:15]
	s_waitcnt lgkmcnt(0)
	v_sub_u32_e32 v14, v14, v3
.LBB1670_343:
	s_or_b64 exec, exec, s[6:7]
	s_waitcnt lgkmcnt(14)
	v_add_u32_e32 v69, v0, v12
	v_add3_u32 v66, v17, v13, v1
	v_add3_u32 v62, v22, v18, v7
	v_add3_u32 v57, v28, v23, v10
	v_add3_u32 v52, v33, v29, v16
	v_add3_u32 v47, v38, v34, v21
	v_add3_u32 v42, v43, v39, v27
	v_add3_u32 v40, v48, v44, v32
	s_waitcnt lgkmcnt(13)
	v_add3_u32 v37, v53, v49, v37
	s_waitcnt lgkmcnt(12)
	v_add3_u32 v35, v58, v54, v96
	;; [unrolled: 2-line block ×14, first 2 shown]
	v_lshlrev_b32_e32 v63, 1, v69
	v_lshlrev_b32_e32 v59, 1, v66
	;; [unrolled: 1-line block ×8, first 2 shown]
	s_barrier
	ds_write_b16 v63, v5 offset:256
	ds_write_b16 v59, v11 offset:256
	;; [unrolled: 1-line block ×8, first 2 shown]
	v_lshlrev_b32_e32 v43, 1, v37
	v_lshlrev_b32_e32 v41, 1, v35
	;; [unrolled: 1-line block ×14, first 2 shown]
	v_mov_b32_e32 v1, 0
	ds_write_b16 v43, v46 offset:256
	ds_write_b16 v41, v51 offset:256
	;; [unrolled: 1-line block ×14, first 2 shown]
	s_and_saveexec_b64 s[4:5], s[0:1]
	s_cbranch_execz .LBB1670_353
; %bb.344:
	v_lshl_add_u32 v0, s2, 6, v2
	v_lshl_add_u64 v[8:9], v[0:1], 2, s[12:13]
	v_or_b32_e32 v0, 2.0, v14
	s_mov_b64 s[6:7], 0
	s_brev_b32 s18, -4
	s_mov_b32 s19, s2
	v_mov_b32_e32 v5, 0
	global_store_dword v[8:9], v0, off sc1
                                        ; implicit-def: $sgpr0_sgpr1
	s_branch .LBB1670_347
.LBB1670_345:                           ;   in Loop: Header=BB1670_347 Depth=1
	s_or_b64 exec, exec, s[16:17]
.LBB1670_346:                           ;   in Loop: Header=BB1670_347 Depth=1
	s_or_b64 exec, exec, s[14:15]
	v_and_b32_e32 v7, 0x3fffffff, v0
	v_add_u32_e32 v5, v7, v5
	v_cmp_gt_i32_e64 s[0:1], -2.0, v0
	s_and_b64 s[14:15], exec, s[0:1]
	s_or_b64 s[6:7], s[14:15], s[6:7]
	s_andn2_b64 exec, exec, s[6:7]
	s_cbranch_execz .LBB1670_352
.LBB1670_347:                           ; =>This Loop Header: Depth=1
                                        ;     Child Loop BB1670_350 Depth 2
	s_or_b64 s[0:1], s[0:1], exec
	s_cmp_eq_u32 s19, 0
	s_cbranch_scc1 .LBB1670_351
; %bb.348:                              ;   in Loop: Header=BB1670_347 Depth=1
	s_add_i32 s19, s19, -1
	v_lshl_or_b32 v0, s19, 6, v2
	v_lshl_add_u64 v[10:11], v[0:1], 2, s[12:13]
	global_load_dword v0, v[10:11], off sc1
	s_waitcnt vmcnt(0)
	v_cmp_gt_u32_e64 s[0:1], 2.0, v0
	s_and_saveexec_b64 s[14:15], s[0:1]
	s_cbranch_execz .LBB1670_346
; %bb.349:                              ;   in Loop: Header=BB1670_347 Depth=1
	s_mov_b64 s[16:17], 0
.LBB1670_350:                           ;   Parent Loop BB1670_347 Depth=1
                                        ; =>  This Inner Loop Header: Depth=2
	global_load_dword v0, v[10:11], off sc1
	s_waitcnt vmcnt(0)
	v_cmp_lt_u32_e64 s[0:1], s18, v0
	s_or_b64 s[16:17], s[0:1], s[16:17]
	s_andn2_b64 exec, exec, s[16:17]
	s_cbranch_execnz .LBB1670_350
	s_branch .LBB1670_345
.LBB1670_351:                           ;   in Loop: Header=BB1670_347 Depth=1
                                        ; implicit-def: $sgpr19
	s_and_b64 s[14:15], exec, s[0:1]
	s_or_b64 s[6:7], s[14:15], s[6:7]
	s_andn2_b64 exec, exec, s[6:7]
	s_cbranch_execnz .LBB1670_347
.LBB1670_352:
	s_or_b64 exec, exec, s[6:7]
	v_add_u32_e32 v0, v5, v14
	v_or_b32_e32 v0, 0x80000000, v0
	v_readlane_b32 s12, v118, 0
	global_store_dword v[8:9], v0, off sc1
	v_readlane_b32 s13, v118, 1
	v_sub_u32_e32 v1, v5, v3
	v_readlane_b32 s14, v118, 2
	v_readlane_b32 s15, v118, 3
	s_nop 1
	global_load_dword v0, v19, s[12:13]
	s_waitcnt vmcnt(0)
	v_add_u32_e32 v0, v1, v0
	ds_write_b32 v19, v0
.LBB1670_353:
	s_or_b64 exec, exec, s[4:5]
	v_lshlrev_b32_e32 v0, 1, v2
	v_sub_u32_e32 v5, v19, v0
	s_waitcnt lgkmcnt(0)
	s_barrier
	ds_read_u16 v7, v5 offset:10496
	ds_read_u16 v82, v5 offset:11520
	;; [unrolled: 1-line block ×12, first 2 shown]
	s_waitcnt lgkmcnt(8)
	v_lshrrev_b32_sdwa v1, s8, v84 dst_sel:DWORD dst_unused:UNUSED_PAD src0_sel:DWORD src1_sel:WORD_0
	s_waitcnt lgkmcnt(5)
	v_lshrrev_b32_sdwa v8, s8, v87 dst_sel:DWORD dst_unused:UNUSED_PAD src0_sel:DWORD src1_sel:WORD_0
	v_and_b32_e32 v1, s9, v1
	s_waitcnt lgkmcnt(3)
	v_lshrrev_b32_sdwa v9, s8, v99 dst_sel:DWORD dst_unused:UNUSED_PAD src0_sel:DWORD src1_sel:WORD_0
	v_and_b32_e32 v9, s9, v9
	v_lshlrev_b32_e32 v45, 2, v9
	s_waitcnt lgkmcnt(2)
	v_lshrrev_b32_sdwa v9, s8, v100 dst_sel:DWORD dst_unused:UNUSED_PAD src0_sel:DWORD src1_sel:WORD_0
	v_and_b32_e32 v9, s9, v9
	v_lshlrev_b32_e32 v11, 2, v9
	;; [unrolled: 4-line block ×3, first 2 shown]
	s_waitcnt lgkmcnt(0)
	v_lshrrev_b32_sdwa v9, s8, v102 dst_sel:DWORD dst_unused:UNUSED_PAD src0_sel:DWORD src1_sel:WORD_0
	v_and_b32_e32 v8, s9, v8
	v_and_b32_e32 v9, s9, v9
	v_lshlrev_b32_e32 v1, 2, v1
	v_lshlrev_b32_e32 v8, 2, v8
	;; [unrolled: 1-line block ×3, first 2 shown]
	ds_read_u16 v46, v5 offset:256
	ds_read_u16 v56, v5 offset:1280
	ds_read_b32 v103, v1
	ds_read_b32 v104, v8
	;; [unrolled: 1-line block ×6, first 2 shown]
	s_waitcnt lgkmcnt(7)
	v_lshrrev_b32_sdwa v50, s8, v46 dst_sel:DWORD dst_unused:UNUSED_PAD src0_sel:DWORD src1_sel:WORD_0
	v_and_b32_e32 v50, s9, v50
	v_lshlrev_b32_e32 v95, 2, v50
	s_waitcnt lgkmcnt(6)
	v_lshrrev_b32_sdwa v50, s8, v56 dst_sel:DWORD dst_unused:UNUSED_PAD src0_sel:DWORD src1_sel:WORD_0
	v_and_b32_e32 v50, s9, v50
	v_lshlrev_b32_e32 v92, 2, v50
	ds_read_u16 v61, v5 offset:2304
	ds_read_u16 v64, v5 offset:3328
	;; [unrolled: 1-line block ×8, first 2 shown]
	s_waitcnt lgkmcnt(7)
	v_lshrrev_b32_sdwa v50, s8, v61 dst_sel:DWORD dst_unused:UNUSED_PAD src0_sel:DWORD src1_sel:WORD_0
	v_and_b32_e32 v50, s9, v50
	v_lshlrev_b32_e32 v94, 2, v50
	s_waitcnt lgkmcnt(6)
	v_lshrrev_b32_sdwa v50, s8, v64 dst_sel:DWORD dst_unused:UNUSED_PAD src0_sel:DWORD src1_sel:WORD_0
	v_and_b32_e32 v50, s9, v50
	v_lshlrev_b32_e32 v93, 2, v50
	;; [unrolled: 4-line block ×6, first 2 shown]
	ds_read_b32 v50, v95
	ds_read_b32 v60, v92
	;; [unrolled: 1-line block ×8, first 2 shown]
	s_waitcnt lgkmcnt(7)
	v_add_u32_e32 v96, v50, v2
	v_mov_b32_e32 v97, 0
	v_add_u32_e32 v55, 0x200, v2
	v_xor_b32_e32 v46, 0xffff8000, v46
	v_lshl_add_u64 v[50:51], v[96:97], 1, s[94:95]
	s_waitcnt lgkmcnt(6)
	v_add_u32_e32 v96, v60, v55
	v_or_b32_e32 v60, 0x400, v2
	global_store_short v[50:51], v46, off
	v_xor_b32_e32 v46, 0xffff8000, v56
	v_lshl_add_u64 v[50:51], v[96:97], 1, s[94:95]
	s_waitcnt lgkmcnt(5)
	v_add_u32_e32 v96, v71, v60
	global_store_short v[50:51], v46, off
	v_xor_b32_e32 v46, 0xffff8000, v61
	v_lshl_add_u64 v[50:51], v[96:97], 1, s[94:95]
	global_store_short v[50:51], v46, off
	v_add_u32_e32 v46, 0x600, v2
	s_waitcnt lgkmcnt(4)
	v_add_u32_e32 v96, v73, v46
	v_xor_b32_e32 v56, 0xffff8000, v64
	v_lshl_add_u64 v[50:51], v[96:97], 1, s[94:95]
	global_store_short v[50:51], v56, off
	v_or_b32_e32 v50, 0x800, v2
	s_waitcnt lgkmcnt(3)
	v_add_u32_e32 v96, v74, v50
	v_add_u32_e32 v56, 0xa00, v2
	v_xor_b32_e32 v51, 0xffff8000, v65
	v_lshl_add_u64 v[64:65], v[96:97], 1, s[94:95]
	s_waitcnt lgkmcnt(2)
	v_add_u32_e32 v96, v75, v56
	v_or_b32_e32 v61, 0xc00, v2
	global_store_short v[64:65], v51, off
	v_xor_b32_e32 v51, 0xffff8000, v67
	v_lshl_add_u64 v[64:65], v[96:97], 1, s[94:95]
	s_waitcnt lgkmcnt(1)
	v_add_u32_e32 v96, v76, v61
	global_store_short v[64:65], v51, off
	v_xor_b32_e32 v51, 0xffff8000, v68
	v_lshl_add_u64 v[64:65], v[96:97], 1, s[94:95]
	global_store_short v[64:65], v51, off
	v_add_u32_e32 v64, 0xe00, v2
	s_waitcnt lgkmcnt(0)
	v_add_u32_e32 v96, v77, v64
	v_xor_b32_e32 v51, 0xffff8000, v70
	v_lshl_add_u64 v[70:71], v[96:97], 1, s[94:95]
	v_lshrrev_b32_sdwa v65, s8, v72 dst_sel:DWORD dst_unused:UNUSED_PAD src0_sel:DWORD src1_sel:WORD_0
	global_store_short v[70:71], v51, off
	v_and_b32_e32 v65, s9, v65
	v_xor_b32_e32 v75, 0xffff8000, v72
	v_lshrrev_b32_sdwa v67, s8, v5 dst_sel:DWORD dst_unused:UNUSED_PAD src0_sel:DWORD src1_sel:WORD_0
	v_lshrrev_b32_sdwa v68, s8, v7 dst_sel:DWORD dst_unused:UNUSED_PAD src0_sel:DWORD src1_sel:WORD_0
	;; [unrolled: 1-line block ×7, first 2 shown]
	v_or_b32_e32 v51, 0x1000, v2
	v_lshlrev_b32_e32 v65, 2, v65
	v_and_b32_e32 v67, s9, v67
	v_and_b32_e32 v68, s9, v68
	;; [unrolled: 1-line block ×7, first 2 shown]
	v_lshlrev_b32_e32 v67, 2, v67
	v_lshlrev_b32_e32 v68, 2, v68
	;; [unrolled: 1-line block ×7, first 2 shown]
	ds_read_b32 v76, v65
	ds_read_b32 v78, v67
	;; [unrolled: 1-line block ×8, first 2 shown]
	s_waitcnt lgkmcnt(7)
	v_add_u32_e32 v96, v76, v51
	v_lshl_add_u64 v[76:77], v[96:97], 1, s[94:95]
	global_store_short v[76:77], v75, off
	v_add_u32_e32 v77, 0x1200, v2
	s_waitcnt lgkmcnt(6)
	v_add_u32_e32 v96, v78, v77
	v_xor_b32_e32 v5, 0xffff8000, v5
	v_lshl_add_u64 v[78:79], v[96:97], 1, s[94:95]
	global_store_short v[78:79], v5, off
	v_or_b32_e32 v79, 0x1400, v2
	s_waitcnt lgkmcnt(5)
	v_add_u32_e32 v96, v80, v79
	v_add_u32_e32 v75, 0x1600, v2
	v_xor_b32_e32 v5, 0xffff8000, v7
	v_lshl_add_u64 v[80:81], v[96:97], 1, s[94:95]
	s_waitcnt lgkmcnt(4)
	v_add_u32_e32 v96, v109, v75
	v_or_b32_e32 v76, 0x1800, v2
	global_store_short v[80:81], v5, off
	v_xor_b32_e32 v5, 0xffff8000, v82
	v_lshl_add_u64 v[80:81], v[96:97], 1, s[94:95]
	s_waitcnt lgkmcnt(3)
	v_add_u32_e32 v96, v110, v76
	v_add_u32_e32 v78, 0x1a00, v2
	global_store_short v[80:81], v5, off
	v_xor_b32_e32 v5, 0xffff8000, v83
	v_lshl_add_u64 v[80:81], v[96:97], 1, s[94:95]
	s_waitcnt lgkmcnt(2)
	v_add_u32_e32 v96, v111, v78
	global_store_short v[80:81], v5, off
	v_xor_b32_e32 v5, 0xffff8000, v85
	v_lshl_add_u64 v[80:81], v[96:97], 1, s[94:95]
	global_store_short v[80:81], v5, off
	v_or_b32_e32 v80, 0x1c00, v2
	s_waitcnt lgkmcnt(1)
	v_add_u32_e32 v96, v112, v80
	v_add_u32_e32 v81, 0x1e00, v2
	v_xor_b32_e32 v5, 0xffff8000, v86
	v_lshl_add_u64 v[82:83], v[96:97], 1, s[94:95]
	s_waitcnt lgkmcnt(0)
	v_add_u32_e32 v96, v113, v81
	global_store_short v[82:83], v5, off
	v_xor_b32_e32 v5, 0xffff8000, v98
	v_lshl_add_u64 v[82:83], v[96:97], 1, s[94:95]
	global_store_short v[82:83], v5, off
	v_or_b32_e32 v82, 0x2000, v2
	v_add_u32_e32 v96, v103, v82
	v_add_u32_e32 v83, 0x2200, v2
	v_xor_b32_e32 v5, 0xffff8000, v84
	v_lshl_add_u64 v[84:85], v[96:97], 1, s[94:95]
	v_add_u32_e32 v96, v104, v83
	global_store_short v[84:85], v5, off
	v_xor_b32_e32 v5, 0xffff8000, v87
	v_lshl_add_u64 v[84:85], v[96:97], 1, s[94:95]
	global_store_short v[84:85], v5, off
	v_or_b32_e32 v85, 0x2400, v2
	v_add_u32_e32 v96, v105, v85
	v_add_u32_e32 v84, 0x2600, v2
	v_xor_b32_e32 v5, 0xffff8000, v99
	v_lshl_add_u64 v[86:87], v[96:97], 1, s[94:95]
	;; [unrolled: 10-line block ×3, first 2 shown]
	v_add_u32_e32 v96, v108, v87
	global_store_short v[98:99], v5, off
	v_xor_b32_e32 v5, 0xffff8000, v102
	v_lshl_add_u64 v[98:99], v[96:97], 1, s[94:95]
	s_add_u32 s0, s96, s10
	global_store_short v[98:99], v5, off
	s_addc_u32 s1, s97, s11
	v_mov_b32_e32 v5, v97
	v_lshl_add_u64 v[4:5], s[0:1], 0, v[4:5]
	v_mov_b32_e32 v7, v97
	v_lshl_add_u64 v[114:115], v[4:5], 0, v[6:7]
	global_load_ushort v113, v[114:115], off
	global_load_ushort v112, v[114:115], off offset:128
	global_load_ushort v111, v[114:115], off offset:256
	global_load_ushort v110, v[114:115], off offset:384
	global_load_ushort v109, v[114:115], off offset:512
	global_load_ushort v108, v[114:115], off offset:640
	global_load_ushort v107, v[114:115], off offset:768
	global_load_ushort v106, v[114:115], off offset:896
	global_load_ushort v105, v[114:115], off offset:1024
	global_load_ushort v104, v[114:115], off offset:1152
	global_load_ushort v103, v[114:115], off offset:1280
	global_load_ushort v102, v[114:115], off offset:1408
	global_load_ushort v101, v[114:115], off offset:1536
	global_load_ushort v100, v[114:115], off offset:1664
	global_load_ushort v99, v[114:115], off offset:1792
	global_load_ushort v98, v[114:115], off offset:1920
	global_load_ushort v97, v[114:115], off offset:2048
	global_load_ushort v96, v[114:115], off offset:2176
	global_load_ushort v7, v[114:115], off offset:2304
	global_load_ushort v6, v[114:115], off offset:2432
	global_load_ushort v5, v[114:115], off offset:2560
	global_load_ushort v4, v[114:115], off offset:2688
	s_movk_i32 s6, 0x2c00
	v_cmp_gt_u32_e64 s[0:1], s6, v69
	s_barrier
	s_and_saveexec_b64 s[4:5], s[0:1]
	s_cbranch_execz .LBB1670_380
; %bb.354:
	s_waitcnt vmcnt(21)
	ds_write_b16 v63, v113 offset:256
	s_or_b64 exec, exec, s[4:5]
	v_cmp_gt_u32_e64 s[0:1], s6, v66
	s_and_saveexec_b64 s[4:5], s[0:1]
	s_cbranch_execnz .LBB1670_381
.LBB1670_355:
	s_or_b64 exec, exec, s[4:5]
	v_cmp_gt_u32_e64 s[0:1], s6, v62
	s_and_saveexec_b64 s[4:5], s[0:1]
	s_cbranch_execz .LBB1670_382
.LBB1670_356:
	s_waitcnt vmcnt(19)
	ds_write_b16 v58, v111 offset:256
	s_or_b64 exec, exec, s[4:5]
	v_cmp_gt_u32_e64 s[0:1], s6, v57
	s_and_saveexec_b64 s[4:5], s[0:1]
	s_cbranch_execnz .LBB1670_383
.LBB1670_357:
	s_or_b64 exec, exec, s[4:5]
	v_cmp_gt_u32_e64 s[0:1], s6, v52
	s_and_saveexec_b64 s[4:5], s[0:1]
	s_cbranch_execz .LBB1670_384
.LBB1670_358:
	s_waitcnt vmcnt(17)
	ds_write_b16 v53, v109 offset:256
	s_or_b64 exec, exec, s[4:5]
	v_cmp_gt_u32_e64 s[0:1], s6, v47
	s_and_saveexec_b64 s[4:5], s[0:1]
	s_cbranch_execnz .LBB1670_385
.LBB1670_359:
	s_or_b64 exec, exec, s[4:5]
	v_cmp_gt_u32_e64 s[0:1], s6, v42
	s_and_saveexec_b64 s[4:5], s[0:1]
	s_cbranch_execz .LBB1670_386
.LBB1670_360:
	s_waitcnt vmcnt(15)
	ds_write_b16 v48, v107 offset:256
	s_or_b64 exec, exec, s[4:5]
	v_cmp_gt_u32_e64 s[0:1], s6, v40
	s_and_saveexec_b64 s[4:5], s[0:1]
	s_cbranch_execnz .LBB1670_387
.LBB1670_361:
	s_or_b64 exec, exec, s[4:5]
	v_cmp_gt_u32_e64 s[0:1], s6, v37
	s_and_saveexec_b64 s[4:5], s[0:1]
	s_cbranch_execz .LBB1670_388
.LBB1670_362:
	s_waitcnt vmcnt(13)
	ds_write_b16 v43, v105 offset:256
	s_or_b64 exec, exec, s[4:5]
	v_cmp_gt_u32_e64 s[0:1], s6, v35
	s_and_saveexec_b64 s[4:5], s[0:1]
	s_cbranch_execnz .LBB1670_389
.LBB1670_363:
	s_or_b64 exec, exec, s[4:5]
	v_cmp_gt_u32_e64 s[0:1], s6, v33
	s_and_saveexec_b64 s[4:5], s[0:1]
	s_cbranch_execz .LBB1670_390
.LBB1670_364:
	s_waitcnt vmcnt(11)
	ds_write_b16 v39, v103 offset:256
	s_or_b64 exec, exec, s[4:5]
	v_cmp_gt_u32_e64 s[0:1], s6, v32
	s_and_saveexec_b64 s[4:5], s[0:1]
	s_cbranch_execnz .LBB1670_391
.LBB1670_365:
	s_or_b64 exec, exec, s[4:5]
	v_cmp_gt_u32_e64 s[0:1], s6, v29
	s_and_saveexec_b64 s[4:5], s[0:1]
	s_cbranch_execz .LBB1670_392
.LBB1670_366:
	s_waitcnt vmcnt(9)
	ds_write_b16 v36, v101 offset:256
	s_or_b64 exec, exec, s[4:5]
	v_cmp_gt_u32_e64 s[0:1], s6, v27
	s_and_saveexec_b64 s[4:5], s[0:1]
	s_cbranch_execnz .LBB1670_393
.LBB1670_367:
	s_or_b64 exec, exec, s[4:5]
	v_cmp_gt_u32_e64 s[0:1], s6, v25
	s_and_saveexec_b64 s[4:5], s[0:1]
	s_cbranch_execz .LBB1670_394
.LBB1670_368:
	s_waitcnt vmcnt(7)
	ds_write_b16 v31, v99 offset:256
	s_or_b64 exec, exec, s[4:5]
	v_cmp_gt_u32_e64 s[0:1], s6, v23
	s_and_saveexec_b64 s[4:5], s[0:1]
	s_cbranch_execnz .LBB1670_395
.LBB1670_369:
	s_or_b64 exec, exec, s[4:5]
	v_cmp_gt_u32_e64 s[0:1], s6, v21
	s_and_saveexec_b64 s[4:5], s[0:1]
	s_cbranch_execz .LBB1670_396
.LBB1670_370:
	s_waitcnt vmcnt(5)
	ds_write_b16 v28, v97 offset:256
	s_or_b64 exec, exec, s[4:5]
	v_cmp_gt_u32_e64 s[0:1], s6, v18
	s_and_saveexec_b64 s[4:5], s[0:1]
	s_cbranch_execnz .LBB1670_397
.LBB1670_371:
	s_or_b64 exec, exec, s[4:5]
	v_cmp_gt_u32_e64 s[0:1], s6, v17
	s_and_saveexec_b64 s[4:5], s[0:1]
	s_cbranch_execz .LBB1670_398
.LBB1670_372:
	s_waitcnt vmcnt(3)
	ds_write_b16 v24, v7 offset:256
	s_or_b64 exec, exec, s[4:5]
	v_cmp_gt_u32_e64 s[0:1], s6, v16
	s_and_saveexec_b64 s[4:5], s[0:1]
	s_cbranch_execnz .LBB1670_399
.LBB1670_373:
	s_or_b64 exec, exec, s[4:5]
	v_cmp_gt_u32_e64 s[0:1], s6, v13
	s_and_saveexec_b64 s[4:5], s[0:1]
	s_cbranch_execz .LBB1670_375
.LBB1670_374:
	s_waitcnt vmcnt(1)
	ds_write_b16 v20, v5 offset:256
.LBB1670_375:
	s_or_b64 exec, exec, s[4:5]
	v_sub_u32_e32 v0, 0, v0
	v_cmp_gt_u32_e64 s[0:1], s6, v12
	s_and_saveexec_b64 s[4:5], s[0:1]
	s_cbranch_execz .LBB1670_377
; %bb.376:
	s_waitcnt vmcnt(0)
	ds_write_b16 v15, v4 offset:256
.LBB1670_377:
	s_or_b64 exec, exec, s[4:5]
	s_waitcnt lgkmcnt(0)
	s_barrier
	v_add_u32_e32 v12, v19, v0
	ds_read_b32 v0, v95
	ds_read_b32 v13, v92
	;; [unrolled: 1-line block ×8, first 2 shown]
	s_waitcnt vmcnt(0) lgkmcnt(7)
	v_add_u32_e32 v4, v0, v2
	v_mov_b32_e32 v5, 0
	v_lshl_add_u64 v[6:7], v[4:5], 1, s[98:99]
	ds_read_u16 v0, v12 offset:256
	ds_read_u16 v2, v12 offset:1280
	ds_read_b32 v22, v1
	ds_read_b32 v8, v8
	ds_read_b32 v23, v45
	ds_read_b32 v11, v11
	ds_read_b32 v10, v10
	ds_read_b32 v9, v9
	s_waitcnt lgkmcnt(14)
	v_add_u32_e32 v4, v13, v55
	s_waitcnt lgkmcnt(7)
	global_store_short v[6:7], v0, off
	v_lshl_add_u64 v[0:1], v[4:5], 1, s[98:99]
	v_add_u32_e32 v4, v15, v60
	s_waitcnt lgkmcnt(6)
	global_store_short v[0:1], v2, off
	v_lshl_add_u64 v[0:1], v[4:5], 1, s[98:99]
	v_add_u32_e32 v4, v16, v46
	ds_read_u16 v2, v12 offset:2304
	ds_read_u16 v6, v12 offset:3328
	;; [unrolled: 1-line block ×8, first 2 shown]
	s_waitcnt lgkmcnt(7)
	global_store_short v[0:1], v2, off
	v_lshl_add_u64 v[0:1], v[4:5], 1, s[98:99]
	v_add_u32_e32 v4, v17, v50
	s_waitcnt lgkmcnt(6)
	global_store_short v[0:1], v6, off
	v_lshl_add_u64 v[0:1], v[4:5], 1, s[98:99]
	v_add_u32_e32 v4, v18, v56
	s_waitcnt lgkmcnt(5)
	global_store_short v[0:1], v7, off
	v_lshl_add_u64 v[0:1], v[4:5], 1, s[98:99]
	v_add_u32_e32 v4, v20, v61
	s_waitcnt lgkmcnt(4)
	global_store_short v[0:1], v13, off
	v_lshl_add_u64 v[0:1], v[4:5], 1, s[98:99]
	v_add_u32_e32 v4, v21, v64
	s_waitcnt lgkmcnt(3)
	global_store_short v[0:1], v15, off
	v_lshl_add_u64 v[0:1], v[4:5], 1, s[98:99]
	s_waitcnt lgkmcnt(2)
	global_store_short v[0:1], v24, off
	ds_read_b32 v0, v65
	ds_read_b32 v2, v67
	;; [unrolled: 1-line block ×8, first 2 shown]
	s_waitcnt lgkmcnt(7)
	v_add_u32_e32 v4, v0, v51
	v_lshl_add_u64 v[0:1], v[4:5], 1, s[98:99]
	s_waitcnt lgkmcnt(6)
	v_add_u32_e32 v4, v2, v77
	global_store_short v[0:1], v25, off
	v_lshl_add_u64 v[0:1], v[4:5], 1, s[98:99]
	s_waitcnt lgkmcnt(5)
	v_add_u32_e32 v4, v6, v79
	global_store_short v[0:1], v26, off
	v_lshl_add_u64 v[0:1], v[4:5], 1, s[98:99]
	s_waitcnt lgkmcnt(4)
	v_add_u32_e32 v4, v7, v75
	ds_read_u16 v2, v12 offset:10496
	ds_read_u16 v6, v12 offset:11520
	;; [unrolled: 1-line block ×8, first 2 shown]
	s_waitcnt lgkmcnt(7)
	global_store_short v[0:1], v2, off
	v_lshl_add_u64 v[0:1], v[4:5], 1, s[98:99]
	v_add_u32_e32 v4, v13, v76
	s_waitcnt lgkmcnt(6)
	global_store_short v[0:1], v6, off
	v_lshl_add_u64 v[0:1], v[4:5], 1, s[98:99]
	v_add_u32_e32 v4, v15, v78
	;; [unrolled: 4-line block ×6, first 2 shown]
	ds_read_u16 v2, v12 offset:18688
	s_waitcnt lgkmcnt(2)
	global_store_short v[0:1], v25, off
	v_lshl_add_u64 v[0:1], v[4:5], 1, s[98:99]
	s_waitcnt lgkmcnt(1)
	global_store_short v[0:1], v26, off
	v_add_u32_e32 v4, v23, v85
	ds_read_u16 v6, v12 offset:19712
	ds_read_u16 v7, v12 offset:20736
	;; [unrolled: 1-line block ×3, first 2 shown]
	v_lshl_add_u64 v[0:1], v[4:5], 1, s[98:99]
	v_add_u32_e32 v4, v11, v84
	s_add_i32 s3, s3, -1
	s_waitcnt lgkmcnt(3)
	global_store_short v[0:1], v2, off
	v_lshl_add_u64 v[0:1], v[4:5], 1, s[98:99]
	v_add_u32_e32 v4, v10, v86
	s_cmp_eq_u32 s2, s3
	s_waitcnt lgkmcnt(2)
	global_store_short v[0:1], v6, off
	v_lshl_add_u64 v[0:1], v[4:5], 1, s[98:99]
	v_add_u32_e32 v4, v9, v87
	s_cselect_b64 s[0:1], -1, 0
	s_xor_b64 s[2:3], vcc, -1
	s_waitcnt lgkmcnt(1)
	global_store_short v[0:1], v7, off
	v_lshl_add_u64 v[0:1], v[4:5], 1, s[98:99]
	s_and_b64 s[0:1], s[2:3], s[0:1]
	s_waitcnt lgkmcnt(0)
	global_store_short v[0:1], v8, off
	s_and_saveexec_b64 s[2:3], s[0:1]
	s_cbranch_execz .LBB1670_379
; %bb.378:
	ds_read_b32 v0, v19
	v_readlane_b32 s0, v118, 0
	v_readlane_b32 s2, v118, 2
	;; [unrolled: 1-line block ×4, first 2 shown]
	s_waitcnt lgkmcnt(0)
	v_add3_u32 v0, v3, v14, v0
	s_nop 1
	global_store_dword v19, v0, s[2:3]
.LBB1670_379:
	s_endpgm
.LBB1670_380:
	s_or_b64 exec, exec, s[4:5]
	v_cmp_gt_u32_e64 s[0:1], s6, v66
	s_and_saveexec_b64 s[4:5], s[0:1]
	s_cbranch_execz .LBB1670_355
.LBB1670_381:
	s_waitcnt vmcnt(20)
	ds_write_b16 v59, v112 offset:256
	s_or_b64 exec, exec, s[4:5]
	v_cmp_gt_u32_e64 s[0:1], s6, v62
	s_and_saveexec_b64 s[4:5], s[0:1]
	s_cbranch_execnz .LBB1670_356
.LBB1670_382:
	s_or_b64 exec, exec, s[4:5]
	v_cmp_gt_u32_e64 s[0:1], s6, v57
	s_and_saveexec_b64 s[4:5], s[0:1]
	s_cbranch_execz .LBB1670_357
.LBB1670_383:
	s_waitcnt vmcnt(18)
	ds_write_b16 v54, v110 offset:256
	s_or_b64 exec, exec, s[4:5]
	v_cmp_gt_u32_e64 s[0:1], s6, v52
	s_and_saveexec_b64 s[4:5], s[0:1]
	s_cbranch_execnz .LBB1670_358
.LBB1670_384:
	s_or_b64 exec, exec, s[4:5]
	v_cmp_gt_u32_e64 s[0:1], s6, v47
	s_and_saveexec_b64 s[4:5], s[0:1]
	s_cbranch_execz .LBB1670_359
.LBB1670_385:
	s_waitcnt vmcnt(16)
	ds_write_b16 v49, v108 offset:256
	s_or_b64 exec, exec, s[4:5]
	v_cmp_gt_u32_e64 s[0:1], s6, v42
	s_and_saveexec_b64 s[4:5], s[0:1]
	s_cbranch_execnz .LBB1670_360
.LBB1670_386:
	s_or_b64 exec, exec, s[4:5]
	v_cmp_gt_u32_e64 s[0:1], s6, v40
	s_and_saveexec_b64 s[4:5], s[0:1]
	s_cbranch_execz .LBB1670_361
.LBB1670_387:
	s_waitcnt vmcnt(14)
	ds_write_b16 v44, v106 offset:256
	s_or_b64 exec, exec, s[4:5]
	v_cmp_gt_u32_e64 s[0:1], s6, v37
	s_and_saveexec_b64 s[4:5], s[0:1]
	s_cbranch_execnz .LBB1670_362
.LBB1670_388:
	s_or_b64 exec, exec, s[4:5]
	v_cmp_gt_u32_e64 s[0:1], s6, v35
	s_and_saveexec_b64 s[4:5], s[0:1]
	s_cbranch_execz .LBB1670_363
.LBB1670_389:
	s_waitcnt vmcnt(12)
	ds_write_b16 v41, v104 offset:256
	s_or_b64 exec, exec, s[4:5]
	v_cmp_gt_u32_e64 s[0:1], s6, v33
	s_and_saveexec_b64 s[4:5], s[0:1]
	s_cbranch_execnz .LBB1670_364
.LBB1670_390:
	s_or_b64 exec, exec, s[4:5]
	v_cmp_gt_u32_e64 s[0:1], s6, v32
	s_and_saveexec_b64 s[4:5], s[0:1]
	s_cbranch_execz .LBB1670_365
.LBB1670_391:
	s_waitcnt vmcnt(10)
	ds_write_b16 v38, v102 offset:256
	s_or_b64 exec, exec, s[4:5]
	v_cmp_gt_u32_e64 s[0:1], s6, v29
	s_and_saveexec_b64 s[4:5], s[0:1]
	s_cbranch_execnz .LBB1670_366
.LBB1670_392:
	s_or_b64 exec, exec, s[4:5]
	v_cmp_gt_u32_e64 s[0:1], s6, v27
	s_and_saveexec_b64 s[4:5], s[0:1]
	s_cbranch_execz .LBB1670_367
.LBB1670_393:
	s_waitcnt vmcnt(8)
	ds_write_b16 v34, v100 offset:256
	s_or_b64 exec, exec, s[4:5]
	v_cmp_gt_u32_e64 s[0:1], s6, v25
	s_and_saveexec_b64 s[4:5], s[0:1]
	s_cbranch_execnz .LBB1670_368
.LBB1670_394:
	s_or_b64 exec, exec, s[4:5]
	v_cmp_gt_u32_e64 s[0:1], s6, v23
	s_and_saveexec_b64 s[4:5], s[0:1]
	s_cbranch_execz .LBB1670_369
.LBB1670_395:
	s_waitcnt vmcnt(6)
	ds_write_b16 v30, v98 offset:256
	s_or_b64 exec, exec, s[4:5]
	v_cmp_gt_u32_e64 s[0:1], s6, v21
	s_and_saveexec_b64 s[4:5], s[0:1]
	s_cbranch_execnz .LBB1670_370
.LBB1670_396:
	s_or_b64 exec, exec, s[4:5]
	v_cmp_gt_u32_e64 s[0:1], s6, v18
	s_and_saveexec_b64 s[4:5], s[0:1]
	s_cbranch_execz .LBB1670_371
.LBB1670_397:
	s_waitcnt vmcnt(4)
	ds_write_b16 v26, v96 offset:256
	s_or_b64 exec, exec, s[4:5]
	v_cmp_gt_u32_e64 s[0:1], s6, v17
	s_and_saveexec_b64 s[4:5], s[0:1]
	s_cbranch_execnz .LBB1670_372
.LBB1670_398:
	s_or_b64 exec, exec, s[4:5]
	v_cmp_gt_u32_e64 s[0:1], s6, v16
	s_and_saveexec_b64 s[4:5], s[0:1]
	s_cbranch_execz .LBB1670_373
.LBB1670_399:
	s_waitcnt vmcnt(2)
	ds_write_b16 v22, v6 offset:256
	s_or_b64 exec, exec, s[4:5]
	v_cmp_gt_u32_e64 s[0:1], s6, v13
	s_and_saveexec_b64 s[4:5], s[0:1]
	s_cbranch_execnz .LBB1670_374
	s_branch .LBB1670_375
	.section	.rodata,"a",@progbits
	.p2align	6, 0x0
	.amdhsa_kernel _ZN7rocprim17ROCPRIM_400000_NS6detail17trampoline_kernelINS0_14default_configENS1_35radix_sort_onesweep_config_selectorIssEEZZNS1_29radix_sort_onesweep_iterationIS3_Lb0EN6thrust23THRUST_200600_302600_NS6detail15normal_iteratorINS8_10device_ptrIsEEEESD_SD_SD_jNS0_19identity_decomposerENS1_16block_id_wrapperIjLb0EEEEE10hipError_tT1_PNSt15iterator_traitsISI_E10value_typeET2_T3_PNSJ_ISO_E10value_typeET4_T5_PST_SU_PNS1_23onesweep_lookback_stateEbbT6_jjT7_P12ihipStream_tbENKUlT_T0_SI_SN_E_clISD_SD_SD_SD_EEDaS11_S12_SI_SN_EUlS11_E_NS1_11comp_targetILNS1_3genE6ELNS1_11target_archE950ELNS1_3gpuE13ELNS1_3repE0EEENS1_47radix_sort_onesweep_sort_config_static_selectorELNS0_4arch9wavefront6targetE1EEEvSI_
		.amdhsa_group_segment_fixed_size 22792
		.amdhsa_private_segment_fixed_size 0
		.amdhsa_kernarg_size 344
		.amdhsa_user_sgpr_count 2
		.amdhsa_user_sgpr_dispatch_ptr 0
		.amdhsa_user_sgpr_queue_ptr 0
		.amdhsa_user_sgpr_kernarg_segment_ptr 1
		.amdhsa_user_sgpr_dispatch_id 0
		.amdhsa_user_sgpr_kernarg_preload_length 0
		.amdhsa_user_sgpr_kernarg_preload_offset 0
		.amdhsa_user_sgpr_private_segment_size 0
		.amdhsa_uses_dynamic_stack 0
		.amdhsa_enable_private_segment 0
		.amdhsa_system_sgpr_workgroup_id_x 1
		.amdhsa_system_sgpr_workgroup_id_y 0
		.amdhsa_system_sgpr_workgroup_id_z 0
		.amdhsa_system_sgpr_workgroup_info 0
		.amdhsa_system_vgpr_workitem_id 2
		.amdhsa_next_free_vgpr 119
		.amdhsa_next_free_sgpr 100
		.amdhsa_accum_offset 120
		.amdhsa_reserve_vcc 1
		.amdhsa_float_round_mode_32 0
		.amdhsa_float_round_mode_16_64 0
		.amdhsa_float_denorm_mode_32 3
		.amdhsa_float_denorm_mode_16_64 3
		.amdhsa_dx10_clamp 1
		.amdhsa_ieee_mode 1
		.amdhsa_fp16_overflow 0
		.amdhsa_tg_split 0
		.amdhsa_exception_fp_ieee_invalid_op 0
		.amdhsa_exception_fp_denorm_src 0
		.amdhsa_exception_fp_ieee_div_zero 0
		.amdhsa_exception_fp_ieee_overflow 0
		.amdhsa_exception_fp_ieee_underflow 0
		.amdhsa_exception_fp_ieee_inexact 0
		.amdhsa_exception_int_div_zero 0
	.end_amdhsa_kernel
	.section	.text._ZN7rocprim17ROCPRIM_400000_NS6detail17trampoline_kernelINS0_14default_configENS1_35radix_sort_onesweep_config_selectorIssEEZZNS1_29radix_sort_onesweep_iterationIS3_Lb0EN6thrust23THRUST_200600_302600_NS6detail15normal_iteratorINS8_10device_ptrIsEEEESD_SD_SD_jNS0_19identity_decomposerENS1_16block_id_wrapperIjLb0EEEEE10hipError_tT1_PNSt15iterator_traitsISI_E10value_typeET2_T3_PNSJ_ISO_E10value_typeET4_T5_PST_SU_PNS1_23onesweep_lookback_stateEbbT6_jjT7_P12ihipStream_tbENKUlT_T0_SI_SN_E_clISD_SD_SD_SD_EEDaS11_S12_SI_SN_EUlS11_E_NS1_11comp_targetILNS1_3genE6ELNS1_11target_archE950ELNS1_3gpuE13ELNS1_3repE0EEENS1_47radix_sort_onesweep_sort_config_static_selectorELNS0_4arch9wavefront6targetE1EEEvSI_,"axG",@progbits,_ZN7rocprim17ROCPRIM_400000_NS6detail17trampoline_kernelINS0_14default_configENS1_35radix_sort_onesweep_config_selectorIssEEZZNS1_29radix_sort_onesweep_iterationIS3_Lb0EN6thrust23THRUST_200600_302600_NS6detail15normal_iteratorINS8_10device_ptrIsEEEESD_SD_SD_jNS0_19identity_decomposerENS1_16block_id_wrapperIjLb0EEEEE10hipError_tT1_PNSt15iterator_traitsISI_E10value_typeET2_T3_PNSJ_ISO_E10value_typeET4_T5_PST_SU_PNS1_23onesweep_lookback_stateEbbT6_jjT7_P12ihipStream_tbENKUlT_T0_SI_SN_E_clISD_SD_SD_SD_EEDaS11_S12_SI_SN_EUlS11_E_NS1_11comp_targetILNS1_3genE6ELNS1_11target_archE950ELNS1_3gpuE13ELNS1_3repE0EEENS1_47radix_sort_onesweep_sort_config_static_selectorELNS0_4arch9wavefront6targetE1EEEvSI_,comdat
.Lfunc_end1670:
	.size	_ZN7rocprim17ROCPRIM_400000_NS6detail17trampoline_kernelINS0_14default_configENS1_35radix_sort_onesweep_config_selectorIssEEZZNS1_29radix_sort_onesweep_iterationIS3_Lb0EN6thrust23THRUST_200600_302600_NS6detail15normal_iteratorINS8_10device_ptrIsEEEESD_SD_SD_jNS0_19identity_decomposerENS1_16block_id_wrapperIjLb0EEEEE10hipError_tT1_PNSt15iterator_traitsISI_E10value_typeET2_T3_PNSJ_ISO_E10value_typeET4_T5_PST_SU_PNS1_23onesweep_lookback_stateEbbT6_jjT7_P12ihipStream_tbENKUlT_T0_SI_SN_E_clISD_SD_SD_SD_EEDaS11_S12_SI_SN_EUlS11_E_NS1_11comp_targetILNS1_3genE6ELNS1_11target_archE950ELNS1_3gpuE13ELNS1_3repE0EEENS1_47radix_sort_onesweep_sort_config_static_selectorELNS0_4arch9wavefront6targetE1EEEvSI_, .Lfunc_end1670-_ZN7rocprim17ROCPRIM_400000_NS6detail17trampoline_kernelINS0_14default_configENS1_35radix_sort_onesweep_config_selectorIssEEZZNS1_29radix_sort_onesweep_iterationIS3_Lb0EN6thrust23THRUST_200600_302600_NS6detail15normal_iteratorINS8_10device_ptrIsEEEESD_SD_SD_jNS0_19identity_decomposerENS1_16block_id_wrapperIjLb0EEEEE10hipError_tT1_PNSt15iterator_traitsISI_E10value_typeET2_T3_PNSJ_ISO_E10value_typeET4_T5_PST_SU_PNS1_23onesweep_lookback_stateEbbT6_jjT7_P12ihipStream_tbENKUlT_T0_SI_SN_E_clISD_SD_SD_SD_EEDaS11_S12_SI_SN_EUlS11_E_NS1_11comp_targetILNS1_3genE6ELNS1_11target_archE950ELNS1_3gpuE13ELNS1_3repE0EEENS1_47radix_sort_onesweep_sort_config_static_selectorELNS0_4arch9wavefront6targetE1EEEvSI_
                                        ; -- End function
	.set _ZN7rocprim17ROCPRIM_400000_NS6detail17trampoline_kernelINS0_14default_configENS1_35radix_sort_onesweep_config_selectorIssEEZZNS1_29radix_sort_onesweep_iterationIS3_Lb0EN6thrust23THRUST_200600_302600_NS6detail15normal_iteratorINS8_10device_ptrIsEEEESD_SD_SD_jNS0_19identity_decomposerENS1_16block_id_wrapperIjLb0EEEEE10hipError_tT1_PNSt15iterator_traitsISI_E10value_typeET2_T3_PNSJ_ISO_E10value_typeET4_T5_PST_SU_PNS1_23onesweep_lookback_stateEbbT6_jjT7_P12ihipStream_tbENKUlT_T0_SI_SN_E_clISD_SD_SD_SD_EEDaS11_S12_SI_SN_EUlS11_E_NS1_11comp_targetILNS1_3genE6ELNS1_11target_archE950ELNS1_3gpuE13ELNS1_3repE0EEENS1_47radix_sort_onesweep_sort_config_static_selectorELNS0_4arch9wavefront6targetE1EEEvSI_.num_vgpr, 119
	.set _ZN7rocprim17ROCPRIM_400000_NS6detail17trampoline_kernelINS0_14default_configENS1_35radix_sort_onesweep_config_selectorIssEEZZNS1_29radix_sort_onesweep_iterationIS3_Lb0EN6thrust23THRUST_200600_302600_NS6detail15normal_iteratorINS8_10device_ptrIsEEEESD_SD_SD_jNS0_19identity_decomposerENS1_16block_id_wrapperIjLb0EEEEE10hipError_tT1_PNSt15iterator_traitsISI_E10value_typeET2_T3_PNSJ_ISO_E10value_typeET4_T5_PST_SU_PNS1_23onesweep_lookback_stateEbbT6_jjT7_P12ihipStream_tbENKUlT_T0_SI_SN_E_clISD_SD_SD_SD_EEDaS11_S12_SI_SN_EUlS11_E_NS1_11comp_targetILNS1_3genE6ELNS1_11target_archE950ELNS1_3gpuE13ELNS1_3repE0EEENS1_47radix_sort_onesweep_sort_config_static_selectorELNS0_4arch9wavefront6targetE1EEEvSI_.num_agpr, 0
	.set _ZN7rocprim17ROCPRIM_400000_NS6detail17trampoline_kernelINS0_14default_configENS1_35radix_sort_onesweep_config_selectorIssEEZZNS1_29radix_sort_onesweep_iterationIS3_Lb0EN6thrust23THRUST_200600_302600_NS6detail15normal_iteratorINS8_10device_ptrIsEEEESD_SD_SD_jNS0_19identity_decomposerENS1_16block_id_wrapperIjLb0EEEEE10hipError_tT1_PNSt15iterator_traitsISI_E10value_typeET2_T3_PNSJ_ISO_E10value_typeET4_T5_PST_SU_PNS1_23onesweep_lookback_stateEbbT6_jjT7_P12ihipStream_tbENKUlT_T0_SI_SN_E_clISD_SD_SD_SD_EEDaS11_S12_SI_SN_EUlS11_E_NS1_11comp_targetILNS1_3genE6ELNS1_11target_archE950ELNS1_3gpuE13ELNS1_3repE0EEENS1_47radix_sort_onesweep_sort_config_static_selectorELNS0_4arch9wavefront6targetE1EEEvSI_.numbered_sgpr, 100
	.set _ZN7rocprim17ROCPRIM_400000_NS6detail17trampoline_kernelINS0_14default_configENS1_35radix_sort_onesweep_config_selectorIssEEZZNS1_29radix_sort_onesweep_iterationIS3_Lb0EN6thrust23THRUST_200600_302600_NS6detail15normal_iteratorINS8_10device_ptrIsEEEESD_SD_SD_jNS0_19identity_decomposerENS1_16block_id_wrapperIjLb0EEEEE10hipError_tT1_PNSt15iterator_traitsISI_E10value_typeET2_T3_PNSJ_ISO_E10value_typeET4_T5_PST_SU_PNS1_23onesweep_lookback_stateEbbT6_jjT7_P12ihipStream_tbENKUlT_T0_SI_SN_E_clISD_SD_SD_SD_EEDaS11_S12_SI_SN_EUlS11_E_NS1_11comp_targetILNS1_3genE6ELNS1_11target_archE950ELNS1_3gpuE13ELNS1_3repE0EEENS1_47radix_sort_onesweep_sort_config_static_selectorELNS0_4arch9wavefront6targetE1EEEvSI_.num_named_barrier, 0
	.set _ZN7rocprim17ROCPRIM_400000_NS6detail17trampoline_kernelINS0_14default_configENS1_35radix_sort_onesweep_config_selectorIssEEZZNS1_29radix_sort_onesweep_iterationIS3_Lb0EN6thrust23THRUST_200600_302600_NS6detail15normal_iteratorINS8_10device_ptrIsEEEESD_SD_SD_jNS0_19identity_decomposerENS1_16block_id_wrapperIjLb0EEEEE10hipError_tT1_PNSt15iterator_traitsISI_E10value_typeET2_T3_PNSJ_ISO_E10value_typeET4_T5_PST_SU_PNS1_23onesweep_lookback_stateEbbT6_jjT7_P12ihipStream_tbENKUlT_T0_SI_SN_E_clISD_SD_SD_SD_EEDaS11_S12_SI_SN_EUlS11_E_NS1_11comp_targetILNS1_3genE6ELNS1_11target_archE950ELNS1_3gpuE13ELNS1_3repE0EEENS1_47radix_sort_onesweep_sort_config_static_selectorELNS0_4arch9wavefront6targetE1EEEvSI_.private_seg_size, 0
	.set _ZN7rocprim17ROCPRIM_400000_NS6detail17trampoline_kernelINS0_14default_configENS1_35radix_sort_onesweep_config_selectorIssEEZZNS1_29radix_sort_onesweep_iterationIS3_Lb0EN6thrust23THRUST_200600_302600_NS6detail15normal_iteratorINS8_10device_ptrIsEEEESD_SD_SD_jNS0_19identity_decomposerENS1_16block_id_wrapperIjLb0EEEEE10hipError_tT1_PNSt15iterator_traitsISI_E10value_typeET2_T3_PNSJ_ISO_E10value_typeET4_T5_PST_SU_PNS1_23onesweep_lookback_stateEbbT6_jjT7_P12ihipStream_tbENKUlT_T0_SI_SN_E_clISD_SD_SD_SD_EEDaS11_S12_SI_SN_EUlS11_E_NS1_11comp_targetILNS1_3genE6ELNS1_11target_archE950ELNS1_3gpuE13ELNS1_3repE0EEENS1_47radix_sort_onesweep_sort_config_static_selectorELNS0_4arch9wavefront6targetE1EEEvSI_.uses_vcc, 1
	.set _ZN7rocprim17ROCPRIM_400000_NS6detail17trampoline_kernelINS0_14default_configENS1_35radix_sort_onesweep_config_selectorIssEEZZNS1_29radix_sort_onesweep_iterationIS3_Lb0EN6thrust23THRUST_200600_302600_NS6detail15normal_iteratorINS8_10device_ptrIsEEEESD_SD_SD_jNS0_19identity_decomposerENS1_16block_id_wrapperIjLb0EEEEE10hipError_tT1_PNSt15iterator_traitsISI_E10value_typeET2_T3_PNSJ_ISO_E10value_typeET4_T5_PST_SU_PNS1_23onesweep_lookback_stateEbbT6_jjT7_P12ihipStream_tbENKUlT_T0_SI_SN_E_clISD_SD_SD_SD_EEDaS11_S12_SI_SN_EUlS11_E_NS1_11comp_targetILNS1_3genE6ELNS1_11target_archE950ELNS1_3gpuE13ELNS1_3repE0EEENS1_47radix_sort_onesweep_sort_config_static_selectorELNS0_4arch9wavefront6targetE1EEEvSI_.uses_flat_scratch, 0
	.set _ZN7rocprim17ROCPRIM_400000_NS6detail17trampoline_kernelINS0_14default_configENS1_35radix_sort_onesweep_config_selectorIssEEZZNS1_29radix_sort_onesweep_iterationIS3_Lb0EN6thrust23THRUST_200600_302600_NS6detail15normal_iteratorINS8_10device_ptrIsEEEESD_SD_SD_jNS0_19identity_decomposerENS1_16block_id_wrapperIjLb0EEEEE10hipError_tT1_PNSt15iterator_traitsISI_E10value_typeET2_T3_PNSJ_ISO_E10value_typeET4_T5_PST_SU_PNS1_23onesweep_lookback_stateEbbT6_jjT7_P12ihipStream_tbENKUlT_T0_SI_SN_E_clISD_SD_SD_SD_EEDaS11_S12_SI_SN_EUlS11_E_NS1_11comp_targetILNS1_3genE6ELNS1_11target_archE950ELNS1_3gpuE13ELNS1_3repE0EEENS1_47radix_sort_onesweep_sort_config_static_selectorELNS0_4arch9wavefront6targetE1EEEvSI_.has_dyn_sized_stack, 0
	.set _ZN7rocprim17ROCPRIM_400000_NS6detail17trampoline_kernelINS0_14default_configENS1_35radix_sort_onesweep_config_selectorIssEEZZNS1_29radix_sort_onesweep_iterationIS3_Lb0EN6thrust23THRUST_200600_302600_NS6detail15normal_iteratorINS8_10device_ptrIsEEEESD_SD_SD_jNS0_19identity_decomposerENS1_16block_id_wrapperIjLb0EEEEE10hipError_tT1_PNSt15iterator_traitsISI_E10value_typeET2_T3_PNSJ_ISO_E10value_typeET4_T5_PST_SU_PNS1_23onesweep_lookback_stateEbbT6_jjT7_P12ihipStream_tbENKUlT_T0_SI_SN_E_clISD_SD_SD_SD_EEDaS11_S12_SI_SN_EUlS11_E_NS1_11comp_targetILNS1_3genE6ELNS1_11target_archE950ELNS1_3gpuE13ELNS1_3repE0EEENS1_47radix_sort_onesweep_sort_config_static_selectorELNS0_4arch9wavefront6targetE1EEEvSI_.has_recursion, 0
	.set _ZN7rocprim17ROCPRIM_400000_NS6detail17trampoline_kernelINS0_14default_configENS1_35radix_sort_onesweep_config_selectorIssEEZZNS1_29radix_sort_onesweep_iterationIS3_Lb0EN6thrust23THRUST_200600_302600_NS6detail15normal_iteratorINS8_10device_ptrIsEEEESD_SD_SD_jNS0_19identity_decomposerENS1_16block_id_wrapperIjLb0EEEEE10hipError_tT1_PNSt15iterator_traitsISI_E10value_typeET2_T3_PNSJ_ISO_E10value_typeET4_T5_PST_SU_PNS1_23onesweep_lookback_stateEbbT6_jjT7_P12ihipStream_tbENKUlT_T0_SI_SN_E_clISD_SD_SD_SD_EEDaS11_S12_SI_SN_EUlS11_E_NS1_11comp_targetILNS1_3genE6ELNS1_11target_archE950ELNS1_3gpuE13ELNS1_3repE0EEENS1_47radix_sort_onesweep_sort_config_static_selectorELNS0_4arch9wavefront6targetE1EEEvSI_.has_indirect_call, 0
	.section	.AMDGPU.csdata,"",@progbits
; Kernel info:
; codeLenInByte = 30208
; TotalNumSgprs: 106
; NumVgprs: 119
; NumAgprs: 0
; TotalNumVgprs: 119
; ScratchSize: 0
; MemoryBound: 0
; FloatMode: 240
; IeeeMode: 1
; LDSByteSize: 22792 bytes/workgroup (compile time only)
; SGPRBlocks: 13
; VGPRBlocks: 14
; NumSGPRsForWavesPerEU: 106
; NumVGPRsForWavesPerEU: 119
; AccumOffset: 120
; Occupancy: 4
; WaveLimiterHint : 1
; COMPUTE_PGM_RSRC2:SCRATCH_EN: 0
; COMPUTE_PGM_RSRC2:USER_SGPR: 2
; COMPUTE_PGM_RSRC2:TRAP_HANDLER: 0
; COMPUTE_PGM_RSRC2:TGID_X_EN: 1
; COMPUTE_PGM_RSRC2:TGID_Y_EN: 0
; COMPUTE_PGM_RSRC2:TGID_Z_EN: 0
; COMPUTE_PGM_RSRC2:TIDIG_COMP_CNT: 2
; COMPUTE_PGM_RSRC3_GFX90A:ACCUM_OFFSET: 29
; COMPUTE_PGM_RSRC3_GFX90A:TG_SPLIT: 0
	.section	.text._ZN7rocprim17ROCPRIM_400000_NS6detail17trampoline_kernelINS0_14default_configENS1_35radix_sort_onesweep_config_selectorIssEEZZNS1_29radix_sort_onesweep_iterationIS3_Lb0EN6thrust23THRUST_200600_302600_NS6detail15normal_iteratorINS8_10device_ptrIsEEEESD_SD_SD_jNS0_19identity_decomposerENS1_16block_id_wrapperIjLb0EEEEE10hipError_tT1_PNSt15iterator_traitsISI_E10value_typeET2_T3_PNSJ_ISO_E10value_typeET4_T5_PST_SU_PNS1_23onesweep_lookback_stateEbbT6_jjT7_P12ihipStream_tbENKUlT_T0_SI_SN_E_clISD_SD_SD_SD_EEDaS11_S12_SI_SN_EUlS11_E_NS1_11comp_targetILNS1_3genE5ELNS1_11target_archE942ELNS1_3gpuE9ELNS1_3repE0EEENS1_47radix_sort_onesweep_sort_config_static_selectorELNS0_4arch9wavefront6targetE1EEEvSI_,"axG",@progbits,_ZN7rocprim17ROCPRIM_400000_NS6detail17trampoline_kernelINS0_14default_configENS1_35radix_sort_onesweep_config_selectorIssEEZZNS1_29radix_sort_onesweep_iterationIS3_Lb0EN6thrust23THRUST_200600_302600_NS6detail15normal_iteratorINS8_10device_ptrIsEEEESD_SD_SD_jNS0_19identity_decomposerENS1_16block_id_wrapperIjLb0EEEEE10hipError_tT1_PNSt15iterator_traitsISI_E10value_typeET2_T3_PNSJ_ISO_E10value_typeET4_T5_PST_SU_PNS1_23onesweep_lookback_stateEbbT6_jjT7_P12ihipStream_tbENKUlT_T0_SI_SN_E_clISD_SD_SD_SD_EEDaS11_S12_SI_SN_EUlS11_E_NS1_11comp_targetILNS1_3genE5ELNS1_11target_archE942ELNS1_3gpuE9ELNS1_3repE0EEENS1_47radix_sort_onesweep_sort_config_static_selectorELNS0_4arch9wavefront6targetE1EEEvSI_,comdat
	.protected	_ZN7rocprim17ROCPRIM_400000_NS6detail17trampoline_kernelINS0_14default_configENS1_35radix_sort_onesweep_config_selectorIssEEZZNS1_29radix_sort_onesweep_iterationIS3_Lb0EN6thrust23THRUST_200600_302600_NS6detail15normal_iteratorINS8_10device_ptrIsEEEESD_SD_SD_jNS0_19identity_decomposerENS1_16block_id_wrapperIjLb0EEEEE10hipError_tT1_PNSt15iterator_traitsISI_E10value_typeET2_T3_PNSJ_ISO_E10value_typeET4_T5_PST_SU_PNS1_23onesweep_lookback_stateEbbT6_jjT7_P12ihipStream_tbENKUlT_T0_SI_SN_E_clISD_SD_SD_SD_EEDaS11_S12_SI_SN_EUlS11_E_NS1_11comp_targetILNS1_3genE5ELNS1_11target_archE942ELNS1_3gpuE9ELNS1_3repE0EEENS1_47radix_sort_onesweep_sort_config_static_selectorELNS0_4arch9wavefront6targetE1EEEvSI_ ; -- Begin function _ZN7rocprim17ROCPRIM_400000_NS6detail17trampoline_kernelINS0_14default_configENS1_35radix_sort_onesweep_config_selectorIssEEZZNS1_29radix_sort_onesweep_iterationIS3_Lb0EN6thrust23THRUST_200600_302600_NS6detail15normal_iteratorINS8_10device_ptrIsEEEESD_SD_SD_jNS0_19identity_decomposerENS1_16block_id_wrapperIjLb0EEEEE10hipError_tT1_PNSt15iterator_traitsISI_E10value_typeET2_T3_PNSJ_ISO_E10value_typeET4_T5_PST_SU_PNS1_23onesweep_lookback_stateEbbT6_jjT7_P12ihipStream_tbENKUlT_T0_SI_SN_E_clISD_SD_SD_SD_EEDaS11_S12_SI_SN_EUlS11_E_NS1_11comp_targetILNS1_3genE5ELNS1_11target_archE942ELNS1_3gpuE9ELNS1_3repE0EEENS1_47radix_sort_onesweep_sort_config_static_selectorELNS0_4arch9wavefront6targetE1EEEvSI_
	.globl	_ZN7rocprim17ROCPRIM_400000_NS6detail17trampoline_kernelINS0_14default_configENS1_35radix_sort_onesweep_config_selectorIssEEZZNS1_29radix_sort_onesweep_iterationIS3_Lb0EN6thrust23THRUST_200600_302600_NS6detail15normal_iteratorINS8_10device_ptrIsEEEESD_SD_SD_jNS0_19identity_decomposerENS1_16block_id_wrapperIjLb0EEEEE10hipError_tT1_PNSt15iterator_traitsISI_E10value_typeET2_T3_PNSJ_ISO_E10value_typeET4_T5_PST_SU_PNS1_23onesweep_lookback_stateEbbT6_jjT7_P12ihipStream_tbENKUlT_T0_SI_SN_E_clISD_SD_SD_SD_EEDaS11_S12_SI_SN_EUlS11_E_NS1_11comp_targetILNS1_3genE5ELNS1_11target_archE942ELNS1_3gpuE9ELNS1_3repE0EEENS1_47radix_sort_onesweep_sort_config_static_selectorELNS0_4arch9wavefront6targetE1EEEvSI_
	.p2align	8
	.type	_ZN7rocprim17ROCPRIM_400000_NS6detail17trampoline_kernelINS0_14default_configENS1_35radix_sort_onesweep_config_selectorIssEEZZNS1_29radix_sort_onesweep_iterationIS3_Lb0EN6thrust23THRUST_200600_302600_NS6detail15normal_iteratorINS8_10device_ptrIsEEEESD_SD_SD_jNS0_19identity_decomposerENS1_16block_id_wrapperIjLb0EEEEE10hipError_tT1_PNSt15iterator_traitsISI_E10value_typeET2_T3_PNSJ_ISO_E10value_typeET4_T5_PST_SU_PNS1_23onesweep_lookback_stateEbbT6_jjT7_P12ihipStream_tbENKUlT_T0_SI_SN_E_clISD_SD_SD_SD_EEDaS11_S12_SI_SN_EUlS11_E_NS1_11comp_targetILNS1_3genE5ELNS1_11target_archE942ELNS1_3gpuE9ELNS1_3repE0EEENS1_47radix_sort_onesweep_sort_config_static_selectorELNS0_4arch9wavefront6targetE1EEEvSI_,@function
_ZN7rocprim17ROCPRIM_400000_NS6detail17trampoline_kernelINS0_14default_configENS1_35radix_sort_onesweep_config_selectorIssEEZZNS1_29radix_sort_onesweep_iterationIS3_Lb0EN6thrust23THRUST_200600_302600_NS6detail15normal_iteratorINS8_10device_ptrIsEEEESD_SD_SD_jNS0_19identity_decomposerENS1_16block_id_wrapperIjLb0EEEEE10hipError_tT1_PNSt15iterator_traitsISI_E10value_typeET2_T3_PNSJ_ISO_E10value_typeET4_T5_PST_SU_PNS1_23onesweep_lookback_stateEbbT6_jjT7_P12ihipStream_tbENKUlT_T0_SI_SN_E_clISD_SD_SD_SD_EEDaS11_S12_SI_SN_EUlS11_E_NS1_11comp_targetILNS1_3genE5ELNS1_11target_archE942ELNS1_3gpuE9ELNS1_3repE0EEENS1_47radix_sort_onesweep_sort_config_static_selectorELNS0_4arch9wavefront6targetE1EEEvSI_: ; @_ZN7rocprim17ROCPRIM_400000_NS6detail17trampoline_kernelINS0_14default_configENS1_35radix_sort_onesweep_config_selectorIssEEZZNS1_29radix_sort_onesweep_iterationIS3_Lb0EN6thrust23THRUST_200600_302600_NS6detail15normal_iteratorINS8_10device_ptrIsEEEESD_SD_SD_jNS0_19identity_decomposerENS1_16block_id_wrapperIjLb0EEEEE10hipError_tT1_PNSt15iterator_traitsISI_E10value_typeET2_T3_PNSJ_ISO_E10value_typeET4_T5_PST_SU_PNS1_23onesweep_lookback_stateEbbT6_jjT7_P12ihipStream_tbENKUlT_T0_SI_SN_E_clISD_SD_SD_SD_EEDaS11_S12_SI_SN_EUlS11_E_NS1_11comp_targetILNS1_3genE5ELNS1_11target_archE942ELNS1_3gpuE9ELNS1_3repE0EEENS1_47radix_sort_onesweep_sort_config_static_selectorELNS0_4arch9wavefront6targetE1EEEvSI_
; %bb.0:
	.section	.rodata,"a",@progbits
	.p2align	6, 0x0
	.amdhsa_kernel _ZN7rocprim17ROCPRIM_400000_NS6detail17trampoline_kernelINS0_14default_configENS1_35radix_sort_onesweep_config_selectorIssEEZZNS1_29radix_sort_onesweep_iterationIS3_Lb0EN6thrust23THRUST_200600_302600_NS6detail15normal_iteratorINS8_10device_ptrIsEEEESD_SD_SD_jNS0_19identity_decomposerENS1_16block_id_wrapperIjLb0EEEEE10hipError_tT1_PNSt15iterator_traitsISI_E10value_typeET2_T3_PNSJ_ISO_E10value_typeET4_T5_PST_SU_PNS1_23onesweep_lookback_stateEbbT6_jjT7_P12ihipStream_tbENKUlT_T0_SI_SN_E_clISD_SD_SD_SD_EEDaS11_S12_SI_SN_EUlS11_E_NS1_11comp_targetILNS1_3genE5ELNS1_11target_archE942ELNS1_3gpuE9ELNS1_3repE0EEENS1_47radix_sort_onesweep_sort_config_static_selectorELNS0_4arch9wavefront6targetE1EEEvSI_
		.amdhsa_group_segment_fixed_size 0
		.amdhsa_private_segment_fixed_size 0
		.amdhsa_kernarg_size 88
		.amdhsa_user_sgpr_count 2
		.amdhsa_user_sgpr_dispatch_ptr 0
		.amdhsa_user_sgpr_queue_ptr 0
		.amdhsa_user_sgpr_kernarg_segment_ptr 1
		.amdhsa_user_sgpr_dispatch_id 0
		.amdhsa_user_sgpr_kernarg_preload_length 0
		.amdhsa_user_sgpr_kernarg_preload_offset 0
		.amdhsa_user_sgpr_private_segment_size 0
		.amdhsa_uses_dynamic_stack 0
		.amdhsa_enable_private_segment 0
		.amdhsa_system_sgpr_workgroup_id_x 1
		.amdhsa_system_sgpr_workgroup_id_y 0
		.amdhsa_system_sgpr_workgroup_id_z 0
		.amdhsa_system_sgpr_workgroup_info 0
		.amdhsa_system_vgpr_workitem_id 0
		.amdhsa_next_free_vgpr 1
		.amdhsa_next_free_sgpr 0
		.amdhsa_accum_offset 4
		.amdhsa_reserve_vcc 0
		.amdhsa_float_round_mode_32 0
		.amdhsa_float_round_mode_16_64 0
		.amdhsa_float_denorm_mode_32 3
		.amdhsa_float_denorm_mode_16_64 3
		.amdhsa_dx10_clamp 1
		.amdhsa_ieee_mode 1
		.amdhsa_fp16_overflow 0
		.amdhsa_tg_split 0
		.amdhsa_exception_fp_ieee_invalid_op 0
		.amdhsa_exception_fp_denorm_src 0
		.amdhsa_exception_fp_ieee_div_zero 0
		.amdhsa_exception_fp_ieee_overflow 0
		.amdhsa_exception_fp_ieee_underflow 0
		.amdhsa_exception_fp_ieee_inexact 0
		.amdhsa_exception_int_div_zero 0
	.end_amdhsa_kernel
	.section	.text._ZN7rocprim17ROCPRIM_400000_NS6detail17trampoline_kernelINS0_14default_configENS1_35radix_sort_onesweep_config_selectorIssEEZZNS1_29radix_sort_onesweep_iterationIS3_Lb0EN6thrust23THRUST_200600_302600_NS6detail15normal_iteratorINS8_10device_ptrIsEEEESD_SD_SD_jNS0_19identity_decomposerENS1_16block_id_wrapperIjLb0EEEEE10hipError_tT1_PNSt15iterator_traitsISI_E10value_typeET2_T3_PNSJ_ISO_E10value_typeET4_T5_PST_SU_PNS1_23onesweep_lookback_stateEbbT6_jjT7_P12ihipStream_tbENKUlT_T0_SI_SN_E_clISD_SD_SD_SD_EEDaS11_S12_SI_SN_EUlS11_E_NS1_11comp_targetILNS1_3genE5ELNS1_11target_archE942ELNS1_3gpuE9ELNS1_3repE0EEENS1_47radix_sort_onesweep_sort_config_static_selectorELNS0_4arch9wavefront6targetE1EEEvSI_,"axG",@progbits,_ZN7rocprim17ROCPRIM_400000_NS6detail17trampoline_kernelINS0_14default_configENS1_35radix_sort_onesweep_config_selectorIssEEZZNS1_29radix_sort_onesweep_iterationIS3_Lb0EN6thrust23THRUST_200600_302600_NS6detail15normal_iteratorINS8_10device_ptrIsEEEESD_SD_SD_jNS0_19identity_decomposerENS1_16block_id_wrapperIjLb0EEEEE10hipError_tT1_PNSt15iterator_traitsISI_E10value_typeET2_T3_PNSJ_ISO_E10value_typeET4_T5_PST_SU_PNS1_23onesweep_lookback_stateEbbT6_jjT7_P12ihipStream_tbENKUlT_T0_SI_SN_E_clISD_SD_SD_SD_EEDaS11_S12_SI_SN_EUlS11_E_NS1_11comp_targetILNS1_3genE5ELNS1_11target_archE942ELNS1_3gpuE9ELNS1_3repE0EEENS1_47radix_sort_onesweep_sort_config_static_selectorELNS0_4arch9wavefront6targetE1EEEvSI_,comdat
.Lfunc_end1671:
	.size	_ZN7rocprim17ROCPRIM_400000_NS6detail17trampoline_kernelINS0_14default_configENS1_35radix_sort_onesweep_config_selectorIssEEZZNS1_29radix_sort_onesweep_iterationIS3_Lb0EN6thrust23THRUST_200600_302600_NS6detail15normal_iteratorINS8_10device_ptrIsEEEESD_SD_SD_jNS0_19identity_decomposerENS1_16block_id_wrapperIjLb0EEEEE10hipError_tT1_PNSt15iterator_traitsISI_E10value_typeET2_T3_PNSJ_ISO_E10value_typeET4_T5_PST_SU_PNS1_23onesweep_lookback_stateEbbT6_jjT7_P12ihipStream_tbENKUlT_T0_SI_SN_E_clISD_SD_SD_SD_EEDaS11_S12_SI_SN_EUlS11_E_NS1_11comp_targetILNS1_3genE5ELNS1_11target_archE942ELNS1_3gpuE9ELNS1_3repE0EEENS1_47radix_sort_onesweep_sort_config_static_selectorELNS0_4arch9wavefront6targetE1EEEvSI_, .Lfunc_end1671-_ZN7rocprim17ROCPRIM_400000_NS6detail17trampoline_kernelINS0_14default_configENS1_35radix_sort_onesweep_config_selectorIssEEZZNS1_29radix_sort_onesweep_iterationIS3_Lb0EN6thrust23THRUST_200600_302600_NS6detail15normal_iteratorINS8_10device_ptrIsEEEESD_SD_SD_jNS0_19identity_decomposerENS1_16block_id_wrapperIjLb0EEEEE10hipError_tT1_PNSt15iterator_traitsISI_E10value_typeET2_T3_PNSJ_ISO_E10value_typeET4_T5_PST_SU_PNS1_23onesweep_lookback_stateEbbT6_jjT7_P12ihipStream_tbENKUlT_T0_SI_SN_E_clISD_SD_SD_SD_EEDaS11_S12_SI_SN_EUlS11_E_NS1_11comp_targetILNS1_3genE5ELNS1_11target_archE942ELNS1_3gpuE9ELNS1_3repE0EEENS1_47radix_sort_onesweep_sort_config_static_selectorELNS0_4arch9wavefront6targetE1EEEvSI_
                                        ; -- End function
	.set _ZN7rocprim17ROCPRIM_400000_NS6detail17trampoline_kernelINS0_14default_configENS1_35radix_sort_onesweep_config_selectorIssEEZZNS1_29radix_sort_onesweep_iterationIS3_Lb0EN6thrust23THRUST_200600_302600_NS6detail15normal_iteratorINS8_10device_ptrIsEEEESD_SD_SD_jNS0_19identity_decomposerENS1_16block_id_wrapperIjLb0EEEEE10hipError_tT1_PNSt15iterator_traitsISI_E10value_typeET2_T3_PNSJ_ISO_E10value_typeET4_T5_PST_SU_PNS1_23onesweep_lookback_stateEbbT6_jjT7_P12ihipStream_tbENKUlT_T0_SI_SN_E_clISD_SD_SD_SD_EEDaS11_S12_SI_SN_EUlS11_E_NS1_11comp_targetILNS1_3genE5ELNS1_11target_archE942ELNS1_3gpuE9ELNS1_3repE0EEENS1_47radix_sort_onesweep_sort_config_static_selectorELNS0_4arch9wavefront6targetE1EEEvSI_.num_vgpr, 0
	.set _ZN7rocprim17ROCPRIM_400000_NS6detail17trampoline_kernelINS0_14default_configENS1_35radix_sort_onesweep_config_selectorIssEEZZNS1_29radix_sort_onesweep_iterationIS3_Lb0EN6thrust23THRUST_200600_302600_NS6detail15normal_iteratorINS8_10device_ptrIsEEEESD_SD_SD_jNS0_19identity_decomposerENS1_16block_id_wrapperIjLb0EEEEE10hipError_tT1_PNSt15iterator_traitsISI_E10value_typeET2_T3_PNSJ_ISO_E10value_typeET4_T5_PST_SU_PNS1_23onesweep_lookback_stateEbbT6_jjT7_P12ihipStream_tbENKUlT_T0_SI_SN_E_clISD_SD_SD_SD_EEDaS11_S12_SI_SN_EUlS11_E_NS1_11comp_targetILNS1_3genE5ELNS1_11target_archE942ELNS1_3gpuE9ELNS1_3repE0EEENS1_47radix_sort_onesweep_sort_config_static_selectorELNS0_4arch9wavefront6targetE1EEEvSI_.num_agpr, 0
	.set _ZN7rocprim17ROCPRIM_400000_NS6detail17trampoline_kernelINS0_14default_configENS1_35radix_sort_onesweep_config_selectorIssEEZZNS1_29radix_sort_onesweep_iterationIS3_Lb0EN6thrust23THRUST_200600_302600_NS6detail15normal_iteratorINS8_10device_ptrIsEEEESD_SD_SD_jNS0_19identity_decomposerENS1_16block_id_wrapperIjLb0EEEEE10hipError_tT1_PNSt15iterator_traitsISI_E10value_typeET2_T3_PNSJ_ISO_E10value_typeET4_T5_PST_SU_PNS1_23onesweep_lookback_stateEbbT6_jjT7_P12ihipStream_tbENKUlT_T0_SI_SN_E_clISD_SD_SD_SD_EEDaS11_S12_SI_SN_EUlS11_E_NS1_11comp_targetILNS1_3genE5ELNS1_11target_archE942ELNS1_3gpuE9ELNS1_3repE0EEENS1_47radix_sort_onesweep_sort_config_static_selectorELNS0_4arch9wavefront6targetE1EEEvSI_.numbered_sgpr, 0
	.set _ZN7rocprim17ROCPRIM_400000_NS6detail17trampoline_kernelINS0_14default_configENS1_35radix_sort_onesweep_config_selectorIssEEZZNS1_29radix_sort_onesweep_iterationIS3_Lb0EN6thrust23THRUST_200600_302600_NS6detail15normal_iteratorINS8_10device_ptrIsEEEESD_SD_SD_jNS0_19identity_decomposerENS1_16block_id_wrapperIjLb0EEEEE10hipError_tT1_PNSt15iterator_traitsISI_E10value_typeET2_T3_PNSJ_ISO_E10value_typeET4_T5_PST_SU_PNS1_23onesweep_lookback_stateEbbT6_jjT7_P12ihipStream_tbENKUlT_T0_SI_SN_E_clISD_SD_SD_SD_EEDaS11_S12_SI_SN_EUlS11_E_NS1_11comp_targetILNS1_3genE5ELNS1_11target_archE942ELNS1_3gpuE9ELNS1_3repE0EEENS1_47radix_sort_onesweep_sort_config_static_selectorELNS0_4arch9wavefront6targetE1EEEvSI_.num_named_barrier, 0
	.set _ZN7rocprim17ROCPRIM_400000_NS6detail17trampoline_kernelINS0_14default_configENS1_35radix_sort_onesweep_config_selectorIssEEZZNS1_29radix_sort_onesweep_iterationIS3_Lb0EN6thrust23THRUST_200600_302600_NS6detail15normal_iteratorINS8_10device_ptrIsEEEESD_SD_SD_jNS0_19identity_decomposerENS1_16block_id_wrapperIjLb0EEEEE10hipError_tT1_PNSt15iterator_traitsISI_E10value_typeET2_T3_PNSJ_ISO_E10value_typeET4_T5_PST_SU_PNS1_23onesweep_lookback_stateEbbT6_jjT7_P12ihipStream_tbENKUlT_T0_SI_SN_E_clISD_SD_SD_SD_EEDaS11_S12_SI_SN_EUlS11_E_NS1_11comp_targetILNS1_3genE5ELNS1_11target_archE942ELNS1_3gpuE9ELNS1_3repE0EEENS1_47radix_sort_onesweep_sort_config_static_selectorELNS0_4arch9wavefront6targetE1EEEvSI_.private_seg_size, 0
	.set _ZN7rocprim17ROCPRIM_400000_NS6detail17trampoline_kernelINS0_14default_configENS1_35radix_sort_onesweep_config_selectorIssEEZZNS1_29radix_sort_onesweep_iterationIS3_Lb0EN6thrust23THRUST_200600_302600_NS6detail15normal_iteratorINS8_10device_ptrIsEEEESD_SD_SD_jNS0_19identity_decomposerENS1_16block_id_wrapperIjLb0EEEEE10hipError_tT1_PNSt15iterator_traitsISI_E10value_typeET2_T3_PNSJ_ISO_E10value_typeET4_T5_PST_SU_PNS1_23onesweep_lookback_stateEbbT6_jjT7_P12ihipStream_tbENKUlT_T0_SI_SN_E_clISD_SD_SD_SD_EEDaS11_S12_SI_SN_EUlS11_E_NS1_11comp_targetILNS1_3genE5ELNS1_11target_archE942ELNS1_3gpuE9ELNS1_3repE0EEENS1_47radix_sort_onesweep_sort_config_static_selectorELNS0_4arch9wavefront6targetE1EEEvSI_.uses_vcc, 0
	.set _ZN7rocprim17ROCPRIM_400000_NS6detail17trampoline_kernelINS0_14default_configENS1_35radix_sort_onesweep_config_selectorIssEEZZNS1_29radix_sort_onesweep_iterationIS3_Lb0EN6thrust23THRUST_200600_302600_NS6detail15normal_iteratorINS8_10device_ptrIsEEEESD_SD_SD_jNS0_19identity_decomposerENS1_16block_id_wrapperIjLb0EEEEE10hipError_tT1_PNSt15iterator_traitsISI_E10value_typeET2_T3_PNSJ_ISO_E10value_typeET4_T5_PST_SU_PNS1_23onesweep_lookback_stateEbbT6_jjT7_P12ihipStream_tbENKUlT_T0_SI_SN_E_clISD_SD_SD_SD_EEDaS11_S12_SI_SN_EUlS11_E_NS1_11comp_targetILNS1_3genE5ELNS1_11target_archE942ELNS1_3gpuE9ELNS1_3repE0EEENS1_47radix_sort_onesweep_sort_config_static_selectorELNS0_4arch9wavefront6targetE1EEEvSI_.uses_flat_scratch, 0
	.set _ZN7rocprim17ROCPRIM_400000_NS6detail17trampoline_kernelINS0_14default_configENS1_35radix_sort_onesweep_config_selectorIssEEZZNS1_29radix_sort_onesweep_iterationIS3_Lb0EN6thrust23THRUST_200600_302600_NS6detail15normal_iteratorINS8_10device_ptrIsEEEESD_SD_SD_jNS0_19identity_decomposerENS1_16block_id_wrapperIjLb0EEEEE10hipError_tT1_PNSt15iterator_traitsISI_E10value_typeET2_T3_PNSJ_ISO_E10value_typeET4_T5_PST_SU_PNS1_23onesweep_lookback_stateEbbT6_jjT7_P12ihipStream_tbENKUlT_T0_SI_SN_E_clISD_SD_SD_SD_EEDaS11_S12_SI_SN_EUlS11_E_NS1_11comp_targetILNS1_3genE5ELNS1_11target_archE942ELNS1_3gpuE9ELNS1_3repE0EEENS1_47radix_sort_onesweep_sort_config_static_selectorELNS0_4arch9wavefront6targetE1EEEvSI_.has_dyn_sized_stack, 0
	.set _ZN7rocprim17ROCPRIM_400000_NS6detail17trampoline_kernelINS0_14default_configENS1_35radix_sort_onesweep_config_selectorIssEEZZNS1_29radix_sort_onesweep_iterationIS3_Lb0EN6thrust23THRUST_200600_302600_NS6detail15normal_iteratorINS8_10device_ptrIsEEEESD_SD_SD_jNS0_19identity_decomposerENS1_16block_id_wrapperIjLb0EEEEE10hipError_tT1_PNSt15iterator_traitsISI_E10value_typeET2_T3_PNSJ_ISO_E10value_typeET4_T5_PST_SU_PNS1_23onesweep_lookback_stateEbbT6_jjT7_P12ihipStream_tbENKUlT_T0_SI_SN_E_clISD_SD_SD_SD_EEDaS11_S12_SI_SN_EUlS11_E_NS1_11comp_targetILNS1_3genE5ELNS1_11target_archE942ELNS1_3gpuE9ELNS1_3repE0EEENS1_47radix_sort_onesweep_sort_config_static_selectorELNS0_4arch9wavefront6targetE1EEEvSI_.has_recursion, 0
	.set _ZN7rocprim17ROCPRIM_400000_NS6detail17trampoline_kernelINS0_14default_configENS1_35radix_sort_onesweep_config_selectorIssEEZZNS1_29radix_sort_onesweep_iterationIS3_Lb0EN6thrust23THRUST_200600_302600_NS6detail15normal_iteratorINS8_10device_ptrIsEEEESD_SD_SD_jNS0_19identity_decomposerENS1_16block_id_wrapperIjLb0EEEEE10hipError_tT1_PNSt15iterator_traitsISI_E10value_typeET2_T3_PNSJ_ISO_E10value_typeET4_T5_PST_SU_PNS1_23onesweep_lookback_stateEbbT6_jjT7_P12ihipStream_tbENKUlT_T0_SI_SN_E_clISD_SD_SD_SD_EEDaS11_S12_SI_SN_EUlS11_E_NS1_11comp_targetILNS1_3genE5ELNS1_11target_archE942ELNS1_3gpuE9ELNS1_3repE0EEENS1_47radix_sort_onesweep_sort_config_static_selectorELNS0_4arch9wavefront6targetE1EEEvSI_.has_indirect_call, 0
	.section	.AMDGPU.csdata,"",@progbits
; Kernel info:
; codeLenInByte = 0
; TotalNumSgprs: 6
; NumVgprs: 0
; NumAgprs: 0
; TotalNumVgprs: 0
; ScratchSize: 0
; MemoryBound: 0
; FloatMode: 240
; IeeeMode: 1
; LDSByteSize: 0 bytes/workgroup (compile time only)
; SGPRBlocks: 0
; VGPRBlocks: 0
; NumSGPRsForWavesPerEU: 6
; NumVGPRsForWavesPerEU: 1
; AccumOffset: 4
; Occupancy: 8
; WaveLimiterHint : 0
; COMPUTE_PGM_RSRC2:SCRATCH_EN: 0
; COMPUTE_PGM_RSRC2:USER_SGPR: 2
; COMPUTE_PGM_RSRC2:TRAP_HANDLER: 0
; COMPUTE_PGM_RSRC2:TGID_X_EN: 1
; COMPUTE_PGM_RSRC2:TGID_Y_EN: 0
; COMPUTE_PGM_RSRC2:TGID_Z_EN: 0
; COMPUTE_PGM_RSRC2:TIDIG_COMP_CNT: 0
; COMPUTE_PGM_RSRC3_GFX90A:ACCUM_OFFSET: 0
; COMPUTE_PGM_RSRC3_GFX90A:TG_SPLIT: 0
	.section	.text._ZN7rocprim17ROCPRIM_400000_NS6detail17trampoline_kernelINS0_14default_configENS1_35radix_sort_onesweep_config_selectorIssEEZZNS1_29radix_sort_onesweep_iterationIS3_Lb0EN6thrust23THRUST_200600_302600_NS6detail15normal_iteratorINS8_10device_ptrIsEEEESD_SD_SD_jNS0_19identity_decomposerENS1_16block_id_wrapperIjLb0EEEEE10hipError_tT1_PNSt15iterator_traitsISI_E10value_typeET2_T3_PNSJ_ISO_E10value_typeET4_T5_PST_SU_PNS1_23onesweep_lookback_stateEbbT6_jjT7_P12ihipStream_tbENKUlT_T0_SI_SN_E_clISD_SD_SD_SD_EEDaS11_S12_SI_SN_EUlS11_E_NS1_11comp_targetILNS1_3genE2ELNS1_11target_archE906ELNS1_3gpuE6ELNS1_3repE0EEENS1_47radix_sort_onesweep_sort_config_static_selectorELNS0_4arch9wavefront6targetE1EEEvSI_,"axG",@progbits,_ZN7rocprim17ROCPRIM_400000_NS6detail17trampoline_kernelINS0_14default_configENS1_35radix_sort_onesweep_config_selectorIssEEZZNS1_29radix_sort_onesweep_iterationIS3_Lb0EN6thrust23THRUST_200600_302600_NS6detail15normal_iteratorINS8_10device_ptrIsEEEESD_SD_SD_jNS0_19identity_decomposerENS1_16block_id_wrapperIjLb0EEEEE10hipError_tT1_PNSt15iterator_traitsISI_E10value_typeET2_T3_PNSJ_ISO_E10value_typeET4_T5_PST_SU_PNS1_23onesweep_lookback_stateEbbT6_jjT7_P12ihipStream_tbENKUlT_T0_SI_SN_E_clISD_SD_SD_SD_EEDaS11_S12_SI_SN_EUlS11_E_NS1_11comp_targetILNS1_3genE2ELNS1_11target_archE906ELNS1_3gpuE6ELNS1_3repE0EEENS1_47radix_sort_onesweep_sort_config_static_selectorELNS0_4arch9wavefront6targetE1EEEvSI_,comdat
	.protected	_ZN7rocprim17ROCPRIM_400000_NS6detail17trampoline_kernelINS0_14default_configENS1_35radix_sort_onesweep_config_selectorIssEEZZNS1_29radix_sort_onesweep_iterationIS3_Lb0EN6thrust23THRUST_200600_302600_NS6detail15normal_iteratorINS8_10device_ptrIsEEEESD_SD_SD_jNS0_19identity_decomposerENS1_16block_id_wrapperIjLb0EEEEE10hipError_tT1_PNSt15iterator_traitsISI_E10value_typeET2_T3_PNSJ_ISO_E10value_typeET4_T5_PST_SU_PNS1_23onesweep_lookback_stateEbbT6_jjT7_P12ihipStream_tbENKUlT_T0_SI_SN_E_clISD_SD_SD_SD_EEDaS11_S12_SI_SN_EUlS11_E_NS1_11comp_targetILNS1_3genE2ELNS1_11target_archE906ELNS1_3gpuE6ELNS1_3repE0EEENS1_47radix_sort_onesweep_sort_config_static_selectorELNS0_4arch9wavefront6targetE1EEEvSI_ ; -- Begin function _ZN7rocprim17ROCPRIM_400000_NS6detail17trampoline_kernelINS0_14default_configENS1_35radix_sort_onesweep_config_selectorIssEEZZNS1_29radix_sort_onesweep_iterationIS3_Lb0EN6thrust23THRUST_200600_302600_NS6detail15normal_iteratorINS8_10device_ptrIsEEEESD_SD_SD_jNS0_19identity_decomposerENS1_16block_id_wrapperIjLb0EEEEE10hipError_tT1_PNSt15iterator_traitsISI_E10value_typeET2_T3_PNSJ_ISO_E10value_typeET4_T5_PST_SU_PNS1_23onesweep_lookback_stateEbbT6_jjT7_P12ihipStream_tbENKUlT_T0_SI_SN_E_clISD_SD_SD_SD_EEDaS11_S12_SI_SN_EUlS11_E_NS1_11comp_targetILNS1_3genE2ELNS1_11target_archE906ELNS1_3gpuE6ELNS1_3repE0EEENS1_47radix_sort_onesweep_sort_config_static_selectorELNS0_4arch9wavefront6targetE1EEEvSI_
	.globl	_ZN7rocprim17ROCPRIM_400000_NS6detail17trampoline_kernelINS0_14default_configENS1_35radix_sort_onesweep_config_selectorIssEEZZNS1_29radix_sort_onesweep_iterationIS3_Lb0EN6thrust23THRUST_200600_302600_NS6detail15normal_iteratorINS8_10device_ptrIsEEEESD_SD_SD_jNS0_19identity_decomposerENS1_16block_id_wrapperIjLb0EEEEE10hipError_tT1_PNSt15iterator_traitsISI_E10value_typeET2_T3_PNSJ_ISO_E10value_typeET4_T5_PST_SU_PNS1_23onesweep_lookback_stateEbbT6_jjT7_P12ihipStream_tbENKUlT_T0_SI_SN_E_clISD_SD_SD_SD_EEDaS11_S12_SI_SN_EUlS11_E_NS1_11comp_targetILNS1_3genE2ELNS1_11target_archE906ELNS1_3gpuE6ELNS1_3repE0EEENS1_47radix_sort_onesweep_sort_config_static_selectorELNS0_4arch9wavefront6targetE1EEEvSI_
	.p2align	8
	.type	_ZN7rocprim17ROCPRIM_400000_NS6detail17trampoline_kernelINS0_14default_configENS1_35radix_sort_onesweep_config_selectorIssEEZZNS1_29radix_sort_onesweep_iterationIS3_Lb0EN6thrust23THRUST_200600_302600_NS6detail15normal_iteratorINS8_10device_ptrIsEEEESD_SD_SD_jNS0_19identity_decomposerENS1_16block_id_wrapperIjLb0EEEEE10hipError_tT1_PNSt15iterator_traitsISI_E10value_typeET2_T3_PNSJ_ISO_E10value_typeET4_T5_PST_SU_PNS1_23onesweep_lookback_stateEbbT6_jjT7_P12ihipStream_tbENKUlT_T0_SI_SN_E_clISD_SD_SD_SD_EEDaS11_S12_SI_SN_EUlS11_E_NS1_11comp_targetILNS1_3genE2ELNS1_11target_archE906ELNS1_3gpuE6ELNS1_3repE0EEENS1_47radix_sort_onesweep_sort_config_static_selectorELNS0_4arch9wavefront6targetE1EEEvSI_,@function
_ZN7rocprim17ROCPRIM_400000_NS6detail17trampoline_kernelINS0_14default_configENS1_35radix_sort_onesweep_config_selectorIssEEZZNS1_29radix_sort_onesweep_iterationIS3_Lb0EN6thrust23THRUST_200600_302600_NS6detail15normal_iteratorINS8_10device_ptrIsEEEESD_SD_SD_jNS0_19identity_decomposerENS1_16block_id_wrapperIjLb0EEEEE10hipError_tT1_PNSt15iterator_traitsISI_E10value_typeET2_T3_PNSJ_ISO_E10value_typeET4_T5_PST_SU_PNS1_23onesweep_lookback_stateEbbT6_jjT7_P12ihipStream_tbENKUlT_T0_SI_SN_E_clISD_SD_SD_SD_EEDaS11_S12_SI_SN_EUlS11_E_NS1_11comp_targetILNS1_3genE2ELNS1_11target_archE906ELNS1_3gpuE6ELNS1_3repE0EEENS1_47radix_sort_onesweep_sort_config_static_selectorELNS0_4arch9wavefront6targetE1EEEvSI_: ; @_ZN7rocprim17ROCPRIM_400000_NS6detail17trampoline_kernelINS0_14default_configENS1_35radix_sort_onesweep_config_selectorIssEEZZNS1_29radix_sort_onesweep_iterationIS3_Lb0EN6thrust23THRUST_200600_302600_NS6detail15normal_iteratorINS8_10device_ptrIsEEEESD_SD_SD_jNS0_19identity_decomposerENS1_16block_id_wrapperIjLb0EEEEE10hipError_tT1_PNSt15iterator_traitsISI_E10value_typeET2_T3_PNSJ_ISO_E10value_typeET4_T5_PST_SU_PNS1_23onesweep_lookback_stateEbbT6_jjT7_P12ihipStream_tbENKUlT_T0_SI_SN_E_clISD_SD_SD_SD_EEDaS11_S12_SI_SN_EUlS11_E_NS1_11comp_targetILNS1_3genE2ELNS1_11target_archE906ELNS1_3gpuE6ELNS1_3repE0EEENS1_47radix_sort_onesweep_sort_config_static_selectorELNS0_4arch9wavefront6targetE1EEEvSI_
; %bb.0:
	.section	.rodata,"a",@progbits
	.p2align	6, 0x0
	.amdhsa_kernel _ZN7rocprim17ROCPRIM_400000_NS6detail17trampoline_kernelINS0_14default_configENS1_35radix_sort_onesweep_config_selectorIssEEZZNS1_29radix_sort_onesweep_iterationIS3_Lb0EN6thrust23THRUST_200600_302600_NS6detail15normal_iteratorINS8_10device_ptrIsEEEESD_SD_SD_jNS0_19identity_decomposerENS1_16block_id_wrapperIjLb0EEEEE10hipError_tT1_PNSt15iterator_traitsISI_E10value_typeET2_T3_PNSJ_ISO_E10value_typeET4_T5_PST_SU_PNS1_23onesweep_lookback_stateEbbT6_jjT7_P12ihipStream_tbENKUlT_T0_SI_SN_E_clISD_SD_SD_SD_EEDaS11_S12_SI_SN_EUlS11_E_NS1_11comp_targetILNS1_3genE2ELNS1_11target_archE906ELNS1_3gpuE6ELNS1_3repE0EEENS1_47radix_sort_onesweep_sort_config_static_selectorELNS0_4arch9wavefront6targetE1EEEvSI_
		.amdhsa_group_segment_fixed_size 0
		.amdhsa_private_segment_fixed_size 0
		.amdhsa_kernarg_size 88
		.amdhsa_user_sgpr_count 2
		.amdhsa_user_sgpr_dispatch_ptr 0
		.amdhsa_user_sgpr_queue_ptr 0
		.amdhsa_user_sgpr_kernarg_segment_ptr 1
		.amdhsa_user_sgpr_dispatch_id 0
		.amdhsa_user_sgpr_kernarg_preload_length 0
		.amdhsa_user_sgpr_kernarg_preload_offset 0
		.amdhsa_user_sgpr_private_segment_size 0
		.amdhsa_uses_dynamic_stack 0
		.amdhsa_enable_private_segment 0
		.amdhsa_system_sgpr_workgroup_id_x 1
		.amdhsa_system_sgpr_workgroup_id_y 0
		.amdhsa_system_sgpr_workgroup_id_z 0
		.amdhsa_system_sgpr_workgroup_info 0
		.amdhsa_system_vgpr_workitem_id 0
		.amdhsa_next_free_vgpr 1
		.amdhsa_next_free_sgpr 0
		.amdhsa_accum_offset 4
		.amdhsa_reserve_vcc 0
		.amdhsa_float_round_mode_32 0
		.amdhsa_float_round_mode_16_64 0
		.amdhsa_float_denorm_mode_32 3
		.amdhsa_float_denorm_mode_16_64 3
		.amdhsa_dx10_clamp 1
		.amdhsa_ieee_mode 1
		.amdhsa_fp16_overflow 0
		.amdhsa_tg_split 0
		.amdhsa_exception_fp_ieee_invalid_op 0
		.amdhsa_exception_fp_denorm_src 0
		.amdhsa_exception_fp_ieee_div_zero 0
		.amdhsa_exception_fp_ieee_overflow 0
		.amdhsa_exception_fp_ieee_underflow 0
		.amdhsa_exception_fp_ieee_inexact 0
		.amdhsa_exception_int_div_zero 0
	.end_amdhsa_kernel
	.section	.text._ZN7rocprim17ROCPRIM_400000_NS6detail17trampoline_kernelINS0_14default_configENS1_35radix_sort_onesweep_config_selectorIssEEZZNS1_29radix_sort_onesweep_iterationIS3_Lb0EN6thrust23THRUST_200600_302600_NS6detail15normal_iteratorINS8_10device_ptrIsEEEESD_SD_SD_jNS0_19identity_decomposerENS1_16block_id_wrapperIjLb0EEEEE10hipError_tT1_PNSt15iterator_traitsISI_E10value_typeET2_T3_PNSJ_ISO_E10value_typeET4_T5_PST_SU_PNS1_23onesweep_lookback_stateEbbT6_jjT7_P12ihipStream_tbENKUlT_T0_SI_SN_E_clISD_SD_SD_SD_EEDaS11_S12_SI_SN_EUlS11_E_NS1_11comp_targetILNS1_3genE2ELNS1_11target_archE906ELNS1_3gpuE6ELNS1_3repE0EEENS1_47radix_sort_onesweep_sort_config_static_selectorELNS0_4arch9wavefront6targetE1EEEvSI_,"axG",@progbits,_ZN7rocprim17ROCPRIM_400000_NS6detail17trampoline_kernelINS0_14default_configENS1_35radix_sort_onesweep_config_selectorIssEEZZNS1_29radix_sort_onesweep_iterationIS3_Lb0EN6thrust23THRUST_200600_302600_NS6detail15normal_iteratorINS8_10device_ptrIsEEEESD_SD_SD_jNS0_19identity_decomposerENS1_16block_id_wrapperIjLb0EEEEE10hipError_tT1_PNSt15iterator_traitsISI_E10value_typeET2_T3_PNSJ_ISO_E10value_typeET4_T5_PST_SU_PNS1_23onesweep_lookback_stateEbbT6_jjT7_P12ihipStream_tbENKUlT_T0_SI_SN_E_clISD_SD_SD_SD_EEDaS11_S12_SI_SN_EUlS11_E_NS1_11comp_targetILNS1_3genE2ELNS1_11target_archE906ELNS1_3gpuE6ELNS1_3repE0EEENS1_47radix_sort_onesweep_sort_config_static_selectorELNS0_4arch9wavefront6targetE1EEEvSI_,comdat
.Lfunc_end1672:
	.size	_ZN7rocprim17ROCPRIM_400000_NS6detail17trampoline_kernelINS0_14default_configENS1_35radix_sort_onesweep_config_selectorIssEEZZNS1_29radix_sort_onesweep_iterationIS3_Lb0EN6thrust23THRUST_200600_302600_NS6detail15normal_iteratorINS8_10device_ptrIsEEEESD_SD_SD_jNS0_19identity_decomposerENS1_16block_id_wrapperIjLb0EEEEE10hipError_tT1_PNSt15iterator_traitsISI_E10value_typeET2_T3_PNSJ_ISO_E10value_typeET4_T5_PST_SU_PNS1_23onesweep_lookback_stateEbbT6_jjT7_P12ihipStream_tbENKUlT_T0_SI_SN_E_clISD_SD_SD_SD_EEDaS11_S12_SI_SN_EUlS11_E_NS1_11comp_targetILNS1_3genE2ELNS1_11target_archE906ELNS1_3gpuE6ELNS1_3repE0EEENS1_47radix_sort_onesweep_sort_config_static_selectorELNS0_4arch9wavefront6targetE1EEEvSI_, .Lfunc_end1672-_ZN7rocprim17ROCPRIM_400000_NS6detail17trampoline_kernelINS0_14default_configENS1_35radix_sort_onesweep_config_selectorIssEEZZNS1_29radix_sort_onesweep_iterationIS3_Lb0EN6thrust23THRUST_200600_302600_NS6detail15normal_iteratorINS8_10device_ptrIsEEEESD_SD_SD_jNS0_19identity_decomposerENS1_16block_id_wrapperIjLb0EEEEE10hipError_tT1_PNSt15iterator_traitsISI_E10value_typeET2_T3_PNSJ_ISO_E10value_typeET4_T5_PST_SU_PNS1_23onesweep_lookback_stateEbbT6_jjT7_P12ihipStream_tbENKUlT_T0_SI_SN_E_clISD_SD_SD_SD_EEDaS11_S12_SI_SN_EUlS11_E_NS1_11comp_targetILNS1_3genE2ELNS1_11target_archE906ELNS1_3gpuE6ELNS1_3repE0EEENS1_47radix_sort_onesweep_sort_config_static_selectorELNS0_4arch9wavefront6targetE1EEEvSI_
                                        ; -- End function
	.set _ZN7rocprim17ROCPRIM_400000_NS6detail17trampoline_kernelINS0_14default_configENS1_35radix_sort_onesweep_config_selectorIssEEZZNS1_29radix_sort_onesweep_iterationIS3_Lb0EN6thrust23THRUST_200600_302600_NS6detail15normal_iteratorINS8_10device_ptrIsEEEESD_SD_SD_jNS0_19identity_decomposerENS1_16block_id_wrapperIjLb0EEEEE10hipError_tT1_PNSt15iterator_traitsISI_E10value_typeET2_T3_PNSJ_ISO_E10value_typeET4_T5_PST_SU_PNS1_23onesweep_lookback_stateEbbT6_jjT7_P12ihipStream_tbENKUlT_T0_SI_SN_E_clISD_SD_SD_SD_EEDaS11_S12_SI_SN_EUlS11_E_NS1_11comp_targetILNS1_3genE2ELNS1_11target_archE906ELNS1_3gpuE6ELNS1_3repE0EEENS1_47radix_sort_onesweep_sort_config_static_selectorELNS0_4arch9wavefront6targetE1EEEvSI_.num_vgpr, 0
	.set _ZN7rocprim17ROCPRIM_400000_NS6detail17trampoline_kernelINS0_14default_configENS1_35radix_sort_onesweep_config_selectorIssEEZZNS1_29radix_sort_onesweep_iterationIS3_Lb0EN6thrust23THRUST_200600_302600_NS6detail15normal_iteratorINS8_10device_ptrIsEEEESD_SD_SD_jNS0_19identity_decomposerENS1_16block_id_wrapperIjLb0EEEEE10hipError_tT1_PNSt15iterator_traitsISI_E10value_typeET2_T3_PNSJ_ISO_E10value_typeET4_T5_PST_SU_PNS1_23onesweep_lookback_stateEbbT6_jjT7_P12ihipStream_tbENKUlT_T0_SI_SN_E_clISD_SD_SD_SD_EEDaS11_S12_SI_SN_EUlS11_E_NS1_11comp_targetILNS1_3genE2ELNS1_11target_archE906ELNS1_3gpuE6ELNS1_3repE0EEENS1_47radix_sort_onesweep_sort_config_static_selectorELNS0_4arch9wavefront6targetE1EEEvSI_.num_agpr, 0
	.set _ZN7rocprim17ROCPRIM_400000_NS6detail17trampoline_kernelINS0_14default_configENS1_35radix_sort_onesweep_config_selectorIssEEZZNS1_29radix_sort_onesweep_iterationIS3_Lb0EN6thrust23THRUST_200600_302600_NS6detail15normal_iteratorINS8_10device_ptrIsEEEESD_SD_SD_jNS0_19identity_decomposerENS1_16block_id_wrapperIjLb0EEEEE10hipError_tT1_PNSt15iterator_traitsISI_E10value_typeET2_T3_PNSJ_ISO_E10value_typeET4_T5_PST_SU_PNS1_23onesweep_lookback_stateEbbT6_jjT7_P12ihipStream_tbENKUlT_T0_SI_SN_E_clISD_SD_SD_SD_EEDaS11_S12_SI_SN_EUlS11_E_NS1_11comp_targetILNS1_3genE2ELNS1_11target_archE906ELNS1_3gpuE6ELNS1_3repE0EEENS1_47radix_sort_onesweep_sort_config_static_selectorELNS0_4arch9wavefront6targetE1EEEvSI_.numbered_sgpr, 0
	.set _ZN7rocprim17ROCPRIM_400000_NS6detail17trampoline_kernelINS0_14default_configENS1_35radix_sort_onesweep_config_selectorIssEEZZNS1_29radix_sort_onesweep_iterationIS3_Lb0EN6thrust23THRUST_200600_302600_NS6detail15normal_iteratorINS8_10device_ptrIsEEEESD_SD_SD_jNS0_19identity_decomposerENS1_16block_id_wrapperIjLb0EEEEE10hipError_tT1_PNSt15iterator_traitsISI_E10value_typeET2_T3_PNSJ_ISO_E10value_typeET4_T5_PST_SU_PNS1_23onesweep_lookback_stateEbbT6_jjT7_P12ihipStream_tbENKUlT_T0_SI_SN_E_clISD_SD_SD_SD_EEDaS11_S12_SI_SN_EUlS11_E_NS1_11comp_targetILNS1_3genE2ELNS1_11target_archE906ELNS1_3gpuE6ELNS1_3repE0EEENS1_47radix_sort_onesweep_sort_config_static_selectorELNS0_4arch9wavefront6targetE1EEEvSI_.num_named_barrier, 0
	.set _ZN7rocprim17ROCPRIM_400000_NS6detail17trampoline_kernelINS0_14default_configENS1_35radix_sort_onesweep_config_selectorIssEEZZNS1_29radix_sort_onesweep_iterationIS3_Lb0EN6thrust23THRUST_200600_302600_NS6detail15normal_iteratorINS8_10device_ptrIsEEEESD_SD_SD_jNS0_19identity_decomposerENS1_16block_id_wrapperIjLb0EEEEE10hipError_tT1_PNSt15iterator_traitsISI_E10value_typeET2_T3_PNSJ_ISO_E10value_typeET4_T5_PST_SU_PNS1_23onesweep_lookback_stateEbbT6_jjT7_P12ihipStream_tbENKUlT_T0_SI_SN_E_clISD_SD_SD_SD_EEDaS11_S12_SI_SN_EUlS11_E_NS1_11comp_targetILNS1_3genE2ELNS1_11target_archE906ELNS1_3gpuE6ELNS1_3repE0EEENS1_47radix_sort_onesweep_sort_config_static_selectorELNS0_4arch9wavefront6targetE1EEEvSI_.private_seg_size, 0
	.set _ZN7rocprim17ROCPRIM_400000_NS6detail17trampoline_kernelINS0_14default_configENS1_35radix_sort_onesweep_config_selectorIssEEZZNS1_29radix_sort_onesweep_iterationIS3_Lb0EN6thrust23THRUST_200600_302600_NS6detail15normal_iteratorINS8_10device_ptrIsEEEESD_SD_SD_jNS0_19identity_decomposerENS1_16block_id_wrapperIjLb0EEEEE10hipError_tT1_PNSt15iterator_traitsISI_E10value_typeET2_T3_PNSJ_ISO_E10value_typeET4_T5_PST_SU_PNS1_23onesweep_lookback_stateEbbT6_jjT7_P12ihipStream_tbENKUlT_T0_SI_SN_E_clISD_SD_SD_SD_EEDaS11_S12_SI_SN_EUlS11_E_NS1_11comp_targetILNS1_3genE2ELNS1_11target_archE906ELNS1_3gpuE6ELNS1_3repE0EEENS1_47radix_sort_onesweep_sort_config_static_selectorELNS0_4arch9wavefront6targetE1EEEvSI_.uses_vcc, 0
	.set _ZN7rocprim17ROCPRIM_400000_NS6detail17trampoline_kernelINS0_14default_configENS1_35radix_sort_onesweep_config_selectorIssEEZZNS1_29radix_sort_onesweep_iterationIS3_Lb0EN6thrust23THRUST_200600_302600_NS6detail15normal_iteratorINS8_10device_ptrIsEEEESD_SD_SD_jNS0_19identity_decomposerENS1_16block_id_wrapperIjLb0EEEEE10hipError_tT1_PNSt15iterator_traitsISI_E10value_typeET2_T3_PNSJ_ISO_E10value_typeET4_T5_PST_SU_PNS1_23onesweep_lookback_stateEbbT6_jjT7_P12ihipStream_tbENKUlT_T0_SI_SN_E_clISD_SD_SD_SD_EEDaS11_S12_SI_SN_EUlS11_E_NS1_11comp_targetILNS1_3genE2ELNS1_11target_archE906ELNS1_3gpuE6ELNS1_3repE0EEENS1_47radix_sort_onesweep_sort_config_static_selectorELNS0_4arch9wavefront6targetE1EEEvSI_.uses_flat_scratch, 0
	.set _ZN7rocprim17ROCPRIM_400000_NS6detail17trampoline_kernelINS0_14default_configENS1_35radix_sort_onesweep_config_selectorIssEEZZNS1_29radix_sort_onesweep_iterationIS3_Lb0EN6thrust23THRUST_200600_302600_NS6detail15normal_iteratorINS8_10device_ptrIsEEEESD_SD_SD_jNS0_19identity_decomposerENS1_16block_id_wrapperIjLb0EEEEE10hipError_tT1_PNSt15iterator_traitsISI_E10value_typeET2_T3_PNSJ_ISO_E10value_typeET4_T5_PST_SU_PNS1_23onesweep_lookback_stateEbbT6_jjT7_P12ihipStream_tbENKUlT_T0_SI_SN_E_clISD_SD_SD_SD_EEDaS11_S12_SI_SN_EUlS11_E_NS1_11comp_targetILNS1_3genE2ELNS1_11target_archE906ELNS1_3gpuE6ELNS1_3repE0EEENS1_47radix_sort_onesweep_sort_config_static_selectorELNS0_4arch9wavefront6targetE1EEEvSI_.has_dyn_sized_stack, 0
	.set _ZN7rocprim17ROCPRIM_400000_NS6detail17trampoline_kernelINS0_14default_configENS1_35radix_sort_onesweep_config_selectorIssEEZZNS1_29radix_sort_onesweep_iterationIS3_Lb0EN6thrust23THRUST_200600_302600_NS6detail15normal_iteratorINS8_10device_ptrIsEEEESD_SD_SD_jNS0_19identity_decomposerENS1_16block_id_wrapperIjLb0EEEEE10hipError_tT1_PNSt15iterator_traitsISI_E10value_typeET2_T3_PNSJ_ISO_E10value_typeET4_T5_PST_SU_PNS1_23onesweep_lookback_stateEbbT6_jjT7_P12ihipStream_tbENKUlT_T0_SI_SN_E_clISD_SD_SD_SD_EEDaS11_S12_SI_SN_EUlS11_E_NS1_11comp_targetILNS1_3genE2ELNS1_11target_archE906ELNS1_3gpuE6ELNS1_3repE0EEENS1_47radix_sort_onesweep_sort_config_static_selectorELNS0_4arch9wavefront6targetE1EEEvSI_.has_recursion, 0
	.set _ZN7rocprim17ROCPRIM_400000_NS6detail17trampoline_kernelINS0_14default_configENS1_35radix_sort_onesweep_config_selectorIssEEZZNS1_29radix_sort_onesweep_iterationIS3_Lb0EN6thrust23THRUST_200600_302600_NS6detail15normal_iteratorINS8_10device_ptrIsEEEESD_SD_SD_jNS0_19identity_decomposerENS1_16block_id_wrapperIjLb0EEEEE10hipError_tT1_PNSt15iterator_traitsISI_E10value_typeET2_T3_PNSJ_ISO_E10value_typeET4_T5_PST_SU_PNS1_23onesweep_lookback_stateEbbT6_jjT7_P12ihipStream_tbENKUlT_T0_SI_SN_E_clISD_SD_SD_SD_EEDaS11_S12_SI_SN_EUlS11_E_NS1_11comp_targetILNS1_3genE2ELNS1_11target_archE906ELNS1_3gpuE6ELNS1_3repE0EEENS1_47radix_sort_onesweep_sort_config_static_selectorELNS0_4arch9wavefront6targetE1EEEvSI_.has_indirect_call, 0
	.section	.AMDGPU.csdata,"",@progbits
; Kernel info:
; codeLenInByte = 0
; TotalNumSgprs: 6
; NumVgprs: 0
; NumAgprs: 0
; TotalNumVgprs: 0
; ScratchSize: 0
; MemoryBound: 0
; FloatMode: 240
; IeeeMode: 1
; LDSByteSize: 0 bytes/workgroup (compile time only)
; SGPRBlocks: 0
; VGPRBlocks: 0
; NumSGPRsForWavesPerEU: 6
; NumVGPRsForWavesPerEU: 1
; AccumOffset: 4
; Occupancy: 8
; WaveLimiterHint : 0
; COMPUTE_PGM_RSRC2:SCRATCH_EN: 0
; COMPUTE_PGM_RSRC2:USER_SGPR: 2
; COMPUTE_PGM_RSRC2:TRAP_HANDLER: 0
; COMPUTE_PGM_RSRC2:TGID_X_EN: 1
; COMPUTE_PGM_RSRC2:TGID_Y_EN: 0
; COMPUTE_PGM_RSRC2:TGID_Z_EN: 0
; COMPUTE_PGM_RSRC2:TIDIG_COMP_CNT: 0
; COMPUTE_PGM_RSRC3_GFX90A:ACCUM_OFFSET: 0
; COMPUTE_PGM_RSRC3_GFX90A:TG_SPLIT: 0
	.section	.text._ZN7rocprim17ROCPRIM_400000_NS6detail17trampoline_kernelINS0_14default_configENS1_35radix_sort_onesweep_config_selectorIssEEZZNS1_29radix_sort_onesweep_iterationIS3_Lb0EN6thrust23THRUST_200600_302600_NS6detail15normal_iteratorINS8_10device_ptrIsEEEESD_SD_SD_jNS0_19identity_decomposerENS1_16block_id_wrapperIjLb0EEEEE10hipError_tT1_PNSt15iterator_traitsISI_E10value_typeET2_T3_PNSJ_ISO_E10value_typeET4_T5_PST_SU_PNS1_23onesweep_lookback_stateEbbT6_jjT7_P12ihipStream_tbENKUlT_T0_SI_SN_E_clISD_SD_SD_SD_EEDaS11_S12_SI_SN_EUlS11_E_NS1_11comp_targetILNS1_3genE4ELNS1_11target_archE910ELNS1_3gpuE8ELNS1_3repE0EEENS1_47radix_sort_onesweep_sort_config_static_selectorELNS0_4arch9wavefront6targetE1EEEvSI_,"axG",@progbits,_ZN7rocprim17ROCPRIM_400000_NS6detail17trampoline_kernelINS0_14default_configENS1_35radix_sort_onesweep_config_selectorIssEEZZNS1_29radix_sort_onesweep_iterationIS3_Lb0EN6thrust23THRUST_200600_302600_NS6detail15normal_iteratorINS8_10device_ptrIsEEEESD_SD_SD_jNS0_19identity_decomposerENS1_16block_id_wrapperIjLb0EEEEE10hipError_tT1_PNSt15iterator_traitsISI_E10value_typeET2_T3_PNSJ_ISO_E10value_typeET4_T5_PST_SU_PNS1_23onesweep_lookback_stateEbbT6_jjT7_P12ihipStream_tbENKUlT_T0_SI_SN_E_clISD_SD_SD_SD_EEDaS11_S12_SI_SN_EUlS11_E_NS1_11comp_targetILNS1_3genE4ELNS1_11target_archE910ELNS1_3gpuE8ELNS1_3repE0EEENS1_47radix_sort_onesweep_sort_config_static_selectorELNS0_4arch9wavefront6targetE1EEEvSI_,comdat
	.protected	_ZN7rocprim17ROCPRIM_400000_NS6detail17trampoline_kernelINS0_14default_configENS1_35radix_sort_onesweep_config_selectorIssEEZZNS1_29radix_sort_onesweep_iterationIS3_Lb0EN6thrust23THRUST_200600_302600_NS6detail15normal_iteratorINS8_10device_ptrIsEEEESD_SD_SD_jNS0_19identity_decomposerENS1_16block_id_wrapperIjLb0EEEEE10hipError_tT1_PNSt15iterator_traitsISI_E10value_typeET2_T3_PNSJ_ISO_E10value_typeET4_T5_PST_SU_PNS1_23onesweep_lookback_stateEbbT6_jjT7_P12ihipStream_tbENKUlT_T0_SI_SN_E_clISD_SD_SD_SD_EEDaS11_S12_SI_SN_EUlS11_E_NS1_11comp_targetILNS1_3genE4ELNS1_11target_archE910ELNS1_3gpuE8ELNS1_3repE0EEENS1_47radix_sort_onesweep_sort_config_static_selectorELNS0_4arch9wavefront6targetE1EEEvSI_ ; -- Begin function _ZN7rocprim17ROCPRIM_400000_NS6detail17trampoline_kernelINS0_14default_configENS1_35radix_sort_onesweep_config_selectorIssEEZZNS1_29radix_sort_onesweep_iterationIS3_Lb0EN6thrust23THRUST_200600_302600_NS6detail15normal_iteratorINS8_10device_ptrIsEEEESD_SD_SD_jNS0_19identity_decomposerENS1_16block_id_wrapperIjLb0EEEEE10hipError_tT1_PNSt15iterator_traitsISI_E10value_typeET2_T3_PNSJ_ISO_E10value_typeET4_T5_PST_SU_PNS1_23onesweep_lookback_stateEbbT6_jjT7_P12ihipStream_tbENKUlT_T0_SI_SN_E_clISD_SD_SD_SD_EEDaS11_S12_SI_SN_EUlS11_E_NS1_11comp_targetILNS1_3genE4ELNS1_11target_archE910ELNS1_3gpuE8ELNS1_3repE0EEENS1_47radix_sort_onesweep_sort_config_static_selectorELNS0_4arch9wavefront6targetE1EEEvSI_
	.globl	_ZN7rocprim17ROCPRIM_400000_NS6detail17trampoline_kernelINS0_14default_configENS1_35radix_sort_onesweep_config_selectorIssEEZZNS1_29radix_sort_onesweep_iterationIS3_Lb0EN6thrust23THRUST_200600_302600_NS6detail15normal_iteratorINS8_10device_ptrIsEEEESD_SD_SD_jNS0_19identity_decomposerENS1_16block_id_wrapperIjLb0EEEEE10hipError_tT1_PNSt15iterator_traitsISI_E10value_typeET2_T3_PNSJ_ISO_E10value_typeET4_T5_PST_SU_PNS1_23onesweep_lookback_stateEbbT6_jjT7_P12ihipStream_tbENKUlT_T0_SI_SN_E_clISD_SD_SD_SD_EEDaS11_S12_SI_SN_EUlS11_E_NS1_11comp_targetILNS1_3genE4ELNS1_11target_archE910ELNS1_3gpuE8ELNS1_3repE0EEENS1_47radix_sort_onesweep_sort_config_static_selectorELNS0_4arch9wavefront6targetE1EEEvSI_
	.p2align	8
	.type	_ZN7rocprim17ROCPRIM_400000_NS6detail17trampoline_kernelINS0_14default_configENS1_35radix_sort_onesweep_config_selectorIssEEZZNS1_29radix_sort_onesweep_iterationIS3_Lb0EN6thrust23THRUST_200600_302600_NS6detail15normal_iteratorINS8_10device_ptrIsEEEESD_SD_SD_jNS0_19identity_decomposerENS1_16block_id_wrapperIjLb0EEEEE10hipError_tT1_PNSt15iterator_traitsISI_E10value_typeET2_T3_PNSJ_ISO_E10value_typeET4_T5_PST_SU_PNS1_23onesweep_lookback_stateEbbT6_jjT7_P12ihipStream_tbENKUlT_T0_SI_SN_E_clISD_SD_SD_SD_EEDaS11_S12_SI_SN_EUlS11_E_NS1_11comp_targetILNS1_3genE4ELNS1_11target_archE910ELNS1_3gpuE8ELNS1_3repE0EEENS1_47radix_sort_onesweep_sort_config_static_selectorELNS0_4arch9wavefront6targetE1EEEvSI_,@function
_ZN7rocprim17ROCPRIM_400000_NS6detail17trampoline_kernelINS0_14default_configENS1_35radix_sort_onesweep_config_selectorIssEEZZNS1_29radix_sort_onesweep_iterationIS3_Lb0EN6thrust23THRUST_200600_302600_NS6detail15normal_iteratorINS8_10device_ptrIsEEEESD_SD_SD_jNS0_19identity_decomposerENS1_16block_id_wrapperIjLb0EEEEE10hipError_tT1_PNSt15iterator_traitsISI_E10value_typeET2_T3_PNSJ_ISO_E10value_typeET4_T5_PST_SU_PNS1_23onesweep_lookback_stateEbbT6_jjT7_P12ihipStream_tbENKUlT_T0_SI_SN_E_clISD_SD_SD_SD_EEDaS11_S12_SI_SN_EUlS11_E_NS1_11comp_targetILNS1_3genE4ELNS1_11target_archE910ELNS1_3gpuE8ELNS1_3repE0EEENS1_47radix_sort_onesweep_sort_config_static_selectorELNS0_4arch9wavefront6targetE1EEEvSI_: ; @_ZN7rocprim17ROCPRIM_400000_NS6detail17trampoline_kernelINS0_14default_configENS1_35radix_sort_onesweep_config_selectorIssEEZZNS1_29radix_sort_onesweep_iterationIS3_Lb0EN6thrust23THRUST_200600_302600_NS6detail15normal_iteratorINS8_10device_ptrIsEEEESD_SD_SD_jNS0_19identity_decomposerENS1_16block_id_wrapperIjLb0EEEEE10hipError_tT1_PNSt15iterator_traitsISI_E10value_typeET2_T3_PNSJ_ISO_E10value_typeET4_T5_PST_SU_PNS1_23onesweep_lookback_stateEbbT6_jjT7_P12ihipStream_tbENKUlT_T0_SI_SN_E_clISD_SD_SD_SD_EEDaS11_S12_SI_SN_EUlS11_E_NS1_11comp_targetILNS1_3genE4ELNS1_11target_archE910ELNS1_3gpuE8ELNS1_3repE0EEENS1_47radix_sort_onesweep_sort_config_static_selectorELNS0_4arch9wavefront6targetE1EEEvSI_
; %bb.0:
	.section	.rodata,"a",@progbits
	.p2align	6, 0x0
	.amdhsa_kernel _ZN7rocprim17ROCPRIM_400000_NS6detail17trampoline_kernelINS0_14default_configENS1_35radix_sort_onesweep_config_selectorIssEEZZNS1_29radix_sort_onesweep_iterationIS3_Lb0EN6thrust23THRUST_200600_302600_NS6detail15normal_iteratorINS8_10device_ptrIsEEEESD_SD_SD_jNS0_19identity_decomposerENS1_16block_id_wrapperIjLb0EEEEE10hipError_tT1_PNSt15iterator_traitsISI_E10value_typeET2_T3_PNSJ_ISO_E10value_typeET4_T5_PST_SU_PNS1_23onesweep_lookback_stateEbbT6_jjT7_P12ihipStream_tbENKUlT_T0_SI_SN_E_clISD_SD_SD_SD_EEDaS11_S12_SI_SN_EUlS11_E_NS1_11comp_targetILNS1_3genE4ELNS1_11target_archE910ELNS1_3gpuE8ELNS1_3repE0EEENS1_47radix_sort_onesweep_sort_config_static_selectorELNS0_4arch9wavefront6targetE1EEEvSI_
		.amdhsa_group_segment_fixed_size 0
		.amdhsa_private_segment_fixed_size 0
		.amdhsa_kernarg_size 88
		.amdhsa_user_sgpr_count 2
		.amdhsa_user_sgpr_dispatch_ptr 0
		.amdhsa_user_sgpr_queue_ptr 0
		.amdhsa_user_sgpr_kernarg_segment_ptr 1
		.amdhsa_user_sgpr_dispatch_id 0
		.amdhsa_user_sgpr_kernarg_preload_length 0
		.amdhsa_user_sgpr_kernarg_preload_offset 0
		.amdhsa_user_sgpr_private_segment_size 0
		.amdhsa_uses_dynamic_stack 0
		.amdhsa_enable_private_segment 0
		.amdhsa_system_sgpr_workgroup_id_x 1
		.amdhsa_system_sgpr_workgroup_id_y 0
		.amdhsa_system_sgpr_workgroup_id_z 0
		.amdhsa_system_sgpr_workgroup_info 0
		.amdhsa_system_vgpr_workitem_id 0
		.amdhsa_next_free_vgpr 1
		.amdhsa_next_free_sgpr 0
		.amdhsa_accum_offset 4
		.amdhsa_reserve_vcc 0
		.amdhsa_float_round_mode_32 0
		.amdhsa_float_round_mode_16_64 0
		.amdhsa_float_denorm_mode_32 3
		.amdhsa_float_denorm_mode_16_64 3
		.amdhsa_dx10_clamp 1
		.amdhsa_ieee_mode 1
		.amdhsa_fp16_overflow 0
		.amdhsa_tg_split 0
		.amdhsa_exception_fp_ieee_invalid_op 0
		.amdhsa_exception_fp_denorm_src 0
		.amdhsa_exception_fp_ieee_div_zero 0
		.amdhsa_exception_fp_ieee_overflow 0
		.amdhsa_exception_fp_ieee_underflow 0
		.amdhsa_exception_fp_ieee_inexact 0
		.amdhsa_exception_int_div_zero 0
	.end_amdhsa_kernel
	.section	.text._ZN7rocprim17ROCPRIM_400000_NS6detail17trampoline_kernelINS0_14default_configENS1_35radix_sort_onesweep_config_selectorIssEEZZNS1_29radix_sort_onesweep_iterationIS3_Lb0EN6thrust23THRUST_200600_302600_NS6detail15normal_iteratorINS8_10device_ptrIsEEEESD_SD_SD_jNS0_19identity_decomposerENS1_16block_id_wrapperIjLb0EEEEE10hipError_tT1_PNSt15iterator_traitsISI_E10value_typeET2_T3_PNSJ_ISO_E10value_typeET4_T5_PST_SU_PNS1_23onesweep_lookback_stateEbbT6_jjT7_P12ihipStream_tbENKUlT_T0_SI_SN_E_clISD_SD_SD_SD_EEDaS11_S12_SI_SN_EUlS11_E_NS1_11comp_targetILNS1_3genE4ELNS1_11target_archE910ELNS1_3gpuE8ELNS1_3repE0EEENS1_47radix_sort_onesweep_sort_config_static_selectorELNS0_4arch9wavefront6targetE1EEEvSI_,"axG",@progbits,_ZN7rocprim17ROCPRIM_400000_NS6detail17trampoline_kernelINS0_14default_configENS1_35radix_sort_onesweep_config_selectorIssEEZZNS1_29radix_sort_onesweep_iterationIS3_Lb0EN6thrust23THRUST_200600_302600_NS6detail15normal_iteratorINS8_10device_ptrIsEEEESD_SD_SD_jNS0_19identity_decomposerENS1_16block_id_wrapperIjLb0EEEEE10hipError_tT1_PNSt15iterator_traitsISI_E10value_typeET2_T3_PNSJ_ISO_E10value_typeET4_T5_PST_SU_PNS1_23onesweep_lookback_stateEbbT6_jjT7_P12ihipStream_tbENKUlT_T0_SI_SN_E_clISD_SD_SD_SD_EEDaS11_S12_SI_SN_EUlS11_E_NS1_11comp_targetILNS1_3genE4ELNS1_11target_archE910ELNS1_3gpuE8ELNS1_3repE0EEENS1_47radix_sort_onesweep_sort_config_static_selectorELNS0_4arch9wavefront6targetE1EEEvSI_,comdat
.Lfunc_end1673:
	.size	_ZN7rocprim17ROCPRIM_400000_NS6detail17trampoline_kernelINS0_14default_configENS1_35radix_sort_onesweep_config_selectorIssEEZZNS1_29radix_sort_onesweep_iterationIS3_Lb0EN6thrust23THRUST_200600_302600_NS6detail15normal_iteratorINS8_10device_ptrIsEEEESD_SD_SD_jNS0_19identity_decomposerENS1_16block_id_wrapperIjLb0EEEEE10hipError_tT1_PNSt15iterator_traitsISI_E10value_typeET2_T3_PNSJ_ISO_E10value_typeET4_T5_PST_SU_PNS1_23onesweep_lookback_stateEbbT6_jjT7_P12ihipStream_tbENKUlT_T0_SI_SN_E_clISD_SD_SD_SD_EEDaS11_S12_SI_SN_EUlS11_E_NS1_11comp_targetILNS1_3genE4ELNS1_11target_archE910ELNS1_3gpuE8ELNS1_3repE0EEENS1_47radix_sort_onesweep_sort_config_static_selectorELNS0_4arch9wavefront6targetE1EEEvSI_, .Lfunc_end1673-_ZN7rocprim17ROCPRIM_400000_NS6detail17trampoline_kernelINS0_14default_configENS1_35radix_sort_onesweep_config_selectorIssEEZZNS1_29radix_sort_onesweep_iterationIS3_Lb0EN6thrust23THRUST_200600_302600_NS6detail15normal_iteratorINS8_10device_ptrIsEEEESD_SD_SD_jNS0_19identity_decomposerENS1_16block_id_wrapperIjLb0EEEEE10hipError_tT1_PNSt15iterator_traitsISI_E10value_typeET2_T3_PNSJ_ISO_E10value_typeET4_T5_PST_SU_PNS1_23onesweep_lookback_stateEbbT6_jjT7_P12ihipStream_tbENKUlT_T0_SI_SN_E_clISD_SD_SD_SD_EEDaS11_S12_SI_SN_EUlS11_E_NS1_11comp_targetILNS1_3genE4ELNS1_11target_archE910ELNS1_3gpuE8ELNS1_3repE0EEENS1_47radix_sort_onesweep_sort_config_static_selectorELNS0_4arch9wavefront6targetE1EEEvSI_
                                        ; -- End function
	.set _ZN7rocprim17ROCPRIM_400000_NS6detail17trampoline_kernelINS0_14default_configENS1_35radix_sort_onesweep_config_selectorIssEEZZNS1_29radix_sort_onesweep_iterationIS3_Lb0EN6thrust23THRUST_200600_302600_NS6detail15normal_iteratorINS8_10device_ptrIsEEEESD_SD_SD_jNS0_19identity_decomposerENS1_16block_id_wrapperIjLb0EEEEE10hipError_tT1_PNSt15iterator_traitsISI_E10value_typeET2_T3_PNSJ_ISO_E10value_typeET4_T5_PST_SU_PNS1_23onesweep_lookback_stateEbbT6_jjT7_P12ihipStream_tbENKUlT_T0_SI_SN_E_clISD_SD_SD_SD_EEDaS11_S12_SI_SN_EUlS11_E_NS1_11comp_targetILNS1_3genE4ELNS1_11target_archE910ELNS1_3gpuE8ELNS1_3repE0EEENS1_47radix_sort_onesweep_sort_config_static_selectorELNS0_4arch9wavefront6targetE1EEEvSI_.num_vgpr, 0
	.set _ZN7rocprim17ROCPRIM_400000_NS6detail17trampoline_kernelINS0_14default_configENS1_35radix_sort_onesweep_config_selectorIssEEZZNS1_29radix_sort_onesweep_iterationIS3_Lb0EN6thrust23THRUST_200600_302600_NS6detail15normal_iteratorINS8_10device_ptrIsEEEESD_SD_SD_jNS0_19identity_decomposerENS1_16block_id_wrapperIjLb0EEEEE10hipError_tT1_PNSt15iterator_traitsISI_E10value_typeET2_T3_PNSJ_ISO_E10value_typeET4_T5_PST_SU_PNS1_23onesweep_lookback_stateEbbT6_jjT7_P12ihipStream_tbENKUlT_T0_SI_SN_E_clISD_SD_SD_SD_EEDaS11_S12_SI_SN_EUlS11_E_NS1_11comp_targetILNS1_3genE4ELNS1_11target_archE910ELNS1_3gpuE8ELNS1_3repE0EEENS1_47radix_sort_onesweep_sort_config_static_selectorELNS0_4arch9wavefront6targetE1EEEvSI_.num_agpr, 0
	.set _ZN7rocprim17ROCPRIM_400000_NS6detail17trampoline_kernelINS0_14default_configENS1_35radix_sort_onesweep_config_selectorIssEEZZNS1_29radix_sort_onesweep_iterationIS3_Lb0EN6thrust23THRUST_200600_302600_NS6detail15normal_iteratorINS8_10device_ptrIsEEEESD_SD_SD_jNS0_19identity_decomposerENS1_16block_id_wrapperIjLb0EEEEE10hipError_tT1_PNSt15iterator_traitsISI_E10value_typeET2_T3_PNSJ_ISO_E10value_typeET4_T5_PST_SU_PNS1_23onesweep_lookback_stateEbbT6_jjT7_P12ihipStream_tbENKUlT_T0_SI_SN_E_clISD_SD_SD_SD_EEDaS11_S12_SI_SN_EUlS11_E_NS1_11comp_targetILNS1_3genE4ELNS1_11target_archE910ELNS1_3gpuE8ELNS1_3repE0EEENS1_47radix_sort_onesweep_sort_config_static_selectorELNS0_4arch9wavefront6targetE1EEEvSI_.numbered_sgpr, 0
	.set _ZN7rocprim17ROCPRIM_400000_NS6detail17trampoline_kernelINS0_14default_configENS1_35radix_sort_onesweep_config_selectorIssEEZZNS1_29radix_sort_onesweep_iterationIS3_Lb0EN6thrust23THRUST_200600_302600_NS6detail15normal_iteratorINS8_10device_ptrIsEEEESD_SD_SD_jNS0_19identity_decomposerENS1_16block_id_wrapperIjLb0EEEEE10hipError_tT1_PNSt15iterator_traitsISI_E10value_typeET2_T3_PNSJ_ISO_E10value_typeET4_T5_PST_SU_PNS1_23onesweep_lookback_stateEbbT6_jjT7_P12ihipStream_tbENKUlT_T0_SI_SN_E_clISD_SD_SD_SD_EEDaS11_S12_SI_SN_EUlS11_E_NS1_11comp_targetILNS1_3genE4ELNS1_11target_archE910ELNS1_3gpuE8ELNS1_3repE0EEENS1_47radix_sort_onesweep_sort_config_static_selectorELNS0_4arch9wavefront6targetE1EEEvSI_.num_named_barrier, 0
	.set _ZN7rocprim17ROCPRIM_400000_NS6detail17trampoline_kernelINS0_14default_configENS1_35radix_sort_onesweep_config_selectorIssEEZZNS1_29radix_sort_onesweep_iterationIS3_Lb0EN6thrust23THRUST_200600_302600_NS6detail15normal_iteratorINS8_10device_ptrIsEEEESD_SD_SD_jNS0_19identity_decomposerENS1_16block_id_wrapperIjLb0EEEEE10hipError_tT1_PNSt15iterator_traitsISI_E10value_typeET2_T3_PNSJ_ISO_E10value_typeET4_T5_PST_SU_PNS1_23onesweep_lookback_stateEbbT6_jjT7_P12ihipStream_tbENKUlT_T0_SI_SN_E_clISD_SD_SD_SD_EEDaS11_S12_SI_SN_EUlS11_E_NS1_11comp_targetILNS1_3genE4ELNS1_11target_archE910ELNS1_3gpuE8ELNS1_3repE0EEENS1_47radix_sort_onesweep_sort_config_static_selectorELNS0_4arch9wavefront6targetE1EEEvSI_.private_seg_size, 0
	.set _ZN7rocprim17ROCPRIM_400000_NS6detail17trampoline_kernelINS0_14default_configENS1_35radix_sort_onesweep_config_selectorIssEEZZNS1_29radix_sort_onesweep_iterationIS3_Lb0EN6thrust23THRUST_200600_302600_NS6detail15normal_iteratorINS8_10device_ptrIsEEEESD_SD_SD_jNS0_19identity_decomposerENS1_16block_id_wrapperIjLb0EEEEE10hipError_tT1_PNSt15iterator_traitsISI_E10value_typeET2_T3_PNSJ_ISO_E10value_typeET4_T5_PST_SU_PNS1_23onesweep_lookback_stateEbbT6_jjT7_P12ihipStream_tbENKUlT_T0_SI_SN_E_clISD_SD_SD_SD_EEDaS11_S12_SI_SN_EUlS11_E_NS1_11comp_targetILNS1_3genE4ELNS1_11target_archE910ELNS1_3gpuE8ELNS1_3repE0EEENS1_47radix_sort_onesweep_sort_config_static_selectorELNS0_4arch9wavefront6targetE1EEEvSI_.uses_vcc, 0
	.set _ZN7rocprim17ROCPRIM_400000_NS6detail17trampoline_kernelINS0_14default_configENS1_35radix_sort_onesweep_config_selectorIssEEZZNS1_29radix_sort_onesweep_iterationIS3_Lb0EN6thrust23THRUST_200600_302600_NS6detail15normal_iteratorINS8_10device_ptrIsEEEESD_SD_SD_jNS0_19identity_decomposerENS1_16block_id_wrapperIjLb0EEEEE10hipError_tT1_PNSt15iterator_traitsISI_E10value_typeET2_T3_PNSJ_ISO_E10value_typeET4_T5_PST_SU_PNS1_23onesweep_lookback_stateEbbT6_jjT7_P12ihipStream_tbENKUlT_T0_SI_SN_E_clISD_SD_SD_SD_EEDaS11_S12_SI_SN_EUlS11_E_NS1_11comp_targetILNS1_3genE4ELNS1_11target_archE910ELNS1_3gpuE8ELNS1_3repE0EEENS1_47radix_sort_onesweep_sort_config_static_selectorELNS0_4arch9wavefront6targetE1EEEvSI_.uses_flat_scratch, 0
	.set _ZN7rocprim17ROCPRIM_400000_NS6detail17trampoline_kernelINS0_14default_configENS1_35radix_sort_onesweep_config_selectorIssEEZZNS1_29radix_sort_onesweep_iterationIS3_Lb0EN6thrust23THRUST_200600_302600_NS6detail15normal_iteratorINS8_10device_ptrIsEEEESD_SD_SD_jNS0_19identity_decomposerENS1_16block_id_wrapperIjLb0EEEEE10hipError_tT1_PNSt15iterator_traitsISI_E10value_typeET2_T3_PNSJ_ISO_E10value_typeET4_T5_PST_SU_PNS1_23onesweep_lookback_stateEbbT6_jjT7_P12ihipStream_tbENKUlT_T0_SI_SN_E_clISD_SD_SD_SD_EEDaS11_S12_SI_SN_EUlS11_E_NS1_11comp_targetILNS1_3genE4ELNS1_11target_archE910ELNS1_3gpuE8ELNS1_3repE0EEENS1_47radix_sort_onesweep_sort_config_static_selectorELNS0_4arch9wavefront6targetE1EEEvSI_.has_dyn_sized_stack, 0
	.set _ZN7rocprim17ROCPRIM_400000_NS6detail17trampoline_kernelINS0_14default_configENS1_35radix_sort_onesweep_config_selectorIssEEZZNS1_29radix_sort_onesweep_iterationIS3_Lb0EN6thrust23THRUST_200600_302600_NS6detail15normal_iteratorINS8_10device_ptrIsEEEESD_SD_SD_jNS0_19identity_decomposerENS1_16block_id_wrapperIjLb0EEEEE10hipError_tT1_PNSt15iterator_traitsISI_E10value_typeET2_T3_PNSJ_ISO_E10value_typeET4_T5_PST_SU_PNS1_23onesweep_lookback_stateEbbT6_jjT7_P12ihipStream_tbENKUlT_T0_SI_SN_E_clISD_SD_SD_SD_EEDaS11_S12_SI_SN_EUlS11_E_NS1_11comp_targetILNS1_3genE4ELNS1_11target_archE910ELNS1_3gpuE8ELNS1_3repE0EEENS1_47radix_sort_onesweep_sort_config_static_selectorELNS0_4arch9wavefront6targetE1EEEvSI_.has_recursion, 0
	.set _ZN7rocprim17ROCPRIM_400000_NS6detail17trampoline_kernelINS0_14default_configENS1_35radix_sort_onesweep_config_selectorIssEEZZNS1_29radix_sort_onesweep_iterationIS3_Lb0EN6thrust23THRUST_200600_302600_NS6detail15normal_iteratorINS8_10device_ptrIsEEEESD_SD_SD_jNS0_19identity_decomposerENS1_16block_id_wrapperIjLb0EEEEE10hipError_tT1_PNSt15iterator_traitsISI_E10value_typeET2_T3_PNSJ_ISO_E10value_typeET4_T5_PST_SU_PNS1_23onesweep_lookback_stateEbbT6_jjT7_P12ihipStream_tbENKUlT_T0_SI_SN_E_clISD_SD_SD_SD_EEDaS11_S12_SI_SN_EUlS11_E_NS1_11comp_targetILNS1_3genE4ELNS1_11target_archE910ELNS1_3gpuE8ELNS1_3repE0EEENS1_47radix_sort_onesweep_sort_config_static_selectorELNS0_4arch9wavefront6targetE1EEEvSI_.has_indirect_call, 0
	.section	.AMDGPU.csdata,"",@progbits
; Kernel info:
; codeLenInByte = 0
; TotalNumSgprs: 6
; NumVgprs: 0
; NumAgprs: 0
; TotalNumVgprs: 0
; ScratchSize: 0
; MemoryBound: 0
; FloatMode: 240
; IeeeMode: 1
; LDSByteSize: 0 bytes/workgroup (compile time only)
; SGPRBlocks: 0
; VGPRBlocks: 0
; NumSGPRsForWavesPerEU: 6
; NumVGPRsForWavesPerEU: 1
; AccumOffset: 4
; Occupancy: 8
; WaveLimiterHint : 0
; COMPUTE_PGM_RSRC2:SCRATCH_EN: 0
; COMPUTE_PGM_RSRC2:USER_SGPR: 2
; COMPUTE_PGM_RSRC2:TRAP_HANDLER: 0
; COMPUTE_PGM_RSRC2:TGID_X_EN: 1
; COMPUTE_PGM_RSRC2:TGID_Y_EN: 0
; COMPUTE_PGM_RSRC2:TGID_Z_EN: 0
; COMPUTE_PGM_RSRC2:TIDIG_COMP_CNT: 0
; COMPUTE_PGM_RSRC3_GFX90A:ACCUM_OFFSET: 0
; COMPUTE_PGM_RSRC3_GFX90A:TG_SPLIT: 0
	.section	.text._ZN7rocprim17ROCPRIM_400000_NS6detail17trampoline_kernelINS0_14default_configENS1_35radix_sort_onesweep_config_selectorIssEEZZNS1_29radix_sort_onesweep_iterationIS3_Lb0EN6thrust23THRUST_200600_302600_NS6detail15normal_iteratorINS8_10device_ptrIsEEEESD_SD_SD_jNS0_19identity_decomposerENS1_16block_id_wrapperIjLb0EEEEE10hipError_tT1_PNSt15iterator_traitsISI_E10value_typeET2_T3_PNSJ_ISO_E10value_typeET4_T5_PST_SU_PNS1_23onesweep_lookback_stateEbbT6_jjT7_P12ihipStream_tbENKUlT_T0_SI_SN_E_clISD_SD_SD_SD_EEDaS11_S12_SI_SN_EUlS11_E_NS1_11comp_targetILNS1_3genE3ELNS1_11target_archE908ELNS1_3gpuE7ELNS1_3repE0EEENS1_47radix_sort_onesweep_sort_config_static_selectorELNS0_4arch9wavefront6targetE1EEEvSI_,"axG",@progbits,_ZN7rocprim17ROCPRIM_400000_NS6detail17trampoline_kernelINS0_14default_configENS1_35radix_sort_onesweep_config_selectorIssEEZZNS1_29radix_sort_onesweep_iterationIS3_Lb0EN6thrust23THRUST_200600_302600_NS6detail15normal_iteratorINS8_10device_ptrIsEEEESD_SD_SD_jNS0_19identity_decomposerENS1_16block_id_wrapperIjLb0EEEEE10hipError_tT1_PNSt15iterator_traitsISI_E10value_typeET2_T3_PNSJ_ISO_E10value_typeET4_T5_PST_SU_PNS1_23onesweep_lookback_stateEbbT6_jjT7_P12ihipStream_tbENKUlT_T0_SI_SN_E_clISD_SD_SD_SD_EEDaS11_S12_SI_SN_EUlS11_E_NS1_11comp_targetILNS1_3genE3ELNS1_11target_archE908ELNS1_3gpuE7ELNS1_3repE0EEENS1_47radix_sort_onesweep_sort_config_static_selectorELNS0_4arch9wavefront6targetE1EEEvSI_,comdat
	.protected	_ZN7rocprim17ROCPRIM_400000_NS6detail17trampoline_kernelINS0_14default_configENS1_35radix_sort_onesweep_config_selectorIssEEZZNS1_29radix_sort_onesweep_iterationIS3_Lb0EN6thrust23THRUST_200600_302600_NS6detail15normal_iteratorINS8_10device_ptrIsEEEESD_SD_SD_jNS0_19identity_decomposerENS1_16block_id_wrapperIjLb0EEEEE10hipError_tT1_PNSt15iterator_traitsISI_E10value_typeET2_T3_PNSJ_ISO_E10value_typeET4_T5_PST_SU_PNS1_23onesweep_lookback_stateEbbT6_jjT7_P12ihipStream_tbENKUlT_T0_SI_SN_E_clISD_SD_SD_SD_EEDaS11_S12_SI_SN_EUlS11_E_NS1_11comp_targetILNS1_3genE3ELNS1_11target_archE908ELNS1_3gpuE7ELNS1_3repE0EEENS1_47radix_sort_onesweep_sort_config_static_selectorELNS0_4arch9wavefront6targetE1EEEvSI_ ; -- Begin function _ZN7rocprim17ROCPRIM_400000_NS6detail17trampoline_kernelINS0_14default_configENS1_35radix_sort_onesweep_config_selectorIssEEZZNS1_29radix_sort_onesweep_iterationIS3_Lb0EN6thrust23THRUST_200600_302600_NS6detail15normal_iteratorINS8_10device_ptrIsEEEESD_SD_SD_jNS0_19identity_decomposerENS1_16block_id_wrapperIjLb0EEEEE10hipError_tT1_PNSt15iterator_traitsISI_E10value_typeET2_T3_PNSJ_ISO_E10value_typeET4_T5_PST_SU_PNS1_23onesweep_lookback_stateEbbT6_jjT7_P12ihipStream_tbENKUlT_T0_SI_SN_E_clISD_SD_SD_SD_EEDaS11_S12_SI_SN_EUlS11_E_NS1_11comp_targetILNS1_3genE3ELNS1_11target_archE908ELNS1_3gpuE7ELNS1_3repE0EEENS1_47radix_sort_onesweep_sort_config_static_selectorELNS0_4arch9wavefront6targetE1EEEvSI_
	.globl	_ZN7rocprim17ROCPRIM_400000_NS6detail17trampoline_kernelINS0_14default_configENS1_35radix_sort_onesweep_config_selectorIssEEZZNS1_29radix_sort_onesweep_iterationIS3_Lb0EN6thrust23THRUST_200600_302600_NS6detail15normal_iteratorINS8_10device_ptrIsEEEESD_SD_SD_jNS0_19identity_decomposerENS1_16block_id_wrapperIjLb0EEEEE10hipError_tT1_PNSt15iterator_traitsISI_E10value_typeET2_T3_PNSJ_ISO_E10value_typeET4_T5_PST_SU_PNS1_23onesweep_lookback_stateEbbT6_jjT7_P12ihipStream_tbENKUlT_T0_SI_SN_E_clISD_SD_SD_SD_EEDaS11_S12_SI_SN_EUlS11_E_NS1_11comp_targetILNS1_3genE3ELNS1_11target_archE908ELNS1_3gpuE7ELNS1_3repE0EEENS1_47radix_sort_onesweep_sort_config_static_selectorELNS0_4arch9wavefront6targetE1EEEvSI_
	.p2align	8
	.type	_ZN7rocprim17ROCPRIM_400000_NS6detail17trampoline_kernelINS0_14default_configENS1_35radix_sort_onesweep_config_selectorIssEEZZNS1_29radix_sort_onesweep_iterationIS3_Lb0EN6thrust23THRUST_200600_302600_NS6detail15normal_iteratorINS8_10device_ptrIsEEEESD_SD_SD_jNS0_19identity_decomposerENS1_16block_id_wrapperIjLb0EEEEE10hipError_tT1_PNSt15iterator_traitsISI_E10value_typeET2_T3_PNSJ_ISO_E10value_typeET4_T5_PST_SU_PNS1_23onesweep_lookback_stateEbbT6_jjT7_P12ihipStream_tbENKUlT_T0_SI_SN_E_clISD_SD_SD_SD_EEDaS11_S12_SI_SN_EUlS11_E_NS1_11comp_targetILNS1_3genE3ELNS1_11target_archE908ELNS1_3gpuE7ELNS1_3repE0EEENS1_47radix_sort_onesweep_sort_config_static_selectorELNS0_4arch9wavefront6targetE1EEEvSI_,@function
_ZN7rocprim17ROCPRIM_400000_NS6detail17trampoline_kernelINS0_14default_configENS1_35radix_sort_onesweep_config_selectorIssEEZZNS1_29radix_sort_onesweep_iterationIS3_Lb0EN6thrust23THRUST_200600_302600_NS6detail15normal_iteratorINS8_10device_ptrIsEEEESD_SD_SD_jNS0_19identity_decomposerENS1_16block_id_wrapperIjLb0EEEEE10hipError_tT1_PNSt15iterator_traitsISI_E10value_typeET2_T3_PNSJ_ISO_E10value_typeET4_T5_PST_SU_PNS1_23onesweep_lookback_stateEbbT6_jjT7_P12ihipStream_tbENKUlT_T0_SI_SN_E_clISD_SD_SD_SD_EEDaS11_S12_SI_SN_EUlS11_E_NS1_11comp_targetILNS1_3genE3ELNS1_11target_archE908ELNS1_3gpuE7ELNS1_3repE0EEENS1_47radix_sort_onesweep_sort_config_static_selectorELNS0_4arch9wavefront6targetE1EEEvSI_: ; @_ZN7rocprim17ROCPRIM_400000_NS6detail17trampoline_kernelINS0_14default_configENS1_35radix_sort_onesweep_config_selectorIssEEZZNS1_29radix_sort_onesweep_iterationIS3_Lb0EN6thrust23THRUST_200600_302600_NS6detail15normal_iteratorINS8_10device_ptrIsEEEESD_SD_SD_jNS0_19identity_decomposerENS1_16block_id_wrapperIjLb0EEEEE10hipError_tT1_PNSt15iterator_traitsISI_E10value_typeET2_T3_PNSJ_ISO_E10value_typeET4_T5_PST_SU_PNS1_23onesweep_lookback_stateEbbT6_jjT7_P12ihipStream_tbENKUlT_T0_SI_SN_E_clISD_SD_SD_SD_EEDaS11_S12_SI_SN_EUlS11_E_NS1_11comp_targetILNS1_3genE3ELNS1_11target_archE908ELNS1_3gpuE7ELNS1_3repE0EEENS1_47radix_sort_onesweep_sort_config_static_selectorELNS0_4arch9wavefront6targetE1EEEvSI_
; %bb.0:
	.section	.rodata,"a",@progbits
	.p2align	6, 0x0
	.amdhsa_kernel _ZN7rocprim17ROCPRIM_400000_NS6detail17trampoline_kernelINS0_14default_configENS1_35radix_sort_onesweep_config_selectorIssEEZZNS1_29radix_sort_onesweep_iterationIS3_Lb0EN6thrust23THRUST_200600_302600_NS6detail15normal_iteratorINS8_10device_ptrIsEEEESD_SD_SD_jNS0_19identity_decomposerENS1_16block_id_wrapperIjLb0EEEEE10hipError_tT1_PNSt15iterator_traitsISI_E10value_typeET2_T3_PNSJ_ISO_E10value_typeET4_T5_PST_SU_PNS1_23onesweep_lookback_stateEbbT6_jjT7_P12ihipStream_tbENKUlT_T0_SI_SN_E_clISD_SD_SD_SD_EEDaS11_S12_SI_SN_EUlS11_E_NS1_11comp_targetILNS1_3genE3ELNS1_11target_archE908ELNS1_3gpuE7ELNS1_3repE0EEENS1_47radix_sort_onesweep_sort_config_static_selectorELNS0_4arch9wavefront6targetE1EEEvSI_
		.amdhsa_group_segment_fixed_size 0
		.amdhsa_private_segment_fixed_size 0
		.amdhsa_kernarg_size 88
		.amdhsa_user_sgpr_count 2
		.amdhsa_user_sgpr_dispatch_ptr 0
		.amdhsa_user_sgpr_queue_ptr 0
		.amdhsa_user_sgpr_kernarg_segment_ptr 1
		.amdhsa_user_sgpr_dispatch_id 0
		.amdhsa_user_sgpr_kernarg_preload_length 0
		.amdhsa_user_sgpr_kernarg_preload_offset 0
		.amdhsa_user_sgpr_private_segment_size 0
		.amdhsa_uses_dynamic_stack 0
		.amdhsa_enable_private_segment 0
		.amdhsa_system_sgpr_workgroup_id_x 1
		.amdhsa_system_sgpr_workgroup_id_y 0
		.amdhsa_system_sgpr_workgroup_id_z 0
		.amdhsa_system_sgpr_workgroup_info 0
		.amdhsa_system_vgpr_workitem_id 0
		.amdhsa_next_free_vgpr 1
		.amdhsa_next_free_sgpr 0
		.amdhsa_accum_offset 4
		.amdhsa_reserve_vcc 0
		.amdhsa_float_round_mode_32 0
		.amdhsa_float_round_mode_16_64 0
		.amdhsa_float_denorm_mode_32 3
		.amdhsa_float_denorm_mode_16_64 3
		.amdhsa_dx10_clamp 1
		.amdhsa_ieee_mode 1
		.amdhsa_fp16_overflow 0
		.amdhsa_tg_split 0
		.amdhsa_exception_fp_ieee_invalid_op 0
		.amdhsa_exception_fp_denorm_src 0
		.amdhsa_exception_fp_ieee_div_zero 0
		.amdhsa_exception_fp_ieee_overflow 0
		.amdhsa_exception_fp_ieee_underflow 0
		.amdhsa_exception_fp_ieee_inexact 0
		.amdhsa_exception_int_div_zero 0
	.end_amdhsa_kernel
	.section	.text._ZN7rocprim17ROCPRIM_400000_NS6detail17trampoline_kernelINS0_14default_configENS1_35radix_sort_onesweep_config_selectorIssEEZZNS1_29radix_sort_onesweep_iterationIS3_Lb0EN6thrust23THRUST_200600_302600_NS6detail15normal_iteratorINS8_10device_ptrIsEEEESD_SD_SD_jNS0_19identity_decomposerENS1_16block_id_wrapperIjLb0EEEEE10hipError_tT1_PNSt15iterator_traitsISI_E10value_typeET2_T3_PNSJ_ISO_E10value_typeET4_T5_PST_SU_PNS1_23onesweep_lookback_stateEbbT6_jjT7_P12ihipStream_tbENKUlT_T0_SI_SN_E_clISD_SD_SD_SD_EEDaS11_S12_SI_SN_EUlS11_E_NS1_11comp_targetILNS1_3genE3ELNS1_11target_archE908ELNS1_3gpuE7ELNS1_3repE0EEENS1_47radix_sort_onesweep_sort_config_static_selectorELNS0_4arch9wavefront6targetE1EEEvSI_,"axG",@progbits,_ZN7rocprim17ROCPRIM_400000_NS6detail17trampoline_kernelINS0_14default_configENS1_35radix_sort_onesweep_config_selectorIssEEZZNS1_29radix_sort_onesweep_iterationIS3_Lb0EN6thrust23THRUST_200600_302600_NS6detail15normal_iteratorINS8_10device_ptrIsEEEESD_SD_SD_jNS0_19identity_decomposerENS1_16block_id_wrapperIjLb0EEEEE10hipError_tT1_PNSt15iterator_traitsISI_E10value_typeET2_T3_PNSJ_ISO_E10value_typeET4_T5_PST_SU_PNS1_23onesweep_lookback_stateEbbT6_jjT7_P12ihipStream_tbENKUlT_T0_SI_SN_E_clISD_SD_SD_SD_EEDaS11_S12_SI_SN_EUlS11_E_NS1_11comp_targetILNS1_3genE3ELNS1_11target_archE908ELNS1_3gpuE7ELNS1_3repE0EEENS1_47radix_sort_onesweep_sort_config_static_selectorELNS0_4arch9wavefront6targetE1EEEvSI_,comdat
.Lfunc_end1674:
	.size	_ZN7rocprim17ROCPRIM_400000_NS6detail17trampoline_kernelINS0_14default_configENS1_35radix_sort_onesweep_config_selectorIssEEZZNS1_29radix_sort_onesweep_iterationIS3_Lb0EN6thrust23THRUST_200600_302600_NS6detail15normal_iteratorINS8_10device_ptrIsEEEESD_SD_SD_jNS0_19identity_decomposerENS1_16block_id_wrapperIjLb0EEEEE10hipError_tT1_PNSt15iterator_traitsISI_E10value_typeET2_T3_PNSJ_ISO_E10value_typeET4_T5_PST_SU_PNS1_23onesweep_lookback_stateEbbT6_jjT7_P12ihipStream_tbENKUlT_T0_SI_SN_E_clISD_SD_SD_SD_EEDaS11_S12_SI_SN_EUlS11_E_NS1_11comp_targetILNS1_3genE3ELNS1_11target_archE908ELNS1_3gpuE7ELNS1_3repE0EEENS1_47radix_sort_onesweep_sort_config_static_selectorELNS0_4arch9wavefront6targetE1EEEvSI_, .Lfunc_end1674-_ZN7rocprim17ROCPRIM_400000_NS6detail17trampoline_kernelINS0_14default_configENS1_35radix_sort_onesweep_config_selectorIssEEZZNS1_29radix_sort_onesweep_iterationIS3_Lb0EN6thrust23THRUST_200600_302600_NS6detail15normal_iteratorINS8_10device_ptrIsEEEESD_SD_SD_jNS0_19identity_decomposerENS1_16block_id_wrapperIjLb0EEEEE10hipError_tT1_PNSt15iterator_traitsISI_E10value_typeET2_T3_PNSJ_ISO_E10value_typeET4_T5_PST_SU_PNS1_23onesweep_lookback_stateEbbT6_jjT7_P12ihipStream_tbENKUlT_T0_SI_SN_E_clISD_SD_SD_SD_EEDaS11_S12_SI_SN_EUlS11_E_NS1_11comp_targetILNS1_3genE3ELNS1_11target_archE908ELNS1_3gpuE7ELNS1_3repE0EEENS1_47radix_sort_onesweep_sort_config_static_selectorELNS0_4arch9wavefront6targetE1EEEvSI_
                                        ; -- End function
	.set _ZN7rocprim17ROCPRIM_400000_NS6detail17trampoline_kernelINS0_14default_configENS1_35radix_sort_onesweep_config_selectorIssEEZZNS1_29radix_sort_onesweep_iterationIS3_Lb0EN6thrust23THRUST_200600_302600_NS6detail15normal_iteratorINS8_10device_ptrIsEEEESD_SD_SD_jNS0_19identity_decomposerENS1_16block_id_wrapperIjLb0EEEEE10hipError_tT1_PNSt15iterator_traitsISI_E10value_typeET2_T3_PNSJ_ISO_E10value_typeET4_T5_PST_SU_PNS1_23onesweep_lookback_stateEbbT6_jjT7_P12ihipStream_tbENKUlT_T0_SI_SN_E_clISD_SD_SD_SD_EEDaS11_S12_SI_SN_EUlS11_E_NS1_11comp_targetILNS1_3genE3ELNS1_11target_archE908ELNS1_3gpuE7ELNS1_3repE0EEENS1_47radix_sort_onesweep_sort_config_static_selectorELNS0_4arch9wavefront6targetE1EEEvSI_.num_vgpr, 0
	.set _ZN7rocprim17ROCPRIM_400000_NS6detail17trampoline_kernelINS0_14default_configENS1_35radix_sort_onesweep_config_selectorIssEEZZNS1_29radix_sort_onesweep_iterationIS3_Lb0EN6thrust23THRUST_200600_302600_NS6detail15normal_iteratorINS8_10device_ptrIsEEEESD_SD_SD_jNS0_19identity_decomposerENS1_16block_id_wrapperIjLb0EEEEE10hipError_tT1_PNSt15iterator_traitsISI_E10value_typeET2_T3_PNSJ_ISO_E10value_typeET4_T5_PST_SU_PNS1_23onesweep_lookback_stateEbbT6_jjT7_P12ihipStream_tbENKUlT_T0_SI_SN_E_clISD_SD_SD_SD_EEDaS11_S12_SI_SN_EUlS11_E_NS1_11comp_targetILNS1_3genE3ELNS1_11target_archE908ELNS1_3gpuE7ELNS1_3repE0EEENS1_47radix_sort_onesweep_sort_config_static_selectorELNS0_4arch9wavefront6targetE1EEEvSI_.num_agpr, 0
	.set _ZN7rocprim17ROCPRIM_400000_NS6detail17trampoline_kernelINS0_14default_configENS1_35radix_sort_onesweep_config_selectorIssEEZZNS1_29radix_sort_onesweep_iterationIS3_Lb0EN6thrust23THRUST_200600_302600_NS6detail15normal_iteratorINS8_10device_ptrIsEEEESD_SD_SD_jNS0_19identity_decomposerENS1_16block_id_wrapperIjLb0EEEEE10hipError_tT1_PNSt15iterator_traitsISI_E10value_typeET2_T3_PNSJ_ISO_E10value_typeET4_T5_PST_SU_PNS1_23onesweep_lookback_stateEbbT6_jjT7_P12ihipStream_tbENKUlT_T0_SI_SN_E_clISD_SD_SD_SD_EEDaS11_S12_SI_SN_EUlS11_E_NS1_11comp_targetILNS1_3genE3ELNS1_11target_archE908ELNS1_3gpuE7ELNS1_3repE0EEENS1_47radix_sort_onesweep_sort_config_static_selectorELNS0_4arch9wavefront6targetE1EEEvSI_.numbered_sgpr, 0
	.set _ZN7rocprim17ROCPRIM_400000_NS6detail17trampoline_kernelINS0_14default_configENS1_35radix_sort_onesweep_config_selectorIssEEZZNS1_29radix_sort_onesweep_iterationIS3_Lb0EN6thrust23THRUST_200600_302600_NS6detail15normal_iteratorINS8_10device_ptrIsEEEESD_SD_SD_jNS0_19identity_decomposerENS1_16block_id_wrapperIjLb0EEEEE10hipError_tT1_PNSt15iterator_traitsISI_E10value_typeET2_T3_PNSJ_ISO_E10value_typeET4_T5_PST_SU_PNS1_23onesweep_lookback_stateEbbT6_jjT7_P12ihipStream_tbENKUlT_T0_SI_SN_E_clISD_SD_SD_SD_EEDaS11_S12_SI_SN_EUlS11_E_NS1_11comp_targetILNS1_3genE3ELNS1_11target_archE908ELNS1_3gpuE7ELNS1_3repE0EEENS1_47radix_sort_onesweep_sort_config_static_selectorELNS0_4arch9wavefront6targetE1EEEvSI_.num_named_barrier, 0
	.set _ZN7rocprim17ROCPRIM_400000_NS6detail17trampoline_kernelINS0_14default_configENS1_35radix_sort_onesweep_config_selectorIssEEZZNS1_29radix_sort_onesweep_iterationIS3_Lb0EN6thrust23THRUST_200600_302600_NS6detail15normal_iteratorINS8_10device_ptrIsEEEESD_SD_SD_jNS0_19identity_decomposerENS1_16block_id_wrapperIjLb0EEEEE10hipError_tT1_PNSt15iterator_traitsISI_E10value_typeET2_T3_PNSJ_ISO_E10value_typeET4_T5_PST_SU_PNS1_23onesweep_lookback_stateEbbT6_jjT7_P12ihipStream_tbENKUlT_T0_SI_SN_E_clISD_SD_SD_SD_EEDaS11_S12_SI_SN_EUlS11_E_NS1_11comp_targetILNS1_3genE3ELNS1_11target_archE908ELNS1_3gpuE7ELNS1_3repE0EEENS1_47radix_sort_onesweep_sort_config_static_selectorELNS0_4arch9wavefront6targetE1EEEvSI_.private_seg_size, 0
	.set _ZN7rocprim17ROCPRIM_400000_NS6detail17trampoline_kernelINS0_14default_configENS1_35radix_sort_onesweep_config_selectorIssEEZZNS1_29radix_sort_onesweep_iterationIS3_Lb0EN6thrust23THRUST_200600_302600_NS6detail15normal_iteratorINS8_10device_ptrIsEEEESD_SD_SD_jNS0_19identity_decomposerENS1_16block_id_wrapperIjLb0EEEEE10hipError_tT1_PNSt15iterator_traitsISI_E10value_typeET2_T3_PNSJ_ISO_E10value_typeET4_T5_PST_SU_PNS1_23onesweep_lookback_stateEbbT6_jjT7_P12ihipStream_tbENKUlT_T0_SI_SN_E_clISD_SD_SD_SD_EEDaS11_S12_SI_SN_EUlS11_E_NS1_11comp_targetILNS1_3genE3ELNS1_11target_archE908ELNS1_3gpuE7ELNS1_3repE0EEENS1_47radix_sort_onesweep_sort_config_static_selectorELNS0_4arch9wavefront6targetE1EEEvSI_.uses_vcc, 0
	.set _ZN7rocprim17ROCPRIM_400000_NS6detail17trampoline_kernelINS0_14default_configENS1_35radix_sort_onesweep_config_selectorIssEEZZNS1_29radix_sort_onesweep_iterationIS3_Lb0EN6thrust23THRUST_200600_302600_NS6detail15normal_iteratorINS8_10device_ptrIsEEEESD_SD_SD_jNS0_19identity_decomposerENS1_16block_id_wrapperIjLb0EEEEE10hipError_tT1_PNSt15iterator_traitsISI_E10value_typeET2_T3_PNSJ_ISO_E10value_typeET4_T5_PST_SU_PNS1_23onesweep_lookback_stateEbbT6_jjT7_P12ihipStream_tbENKUlT_T0_SI_SN_E_clISD_SD_SD_SD_EEDaS11_S12_SI_SN_EUlS11_E_NS1_11comp_targetILNS1_3genE3ELNS1_11target_archE908ELNS1_3gpuE7ELNS1_3repE0EEENS1_47radix_sort_onesweep_sort_config_static_selectorELNS0_4arch9wavefront6targetE1EEEvSI_.uses_flat_scratch, 0
	.set _ZN7rocprim17ROCPRIM_400000_NS6detail17trampoline_kernelINS0_14default_configENS1_35radix_sort_onesweep_config_selectorIssEEZZNS1_29radix_sort_onesweep_iterationIS3_Lb0EN6thrust23THRUST_200600_302600_NS6detail15normal_iteratorINS8_10device_ptrIsEEEESD_SD_SD_jNS0_19identity_decomposerENS1_16block_id_wrapperIjLb0EEEEE10hipError_tT1_PNSt15iterator_traitsISI_E10value_typeET2_T3_PNSJ_ISO_E10value_typeET4_T5_PST_SU_PNS1_23onesweep_lookback_stateEbbT6_jjT7_P12ihipStream_tbENKUlT_T0_SI_SN_E_clISD_SD_SD_SD_EEDaS11_S12_SI_SN_EUlS11_E_NS1_11comp_targetILNS1_3genE3ELNS1_11target_archE908ELNS1_3gpuE7ELNS1_3repE0EEENS1_47radix_sort_onesweep_sort_config_static_selectorELNS0_4arch9wavefront6targetE1EEEvSI_.has_dyn_sized_stack, 0
	.set _ZN7rocprim17ROCPRIM_400000_NS6detail17trampoline_kernelINS0_14default_configENS1_35radix_sort_onesweep_config_selectorIssEEZZNS1_29radix_sort_onesweep_iterationIS3_Lb0EN6thrust23THRUST_200600_302600_NS6detail15normal_iteratorINS8_10device_ptrIsEEEESD_SD_SD_jNS0_19identity_decomposerENS1_16block_id_wrapperIjLb0EEEEE10hipError_tT1_PNSt15iterator_traitsISI_E10value_typeET2_T3_PNSJ_ISO_E10value_typeET4_T5_PST_SU_PNS1_23onesweep_lookback_stateEbbT6_jjT7_P12ihipStream_tbENKUlT_T0_SI_SN_E_clISD_SD_SD_SD_EEDaS11_S12_SI_SN_EUlS11_E_NS1_11comp_targetILNS1_3genE3ELNS1_11target_archE908ELNS1_3gpuE7ELNS1_3repE0EEENS1_47radix_sort_onesweep_sort_config_static_selectorELNS0_4arch9wavefront6targetE1EEEvSI_.has_recursion, 0
	.set _ZN7rocprim17ROCPRIM_400000_NS6detail17trampoline_kernelINS0_14default_configENS1_35radix_sort_onesweep_config_selectorIssEEZZNS1_29radix_sort_onesweep_iterationIS3_Lb0EN6thrust23THRUST_200600_302600_NS6detail15normal_iteratorINS8_10device_ptrIsEEEESD_SD_SD_jNS0_19identity_decomposerENS1_16block_id_wrapperIjLb0EEEEE10hipError_tT1_PNSt15iterator_traitsISI_E10value_typeET2_T3_PNSJ_ISO_E10value_typeET4_T5_PST_SU_PNS1_23onesweep_lookback_stateEbbT6_jjT7_P12ihipStream_tbENKUlT_T0_SI_SN_E_clISD_SD_SD_SD_EEDaS11_S12_SI_SN_EUlS11_E_NS1_11comp_targetILNS1_3genE3ELNS1_11target_archE908ELNS1_3gpuE7ELNS1_3repE0EEENS1_47radix_sort_onesweep_sort_config_static_selectorELNS0_4arch9wavefront6targetE1EEEvSI_.has_indirect_call, 0
	.section	.AMDGPU.csdata,"",@progbits
; Kernel info:
; codeLenInByte = 0
; TotalNumSgprs: 6
; NumVgprs: 0
; NumAgprs: 0
; TotalNumVgprs: 0
; ScratchSize: 0
; MemoryBound: 0
; FloatMode: 240
; IeeeMode: 1
; LDSByteSize: 0 bytes/workgroup (compile time only)
; SGPRBlocks: 0
; VGPRBlocks: 0
; NumSGPRsForWavesPerEU: 6
; NumVGPRsForWavesPerEU: 1
; AccumOffset: 4
; Occupancy: 8
; WaveLimiterHint : 0
; COMPUTE_PGM_RSRC2:SCRATCH_EN: 0
; COMPUTE_PGM_RSRC2:USER_SGPR: 2
; COMPUTE_PGM_RSRC2:TRAP_HANDLER: 0
; COMPUTE_PGM_RSRC2:TGID_X_EN: 1
; COMPUTE_PGM_RSRC2:TGID_Y_EN: 0
; COMPUTE_PGM_RSRC2:TGID_Z_EN: 0
; COMPUTE_PGM_RSRC2:TIDIG_COMP_CNT: 0
; COMPUTE_PGM_RSRC3_GFX90A:ACCUM_OFFSET: 0
; COMPUTE_PGM_RSRC3_GFX90A:TG_SPLIT: 0
	.section	.text._ZN7rocprim17ROCPRIM_400000_NS6detail17trampoline_kernelINS0_14default_configENS1_35radix_sort_onesweep_config_selectorIssEEZZNS1_29radix_sort_onesweep_iterationIS3_Lb0EN6thrust23THRUST_200600_302600_NS6detail15normal_iteratorINS8_10device_ptrIsEEEESD_SD_SD_jNS0_19identity_decomposerENS1_16block_id_wrapperIjLb0EEEEE10hipError_tT1_PNSt15iterator_traitsISI_E10value_typeET2_T3_PNSJ_ISO_E10value_typeET4_T5_PST_SU_PNS1_23onesweep_lookback_stateEbbT6_jjT7_P12ihipStream_tbENKUlT_T0_SI_SN_E_clISD_SD_SD_SD_EEDaS11_S12_SI_SN_EUlS11_E_NS1_11comp_targetILNS1_3genE10ELNS1_11target_archE1201ELNS1_3gpuE5ELNS1_3repE0EEENS1_47radix_sort_onesweep_sort_config_static_selectorELNS0_4arch9wavefront6targetE1EEEvSI_,"axG",@progbits,_ZN7rocprim17ROCPRIM_400000_NS6detail17trampoline_kernelINS0_14default_configENS1_35radix_sort_onesweep_config_selectorIssEEZZNS1_29radix_sort_onesweep_iterationIS3_Lb0EN6thrust23THRUST_200600_302600_NS6detail15normal_iteratorINS8_10device_ptrIsEEEESD_SD_SD_jNS0_19identity_decomposerENS1_16block_id_wrapperIjLb0EEEEE10hipError_tT1_PNSt15iterator_traitsISI_E10value_typeET2_T3_PNSJ_ISO_E10value_typeET4_T5_PST_SU_PNS1_23onesweep_lookback_stateEbbT6_jjT7_P12ihipStream_tbENKUlT_T0_SI_SN_E_clISD_SD_SD_SD_EEDaS11_S12_SI_SN_EUlS11_E_NS1_11comp_targetILNS1_3genE10ELNS1_11target_archE1201ELNS1_3gpuE5ELNS1_3repE0EEENS1_47radix_sort_onesweep_sort_config_static_selectorELNS0_4arch9wavefront6targetE1EEEvSI_,comdat
	.protected	_ZN7rocprim17ROCPRIM_400000_NS6detail17trampoline_kernelINS0_14default_configENS1_35radix_sort_onesweep_config_selectorIssEEZZNS1_29radix_sort_onesweep_iterationIS3_Lb0EN6thrust23THRUST_200600_302600_NS6detail15normal_iteratorINS8_10device_ptrIsEEEESD_SD_SD_jNS0_19identity_decomposerENS1_16block_id_wrapperIjLb0EEEEE10hipError_tT1_PNSt15iterator_traitsISI_E10value_typeET2_T3_PNSJ_ISO_E10value_typeET4_T5_PST_SU_PNS1_23onesweep_lookback_stateEbbT6_jjT7_P12ihipStream_tbENKUlT_T0_SI_SN_E_clISD_SD_SD_SD_EEDaS11_S12_SI_SN_EUlS11_E_NS1_11comp_targetILNS1_3genE10ELNS1_11target_archE1201ELNS1_3gpuE5ELNS1_3repE0EEENS1_47radix_sort_onesweep_sort_config_static_selectorELNS0_4arch9wavefront6targetE1EEEvSI_ ; -- Begin function _ZN7rocprim17ROCPRIM_400000_NS6detail17trampoline_kernelINS0_14default_configENS1_35radix_sort_onesweep_config_selectorIssEEZZNS1_29radix_sort_onesweep_iterationIS3_Lb0EN6thrust23THRUST_200600_302600_NS6detail15normal_iteratorINS8_10device_ptrIsEEEESD_SD_SD_jNS0_19identity_decomposerENS1_16block_id_wrapperIjLb0EEEEE10hipError_tT1_PNSt15iterator_traitsISI_E10value_typeET2_T3_PNSJ_ISO_E10value_typeET4_T5_PST_SU_PNS1_23onesweep_lookback_stateEbbT6_jjT7_P12ihipStream_tbENKUlT_T0_SI_SN_E_clISD_SD_SD_SD_EEDaS11_S12_SI_SN_EUlS11_E_NS1_11comp_targetILNS1_3genE10ELNS1_11target_archE1201ELNS1_3gpuE5ELNS1_3repE0EEENS1_47radix_sort_onesweep_sort_config_static_selectorELNS0_4arch9wavefront6targetE1EEEvSI_
	.globl	_ZN7rocprim17ROCPRIM_400000_NS6detail17trampoline_kernelINS0_14default_configENS1_35radix_sort_onesweep_config_selectorIssEEZZNS1_29radix_sort_onesweep_iterationIS3_Lb0EN6thrust23THRUST_200600_302600_NS6detail15normal_iteratorINS8_10device_ptrIsEEEESD_SD_SD_jNS0_19identity_decomposerENS1_16block_id_wrapperIjLb0EEEEE10hipError_tT1_PNSt15iterator_traitsISI_E10value_typeET2_T3_PNSJ_ISO_E10value_typeET4_T5_PST_SU_PNS1_23onesweep_lookback_stateEbbT6_jjT7_P12ihipStream_tbENKUlT_T0_SI_SN_E_clISD_SD_SD_SD_EEDaS11_S12_SI_SN_EUlS11_E_NS1_11comp_targetILNS1_3genE10ELNS1_11target_archE1201ELNS1_3gpuE5ELNS1_3repE0EEENS1_47radix_sort_onesweep_sort_config_static_selectorELNS0_4arch9wavefront6targetE1EEEvSI_
	.p2align	8
	.type	_ZN7rocprim17ROCPRIM_400000_NS6detail17trampoline_kernelINS0_14default_configENS1_35radix_sort_onesweep_config_selectorIssEEZZNS1_29radix_sort_onesweep_iterationIS3_Lb0EN6thrust23THRUST_200600_302600_NS6detail15normal_iteratorINS8_10device_ptrIsEEEESD_SD_SD_jNS0_19identity_decomposerENS1_16block_id_wrapperIjLb0EEEEE10hipError_tT1_PNSt15iterator_traitsISI_E10value_typeET2_T3_PNSJ_ISO_E10value_typeET4_T5_PST_SU_PNS1_23onesweep_lookback_stateEbbT6_jjT7_P12ihipStream_tbENKUlT_T0_SI_SN_E_clISD_SD_SD_SD_EEDaS11_S12_SI_SN_EUlS11_E_NS1_11comp_targetILNS1_3genE10ELNS1_11target_archE1201ELNS1_3gpuE5ELNS1_3repE0EEENS1_47radix_sort_onesweep_sort_config_static_selectorELNS0_4arch9wavefront6targetE1EEEvSI_,@function
_ZN7rocprim17ROCPRIM_400000_NS6detail17trampoline_kernelINS0_14default_configENS1_35radix_sort_onesweep_config_selectorIssEEZZNS1_29radix_sort_onesweep_iterationIS3_Lb0EN6thrust23THRUST_200600_302600_NS6detail15normal_iteratorINS8_10device_ptrIsEEEESD_SD_SD_jNS0_19identity_decomposerENS1_16block_id_wrapperIjLb0EEEEE10hipError_tT1_PNSt15iterator_traitsISI_E10value_typeET2_T3_PNSJ_ISO_E10value_typeET4_T5_PST_SU_PNS1_23onesweep_lookback_stateEbbT6_jjT7_P12ihipStream_tbENKUlT_T0_SI_SN_E_clISD_SD_SD_SD_EEDaS11_S12_SI_SN_EUlS11_E_NS1_11comp_targetILNS1_3genE10ELNS1_11target_archE1201ELNS1_3gpuE5ELNS1_3repE0EEENS1_47radix_sort_onesweep_sort_config_static_selectorELNS0_4arch9wavefront6targetE1EEEvSI_: ; @_ZN7rocprim17ROCPRIM_400000_NS6detail17trampoline_kernelINS0_14default_configENS1_35radix_sort_onesweep_config_selectorIssEEZZNS1_29radix_sort_onesweep_iterationIS3_Lb0EN6thrust23THRUST_200600_302600_NS6detail15normal_iteratorINS8_10device_ptrIsEEEESD_SD_SD_jNS0_19identity_decomposerENS1_16block_id_wrapperIjLb0EEEEE10hipError_tT1_PNSt15iterator_traitsISI_E10value_typeET2_T3_PNSJ_ISO_E10value_typeET4_T5_PST_SU_PNS1_23onesweep_lookback_stateEbbT6_jjT7_P12ihipStream_tbENKUlT_T0_SI_SN_E_clISD_SD_SD_SD_EEDaS11_S12_SI_SN_EUlS11_E_NS1_11comp_targetILNS1_3genE10ELNS1_11target_archE1201ELNS1_3gpuE5ELNS1_3repE0EEENS1_47radix_sort_onesweep_sort_config_static_selectorELNS0_4arch9wavefront6targetE1EEEvSI_
; %bb.0:
	.section	.rodata,"a",@progbits
	.p2align	6, 0x0
	.amdhsa_kernel _ZN7rocprim17ROCPRIM_400000_NS6detail17trampoline_kernelINS0_14default_configENS1_35radix_sort_onesweep_config_selectorIssEEZZNS1_29radix_sort_onesweep_iterationIS3_Lb0EN6thrust23THRUST_200600_302600_NS6detail15normal_iteratorINS8_10device_ptrIsEEEESD_SD_SD_jNS0_19identity_decomposerENS1_16block_id_wrapperIjLb0EEEEE10hipError_tT1_PNSt15iterator_traitsISI_E10value_typeET2_T3_PNSJ_ISO_E10value_typeET4_T5_PST_SU_PNS1_23onesweep_lookback_stateEbbT6_jjT7_P12ihipStream_tbENKUlT_T0_SI_SN_E_clISD_SD_SD_SD_EEDaS11_S12_SI_SN_EUlS11_E_NS1_11comp_targetILNS1_3genE10ELNS1_11target_archE1201ELNS1_3gpuE5ELNS1_3repE0EEENS1_47radix_sort_onesweep_sort_config_static_selectorELNS0_4arch9wavefront6targetE1EEEvSI_
		.amdhsa_group_segment_fixed_size 0
		.amdhsa_private_segment_fixed_size 0
		.amdhsa_kernarg_size 88
		.amdhsa_user_sgpr_count 2
		.amdhsa_user_sgpr_dispatch_ptr 0
		.amdhsa_user_sgpr_queue_ptr 0
		.amdhsa_user_sgpr_kernarg_segment_ptr 1
		.amdhsa_user_sgpr_dispatch_id 0
		.amdhsa_user_sgpr_kernarg_preload_length 0
		.amdhsa_user_sgpr_kernarg_preload_offset 0
		.amdhsa_user_sgpr_private_segment_size 0
		.amdhsa_uses_dynamic_stack 0
		.amdhsa_enable_private_segment 0
		.amdhsa_system_sgpr_workgroup_id_x 1
		.amdhsa_system_sgpr_workgroup_id_y 0
		.amdhsa_system_sgpr_workgroup_id_z 0
		.amdhsa_system_sgpr_workgroup_info 0
		.amdhsa_system_vgpr_workitem_id 0
		.amdhsa_next_free_vgpr 1
		.amdhsa_next_free_sgpr 0
		.amdhsa_accum_offset 4
		.amdhsa_reserve_vcc 0
		.amdhsa_float_round_mode_32 0
		.amdhsa_float_round_mode_16_64 0
		.amdhsa_float_denorm_mode_32 3
		.amdhsa_float_denorm_mode_16_64 3
		.amdhsa_dx10_clamp 1
		.amdhsa_ieee_mode 1
		.amdhsa_fp16_overflow 0
		.amdhsa_tg_split 0
		.amdhsa_exception_fp_ieee_invalid_op 0
		.amdhsa_exception_fp_denorm_src 0
		.amdhsa_exception_fp_ieee_div_zero 0
		.amdhsa_exception_fp_ieee_overflow 0
		.amdhsa_exception_fp_ieee_underflow 0
		.amdhsa_exception_fp_ieee_inexact 0
		.amdhsa_exception_int_div_zero 0
	.end_amdhsa_kernel
	.section	.text._ZN7rocprim17ROCPRIM_400000_NS6detail17trampoline_kernelINS0_14default_configENS1_35radix_sort_onesweep_config_selectorIssEEZZNS1_29radix_sort_onesweep_iterationIS3_Lb0EN6thrust23THRUST_200600_302600_NS6detail15normal_iteratorINS8_10device_ptrIsEEEESD_SD_SD_jNS0_19identity_decomposerENS1_16block_id_wrapperIjLb0EEEEE10hipError_tT1_PNSt15iterator_traitsISI_E10value_typeET2_T3_PNSJ_ISO_E10value_typeET4_T5_PST_SU_PNS1_23onesweep_lookback_stateEbbT6_jjT7_P12ihipStream_tbENKUlT_T0_SI_SN_E_clISD_SD_SD_SD_EEDaS11_S12_SI_SN_EUlS11_E_NS1_11comp_targetILNS1_3genE10ELNS1_11target_archE1201ELNS1_3gpuE5ELNS1_3repE0EEENS1_47radix_sort_onesweep_sort_config_static_selectorELNS0_4arch9wavefront6targetE1EEEvSI_,"axG",@progbits,_ZN7rocprim17ROCPRIM_400000_NS6detail17trampoline_kernelINS0_14default_configENS1_35radix_sort_onesweep_config_selectorIssEEZZNS1_29radix_sort_onesweep_iterationIS3_Lb0EN6thrust23THRUST_200600_302600_NS6detail15normal_iteratorINS8_10device_ptrIsEEEESD_SD_SD_jNS0_19identity_decomposerENS1_16block_id_wrapperIjLb0EEEEE10hipError_tT1_PNSt15iterator_traitsISI_E10value_typeET2_T3_PNSJ_ISO_E10value_typeET4_T5_PST_SU_PNS1_23onesweep_lookback_stateEbbT6_jjT7_P12ihipStream_tbENKUlT_T0_SI_SN_E_clISD_SD_SD_SD_EEDaS11_S12_SI_SN_EUlS11_E_NS1_11comp_targetILNS1_3genE10ELNS1_11target_archE1201ELNS1_3gpuE5ELNS1_3repE0EEENS1_47radix_sort_onesweep_sort_config_static_selectorELNS0_4arch9wavefront6targetE1EEEvSI_,comdat
.Lfunc_end1675:
	.size	_ZN7rocprim17ROCPRIM_400000_NS6detail17trampoline_kernelINS0_14default_configENS1_35radix_sort_onesweep_config_selectorIssEEZZNS1_29radix_sort_onesweep_iterationIS3_Lb0EN6thrust23THRUST_200600_302600_NS6detail15normal_iteratorINS8_10device_ptrIsEEEESD_SD_SD_jNS0_19identity_decomposerENS1_16block_id_wrapperIjLb0EEEEE10hipError_tT1_PNSt15iterator_traitsISI_E10value_typeET2_T3_PNSJ_ISO_E10value_typeET4_T5_PST_SU_PNS1_23onesweep_lookback_stateEbbT6_jjT7_P12ihipStream_tbENKUlT_T0_SI_SN_E_clISD_SD_SD_SD_EEDaS11_S12_SI_SN_EUlS11_E_NS1_11comp_targetILNS1_3genE10ELNS1_11target_archE1201ELNS1_3gpuE5ELNS1_3repE0EEENS1_47radix_sort_onesweep_sort_config_static_selectorELNS0_4arch9wavefront6targetE1EEEvSI_, .Lfunc_end1675-_ZN7rocprim17ROCPRIM_400000_NS6detail17trampoline_kernelINS0_14default_configENS1_35radix_sort_onesweep_config_selectorIssEEZZNS1_29radix_sort_onesweep_iterationIS3_Lb0EN6thrust23THRUST_200600_302600_NS6detail15normal_iteratorINS8_10device_ptrIsEEEESD_SD_SD_jNS0_19identity_decomposerENS1_16block_id_wrapperIjLb0EEEEE10hipError_tT1_PNSt15iterator_traitsISI_E10value_typeET2_T3_PNSJ_ISO_E10value_typeET4_T5_PST_SU_PNS1_23onesweep_lookback_stateEbbT6_jjT7_P12ihipStream_tbENKUlT_T0_SI_SN_E_clISD_SD_SD_SD_EEDaS11_S12_SI_SN_EUlS11_E_NS1_11comp_targetILNS1_3genE10ELNS1_11target_archE1201ELNS1_3gpuE5ELNS1_3repE0EEENS1_47radix_sort_onesweep_sort_config_static_selectorELNS0_4arch9wavefront6targetE1EEEvSI_
                                        ; -- End function
	.set _ZN7rocprim17ROCPRIM_400000_NS6detail17trampoline_kernelINS0_14default_configENS1_35radix_sort_onesweep_config_selectorIssEEZZNS1_29radix_sort_onesweep_iterationIS3_Lb0EN6thrust23THRUST_200600_302600_NS6detail15normal_iteratorINS8_10device_ptrIsEEEESD_SD_SD_jNS0_19identity_decomposerENS1_16block_id_wrapperIjLb0EEEEE10hipError_tT1_PNSt15iterator_traitsISI_E10value_typeET2_T3_PNSJ_ISO_E10value_typeET4_T5_PST_SU_PNS1_23onesweep_lookback_stateEbbT6_jjT7_P12ihipStream_tbENKUlT_T0_SI_SN_E_clISD_SD_SD_SD_EEDaS11_S12_SI_SN_EUlS11_E_NS1_11comp_targetILNS1_3genE10ELNS1_11target_archE1201ELNS1_3gpuE5ELNS1_3repE0EEENS1_47radix_sort_onesweep_sort_config_static_selectorELNS0_4arch9wavefront6targetE1EEEvSI_.num_vgpr, 0
	.set _ZN7rocprim17ROCPRIM_400000_NS6detail17trampoline_kernelINS0_14default_configENS1_35radix_sort_onesweep_config_selectorIssEEZZNS1_29radix_sort_onesweep_iterationIS3_Lb0EN6thrust23THRUST_200600_302600_NS6detail15normal_iteratorINS8_10device_ptrIsEEEESD_SD_SD_jNS0_19identity_decomposerENS1_16block_id_wrapperIjLb0EEEEE10hipError_tT1_PNSt15iterator_traitsISI_E10value_typeET2_T3_PNSJ_ISO_E10value_typeET4_T5_PST_SU_PNS1_23onesweep_lookback_stateEbbT6_jjT7_P12ihipStream_tbENKUlT_T0_SI_SN_E_clISD_SD_SD_SD_EEDaS11_S12_SI_SN_EUlS11_E_NS1_11comp_targetILNS1_3genE10ELNS1_11target_archE1201ELNS1_3gpuE5ELNS1_3repE0EEENS1_47radix_sort_onesweep_sort_config_static_selectorELNS0_4arch9wavefront6targetE1EEEvSI_.num_agpr, 0
	.set _ZN7rocprim17ROCPRIM_400000_NS6detail17trampoline_kernelINS0_14default_configENS1_35radix_sort_onesweep_config_selectorIssEEZZNS1_29radix_sort_onesweep_iterationIS3_Lb0EN6thrust23THRUST_200600_302600_NS6detail15normal_iteratorINS8_10device_ptrIsEEEESD_SD_SD_jNS0_19identity_decomposerENS1_16block_id_wrapperIjLb0EEEEE10hipError_tT1_PNSt15iterator_traitsISI_E10value_typeET2_T3_PNSJ_ISO_E10value_typeET4_T5_PST_SU_PNS1_23onesweep_lookback_stateEbbT6_jjT7_P12ihipStream_tbENKUlT_T0_SI_SN_E_clISD_SD_SD_SD_EEDaS11_S12_SI_SN_EUlS11_E_NS1_11comp_targetILNS1_3genE10ELNS1_11target_archE1201ELNS1_3gpuE5ELNS1_3repE0EEENS1_47radix_sort_onesweep_sort_config_static_selectorELNS0_4arch9wavefront6targetE1EEEvSI_.numbered_sgpr, 0
	.set _ZN7rocprim17ROCPRIM_400000_NS6detail17trampoline_kernelINS0_14default_configENS1_35radix_sort_onesweep_config_selectorIssEEZZNS1_29radix_sort_onesweep_iterationIS3_Lb0EN6thrust23THRUST_200600_302600_NS6detail15normal_iteratorINS8_10device_ptrIsEEEESD_SD_SD_jNS0_19identity_decomposerENS1_16block_id_wrapperIjLb0EEEEE10hipError_tT1_PNSt15iterator_traitsISI_E10value_typeET2_T3_PNSJ_ISO_E10value_typeET4_T5_PST_SU_PNS1_23onesweep_lookback_stateEbbT6_jjT7_P12ihipStream_tbENKUlT_T0_SI_SN_E_clISD_SD_SD_SD_EEDaS11_S12_SI_SN_EUlS11_E_NS1_11comp_targetILNS1_3genE10ELNS1_11target_archE1201ELNS1_3gpuE5ELNS1_3repE0EEENS1_47radix_sort_onesweep_sort_config_static_selectorELNS0_4arch9wavefront6targetE1EEEvSI_.num_named_barrier, 0
	.set _ZN7rocprim17ROCPRIM_400000_NS6detail17trampoline_kernelINS0_14default_configENS1_35radix_sort_onesweep_config_selectorIssEEZZNS1_29radix_sort_onesweep_iterationIS3_Lb0EN6thrust23THRUST_200600_302600_NS6detail15normal_iteratorINS8_10device_ptrIsEEEESD_SD_SD_jNS0_19identity_decomposerENS1_16block_id_wrapperIjLb0EEEEE10hipError_tT1_PNSt15iterator_traitsISI_E10value_typeET2_T3_PNSJ_ISO_E10value_typeET4_T5_PST_SU_PNS1_23onesweep_lookback_stateEbbT6_jjT7_P12ihipStream_tbENKUlT_T0_SI_SN_E_clISD_SD_SD_SD_EEDaS11_S12_SI_SN_EUlS11_E_NS1_11comp_targetILNS1_3genE10ELNS1_11target_archE1201ELNS1_3gpuE5ELNS1_3repE0EEENS1_47radix_sort_onesweep_sort_config_static_selectorELNS0_4arch9wavefront6targetE1EEEvSI_.private_seg_size, 0
	.set _ZN7rocprim17ROCPRIM_400000_NS6detail17trampoline_kernelINS0_14default_configENS1_35radix_sort_onesweep_config_selectorIssEEZZNS1_29radix_sort_onesweep_iterationIS3_Lb0EN6thrust23THRUST_200600_302600_NS6detail15normal_iteratorINS8_10device_ptrIsEEEESD_SD_SD_jNS0_19identity_decomposerENS1_16block_id_wrapperIjLb0EEEEE10hipError_tT1_PNSt15iterator_traitsISI_E10value_typeET2_T3_PNSJ_ISO_E10value_typeET4_T5_PST_SU_PNS1_23onesweep_lookback_stateEbbT6_jjT7_P12ihipStream_tbENKUlT_T0_SI_SN_E_clISD_SD_SD_SD_EEDaS11_S12_SI_SN_EUlS11_E_NS1_11comp_targetILNS1_3genE10ELNS1_11target_archE1201ELNS1_3gpuE5ELNS1_3repE0EEENS1_47radix_sort_onesweep_sort_config_static_selectorELNS0_4arch9wavefront6targetE1EEEvSI_.uses_vcc, 0
	.set _ZN7rocprim17ROCPRIM_400000_NS6detail17trampoline_kernelINS0_14default_configENS1_35radix_sort_onesweep_config_selectorIssEEZZNS1_29radix_sort_onesweep_iterationIS3_Lb0EN6thrust23THRUST_200600_302600_NS6detail15normal_iteratorINS8_10device_ptrIsEEEESD_SD_SD_jNS0_19identity_decomposerENS1_16block_id_wrapperIjLb0EEEEE10hipError_tT1_PNSt15iterator_traitsISI_E10value_typeET2_T3_PNSJ_ISO_E10value_typeET4_T5_PST_SU_PNS1_23onesweep_lookback_stateEbbT6_jjT7_P12ihipStream_tbENKUlT_T0_SI_SN_E_clISD_SD_SD_SD_EEDaS11_S12_SI_SN_EUlS11_E_NS1_11comp_targetILNS1_3genE10ELNS1_11target_archE1201ELNS1_3gpuE5ELNS1_3repE0EEENS1_47radix_sort_onesweep_sort_config_static_selectorELNS0_4arch9wavefront6targetE1EEEvSI_.uses_flat_scratch, 0
	.set _ZN7rocprim17ROCPRIM_400000_NS6detail17trampoline_kernelINS0_14default_configENS1_35radix_sort_onesweep_config_selectorIssEEZZNS1_29radix_sort_onesweep_iterationIS3_Lb0EN6thrust23THRUST_200600_302600_NS6detail15normal_iteratorINS8_10device_ptrIsEEEESD_SD_SD_jNS0_19identity_decomposerENS1_16block_id_wrapperIjLb0EEEEE10hipError_tT1_PNSt15iterator_traitsISI_E10value_typeET2_T3_PNSJ_ISO_E10value_typeET4_T5_PST_SU_PNS1_23onesweep_lookback_stateEbbT6_jjT7_P12ihipStream_tbENKUlT_T0_SI_SN_E_clISD_SD_SD_SD_EEDaS11_S12_SI_SN_EUlS11_E_NS1_11comp_targetILNS1_3genE10ELNS1_11target_archE1201ELNS1_3gpuE5ELNS1_3repE0EEENS1_47radix_sort_onesweep_sort_config_static_selectorELNS0_4arch9wavefront6targetE1EEEvSI_.has_dyn_sized_stack, 0
	.set _ZN7rocprim17ROCPRIM_400000_NS6detail17trampoline_kernelINS0_14default_configENS1_35radix_sort_onesweep_config_selectorIssEEZZNS1_29radix_sort_onesweep_iterationIS3_Lb0EN6thrust23THRUST_200600_302600_NS6detail15normal_iteratorINS8_10device_ptrIsEEEESD_SD_SD_jNS0_19identity_decomposerENS1_16block_id_wrapperIjLb0EEEEE10hipError_tT1_PNSt15iterator_traitsISI_E10value_typeET2_T3_PNSJ_ISO_E10value_typeET4_T5_PST_SU_PNS1_23onesweep_lookback_stateEbbT6_jjT7_P12ihipStream_tbENKUlT_T0_SI_SN_E_clISD_SD_SD_SD_EEDaS11_S12_SI_SN_EUlS11_E_NS1_11comp_targetILNS1_3genE10ELNS1_11target_archE1201ELNS1_3gpuE5ELNS1_3repE0EEENS1_47radix_sort_onesweep_sort_config_static_selectorELNS0_4arch9wavefront6targetE1EEEvSI_.has_recursion, 0
	.set _ZN7rocprim17ROCPRIM_400000_NS6detail17trampoline_kernelINS0_14default_configENS1_35radix_sort_onesweep_config_selectorIssEEZZNS1_29radix_sort_onesweep_iterationIS3_Lb0EN6thrust23THRUST_200600_302600_NS6detail15normal_iteratorINS8_10device_ptrIsEEEESD_SD_SD_jNS0_19identity_decomposerENS1_16block_id_wrapperIjLb0EEEEE10hipError_tT1_PNSt15iterator_traitsISI_E10value_typeET2_T3_PNSJ_ISO_E10value_typeET4_T5_PST_SU_PNS1_23onesweep_lookback_stateEbbT6_jjT7_P12ihipStream_tbENKUlT_T0_SI_SN_E_clISD_SD_SD_SD_EEDaS11_S12_SI_SN_EUlS11_E_NS1_11comp_targetILNS1_3genE10ELNS1_11target_archE1201ELNS1_3gpuE5ELNS1_3repE0EEENS1_47radix_sort_onesweep_sort_config_static_selectorELNS0_4arch9wavefront6targetE1EEEvSI_.has_indirect_call, 0
	.section	.AMDGPU.csdata,"",@progbits
; Kernel info:
; codeLenInByte = 0
; TotalNumSgprs: 6
; NumVgprs: 0
; NumAgprs: 0
; TotalNumVgprs: 0
; ScratchSize: 0
; MemoryBound: 0
; FloatMode: 240
; IeeeMode: 1
; LDSByteSize: 0 bytes/workgroup (compile time only)
; SGPRBlocks: 0
; VGPRBlocks: 0
; NumSGPRsForWavesPerEU: 6
; NumVGPRsForWavesPerEU: 1
; AccumOffset: 4
; Occupancy: 8
; WaveLimiterHint : 0
; COMPUTE_PGM_RSRC2:SCRATCH_EN: 0
; COMPUTE_PGM_RSRC2:USER_SGPR: 2
; COMPUTE_PGM_RSRC2:TRAP_HANDLER: 0
; COMPUTE_PGM_RSRC2:TGID_X_EN: 1
; COMPUTE_PGM_RSRC2:TGID_Y_EN: 0
; COMPUTE_PGM_RSRC2:TGID_Z_EN: 0
; COMPUTE_PGM_RSRC2:TIDIG_COMP_CNT: 0
; COMPUTE_PGM_RSRC3_GFX90A:ACCUM_OFFSET: 0
; COMPUTE_PGM_RSRC3_GFX90A:TG_SPLIT: 0
	.section	.text._ZN7rocprim17ROCPRIM_400000_NS6detail17trampoline_kernelINS0_14default_configENS1_35radix_sort_onesweep_config_selectorIssEEZZNS1_29radix_sort_onesweep_iterationIS3_Lb0EN6thrust23THRUST_200600_302600_NS6detail15normal_iteratorINS8_10device_ptrIsEEEESD_SD_SD_jNS0_19identity_decomposerENS1_16block_id_wrapperIjLb0EEEEE10hipError_tT1_PNSt15iterator_traitsISI_E10value_typeET2_T3_PNSJ_ISO_E10value_typeET4_T5_PST_SU_PNS1_23onesweep_lookback_stateEbbT6_jjT7_P12ihipStream_tbENKUlT_T0_SI_SN_E_clISD_SD_SD_SD_EEDaS11_S12_SI_SN_EUlS11_E_NS1_11comp_targetILNS1_3genE9ELNS1_11target_archE1100ELNS1_3gpuE3ELNS1_3repE0EEENS1_47radix_sort_onesweep_sort_config_static_selectorELNS0_4arch9wavefront6targetE1EEEvSI_,"axG",@progbits,_ZN7rocprim17ROCPRIM_400000_NS6detail17trampoline_kernelINS0_14default_configENS1_35radix_sort_onesweep_config_selectorIssEEZZNS1_29radix_sort_onesweep_iterationIS3_Lb0EN6thrust23THRUST_200600_302600_NS6detail15normal_iteratorINS8_10device_ptrIsEEEESD_SD_SD_jNS0_19identity_decomposerENS1_16block_id_wrapperIjLb0EEEEE10hipError_tT1_PNSt15iterator_traitsISI_E10value_typeET2_T3_PNSJ_ISO_E10value_typeET4_T5_PST_SU_PNS1_23onesweep_lookback_stateEbbT6_jjT7_P12ihipStream_tbENKUlT_T0_SI_SN_E_clISD_SD_SD_SD_EEDaS11_S12_SI_SN_EUlS11_E_NS1_11comp_targetILNS1_3genE9ELNS1_11target_archE1100ELNS1_3gpuE3ELNS1_3repE0EEENS1_47radix_sort_onesweep_sort_config_static_selectorELNS0_4arch9wavefront6targetE1EEEvSI_,comdat
	.protected	_ZN7rocprim17ROCPRIM_400000_NS6detail17trampoline_kernelINS0_14default_configENS1_35radix_sort_onesweep_config_selectorIssEEZZNS1_29radix_sort_onesweep_iterationIS3_Lb0EN6thrust23THRUST_200600_302600_NS6detail15normal_iteratorINS8_10device_ptrIsEEEESD_SD_SD_jNS0_19identity_decomposerENS1_16block_id_wrapperIjLb0EEEEE10hipError_tT1_PNSt15iterator_traitsISI_E10value_typeET2_T3_PNSJ_ISO_E10value_typeET4_T5_PST_SU_PNS1_23onesweep_lookback_stateEbbT6_jjT7_P12ihipStream_tbENKUlT_T0_SI_SN_E_clISD_SD_SD_SD_EEDaS11_S12_SI_SN_EUlS11_E_NS1_11comp_targetILNS1_3genE9ELNS1_11target_archE1100ELNS1_3gpuE3ELNS1_3repE0EEENS1_47radix_sort_onesweep_sort_config_static_selectorELNS0_4arch9wavefront6targetE1EEEvSI_ ; -- Begin function _ZN7rocprim17ROCPRIM_400000_NS6detail17trampoline_kernelINS0_14default_configENS1_35radix_sort_onesweep_config_selectorIssEEZZNS1_29radix_sort_onesweep_iterationIS3_Lb0EN6thrust23THRUST_200600_302600_NS6detail15normal_iteratorINS8_10device_ptrIsEEEESD_SD_SD_jNS0_19identity_decomposerENS1_16block_id_wrapperIjLb0EEEEE10hipError_tT1_PNSt15iterator_traitsISI_E10value_typeET2_T3_PNSJ_ISO_E10value_typeET4_T5_PST_SU_PNS1_23onesweep_lookback_stateEbbT6_jjT7_P12ihipStream_tbENKUlT_T0_SI_SN_E_clISD_SD_SD_SD_EEDaS11_S12_SI_SN_EUlS11_E_NS1_11comp_targetILNS1_3genE9ELNS1_11target_archE1100ELNS1_3gpuE3ELNS1_3repE0EEENS1_47radix_sort_onesweep_sort_config_static_selectorELNS0_4arch9wavefront6targetE1EEEvSI_
	.globl	_ZN7rocprim17ROCPRIM_400000_NS6detail17trampoline_kernelINS0_14default_configENS1_35radix_sort_onesweep_config_selectorIssEEZZNS1_29radix_sort_onesweep_iterationIS3_Lb0EN6thrust23THRUST_200600_302600_NS6detail15normal_iteratorINS8_10device_ptrIsEEEESD_SD_SD_jNS0_19identity_decomposerENS1_16block_id_wrapperIjLb0EEEEE10hipError_tT1_PNSt15iterator_traitsISI_E10value_typeET2_T3_PNSJ_ISO_E10value_typeET4_T5_PST_SU_PNS1_23onesweep_lookback_stateEbbT6_jjT7_P12ihipStream_tbENKUlT_T0_SI_SN_E_clISD_SD_SD_SD_EEDaS11_S12_SI_SN_EUlS11_E_NS1_11comp_targetILNS1_3genE9ELNS1_11target_archE1100ELNS1_3gpuE3ELNS1_3repE0EEENS1_47radix_sort_onesweep_sort_config_static_selectorELNS0_4arch9wavefront6targetE1EEEvSI_
	.p2align	8
	.type	_ZN7rocprim17ROCPRIM_400000_NS6detail17trampoline_kernelINS0_14default_configENS1_35radix_sort_onesweep_config_selectorIssEEZZNS1_29radix_sort_onesweep_iterationIS3_Lb0EN6thrust23THRUST_200600_302600_NS6detail15normal_iteratorINS8_10device_ptrIsEEEESD_SD_SD_jNS0_19identity_decomposerENS1_16block_id_wrapperIjLb0EEEEE10hipError_tT1_PNSt15iterator_traitsISI_E10value_typeET2_T3_PNSJ_ISO_E10value_typeET4_T5_PST_SU_PNS1_23onesweep_lookback_stateEbbT6_jjT7_P12ihipStream_tbENKUlT_T0_SI_SN_E_clISD_SD_SD_SD_EEDaS11_S12_SI_SN_EUlS11_E_NS1_11comp_targetILNS1_3genE9ELNS1_11target_archE1100ELNS1_3gpuE3ELNS1_3repE0EEENS1_47radix_sort_onesweep_sort_config_static_selectorELNS0_4arch9wavefront6targetE1EEEvSI_,@function
_ZN7rocprim17ROCPRIM_400000_NS6detail17trampoline_kernelINS0_14default_configENS1_35radix_sort_onesweep_config_selectorIssEEZZNS1_29radix_sort_onesweep_iterationIS3_Lb0EN6thrust23THRUST_200600_302600_NS6detail15normal_iteratorINS8_10device_ptrIsEEEESD_SD_SD_jNS0_19identity_decomposerENS1_16block_id_wrapperIjLb0EEEEE10hipError_tT1_PNSt15iterator_traitsISI_E10value_typeET2_T3_PNSJ_ISO_E10value_typeET4_T5_PST_SU_PNS1_23onesweep_lookback_stateEbbT6_jjT7_P12ihipStream_tbENKUlT_T0_SI_SN_E_clISD_SD_SD_SD_EEDaS11_S12_SI_SN_EUlS11_E_NS1_11comp_targetILNS1_3genE9ELNS1_11target_archE1100ELNS1_3gpuE3ELNS1_3repE0EEENS1_47radix_sort_onesweep_sort_config_static_selectorELNS0_4arch9wavefront6targetE1EEEvSI_: ; @_ZN7rocprim17ROCPRIM_400000_NS6detail17trampoline_kernelINS0_14default_configENS1_35radix_sort_onesweep_config_selectorIssEEZZNS1_29radix_sort_onesweep_iterationIS3_Lb0EN6thrust23THRUST_200600_302600_NS6detail15normal_iteratorINS8_10device_ptrIsEEEESD_SD_SD_jNS0_19identity_decomposerENS1_16block_id_wrapperIjLb0EEEEE10hipError_tT1_PNSt15iterator_traitsISI_E10value_typeET2_T3_PNSJ_ISO_E10value_typeET4_T5_PST_SU_PNS1_23onesweep_lookback_stateEbbT6_jjT7_P12ihipStream_tbENKUlT_T0_SI_SN_E_clISD_SD_SD_SD_EEDaS11_S12_SI_SN_EUlS11_E_NS1_11comp_targetILNS1_3genE9ELNS1_11target_archE1100ELNS1_3gpuE3ELNS1_3repE0EEENS1_47radix_sort_onesweep_sort_config_static_selectorELNS0_4arch9wavefront6targetE1EEEvSI_
; %bb.0:
	.section	.rodata,"a",@progbits
	.p2align	6, 0x0
	.amdhsa_kernel _ZN7rocprim17ROCPRIM_400000_NS6detail17trampoline_kernelINS0_14default_configENS1_35radix_sort_onesweep_config_selectorIssEEZZNS1_29radix_sort_onesweep_iterationIS3_Lb0EN6thrust23THRUST_200600_302600_NS6detail15normal_iteratorINS8_10device_ptrIsEEEESD_SD_SD_jNS0_19identity_decomposerENS1_16block_id_wrapperIjLb0EEEEE10hipError_tT1_PNSt15iterator_traitsISI_E10value_typeET2_T3_PNSJ_ISO_E10value_typeET4_T5_PST_SU_PNS1_23onesweep_lookback_stateEbbT6_jjT7_P12ihipStream_tbENKUlT_T0_SI_SN_E_clISD_SD_SD_SD_EEDaS11_S12_SI_SN_EUlS11_E_NS1_11comp_targetILNS1_3genE9ELNS1_11target_archE1100ELNS1_3gpuE3ELNS1_3repE0EEENS1_47radix_sort_onesweep_sort_config_static_selectorELNS0_4arch9wavefront6targetE1EEEvSI_
		.amdhsa_group_segment_fixed_size 0
		.amdhsa_private_segment_fixed_size 0
		.amdhsa_kernarg_size 88
		.amdhsa_user_sgpr_count 2
		.amdhsa_user_sgpr_dispatch_ptr 0
		.amdhsa_user_sgpr_queue_ptr 0
		.amdhsa_user_sgpr_kernarg_segment_ptr 1
		.amdhsa_user_sgpr_dispatch_id 0
		.amdhsa_user_sgpr_kernarg_preload_length 0
		.amdhsa_user_sgpr_kernarg_preload_offset 0
		.amdhsa_user_sgpr_private_segment_size 0
		.amdhsa_uses_dynamic_stack 0
		.amdhsa_enable_private_segment 0
		.amdhsa_system_sgpr_workgroup_id_x 1
		.amdhsa_system_sgpr_workgroup_id_y 0
		.amdhsa_system_sgpr_workgroup_id_z 0
		.amdhsa_system_sgpr_workgroup_info 0
		.amdhsa_system_vgpr_workitem_id 0
		.amdhsa_next_free_vgpr 1
		.amdhsa_next_free_sgpr 0
		.amdhsa_accum_offset 4
		.amdhsa_reserve_vcc 0
		.amdhsa_float_round_mode_32 0
		.amdhsa_float_round_mode_16_64 0
		.amdhsa_float_denorm_mode_32 3
		.amdhsa_float_denorm_mode_16_64 3
		.amdhsa_dx10_clamp 1
		.amdhsa_ieee_mode 1
		.amdhsa_fp16_overflow 0
		.amdhsa_tg_split 0
		.amdhsa_exception_fp_ieee_invalid_op 0
		.amdhsa_exception_fp_denorm_src 0
		.amdhsa_exception_fp_ieee_div_zero 0
		.amdhsa_exception_fp_ieee_overflow 0
		.amdhsa_exception_fp_ieee_underflow 0
		.amdhsa_exception_fp_ieee_inexact 0
		.amdhsa_exception_int_div_zero 0
	.end_amdhsa_kernel
	.section	.text._ZN7rocprim17ROCPRIM_400000_NS6detail17trampoline_kernelINS0_14default_configENS1_35radix_sort_onesweep_config_selectorIssEEZZNS1_29radix_sort_onesweep_iterationIS3_Lb0EN6thrust23THRUST_200600_302600_NS6detail15normal_iteratorINS8_10device_ptrIsEEEESD_SD_SD_jNS0_19identity_decomposerENS1_16block_id_wrapperIjLb0EEEEE10hipError_tT1_PNSt15iterator_traitsISI_E10value_typeET2_T3_PNSJ_ISO_E10value_typeET4_T5_PST_SU_PNS1_23onesweep_lookback_stateEbbT6_jjT7_P12ihipStream_tbENKUlT_T0_SI_SN_E_clISD_SD_SD_SD_EEDaS11_S12_SI_SN_EUlS11_E_NS1_11comp_targetILNS1_3genE9ELNS1_11target_archE1100ELNS1_3gpuE3ELNS1_3repE0EEENS1_47radix_sort_onesweep_sort_config_static_selectorELNS0_4arch9wavefront6targetE1EEEvSI_,"axG",@progbits,_ZN7rocprim17ROCPRIM_400000_NS6detail17trampoline_kernelINS0_14default_configENS1_35radix_sort_onesweep_config_selectorIssEEZZNS1_29radix_sort_onesweep_iterationIS3_Lb0EN6thrust23THRUST_200600_302600_NS6detail15normal_iteratorINS8_10device_ptrIsEEEESD_SD_SD_jNS0_19identity_decomposerENS1_16block_id_wrapperIjLb0EEEEE10hipError_tT1_PNSt15iterator_traitsISI_E10value_typeET2_T3_PNSJ_ISO_E10value_typeET4_T5_PST_SU_PNS1_23onesweep_lookback_stateEbbT6_jjT7_P12ihipStream_tbENKUlT_T0_SI_SN_E_clISD_SD_SD_SD_EEDaS11_S12_SI_SN_EUlS11_E_NS1_11comp_targetILNS1_3genE9ELNS1_11target_archE1100ELNS1_3gpuE3ELNS1_3repE0EEENS1_47radix_sort_onesweep_sort_config_static_selectorELNS0_4arch9wavefront6targetE1EEEvSI_,comdat
.Lfunc_end1676:
	.size	_ZN7rocprim17ROCPRIM_400000_NS6detail17trampoline_kernelINS0_14default_configENS1_35radix_sort_onesweep_config_selectorIssEEZZNS1_29radix_sort_onesweep_iterationIS3_Lb0EN6thrust23THRUST_200600_302600_NS6detail15normal_iteratorINS8_10device_ptrIsEEEESD_SD_SD_jNS0_19identity_decomposerENS1_16block_id_wrapperIjLb0EEEEE10hipError_tT1_PNSt15iterator_traitsISI_E10value_typeET2_T3_PNSJ_ISO_E10value_typeET4_T5_PST_SU_PNS1_23onesweep_lookback_stateEbbT6_jjT7_P12ihipStream_tbENKUlT_T0_SI_SN_E_clISD_SD_SD_SD_EEDaS11_S12_SI_SN_EUlS11_E_NS1_11comp_targetILNS1_3genE9ELNS1_11target_archE1100ELNS1_3gpuE3ELNS1_3repE0EEENS1_47radix_sort_onesweep_sort_config_static_selectorELNS0_4arch9wavefront6targetE1EEEvSI_, .Lfunc_end1676-_ZN7rocprim17ROCPRIM_400000_NS6detail17trampoline_kernelINS0_14default_configENS1_35radix_sort_onesweep_config_selectorIssEEZZNS1_29radix_sort_onesweep_iterationIS3_Lb0EN6thrust23THRUST_200600_302600_NS6detail15normal_iteratorINS8_10device_ptrIsEEEESD_SD_SD_jNS0_19identity_decomposerENS1_16block_id_wrapperIjLb0EEEEE10hipError_tT1_PNSt15iterator_traitsISI_E10value_typeET2_T3_PNSJ_ISO_E10value_typeET4_T5_PST_SU_PNS1_23onesweep_lookback_stateEbbT6_jjT7_P12ihipStream_tbENKUlT_T0_SI_SN_E_clISD_SD_SD_SD_EEDaS11_S12_SI_SN_EUlS11_E_NS1_11comp_targetILNS1_3genE9ELNS1_11target_archE1100ELNS1_3gpuE3ELNS1_3repE0EEENS1_47radix_sort_onesweep_sort_config_static_selectorELNS0_4arch9wavefront6targetE1EEEvSI_
                                        ; -- End function
	.set _ZN7rocprim17ROCPRIM_400000_NS6detail17trampoline_kernelINS0_14default_configENS1_35radix_sort_onesweep_config_selectorIssEEZZNS1_29radix_sort_onesweep_iterationIS3_Lb0EN6thrust23THRUST_200600_302600_NS6detail15normal_iteratorINS8_10device_ptrIsEEEESD_SD_SD_jNS0_19identity_decomposerENS1_16block_id_wrapperIjLb0EEEEE10hipError_tT1_PNSt15iterator_traitsISI_E10value_typeET2_T3_PNSJ_ISO_E10value_typeET4_T5_PST_SU_PNS1_23onesweep_lookback_stateEbbT6_jjT7_P12ihipStream_tbENKUlT_T0_SI_SN_E_clISD_SD_SD_SD_EEDaS11_S12_SI_SN_EUlS11_E_NS1_11comp_targetILNS1_3genE9ELNS1_11target_archE1100ELNS1_3gpuE3ELNS1_3repE0EEENS1_47radix_sort_onesweep_sort_config_static_selectorELNS0_4arch9wavefront6targetE1EEEvSI_.num_vgpr, 0
	.set _ZN7rocprim17ROCPRIM_400000_NS6detail17trampoline_kernelINS0_14default_configENS1_35radix_sort_onesweep_config_selectorIssEEZZNS1_29radix_sort_onesweep_iterationIS3_Lb0EN6thrust23THRUST_200600_302600_NS6detail15normal_iteratorINS8_10device_ptrIsEEEESD_SD_SD_jNS0_19identity_decomposerENS1_16block_id_wrapperIjLb0EEEEE10hipError_tT1_PNSt15iterator_traitsISI_E10value_typeET2_T3_PNSJ_ISO_E10value_typeET4_T5_PST_SU_PNS1_23onesweep_lookback_stateEbbT6_jjT7_P12ihipStream_tbENKUlT_T0_SI_SN_E_clISD_SD_SD_SD_EEDaS11_S12_SI_SN_EUlS11_E_NS1_11comp_targetILNS1_3genE9ELNS1_11target_archE1100ELNS1_3gpuE3ELNS1_3repE0EEENS1_47radix_sort_onesweep_sort_config_static_selectorELNS0_4arch9wavefront6targetE1EEEvSI_.num_agpr, 0
	.set _ZN7rocprim17ROCPRIM_400000_NS6detail17trampoline_kernelINS0_14default_configENS1_35radix_sort_onesweep_config_selectorIssEEZZNS1_29radix_sort_onesweep_iterationIS3_Lb0EN6thrust23THRUST_200600_302600_NS6detail15normal_iteratorINS8_10device_ptrIsEEEESD_SD_SD_jNS0_19identity_decomposerENS1_16block_id_wrapperIjLb0EEEEE10hipError_tT1_PNSt15iterator_traitsISI_E10value_typeET2_T3_PNSJ_ISO_E10value_typeET4_T5_PST_SU_PNS1_23onesweep_lookback_stateEbbT6_jjT7_P12ihipStream_tbENKUlT_T0_SI_SN_E_clISD_SD_SD_SD_EEDaS11_S12_SI_SN_EUlS11_E_NS1_11comp_targetILNS1_3genE9ELNS1_11target_archE1100ELNS1_3gpuE3ELNS1_3repE0EEENS1_47radix_sort_onesweep_sort_config_static_selectorELNS0_4arch9wavefront6targetE1EEEvSI_.numbered_sgpr, 0
	.set _ZN7rocprim17ROCPRIM_400000_NS6detail17trampoline_kernelINS0_14default_configENS1_35radix_sort_onesweep_config_selectorIssEEZZNS1_29radix_sort_onesweep_iterationIS3_Lb0EN6thrust23THRUST_200600_302600_NS6detail15normal_iteratorINS8_10device_ptrIsEEEESD_SD_SD_jNS0_19identity_decomposerENS1_16block_id_wrapperIjLb0EEEEE10hipError_tT1_PNSt15iterator_traitsISI_E10value_typeET2_T3_PNSJ_ISO_E10value_typeET4_T5_PST_SU_PNS1_23onesweep_lookback_stateEbbT6_jjT7_P12ihipStream_tbENKUlT_T0_SI_SN_E_clISD_SD_SD_SD_EEDaS11_S12_SI_SN_EUlS11_E_NS1_11comp_targetILNS1_3genE9ELNS1_11target_archE1100ELNS1_3gpuE3ELNS1_3repE0EEENS1_47radix_sort_onesweep_sort_config_static_selectorELNS0_4arch9wavefront6targetE1EEEvSI_.num_named_barrier, 0
	.set _ZN7rocprim17ROCPRIM_400000_NS6detail17trampoline_kernelINS0_14default_configENS1_35radix_sort_onesweep_config_selectorIssEEZZNS1_29radix_sort_onesweep_iterationIS3_Lb0EN6thrust23THRUST_200600_302600_NS6detail15normal_iteratorINS8_10device_ptrIsEEEESD_SD_SD_jNS0_19identity_decomposerENS1_16block_id_wrapperIjLb0EEEEE10hipError_tT1_PNSt15iterator_traitsISI_E10value_typeET2_T3_PNSJ_ISO_E10value_typeET4_T5_PST_SU_PNS1_23onesweep_lookback_stateEbbT6_jjT7_P12ihipStream_tbENKUlT_T0_SI_SN_E_clISD_SD_SD_SD_EEDaS11_S12_SI_SN_EUlS11_E_NS1_11comp_targetILNS1_3genE9ELNS1_11target_archE1100ELNS1_3gpuE3ELNS1_3repE0EEENS1_47radix_sort_onesweep_sort_config_static_selectorELNS0_4arch9wavefront6targetE1EEEvSI_.private_seg_size, 0
	.set _ZN7rocprim17ROCPRIM_400000_NS6detail17trampoline_kernelINS0_14default_configENS1_35radix_sort_onesweep_config_selectorIssEEZZNS1_29radix_sort_onesweep_iterationIS3_Lb0EN6thrust23THRUST_200600_302600_NS6detail15normal_iteratorINS8_10device_ptrIsEEEESD_SD_SD_jNS0_19identity_decomposerENS1_16block_id_wrapperIjLb0EEEEE10hipError_tT1_PNSt15iterator_traitsISI_E10value_typeET2_T3_PNSJ_ISO_E10value_typeET4_T5_PST_SU_PNS1_23onesweep_lookback_stateEbbT6_jjT7_P12ihipStream_tbENKUlT_T0_SI_SN_E_clISD_SD_SD_SD_EEDaS11_S12_SI_SN_EUlS11_E_NS1_11comp_targetILNS1_3genE9ELNS1_11target_archE1100ELNS1_3gpuE3ELNS1_3repE0EEENS1_47radix_sort_onesweep_sort_config_static_selectorELNS0_4arch9wavefront6targetE1EEEvSI_.uses_vcc, 0
	.set _ZN7rocprim17ROCPRIM_400000_NS6detail17trampoline_kernelINS0_14default_configENS1_35radix_sort_onesweep_config_selectorIssEEZZNS1_29radix_sort_onesweep_iterationIS3_Lb0EN6thrust23THRUST_200600_302600_NS6detail15normal_iteratorINS8_10device_ptrIsEEEESD_SD_SD_jNS0_19identity_decomposerENS1_16block_id_wrapperIjLb0EEEEE10hipError_tT1_PNSt15iterator_traitsISI_E10value_typeET2_T3_PNSJ_ISO_E10value_typeET4_T5_PST_SU_PNS1_23onesweep_lookback_stateEbbT6_jjT7_P12ihipStream_tbENKUlT_T0_SI_SN_E_clISD_SD_SD_SD_EEDaS11_S12_SI_SN_EUlS11_E_NS1_11comp_targetILNS1_3genE9ELNS1_11target_archE1100ELNS1_3gpuE3ELNS1_3repE0EEENS1_47radix_sort_onesweep_sort_config_static_selectorELNS0_4arch9wavefront6targetE1EEEvSI_.uses_flat_scratch, 0
	.set _ZN7rocprim17ROCPRIM_400000_NS6detail17trampoline_kernelINS0_14default_configENS1_35radix_sort_onesweep_config_selectorIssEEZZNS1_29radix_sort_onesweep_iterationIS3_Lb0EN6thrust23THRUST_200600_302600_NS6detail15normal_iteratorINS8_10device_ptrIsEEEESD_SD_SD_jNS0_19identity_decomposerENS1_16block_id_wrapperIjLb0EEEEE10hipError_tT1_PNSt15iterator_traitsISI_E10value_typeET2_T3_PNSJ_ISO_E10value_typeET4_T5_PST_SU_PNS1_23onesweep_lookback_stateEbbT6_jjT7_P12ihipStream_tbENKUlT_T0_SI_SN_E_clISD_SD_SD_SD_EEDaS11_S12_SI_SN_EUlS11_E_NS1_11comp_targetILNS1_3genE9ELNS1_11target_archE1100ELNS1_3gpuE3ELNS1_3repE0EEENS1_47radix_sort_onesweep_sort_config_static_selectorELNS0_4arch9wavefront6targetE1EEEvSI_.has_dyn_sized_stack, 0
	.set _ZN7rocprim17ROCPRIM_400000_NS6detail17trampoline_kernelINS0_14default_configENS1_35radix_sort_onesweep_config_selectorIssEEZZNS1_29radix_sort_onesweep_iterationIS3_Lb0EN6thrust23THRUST_200600_302600_NS6detail15normal_iteratorINS8_10device_ptrIsEEEESD_SD_SD_jNS0_19identity_decomposerENS1_16block_id_wrapperIjLb0EEEEE10hipError_tT1_PNSt15iterator_traitsISI_E10value_typeET2_T3_PNSJ_ISO_E10value_typeET4_T5_PST_SU_PNS1_23onesweep_lookback_stateEbbT6_jjT7_P12ihipStream_tbENKUlT_T0_SI_SN_E_clISD_SD_SD_SD_EEDaS11_S12_SI_SN_EUlS11_E_NS1_11comp_targetILNS1_3genE9ELNS1_11target_archE1100ELNS1_3gpuE3ELNS1_3repE0EEENS1_47radix_sort_onesweep_sort_config_static_selectorELNS0_4arch9wavefront6targetE1EEEvSI_.has_recursion, 0
	.set _ZN7rocprim17ROCPRIM_400000_NS6detail17trampoline_kernelINS0_14default_configENS1_35radix_sort_onesweep_config_selectorIssEEZZNS1_29radix_sort_onesweep_iterationIS3_Lb0EN6thrust23THRUST_200600_302600_NS6detail15normal_iteratorINS8_10device_ptrIsEEEESD_SD_SD_jNS0_19identity_decomposerENS1_16block_id_wrapperIjLb0EEEEE10hipError_tT1_PNSt15iterator_traitsISI_E10value_typeET2_T3_PNSJ_ISO_E10value_typeET4_T5_PST_SU_PNS1_23onesweep_lookback_stateEbbT6_jjT7_P12ihipStream_tbENKUlT_T0_SI_SN_E_clISD_SD_SD_SD_EEDaS11_S12_SI_SN_EUlS11_E_NS1_11comp_targetILNS1_3genE9ELNS1_11target_archE1100ELNS1_3gpuE3ELNS1_3repE0EEENS1_47radix_sort_onesweep_sort_config_static_selectorELNS0_4arch9wavefront6targetE1EEEvSI_.has_indirect_call, 0
	.section	.AMDGPU.csdata,"",@progbits
; Kernel info:
; codeLenInByte = 0
; TotalNumSgprs: 6
; NumVgprs: 0
; NumAgprs: 0
; TotalNumVgprs: 0
; ScratchSize: 0
; MemoryBound: 0
; FloatMode: 240
; IeeeMode: 1
; LDSByteSize: 0 bytes/workgroup (compile time only)
; SGPRBlocks: 0
; VGPRBlocks: 0
; NumSGPRsForWavesPerEU: 6
; NumVGPRsForWavesPerEU: 1
; AccumOffset: 4
; Occupancy: 8
; WaveLimiterHint : 0
; COMPUTE_PGM_RSRC2:SCRATCH_EN: 0
; COMPUTE_PGM_RSRC2:USER_SGPR: 2
; COMPUTE_PGM_RSRC2:TRAP_HANDLER: 0
; COMPUTE_PGM_RSRC2:TGID_X_EN: 1
; COMPUTE_PGM_RSRC2:TGID_Y_EN: 0
; COMPUTE_PGM_RSRC2:TGID_Z_EN: 0
; COMPUTE_PGM_RSRC2:TIDIG_COMP_CNT: 0
; COMPUTE_PGM_RSRC3_GFX90A:ACCUM_OFFSET: 0
; COMPUTE_PGM_RSRC3_GFX90A:TG_SPLIT: 0
	.section	.text._ZN7rocprim17ROCPRIM_400000_NS6detail17trampoline_kernelINS0_14default_configENS1_35radix_sort_onesweep_config_selectorIssEEZZNS1_29radix_sort_onesweep_iterationIS3_Lb0EN6thrust23THRUST_200600_302600_NS6detail15normal_iteratorINS8_10device_ptrIsEEEESD_SD_SD_jNS0_19identity_decomposerENS1_16block_id_wrapperIjLb0EEEEE10hipError_tT1_PNSt15iterator_traitsISI_E10value_typeET2_T3_PNSJ_ISO_E10value_typeET4_T5_PST_SU_PNS1_23onesweep_lookback_stateEbbT6_jjT7_P12ihipStream_tbENKUlT_T0_SI_SN_E_clISD_SD_SD_SD_EEDaS11_S12_SI_SN_EUlS11_E_NS1_11comp_targetILNS1_3genE8ELNS1_11target_archE1030ELNS1_3gpuE2ELNS1_3repE0EEENS1_47radix_sort_onesweep_sort_config_static_selectorELNS0_4arch9wavefront6targetE1EEEvSI_,"axG",@progbits,_ZN7rocprim17ROCPRIM_400000_NS6detail17trampoline_kernelINS0_14default_configENS1_35radix_sort_onesweep_config_selectorIssEEZZNS1_29radix_sort_onesweep_iterationIS3_Lb0EN6thrust23THRUST_200600_302600_NS6detail15normal_iteratorINS8_10device_ptrIsEEEESD_SD_SD_jNS0_19identity_decomposerENS1_16block_id_wrapperIjLb0EEEEE10hipError_tT1_PNSt15iterator_traitsISI_E10value_typeET2_T3_PNSJ_ISO_E10value_typeET4_T5_PST_SU_PNS1_23onesweep_lookback_stateEbbT6_jjT7_P12ihipStream_tbENKUlT_T0_SI_SN_E_clISD_SD_SD_SD_EEDaS11_S12_SI_SN_EUlS11_E_NS1_11comp_targetILNS1_3genE8ELNS1_11target_archE1030ELNS1_3gpuE2ELNS1_3repE0EEENS1_47radix_sort_onesweep_sort_config_static_selectorELNS0_4arch9wavefront6targetE1EEEvSI_,comdat
	.protected	_ZN7rocprim17ROCPRIM_400000_NS6detail17trampoline_kernelINS0_14default_configENS1_35radix_sort_onesweep_config_selectorIssEEZZNS1_29radix_sort_onesweep_iterationIS3_Lb0EN6thrust23THRUST_200600_302600_NS6detail15normal_iteratorINS8_10device_ptrIsEEEESD_SD_SD_jNS0_19identity_decomposerENS1_16block_id_wrapperIjLb0EEEEE10hipError_tT1_PNSt15iterator_traitsISI_E10value_typeET2_T3_PNSJ_ISO_E10value_typeET4_T5_PST_SU_PNS1_23onesweep_lookback_stateEbbT6_jjT7_P12ihipStream_tbENKUlT_T0_SI_SN_E_clISD_SD_SD_SD_EEDaS11_S12_SI_SN_EUlS11_E_NS1_11comp_targetILNS1_3genE8ELNS1_11target_archE1030ELNS1_3gpuE2ELNS1_3repE0EEENS1_47radix_sort_onesweep_sort_config_static_selectorELNS0_4arch9wavefront6targetE1EEEvSI_ ; -- Begin function _ZN7rocprim17ROCPRIM_400000_NS6detail17trampoline_kernelINS0_14default_configENS1_35radix_sort_onesweep_config_selectorIssEEZZNS1_29radix_sort_onesweep_iterationIS3_Lb0EN6thrust23THRUST_200600_302600_NS6detail15normal_iteratorINS8_10device_ptrIsEEEESD_SD_SD_jNS0_19identity_decomposerENS1_16block_id_wrapperIjLb0EEEEE10hipError_tT1_PNSt15iterator_traitsISI_E10value_typeET2_T3_PNSJ_ISO_E10value_typeET4_T5_PST_SU_PNS1_23onesweep_lookback_stateEbbT6_jjT7_P12ihipStream_tbENKUlT_T0_SI_SN_E_clISD_SD_SD_SD_EEDaS11_S12_SI_SN_EUlS11_E_NS1_11comp_targetILNS1_3genE8ELNS1_11target_archE1030ELNS1_3gpuE2ELNS1_3repE0EEENS1_47radix_sort_onesweep_sort_config_static_selectorELNS0_4arch9wavefront6targetE1EEEvSI_
	.globl	_ZN7rocprim17ROCPRIM_400000_NS6detail17trampoline_kernelINS0_14default_configENS1_35radix_sort_onesweep_config_selectorIssEEZZNS1_29radix_sort_onesweep_iterationIS3_Lb0EN6thrust23THRUST_200600_302600_NS6detail15normal_iteratorINS8_10device_ptrIsEEEESD_SD_SD_jNS0_19identity_decomposerENS1_16block_id_wrapperIjLb0EEEEE10hipError_tT1_PNSt15iterator_traitsISI_E10value_typeET2_T3_PNSJ_ISO_E10value_typeET4_T5_PST_SU_PNS1_23onesweep_lookback_stateEbbT6_jjT7_P12ihipStream_tbENKUlT_T0_SI_SN_E_clISD_SD_SD_SD_EEDaS11_S12_SI_SN_EUlS11_E_NS1_11comp_targetILNS1_3genE8ELNS1_11target_archE1030ELNS1_3gpuE2ELNS1_3repE0EEENS1_47radix_sort_onesweep_sort_config_static_selectorELNS0_4arch9wavefront6targetE1EEEvSI_
	.p2align	8
	.type	_ZN7rocprim17ROCPRIM_400000_NS6detail17trampoline_kernelINS0_14default_configENS1_35radix_sort_onesweep_config_selectorIssEEZZNS1_29radix_sort_onesweep_iterationIS3_Lb0EN6thrust23THRUST_200600_302600_NS6detail15normal_iteratorINS8_10device_ptrIsEEEESD_SD_SD_jNS0_19identity_decomposerENS1_16block_id_wrapperIjLb0EEEEE10hipError_tT1_PNSt15iterator_traitsISI_E10value_typeET2_T3_PNSJ_ISO_E10value_typeET4_T5_PST_SU_PNS1_23onesweep_lookback_stateEbbT6_jjT7_P12ihipStream_tbENKUlT_T0_SI_SN_E_clISD_SD_SD_SD_EEDaS11_S12_SI_SN_EUlS11_E_NS1_11comp_targetILNS1_3genE8ELNS1_11target_archE1030ELNS1_3gpuE2ELNS1_3repE0EEENS1_47radix_sort_onesweep_sort_config_static_selectorELNS0_4arch9wavefront6targetE1EEEvSI_,@function
_ZN7rocprim17ROCPRIM_400000_NS6detail17trampoline_kernelINS0_14default_configENS1_35radix_sort_onesweep_config_selectorIssEEZZNS1_29radix_sort_onesweep_iterationIS3_Lb0EN6thrust23THRUST_200600_302600_NS6detail15normal_iteratorINS8_10device_ptrIsEEEESD_SD_SD_jNS0_19identity_decomposerENS1_16block_id_wrapperIjLb0EEEEE10hipError_tT1_PNSt15iterator_traitsISI_E10value_typeET2_T3_PNSJ_ISO_E10value_typeET4_T5_PST_SU_PNS1_23onesweep_lookback_stateEbbT6_jjT7_P12ihipStream_tbENKUlT_T0_SI_SN_E_clISD_SD_SD_SD_EEDaS11_S12_SI_SN_EUlS11_E_NS1_11comp_targetILNS1_3genE8ELNS1_11target_archE1030ELNS1_3gpuE2ELNS1_3repE0EEENS1_47radix_sort_onesweep_sort_config_static_selectorELNS0_4arch9wavefront6targetE1EEEvSI_: ; @_ZN7rocprim17ROCPRIM_400000_NS6detail17trampoline_kernelINS0_14default_configENS1_35radix_sort_onesweep_config_selectorIssEEZZNS1_29radix_sort_onesweep_iterationIS3_Lb0EN6thrust23THRUST_200600_302600_NS6detail15normal_iteratorINS8_10device_ptrIsEEEESD_SD_SD_jNS0_19identity_decomposerENS1_16block_id_wrapperIjLb0EEEEE10hipError_tT1_PNSt15iterator_traitsISI_E10value_typeET2_T3_PNSJ_ISO_E10value_typeET4_T5_PST_SU_PNS1_23onesweep_lookback_stateEbbT6_jjT7_P12ihipStream_tbENKUlT_T0_SI_SN_E_clISD_SD_SD_SD_EEDaS11_S12_SI_SN_EUlS11_E_NS1_11comp_targetILNS1_3genE8ELNS1_11target_archE1030ELNS1_3gpuE2ELNS1_3repE0EEENS1_47radix_sort_onesweep_sort_config_static_selectorELNS0_4arch9wavefront6targetE1EEEvSI_
; %bb.0:
	.section	.rodata,"a",@progbits
	.p2align	6, 0x0
	.amdhsa_kernel _ZN7rocprim17ROCPRIM_400000_NS6detail17trampoline_kernelINS0_14default_configENS1_35radix_sort_onesweep_config_selectorIssEEZZNS1_29radix_sort_onesweep_iterationIS3_Lb0EN6thrust23THRUST_200600_302600_NS6detail15normal_iteratorINS8_10device_ptrIsEEEESD_SD_SD_jNS0_19identity_decomposerENS1_16block_id_wrapperIjLb0EEEEE10hipError_tT1_PNSt15iterator_traitsISI_E10value_typeET2_T3_PNSJ_ISO_E10value_typeET4_T5_PST_SU_PNS1_23onesweep_lookback_stateEbbT6_jjT7_P12ihipStream_tbENKUlT_T0_SI_SN_E_clISD_SD_SD_SD_EEDaS11_S12_SI_SN_EUlS11_E_NS1_11comp_targetILNS1_3genE8ELNS1_11target_archE1030ELNS1_3gpuE2ELNS1_3repE0EEENS1_47radix_sort_onesweep_sort_config_static_selectorELNS0_4arch9wavefront6targetE1EEEvSI_
		.amdhsa_group_segment_fixed_size 0
		.amdhsa_private_segment_fixed_size 0
		.amdhsa_kernarg_size 88
		.amdhsa_user_sgpr_count 2
		.amdhsa_user_sgpr_dispatch_ptr 0
		.amdhsa_user_sgpr_queue_ptr 0
		.amdhsa_user_sgpr_kernarg_segment_ptr 1
		.amdhsa_user_sgpr_dispatch_id 0
		.amdhsa_user_sgpr_kernarg_preload_length 0
		.amdhsa_user_sgpr_kernarg_preload_offset 0
		.amdhsa_user_sgpr_private_segment_size 0
		.amdhsa_uses_dynamic_stack 0
		.amdhsa_enable_private_segment 0
		.amdhsa_system_sgpr_workgroup_id_x 1
		.amdhsa_system_sgpr_workgroup_id_y 0
		.amdhsa_system_sgpr_workgroup_id_z 0
		.amdhsa_system_sgpr_workgroup_info 0
		.amdhsa_system_vgpr_workitem_id 0
		.amdhsa_next_free_vgpr 1
		.amdhsa_next_free_sgpr 0
		.amdhsa_accum_offset 4
		.amdhsa_reserve_vcc 0
		.amdhsa_float_round_mode_32 0
		.amdhsa_float_round_mode_16_64 0
		.amdhsa_float_denorm_mode_32 3
		.amdhsa_float_denorm_mode_16_64 3
		.amdhsa_dx10_clamp 1
		.amdhsa_ieee_mode 1
		.amdhsa_fp16_overflow 0
		.amdhsa_tg_split 0
		.amdhsa_exception_fp_ieee_invalid_op 0
		.amdhsa_exception_fp_denorm_src 0
		.amdhsa_exception_fp_ieee_div_zero 0
		.amdhsa_exception_fp_ieee_overflow 0
		.amdhsa_exception_fp_ieee_underflow 0
		.amdhsa_exception_fp_ieee_inexact 0
		.amdhsa_exception_int_div_zero 0
	.end_amdhsa_kernel
	.section	.text._ZN7rocprim17ROCPRIM_400000_NS6detail17trampoline_kernelINS0_14default_configENS1_35radix_sort_onesweep_config_selectorIssEEZZNS1_29radix_sort_onesweep_iterationIS3_Lb0EN6thrust23THRUST_200600_302600_NS6detail15normal_iteratorINS8_10device_ptrIsEEEESD_SD_SD_jNS0_19identity_decomposerENS1_16block_id_wrapperIjLb0EEEEE10hipError_tT1_PNSt15iterator_traitsISI_E10value_typeET2_T3_PNSJ_ISO_E10value_typeET4_T5_PST_SU_PNS1_23onesweep_lookback_stateEbbT6_jjT7_P12ihipStream_tbENKUlT_T0_SI_SN_E_clISD_SD_SD_SD_EEDaS11_S12_SI_SN_EUlS11_E_NS1_11comp_targetILNS1_3genE8ELNS1_11target_archE1030ELNS1_3gpuE2ELNS1_3repE0EEENS1_47radix_sort_onesweep_sort_config_static_selectorELNS0_4arch9wavefront6targetE1EEEvSI_,"axG",@progbits,_ZN7rocprim17ROCPRIM_400000_NS6detail17trampoline_kernelINS0_14default_configENS1_35radix_sort_onesweep_config_selectorIssEEZZNS1_29radix_sort_onesweep_iterationIS3_Lb0EN6thrust23THRUST_200600_302600_NS6detail15normal_iteratorINS8_10device_ptrIsEEEESD_SD_SD_jNS0_19identity_decomposerENS1_16block_id_wrapperIjLb0EEEEE10hipError_tT1_PNSt15iterator_traitsISI_E10value_typeET2_T3_PNSJ_ISO_E10value_typeET4_T5_PST_SU_PNS1_23onesweep_lookback_stateEbbT6_jjT7_P12ihipStream_tbENKUlT_T0_SI_SN_E_clISD_SD_SD_SD_EEDaS11_S12_SI_SN_EUlS11_E_NS1_11comp_targetILNS1_3genE8ELNS1_11target_archE1030ELNS1_3gpuE2ELNS1_3repE0EEENS1_47radix_sort_onesweep_sort_config_static_selectorELNS0_4arch9wavefront6targetE1EEEvSI_,comdat
.Lfunc_end1677:
	.size	_ZN7rocprim17ROCPRIM_400000_NS6detail17trampoline_kernelINS0_14default_configENS1_35radix_sort_onesweep_config_selectorIssEEZZNS1_29radix_sort_onesweep_iterationIS3_Lb0EN6thrust23THRUST_200600_302600_NS6detail15normal_iteratorINS8_10device_ptrIsEEEESD_SD_SD_jNS0_19identity_decomposerENS1_16block_id_wrapperIjLb0EEEEE10hipError_tT1_PNSt15iterator_traitsISI_E10value_typeET2_T3_PNSJ_ISO_E10value_typeET4_T5_PST_SU_PNS1_23onesweep_lookback_stateEbbT6_jjT7_P12ihipStream_tbENKUlT_T0_SI_SN_E_clISD_SD_SD_SD_EEDaS11_S12_SI_SN_EUlS11_E_NS1_11comp_targetILNS1_3genE8ELNS1_11target_archE1030ELNS1_3gpuE2ELNS1_3repE0EEENS1_47radix_sort_onesweep_sort_config_static_selectorELNS0_4arch9wavefront6targetE1EEEvSI_, .Lfunc_end1677-_ZN7rocprim17ROCPRIM_400000_NS6detail17trampoline_kernelINS0_14default_configENS1_35radix_sort_onesweep_config_selectorIssEEZZNS1_29radix_sort_onesweep_iterationIS3_Lb0EN6thrust23THRUST_200600_302600_NS6detail15normal_iteratorINS8_10device_ptrIsEEEESD_SD_SD_jNS0_19identity_decomposerENS1_16block_id_wrapperIjLb0EEEEE10hipError_tT1_PNSt15iterator_traitsISI_E10value_typeET2_T3_PNSJ_ISO_E10value_typeET4_T5_PST_SU_PNS1_23onesweep_lookback_stateEbbT6_jjT7_P12ihipStream_tbENKUlT_T0_SI_SN_E_clISD_SD_SD_SD_EEDaS11_S12_SI_SN_EUlS11_E_NS1_11comp_targetILNS1_3genE8ELNS1_11target_archE1030ELNS1_3gpuE2ELNS1_3repE0EEENS1_47radix_sort_onesweep_sort_config_static_selectorELNS0_4arch9wavefront6targetE1EEEvSI_
                                        ; -- End function
	.set _ZN7rocprim17ROCPRIM_400000_NS6detail17trampoline_kernelINS0_14default_configENS1_35radix_sort_onesweep_config_selectorIssEEZZNS1_29radix_sort_onesweep_iterationIS3_Lb0EN6thrust23THRUST_200600_302600_NS6detail15normal_iteratorINS8_10device_ptrIsEEEESD_SD_SD_jNS0_19identity_decomposerENS1_16block_id_wrapperIjLb0EEEEE10hipError_tT1_PNSt15iterator_traitsISI_E10value_typeET2_T3_PNSJ_ISO_E10value_typeET4_T5_PST_SU_PNS1_23onesweep_lookback_stateEbbT6_jjT7_P12ihipStream_tbENKUlT_T0_SI_SN_E_clISD_SD_SD_SD_EEDaS11_S12_SI_SN_EUlS11_E_NS1_11comp_targetILNS1_3genE8ELNS1_11target_archE1030ELNS1_3gpuE2ELNS1_3repE0EEENS1_47radix_sort_onesweep_sort_config_static_selectorELNS0_4arch9wavefront6targetE1EEEvSI_.num_vgpr, 0
	.set _ZN7rocprim17ROCPRIM_400000_NS6detail17trampoline_kernelINS0_14default_configENS1_35radix_sort_onesweep_config_selectorIssEEZZNS1_29radix_sort_onesweep_iterationIS3_Lb0EN6thrust23THRUST_200600_302600_NS6detail15normal_iteratorINS8_10device_ptrIsEEEESD_SD_SD_jNS0_19identity_decomposerENS1_16block_id_wrapperIjLb0EEEEE10hipError_tT1_PNSt15iterator_traitsISI_E10value_typeET2_T3_PNSJ_ISO_E10value_typeET4_T5_PST_SU_PNS1_23onesweep_lookback_stateEbbT6_jjT7_P12ihipStream_tbENKUlT_T0_SI_SN_E_clISD_SD_SD_SD_EEDaS11_S12_SI_SN_EUlS11_E_NS1_11comp_targetILNS1_3genE8ELNS1_11target_archE1030ELNS1_3gpuE2ELNS1_3repE0EEENS1_47radix_sort_onesweep_sort_config_static_selectorELNS0_4arch9wavefront6targetE1EEEvSI_.num_agpr, 0
	.set _ZN7rocprim17ROCPRIM_400000_NS6detail17trampoline_kernelINS0_14default_configENS1_35radix_sort_onesweep_config_selectorIssEEZZNS1_29radix_sort_onesweep_iterationIS3_Lb0EN6thrust23THRUST_200600_302600_NS6detail15normal_iteratorINS8_10device_ptrIsEEEESD_SD_SD_jNS0_19identity_decomposerENS1_16block_id_wrapperIjLb0EEEEE10hipError_tT1_PNSt15iterator_traitsISI_E10value_typeET2_T3_PNSJ_ISO_E10value_typeET4_T5_PST_SU_PNS1_23onesweep_lookback_stateEbbT6_jjT7_P12ihipStream_tbENKUlT_T0_SI_SN_E_clISD_SD_SD_SD_EEDaS11_S12_SI_SN_EUlS11_E_NS1_11comp_targetILNS1_3genE8ELNS1_11target_archE1030ELNS1_3gpuE2ELNS1_3repE0EEENS1_47radix_sort_onesweep_sort_config_static_selectorELNS0_4arch9wavefront6targetE1EEEvSI_.numbered_sgpr, 0
	.set _ZN7rocprim17ROCPRIM_400000_NS6detail17trampoline_kernelINS0_14default_configENS1_35radix_sort_onesweep_config_selectorIssEEZZNS1_29radix_sort_onesweep_iterationIS3_Lb0EN6thrust23THRUST_200600_302600_NS6detail15normal_iteratorINS8_10device_ptrIsEEEESD_SD_SD_jNS0_19identity_decomposerENS1_16block_id_wrapperIjLb0EEEEE10hipError_tT1_PNSt15iterator_traitsISI_E10value_typeET2_T3_PNSJ_ISO_E10value_typeET4_T5_PST_SU_PNS1_23onesweep_lookback_stateEbbT6_jjT7_P12ihipStream_tbENKUlT_T0_SI_SN_E_clISD_SD_SD_SD_EEDaS11_S12_SI_SN_EUlS11_E_NS1_11comp_targetILNS1_3genE8ELNS1_11target_archE1030ELNS1_3gpuE2ELNS1_3repE0EEENS1_47radix_sort_onesweep_sort_config_static_selectorELNS0_4arch9wavefront6targetE1EEEvSI_.num_named_barrier, 0
	.set _ZN7rocprim17ROCPRIM_400000_NS6detail17trampoline_kernelINS0_14default_configENS1_35radix_sort_onesweep_config_selectorIssEEZZNS1_29radix_sort_onesweep_iterationIS3_Lb0EN6thrust23THRUST_200600_302600_NS6detail15normal_iteratorINS8_10device_ptrIsEEEESD_SD_SD_jNS0_19identity_decomposerENS1_16block_id_wrapperIjLb0EEEEE10hipError_tT1_PNSt15iterator_traitsISI_E10value_typeET2_T3_PNSJ_ISO_E10value_typeET4_T5_PST_SU_PNS1_23onesweep_lookback_stateEbbT6_jjT7_P12ihipStream_tbENKUlT_T0_SI_SN_E_clISD_SD_SD_SD_EEDaS11_S12_SI_SN_EUlS11_E_NS1_11comp_targetILNS1_3genE8ELNS1_11target_archE1030ELNS1_3gpuE2ELNS1_3repE0EEENS1_47radix_sort_onesweep_sort_config_static_selectorELNS0_4arch9wavefront6targetE1EEEvSI_.private_seg_size, 0
	.set _ZN7rocprim17ROCPRIM_400000_NS6detail17trampoline_kernelINS0_14default_configENS1_35radix_sort_onesweep_config_selectorIssEEZZNS1_29radix_sort_onesweep_iterationIS3_Lb0EN6thrust23THRUST_200600_302600_NS6detail15normal_iteratorINS8_10device_ptrIsEEEESD_SD_SD_jNS0_19identity_decomposerENS1_16block_id_wrapperIjLb0EEEEE10hipError_tT1_PNSt15iterator_traitsISI_E10value_typeET2_T3_PNSJ_ISO_E10value_typeET4_T5_PST_SU_PNS1_23onesweep_lookback_stateEbbT6_jjT7_P12ihipStream_tbENKUlT_T0_SI_SN_E_clISD_SD_SD_SD_EEDaS11_S12_SI_SN_EUlS11_E_NS1_11comp_targetILNS1_3genE8ELNS1_11target_archE1030ELNS1_3gpuE2ELNS1_3repE0EEENS1_47radix_sort_onesweep_sort_config_static_selectorELNS0_4arch9wavefront6targetE1EEEvSI_.uses_vcc, 0
	.set _ZN7rocprim17ROCPRIM_400000_NS6detail17trampoline_kernelINS0_14default_configENS1_35radix_sort_onesweep_config_selectorIssEEZZNS1_29radix_sort_onesweep_iterationIS3_Lb0EN6thrust23THRUST_200600_302600_NS6detail15normal_iteratorINS8_10device_ptrIsEEEESD_SD_SD_jNS0_19identity_decomposerENS1_16block_id_wrapperIjLb0EEEEE10hipError_tT1_PNSt15iterator_traitsISI_E10value_typeET2_T3_PNSJ_ISO_E10value_typeET4_T5_PST_SU_PNS1_23onesweep_lookback_stateEbbT6_jjT7_P12ihipStream_tbENKUlT_T0_SI_SN_E_clISD_SD_SD_SD_EEDaS11_S12_SI_SN_EUlS11_E_NS1_11comp_targetILNS1_3genE8ELNS1_11target_archE1030ELNS1_3gpuE2ELNS1_3repE0EEENS1_47radix_sort_onesweep_sort_config_static_selectorELNS0_4arch9wavefront6targetE1EEEvSI_.uses_flat_scratch, 0
	.set _ZN7rocprim17ROCPRIM_400000_NS6detail17trampoline_kernelINS0_14default_configENS1_35radix_sort_onesweep_config_selectorIssEEZZNS1_29radix_sort_onesweep_iterationIS3_Lb0EN6thrust23THRUST_200600_302600_NS6detail15normal_iteratorINS8_10device_ptrIsEEEESD_SD_SD_jNS0_19identity_decomposerENS1_16block_id_wrapperIjLb0EEEEE10hipError_tT1_PNSt15iterator_traitsISI_E10value_typeET2_T3_PNSJ_ISO_E10value_typeET4_T5_PST_SU_PNS1_23onesweep_lookback_stateEbbT6_jjT7_P12ihipStream_tbENKUlT_T0_SI_SN_E_clISD_SD_SD_SD_EEDaS11_S12_SI_SN_EUlS11_E_NS1_11comp_targetILNS1_3genE8ELNS1_11target_archE1030ELNS1_3gpuE2ELNS1_3repE0EEENS1_47radix_sort_onesweep_sort_config_static_selectorELNS0_4arch9wavefront6targetE1EEEvSI_.has_dyn_sized_stack, 0
	.set _ZN7rocprim17ROCPRIM_400000_NS6detail17trampoline_kernelINS0_14default_configENS1_35radix_sort_onesweep_config_selectorIssEEZZNS1_29radix_sort_onesweep_iterationIS3_Lb0EN6thrust23THRUST_200600_302600_NS6detail15normal_iteratorINS8_10device_ptrIsEEEESD_SD_SD_jNS0_19identity_decomposerENS1_16block_id_wrapperIjLb0EEEEE10hipError_tT1_PNSt15iterator_traitsISI_E10value_typeET2_T3_PNSJ_ISO_E10value_typeET4_T5_PST_SU_PNS1_23onesweep_lookback_stateEbbT6_jjT7_P12ihipStream_tbENKUlT_T0_SI_SN_E_clISD_SD_SD_SD_EEDaS11_S12_SI_SN_EUlS11_E_NS1_11comp_targetILNS1_3genE8ELNS1_11target_archE1030ELNS1_3gpuE2ELNS1_3repE0EEENS1_47radix_sort_onesweep_sort_config_static_selectorELNS0_4arch9wavefront6targetE1EEEvSI_.has_recursion, 0
	.set _ZN7rocprim17ROCPRIM_400000_NS6detail17trampoline_kernelINS0_14default_configENS1_35radix_sort_onesweep_config_selectorIssEEZZNS1_29radix_sort_onesweep_iterationIS3_Lb0EN6thrust23THRUST_200600_302600_NS6detail15normal_iteratorINS8_10device_ptrIsEEEESD_SD_SD_jNS0_19identity_decomposerENS1_16block_id_wrapperIjLb0EEEEE10hipError_tT1_PNSt15iterator_traitsISI_E10value_typeET2_T3_PNSJ_ISO_E10value_typeET4_T5_PST_SU_PNS1_23onesweep_lookback_stateEbbT6_jjT7_P12ihipStream_tbENKUlT_T0_SI_SN_E_clISD_SD_SD_SD_EEDaS11_S12_SI_SN_EUlS11_E_NS1_11comp_targetILNS1_3genE8ELNS1_11target_archE1030ELNS1_3gpuE2ELNS1_3repE0EEENS1_47radix_sort_onesweep_sort_config_static_selectorELNS0_4arch9wavefront6targetE1EEEvSI_.has_indirect_call, 0
	.section	.AMDGPU.csdata,"",@progbits
; Kernel info:
; codeLenInByte = 0
; TotalNumSgprs: 6
; NumVgprs: 0
; NumAgprs: 0
; TotalNumVgprs: 0
; ScratchSize: 0
; MemoryBound: 0
; FloatMode: 240
; IeeeMode: 1
; LDSByteSize: 0 bytes/workgroup (compile time only)
; SGPRBlocks: 0
; VGPRBlocks: 0
; NumSGPRsForWavesPerEU: 6
; NumVGPRsForWavesPerEU: 1
; AccumOffset: 4
; Occupancy: 8
; WaveLimiterHint : 0
; COMPUTE_PGM_RSRC2:SCRATCH_EN: 0
; COMPUTE_PGM_RSRC2:USER_SGPR: 2
; COMPUTE_PGM_RSRC2:TRAP_HANDLER: 0
; COMPUTE_PGM_RSRC2:TGID_X_EN: 1
; COMPUTE_PGM_RSRC2:TGID_Y_EN: 0
; COMPUTE_PGM_RSRC2:TGID_Z_EN: 0
; COMPUTE_PGM_RSRC2:TIDIG_COMP_CNT: 0
; COMPUTE_PGM_RSRC3_GFX90A:ACCUM_OFFSET: 0
; COMPUTE_PGM_RSRC3_GFX90A:TG_SPLIT: 0
	.section	.text._ZN7rocprim17ROCPRIM_400000_NS6detail17trampoline_kernelINS0_14default_configENS1_35radix_sort_onesweep_config_selectorIssEEZZNS1_29radix_sort_onesweep_iterationIS3_Lb0EN6thrust23THRUST_200600_302600_NS6detail15normal_iteratorINS8_10device_ptrIsEEEESD_SD_SD_jNS0_19identity_decomposerENS1_16block_id_wrapperIjLb0EEEEE10hipError_tT1_PNSt15iterator_traitsISI_E10value_typeET2_T3_PNSJ_ISO_E10value_typeET4_T5_PST_SU_PNS1_23onesweep_lookback_stateEbbT6_jjT7_P12ihipStream_tbENKUlT_T0_SI_SN_E_clISD_PsSD_S15_EEDaS11_S12_SI_SN_EUlS11_E_NS1_11comp_targetILNS1_3genE0ELNS1_11target_archE4294967295ELNS1_3gpuE0ELNS1_3repE0EEENS1_47radix_sort_onesweep_sort_config_static_selectorELNS0_4arch9wavefront6targetE1EEEvSI_,"axG",@progbits,_ZN7rocprim17ROCPRIM_400000_NS6detail17trampoline_kernelINS0_14default_configENS1_35radix_sort_onesweep_config_selectorIssEEZZNS1_29radix_sort_onesweep_iterationIS3_Lb0EN6thrust23THRUST_200600_302600_NS6detail15normal_iteratorINS8_10device_ptrIsEEEESD_SD_SD_jNS0_19identity_decomposerENS1_16block_id_wrapperIjLb0EEEEE10hipError_tT1_PNSt15iterator_traitsISI_E10value_typeET2_T3_PNSJ_ISO_E10value_typeET4_T5_PST_SU_PNS1_23onesweep_lookback_stateEbbT6_jjT7_P12ihipStream_tbENKUlT_T0_SI_SN_E_clISD_PsSD_S15_EEDaS11_S12_SI_SN_EUlS11_E_NS1_11comp_targetILNS1_3genE0ELNS1_11target_archE4294967295ELNS1_3gpuE0ELNS1_3repE0EEENS1_47radix_sort_onesweep_sort_config_static_selectorELNS0_4arch9wavefront6targetE1EEEvSI_,comdat
	.protected	_ZN7rocprim17ROCPRIM_400000_NS6detail17trampoline_kernelINS0_14default_configENS1_35radix_sort_onesweep_config_selectorIssEEZZNS1_29radix_sort_onesweep_iterationIS3_Lb0EN6thrust23THRUST_200600_302600_NS6detail15normal_iteratorINS8_10device_ptrIsEEEESD_SD_SD_jNS0_19identity_decomposerENS1_16block_id_wrapperIjLb0EEEEE10hipError_tT1_PNSt15iterator_traitsISI_E10value_typeET2_T3_PNSJ_ISO_E10value_typeET4_T5_PST_SU_PNS1_23onesweep_lookback_stateEbbT6_jjT7_P12ihipStream_tbENKUlT_T0_SI_SN_E_clISD_PsSD_S15_EEDaS11_S12_SI_SN_EUlS11_E_NS1_11comp_targetILNS1_3genE0ELNS1_11target_archE4294967295ELNS1_3gpuE0ELNS1_3repE0EEENS1_47radix_sort_onesweep_sort_config_static_selectorELNS0_4arch9wavefront6targetE1EEEvSI_ ; -- Begin function _ZN7rocprim17ROCPRIM_400000_NS6detail17trampoline_kernelINS0_14default_configENS1_35radix_sort_onesweep_config_selectorIssEEZZNS1_29radix_sort_onesweep_iterationIS3_Lb0EN6thrust23THRUST_200600_302600_NS6detail15normal_iteratorINS8_10device_ptrIsEEEESD_SD_SD_jNS0_19identity_decomposerENS1_16block_id_wrapperIjLb0EEEEE10hipError_tT1_PNSt15iterator_traitsISI_E10value_typeET2_T3_PNSJ_ISO_E10value_typeET4_T5_PST_SU_PNS1_23onesweep_lookback_stateEbbT6_jjT7_P12ihipStream_tbENKUlT_T0_SI_SN_E_clISD_PsSD_S15_EEDaS11_S12_SI_SN_EUlS11_E_NS1_11comp_targetILNS1_3genE0ELNS1_11target_archE4294967295ELNS1_3gpuE0ELNS1_3repE0EEENS1_47radix_sort_onesweep_sort_config_static_selectorELNS0_4arch9wavefront6targetE1EEEvSI_
	.globl	_ZN7rocprim17ROCPRIM_400000_NS6detail17trampoline_kernelINS0_14default_configENS1_35radix_sort_onesweep_config_selectorIssEEZZNS1_29radix_sort_onesweep_iterationIS3_Lb0EN6thrust23THRUST_200600_302600_NS6detail15normal_iteratorINS8_10device_ptrIsEEEESD_SD_SD_jNS0_19identity_decomposerENS1_16block_id_wrapperIjLb0EEEEE10hipError_tT1_PNSt15iterator_traitsISI_E10value_typeET2_T3_PNSJ_ISO_E10value_typeET4_T5_PST_SU_PNS1_23onesweep_lookback_stateEbbT6_jjT7_P12ihipStream_tbENKUlT_T0_SI_SN_E_clISD_PsSD_S15_EEDaS11_S12_SI_SN_EUlS11_E_NS1_11comp_targetILNS1_3genE0ELNS1_11target_archE4294967295ELNS1_3gpuE0ELNS1_3repE0EEENS1_47radix_sort_onesweep_sort_config_static_selectorELNS0_4arch9wavefront6targetE1EEEvSI_
	.p2align	8
	.type	_ZN7rocprim17ROCPRIM_400000_NS6detail17trampoline_kernelINS0_14default_configENS1_35radix_sort_onesweep_config_selectorIssEEZZNS1_29radix_sort_onesweep_iterationIS3_Lb0EN6thrust23THRUST_200600_302600_NS6detail15normal_iteratorINS8_10device_ptrIsEEEESD_SD_SD_jNS0_19identity_decomposerENS1_16block_id_wrapperIjLb0EEEEE10hipError_tT1_PNSt15iterator_traitsISI_E10value_typeET2_T3_PNSJ_ISO_E10value_typeET4_T5_PST_SU_PNS1_23onesweep_lookback_stateEbbT6_jjT7_P12ihipStream_tbENKUlT_T0_SI_SN_E_clISD_PsSD_S15_EEDaS11_S12_SI_SN_EUlS11_E_NS1_11comp_targetILNS1_3genE0ELNS1_11target_archE4294967295ELNS1_3gpuE0ELNS1_3repE0EEENS1_47radix_sort_onesweep_sort_config_static_selectorELNS0_4arch9wavefront6targetE1EEEvSI_,@function
_ZN7rocprim17ROCPRIM_400000_NS6detail17trampoline_kernelINS0_14default_configENS1_35radix_sort_onesweep_config_selectorIssEEZZNS1_29radix_sort_onesweep_iterationIS3_Lb0EN6thrust23THRUST_200600_302600_NS6detail15normal_iteratorINS8_10device_ptrIsEEEESD_SD_SD_jNS0_19identity_decomposerENS1_16block_id_wrapperIjLb0EEEEE10hipError_tT1_PNSt15iterator_traitsISI_E10value_typeET2_T3_PNSJ_ISO_E10value_typeET4_T5_PST_SU_PNS1_23onesweep_lookback_stateEbbT6_jjT7_P12ihipStream_tbENKUlT_T0_SI_SN_E_clISD_PsSD_S15_EEDaS11_S12_SI_SN_EUlS11_E_NS1_11comp_targetILNS1_3genE0ELNS1_11target_archE4294967295ELNS1_3gpuE0ELNS1_3repE0EEENS1_47radix_sort_onesweep_sort_config_static_selectorELNS0_4arch9wavefront6targetE1EEEvSI_: ; @_ZN7rocprim17ROCPRIM_400000_NS6detail17trampoline_kernelINS0_14default_configENS1_35radix_sort_onesweep_config_selectorIssEEZZNS1_29radix_sort_onesweep_iterationIS3_Lb0EN6thrust23THRUST_200600_302600_NS6detail15normal_iteratorINS8_10device_ptrIsEEEESD_SD_SD_jNS0_19identity_decomposerENS1_16block_id_wrapperIjLb0EEEEE10hipError_tT1_PNSt15iterator_traitsISI_E10value_typeET2_T3_PNSJ_ISO_E10value_typeET4_T5_PST_SU_PNS1_23onesweep_lookback_stateEbbT6_jjT7_P12ihipStream_tbENKUlT_T0_SI_SN_E_clISD_PsSD_S15_EEDaS11_S12_SI_SN_EUlS11_E_NS1_11comp_targetILNS1_3genE0ELNS1_11target_archE4294967295ELNS1_3gpuE0ELNS1_3repE0EEENS1_47radix_sort_onesweep_sort_config_static_selectorELNS0_4arch9wavefront6targetE1EEEvSI_
; %bb.0:
	.section	.rodata,"a",@progbits
	.p2align	6, 0x0
	.amdhsa_kernel _ZN7rocprim17ROCPRIM_400000_NS6detail17trampoline_kernelINS0_14default_configENS1_35radix_sort_onesweep_config_selectorIssEEZZNS1_29radix_sort_onesweep_iterationIS3_Lb0EN6thrust23THRUST_200600_302600_NS6detail15normal_iteratorINS8_10device_ptrIsEEEESD_SD_SD_jNS0_19identity_decomposerENS1_16block_id_wrapperIjLb0EEEEE10hipError_tT1_PNSt15iterator_traitsISI_E10value_typeET2_T3_PNSJ_ISO_E10value_typeET4_T5_PST_SU_PNS1_23onesweep_lookback_stateEbbT6_jjT7_P12ihipStream_tbENKUlT_T0_SI_SN_E_clISD_PsSD_S15_EEDaS11_S12_SI_SN_EUlS11_E_NS1_11comp_targetILNS1_3genE0ELNS1_11target_archE4294967295ELNS1_3gpuE0ELNS1_3repE0EEENS1_47radix_sort_onesweep_sort_config_static_selectorELNS0_4arch9wavefront6targetE1EEEvSI_
		.amdhsa_group_segment_fixed_size 0
		.amdhsa_private_segment_fixed_size 0
		.amdhsa_kernarg_size 88
		.amdhsa_user_sgpr_count 2
		.amdhsa_user_sgpr_dispatch_ptr 0
		.amdhsa_user_sgpr_queue_ptr 0
		.amdhsa_user_sgpr_kernarg_segment_ptr 1
		.amdhsa_user_sgpr_dispatch_id 0
		.amdhsa_user_sgpr_kernarg_preload_length 0
		.amdhsa_user_sgpr_kernarg_preload_offset 0
		.amdhsa_user_sgpr_private_segment_size 0
		.amdhsa_uses_dynamic_stack 0
		.amdhsa_enable_private_segment 0
		.amdhsa_system_sgpr_workgroup_id_x 1
		.amdhsa_system_sgpr_workgroup_id_y 0
		.amdhsa_system_sgpr_workgroup_id_z 0
		.amdhsa_system_sgpr_workgroup_info 0
		.amdhsa_system_vgpr_workitem_id 0
		.amdhsa_next_free_vgpr 1
		.amdhsa_next_free_sgpr 0
		.amdhsa_accum_offset 4
		.amdhsa_reserve_vcc 0
		.amdhsa_float_round_mode_32 0
		.amdhsa_float_round_mode_16_64 0
		.amdhsa_float_denorm_mode_32 3
		.amdhsa_float_denorm_mode_16_64 3
		.amdhsa_dx10_clamp 1
		.amdhsa_ieee_mode 1
		.amdhsa_fp16_overflow 0
		.amdhsa_tg_split 0
		.amdhsa_exception_fp_ieee_invalid_op 0
		.amdhsa_exception_fp_denorm_src 0
		.amdhsa_exception_fp_ieee_div_zero 0
		.amdhsa_exception_fp_ieee_overflow 0
		.amdhsa_exception_fp_ieee_underflow 0
		.amdhsa_exception_fp_ieee_inexact 0
		.amdhsa_exception_int_div_zero 0
	.end_amdhsa_kernel
	.section	.text._ZN7rocprim17ROCPRIM_400000_NS6detail17trampoline_kernelINS0_14default_configENS1_35radix_sort_onesweep_config_selectorIssEEZZNS1_29radix_sort_onesweep_iterationIS3_Lb0EN6thrust23THRUST_200600_302600_NS6detail15normal_iteratorINS8_10device_ptrIsEEEESD_SD_SD_jNS0_19identity_decomposerENS1_16block_id_wrapperIjLb0EEEEE10hipError_tT1_PNSt15iterator_traitsISI_E10value_typeET2_T3_PNSJ_ISO_E10value_typeET4_T5_PST_SU_PNS1_23onesweep_lookback_stateEbbT6_jjT7_P12ihipStream_tbENKUlT_T0_SI_SN_E_clISD_PsSD_S15_EEDaS11_S12_SI_SN_EUlS11_E_NS1_11comp_targetILNS1_3genE0ELNS1_11target_archE4294967295ELNS1_3gpuE0ELNS1_3repE0EEENS1_47radix_sort_onesweep_sort_config_static_selectorELNS0_4arch9wavefront6targetE1EEEvSI_,"axG",@progbits,_ZN7rocprim17ROCPRIM_400000_NS6detail17trampoline_kernelINS0_14default_configENS1_35radix_sort_onesweep_config_selectorIssEEZZNS1_29radix_sort_onesweep_iterationIS3_Lb0EN6thrust23THRUST_200600_302600_NS6detail15normal_iteratorINS8_10device_ptrIsEEEESD_SD_SD_jNS0_19identity_decomposerENS1_16block_id_wrapperIjLb0EEEEE10hipError_tT1_PNSt15iterator_traitsISI_E10value_typeET2_T3_PNSJ_ISO_E10value_typeET4_T5_PST_SU_PNS1_23onesweep_lookback_stateEbbT6_jjT7_P12ihipStream_tbENKUlT_T0_SI_SN_E_clISD_PsSD_S15_EEDaS11_S12_SI_SN_EUlS11_E_NS1_11comp_targetILNS1_3genE0ELNS1_11target_archE4294967295ELNS1_3gpuE0ELNS1_3repE0EEENS1_47radix_sort_onesweep_sort_config_static_selectorELNS0_4arch9wavefront6targetE1EEEvSI_,comdat
.Lfunc_end1678:
	.size	_ZN7rocprim17ROCPRIM_400000_NS6detail17trampoline_kernelINS0_14default_configENS1_35radix_sort_onesweep_config_selectorIssEEZZNS1_29radix_sort_onesweep_iterationIS3_Lb0EN6thrust23THRUST_200600_302600_NS6detail15normal_iteratorINS8_10device_ptrIsEEEESD_SD_SD_jNS0_19identity_decomposerENS1_16block_id_wrapperIjLb0EEEEE10hipError_tT1_PNSt15iterator_traitsISI_E10value_typeET2_T3_PNSJ_ISO_E10value_typeET4_T5_PST_SU_PNS1_23onesweep_lookback_stateEbbT6_jjT7_P12ihipStream_tbENKUlT_T0_SI_SN_E_clISD_PsSD_S15_EEDaS11_S12_SI_SN_EUlS11_E_NS1_11comp_targetILNS1_3genE0ELNS1_11target_archE4294967295ELNS1_3gpuE0ELNS1_3repE0EEENS1_47radix_sort_onesweep_sort_config_static_selectorELNS0_4arch9wavefront6targetE1EEEvSI_, .Lfunc_end1678-_ZN7rocprim17ROCPRIM_400000_NS6detail17trampoline_kernelINS0_14default_configENS1_35radix_sort_onesweep_config_selectorIssEEZZNS1_29radix_sort_onesweep_iterationIS3_Lb0EN6thrust23THRUST_200600_302600_NS6detail15normal_iteratorINS8_10device_ptrIsEEEESD_SD_SD_jNS0_19identity_decomposerENS1_16block_id_wrapperIjLb0EEEEE10hipError_tT1_PNSt15iterator_traitsISI_E10value_typeET2_T3_PNSJ_ISO_E10value_typeET4_T5_PST_SU_PNS1_23onesweep_lookback_stateEbbT6_jjT7_P12ihipStream_tbENKUlT_T0_SI_SN_E_clISD_PsSD_S15_EEDaS11_S12_SI_SN_EUlS11_E_NS1_11comp_targetILNS1_3genE0ELNS1_11target_archE4294967295ELNS1_3gpuE0ELNS1_3repE0EEENS1_47radix_sort_onesweep_sort_config_static_selectorELNS0_4arch9wavefront6targetE1EEEvSI_
                                        ; -- End function
	.set _ZN7rocprim17ROCPRIM_400000_NS6detail17trampoline_kernelINS0_14default_configENS1_35radix_sort_onesweep_config_selectorIssEEZZNS1_29radix_sort_onesweep_iterationIS3_Lb0EN6thrust23THRUST_200600_302600_NS6detail15normal_iteratorINS8_10device_ptrIsEEEESD_SD_SD_jNS0_19identity_decomposerENS1_16block_id_wrapperIjLb0EEEEE10hipError_tT1_PNSt15iterator_traitsISI_E10value_typeET2_T3_PNSJ_ISO_E10value_typeET4_T5_PST_SU_PNS1_23onesweep_lookback_stateEbbT6_jjT7_P12ihipStream_tbENKUlT_T0_SI_SN_E_clISD_PsSD_S15_EEDaS11_S12_SI_SN_EUlS11_E_NS1_11comp_targetILNS1_3genE0ELNS1_11target_archE4294967295ELNS1_3gpuE0ELNS1_3repE0EEENS1_47radix_sort_onesweep_sort_config_static_selectorELNS0_4arch9wavefront6targetE1EEEvSI_.num_vgpr, 0
	.set _ZN7rocprim17ROCPRIM_400000_NS6detail17trampoline_kernelINS0_14default_configENS1_35radix_sort_onesweep_config_selectorIssEEZZNS1_29radix_sort_onesweep_iterationIS3_Lb0EN6thrust23THRUST_200600_302600_NS6detail15normal_iteratorINS8_10device_ptrIsEEEESD_SD_SD_jNS0_19identity_decomposerENS1_16block_id_wrapperIjLb0EEEEE10hipError_tT1_PNSt15iterator_traitsISI_E10value_typeET2_T3_PNSJ_ISO_E10value_typeET4_T5_PST_SU_PNS1_23onesweep_lookback_stateEbbT6_jjT7_P12ihipStream_tbENKUlT_T0_SI_SN_E_clISD_PsSD_S15_EEDaS11_S12_SI_SN_EUlS11_E_NS1_11comp_targetILNS1_3genE0ELNS1_11target_archE4294967295ELNS1_3gpuE0ELNS1_3repE0EEENS1_47radix_sort_onesweep_sort_config_static_selectorELNS0_4arch9wavefront6targetE1EEEvSI_.num_agpr, 0
	.set _ZN7rocprim17ROCPRIM_400000_NS6detail17trampoline_kernelINS0_14default_configENS1_35radix_sort_onesweep_config_selectorIssEEZZNS1_29radix_sort_onesweep_iterationIS3_Lb0EN6thrust23THRUST_200600_302600_NS6detail15normal_iteratorINS8_10device_ptrIsEEEESD_SD_SD_jNS0_19identity_decomposerENS1_16block_id_wrapperIjLb0EEEEE10hipError_tT1_PNSt15iterator_traitsISI_E10value_typeET2_T3_PNSJ_ISO_E10value_typeET4_T5_PST_SU_PNS1_23onesweep_lookback_stateEbbT6_jjT7_P12ihipStream_tbENKUlT_T0_SI_SN_E_clISD_PsSD_S15_EEDaS11_S12_SI_SN_EUlS11_E_NS1_11comp_targetILNS1_3genE0ELNS1_11target_archE4294967295ELNS1_3gpuE0ELNS1_3repE0EEENS1_47radix_sort_onesweep_sort_config_static_selectorELNS0_4arch9wavefront6targetE1EEEvSI_.numbered_sgpr, 0
	.set _ZN7rocprim17ROCPRIM_400000_NS6detail17trampoline_kernelINS0_14default_configENS1_35radix_sort_onesweep_config_selectorIssEEZZNS1_29radix_sort_onesweep_iterationIS3_Lb0EN6thrust23THRUST_200600_302600_NS6detail15normal_iteratorINS8_10device_ptrIsEEEESD_SD_SD_jNS0_19identity_decomposerENS1_16block_id_wrapperIjLb0EEEEE10hipError_tT1_PNSt15iterator_traitsISI_E10value_typeET2_T3_PNSJ_ISO_E10value_typeET4_T5_PST_SU_PNS1_23onesweep_lookback_stateEbbT6_jjT7_P12ihipStream_tbENKUlT_T0_SI_SN_E_clISD_PsSD_S15_EEDaS11_S12_SI_SN_EUlS11_E_NS1_11comp_targetILNS1_3genE0ELNS1_11target_archE4294967295ELNS1_3gpuE0ELNS1_3repE0EEENS1_47radix_sort_onesweep_sort_config_static_selectorELNS0_4arch9wavefront6targetE1EEEvSI_.num_named_barrier, 0
	.set _ZN7rocprim17ROCPRIM_400000_NS6detail17trampoline_kernelINS0_14default_configENS1_35radix_sort_onesweep_config_selectorIssEEZZNS1_29radix_sort_onesweep_iterationIS3_Lb0EN6thrust23THRUST_200600_302600_NS6detail15normal_iteratorINS8_10device_ptrIsEEEESD_SD_SD_jNS0_19identity_decomposerENS1_16block_id_wrapperIjLb0EEEEE10hipError_tT1_PNSt15iterator_traitsISI_E10value_typeET2_T3_PNSJ_ISO_E10value_typeET4_T5_PST_SU_PNS1_23onesweep_lookback_stateEbbT6_jjT7_P12ihipStream_tbENKUlT_T0_SI_SN_E_clISD_PsSD_S15_EEDaS11_S12_SI_SN_EUlS11_E_NS1_11comp_targetILNS1_3genE0ELNS1_11target_archE4294967295ELNS1_3gpuE0ELNS1_3repE0EEENS1_47radix_sort_onesweep_sort_config_static_selectorELNS0_4arch9wavefront6targetE1EEEvSI_.private_seg_size, 0
	.set _ZN7rocprim17ROCPRIM_400000_NS6detail17trampoline_kernelINS0_14default_configENS1_35radix_sort_onesweep_config_selectorIssEEZZNS1_29radix_sort_onesweep_iterationIS3_Lb0EN6thrust23THRUST_200600_302600_NS6detail15normal_iteratorINS8_10device_ptrIsEEEESD_SD_SD_jNS0_19identity_decomposerENS1_16block_id_wrapperIjLb0EEEEE10hipError_tT1_PNSt15iterator_traitsISI_E10value_typeET2_T3_PNSJ_ISO_E10value_typeET4_T5_PST_SU_PNS1_23onesweep_lookback_stateEbbT6_jjT7_P12ihipStream_tbENKUlT_T0_SI_SN_E_clISD_PsSD_S15_EEDaS11_S12_SI_SN_EUlS11_E_NS1_11comp_targetILNS1_3genE0ELNS1_11target_archE4294967295ELNS1_3gpuE0ELNS1_3repE0EEENS1_47radix_sort_onesweep_sort_config_static_selectorELNS0_4arch9wavefront6targetE1EEEvSI_.uses_vcc, 0
	.set _ZN7rocprim17ROCPRIM_400000_NS6detail17trampoline_kernelINS0_14default_configENS1_35radix_sort_onesweep_config_selectorIssEEZZNS1_29radix_sort_onesweep_iterationIS3_Lb0EN6thrust23THRUST_200600_302600_NS6detail15normal_iteratorINS8_10device_ptrIsEEEESD_SD_SD_jNS0_19identity_decomposerENS1_16block_id_wrapperIjLb0EEEEE10hipError_tT1_PNSt15iterator_traitsISI_E10value_typeET2_T3_PNSJ_ISO_E10value_typeET4_T5_PST_SU_PNS1_23onesweep_lookback_stateEbbT6_jjT7_P12ihipStream_tbENKUlT_T0_SI_SN_E_clISD_PsSD_S15_EEDaS11_S12_SI_SN_EUlS11_E_NS1_11comp_targetILNS1_3genE0ELNS1_11target_archE4294967295ELNS1_3gpuE0ELNS1_3repE0EEENS1_47radix_sort_onesweep_sort_config_static_selectorELNS0_4arch9wavefront6targetE1EEEvSI_.uses_flat_scratch, 0
	.set _ZN7rocprim17ROCPRIM_400000_NS6detail17trampoline_kernelINS0_14default_configENS1_35radix_sort_onesweep_config_selectorIssEEZZNS1_29radix_sort_onesweep_iterationIS3_Lb0EN6thrust23THRUST_200600_302600_NS6detail15normal_iteratorINS8_10device_ptrIsEEEESD_SD_SD_jNS0_19identity_decomposerENS1_16block_id_wrapperIjLb0EEEEE10hipError_tT1_PNSt15iterator_traitsISI_E10value_typeET2_T3_PNSJ_ISO_E10value_typeET4_T5_PST_SU_PNS1_23onesweep_lookback_stateEbbT6_jjT7_P12ihipStream_tbENKUlT_T0_SI_SN_E_clISD_PsSD_S15_EEDaS11_S12_SI_SN_EUlS11_E_NS1_11comp_targetILNS1_3genE0ELNS1_11target_archE4294967295ELNS1_3gpuE0ELNS1_3repE0EEENS1_47radix_sort_onesweep_sort_config_static_selectorELNS0_4arch9wavefront6targetE1EEEvSI_.has_dyn_sized_stack, 0
	.set _ZN7rocprim17ROCPRIM_400000_NS6detail17trampoline_kernelINS0_14default_configENS1_35radix_sort_onesweep_config_selectorIssEEZZNS1_29radix_sort_onesweep_iterationIS3_Lb0EN6thrust23THRUST_200600_302600_NS6detail15normal_iteratorINS8_10device_ptrIsEEEESD_SD_SD_jNS0_19identity_decomposerENS1_16block_id_wrapperIjLb0EEEEE10hipError_tT1_PNSt15iterator_traitsISI_E10value_typeET2_T3_PNSJ_ISO_E10value_typeET4_T5_PST_SU_PNS1_23onesweep_lookback_stateEbbT6_jjT7_P12ihipStream_tbENKUlT_T0_SI_SN_E_clISD_PsSD_S15_EEDaS11_S12_SI_SN_EUlS11_E_NS1_11comp_targetILNS1_3genE0ELNS1_11target_archE4294967295ELNS1_3gpuE0ELNS1_3repE0EEENS1_47radix_sort_onesweep_sort_config_static_selectorELNS0_4arch9wavefront6targetE1EEEvSI_.has_recursion, 0
	.set _ZN7rocprim17ROCPRIM_400000_NS6detail17trampoline_kernelINS0_14default_configENS1_35radix_sort_onesweep_config_selectorIssEEZZNS1_29radix_sort_onesweep_iterationIS3_Lb0EN6thrust23THRUST_200600_302600_NS6detail15normal_iteratorINS8_10device_ptrIsEEEESD_SD_SD_jNS0_19identity_decomposerENS1_16block_id_wrapperIjLb0EEEEE10hipError_tT1_PNSt15iterator_traitsISI_E10value_typeET2_T3_PNSJ_ISO_E10value_typeET4_T5_PST_SU_PNS1_23onesweep_lookback_stateEbbT6_jjT7_P12ihipStream_tbENKUlT_T0_SI_SN_E_clISD_PsSD_S15_EEDaS11_S12_SI_SN_EUlS11_E_NS1_11comp_targetILNS1_3genE0ELNS1_11target_archE4294967295ELNS1_3gpuE0ELNS1_3repE0EEENS1_47radix_sort_onesweep_sort_config_static_selectorELNS0_4arch9wavefront6targetE1EEEvSI_.has_indirect_call, 0
	.section	.AMDGPU.csdata,"",@progbits
; Kernel info:
; codeLenInByte = 0
; TotalNumSgprs: 6
; NumVgprs: 0
; NumAgprs: 0
; TotalNumVgprs: 0
; ScratchSize: 0
; MemoryBound: 0
; FloatMode: 240
; IeeeMode: 1
; LDSByteSize: 0 bytes/workgroup (compile time only)
; SGPRBlocks: 0
; VGPRBlocks: 0
; NumSGPRsForWavesPerEU: 6
; NumVGPRsForWavesPerEU: 1
; AccumOffset: 4
; Occupancy: 8
; WaveLimiterHint : 0
; COMPUTE_PGM_RSRC2:SCRATCH_EN: 0
; COMPUTE_PGM_RSRC2:USER_SGPR: 2
; COMPUTE_PGM_RSRC2:TRAP_HANDLER: 0
; COMPUTE_PGM_RSRC2:TGID_X_EN: 1
; COMPUTE_PGM_RSRC2:TGID_Y_EN: 0
; COMPUTE_PGM_RSRC2:TGID_Z_EN: 0
; COMPUTE_PGM_RSRC2:TIDIG_COMP_CNT: 0
; COMPUTE_PGM_RSRC3_GFX90A:ACCUM_OFFSET: 0
; COMPUTE_PGM_RSRC3_GFX90A:TG_SPLIT: 0
	.section	.text._ZN7rocprim17ROCPRIM_400000_NS6detail17trampoline_kernelINS0_14default_configENS1_35radix_sort_onesweep_config_selectorIssEEZZNS1_29radix_sort_onesweep_iterationIS3_Lb0EN6thrust23THRUST_200600_302600_NS6detail15normal_iteratorINS8_10device_ptrIsEEEESD_SD_SD_jNS0_19identity_decomposerENS1_16block_id_wrapperIjLb0EEEEE10hipError_tT1_PNSt15iterator_traitsISI_E10value_typeET2_T3_PNSJ_ISO_E10value_typeET4_T5_PST_SU_PNS1_23onesweep_lookback_stateEbbT6_jjT7_P12ihipStream_tbENKUlT_T0_SI_SN_E_clISD_PsSD_S15_EEDaS11_S12_SI_SN_EUlS11_E_NS1_11comp_targetILNS1_3genE6ELNS1_11target_archE950ELNS1_3gpuE13ELNS1_3repE0EEENS1_47radix_sort_onesweep_sort_config_static_selectorELNS0_4arch9wavefront6targetE1EEEvSI_,"axG",@progbits,_ZN7rocprim17ROCPRIM_400000_NS6detail17trampoline_kernelINS0_14default_configENS1_35radix_sort_onesweep_config_selectorIssEEZZNS1_29radix_sort_onesweep_iterationIS3_Lb0EN6thrust23THRUST_200600_302600_NS6detail15normal_iteratorINS8_10device_ptrIsEEEESD_SD_SD_jNS0_19identity_decomposerENS1_16block_id_wrapperIjLb0EEEEE10hipError_tT1_PNSt15iterator_traitsISI_E10value_typeET2_T3_PNSJ_ISO_E10value_typeET4_T5_PST_SU_PNS1_23onesweep_lookback_stateEbbT6_jjT7_P12ihipStream_tbENKUlT_T0_SI_SN_E_clISD_PsSD_S15_EEDaS11_S12_SI_SN_EUlS11_E_NS1_11comp_targetILNS1_3genE6ELNS1_11target_archE950ELNS1_3gpuE13ELNS1_3repE0EEENS1_47radix_sort_onesweep_sort_config_static_selectorELNS0_4arch9wavefront6targetE1EEEvSI_,comdat
	.protected	_ZN7rocprim17ROCPRIM_400000_NS6detail17trampoline_kernelINS0_14default_configENS1_35radix_sort_onesweep_config_selectorIssEEZZNS1_29radix_sort_onesweep_iterationIS3_Lb0EN6thrust23THRUST_200600_302600_NS6detail15normal_iteratorINS8_10device_ptrIsEEEESD_SD_SD_jNS0_19identity_decomposerENS1_16block_id_wrapperIjLb0EEEEE10hipError_tT1_PNSt15iterator_traitsISI_E10value_typeET2_T3_PNSJ_ISO_E10value_typeET4_T5_PST_SU_PNS1_23onesweep_lookback_stateEbbT6_jjT7_P12ihipStream_tbENKUlT_T0_SI_SN_E_clISD_PsSD_S15_EEDaS11_S12_SI_SN_EUlS11_E_NS1_11comp_targetILNS1_3genE6ELNS1_11target_archE950ELNS1_3gpuE13ELNS1_3repE0EEENS1_47radix_sort_onesweep_sort_config_static_selectorELNS0_4arch9wavefront6targetE1EEEvSI_ ; -- Begin function _ZN7rocprim17ROCPRIM_400000_NS6detail17trampoline_kernelINS0_14default_configENS1_35radix_sort_onesweep_config_selectorIssEEZZNS1_29radix_sort_onesweep_iterationIS3_Lb0EN6thrust23THRUST_200600_302600_NS6detail15normal_iteratorINS8_10device_ptrIsEEEESD_SD_SD_jNS0_19identity_decomposerENS1_16block_id_wrapperIjLb0EEEEE10hipError_tT1_PNSt15iterator_traitsISI_E10value_typeET2_T3_PNSJ_ISO_E10value_typeET4_T5_PST_SU_PNS1_23onesweep_lookback_stateEbbT6_jjT7_P12ihipStream_tbENKUlT_T0_SI_SN_E_clISD_PsSD_S15_EEDaS11_S12_SI_SN_EUlS11_E_NS1_11comp_targetILNS1_3genE6ELNS1_11target_archE950ELNS1_3gpuE13ELNS1_3repE0EEENS1_47radix_sort_onesweep_sort_config_static_selectorELNS0_4arch9wavefront6targetE1EEEvSI_
	.globl	_ZN7rocprim17ROCPRIM_400000_NS6detail17trampoline_kernelINS0_14default_configENS1_35radix_sort_onesweep_config_selectorIssEEZZNS1_29radix_sort_onesweep_iterationIS3_Lb0EN6thrust23THRUST_200600_302600_NS6detail15normal_iteratorINS8_10device_ptrIsEEEESD_SD_SD_jNS0_19identity_decomposerENS1_16block_id_wrapperIjLb0EEEEE10hipError_tT1_PNSt15iterator_traitsISI_E10value_typeET2_T3_PNSJ_ISO_E10value_typeET4_T5_PST_SU_PNS1_23onesweep_lookback_stateEbbT6_jjT7_P12ihipStream_tbENKUlT_T0_SI_SN_E_clISD_PsSD_S15_EEDaS11_S12_SI_SN_EUlS11_E_NS1_11comp_targetILNS1_3genE6ELNS1_11target_archE950ELNS1_3gpuE13ELNS1_3repE0EEENS1_47radix_sort_onesweep_sort_config_static_selectorELNS0_4arch9wavefront6targetE1EEEvSI_
	.p2align	8
	.type	_ZN7rocprim17ROCPRIM_400000_NS6detail17trampoline_kernelINS0_14default_configENS1_35radix_sort_onesweep_config_selectorIssEEZZNS1_29radix_sort_onesweep_iterationIS3_Lb0EN6thrust23THRUST_200600_302600_NS6detail15normal_iteratorINS8_10device_ptrIsEEEESD_SD_SD_jNS0_19identity_decomposerENS1_16block_id_wrapperIjLb0EEEEE10hipError_tT1_PNSt15iterator_traitsISI_E10value_typeET2_T3_PNSJ_ISO_E10value_typeET4_T5_PST_SU_PNS1_23onesweep_lookback_stateEbbT6_jjT7_P12ihipStream_tbENKUlT_T0_SI_SN_E_clISD_PsSD_S15_EEDaS11_S12_SI_SN_EUlS11_E_NS1_11comp_targetILNS1_3genE6ELNS1_11target_archE950ELNS1_3gpuE13ELNS1_3repE0EEENS1_47radix_sort_onesweep_sort_config_static_selectorELNS0_4arch9wavefront6targetE1EEEvSI_,@function
_ZN7rocprim17ROCPRIM_400000_NS6detail17trampoline_kernelINS0_14default_configENS1_35radix_sort_onesweep_config_selectorIssEEZZNS1_29radix_sort_onesweep_iterationIS3_Lb0EN6thrust23THRUST_200600_302600_NS6detail15normal_iteratorINS8_10device_ptrIsEEEESD_SD_SD_jNS0_19identity_decomposerENS1_16block_id_wrapperIjLb0EEEEE10hipError_tT1_PNSt15iterator_traitsISI_E10value_typeET2_T3_PNSJ_ISO_E10value_typeET4_T5_PST_SU_PNS1_23onesweep_lookback_stateEbbT6_jjT7_P12ihipStream_tbENKUlT_T0_SI_SN_E_clISD_PsSD_S15_EEDaS11_S12_SI_SN_EUlS11_E_NS1_11comp_targetILNS1_3genE6ELNS1_11target_archE950ELNS1_3gpuE13ELNS1_3repE0EEENS1_47radix_sort_onesweep_sort_config_static_selectorELNS0_4arch9wavefront6targetE1EEEvSI_: ; @_ZN7rocprim17ROCPRIM_400000_NS6detail17trampoline_kernelINS0_14default_configENS1_35radix_sort_onesweep_config_selectorIssEEZZNS1_29radix_sort_onesweep_iterationIS3_Lb0EN6thrust23THRUST_200600_302600_NS6detail15normal_iteratorINS8_10device_ptrIsEEEESD_SD_SD_jNS0_19identity_decomposerENS1_16block_id_wrapperIjLb0EEEEE10hipError_tT1_PNSt15iterator_traitsISI_E10value_typeET2_T3_PNSJ_ISO_E10value_typeET4_T5_PST_SU_PNS1_23onesweep_lookback_stateEbbT6_jjT7_P12ihipStream_tbENKUlT_T0_SI_SN_E_clISD_PsSD_S15_EEDaS11_S12_SI_SN_EUlS11_E_NS1_11comp_targetILNS1_3genE6ELNS1_11target_archE950ELNS1_3gpuE13ELNS1_3repE0EEENS1_47radix_sort_onesweep_sort_config_static_selectorELNS0_4arch9wavefront6targetE1EEEvSI_
; %bb.0:
	s_load_dwordx4 s[8:11], s[0:1], 0x44
	s_load_dwordx8 s[92:99], s[0:1], 0x0
	s_load_dwordx4 s[4:7], s[0:1], 0x28
                                        ; implicit-def: $vgpr118 : SGPR spill to VGPR lane
	s_load_dwordx2 s[12:13], s[0:1], 0x38
	v_mbcnt_lo_u32_b32 v1, -1, 0
	s_waitcnt lgkmcnt(0)
	s_cmp_ge_u32 s2, s10
	v_writelane_b32 v118, s4, 0
	s_nop 1
	v_writelane_b32 v118, s5, 1
	v_writelane_b32 v118, s6, 2
	;; [unrolled: 1-line block ×3, first 2 shown]
	s_mov_b64 s[4:5], -1
	s_mul_i32 s6, s2, 0x2c00
	s_cbranch_scc0 .LBB1679_288
; %bb.1:
	s_load_dword s3, s[0:1], 0x20
	s_mul_i32 s4, s10, 0xffffd400
	s_mov_b32 s7, 0
	v_mbcnt_hi_u32_b32 v15, -1, v1
	s_lshl_b64 s[10:11], s[6:7], 1
	s_waitcnt lgkmcnt(0)
	s_add_i32 s7, s3, s4
	s_add_u32 s4, s92, s10
	v_and_b32_e32 v10, 63, v15
	v_and_b32_e32 v21, 0x1c0, v0
	s_addc_u32 s5, s93, s11
	v_mul_u32_u24_e32 v11, 22, v21
	v_mov_b32_e32 v5, 0
	v_lshlrev_b32_e32 v4, 1, v10
	v_lshl_add_u64 v[2:3], s[4:5], 0, v[4:5]
	v_lshlrev_b32_e32 v6, 1, v11
	v_mov_b32_e32 v7, v5
	v_lshl_add_u64 v[8:9], v[2:3], 0, v[6:7]
	v_or_b32_e32 v10, v10, v11
	v_mov_b32_e32 v3, -1
	v_mov_b32_e32 v5, -1
	v_cmp_gt_u32_e64 s[14:15], s7, v10
	s_mov_b64 s[4:5], exec
	s_nop 0
	v_writelane_b32 v118, s14, 4
	s_nop 1
	v_writelane_b32 v118, s15, 5
	s_and_b64 s[14:15], s[4:5], s[14:15]
	s_mov_b64 exec, s[14:15]
	s_cbranch_execz .LBB1679_3
; %bb.2:
	global_load_ushort v2, v[8:9], off
	s_waitcnt vmcnt(0)
	v_xor_b32_e32 v5, 0xffff8000, v2
.LBB1679_3:
	s_or_b64 exec, exec, s[4:5]
	v_or_b32_e32 v2, 64, v10
	v_cmp_gt_u32_e64 s[14:15], s7, v2
	s_mov_b64 s[4:5], exec
	s_nop 0
	v_writelane_b32 v118, s14, 6
	s_nop 1
	v_writelane_b32 v118, s15, 7
	s_and_b64 s[14:15], s[4:5], s[14:15]
	s_mov_b64 exec, s[14:15]
	s_cbranch_execz .LBB1679_5
; %bb.4:
	global_load_ushort v2, v[8:9], off offset:128
	s_waitcnt vmcnt(0)
	v_xor_b32_e32 v3, 0xffff8000, v2
.LBB1679_5:
	s_or_b64 exec, exec, s[4:5]
	v_add_u32_e32 v2, 0x80, v10
	v_mov_b32_e32 v7, -1
	v_mov_b32_e32 v12, -1
	v_cmp_gt_u32_e64 s[14:15], s7, v2
	s_mov_b64 s[4:5], exec
	s_nop 0
	v_writelane_b32 v118, s14, 8
	s_nop 1
	v_writelane_b32 v118, s15, 9
	s_and_b64 s[14:15], s[4:5], s[14:15]
	s_mov_b64 exec, s[14:15]
	s_cbranch_execz .LBB1679_7
; %bb.6:
	global_load_ushort v2, v[8:9], off offset:256
	s_waitcnt vmcnt(0)
	v_xor_b32_e32 v12, 0xffff8000, v2
.LBB1679_7:
	s_or_b64 exec, exec, s[4:5]
	v_add_u32_e32 v2, 0xc0, v10
	v_cmp_gt_u32_e64 s[14:15], s7, v2
	s_mov_b64 s[4:5], exec
	s_nop 0
	v_writelane_b32 v118, s14, 10
	s_nop 1
	v_writelane_b32 v118, s15, 11
	s_and_b64 s[14:15], s[4:5], s[14:15]
	s_mov_b64 exec, s[14:15]
	s_cbranch_execz .LBB1679_9
; %bb.8:
	global_load_ushort v2, v[8:9], off offset:384
	s_waitcnt vmcnt(0)
	v_xor_b32_e32 v7, 0xffff8000, v2
.LBB1679_9:
	s_or_b64 exec, exec, s[4:5]
	v_add_u32_e32 v2, 0x100, v10
	v_mov_b32_e32 v13, -1
	v_mov_b32_e32 v14, -1
	v_cmp_gt_u32_e64 s[14:15], s7, v2
	s_mov_b64 s[4:5], exec
	s_nop 0
	v_writelane_b32 v118, s14, 12
	s_nop 1
	v_writelane_b32 v118, s15, 13
	s_and_b64 s[14:15], s[4:5], s[14:15]
	s_mov_b64 exec, s[14:15]
	s_cbranch_execz .LBB1679_11
; %bb.10:
	global_load_ushort v2, v[8:9], off offset:512
	s_waitcnt vmcnt(0)
	v_xor_b32_e32 v14, 0xffff8000, v2
.LBB1679_11:
	s_or_b64 exec, exec, s[4:5]
	v_add_u32_e32 v2, 0x140, v10
	;; [unrolled: 34-line block ×3, first 2 shown]
	v_cmp_gt_u32_e32 vcc, s7, v2
	s_and_saveexec_b64 s[4:5], vcc
	s_cbranch_execz .LBB1679_17
; %bb.16:
	global_load_ushort v2, v[8:9], off offset:896
	s_waitcnt vmcnt(0)
	v_xor_b32_e32 v16, 0xffff8000, v2
.LBB1679_17:
	s_or_b64 exec, exec, s[4:5]
	v_add_u32_e32 v2, 0x200, v10
	v_cmp_gt_u32_e64 s[16:17], s7, v2
	v_mov_b32_e32 v18, -1
	v_mov_b32_e32 v19, -1
	s_and_saveexec_b64 s[4:5], s[16:17]
	s_cbranch_execz .LBB1679_19
; %bb.18:
	global_load_ushort v2, v[8:9], off offset:1024
	s_waitcnt vmcnt(0)
	v_xor_b32_e32 v19, 0xffff8000, v2
.LBB1679_19:
	s_or_b64 exec, exec, s[4:5]
	v_add_u32_e32 v2, 0x240, v10
	v_cmp_gt_u32_e64 s[18:19], s7, v2
	s_and_saveexec_b64 s[4:5], s[18:19]
	s_cbranch_execz .LBB1679_21
; %bb.20:
	global_load_ushort v2, v[8:9], off offset:1152
	s_waitcnt vmcnt(0)
	v_xor_b32_e32 v18, 0xffff8000, v2
.LBB1679_21:
	s_or_b64 exec, exec, s[4:5]
	v_add_u32_e32 v2, 0x280, v10
	v_cmp_gt_u32_e64 s[20:21], s7, v2
	v_mov_b32_e32 v20, -1
	v_mov_b32_e32 v22, -1
	s_and_saveexec_b64 s[4:5], s[20:21]
	s_cbranch_execz .LBB1679_23
; %bb.22:
	global_load_ushort v2, v[8:9], off offset:1280
	s_waitcnt vmcnt(0)
	v_xor_b32_e32 v22, 0xffff8000, v2
.LBB1679_23:
	s_or_b64 exec, exec, s[4:5]
	v_add_u32_e32 v2, 0x2c0, v10
	v_cmp_gt_u32_e64 s[22:23], s7, v2
	s_and_saveexec_b64 s[4:5], s[22:23]
	;; [unrolled: 22-line block ×6, first 2 shown]
	s_cbranch_execz .LBB1679_41
; %bb.40:
	global_load_ushort v2, v[8:9], off offset:2432
	s_waitcnt vmcnt(0)
	v_xor_b32_e32 v29, 0xffff8000, v2
.LBB1679_41:
	s_or_b64 exec, exec, s[4:5]
	v_add_u32_e32 v2, 0x500, v10
	v_cmp_gt_u32_e64 s[42:43], s7, v2
	v_mov_b32_e32 v31, -1
	v_mov_b32_e32 v32, -1
	s_and_saveexec_b64 s[4:5], s[42:43]
	s_cbranch_execz .LBB1679_43
; %bb.42:
	global_load_ushort v2, v[8:9], off offset:2560
	s_waitcnt vmcnt(0)
	v_xor_b32_e32 v32, 0xffff8000, v2
.LBB1679_43:
	s_or_b64 exec, exec, s[4:5]
	v_add_u32_e32 v10, 0x540, v10
	v_and_b32_e32 v2, 0x3ff, v0
	v_cmp_gt_u32_e64 s[44:45], s7, v10
	s_and_saveexec_b64 s[4:5], s[44:45]
	s_cbranch_execz .LBB1679_45
; %bb.44:
	global_load_ushort v8, v[8:9], off offset:2688
	s_waitcnt vmcnt(0)
	v_xor_b32_e32 v31, 0xffff8000, v8
.LBB1679_45:
	s_or_b64 exec, exec, s[4:5]
	s_load_dword s4, s[0:1], 0x64
	s_load_dword s3, s[0:1], 0x58
	s_add_u32 s5, s0, 0x58
	s_addc_u32 s14, s1, 0
	v_mov_b32_e32 v8, 0
	s_waitcnt lgkmcnt(0)
	s_lshr_b32 s15, s4, 16
	s_cmp_lt_u32 s2, s3
	s_cselect_b32 s4, 12, 18
	s_add_u32 s4, s5, s4
	s_addc_u32 s5, s14, 0
	global_load_ushort v36, v8, s[4:5]
	v_lshrrev_b32_sdwa v35, s8, v5 dst_sel:DWORD dst_unused:UNUSED_PAD src0_sel:DWORD src1_sel:WORD_0
	s_lshl_b32 s4, -1, s9
	v_bfe_u32 v10, v0, 10, 10
	v_bfe_u32 v34, v0, 20, 10
	v_lshlrev_b32_e32 v33, 3, v2
	v_mov_b32_e32 v9, v8
	v_bitop3_b32 v38, v35, s4, v35 bitop3:0x30
	v_mov_b32_e32 v11, v8
	ds_write_b64 v33, v[8:9] offset:32
	v_mad_u32_u24 v37, v34, s15, v10
	v_and_b32_e32 v10, 1, v38
	v_lshlrev_b32_e32 v9, 30, v38
	v_lshl_add_u64 v[34:35], v[10:11], 0, -1
	v_cmp_ne_u32_e64 s[46:47], 0, v10
	v_cmp_gt_i64_e64 s[48:49], 0, v[8:9]
	v_not_b32_e32 v10, v9
	v_lshlrev_b32_e32 v9, 29, v38
	v_xor_b32_e32 v11, s47, v35
	v_xor_b32_e32 v34, s46, v34
	v_ashrrev_i32_e32 v10, 31, v10
	v_cmp_gt_i64_e64 s[46:47], 0, v[8:9]
	v_not_b32_e32 v35, v9
	v_lshlrev_b32_e32 v9, 28, v38
	v_and_b32_e32 v11, exec_hi, v11
	v_and_b32_e32 v34, exec_lo, v34
	v_xor_b32_e32 v39, s49, v10
	v_xor_b32_e32 v10, s48, v10
	v_ashrrev_i32_e32 v35, 31, v35
	v_cmp_gt_i64_e64 s[48:49], 0, v[8:9]
	v_not_b32_e32 v40, v9
	v_lshlrev_b32_e32 v9, 27, v38
	v_and_b32_e32 v11, v11, v39
	v_and_b32_e32 v10, v34, v10
	v_xor_b32_e32 v34, s47, v35
	v_xor_b32_e32 v35, s46, v35
	v_ashrrev_i32_e32 v39, 31, v40
	v_cmp_gt_i64_e64 s[46:47], 0, v[8:9]
	v_not_b32_e32 v40, v9
	v_lshlrev_b32_e32 v9, 26, v38
	v_and_b32_e32 v11, v11, v34
	v_and_b32_e32 v10, v10, v35
	v_xor_b32_e32 v34, s49, v39
	v_xor_b32_e32 v35, s48, v39
	v_ashrrev_i32_e32 v39, 31, v40
	v_cmp_gt_i64_e64 s[48:49], 0, v[8:9]
	v_not_b32_e32 v9, v9
	v_and_b32_e32 v11, v11, v34
	v_and_b32_e32 v10, v10, v35
	v_xor_b32_e32 v34, s47, v39
	v_xor_b32_e32 v35, s46, v39
	v_ashrrev_i32_e32 v9, 31, v9
	v_and_b32_e32 v11, v11, v34
	v_and_b32_e32 v10, v10, v35
	v_xor_b32_e32 v34, s49, v9
	v_xor_b32_e32 v9, s48, v9
	v_and_b32_e32 v10, v10, v9
	s_not_b32 s33, s4
	v_and_b32_e32 v11, v11, v34
	v_mbcnt_lo_u32_b32 v9, v10, 0
	v_mbcnt_hi_u32_b32 v34, v11, v9
	v_cmp_ne_u64_e64 s[46:47], 0, v[10:11]
	v_cmp_eq_u32_e64 s[48:49], 0, v34
	s_and_b64 s[46:47], s[46:47], s[48:49]
	s_waitcnt lgkmcnt(0)
	s_barrier
	s_waitcnt vmcnt(0)
	; wave barrier
	v_mad_u64_u32 v[36:37], s[4:5], v37, v36, v[2:3]
	v_lshrrev_b32_e32 v9, 6, v36
	v_lshlrev_b32_e32 v44, 2, v9
	v_mad_u32_u24 v36, v38, 36, v44
	s_and_saveexec_b64 s[4:5], s[46:47]
; %bb.46:
	v_bcnt_u32_b32 v9, v10, 0
	v_bcnt_u32_b32 v9, v11, v9
	ds_write_b32 v36, v9 offset:32
; %bb.47:
	s_or_b64 exec, exec, s[4:5]
	v_lshrrev_b32_sdwa v9, s8, v3 dst_sel:DWORD dst_unused:UNUSED_PAD src0_sel:DWORD src1_sel:WORD_0
	v_and_b32_e32 v40, s33, v9
	v_and_b32_e32 v10, 1, v40
	v_mov_b32_e32 v11, v8
	v_lshl_add_u64 v[38:39], v[10:11], 0, -1
	v_cmp_ne_u32_e64 s[46:47], 0, v10
	v_mad_u32_u24 v37, v40, 36, v44
	s_nop 0
	v_xor_b32_e32 v9, s47, v39
	v_and_b32_e32 v11, exec_hi, v9
	v_lshlrev_b32_e32 v9, 30, v40
	v_xor_b32_e32 v10, s46, v38
	v_cmp_gt_i64_e64 s[46:47], 0, v[8:9]
	v_not_b32_e32 v9, v9
	v_ashrrev_i32_e32 v9, 31, v9
	v_and_b32_e32 v10, exec_lo, v10
	v_xor_b32_e32 v38, s47, v9
	v_xor_b32_e32 v9, s46, v9
	v_and_b32_e32 v10, v10, v9
	v_lshlrev_b32_e32 v9, 29, v40
	v_cmp_gt_i64_e64 s[46:47], 0, v[8:9]
	v_not_b32_e32 v9, v9
	v_ashrrev_i32_e32 v9, 31, v9
	v_and_b32_e32 v11, v11, v38
	v_xor_b32_e32 v38, s47, v9
	v_xor_b32_e32 v9, s46, v9
	v_and_b32_e32 v10, v10, v9
	v_lshlrev_b32_e32 v9, 28, v40
	v_cmp_gt_i64_e64 s[46:47], 0, v[8:9]
	v_not_b32_e32 v9, v9
	v_ashrrev_i32_e32 v9, 31, v9
	v_and_b32_e32 v11, v11, v38
	;; [unrolled: 8-line block ×3, first 2 shown]
	v_xor_b32_e32 v38, s47, v9
	v_xor_b32_e32 v9, s46, v9
	v_and_b32_e32 v10, v10, v9
	v_lshlrev_b32_e32 v9, 26, v40
	v_cmp_gt_i64_e64 s[46:47], 0, v[8:9]
	v_not_b32_e32 v8, v9
	v_ashrrev_i32_e32 v8, 31, v8
	v_xor_b32_e32 v9, s47, v8
	v_xor_b32_e32 v8, s46, v8
	; wave barrier
	ds_read_b32 v35, v37 offset:32
	v_and_b32_e32 v11, v11, v38
	v_and_b32_e32 v8, v10, v8
	;; [unrolled: 1-line block ×3, first 2 shown]
	v_mbcnt_lo_u32_b32 v10, v8, 0
	v_mbcnt_hi_u32_b32 v38, v9, v10
	v_cmp_eq_u32_e64 s[46:47], 0, v38
	v_cmp_ne_u64_e64 s[48:49], 0, v[8:9]
	s_and_b64 s[46:47], s[48:49], s[46:47]
	; wave barrier
	s_and_saveexec_b64 s[4:5], s[46:47]
	s_cbranch_execz .LBB1679_49
; %bb.48:
	v_bcnt_u32_b32 v8, v8, 0
	v_bcnt_u32_b32 v8, v9, v8
	s_waitcnt lgkmcnt(0)
	v_add_u32_e32 v8, v35, v8
	ds_write_b32 v37, v8 offset:32
.LBB1679_49:
	s_or_b64 exec, exec, s[4:5]
	v_lshrrev_b32_sdwa v8, s8, v12 dst_sel:DWORD dst_unused:UNUSED_PAD src0_sel:DWORD src1_sel:WORD_0
	v_and_b32_e32 v41, s33, v8
	v_and_b32_e32 v8, 1, v41
	v_mov_b32_e32 v9, 0
	v_lshl_add_u64 v[10:11], v[8:9], 0, -1
	v_cmp_ne_u32_e64 s[46:47], 0, v8
	v_mad_u32_u24 v40, v41, 36, v44
	s_nop 0
	v_xor_b32_e32 v10, s46, v10
	v_xor_b32_e32 v8, s47, v11
	v_and_b32_e32 v42, exec_lo, v10
	v_lshlrev_b32_e32 v11, 30, v41
	v_mov_b32_e32 v10, v9
	v_cmp_gt_i64_e64 s[46:47], 0, v[10:11]
	v_not_b32_e32 v10, v11
	v_ashrrev_i32_e32 v10, 31, v10
	v_and_b32_e32 v8, exec_hi, v8
	v_xor_b32_e32 v11, s47, v10
	v_xor_b32_e32 v10, s46, v10
	v_and_b32_e32 v8, v8, v11
	v_and_b32_e32 v42, v42, v10
	v_lshlrev_b32_e32 v11, 29, v41
	v_mov_b32_e32 v10, v9
	v_cmp_gt_i64_e64 s[46:47], 0, v[10:11]
	v_not_b32_e32 v10, v11
	v_ashrrev_i32_e32 v10, 31, v10
	v_xor_b32_e32 v11, s47, v10
	v_xor_b32_e32 v10, s46, v10
	v_and_b32_e32 v8, v8, v11
	v_and_b32_e32 v42, v42, v10
	v_lshlrev_b32_e32 v11, 28, v41
	v_mov_b32_e32 v10, v9
	v_cmp_gt_i64_e64 s[46:47], 0, v[10:11]
	v_not_b32_e32 v10, v11
	v_ashrrev_i32_e32 v10, 31, v10
	;; [unrolled: 9-line block ×4, first 2 shown]
	v_xor_b32_e32 v11, s47, v10
	v_xor_b32_e32 v10, s46, v10
	; wave barrier
	ds_read_b32 v39, v40 offset:32
	v_and_b32_e32 v10, v42, v10
	v_and_b32_e32 v11, v8, v11
	v_mbcnt_lo_u32_b32 v8, v10, 0
	v_mbcnt_hi_u32_b32 v41, v11, v8
	v_cmp_eq_u32_e64 s[46:47], 0, v41
	v_cmp_ne_u64_e64 s[48:49], 0, v[10:11]
	s_and_b64 s[46:47], s[48:49], s[46:47]
	; wave barrier
	s_and_saveexec_b64 s[4:5], s[46:47]
	s_cbranch_execz .LBB1679_51
; %bb.50:
	v_bcnt_u32_b32 v8, v10, 0
	v_bcnt_u32_b32 v8, v11, v8
	s_waitcnt lgkmcnt(0)
	v_add_u32_e32 v8, v39, v8
	ds_write_b32 v40, v8 offset:32
.LBB1679_51:
	s_or_b64 exec, exec, s[4:5]
	v_lshrrev_b32_sdwa v8, s8, v7 dst_sel:DWORD dst_unused:UNUSED_PAD src0_sel:DWORD src1_sel:WORD_0
	v_and_b32_e32 v45, s33, v8
	v_and_b32_e32 v8, 1, v45
	v_lshl_add_u64 v[10:11], v[8:9], 0, -1
	v_cmp_ne_u32_e64 s[46:47], 0, v8
	v_mad_u32_u24 v43, v45, 36, v44
	s_nop 0
	v_xor_b32_e32 v10, s46, v10
	v_xor_b32_e32 v8, s47, v11
	v_and_b32_e32 v46, exec_lo, v10
	v_lshlrev_b32_e32 v11, 30, v45
	v_mov_b32_e32 v10, v9
	v_cmp_gt_i64_e64 s[46:47], 0, v[10:11]
	v_not_b32_e32 v10, v11
	v_ashrrev_i32_e32 v10, 31, v10
	v_and_b32_e32 v8, exec_hi, v8
	v_xor_b32_e32 v11, s47, v10
	v_xor_b32_e32 v10, s46, v10
	v_and_b32_e32 v8, v8, v11
	v_and_b32_e32 v46, v46, v10
	v_lshlrev_b32_e32 v11, 29, v45
	v_mov_b32_e32 v10, v9
	v_cmp_gt_i64_e64 s[46:47], 0, v[10:11]
	v_not_b32_e32 v10, v11
	v_ashrrev_i32_e32 v10, 31, v10
	v_xor_b32_e32 v11, s47, v10
	v_xor_b32_e32 v10, s46, v10
	v_and_b32_e32 v8, v8, v11
	v_and_b32_e32 v46, v46, v10
	v_lshlrev_b32_e32 v11, 28, v45
	v_mov_b32_e32 v10, v9
	v_cmp_gt_i64_e64 s[46:47], 0, v[10:11]
	v_not_b32_e32 v10, v11
	v_ashrrev_i32_e32 v10, 31, v10
	;; [unrolled: 9-line block ×3, first 2 shown]
	v_xor_b32_e32 v11, s47, v10
	v_xor_b32_e32 v10, s46, v10
	v_and_b32_e32 v8, v8, v11
	v_lshlrev_b32_e32 v11, 26, v45
	v_and_b32_e32 v46, v46, v10
	v_mov_b32_e32 v10, v9
	v_not_b32_e32 v9, v11
	v_cmp_gt_i64_e64 s[46:47], 0, v[10:11]
	v_ashrrev_i32_e32 v9, 31, v9
	; wave barrier
	s_nop 0
	v_xor_b32_e32 v10, s47, v9
	v_xor_b32_e32 v11, s46, v9
	ds_read_b32 v42, v43 offset:32
	v_and_b32_e32 v9, v8, v10
	v_and_b32_e32 v8, v46, v11
	v_mbcnt_lo_u32_b32 v10, v8, 0
	v_mbcnt_hi_u32_b32 v45, v9, v10
	v_cmp_eq_u32_e64 s[46:47], 0, v45
	v_cmp_ne_u64_e64 s[48:49], 0, v[8:9]
	s_and_b64 s[46:47], s[48:49], s[46:47]
	; wave barrier
	s_and_saveexec_b64 s[4:5], s[46:47]
	s_cbranch_execz .LBB1679_53
; %bb.52:
	v_bcnt_u32_b32 v8, v8, 0
	v_bcnt_u32_b32 v8, v9, v8
	s_waitcnt lgkmcnt(0)
	v_add_u32_e32 v8, v42, v8
	ds_write_b32 v43, v8 offset:32
.LBB1679_53:
	s_or_b64 exec, exec, s[4:5]
	v_lshrrev_b32_sdwa v8, s8, v14 dst_sel:DWORD dst_unused:UNUSED_PAD src0_sel:DWORD src1_sel:WORD_0
	v_and_b32_e32 v48, s33, v8
	v_and_b32_e32 v8, 1, v48
	v_mov_b32_e32 v9, 0
	v_lshl_add_u64 v[10:11], v[8:9], 0, -1
	v_cmp_ne_u32_e64 s[46:47], 0, v8
	v_mad_u32_u24 v47, v48, 36, v44
	s_nop 0
	v_xor_b32_e32 v10, s46, v10
	v_xor_b32_e32 v8, s47, v11
	v_and_b32_e32 v49, exec_lo, v10
	v_lshlrev_b32_e32 v11, 30, v48
	v_mov_b32_e32 v10, v9
	v_cmp_gt_i64_e64 s[46:47], 0, v[10:11]
	v_not_b32_e32 v10, v11
	v_ashrrev_i32_e32 v10, 31, v10
	v_and_b32_e32 v8, exec_hi, v8
	v_xor_b32_e32 v11, s47, v10
	v_xor_b32_e32 v10, s46, v10
	v_and_b32_e32 v8, v8, v11
	v_and_b32_e32 v49, v49, v10
	v_lshlrev_b32_e32 v11, 29, v48
	v_mov_b32_e32 v10, v9
	v_cmp_gt_i64_e64 s[46:47], 0, v[10:11]
	v_not_b32_e32 v10, v11
	v_ashrrev_i32_e32 v10, 31, v10
	v_xor_b32_e32 v11, s47, v10
	v_xor_b32_e32 v10, s46, v10
	v_and_b32_e32 v8, v8, v11
	v_and_b32_e32 v49, v49, v10
	v_lshlrev_b32_e32 v11, 28, v48
	v_mov_b32_e32 v10, v9
	v_cmp_gt_i64_e64 s[46:47], 0, v[10:11]
	v_not_b32_e32 v10, v11
	v_ashrrev_i32_e32 v10, 31, v10
	;; [unrolled: 9-line block ×4, first 2 shown]
	v_xor_b32_e32 v11, s47, v10
	v_xor_b32_e32 v10, s46, v10
	; wave barrier
	ds_read_b32 v46, v47 offset:32
	v_and_b32_e32 v10, v49, v10
	v_and_b32_e32 v11, v8, v11
	v_mbcnt_lo_u32_b32 v8, v10, 0
	v_mbcnt_hi_u32_b32 v48, v11, v8
	v_cmp_eq_u32_e64 s[46:47], 0, v48
	v_cmp_ne_u64_e64 s[48:49], 0, v[10:11]
	s_and_b64 s[46:47], s[48:49], s[46:47]
	; wave barrier
	s_and_saveexec_b64 s[4:5], s[46:47]
	s_cbranch_execz .LBB1679_55
; %bb.54:
	v_bcnt_u32_b32 v8, v10, 0
	v_bcnt_u32_b32 v8, v11, v8
	s_waitcnt lgkmcnt(0)
	v_add_u32_e32 v8, v46, v8
	ds_write_b32 v47, v8 offset:32
.LBB1679_55:
	s_or_b64 exec, exec, s[4:5]
	v_lshrrev_b32_sdwa v8, s8, v13 dst_sel:DWORD dst_unused:UNUSED_PAD src0_sel:DWORD src1_sel:WORD_0
	v_and_b32_e32 v51, s33, v8
	v_and_b32_e32 v8, 1, v51
	v_lshl_add_u64 v[10:11], v[8:9], 0, -1
	v_cmp_ne_u32_e64 s[46:47], 0, v8
	v_mad_u32_u24 v50, v51, 36, v44
	s_nop 0
	v_xor_b32_e32 v10, s46, v10
	v_xor_b32_e32 v8, s47, v11
	v_and_b32_e32 v52, exec_lo, v10
	v_lshlrev_b32_e32 v11, 30, v51
	v_mov_b32_e32 v10, v9
	v_cmp_gt_i64_e64 s[46:47], 0, v[10:11]
	v_not_b32_e32 v10, v11
	v_ashrrev_i32_e32 v10, 31, v10
	v_and_b32_e32 v8, exec_hi, v8
	v_xor_b32_e32 v11, s47, v10
	v_xor_b32_e32 v10, s46, v10
	v_and_b32_e32 v8, v8, v11
	v_and_b32_e32 v52, v52, v10
	v_lshlrev_b32_e32 v11, 29, v51
	v_mov_b32_e32 v10, v9
	v_cmp_gt_i64_e64 s[46:47], 0, v[10:11]
	v_not_b32_e32 v10, v11
	v_ashrrev_i32_e32 v10, 31, v10
	v_xor_b32_e32 v11, s47, v10
	v_xor_b32_e32 v10, s46, v10
	v_and_b32_e32 v8, v8, v11
	v_and_b32_e32 v52, v52, v10
	v_lshlrev_b32_e32 v11, 28, v51
	v_mov_b32_e32 v10, v9
	v_cmp_gt_i64_e64 s[46:47], 0, v[10:11]
	v_not_b32_e32 v10, v11
	v_ashrrev_i32_e32 v10, 31, v10
	;; [unrolled: 9-line block ×3, first 2 shown]
	v_xor_b32_e32 v11, s47, v10
	v_xor_b32_e32 v10, s46, v10
	v_and_b32_e32 v8, v8, v11
	v_lshlrev_b32_e32 v11, 26, v51
	v_and_b32_e32 v52, v52, v10
	v_mov_b32_e32 v10, v9
	v_not_b32_e32 v9, v11
	v_cmp_gt_i64_e64 s[46:47], 0, v[10:11]
	v_ashrrev_i32_e32 v9, 31, v9
	; wave barrier
	s_nop 0
	v_xor_b32_e32 v10, s47, v9
	v_xor_b32_e32 v11, s46, v9
	ds_read_b32 v49, v50 offset:32
	v_and_b32_e32 v9, v8, v10
	v_and_b32_e32 v8, v52, v11
	v_mbcnt_lo_u32_b32 v10, v8, 0
	v_mbcnt_hi_u32_b32 v51, v9, v10
	v_cmp_eq_u32_e64 s[46:47], 0, v51
	v_cmp_ne_u64_e64 s[48:49], 0, v[8:9]
	s_and_b64 s[46:47], s[48:49], s[46:47]
	; wave barrier
	s_and_saveexec_b64 s[4:5], s[46:47]
	s_cbranch_execz .LBB1679_57
; %bb.56:
	v_bcnt_u32_b32 v8, v8, 0
	v_bcnt_u32_b32 v8, v9, v8
	s_waitcnt lgkmcnt(0)
	v_add_u32_e32 v8, v49, v8
	ds_write_b32 v50, v8 offset:32
.LBB1679_57:
	s_or_b64 exec, exec, s[4:5]
	v_lshrrev_b32_sdwa v8, s8, v17 dst_sel:DWORD dst_unused:UNUSED_PAD src0_sel:DWORD src1_sel:WORD_0
	v_and_b32_e32 v54, s33, v8
	v_and_b32_e32 v8, 1, v54
	v_mov_b32_e32 v9, 0
	v_lshl_add_u64 v[10:11], v[8:9], 0, -1
	v_cmp_ne_u32_e64 s[46:47], 0, v8
	v_mad_u32_u24 v53, v54, 36, v44
	s_nop 0
	v_xor_b32_e32 v10, s46, v10
	v_xor_b32_e32 v8, s47, v11
	v_and_b32_e32 v55, exec_lo, v10
	v_lshlrev_b32_e32 v11, 30, v54
	v_mov_b32_e32 v10, v9
	v_cmp_gt_i64_e64 s[46:47], 0, v[10:11]
	v_not_b32_e32 v10, v11
	v_ashrrev_i32_e32 v10, 31, v10
	v_and_b32_e32 v8, exec_hi, v8
	v_xor_b32_e32 v11, s47, v10
	v_xor_b32_e32 v10, s46, v10
	v_and_b32_e32 v8, v8, v11
	v_and_b32_e32 v55, v55, v10
	v_lshlrev_b32_e32 v11, 29, v54
	v_mov_b32_e32 v10, v9
	v_cmp_gt_i64_e64 s[46:47], 0, v[10:11]
	v_not_b32_e32 v10, v11
	v_ashrrev_i32_e32 v10, 31, v10
	v_xor_b32_e32 v11, s47, v10
	v_xor_b32_e32 v10, s46, v10
	v_and_b32_e32 v8, v8, v11
	v_and_b32_e32 v55, v55, v10
	v_lshlrev_b32_e32 v11, 28, v54
	v_mov_b32_e32 v10, v9
	v_cmp_gt_i64_e64 s[46:47], 0, v[10:11]
	v_not_b32_e32 v10, v11
	v_ashrrev_i32_e32 v10, 31, v10
	;; [unrolled: 9-line block ×4, first 2 shown]
	v_xor_b32_e32 v11, s47, v10
	v_xor_b32_e32 v10, s46, v10
	; wave barrier
	ds_read_b32 v52, v53 offset:32
	v_and_b32_e32 v10, v55, v10
	v_and_b32_e32 v11, v8, v11
	v_mbcnt_lo_u32_b32 v8, v10, 0
	v_mbcnt_hi_u32_b32 v54, v11, v8
	v_cmp_eq_u32_e64 s[46:47], 0, v54
	v_cmp_ne_u64_e64 s[48:49], 0, v[10:11]
	s_and_b64 s[46:47], s[48:49], s[46:47]
	; wave barrier
	s_and_saveexec_b64 s[4:5], s[46:47]
	s_cbranch_execz .LBB1679_59
; %bb.58:
	v_bcnt_u32_b32 v8, v10, 0
	v_bcnt_u32_b32 v8, v11, v8
	s_waitcnt lgkmcnt(0)
	v_add_u32_e32 v8, v52, v8
	ds_write_b32 v53, v8 offset:32
.LBB1679_59:
	s_or_b64 exec, exec, s[4:5]
	v_lshrrev_b32_sdwa v8, s8, v16 dst_sel:DWORD dst_unused:UNUSED_PAD src0_sel:DWORD src1_sel:WORD_0
	v_and_b32_e32 v57, s33, v8
	v_and_b32_e32 v8, 1, v57
	v_lshl_add_u64 v[10:11], v[8:9], 0, -1
	v_cmp_ne_u32_e64 s[46:47], 0, v8
	v_mad_u32_u24 v56, v57, 36, v44
	s_nop 0
	v_xor_b32_e32 v10, s46, v10
	v_xor_b32_e32 v8, s47, v11
	v_and_b32_e32 v58, exec_lo, v10
	v_lshlrev_b32_e32 v11, 30, v57
	v_mov_b32_e32 v10, v9
	v_cmp_gt_i64_e64 s[46:47], 0, v[10:11]
	v_not_b32_e32 v10, v11
	v_ashrrev_i32_e32 v10, 31, v10
	v_and_b32_e32 v8, exec_hi, v8
	v_xor_b32_e32 v11, s47, v10
	v_xor_b32_e32 v10, s46, v10
	v_and_b32_e32 v8, v8, v11
	v_and_b32_e32 v58, v58, v10
	v_lshlrev_b32_e32 v11, 29, v57
	v_mov_b32_e32 v10, v9
	v_cmp_gt_i64_e64 s[46:47], 0, v[10:11]
	v_not_b32_e32 v10, v11
	v_ashrrev_i32_e32 v10, 31, v10
	v_xor_b32_e32 v11, s47, v10
	v_xor_b32_e32 v10, s46, v10
	v_and_b32_e32 v8, v8, v11
	v_and_b32_e32 v58, v58, v10
	v_lshlrev_b32_e32 v11, 28, v57
	v_mov_b32_e32 v10, v9
	v_cmp_gt_i64_e64 s[46:47], 0, v[10:11]
	v_not_b32_e32 v10, v11
	v_ashrrev_i32_e32 v10, 31, v10
	;; [unrolled: 9-line block ×3, first 2 shown]
	v_xor_b32_e32 v11, s47, v10
	v_xor_b32_e32 v10, s46, v10
	v_and_b32_e32 v8, v8, v11
	v_lshlrev_b32_e32 v11, 26, v57
	v_and_b32_e32 v58, v58, v10
	v_mov_b32_e32 v10, v9
	v_not_b32_e32 v9, v11
	v_cmp_gt_i64_e64 s[46:47], 0, v[10:11]
	v_ashrrev_i32_e32 v9, 31, v9
	; wave barrier
	s_nop 0
	v_xor_b32_e32 v10, s47, v9
	v_xor_b32_e32 v11, s46, v9
	ds_read_b32 v55, v56 offset:32
	v_and_b32_e32 v9, v8, v10
	v_and_b32_e32 v8, v58, v11
	v_mbcnt_lo_u32_b32 v10, v8, 0
	v_mbcnt_hi_u32_b32 v57, v9, v10
	v_cmp_eq_u32_e64 s[46:47], 0, v57
	v_cmp_ne_u64_e64 s[48:49], 0, v[8:9]
	s_and_b64 s[46:47], s[48:49], s[46:47]
	; wave barrier
	s_and_saveexec_b64 s[4:5], s[46:47]
	s_cbranch_execz .LBB1679_61
; %bb.60:
	v_bcnt_u32_b32 v8, v8, 0
	v_bcnt_u32_b32 v8, v9, v8
	s_waitcnt lgkmcnt(0)
	v_add_u32_e32 v8, v55, v8
	ds_write_b32 v56, v8 offset:32
.LBB1679_61:
	s_or_b64 exec, exec, s[4:5]
	v_lshrrev_b32_sdwa v8, s8, v19 dst_sel:DWORD dst_unused:UNUSED_PAD src0_sel:DWORD src1_sel:WORD_0
	v_and_b32_e32 v60, s33, v8
	v_and_b32_e32 v8, 1, v60
	v_mov_b32_e32 v9, 0
	v_lshl_add_u64 v[10:11], v[8:9], 0, -1
	v_cmp_ne_u32_e64 s[46:47], 0, v8
	v_mad_u32_u24 v59, v60, 36, v44
	s_nop 0
	v_xor_b32_e32 v10, s46, v10
	v_xor_b32_e32 v8, s47, v11
	v_and_b32_e32 v61, exec_lo, v10
	v_lshlrev_b32_e32 v11, 30, v60
	v_mov_b32_e32 v10, v9
	v_cmp_gt_i64_e64 s[46:47], 0, v[10:11]
	v_not_b32_e32 v10, v11
	v_ashrrev_i32_e32 v10, 31, v10
	v_and_b32_e32 v8, exec_hi, v8
	v_xor_b32_e32 v11, s47, v10
	v_xor_b32_e32 v10, s46, v10
	v_and_b32_e32 v8, v8, v11
	v_and_b32_e32 v61, v61, v10
	v_lshlrev_b32_e32 v11, 29, v60
	v_mov_b32_e32 v10, v9
	v_cmp_gt_i64_e64 s[46:47], 0, v[10:11]
	v_not_b32_e32 v10, v11
	v_ashrrev_i32_e32 v10, 31, v10
	v_xor_b32_e32 v11, s47, v10
	v_xor_b32_e32 v10, s46, v10
	v_and_b32_e32 v8, v8, v11
	v_and_b32_e32 v61, v61, v10
	v_lshlrev_b32_e32 v11, 28, v60
	v_mov_b32_e32 v10, v9
	v_cmp_gt_i64_e64 s[46:47], 0, v[10:11]
	v_not_b32_e32 v10, v11
	v_ashrrev_i32_e32 v10, 31, v10
	;; [unrolled: 9-line block ×4, first 2 shown]
	v_xor_b32_e32 v11, s47, v10
	v_xor_b32_e32 v10, s46, v10
	; wave barrier
	ds_read_b32 v58, v59 offset:32
	v_and_b32_e32 v10, v61, v10
	v_and_b32_e32 v11, v8, v11
	v_mbcnt_lo_u32_b32 v8, v10, 0
	v_mbcnt_hi_u32_b32 v60, v11, v8
	v_cmp_eq_u32_e64 s[46:47], 0, v60
	v_cmp_ne_u64_e64 s[48:49], 0, v[10:11]
	s_and_b64 s[46:47], s[48:49], s[46:47]
	; wave barrier
	s_and_saveexec_b64 s[4:5], s[46:47]
	s_cbranch_execz .LBB1679_63
; %bb.62:
	v_bcnt_u32_b32 v8, v10, 0
	v_bcnt_u32_b32 v8, v11, v8
	s_waitcnt lgkmcnt(0)
	v_add_u32_e32 v8, v58, v8
	ds_write_b32 v59, v8 offset:32
.LBB1679_63:
	s_or_b64 exec, exec, s[4:5]
	v_lshrrev_b32_sdwa v8, s8, v18 dst_sel:DWORD dst_unused:UNUSED_PAD src0_sel:DWORD src1_sel:WORD_0
	v_and_b32_e32 v63, s33, v8
	v_and_b32_e32 v8, 1, v63
	v_lshl_add_u64 v[10:11], v[8:9], 0, -1
	v_cmp_ne_u32_e64 s[46:47], 0, v8
	v_mad_u32_u24 v62, v63, 36, v44
	s_nop 0
	v_xor_b32_e32 v10, s46, v10
	v_xor_b32_e32 v8, s47, v11
	v_and_b32_e32 v64, exec_lo, v10
	v_lshlrev_b32_e32 v11, 30, v63
	v_mov_b32_e32 v10, v9
	v_cmp_gt_i64_e64 s[46:47], 0, v[10:11]
	v_not_b32_e32 v10, v11
	v_ashrrev_i32_e32 v10, 31, v10
	v_and_b32_e32 v8, exec_hi, v8
	v_xor_b32_e32 v11, s47, v10
	v_xor_b32_e32 v10, s46, v10
	v_and_b32_e32 v8, v8, v11
	v_and_b32_e32 v64, v64, v10
	v_lshlrev_b32_e32 v11, 29, v63
	v_mov_b32_e32 v10, v9
	v_cmp_gt_i64_e64 s[46:47], 0, v[10:11]
	v_not_b32_e32 v10, v11
	v_ashrrev_i32_e32 v10, 31, v10
	v_xor_b32_e32 v11, s47, v10
	v_xor_b32_e32 v10, s46, v10
	v_and_b32_e32 v8, v8, v11
	v_and_b32_e32 v64, v64, v10
	v_lshlrev_b32_e32 v11, 28, v63
	v_mov_b32_e32 v10, v9
	v_cmp_gt_i64_e64 s[46:47], 0, v[10:11]
	v_not_b32_e32 v10, v11
	v_ashrrev_i32_e32 v10, 31, v10
	;; [unrolled: 9-line block ×3, first 2 shown]
	v_xor_b32_e32 v11, s47, v10
	v_xor_b32_e32 v10, s46, v10
	v_and_b32_e32 v8, v8, v11
	v_lshlrev_b32_e32 v11, 26, v63
	v_and_b32_e32 v64, v64, v10
	v_mov_b32_e32 v10, v9
	v_not_b32_e32 v9, v11
	v_cmp_gt_i64_e64 s[46:47], 0, v[10:11]
	v_ashrrev_i32_e32 v9, 31, v9
	; wave barrier
	s_nop 0
	v_xor_b32_e32 v10, s47, v9
	v_xor_b32_e32 v11, s46, v9
	ds_read_b32 v61, v62 offset:32
	v_and_b32_e32 v9, v8, v10
	v_and_b32_e32 v8, v64, v11
	v_mbcnt_lo_u32_b32 v10, v8, 0
	v_mbcnt_hi_u32_b32 v63, v9, v10
	v_cmp_eq_u32_e64 s[46:47], 0, v63
	v_cmp_ne_u64_e64 s[48:49], 0, v[8:9]
	s_and_b64 s[46:47], s[48:49], s[46:47]
	; wave barrier
	s_and_saveexec_b64 s[4:5], s[46:47]
	s_cbranch_execz .LBB1679_65
; %bb.64:
	v_bcnt_u32_b32 v8, v8, 0
	v_bcnt_u32_b32 v8, v9, v8
	s_waitcnt lgkmcnt(0)
	v_add_u32_e32 v8, v61, v8
	ds_write_b32 v62, v8 offset:32
.LBB1679_65:
	s_or_b64 exec, exec, s[4:5]
	v_lshrrev_b32_sdwa v8, s8, v22 dst_sel:DWORD dst_unused:UNUSED_PAD src0_sel:DWORD src1_sel:WORD_0
	v_and_b32_e32 v66, s33, v8
	v_and_b32_e32 v8, 1, v66
	v_mov_b32_e32 v9, 0
	v_lshl_add_u64 v[10:11], v[8:9], 0, -1
	v_cmp_ne_u32_e64 s[46:47], 0, v8
	v_mad_u32_u24 v65, v66, 36, v44
	s_nop 0
	v_xor_b32_e32 v10, s46, v10
	v_xor_b32_e32 v8, s47, v11
	v_and_b32_e32 v67, exec_lo, v10
	v_lshlrev_b32_e32 v11, 30, v66
	v_mov_b32_e32 v10, v9
	v_cmp_gt_i64_e64 s[46:47], 0, v[10:11]
	v_not_b32_e32 v10, v11
	v_ashrrev_i32_e32 v10, 31, v10
	v_and_b32_e32 v8, exec_hi, v8
	v_xor_b32_e32 v11, s47, v10
	v_xor_b32_e32 v10, s46, v10
	v_and_b32_e32 v8, v8, v11
	v_and_b32_e32 v67, v67, v10
	v_lshlrev_b32_e32 v11, 29, v66
	v_mov_b32_e32 v10, v9
	v_cmp_gt_i64_e64 s[46:47], 0, v[10:11]
	v_not_b32_e32 v10, v11
	v_ashrrev_i32_e32 v10, 31, v10
	v_xor_b32_e32 v11, s47, v10
	v_xor_b32_e32 v10, s46, v10
	v_and_b32_e32 v8, v8, v11
	v_and_b32_e32 v67, v67, v10
	v_lshlrev_b32_e32 v11, 28, v66
	v_mov_b32_e32 v10, v9
	v_cmp_gt_i64_e64 s[46:47], 0, v[10:11]
	v_not_b32_e32 v10, v11
	v_ashrrev_i32_e32 v10, 31, v10
	v_xor_b32_e32 v11, s47, v10
	v_xor_b32_e32 v10, s46, v10
	v_and_b32_e32 v8, v8, v11
	v_and_b32_e32 v67, v67, v10
	v_lshlrev_b32_e32 v11, 27, v66
	v_mov_b32_e32 v10, v9
	v_cmp_gt_i64_e64 s[46:47], 0, v[10:11]
	v_not_b32_e32 v10, v11
	v_ashrrev_i32_e32 v10, 31, v10
	v_xor_b32_e32 v11, s47, v10
	v_xor_b32_e32 v10, s46, v10
	v_and_b32_e32 v8, v8, v11
	v_and_b32_e32 v67, v67, v10
	v_lshlrev_b32_e32 v11, 26, v66
	v_mov_b32_e32 v10, v9
	v_cmp_gt_i64_e64 s[46:47], 0, v[10:11]
	v_not_b32_e32 v10, v11
	v_ashrrev_i32_e32 v10, 31, v10
	v_xor_b32_e32 v11, s47, v10
	v_xor_b32_e32 v10, s46, v10
	; wave barrier
	ds_read_b32 v64, v65 offset:32
	v_and_b32_e32 v10, v67, v10
	v_and_b32_e32 v11, v8, v11
	v_mbcnt_lo_u32_b32 v8, v10, 0
	v_mbcnt_hi_u32_b32 v66, v11, v8
	v_cmp_eq_u32_e64 s[46:47], 0, v66
	v_cmp_ne_u64_e64 s[48:49], 0, v[10:11]
	s_and_b64 s[46:47], s[48:49], s[46:47]
	; wave barrier
	s_and_saveexec_b64 s[4:5], s[46:47]
	s_cbranch_execz .LBB1679_67
; %bb.66:
	v_bcnt_u32_b32 v8, v10, 0
	v_bcnt_u32_b32 v8, v11, v8
	s_waitcnt lgkmcnt(0)
	v_add_u32_e32 v8, v64, v8
	ds_write_b32 v65, v8 offset:32
.LBB1679_67:
	s_or_b64 exec, exec, s[4:5]
	v_lshrrev_b32_sdwa v8, s8, v20 dst_sel:DWORD dst_unused:UNUSED_PAD src0_sel:DWORD src1_sel:WORD_0
	v_and_b32_e32 v69, s33, v8
	v_and_b32_e32 v8, 1, v69
	v_lshl_add_u64 v[10:11], v[8:9], 0, -1
	v_cmp_ne_u32_e64 s[46:47], 0, v8
	v_mad_u32_u24 v68, v69, 36, v44
	s_nop 0
	v_xor_b32_e32 v10, s46, v10
	v_xor_b32_e32 v8, s47, v11
	v_and_b32_e32 v70, exec_lo, v10
	v_lshlrev_b32_e32 v11, 30, v69
	v_mov_b32_e32 v10, v9
	v_cmp_gt_i64_e64 s[46:47], 0, v[10:11]
	v_not_b32_e32 v10, v11
	v_ashrrev_i32_e32 v10, 31, v10
	v_and_b32_e32 v8, exec_hi, v8
	v_xor_b32_e32 v11, s47, v10
	v_xor_b32_e32 v10, s46, v10
	v_and_b32_e32 v8, v8, v11
	v_and_b32_e32 v70, v70, v10
	v_lshlrev_b32_e32 v11, 29, v69
	v_mov_b32_e32 v10, v9
	v_cmp_gt_i64_e64 s[46:47], 0, v[10:11]
	v_not_b32_e32 v10, v11
	v_ashrrev_i32_e32 v10, 31, v10
	v_xor_b32_e32 v11, s47, v10
	v_xor_b32_e32 v10, s46, v10
	v_and_b32_e32 v8, v8, v11
	v_and_b32_e32 v70, v70, v10
	v_lshlrev_b32_e32 v11, 28, v69
	v_mov_b32_e32 v10, v9
	v_cmp_gt_i64_e64 s[46:47], 0, v[10:11]
	v_not_b32_e32 v10, v11
	v_ashrrev_i32_e32 v10, 31, v10
	;; [unrolled: 9-line block ×3, first 2 shown]
	v_xor_b32_e32 v11, s47, v10
	v_xor_b32_e32 v10, s46, v10
	v_and_b32_e32 v8, v8, v11
	v_lshlrev_b32_e32 v11, 26, v69
	v_and_b32_e32 v70, v70, v10
	v_mov_b32_e32 v10, v9
	v_not_b32_e32 v9, v11
	v_cmp_gt_i64_e64 s[46:47], 0, v[10:11]
	v_ashrrev_i32_e32 v9, 31, v9
	; wave barrier
	s_nop 0
	v_xor_b32_e32 v10, s47, v9
	v_xor_b32_e32 v11, s46, v9
	ds_read_b32 v67, v68 offset:32
	v_and_b32_e32 v9, v8, v10
	v_and_b32_e32 v8, v70, v11
	v_mbcnt_lo_u32_b32 v10, v8, 0
	v_mbcnt_hi_u32_b32 v69, v9, v10
	v_cmp_eq_u32_e64 s[46:47], 0, v69
	v_cmp_ne_u64_e64 s[48:49], 0, v[8:9]
	s_and_b64 s[46:47], s[48:49], s[46:47]
	; wave barrier
	s_and_saveexec_b64 s[4:5], s[46:47]
	s_cbranch_execz .LBB1679_69
; %bb.68:
	v_bcnt_u32_b32 v8, v8, 0
	v_bcnt_u32_b32 v8, v9, v8
	s_waitcnt lgkmcnt(0)
	v_add_u32_e32 v8, v67, v8
	ds_write_b32 v68, v8 offset:32
.LBB1679_69:
	s_or_b64 exec, exec, s[4:5]
	v_lshrrev_b32_sdwa v8, s8, v24 dst_sel:DWORD dst_unused:UNUSED_PAD src0_sel:DWORD src1_sel:WORD_0
	v_and_b32_e32 v72, s33, v8
	v_and_b32_e32 v8, 1, v72
	v_mov_b32_e32 v9, 0
	v_lshl_add_u64 v[10:11], v[8:9], 0, -1
	v_cmp_ne_u32_e64 s[46:47], 0, v8
	v_mad_u32_u24 v71, v72, 36, v44
	s_nop 0
	v_xor_b32_e32 v10, s46, v10
	v_xor_b32_e32 v8, s47, v11
	v_and_b32_e32 v73, exec_lo, v10
	v_lshlrev_b32_e32 v11, 30, v72
	v_mov_b32_e32 v10, v9
	v_cmp_gt_i64_e64 s[46:47], 0, v[10:11]
	v_not_b32_e32 v10, v11
	v_ashrrev_i32_e32 v10, 31, v10
	v_and_b32_e32 v8, exec_hi, v8
	v_xor_b32_e32 v11, s47, v10
	v_xor_b32_e32 v10, s46, v10
	v_and_b32_e32 v8, v8, v11
	v_and_b32_e32 v73, v73, v10
	v_lshlrev_b32_e32 v11, 29, v72
	v_mov_b32_e32 v10, v9
	v_cmp_gt_i64_e64 s[46:47], 0, v[10:11]
	v_not_b32_e32 v10, v11
	v_ashrrev_i32_e32 v10, 31, v10
	v_xor_b32_e32 v11, s47, v10
	v_xor_b32_e32 v10, s46, v10
	v_and_b32_e32 v8, v8, v11
	v_and_b32_e32 v73, v73, v10
	v_lshlrev_b32_e32 v11, 28, v72
	v_mov_b32_e32 v10, v9
	v_cmp_gt_i64_e64 s[46:47], 0, v[10:11]
	v_not_b32_e32 v10, v11
	v_ashrrev_i32_e32 v10, 31, v10
	;; [unrolled: 9-line block ×4, first 2 shown]
	v_xor_b32_e32 v11, s47, v10
	v_xor_b32_e32 v10, s46, v10
	; wave barrier
	ds_read_b32 v70, v71 offset:32
	v_and_b32_e32 v10, v73, v10
	v_and_b32_e32 v11, v8, v11
	v_mbcnt_lo_u32_b32 v8, v10, 0
	v_mbcnt_hi_u32_b32 v72, v11, v8
	v_cmp_eq_u32_e64 s[46:47], 0, v72
	v_cmp_ne_u64_e64 s[48:49], 0, v[10:11]
	s_and_b64 s[46:47], s[48:49], s[46:47]
	; wave barrier
	s_and_saveexec_b64 s[4:5], s[46:47]
	s_cbranch_execz .LBB1679_71
; %bb.70:
	v_bcnt_u32_b32 v8, v10, 0
	v_bcnt_u32_b32 v8, v11, v8
	s_waitcnt lgkmcnt(0)
	v_add_u32_e32 v8, v70, v8
	ds_write_b32 v71, v8 offset:32
.LBB1679_71:
	s_or_b64 exec, exec, s[4:5]
	v_lshrrev_b32_sdwa v8, s8, v23 dst_sel:DWORD dst_unused:UNUSED_PAD src0_sel:DWORD src1_sel:WORD_0
	v_and_b32_e32 v75, s33, v8
	v_and_b32_e32 v8, 1, v75
	v_lshl_add_u64 v[10:11], v[8:9], 0, -1
	v_cmp_ne_u32_e64 s[46:47], 0, v8
	v_mad_u32_u24 v74, v75, 36, v44
	s_nop 0
	v_xor_b32_e32 v10, s46, v10
	v_xor_b32_e32 v8, s47, v11
	v_and_b32_e32 v76, exec_lo, v10
	v_lshlrev_b32_e32 v11, 30, v75
	v_mov_b32_e32 v10, v9
	v_cmp_gt_i64_e64 s[46:47], 0, v[10:11]
	v_not_b32_e32 v10, v11
	v_ashrrev_i32_e32 v10, 31, v10
	v_and_b32_e32 v8, exec_hi, v8
	v_xor_b32_e32 v11, s47, v10
	v_xor_b32_e32 v10, s46, v10
	v_and_b32_e32 v8, v8, v11
	v_and_b32_e32 v76, v76, v10
	v_lshlrev_b32_e32 v11, 29, v75
	v_mov_b32_e32 v10, v9
	v_cmp_gt_i64_e64 s[46:47], 0, v[10:11]
	v_not_b32_e32 v10, v11
	v_ashrrev_i32_e32 v10, 31, v10
	v_xor_b32_e32 v11, s47, v10
	v_xor_b32_e32 v10, s46, v10
	v_and_b32_e32 v8, v8, v11
	v_and_b32_e32 v76, v76, v10
	v_lshlrev_b32_e32 v11, 28, v75
	v_mov_b32_e32 v10, v9
	v_cmp_gt_i64_e64 s[46:47], 0, v[10:11]
	v_not_b32_e32 v10, v11
	v_ashrrev_i32_e32 v10, 31, v10
	;; [unrolled: 9-line block ×3, first 2 shown]
	v_xor_b32_e32 v11, s47, v10
	v_xor_b32_e32 v10, s46, v10
	v_and_b32_e32 v8, v8, v11
	v_lshlrev_b32_e32 v11, 26, v75
	v_and_b32_e32 v76, v76, v10
	v_mov_b32_e32 v10, v9
	v_not_b32_e32 v9, v11
	v_cmp_gt_i64_e64 s[46:47], 0, v[10:11]
	v_ashrrev_i32_e32 v9, 31, v9
	; wave barrier
	s_nop 0
	v_xor_b32_e32 v10, s47, v9
	v_xor_b32_e32 v11, s46, v9
	ds_read_b32 v73, v74 offset:32
	v_and_b32_e32 v9, v8, v10
	v_and_b32_e32 v8, v76, v11
	v_mbcnt_lo_u32_b32 v10, v8, 0
	v_mbcnt_hi_u32_b32 v75, v9, v10
	v_cmp_eq_u32_e64 s[46:47], 0, v75
	v_cmp_ne_u64_e64 s[48:49], 0, v[8:9]
	s_and_b64 s[46:47], s[48:49], s[46:47]
	; wave barrier
	s_and_saveexec_b64 s[4:5], s[46:47]
	s_cbranch_execz .LBB1679_73
; %bb.72:
	v_bcnt_u32_b32 v8, v8, 0
	v_bcnt_u32_b32 v8, v9, v8
	s_waitcnt lgkmcnt(0)
	v_add_u32_e32 v8, v73, v8
	ds_write_b32 v74, v8 offset:32
.LBB1679_73:
	s_or_b64 exec, exec, s[4:5]
	v_lshrrev_b32_sdwa v8, s8, v26 dst_sel:DWORD dst_unused:UNUSED_PAD src0_sel:DWORD src1_sel:WORD_0
	v_and_b32_e32 v78, s33, v8
	v_and_b32_e32 v8, 1, v78
	v_mov_b32_e32 v9, 0
	v_lshl_add_u64 v[10:11], v[8:9], 0, -1
	v_cmp_ne_u32_e64 s[46:47], 0, v8
	v_mad_u32_u24 v77, v78, 36, v44
	s_nop 0
	v_xor_b32_e32 v10, s46, v10
	v_xor_b32_e32 v8, s47, v11
	v_and_b32_e32 v79, exec_lo, v10
	v_lshlrev_b32_e32 v11, 30, v78
	v_mov_b32_e32 v10, v9
	v_cmp_gt_i64_e64 s[46:47], 0, v[10:11]
	v_not_b32_e32 v10, v11
	v_ashrrev_i32_e32 v10, 31, v10
	v_and_b32_e32 v8, exec_hi, v8
	v_xor_b32_e32 v11, s47, v10
	v_xor_b32_e32 v10, s46, v10
	v_and_b32_e32 v8, v8, v11
	v_and_b32_e32 v79, v79, v10
	v_lshlrev_b32_e32 v11, 29, v78
	v_mov_b32_e32 v10, v9
	v_cmp_gt_i64_e64 s[46:47], 0, v[10:11]
	v_not_b32_e32 v10, v11
	v_ashrrev_i32_e32 v10, 31, v10
	v_xor_b32_e32 v11, s47, v10
	v_xor_b32_e32 v10, s46, v10
	v_and_b32_e32 v8, v8, v11
	v_and_b32_e32 v79, v79, v10
	v_lshlrev_b32_e32 v11, 28, v78
	v_mov_b32_e32 v10, v9
	v_cmp_gt_i64_e64 s[46:47], 0, v[10:11]
	v_not_b32_e32 v10, v11
	v_ashrrev_i32_e32 v10, 31, v10
	;; [unrolled: 9-line block ×4, first 2 shown]
	v_xor_b32_e32 v11, s47, v10
	v_xor_b32_e32 v10, s46, v10
	; wave barrier
	ds_read_b32 v76, v77 offset:32
	v_and_b32_e32 v10, v79, v10
	v_and_b32_e32 v11, v8, v11
	v_mbcnt_lo_u32_b32 v8, v10, 0
	v_mbcnt_hi_u32_b32 v78, v11, v8
	v_cmp_eq_u32_e64 s[46:47], 0, v78
	v_cmp_ne_u64_e64 s[48:49], 0, v[10:11]
	s_and_b64 s[46:47], s[48:49], s[46:47]
	; wave barrier
	s_and_saveexec_b64 s[4:5], s[46:47]
	s_cbranch_execz .LBB1679_75
; %bb.74:
	v_bcnt_u32_b32 v8, v10, 0
	v_bcnt_u32_b32 v8, v11, v8
	s_waitcnt lgkmcnt(0)
	v_add_u32_e32 v8, v76, v8
	ds_write_b32 v77, v8 offset:32
.LBB1679_75:
	s_or_b64 exec, exec, s[4:5]
	v_lshrrev_b32_sdwa v8, s8, v25 dst_sel:DWORD dst_unused:UNUSED_PAD src0_sel:DWORD src1_sel:WORD_0
	v_and_b32_e32 v81, s33, v8
	v_and_b32_e32 v8, 1, v81
	v_lshl_add_u64 v[10:11], v[8:9], 0, -1
	v_cmp_ne_u32_e64 s[46:47], 0, v8
	v_mad_u32_u24 v80, v81, 36, v44
	s_nop 0
	v_xor_b32_e32 v10, s46, v10
	v_xor_b32_e32 v8, s47, v11
	v_and_b32_e32 v82, exec_lo, v10
	v_lshlrev_b32_e32 v11, 30, v81
	v_mov_b32_e32 v10, v9
	v_cmp_gt_i64_e64 s[46:47], 0, v[10:11]
	v_not_b32_e32 v10, v11
	v_ashrrev_i32_e32 v10, 31, v10
	v_and_b32_e32 v8, exec_hi, v8
	v_xor_b32_e32 v11, s47, v10
	v_xor_b32_e32 v10, s46, v10
	v_and_b32_e32 v8, v8, v11
	v_and_b32_e32 v82, v82, v10
	v_lshlrev_b32_e32 v11, 29, v81
	v_mov_b32_e32 v10, v9
	v_cmp_gt_i64_e64 s[46:47], 0, v[10:11]
	v_not_b32_e32 v10, v11
	v_ashrrev_i32_e32 v10, 31, v10
	v_xor_b32_e32 v11, s47, v10
	v_xor_b32_e32 v10, s46, v10
	v_and_b32_e32 v8, v8, v11
	v_and_b32_e32 v82, v82, v10
	v_lshlrev_b32_e32 v11, 28, v81
	v_mov_b32_e32 v10, v9
	v_cmp_gt_i64_e64 s[46:47], 0, v[10:11]
	v_not_b32_e32 v10, v11
	v_ashrrev_i32_e32 v10, 31, v10
	;; [unrolled: 9-line block ×3, first 2 shown]
	v_xor_b32_e32 v11, s47, v10
	v_xor_b32_e32 v10, s46, v10
	v_and_b32_e32 v8, v8, v11
	v_lshlrev_b32_e32 v11, 26, v81
	v_and_b32_e32 v82, v82, v10
	v_mov_b32_e32 v10, v9
	v_not_b32_e32 v9, v11
	v_cmp_gt_i64_e64 s[46:47], 0, v[10:11]
	v_ashrrev_i32_e32 v9, 31, v9
	; wave barrier
	s_nop 0
	v_xor_b32_e32 v10, s47, v9
	v_xor_b32_e32 v11, s46, v9
	ds_read_b32 v79, v80 offset:32
	v_and_b32_e32 v9, v8, v10
	v_and_b32_e32 v8, v82, v11
	v_mbcnt_lo_u32_b32 v10, v8, 0
	v_mbcnt_hi_u32_b32 v81, v9, v10
	v_cmp_eq_u32_e64 s[46:47], 0, v81
	v_cmp_ne_u64_e64 s[48:49], 0, v[8:9]
	s_and_b64 s[46:47], s[48:49], s[46:47]
	; wave barrier
	s_and_saveexec_b64 s[4:5], s[46:47]
	s_cbranch_execz .LBB1679_77
; %bb.76:
	v_bcnt_u32_b32 v8, v8, 0
	v_bcnt_u32_b32 v8, v9, v8
	s_waitcnt lgkmcnt(0)
	v_add_u32_e32 v8, v79, v8
	ds_write_b32 v80, v8 offset:32
.LBB1679_77:
	s_or_b64 exec, exec, s[4:5]
	v_lshrrev_b32_sdwa v8, s8, v28 dst_sel:DWORD dst_unused:UNUSED_PAD src0_sel:DWORD src1_sel:WORD_0
	v_and_b32_e32 v84, s33, v8
	v_and_b32_e32 v8, 1, v84
	v_mov_b32_e32 v9, 0
	v_lshl_add_u64 v[10:11], v[8:9], 0, -1
	v_cmp_ne_u32_e64 s[46:47], 0, v8
	v_mad_u32_u24 v83, v84, 36, v44
	s_nop 0
	v_xor_b32_e32 v10, s46, v10
	v_xor_b32_e32 v8, s47, v11
	v_and_b32_e32 v85, exec_lo, v10
	v_lshlrev_b32_e32 v11, 30, v84
	v_mov_b32_e32 v10, v9
	v_cmp_gt_i64_e64 s[46:47], 0, v[10:11]
	v_not_b32_e32 v10, v11
	v_ashrrev_i32_e32 v10, 31, v10
	v_and_b32_e32 v8, exec_hi, v8
	v_xor_b32_e32 v11, s47, v10
	v_xor_b32_e32 v10, s46, v10
	v_and_b32_e32 v8, v8, v11
	v_and_b32_e32 v85, v85, v10
	v_lshlrev_b32_e32 v11, 29, v84
	v_mov_b32_e32 v10, v9
	v_cmp_gt_i64_e64 s[46:47], 0, v[10:11]
	v_not_b32_e32 v10, v11
	v_ashrrev_i32_e32 v10, 31, v10
	v_xor_b32_e32 v11, s47, v10
	v_xor_b32_e32 v10, s46, v10
	v_and_b32_e32 v8, v8, v11
	v_and_b32_e32 v85, v85, v10
	v_lshlrev_b32_e32 v11, 28, v84
	v_mov_b32_e32 v10, v9
	v_cmp_gt_i64_e64 s[46:47], 0, v[10:11]
	v_not_b32_e32 v10, v11
	v_ashrrev_i32_e32 v10, 31, v10
	;; [unrolled: 9-line block ×4, first 2 shown]
	v_xor_b32_e32 v11, s47, v10
	v_xor_b32_e32 v10, s46, v10
	; wave barrier
	ds_read_b32 v82, v83 offset:32
	v_and_b32_e32 v10, v85, v10
	v_and_b32_e32 v11, v8, v11
	v_mbcnt_lo_u32_b32 v8, v10, 0
	v_mbcnt_hi_u32_b32 v84, v11, v8
	v_cmp_eq_u32_e64 s[46:47], 0, v84
	v_cmp_ne_u64_e64 s[48:49], 0, v[10:11]
	s_and_b64 s[46:47], s[48:49], s[46:47]
	; wave barrier
	s_and_saveexec_b64 s[4:5], s[46:47]
	s_cbranch_execz .LBB1679_79
; %bb.78:
	v_bcnt_u32_b32 v8, v10, 0
	v_bcnt_u32_b32 v8, v11, v8
	s_waitcnt lgkmcnt(0)
	v_add_u32_e32 v8, v82, v8
	ds_write_b32 v83, v8 offset:32
.LBB1679_79:
	s_or_b64 exec, exec, s[4:5]
	v_lshrrev_b32_sdwa v8, s8, v27 dst_sel:DWORD dst_unused:UNUSED_PAD src0_sel:DWORD src1_sel:WORD_0
	v_and_b32_e32 v87, s33, v8
	v_and_b32_e32 v8, 1, v87
	v_lshl_add_u64 v[10:11], v[8:9], 0, -1
	v_cmp_ne_u32_e64 s[46:47], 0, v8
	v_mad_u32_u24 v86, v87, 36, v44
	s_nop 0
	v_xor_b32_e32 v10, s46, v10
	v_xor_b32_e32 v8, s47, v11
	v_and_b32_e32 v88, exec_lo, v10
	v_lshlrev_b32_e32 v11, 30, v87
	v_mov_b32_e32 v10, v9
	v_cmp_gt_i64_e64 s[46:47], 0, v[10:11]
	v_not_b32_e32 v10, v11
	v_ashrrev_i32_e32 v10, 31, v10
	v_and_b32_e32 v8, exec_hi, v8
	v_xor_b32_e32 v11, s47, v10
	v_xor_b32_e32 v10, s46, v10
	v_and_b32_e32 v8, v8, v11
	v_and_b32_e32 v88, v88, v10
	v_lshlrev_b32_e32 v11, 29, v87
	v_mov_b32_e32 v10, v9
	v_cmp_gt_i64_e64 s[46:47], 0, v[10:11]
	v_not_b32_e32 v10, v11
	v_ashrrev_i32_e32 v10, 31, v10
	v_xor_b32_e32 v11, s47, v10
	v_xor_b32_e32 v10, s46, v10
	v_and_b32_e32 v8, v8, v11
	v_and_b32_e32 v88, v88, v10
	v_lshlrev_b32_e32 v11, 28, v87
	v_mov_b32_e32 v10, v9
	v_cmp_gt_i64_e64 s[46:47], 0, v[10:11]
	v_not_b32_e32 v10, v11
	v_ashrrev_i32_e32 v10, 31, v10
	;; [unrolled: 9-line block ×3, first 2 shown]
	v_xor_b32_e32 v11, s47, v10
	v_xor_b32_e32 v10, s46, v10
	v_and_b32_e32 v8, v8, v11
	v_lshlrev_b32_e32 v11, 26, v87
	v_and_b32_e32 v88, v88, v10
	v_mov_b32_e32 v10, v9
	v_not_b32_e32 v9, v11
	v_cmp_gt_i64_e64 s[46:47], 0, v[10:11]
	v_ashrrev_i32_e32 v9, 31, v9
	; wave barrier
	s_nop 0
	v_xor_b32_e32 v10, s47, v9
	v_xor_b32_e32 v11, s46, v9
	ds_read_b32 v85, v86 offset:32
	v_and_b32_e32 v9, v8, v10
	v_and_b32_e32 v8, v88, v11
	v_mbcnt_lo_u32_b32 v10, v8, 0
	v_mbcnt_hi_u32_b32 v87, v9, v10
	v_cmp_eq_u32_e64 s[46:47], 0, v87
	v_cmp_ne_u64_e64 s[48:49], 0, v[8:9]
	s_and_b64 s[46:47], s[48:49], s[46:47]
	; wave barrier
	s_and_saveexec_b64 s[4:5], s[46:47]
	s_cbranch_execz .LBB1679_81
; %bb.80:
	v_bcnt_u32_b32 v8, v8, 0
	v_bcnt_u32_b32 v8, v9, v8
	s_waitcnt lgkmcnt(0)
	v_add_u32_e32 v8, v85, v8
	ds_write_b32 v86, v8 offset:32
.LBB1679_81:
	s_or_b64 exec, exec, s[4:5]
	v_lshrrev_b32_sdwa v8, s8, v30 dst_sel:DWORD dst_unused:UNUSED_PAD src0_sel:DWORD src1_sel:WORD_0
	v_and_b32_e32 v90, s33, v8
	v_and_b32_e32 v8, 1, v90
	v_mov_b32_e32 v9, 0
	v_lshl_add_u64 v[10:11], v[8:9], 0, -1
	v_cmp_ne_u32_e64 s[46:47], 0, v8
	v_mad_u32_u24 v89, v90, 36, v44
	s_nop 0
	v_xor_b32_e32 v10, s46, v10
	v_xor_b32_e32 v8, s47, v11
	v_and_b32_e32 v91, exec_lo, v10
	v_lshlrev_b32_e32 v11, 30, v90
	v_mov_b32_e32 v10, v9
	v_cmp_gt_i64_e64 s[46:47], 0, v[10:11]
	v_not_b32_e32 v10, v11
	v_ashrrev_i32_e32 v10, 31, v10
	v_and_b32_e32 v8, exec_hi, v8
	v_xor_b32_e32 v11, s47, v10
	v_xor_b32_e32 v10, s46, v10
	v_and_b32_e32 v8, v8, v11
	v_and_b32_e32 v91, v91, v10
	v_lshlrev_b32_e32 v11, 29, v90
	v_mov_b32_e32 v10, v9
	v_cmp_gt_i64_e64 s[46:47], 0, v[10:11]
	v_not_b32_e32 v10, v11
	v_ashrrev_i32_e32 v10, 31, v10
	v_xor_b32_e32 v11, s47, v10
	v_xor_b32_e32 v10, s46, v10
	v_and_b32_e32 v8, v8, v11
	v_and_b32_e32 v91, v91, v10
	v_lshlrev_b32_e32 v11, 28, v90
	v_mov_b32_e32 v10, v9
	v_cmp_gt_i64_e64 s[46:47], 0, v[10:11]
	v_not_b32_e32 v10, v11
	v_ashrrev_i32_e32 v10, 31, v10
	;; [unrolled: 9-line block ×4, first 2 shown]
	v_xor_b32_e32 v11, s47, v10
	v_xor_b32_e32 v10, s46, v10
	; wave barrier
	ds_read_b32 v88, v89 offset:32
	v_and_b32_e32 v10, v91, v10
	v_and_b32_e32 v11, v8, v11
	v_mbcnt_lo_u32_b32 v8, v10, 0
	v_mbcnt_hi_u32_b32 v90, v11, v8
	v_cmp_eq_u32_e64 s[46:47], 0, v90
	v_cmp_ne_u64_e64 s[48:49], 0, v[10:11]
	s_and_b64 s[46:47], s[48:49], s[46:47]
	; wave barrier
	s_and_saveexec_b64 s[4:5], s[46:47]
	s_cbranch_execz .LBB1679_83
; %bb.82:
	v_bcnt_u32_b32 v8, v10, 0
	v_bcnt_u32_b32 v8, v11, v8
	s_waitcnt lgkmcnt(0)
	v_add_u32_e32 v8, v88, v8
	ds_write_b32 v89, v8 offset:32
.LBB1679_83:
	s_or_b64 exec, exec, s[4:5]
	v_lshrrev_b32_sdwa v8, s8, v29 dst_sel:DWORD dst_unused:UNUSED_PAD src0_sel:DWORD src1_sel:WORD_0
	v_and_b32_e32 v93, s33, v8
	v_and_b32_e32 v8, 1, v93
	v_lshl_add_u64 v[10:11], v[8:9], 0, -1
	v_cmp_ne_u32_e64 s[46:47], 0, v8
	v_mad_u32_u24 v92, v93, 36, v44
	s_nop 0
	v_xor_b32_e32 v10, s46, v10
	v_xor_b32_e32 v8, s47, v11
	v_and_b32_e32 v94, exec_lo, v10
	v_lshlrev_b32_e32 v11, 30, v93
	v_mov_b32_e32 v10, v9
	v_cmp_gt_i64_e64 s[46:47], 0, v[10:11]
	v_not_b32_e32 v10, v11
	v_ashrrev_i32_e32 v10, 31, v10
	v_and_b32_e32 v8, exec_hi, v8
	v_xor_b32_e32 v11, s47, v10
	v_xor_b32_e32 v10, s46, v10
	v_and_b32_e32 v8, v8, v11
	v_and_b32_e32 v94, v94, v10
	v_lshlrev_b32_e32 v11, 29, v93
	v_mov_b32_e32 v10, v9
	v_cmp_gt_i64_e64 s[46:47], 0, v[10:11]
	v_not_b32_e32 v10, v11
	v_ashrrev_i32_e32 v10, 31, v10
	v_xor_b32_e32 v11, s47, v10
	v_xor_b32_e32 v10, s46, v10
	v_and_b32_e32 v8, v8, v11
	v_and_b32_e32 v94, v94, v10
	v_lshlrev_b32_e32 v11, 28, v93
	v_mov_b32_e32 v10, v9
	v_cmp_gt_i64_e64 s[46:47], 0, v[10:11]
	v_not_b32_e32 v10, v11
	v_ashrrev_i32_e32 v10, 31, v10
	;; [unrolled: 9-line block ×3, first 2 shown]
	v_xor_b32_e32 v11, s47, v10
	v_xor_b32_e32 v10, s46, v10
	v_and_b32_e32 v8, v8, v11
	v_lshlrev_b32_e32 v11, 26, v93
	v_and_b32_e32 v94, v94, v10
	v_mov_b32_e32 v10, v9
	v_not_b32_e32 v9, v11
	v_cmp_gt_i64_e64 s[46:47], 0, v[10:11]
	v_ashrrev_i32_e32 v9, 31, v9
	; wave barrier
	s_nop 0
	v_xor_b32_e32 v10, s47, v9
	v_xor_b32_e32 v11, s46, v9
	ds_read_b32 v91, v92 offset:32
	v_and_b32_e32 v9, v8, v10
	v_and_b32_e32 v8, v94, v11
	v_mbcnt_lo_u32_b32 v10, v8, 0
	v_mbcnt_hi_u32_b32 v93, v9, v10
	v_cmp_eq_u32_e64 s[46:47], 0, v93
	v_cmp_ne_u64_e64 s[48:49], 0, v[8:9]
	s_and_b64 s[46:47], s[48:49], s[46:47]
	; wave barrier
	s_and_saveexec_b64 s[4:5], s[46:47]
	s_cbranch_execz .LBB1679_85
; %bb.84:
	v_bcnt_u32_b32 v8, v8, 0
	v_bcnt_u32_b32 v8, v9, v8
	s_waitcnt lgkmcnt(0)
	v_add_u32_e32 v8, v91, v8
	ds_write_b32 v92, v8 offset:32
.LBB1679_85:
	s_or_b64 exec, exec, s[4:5]
	v_lshrrev_b32_sdwa v8, s8, v32 dst_sel:DWORD dst_unused:UNUSED_PAD src0_sel:DWORD src1_sel:WORD_0
	v_and_b32_e32 v96, s33, v8
	v_and_b32_e32 v8, 1, v96
	v_mov_b32_e32 v9, 0
	v_lshl_add_u64 v[10:11], v[8:9], 0, -1
	v_cmp_ne_u32_e64 s[46:47], 0, v8
	v_mad_u32_u24 v95, v96, 36, v44
	s_nop 0
	v_xor_b32_e32 v10, s46, v10
	v_xor_b32_e32 v8, s47, v11
	v_and_b32_e32 v97, exec_lo, v10
	v_lshlrev_b32_e32 v11, 30, v96
	v_mov_b32_e32 v10, v9
	v_cmp_gt_i64_e64 s[46:47], 0, v[10:11]
	v_not_b32_e32 v10, v11
	v_ashrrev_i32_e32 v10, 31, v10
	v_and_b32_e32 v8, exec_hi, v8
	v_xor_b32_e32 v11, s47, v10
	v_xor_b32_e32 v10, s46, v10
	v_and_b32_e32 v8, v8, v11
	v_and_b32_e32 v97, v97, v10
	v_lshlrev_b32_e32 v11, 29, v96
	v_mov_b32_e32 v10, v9
	v_cmp_gt_i64_e64 s[46:47], 0, v[10:11]
	v_not_b32_e32 v10, v11
	v_ashrrev_i32_e32 v10, 31, v10
	v_xor_b32_e32 v11, s47, v10
	v_xor_b32_e32 v10, s46, v10
	v_and_b32_e32 v8, v8, v11
	v_and_b32_e32 v97, v97, v10
	v_lshlrev_b32_e32 v11, 28, v96
	v_mov_b32_e32 v10, v9
	v_cmp_gt_i64_e64 s[46:47], 0, v[10:11]
	v_not_b32_e32 v10, v11
	v_ashrrev_i32_e32 v10, 31, v10
	;; [unrolled: 9-line block ×4, first 2 shown]
	v_xor_b32_e32 v11, s47, v10
	v_xor_b32_e32 v10, s46, v10
	; wave barrier
	ds_read_b32 v94, v95 offset:32
	v_and_b32_e32 v10, v97, v10
	v_and_b32_e32 v11, v8, v11
	v_mbcnt_lo_u32_b32 v8, v10, 0
	v_mbcnt_hi_u32_b32 v96, v11, v8
	v_cmp_eq_u32_e64 s[46:47], 0, v96
	v_cmp_ne_u64_e64 s[48:49], 0, v[10:11]
	s_and_b64 s[46:47], s[48:49], s[46:47]
	; wave barrier
	s_and_saveexec_b64 s[4:5], s[46:47]
	s_cbranch_execz .LBB1679_87
; %bb.86:
	v_bcnt_u32_b32 v8, v10, 0
	v_bcnt_u32_b32 v8, v11, v8
	s_waitcnt lgkmcnt(0)
	v_add_u32_e32 v8, v94, v8
	ds_write_b32 v95, v8 offset:32
.LBB1679_87:
	s_or_b64 exec, exec, s[4:5]
	v_lshrrev_b32_sdwa v8, s8, v31 dst_sel:DWORD dst_unused:UNUSED_PAD src0_sel:DWORD src1_sel:WORD_0
	v_and_b32_e32 v97, s33, v8
	v_and_b32_e32 v8, 1, v97
	v_lshl_add_u64 v[98:99], v[8:9], 0, -1
	v_cmp_ne_u32_e64 s[46:47], 0, v8
	v_mad_u32_u24 v11, v97, 36, v44
	s_nop 0
	v_xor_b32_e32 v8, s47, v99
	v_xor_b32_e32 v44, s46, v98
	v_lshlrev_b32_e32 v99, 30, v97
	v_mov_b32_e32 v98, v9
	v_cmp_gt_i64_e64 s[46:47], 0, v[98:99]
	v_not_b32_e32 v98, v99
	v_ashrrev_i32_e32 v98, 31, v98
	v_and_b32_e32 v8, exec_hi, v8
	v_and_b32_e32 v44, exec_lo, v44
	v_xor_b32_e32 v99, s47, v98
	v_xor_b32_e32 v98, s46, v98
	v_and_b32_e32 v8, v8, v99
	v_and_b32_e32 v44, v44, v98
	v_lshlrev_b32_e32 v99, 29, v97
	v_mov_b32_e32 v98, v9
	v_cmp_gt_i64_e64 s[46:47], 0, v[98:99]
	v_not_b32_e32 v98, v99
	v_ashrrev_i32_e32 v98, 31, v98
	v_xor_b32_e32 v99, s47, v98
	v_xor_b32_e32 v98, s46, v98
	v_and_b32_e32 v8, v8, v99
	v_and_b32_e32 v44, v44, v98
	v_lshlrev_b32_e32 v99, 28, v97
	v_mov_b32_e32 v98, v9
	v_cmp_gt_i64_e64 s[46:47], 0, v[98:99]
	v_not_b32_e32 v98, v99
	v_ashrrev_i32_e32 v98, 31, v98
	;; [unrolled: 9-line block ×3, first 2 shown]
	v_xor_b32_e32 v99, s47, v98
	v_xor_b32_e32 v98, s46, v98
	v_and_b32_e32 v8, v8, v99
	v_lshlrev_b32_e32 v99, 26, v97
	v_and_b32_e32 v44, v44, v98
	v_mov_b32_e32 v98, v9
	v_not_b32_e32 v9, v99
	v_cmp_gt_i64_e64 s[46:47], 0, v[98:99]
	v_ashrrev_i32_e32 v9, 31, v9
	; wave barrier
	s_nop 0
	v_xor_b32_e32 v97, s47, v9
	v_xor_b32_e32 v98, s46, v9
	ds_read_b32 v10, v11 offset:32
	v_and_b32_e32 v9, v8, v97
	v_and_b32_e32 v8, v44, v98
	v_mbcnt_lo_u32_b32 v44, v8, 0
	v_mbcnt_hi_u32_b32 v97, v9, v44
	v_cmp_eq_u32_e64 s[46:47], 0, v97
	v_cmp_ne_u64_e64 s[48:49], 0, v[8:9]
	s_and_b64 s[46:47], s[48:49], s[46:47]
	; wave barrier
	s_and_saveexec_b64 s[4:5], s[46:47]
	s_cbranch_execz .LBB1679_89
; %bb.88:
	v_bcnt_u32_b32 v8, v8, 0
	v_bcnt_u32_b32 v8, v9, v8
	s_waitcnt lgkmcnt(0)
	v_add_u32_e32 v8, v10, v8
	ds_write_b32 v11, v8 offset:32
.LBB1679_89:
	s_or_b64 exec, exec, s[4:5]
	; wave barrier
	s_waitcnt lgkmcnt(0)
	s_barrier
	ds_read_b64 v[8:9], v33 offset:32
	v_and_b32_e32 v44, 15, v15
	v_cmp_ne_u32_e64 s[46:47], 0, v44
	v_min_u32_e32 v21, 0x1c0, v21
	v_or_b32_e32 v21, 63, v21
	s_waitcnt lgkmcnt(0)
	v_add_u32_e32 v9, v9, v8
	s_nop 1
	v_mov_b32_dpp v98, v9 row_shr:1 row_mask:0xf bank_mask:0xf
	v_cndmask_b32_e64 v98, 0, v98, s[46:47]
	v_add_u32_e32 v9, v98, v9
	v_cmp_lt_u32_e64 s[46:47], 1, v44
	s_nop 0
	v_mov_b32_dpp v98, v9 row_shr:2 row_mask:0xf bank_mask:0xf
	v_cndmask_b32_e64 v98, 0, v98, s[46:47]
	v_add_u32_e32 v9, v9, v98
	v_cmp_lt_u32_e64 s[46:47], 3, v44
	;; [unrolled: 5-line block ×3, first 2 shown]
	s_nop 0
	v_mov_b32_dpp v98, v9 row_shr:8 row_mask:0xf bank_mask:0xf
	v_cndmask_b32_e64 v44, 0, v98, s[46:47]
	v_add_u32_e32 v9, v9, v44
	v_bfe_i32 v98, v15, 4, 1
	v_cmp_lt_u32_e64 s[46:47], 31, v15
	v_mov_b32_dpp v44, v9 row_bcast:15 row_mask:0xf bank_mask:0xf
	v_and_b32_e32 v44, v98, v44
	v_add_u32_e32 v9, v9, v44
	s_nop 1
	v_mov_b32_dpp v44, v9 row_bcast:31 row_mask:0xf bank_mask:0xf
	v_cndmask_b32_e64 v44, 0, v44, s[46:47]
	v_add_u32_e32 v9, v9, v44
	v_lshrrev_b32_e32 v44, 6, v2
	v_cmp_eq_u32_e64 s[46:47], v2, v21
	s_and_saveexec_b64 s[4:5], s[46:47]
; %bb.90:
	v_lshlrev_b32_e32 v21, 2, v44
	ds_write_b32 v21, v9
; %bb.91:
	s_or_b64 exec, exec, s[4:5]
	v_cmp_gt_u32_e64 s[46:47], 8, v2
	v_lshlrev_b32_e32 v21, 2, v2
	s_waitcnt lgkmcnt(0)
	s_barrier
	s_and_saveexec_b64 s[48:49], s[46:47]
	s_cbranch_execz .LBB1679_93
; %bb.92:
	ds_read_b32 v98, v21
	v_and_b32_e32 v99, 7, v15
	v_cmp_ne_u32_e64 s[46:47], 0, v99
	s_waitcnt lgkmcnt(0)
	v_mov_b32_dpp v100, v98 row_shr:1 row_mask:0xf bank_mask:0xf
	v_cndmask_b32_e64 v100, 0, v100, s[46:47]
	v_add_u32_e32 v98, v100, v98
	v_cmp_lt_u32_e64 s[46:47], 1, v99
	s_nop 0
	v_mov_b32_dpp v100, v98 row_shr:2 row_mask:0xf bank_mask:0xf
	v_cndmask_b32_e64 v100, 0, v100, s[46:47]
	v_add_u32_e32 v98, v98, v100
	v_cmp_lt_u32_e64 s[46:47], 3, v99
	s_nop 0
	v_mov_b32_dpp v100, v98 row_shr:4 row_mask:0xf bank_mask:0xf
	v_cndmask_b32_e64 v99, 0, v100, s[46:47]
	v_add_u32_e32 v98, v98, v99
	ds_write_b32 v21, v98
.LBB1679_93:
	s_or_b64 exec, exec, s[48:49]
	v_cmp_gt_u32_e64 s[48:49], 64, v2
	v_cmp_lt_u32_e64 s[46:47], 63, v2
	v_mov_b32_e32 v98, 0
	s_waitcnt lgkmcnt(0)
	s_barrier
	s_and_saveexec_b64 s[4:5], s[46:47]
; %bb.94:
	v_lshl_add_u32 v44, v44, 2, -4
	ds_read_b32 v98, v44
; %bb.95:
	s_or_b64 exec, exec, s[4:5]
	v_subrev_co_u32_e64 v44, s[50:51], 1, v15
	v_and_b32_e32 v99, 64, v15
	v_cmp_lt_i32_e64 s[52:53], v44, v99
	s_waitcnt lgkmcnt(0)
	v_add_u32_e32 v9, v98, v9
	v_cndmask_b32_e64 v15, v44, v15, s[52:53]
	v_lshlrev_b32_e32 v15, 2, v15
	ds_bpermute_b32 v9, v15, v9
                                        ; implicit-def: $vgpr15
	s_waitcnt lgkmcnt(0)
	v_cndmask_b32_e64 v9, v9, v98, s[50:51]
	v_cmp_ne_u32_e64 s[50:51], 0, v2
	s_nop 1
	v_cndmask_b32_e64 v98, 0, v9, s[50:51]
	v_add_u32_e32 v99, v98, v8
	ds_write_b64 v33, v[98:99] offset:32
	s_waitcnt lgkmcnt(0)
	s_barrier
	ds_read_b32 v8, v36 offset:32
	ds_read_b32 v9, v37 offset:32
	;; [unrolled: 1-line block ×22, first 2 shown]
                                        ; implicit-def: $vgpr33
	s_and_saveexec_b64 s[52:53], s[48:49]
	s_cbranch_execz .LBB1679_99
; %bb.96:
	v_mul_u32_u24_e32 v15, 36, v2
	ds_read_b32 v15, v15 offset:32
	v_add_u32_e32 v53, 1, v2
	v_cmp_ne_u32_e64 s[50:51], 64, v53
	v_mov_b32_e32 v33, 0x2c00
	s_and_saveexec_b64 s[4:5], s[50:51]
; %bb.97:
	v_mul_u32_u24_e32 v33, 36, v53
	ds_read_b32 v33, v33 offset:32
; %bb.98:
	s_or_b64 exec, exec, s[4:5]
	s_waitcnt lgkmcnt(0)
	v_sub_u32_e32 v33, v33, v15
.LBB1679_99:
	s_or_b64 exec, exec, s[52:53]
	s_waitcnt lgkmcnt(14)
	v_add_u32_e32 v71, v8, v34
	v_add3_u32 v68, v38, v35, v9
	v_add3_u32 v65, v41, v39, v36
	;; [unrolled: 1-line block ×7, first 2 shown]
	s_waitcnt lgkmcnt(13)
	v_add3_u32 v48, v60, v58, v50
	s_waitcnt lgkmcnt(12)
	v_add3_u32 v46, v63, v61, v98
	;; [unrolled: 2-line block ×6, first 2 shown]
	v_lshlrev_b32_e32 v74, 1, v71
	v_lshlrev_b32_e32 v69, 1, v68
	;; [unrolled: 1-line block ×13, first 2 shown]
	s_waitcnt lgkmcnt(7)
	v_add3_u32 v41, v78, v76, v77
	s_waitcnt lgkmcnt(6)
	v_add3_u32 v40, v81, v79, v80
	;; [unrolled: 2-line block ×8, first 2 shown]
	s_barrier
	ds_write_b16 v74, v5 offset:256
	ds_write_b16 v69, v3 offset:256
	;; [unrolled: 1-line block ×13, first 2 shown]
	v_lshlrev_b32_e32 v24, 1, v42
	ds_write_b16 v24, v23 offset:256
	v_lshlrev_b32_e32 v23, 1, v41
	v_lshlrev_b32_e32 v22, 1, v40
	;; [unrolled: 1-line block ×8, first 2 shown]
	v_mov_b32_e32 v9, 0
	ds_write_b16 v23, v26 offset:256
	ds_write_b16 v22, v25 offset:256
	;; [unrolled: 1-line block ×8, first 2 shown]
	s_and_saveexec_b64 s[50:51], s[48:49]
	s_cbranch_execz .LBB1679_109
; %bb.100:
	v_lshl_add_u32 v8, s2, 6, v2
	v_lshl_add_u64 v[10:11], v[8:9], 2, s[12:13]
	v_or_b32_e32 v3, 2.0, v33
	global_store_dword v[10:11], v3, off sc1
	s_mov_b64 s[52:53], 0
	s_brev_b32 s56, -4
	s_mov_b32 s57, s2
	v_mov_b32_e32 v3, 0
                                        ; implicit-def: $sgpr48_sgpr49
	s_branch .LBB1679_103
.LBB1679_101:                           ;   in Loop: Header=BB1679_103 Depth=1
	s_or_b64 exec, exec, s[4:5]
.LBB1679_102:                           ;   in Loop: Header=BB1679_103 Depth=1
	s_or_b64 exec, exec, s[54:55]
	v_and_b32_e32 v7, 0x3fffffff, v5
	v_add_u32_e32 v3, v7, v3
	v_cmp_gt_i32_e64 s[48:49], -2.0, v5
	s_and_b64 s[4:5], exec, s[48:49]
	s_or_b64 s[52:53], s[4:5], s[52:53]
	s_andn2_b64 exec, exec, s[52:53]
	s_cbranch_execz .LBB1679_108
.LBB1679_103:                           ; =>This Loop Header: Depth=1
                                        ;     Child Loop BB1679_106 Depth 2
	s_or_b64 s[48:49], s[48:49], exec
	s_cmp_eq_u32 s57, 0
	s_cbranch_scc1 .LBB1679_107
; %bb.104:                              ;   in Loop: Header=BB1679_103 Depth=1
	s_add_i32 s57, s57, -1
	v_lshl_or_b32 v8, s57, 6, v2
	v_lshl_add_u64 v[12:13], v[8:9], 2, s[12:13]
	global_load_dword v5, v[12:13], off sc1
	s_waitcnt vmcnt(0)
	v_cmp_gt_u32_e64 s[48:49], 2.0, v5
	s_and_saveexec_b64 s[54:55], s[48:49]
	s_cbranch_execz .LBB1679_102
; %bb.105:                              ;   in Loop: Header=BB1679_103 Depth=1
	s_mov_b64 s[4:5], 0
.LBB1679_106:                           ;   Parent Loop BB1679_103 Depth=1
                                        ; =>  This Inner Loop Header: Depth=2
	global_load_dword v5, v[12:13], off sc1
	s_waitcnt vmcnt(0)
	v_cmp_lt_u32_e64 s[48:49], s56, v5
	s_or_b64 s[4:5], s[48:49], s[4:5]
	s_andn2_b64 exec, exec, s[4:5]
	s_cbranch_execnz .LBB1679_106
	s_branch .LBB1679_101
.LBB1679_107:                           ;   in Loop: Header=BB1679_103 Depth=1
                                        ; implicit-def: $sgpr57
	s_and_b64 s[4:5], exec, s[48:49]
	s_or_b64 s[52:53], s[4:5], s[52:53]
	s_andn2_b64 exec, exec, s[52:53]
	s_cbranch_execnz .LBB1679_103
.LBB1679_108:
	s_or_b64 exec, exec, s[52:53]
	s_load_dwordx4 s[52:55], s[0:1], 0x28
	v_add_u32_e32 v5, v3, v33
	v_or_b32_e32 v5, 0x80000000, v5
	global_store_dword v[10:11], v5, off sc1
	v_sub_u32_e32 v3, v3, v15
	s_waitcnt lgkmcnt(0)
	global_load_dword v5, v21, s[52:53]
	s_waitcnt vmcnt(0)
	v_add_u32_e32 v3, v3, v5
	ds_write_b32 v21, v3
.LBB1679_109:
	s_or_b64 exec, exec, s[50:51]
	v_cmp_gt_u32_e64 s[48:49], s7, v2
	v_mov_b32_e32 v8, 0
	v_lshlrev_b32_e32 v3, 1, v2
	v_mov_b32_e32 v10, 0
	s_waitcnt lgkmcnt(0)
	s_barrier
	s_and_saveexec_b64 s[50:51], s[48:49]
	s_cbranch_execz .LBB1679_111
; %bb.110:
	v_sub_u32_e32 v5, v21, v3
	ds_read_u16 v5, v5 offset:256
	v_mov_b32_e32 v13, 0
	s_waitcnt lgkmcnt(0)
	v_lshrrev_b32_sdwa v7, s8, v5 dst_sel:DWORD dst_unused:UNUSED_PAD src0_sel:DWORD src1_sel:WORD_0
	v_and_b32_e32 v10, s33, v7
	v_lshlrev_b32_e32 v7, 2, v10
	ds_read_b32 v7, v7
	v_xor_b32_e32 v5, 0xffff8000, v5
	s_waitcnt lgkmcnt(0)
	v_add_u32_e32 v12, v7, v2
	v_lshl_add_u64 v[12:13], v[12:13], 1, s[94:95]
	global_store_short v[12:13], v5, off
.LBB1679_111:
	s_or_b64 exec, exec, s[50:51]
	v_add_u32_e32 v9, 0x200, v2
	v_cmp_gt_u32_e64 s[50:51], s7, v9
	s_and_saveexec_b64 s[52:53], s[50:51]
	s_cbranch_execz .LBB1679_113
; %bb.112:
	v_sub_u32_e32 v5, v21, v3
	ds_read_u16 v5, v5 offset:1280
	v_mov_b32_e32 v13, 0
	s_waitcnt lgkmcnt(0)
	v_lshrrev_b32_sdwa v7, s8, v5 dst_sel:DWORD dst_unused:UNUSED_PAD src0_sel:DWORD src1_sel:WORD_0
	v_and_b32_e32 v8, s33, v7
	v_lshlrev_b32_e32 v7, 2, v8
	ds_read_b32 v7, v7
	v_xor_b32_e32 v5, 0xffff8000, v5
	s_waitcnt lgkmcnt(0)
	v_add_u32_e32 v12, v7, v9
	v_lshl_add_u64 v[12:13], v[12:13], 1, s[94:95]
	global_store_short v[12:13], v5, off
.LBB1679_113:
	s_or_b64 exec, exec, s[52:53]
	v_or_b32_e32 v12, 0x400, v2
	v_cmp_gt_u32_e64 s[52:53], s7, v12
	v_mov_b32_e32 v11, 0
	v_mov_b32_e32 v25, 0
	s_and_saveexec_b64 s[54:55], s[52:53]
	s_cbranch_execz .LBB1679_115
; %bb.114:
	v_sub_u32_e32 v5, v21, v3
	ds_read_u16 v5, v5 offset:2304
	v_mov_b32_e32 v27, 0
	s_waitcnt lgkmcnt(0)
	v_lshrrev_b32_sdwa v7, s8, v5 dst_sel:DWORD dst_unused:UNUSED_PAD src0_sel:DWORD src1_sel:WORD_0
	v_and_b32_e32 v25, s33, v7
	v_lshlrev_b32_e32 v7, 2, v25
	ds_read_b32 v7, v7
	v_xor_b32_e32 v5, 0xffff8000, v5
	s_waitcnt lgkmcnt(0)
	v_add_u32_e32 v26, v7, v12
	v_lshl_add_u64 v[26:27], v[26:27], 1, s[94:95]
	global_store_short v[26:27], v5, off
.LBB1679_115:
	s_or_b64 exec, exec, s[54:55]
	v_add_u32_e32 v13, 0x600, v2
	v_cmp_gt_u32_e64 s[54:55], s7, v13
	s_and_saveexec_b64 s[56:57], s[54:55]
	s_cbranch_execz .LBB1679_117
; %bb.116:
	v_sub_u32_e32 v5, v21, v3
	ds_read_u16 v5, v5 offset:3328
	v_mov_b32_e32 v27, 0
	s_waitcnt lgkmcnt(0)
	v_lshrrev_b32_sdwa v7, s8, v5 dst_sel:DWORD dst_unused:UNUSED_PAD src0_sel:DWORD src1_sel:WORD_0
	v_and_b32_e32 v11, s33, v7
	v_lshlrev_b32_e32 v7, 2, v11
	ds_read_b32 v7, v7
	v_xor_b32_e32 v5, 0xffff8000, v5
	s_waitcnt lgkmcnt(0)
	v_add_u32_e32 v26, v7, v13
	v_lshl_add_u64 v[26:27], v[26:27], 1, s[94:95]
	global_store_short v[26:27], v5, off
.LBB1679_117:
	s_or_b64 exec, exec, s[56:57]
	v_or_b32_e32 v27, 0x800, v2
	v_cmp_gt_u32_e64 s[56:57], s7, v27
	v_mov_b32_e32 v26, 0
	v_mov_b32_e32 v30, 0
	s_and_saveexec_b64 s[58:59], s[56:57]
	s_cbranch_execz .LBB1679_119
; %bb.118:
	v_sub_u32_e32 v5, v21, v3
	ds_read_u16 v5, v5 offset:4352
	v_mov_b32_e32 v29, 0
	s_waitcnt lgkmcnt(0)
	v_lshrrev_b32_sdwa v7, s8, v5 dst_sel:DWORD dst_unused:UNUSED_PAD src0_sel:DWORD src1_sel:WORD_0
	v_and_b32_e32 v30, s33, v7
	v_lshlrev_b32_e32 v7, 2, v30
	ds_read_b32 v7, v7
	v_xor_b32_e32 v5, 0xffff8000, v5
	s_waitcnt lgkmcnt(0)
	v_add_u32_e32 v28, v7, v27
	v_lshl_add_u64 v[28:29], v[28:29], 1, s[94:95]
	global_store_short v[28:29], v5, off
.LBB1679_119:
	s_or_b64 exec, exec, s[58:59]
	v_add_u32_e32 v29, 0xa00, v2
	v_cmp_gt_u32_e64 s[58:59], s7, v29
	s_and_saveexec_b64 s[60:61], s[58:59]
	s_cbranch_execz .LBB1679_121
; %bb.120:
	v_sub_u32_e32 v5, v21, v3
	ds_read_u16 v5, v5 offset:5376
	v_mov_b32_e32 v73, 0
	s_waitcnt lgkmcnt(0)
	v_lshrrev_b32_sdwa v7, s8, v5 dst_sel:DWORD dst_unused:UNUSED_PAD src0_sel:DWORD src1_sel:WORD_0
	v_and_b32_e32 v26, s33, v7
	v_lshlrev_b32_e32 v7, 2, v26
	ds_read_b32 v7, v7
	v_xor_b32_e32 v5, 0xffff8000, v5
	s_waitcnt lgkmcnt(0)
	v_add_u32_e32 v72, v7, v29
	v_lshl_add_u64 v[72:73], v[72:73], 1, s[94:95]
	global_store_short v[72:73], v5, off
.LBB1679_121:
	s_or_b64 exec, exec, s[60:61]
	v_or_b32_e32 v31, 0xc00, v2
	v_cmp_gt_u32_e64 s[60:61], s7, v31
	v_mov_b32_e32 v28, 0
	v_mov_b32_e32 v64, 0
	s_and_saveexec_b64 s[62:63], s[60:61]
	s_cbranch_execz .LBB1679_123
; %bb.122:
	v_sub_u32_e32 v5, v21, v3
	ds_read_u16 v5, v5 offset:6400
	v_mov_b32_e32 v73, 0
	s_waitcnt lgkmcnt(0)
	v_lshrrev_b32_sdwa v7, s8, v5 dst_sel:DWORD dst_unused:UNUSED_PAD src0_sel:DWORD src1_sel:WORD_0
	v_and_b32_e32 v64, s33, v7
	v_lshlrev_b32_e32 v7, 2, v64
	ds_read_b32 v7, v7
	v_xor_b32_e32 v5, 0xffff8000, v5
	s_waitcnt lgkmcnt(0)
	v_add_u32_e32 v72, v7, v31
	v_lshl_add_u64 v[72:73], v[72:73], 1, s[94:95]
	global_store_short v[72:73], v5, off
.LBB1679_123:
	s_or_b64 exec, exec, s[62:63]
	v_add_u32_e32 v63, 0xe00, v2
	v_cmp_gt_u32_e64 s[62:63], s7, v63
	s_and_saveexec_b64 s[64:65], s[62:63]
	s_cbranch_execz .LBB1679_125
; %bb.124:
	ds_read_u16 v5, v3 offset:7424
	v_mov_b32_e32 v73, 0
	s_waitcnt lgkmcnt(0)
	v_lshrrev_b32_sdwa v7, s8, v5 dst_sel:DWORD dst_unused:UNUSED_PAD src0_sel:DWORD src1_sel:WORD_0
	v_and_b32_e32 v28, s33, v7
	v_lshlrev_b32_e32 v7, 2, v28
	ds_read_b32 v7, v7
	v_xor_b32_e32 v5, 0xffff8000, v5
	s_waitcnt lgkmcnt(0)
	v_add_u32_e32 v72, v7, v63
	v_lshl_add_u64 v[72:73], v[72:73], 1, s[94:95]
	global_store_short v[72:73], v5, off
.LBB1679_125:
	s_or_b64 exec, exec, s[64:65]
	v_or_b32_e32 v67, 0x1000, v2
	v_cmp_gt_u32_e64 s[64:65], s7, v67
	v_mov_b32_e32 v32, 0
	v_mov_b32_e32 v73, 0
	s_and_saveexec_b64 s[66:67], s[64:65]
	s_cbranch_execz .LBB1679_127
; %bb.126:
	ds_read_u16 v5, v3 offset:8448
	v_mov_b32_e32 v77, 0
	s_waitcnt lgkmcnt(0)
	v_lshrrev_b32_sdwa v7, s8, v5 dst_sel:DWORD dst_unused:UNUSED_PAD src0_sel:DWORD src1_sel:WORD_0
	v_and_b32_e32 v73, s33, v7
	v_lshlrev_b32_e32 v7, 2, v73
	ds_read_b32 v7, v7
	v_xor_b32_e32 v5, 0xffff8000, v5
	s_waitcnt lgkmcnt(0)
	v_add_u32_e32 v76, v7, v67
	v_lshl_add_u64 v[76:77], v[76:77], 1, s[94:95]
	global_store_short v[76:77], v5, off
.LBB1679_127:
	s_or_b64 exec, exec, s[66:67]
	v_add_u32_e32 v72, 0x1200, v2
	v_cmp_gt_u32_e64 s[66:67], s7, v72
	s_and_saveexec_b64 s[68:69], s[66:67]
	s_cbranch_execz .LBB1679_129
; %bb.128:
	ds_read_u16 v5, v3 offset:9472
	v_mov_b32_e32 v77, 0
	s_waitcnt lgkmcnt(0)
	v_lshrrev_b32_sdwa v7, s8, v5 dst_sel:DWORD dst_unused:UNUSED_PAD src0_sel:DWORD src1_sel:WORD_0
	v_and_b32_e32 v32, s33, v7
	v_lshlrev_b32_e32 v7, 2, v32
	ds_read_b32 v7, v7
	v_xor_b32_e32 v5, 0xffff8000, v5
	s_waitcnt lgkmcnt(0)
	v_add_u32_e32 v76, v7, v72
	v_lshl_add_u64 v[76:77], v[76:77], 1, s[94:95]
	global_store_short v[76:77], v5, off
.LBB1679_129:
	s_or_b64 exec, exec, s[68:69]
	v_or_b32_e32 v75, 0x1400, v2
	v_cmp_gt_u32_e64 s[68:69], s7, v75
	v_mov_b32_e32 v70, 0
	v_mov_b32_e32 v78, 0
	s_and_saveexec_b64 s[70:71], s[68:69]
	s_cbranch_execz .LBB1679_131
; %bb.130:
	ds_read_u16 v5, v3 offset:10496
	v_mov_b32_e32 v77, 0
	s_waitcnt lgkmcnt(0)
	v_lshrrev_b32_sdwa v7, s8, v5 dst_sel:DWORD dst_unused:UNUSED_PAD src0_sel:DWORD src1_sel:WORD_0
	v_and_b32_e32 v78, s33, v7
	v_lshlrev_b32_e32 v7, 2, v78
	ds_read_b32 v7, v7
	v_xor_b32_e32 v5, 0xffff8000, v5
	s_waitcnt lgkmcnt(0)
	v_add_u32_e32 v76, v7, v75
	v_lshl_add_u64 v[76:77], v[76:77], 1, s[94:95]
	global_store_short v[76:77], v5, off
.LBB1679_131:
	;; [unrolled: 40-line block ×7, first 2 shown]
	s_or_b64 exec, exec, s[90:91]
	v_add_u32_e32 v96, 0x2a00, v2
	v_cmp_gt_u32_e64 s[90:91], s7, v96
	s_and_saveexec_b64 s[4:5], s[90:91]
	s_cbranch_execz .LBB1679_153
; %bb.152:
	ds_read_u16 v5, v3 offset:21760
	v_mov_b32_e32 v99, 0
	s_waitcnt lgkmcnt(0)
	v_lshrrev_b32_sdwa v7, s8, v5 dst_sel:DWORD dst_unused:UNUSED_PAD src0_sel:DWORD src1_sel:WORD_0
	v_and_b32_e32 v92, s33, v7
	v_lshlrev_b32_e32 v7, 2, v92
	ds_read_b32 v7, v7
	v_xor_b32_e32 v5, 0xffff8000, v5
	s_waitcnt lgkmcnt(0)
	v_add_u32_e32 v98, v7, v96
	v_lshl_add_u64 v[98:99], v[98:99], 1, s[94:95]
	global_store_short v[98:99], v5, off
.LBB1679_153:
	s_or_b64 exec, exec, s[4:5]
	s_add_u32 s4, s96, s10
	s_addc_u32 s5, s97, s11
	v_mov_b32_e32 v5, 0
	v_lshl_add_u64 v[98:99], s[4:5], 0, v[4:5]
	v_mov_b32_e32 v7, v5
	v_lshl_add_u64 v[4:5], v[98:99], 0, v[6:7]
                                        ; implicit-def: $vgpr6
	s_mov_b64 s[4:5], exec
	v_readlane_b32 s10, v118, 4
	v_readlane_b32 s11, v118, 5
	s_and_b64 s[10:11], s[4:5], s[10:11]
	s_xor_b64 s[4:5], s[10:11], s[4:5]
	s_mov_b64 exec, s[10:11]
	s_cbranch_execz .LBB1679_155
; %bb.154:
	global_load_ushort v6, v[4:5], off
.LBB1679_155:
	s_or_b64 exec, exec, s[4:5]
                                        ; implicit-def: $vgpr7
	s_mov_b64 s[4:5], exec
	v_readlane_b32 s10, v118, 6
	v_readlane_b32 s11, v118, 7
	s_and_b64 s[10:11], s[4:5], s[10:11]
	s_mov_b64 exec, s[10:11]
	s_cbranch_execz .LBB1679_157
; %bb.156:
	global_load_ushort v7, v[4:5], off offset:128
.LBB1679_157:
	s_or_b64 exec, exec, s[4:5]
                                        ; implicit-def: $vgpr98
	s_mov_b64 s[4:5], exec
	v_readlane_b32 s10, v118, 8
	v_readlane_b32 s11, v118, 9
	s_and_b64 s[10:11], s[4:5], s[10:11]
	s_mov_b64 exec, s[10:11]
	s_cbranch_execz .LBB1679_159
; %bb.158:
	global_load_ushort v98, v[4:5], off offset:256
.LBB1679_159:
	s_or_b64 exec, exec, s[4:5]
                                        ; implicit-def: $vgpr99
	s_mov_b64 s[4:5], exec
	v_readlane_b32 s10, v118, 10
	v_readlane_b32 s11, v118, 11
	s_and_b64 s[10:11], s[4:5], s[10:11]
	s_mov_b64 exec, s[10:11]
	s_cbranch_execz .LBB1679_161
; %bb.160:
	global_load_ushort v99, v[4:5], off offset:384
.LBB1679_161:
	s_or_b64 exec, exec, s[4:5]
                                        ; implicit-def: $vgpr100
	s_mov_b64 s[4:5], exec
	v_readlane_b32 s10, v118, 12
	v_readlane_b32 s11, v118, 13
	s_and_b64 s[10:11], s[4:5], s[10:11]
	s_mov_b64 exec, s[10:11]
	s_cbranch_execz .LBB1679_163
; %bb.162:
	global_load_ushort v100, v[4:5], off offset:512
.LBB1679_163:
	s_or_b64 exec, exec, s[4:5]
                                        ; implicit-def: $vgpr101
	s_mov_b64 s[4:5], exec
	v_readlane_b32 s10, v118, 14
	v_readlane_b32 s11, v118, 15
	s_and_b64 s[10:11], s[4:5], s[10:11]
	s_mov_b64 exec, s[10:11]
	s_cbranch_execz .LBB1679_165
; %bb.164:
	global_load_ushort v101, v[4:5], off offset:640
.LBB1679_165:
	s_or_b64 exec, exec, s[4:5]
                                        ; implicit-def: $vgpr102
	s_mov_b64 s[4:5], exec
	v_readlane_b32 s10, v118, 16
	v_readlane_b32 s11, v118, 17
	s_and_b64 s[10:11], s[4:5], s[10:11]
	s_mov_b64 exec, s[10:11]
	s_cbranch_execz .LBB1679_181
; %bb.166:
	global_load_ushort v102, v[4:5], off offset:768
	s_or_b64 exec, exec, s[4:5]
                                        ; implicit-def: $vgpr103
	s_and_saveexec_b64 s[4:5], vcc
	s_cbranch_execnz .LBB1679_182
.LBB1679_167:
	s_or_b64 exec, exec, s[4:5]
                                        ; implicit-def: $vgpr104
	s_and_saveexec_b64 s[4:5], s[16:17]
	s_cbranch_execz .LBB1679_183
.LBB1679_168:
	global_load_ushort v104, v[4:5], off offset:1024
	s_or_b64 exec, exec, s[4:5]
                                        ; implicit-def: $vgpr105
	s_and_saveexec_b64 s[4:5], s[18:19]
	s_cbranch_execnz .LBB1679_184
.LBB1679_169:
	s_or_b64 exec, exec, s[4:5]
                                        ; implicit-def: $vgpr106
	s_and_saveexec_b64 s[4:5], s[20:21]
	s_cbranch_execz .LBB1679_185
.LBB1679_170:
	global_load_ushort v106, v[4:5], off offset:1280
	s_or_b64 exec, exec, s[4:5]
                                        ; implicit-def: $vgpr107
	s_and_saveexec_b64 s[4:5], s[22:23]
	s_cbranch_execnz .LBB1679_186
.LBB1679_171:
	s_or_b64 exec, exec, s[4:5]
                                        ; implicit-def: $vgpr108
	s_and_saveexec_b64 s[4:5], s[24:25]
	s_cbranch_execz .LBB1679_187
.LBB1679_172:
	global_load_ushort v108, v[4:5], off offset:1536
	s_or_b64 exec, exec, s[4:5]
                                        ; implicit-def: $vgpr109
	s_and_saveexec_b64 s[4:5], s[26:27]
	s_cbranch_execnz .LBB1679_188
.LBB1679_173:
	s_or_b64 exec, exec, s[4:5]
                                        ; implicit-def: $vgpr110
	s_and_saveexec_b64 s[4:5], s[28:29]
	s_cbranch_execz .LBB1679_189
.LBB1679_174:
	global_load_ushort v110, v[4:5], off offset:1792
	s_or_b64 exec, exec, s[4:5]
                                        ; implicit-def: $vgpr111
	s_and_saveexec_b64 s[4:5], s[30:31]
	s_cbranch_execnz .LBB1679_190
.LBB1679_175:
	s_or_b64 exec, exec, s[4:5]
                                        ; implicit-def: $vgpr112
	s_and_saveexec_b64 s[4:5], s[34:35]
	s_cbranch_execz .LBB1679_191
.LBB1679_176:
	global_load_ushort v112, v[4:5], off offset:2048
	s_or_b64 exec, exec, s[4:5]
                                        ; implicit-def: $vgpr113
	s_and_saveexec_b64 s[4:5], s[36:37]
	s_cbranch_execnz .LBB1679_192
.LBB1679_177:
	s_or_b64 exec, exec, s[4:5]
                                        ; implicit-def: $vgpr114
	s_and_saveexec_b64 s[4:5], s[38:39]
	s_cbranch_execz .LBB1679_193
.LBB1679_178:
	global_load_ushort v114, v[4:5], off offset:2304
	s_or_b64 exec, exec, s[4:5]
                                        ; implicit-def: $vgpr115
	s_and_saveexec_b64 s[4:5], s[40:41]
	s_cbranch_execnz .LBB1679_194
.LBB1679_179:
	s_or_b64 exec, exec, s[4:5]
                                        ; implicit-def: $vgpr116
	s_and_saveexec_b64 s[4:5], s[42:43]
	s_cbranch_execz .LBB1679_195
.LBB1679_180:
	global_load_ushort v116, v[4:5], off offset:2560
	s_or_b64 exec, exec, s[4:5]
                                        ; implicit-def: $vgpr117
	s_and_saveexec_b64 s[4:5], s[44:45]
	s_cbranch_execnz .LBB1679_196
	s_branch .LBB1679_197
.LBB1679_181:
	s_or_b64 exec, exec, s[4:5]
                                        ; implicit-def: $vgpr103
	s_and_saveexec_b64 s[4:5], vcc
	s_cbranch_execz .LBB1679_167
.LBB1679_182:
	global_load_ushort v103, v[4:5], off offset:896
	s_or_b64 exec, exec, s[4:5]
                                        ; implicit-def: $vgpr104
	s_and_saveexec_b64 s[4:5], s[16:17]
	s_cbranch_execnz .LBB1679_168
.LBB1679_183:
	s_or_b64 exec, exec, s[4:5]
                                        ; implicit-def: $vgpr105
	s_and_saveexec_b64 s[4:5], s[18:19]
	s_cbranch_execz .LBB1679_169
.LBB1679_184:
	global_load_ushort v105, v[4:5], off offset:1152
	s_or_b64 exec, exec, s[4:5]
                                        ; implicit-def: $vgpr106
	s_and_saveexec_b64 s[4:5], s[20:21]
	s_cbranch_execnz .LBB1679_170
.LBB1679_185:
	s_or_b64 exec, exec, s[4:5]
                                        ; implicit-def: $vgpr107
	s_and_saveexec_b64 s[4:5], s[22:23]
	s_cbranch_execz .LBB1679_171
.LBB1679_186:
	global_load_ushort v107, v[4:5], off offset:1408
	s_or_b64 exec, exec, s[4:5]
                                        ; implicit-def: $vgpr108
	s_and_saveexec_b64 s[4:5], s[24:25]
	s_cbranch_execnz .LBB1679_172
.LBB1679_187:
	s_or_b64 exec, exec, s[4:5]
                                        ; implicit-def: $vgpr109
	s_and_saveexec_b64 s[4:5], s[26:27]
	s_cbranch_execz .LBB1679_173
.LBB1679_188:
	global_load_ushort v109, v[4:5], off offset:1664
	s_or_b64 exec, exec, s[4:5]
                                        ; implicit-def: $vgpr110
	s_and_saveexec_b64 s[4:5], s[28:29]
	s_cbranch_execnz .LBB1679_174
.LBB1679_189:
	s_or_b64 exec, exec, s[4:5]
                                        ; implicit-def: $vgpr111
	s_and_saveexec_b64 s[4:5], s[30:31]
	s_cbranch_execz .LBB1679_175
.LBB1679_190:
	global_load_ushort v111, v[4:5], off offset:1920
	s_or_b64 exec, exec, s[4:5]
                                        ; implicit-def: $vgpr112
	s_and_saveexec_b64 s[4:5], s[34:35]
	s_cbranch_execnz .LBB1679_176
.LBB1679_191:
	s_or_b64 exec, exec, s[4:5]
                                        ; implicit-def: $vgpr113
	s_and_saveexec_b64 s[4:5], s[36:37]
	s_cbranch_execz .LBB1679_177
.LBB1679_192:
	global_load_ushort v113, v[4:5], off offset:2176
	s_or_b64 exec, exec, s[4:5]
                                        ; implicit-def: $vgpr114
	s_and_saveexec_b64 s[4:5], s[38:39]
	s_cbranch_execnz .LBB1679_178
.LBB1679_193:
	s_or_b64 exec, exec, s[4:5]
                                        ; implicit-def: $vgpr115
	s_and_saveexec_b64 s[4:5], s[40:41]
	s_cbranch_execz .LBB1679_179
.LBB1679_194:
	global_load_ushort v115, v[4:5], off offset:2432
	s_or_b64 exec, exec, s[4:5]
                                        ; implicit-def: $vgpr116
	s_and_saveexec_b64 s[4:5], s[42:43]
	s_cbranch_execnz .LBB1679_180
.LBB1679_195:
	s_or_b64 exec, exec, s[4:5]
                                        ; implicit-def: $vgpr117
	s_and_saveexec_b64 s[4:5], s[44:45]
	s_cbranch_execz .LBB1679_197
.LBB1679_196:
	global_load_ushort v117, v[4:5], off offset:2688
.LBB1679_197:
	s_or_b64 exec, exec, s[4:5]
	s_movk_i32 s7, 0x2c00
	v_cmp_gt_u32_e32 vcc, s7, v71
	s_barrier
	s_and_saveexec_b64 s[4:5], vcc
	s_cbranch_execz .LBB1679_219
; %bb.198:
	s_waitcnt vmcnt(0)
	ds_write_b16 v74, v6 offset:256
	s_or_b64 exec, exec, s[4:5]
	v_cmp_gt_u32_e32 vcc, s7, v68
	s_and_saveexec_b64 s[4:5], vcc
	s_cbranch_execnz .LBB1679_220
.LBB1679_199:
	s_or_b64 exec, exec, s[4:5]
	v_cmp_gt_u32_e32 vcc, s7, v65
	s_and_saveexec_b64 s[4:5], vcc
	s_cbranch_execz .LBB1679_221
.LBB1679_200:
	s_waitcnt vmcnt(0)
	ds_write_b16 v66, v98 offset:256
	s_or_b64 exec, exec, s[4:5]
	v_cmp_gt_u32_e32 vcc, s7, v62
	s_and_saveexec_b64 s[4:5], vcc
	s_cbranch_execnz .LBB1679_222
.LBB1679_201:
	s_or_b64 exec, exec, s[4:5]
	v_cmp_gt_u32_e32 vcc, s7, v59
	s_and_saveexec_b64 s[4:5], vcc
	s_cbranch_execz .LBB1679_223
.LBB1679_202:
	s_waitcnt vmcnt(0)
	ds_write_b16 v60, v100 offset:256
	s_or_b64 exec, exec, s[4:5]
	v_cmp_gt_u32_e32 vcc, s7, v56
	s_and_saveexec_b64 s[4:5], vcc
	s_cbranch_execnz .LBB1679_224
.LBB1679_203:
	s_or_b64 exec, exec, s[4:5]
	v_cmp_gt_u32_e32 vcc, s7, v53
	s_and_saveexec_b64 s[4:5], vcc
	s_cbranch_execz .LBB1679_225
.LBB1679_204:
	s_waitcnt vmcnt(0)
	ds_write_b16 v57, v102 offset:256
	s_or_b64 exec, exec, s[4:5]
	v_cmp_gt_u32_e32 vcc, s7, v51
	s_and_saveexec_b64 s[4:5], vcc
	s_cbranch_execnz .LBB1679_226
.LBB1679_205:
	s_or_b64 exec, exec, s[4:5]
	v_cmp_gt_u32_e32 vcc, s7, v48
	s_and_saveexec_b64 s[4:5], vcc
	s_cbranch_execz .LBB1679_227
.LBB1679_206:
	s_waitcnt vmcnt(0)
	ds_write_b16 v54, v104 offset:256
	s_or_b64 exec, exec, s[4:5]
	v_cmp_gt_u32_e32 vcc, s7, v46
	s_and_saveexec_b64 s[4:5], vcc
	s_cbranch_execnz .LBB1679_228
.LBB1679_207:
	s_or_b64 exec, exec, s[4:5]
	v_cmp_gt_u32_e32 vcc, s7, v45
	s_and_saveexec_b64 s[4:5], vcc
	s_cbranch_execz .LBB1679_229
.LBB1679_208:
	s_waitcnt vmcnt(0)
	ds_write_b16 v50, v106 offset:256
	s_or_b64 exec, exec, s[4:5]
	v_cmp_gt_u32_e32 vcc, s7, v44
	s_and_saveexec_b64 s[4:5], vcc
	s_cbranch_execnz .LBB1679_230
.LBB1679_209:
	s_or_b64 exec, exec, s[4:5]
	v_cmp_gt_u32_e32 vcc, s7, v43
	s_and_saveexec_b64 s[4:5], vcc
	s_cbranch_execz .LBB1679_231
.LBB1679_210:
	s_waitcnt vmcnt(0)
	ds_write_b16 v47, v108 offset:256
	s_or_b64 exec, exec, s[4:5]
	v_cmp_gt_u32_e32 vcc, s7, v42
	s_and_saveexec_b64 s[4:5], vcc
	s_cbranch_execnz .LBB1679_232
.LBB1679_211:
	s_or_b64 exec, exec, s[4:5]
	v_cmp_gt_u32_e32 vcc, s7, v41
	s_and_saveexec_b64 s[4:5], vcc
	s_cbranch_execz .LBB1679_233
.LBB1679_212:
	s_waitcnt vmcnt(0)
	ds_write_b16 v23, v110 offset:256
	s_or_b64 exec, exec, s[4:5]
	v_cmp_gt_u32_e32 vcc, s7, v40
	s_and_saveexec_b64 s[4:5], vcc
	s_cbranch_execnz .LBB1679_234
.LBB1679_213:
	s_or_b64 exec, exec, s[4:5]
	v_cmp_gt_u32_e32 vcc, s7, v39
	s_and_saveexec_b64 s[4:5], vcc
	s_cbranch_execz .LBB1679_235
.LBB1679_214:
	s_waitcnt vmcnt(0)
	ds_write_b16 v20, v112 offset:256
	s_or_b64 exec, exec, s[4:5]
	v_cmp_gt_u32_e32 vcc, s7, v38
	s_and_saveexec_b64 s[4:5], vcc
	s_cbranch_execnz .LBB1679_236
.LBB1679_215:
	s_or_b64 exec, exec, s[4:5]
	v_cmp_gt_u32_e32 vcc, s7, v37
	s_and_saveexec_b64 s[4:5], vcc
	s_cbranch_execz .LBB1679_237
.LBB1679_216:
	s_waitcnt vmcnt(0)
	ds_write_b16 v18, v114 offset:256
	s_or_b64 exec, exec, s[4:5]
	v_cmp_gt_u32_e32 vcc, s7, v36
	s_and_saveexec_b64 s[4:5], vcc
	s_cbranch_execnz .LBB1679_238
.LBB1679_217:
	s_or_b64 exec, exec, s[4:5]
	v_cmp_gt_u32_e32 vcc, s7, v35
	s_and_saveexec_b64 s[4:5], vcc
	s_cbranch_execz .LBB1679_239
.LBB1679_218:
	s_waitcnt vmcnt(0)
	ds_write_b16 v16, v116 offset:256
	s_or_b64 exec, exec, s[4:5]
	v_cmp_gt_u32_e32 vcc, s7, v34
	s_and_saveexec_b64 s[4:5], vcc
	s_cbranch_execnz .LBB1679_240
	s_branch .LBB1679_241
.LBB1679_219:
	s_or_b64 exec, exec, s[4:5]
	v_cmp_gt_u32_e32 vcc, s7, v68
	s_and_saveexec_b64 s[4:5], vcc
	s_cbranch_execz .LBB1679_199
.LBB1679_220:
	s_waitcnt vmcnt(0)
	ds_write_b16 v69, v7 offset:256
	s_or_b64 exec, exec, s[4:5]
	v_cmp_gt_u32_e32 vcc, s7, v65
	s_and_saveexec_b64 s[4:5], vcc
	s_cbranch_execnz .LBB1679_200
.LBB1679_221:
	s_or_b64 exec, exec, s[4:5]
	v_cmp_gt_u32_e32 vcc, s7, v62
	s_and_saveexec_b64 s[4:5], vcc
	s_cbranch_execz .LBB1679_201
.LBB1679_222:
	s_waitcnt vmcnt(0)
	ds_write_b16 v61, v99 offset:256
	s_or_b64 exec, exec, s[4:5]
	v_cmp_gt_u32_e32 vcc, s7, v59
	s_and_saveexec_b64 s[4:5], vcc
	s_cbranch_execnz .LBB1679_202
.LBB1679_223:
	s_or_b64 exec, exec, s[4:5]
	v_cmp_gt_u32_e32 vcc, s7, v56
	s_and_saveexec_b64 s[4:5], vcc
	s_cbranch_execz .LBB1679_203
.LBB1679_224:
	s_waitcnt vmcnt(0)
	ds_write_b16 v58, v101 offset:256
	s_or_b64 exec, exec, s[4:5]
	v_cmp_gt_u32_e32 vcc, s7, v53
	s_and_saveexec_b64 s[4:5], vcc
	s_cbranch_execnz .LBB1679_204
.LBB1679_225:
	s_or_b64 exec, exec, s[4:5]
	v_cmp_gt_u32_e32 vcc, s7, v51
	s_and_saveexec_b64 s[4:5], vcc
	s_cbranch_execz .LBB1679_205
.LBB1679_226:
	s_waitcnt vmcnt(0)
	ds_write_b16 v55, v103 offset:256
	s_or_b64 exec, exec, s[4:5]
	v_cmp_gt_u32_e32 vcc, s7, v48
	s_and_saveexec_b64 s[4:5], vcc
	s_cbranch_execnz .LBB1679_206
.LBB1679_227:
	s_or_b64 exec, exec, s[4:5]
	v_cmp_gt_u32_e32 vcc, s7, v46
	s_and_saveexec_b64 s[4:5], vcc
	s_cbranch_execz .LBB1679_207
.LBB1679_228:
	s_waitcnt vmcnt(0)
	ds_write_b16 v52, v105 offset:256
	s_or_b64 exec, exec, s[4:5]
	v_cmp_gt_u32_e32 vcc, s7, v45
	s_and_saveexec_b64 s[4:5], vcc
	s_cbranch_execnz .LBB1679_208
.LBB1679_229:
	s_or_b64 exec, exec, s[4:5]
	v_cmp_gt_u32_e32 vcc, s7, v44
	s_and_saveexec_b64 s[4:5], vcc
	s_cbranch_execz .LBB1679_209
.LBB1679_230:
	s_waitcnt vmcnt(0)
	ds_write_b16 v49, v107 offset:256
	s_or_b64 exec, exec, s[4:5]
	v_cmp_gt_u32_e32 vcc, s7, v43
	s_and_saveexec_b64 s[4:5], vcc
	s_cbranch_execnz .LBB1679_210
.LBB1679_231:
	s_or_b64 exec, exec, s[4:5]
	v_cmp_gt_u32_e32 vcc, s7, v42
	s_and_saveexec_b64 s[4:5], vcc
	s_cbranch_execz .LBB1679_211
.LBB1679_232:
	s_waitcnt vmcnt(0)
	ds_write_b16 v24, v109 offset:256
	s_or_b64 exec, exec, s[4:5]
	v_cmp_gt_u32_e32 vcc, s7, v41
	s_and_saveexec_b64 s[4:5], vcc
	s_cbranch_execnz .LBB1679_212
.LBB1679_233:
	s_or_b64 exec, exec, s[4:5]
	v_cmp_gt_u32_e32 vcc, s7, v40
	s_and_saveexec_b64 s[4:5], vcc
	s_cbranch_execz .LBB1679_213
.LBB1679_234:
	s_waitcnt vmcnt(0)
	ds_write_b16 v22, v111 offset:256
	s_or_b64 exec, exec, s[4:5]
	v_cmp_gt_u32_e32 vcc, s7, v39
	s_and_saveexec_b64 s[4:5], vcc
	s_cbranch_execnz .LBB1679_214
.LBB1679_235:
	s_or_b64 exec, exec, s[4:5]
	v_cmp_gt_u32_e32 vcc, s7, v38
	s_and_saveexec_b64 s[4:5], vcc
	s_cbranch_execz .LBB1679_215
.LBB1679_236:
	s_waitcnt vmcnt(0)
	ds_write_b16 v19, v113 offset:256
	s_or_b64 exec, exec, s[4:5]
	v_cmp_gt_u32_e32 vcc, s7, v37
	s_and_saveexec_b64 s[4:5], vcc
	s_cbranch_execnz .LBB1679_216
.LBB1679_237:
	s_or_b64 exec, exec, s[4:5]
	v_cmp_gt_u32_e32 vcc, s7, v36
	s_and_saveexec_b64 s[4:5], vcc
	s_cbranch_execz .LBB1679_217
.LBB1679_238:
	s_waitcnt vmcnt(0)
	ds_write_b16 v17, v115 offset:256
	s_or_b64 exec, exec, s[4:5]
	v_cmp_gt_u32_e32 vcc, s7, v35
	s_and_saveexec_b64 s[4:5], vcc
	s_cbranch_execnz .LBB1679_218
.LBB1679_239:
	s_or_b64 exec, exec, s[4:5]
	v_cmp_gt_u32_e32 vcc, s7, v34
	s_and_saveexec_b64 s[4:5], vcc
	s_cbranch_execz .LBB1679_241
.LBB1679_240:
	s_waitcnt vmcnt(0)
	ds_write_b16 v14, v117 offset:256
.LBB1679_241:
	s_or_b64 exec, exec, s[4:5]
	s_waitcnt lgkmcnt(0)
	s_barrier
	s_and_saveexec_b64 s[4:5], s[48:49]
	s_cbranch_execz .LBB1679_263
; %bb.242:
	v_lshlrev_b32_e32 v4, 2, v10
	ds_read_b32 v4, v4
	s_waitcnt vmcnt(0)
	ds_read_u16 v6, v3 offset:256
	v_mov_b32_e32 v5, 0
	s_waitcnt lgkmcnt(1)
	v_add_u32_e32 v4, v4, v2
	v_lshl_add_u64 v[4:5], v[4:5], 1, s[98:99]
	s_waitcnt lgkmcnt(0)
	global_store_short v[4:5], v6, off
	s_or_b64 exec, exec, s[4:5]
	s_and_saveexec_b64 s[4:5], s[50:51]
	s_cbranch_execnz .LBB1679_264
.LBB1679_243:
	s_or_b64 exec, exec, s[4:5]
	s_and_saveexec_b64 s[4:5], s[52:53]
	s_cbranch_execz .LBB1679_265
.LBB1679_244:
	v_lshlrev_b32_e32 v2, 2, v25
	ds_read_b32 v2, v2
	s_waitcnt vmcnt(0)
	ds_read_u16 v6, v3 offset:2304
	v_mov_b32_e32 v5, 0
	s_waitcnt lgkmcnt(1)
	v_add_u32_e32 v4, v2, v12
	v_lshl_add_u64 v[4:5], v[4:5], 1, s[98:99]
	s_waitcnt lgkmcnt(0)
	global_store_short v[4:5], v6, off
	s_or_b64 exec, exec, s[4:5]
	s_and_saveexec_b64 s[4:5], s[54:55]
	s_cbranch_execnz .LBB1679_266
.LBB1679_245:
	s_or_b64 exec, exec, s[4:5]
	s_and_saveexec_b64 s[4:5], s[56:57]
	s_cbranch_execz .LBB1679_267
.LBB1679_246:
	v_lshlrev_b32_e32 v2, 2, v30
	ds_read_b32 v2, v2
	s_waitcnt vmcnt(0)
	ds_read_u16 v6, v3 offset:4352
	v_mov_b32_e32 v5, 0
	s_waitcnt lgkmcnt(1)
	v_add_u32_e32 v4, v2, v27
	v_lshl_add_u64 v[4:5], v[4:5], 1, s[98:99]
	s_waitcnt lgkmcnt(0)
	global_store_short v[4:5], v6, off
	s_or_b64 exec, exec, s[4:5]
	s_and_saveexec_b64 s[4:5], s[58:59]
	s_cbranch_execnz .LBB1679_268
.LBB1679_247:
	s_or_b64 exec, exec, s[4:5]
	s_and_saveexec_b64 s[4:5], s[60:61]
	s_cbranch_execz .LBB1679_269
.LBB1679_248:
	v_lshlrev_b32_e32 v2, 2, v64
	ds_read_b32 v2, v2
	s_waitcnt vmcnt(0)
	ds_read_u16 v6, v3 offset:6400
	v_mov_b32_e32 v5, 0
	s_waitcnt lgkmcnt(1)
	v_add_u32_e32 v4, v2, v31
	v_lshl_add_u64 v[4:5], v[4:5], 1, s[98:99]
	s_waitcnt lgkmcnt(0)
	global_store_short v[4:5], v6, off
	s_or_b64 exec, exec, s[4:5]
	s_and_saveexec_b64 s[4:5], s[62:63]
	s_cbranch_execnz .LBB1679_270
.LBB1679_249:
	s_or_b64 exec, exec, s[4:5]
	s_and_saveexec_b64 s[4:5], s[64:65]
	s_cbranch_execz .LBB1679_271
.LBB1679_250:
	v_lshlrev_b32_e32 v2, 2, v73
	ds_read_b32 v2, v2
	s_waitcnt vmcnt(0)
	ds_read_u16 v6, v3 offset:8448
	v_mov_b32_e32 v5, 0
	s_waitcnt lgkmcnt(1)
	v_add_u32_e32 v4, v2, v67
	v_lshl_add_u64 v[4:5], v[4:5], 1, s[98:99]
	s_waitcnt lgkmcnt(0)
	global_store_short v[4:5], v6, off
	s_or_b64 exec, exec, s[4:5]
	s_and_saveexec_b64 s[4:5], s[66:67]
	s_cbranch_execnz .LBB1679_272
.LBB1679_251:
	s_or_b64 exec, exec, s[4:5]
	s_and_saveexec_b64 s[4:5], s[68:69]
	s_cbranch_execz .LBB1679_273
.LBB1679_252:
	v_lshlrev_b32_e32 v2, 2, v78
	ds_read_b32 v2, v2
	s_waitcnt vmcnt(0)
	ds_read_u16 v6, v3 offset:10496
	v_mov_b32_e32 v5, 0
	s_waitcnt lgkmcnt(1)
	v_add_u32_e32 v4, v2, v75
	v_lshl_add_u64 v[4:5], v[4:5], 1, s[98:99]
	s_waitcnt lgkmcnt(0)
	global_store_short v[4:5], v6, off
	s_or_b64 exec, exec, s[4:5]
	s_and_saveexec_b64 s[4:5], s[70:71]
	s_cbranch_execnz .LBB1679_274
.LBB1679_253:
	s_or_b64 exec, exec, s[4:5]
	s_and_saveexec_b64 s[4:5], s[72:73]
	s_cbranch_execz .LBB1679_275
.LBB1679_254:
	v_lshlrev_b32_e32 v2, 2, v82
	ds_read_b32 v2, v2
	s_waitcnt vmcnt(0)
	ds_read_u16 v6, v3 offset:12544
	v_mov_b32_e32 v5, 0
	s_waitcnt lgkmcnt(1)
	v_add_u32_e32 v4, v2, v79
	v_lshl_add_u64 v[4:5], v[4:5], 1, s[98:99]
	s_waitcnt lgkmcnt(0)
	global_store_short v[4:5], v6, off
	s_or_b64 exec, exec, s[4:5]
	s_and_saveexec_b64 s[4:5], s[74:75]
	s_cbranch_execnz .LBB1679_276
.LBB1679_255:
	s_or_b64 exec, exec, s[4:5]
	s_and_saveexec_b64 s[4:5], s[76:77]
	s_cbranch_execz .LBB1679_277
.LBB1679_256:
	v_lshlrev_b32_e32 v2, 2, v86
	ds_read_b32 v2, v2
	s_waitcnt vmcnt(0)
	ds_read_u16 v6, v3 offset:14592
	v_mov_b32_e32 v5, 0
	s_waitcnt lgkmcnt(1)
	v_add_u32_e32 v4, v2, v83
	v_lshl_add_u64 v[4:5], v[4:5], 1, s[98:99]
	s_waitcnt lgkmcnt(0)
	global_store_short v[4:5], v6, off
	s_or_b64 exec, exec, s[4:5]
	s_and_saveexec_b64 s[4:5], s[78:79]
	s_cbranch_execnz .LBB1679_278
.LBB1679_257:
	s_or_b64 exec, exec, s[4:5]
	s_and_saveexec_b64 s[4:5], s[80:81]
	s_cbranch_execz .LBB1679_279
.LBB1679_258:
	v_lshlrev_b32_e32 v2, 2, v90
	ds_read_b32 v2, v2
	s_waitcnt vmcnt(0)
	ds_read_u16 v6, v3 offset:16640
	v_mov_b32_e32 v5, 0
	s_waitcnt lgkmcnt(1)
	v_add_u32_e32 v4, v2, v87
	v_lshl_add_u64 v[4:5], v[4:5], 1, s[98:99]
	s_waitcnt lgkmcnt(0)
	global_store_short v[4:5], v6, off
	s_or_b64 exec, exec, s[4:5]
	s_and_saveexec_b64 s[4:5], s[82:83]
	s_cbranch_execnz .LBB1679_280
.LBB1679_259:
	s_or_b64 exec, exec, s[4:5]
	s_and_saveexec_b64 s[4:5], s[84:85]
	s_cbranch_execz .LBB1679_281
.LBB1679_260:
	v_lshlrev_b32_e32 v2, 2, v94
	ds_read_b32 v2, v2
	s_waitcnt vmcnt(0)
	ds_read_u16 v6, v3 offset:18688
	v_mov_b32_e32 v5, 0
	s_waitcnt lgkmcnt(1)
	v_add_u32_e32 v4, v2, v91
	v_lshl_add_u64 v[4:5], v[4:5], 1, s[98:99]
	s_waitcnt lgkmcnt(0)
	global_store_short v[4:5], v6, off
	s_or_b64 exec, exec, s[4:5]
	s_and_saveexec_b64 s[4:5], s[86:87]
	s_cbranch_execnz .LBB1679_282
.LBB1679_261:
	s_or_b64 exec, exec, s[4:5]
	s_and_saveexec_b64 s[4:5], s[88:89]
	s_cbranch_execz .LBB1679_283
.LBB1679_262:
	v_lshlrev_b32_e32 v2, 2, v97
	ds_read_b32 v2, v2
	s_waitcnt vmcnt(0)
	ds_read_u16 v6, v3 offset:20736
	v_mov_b32_e32 v5, 0
	s_waitcnt lgkmcnt(1)
	v_add_u32_e32 v4, v2, v95
	v_lshl_add_u64 v[4:5], v[4:5], 1, s[98:99]
	s_waitcnt lgkmcnt(0)
	global_store_short v[4:5], v6, off
	s_or_b64 exec, exec, s[4:5]
	s_and_saveexec_b64 s[4:5], s[90:91]
	s_cbranch_execnz .LBB1679_284
	s_branch .LBB1679_285
.LBB1679_263:
	s_or_b64 exec, exec, s[4:5]
	s_and_saveexec_b64 s[4:5], s[50:51]
	s_cbranch_execz .LBB1679_243
.LBB1679_264:
	v_lshlrev_b32_e32 v2, 2, v8
	ds_read_b32 v2, v2
	s_waitcnt vmcnt(0)
	ds_read_u16 v6, v3 offset:1280
	v_mov_b32_e32 v5, 0
	s_waitcnt lgkmcnt(1)
	v_add_u32_e32 v4, v2, v9
	v_lshl_add_u64 v[4:5], v[4:5], 1, s[98:99]
	s_waitcnt lgkmcnt(0)
	global_store_short v[4:5], v6, off
	s_or_b64 exec, exec, s[4:5]
	s_and_saveexec_b64 s[4:5], s[52:53]
	s_cbranch_execnz .LBB1679_244
.LBB1679_265:
	s_or_b64 exec, exec, s[4:5]
	s_and_saveexec_b64 s[4:5], s[54:55]
	s_cbranch_execz .LBB1679_245
.LBB1679_266:
	v_lshlrev_b32_e32 v2, 2, v11
	ds_read_b32 v2, v2
	s_waitcnt vmcnt(0)
	ds_read_u16 v6, v3 offset:3328
	v_mov_b32_e32 v5, 0
	s_waitcnt lgkmcnt(1)
	v_add_u32_e32 v4, v2, v13
	v_lshl_add_u64 v[4:5], v[4:5], 1, s[98:99]
	s_waitcnt lgkmcnt(0)
	global_store_short v[4:5], v6, off
	s_or_b64 exec, exec, s[4:5]
	s_and_saveexec_b64 s[4:5], s[56:57]
	s_cbranch_execnz .LBB1679_246
.LBB1679_267:
	s_or_b64 exec, exec, s[4:5]
	s_and_saveexec_b64 s[4:5], s[58:59]
	s_cbranch_execz .LBB1679_247
.LBB1679_268:
	v_lshlrev_b32_e32 v2, 2, v26
	ds_read_b32 v2, v2
	s_waitcnt vmcnt(0)
	ds_read_u16 v6, v3 offset:5376
	v_mov_b32_e32 v5, 0
	s_waitcnt lgkmcnt(1)
	v_add_u32_e32 v4, v2, v29
	v_lshl_add_u64 v[4:5], v[4:5], 1, s[98:99]
	s_waitcnt lgkmcnt(0)
	global_store_short v[4:5], v6, off
	s_or_b64 exec, exec, s[4:5]
	s_and_saveexec_b64 s[4:5], s[60:61]
	s_cbranch_execnz .LBB1679_248
.LBB1679_269:
	s_or_b64 exec, exec, s[4:5]
	s_and_saveexec_b64 s[4:5], s[62:63]
	s_cbranch_execz .LBB1679_249
.LBB1679_270:
	v_lshlrev_b32_e32 v2, 2, v28
	ds_read_b32 v2, v2
	s_waitcnt vmcnt(0)
	ds_read_u16 v6, v3 offset:7424
	v_mov_b32_e32 v5, 0
	s_waitcnt lgkmcnt(1)
	v_add_u32_e32 v4, v2, v63
	v_lshl_add_u64 v[4:5], v[4:5], 1, s[98:99]
	s_waitcnt lgkmcnt(0)
	global_store_short v[4:5], v6, off
	s_or_b64 exec, exec, s[4:5]
	s_and_saveexec_b64 s[4:5], s[64:65]
	s_cbranch_execnz .LBB1679_250
.LBB1679_271:
	s_or_b64 exec, exec, s[4:5]
	s_and_saveexec_b64 s[4:5], s[66:67]
	s_cbranch_execz .LBB1679_251
.LBB1679_272:
	v_lshlrev_b32_e32 v2, 2, v32
	ds_read_b32 v2, v2
	s_waitcnt vmcnt(0)
	ds_read_u16 v6, v3 offset:9472
	v_mov_b32_e32 v5, 0
	s_waitcnt lgkmcnt(1)
	v_add_u32_e32 v4, v2, v72
	v_lshl_add_u64 v[4:5], v[4:5], 1, s[98:99]
	s_waitcnt lgkmcnt(0)
	global_store_short v[4:5], v6, off
	s_or_b64 exec, exec, s[4:5]
	s_and_saveexec_b64 s[4:5], s[68:69]
	s_cbranch_execnz .LBB1679_252
.LBB1679_273:
	s_or_b64 exec, exec, s[4:5]
	s_and_saveexec_b64 s[4:5], s[70:71]
	s_cbranch_execz .LBB1679_253
.LBB1679_274:
	v_lshlrev_b32_e32 v2, 2, v70
	ds_read_b32 v2, v2
	s_waitcnt vmcnt(0)
	ds_read_u16 v6, v3 offset:11520
	v_mov_b32_e32 v5, 0
	s_waitcnt lgkmcnt(1)
	v_add_u32_e32 v4, v2, v77
	v_lshl_add_u64 v[4:5], v[4:5], 1, s[98:99]
	s_waitcnt lgkmcnt(0)
	global_store_short v[4:5], v6, off
	s_or_b64 exec, exec, s[4:5]
	s_and_saveexec_b64 s[4:5], s[72:73]
	s_cbranch_execnz .LBB1679_254
.LBB1679_275:
	s_or_b64 exec, exec, s[4:5]
	s_and_saveexec_b64 s[4:5], s[74:75]
	s_cbranch_execz .LBB1679_255
.LBB1679_276:
	v_lshlrev_b32_e32 v2, 2, v76
	ds_read_b32 v2, v2
	s_waitcnt vmcnt(0)
	ds_read_u16 v6, v3 offset:13568
	v_mov_b32_e32 v5, 0
	s_waitcnt lgkmcnt(1)
	v_add_u32_e32 v4, v2, v81
	v_lshl_add_u64 v[4:5], v[4:5], 1, s[98:99]
	s_waitcnt lgkmcnt(0)
	global_store_short v[4:5], v6, off
	s_or_b64 exec, exec, s[4:5]
	s_and_saveexec_b64 s[4:5], s[76:77]
	s_cbranch_execnz .LBB1679_256
.LBB1679_277:
	s_or_b64 exec, exec, s[4:5]
	s_and_saveexec_b64 s[4:5], s[78:79]
	s_cbranch_execz .LBB1679_257
.LBB1679_278:
	v_lshlrev_b32_e32 v2, 2, v80
	ds_read_b32 v2, v2
	s_waitcnt vmcnt(0)
	ds_read_u16 v6, v3 offset:15616
	v_mov_b32_e32 v5, 0
	s_waitcnt lgkmcnt(1)
	v_add_u32_e32 v4, v2, v85
	v_lshl_add_u64 v[4:5], v[4:5], 1, s[98:99]
	s_waitcnt lgkmcnt(0)
	global_store_short v[4:5], v6, off
	s_or_b64 exec, exec, s[4:5]
	s_and_saveexec_b64 s[4:5], s[80:81]
	s_cbranch_execnz .LBB1679_258
.LBB1679_279:
	s_or_b64 exec, exec, s[4:5]
	s_and_saveexec_b64 s[4:5], s[82:83]
	s_cbranch_execz .LBB1679_259
.LBB1679_280:
	v_lshlrev_b32_e32 v2, 2, v84
	ds_read_b32 v2, v2
	s_waitcnt vmcnt(0)
	ds_read_u16 v6, v3 offset:17664
	v_mov_b32_e32 v5, 0
	s_waitcnt lgkmcnt(1)
	v_add_u32_e32 v4, v2, v89
	v_lshl_add_u64 v[4:5], v[4:5], 1, s[98:99]
	s_waitcnt lgkmcnt(0)
	global_store_short v[4:5], v6, off
	s_or_b64 exec, exec, s[4:5]
	s_and_saveexec_b64 s[4:5], s[84:85]
	s_cbranch_execnz .LBB1679_260
.LBB1679_281:
	s_or_b64 exec, exec, s[4:5]
	s_and_saveexec_b64 s[4:5], s[86:87]
	s_cbranch_execz .LBB1679_261
.LBB1679_282:
	v_lshlrev_b32_e32 v2, 2, v88
	ds_read_b32 v2, v2
	s_waitcnt vmcnt(0)
	ds_read_u16 v6, v3 offset:19712
	v_mov_b32_e32 v5, 0
	s_waitcnt lgkmcnt(1)
	v_add_u32_e32 v4, v2, v93
	v_lshl_add_u64 v[4:5], v[4:5], 1, s[98:99]
	s_waitcnt lgkmcnt(0)
	global_store_short v[4:5], v6, off
	s_or_b64 exec, exec, s[4:5]
	s_and_saveexec_b64 s[4:5], s[88:89]
	s_cbranch_execnz .LBB1679_262
.LBB1679_283:
	s_or_b64 exec, exec, s[4:5]
	s_and_saveexec_b64 s[4:5], s[90:91]
	s_cbranch_execz .LBB1679_285
.LBB1679_284:
	v_lshlrev_b32_e32 v2, 2, v92
	ds_read_b32 v2, v2
	ds_read_u16 v4, v3 offset:21760
	v_mov_b32_e32 v3, 0
	s_waitcnt lgkmcnt(1)
	v_add_u32_e32 v2, v2, v96
	v_lshl_add_u64 v[2:3], v[2:3], 1, s[98:99]
	s_waitcnt lgkmcnt(0)
	global_store_short v[2:3], v4, off
.LBB1679_285:
	s_or_b64 exec, exec, s[4:5]
	s_add_i32 s3, s3, -1
	s_cmp_eq_u32 s2, s3
	s_cselect_b64 s[4:5], -1, 0
	s_xor_b64 s[10:11], s[46:47], -1
	s_and_b64 s[10:11], s[10:11], s[4:5]
	s_and_saveexec_b64 s[4:5], s[10:11]
	s_cbranch_execz .LBB1679_287
; %bb.286:
	ds_read_b32 v2, v21
	s_load_dwordx4 s[16:19], s[0:1], 0x28
	s_waitcnt lgkmcnt(0)
	v_add3_u32 v2, v15, v33, v2
	global_store_dword v21, v2, s[18:19]
.LBB1679_287:
	s_or_b64 exec, exec, s[4:5]
	s_mov_b64 s[4:5], 0
.LBB1679_288:
	s_and_b64 vcc, exec, s[4:5]
	s_cbranch_vccz .LBB1679_379
; %bb.289:
	s_mov_b32 s7, 0
	s_lshl_b64 s[10:11], s[6:7], 1
	v_mbcnt_hi_u32_b32 v3, -1, v1
	s_add_u32 s4, s92, s10
	v_and_b32_e32 v2, 63, v3
	v_and_b32_e32 v10, 0x1c0, v0
	v_mov_b32_e32 v1, 0
	s_addc_u32 s5, s93, s11
	s_waitcnt vmcnt(0)
	v_mul_u32_u24_e32 v6, 22, v10
	v_lshlrev_b32_e32 v4, 1, v2
	v_mov_b32_e32 v5, v1
	v_lshl_add_u64 v[8:9], s[4:5], 0, v[4:5]
	v_lshlrev_b32_e32 v6, 1, v6
	v_mov_b32_e32 v7, v1
	v_lshl_add_u64 v[8:9], v[8:9], 0, v[6:7]
	s_load_dword s3, s[0:1], 0x58
	s_load_dword s4, s[0:1], 0x64
	global_load_ushort v5, v[8:9], off
	s_add_u32 s0, s0, 0x58
	s_addc_u32 s1, s1, 0
	v_and_b32_e32 v2, 0x3ff, v0
	s_waitcnt lgkmcnt(0)
	s_lshr_b32 s4, s4, 16
	s_cmp_lt_u32 s2, s3
	s_cselect_b32 s5, 12, 18
	s_add_u32 s0, s0, s5
	s_addc_u32 s1, s1, 0
	global_load_ushort v14, v1, s[0:1]
	global_load_ushort v11, v[8:9], off offset:128
	global_load_ushort v15, v[8:9], off offset:256
	;; [unrolled: 1-line block ×14, first 2 shown]
                                        ; kill: killed $sgpr0 killed $sgpr1
	global_load_ushort v50, v[8:9], off offset:1920
	global_load_ushort v45, v[8:9], off offset:2048
	;; [unrolled: 1-line block ×7, first 2 shown]
	v_bfe_u32 v9, v0, 10, 10
	v_bfe_u32 v13, v0, 20, 10
	v_lshlrev_b32_e32 v7, 3, v2
	v_mov_b32_e32 v0, v1
	ds_write_b64 v7, v[0:1] offset:32
	s_lshl_b32 s0, -1, s9
	v_mad_u32_u24 v18, v13, s4, v9
	v_mov_b32_e32 v8, v1
	v_mov_b32_e32 v12, v1
	s_not_b32 s9, s0
	v_mov_b32_e32 v16, v1
	s_waitcnt lgkmcnt(0)
	s_barrier
	s_waitcnt vmcnt(22)
	; wave barrier
	v_xor_b32_e32 v5, 0xffff8000, v5
	v_lshrrev_b32_sdwa v0, s8, v5 dst_sel:DWORD dst_unused:UNUSED_PAD src0_sel:DWORD src1_sel:WORD_0
	v_bitop3_b32 v21, v0, s0, v0 bitop3:0x30
	v_and_b32_e32 v0, 1, v21
	v_lshlrev_b32_e32 v9, 30, v21
	v_lshlrev_b32_e32 v13, 29, v21
	s_waitcnt vmcnt(21)
	v_mad_u64_u32 v[22:23], s[0:1], v18, v14, v[2:3]
	v_lshl_add_u64 v[28:29], v[0:1], 0, -1
	v_cmp_ne_u32_e32 vcc, 0, v0
	v_not_b32_e32 v0, v9
	v_cmp_gt_i64_e64 s[0:1], 0, v[8:9]
	v_cmp_gt_i64_e64 s[4:5], 0, v[12:13]
	v_not_b32_e32 v8, v13
	v_lshrrev_b32_e32 v9, 6, v22
	v_xor_b32_e32 v12, vcc_hi, v29
	v_xor_b32_e32 v13, vcc_lo, v28
	v_ashrrev_i32_e32 v0, 31, v0
	v_lshlrev_b32_e32 v17, 28, v21
	v_ashrrev_i32_e32 v8, 31, v8
	v_lshlrev_b32_e32 v24, 2, v9
	v_and_b32_e32 v9, exec_hi, v12
	v_and_b32_e32 v12, exec_lo, v13
	v_xor_b32_e32 v13, s1, v0
	v_xor_b32_e32 v0, s0, v0
	v_cmp_gt_i64_e64 s[6:7], 0, v[16:17]
	v_xor_b32_e32 v16, s5, v8
	v_xor_b32_e32 v8, s4, v8
	v_and_b32_e32 v0, v12, v0
	v_and_b32_e32 v0, v0, v8
	v_not_b32_e32 v8, v17
	v_and_b32_e32 v9, v9, v13
	v_ashrrev_i32_e32 v8, 31, v8
	v_and_b32_e32 v9, v9, v16
	v_xor_b32_e32 v12, s7, v8
	v_xor_b32_e32 v8, s6, v8
	v_and_b32_e32 v12, v9, v12
	v_and_b32_e32 v0, v0, v8
	v_lshlrev_b32_e32 v9, 27, v21
	v_mov_b32_e32 v8, v1
	v_cmp_gt_i64_e32 vcc, 0, v[8:9]
	v_not_b32_e32 v8, v9
	v_ashrrev_i32_e32 v8, 31, v8
	v_xor_b32_e32 v9, vcc_hi, v8
	v_xor_b32_e32 v8, vcc_lo, v8
	v_and_b32_e32 v12, v12, v9
	v_and_b32_e32 v0, v0, v8
	v_lshlrev_b32_e32 v9, 26, v21
	v_mov_b32_e32 v8, v1
	v_cmp_gt_i64_e32 vcc, 0, v[8:9]
	v_not_b32_e32 v8, v9
	v_ashrrev_i32_e32 v8, 31, v8
	v_xor_b32_e32 v9, vcc_hi, v8
	v_xor_b32_e32 v8, vcc_lo, v8
	v_and_b32_e32 v8, v0, v8
	v_and_b32_e32 v9, v12, v9
	v_mbcnt_lo_u32_b32 v0, v8, 0
	v_mbcnt_hi_u32_b32 v12, v9, v0
	v_cmp_eq_u32_e32 vcc, 0, v12
	v_cmp_ne_u64_e64 s[0:1], 0, v[8:9]
	v_mad_u32_u24 v14, v21, 36, v24
	s_and_b64 s[4:5], s[0:1], vcc
	s_and_saveexec_b64 s[0:1], s[4:5]
; %bb.290:
	v_bcnt_u32_b32 v0, v8, 0
	v_bcnt_u32_b32 v0, v9, v0
	ds_write_b32 v14, v0 offset:32
; %bb.291:
	s_or_b64 exec, exec, s[0:1]
	s_waitcnt vmcnt(20)
	v_xor_b32_e32 v11, 0xffff8000, v11
	v_lshrrev_b32_sdwa v0, s8, v11 dst_sel:DWORD dst_unused:UNUSED_PAD src0_sel:DWORD src1_sel:WORD_0
	v_and_b32_e32 v17, s9, v0
	v_and_b32_e32 v0, 1, v17
	v_lshl_add_u64 v[8:9], v[0:1], 0, -1
	v_cmp_ne_u32_e32 vcc, 0, v0
	v_mad_u32_u24 v16, v17, 36, v24
	s_nop 0
	v_xor_b32_e32 v8, vcc_lo, v8
	v_xor_b32_e32 v0, vcc_hi, v9
	v_and_b32_e32 v18, exec_lo, v8
	v_lshlrev_b32_e32 v9, 30, v17
	v_mov_b32_e32 v8, v1
	v_cmp_gt_i64_e32 vcc, 0, v[8:9]
	v_not_b32_e32 v8, v9
	v_ashrrev_i32_e32 v8, 31, v8
	v_and_b32_e32 v0, exec_hi, v0
	v_xor_b32_e32 v9, vcc_hi, v8
	v_xor_b32_e32 v8, vcc_lo, v8
	v_and_b32_e32 v0, v0, v9
	v_and_b32_e32 v18, v18, v8
	v_lshlrev_b32_e32 v9, 29, v17
	v_mov_b32_e32 v8, v1
	v_cmp_gt_i64_e32 vcc, 0, v[8:9]
	v_not_b32_e32 v8, v9
	v_ashrrev_i32_e32 v8, 31, v8
	v_xor_b32_e32 v9, vcc_hi, v8
	v_xor_b32_e32 v8, vcc_lo, v8
	v_and_b32_e32 v0, v0, v9
	v_and_b32_e32 v18, v18, v8
	v_lshlrev_b32_e32 v9, 28, v17
	v_mov_b32_e32 v8, v1
	v_cmp_gt_i64_e32 vcc, 0, v[8:9]
	v_not_b32_e32 v8, v9
	v_ashrrev_i32_e32 v8, 31, v8
	;; [unrolled: 9-line block ×3, first 2 shown]
	v_xor_b32_e32 v9, vcc_hi, v8
	v_xor_b32_e32 v8, vcc_lo, v8
	v_and_b32_e32 v0, v0, v9
	v_lshlrev_b32_e32 v9, 26, v17
	v_and_b32_e32 v18, v18, v8
	v_mov_b32_e32 v8, v1
	v_not_b32_e32 v1, v9
	v_cmp_gt_i64_e32 vcc, 0, v[8:9]
	v_ashrrev_i32_e32 v1, 31, v1
	; wave barrier
	s_nop 0
	v_xor_b32_e32 v8, vcc_hi, v1
	v_xor_b32_e32 v9, vcc_lo, v1
	ds_read_b32 v13, v16 offset:32
	v_and_b32_e32 v1, v0, v8
	v_and_b32_e32 v0, v18, v9
	v_mbcnt_lo_u32_b32 v8, v0, 0
	v_mbcnt_hi_u32_b32 v17, v1, v8
	v_cmp_eq_u32_e32 vcc, 0, v17
	v_cmp_ne_u64_e64 s[0:1], 0, v[0:1]
	s_and_b64 s[4:5], s[0:1], vcc
	; wave barrier
	s_and_saveexec_b64 s[0:1], s[4:5]
	s_cbranch_execz .LBB1679_293
; %bb.292:
	v_bcnt_u32_b32 v0, v0, 0
	v_bcnt_u32_b32 v0, v1, v0
	s_waitcnt lgkmcnt(0)
	v_add_u32_e32 v0, v13, v0
	ds_write_b32 v16, v0 offset:32
.LBB1679_293:
	s_or_b64 exec, exec, s[0:1]
	s_waitcnt vmcnt(19)
	v_xor_b32_e32 v15, 0xffff8000, v15
	v_lshrrev_b32_sdwa v0, s8, v15 dst_sel:DWORD dst_unused:UNUSED_PAD src0_sel:DWORD src1_sel:WORD_0
	v_and_b32_e32 v22, s9, v0
	v_and_b32_e32 v0, 1, v22
	v_mov_b32_e32 v1, 0
	v_lshl_add_u64 v[8:9], v[0:1], 0, -1
	v_cmp_ne_u32_e32 vcc, 0, v0
	v_mad_u32_u24 v21, v22, 36, v24
	s_nop 0
	v_xor_b32_e32 v8, vcc_lo, v8
	v_xor_b32_e32 v0, vcc_hi, v9
	v_and_b32_e32 v23, exec_lo, v8
	v_lshlrev_b32_e32 v9, 30, v22
	v_mov_b32_e32 v8, v1
	v_cmp_gt_i64_e32 vcc, 0, v[8:9]
	v_not_b32_e32 v8, v9
	v_ashrrev_i32_e32 v8, 31, v8
	v_and_b32_e32 v0, exec_hi, v0
	v_xor_b32_e32 v9, vcc_hi, v8
	v_xor_b32_e32 v8, vcc_lo, v8
	v_and_b32_e32 v0, v0, v9
	v_and_b32_e32 v23, v23, v8
	v_lshlrev_b32_e32 v9, 29, v22
	v_mov_b32_e32 v8, v1
	v_cmp_gt_i64_e32 vcc, 0, v[8:9]
	v_not_b32_e32 v8, v9
	v_ashrrev_i32_e32 v8, 31, v8
	v_xor_b32_e32 v9, vcc_hi, v8
	v_xor_b32_e32 v8, vcc_lo, v8
	v_and_b32_e32 v0, v0, v9
	v_and_b32_e32 v23, v23, v8
	v_lshlrev_b32_e32 v9, 28, v22
	v_mov_b32_e32 v8, v1
	v_cmp_gt_i64_e32 vcc, 0, v[8:9]
	v_not_b32_e32 v8, v9
	v_ashrrev_i32_e32 v8, 31, v8
	v_xor_b32_e32 v9, vcc_hi, v8
	v_xor_b32_e32 v8, vcc_lo, v8
	v_and_b32_e32 v0, v0, v9
	v_and_b32_e32 v23, v23, v8
	v_lshlrev_b32_e32 v9, 27, v22
	v_mov_b32_e32 v8, v1
	v_cmp_gt_i64_e32 vcc, 0, v[8:9]
	v_not_b32_e32 v8, v9
	v_ashrrev_i32_e32 v8, 31, v8
	v_xor_b32_e32 v9, vcc_hi, v8
	v_xor_b32_e32 v8, vcc_lo, v8
	v_and_b32_e32 v0, v0, v9
	v_and_b32_e32 v23, v23, v8
	v_lshlrev_b32_e32 v9, 26, v22
	v_mov_b32_e32 v8, v1
	v_cmp_gt_i64_e32 vcc, 0, v[8:9]
	v_not_b32_e32 v8, v9
	v_ashrrev_i32_e32 v8, 31, v8
	v_xor_b32_e32 v9, vcc_hi, v8
	v_xor_b32_e32 v8, vcc_lo, v8
	; wave barrier
	ds_read_b32 v18, v21 offset:32
	v_and_b32_e32 v8, v23, v8
	v_and_b32_e32 v9, v0, v9
	v_mbcnt_lo_u32_b32 v0, v8, 0
	v_mbcnt_hi_u32_b32 v22, v9, v0
	v_cmp_eq_u32_e32 vcc, 0, v22
	v_cmp_ne_u64_e64 s[0:1], 0, v[8:9]
	s_and_b64 s[4:5], s[0:1], vcc
	; wave barrier
	s_and_saveexec_b64 s[0:1], s[4:5]
	s_cbranch_execz .LBB1679_295
; %bb.294:
	v_bcnt_u32_b32 v0, v8, 0
	v_bcnt_u32_b32 v0, v9, v0
	s_waitcnt lgkmcnt(0)
	v_add_u32_e32 v0, v18, v0
	ds_write_b32 v21, v0 offset:32
.LBB1679_295:
	s_or_b64 exec, exec, s[0:1]
	s_waitcnt vmcnt(18)
	v_xor_b32_e32 v20, 0xffff8000, v20
	v_lshrrev_b32_sdwa v0, s8, v20 dst_sel:DWORD dst_unused:UNUSED_PAD src0_sel:DWORD src1_sel:WORD_0
	v_and_b32_e32 v28, s9, v0
	v_and_b32_e32 v0, 1, v28
	v_lshl_add_u64 v[8:9], v[0:1], 0, -1
	v_cmp_ne_u32_e32 vcc, 0, v0
	v_mad_u32_u24 v27, v28, 36, v24
	s_nop 0
	v_xor_b32_e32 v8, vcc_lo, v8
	v_xor_b32_e32 v0, vcc_hi, v9
	v_and_b32_e32 v29, exec_lo, v8
	v_lshlrev_b32_e32 v9, 30, v28
	v_mov_b32_e32 v8, v1
	v_cmp_gt_i64_e32 vcc, 0, v[8:9]
	v_not_b32_e32 v8, v9
	v_ashrrev_i32_e32 v8, 31, v8
	v_and_b32_e32 v0, exec_hi, v0
	v_xor_b32_e32 v9, vcc_hi, v8
	v_xor_b32_e32 v8, vcc_lo, v8
	v_and_b32_e32 v0, v0, v9
	v_and_b32_e32 v29, v29, v8
	v_lshlrev_b32_e32 v9, 29, v28
	v_mov_b32_e32 v8, v1
	v_cmp_gt_i64_e32 vcc, 0, v[8:9]
	v_not_b32_e32 v8, v9
	v_ashrrev_i32_e32 v8, 31, v8
	v_xor_b32_e32 v9, vcc_hi, v8
	v_xor_b32_e32 v8, vcc_lo, v8
	v_and_b32_e32 v0, v0, v9
	v_and_b32_e32 v29, v29, v8
	v_lshlrev_b32_e32 v9, 28, v28
	v_mov_b32_e32 v8, v1
	v_cmp_gt_i64_e32 vcc, 0, v[8:9]
	v_not_b32_e32 v8, v9
	v_ashrrev_i32_e32 v8, 31, v8
	;; [unrolled: 9-line block ×3, first 2 shown]
	v_xor_b32_e32 v9, vcc_hi, v8
	v_xor_b32_e32 v8, vcc_lo, v8
	v_and_b32_e32 v0, v0, v9
	v_lshlrev_b32_e32 v9, 26, v28
	v_and_b32_e32 v29, v29, v8
	v_mov_b32_e32 v8, v1
	v_not_b32_e32 v1, v9
	v_cmp_gt_i64_e32 vcc, 0, v[8:9]
	v_ashrrev_i32_e32 v1, 31, v1
	; wave barrier
	s_nop 0
	v_xor_b32_e32 v8, vcc_hi, v1
	v_xor_b32_e32 v9, vcc_lo, v1
	ds_read_b32 v23, v27 offset:32
	v_and_b32_e32 v1, v0, v8
	v_and_b32_e32 v0, v29, v9
	v_mbcnt_lo_u32_b32 v8, v0, 0
	v_mbcnt_hi_u32_b32 v28, v1, v8
	v_cmp_eq_u32_e32 vcc, 0, v28
	v_cmp_ne_u64_e64 s[0:1], 0, v[0:1]
	s_and_b64 s[4:5], s[0:1], vcc
	; wave barrier
	s_and_saveexec_b64 s[0:1], s[4:5]
	s_cbranch_execz .LBB1679_297
; %bb.296:
	v_bcnt_u32_b32 v0, v0, 0
	v_bcnt_u32_b32 v0, v1, v0
	s_waitcnt lgkmcnt(0)
	v_add_u32_e32 v0, v23, v0
	ds_write_b32 v27, v0 offset:32
.LBB1679_297:
	s_or_b64 exec, exec, s[0:1]
	s_waitcnt vmcnt(17)
	v_xor_b32_e32 v26, 0xffff8000, v26
	v_lshrrev_b32_sdwa v0, s8, v26 dst_sel:DWORD dst_unused:UNUSED_PAD src0_sel:DWORD src1_sel:WORD_0
	v_and_b32_e32 v33, s9, v0
	v_and_b32_e32 v0, 1, v33
	v_mov_b32_e32 v1, 0
	v_lshl_add_u64 v[8:9], v[0:1], 0, -1
	v_cmp_ne_u32_e32 vcc, 0, v0
	v_mad_u32_u24 v32, v33, 36, v24
	s_nop 0
	v_xor_b32_e32 v8, vcc_lo, v8
	v_xor_b32_e32 v0, vcc_hi, v9
	v_and_b32_e32 v34, exec_lo, v8
	v_lshlrev_b32_e32 v9, 30, v33
	v_mov_b32_e32 v8, v1
	v_cmp_gt_i64_e32 vcc, 0, v[8:9]
	v_not_b32_e32 v8, v9
	v_ashrrev_i32_e32 v8, 31, v8
	v_and_b32_e32 v0, exec_hi, v0
	v_xor_b32_e32 v9, vcc_hi, v8
	v_xor_b32_e32 v8, vcc_lo, v8
	v_and_b32_e32 v0, v0, v9
	v_and_b32_e32 v34, v34, v8
	v_lshlrev_b32_e32 v9, 29, v33
	v_mov_b32_e32 v8, v1
	v_cmp_gt_i64_e32 vcc, 0, v[8:9]
	v_not_b32_e32 v8, v9
	v_ashrrev_i32_e32 v8, 31, v8
	v_xor_b32_e32 v9, vcc_hi, v8
	v_xor_b32_e32 v8, vcc_lo, v8
	v_and_b32_e32 v0, v0, v9
	v_and_b32_e32 v34, v34, v8
	v_lshlrev_b32_e32 v9, 28, v33
	v_mov_b32_e32 v8, v1
	v_cmp_gt_i64_e32 vcc, 0, v[8:9]
	v_not_b32_e32 v8, v9
	v_ashrrev_i32_e32 v8, 31, v8
	v_xor_b32_e32 v9, vcc_hi, v8
	v_xor_b32_e32 v8, vcc_lo, v8
	v_and_b32_e32 v0, v0, v9
	v_and_b32_e32 v34, v34, v8
	v_lshlrev_b32_e32 v9, 27, v33
	v_mov_b32_e32 v8, v1
	v_cmp_gt_i64_e32 vcc, 0, v[8:9]
	v_not_b32_e32 v8, v9
	v_ashrrev_i32_e32 v8, 31, v8
	v_xor_b32_e32 v9, vcc_hi, v8
	v_xor_b32_e32 v8, vcc_lo, v8
	v_and_b32_e32 v0, v0, v9
	v_and_b32_e32 v34, v34, v8
	v_lshlrev_b32_e32 v9, 26, v33
	v_mov_b32_e32 v8, v1
	v_cmp_gt_i64_e32 vcc, 0, v[8:9]
	v_not_b32_e32 v8, v9
	v_ashrrev_i32_e32 v8, 31, v8
	v_xor_b32_e32 v9, vcc_hi, v8
	v_xor_b32_e32 v8, vcc_lo, v8
	; wave barrier
	ds_read_b32 v29, v32 offset:32
	v_and_b32_e32 v8, v34, v8
	v_and_b32_e32 v9, v0, v9
	v_mbcnt_lo_u32_b32 v0, v8, 0
	v_mbcnt_hi_u32_b32 v33, v9, v0
	v_cmp_eq_u32_e32 vcc, 0, v33
	v_cmp_ne_u64_e64 s[0:1], 0, v[8:9]
	s_and_b64 s[4:5], s[0:1], vcc
	; wave barrier
	s_and_saveexec_b64 s[0:1], s[4:5]
	s_cbranch_execz .LBB1679_299
; %bb.298:
	v_bcnt_u32_b32 v0, v8, 0
	v_bcnt_u32_b32 v0, v9, v0
	s_waitcnt lgkmcnt(0)
	v_add_u32_e32 v0, v29, v0
	ds_write_b32 v32, v0 offset:32
.LBB1679_299:
	s_or_b64 exec, exec, s[0:1]
	s_waitcnt vmcnt(16)
	v_xor_b32_e32 v31, 0xffff8000, v31
	v_lshrrev_b32_sdwa v0, s8, v31 dst_sel:DWORD dst_unused:UNUSED_PAD src0_sel:DWORD src1_sel:WORD_0
	v_and_b32_e32 v38, s9, v0
	v_and_b32_e32 v0, 1, v38
	v_lshl_add_u64 v[8:9], v[0:1], 0, -1
	v_cmp_ne_u32_e32 vcc, 0, v0
	v_mad_u32_u24 v37, v38, 36, v24
	s_nop 0
	v_xor_b32_e32 v8, vcc_lo, v8
	v_xor_b32_e32 v0, vcc_hi, v9
	v_and_b32_e32 v39, exec_lo, v8
	v_lshlrev_b32_e32 v9, 30, v38
	v_mov_b32_e32 v8, v1
	v_cmp_gt_i64_e32 vcc, 0, v[8:9]
	v_not_b32_e32 v8, v9
	v_ashrrev_i32_e32 v8, 31, v8
	v_and_b32_e32 v0, exec_hi, v0
	v_xor_b32_e32 v9, vcc_hi, v8
	v_xor_b32_e32 v8, vcc_lo, v8
	v_and_b32_e32 v0, v0, v9
	v_and_b32_e32 v39, v39, v8
	v_lshlrev_b32_e32 v9, 29, v38
	v_mov_b32_e32 v8, v1
	v_cmp_gt_i64_e32 vcc, 0, v[8:9]
	v_not_b32_e32 v8, v9
	v_ashrrev_i32_e32 v8, 31, v8
	v_xor_b32_e32 v9, vcc_hi, v8
	v_xor_b32_e32 v8, vcc_lo, v8
	v_and_b32_e32 v0, v0, v9
	v_and_b32_e32 v39, v39, v8
	v_lshlrev_b32_e32 v9, 28, v38
	v_mov_b32_e32 v8, v1
	v_cmp_gt_i64_e32 vcc, 0, v[8:9]
	v_not_b32_e32 v8, v9
	v_ashrrev_i32_e32 v8, 31, v8
	;; [unrolled: 9-line block ×3, first 2 shown]
	v_xor_b32_e32 v9, vcc_hi, v8
	v_xor_b32_e32 v8, vcc_lo, v8
	v_and_b32_e32 v0, v0, v9
	v_lshlrev_b32_e32 v9, 26, v38
	v_and_b32_e32 v39, v39, v8
	v_mov_b32_e32 v8, v1
	v_not_b32_e32 v1, v9
	v_cmp_gt_i64_e32 vcc, 0, v[8:9]
	v_ashrrev_i32_e32 v1, 31, v1
	; wave barrier
	s_nop 0
	v_xor_b32_e32 v8, vcc_hi, v1
	v_xor_b32_e32 v9, vcc_lo, v1
	ds_read_b32 v34, v37 offset:32
	v_and_b32_e32 v1, v0, v8
	v_and_b32_e32 v0, v39, v9
	v_mbcnt_lo_u32_b32 v8, v0, 0
	v_mbcnt_hi_u32_b32 v38, v1, v8
	v_cmp_eq_u32_e32 vcc, 0, v38
	v_cmp_ne_u64_e64 s[0:1], 0, v[0:1]
	s_and_b64 s[4:5], s[0:1], vcc
	; wave barrier
	s_and_saveexec_b64 s[0:1], s[4:5]
	s_cbranch_execz .LBB1679_301
; %bb.300:
	v_bcnt_u32_b32 v0, v0, 0
	v_bcnt_u32_b32 v0, v1, v0
	s_waitcnt lgkmcnt(0)
	v_add_u32_e32 v0, v34, v0
	ds_write_b32 v37, v0 offset:32
.LBB1679_301:
	s_or_b64 exec, exec, s[0:1]
	s_waitcnt vmcnt(15)
	v_xor_b32_e32 v36, 0xffff8000, v36
	v_lshrrev_b32_sdwa v0, s8, v36 dst_sel:DWORD dst_unused:UNUSED_PAD src0_sel:DWORD src1_sel:WORD_0
	v_and_b32_e32 v43, s9, v0
	v_and_b32_e32 v0, 1, v43
	v_mov_b32_e32 v1, 0
	v_lshl_add_u64 v[8:9], v[0:1], 0, -1
	v_cmp_ne_u32_e32 vcc, 0, v0
	v_mad_u32_u24 v42, v43, 36, v24
	s_nop 0
	v_xor_b32_e32 v8, vcc_lo, v8
	v_xor_b32_e32 v0, vcc_hi, v9
	v_and_b32_e32 v44, exec_lo, v8
	v_lshlrev_b32_e32 v9, 30, v43
	v_mov_b32_e32 v8, v1
	v_cmp_gt_i64_e32 vcc, 0, v[8:9]
	v_not_b32_e32 v8, v9
	v_ashrrev_i32_e32 v8, 31, v8
	v_and_b32_e32 v0, exec_hi, v0
	v_xor_b32_e32 v9, vcc_hi, v8
	v_xor_b32_e32 v8, vcc_lo, v8
	v_and_b32_e32 v0, v0, v9
	v_and_b32_e32 v44, v44, v8
	v_lshlrev_b32_e32 v9, 29, v43
	v_mov_b32_e32 v8, v1
	v_cmp_gt_i64_e32 vcc, 0, v[8:9]
	v_not_b32_e32 v8, v9
	v_ashrrev_i32_e32 v8, 31, v8
	v_xor_b32_e32 v9, vcc_hi, v8
	v_xor_b32_e32 v8, vcc_lo, v8
	v_and_b32_e32 v0, v0, v9
	v_and_b32_e32 v44, v44, v8
	v_lshlrev_b32_e32 v9, 28, v43
	v_mov_b32_e32 v8, v1
	v_cmp_gt_i64_e32 vcc, 0, v[8:9]
	v_not_b32_e32 v8, v9
	v_ashrrev_i32_e32 v8, 31, v8
	;; [unrolled: 9-line block ×4, first 2 shown]
	v_xor_b32_e32 v9, vcc_hi, v8
	v_xor_b32_e32 v8, vcc_lo, v8
	; wave barrier
	ds_read_b32 v39, v42 offset:32
	v_and_b32_e32 v8, v44, v8
	v_and_b32_e32 v9, v0, v9
	v_mbcnt_lo_u32_b32 v0, v8, 0
	v_mbcnt_hi_u32_b32 v43, v9, v0
	v_cmp_eq_u32_e32 vcc, 0, v43
	v_cmp_ne_u64_e64 s[0:1], 0, v[8:9]
	s_and_b64 s[4:5], s[0:1], vcc
	; wave barrier
	s_and_saveexec_b64 s[0:1], s[4:5]
	s_cbranch_execz .LBB1679_303
; %bb.302:
	v_bcnt_u32_b32 v0, v8, 0
	v_bcnt_u32_b32 v0, v9, v0
	s_waitcnt lgkmcnt(0)
	v_add_u32_e32 v0, v39, v0
	ds_write_b32 v42, v0 offset:32
.LBB1679_303:
	s_or_b64 exec, exec, s[0:1]
	s_waitcnt vmcnt(14)
	v_xor_b32_e32 v41, 0xffff8000, v41
	v_lshrrev_b32_sdwa v0, s8, v41 dst_sel:DWORD dst_unused:UNUSED_PAD src0_sel:DWORD src1_sel:WORD_0
	v_and_b32_e32 v48, s9, v0
	v_and_b32_e32 v0, 1, v48
	v_lshl_add_u64 v[8:9], v[0:1], 0, -1
	v_cmp_ne_u32_e32 vcc, 0, v0
	v_mad_u32_u24 v47, v48, 36, v24
	s_nop 0
	v_xor_b32_e32 v8, vcc_lo, v8
	v_xor_b32_e32 v0, vcc_hi, v9
	v_and_b32_e32 v49, exec_lo, v8
	v_lshlrev_b32_e32 v9, 30, v48
	v_mov_b32_e32 v8, v1
	v_cmp_gt_i64_e32 vcc, 0, v[8:9]
	v_not_b32_e32 v8, v9
	v_ashrrev_i32_e32 v8, 31, v8
	v_and_b32_e32 v0, exec_hi, v0
	v_xor_b32_e32 v9, vcc_hi, v8
	v_xor_b32_e32 v8, vcc_lo, v8
	v_and_b32_e32 v0, v0, v9
	v_and_b32_e32 v49, v49, v8
	v_lshlrev_b32_e32 v9, 29, v48
	v_mov_b32_e32 v8, v1
	v_cmp_gt_i64_e32 vcc, 0, v[8:9]
	v_not_b32_e32 v8, v9
	v_ashrrev_i32_e32 v8, 31, v8
	v_xor_b32_e32 v9, vcc_hi, v8
	v_xor_b32_e32 v8, vcc_lo, v8
	v_and_b32_e32 v0, v0, v9
	v_and_b32_e32 v49, v49, v8
	v_lshlrev_b32_e32 v9, 28, v48
	v_mov_b32_e32 v8, v1
	v_cmp_gt_i64_e32 vcc, 0, v[8:9]
	v_not_b32_e32 v8, v9
	v_ashrrev_i32_e32 v8, 31, v8
	;; [unrolled: 9-line block ×3, first 2 shown]
	v_xor_b32_e32 v9, vcc_hi, v8
	v_xor_b32_e32 v8, vcc_lo, v8
	v_and_b32_e32 v0, v0, v9
	v_lshlrev_b32_e32 v9, 26, v48
	v_and_b32_e32 v49, v49, v8
	v_mov_b32_e32 v8, v1
	v_not_b32_e32 v1, v9
	v_cmp_gt_i64_e32 vcc, 0, v[8:9]
	v_ashrrev_i32_e32 v1, 31, v1
	; wave barrier
	s_nop 0
	v_xor_b32_e32 v8, vcc_hi, v1
	v_xor_b32_e32 v9, vcc_lo, v1
	ds_read_b32 v44, v47 offset:32
	v_and_b32_e32 v1, v0, v8
	v_and_b32_e32 v0, v49, v9
	v_mbcnt_lo_u32_b32 v8, v0, 0
	v_mbcnt_hi_u32_b32 v48, v1, v8
	v_cmp_eq_u32_e32 vcc, 0, v48
	v_cmp_ne_u64_e64 s[0:1], 0, v[0:1]
	s_and_b64 s[4:5], s[0:1], vcc
	; wave barrier
	s_and_saveexec_b64 s[0:1], s[4:5]
	s_cbranch_execz .LBB1679_305
; %bb.304:
	v_bcnt_u32_b32 v0, v0, 0
	v_bcnt_u32_b32 v0, v1, v0
	s_waitcnt lgkmcnt(0)
	v_add_u32_e32 v0, v44, v0
	ds_write_b32 v47, v0 offset:32
.LBB1679_305:
	s_or_b64 exec, exec, s[0:1]
	s_waitcnt vmcnt(13)
	v_xor_b32_e32 v46, 0xffff8000, v46
	v_lshrrev_b32_sdwa v0, s8, v46 dst_sel:DWORD dst_unused:UNUSED_PAD src0_sel:DWORD src1_sel:WORD_0
	v_and_b32_e32 v53, s9, v0
	v_and_b32_e32 v0, 1, v53
	v_mov_b32_e32 v1, 0
	v_lshl_add_u64 v[8:9], v[0:1], 0, -1
	v_cmp_ne_u32_e32 vcc, 0, v0
	v_mad_u32_u24 v52, v53, 36, v24
	s_nop 0
	v_xor_b32_e32 v8, vcc_lo, v8
	v_xor_b32_e32 v0, vcc_hi, v9
	v_and_b32_e32 v54, exec_lo, v8
	v_lshlrev_b32_e32 v9, 30, v53
	v_mov_b32_e32 v8, v1
	v_cmp_gt_i64_e32 vcc, 0, v[8:9]
	v_not_b32_e32 v8, v9
	v_ashrrev_i32_e32 v8, 31, v8
	v_and_b32_e32 v0, exec_hi, v0
	v_xor_b32_e32 v9, vcc_hi, v8
	v_xor_b32_e32 v8, vcc_lo, v8
	v_and_b32_e32 v0, v0, v9
	v_and_b32_e32 v54, v54, v8
	v_lshlrev_b32_e32 v9, 29, v53
	v_mov_b32_e32 v8, v1
	v_cmp_gt_i64_e32 vcc, 0, v[8:9]
	v_not_b32_e32 v8, v9
	v_ashrrev_i32_e32 v8, 31, v8
	v_xor_b32_e32 v9, vcc_hi, v8
	v_xor_b32_e32 v8, vcc_lo, v8
	v_and_b32_e32 v0, v0, v9
	v_and_b32_e32 v54, v54, v8
	v_lshlrev_b32_e32 v9, 28, v53
	v_mov_b32_e32 v8, v1
	v_cmp_gt_i64_e32 vcc, 0, v[8:9]
	v_not_b32_e32 v8, v9
	v_ashrrev_i32_e32 v8, 31, v8
	;; [unrolled: 9-line block ×4, first 2 shown]
	v_xor_b32_e32 v9, vcc_hi, v8
	v_xor_b32_e32 v8, vcc_lo, v8
	; wave barrier
	ds_read_b32 v49, v52 offset:32
	v_and_b32_e32 v8, v54, v8
	v_and_b32_e32 v9, v0, v9
	v_mbcnt_lo_u32_b32 v0, v8, 0
	v_mbcnt_hi_u32_b32 v53, v9, v0
	v_cmp_eq_u32_e32 vcc, 0, v53
	v_cmp_ne_u64_e64 s[0:1], 0, v[8:9]
	s_and_b64 s[4:5], s[0:1], vcc
	; wave barrier
	s_and_saveexec_b64 s[0:1], s[4:5]
	s_cbranch_execz .LBB1679_307
; %bb.306:
	v_bcnt_u32_b32 v0, v8, 0
	v_bcnt_u32_b32 v0, v9, v0
	s_waitcnt lgkmcnt(0)
	v_add_u32_e32 v0, v49, v0
	ds_write_b32 v52, v0 offset:32
.LBB1679_307:
	s_or_b64 exec, exec, s[0:1]
	s_waitcnt vmcnt(12)
	v_xor_b32_e32 v51, 0xffff8000, v51
	v_lshrrev_b32_sdwa v0, s8, v51 dst_sel:DWORD dst_unused:UNUSED_PAD src0_sel:DWORD src1_sel:WORD_0
	v_and_b32_e32 v58, s9, v0
	v_and_b32_e32 v0, 1, v58
	v_lshl_add_u64 v[8:9], v[0:1], 0, -1
	v_cmp_ne_u32_e32 vcc, 0, v0
	v_mad_u32_u24 v57, v58, 36, v24
	s_nop 0
	v_xor_b32_e32 v8, vcc_lo, v8
	v_xor_b32_e32 v0, vcc_hi, v9
	v_and_b32_e32 v59, exec_lo, v8
	v_lshlrev_b32_e32 v9, 30, v58
	v_mov_b32_e32 v8, v1
	v_cmp_gt_i64_e32 vcc, 0, v[8:9]
	v_not_b32_e32 v8, v9
	v_ashrrev_i32_e32 v8, 31, v8
	v_and_b32_e32 v0, exec_hi, v0
	v_xor_b32_e32 v9, vcc_hi, v8
	v_xor_b32_e32 v8, vcc_lo, v8
	v_and_b32_e32 v0, v0, v9
	v_and_b32_e32 v59, v59, v8
	v_lshlrev_b32_e32 v9, 29, v58
	v_mov_b32_e32 v8, v1
	v_cmp_gt_i64_e32 vcc, 0, v[8:9]
	v_not_b32_e32 v8, v9
	v_ashrrev_i32_e32 v8, 31, v8
	v_xor_b32_e32 v9, vcc_hi, v8
	v_xor_b32_e32 v8, vcc_lo, v8
	v_and_b32_e32 v0, v0, v9
	v_and_b32_e32 v59, v59, v8
	v_lshlrev_b32_e32 v9, 28, v58
	v_mov_b32_e32 v8, v1
	v_cmp_gt_i64_e32 vcc, 0, v[8:9]
	v_not_b32_e32 v8, v9
	v_ashrrev_i32_e32 v8, 31, v8
	;; [unrolled: 9-line block ×3, first 2 shown]
	v_xor_b32_e32 v9, vcc_hi, v8
	v_xor_b32_e32 v8, vcc_lo, v8
	v_and_b32_e32 v0, v0, v9
	v_lshlrev_b32_e32 v9, 26, v58
	v_and_b32_e32 v59, v59, v8
	v_mov_b32_e32 v8, v1
	v_not_b32_e32 v1, v9
	v_cmp_gt_i64_e32 vcc, 0, v[8:9]
	v_ashrrev_i32_e32 v1, 31, v1
	; wave barrier
	s_nop 0
	v_xor_b32_e32 v8, vcc_hi, v1
	v_xor_b32_e32 v9, vcc_lo, v1
	ds_read_b32 v54, v57 offset:32
	v_and_b32_e32 v1, v0, v8
	v_and_b32_e32 v0, v59, v9
	v_mbcnt_lo_u32_b32 v8, v0, 0
	v_mbcnt_hi_u32_b32 v58, v1, v8
	v_cmp_eq_u32_e32 vcc, 0, v58
	v_cmp_ne_u64_e64 s[0:1], 0, v[0:1]
	s_and_b64 s[4:5], s[0:1], vcc
	; wave barrier
	s_and_saveexec_b64 s[0:1], s[4:5]
	s_cbranch_execz .LBB1679_309
; %bb.308:
	v_bcnt_u32_b32 v0, v0, 0
	v_bcnt_u32_b32 v0, v1, v0
	s_waitcnt lgkmcnt(0)
	v_add_u32_e32 v0, v54, v0
	ds_write_b32 v57, v0 offset:32
.LBB1679_309:
	s_or_b64 exec, exec, s[0:1]
	s_waitcnt vmcnt(11)
	v_xor_b32_e32 v56, 0xffff8000, v56
	v_lshrrev_b32_sdwa v0, s8, v56 dst_sel:DWORD dst_unused:UNUSED_PAD src0_sel:DWORD src1_sel:WORD_0
	v_and_b32_e32 v63, s9, v0
	v_and_b32_e32 v0, 1, v63
	v_mov_b32_e32 v1, 0
	v_lshl_add_u64 v[8:9], v[0:1], 0, -1
	v_cmp_ne_u32_e32 vcc, 0, v0
	v_mad_u32_u24 v62, v63, 36, v24
	s_nop 0
	v_xor_b32_e32 v8, vcc_lo, v8
	v_xor_b32_e32 v0, vcc_hi, v9
	v_and_b32_e32 v64, exec_lo, v8
	v_lshlrev_b32_e32 v9, 30, v63
	v_mov_b32_e32 v8, v1
	v_cmp_gt_i64_e32 vcc, 0, v[8:9]
	v_not_b32_e32 v8, v9
	v_ashrrev_i32_e32 v8, 31, v8
	v_and_b32_e32 v0, exec_hi, v0
	v_xor_b32_e32 v9, vcc_hi, v8
	v_xor_b32_e32 v8, vcc_lo, v8
	v_and_b32_e32 v0, v0, v9
	v_and_b32_e32 v64, v64, v8
	v_lshlrev_b32_e32 v9, 29, v63
	v_mov_b32_e32 v8, v1
	v_cmp_gt_i64_e32 vcc, 0, v[8:9]
	v_not_b32_e32 v8, v9
	v_ashrrev_i32_e32 v8, 31, v8
	v_xor_b32_e32 v9, vcc_hi, v8
	v_xor_b32_e32 v8, vcc_lo, v8
	v_and_b32_e32 v0, v0, v9
	v_and_b32_e32 v64, v64, v8
	v_lshlrev_b32_e32 v9, 28, v63
	v_mov_b32_e32 v8, v1
	v_cmp_gt_i64_e32 vcc, 0, v[8:9]
	v_not_b32_e32 v8, v9
	v_ashrrev_i32_e32 v8, 31, v8
	v_xor_b32_e32 v9, vcc_hi, v8
	v_xor_b32_e32 v8, vcc_lo, v8
	v_and_b32_e32 v0, v0, v9
	v_and_b32_e32 v64, v64, v8
	v_lshlrev_b32_e32 v9, 27, v63
	v_mov_b32_e32 v8, v1
	v_cmp_gt_i64_e32 vcc, 0, v[8:9]
	v_not_b32_e32 v8, v9
	v_ashrrev_i32_e32 v8, 31, v8
	v_xor_b32_e32 v9, vcc_hi, v8
	v_xor_b32_e32 v8, vcc_lo, v8
	v_and_b32_e32 v0, v0, v9
	v_and_b32_e32 v64, v64, v8
	v_lshlrev_b32_e32 v9, 26, v63
	v_mov_b32_e32 v8, v1
	v_cmp_gt_i64_e32 vcc, 0, v[8:9]
	v_not_b32_e32 v8, v9
	v_ashrrev_i32_e32 v8, 31, v8
	v_xor_b32_e32 v9, vcc_hi, v8
	v_xor_b32_e32 v8, vcc_lo, v8
	; wave barrier
	ds_read_b32 v59, v62 offset:32
	v_and_b32_e32 v8, v64, v8
	v_and_b32_e32 v9, v0, v9
	v_mbcnt_lo_u32_b32 v0, v8, 0
	v_mbcnt_hi_u32_b32 v63, v9, v0
	v_cmp_eq_u32_e32 vcc, 0, v63
	v_cmp_ne_u64_e64 s[0:1], 0, v[8:9]
	s_and_b64 s[4:5], s[0:1], vcc
	; wave barrier
	s_and_saveexec_b64 s[0:1], s[4:5]
	s_cbranch_execz .LBB1679_311
; %bb.310:
	v_bcnt_u32_b32 v0, v8, 0
	v_bcnt_u32_b32 v0, v9, v0
	s_waitcnt lgkmcnt(0)
	v_add_u32_e32 v0, v59, v0
	ds_write_b32 v62, v0 offset:32
.LBB1679_311:
	s_or_b64 exec, exec, s[0:1]
	s_waitcnt vmcnt(10)
	v_xor_b32_e32 v61, 0xffff8000, v61
	v_lshrrev_b32_sdwa v0, s8, v61 dst_sel:DWORD dst_unused:UNUSED_PAD src0_sel:DWORD src1_sel:WORD_0
	v_and_b32_e32 v67, s9, v0
	v_and_b32_e32 v0, 1, v67
	v_lshl_add_u64 v[8:9], v[0:1], 0, -1
	v_cmp_ne_u32_e32 vcc, 0, v0
	v_mad_u32_u24 v66, v67, 36, v24
	s_nop 0
	v_xor_b32_e32 v8, vcc_lo, v8
	v_xor_b32_e32 v0, vcc_hi, v9
	v_and_b32_e32 v68, exec_lo, v8
	v_lshlrev_b32_e32 v9, 30, v67
	v_mov_b32_e32 v8, v1
	v_cmp_gt_i64_e32 vcc, 0, v[8:9]
	v_not_b32_e32 v8, v9
	v_ashrrev_i32_e32 v8, 31, v8
	v_and_b32_e32 v0, exec_hi, v0
	v_xor_b32_e32 v9, vcc_hi, v8
	v_xor_b32_e32 v8, vcc_lo, v8
	v_and_b32_e32 v0, v0, v9
	v_and_b32_e32 v68, v68, v8
	v_lshlrev_b32_e32 v9, 29, v67
	v_mov_b32_e32 v8, v1
	v_cmp_gt_i64_e32 vcc, 0, v[8:9]
	v_not_b32_e32 v8, v9
	v_ashrrev_i32_e32 v8, 31, v8
	v_xor_b32_e32 v9, vcc_hi, v8
	v_xor_b32_e32 v8, vcc_lo, v8
	v_and_b32_e32 v0, v0, v9
	v_and_b32_e32 v68, v68, v8
	v_lshlrev_b32_e32 v9, 28, v67
	v_mov_b32_e32 v8, v1
	v_cmp_gt_i64_e32 vcc, 0, v[8:9]
	v_not_b32_e32 v8, v9
	v_ashrrev_i32_e32 v8, 31, v8
	;; [unrolled: 9-line block ×3, first 2 shown]
	v_xor_b32_e32 v9, vcc_hi, v8
	v_xor_b32_e32 v8, vcc_lo, v8
	v_and_b32_e32 v0, v0, v9
	v_lshlrev_b32_e32 v9, 26, v67
	v_and_b32_e32 v68, v68, v8
	v_mov_b32_e32 v8, v1
	v_not_b32_e32 v1, v9
	v_cmp_gt_i64_e32 vcc, 0, v[8:9]
	v_ashrrev_i32_e32 v1, 31, v1
	; wave barrier
	s_nop 0
	v_xor_b32_e32 v8, vcc_hi, v1
	v_xor_b32_e32 v9, vcc_lo, v1
	ds_read_b32 v64, v66 offset:32
	v_and_b32_e32 v1, v0, v8
	v_and_b32_e32 v0, v68, v9
	v_mbcnt_lo_u32_b32 v8, v0, 0
	v_mbcnt_hi_u32_b32 v67, v1, v8
	v_cmp_eq_u32_e32 vcc, 0, v67
	v_cmp_ne_u64_e64 s[0:1], 0, v[0:1]
	s_and_b64 s[4:5], s[0:1], vcc
	; wave barrier
	s_and_saveexec_b64 s[0:1], s[4:5]
	s_cbranch_execz .LBB1679_313
; %bb.312:
	v_bcnt_u32_b32 v0, v0, 0
	v_bcnt_u32_b32 v0, v1, v0
	s_waitcnt lgkmcnt(0)
	v_add_u32_e32 v0, v64, v0
	ds_write_b32 v66, v0 offset:32
.LBB1679_313:
	s_or_b64 exec, exec, s[0:1]
	s_waitcnt vmcnt(9)
	v_xor_b32_e32 v65, 0xffff8000, v65
	v_lshrrev_b32_sdwa v0, s8, v65 dst_sel:DWORD dst_unused:UNUSED_PAD src0_sel:DWORD src1_sel:WORD_0
	v_and_b32_e32 v70, s9, v0
	v_and_b32_e32 v0, 1, v70
	v_mov_b32_e32 v1, 0
	v_lshl_add_u64 v[8:9], v[0:1], 0, -1
	v_cmp_ne_u32_e32 vcc, 0, v0
	v_mad_u32_u24 v69, v70, 36, v24
	s_nop 0
	v_xor_b32_e32 v8, vcc_lo, v8
	v_xor_b32_e32 v0, vcc_hi, v9
	v_and_b32_e32 v71, exec_lo, v8
	v_lshlrev_b32_e32 v9, 30, v70
	v_mov_b32_e32 v8, v1
	v_cmp_gt_i64_e32 vcc, 0, v[8:9]
	v_not_b32_e32 v8, v9
	v_ashrrev_i32_e32 v8, 31, v8
	v_and_b32_e32 v0, exec_hi, v0
	v_xor_b32_e32 v9, vcc_hi, v8
	v_xor_b32_e32 v8, vcc_lo, v8
	v_and_b32_e32 v0, v0, v9
	v_and_b32_e32 v71, v71, v8
	v_lshlrev_b32_e32 v9, 29, v70
	v_mov_b32_e32 v8, v1
	v_cmp_gt_i64_e32 vcc, 0, v[8:9]
	v_not_b32_e32 v8, v9
	v_ashrrev_i32_e32 v8, 31, v8
	v_xor_b32_e32 v9, vcc_hi, v8
	v_xor_b32_e32 v8, vcc_lo, v8
	v_and_b32_e32 v0, v0, v9
	v_and_b32_e32 v71, v71, v8
	v_lshlrev_b32_e32 v9, 28, v70
	v_mov_b32_e32 v8, v1
	v_cmp_gt_i64_e32 vcc, 0, v[8:9]
	v_not_b32_e32 v8, v9
	v_ashrrev_i32_e32 v8, 31, v8
	;; [unrolled: 9-line block ×4, first 2 shown]
	v_xor_b32_e32 v9, vcc_hi, v8
	v_xor_b32_e32 v8, vcc_lo, v8
	; wave barrier
	ds_read_b32 v68, v69 offset:32
	v_and_b32_e32 v8, v71, v8
	v_and_b32_e32 v9, v0, v9
	v_mbcnt_lo_u32_b32 v0, v8, 0
	v_mbcnt_hi_u32_b32 v70, v9, v0
	v_cmp_eq_u32_e32 vcc, 0, v70
	v_cmp_ne_u64_e64 s[0:1], 0, v[8:9]
	s_and_b64 s[4:5], s[0:1], vcc
	; wave barrier
	s_and_saveexec_b64 s[0:1], s[4:5]
	s_cbranch_execz .LBB1679_315
; %bb.314:
	v_bcnt_u32_b32 v0, v8, 0
	v_bcnt_u32_b32 v0, v9, v0
	s_waitcnt lgkmcnt(0)
	v_add_u32_e32 v0, v68, v0
	ds_write_b32 v69, v0 offset:32
.LBB1679_315:
	s_or_b64 exec, exec, s[0:1]
	s_waitcnt vmcnt(8)
	v_xor_b32_e32 v60, 0xffff8000, v60
	v_lshrrev_b32_sdwa v0, s8, v60 dst_sel:DWORD dst_unused:UNUSED_PAD src0_sel:DWORD src1_sel:WORD_0
	v_and_b32_e32 v73, s9, v0
	v_and_b32_e32 v0, 1, v73
	v_lshl_add_u64 v[8:9], v[0:1], 0, -1
	v_cmp_ne_u32_e32 vcc, 0, v0
	v_mad_u32_u24 v72, v73, 36, v24
	s_nop 0
	v_xor_b32_e32 v8, vcc_lo, v8
	v_xor_b32_e32 v0, vcc_hi, v9
	v_and_b32_e32 v74, exec_lo, v8
	v_lshlrev_b32_e32 v9, 30, v73
	v_mov_b32_e32 v8, v1
	v_cmp_gt_i64_e32 vcc, 0, v[8:9]
	v_not_b32_e32 v8, v9
	v_ashrrev_i32_e32 v8, 31, v8
	v_and_b32_e32 v0, exec_hi, v0
	v_xor_b32_e32 v9, vcc_hi, v8
	v_xor_b32_e32 v8, vcc_lo, v8
	v_and_b32_e32 v0, v0, v9
	v_and_b32_e32 v74, v74, v8
	v_lshlrev_b32_e32 v9, 29, v73
	v_mov_b32_e32 v8, v1
	v_cmp_gt_i64_e32 vcc, 0, v[8:9]
	v_not_b32_e32 v8, v9
	v_ashrrev_i32_e32 v8, 31, v8
	v_xor_b32_e32 v9, vcc_hi, v8
	v_xor_b32_e32 v8, vcc_lo, v8
	v_and_b32_e32 v0, v0, v9
	v_and_b32_e32 v74, v74, v8
	v_lshlrev_b32_e32 v9, 28, v73
	v_mov_b32_e32 v8, v1
	v_cmp_gt_i64_e32 vcc, 0, v[8:9]
	v_not_b32_e32 v8, v9
	v_ashrrev_i32_e32 v8, 31, v8
	;; [unrolled: 9-line block ×3, first 2 shown]
	v_xor_b32_e32 v9, vcc_hi, v8
	v_xor_b32_e32 v8, vcc_lo, v8
	v_and_b32_e32 v0, v0, v9
	v_lshlrev_b32_e32 v9, 26, v73
	v_and_b32_e32 v74, v74, v8
	v_mov_b32_e32 v8, v1
	v_not_b32_e32 v1, v9
	v_cmp_gt_i64_e32 vcc, 0, v[8:9]
	v_ashrrev_i32_e32 v1, 31, v1
	; wave barrier
	s_nop 0
	v_xor_b32_e32 v8, vcc_hi, v1
	v_xor_b32_e32 v9, vcc_lo, v1
	ds_read_b32 v71, v72 offset:32
	v_and_b32_e32 v1, v0, v8
	v_and_b32_e32 v0, v74, v9
	v_mbcnt_lo_u32_b32 v8, v0, 0
	v_mbcnt_hi_u32_b32 v73, v1, v8
	v_cmp_eq_u32_e32 vcc, 0, v73
	v_cmp_ne_u64_e64 s[0:1], 0, v[0:1]
	s_and_b64 s[4:5], s[0:1], vcc
	; wave barrier
	s_and_saveexec_b64 s[0:1], s[4:5]
	s_cbranch_execz .LBB1679_317
; %bb.316:
	v_bcnt_u32_b32 v0, v0, 0
	v_bcnt_u32_b32 v0, v1, v0
	s_waitcnt lgkmcnt(0)
	v_add_u32_e32 v0, v71, v0
	ds_write_b32 v72, v0 offset:32
.LBB1679_317:
	s_or_b64 exec, exec, s[0:1]
	s_waitcnt vmcnt(7)
	v_xor_b32_e32 v55, 0xffff8000, v55
	v_lshrrev_b32_sdwa v0, s8, v55 dst_sel:DWORD dst_unused:UNUSED_PAD src0_sel:DWORD src1_sel:WORD_0
	v_and_b32_e32 v76, s9, v0
	v_and_b32_e32 v0, 1, v76
	v_mov_b32_e32 v1, 0
	v_lshl_add_u64 v[8:9], v[0:1], 0, -1
	v_cmp_ne_u32_e32 vcc, 0, v0
	v_mad_u32_u24 v75, v76, 36, v24
	s_nop 0
	v_xor_b32_e32 v8, vcc_lo, v8
	v_xor_b32_e32 v0, vcc_hi, v9
	v_and_b32_e32 v77, exec_lo, v8
	v_lshlrev_b32_e32 v9, 30, v76
	v_mov_b32_e32 v8, v1
	v_cmp_gt_i64_e32 vcc, 0, v[8:9]
	v_not_b32_e32 v8, v9
	v_ashrrev_i32_e32 v8, 31, v8
	v_and_b32_e32 v0, exec_hi, v0
	v_xor_b32_e32 v9, vcc_hi, v8
	v_xor_b32_e32 v8, vcc_lo, v8
	v_and_b32_e32 v0, v0, v9
	v_and_b32_e32 v77, v77, v8
	v_lshlrev_b32_e32 v9, 29, v76
	v_mov_b32_e32 v8, v1
	v_cmp_gt_i64_e32 vcc, 0, v[8:9]
	v_not_b32_e32 v8, v9
	v_ashrrev_i32_e32 v8, 31, v8
	v_xor_b32_e32 v9, vcc_hi, v8
	v_xor_b32_e32 v8, vcc_lo, v8
	v_and_b32_e32 v0, v0, v9
	v_and_b32_e32 v77, v77, v8
	v_lshlrev_b32_e32 v9, 28, v76
	v_mov_b32_e32 v8, v1
	v_cmp_gt_i64_e32 vcc, 0, v[8:9]
	v_not_b32_e32 v8, v9
	v_ashrrev_i32_e32 v8, 31, v8
	;; [unrolled: 9-line block ×4, first 2 shown]
	v_xor_b32_e32 v9, vcc_hi, v8
	v_xor_b32_e32 v8, vcc_lo, v8
	; wave barrier
	ds_read_b32 v74, v75 offset:32
	v_and_b32_e32 v8, v77, v8
	v_and_b32_e32 v9, v0, v9
	v_mbcnt_lo_u32_b32 v0, v8, 0
	v_mbcnt_hi_u32_b32 v76, v9, v0
	v_cmp_eq_u32_e32 vcc, 0, v76
	v_cmp_ne_u64_e64 s[0:1], 0, v[8:9]
	s_and_b64 s[4:5], s[0:1], vcc
	; wave barrier
	s_and_saveexec_b64 s[0:1], s[4:5]
	s_cbranch_execz .LBB1679_319
; %bb.318:
	v_bcnt_u32_b32 v0, v8, 0
	v_bcnt_u32_b32 v0, v9, v0
	s_waitcnt lgkmcnt(0)
	v_add_u32_e32 v0, v74, v0
	ds_write_b32 v75, v0 offset:32
.LBB1679_319:
	s_or_b64 exec, exec, s[0:1]
	s_waitcnt vmcnt(6)
	v_xor_b32_e32 v50, 0xffff8000, v50
	v_lshrrev_b32_sdwa v0, s8, v50 dst_sel:DWORD dst_unused:UNUSED_PAD src0_sel:DWORD src1_sel:WORD_0
	v_and_b32_e32 v79, s9, v0
	v_and_b32_e32 v0, 1, v79
	v_lshl_add_u64 v[8:9], v[0:1], 0, -1
	v_cmp_ne_u32_e32 vcc, 0, v0
	v_mad_u32_u24 v78, v79, 36, v24
	s_nop 0
	v_xor_b32_e32 v8, vcc_lo, v8
	v_xor_b32_e32 v0, vcc_hi, v9
	v_and_b32_e32 v80, exec_lo, v8
	v_lshlrev_b32_e32 v9, 30, v79
	v_mov_b32_e32 v8, v1
	v_cmp_gt_i64_e32 vcc, 0, v[8:9]
	v_not_b32_e32 v8, v9
	v_ashrrev_i32_e32 v8, 31, v8
	v_and_b32_e32 v0, exec_hi, v0
	v_xor_b32_e32 v9, vcc_hi, v8
	v_xor_b32_e32 v8, vcc_lo, v8
	v_and_b32_e32 v0, v0, v9
	v_and_b32_e32 v80, v80, v8
	v_lshlrev_b32_e32 v9, 29, v79
	v_mov_b32_e32 v8, v1
	v_cmp_gt_i64_e32 vcc, 0, v[8:9]
	v_not_b32_e32 v8, v9
	v_ashrrev_i32_e32 v8, 31, v8
	v_xor_b32_e32 v9, vcc_hi, v8
	v_xor_b32_e32 v8, vcc_lo, v8
	v_and_b32_e32 v0, v0, v9
	v_and_b32_e32 v80, v80, v8
	v_lshlrev_b32_e32 v9, 28, v79
	v_mov_b32_e32 v8, v1
	v_cmp_gt_i64_e32 vcc, 0, v[8:9]
	v_not_b32_e32 v8, v9
	v_ashrrev_i32_e32 v8, 31, v8
	;; [unrolled: 9-line block ×3, first 2 shown]
	v_xor_b32_e32 v9, vcc_hi, v8
	v_xor_b32_e32 v8, vcc_lo, v8
	v_and_b32_e32 v0, v0, v9
	v_lshlrev_b32_e32 v9, 26, v79
	v_and_b32_e32 v80, v80, v8
	v_mov_b32_e32 v8, v1
	v_not_b32_e32 v1, v9
	v_cmp_gt_i64_e32 vcc, 0, v[8:9]
	v_ashrrev_i32_e32 v1, 31, v1
	; wave barrier
	s_nop 0
	v_xor_b32_e32 v8, vcc_hi, v1
	v_xor_b32_e32 v9, vcc_lo, v1
	ds_read_b32 v77, v78 offset:32
	v_and_b32_e32 v1, v0, v8
	v_and_b32_e32 v0, v80, v9
	v_mbcnt_lo_u32_b32 v8, v0, 0
	v_mbcnt_hi_u32_b32 v79, v1, v8
	v_cmp_eq_u32_e32 vcc, 0, v79
	v_cmp_ne_u64_e64 s[0:1], 0, v[0:1]
	s_and_b64 s[4:5], s[0:1], vcc
	; wave barrier
	s_and_saveexec_b64 s[0:1], s[4:5]
	s_cbranch_execz .LBB1679_321
; %bb.320:
	v_bcnt_u32_b32 v0, v0, 0
	v_bcnt_u32_b32 v0, v1, v0
	s_waitcnt lgkmcnt(0)
	v_add_u32_e32 v0, v77, v0
	ds_write_b32 v78, v0 offset:32
.LBB1679_321:
	s_or_b64 exec, exec, s[0:1]
	s_waitcnt vmcnt(5)
	v_xor_b32_e32 v45, 0xffff8000, v45
	v_lshrrev_b32_sdwa v0, s8, v45 dst_sel:DWORD dst_unused:UNUSED_PAD src0_sel:DWORD src1_sel:WORD_0
	v_and_b32_e32 v81, s9, v0
	v_and_b32_e32 v0, 1, v81
	v_mov_b32_e32 v1, 0
	v_lshl_add_u64 v[8:9], v[0:1], 0, -1
	v_cmp_ne_u32_e32 vcc, 0, v0
	v_mad_u32_u24 v82, v81, 36, v24
	s_nop 0
	v_xor_b32_e32 v8, vcc_lo, v8
	v_xor_b32_e32 v0, vcc_hi, v9
	v_and_b32_e32 v83, exec_lo, v8
	v_lshlrev_b32_e32 v9, 30, v81
	v_mov_b32_e32 v8, v1
	v_cmp_gt_i64_e32 vcc, 0, v[8:9]
	v_not_b32_e32 v8, v9
	v_ashrrev_i32_e32 v8, 31, v8
	v_and_b32_e32 v0, exec_hi, v0
	v_xor_b32_e32 v9, vcc_hi, v8
	v_xor_b32_e32 v8, vcc_lo, v8
	v_and_b32_e32 v0, v0, v9
	v_and_b32_e32 v83, v83, v8
	v_lshlrev_b32_e32 v9, 29, v81
	v_mov_b32_e32 v8, v1
	v_cmp_gt_i64_e32 vcc, 0, v[8:9]
	v_not_b32_e32 v8, v9
	v_ashrrev_i32_e32 v8, 31, v8
	v_xor_b32_e32 v9, vcc_hi, v8
	v_xor_b32_e32 v8, vcc_lo, v8
	v_and_b32_e32 v0, v0, v9
	v_and_b32_e32 v83, v83, v8
	v_lshlrev_b32_e32 v9, 28, v81
	v_mov_b32_e32 v8, v1
	v_cmp_gt_i64_e32 vcc, 0, v[8:9]
	v_not_b32_e32 v8, v9
	v_ashrrev_i32_e32 v8, 31, v8
	;; [unrolled: 9-line block ×4, first 2 shown]
	v_xor_b32_e32 v9, vcc_hi, v8
	v_xor_b32_e32 v8, vcc_lo, v8
	; wave barrier
	ds_read_b32 v80, v82 offset:32
	v_and_b32_e32 v8, v83, v8
	v_and_b32_e32 v9, v0, v9
	v_mbcnt_lo_u32_b32 v0, v8, 0
	v_mbcnt_hi_u32_b32 v83, v9, v0
	v_cmp_eq_u32_e32 vcc, 0, v83
	v_cmp_ne_u64_e64 s[0:1], 0, v[8:9]
	s_and_b64 s[4:5], s[0:1], vcc
	; wave barrier
	s_and_saveexec_b64 s[0:1], s[4:5]
	s_cbranch_execz .LBB1679_323
; %bb.322:
	v_bcnt_u32_b32 v0, v8, 0
	v_bcnt_u32_b32 v0, v9, v0
	s_waitcnt lgkmcnt(0)
	v_add_u32_e32 v0, v80, v0
	ds_write_b32 v82, v0 offset:32
.LBB1679_323:
	s_or_b64 exec, exec, s[0:1]
	s_waitcnt vmcnt(4)
	v_xor_b32_e32 v81, 0xffff8000, v40
	v_lshrrev_b32_sdwa v0, s8, v81 dst_sel:DWORD dst_unused:UNUSED_PAD src0_sel:DWORD src1_sel:WORD_0
	v_and_b32_e32 v85, s9, v0
	v_and_b32_e32 v0, 1, v85
	v_lshl_add_u64 v[8:9], v[0:1], 0, -1
	v_cmp_ne_u32_e32 vcc, 0, v0
	v_mad_u32_u24 v40, v85, 36, v24
	s_nop 0
	v_xor_b32_e32 v8, vcc_lo, v8
	v_xor_b32_e32 v0, vcc_hi, v9
	v_and_b32_e32 v86, exec_lo, v8
	v_lshlrev_b32_e32 v9, 30, v85
	v_mov_b32_e32 v8, v1
	v_cmp_gt_i64_e32 vcc, 0, v[8:9]
	v_not_b32_e32 v8, v9
	v_ashrrev_i32_e32 v8, 31, v8
	v_and_b32_e32 v0, exec_hi, v0
	v_xor_b32_e32 v9, vcc_hi, v8
	v_xor_b32_e32 v8, vcc_lo, v8
	v_and_b32_e32 v0, v0, v9
	v_and_b32_e32 v86, v86, v8
	v_lshlrev_b32_e32 v9, 29, v85
	v_mov_b32_e32 v8, v1
	v_cmp_gt_i64_e32 vcc, 0, v[8:9]
	v_not_b32_e32 v8, v9
	v_ashrrev_i32_e32 v8, 31, v8
	v_xor_b32_e32 v9, vcc_hi, v8
	v_xor_b32_e32 v8, vcc_lo, v8
	v_and_b32_e32 v0, v0, v9
	v_and_b32_e32 v86, v86, v8
	v_lshlrev_b32_e32 v9, 28, v85
	v_mov_b32_e32 v8, v1
	v_cmp_gt_i64_e32 vcc, 0, v[8:9]
	v_not_b32_e32 v8, v9
	v_ashrrev_i32_e32 v8, 31, v8
	;; [unrolled: 9-line block ×3, first 2 shown]
	v_xor_b32_e32 v9, vcc_hi, v8
	v_xor_b32_e32 v8, vcc_lo, v8
	v_and_b32_e32 v0, v0, v9
	v_lshlrev_b32_e32 v9, 26, v85
	v_and_b32_e32 v86, v86, v8
	v_mov_b32_e32 v8, v1
	v_not_b32_e32 v1, v9
	v_cmp_gt_i64_e32 vcc, 0, v[8:9]
	v_ashrrev_i32_e32 v1, 31, v1
	; wave barrier
	s_nop 0
	v_xor_b32_e32 v8, vcc_hi, v1
	v_xor_b32_e32 v9, vcc_lo, v1
	ds_read_b32 v84, v40 offset:32
	v_and_b32_e32 v1, v0, v8
	v_and_b32_e32 v0, v86, v9
	v_mbcnt_lo_u32_b32 v8, v0, 0
	v_mbcnt_hi_u32_b32 v86, v1, v8
	v_cmp_eq_u32_e32 vcc, 0, v86
	v_cmp_ne_u64_e64 s[0:1], 0, v[0:1]
	s_and_b64 s[4:5], s[0:1], vcc
	; wave barrier
	s_and_saveexec_b64 s[0:1], s[4:5]
	s_cbranch_execz .LBB1679_325
; %bb.324:
	v_bcnt_u32_b32 v0, v0, 0
	v_bcnt_u32_b32 v0, v1, v0
	s_waitcnt lgkmcnt(0)
	v_add_u32_e32 v0, v84, v0
	ds_write_b32 v40, v0 offset:32
.LBB1679_325:
	s_or_b64 exec, exec, s[0:1]
	s_waitcnt vmcnt(3)
	v_xor_b32_e32 v85, 0xffff8000, v35
	v_lshrrev_b32_sdwa v0, s8, v85 dst_sel:DWORD dst_unused:UNUSED_PAD src0_sel:DWORD src1_sel:WORD_0
	v_and_b32_e32 v88, s9, v0
	v_and_b32_e32 v0, 1, v88
	v_mov_b32_e32 v1, 0
	v_lshl_add_u64 v[8:9], v[0:1], 0, -1
	v_cmp_ne_u32_e32 vcc, 0, v0
	v_mad_u32_u24 v35, v88, 36, v24
	s_nop 0
	v_xor_b32_e32 v8, vcc_lo, v8
	v_xor_b32_e32 v0, vcc_hi, v9
	v_and_b32_e32 v89, exec_lo, v8
	v_lshlrev_b32_e32 v9, 30, v88
	v_mov_b32_e32 v8, v1
	v_cmp_gt_i64_e32 vcc, 0, v[8:9]
	v_not_b32_e32 v8, v9
	v_ashrrev_i32_e32 v8, 31, v8
	v_and_b32_e32 v0, exec_hi, v0
	v_xor_b32_e32 v9, vcc_hi, v8
	v_xor_b32_e32 v8, vcc_lo, v8
	v_and_b32_e32 v0, v0, v9
	v_and_b32_e32 v89, v89, v8
	v_lshlrev_b32_e32 v9, 29, v88
	v_mov_b32_e32 v8, v1
	v_cmp_gt_i64_e32 vcc, 0, v[8:9]
	v_not_b32_e32 v8, v9
	v_ashrrev_i32_e32 v8, 31, v8
	v_xor_b32_e32 v9, vcc_hi, v8
	v_xor_b32_e32 v8, vcc_lo, v8
	v_and_b32_e32 v0, v0, v9
	v_and_b32_e32 v89, v89, v8
	v_lshlrev_b32_e32 v9, 28, v88
	v_mov_b32_e32 v8, v1
	v_cmp_gt_i64_e32 vcc, 0, v[8:9]
	v_not_b32_e32 v8, v9
	v_ashrrev_i32_e32 v8, 31, v8
	;; [unrolled: 9-line block ×4, first 2 shown]
	v_xor_b32_e32 v9, vcc_hi, v8
	v_xor_b32_e32 v8, vcc_lo, v8
	; wave barrier
	ds_read_b32 v87, v35 offset:32
	v_and_b32_e32 v8, v89, v8
	v_and_b32_e32 v9, v0, v9
	v_mbcnt_lo_u32_b32 v0, v8, 0
	v_mbcnt_hi_u32_b32 v89, v9, v0
	v_cmp_eq_u32_e32 vcc, 0, v89
	v_cmp_ne_u64_e64 s[0:1], 0, v[8:9]
	s_and_b64 s[4:5], s[0:1], vcc
	; wave barrier
	s_and_saveexec_b64 s[0:1], s[4:5]
	s_cbranch_execz .LBB1679_327
; %bb.326:
	v_bcnt_u32_b32 v0, v8, 0
	v_bcnt_u32_b32 v0, v9, v0
	s_waitcnt lgkmcnt(0)
	v_add_u32_e32 v0, v87, v0
	ds_write_b32 v35, v0 offset:32
.LBB1679_327:
	s_or_b64 exec, exec, s[0:1]
	s_waitcnt vmcnt(2)
	v_xor_b32_e32 v88, 0xffff8000, v30
	v_lshrrev_b32_sdwa v0, s8, v88 dst_sel:DWORD dst_unused:UNUSED_PAD src0_sel:DWORD src1_sel:WORD_0
	v_and_b32_e32 v90, s9, v0
	v_and_b32_e32 v0, 1, v90
	v_lshl_add_u64 v[8:9], v[0:1], 0, -1
	v_cmp_ne_u32_e32 vcc, 0, v0
	v_mad_u32_u24 v91, v90, 36, v24
	s_nop 0
	v_xor_b32_e32 v8, vcc_lo, v8
	v_xor_b32_e32 v0, vcc_hi, v9
	v_and_b32_e32 v92, exec_lo, v8
	v_lshlrev_b32_e32 v9, 30, v90
	v_mov_b32_e32 v8, v1
	v_cmp_gt_i64_e32 vcc, 0, v[8:9]
	v_not_b32_e32 v8, v9
	v_ashrrev_i32_e32 v8, 31, v8
	v_and_b32_e32 v0, exec_hi, v0
	v_xor_b32_e32 v9, vcc_hi, v8
	v_xor_b32_e32 v8, vcc_lo, v8
	v_and_b32_e32 v0, v0, v9
	v_and_b32_e32 v92, v92, v8
	v_lshlrev_b32_e32 v9, 29, v90
	v_mov_b32_e32 v8, v1
	v_cmp_gt_i64_e32 vcc, 0, v[8:9]
	v_not_b32_e32 v8, v9
	v_ashrrev_i32_e32 v8, 31, v8
	v_xor_b32_e32 v9, vcc_hi, v8
	v_xor_b32_e32 v8, vcc_lo, v8
	v_and_b32_e32 v0, v0, v9
	v_and_b32_e32 v92, v92, v8
	v_lshlrev_b32_e32 v9, 28, v90
	v_mov_b32_e32 v8, v1
	v_cmp_gt_i64_e32 vcc, 0, v[8:9]
	v_not_b32_e32 v8, v9
	v_ashrrev_i32_e32 v8, 31, v8
	v_xor_b32_e32 v9, vcc_hi, v8
	v_xor_b32_e32 v8, vcc_lo, v8
	v_and_b32_e32 v0, v0, v9
	v_and_b32_e32 v92, v92, v8
	v_lshlrev_b32_e32 v9, 27, v90
	v_mov_b32_e32 v8, v1
	v_cmp_gt_i64_e32 vcc, 0, v[8:9]
	v_not_b32_e32 v8, v9
	v_ashrrev_i32_e32 v8, 31, v8
	v_xor_b32_e32 v9, vcc_hi, v8
	v_xor_b32_e32 v8, vcc_lo, v8
	v_and_b32_e32 v0, v0, v9
	v_lshlrev_b32_e32 v9, 26, v90
	v_and_b32_e32 v92, v92, v8
	v_mov_b32_e32 v8, v1
	v_not_b32_e32 v1, v9
	v_cmp_gt_i64_e32 vcc, 0, v[8:9]
	v_ashrrev_i32_e32 v1, 31, v1
	; wave barrier
	s_nop 0
	v_xor_b32_e32 v8, vcc_hi, v1
	v_xor_b32_e32 v9, vcc_lo, v1
	ds_read_b32 v30, v91 offset:32
	v_and_b32_e32 v1, v0, v8
	v_and_b32_e32 v0, v92, v9
	v_mbcnt_lo_u32_b32 v8, v0, 0
	v_mbcnt_hi_u32_b32 v92, v1, v8
	v_cmp_eq_u32_e32 vcc, 0, v92
	v_cmp_ne_u64_e64 s[0:1], 0, v[0:1]
	s_and_b64 s[4:5], s[0:1], vcc
	; wave barrier
	s_and_saveexec_b64 s[0:1], s[4:5]
	s_cbranch_execz .LBB1679_329
; %bb.328:
	v_bcnt_u32_b32 v0, v0, 0
	v_bcnt_u32_b32 v0, v1, v0
	s_waitcnt lgkmcnt(0)
	v_add_u32_e32 v0, v30, v0
	ds_write_b32 v91, v0 offset:32
.LBB1679_329:
	s_or_b64 exec, exec, s[0:1]
	s_waitcnt vmcnt(1)
	v_xor_b32_e32 v90, 0xffff8000, v25
	v_lshrrev_b32_sdwa v0, s8, v90 dst_sel:DWORD dst_unused:UNUSED_PAD src0_sel:DWORD src1_sel:WORD_0
	v_and_b32_e32 v94, s9, v0
	v_and_b32_e32 v0, 1, v94
	v_mov_b32_e32 v1, 0
	v_lshl_add_u64 v[8:9], v[0:1], 0, -1
	v_cmp_ne_u32_e32 vcc, 0, v0
	v_mad_u32_u24 v25, v94, 36, v24
	s_nop 0
	v_xor_b32_e32 v8, vcc_lo, v8
	v_xor_b32_e32 v0, vcc_hi, v9
	v_and_b32_e32 v95, exec_lo, v8
	v_lshlrev_b32_e32 v9, 30, v94
	v_mov_b32_e32 v8, v1
	v_cmp_gt_i64_e32 vcc, 0, v[8:9]
	v_not_b32_e32 v8, v9
	v_ashrrev_i32_e32 v8, 31, v8
	v_and_b32_e32 v0, exec_hi, v0
	v_xor_b32_e32 v9, vcc_hi, v8
	v_xor_b32_e32 v8, vcc_lo, v8
	v_and_b32_e32 v0, v0, v9
	v_and_b32_e32 v95, v95, v8
	v_lshlrev_b32_e32 v9, 29, v94
	v_mov_b32_e32 v8, v1
	v_cmp_gt_i64_e32 vcc, 0, v[8:9]
	v_not_b32_e32 v8, v9
	v_ashrrev_i32_e32 v8, 31, v8
	v_xor_b32_e32 v9, vcc_hi, v8
	v_xor_b32_e32 v8, vcc_lo, v8
	v_and_b32_e32 v0, v0, v9
	v_and_b32_e32 v95, v95, v8
	v_lshlrev_b32_e32 v9, 28, v94
	v_mov_b32_e32 v8, v1
	v_cmp_gt_i64_e32 vcc, 0, v[8:9]
	v_not_b32_e32 v8, v9
	v_ashrrev_i32_e32 v8, 31, v8
	;; [unrolled: 9-line block ×4, first 2 shown]
	v_xor_b32_e32 v9, vcc_hi, v8
	v_xor_b32_e32 v8, vcc_lo, v8
	; wave barrier
	ds_read_b32 v93, v25 offset:32
	v_and_b32_e32 v8, v95, v8
	v_and_b32_e32 v9, v0, v9
	v_mbcnt_lo_u32_b32 v0, v8, 0
	v_mbcnt_hi_u32_b32 v94, v9, v0
	v_cmp_eq_u32_e32 vcc, 0, v94
	v_cmp_ne_u64_e64 s[0:1], 0, v[8:9]
	s_and_b64 s[4:5], s[0:1], vcc
	; wave barrier
	s_and_saveexec_b64 s[0:1], s[4:5]
	s_cbranch_execz .LBB1679_331
; %bb.330:
	v_bcnt_u32_b32 v0, v8, 0
	v_bcnt_u32_b32 v0, v9, v0
	s_waitcnt lgkmcnt(0)
	v_add_u32_e32 v0, v93, v0
	ds_write_b32 v25, v0 offset:32
.LBB1679_331:
	s_or_b64 exec, exec, s[0:1]
	s_waitcnt vmcnt(0)
	v_xor_b32_e32 v8, 0xffff8000, v19
	v_lshrrev_b32_sdwa v0, s8, v8 dst_sel:DWORD dst_unused:UNUSED_PAD src0_sel:DWORD src1_sel:WORD_0
	v_and_b32_e32 v19, s9, v0
	v_and_b32_e32 v0, 1, v19
	v_lshl_add_u64 v[96:97], v[0:1], 0, -1
	v_cmp_ne_u32_e32 vcc, 0, v0
	v_mad_u32_u24 v24, v19, 36, v24
	s_nop 0
	v_xor_b32_e32 v0, vcc_hi, v97
	v_xor_b32_e32 v95, vcc_lo, v96
	v_lshlrev_b32_e32 v97, 30, v19
	v_mov_b32_e32 v96, v1
	v_cmp_gt_i64_e32 vcc, 0, v[96:97]
	v_not_b32_e32 v96, v97
	v_ashrrev_i32_e32 v96, 31, v96
	v_and_b32_e32 v0, exec_hi, v0
	v_and_b32_e32 v95, exec_lo, v95
	v_xor_b32_e32 v97, vcc_hi, v96
	v_xor_b32_e32 v96, vcc_lo, v96
	v_and_b32_e32 v0, v0, v97
	v_and_b32_e32 v95, v95, v96
	v_lshlrev_b32_e32 v97, 29, v19
	v_mov_b32_e32 v96, v1
	v_cmp_gt_i64_e32 vcc, 0, v[96:97]
	v_not_b32_e32 v96, v97
	v_ashrrev_i32_e32 v96, 31, v96
	v_xor_b32_e32 v97, vcc_hi, v96
	v_xor_b32_e32 v96, vcc_lo, v96
	v_and_b32_e32 v0, v0, v97
	v_and_b32_e32 v95, v95, v96
	v_lshlrev_b32_e32 v97, 28, v19
	v_mov_b32_e32 v96, v1
	v_cmp_gt_i64_e32 vcc, 0, v[96:97]
	v_not_b32_e32 v96, v97
	v_ashrrev_i32_e32 v96, 31, v96
	;; [unrolled: 9-line block ×3, first 2 shown]
	v_xor_b32_e32 v97, vcc_hi, v96
	v_xor_b32_e32 v96, vcc_lo, v96
	v_and_b32_e32 v0, v0, v97
	v_lshlrev_b32_e32 v97, 26, v19
	v_and_b32_e32 v95, v95, v96
	v_mov_b32_e32 v96, v1
	v_not_b32_e32 v1, v97
	v_cmp_gt_i64_e32 vcc, 0, v[96:97]
	v_ashrrev_i32_e32 v1, 31, v1
	; wave barrier
	s_nop 0
	v_xor_b32_e32 v19, vcc_hi, v1
	v_xor_b32_e32 v96, vcc_lo, v1
	ds_read_b32 v9, v24 offset:32
	v_and_b32_e32 v1, v0, v19
	v_and_b32_e32 v0, v95, v96
	v_mbcnt_lo_u32_b32 v19, v0, 0
	v_mbcnt_hi_u32_b32 v95, v1, v19
	v_cmp_eq_u32_e32 vcc, 0, v95
	v_cmp_ne_u64_e64 s[0:1], 0, v[0:1]
	s_and_b64 s[4:5], s[0:1], vcc
	; wave barrier
	s_and_saveexec_b64 s[0:1], s[4:5]
	s_cbranch_execz .LBB1679_333
; %bb.332:
	v_bcnt_u32_b32 v0, v0, 0
	v_bcnt_u32_b32 v0, v1, v0
	s_waitcnt lgkmcnt(0)
	v_add_u32_e32 v0, v9, v0
	ds_write_b32 v24, v0 offset:32
.LBB1679_333:
	s_or_b64 exec, exec, s[0:1]
	; wave barrier
	s_waitcnt lgkmcnt(0)
	s_barrier
	ds_read_b64 v[0:1], v7 offset:32
	v_and_b32_e32 v19, 15, v3
	v_cmp_ne_u32_e32 vcc, 0, v19
	v_min_u32_e32 v10, 0x1c0, v10
	v_or_b32_e32 v10, 63, v10
	s_waitcnt lgkmcnt(0)
	v_add_u32_e32 v1, v1, v0
	s_nop 1
	v_mov_b32_dpp v96, v1 row_shr:1 row_mask:0xf bank_mask:0xf
	v_cndmask_b32_e32 v96, 0, v96, vcc
	v_add_u32_e32 v1, v96, v1
	v_cmp_lt_u32_e32 vcc, 1, v19
	s_nop 0
	v_mov_b32_dpp v96, v1 row_shr:2 row_mask:0xf bank_mask:0xf
	v_cndmask_b32_e32 v96, 0, v96, vcc
	v_add_u32_e32 v1, v1, v96
	v_cmp_lt_u32_e32 vcc, 3, v19
	;; [unrolled: 5-line block ×3, first 2 shown]
	s_nop 0
	v_mov_b32_dpp v96, v1 row_shr:8 row_mask:0xf bank_mask:0xf
	v_cndmask_b32_e32 v19, 0, v96, vcc
	v_add_u32_e32 v1, v1, v19
	v_bfe_i32 v96, v3, 4, 1
	v_cmp_lt_u32_e32 vcc, 31, v3
	v_mov_b32_dpp v19, v1 row_bcast:15 row_mask:0xf bank_mask:0xf
	v_and_b32_e32 v19, v96, v19
	v_add_u32_e32 v1, v1, v19
	v_lshrrev_b32_e32 v96, 6, v2
	s_nop 0
	v_mov_b32_dpp v19, v1 row_bcast:31 row_mask:0xf bank_mask:0xf
	v_cndmask_b32_e32 v19, 0, v19, vcc
	v_add_u32_e32 v1, v1, v19
	v_cmp_eq_u32_e32 vcc, v2, v10
	s_and_saveexec_b64 s[0:1], vcc
; %bb.334:
	v_lshlrev_b32_e32 v10, 2, v96
	ds_write_b32 v10, v1
; %bb.335:
	s_or_b64 exec, exec, s[0:1]
	v_cmp_gt_u32_e32 vcc, 8, v2
	v_lshlrev_b32_e32 v19, 2, v2
	s_waitcnt lgkmcnt(0)
	s_barrier
	s_and_saveexec_b64 s[0:1], vcc
	s_cbranch_execz .LBB1679_337
; %bb.336:
	ds_read_b32 v10, v19
	v_and_b32_e32 v97, 7, v3
	v_cmp_ne_u32_e32 vcc, 0, v97
	s_waitcnt lgkmcnt(0)
	v_mov_b32_dpp v98, v10 row_shr:1 row_mask:0xf bank_mask:0xf
	v_cndmask_b32_e32 v98, 0, v98, vcc
	v_add_u32_e32 v10, v98, v10
	v_cmp_lt_u32_e32 vcc, 1, v97
	s_nop 0
	v_mov_b32_dpp v98, v10 row_shr:2 row_mask:0xf bank_mask:0xf
	v_cndmask_b32_e32 v98, 0, v98, vcc
	v_add_u32_e32 v10, v10, v98
	v_cmp_lt_u32_e32 vcc, 3, v97
	s_nop 0
	v_mov_b32_dpp v98, v10 row_shr:4 row_mask:0xf bank_mask:0xf
	v_cndmask_b32_e32 v97, 0, v98, vcc
	v_add_u32_e32 v10, v10, v97
	ds_write_b32 v19, v10
.LBB1679_337:
	s_or_b64 exec, exec, s[0:1]
	v_cmp_gt_u32_e64 s[0:1], 64, v2
	v_cmp_lt_u32_e32 vcc, 63, v2
	v_mov_b32_e32 v10, 0
	s_waitcnt lgkmcnt(0)
	s_barrier
	s_and_saveexec_b64 s[4:5], vcc
; %bb.338:
	v_lshl_add_u32 v10, v96, 2, -4
	ds_read_b32 v10, v10
; %bb.339:
	s_or_b64 exec, exec, s[4:5]
	v_subrev_co_u32_e64 v96, s[4:5], 1, v3
	v_and_b32_e32 v97, 64, v3
	v_cmp_lt_i32_e64 s[6:7], v96, v97
	s_waitcnt lgkmcnt(0)
	v_add_u32_e32 v1, v10, v1
	v_cndmask_b32_e64 v3, v96, v3, s[6:7]
	v_lshlrev_b32_e32 v3, 2, v3
	ds_bpermute_b32 v1, v3, v1
                                        ; implicit-def: $vgpr3
	s_waitcnt lgkmcnt(0)
	v_cndmask_b32_e64 v1, v1, v10, s[4:5]
	v_cmp_ne_u32_e64 s[4:5], 0, v2
	s_nop 1
	v_cndmask_b32_e64 v96, 0, v1, s[4:5]
	v_add_u32_e32 v97, v96, v0
	ds_write_b64 v7, v[96:97] offset:32
	s_waitcnt lgkmcnt(0)
	s_barrier
	ds_read_b32 v0, v14 offset:32
	ds_read_b32 v1, v16 offset:32
	;; [unrolled: 1-line block ×22, first 2 shown]
                                        ; implicit-def: $vgpr14
	s_and_saveexec_b64 s[6:7], s[0:1]
	s_cbranch_execz .LBB1679_343
; %bb.340:
	v_mul_u32_u24_e32 v3, 36, v2
	ds_read_b32 v3, v3 offset:32
	v_add_u32_e32 v25, 1, v2
	v_cmp_ne_u32_e64 s[4:5], 64, v25
	v_mov_b32_e32 v14, 0x2c00
	s_and_saveexec_b64 s[14:15], s[4:5]
; %bb.341:
	v_mul_u32_u24_e32 v14, 36, v25
	ds_read_b32 v14, v14 offset:32
; %bb.342:
	s_or_b64 exec, exec, s[14:15]
	s_waitcnt lgkmcnt(0)
	v_sub_u32_e32 v14, v14, v3
.LBB1679_343:
	s_or_b64 exec, exec, s[6:7]
	s_waitcnt lgkmcnt(14)
	v_add_u32_e32 v69, v0, v12
	v_add3_u32 v66, v17, v13, v1
	v_add3_u32 v62, v22, v18, v7
	;; [unrolled: 1-line block ×7, first 2 shown]
	s_waitcnt lgkmcnt(13)
	v_add3_u32 v37, v53, v49, v37
	s_waitcnt lgkmcnt(12)
	v_add3_u32 v35, v58, v54, v96
	;; [unrolled: 2-line block ×14, first 2 shown]
	v_lshlrev_b32_e32 v63, 1, v69
	v_lshlrev_b32_e32 v59, 1, v66
	;; [unrolled: 1-line block ×8, first 2 shown]
	s_barrier
	ds_write_b16 v63, v5 offset:256
	ds_write_b16 v59, v11 offset:256
	;; [unrolled: 1-line block ×8, first 2 shown]
	v_lshlrev_b32_e32 v43, 1, v37
	v_lshlrev_b32_e32 v41, 1, v35
	;; [unrolled: 1-line block ×14, first 2 shown]
	v_mov_b32_e32 v1, 0
	ds_write_b16 v43, v46 offset:256
	ds_write_b16 v41, v51 offset:256
	;; [unrolled: 1-line block ×14, first 2 shown]
	s_and_saveexec_b64 s[4:5], s[0:1]
	s_cbranch_execz .LBB1679_353
; %bb.344:
	v_lshl_add_u32 v0, s2, 6, v2
	v_lshl_add_u64 v[8:9], v[0:1], 2, s[12:13]
	v_or_b32_e32 v0, 2.0, v14
	s_mov_b64 s[6:7], 0
	s_brev_b32 s18, -4
	s_mov_b32 s19, s2
	v_mov_b32_e32 v5, 0
	global_store_dword v[8:9], v0, off sc1
                                        ; implicit-def: $sgpr0_sgpr1
	s_branch .LBB1679_347
.LBB1679_345:                           ;   in Loop: Header=BB1679_347 Depth=1
	s_or_b64 exec, exec, s[16:17]
.LBB1679_346:                           ;   in Loop: Header=BB1679_347 Depth=1
	s_or_b64 exec, exec, s[14:15]
	v_and_b32_e32 v7, 0x3fffffff, v0
	v_add_u32_e32 v5, v7, v5
	v_cmp_gt_i32_e64 s[0:1], -2.0, v0
	s_and_b64 s[14:15], exec, s[0:1]
	s_or_b64 s[6:7], s[14:15], s[6:7]
	s_andn2_b64 exec, exec, s[6:7]
	s_cbranch_execz .LBB1679_352
.LBB1679_347:                           ; =>This Loop Header: Depth=1
                                        ;     Child Loop BB1679_350 Depth 2
	s_or_b64 s[0:1], s[0:1], exec
	s_cmp_eq_u32 s19, 0
	s_cbranch_scc1 .LBB1679_351
; %bb.348:                              ;   in Loop: Header=BB1679_347 Depth=1
	s_add_i32 s19, s19, -1
	v_lshl_or_b32 v0, s19, 6, v2
	v_lshl_add_u64 v[10:11], v[0:1], 2, s[12:13]
	global_load_dword v0, v[10:11], off sc1
	s_waitcnt vmcnt(0)
	v_cmp_gt_u32_e64 s[0:1], 2.0, v0
	s_and_saveexec_b64 s[14:15], s[0:1]
	s_cbranch_execz .LBB1679_346
; %bb.349:                              ;   in Loop: Header=BB1679_347 Depth=1
	s_mov_b64 s[16:17], 0
.LBB1679_350:                           ;   Parent Loop BB1679_347 Depth=1
                                        ; =>  This Inner Loop Header: Depth=2
	global_load_dword v0, v[10:11], off sc1
	s_waitcnt vmcnt(0)
	v_cmp_lt_u32_e64 s[0:1], s18, v0
	s_or_b64 s[16:17], s[0:1], s[16:17]
	s_andn2_b64 exec, exec, s[16:17]
	s_cbranch_execnz .LBB1679_350
	s_branch .LBB1679_345
.LBB1679_351:                           ;   in Loop: Header=BB1679_347 Depth=1
                                        ; implicit-def: $sgpr19
	s_and_b64 s[14:15], exec, s[0:1]
	s_or_b64 s[6:7], s[14:15], s[6:7]
	s_andn2_b64 exec, exec, s[6:7]
	s_cbranch_execnz .LBB1679_347
.LBB1679_352:
	s_or_b64 exec, exec, s[6:7]
	v_add_u32_e32 v0, v5, v14
	v_or_b32_e32 v0, 0x80000000, v0
	v_readlane_b32 s12, v118, 0
	global_store_dword v[8:9], v0, off sc1
	v_readlane_b32 s13, v118, 1
	v_sub_u32_e32 v1, v5, v3
	v_readlane_b32 s14, v118, 2
	v_readlane_b32 s15, v118, 3
	s_nop 1
	global_load_dword v0, v19, s[12:13]
	s_waitcnt vmcnt(0)
	v_add_u32_e32 v0, v1, v0
	ds_write_b32 v19, v0
.LBB1679_353:
	s_or_b64 exec, exec, s[4:5]
	v_lshlrev_b32_e32 v0, 1, v2
	v_sub_u32_e32 v5, v19, v0
	s_waitcnt lgkmcnt(0)
	s_barrier
	ds_read_u16 v7, v5 offset:10496
	ds_read_u16 v82, v5 offset:11520
	;; [unrolled: 1-line block ×12, first 2 shown]
	s_waitcnt lgkmcnt(8)
	v_lshrrev_b32_sdwa v1, s8, v84 dst_sel:DWORD dst_unused:UNUSED_PAD src0_sel:DWORD src1_sel:WORD_0
	s_waitcnt lgkmcnt(5)
	v_lshrrev_b32_sdwa v8, s8, v87 dst_sel:DWORD dst_unused:UNUSED_PAD src0_sel:DWORD src1_sel:WORD_0
	v_and_b32_e32 v1, s9, v1
	s_waitcnt lgkmcnt(3)
	v_lshrrev_b32_sdwa v9, s8, v99 dst_sel:DWORD dst_unused:UNUSED_PAD src0_sel:DWORD src1_sel:WORD_0
	v_and_b32_e32 v9, s9, v9
	v_lshlrev_b32_e32 v45, 2, v9
	s_waitcnt lgkmcnt(2)
	v_lshrrev_b32_sdwa v9, s8, v100 dst_sel:DWORD dst_unused:UNUSED_PAD src0_sel:DWORD src1_sel:WORD_0
	v_and_b32_e32 v9, s9, v9
	v_lshlrev_b32_e32 v11, 2, v9
	;; [unrolled: 4-line block ×3, first 2 shown]
	s_waitcnt lgkmcnt(0)
	v_lshrrev_b32_sdwa v9, s8, v102 dst_sel:DWORD dst_unused:UNUSED_PAD src0_sel:DWORD src1_sel:WORD_0
	v_and_b32_e32 v8, s9, v8
	v_and_b32_e32 v9, s9, v9
	v_lshlrev_b32_e32 v1, 2, v1
	v_lshlrev_b32_e32 v8, 2, v8
	v_lshlrev_b32_e32 v9, 2, v9
	ds_read_u16 v46, v5 offset:256
	ds_read_u16 v56, v5 offset:1280
	ds_read_b32 v103, v1
	ds_read_b32 v104, v8
	;; [unrolled: 1-line block ×6, first 2 shown]
	s_waitcnt lgkmcnt(7)
	v_lshrrev_b32_sdwa v50, s8, v46 dst_sel:DWORD dst_unused:UNUSED_PAD src0_sel:DWORD src1_sel:WORD_0
	v_and_b32_e32 v50, s9, v50
	v_lshlrev_b32_e32 v95, 2, v50
	s_waitcnt lgkmcnt(6)
	v_lshrrev_b32_sdwa v50, s8, v56 dst_sel:DWORD dst_unused:UNUSED_PAD src0_sel:DWORD src1_sel:WORD_0
	v_and_b32_e32 v50, s9, v50
	v_lshlrev_b32_e32 v92, 2, v50
	ds_read_u16 v61, v5 offset:2304
	ds_read_u16 v64, v5 offset:3328
	;; [unrolled: 1-line block ×8, first 2 shown]
	s_waitcnt lgkmcnt(7)
	v_lshrrev_b32_sdwa v50, s8, v61 dst_sel:DWORD dst_unused:UNUSED_PAD src0_sel:DWORD src1_sel:WORD_0
	v_and_b32_e32 v50, s9, v50
	v_lshlrev_b32_e32 v94, 2, v50
	s_waitcnt lgkmcnt(6)
	v_lshrrev_b32_sdwa v50, s8, v64 dst_sel:DWORD dst_unused:UNUSED_PAD src0_sel:DWORD src1_sel:WORD_0
	v_and_b32_e32 v50, s9, v50
	v_lshlrev_b32_e32 v93, 2, v50
	;; [unrolled: 4-line block ×6, first 2 shown]
	ds_read_b32 v50, v95
	ds_read_b32 v60, v92
	;; [unrolled: 1-line block ×8, first 2 shown]
	s_waitcnt lgkmcnt(7)
	v_add_u32_e32 v96, v50, v2
	v_mov_b32_e32 v97, 0
	v_add_u32_e32 v55, 0x200, v2
	v_xor_b32_e32 v46, 0xffff8000, v46
	v_lshl_add_u64 v[50:51], v[96:97], 1, s[94:95]
	s_waitcnt lgkmcnt(6)
	v_add_u32_e32 v96, v60, v55
	v_or_b32_e32 v60, 0x400, v2
	global_store_short v[50:51], v46, off
	v_xor_b32_e32 v46, 0xffff8000, v56
	v_lshl_add_u64 v[50:51], v[96:97], 1, s[94:95]
	s_waitcnt lgkmcnt(5)
	v_add_u32_e32 v96, v71, v60
	global_store_short v[50:51], v46, off
	v_xor_b32_e32 v46, 0xffff8000, v61
	v_lshl_add_u64 v[50:51], v[96:97], 1, s[94:95]
	global_store_short v[50:51], v46, off
	v_add_u32_e32 v46, 0x600, v2
	s_waitcnt lgkmcnt(4)
	v_add_u32_e32 v96, v73, v46
	v_xor_b32_e32 v56, 0xffff8000, v64
	v_lshl_add_u64 v[50:51], v[96:97], 1, s[94:95]
	global_store_short v[50:51], v56, off
	v_or_b32_e32 v50, 0x800, v2
	s_waitcnt lgkmcnt(3)
	v_add_u32_e32 v96, v74, v50
	v_add_u32_e32 v56, 0xa00, v2
	v_xor_b32_e32 v51, 0xffff8000, v65
	v_lshl_add_u64 v[64:65], v[96:97], 1, s[94:95]
	s_waitcnt lgkmcnt(2)
	v_add_u32_e32 v96, v75, v56
	v_or_b32_e32 v61, 0xc00, v2
	global_store_short v[64:65], v51, off
	v_xor_b32_e32 v51, 0xffff8000, v67
	v_lshl_add_u64 v[64:65], v[96:97], 1, s[94:95]
	s_waitcnt lgkmcnt(1)
	v_add_u32_e32 v96, v76, v61
	global_store_short v[64:65], v51, off
	v_xor_b32_e32 v51, 0xffff8000, v68
	v_lshl_add_u64 v[64:65], v[96:97], 1, s[94:95]
	global_store_short v[64:65], v51, off
	v_add_u32_e32 v64, 0xe00, v2
	s_waitcnt lgkmcnt(0)
	v_add_u32_e32 v96, v77, v64
	v_xor_b32_e32 v51, 0xffff8000, v70
	v_lshl_add_u64 v[70:71], v[96:97], 1, s[94:95]
	v_lshrrev_b32_sdwa v65, s8, v72 dst_sel:DWORD dst_unused:UNUSED_PAD src0_sel:DWORD src1_sel:WORD_0
	global_store_short v[70:71], v51, off
	v_and_b32_e32 v65, s9, v65
	v_xor_b32_e32 v75, 0xffff8000, v72
	v_lshrrev_b32_sdwa v67, s8, v5 dst_sel:DWORD dst_unused:UNUSED_PAD src0_sel:DWORD src1_sel:WORD_0
	v_lshrrev_b32_sdwa v68, s8, v7 dst_sel:DWORD dst_unused:UNUSED_PAD src0_sel:DWORD src1_sel:WORD_0
	;; [unrolled: 1-line block ×7, first 2 shown]
	v_or_b32_e32 v51, 0x1000, v2
	v_lshlrev_b32_e32 v65, 2, v65
	v_and_b32_e32 v67, s9, v67
	v_and_b32_e32 v68, s9, v68
	;; [unrolled: 1-line block ×7, first 2 shown]
	v_lshlrev_b32_e32 v67, 2, v67
	v_lshlrev_b32_e32 v68, 2, v68
	;; [unrolled: 1-line block ×7, first 2 shown]
	ds_read_b32 v76, v65
	ds_read_b32 v78, v67
	;; [unrolled: 1-line block ×8, first 2 shown]
	s_waitcnt lgkmcnt(7)
	v_add_u32_e32 v96, v76, v51
	v_lshl_add_u64 v[76:77], v[96:97], 1, s[94:95]
	global_store_short v[76:77], v75, off
	v_add_u32_e32 v77, 0x1200, v2
	s_waitcnt lgkmcnt(6)
	v_add_u32_e32 v96, v78, v77
	v_xor_b32_e32 v5, 0xffff8000, v5
	v_lshl_add_u64 v[78:79], v[96:97], 1, s[94:95]
	global_store_short v[78:79], v5, off
	v_or_b32_e32 v79, 0x1400, v2
	s_waitcnt lgkmcnt(5)
	v_add_u32_e32 v96, v80, v79
	v_add_u32_e32 v75, 0x1600, v2
	v_xor_b32_e32 v5, 0xffff8000, v7
	v_lshl_add_u64 v[80:81], v[96:97], 1, s[94:95]
	s_waitcnt lgkmcnt(4)
	v_add_u32_e32 v96, v109, v75
	v_or_b32_e32 v76, 0x1800, v2
	global_store_short v[80:81], v5, off
	v_xor_b32_e32 v5, 0xffff8000, v82
	v_lshl_add_u64 v[80:81], v[96:97], 1, s[94:95]
	s_waitcnt lgkmcnt(3)
	v_add_u32_e32 v96, v110, v76
	v_add_u32_e32 v78, 0x1a00, v2
	global_store_short v[80:81], v5, off
	v_xor_b32_e32 v5, 0xffff8000, v83
	v_lshl_add_u64 v[80:81], v[96:97], 1, s[94:95]
	s_waitcnt lgkmcnt(2)
	v_add_u32_e32 v96, v111, v78
	global_store_short v[80:81], v5, off
	v_xor_b32_e32 v5, 0xffff8000, v85
	v_lshl_add_u64 v[80:81], v[96:97], 1, s[94:95]
	global_store_short v[80:81], v5, off
	v_or_b32_e32 v80, 0x1c00, v2
	s_waitcnt lgkmcnt(1)
	v_add_u32_e32 v96, v112, v80
	v_add_u32_e32 v81, 0x1e00, v2
	v_xor_b32_e32 v5, 0xffff8000, v86
	v_lshl_add_u64 v[82:83], v[96:97], 1, s[94:95]
	s_waitcnt lgkmcnt(0)
	v_add_u32_e32 v96, v113, v81
	global_store_short v[82:83], v5, off
	v_xor_b32_e32 v5, 0xffff8000, v98
	v_lshl_add_u64 v[82:83], v[96:97], 1, s[94:95]
	global_store_short v[82:83], v5, off
	v_or_b32_e32 v82, 0x2000, v2
	v_add_u32_e32 v96, v103, v82
	v_add_u32_e32 v83, 0x2200, v2
	v_xor_b32_e32 v5, 0xffff8000, v84
	v_lshl_add_u64 v[84:85], v[96:97], 1, s[94:95]
	v_add_u32_e32 v96, v104, v83
	global_store_short v[84:85], v5, off
	v_xor_b32_e32 v5, 0xffff8000, v87
	v_lshl_add_u64 v[84:85], v[96:97], 1, s[94:95]
	global_store_short v[84:85], v5, off
	v_or_b32_e32 v85, 0x2400, v2
	v_add_u32_e32 v96, v105, v85
	v_add_u32_e32 v84, 0x2600, v2
	v_xor_b32_e32 v5, 0xffff8000, v99
	v_lshl_add_u64 v[86:87], v[96:97], 1, s[94:95]
	;; [unrolled: 10-line block ×3, first 2 shown]
	v_add_u32_e32 v96, v108, v87
	global_store_short v[98:99], v5, off
	v_xor_b32_e32 v5, 0xffff8000, v102
	v_lshl_add_u64 v[98:99], v[96:97], 1, s[94:95]
	s_add_u32 s0, s96, s10
	global_store_short v[98:99], v5, off
	s_addc_u32 s1, s97, s11
	v_mov_b32_e32 v5, v97
	v_lshl_add_u64 v[4:5], s[0:1], 0, v[4:5]
	v_mov_b32_e32 v7, v97
	v_lshl_add_u64 v[114:115], v[4:5], 0, v[6:7]
	global_load_ushort v113, v[114:115], off
	global_load_ushort v112, v[114:115], off offset:128
	global_load_ushort v111, v[114:115], off offset:256
	;; [unrolled: 1-line block ×21, first 2 shown]
	s_movk_i32 s6, 0x2c00
	v_cmp_gt_u32_e64 s[0:1], s6, v69
	s_barrier
	s_and_saveexec_b64 s[4:5], s[0:1]
	s_cbranch_execz .LBB1679_380
; %bb.354:
	s_waitcnt vmcnt(21)
	ds_write_b16 v63, v113 offset:256
	s_or_b64 exec, exec, s[4:5]
	v_cmp_gt_u32_e64 s[0:1], s6, v66
	s_and_saveexec_b64 s[4:5], s[0:1]
	s_cbranch_execnz .LBB1679_381
.LBB1679_355:
	s_or_b64 exec, exec, s[4:5]
	v_cmp_gt_u32_e64 s[0:1], s6, v62
	s_and_saveexec_b64 s[4:5], s[0:1]
	s_cbranch_execz .LBB1679_382
.LBB1679_356:
	s_waitcnt vmcnt(19)
	ds_write_b16 v58, v111 offset:256
	s_or_b64 exec, exec, s[4:5]
	v_cmp_gt_u32_e64 s[0:1], s6, v57
	s_and_saveexec_b64 s[4:5], s[0:1]
	s_cbranch_execnz .LBB1679_383
.LBB1679_357:
	s_or_b64 exec, exec, s[4:5]
	v_cmp_gt_u32_e64 s[0:1], s6, v52
	s_and_saveexec_b64 s[4:5], s[0:1]
	s_cbranch_execz .LBB1679_384
.LBB1679_358:
	s_waitcnt vmcnt(17)
	ds_write_b16 v53, v109 offset:256
	s_or_b64 exec, exec, s[4:5]
	v_cmp_gt_u32_e64 s[0:1], s6, v47
	s_and_saveexec_b64 s[4:5], s[0:1]
	s_cbranch_execnz .LBB1679_385
.LBB1679_359:
	s_or_b64 exec, exec, s[4:5]
	v_cmp_gt_u32_e64 s[0:1], s6, v42
	s_and_saveexec_b64 s[4:5], s[0:1]
	s_cbranch_execz .LBB1679_386
.LBB1679_360:
	s_waitcnt vmcnt(15)
	ds_write_b16 v48, v107 offset:256
	s_or_b64 exec, exec, s[4:5]
	v_cmp_gt_u32_e64 s[0:1], s6, v40
	s_and_saveexec_b64 s[4:5], s[0:1]
	s_cbranch_execnz .LBB1679_387
.LBB1679_361:
	s_or_b64 exec, exec, s[4:5]
	v_cmp_gt_u32_e64 s[0:1], s6, v37
	s_and_saveexec_b64 s[4:5], s[0:1]
	s_cbranch_execz .LBB1679_388
.LBB1679_362:
	s_waitcnt vmcnt(13)
	ds_write_b16 v43, v105 offset:256
	s_or_b64 exec, exec, s[4:5]
	v_cmp_gt_u32_e64 s[0:1], s6, v35
	s_and_saveexec_b64 s[4:5], s[0:1]
	s_cbranch_execnz .LBB1679_389
.LBB1679_363:
	s_or_b64 exec, exec, s[4:5]
	v_cmp_gt_u32_e64 s[0:1], s6, v33
	s_and_saveexec_b64 s[4:5], s[0:1]
	s_cbranch_execz .LBB1679_390
.LBB1679_364:
	s_waitcnt vmcnt(11)
	ds_write_b16 v39, v103 offset:256
	s_or_b64 exec, exec, s[4:5]
	v_cmp_gt_u32_e64 s[0:1], s6, v32
	s_and_saveexec_b64 s[4:5], s[0:1]
	s_cbranch_execnz .LBB1679_391
.LBB1679_365:
	s_or_b64 exec, exec, s[4:5]
	v_cmp_gt_u32_e64 s[0:1], s6, v29
	s_and_saveexec_b64 s[4:5], s[0:1]
	s_cbranch_execz .LBB1679_392
.LBB1679_366:
	s_waitcnt vmcnt(9)
	ds_write_b16 v36, v101 offset:256
	s_or_b64 exec, exec, s[4:5]
	v_cmp_gt_u32_e64 s[0:1], s6, v27
	s_and_saveexec_b64 s[4:5], s[0:1]
	s_cbranch_execnz .LBB1679_393
.LBB1679_367:
	s_or_b64 exec, exec, s[4:5]
	v_cmp_gt_u32_e64 s[0:1], s6, v25
	s_and_saveexec_b64 s[4:5], s[0:1]
	s_cbranch_execz .LBB1679_394
.LBB1679_368:
	s_waitcnt vmcnt(7)
	ds_write_b16 v31, v99 offset:256
	s_or_b64 exec, exec, s[4:5]
	v_cmp_gt_u32_e64 s[0:1], s6, v23
	s_and_saveexec_b64 s[4:5], s[0:1]
	s_cbranch_execnz .LBB1679_395
.LBB1679_369:
	s_or_b64 exec, exec, s[4:5]
	v_cmp_gt_u32_e64 s[0:1], s6, v21
	s_and_saveexec_b64 s[4:5], s[0:1]
	s_cbranch_execz .LBB1679_396
.LBB1679_370:
	s_waitcnt vmcnt(5)
	ds_write_b16 v28, v97 offset:256
	s_or_b64 exec, exec, s[4:5]
	v_cmp_gt_u32_e64 s[0:1], s6, v18
	s_and_saveexec_b64 s[4:5], s[0:1]
	s_cbranch_execnz .LBB1679_397
.LBB1679_371:
	s_or_b64 exec, exec, s[4:5]
	v_cmp_gt_u32_e64 s[0:1], s6, v17
	s_and_saveexec_b64 s[4:5], s[0:1]
	s_cbranch_execz .LBB1679_398
.LBB1679_372:
	s_waitcnt vmcnt(3)
	ds_write_b16 v24, v7 offset:256
	s_or_b64 exec, exec, s[4:5]
	v_cmp_gt_u32_e64 s[0:1], s6, v16
	s_and_saveexec_b64 s[4:5], s[0:1]
	s_cbranch_execnz .LBB1679_399
.LBB1679_373:
	s_or_b64 exec, exec, s[4:5]
	v_cmp_gt_u32_e64 s[0:1], s6, v13
	s_and_saveexec_b64 s[4:5], s[0:1]
	s_cbranch_execz .LBB1679_375
.LBB1679_374:
	s_waitcnt vmcnt(1)
	ds_write_b16 v20, v5 offset:256
.LBB1679_375:
	s_or_b64 exec, exec, s[4:5]
	v_sub_u32_e32 v0, 0, v0
	v_cmp_gt_u32_e64 s[0:1], s6, v12
	s_and_saveexec_b64 s[4:5], s[0:1]
	s_cbranch_execz .LBB1679_377
; %bb.376:
	s_waitcnt vmcnt(0)
	ds_write_b16 v15, v4 offset:256
.LBB1679_377:
	s_or_b64 exec, exec, s[4:5]
	s_waitcnt lgkmcnt(0)
	s_barrier
	v_add_u32_e32 v12, v19, v0
	ds_read_b32 v0, v95
	ds_read_b32 v13, v92
	;; [unrolled: 1-line block ×8, first 2 shown]
	s_waitcnt vmcnt(0) lgkmcnt(7)
	v_add_u32_e32 v4, v0, v2
	v_mov_b32_e32 v5, 0
	v_lshl_add_u64 v[6:7], v[4:5], 1, s[98:99]
	ds_read_u16 v0, v12 offset:256
	ds_read_u16 v2, v12 offset:1280
	ds_read_b32 v22, v1
	ds_read_b32 v8, v8
	;; [unrolled: 1-line block ×6, first 2 shown]
	s_waitcnt lgkmcnt(14)
	v_add_u32_e32 v4, v13, v55
	s_waitcnt lgkmcnt(7)
	global_store_short v[6:7], v0, off
	v_lshl_add_u64 v[0:1], v[4:5], 1, s[98:99]
	v_add_u32_e32 v4, v15, v60
	s_waitcnt lgkmcnt(6)
	global_store_short v[0:1], v2, off
	v_lshl_add_u64 v[0:1], v[4:5], 1, s[98:99]
	v_add_u32_e32 v4, v16, v46
	ds_read_u16 v2, v12 offset:2304
	ds_read_u16 v6, v12 offset:3328
	;; [unrolled: 1-line block ×8, first 2 shown]
	s_waitcnt lgkmcnt(7)
	global_store_short v[0:1], v2, off
	v_lshl_add_u64 v[0:1], v[4:5], 1, s[98:99]
	v_add_u32_e32 v4, v17, v50
	s_waitcnt lgkmcnt(6)
	global_store_short v[0:1], v6, off
	v_lshl_add_u64 v[0:1], v[4:5], 1, s[98:99]
	v_add_u32_e32 v4, v18, v56
	;; [unrolled: 4-line block ×4, first 2 shown]
	s_waitcnt lgkmcnt(3)
	global_store_short v[0:1], v15, off
	v_lshl_add_u64 v[0:1], v[4:5], 1, s[98:99]
	s_waitcnt lgkmcnt(2)
	global_store_short v[0:1], v24, off
	ds_read_b32 v0, v65
	ds_read_b32 v2, v67
	;; [unrolled: 1-line block ×8, first 2 shown]
	s_waitcnt lgkmcnt(7)
	v_add_u32_e32 v4, v0, v51
	v_lshl_add_u64 v[0:1], v[4:5], 1, s[98:99]
	s_waitcnt lgkmcnt(6)
	v_add_u32_e32 v4, v2, v77
	global_store_short v[0:1], v25, off
	v_lshl_add_u64 v[0:1], v[4:5], 1, s[98:99]
	s_waitcnt lgkmcnt(5)
	v_add_u32_e32 v4, v6, v79
	global_store_short v[0:1], v26, off
	v_lshl_add_u64 v[0:1], v[4:5], 1, s[98:99]
	s_waitcnt lgkmcnt(4)
	v_add_u32_e32 v4, v7, v75
	ds_read_u16 v2, v12 offset:10496
	ds_read_u16 v6, v12 offset:11520
	;; [unrolled: 1-line block ×8, first 2 shown]
	s_waitcnt lgkmcnt(7)
	global_store_short v[0:1], v2, off
	v_lshl_add_u64 v[0:1], v[4:5], 1, s[98:99]
	v_add_u32_e32 v4, v13, v76
	s_waitcnt lgkmcnt(6)
	global_store_short v[0:1], v6, off
	v_lshl_add_u64 v[0:1], v[4:5], 1, s[98:99]
	v_add_u32_e32 v4, v15, v78
	;; [unrolled: 4-line block ×6, first 2 shown]
	ds_read_u16 v2, v12 offset:18688
	s_waitcnt lgkmcnt(2)
	global_store_short v[0:1], v25, off
	v_lshl_add_u64 v[0:1], v[4:5], 1, s[98:99]
	s_waitcnt lgkmcnt(1)
	global_store_short v[0:1], v26, off
	v_add_u32_e32 v4, v23, v85
	ds_read_u16 v6, v12 offset:19712
	ds_read_u16 v7, v12 offset:20736
	;; [unrolled: 1-line block ×3, first 2 shown]
	v_lshl_add_u64 v[0:1], v[4:5], 1, s[98:99]
	v_add_u32_e32 v4, v11, v84
	s_add_i32 s3, s3, -1
	s_waitcnt lgkmcnt(3)
	global_store_short v[0:1], v2, off
	v_lshl_add_u64 v[0:1], v[4:5], 1, s[98:99]
	v_add_u32_e32 v4, v10, v86
	s_cmp_eq_u32 s2, s3
	s_waitcnt lgkmcnt(2)
	global_store_short v[0:1], v6, off
	v_lshl_add_u64 v[0:1], v[4:5], 1, s[98:99]
	v_add_u32_e32 v4, v9, v87
	s_cselect_b64 s[0:1], -1, 0
	s_xor_b64 s[2:3], vcc, -1
	s_waitcnt lgkmcnt(1)
	global_store_short v[0:1], v7, off
	v_lshl_add_u64 v[0:1], v[4:5], 1, s[98:99]
	s_and_b64 s[0:1], s[2:3], s[0:1]
	s_waitcnt lgkmcnt(0)
	global_store_short v[0:1], v8, off
	s_and_saveexec_b64 s[2:3], s[0:1]
	s_cbranch_execz .LBB1679_379
; %bb.378:
	ds_read_b32 v0, v19
	v_readlane_b32 s0, v118, 0
	v_readlane_b32 s2, v118, 2
	;; [unrolled: 1-line block ×4, first 2 shown]
	s_waitcnt lgkmcnt(0)
	v_add3_u32 v0, v3, v14, v0
	s_nop 1
	global_store_dword v19, v0, s[2:3]
.LBB1679_379:
	s_endpgm
.LBB1679_380:
	s_or_b64 exec, exec, s[4:5]
	v_cmp_gt_u32_e64 s[0:1], s6, v66
	s_and_saveexec_b64 s[4:5], s[0:1]
	s_cbranch_execz .LBB1679_355
.LBB1679_381:
	s_waitcnt vmcnt(20)
	ds_write_b16 v59, v112 offset:256
	s_or_b64 exec, exec, s[4:5]
	v_cmp_gt_u32_e64 s[0:1], s6, v62
	s_and_saveexec_b64 s[4:5], s[0:1]
	s_cbranch_execnz .LBB1679_356
.LBB1679_382:
	s_or_b64 exec, exec, s[4:5]
	v_cmp_gt_u32_e64 s[0:1], s6, v57
	s_and_saveexec_b64 s[4:5], s[0:1]
	s_cbranch_execz .LBB1679_357
.LBB1679_383:
	s_waitcnt vmcnt(18)
	ds_write_b16 v54, v110 offset:256
	s_or_b64 exec, exec, s[4:5]
	v_cmp_gt_u32_e64 s[0:1], s6, v52
	s_and_saveexec_b64 s[4:5], s[0:1]
	s_cbranch_execnz .LBB1679_358
.LBB1679_384:
	s_or_b64 exec, exec, s[4:5]
	v_cmp_gt_u32_e64 s[0:1], s6, v47
	s_and_saveexec_b64 s[4:5], s[0:1]
	s_cbranch_execz .LBB1679_359
.LBB1679_385:
	s_waitcnt vmcnt(16)
	ds_write_b16 v49, v108 offset:256
	s_or_b64 exec, exec, s[4:5]
	v_cmp_gt_u32_e64 s[0:1], s6, v42
	s_and_saveexec_b64 s[4:5], s[0:1]
	s_cbranch_execnz .LBB1679_360
.LBB1679_386:
	s_or_b64 exec, exec, s[4:5]
	v_cmp_gt_u32_e64 s[0:1], s6, v40
	s_and_saveexec_b64 s[4:5], s[0:1]
	s_cbranch_execz .LBB1679_361
.LBB1679_387:
	s_waitcnt vmcnt(14)
	ds_write_b16 v44, v106 offset:256
	s_or_b64 exec, exec, s[4:5]
	v_cmp_gt_u32_e64 s[0:1], s6, v37
	s_and_saveexec_b64 s[4:5], s[0:1]
	s_cbranch_execnz .LBB1679_362
.LBB1679_388:
	s_or_b64 exec, exec, s[4:5]
	v_cmp_gt_u32_e64 s[0:1], s6, v35
	s_and_saveexec_b64 s[4:5], s[0:1]
	s_cbranch_execz .LBB1679_363
.LBB1679_389:
	s_waitcnt vmcnt(12)
	ds_write_b16 v41, v104 offset:256
	s_or_b64 exec, exec, s[4:5]
	v_cmp_gt_u32_e64 s[0:1], s6, v33
	s_and_saveexec_b64 s[4:5], s[0:1]
	s_cbranch_execnz .LBB1679_364
.LBB1679_390:
	s_or_b64 exec, exec, s[4:5]
	v_cmp_gt_u32_e64 s[0:1], s6, v32
	s_and_saveexec_b64 s[4:5], s[0:1]
	s_cbranch_execz .LBB1679_365
.LBB1679_391:
	s_waitcnt vmcnt(10)
	ds_write_b16 v38, v102 offset:256
	s_or_b64 exec, exec, s[4:5]
	v_cmp_gt_u32_e64 s[0:1], s6, v29
	s_and_saveexec_b64 s[4:5], s[0:1]
	s_cbranch_execnz .LBB1679_366
.LBB1679_392:
	s_or_b64 exec, exec, s[4:5]
	v_cmp_gt_u32_e64 s[0:1], s6, v27
	s_and_saveexec_b64 s[4:5], s[0:1]
	s_cbranch_execz .LBB1679_367
.LBB1679_393:
	s_waitcnt vmcnt(8)
	ds_write_b16 v34, v100 offset:256
	s_or_b64 exec, exec, s[4:5]
	v_cmp_gt_u32_e64 s[0:1], s6, v25
	s_and_saveexec_b64 s[4:5], s[0:1]
	s_cbranch_execnz .LBB1679_368
.LBB1679_394:
	s_or_b64 exec, exec, s[4:5]
	v_cmp_gt_u32_e64 s[0:1], s6, v23
	s_and_saveexec_b64 s[4:5], s[0:1]
	s_cbranch_execz .LBB1679_369
.LBB1679_395:
	s_waitcnt vmcnt(6)
	ds_write_b16 v30, v98 offset:256
	s_or_b64 exec, exec, s[4:5]
	v_cmp_gt_u32_e64 s[0:1], s6, v21
	s_and_saveexec_b64 s[4:5], s[0:1]
	s_cbranch_execnz .LBB1679_370
.LBB1679_396:
	s_or_b64 exec, exec, s[4:5]
	v_cmp_gt_u32_e64 s[0:1], s6, v18
	s_and_saveexec_b64 s[4:5], s[0:1]
	s_cbranch_execz .LBB1679_371
.LBB1679_397:
	s_waitcnt vmcnt(4)
	ds_write_b16 v26, v96 offset:256
	s_or_b64 exec, exec, s[4:5]
	v_cmp_gt_u32_e64 s[0:1], s6, v17
	s_and_saveexec_b64 s[4:5], s[0:1]
	s_cbranch_execnz .LBB1679_372
.LBB1679_398:
	s_or_b64 exec, exec, s[4:5]
	v_cmp_gt_u32_e64 s[0:1], s6, v16
	s_and_saveexec_b64 s[4:5], s[0:1]
	s_cbranch_execz .LBB1679_373
.LBB1679_399:
	s_waitcnt vmcnt(2)
	ds_write_b16 v22, v6 offset:256
	s_or_b64 exec, exec, s[4:5]
	v_cmp_gt_u32_e64 s[0:1], s6, v13
	s_and_saveexec_b64 s[4:5], s[0:1]
	s_cbranch_execnz .LBB1679_374
	s_branch .LBB1679_375
	.section	.rodata,"a",@progbits
	.p2align	6, 0x0
	.amdhsa_kernel _ZN7rocprim17ROCPRIM_400000_NS6detail17trampoline_kernelINS0_14default_configENS1_35radix_sort_onesweep_config_selectorIssEEZZNS1_29radix_sort_onesweep_iterationIS3_Lb0EN6thrust23THRUST_200600_302600_NS6detail15normal_iteratorINS8_10device_ptrIsEEEESD_SD_SD_jNS0_19identity_decomposerENS1_16block_id_wrapperIjLb0EEEEE10hipError_tT1_PNSt15iterator_traitsISI_E10value_typeET2_T3_PNSJ_ISO_E10value_typeET4_T5_PST_SU_PNS1_23onesweep_lookback_stateEbbT6_jjT7_P12ihipStream_tbENKUlT_T0_SI_SN_E_clISD_PsSD_S15_EEDaS11_S12_SI_SN_EUlS11_E_NS1_11comp_targetILNS1_3genE6ELNS1_11target_archE950ELNS1_3gpuE13ELNS1_3repE0EEENS1_47radix_sort_onesweep_sort_config_static_selectorELNS0_4arch9wavefront6targetE1EEEvSI_
		.amdhsa_group_segment_fixed_size 22792
		.amdhsa_private_segment_fixed_size 0
		.amdhsa_kernarg_size 344
		.amdhsa_user_sgpr_count 2
		.amdhsa_user_sgpr_dispatch_ptr 0
		.amdhsa_user_sgpr_queue_ptr 0
		.amdhsa_user_sgpr_kernarg_segment_ptr 1
		.amdhsa_user_sgpr_dispatch_id 0
		.amdhsa_user_sgpr_kernarg_preload_length 0
		.amdhsa_user_sgpr_kernarg_preload_offset 0
		.amdhsa_user_sgpr_private_segment_size 0
		.amdhsa_uses_dynamic_stack 0
		.amdhsa_enable_private_segment 0
		.amdhsa_system_sgpr_workgroup_id_x 1
		.amdhsa_system_sgpr_workgroup_id_y 0
		.amdhsa_system_sgpr_workgroup_id_z 0
		.amdhsa_system_sgpr_workgroup_info 0
		.amdhsa_system_vgpr_workitem_id 2
		.amdhsa_next_free_vgpr 119
		.amdhsa_next_free_sgpr 100
		.amdhsa_accum_offset 120
		.amdhsa_reserve_vcc 1
		.amdhsa_float_round_mode_32 0
		.amdhsa_float_round_mode_16_64 0
		.amdhsa_float_denorm_mode_32 3
		.amdhsa_float_denorm_mode_16_64 3
		.amdhsa_dx10_clamp 1
		.amdhsa_ieee_mode 1
		.amdhsa_fp16_overflow 0
		.amdhsa_tg_split 0
		.amdhsa_exception_fp_ieee_invalid_op 0
		.amdhsa_exception_fp_denorm_src 0
		.amdhsa_exception_fp_ieee_div_zero 0
		.amdhsa_exception_fp_ieee_overflow 0
		.amdhsa_exception_fp_ieee_underflow 0
		.amdhsa_exception_fp_ieee_inexact 0
		.amdhsa_exception_int_div_zero 0
	.end_amdhsa_kernel
	.section	.text._ZN7rocprim17ROCPRIM_400000_NS6detail17trampoline_kernelINS0_14default_configENS1_35radix_sort_onesweep_config_selectorIssEEZZNS1_29radix_sort_onesweep_iterationIS3_Lb0EN6thrust23THRUST_200600_302600_NS6detail15normal_iteratorINS8_10device_ptrIsEEEESD_SD_SD_jNS0_19identity_decomposerENS1_16block_id_wrapperIjLb0EEEEE10hipError_tT1_PNSt15iterator_traitsISI_E10value_typeET2_T3_PNSJ_ISO_E10value_typeET4_T5_PST_SU_PNS1_23onesweep_lookback_stateEbbT6_jjT7_P12ihipStream_tbENKUlT_T0_SI_SN_E_clISD_PsSD_S15_EEDaS11_S12_SI_SN_EUlS11_E_NS1_11comp_targetILNS1_3genE6ELNS1_11target_archE950ELNS1_3gpuE13ELNS1_3repE0EEENS1_47radix_sort_onesweep_sort_config_static_selectorELNS0_4arch9wavefront6targetE1EEEvSI_,"axG",@progbits,_ZN7rocprim17ROCPRIM_400000_NS6detail17trampoline_kernelINS0_14default_configENS1_35radix_sort_onesweep_config_selectorIssEEZZNS1_29radix_sort_onesweep_iterationIS3_Lb0EN6thrust23THRUST_200600_302600_NS6detail15normal_iteratorINS8_10device_ptrIsEEEESD_SD_SD_jNS0_19identity_decomposerENS1_16block_id_wrapperIjLb0EEEEE10hipError_tT1_PNSt15iterator_traitsISI_E10value_typeET2_T3_PNSJ_ISO_E10value_typeET4_T5_PST_SU_PNS1_23onesweep_lookback_stateEbbT6_jjT7_P12ihipStream_tbENKUlT_T0_SI_SN_E_clISD_PsSD_S15_EEDaS11_S12_SI_SN_EUlS11_E_NS1_11comp_targetILNS1_3genE6ELNS1_11target_archE950ELNS1_3gpuE13ELNS1_3repE0EEENS1_47radix_sort_onesweep_sort_config_static_selectorELNS0_4arch9wavefront6targetE1EEEvSI_,comdat
.Lfunc_end1679:
	.size	_ZN7rocprim17ROCPRIM_400000_NS6detail17trampoline_kernelINS0_14default_configENS1_35radix_sort_onesweep_config_selectorIssEEZZNS1_29radix_sort_onesweep_iterationIS3_Lb0EN6thrust23THRUST_200600_302600_NS6detail15normal_iteratorINS8_10device_ptrIsEEEESD_SD_SD_jNS0_19identity_decomposerENS1_16block_id_wrapperIjLb0EEEEE10hipError_tT1_PNSt15iterator_traitsISI_E10value_typeET2_T3_PNSJ_ISO_E10value_typeET4_T5_PST_SU_PNS1_23onesweep_lookback_stateEbbT6_jjT7_P12ihipStream_tbENKUlT_T0_SI_SN_E_clISD_PsSD_S15_EEDaS11_S12_SI_SN_EUlS11_E_NS1_11comp_targetILNS1_3genE6ELNS1_11target_archE950ELNS1_3gpuE13ELNS1_3repE0EEENS1_47radix_sort_onesweep_sort_config_static_selectorELNS0_4arch9wavefront6targetE1EEEvSI_, .Lfunc_end1679-_ZN7rocprim17ROCPRIM_400000_NS6detail17trampoline_kernelINS0_14default_configENS1_35radix_sort_onesweep_config_selectorIssEEZZNS1_29radix_sort_onesweep_iterationIS3_Lb0EN6thrust23THRUST_200600_302600_NS6detail15normal_iteratorINS8_10device_ptrIsEEEESD_SD_SD_jNS0_19identity_decomposerENS1_16block_id_wrapperIjLb0EEEEE10hipError_tT1_PNSt15iterator_traitsISI_E10value_typeET2_T3_PNSJ_ISO_E10value_typeET4_T5_PST_SU_PNS1_23onesweep_lookback_stateEbbT6_jjT7_P12ihipStream_tbENKUlT_T0_SI_SN_E_clISD_PsSD_S15_EEDaS11_S12_SI_SN_EUlS11_E_NS1_11comp_targetILNS1_3genE6ELNS1_11target_archE950ELNS1_3gpuE13ELNS1_3repE0EEENS1_47radix_sort_onesweep_sort_config_static_selectorELNS0_4arch9wavefront6targetE1EEEvSI_
                                        ; -- End function
	.set _ZN7rocprim17ROCPRIM_400000_NS6detail17trampoline_kernelINS0_14default_configENS1_35radix_sort_onesweep_config_selectorIssEEZZNS1_29radix_sort_onesweep_iterationIS3_Lb0EN6thrust23THRUST_200600_302600_NS6detail15normal_iteratorINS8_10device_ptrIsEEEESD_SD_SD_jNS0_19identity_decomposerENS1_16block_id_wrapperIjLb0EEEEE10hipError_tT1_PNSt15iterator_traitsISI_E10value_typeET2_T3_PNSJ_ISO_E10value_typeET4_T5_PST_SU_PNS1_23onesweep_lookback_stateEbbT6_jjT7_P12ihipStream_tbENKUlT_T0_SI_SN_E_clISD_PsSD_S15_EEDaS11_S12_SI_SN_EUlS11_E_NS1_11comp_targetILNS1_3genE6ELNS1_11target_archE950ELNS1_3gpuE13ELNS1_3repE0EEENS1_47radix_sort_onesweep_sort_config_static_selectorELNS0_4arch9wavefront6targetE1EEEvSI_.num_vgpr, 119
	.set _ZN7rocprim17ROCPRIM_400000_NS6detail17trampoline_kernelINS0_14default_configENS1_35radix_sort_onesweep_config_selectorIssEEZZNS1_29radix_sort_onesweep_iterationIS3_Lb0EN6thrust23THRUST_200600_302600_NS6detail15normal_iteratorINS8_10device_ptrIsEEEESD_SD_SD_jNS0_19identity_decomposerENS1_16block_id_wrapperIjLb0EEEEE10hipError_tT1_PNSt15iterator_traitsISI_E10value_typeET2_T3_PNSJ_ISO_E10value_typeET4_T5_PST_SU_PNS1_23onesweep_lookback_stateEbbT6_jjT7_P12ihipStream_tbENKUlT_T0_SI_SN_E_clISD_PsSD_S15_EEDaS11_S12_SI_SN_EUlS11_E_NS1_11comp_targetILNS1_3genE6ELNS1_11target_archE950ELNS1_3gpuE13ELNS1_3repE0EEENS1_47radix_sort_onesweep_sort_config_static_selectorELNS0_4arch9wavefront6targetE1EEEvSI_.num_agpr, 0
	.set _ZN7rocprim17ROCPRIM_400000_NS6detail17trampoline_kernelINS0_14default_configENS1_35radix_sort_onesweep_config_selectorIssEEZZNS1_29radix_sort_onesweep_iterationIS3_Lb0EN6thrust23THRUST_200600_302600_NS6detail15normal_iteratorINS8_10device_ptrIsEEEESD_SD_SD_jNS0_19identity_decomposerENS1_16block_id_wrapperIjLb0EEEEE10hipError_tT1_PNSt15iterator_traitsISI_E10value_typeET2_T3_PNSJ_ISO_E10value_typeET4_T5_PST_SU_PNS1_23onesweep_lookback_stateEbbT6_jjT7_P12ihipStream_tbENKUlT_T0_SI_SN_E_clISD_PsSD_S15_EEDaS11_S12_SI_SN_EUlS11_E_NS1_11comp_targetILNS1_3genE6ELNS1_11target_archE950ELNS1_3gpuE13ELNS1_3repE0EEENS1_47radix_sort_onesweep_sort_config_static_selectorELNS0_4arch9wavefront6targetE1EEEvSI_.numbered_sgpr, 100
	.set _ZN7rocprim17ROCPRIM_400000_NS6detail17trampoline_kernelINS0_14default_configENS1_35radix_sort_onesweep_config_selectorIssEEZZNS1_29radix_sort_onesweep_iterationIS3_Lb0EN6thrust23THRUST_200600_302600_NS6detail15normal_iteratorINS8_10device_ptrIsEEEESD_SD_SD_jNS0_19identity_decomposerENS1_16block_id_wrapperIjLb0EEEEE10hipError_tT1_PNSt15iterator_traitsISI_E10value_typeET2_T3_PNSJ_ISO_E10value_typeET4_T5_PST_SU_PNS1_23onesweep_lookback_stateEbbT6_jjT7_P12ihipStream_tbENKUlT_T0_SI_SN_E_clISD_PsSD_S15_EEDaS11_S12_SI_SN_EUlS11_E_NS1_11comp_targetILNS1_3genE6ELNS1_11target_archE950ELNS1_3gpuE13ELNS1_3repE0EEENS1_47radix_sort_onesweep_sort_config_static_selectorELNS0_4arch9wavefront6targetE1EEEvSI_.num_named_barrier, 0
	.set _ZN7rocprim17ROCPRIM_400000_NS6detail17trampoline_kernelINS0_14default_configENS1_35radix_sort_onesweep_config_selectorIssEEZZNS1_29radix_sort_onesweep_iterationIS3_Lb0EN6thrust23THRUST_200600_302600_NS6detail15normal_iteratorINS8_10device_ptrIsEEEESD_SD_SD_jNS0_19identity_decomposerENS1_16block_id_wrapperIjLb0EEEEE10hipError_tT1_PNSt15iterator_traitsISI_E10value_typeET2_T3_PNSJ_ISO_E10value_typeET4_T5_PST_SU_PNS1_23onesweep_lookback_stateEbbT6_jjT7_P12ihipStream_tbENKUlT_T0_SI_SN_E_clISD_PsSD_S15_EEDaS11_S12_SI_SN_EUlS11_E_NS1_11comp_targetILNS1_3genE6ELNS1_11target_archE950ELNS1_3gpuE13ELNS1_3repE0EEENS1_47radix_sort_onesweep_sort_config_static_selectorELNS0_4arch9wavefront6targetE1EEEvSI_.private_seg_size, 0
	.set _ZN7rocprim17ROCPRIM_400000_NS6detail17trampoline_kernelINS0_14default_configENS1_35radix_sort_onesweep_config_selectorIssEEZZNS1_29radix_sort_onesweep_iterationIS3_Lb0EN6thrust23THRUST_200600_302600_NS6detail15normal_iteratorINS8_10device_ptrIsEEEESD_SD_SD_jNS0_19identity_decomposerENS1_16block_id_wrapperIjLb0EEEEE10hipError_tT1_PNSt15iterator_traitsISI_E10value_typeET2_T3_PNSJ_ISO_E10value_typeET4_T5_PST_SU_PNS1_23onesweep_lookback_stateEbbT6_jjT7_P12ihipStream_tbENKUlT_T0_SI_SN_E_clISD_PsSD_S15_EEDaS11_S12_SI_SN_EUlS11_E_NS1_11comp_targetILNS1_3genE6ELNS1_11target_archE950ELNS1_3gpuE13ELNS1_3repE0EEENS1_47radix_sort_onesweep_sort_config_static_selectorELNS0_4arch9wavefront6targetE1EEEvSI_.uses_vcc, 1
	.set _ZN7rocprim17ROCPRIM_400000_NS6detail17trampoline_kernelINS0_14default_configENS1_35radix_sort_onesweep_config_selectorIssEEZZNS1_29radix_sort_onesweep_iterationIS3_Lb0EN6thrust23THRUST_200600_302600_NS6detail15normal_iteratorINS8_10device_ptrIsEEEESD_SD_SD_jNS0_19identity_decomposerENS1_16block_id_wrapperIjLb0EEEEE10hipError_tT1_PNSt15iterator_traitsISI_E10value_typeET2_T3_PNSJ_ISO_E10value_typeET4_T5_PST_SU_PNS1_23onesweep_lookback_stateEbbT6_jjT7_P12ihipStream_tbENKUlT_T0_SI_SN_E_clISD_PsSD_S15_EEDaS11_S12_SI_SN_EUlS11_E_NS1_11comp_targetILNS1_3genE6ELNS1_11target_archE950ELNS1_3gpuE13ELNS1_3repE0EEENS1_47radix_sort_onesweep_sort_config_static_selectorELNS0_4arch9wavefront6targetE1EEEvSI_.uses_flat_scratch, 0
	.set _ZN7rocprim17ROCPRIM_400000_NS6detail17trampoline_kernelINS0_14default_configENS1_35radix_sort_onesweep_config_selectorIssEEZZNS1_29radix_sort_onesweep_iterationIS3_Lb0EN6thrust23THRUST_200600_302600_NS6detail15normal_iteratorINS8_10device_ptrIsEEEESD_SD_SD_jNS0_19identity_decomposerENS1_16block_id_wrapperIjLb0EEEEE10hipError_tT1_PNSt15iterator_traitsISI_E10value_typeET2_T3_PNSJ_ISO_E10value_typeET4_T5_PST_SU_PNS1_23onesweep_lookback_stateEbbT6_jjT7_P12ihipStream_tbENKUlT_T0_SI_SN_E_clISD_PsSD_S15_EEDaS11_S12_SI_SN_EUlS11_E_NS1_11comp_targetILNS1_3genE6ELNS1_11target_archE950ELNS1_3gpuE13ELNS1_3repE0EEENS1_47radix_sort_onesweep_sort_config_static_selectorELNS0_4arch9wavefront6targetE1EEEvSI_.has_dyn_sized_stack, 0
	.set _ZN7rocprim17ROCPRIM_400000_NS6detail17trampoline_kernelINS0_14default_configENS1_35radix_sort_onesweep_config_selectorIssEEZZNS1_29radix_sort_onesweep_iterationIS3_Lb0EN6thrust23THRUST_200600_302600_NS6detail15normal_iteratorINS8_10device_ptrIsEEEESD_SD_SD_jNS0_19identity_decomposerENS1_16block_id_wrapperIjLb0EEEEE10hipError_tT1_PNSt15iterator_traitsISI_E10value_typeET2_T3_PNSJ_ISO_E10value_typeET4_T5_PST_SU_PNS1_23onesweep_lookback_stateEbbT6_jjT7_P12ihipStream_tbENKUlT_T0_SI_SN_E_clISD_PsSD_S15_EEDaS11_S12_SI_SN_EUlS11_E_NS1_11comp_targetILNS1_3genE6ELNS1_11target_archE950ELNS1_3gpuE13ELNS1_3repE0EEENS1_47radix_sort_onesweep_sort_config_static_selectorELNS0_4arch9wavefront6targetE1EEEvSI_.has_recursion, 0
	.set _ZN7rocprim17ROCPRIM_400000_NS6detail17trampoline_kernelINS0_14default_configENS1_35radix_sort_onesweep_config_selectorIssEEZZNS1_29radix_sort_onesweep_iterationIS3_Lb0EN6thrust23THRUST_200600_302600_NS6detail15normal_iteratorINS8_10device_ptrIsEEEESD_SD_SD_jNS0_19identity_decomposerENS1_16block_id_wrapperIjLb0EEEEE10hipError_tT1_PNSt15iterator_traitsISI_E10value_typeET2_T3_PNSJ_ISO_E10value_typeET4_T5_PST_SU_PNS1_23onesweep_lookback_stateEbbT6_jjT7_P12ihipStream_tbENKUlT_T0_SI_SN_E_clISD_PsSD_S15_EEDaS11_S12_SI_SN_EUlS11_E_NS1_11comp_targetILNS1_3genE6ELNS1_11target_archE950ELNS1_3gpuE13ELNS1_3repE0EEENS1_47radix_sort_onesweep_sort_config_static_selectorELNS0_4arch9wavefront6targetE1EEEvSI_.has_indirect_call, 0
	.section	.AMDGPU.csdata,"",@progbits
; Kernel info:
; codeLenInByte = 30208
; TotalNumSgprs: 106
; NumVgprs: 119
; NumAgprs: 0
; TotalNumVgprs: 119
; ScratchSize: 0
; MemoryBound: 0
; FloatMode: 240
; IeeeMode: 1
; LDSByteSize: 22792 bytes/workgroup (compile time only)
; SGPRBlocks: 13
; VGPRBlocks: 14
; NumSGPRsForWavesPerEU: 106
; NumVGPRsForWavesPerEU: 119
; AccumOffset: 120
; Occupancy: 4
; WaveLimiterHint : 1
; COMPUTE_PGM_RSRC2:SCRATCH_EN: 0
; COMPUTE_PGM_RSRC2:USER_SGPR: 2
; COMPUTE_PGM_RSRC2:TRAP_HANDLER: 0
; COMPUTE_PGM_RSRC2:TGID_X_EN: 1
; COMPUTE_PGM_RSRC2:TGID_Y_EN: 0
; COMPUTE_PGM_RSRC2:TGID_Z_EN: 0
; COMPUTE_PGM_RSRC2:TIDIG_COMP_CNT: 2
; COMPUTE_PGM_RSRC3_GFX90A:ACCUM_OFFSET: 29
; COMPUTE_PGM_RSRC3_GFX90A:TG_SPLIT: 0
	.section	.text._ZN7rocprim17ROCPRIM_400000_NS6detail17trampoline_kernelINS0_14default_configENS1_35radix_sort_onesweep_config_selectorIssEEZZNS1_29radix_sort_onesweep_iterationIS3_Lb0EN6thrust23THRUST_200600_302600_NS6detail15normal_iteratorINS8_10device_ptrIsEEEESD_SD_SD_jNS0_19identity_decomposerENS1_16block_id_wrapperIjLb0EEEEE10hipError_tT1_PNSt15iterator_traitsISI_E10value_typeET2_T3_PNSJ_ISO_E10value_typeET4_T5_PST_SU_PNS1_23onesweep_lookback_stateEbbT6_jjT7_P12ihipStream_tbENKUlT_T0_SI_SN_E_clISD_PsSD_S15_EEDaS11_S12_SI_SN_EUlS11_E_NS1_11comp_targetILNS1_3genE5ELNS1_11target_archE942ELNS1_3gpuE9ELNS1_3repE0EEENS1_47radix_sort_onesweep_sort_config_static_selectorELNS0_4arch9wavefront6targetE1EEEvSI_,"axG",@progbits,_ZN7rocprim17ROCPRIM_400000_NS6detail17trampoline_kernelINS0_14default_configENS1_35radix_sort_onesweep_config_selectorIssEEZZNS1_29radix_sort_onesweep_iterationIS3_Lb0EN6thrust23THRUST_200600_302600_NS6detail15normal_iteratorINS8_10device_ptrIsEEEESD_SD_SD_jNS0_19identity_decomposerENS1_16block_id_wrapperIjLb0EEEEE10hipError_tT1_PNSt15iterator_traitsISI_E10value_typeET2_T3_PNSJ_ISO_E10value_typeET4_T5_PST_SU_PNS1_23onesweep_lookback_stateEbbT6_jjT7_P12ihipStream_tbENKUlT_T0_SI_SN_E_clISD_PsSD_S15_EEDaS11_S12_SI_SN_EUlS11_E_NS1_11comp_targetILNS1_3genE5ELNS1_11target_archE942ELNS1_3gpuE9ELNS1_3repE0EEENS1_47radix_sort_onesweep_sort_config_static_selectorELNS0_4arch9wavefront6targetE1EEEvSI_,comdat
	.protected	_ZN7rocprim17ROCPRIM_400000_NS6detail17trampoline_kernelINS0_14default_configENS1_35radix_sort_onesweep_config_selectorIssEEZZNS1_29radix_sort_onesweep_iterationIS3_Lb0EN6thrust23THRUST_200600_302600_NS6detail15normal_iteratorINS8_10device_ptrIsEEEESD_SD_SD_jNS0_19identity_decomposerENS1_16block_id_wrapperIjLb0EEEEE10hipError_tT1_PNSt15iterator_traitsISI_E10value_typeET2_T3_PNSJ_ISO_E10value_typeET4_T5_PST_SU_PNS1_23onesweep_lookback_stateEbbT6_jjT7_P12ihipStream_tbENKUlT_T0_SI_SN_E_clISD_PsSD_S15_EEDaS11_S12_SI_SN_EUlS11_E_NS1_11comp_targetILNS1_3genE5ELNS1_11target_archE942ELNS1_3gpuE9ELNS1_3repE0EEENS1_47radix_sort_onesweep_sort_config_static_selectorELNS0_4arch9wavefront6targetE1EEEvSI_ ; -- Begin function _ZN7rocprim17ROCPRIM_400000_NS6detail17trampoline_kernelINS0_14default_configENS1_35radix_sort_onesweep_config_selectorIssEEZZNS1_29radix_sort_onesweep_iterationIS3_Lb0EN6thrust23THRUST_200600_302600_NS6detail15normal_iteratorINS8_10device_ptrIsEEEESD_SD_SD_jNS0_19identity_decomposerENS1_16block_id_wrapperIjLb0EEEEE10hipError_tT1_PNSt15iterator_traitsISI_E10value_typeET2_T3_PNSJ_ISO_E10value_typeET4_T5_PST_SU_PNS1_23onesweep_lookback_stateEbbT6_jjT7_P12ihipStream_tbENKUlT_T0_SI_SN_E_clISD_PsSD_S15_EEDaS11_S12_SI_SN_EUlS11_E_NS1_11comp_targetILNS1_3genE5ELNS1_11target_archE942ELNS1_3gpuE9ELNS1_3repE0EEENS1_47radix_sort_onesweep_sort_config_static_selectorELNS0_4arch9wavefront6targetE1EEEvSI_
	.globl	_ZN7rocprim17ROCPRIM_400000_NS6detail17trampoline_kernelINS0_14default_configENS1_35radix_sort_onesweep_config_selectorIssEEZZNS1_29radix_sort_onesweep_iterationIS3_Lb0EN6thrust23THRUST_200600_302600_NS6detail15normal_iteratorINS8_10device_ptrIsEEEESD_SD_SD_jNS0_19identity_decomposerENS1_16block_id_wrapperIjLb0EEEEE10hipError_tT1_PNSt15iterator_traitsISI_E10value_typeET2_T3_PNSJ_ISO_E10value_typeET4_T5_PST_SU_PNS1_23onesweep_lookback_stateEbbT6_jjT7_P12ihipStream_tbENKUlT_T0_SI_SN_E_clISD_PsSD_S15_EEDaS11_S12_SI_SN_EUlS11_E_NS1_11comp_targetILNS1_3genE5ELNS1_11target_archE942ELNS1_3gpuE9ELNS1_3repE0EEENS1_47radix_sort_onesweep_sort_config_static_selectorELNS0_4arch9wavefront6targetE1EEEvSI_
	.p2align	8
	.type	_ZN7rocprim17ROCPRIM_400000_NS6detail17trampoline_kernelINS0_14default_configENS1_35radix_sort_onesweep_config_selectorIssEEZZNS1_29radix_sort_onesweep_iterationIS3_Lb0EN6thrust23THRUST_200600_302600_NS6detail15normal_iteratorINS8_10device_ptrIsEEEESD_SD_SD_jNS0_19identity_decomposerENS1_16block_id_wrapperIjLb0EEEEE10hipError_tT1_PNSt15iterator_traitsISI_E10value_typeET2_T3_PNSJ_ISO_E10value_typeET4_T5_PST_SU_PNS1_23onesweep_lookback_stateEbbT6_jjT7_P12ihipStream_tbENKUlT_T0_SI_SN_E_clISD_PsSD_S15_EEDaS11_S12_SI_SN_EUlS11_E_NS1_11comp_targetILNS1_3genE5ELNS1_11target_archE942ELNS1_3gpuE9ELNS1_3repE0EEENS1_47radix_sort_onesweep_sort_config_static_selectorELNS0_4arch9wavefront6targetE1EEEvSI_,@function
_ZN7rocprim17ROCPRIM_400000_NS6detail17trampoline_kernelINS0_14default_configENS1_35radix_sort_onesweep_config_selectorIssEEZZNS1_29radix_sort_onesweep_iterationIS3_Lb0EN6thrust23THRUST_200600_302600_NS6detail15normal_iteratorINS8_10device_ptrIsEEEESD_SD_SD_jNS0_19identity_decomposerENS1_16block_id_wrapperIjLb0EEEEE10hipError_tT1_PNSt15iterator_traitsISI_E10value_typeET2_T3_PNSJ_ISO_E10value_typeET4_T5_PST_SU_PNS1_23onesweep_lookback_stateEbbT6_jjT7_P12ihipStream_tbENKUlT_T0_SI_SN_E_clISD_PsSD_S15_EEDaS11_S12_SI_SN_EUlS11_E_NS1_11comp_targetILNS1_3genE5ELNS1_11target_archE942ELNS1_3gpuE9ELNS1_3repE0EEENS1_47radix_sort_onesweep_sort_config_static_selectorELNS0_4arch9wavefront6targetE1EEEvSI_: ; @_ZN7rocprim17ROCPRIM_400000_NS6detail17trampoline_kernelINS0_14default_configENS1_35radix_sort_onesweep_config_selectorIssEEZZNS1_29radix_sort_onesweep_iterationIS3_Lb0EN6thrust23THRUST_200600_302600_NS6detail15normal_iteratorINS8_10device_ptrIsEEEESD_SD_SD_jNS0_19identity_decomposerENS1_16block_id_wrapperIjLb0EEEEE10hipError_tT1_PNSt15iterator_traitsISI_E10value_typeET2_T3_PNSJ_ISO_E10value_typeET4_T5_PST_SU_PNS1_23onesweep_lookback_stateEbbT6_jjT7_P12ihipStream_tbENKUlT_T0_SI_SN_E_clISD_PsSD_S15_EEDaS11_S12_SI_SN_EUlS11_E_NS1_11comp_targetILNS1_3genE5ELNS1_11target_archE942ELNS1_3gpuE9ELNS1_3repE0EEENS1_47radix_sort_onesweep_sort_config_static_selectorELNS0_4arch9wavefront6targetE1EEEvSI_
; %bb.0:
	.section	.rodata,"a",@progbits
	.p2align	6, 0x0
	.amdhsa_kernel _ZN7rocprim17ROCPRIM_400000_NS6detail17trampoline_kernelINS0_14default_configENS1_35radix_sort_onesweep_config_selectorIssEEZZNS1_29radix_sort_onesweep_iterationIS3_Lb0EN6thrust23THRUST_200600_302600_NS6detail15normal_iteratorINS8_10device_ptrIsEEEESD_SD_SD_jNS0_19identity_decomposerENS1_16block_id_wrapperIjLb0EEEEE10hipError_tT1_PNSt15iterator_traitsISI_E10value_typeET2_T3_PNSJ_ISO_E10value_typeET4_T5_PST_SU_PNS1_23onesweep_lookback_stateEbbT6_jjT7_P12ihipStream_tbENKUlT_T0_SI_SN_E_clISD_PsSD_S15_EEDaS11_S12_SI_SN_EUlS11_E_NS1_11comp_targetILNS1_3genE5ELNS1_11target_archE942ELNS1_3gpuE9ELNS1_3repE0EEENS1_47radix_sort_onesweep_sort_config_static_selectorELNS0_4arch9wavefront6targetE1EEEvSI_
		.amdhsa_group_segment_fixed_size 0
		.amdhsa_private_segment_fixed_size 0
		.amdhsa_kernarg_size 88
		.amdhsa_user_sgpr_count 2
		.amdhsa_user_sgpr_dispatch_ptr 0
		.amdhsa_user_sgpr_queue_ptr 0
		.amdhsa_user_sgpr_kernarg_segment_ptr 1
		.amdhsa_user_sgpr_dispatch_id 0
		.amdhsa_user_sgpr_kernarg_preload_length 0
		.amdhsa_user_sgpr_kernarg_preload_offset 0
		.amdhsa_user_sgpr_private_segment_size 0
		.amdhsa_uses_dynamic_stack 0
		.amdhsa_enable_private_segment 0
		.amdhsa_system_sgpr_workgroup_id_x 1
		.amdhsa_system_sgpr_workgroup_id_y 0
		.amdhsa_system_sgpr_workgroup_id_z 0
		.amdhsa_system_sgpr_workgroup_info 0
		.amdhsa_system_vgpr_workitem_id 0
		.amdhsa_next_free_vgpr 1
		.amdhsa_next_free_sgpr 0
		.amdhsa_accum_offset 4
		.amdhsa_reserve_vcc 0
		.amdhsa_float_round_mode_32 0
		.amdhsa_float_round_mode_16_64 0
		.amdhsa_float_denorm_mode_32 3
		.amdhsa_float_denorm_mode_16_64 3
		.amdhsa_dx10_clamp 1
		.amdhsa_ieee_mode 1
		.amdhsa_fp16_overflow 0
		.amdhsa_tg_split 0
		.amdhsa_exception_fp_ieee_invalid_op 0
		.amdhsa_exception_fp_denorm_src 0
		.amdhsa_exception_fp_ieee_div_zero 0
		.amdhsa_exception_fp_ieee_overflow 0
		.amdhsa_exception_fp_ieee_underflow 0
		.amdhsa_exception_fp_ieee_inexact 0
		.amdhsa_exception_int_div_zero 0
	.end_amdhsa_kernel
	.section	.text._ZN7rocprim17ROCPRIM_400000_NS6detail17trampoline_kernelINS0_14default_configENS1_35radix_sort_onesweep_config_selectorIssEEZZNS1_29radix_sort_onesweep_iterationIS3_Lb0EN6thrust23THRUST_200600_302600_NS6detail15normal_iteratorINS8_10device_ptrIsEEEESD_SD_SD_jNS0_19identity_decomposerENS1_16block_id_wrapperIjLb0EEEEE10hipError_tT1_PNSt15iterator_traitsISI_E10value_typeET2_T3_PNSJ_ISO_E10value_typeET4_T5_PST_SU_PNS1_23onesweep_lookback_stateEbbT6_jjT7_P12ihipStream_tbENKUlT_T0_SI_SN_E_clISD_PsSD_S15_EEDaS11_S12_SI_SN_EUlS11_E_NS1_11comp_targetILNS1_3genE5ELNS1_11target_archE942ELNS1_3gpuE9ELNS1_3repE0EEENS1_47radix_sort_onesweep_sort_config_static_selectorELNS0_4arch9wavefront6targetE1EEEvSI_,"axG",@progbits,_ZN7rocprim17ROCPRIM_400000_NS6detail17trampoline_kernelINS0_14default_configENS1_35radix_sort_onesweep_config_selectorIssEEZZNS1_29radix_sort_onesweep_iterationIS3_Lb0EN6thrust23THRUST_200600_302600_NS6detail15normal_iteratorINS8_10device_ptrIsEEEESD_SD_SD_jNS0_19identity_decomposerENS1_16block_id_wrapperIjLb0EEEEE10hipError_tT1_PNSt15iterator_traitsISI_E10value_typeET2_T3_PNSJ_ISO_E10value_typeET4_T5_PST_SU_PNS1_23onesweep_lookback_stateEbbT6_jjT7_P12ihipStream_tbENKUlT_T0_SI_SN_E_clISD_PsSD_S15_EEDaS11_S12_SI_SN_EUlS11_E_NS1_11comp_targetILNS1_3genE5ELNS1_11target_archE942ELNS1_3gpuE9ELNS1_3repE0EEENS1_47radix_sort_onesweep_sort_config_static_selectorELNS0_4arch9wavefront6targetE1EEEvSI_,comdat
.Lfunc_end1680:
	.size	_ZN7rocprim17ROCPRIM_400000_NS6detail17trampoline_kernelINS0_14default_configENS1_35radix_sort_onesweep_config_selectorIssEEZZNS1_29radix_sort_onesweep_iterationIS3_Lb0EN6thrust23THRUST_200600_302600_NS6detail15normal_iteratorINS8_10device_ptrIsEEEESD_SD_SD_jNS0_19identity_decomposerENS1_16block_id_wrapperIjLb0EEEEE10hipError_tT1_PNSt15iterator_traitsISI_E10value_typeET2_T3_PNSJ_ISO_E10value_typeET4_T5_PST_SU_PNS1_23onesweep_lookback_stateEbbT6_jjT7_P12ihipStream_tbENKUlT_T0_SI_SN_E_clISD_PsSD_S15_EEDaS11_S12_SI_SN_EUlS11_E_NS1_11comp_targetILNS1_3genE5ELNS1_11target_archE942ELNS1_3gpuE9ELNS1_3repE0EEENS1_47radix_sort_onesweep_sort_config_static_selectorELNS0_4arch9wavefront6targetE1EEEvSI_, .Lfunc_end1680-_ZN7rocprim17ROCPRIM_400000_NS6detail17trampoline_kernelINS0_14default_configENS1_35radix_sort_onesweep_config_selectorIssEEZZNS1_29radix_sort_onesweep_iterationIS3_Lb0EN6thrust23THRUST_200600_302600_NS6detail15normal_iteratorINS8_10device_ptrIsEEEESD_SD_SD_jNS0_19identity_decomposerENS1_16block_id_wrapperIjLb0EEEEE10hipError_tT1_PNSt15iterator_traitsISI_E10value_typeET2_T3_PNSJ_ISO_E10value_typeET4_T5_PST_SU_PNS1_23onesweep_lookback_stateEbbT6_jjT7_P12ihipStream_tbENKUlT_T0_SI_SN_E_clISD_PsSD_S15_EEDaS11_S12_SI_SN_EUlS11_E_NS1_11comp_targetILNS1_3genE5ELNS1_11target_archE942ELNS1_3gpuE9ELNS1_3repE0EEENS1_47radix_sort_onesweep_sort_config_static_selectorELNS0_4arch9wavefront6targetE1EEEvSI_
                                        ; -- End function
	.set _ZN7rocprim17ROCPRIM_400000_NS6detail17trampoline_kernelINS0_14default_configENS1_35radix_sort_onesweep_config_selectorIssEEZZNS1_29radix_sort_onesweep_iterationIS3_Lb0EN6thrust23THRUST_200600_302600_NS6detail15normal_iteratorINS8_10device_ptrIsEEEESD_SD_SD_jNS0_19identity_decomposerENS1_16block_id_wrapperIjLb0EEEEE10hipError_tT1_PNSt15iterator_traitsISI_E10value_typeET2_T3_PNSJ_ISO_E10value_typeET4_T5_PST_SU_PNS1_23onesweep_lookback_stateEbbT6_jjT7_P12ihipStream_tbENKUlT_T0_SI_SN_E_clISD_PsSD_S15_EEDaS11_S12_SI_SN_EUlS11_E_NS1_11comp_targetILNS1_3genE5ELNS1_11target_archE942ELNS1_3gpuE9ELNS1_3repE0EEENS1_47radix_sort_onesweep_sort_config_static_selectorELNS0_4arch9wavefront6targetE1EEEvSI_.num_vgpr, 0
	.set _ZN7rocprim17ROCPRIM_400000_NS6detail17trampoline_kernelINS0_14default_configENS1_35radix_sort_onesweep_config_selectorIssEEZZNS1_29radix_sort_onesweep_iterationIS3_Lb0EN6thrust23THRUST_200600_302600_NS6detail15normal_iteratorINS8_10device_ptrIsEEEESD_SD_SD_jNS0_19identity_decomposerENS1_16block_id_wrapperIjLb0EEEEE10hipError_tT1_PNSt15iterator_traitsISI_E10value_typeET2_T3_PNSJ_ISO_E10value_typeET4_T5_PST_SU_PNS1_23onesweep_lookback_stateEbbT6_jjT7_P12ihipStream_tbENKUlT_T0_SI_SN_E_clISD_PsSD_S15_EEDaS11_S12_SI_SN_EUlS11_E_NS1_11comp_targetILNS1_3genE5ELNS1_11target_archE942ELNS1_3gpuE9ELNS1_3repE0EEENS1_47radix_sort_onesweep_sort_config_static_selectorELNS0_4arch9wavefront6targetE1EEEvSI_.num_agpr, 0
	.set _ZN7rocprim17ROCPRIM_400000_NS6detail17trampoline_kernelINS0_14default_configENS1_35radix_sort_onesweep_config_selectorIssEEZZNS1_29radix_sort_onesweep_iterationIS3_Lb0EN6thrust23THRUST_200600_302600_NS6detail15normal_iteratorINS8_10device_ptrIsEEEESD_SD_SD_jNS0_19identity_decomposerENS1_16block_id_wrapperIjLb0EEEEE10hipError_tT1_PNSt15iterator_traitsISI_E10value_typeET2_T3_PNSJ_ISO_E10value_typeET4_T5_PST_SU_PNS1_23onesweep_lookback_stateEbbT6_jjT7_P12ihipStream_tbENKUlT_T0_SI_SN_E_clISD_PsSD_S15_EEDaS11_S12_SI_SN_EUlS11_E_NS1_11comp_targetILNS1_3genE5ELNS1_11target_archE942ELNS1_3gpuE9ELNS1_3repE0EEENS1_47radix_sort_onesweep_sort_config_static_selectorELNS0_4arch9wavefront6targetE1EEEvSI_.numbered_sgpr, 0
	.set _ZN7rocprim17ROCPRIM_400000_NS6detail17trampoline_kernelINS0_14default_configENS1_35radix_sort_onesweep_config_selectorIssEEZZNS1_29radix_sort_onesweep_iterationIS3_Lb0EN6thrust23THRUST_200600_302600_NS6detail15normal_iteratorINS8_10device_ptrIsEEEESD_SD_SD_jNS0_19identity_decomposerENS1_16block_id_wrapperIjLb0EEEEE10hipError_tT1_PNSt15iterator_traitsISI_E10value_typeET2_T3_PNSJ_ISO_E10value_typeET4_T5_PST_SU_PNS1_23onesweep_lookback_stateEbbT6_jjT7_P12ihipStream_tbENKUlT_T0_SI_SN_E_clISD_PsSD_S15_EEDaS11_S12_SI_SN_EUlS11_E_NS1_11comp_targetILNS1_3genE5ELNS1_11target_archE942ELNS1_3gpuE9ELNS1_3repE0EEENS1_47radix_sort_onesweep_sort_config_static_selectorELNS0_4arch9wavefront6targetE1EEEvSI_.num_named_barrier, 0
	.set _ZN7rocprim17ROCPRIM_400000_NS6detail17trampoline_kernelINS0_14default_configENS1_35radix_sort_onesweep_config_selectorIssEEZZNS1_29radix_sort_onesweep_iterationIS3_Lb0EN6thrust23THRUST_200600_302600_NS6detail15normal_iteratorINS8_10device_ptrIsEEEESD_SD_SD_jNS0_19identity_decomposerENS1_16block_id_wrapperIjLb0EEEEE10hipError_tT1_PNSt15iterator_traitsISI_E10value_typeET2_T3_PNSJ_ISO_E10value_typeET4_T5_PST_SU_PNS1_23onesweep_lookback_stateEbbT6_jjT7_P12ihipStream_tbENKUlT_T0_SI_SN_E_clISD_PsSD_S15_EEDaS11_S12_SI_SN_EUlS11_E_NS1_11comp_targetILNS1_3genE5ELNS1_11target_archE942ELNS1_3gpuE9ELNS1_3repE0EEENS1_47radix_sort_onesweep_sort_config_static_selectorELNS0_4arch9wavefront6targetE1EEEvSI_.private_seg_size, 0
	.set _ZN7rocprim17ROCPRIM_400000_NS6detail17trampoline_kernelINS0_14default_configENS1_35radix_sort_onesweep_config_selectorIssEEZZNS1_29radix_sort_onesweep_iterationIS3_Lb0EN6thrust23THRUST_200600_302600_NS6detail15normal_iteratorINS8_10device_ptrIsEEEESD_SD_SD_jNS0_19identity_decomposerENS1_16block_id_wrapperIjLb0EEEEE10hipError_tT1_PNSt15iterator_traitsISI_E10value_typeET2_T3_PNSJ_ISO_E10value_typeET4_T5_PST_SU_PNS1_23onesweep_lookback_stateEbbT6_jjT7_P12ihipStream_tbENKUlT_T0_SI_SN_E_clISD_PsSD_S15_EEDaS11_S12_SI_SN_EUlS11_E_NS1_11comp_targetILNS1_3genE5ELNS1_11target_archE942ELNS1_3gpuE9ELNS1_3repE0EEENS1_47radix_sort_onesweep_sort_config_static_selectorELNS0_4arch9wavefront6targetE1EEEvSI_.uses_vcc, 0
	.set _ZN7rocprim17ROCPRIM_400000_NS6detail17trampoline_kernelINS0_14default_configENS1_35radix_sort_onesweep_config_selectorIssEEZZNS1_29radix_sort_onesweep_iterationIS3_Lb0EN6thrust23THRUST_200600_302600_NS6detail15normal_iteratorINS8_10device_ptrIsEEEESD_SD_SD_jNS0_19identity_decomposerENS1_16block_id_wrapperIjLb0EEEEE10hipError_tT1_PNSt15iterator_traitsISI_E10value_typeET2_T3_PNSJ_ISO_E10value_typeET4_T5_PST_SU_PNS1_23onesweep_lookback_stateEbbT6_jjT7_P12ihipStream_tbENKUlT_T0_SI_SN_E_clISD_PsSD_S15_EEDaS11_S12_SI_SN_EUlS11_E_NS1_11comp_targetILNS1_3genE5ELNS1_11target_archE942ELNS1_3gpuE9ELNS1_3repE0EEENS1_47radix_sort_onesweep_sort_config_static_selectorELNS0_4arch9wavefront6targetE1EEEvSI_.uses_flat_scratch, 0
	.set _ZN7rocprim17ROCPRIM_400000_NS6detail17trampoline_kernelINS0_14default_configENS1_35radix_sort_onesweep_config_selectorIssEEZZNS1_29radix_sort_onesweep_iterationIS3_Lb0EN6thrust23THRUST_200600_302600_NS6detail15normal_iteratorINS8_10device_ptrIsEEEESD_SD_SD_jNS0_19identity_decomposerENS1_16block_id_wrapperIjLb0EEEEE10hipError_tT1_PNSt15iterator_traitsISI_E10value_typeET2_T3_PNSJ_ISO_E10value_typeET4_T5_PST_SU_PNS1_23onesweep_lookback_stateEbbT6_jjT7_P12ihipStream_tbENKUlT_T0_SI_SN_E_clISD_PsSD_S15_EEDaS11_S12_SI_SN_EUlS11_E_NS1_11comp_targetILNS1_3genE5ELNS1_11target_archE942ELNS1_3gpuE9ELNS1_3repE0EEENS1_47radix_sort_onesweep_sort_config_static_selectorELNS0_4arch9wavefront6targetE1EEEvSI_.has_dyn_sized_stack, 0
	.set _ZN7rocprim17ROCPRIM_400000_NS6detail17trampoline_kernelINS0_14default_configENS1_35radix_sort_onesweep_config_selectorIssEEZZNS1_29radix_sort_onesweep_iterationIS3_Lb0EN6thrust23THRUST_200600_302600_NS6detail15normal_iteratorINS8_10device_ptrIsEEEESD_SD_SD_jNS0_19identity_decomposerENS1_16block_id_wrapperIjLb0EEEEE10hipError_tT1_PNSt15iterator_traitsISI_E10value_typeET2_T3_PNSJ_ISO_E10value_typeET4_T5_PST_SU_PNS1_23onesweep_lookback_stateEbbT6_jjT7_P12ihipStream_tbENKUlT_T0_SI_SN_E_clISD_PsSD_S15_EEDaS11_S12_SI_SN_EUlS11_E_NS1_11comp_targetILNS1_3genE5ELNS1_11target_archE942ELNS1_3gpuE9ELNS1_3repE0EEENS1_47radix_sort_onesweep_sort_config_static_selectorELNS0_4arch9wavefront6targetE1EEEvSI_.has_recursion, 0
	.set _ZN7rocprim17ROCPRIM_400000_NS6detail17trampoline_kernelINS0_14default_configENS1_35radix_sort_onesweep_config_selectorIssEEZZNS1_29radix_sort_onesweep_iterationIS3_Lb0EN6thrust23THRUST_200600_302600_NS6detail15normal_iteratorINS8_10device_ptrIsEEEESD_SD_SD_jNS0_19identity_decomposerENS1_16block_id_wrapperIjLb0EEEEE10hipError_tT1_PNSt15iterator_traitsISI_E10value_typeET2_T3_PNSJ_ISO_E10value_typeET4_T5_PST_SU_PNS1_23onesweep_lookback_stateEbbT6_jjT7_P12ihipStream_tbENKUlT_T0_SI_SN_E_clISD_PsSD_S15_EEDaS11_S12_SI_SN_EUlS11_E_NS1_11comp_targetILNS1_3genE5ELNS1_11target_archE942ELNS1_3gpuE9ELNS1_3repE0EEENS1_47radix_sort_onesweep_sort_config_static_selectorELNS0_4arch9wavefront6targetE1EEEvSI_.has_indirect_call, 0
	.section	.AMDGPU.csdata,"",@progbits
; Kernel info:
; codeLenInByte = 0
; TotalNumSgprs: 6
; NumVgprs: 0
; NumAgprs: 0
; TotalNumVgprs: 0
; ScratchSize: 0
; MemoryBound: 0
; FloatMode: 240
; IeeeMode: 1
; LDSByteSize: 0 bytes/workgroup (compile time only)
; SGPRBlocks: 0
; VGPRBlocks: 0
; NumSGPRsForWavesPerEU: 6
; NumVGPRsForWavesPerEU: 1
; AccumOffset: 4
; Occupancy: 8
; WaveLimiterHint : 0
; COMPUTE_PGM_RSRC2:SCRATCH_EN: 0
; COMPUTE_PGM_RSRC2:USER_SGPR: 2
; COMPUTE_PGM_RSRC2:TRAP_HANDLER: 0
; COMPUTE_PGM_RSRC2:TGID_X_EN: 1
; COMPUTE_PGM_RSRC2:TGID_Y_EN: 0
; COMPUTE_PGM_RSRC2:TGID_Z_EN: 0
; COMPUTE_PGM_RSRC2:TIDIG_COMP_CNT: 0
; COMPUTE_PGM_RSRC3_GFX90A:ACCUM_OFFSET: 0
; COMPUTE_PGM_RSRC3_GFX90A:TG_SPLIT: 0
	.section	.text._ZN7rocprim17ROCPRIM_400000_NS6detail17trampoline_kernelINS0_14default_configENS1_35radix_sort_onesweep_config_selectorIssEEZZNS1_29radix_sort_onesweep_iterationIS3_Lb0EN6thrust23THRUST_200600_302600_NS6detail15normal_iteratorINS8_10device_ptrIsEEEESD_SD_SD_jNS0_19identity_decomposerENS1_16block_id_wrapperIjLb0EEEEE10hipError_tT1_PNSt15iterator_traitsISI_E10value_typeET2_T3_PNSJ_ISO_E10value_typeET4_T5_PST_SU_PNS1_23onesweep_lookback_stateEbbT6_jjT7_P12ihipStream_tbENKUlT_T0_SI_SN_E_clISD_PsSD_S15_EEDaS11_S12_SI_SN_EUlS11_E_NS1_11comp_targetILNS1_3genE2ELNS1_11target_archE906ELNS1_3gpuE6ELNS1_3repE0EEENS1_47radix_sort_onesweep_sort_config_static_selectorELNS0_4arch9wavefront6targetE1EEEvSI_,"axG",@progbits,_ZN7rocprim17ROCPRIM_400000_NS6detail17trampoline_kernelINS0_14default_configENS1_35radix_sort_onesweep_config_selectorIssEEZZNS1_29radix_sort_onesweep_iterationIS3_Lb0EN6thrust23THRUST_200600_302600_NS6detail15normal_iteratorINS8_10device_ptrIsEEEESD_SD_SD_jNS0_19identity_decomposerENS1_16block_id_wrapperIjLb0EEEEE10hipError_tT1_PNSt15iterator_traitsISI_E10value_typeET2_T3_PNSJ_ISO_E10value_typeET4_T5_PST_SU_PNS1_23onesweep_lookback_stateEbbT6_jjT7_P12ihipStream_tbENKUlT_T0_SI_SN_E_clISD_PsSD_S15_EEDaS11_S12_SI_SN_EUlS11_E_NS1_11comp_targetILNS1_3genE2ELNS1_11target_archE906ELNS1_3gpuE6ELNS1_3repE0EEENS1_47radix_sort_onesweep_sort_config_static_selectorELNS0_4arch9wavefront6targetE1EEEvSI_,comdat
	.protected	_ZN7rocprim17ROCPRIM_400000_NS6detail17trampoline_kernelINS0_14default_configENS1_35radix_sort_onesweep_config_selectorIssEEZZNS1_29radix_sort_onesweep_iterationIS3_Lb0EN6thrust23THRUST_200600_302600_NS6detail15normal_iteratorINS8_10device_ptrIsEEEESD_SD_SD_jNS0_19identity_decomposerENS1_16block_id_wrapperIjLb0EEEEE10hipError_tT1_PNSt15iterator_traitsISI_E10value_typeET2_T3_PNSJ_ISO_E10value_typeET4_T5_PST_SU_PNS1_23onesweep_lookback_stateEbbT6_jjT7_P12ihipStream_tbENKUlT_T0_SI_SN_E_clISD_PsSD_S15_EEDaS11_S12_SI_SN_EUlS11_E_NS1_11comp_targetILNS1_3genE2ELNS1_11target_archE906ELNS1_3gpuE6ELNS1_3repE0EEENS1_47radix_sort_onesweep_sort_config_static_selectorELNS0_4arch9wavefront6targetE1EEEvSI_ ; -- Begin function _ZN7rocprim17ROCPRIM_400000_NS6detail17trampoline_kernelINS0_14default_configENS1_35radix_sort_onesweep_config_selectorIssEEZZNS1_29radix_sort_onesweep_iterationIS3_Lb0EN6thrust23THRUST_200600_302600_NS6detail15normal_iteratorINS8_10device_ptrIsEEEESD_SD_SD_jNS0_19identity_decomposerENS1_16block_id_wrapperIjLb0EEEEE10hipError_tT1_PNSt15iterator_traitsISI_E10value_typeET2_T3_PNSJ_ISO_E10value_typeET4_T5_PST_SU_PNS1_23onesweep_lookback_stateEbbT6_jjT7_P12ihipStream_tbENKUlT_T0_SI_SN_E_clISD_PsSD_S15_EEDaS11_S12_SI_SN_EUlS11_E_NS1_11comp_targetILNS1_3genE2ELNS1_11target_archE906ELNS1_3gpuE6ELNS1_3repE0EEENS1_47radix_sort_onesweep_sort_config_static_selectorELNS0_4arch9wavefront6targetE1EEEvSI_
	.globl	_ZN7rocprim17ROCPRIM_400000_NS6detail17trampoline_kernelINS0_14default_configENS1_35radix_sort_onesweep_config_selectorIssEEZZNS1_29radix_sort_onesweep_iterationIS3_Lb0EN6thrust23THRUST_200600_302600_NS6detail15normal_iteratorINS8_10device_ptrIsEEEESD_SD_SD_jNS0_19identity_decomposerENS1_16block_id_wrapperIjLb0EEEEE10hipError_tT1_PNSt15iterator_traitsISI_E10value_typeET2_T3_PNSJ_ISO_E10value_typeET4_T5_PST_SU_PNS1_23onesweep_lookback_stateEbbT6_jjT7_P12ihipStream_tbENKUlT_T0_SI_SN_E_clISD_PsSD_S15_EEDaS11_S12_SI_SN_EUlS11_E_NS1_11comp_targetILNS1_3genE2ELNS1_11target_archE906ELNS1_3gpuE6ELNS1_3repE0EEENS1_47radix_sort_onesweep_sort_config_static_selectorELNS0_4arch9wavefront6targetE1EEEvSI_
	.p2align	8
	.type	_ZN7rocprim17ROCPRIM_400000_NS6detail17trampoline_kernelINS0_14default_configENS1_35radix_sort_onesweep_config_selectorIssEEZZNS1_29radix_sort_onesweep_iterationIS3_Lb0EN6thrust23THRUST_200600_302600_NS6detail15normal_iteratorINS8_10device_ptrIsEEEESD_SD_SD_jNS0_19identity_decomposerENS1_16block_id_wrapperIjLb0EEEEE10hipError_tT1_PNSt15iterator_traitsISI_E10value_typeET2_T3_PNSJ_ISO_E10value_typeET4_T5_PST_SU_PNS1_23onesweep_lookback_stateEbbT6_jjT7_P12ihipStream_tbENKUlT_T0_SI_SN_E_clISD_PsSD_S15_EEDaS11_S12_SI_SN_EUlS11_E_NS1_11comp_targetILNS1_3genE2ELNS1_11target_archE906ELNS1_3gpuE6ELNS1_3repE0EEENS1_47radix_sort_onesweep_sort_config_static_selectorELNS0_4arch9wavefront6targetE1EEEvSI_,@function
_ZN7rocprim17ROCPRIM_400000_NS6detail17trampoline_kernelINS0_14default_configENS1_35radix_sort_onesweep_config_selectorIssEEZZNS1_29radix_sort_onesweep_iterationIS3_Lb0EN6thrust23THRUST_200600_302600_NS6detail15normal_iteratorINS8_10device_ptrIsEEEESD_SD_SD_jNS0_19identity_decomposerENS1_16block_id_wrapperIjLb0EEEEE10hipError_tT1_PNSt15iterator_traitsISI_E10value_typeET2_T3_PNSJ_ISO_E10value_typeET4_T5_PST_SU_PNS1_23onesweep_lookback_stateEbbT6_jjT7_P12ihipStream_tbENKUlT_T0_SI_SN_E_clISD_PsSD_S15_EEDaS11_S12_SI_SN_EUlS11_E_NS1_11comp_targetILNS1_3genE2ELNS1_11target_archE906ELNS1_3gpuE6ELNS1_3repE0EEENS1_47radix_sort_onesweep_sort_config_static_selectorELNS0_4arch9wavefront6targetE1EEEvSI_: ; @_ZN7rocprim17ROCPRIM_400000_NS6detail17trampoline_kernelINS0_14default_configENS1_35radix_sort_onesweep_config_selectorIssEEZZNS1_29radix_sort_onesweep_iterationIS3_Lb0EN6thrust23THRUST_200600_302600_NS6detail15normal_iteratorINS8_10device_ptrIsEEEESD_SD_SD_jNS0_19identity_decomposerENS1_16block_id_wrapperIjLb0EEEEE10hipError_tT1_PNSt15iterator_traitsISI_E10value_typeET2_T3_PNSJ_ISO_E10value_typeET4_T5_PST_SU_PNS1_23onesweep_lookback_stateEbbT6_jjT7_P12ihipStream_tbENKUlT_T0_SI_SN_E_clISD_PsSD_S15_EEDaS11_S12_SI_SN_EUlS11_E_NS1_11comp_targetILNS1_3genE2ELNS1_11target_archE906ELNS1_3gpuE6ELNS1_3repE0EEENS1_47radix_sort_onesweep_sort_config_static_selectorELNS0_4arch9wavefront6targetE1EEEvSI_
; %bb.0:
	.section	.rodata,"a",@progbits
	.p2align	6, 0x0
	.amdhsa_kernel _ZN7rocprim17ROCPRIM_400000_NS6detail17trampoline_kernelINS0_14default_configENS1_35radix_sort_onesweep_config_selectorIssEEZZNS1_29radix_sort_onesweep_iterationIS3_Lb0EN6thrust23THRUST_200600_302600_NS6detail15normal_iteratorINS8_10device_ptrIsEEEESD_SD_SD_jNS0_19identity_decomposerENS1_16block_id_wrapperIjLb0EEEEE10hipError_tT1_PNSt15iterator_traitsISI_E10value_typeET2_T3_PNSJ_ISO_E10value_typeET4_T5_PST_SU_PNS1_23onesweep_lookback_stateEbbT6_jjT7_P12ihipStream_tbENKUlT_T0_SI_SN_E_clISD_PsSD_S15_EEDaS11_S12_SI_SN_EUlS11_E_NS1_11comp_targetILNS1_3genE2ELNS1_11target_archE906ELNS1_3gpuE6ELNS1_3repE0EEENS1_47radix_sort_onesweep_sort_config_static_selectorELNS0_4arch9wavefront6targetE1EEEvSI_
		.amdhsa_group_segment_fixed_size 0
		.amdhsa_private_segment_fixed_size 0
		.amdhsa_kernarg_size 88
		.amdhsa_user_sgpr_count 2
		.amdhsa_user_sgpr_dispatch_ptr 0
		.amdhsa_user_sgpr_queue_ptr 0
		.amdhsa_user_sgpr_kernarg_segment_ptr 1
		.amdhsa_user_sgpr_dispatch_id 0
		.amdhsa_user_sgpr_kernarg_preload_length 0
		.amdhsa_user_sgpr_kernarg_preload_offset 0
		.amdhsa_user_sgpr_private_segment_size 0
		.amdhsa_uses_dynamic_stack 0
		.amdhsa_enable_private_segment 0
		.amdhsa_system_sgpr_workgroup_id_x 1
		.amdhsa_system_sgpr_workgroup_id_y 0
		.amdhsa_system_sgpr_workgroup_id_z 0
		.amdhsa_system_sgpr_workgroup_info 0
		.amdhsa_system_vgpr_workitem_id 0
		.amdhsa_next_free_vgpr 1
		.amdhsa_next_free_sgpr 0
		.amdhsa_accum_offset 4
		.amdhsa_reserve_vcc 0
		.amdhsa_float_round_mode_32 0
		.amdhsa_float_round_mode_16_64 0
		.amdhsa_float_denorm_mode_32 3
		.amdhsa_float_denorm_mode_16_64 3
		.amdhsa_dx10_clamp 1
		.amdhsa_ieee_mode 1
		.amdhsa_fp16_overflow 0
		.amdhsa_tg_split 0
		.amdhsa_exception_fp_ieee_invalid_op 0
		.amdhsa_exception_fp_denorm_src 0
		.amdhsa_exception_fp_ieee_div_zero 0
		.amdhsa_exception_fp_ieee_overflow 0
		.amdhsa_exception_fp_ieee_underflow 0
		.amdhsa_exception_fp_ieee_inexact 0
		.amdhsa_exception_int_div_zero 0
	.end_amdhsa_kernel
	.section	.text._ZN7rocprim17ROCPRIM_400000_NS6detail17trampoline_kernelINS0_14default_configENS1_35radix_sort_onesweep_config_selectorIssEEZZNS1_29radix_sort_onesweep_iterationIS3_Lb0EN6thrust23THRUST_200600_302600_NS6detail15normal_iteratorINS8_10device_ptrIsEEEESD_SD_SD_jNS0_19identity_decomposerENS1_16block_id_wrapperIjLb0EEEEE10hipError_tT1_PNSt15iterator_traitsISI_E10value_typeET2_T3_PNSJ_ISO_E10value_typeET4_T5_PST_SU_PNS1_23onesweep_lookback_stateEbbT6_jjT7_P12ihipStream_tbENKUlT_T0_SI_SN_E_clISD_PsSD_S15_EEDaS11_S12_SI_SN_EUlS11_E_NS1_11comp_targetILNS1_3genE2ELNS1_11target_archE906ELNS1_3gpuE6ELNS1_3repE0EEENS1_47radix_sort_onesweep_sort_config_static_selectorELNS0_4arch9wavefront6targetE1EEEvSI_,"axG",@progbits,_ZN7rocprim17ROCPRIM_400000_NS6detail17trampoline_kernelINS0_14default_configENS1_35radix_sort_onesweep_config_selectorIssEEZZNS1_29radix_sort_onesweep_iterationIS3_Lb0EN6thrust23THRUST_200600_302600_NS6detail15normal_iteratorINS8_10device_ptrIsEEEESD_SD_SD_jNS0_19identity_decomposerENS1_16block_id_wrapperIjLb0EEEEE10hipError_tT1_PNSt15iterator_traitsISI_E10value_typeET2_T3_PNSJ_ISO_E10value_typeET4_T5_PST_SU_PNS1_23onesweep_lookback_stateEbbT6_jjT7_P12ihipStream_tbENKUlT_T0_SI_SN_E_clISD_PsSD_S15_EEDaS11_S12_SI_SN_EUlS11_E_NS1_11comp_targetILNS1_3genE2ELNS1_11target_archE906ELNS1_3gpuE6ELNS1_3repE0EEENS1_47radix_sort_onesweep_sort_config_static_selectorELNS0_4arch9wavefront6targetE1EEEvSI_,comdat
.Lfunc_end1681:
	.size	_ZN7rocprim17ROCPRIM_400000_NS6detail17trampoline_kernelINS0_14default_configENS1_35radix_sort_onesweep_config_selectorIssEEZZNS1_29radix_sort_onesweep_iterationIS3_Lb0EN6thrust23THRUST_200600_302600_NS6detail15normal_iteratorINS8_10device_ptrIsEEEESD_SD_SD_jNS0_19identity_decomposerENS1_16block_id_wrapperIjLb0EEEEE10hipError_tT1_PNSt15iterator_traitsISI_E10value_typeET2_T3_PNSJ_ISO_E10value_typeET4_T5_PST_SU_PNS1_23onesweep_lookback_stateEbbT6_jjT7_P12ihipStream_tbENKUlT_T0_SI_SN_E_clISD_PsSD_S15_EEDaS11_S12_SI_SN_EUlS11_E_NS1_11comp_targetILNS1_3genE2ELNS1_11target_archE906ELNS1_3gpuE6ELNS1_3repE0EEENS1_47radix_sort_onesweep_sort_config_static_selectorELNS0_4arch9wavefront6targetE1EEEvSI_, .Lfunc_end1681-_ZN7rocprim17ROCPRIM_400000_NS6detail17trampoline_kernelINS0_14default_configENS1_35radix_sort_onesweep_config_selectorIssEEZZNS1_29radix_sort_onesweep_iterationIS3_Lb0EN6thrust23THRUST_200600_302600_NS6detail15normal_iteratorINS8_10device_ptrIsEEEESD_SD_SD_jNS0_19identity_decomposerENS1_16block_id_wrapperIjLb0EEEEE10hipError_tT1_PNSt15iterator_traitsISI_E10value_typeET2_T3_PNSJ_ISO_E10value_typeET4_T5_PST_SU_PNS1_23onesweep_lookback_stateEbbT6_jjT7_P12ihipStream_tbENKUlT_T0_SI_SN_E_clISD_PsSD_S15_EEDaS11_S12_SI_SN_EUlS11_E_NS1_11comp_targetILNS1_3genE2ELNS1_11target_archE906ELNS1_3gpuE6ELNS1_3repE0EEENS1_47radix_sort_onesweep_sort_config_static_selectorELNS0_4arch9wavefront6targetE1EEEvSI_
                                        ; -- End function
	.set _ZN7rocprim17ROCPRIM_400000_NS6detail17trampoline_kernelINS0_14default_configENS1_35radix_sort_onesweep_config_selectorIssEEZZNS1_29radix_sort_onesweep_iterationIS3_Lb0EN6thrust23THRUST_200600_302600_NS6detail15normal_iteratorINS8_10device_ptrIsEEEESD_SD_SD_jNS0_19identity_decomposerENS1_16block_id_wrapperIjLb0EEEEE10hipError_tT1_PNSt15iterator_traitsISI_E10value_typeET2_T3_PNSJ_ISO_E10value_typeET4_T5_PST_SU_PNS1_23onesweep_lookback_stateEbbT6_jjT7_P12ihipStream_tbENKUlT_T0_SI_SN_E_clISD_PsSD_S15_EEDaS11_S12_SI_SN_EUlS11_E_NS1_11comp_targetILNS1_3genE2ELNS1_11target_archE906ELNS1_3gpuE6ELNS1_3repE0EEENS1_47radix_sort_onesweep_sort_config_static_selectorELNS0_4arch9wavefront6targetE1EEEvSI_.num_vgpr, 0
	.set _ZN7rocprim17ROCPRIM_400000_NS6detail17trampoline_kernelINS0_14default_configENS1_35radix_sort_onesweep_config_selectorIssEEZZNS1_29radix_sort_onesweep_iterationIS3_Lb0EN6thrust23THRUST_200600_302600_NS6detail15normal_iteratorINS8_10device_ptrIsEEEESD_SD_SD_jNS0_19identity_decomposerENS1_16block_id_wrapperIjLb0EEEEE10hipError_tT1_PNSt15iterator_traitsISI_E10value_typeET2_T3_PNSJ_ISO_E10value_typeET4_T5_PST_SU_PNS1_23onesweep_lookback_stateEbbT6_jjT7_P12ihipStream_tbENKUlT_T0_SI_SN_E_clISD_PsSD_S15_EEDaS11_S12_SI_SN_EUlS11_E_NS1_11comp_targetILNS1_3genE2ELNS1_11target_archE906ELNS1_3gpuE6ELNS1_3repE0EEENS1_47radix_sort_onesweep_sort_config_static_selectorELNS0_4arch9wavefront6targetE1EEEvSI_.num_agpr, 0
	.set _ZN7rocprim17ROCPRIM_400000_NS6detail17trampoline_kernelINS0_14default_configENS1_35radix_sort_onesweep_config_selectorIssEEZZNS1_29radix_sort_onesweep_iterationIS3_Lb0EN6thrust23THRUST_200600_302600_NS6detail15normal_iteratorINS8_10device_ptrIsEEEESD_SD_SD_jNS0_19identity_decomposerENS1_16block_id_wrapperIjLb0EEEEE10hipError_tT1_PNSt15iterator_traitsISI_E10value_typeET2_T3_PNSJ_ISO_E10value_typeET4_T5_PST_SU_PNS1_23onesweep_lookback_stateEbbT6_jjT7_P12ihipStream_tbENKUlT_T0_SI_SN_E_clISD_PsSD_S15_EEDaS11_S12_SI_SN_EUlS11_E_NS1_11comp_targetILNS1_3genE2ELNS1_11target_archE906ELNS1_3gpuE6ELNS1_3repE0EEENS1_47radix_sort_onesweep_sort_config_static_selectorELNS0_4arch9wavefront6targetE1EEEvSI_.numbered_sgpr, 0
	.set _ZN7rocprim17ROCPRIM_400000_NS6detail17trampoline_kernelINS0_14default_configENS1_35radix_sort_onesweep_config_selectorIssEEZZNS1_29radix_sort_onesweep_iterationIS3_Lb0EN6thrust23THRUST_200600_302600_NS6detail15normal_iteratorINS8_10device_ptrIsEEEESD_SD_SD_jNS0_19identity_decomposerENS1_16block_id_wrapperIjLb0EEEEE10hipError_tT1_PNSt15iterator_traitsISI_E10value_typeET2_T3_PNSJ_ISO_E10value_typeET4_T5_PST_SU_PNS1_23onesweep_lookback_stateEbbT6_jjT7_P12ihipStream_tbENKUlT_T0_SI_SN_E_clISD_PsSD_S15_EEDaS11_S12_SI_SN_EUlS11_E_NS1_11comp_targetILNS1_3genE2ELNS1_11target_archE906ELNS1_3gpuE6ELNS1_3repE0EEENS1_47radix_sort_onesweep_sort_config_static_selectorELNS0_4arch9wavefront6targetE1EEEvSI_.num_named_barrier, 0
	.set _ZN7rocprim17ROCPRIM_400000_NS6detail17trampoline_kernelINS0_14default_configENS1_35radix_sort_onesweep_config_selectorIssEEZZNS1_29radix_sort_onesweep_iterationIS3_Lb0EN6thrust23THRUST_200600_302600_NS6detail15normal_iteratorINS8_10device_ptrIsEEEESD_SD_SD_jNS0_19identity_decomposerENS1_16block_id_wrapperIjLb0EEEEE10hipError_tT1_PNSt15iterator_traitsISI_E10value_typeET2_T3_PNSJ_ISO_E10value_typeET4_T5_PST_SU_PNS1_23onesweep_lookback_stateEbbT6_jjT7_P12ihipStream_tbENKUlT_T0_SI_SN_E_clISD_PsSD_S15_EEDaS11_S12_SI_SN_EUlS11_E_NS1_11comp_targetILNS1_3genE2ELNS1_11target_archE906ELNS1_3gpuE6ELNS1_3repE0EEENS1_47radix_sort_onesweep_sort_config_static_selectorELNS0_4arch9wavefront6targetE1EEEvSI_.private_seg_size, 0
	.set _ZN7rocprim17ROCPRIM_400000_NS6detail17trampoline_kernelINS0_14default_configENS1_35radix_sort_onesweep_config_selectorIssEEZZNS1_29radix_sort_onesweep_iterationIS3_Lb0EN6thrust23THRUST_200600_302600_NS6detail15normal_iteratorINS8_10device_ptrIsEEEESD_SD_SD_jNS0_19identity_decomposerENS1_16block_id_wrapperIjLb0EEEEE10hipError_tT1_PNSt15iterator_traitsISI_E10value_typeET2_T3_PNSJ_ISO_E10value_typeET4_T5_PST_SU_PNS1_23onesweep_lookback_stateEbbT6_jjT7_P12ihipStream_tbENKUlT_T0_SI_SN_E_clISD_PsSD_S15_EEDaS11_S12_SI_SN_EUlS11_E_NS1_11comp_targetILNS1_3genE2ELNS1_11target_archE906ELNS1_3gpuE6ELNS1_3repE0EEENS1_47radix_sort_onesweep_sort_config_static_selectorELNS0_4arch9wavefront6targetE1EEEvSI_.uses_vcc, 0
	.set _ZN7rocprim17ROCPRIM_400000_NS6detail17trampoline_kernelINS0_14default_configENS1_35radix_sort_onesweep_config_selectorIssEEZZNS1_29radix_sort_onesweep_iterationIS3_Lb0EN6thrust23THRUST_200600_302600_NS6detail15normal_iteratorINS8_10device_ptrIsEEEESD_SD_SD_jNS0_19identity_decomposerENS1_16block_id_wrapperIjLb0EEEEE10hipError_tT1_PNSt15iterator_traitsISI_E10value_typeET2_T3_PNSJ_ISO_E10value_typeET4_T5_PST_SU_PNS1_23onesweep_lookback_stateEbbT6_jjT7_P12ihipStream_tbENKUlT_T0_SI_SN_E_clISD_PsSD_S15_EEDaS11_S12_SI_SN_EUlS11_E_NS1_11comp_targetILNS1_3genE2ELNS1_11target_archE906ELNS1_3gpuE6ELNS1_3repE0EEENS1_47radix_sort_onesweep_sort_config_static_selectorELNS0_4arch9wavefront6targetE1EEEvSI_.uses_flat_scratch, 0
	.set _ZN7rocprim17ROCPRIM_400000_NS6detail17trampoline_kernelINS0_14default_configENS1_35radix_sort_onesweep_config_selectorIssEEZZNS1_29radix_sort_onesweep_iterationIS3_Lb0EN6thrust23THRUST_200600_302600_NS6detail15normal_iteratorINS8_10device_ptrIsEEEESD_SD_SD_jNS0_19identity_decomposerENS1_16block_id_wrapperIjLb0EEEEE10hipError_tT1_PNSt15iterator_traitsISI_E10value_typeET2_T3_PNSJ_ISO_E10value_typeET4_T5_PST_SU_PNS1_23onesweep_lookback_stateEbbT6_jjT7_P12ihipStream_tbENKUlT_T0_SI_SN_E_clISD_PsSD_S15_EEDaS11_S12_SI_SN_EUlS11_E_NS1_11comp_targetILNS1_3genE2ELNS1_11target_archE906ELNS1_3gpuE6ELNS1_3repE0EEENS1_47radix_sort_onesweep_sort_config_static_selectorELNS0_4arch9wavefront6targetE1EEEvSI_.has_dyn_sized_stack, 0
	.set _ZN7rocprim17ROCPRIM_400000_NS6detail17trampoline_kernelINS0_14default_configENS1_35radix_sort_onesweep_config_selectorIssEEZZNS1_29radix_sort_onesweep_iterationIS3_Lb0EN6thrust23THRUST_200600_302600_NS6detail15normal_iteratorINS8_10device_ptrIsEEEESD_SD_SD_jNS0_19identity_decomposerENS1_16block_id_wrapperIjLb0EEEEE10hipError_tT1_PNSt15iterator_traitsISI_E10value_typeET2_T3_PNSJ_ISO_E10value_typeET4_T5_PST_SU_PNS1_23onesweep_lookback_stateEbbT6_jjT7_P12ihipStream_tbENKUlT_T0_SI_SN_E_clISD_PsSD_S15_EEDaS11_S12_SI_SN_EUlS11_E_NS1_11comp_targetILNS1_3genE2ELNS1_11target_archE906ELNS1_3gpuE6ELNS1_3repE0EEENS1_47radix_sort_onesweep_sort_config_static_selectorELNS0_4arch9wavefront6targetE1EEEvSI_.has_recursion, 0
	.set _ZN7rocprim17ROCPRIM_400000_NS6detail17trampoline_kernelINS0_14default_configENS1_35radix_sort_onesweep_config_selectorIssEEZZNS1_29radix_sort_onesweep_iterationIS3_Lb0EN6thrust23THRUST_200600_302600_NS6detail15normal_iteratorINS8_10device_ptrIsEEEESD_SD_SD_jNS0_19identity_decomposerENS1_16block_id_wrapperIjLb0EEEEE10hipError_tT1_PNSt15iterator_traitsISI_E10value_typeET2_T3_PNSJ_ISO_E10value_typeET4_T5_PST_SU_PNS1_23onesweep_lookback_stateEbbT6_jjT7_P12ihipStream_tbENKUlT_T0_SI_SN_E_clISD_PsSD_S15_EEDaS11_S12_SI_SN_EUlS11_E_NS1_11comp_targetILNS1_3genE2ELNS1_11target_archE906ELNS1_3gpuE6ELNS1_3repE0EEENS1_47radix_sort_onesweep_sort_config_static_selectorELNS0_4arch9wavefront6targetE1EEEvSI_.has_indirect_call, 0
	.section	.AMDGPU.csdata,"",@progbits
; Kernel info:
; codeLenInByte = 0
; TotalNumSgprs: 6
; NumVgprs: 0
; NumAgprs: 0
; TotalNumVgprs: 0
; ScratchSize: 0
; MemoryBound: 0
; FloatMode: 240
; IeeeMode: 1
; LDSByteSize: 0 bytes/workgroup (compile time only)
; SGPRBlocks: 0
; VGPRBlocks: 0
; NumSGPRsForWavesPerEU: 6
; NumVGPRsForWavesPerEU: 1
; AccumOffset: 4
; Occupancy: 8
; WaveLimiterHint : 0
; COMPUTE_PGM_RSRC2:SCRATCH_EN: 0
; COMPUTE_PGM_RSRC2:USER_SGPR: 2
; COMPUTE_PGM_RSRC2:TRAP_HANDLER: 0
; COMPUTE_PGM_RSRC2:TGID_X_EN: 1
; COMPUTE_PGM_RSRC2:TGID_Y_EN: 0
; COMPUTE_PGM_RSRC2:TGID_Z_EN: 0
; COMPUTE_PGM_RSRC2:TIDIG_COMP_CNT: 0
; COMPUTE_PGM_RSRC3_GFX90A:ACCUM_OFFSET: 0
; COMPUTE_PGM_RSRC3_GFX90A:TG_SPLIT: 0
	.section	.text._ZN7rocprim17ROCPRIM_400000_NS6detail17trampoline_kernelINS0_14default_configENS1_35radix_sort_onesweep_config_selectorIssEEZZNS1_29radix_sort_onesweep_iterationIS3_Lb0EN6thrust23THRUST_200600_302600_NS6detail15normal_iteratorINS8_10device_ptrIsEEEESD_SD_SD_jNS0_19identity_decomposerENS1_16block_id_wrapperIjLb0EEEEE10hipError_tT1_PNSt15iterator_traitsISI_E10value_typeET2_T3_PNSJ_ISO_E10value_typeET4_T5_PST_SU_PNS1_23onesweep_lookback_stateEbbT6_jjT7_P12ihipStream_tbENKUlT_T0_SI_SN_E_clISD_PsSD_S15_EEDaS11_S12_SI_SN_EUlS11_E_NS1_11comp_targetILNS1_3genE4ELNS1_11target_archE910ELNS1_3gpuE8ELNS1_3repE0EEENS1_47radix_sort_onesweep_sort_config_static_selectorELNS0_4arch9wavefront6targetE1EEEvSI_,"axG",@progbits,_ZN7rocprim17ROCPRIM_400000_NS6detail17trampoline_kernelINS0_14default_configENS1_35radix_sort_onesweep_config_selectorIssEEZZNS1_29radix_sort_onesweep_iterationIS3_Lb0EN6thrust23THRUST_200600_302600_NS6detail15normal_iteratorINS8_10device_ptrIsEEEESD_SD_SD_jNS0_19identity_decomposerENS1_16block_id_wrapperIjLb0EEEEE10hipError_tT1_PNSt15iterator_traitsISI_E10value_typeET2_T3_PNSJ_ISO_E10value_typeET4_T5_PST_SU_PNS1_23onesweep_lookback_stateEbbT6_jjT7_P12ihipStream_tbENKUlT_T0_SI_SN_E_clISD_PsSD_S15_EEDaS11_S12_SI_SN_EUlS11_E_NS1_11comp_targetILNS1_3genE4ELNS1_11target_archE910ELNS1_3gpuE8ELNS1_3repE0EEENS1_47radix_sort_onesweep_sort_config_static_selectorELNS0_4arch9wavefront6targetE1EEEvSI_,comdat
	.protected	_ZN7rocprim17ROCPRIM_400000_NS6detail17trampoline_kernelINS0_14default_configENS1_35radix_sort_onesweep_config_selectorIssEEZZNS1_29radix_sort_onesweep_iterationIS3_Lb0EN6thrust23THRUST_200600_302600_NS6detail15normal_iteratorINS8_10device_ptrIsEEEESD_SD_SD_jNS0_19identity_decomposerENS1_16block_id_wrapperIjLb0EEEEE10hipError_tT1_PNSt15iterator_traitsISI_E10value_typeET2_T3_PNSJ_ISO_E10value_typeET4_T5_PST_SU_PNS1_23onesweep_lookback_stateEbbT6_jjT7_P12ihipStream_tbENKUlT_T0_SI_SN_E_clISD_PsSD_S15_EEDaS11_S12_SI_SN_EUlS11_E_NS1_11comp_targetILNS1_3genE4ELNS1_11target_archE910ELNS1_3gpuE8ELNS1_3repE0EEENS1_47radix_sort_onesweep_sort_config_static_selectorELNS0_4arch9wavefront6targetE1EEEvSI_ ; -- Begin function _ZN7rocprim17ROCPRIM_400000_NS6detail17trampoline_kernelINS0_14default_configENS1_35radix_sort_onesweep_config_selectorIssEEZZNS1_29radix_sort_onesweep_iterationIS3_Lb0EN6thrust23THRUST_200600_302600_NS6detail15normal_iteratorINS8_10device_ptrIsEEEESD_SD_SD_jNS0_19identity_decomposerENS1_16block_id_wrapperIjLb0EEEEE10hipError_tT1_PNSt15iterator_traitsISI_E10value_typeET2_T3_PNSJ_ISO_E10value_typeET4_T5_PST_SU_PNS1_23onesweep_lookback_stateEbbT6_jjT7_P12ihipStream_tbENKUlT_T0_SI_SN_E_clISD_PsSD_S15_EEDaS11_S12_SI_SN_EUlS11_E_NS1_11comp_targetILNS1_3genE4ELNS1_11target_archE910ELNS1_3gpuE8ELNS1_3repE0EEENS1_47radix_sort_onesweep_sort_config_static_selectorELNS0_4arch9wavefront6targetE1EEEvSI_
	.globl	_ZN7rocprim17ROCPRIM_400000_NS6detail17trampoline_kernelINS0_14default_configENS1_35radix_sort_onesweep_config_selectorIssEEZZNS1_29radix_sort_onesweep_iterationIS3_Lb0EN6thrust23THRUST_200600_302600_NS6detail15normal_iteratorINS8_10device_ptrIsEEEESD_SD_SD_jNS0_19identity_decomposerENS1_16block_id_wrapperIjLb0EEEEE10hipError_tT1_PNSt15iterator_traitsISI_E10value_typeET2_T3_PNSJ_ISO_E10value_typeET4_T5_PST_SU_PNS1_23onesweep_lookback_stateEbbT6_jjT7_P12ihipStream_tbENKUlT_T0_SI_SN_E_clISD_PsSD_S15_EEDaS11_S12_SI_SN_EUlS11_E_NS1_11comp_targetILNS1_3genE4ELNS1_11target_archE910ELNS1_3gpuE8ELNS1_3repE0EEENS1_47radix_sort_onesweep_sort_config_static_selectorELNS0_4arch9wavefront6targetE1EEEvSI_
	.p2align	8
	.type	_ZN7rocprim17ROCPRIM_400000_NS6detail17trampoline_kernelINS0_14default_configENS1_35radix_sort_onesweep_config_selectorIssEEZZNS1_29radix_sort_onesweep_iterationIS3_Lb0EN6thrust23THRUST_200600_302600_NS6detail15normal_iteratorINS8_10device_ptrIsEEEESD_SD_SD_jNS0_19identity_decomposerENS1_16block_id_wrapperIjLb0EEEEE10hipError_tT1_PNSt15iterator_traitsISI_E10value_typeET2_T3_PNSJ_ISO_E10value_typeET4_T5_PST_SU_PNS1_23onesweep_lookback_stateEbbT6_jjT7_P12ihipStream_tbENKUlT_T0_SI_SN_E_clISD_PsSD_S15_EEDaS11_S12_SI_SN_EUlS11_E_NS1_11comp_targetILNS1_3genE4ELNS1_11target_archE910ELNS1_3gpuE8ELNS1_3repE0EEENS1_47radix_sort_onesweep_sort_config_static_selectorELNS0_4arch9wavefront6targetE1EEEvSI_,@function
_ZN7rocprim17ROCPRIM_400000_NS6detail17trampoline_kernelINS0_14default_configENS1_35radix_sort_onesweep_config_selectorIssEEZZNS1_29radix_sort_onesweep_iterationIS3_Lb0EN6thrust23THRUST_200600_302600_NS6detail15normal_iteratorINS8_10device_ptrIsEEEESD_SD_SD_jNS0_19identity_decomposerENS1_16block_id_wrapperIjLb0EEEEE10hipError_tT1_PNSt15iterator_traitsISI_E10value_typeET2_T3_PNSJ_ISO_E10value_typeET4_T5_PST_SU_PNS1_23onesweep_lookback_stateEbbT6_jjT7_P12ihipStream_tbENKUlT_T0_SI_SN_E_clISD_PsSD_S15_EEDaS11_S12_SI_SN_EUlS11_E_NS1_11comp_targetILNS1_3genE4ELNS1_11target_archE910ELNS1_3gpuE8ELNS1_3repE0EEENS1_47radix_sort_onesweep_sort_config_static_selectorELNS0_4arch9wavefront6targetE1EEEvSI_: ; @_ZN7rocprim17ROCPRIM_400000_NS6detail17trampoline_kernelINS0_14default_configENS1_35radix_sort_onesweep_config_selectorIssEEZZNS1_29radix_sort_onesweep_iterationIS3_Lb0EN6thrust23THRUST_200600_302600_NS6detail15normal_iteratorINS8_10device_ptrIsEEEESD_SD_SD_jNS0_19identity_decomposerENS1_16block_id_wrapperIjLb0EEEEE10hipError_tT1_PNSt15iterator_traitsISI_E10value_typeET2_T3_PNSJ_ISO_E10value_typeET4_T5_PST_SU_PNS1_23onesweep_lookback_stateEbbT6_jjT7_P12ihipStream_tbENKUlT_T0_SI_SN_E_clISD_PsSD_S15_EEDaS11_S12_SI_SN_EUlS11_E_NS1_11comp_targetILNS1_3genE4ELNS1_11target_archE910ELNS1_3gpuE8ELNS1_3repE0EEENS1_47radix_sort_onesweep_sort_config_static_selectorELNS0_4arch9wavefront6targetE1EEEvSI_
; %bb.0:
	.section	.rodata,"a",@progbits
	.p2align	6, 0x0
	.amdhsa_kernel _ZN7rocprim17ROCPRIM_400000_NS6detail17trampoline_kernelINS0_14default_configENS1_35radix_sort_onesweep_config_selectorIssEEZZNS1_29radix_sort_onesweep_iterationIS3_Lb0EN6thrust23THRUST_200600_302600_NS6detail15normal_iteratorINS8_10device_ptrIsEEEESD_SD_SD_jNS0_19identity_decomposerENS1_16block_id_wrapperIjLb0EEEEE10hipError_tT1_PNSt15iterator_traitsISI_E10value_typeET2_T3_PNSJ_ISO_E10value_typeET4_T5_PST_SU_PNS1_23onesweep_lookback_stateEbbT6_jjT7_P12ihipStream_tbENKUlT_T0_SI_SN_E_clISD_PsSD_S15_EEDaS11_S12_SI_SN_EUlS11_E_NS1_11comp_targetILNS1_3genE4ELNS1_11target_archE910ELNS1_3gpuE8ELNS1_3repE0EEENS1_47radix_sort_onesweep_sort_config_static_selectorELNS0_4arch9wavefront6targetE1EEEvSI_
		.amdhsa_group_segment_fixed_size 0
		.amdhsa_private_segment_fixed_size 0
		.amdhsa_kernarg_size 88
		.amdhsa_user_sgpr_count 2
		.amdhsa_user_sgpr_dispatch_ptr 0
		.amdhsa_user_sgpr_queue_ptr 0
		.amdhsa_user_sgpr_kernarg_segment_ptr 1
		.amdhsa_user_sgpr_dispatch_id 0
		.amdhsa_user_sgpr_kernarg_preload_length 0
		.amdhsa_user_sgpr_kernarg_preload_offset 0
		.amdhsa_user_sgpr_private_segment_size 0
		.amdhsa_uses_dynamic_stack 0
		.amdhsa_enable_private_segment 0
		.amdhsa_system_sgpr_workgroup_id_x 1
		.amdhsa_system_sgpr_workgroup_id_y 0
		.amdhsa_system_sgpr_workgroup_id_z 0
		.amdhsa_system_sgpr_workgroup_info 0
		.amdhsa_system_vgpr_workitem_id 0
		.amdhsa_next_free_vgpr 1
		.amdhsa_next_free_sgpr 0
		.amdhsa_accum_offset 4
		.amdhsa_reserve_vcc 0
		.amdhsa_float_round_mode_32 0
		.amdhsa_float_round_mode_16_64 0
		.amdhsa_float_denorm_mode_32 3
		.amdhsa_float_denorm_mode_16_64 3
		.amdhsa_dx10_clamp 1
		.amdhsa_ieee_mode 1
		.amdhsa_fp16_overflow 0
		.amdhsa_tg_split 0
		.amdhsa_exception_fp_ieee_invalid_op 0
		.amdhsa_exception_fp_denorm_src 0
		.amdhsa_exception_fp_ieee_div_zero 0
		.amdhsa_exception_fp_ieee_overflow 0
		.amdhsa_exception_fp_ieee_underflow 0
		.amdhsa_exception_fp_ieee_inexact 0
		.amdhsa_exception_int_div_zero 0
	.end_amdhsa_kernel
	.section	.text._ZN7rocprim17ROCPRIM_400000_NS6detail17trampoline_kernelINS0_14default_configENS1_35radix_sort_onesweep_config_selectorIssEEZZNS1_29radix_sort_onesweep_iterationIS3_Lb0EN6thrust23THRUST_200600_302600_NS6detail15normal_iteratorINS8_10device_ptrIsEEEESD_SD_SD_jNS0_19identity_decomposerENS1_16block_id_wrapperIjLb0EEEEE10hipError_tT1_PNSt15iterator_traitsISI_E10value_typeET2_T3_PNSJ_ISO_E10value_typeET4_T5_PST_SU_PNS1_23onesweep_lookback_stateEbbT6_jjT7_P12ihipStream_tbENKUlT_T0_SI_SN_E_clISD_PsSD_S15_EEDaS11_S12_SI_SN_EUlS11_E_NS1_11comp_targetILNS1_3genE4ELNS1_11target_archE910ELNS1_3gpuE8ELNS1_3repE0EEENS1_47radix_sort_onesweep_sort_config_static_selectorELNS0_4arch9wavefront6targetE1EEEvSI_,"axG",@progbits,_ZN7rocprim17ROCPRIM_400000_NS6detail17trampoline_kernelINS0_14default_configENS1_35radix_sort_onesweep_config_selectorIssEEZZNS1_29radix_sort_onesweep_iterationIS3_Lb0EN6thrust23THRUST_200600_302600_NS6detail15normal_iteratorINS8_10device_ptrIsEEEESD_SD_SD_jNS0_19identity_decomposerENS1_16block_id_wrapperIjLb0EEEEE10hipError_tT1_PNSt15iterator_traitsISI_E10value_typeET2_T3_PNSJ_ISO_E10value_typeET4_T5_PST_SU_PNS1_23onesweep_lookback_stateEbbT6_jjT7_P12ihipStream_tbENKUlT_T0_SI_SN_E_clISD_PsSD_S15_EEDaS11_S12_SI_SN_EUlS11_E_NS1_11comp_targetILNS1_3genE4ELNS1_11target_archE910ELNS1_3gpuE8ELNS1_3repE0EEENS1_47radix_sort_onesweep_sort_config_static_selectorELNS0_4arch9wavefront6targetE1EEEvSI_,comdat
.Lfunc_end1682:
	.size	_ZN7rocprim17ROCPRIM_400000_NS6detail17trampoline_kernelINS0_14default_configENS1_35radix_sort_onesweep_config_selectorIssEEZZNS1_29radix_sort_onesweep_iterationIS3_Lb0EN6thrust23THRUST_200600_302600_NS6detail15normal_iteratorINS8_10device_ptrIsEEEESD_SD_SD_jNS0_19identity_decomposerENS1_16block_id_wrapperIjLb0EEEEE10hipError_tT1_PNSt15iterator_traitsISI_E10value_typeET2_T3_PNSJ_ISO_E10value_typeET4_T5_PST_SU_PNS1_23onesweep_lookback_stateEbbT6_jjT7_P12ihipStream_tbENKUlT_T0_SI_SN_E_clISD_PsSD_S15_EEDaS11_S12_SI_SN_EUlS11_E_NS1_11comp_targetILNS1_3genE4ELNS1_11target_archE910ELNS1_3gpuE8ELNS1_3repE0EEENS1_47radix_sort_onesweep_sort_config_static_selectorELNS0_4arch9wavefront6targetE1EEEvSI_, .Lfunc_end1682-_ZN7rocprim17ROCPRIM_400000_NS6detail17trampoline_kernelINS0_14default_configENS1_35radix_sort_onesweep_config_selectorIssEEZZNS1_29radix_sort_onesweep_iterationIS3_Lb0EN6thrust23THRUST_200600_302600_NS6detail15normal_iteratorINS8_10device_ptrIsEEEESD_SD_SD_jNS0_19identity_decomposerENS1_16block_id_wrapperIjLb0EEEEE10hipError_tT1_PNSt15iterator_traitsISI_E10value_typeET2_T3_PNSJ_ISO_E10value_typeET4_T5_PST_SU_PNS1_23onesweep_lookback_stateEbbT6_jjT7_P12ihipStream_tbENKUlT_T0_SI_SN_E_clISD_PsSD_S15_EEDaS11_S12_SI_SN_EUlS11_E_NS1_11comp_targetILNS1_3genE4ELNS1_11target_archE910ELNS1_3gpuE8ELNS1_3repE0EEENS1_47radix_sort_onesweep_sort_config_static_selectorELNS0_4arch9wavefront6targetE1EEEvSI_
                                        ; -- End function
	.set _ZN7rocprim17ROCPRIM_400000_NS6detail17trampoline_kernelINS0_14default_configENS1_35radix_sort_onesweep_config_selectorIssEEZZNS1_29radix_sort_onesweep_iterationIS3_Lb0EN6thrust23THRUST_200600_302600_NS6detail15normal_iteratorINS8_10device_ptrIsEEEESD_SD_SD_jNS0_19identity_decomposerENS1_16block_id_wrapperIjLb0EEEEE10hipError_tT1_PNSt15iterator_traitsISI_E10value_typeET2_T3_PNSJ_ISO_E10value_typeET4_T5_PST_SU_PNS1_23onesweep_lookback_stateEbbT6_jjT7_P12ihipStream_tbENKUlT_T0_SI_SN_E_clISD_PsSD_S15_EEDaS11_S12_SI_SN_EUlS11_E_NS1_11comp_targetILNS1_3genE4ELNS1_11target_archE910ELNS1_3gpuE8ELNS1_3repE0EEENS1_47radix_sort_onesweep_sort_config_static_selectorELNS0_4arch9wavefront6targetE1EEEvSI_.num_vgpr, 0
	.set _ZN7rocprim17ROCPRIM_400000_NS6detail17trampoline_kernelINS0_14default_configENS1_35radix_sort_onesweep_config_selectorIssEEZZNS1_29radix_sort_onesweep_iterationIS3_Lb0EN6thrust23THRUST_200600_302600_NS6detail15normal_iteratorINS8_10device_ptrIsEEEESD_SD_SD_jNS0_19identity_decomposerENS1_16block_id_wrapperIjLb0EEEEE10hipError_tT1_PNSt15iterator_traitsISI_E10value_typeET2_T3_PNSJ_ISO_E10value_typeET4_T5_PST_SU_PNS1_23onesweep_lookback_stateEbbT6_jjT7_P12ihipStream_tbENKUlT_T0_SI_SN_E_clISD_PsSD_S15_EEDaS11_S12_SI_SN_EUlS11_E_NS1_11comp_targetILNS1_3genE4ELNS1_11target_archE910ELNS1_3gpuE8ELNS1_3repE0EEENS1_47radix_sort_onesweep_sort_config_static_selectorELNS0_4arch9wavefront6targetE1EEEvSI_.num_agpr, 0
	.set _ZN7rocprim17ROCPRIM_400000_NS6detail17trampoline_kernelINS0_14default_configENS1_35radix_sort_onesweep_config_selectorIssEEZZNS1_29radix_sort_onesweep_iterationIS3_Lb0EN6thrust23THRUST_200600_302600_NS6detail15normal_iteratorINS8_10device_ptrIsEEEESD_SD_SD_jNS0_19identity_decomposerENS1_16block_id_wrapperIjLb0EEEEE10hipError_tT1_PNSt15iterator_traitsISI_E10value_typeET2_T3_PNSJ_ISO_E10value_typeET4_T5_PST_SU_PNS1_23onesweep_lookback_stateEbbT6_jjT7_P12ihipStream_tbENKUlT_T0_SI_SN_E_clISD_PsSD_S15_EEDaS11_S12_SI_SN_EUlS11_E_NS1_11comp_targetILNS1_3genE4ELNS1_11target_archE910ELNS1_3gpuE8ELNS1_3repE0EEENS1_47radix_sort_onesweep_sort_config_static_selectorELNS0_4arch9wavefront6targetE1EEEvSI_.numbered_sgpr, 0
	.set _ZN7rocprim17ROCPRIM_400000_NS6detail17trampoline_kernelINS0_14default_configENS1_35radix_sort_onesweep_config_selectorIssEEZZNS1_29radix_sort_onesweep_iterationIS3_Lb0EN6thrust23THRUST_200600_302600_NS6detail15normal_iteratorINS8_10device_ptrIsEEEESD_SD_SD_jNS0_19identity_decomposerENS1_16block_id_wrapperIjLb0EEEEE10hipError_tT1_PNSt15iterator_traitsISI_E10value_typeET2_T3_PNSJ_ISO_E10value_typeET4_T5_PST_SU_PNS1_23onesweep_lookback_stateEbbT6_jjT7_P12ihipStream_tbENKUlT_T0_SI_SN_E_clISD_PsSD_S15_EEDaS11_S12_SI_SN_EUlS11_E_NS1_11comp_targetILNS1_3genE4ELNS1_11target_archE910ELNS1_3gpuE8ELNS1_3repE0EEENS1_47radix_sort_onesweep_sort_config_static_selectorELNS0_4arch9wavefront6targetE1EEEvSI_.num_named_barrier, 0
	.set _ZN7rocprim17ROCPRIM_400000_NS6detail17trampoline_kernelINS0_14default_configENS1_35radix_sort_onesweep_config_selectorIssEEZZNS1_29radix_sort_onesweep_iterationIS3_Lb0EN6thrust23THRUST_200600_302600_NS6detail15normal_iteratorINS8_10device_ptrIsEEEESD_SD_SD_jNS0_19identity_decomposerENS1_16block_id_wrapperIjLb0EEEEE10hipError_tT1_PNSt15iterator_traitsISI_E10value_typeET2_T3_PNSJ_ISO_E10value_typeET4_T5_PST_SU_PNS1_23onesweep_lookback_stateEbbT6_jjT7_P12ihipStream_tbENKUlT_T0_SI_SN_E_clISD_PsSD_S15_EEDaS11_S12_SI_SN_EUlS11_E_NS1_11comp_targetILNS1_3genE4ELNS1_11target_archE910ELNS1_3gpuE8ELNS1_3repE0EEENS1_47radix_sort_onesweep_sort_config_static_selectorELNS0_4arch9wavefront6targetE1EEEvSI_.private_seg_size, 0
	.set _ZN7rocprim17ROCPRIM_400000_NS6detail17trampoline_kernelINS0_14default_configENS1_35radix_sort_onesweep_config_selectorIssEEZZNS1_29radix_sort_onesweep_iterationIS3_Lb0EN6thrust23THRUST_200600_302600_NS6detail15normal_iteratorINS8_10device_ptrIsEEEESD_SD_SD_jNS0_19identity_decomposerENS1_16block_id_wrapperIjLb0EEEEE10hipError_tT1_PNSt15iterator_traitsISI_E10value_typeET2_T3_PNSJ_ISO_E10value_typeET4_T5_PST_SU_PNS1_23onesweep_lookback_stateEbbT6_jjT7_P12ihipStream_tbENKUlT_T0_SI_SN_E_clISD_PsSD_S15_EEDaS11_S12_SI_SN_EUlS11_E_NS1_11comp_targetILNS1_3genE4ELNS1_11target_archE910ELNS1_3gpuE8ELNS1_3repE0EEENS1_47radix_sort_onesweep_sort_config_static_selectorELNS0_4arch9wavefront6targetE1EEEvSI_.uses_vcc, 0
	.set _ZN7rocprim17ROCPRIM_400000_NS6detail17trampoline_kernelINS0_14default_configENS1_35radix_sort_onesweep_config_selectorIssEEZZNS1_29radix_sort_onesweep_iterationIS3_Lb0EN6thrust23THRUST_200600_302600_NS6detail15normal_iteratorINS8_10device_ptrIsEEEESD_SD_SD_jNS0_19identity_decomposerENS1_16block_id_wrapperIjLb0EEEEE10hipError_tT1_PNSt15iterator_traitsISI_E10value_typeET2_T3_PNSJ_ISO_E10value_typeET4_T5_PST_SU_PNS1_23onesweep_lookback_stateEbbT6_jjT7_P12ihipStream_tbENKUlT_T0_SI_SN_E_clISD_PsSD_S15_EEDaS11_S12_SI_SN_EUlS11_E_NS1_11comp_targetILNS1_3genE4ELNS1_11target_archE910ELNS1_3gpuE8ELNS1_3repE0EEENS1_47radix_sort_onesweep_sort_config_static_selectorELNS0_4arch9wavefront6targetE1EEEvSI_.uses_flat_scratch, 0
	.set _ZN7rocprim17ROCPRIM_400000_NS6detail17trampoline_kernelINS0_14default_configENS1_35radix_sort_onesweep_config_selectorIssEEZZNS1_29radix_sort_onesweep_iterationIS3_Lb0EN6thrust23THRUST_200600_302600_NS6detail15normal_iteratorINS8_10device_ptrIsEEEESD_SD_SD_jNS0_19identity_decomposerENS1_16block_id_wrapperIjLb0EEEEE10hipError_tT1_PNSt15iterator_traitsISI_E10value_typeET2_T3_PNSJ_ISO_E10value_typeET4_T5_PST_SU_PNS1_23onesweep_lookback_stateEbbT6_jjT7_P12ihipStream_tbENKUlT_T0_SI_SN_E_clISD_PsSD_S15_EEDaS11_S12_SI_SN_EUlS11_E_NS1_11comp_targetILNS1_3genE4ELNS1_11target_archE910ELNS1_3gpuE8ELNS1_3repE0EEENS1_47radix_sort_onesweep_sort_config_static_selectorELNS0_4arch9wavefront6targetE1EEEvSI_.has_dyn_sized_stack, 0
	.set _ZN7rocprim17ROCPRIM_400000_NS6detail17trampoline_kernelINS0_14default_configENS1_35radix_sort_onesweep_config_selectorIssEEZZNS1_29radix_sort_onesweep_iterationIS3_Lb0EN6thrust23THRUST_200600_302600_NS6detail15normal_iteratorINS8_10device_ptrIsEEEESD_SD_SD_jNS0_19identity_decomposerENS1_16block_id_wrapperIjLb0EEEEE10hipError_tT1_PNSt15iterator_traitsISI_E10value_typeET2_T3_PNSJ_ISO_E10value_typeET4_T5_PST_SU_PNS1_23onesweep_lookback_stateEbbT6_jjT7_P12ihipStream_tbENKUlT_T0_SI_SN_E_clISD_PsSD_S15_EEDaS11_S12_SI_SN_EUlS11_E_NS1_11comp_targetILNS1_3genE4ELNS1_11target_archE910ELNS1_3gpuE8ELNS1_3repE0EEENS1_47radix_sort_onesweep_sort_config_static_selectorELNS0_4arch9wavefront6targetE1EEEvSI_.has_recursion, 0
	.set _ZN7rocprim17ROCPRIM_400000_NS6detail17trampoline_kernelINS0_14default_configENS1_35radix_sort_onesweep_config_selectorIssEEZZNS1_29radix_sort_onesweep_iterationIS3_Lb0EN6thrust23THRUST_200600_302600_NS6detail15normal_iteratorINS8_10device_ptrIsEEEESD_SD_SD_jNS0_19identity_decomposerENS1_16block_id_wrapperIjLb0EEEEE10hipError_tT1_PNSt15iterator_traitsISI_E10value_typeET2_T3_PNSJ_ISO_E10value_typeET4_T5_PST_SU_PNS1_23onesweep_lookback_stateEbbT6_jjT7_P12ihipStream_tbENKUlT_T0_SI_SN_E_clISD_PsSD_S15_EEDaS11_S12_SI_SN_EUlS11_E_NS1_11comp_targetILNS1_3genE4ELNS1_11target_archE910ELNS1_3gpuE8ELNS1_3repE0EEENS1_47radix_sort_onesweep_sort_config_static_selectorELNS0_4arch9wavefront6targetE1EEEvSI_.has_indirect_call, 0
	.section	.AMDGPU.csdata,"",@progbits
; Kernel info:
; codeLenInByte = 0
; TotalNumSgprs: 6
; NumVgprs: 0
; NumAgprs: 0
; TotalNumVgprs: 0
; ScratchSize: 0
; MemoryBound: 0
; FloatMode: 240
; IeeeMode: 1
; LDSByteSize: 0 bytes/workgroup (compile time only)
; SGPRBlocks: 0
; VGPRBlocks: 0
; NumSGPRsForWavesPerEU: 6
; NumVGPRsForWavesPerEU: 1
; AccumOffset: 4
; Occupancy: 8
; WaveLimiterHint : 0
; COMPUTE_PGM_RSRC2:SCRATCH_EN: 0
; COMPUTE_PGM_RSRC2:USER_SGPR: 2
; COMPUTE_PGM_RSRC2:TRAP_HANDLER: 0
; COMPUTE_PGM_RSRC2:TGID_X_EN: 1
; COMPUTE_PGM_RSRC2:TGID_Y_EN: 0
; COMPUTE_PGM_RSRC2:TGID_Z_EN: 0
; COMPUTE_PGM_RSRC2:TIDIG_COMP_CNT: 0
; COMPUTE_PGM_RSRC3_GFX90A:ACCUM_OFFSET: 0
; COMPUTE_PGM_RSRC3_GFX90A:TG_SPLIT: 0
	.section	.text._ZN7rocprim17ROCPRIM_400000_NS6detail17trampoline_kernelINS0_14default_configENS1_35radix_sort_onesweep_config_selectorIssEEZZNS1_29radix_sort_onesweep_iterationIS3_Lb0EN6thrust23THRUST_200600_302600_NS6detail15normal_iteratorINS8_10device_ptrIsEEEESD_SD_SD_jNS0_19identity_decomposerENS1_16block_id_wrapperIjLb0EEEEE10hipError_tT1_PNSt15iterator_traitsISI_E10value_typeET2_T3_PNSJ_ISO_E10value_typeET4_T5_PST_SU_PNS1_23onesweep_lookback_stateEbbT6_jjT7_P12ihipStream_tbENKUlT_T0_SI_SN_E_clISD_PsSD_S15_EEDaS11_S12_SI_SN_EUlS11_E_NS1_11comp_targetILNS1_3genE3ELNS1_11target_archE908ELNS1_3gpuE7ELNS1_3repE0EEENS1_47radix_sort_onesweep_sort_config_static_selectorELNS0_4arch9wavefront6targetE1EEEvSI_,"axG",@progbits,_ZN7rocprim17ROCPRIM_400000_NS6detail17trampoline_kernelINS0_14default_configENS1_35radix_sort_onesweep_config_selectorIssEEZZNS1_29radix_sort_onesweep_iterationIS3_Lb0EN6thrust23THRUST_200600_302600_NS6detail15normal_iteratorINS8_10device_ptrIsEEEESD_SD_SD_jNS0_19identity_decomposerENS1_16block_id_wrapperIjLb0EEEEE10hipError_tT1_PNSt15iterator_traitsISI_E10value_typeET2_T3_PNSJ_ISO_E10value_typeET4_T5_PST_SU_PNS1_23onesweep_lookback_stateEbbT6_jjT7_P12ihipStream_tbENKUlT_T0_SI_SN_E_clISD_PsSD_S15_EEDaS11_S12_SI_SN_EUlS11_E_NS1_11comp_targetILNS1_3genE3ELNS1_11target_archE908ELNS1_3gpuE7ELNS1_3repE0EEENS1_47radix_sort_onesweep_sort_config_static_selectorELNS0_4arch9wavefront6targetE1EEEvSI_,comdat
	.protected	_ZN7rocprim17ROCPRIM_400000_NS6detail17trampoline_kernelINS0_14default_configENS1_35radix_sort_onesweep_config_selectorIssEEZZNS1_29radix_sort_onesweep_iterationIS3_Lb0EN6thrust23THRUST_200600_302600_NS6detail15normal_iteratorINS8_10device_ptrIsEEEESD_SD_SD_jNS0_19identity_decomposerENS1_16block_id_wrapperIjLb0EEEEE10hipError_tT1_PNSt15iterator_traitsISI_E10value_typeET2_T3_PNSJ_ISO_E10value_typeET4_T5_PST_SU_PNS1_23onesweep_lookback_stateEbbT6_jjT7_P12ihipStream_tbENKUlT_T0_SI_SN_E_clISD_PsSD_S15_EEDaS11_S12_SI_SN_EUlS11_E_NS1_11comp_targetILNS1_3genE3ELNS1_11target_archE908ELNS1_3gpuE7ELNS1_3repE0EEENS1_47radix_sort_onesweep_sort_config_static_selectorELNS0_4arch9wavefront6targetE1EEEvSI_ ; -- Begin function _ZN7rocprim17ROCPRIM_400000_NS6detail17trampoline_kernelINS0_14default_configENS1_35radix_sort_onesweep_config_selectorIssEEZZNS1_29radix_sort_onesweep_iterationIS3_Lb0EN6thrust23THRUST_200600_302600_NS6detail15normal_iteratorINS8_10device_ptrIsEEEESD_SD_SD_jNS0_19identity_decomposerENS1_16block_id_wrapperIjLb0EEEEE10hipError_tT1_PNSt15iterator_traitsISI_E10value_typeET2_T3_PNSJ_ISO_E10value_typeET4_T5_PST_SU_PNS1_23onesweep_lookback_stateEbbT6_jjT7_P12ihipStream_tbENKUlT_T0_SI_SN_E_clISD_PsSD_S15_EEDaS11_S12_SI_SN_EUlS11_E_NS1_11comp_targetILNS1_3genE3ELNS1_11target_archE908ELNS1_3gpuE7ELNS1_3repE0EEENS1_47radix_sort_onesweep_sort_config_static_selectorELNS0_4arch9wavefront6targetE1EEEvSI_
	.globl	_ZN7rocprim17ROCPRIM_400000_NS6detail17trampoline_kernelINS0_14default_configENS1_35radix_sort_onesweep_config_selectorIssEEZZNS1_29radix_sort_onesweep_iterationIS3_Lb0EN6thrust23THRUST_200600_302600_NS6detail15normal_iteratorINS8_10device_ptrIsEEEESD_SD_SD_jNS0_19identity_decomposerENS1_16block_id_wrapperIjLb0EEEEE10hipError_tT1_PNSt15iterator_traitsISI_E10value_typeET2_T3_PNSJ_ISO_E10value_typeET4_T5_PST_SU_PNS1_23onesweep_lookback_stateEbbT6_jjT7_P12ihipStream_tbENKUlT_T0_SI_SN_E_clISD_PsSD_S15_EEDaS11_S12_SI_SN_EUlS11_E_NS1_11comp_targetILNS1_3genE3ELNS1_11target_archE908ELNS1_3gpuE7ELNS1_3repE0EEENS1_47radix_sort_onesweep_sort_config_static_selectorELNS0_4arch9wavefront6targetE1EEEvSI_
	.p2align	8
	.type	_ZN7rocprim17ROCPRIM_400000_NS6detail17trampoline_kernelINS0_14default_configENS1_35radix_sort_onesweep_config_selectorIssEEZZNS1_29radix_sort_onesweep_iterationIS3_Lb0EN6thrust23THRUST_200600_302600_NS6detail15normal_iteratorINS8_10device_ptrIsEEEESD_SD_SD_jNS0_19identity_decomposerENS1_16block_id_wrapperIjLb0EEEEE10hipError_tT1_PNSt15iterator_traitsISI_E10value_typeET2_T3_PNSJ_ISO_E10value_typeET4_T5_PST_SU_PNS1_23onesweep_lookback_stateEbbT6_jjT7_P12ihipStream_tbENKUlT_T0_SI_SN_E_clISD_PsSD_S15_EEDaS11_S12_SI_SN_EUlS11_E_NS1_11comp_targetILNS1_3genE3ELNS1_11target_archE908ELNS1_3gpuE7ELNS1_3repE0EEENS1_47radix_sort_onesweep_sort_config_static_selectorELNS0_4arch9wavefront6targetE1EEEvSI_,@function
_ZN7rocprim17ROCPRIM_400000_NS6detail17trampoline_kernelINS0_14default_configENS1_35radix_sort_onesweep_config_selectorIssEEZZNS1_29radix_sort_onesweep_iterationIS3_Lb0EN6thrust23THRUST_200600_302600_NS6detail15normal_iteratorINS8_10device_ptrIsEEEESD_SD_SD_jNS0_19identity_decomposerENS1_16block_id_wrapperIjLb0EEEEE10hipError_tT1_PNSt15iterator_traitsISI_E10value_typeET2_T3_PNSJ_ISO_E10value_typeET4_T5_PST_SU_PNS1_23onesweep_lookback_stateEbbT6_jjT7_P12ihipStream_tbENKUlT_T0_SI_SN_E_clISD_PsSD_S15_EEDaS11_S12_SI_SN_EUlS11_E_NS1_11comp_targetILNS1_3genE3ELNS1_11target_archE908ELNS1_3gpuE7ELNS1_3repE0EEENS1_47radix_sort_onesweep_sort_config_static_selectorELNS0_4arch9wavefront6targetE1EEEvSI_: ; @_ZN7rocprim17ROCPRIM_400000_NS6detail17trampoline_kernelINS0_14default_configENS1_35radix_sort_onesweep_config_selectorIssEEZZNS1_29radix_sort_onesweep_iterationIS3_Lb0EN6thrust23THRUST_200600_302600_NS6detail15normal_iteratorINS8_10device_ptrIsEEEESD_SD_SD_jNS0_19identity_decomposerENS1_16block_id_wrapperIjLb0EEEEE10hipError_tT1_PNSt15iterator_traitsISI_E10value_typeET2_T3_PNSJ_ISO_E10value_typeET4_T5_PST_SU_PNS1_23onesweep_lookback_stateEbbT6_jjT7_P12ihipStream_tbENKUlT_T0_SI_SN_E_clISD_PsSD_S15_EEDaS11_S12_SI_SN_EUlS11_E_NS1_11comp_targetILNS1_3genE3ELNS1_11target_archE908ELNS1_3gpuE7ELNS1_3repE0EEENS1_47radix_sort_onesweep_sort_config_static_selectorELNS0_4arch9wavefront6targetE1EEEvSI_
; %bb.0:
	.section	.rodata,"a",@progbits
	.p2align	6, 0x0
	.amdhsa_kernel _ZN7rocprim17ROCPRIM_400000_NS6detail17trampoline_kernelINS0_14default_configENS1_35radix_sort_onesweep_config_selectorIssEEZZNS1_29radix_sort_onesweep_iterationIS3_Lb0EN6thrust23THRUST_200600_302600_NS6detail15normal_iteratorINS8_10device_ptrIsEEEESD_SD_SD_jNS0_19identity_decomposerENS1_16block_id_wrapperIjLb0EEEEE10hipError_tT1_PNSt15iterator_traitsISI_E10value_typeET2_T3_PNSJ_ISO_E10value_typeET4_T5_PST_SU_PNS1_23onesweep_lookback_stateEbbT6_jjT7_P12ihipStream_tbENKUlT_T0_SI_SN_E_clISD_PsSD_S15_EEDaS11_S12_SI_SN_EUlS11_E_NS1_11comp_targetILNS1_3genE3ELNS1_11target_archE908ELNS1_3gpuE7ELNS1_3repE0EEENS1_47radix_sort_onesweep_sort_config_static_selectorELNS0_4arch9wavefront6targetE1EEEvSI_
		.amdhsa_group_segment_fixed_size 0
		.amdhsa_private_segment_fixed_size 0
		.amdhsa_kernarg_size 88
		.amdhsa_user_sgpr_count 2
		.amdhsa_user_sgpr_dispatch_ptr 0
		.amdhsa_user_sgpr_queue_ptr 0
		.amdhsa_user_sgpr_kernarg_segment_ptr 1
		.amdhsa_user_sgpr_dispatch_id 0
		.amdhsa_user_sgpr_kernarg_preload_length 0
		.amdhsa_user_sgpr_kernarg_preload_offset 0
		.amdhsa_user_sgpr_private_segment_size 0
		.amdhsa_uses_dynamic_stack 0
		.amdhsa_enable_private_segment 0
		.amdhsa_system_sgpr_workgroup_id_x 1
		.amdhsa_system_sgpr_workgroup_id_y 0
		.amdhsa_system_sgpr_workgroup_id_z 0
		.amdhsa_system_sgpr_workgroup_info 0
		.amdhsa_system_vgpr_workitem_id 0
		.amdhsa_next_free_vgpr 1
		.amdhsa_next_free_sgpr 0
		.amdhsa_accum_offset 4
		.amdhsa_reserve_vcc 0
		.amdhsa_float_round_mode_32 0
		.amdhsa_float_round_mode_16_64 0
		.amdhsa_float_denorm_mode_32 3
		.amdhsa_float_denorm_mode_16_64 3
		.amdhsa_dx10_clamp 1
		.amdhsa_ieee_mode 1
		.amdhsa_fp16_overflow 0
		.amdhsa_tg_split 0
		.amdhsa_exception_fp_ieee_invalid_op 0
		.amdhsa_exception_fp_denorm_src 0
		.amdhsa_exception_fp_ieee_div_zero 0
		.amdhsa_exception_fp_ieee_overflow 0
		.amdhsa_exception_fp_ieee_underflow 0
		.amdhsa_exception_fp_ieee_inexact 0
		.amdhsa_exception_int_div_zero 0
	.end_amdhsa_kernel
	.section	.text._ZN7rocprim17ROCPRIM_400000_NS6detail17trampoline_kernelINS0_14default_configENS1_35radix_sort_onesweep_config_selectorIssEEZZNS1_29radix_sort_onesweep_iterationIS3_Lb0EN6thrust23THRUST_200600_302600_NS6detail15normal_iteratorINS8_10device_ptrIsEEEESD_SD_SD_jNS0_19identity_decomposerENS1_16block_id_wrapperIjLb0EEEEE10hipError_tT1_PNSt15iterator_traitsISI_E10value_typeET2_T3_PNSJ_ISO_E10value_typeET4_T5_PST_SU_PNS1_23onesweep_lookback_stateEbbT6_jjT7_P12ihipStream_tbENKUlT_T0_SI_SN_E_clISD_PsSD_S15_EEDaS11_S12_SI_SN_EUlS11_E_NS1_11comp_targetILNS1_3genE3ELNS1_11target_archE908ELNS1_3gpuE7ELNS1_3repE0EEENS1_47radix_sort_onesweep_sort_config_static_selectorELNS0_4arch9wavefront6targetE1EEEvSI_,"axG",@progbits,_ZN7rocprim17ROCPRIM_400000_NS6detail17trampoline_kernelINS0_14default_configENS1_35radix_sort_onesweep_config_selectorIssEEZZNS1_29radix_sort_onesweep_iterationIS3_Lb0EN6thrust23THRUST_200600_302600_NS6detail15normal_iteratorINS8_10device_ptrIsEEEESD_SD_SD_jNS0_19identity_decomposerENS1_16block_id_wrapperIjLb0EEEEE10hipError_tT1_PNSt15iterator_traitsISI_E10value_typeET2_T3_PNSJ_ISO_E10value_typeET4_T5_PST_SU_PNS1_23onesweep_lookback_stateEbbT6_jjT7_P12ihipStream_tbENKUlT_T0_SI_SN_E_clISD_PsSD_S15_EEDaS11_S12_SI_SN_EUlS11_E_NS1_11comp_targetILNS1_3genE3ELNS1_11target_archE908ELNS1_3gpuE7ELNS1_3repE0EEENS1_47radix_sort_onesweep_sort_config_static_selectorELNS0_4arch9wavefront6targetE1EEEvSI_,comdat
.Lfunc_end1683:
	.size	_ZN7rocprim17ROCPRIM_400000_NS6detail17trampoline_kernelINS0_14default_configENS1_35radix_sort_onesweep_config_selectorIssEEZZNS1_29radix_sort_onesweep_iterationIS3_Lb0EN6thrust23THRUST_200600_302600_NS6detail15normal_iteratorINS8_10device_ptrIsEEEESD_SD_SD_jNS0_19identity_decomposerENS1_16block_id_wrapperIjLb0EEEEE10hipError_tT1_PNSt15iterator_traitsISI_E10value_typeET2_T3_PNSJ_ISO_E10value_typeET4_T5_PST_SU_PNS1_23onesweep_lookback_stateEbbT6_jjT7_P12ihipStream_tbENKUlT_T0_SI_SN_E_clISD_PsSD_S15_EEDaS11_S12_SI_SN_EUlS11_E_NS1_11comp_targetILNS1_3genE3ELNS1_11target_archE908ELNS1_3gpuE7ELNS1_3repE0EEENS1_47radix_sort_onesweep_sort_config_static_selectorELNS0_4arch9wavefront6targetE1EEEvSI_, .Lfunc_end1683-_ZN7rocprim17ROCPRIM_400000_NS6detail17trampoline_kernelINS0_14default_configENS1_35radix_sort_onesweep_config_selectorIssEEZZNS1_29radix_sort_onesweep_iterationIS3_Lb0EN6thrust23THRUST_200600_302600_NS6detail15normal_iteratorINS8_10device_ptrIsEEEESD_SD_SD_jNS0_19identity_decomposerENS1_16block_id_wrapperIjLb0EEEEE10hipError_tT1_PNSt15iterator_traitsISI_E10value_typeET2_T3_PNSJ_ISO_E10value_typeET4_T5_PST_SU_PNS1_23onesweep_lookback_stateEbbT6_jjT7_P12ihipStream_tbENKUlT_T0_SI_SN_E_clISD_PsSD_S15_EEDaS11_S12_SI_SN_EUlS11_E_NS1_11comp_targetILNS1_3genE3ELNS1_11target_archE908ELNS1_3gpuE7ELNS1_3repE0EEENS1_47radix_sort_onesweep_sort_config_static_selectorELNS0_4arch9wavefront6targetE1EEEvSI_
                                        ; -- End function
	.set _ZN7rocprim17ROCPRIM_400000_NS6detail17trampoline_kernelINS0_14default_configENS1_35radix_sort_onesweep_config_selectorIssEEZZNS1_29radix_sort_onesweep_iterationIS3_Lb0EN6thrust23THRUST_200600_302600_NS6detail15normal_iteratorINS8_10device_ptrIsEEEESD_SD_SD_jNS0_19identity_decomposerENS1_16block_id_wrapperIjLb0EEEEE10hipError_tT1_PNSt15iterator_traitsISI_E10value_typeET2_T3_PNSJ_ISO_E10value_typeET4_T5_PST_SU_PNS1_23onesweep_lookback_stateEbbT6_jjT7_P12ihipStream_tbENKUlT_T0_SI_SN_E_clISD_PsSD_S15_EEDaS11_S12_SI_SN_EUlS11_E_NS1_11comp_targetILNS1_3genE3ELNS1_11target_archE908ELNS1_3gpuE7ELNS1_3repE0EEENS1_47radix_sort_onesweep_sort_config_static_selectorELNS0_4arch9wavefront6targetE1EEEvSI_.num_vgpr, 0
	.set _ZN7rocprim17ROCPRIM_400000_NS6detail17trampoline_kernelINS0_14default_configENS1_35radix_sort_onesweep_config_selectorIssEEZZNS1_29radix_sort_onesweep_iterationIS3_Lb0EN6thrust23THRUST_200600_302600_NS6detail15normal_iteratorINS8_10device_ptrIsEEEESD_SD_SD_jNS0_19identity_decomposerENS1_16block_id_wrapperIjLb0EEEEE10hipError_tT1_PNSt15iterator_traitsISI_E10value_typeET2_T3_PNSJ_ISO_E10value_typeET4_T5_PST_SU_PNS1_23onesweep_lookback_stateEbbT6_jjT7_P12ihipStream_tbENKUlT_T0_SI_SN_E_clISD_PsSD_S15_EEDaS11_S12_SI_SN_EUlS11_E_NS1_11comp_targetILNS1_3genE3ELNS1_11target_archE908ELNS1_3gpuE7ELNS1_3repE0EEENS1_47radix_sort_onesweep_sort_config_static_selectorELNS0_4arch9wavefront6targetE1EEEvSI_.num_agpr, 0
	.set _ZN7rocprim17ROCPRIM_400000_NS6detail17trampoline_kernelINS0_14default_configENS1_35radix_sort_onesweep_config_selectorIssEEZZNS1_29radix_sort_onesweep_iterationIS3_Lb0EN6thrust23THRUST_200600_302600_NS6detail15normal_iteratorINS8_10device_ptrIsEEEESD_SD_SD_jNS0_19identity_decomposerENS1_16block_id_wrapperIjLb0EEEEE10hipError_tT1_PNSt15iterator_traitsISI_E10value_typeET2_T3_PNSJ_ISO_E10value_typeET4_T5_PST_SU_PNS1_23onesweep_lookback_stateEbbT6_jjT7_P12ihipStream_tbENKUlT_T0_SI_SN_E_clISD_PsSD_S15_EEDaS11_S12_SI_SN_EUlS11_E_NS1_11comp_targetILNS1_3genE3ELNS1_11target_archE908ELNS1_3gpuE7ELNS1_3repE0EEENS1_47radix_sort_onesweep_sort_config_static_selectorELNS0_4arch9wavefront6targetE1EEEvSI_.numbered_sgpr, 0
	.set _ZN7rocprim17ROCPRIM_400000_NS6detail17trampoline_kernelINS0_14default_configENS1_35radix_sort_onesweep_config_selectorIssEEZZNS1_29radix_sort_onesweep_iterationIS3_Lb0EN6thrust23THRUST_200600_302600_NS6detail15normal_iteratorINS8_10device_ptrIsEEEESD_SD_SD_jNS0_19identity_decomposerENS1_16block_id_wrapperIjLb0EEEEE10hipError_tT1_PNSt15iterator_traitsISI_E10value_typeET2_T3_PNSJ_ISO_E10value_typeET4_T5_PST_SU_PNS1_23onesweep_lookback_stateEbbT6_jjT7_P12ihipStream_tbENKUlT_T0_SI_SN_E_clISD_PsSD_S15_EEDaS11_S12_SI_SN_EUlS11_E_NS1_11comp_targetILNS1_3genE3ELNS1_11target_archE908ELNS1_3gpuE7ELNS1_3repE0EEENS1_47radix_sort_onesweep_sort_config_static_selectorELNS0_4arch9wavefront6targetE1EEEvSI_.num_named_barrier, 0
	.set _ZN7rocprim17ROCPRIM_400000_NS6detail17trampoline_kernelINS0_14default_configENS1_35radix_sort_onesweep_config_selectorIssEEZZNS1_29radix_sort_onesweep_iterationIS3_Lb0EN6thrust23THRUST_200600_302600_NS6detail15normal_iteratorINS8_10device_ptrIsEEEESD_SD_SD_jNS0_19identity_decomposerENS1_16block_id_wrapperIjLb0EEEEE10hipError_tT1_PNSt15iterator_traitsISI_E10value_typeET2_T3_PNSJ_ISO_E10value_typeET4_T5_PST_SU_PNS1_23onesweep_lookback_stateEbbT6_jjT7_P12ihipStream_tbENKUlT_T0_SI_SN_E_clISD_PsSD_S15_EEDaS11_S12_SI_SN_EUlS11_E_NS1_11comp_targetILNS1_3genE3ELNS1_11target_archE908ELNS1_3gpuE7ELNS1_3repE0EEENS1_47radix_sort_onesweep_sort_config_static_selectorELNS0_4arch9wavefront6targetE1EEEvSI_.private_seg_size, 0
	.set _ZN7rocprim17ROCPRIM_400000_NS6detail17trampoline_kernelINS0_14default_configENS1_35radix_sort_onesweep_config_selectorIssEEZZNS1_29radix_sort_onesweep_iterationIS3_Lb0EN6thrust23THRUST_200600_302600_NS6detail15normal_iteratorINS8_10device_ptrIsEEEESD_SD_SD_jNS0_19identity_decomposerENS1_16block_id_wrapperIjLb0EEEEE10hipError_tT1_PNSt15iterator_traitsISI_E10value_typeET2_T3_PNSJ_ISO_E10value_typeET4_T5_PST_SU_PNS1_23onesweep_lookback_stateEbbT6_jjT7_P12ihipStream_tbENKUlT_T0_SI_SN_E_clISD_PsSD_S15_EEDaS11_S12_SI_SN_EUlS11_E_NS1_11comp_targetILNS1_3genE3ELNS1_11target_archE908ELNS1_3gpuE7ELNS1_3repE0EEENS1_47radix_sort_onesweep_sort_config_static_selectorELNS0_4arch9wavefront6targetE1EEEvSI_.uses_vcc, 0
	.set _ZN7rocprim17ROCPRIM_400000_NS6detail17trampoline_kernelINS0_14default_configENS1_35radix_sort_onesweep_config_selectorIssEEZZNS1_29radix_sort_onesweep_iterationIS3_Lb0EN6thrust23THRUST_200600_302600_NS6detail15normal_iteratorINS8_10device_ptrIsEEEESD_SD_SD_jNS0_19identity_decomposerENS1_16block_id_wrapperIjLb0EEEEE10hipError_tT1_PNSt15iterator_traitsISI_E10value_typeET2_T3_PNSJ_ISO_E10value_typeET4_T5_PST_SU_PNS1_23onesweep_lookback_stateEbbT6_jjT7_P12ihipStream_tbENKUlT_T0_SI_SN_E_clISD_PsSD_S15_EEDaS11_S12_SI_SN_EUlS11_E_NS1_11comp_targetILNS1_3genE3ELNS1_11target_archE908ELNS1_3gpuE7ELNS1_3repE0EEENS1_47radix_sort_onesweep_sort_config_static_selectorELNS0_4arch9wavefront6targetE1EEEvSI_.uses_flat_scratch, 0
	.set _ZN7rocprim17ROCPRIM_400000_NS6detail17trampoline_kernelINS0_14default_configENS1_35radix_sort_onesweep_config_selectorIssEEZZNS1_29radix_sort_onesweep_iterationIS3_Lb0EN6thrust23THRUST_200600_302600_NS6detail15normal_iteratorINS8_10device_ptrIsEEEESD_SD_SD_jNS0_19identity_decomposerENS1_16block_id_wrapperIjLb0EEEEE10hipError_tT1_PNSt15iterator_traitsISI_E10value_typeET2_T3_PNSJ_ISO_E10value_typeET4_T5_PST_SU_PNS1_23onesweep_lookback_stateEbbT6_jjT7_P12ihipStream_tbENKUlT_T0_SI_SN_E_clISD_PsSD_S15_EEDaS11_S12_SI_SN_EUlS11_E_NS1_11comp_targetILNS1_3genE3ELNS1_11target_archE908ELNS1_3gpuE7ELNS1_3repE0EEENS1_47radix_sort_onesweep_sort_config_static_selectorELNS0_4arch9wavefront6targetE1EEEvSI_.has_dyn_sized_stack, 0
	.set _ZN7rocprim17ROCPRIM_400000_NS6detail17trampoline_kernelINS0_14default_configENS1_35radix_sort_onesweep_config_selectorIssEEZZNS1_29radix_sort_onesweep_iterationIS3_Lb0EN6thrust23THRUST_200600_302600_NS6detail15normal_iteratorINS8_10device_ptrIsEEEESD_SD_SD_jNS0_19identity_decomposerENS1_16block_id_wrapperIjLb0EEEEE10hipError_tT1_PNSt15iterator_traitsISI_E10value_typeET2_T3_PNSJ_ISO_E10value_typeET4_T5_PST_SU_PNS1_23onesweep_lookback_stateEbbT6_jjT7_P12ihipStream_tbENKUlT_T0_SI_SN_E_clISD_PsSD_S15_EEDaS11_S12_SI_SN_EUlS11_E_NS1_11comp_targetILNS1_3genE3ELNS1_11target_archE908ELNS1_3gpuE7ELNS1_3repE0EEENS1_47radix_sort_onesweep_sort_config_static_selectorELNS0_4arch9wavefront6targetE1EEEvSI_.has_recursion, 0
	.set _ZN7rocprim17ROCPRIM_400000_NS6detail17trampoline_kernelINS0_14default_configENS1_35radix_sort_onesweep_config_selectorIssEEZZNS1_29radix_sort_onesweep_iterationIS3_Lb0EN6thrust23THRUST_200600_302600_NS6detail15normal_iteratorINS8_10device_ptrIsEEEESD_SD_SD_jNS0_19identity_decomposerENS1_16block_id_wrapperIjLb0EEEEE10hipError_tT1_PNSt15iterator_traitsISI_E10value_typeET2_T3_PNSJ_ISO_E10value_typeET4_T5_PST_SU_PNS1_23onesweep_lookback_stateEbbT6_jjT7_P12ihipStream_tbENKUlT_T0_SI_SN_E_clISD_PsSD_S15_EEDaS11_S12_SI_SN_EUlS11_E_NS1_11comp_targetILNS1_3genE3ELNS1_11target_archE908ELNS1_3gpuE7ELNS1_3repE0EEENS1_47radix_sort_onesweep_sort_config_static_selectorELNS0_4arch9wavefront6targetE1EEEvSI_.has_indirect_call, 0
	.section	.AMDGPU.csdata,"",@progbits
; Kernel info:
; codeLenInByte = 0
; TotalNumSgprs: 6
; NumVgprs: 0
; NumAgprs: 0
; TotalNumVgprs: 0
; ScratchSize: 0
; MemoryBound: 0
; FloatMode: 240
; IeeeMode: 1
; LDSByteSize: 0 bytes/workgroup (compile time only)
; SGPRBlocks: 0
; VGPRBlocks: 0
; NumSGPRsForWavesPerEU: 6
; NumVGPRsForWavesPerEU: 1
; AccumOffset: 4
; Occupancy: 8
; WaveLimiterHint : 0
; COMPUTE_PGM_RSRC2:SCRATCH_EN: 0
; COMPUTE_PGM_RSRC2:USER_SGPR: 2
; COMPUTE_PGM_RSRC2:TRAP_HANDLER: 0
; COMPUTE_PGM_RSRC2:TGID_X_EN: 1
; COMPUTE_PGM_RSRC2:TGID_Y_EN: 0
; COMPUTE_PGM_RSRC2:TGID_Z_EN: 0
; COMPUTE_PGM_RSRC2:TIDIG_COMP_CNT: 0
; COMPUTE_PGM_RSRC3_GFX90A:ACCUM_OFFSET: 0
; COMPUTE_PGM_RSRC3_GFX90A:TG_SPLIT: 0
	.section	.text._ZN7rocprim17ROCPRIM_400000_NS6detail17trampoline_kernelINS0_14default_configENS1_35radix_sort_onesweep_config_selectorIssEEZZNS1_29radix_sort_onesweep_iterationIS3_Lb0EN6thrust23THRUST_200600_302600_NS6detail15normal_iteratorINS8_10device_ptrIsEEEESD_SD_SD_jNS0_19identity_decomposerENS1_16block_id_wrapperIjLb0EEEEE10hipError_tT1_PNSt15iterator_traitsISI_E10value_typeET2_T3_PNSJ_ISO_E10value_typeET4_T5_PST_SU_PNS1_23onesweep_lookback_stateEbbT6_jjT7_P12ihipStream_tbENKUlT_T0_SI_SN_E_clISD_PsSD_S15_EEDaS11_S12_SI_SN_EUlS11_E_NS1_11comp_targetILNS1_3genE10ELNS1_11target_archE1201ELNS1_3gpuE5ELNS1_3repE0EEENS1_47radix_sort_onesweep_sort_config_static_selectorELNS0_4arch9wavefront6targetE1EEEvSI_,"axG",@progbits,_ZN7rocprim17ROCPRIM_400000_NS6detail17trampoline_kernelINS0_14default_configENS1_35radix_sort_onesweep_config_selectorIssEEZZNS1_29radix_sort_onesweep_iterationIS3_Lb0EN6thrust23THRUST_200600_302600_NS6detail15normal_iteratorINS8_10device_ptrIsEEEESD_SD_SD_jNS0_19identity_decomposerENS1_16block_id_wrapperIjLb0EEEEE10hipError_tT1_PNSt15iterator_traitsISI_E10value_typeET2_T3_PNSJ_ISO_E10value_typeET4_T5_PST_SU_PNS1_23onesweep_lookback_stateEbbT6_jjT7_P12ihipStream_tbENKUlT_T0_SI_SN_E_clISD_PsSD_S15_EEDaS11_S12_SI_SN_EUlS11_E_NS1_11comp_targetILNS1_3genE10ELNS1_11target_archE1201ELNS1_3gpuE5ELNS1_3repE0EEENS1_47radix_sort_onesweep_sort_config_static_selectorELNS0_4arch9wavefront6targetE1EEEvSI_,comdat
	.protected	_ZN7rocprim17ROCPRIM_400000_NS6detail17trampoline_kernelINS0_14default_configENS1_35radix_sort_onesweep_config_selectorIssEEZZNS1_29radix_sort_onesweep_iterationIS3_Lb0EN6thrust23THRUST_200600_302600_NS6detail15normal_iteratorINS8_10device_ptrIsEEEESD_SD_SD_jNS0_19identity_decomposerENS1_16block_id_wrapperIjLb0EEEEE10hipError_tT1_PNSt15iterator_traitsISI_E10value_typeET2_T3_PNSJ_ISO_E10value_typeET4_T5_PST_SU_PNS1_23onesweep_lookback_stateEbbT6_jjT7_P12ihipStream_tbENKUlT_T0_SI_SN_E_clISD_PsSD_S15_EEDaS11_S12_SI_SN_EUlS11_E_NS1_11comp_targetILNS1_3genE10ELNS1_11target_archE1201ELNS1_3gpuE5ELNS1_3repE0EEENS1_47radix_sort_onesweep_sort_config_static_selectorELNS0_4arch9wavefront6targetE1EEEvSI_ ; -- Begin function _ZN7rocprim17ROCPRIM_400000_NS6detail17trampoline_kernelINS0_14default_configENS1_35radix_sort_onesweep_config_selectorIssEEZZNS1_29radix_sort_onesweep_iterationIS3_Lb0EN6thrust23THRUST_200600_302600_NS6detail15normal_iteratorINS8_10device_ptrIsEEEESD_SD_SD_jNS0_19identity_decomposerENS1_16block_id_wrapperIjLb0EEEEE10hipError_tT1_PNSt15iterator_traitsISI_E10value_typeET2_T3_PNSJ_ISO_E10value_typeET4_T5_PST_SU_PNS1_23onesweep_lookback_stateEbbT6_jjT7_P12ihipStream_tbENKUlT_T0_SI_SN_E_clISD_PsSD_S15_EEDaS11_S12_SI_SN_EUlS11_E_NS1_11comp_targetILNS1_3genE10ELNS1_11target_archE1201ELNS1_3gpuE5ELNS1_3repE0EEENS1_47radix_sort_onesweep_sort_config_static_selectorELNS0_4arch9wavefront6targetE1EEEvSI_
	.globl	_ZN7rocprim17ROCPRIM_400000_NS6detail17trampoline_kernelINS0_14default_configENS1_35radix_sort_onesweep_config_selectorIssEEZZNS1_29radix_sort_onesweep_iterationIS3_Lb0EN6thrust23THRUST_200600_302600_NS6detail15normal_iteratorINS8_10device_ptrIsEEEESD_SD_SD_jNS0_19identity_decomposerENS1_16block_id_wrapperIjLb0EEEEE10hipError_tT1_PNSt15iterator_traitsISI_E10value_typeET2_T3_PNSJ_ISO_E10value_typeET4_T5_PST_SU_PNS1_23onesweep_lookback_stateEbbT6_jjT7_P12ihipStream_tbENKUlT_T0_SI_SN_E_clISD_PsSD_S15_EEDaS11_S12_SI_SN_EUlS11_E_NS1_11comp_targetILNS1_3genE10ELNS1_11target_archE1201ELNS1_3gpuE5ELNS1_3repE0EEENS1_47radix_sort_onesweep_sort_config_static_selectorELNS0_4arch9wavefront6targetE1EEEvSI_
	.p2align	8
	.type	_ZN7rocprim17ROCPRIM_400000_NS6detail17trampoline_kernelINS0_14default_configENS1_35radix_sort_onesweep_config_selectorIssEEZZNS1_29radix_sort_onesweep_iterationIS3_Lb0EN6thrust23THRUST_200600_302600_NS6detail15normal_iteratorINS8_10device_ptrIsEEEESD_SD_SD_jNS0_19identity_decomposerENS1_16block_id_wrapperIjLb0EEEEE10hipError_tT1_PNSt15iterator_traitsISI_E10value_typeET2_T3_PNSJ_ISO_E10value_typeET4_T5_PST_SU_PNS1_23onesweep_lookback_stateEbbT6_jjT7_P12ihipStream_tbENKUlT_T0_SI_SN_E_clISD_PsSD_S15_EEDaS11_S12_SI_SN_EUlS11_E_NS1_11comp_targetILNS1_3genE10ELNS1_11target_archE1201ELNS1_3gpuE5ELNS1_3repE0EEENS1_47radix_sort_onesweep_sort_config_static_selectorELNS0_4arch9wavefront6targetE1EEEvSI_,@function
_ZN7rocprim17ROCPRIM_400000_NS6detail17trampoline_kernelINS0_14default_configENS1_35radix_sort_onesweep_config_selectorIssEEZZNS1_29radix_sort_onesweep_iterationIS3_Lb0EN6thrust23THRUST_200600_302600_NS6detail15normal_iteratorINS8_10device_ptrIsEEEESD_SD_SD_jNS0_19identity_decomposerENS1_16block_id_wrapperIjLb0EEEEE10hipError_tT1_PNSt15iterator_traitsISI_E10value_typeET2_T3_PNSJ_ISO_E10value_typeET4_T5_PST_SU_PNS1_23onesweep_lookback_stateEbbT6_jjT7_P12ihipStream_tbENKUlT_T0_SI_SN_E_clISD_PsSD_S15_EEDaS11_S12_SI_SN_EUlS11_E_NS1_11comp_targetILNS1_3genE10ELNS1_11target_archE1201ELNS1_3gpuE5ELNS1_3repE0EEENS1_47radix_sort_onesweep_sort_config_static_selectorELNS0_4arch9wavefront6targetE1EEEvSI_: ; @_ZN7rocprim17ROCPRIM_400000_NS6detail17trampoline_kernelINS0_14default_configENS1_35radix_sort_onesweep_config_selectorIssEEZZNS1_29radix_sort_onesweep_iterationIS3_Lb0EN6thrust23THRUST_200600_302600_NS6detail15normal_iteratorINS8_10device_ptrIsEEEESD_SD_SD_jNS0_19identity_decomposerENS1_16block_id_wrapperIjLb0EEEEE10hipError_tT1_PNSt15iterator_traitsISI_E10value_typeET2_T3_PNSJ_ISO_E10value_typeET4_T5_PST_SU_PNS1_23onesweep_lookback_stateEbbT6_jjT7_P12ihipStream_tbENKUlT_T0_SI_SN_E_clISD_PsSD_S15_EEDaS11_S12_SI_SN_EUlS11_E_NS1_11comp_targetILNS1_3genE10ELNS1_11target_archE1201ELNS1_3gpuE5ELNS1_3repE0EEENS1_47radix_sort_onesweep_sort_config_static_selectorELNS0_4arch9wavefront6targetE1EEEvSI_
; %bb.0:
	.section	.rodata,"a",@progbits
	.p2align	6, 0x0
	.amdhsa_kernel _ZN7rocprim17ROCPRIM_400000_NS6detail17trampoline_kernelINS0_14default_configENS1_35radix_sort_onesweep_config_selectorIssEEZZNS1_29radix_sort_onesweep_iterationIS3_Lb0EN6thrust23THRUST_200600_302600_NS6detail15normal_iteratorINS8_10device_ptrIsEEEESD_SD_SD_jNS0_19identity_decomposerENS1_16block_id_wrapperIjLb0EEEEE10hipError_tT1_PNSt15iterator_traitsISI_E10value_typeET2_T3_PNSJ_ISO_E10value_typeET4_T5_PST_SU_PNS1_23onesweep_lookback_stateEbbT6_jjT7_P12ihipStream_tbENKUlT_T0_SI_SN_E_clISD_PsSD_S15_EEDaS11_S12_SI_SN_EUlS11_E_NS1_11comp_targetILNS1_3genE10ELNS1_11target_archE1201ELNS1_3gpuE5ELNS1_3repE0EEENS1_47radix_sort_onesweep_sort_config_static_selectorELNS0_4arch9wavefront6targetE1EEEvSI_
		.amdhsa_group_segment_fixed_size 0
		.amdhsa_private_segment_fixed_size 0
		.amdhsa_kernarg_size 88
		.amdhsa_user_sgpr_count 2
		.amdhsa_user_sgpr_dispatch_ptr 0
		.amdhsa_user_sgpr_queue_ptr 0
		.amdhsa_user_sgpr_kernarg_segment_ptr 1
		.amdhsa_user_sgpr_dispatch_id 0
		.amdhsa_user_sgpr_kernarg_preload_length 0
		.amdhsa_user_sgpr_kernarg_preload_offset 0
		.amdhsa_user_sgpr_private_segment_size 0
		.amdhsa_uses_dynamic_stack 0
		.amdhsa_enable_private_segment 0
		.amdhsa_system_sgpr_workgroup_id_x 1
		.amdhsa_system_sgpr_workgroup_id_y 0
		.amdhsa_system_sgpr_workgroup_id_z 0
		.amdhsa_system_sgpr_workgroup_info 0
		.amdhsa_system_vgpr_workitem_id 0
		.amdhsa_next_free_vgpr 1
		.amdhsa_next_free_sgpr 0
		.amdhsa_accum_offset 4
		.amdhsa_reserve_vcc 0
		.amdhsa_float_round_mode_32 0
		.amdhsa_float_round_mode_16_64 0
		.amdhsa_float_denorm_mode_32 3
		.amdhsa_float_denorm_mode_16_64 3
		.amdhsa_dx10_clamp 1
		.amdhsa_ieee_mode 1
		.amdhsa_fp16_overflow 0
		.amdhsa_tg_split 0
		.amdhsa_exception_fp_ieee_invalid_op 0
		.amdhsa_exception_fp_denorm_src 0
		.amdhsa_exception_fp_ieee_div_zero 0
		.amdhsa_exception_fp_ieee_overflow 0
		.amdhsa_exception_fp_ieee_underflow 0
		.amdhsa_exception_fp_ieee_inexact 0
		.amdhsa_exception_int_div_zero 0
	.end_amdhsa_kernel
	.section	.text._ZN7rocprim17ROCPRIM_400000_NS6detail17trampoline_kernelINS0_14default_configENS1_35radix_sort_onesweep_config_selectorIssEEZZNS1_29radix_sort_onesweep_iterationIS3_Lb0EN6thrust23THRUST_200600_302600_NS6detail15normal_iteratorINS8_10device_ptrIsEEEESD_SD_SD_jNS0_19identity_decomposerENS1_16block_id_wrapperIjLb0EEEEE10hipError_tT1_PNSt15iterator_traitsISI_E10value_typeET2_T3_PNSJ_ISO_E10value_typeET4_T5_PST_SU_PNS1_23onesweep_lookback_stateEbbT6_jjT7_P12ihipStream_tbENKUlT_T0_SI_SN_E_clISD_PsSD_S15_EEDaS11_S12_SI_SN_EUlS11_E_NS1_11comp_targetILNS1_3genE10ELNS1_11target_archE1201ELNS1_3gpuE5ELNS1_3repE0EEENS1_47radix_sort_onesweep_sort_config_static_selectorELNS0_4arch9wavefront6targetE1EEEvSI_,"axG",@progbits,_ZN7rocprim17ROCPRIM_400000_NS6detail17trampoline_kernelINS0_14default_configENS1_35radix_sort_onesweep_config_selectorIssEEZZNS1_29radix_sort_onesweep_iterationIS3_Lb0EN6thrust23THRUST_200600_302600_NS6detail15normal_iteratorINS8_10device_ptrIsEEEESD_SD_SD_jNS0_19identity_decomposerENS1_16block_id_wrapperIjLb0EEEEE10hipError_tT1_PNSt15iterator_traitsISI_E10value_typeET2_T3_PNSJ_ISO_E10value_typeET4_T5_PST_SU_PNS1_23onesweep_lookback_stateEbbT6_jjT7_P12ihipStream_tbENKUlT_T0_SI_SN_E_clISD_PsSD_S15_EEDaS11_S12_SI_SN_EUlS11_E_NS1_11comp_targetILNS1_3genE10ELNS1_11target_archE1201ELNS1_3gpuE5ELNS1_3repE0EEENS1_47radix_sort_onesweep_sort_config_static_selectorELNS0_4arch9wavefront6targetE1EEEvSI_,comdat
.Lfunc_end1684:
	.size	_ZN7rocprim17ROCPRIM_400000_NS6detail17trampoline_kernelINS0_14default_configENS1_35radix_sort_onesweep_config_selectorIssEEZZNS1_29radix_sort_onesweep_iterationIS3_Lb0EN6thrust23THRUST_200600_302600_NS6detail15normal_iteratorINS8_10device_ptrIsEEEESD_SD_SD_jNS0_19identity_decomposerENS1_16block_id_wrapperIjLb0EEEEE10hipError_tT1_PNSt15iterator_traitsISI_E10value_typeET2_T3_PNSJ_ISO_E10value_typeET4_T5_PST_SU_PNS1_23onesweep_lookback_stateEbbT6_jjT7_P12ihipStream_tbENKUlT_T0_SI_SN_E_clISD_PsSD_S15_EEDaS11_S12_SI_SN_EUlS11_E_NS1_11comp_targetILNS1_3genE10ELNS1_11target_archE1201ELNS1_3gpuE5ELNS1_3repE0EEENS1_47radix_sort_onesweep_sort_config_static_selectorELNS0_4arch9wavefront6targetE1EEEvSI_, .Lfunc_end1684-_ZN7rocprim17ROCPRIM_400000_NS6detail17trampoline_kernelINS0_14default_configENS1_35radix_sort_onesweep_config_selectorIssEEZZNS1_29radix_sort_onesweep_iterationIS3_Lb0EN6thrust23THRUST_200600_302600_NS6detail15normal_iteratorINS8_10device_ptrIsEEEESD_SD_SD_jNS0_19identity_decomposerENS1_16block_id_wrapperIjLb0EEEEE10hipError_tT1_PNSt15iterator_traitsISI_E10value_typeET2_T3_PNSJ_ISO_E10value_typeET4_T5_PST_SU_PNS1_23onesweep_lookback_stateEbbT6_jjT7_P12ihipStream_tbENKUlT_T0_SI_SN_E_clISD_PsSD_S15_EEDaS11_S12_SI_SN_EUlS11_E_NS1_11comp_targetILNS1_3genE10ELNS1_11target_archE1201ELNS1_3gpuE5ELNS1_3repE0EEENS1_47radix_sort_onesweep_sort_config_static_selectorELNS0_4arch9wavefront6targetE1EEEvSI_
                                        ; -- End function
	.set _ZN7rocprim17ROCPRIM_400000_NS6detail17trampoline_kernelINS0_14default_configENS1_35radix_sort_onesweep_config_selectorIssEEZZNS1_29radix_sort_onesweep_iterationIS3_Lb0EN6thrust23THRUST_200600_302600_NS6detail15normal_iteratorINS8_10device_ptrIsEEEESD_SD_SD_jNS0_19identity_decomposerENS1_16block_id_wrapperIjLb0EEEEE10hipError_tT1_PNSt15iterator_traitsISI_E10value_typeET2_T3_PNSJ_ISO_E10value_typeET4_T5_PST_SU_PNS1_23onesweep_lookback_stateEbbT6_jjT7_P12ihipStream_tbENKUlT_T0_SI_SN_E_clISD_PsSD_S15_EEDaS11_S12_SI_SN_EUlS11_E_NS1_11comp_targetILNS1_3genE10ELNS1_11target_archE1201ELNS1_3gpuE5ELNS1_3repE0EEENS1_47radix_sort_onesweep_sort_config_static_selectorELNS0_4arch9wavefront6targetE1EEEvSI_.num_vgpr, 0
	.set _ZN7rocprim17ROCPRIM_400000_NS6detail17trampoline_kernelINS0_14default_configENS1_35radix_sort_onesweep_config_selectorIssEEZZNS1_29radix_sort_onesweep_iterationIS3_Lb0EN6thrust23THRUST_200600_302600_NS6detail15normal_iteratorINS8_10device_ptrIsEEEESD_SD_SD_jNS0_19identity_decomposerENS1_16block_id_wrapperIjLb0EEEEE10hipError_tT1_PNSt15iterator_traitsISI_E10value_typeET2_T3_PNSJ_ISO_E10value_typeET4_T5_PST_SU_PNS1_23onesweep_lookback_stateEbbT6_jjT7_P12ihipStream_tbENKUlT_T0_SI_SN_E_clISD_PsSD_S15_EEDaS11_S12_SI_SN_EUlS11_E_NS1_11comp_targetILNS1_3genE10ELNS1_11target_archE1201ELNS1_3gpuE5ELNS1_3repE0EEENS1_47radix_sort_onesweep_sort_config_static_selectorELNS0_4arch9wavefront6targetE1EEEvSI_.num_agpr, 0
	.set _ZN7rocprim17ROCPRIM_400000_NS6detail17trampoline_kernelINS0_14default_configENS1_35radix_sort_onesweep_config_selectorIssEEZZNS1_29radix_sort_onesweep_iterationIS3_Lb0EN6thrust23THRUST_200600_302600_NS6detail15normal_iteratorINS8_10device_ptrIsEEEESD_SD_SD_jNS0_19identity_decomposerENS1_16block_id_wrapperIjLb0EEEEE10hipError_tT1_PNSt15iterator_traitsISI_E10value_typeET2_T3_PNSJ_ISO_E10value_typeET4_T5_PST_SU_PNS1_23onesweep_lookback_stateEbbT6_jjT7_P12ihipStream_tbENKUlT_T0_SI_SN_E_clISD_PsSD_S15_EEDaS11_S12_SI_SN_EUlS11_E_NS1_11comp_targetILNS1_3genE10ELNS1_11target_archE1201ELNS1_3gpuE5ELNS1_3repE0EEENS1_47radix_sort_onesweep_sort_config_static_selectorELNS0_4arch9wavefront6targetE1EEEvSI_.numbered_sgpr, 0
	.set _ZN7rocprim17ROCPRIM_400000_NS6detail17trampoline_kernelINS0_14default_configENS1_35radix_sort_onesweep_config_selectorIssEEZZNS1_29radix_sort_onesweep_iterationIS3_Lb0EN6thrust23THRUST_200600_302600_NS6detail15normal_iteratorINS8_10device_ptrIsEEEESD_SD_SD_jNS0_19identity_decomposerENS1_16block_id_wrapperIjLb0EEEEE10hipError_tT1_PNSt15iterator_traitsISI_E10value_typeET2_T3_PNSJ_ISO_E10value_typeET4_T5_PST_SU_PNS1_23onesweep_lookback_stateEbbT6_jjT7_P12ihipStream_tbENKUlT_T0_SI_SN_E_clISD_PsSD_S15_EEDaS11_S12_SI_SN_EUlS11_E_NS1_11comp_targetILNS1_3genE10ELNS1_11target_archE1201ELNS1_3gpuE5ELNS1_3repE0EEENS1_47radix_sort_onesweep_sort_config_static_selectorELNS0_4arch9wavefront6targetE1EEEvSI_.num_named_barrier, 0
	.set _ZN7rocprim17ROCPRIM_400000_NS6detail17trampoline_kernelINS0_14default_configENS1_35radix_sort_onesweep_config_selectorIssEEZZNS1_29radix_sort_onesweep_iterationIS3_Lb0EN6thrust23THRUST_200600_302600_NS6detail15normal_iteratorINS8_10device_ptrIsEEEESD_SD_SD_jNS0_19identity_decomposerENS1_16block_id_wrapperIjLb0EEEEE10hipError_tT1_PNSt15iterator_traitsISI_E10value_typeET2_T3_PNSJ_ISO_E10value_typeET4_T5_PST_SU_PNS1_23onesweep_lookback_stateEbbT6_jjT7_P12ihipStream_tbENKUlT_T0_SI_SN_E_clISD_PsSD_S15_EEDaS11_S12_SI_SN_EUlS11_E_NS1_11comp_targetILNS1_3genE10ELNS1_11target_archE1201ELNS1_3gpuE5ELNS1_3repE0EEENS1_47radix_sort_onesweep_sort_config_static_selectorELNS0_4arch9wavefront6targetE1EEEvSI_.private_seg_size, 0
	.set _ZN7rocprim17ROCPRIM_400000_NS6detail17trampoline_kernelINS0_14default_configENS1_35radix_sort_onesweep_config_selectorIssEEZZNS1_29radix_sort_onesweep_iterationIS3_Lb0EN6thrust23THRUST_200600_302600_NS6detail15normal_iteratorINS8_10device_ptrIsEEEESD_SD_SD_jNS0_19identity_decomposerENS1_16block_id_wrapperIjLb0EEEEE10hipError_tT1_PNSt15iterator_traitsISI_E10value_typeET2_T3_PNSJ_ISO_E10value_typeET4_T5_PST_SU_PNS1_23onesweep_lookback_stateEbbT6_jjT7_P12ihipStream_tbENKUlT_T0_SI_SN_E_clISD_PsSD_S15_EEDaS11_S12_SI_SN_EUlS11_E_NS1_11comp_targetILNS1_3genE10ELNS1_11target_archE1201ELNS1_3gpuE5ELNS1_3repE0EEENS1_47radix_sort_onesweep_sort_config_static_selectorELNS0_4arch9wavefront6targetE1EEEvSI_.uses_vcc, 0
	.set _ZN7rocprim17ROCPRIM_400000_NS6detail17trampoline_kernelINS0_14default_configENS1_35radix_sort_onesweep_config_selectorIssEEZZNS1_29radix_sort_onesweep_iterationIS3_Lb0EN6thrust23THRUST_200600_302600_NS6detail15normal_iteratorINS8_10device_ptrIsEEEESD_SD_SD_jNS0_19identity_decomposerENS1_16block_id_wrapperIjLb0EEEEE10hipError_tT1_PNSt15iterator_traitsISI_E10value_typeET2_T3_PNSJ_ISO_E10value_typeET4_T5_PST_SU_PNS1_23onesweep_lookback_stateEbbT6_jjT7_P12ihipStream_tbENKUlT_T0_SI_SN_E_clISD_PsSD_S15_EEDaS11_S12_SI_SN_EUlS11_E_NS1_11comp_targetILNS1_3genE10ELNS1_11target_archE1201ELNS1_3gpuE5ELNS1_3repE0EEENS1_47radix_sort_onesweep_sort_config_static_selectorELNS0_4arch9wavefront6targetE1EEEvSI_.uses_flat_scratch, 0
	.set _ZN7rocprim17ROCPRIM_400000_NS6detail17trampoline_kernelINS0_14default_configENS1_35radix_sort_onesweep_config_selectorIssEEZZNS1_29radix_sort_onesweep_iterationIS3_Lb0EN6thrust23THRUST_200600_302600_NS6detail15normal_iteratorINS8_10device_ptrIsEEEESD_SD_SD_jNS0_19identity_decomposerENS1_16block_id_wrapperIjLb0EEEEE10hipError_tT1_PNSt15iterator_traitsISI_E10value_typeET2_T3_PNSJ_ISO_E10value_typeET4_T5_PST_SU_PNS1_23onesweep_lookback_stateEbbT6_jjT7_P12ihipStream_tbENKUlT_T0_SI_SN_E_clISD_PsSD_S15_EEDaS11_S12_SI_SN_EUlS11_E_NS1_11comp_targetILNS1_3genE10ELNS1_11target_archE1201ELNS1_3gpuE5ELNS1_3repE0EEENS1_47radix_sort_onesweep_sort_config_static_selectorELNS0_4arch9wavefront6targetE1EEEvSI_.has_dyn_sized_stack, 0
	.set _ZN7rocprim17ROCPRIM_400000_NS6detail17trampoline_kernelINS0_14default_configENS1_35radix_sort_onesweep_config_selectorIssEEZZNS1_29radix_sort_onesweep_iterationIS3_Lb0EN6thrust23THRUST_200600_302600_NS6detail15normal_iteratorINS8_10device_ptrIsEEEESD_SD_SD_jNS0_19identity_decomposerENS1_16block_id_wrapperIjLb0EEEEE10hipError_tT1_PNSt15iterator_traitsISI_E10value_typeET2_T3_PNSJ_ISO_E10value_typeET4_T5_PST_SU_PNS1_23onesweep_lookback_stateEbbT6_jjT7_P12ihipStream_tbENKUlT_T0_SI_SN_E_clISD_PsSD_S15_EEDaS11_S12_SI_SN_EUlS11_E_NS1_11comp_targetILNS1_3genE10ELNS1_11target_archE1201ELNS1_3gpuE5ELNS1_3repE0EEENS1_47radix_sort_onesweep_sort_config_static_selectorELNS0_4arch9wavefront6targetE1EEEvSI_.has_recursion, 0
	.set _ZN7rocprim17ROCPRIM_400000_NS6detail17trampoline_kernelINS0_14default_configENS1_35radix_sort_onesweep_config_selectorIssEEZZNS1_29radix_sort_onesweep_iterationIS3_Lb0EN6thrust23THRUST_200600_302600_NS6detail15normal_iteratorINS8_10device_ptrIsEEEESD_SD_SD_jNS0_19identity_decomposerENS1_16block_id_wrapperIjLb0EEEEE10hipError_tT1_PNSt15iterator_traitsISI_E10value_typeET2_T3_PNSJ_ISO_E10value_typeET4_T5_PST_SU_PNS1_23onesweep_lookback_stateEbbT6_jjT7_P12ihipStream_tbENKUlT_T0_SI_SN_E_clISD_PsSD_S15_EEDaS11_S12_SI_SN_EUlS11_E_NS1_11comp_targetILNS1_3genE10ELNS1_11target_archE1201ELNS1_3gpuE5ELNS1_3repE0EEENS1_47radix_sort_onesweep_sort_config_static_selectorELNS0_4arch9wavefront6targetE1EEEvSI_.has_indirect_call, 0
	.section	.AMDGPU.csdata,"",@progbits
; Kernel info:
; codeLenInByte = 0
; TotalNumSgprs: 6
; NumVgprs: 0
; NumAgprs: 0
; TotalNumVgprs: 0
; ScratchSize: 0
; MemoryBound: 0
; FloatMode: 240
; IeeeMode: 1
; LDSByteSize: 0 bytes/workgroup (compile time only)
; SGPRBlocks: 0
; VGPRBlocks: 0
; NumSGPRsForWavesPerEU: 6
; NumVGPRsForWavesPerEU: 1
; AccumOffset: 4
; Occupancy: 8
; WaveLimiterHint : 0
; COMPUTE_PGM_RSRC2:SCRATCH_EN: 0
; COMPUTE_PGM_RSRC2:USER_SGPR: 2
; COMPUTE_PGM_RSRC2:TRAP_HANDLER: 0
; COMPUTE_PGM_RSRC2:TGID_X_EN: 1
; COMPUTE_PGM_RSRC2:TGID_Y_EN: 0
; COMPUTE_PGM_RSRC2:TGID_Z_EN: 0
; COMPUTE_PGM_RSRC2:TIDIG_COMP_CNT: 0
; COMPUTE_PGM_RSRC3_GFX90A:ACCUM_OFFSET: 0
; COMPUTE_PGM_RSRC3_GFX90A:TG_SPLIT: 0
	.section	.text._ZN7rocprim17ROCPRIM_400000_NS6detail17trampoline_kernelINS0_14default_configENS1_35radix_sort_onesweep_config_selectorIssEEZZNS1_29radix_sort_onesweep_iterationIS3_Lb0EN6thrust23THRUST_200600_302600_NS6detail15normal_iteratorINS8_10device_ptrIsEEEESD_SD_SD_jNS0_19identity_decomposerENS1_16block_id_wrapperIjLb0EEEEE10hipError_tT1_PNSt15iterator_traitsISI_E10value_typeET2_T3_PNSJ_ISO_E10value_typeET4_T5_PST_SU_PNS1_23onesweep_lookback_stateEbbT6_jjT7_P12ihipStream_tbENKUlT_T0_SI_SN_E_clISD_PsSD_S15_EEDaS11_S12_SI_SN_EUlS11_E_NS1_11comp_targetILNS1_3genE9ELNS1_11target_archE1100ELNS1_3gpuE3ELNS1_3repE0EEENS1_47radix_sort_onesweep_sort_config_static_selectorELNS0_4arch9wavefront6targetE1EEEvSI_,"axG",@progbits,_ZN7rocprim17ROCPRIM_400000_NS6detail17trampoline_kernelINS0_14default_configENS1_35radix_sort_onesweep_config_selectorIssEEZZNS1_29radix_sort_onesweep_iterationIS3_Lb0EN6thrust23THRUST_200600_302600_NS6detail15normal_iteratorINS8_10device_ptrIsEEEESD_SD_SD_jNS0_19identity_decomposerENS1_16block_id_wrapperIjLb0EEEEE10hipError_tT1_PNSt15iterator_traitsISI_E10value_typeET2_T3_PNSJ_ISO_E10value_typeET4_T5_PST_SU_PNS1_23onesweep_lookback_stateEbbT6_jjT7_P12ihipStream_tbENKUlT_T0_SI_SN_E_clISD_PsSD_S15_EEDaS11_S12_SI_SN_EUlS11_E_NS1_11comp_targetILNS1_3genE9ELNS1_11target_archE1100ELNS1_3gpuE3ELNS1_3repE0EEENS1_47radix_sort_onesweep_sort_config_static_selectorELNS0_4arch9wavefront6targetE1EEEvSI_,comdat
	.protected	_ZN7rocprim17ROCPRIM_400000_NS6detail17trampoline_kernelINS0_14default_configENS1_35radix_sort_onesweep_config_selectorIssEEZZNS1_29radix_sort_onesweep_iterationIS3_Lb0EN6thrust23THRUST_200600_302600_NS6detail15normal_iteratorINS8_10device_ptrIsEEEESD_SD_SD_jNS0_19identity_decomposerENS1_16block_id_wrapperIjLb0EEEEE10hipError_tT1_PNSt15iterator_traitsISI_E10value_typeET2_T3_PNSJ_ISO_E10value_typeET4_T5_PST_SU_PNS1_23onesweep_lookback_stateEbbT6_jjT7_P12ihipStream_tbENKUlT_T0_SI_SN_E_clISD_PsSD_S15_EEDaS11_S12_SI_SN_EUlS11_E_NS1_11comp_targetILNS1_3genE9ELNS1_11target_archE1100ELNS1_3gpuE3ELNS1_3repE0EEENS1_47radix_sort_onesweep_sort_config_static_selectorELNS0_4arch9wavefront6targetE1EEEvSI_ ; -- Begin function _ZN7rocprim17ROCPRIM_400000_NS6detail17trampoline_kernelINS0_14default_configENS1_35radix_sort_onesweep_config_selectorIssEEZZNS1_29radix_sort_onesweep_iterationIS3_Lb0EN6thrust23THRUST_200600_302600_NS6detail15normal_iteratorINS8_10device_ptrIsEEEESD_SD_SD_jNS0_19identity_decomposerENS1_16block_id_wrapperIjLb0EEEEE10hipError_tT1_PNSt15iterator_traitsISI_E10value_typeET2_T3_PNSJ_ISO_E10value_typeET4_T5_PST_SU_PNS1_23onesweep_lookback_stateEbbT6_jjT7_P12ihipStream_tbENKUlT_T0_SI_SN_E_clISD_PsSD_S15_EEDaS11_S12_SI_SN_EUlS11_E_NS1_11comp_targetILNS1_3genE9ELNS1_11target_archE1100ELNS1_3gpuE3ELNS1_3repE0EEENS1_47radix_sort_onesweep_sort_config_static_selectorELNS0_4arch9wavefront6targetE1EEEvSI_
	.globl	_ZN7rocprim17ROCPRIM_400000_NS6detail17trampoline_kernelINS0_14default_configENS1_35radix_sort_onesweep_config_selectorIssEEZZNS1_29radix_sort_onesweep_iterationIS3_Lb0EN6thrust23THRUST_200600_302600_NS6detail15normal_iteratorINS8_10device_ptrIsEEEESD_SD_SD_jNS0_19identity_decomposerENS1_16block_id_wrapperIjLb0EEEEE10hipError_tT1_PNSt15iterator_traitsISI_E10value_typeET2_T3_PNSJ_ISO_E10value_typeET4_T5_PST_SU_PNS1_23onesweep_lookback_stateEbbT6_jjT7_P12ihipStream_tbENKUlT_T0_SI_SN_E_clISD_PsSD_S15_EEDaS11_S12_SI_SN_EUlS11_E_NS1_11comp_targetILNS1_3genE9ELNS1_11target_archE1100ELNS1_3gpuE3ELNS1_3repE0EEENS1_47radix_sort_onesweep_sort_config_static_selectorELNS0_4arch9wavefront6targetE1EEEvSI_
	.p2align	8
	.type	_ZN7rocprim17ROCPRIM_400000_NS6detail17trampoline_kernelINS0_14default_configENS1_35radix_sort_onesweep_config_selectorIssEEZZNS1_29radix_sort_onesweep_iterationIS3_Lb0EN6thrust23THRUST_200600_302600_NS6detail15normal_iteratorINS8_10device_ptrIsEEEESD_SD_SD_jNS0_19identity_decomposerENS1_16block_id_wrapperIjLb0EEEEE10hipError_tT1_PNSt15iterator_traitsISI_E10value_typeET2_T3_PNSJ_ISO_E10value_typeET4_T5_PST_SU_PNS1_23onesweep_lookback_stateEbbT6_jjT7_P12ihipStream_tbENKUlT_T0_SI_SN_E_clISD_PsSD_S15_EEDaS11_S12_SI_SN_EUlS11_E_NS1_11comp_targetILNS1_3genE9ELNS1_11target_archE1100ELNS1_3gpuE3ELNS1_3repE0EEENS1_47radix_sort_onesweep_sort_config_static_selectorELNS0_4arch9wavefront6targetE1EEEvSI_,@function
_ZN7rocprim17ROCPRIM_400000_NS6detail17trampoline_kernelINS0_14default_configENS1_35radix_sort_onesweep_config_selectorIssEEZZNS1_29radix_sort_onesweep_iterationIS3_Lb0EN6thrust23THRUST_200600_302600_NS6detail15normal_iteratorINS8_10device_ptrIsEEEESD_SD_SD_jNS0_19identity_decomposerENS1_16block_id_wrapperIjLb0EEEEE10hipError_tT1_PNSt15iterator_traitsISI_E10value_typeET2_T3_PNSJ_ISO_E10value_typeET4_T5_PST_SU_PNS1_23onesweep_lookback_stateEbbT6_jjT7_P12ihipStream_tbENKUlT_T0_SI_SN_E_clISD_PsSD_S15_EEDaS11_S12_SI_SN_EUlS11_E_NS1_11comp_targetILNS1_3genE9ELNS1_11target_archE1100ELNS1_3gpuE3ELNS1_3repE0EEENS1_47radix_sort_onesweep_sort_config_static_selectorELNS0_4arch9wavefront6targetE1EEEvSI_: ; @_ZN7rocprim17ROCPRIM_400000_NS6detail17trampoline_kernelINS0_14default_configENS1_35radix_sort_onesweep_config_selectorIssEEZZNS1_29radix_sort_onesweep_iterationIS3_Lb0EN6thrust23THRUST_200600_302600_NS6detail15normal_iteratorINS8_10device_ptrIsEEEESD_SD_SD_jNS0_19identity_decomposerENS1_16block_id_wrapperIjLb0EEEEE10hipError_tT1_PNSt15iterator_traitsISI_E10value_typeET2_T3_PNSJ_ISO_E10value_typeET4_T5_PST_SU_PNS1_23onesweep_lookback_stateEbbT6_jjT7_P12ihipStream_tbENKUlT_T0_SI_SN_E_clISD_PsSD_S15_EEDaS11_S12_SI_SN_EUlS11_E_NS1_11comp_targetILNS1_3genE9ELNS1_11target_archE1100ELNS1_3gpuE3ELNS1_3repE0EEENS1_47radix_sort_onesweep_sort_config_static_selectorELNS0_4arch9wavefront6targetE1EEEvSI_
; %bb.0:
	.section	.rodata,"a",@progbits
	.p2align	6, 0x0
	.amdhsa_kernel _ZN7rocprim17ROCPRIM_400000_NS6detail17trampoline_kernelINS0_14default_configENS1_35radix_sort_onesweep_config_selectorIssEEZZNS1_29radix_sort_onesweep_iterationIS3_Lb0EN6thrust23THRUST_200600_302600_NS6detail15normal_iteratorINS8_10device_ptrIsEEEESD_SD_SD_jNS0_19identity_decomposerENS1_16block_id_wrapperIjLb0EEEEE10hipError_tT1_PNSt15iterator_traitsISI_E10value_typeET2_T3_PNSJ_ISO_E10value_typeET4_T5_PST_SU_PNS1_23onesweep_lookback_stateEbbT6_jjT7_P12ihipStream_tbENKUlT_T0_SI_SN_E_clISD_PsSD_S15_EEDaS11_S12_SI_SN_EUlS11_E_NS1_11comp_targetILNS1_3genE9ELNS1_11target_archE1100ELNS1_3gpuE3ELNS1_3repE0EEENS1_47radix_sort_onesweep_sort_config_static_selectorELNS0_4arch9wavefront6targetE1EEEvSI_
		.amdhsa_group_segment_fixed_size 0
		.amdhsa_private_segment_fixed_size 0
		.amdhsa_kernarg_size 88
		.amdhsa_user_sgpr_count 2
		.amdhsa_user_sgpr_dispatch_ptr 0
		.amdhsa_user_sgpr_queue_ptr 0
		.amdhsa_user_sgpr_kernarg_segment_ptr 1
		.amdhsa_user_sgpr_dispatch_id 0
		.amdhsa_user_sgpr_kernarg_preload_length 0
		.amdhsa_user_sgpr_kernarg_preload_offset 0
		.amdhsa_user_sgpr_private_segment_size 0
		.amdhsa_uses_dynamic_stack 0
		.amdhsa_enable_private_segment 0
		.amdhsa_system_sgpr_workgroup_id_x 1
		.amdhsa_system_sgpr_workgroup_id_y 0
		.amdhsa_system_sgpr_workgroup_id_z 0
		.amdhsa_system_sgpr_workgroup_info 0
		.amdhsa_system_vgpr_workitem_id 0
		.amdhsa_next_free_vgpr 1
		.amdhsa_next_free_sgpr 0
		.amdhsa_accum_offset 4
		.amdhsa_reserve_vcc 0
		.amdhsa_float_round_mode_32 0
		.amdhsa_float_round_mode_16_64 0
		.amdhsa_float_denorm_mode_32 3
		.amdhsa_float_denorm_mode_16_64 3
		.amdhsa_dx10_clamp 1
		.amdhsa_ieee_mode 1
		.amdhsa_fp16_overflow 0
		.amdhsa_tg_split 0
		.amdhsa_exception_fp_ieee_invalid_op 0
		.amdhsa_exception_fp_denorm_src 0
		.amdhsa_exception_fp_ieee_div_zero 0
		.amdhsa_exception_fp_ieee_overflow 0
		.amdhsa_exception_fp_ieee_underflow 0
		.amdhsa_exception_fp_ieee_inexact 0
		.amdhsa_exception_int_div_zero 0
	.end_amdhsa_kernel
	.section	.text._ZN7rocprim17ROCPRIM_400000_NS6detail17trampoline_kernelINS0_14default_configENS1_35radix_sort_onesweep_config_selectorIssEEZZNS1_29radix_sort_onesweep_iterationIS3_Lb0EN6thrust23THRUST_200600_302600_NS6detail15normal_iteratorINS8_10device_ptrIsEEEESD_SD_SD_jNS0_19identity_decomposerENS1_16block_id_wrapperIjLb0EEEEE10hipError_tT1_PNSt15iterator_traitsISI_E10value_typeET2_T3_PNSJ_ISO_E10value_typeET4_T5_PST_SU_PNS1_23onesweep_lookback_stateEbbT6_jjT7_P12ihipStream_tbENKUlT_T0_SI_SN_E_clISD_PsSD_S15_EEDaS11_S12_SI_SN_EUlS11_E_NS1_11comp_targetILNS1_3genE9ELNS1_11target_archE1100ELNS1_3gpuE3ELNS1_3repE0EEENS1_47radix_sort_onesweep_sort_config_static_selectorELNS0_4arch9wavefront6targetE1EEEvSI_,"axG",@progbits,_ZN7rocprim17ROCPRIM_400000_NS6detail17trampoline_kernelINS0_14default_configENS1_35radix_sort_onesweep_config_selectorIssEEZZNS1_29radix_sort_onesweep_iterationIS3_Lb0EN6thrust23THRUST_200600_302600_NS6detail15normal_iteratorINS8_10device_ptrIsEEEESD_SD_SD_jNS0_19identity_decomposerENS1_16block_id_wrapperIjLb0EEEEE10hipError_tT1_PNSt15iterator_traitsISI_E10value_typeET2_T3_PNSJ_ISO_E10value_typeET4_T5_PST_SU_PNS1_23onesweep_lookback_stateEbbT6_jjT7_P12ihipStream_tbENKUlT_T0_SI_SN_E_clISD_PsSD_S15_EEDaS11_S12_SI_SN_EUlS11_E_NS1_11comp_targetILNS1_3genE9ELNS1_11target_archE1100ELNS1_3gpuE3ELNS1_3repE0EEENS1_47radix_sort_onesweep_sort_config_static_selectorELNS0_4arch9wavefront6targetE1EEEvSI_,comdat
.Lfunc_end1685:
	.size	_ZN7rocprim17ROCPRIM_400000_NS6detail17trampoline_kernelINS0_14default_configENS1_35radix_sort_onesweep_config_selectorIssEEZZNS1_29radix_sort_onesweep_iterationIS3_Lb0EN6thrust23THRUST_200600_302600_NS6detail15normal_iteratorINS8_10device_ptrIsEEEESD_SD_SD_jNS0_19identity_decomposerENS1_16block_id_wrapperIjLb0EEEEE10hipError_tT1_PNSt15iterator_traitsISI_E10value_typeET2_T3_PNSJ_ISO_E10value_typeET4_T5_PST_SU_PNS1_23onesweep_lookback_stateEbbT6_jjT7_P12ihipStream_tbENKUlT_T0_SI_SN_E_clISD_PsSD_S15_EEDaS11_S12_SI_SN_EUlS11_E_NS1_11comp_targetILNS1_3genE9ELNS1_11target_archE1100ELNS1_3gpuE3ELNS1_3repE0EEENS1_47radix_sort_onesweep_sort_config_static_selectorELNS0_4arch9wavefront6targetE1EEEvSI_, .Lfunc_end1685-_ZN7rocprim17ROCPRIM_400000_NS6detail17trampoline_kernelINS0_14default_configENS1_35radix_sort_onesweep_config_selectorIssEEZZNS1_29radix_sort_onesweep_iterationIS3_Lb0EN6thrust23THRUST_200600_302600_NS6detail15normal_iteratorINS8_10device_ptrIsEEEESD_SD_SD_jNS0_19identity_decomposerENS1_16block_id_wrapperIjLb0EEEEE10hipError_tT1_PNSt15iterator_traitsISI_E10value_typeET2_T3_PNSJ_ISO_E10value_typeET4_T5_PST_SU_PNS1_23onesweep_lookback_stateEbbT6_jjT7_P12ihipStream_tbENKUlT_T0_SI_SN_E_clISD_PsSD_S15_EEDaS11_S12_SI_SN_EUlS11_E_NS1_11comp_targetILNS1_3genE9ELNS1_11target_archE1100ELNS1_3gpuE3ELNS1_3repE0EEENS1_47radix_sort_onesweep_sort_config_static_selectorELNS0_4arch9wavefront6targetE1EEEvSI_
                                        ; -- End function
	.set _ZN7rocprim17ROCPRIM_400000_NS6detail17trampoline_kernelINS0_14default_configENS1_35radix_sort_onesweep_config_selectorIssEEZZNS1_29radix_sort_onesweep_iterationIS3_Lb0EN6thrust23THRUST_200600_302600_NS6detail15normal_iteratorINS8_10device_ptrIsEEEESD_SD_SD_jNS0_19identity_decomposerENS1_16block_id_wrapperIjLb0EEEEE10hipError_tT1_PNSt15iterator_traitsISI_E10value_typeET2_T3_PNSJ_ISO_E10value_typeET4_T5_PST_SU_PNS1_23onesweep_lookback_stateEbbT6_jjT7_P12ihipStream_tbENKUlT_T0_SI_SN_E_clISD_PsSD_S15_EEDaS11_S12_SI_SN_EUlS11_E_NS1_11comp_targetILNS1_3genE9ELNS1_11target_archE1100ELNS1_3gpuE3ELNS1_3repE0EEENS1_47radix_sort_onesweep_sort_config_static_selectorELNS0_4arch9wavefront6targetE1EEEvSI_.num_vgpr, 0
	.set _ZN7rocprim17ROCPRIM_400000_NS6detail17trampoline_kernelINS0_14default_configENS1_35radix_sort_onesweep_config_selectorIssEEZZNS1_29radix_sort_onesweep_iterationIS3_Lb0EN6thrust23THRUST_200600_302600_NS6detail15normal_iteratorINS8_10device_ptrIsEEEESD_SD_SD_jNS0_19identity_decomposerENS1_16block_id_wrapperIjLb0EEEEE10hipError_tT1_PNSt15iterator_traitsISI_E10value_typeET2_T3_PNSJ_ISO_E10value_typeET4_T5_PST_SU_PNS1_23onesweep_lookback_stateEbbT6_jjT7_P12ihipStream_tbENKUlT_T0_SI_SN_E_clISD_PsSD_S15_EEDaS11_S12_SI_SN_EUlS11_E_NS1_11comp_targetILNS1_3genE9ELNS1_11target_archE1100ELNS1_3gpuE3ELNS1_3repE0EEENS1_47radix_sort_onesweep_sort_config_static_selectorELNS0_4arch9wavefront6targetE1EEEvSI_.num_agpr, 0
	.set _ZN7rocprim17ROCPRIM_400000_NS6detail17trampoline_kernelINS0_14default_configENS1_35radix_sort_onesweep_config_selectorIssEEZZNS1_29radix_sort_onesweep_iterationIS3_Lb0EN6thrust23THRUST_200600_302600_NS6detail15normal_iteratorINS8_10device_ptrIsEEEESD_SD_SD_jNS0_19identity_decomposerENS1_16block_id_wrapperIjLb0EEEEE10hipError_tT1_PNSt15iterator_traitsISI_E10value_typeET2_T3_PNSJ_ISO_E10value_typeET4_T5_PST_SU_PNS1_23onesweep_lookback_stateEbbT6_jjT7_P12ihipStream_tbENKUlT_T0_SI_SN_E_clISD_PsSD_S15_EEDaS11_S12_SI_SN_EUlS11_E_NS1_11comp_targetILNS1_3genE9ELNS1_11target_archE1100ELNS1_3gpuE3ELNS1_3repE0EEENS1_47radix_sort_onesweep_sort_config_static_selectorELNS0_4arch9wavefront6targetE1EEEvSI_.numbered_sgpr, 0
	.set _ZN7rocprim17ROCPRIM_400000_NS6detail17trampoline_kernelINS0_14default_configENS1_35radix_sort_onesweep_config_selectorIssEEZZNS1_29radix_sort_onesweep_iterationIS3_Lb0EN6thrust23THRUST_200600_302600_NS6detail15normal_iteratorINS8_10device_ptrIsEEEESD_SD_SD_jNS0_19identity_decomposerENS1_16block_id_wrapperIjLb0EEEEE10hipError_tT1_PNSt15iterator_traitsISI_E10value_typeET2_T3_PNSJ_ISO_E10value_typeET4_T5_PST_SU_PNS1_23onesweep_lookback_stateEbbT6_jjT7_P12ihipStream_tbENKUlT_T0_SI_SN_E_clISD_PsSD_S15_EEDaS11_S12_SI_SN_EUlS11_E_NS1_11comp_targetILNS1_3genE9ELNS1_11target_archE1100ELNS1_3gpuE3ELNS1_3repE0EEENS1_47radix_sort_onesweep_sort_config_static_selectorELNS0_4arch9wavefront6targetE1EEEvSI_.num_named_barrier, 0
	.set _ZN7rocprim17ROCPRIM_400000_NS6detail17trampoline_kernelINS0_14default_configENS1_35radix_sort_onesweep_config_selectorIssEEZZNS1_29radix_sort_onesweep_iterationIS3_Lb0EN6thrust23THRUST_200600_302600_NS6detail15normal_iteratorINS8_10device_ptrIsEEEESD_SD_SD_jNS0_19identity_decomposerENS1_16block_id_wrapperIjLb0EEEEE10hipError_tT1_PNSt15iterator_traitsISI_E10value_typeET2_T3_PNSJ_ISO_E10value_typeET4_T5_PST_SU_PNS1_23onesweep_lookback_stateEbbT6_jjT7_P12ihipStream_tbENKUlT_T0_SI_SN_E_clISD_PsSD_S15_EEDaS11_S12_SI_SN_EUlS11_E_NS1_11comp_targetILNS1_3genE9ELNS1_11target_archE1100ELNS1_3gpuE3ELNS1_3repE0EEENS1_47radix_sort_onesweep_sort_config_static_selectorELNS0_4arch9wavefront6targetE1EEEvSI_.private_seg_size, 0
	.set _ZN7rocprim17ROCPRIM_400000_NS6detail17trampoline_kernelINS0_14default_configENS1_35radix_sort_onesweep_config_selectorIssEEZZNS1_29radix_sort_onesweep_iterationIS3_Lb0EN6thrust23THRUST_200600_302600_NS6detail15normal_iteratorINS8_10device_ptrIsEEEESD_SD_SD_jNS0_19identity_decomposerENS1_16block_id_wrapperIjLb0EEEEE10hipError_tT1_PNSt15iterator_traitsISI_E10value_typeET2_T3_PNSJ_ISO_E10value_typeET4_T5_PST_SU_PNS1_23onesweep_lookback_stateEbbT6_jjT7_P12ihipStream_tbENKUlT_T0_SI_SN_E_clISD_PsSD_S15_EEDaS11_S12_SI_SN_EUlS11_E_NS1_11comp_targetILNS1_3genE9ELNS1_11target_archE1100ELNS1_3gpuE3ELNS1_3repE0EEENS1_47radix_sort_onesweep_sort_config_static_selectorELNS0_4arch9wavefront6targetE1EEEvSI_.uses_vcc, 0
	.set _ZN7rocprim17ROCPRIM_400000_NS6detail17trampoline_kernelINS0_14default_configENS1_35radix_sort_onesweep_config_selectorIssEEZZNS1_29radix_sort_onesweep_iterationIS3_Lb0EN6thrust23THRUST_200600_302600_NS6detail15normal_iteratorINS8_10device_ptrIsEEEESD_SD_SD_jNS0_19identity_decomposerENS1_16block_id_wrapperIjLb0EEEEE10hipError_tT1_PNSt15iterator_traitsISI_E10value_typeET2_T3_PNSJ_ISO_E10value_typeET4_T5_PST_SU_PNS1_23onesweep_lookback_stateEbbT6_jjT7_P12ihipStream_tbENKUlT_T0_SI_SN_E_clISD_PsSD_S15_EEDaS11_S12_SI_SN_EUlS11_E_NS1_11comp_targetILNS1_3genE9ELNS1_11target_archE1100ELNS1_3gpuE3ELNS1_3repE0EEENS1_47radix_sort_onesweep_sort_config_static_selectorELNS0_4arch9wavefront6targetE1EEEvSI_.uses_flat_scratch, 0
	.set _ZN7rocprim17ROCPRIM_400000_NS6detail17trampoline_kernelINS0_14default_configENS1_35radix_sort_onesweep_config_selectorIssEEZZNS1_29radix_sort_onesweep_iterationIS3_Lb0EN6thrust23THRUST_200600_302600_NS6detail15normal_iteratorINS8_10device_ptrIsEEEESD_SD_SD_jNS0_19identity_decomposerENS1_16block_id_wrapperIjLb0EEEEE10hipError_tT1_PNSt15iterator_traitsISI_E10value_typeET2_T3_PNSJ_ISO_E10value_typeET4_T5_PST_SU_PNS1_23onesweep_lookback_stateEbbT6_jjT7_P12ihipStream_tbENKUlT_T0_SI_SN_E_clISD_PsSD_S15_EEDaS11_S12_SI_SN_EUlS11_E_NS1_11comp_targetILNS1_3genE9ELNS1_11target_archE1100ELNS1_3gpuE3ELNS1_3repE0EEENS1_47radix_sort_onesweep_sort_config_static_selectorELNS0_4arch9wavefront6targetE1EEEvSI_.has_dyn_sized_stack, 0
	.set _ZN7rocprim17ROCPRIM_400000_NS6detail17trampoline_kernelINS0_14default_configENS1_35radix_sort_onesweep_config_selectorIssEEZZNS1_29radix_sort_onesweep_iterationIS3_Lb0EN6thrust23THRUST_200600_302600_NS6detail15normal_iteratorINS8_10device_ptrIsEEEESD_SD_SD_jNS0_19identity_decomposerENS1_16block_id_wrapperIjLb0EEEEE10hipError_tT1_PNSt15iterator_traitsISI_E10value_typeET2_T3_PNSJ_ISO_E10value_typeET4_T5_PST_SU_PNS1_23onesweep_lookback_stateEbbT6_jjT7_P12ihipStream_tbENKUlT_T0_SI_SN_E_clISD_PsSD_S15_EEDaS11_S12_SI_SN_EUlS11_E_NS1_11comp_targetILNS1_3genE9ELNS1_11target_archE1100ELNS1_3gpuE3ELNS1_3repE0EEENS1_47radix_sort_onesweep_sort_config_static_selectorELNS0_4arch9wavefront6targetE1EEEvSI_.has_recursion, 0
	.set _ZN7rocprim17ROCPRIM_400000_NS6detail17trampoline_kernelINS0_14default_configENS1_35radix_sort_onesweep_config_selectorIssEEZZNS1_29radix_sort_onesweep_iterationIS3_Lb0EN6thrust23THRUST_200600_302600_NS6detail15normal_iteratorINS8_10device_ptrIsEEEESD_SD_SD_jNS0_19identity_decomposerENS1_16block_id_wrapperIjLb0EEEEE10hipError_tT1_PNSt15iterator_traitsISI_E10value_typeET2_T3_PNSJ_ISO_E10value_typeET4_T5_PST_SU_PNS1_23onesweep_lookback_stateEbbT6_jjT7_P12ihipStream_tbENKUlT_T0_SI_SN_E_clISD_PsSD_S15_EEDaS11_S12_SI_SN_EUlS11_E_NS1_11comp_targetILNS1_3genE9ELNS1_11target_archE1100ELNS1_3gpuE3ELNS1_3repE0EEENS1_47radix_sort_onesweep_sort_config_static_selectorELNS0_4arch9wavefront6targetE1EEEvSI_.has_indirect_call, 0
	.section	.AMDGPU.csdata,"",@progbits
; Kernel info:
; codeLenInByte = 0
; TotalNumSgprs: 6
; NumVgprs: 0
; NumAgprs: 0
; TotalNumVgprs: 0
; ScratchSize: 0
; MemoryBound: 0
; FloatMode: 240
; IeeeMode: 1
; LDSByteSize: 0 bytes/workgroup (compile time only)
; SGPRBlocks: 0
; VGPRBlocks: 0
; NumSGPRsForWavesPerEU: 6
; NumVGPRsForWavesPerEU: 1
; AccumOffset: 4
; Occupancy: 8
; WaveLimiterHint : 0
; COMPUTE_PGM_RSRC2:SCRATCH_EN: 0
; COMPUTE_PGM_RSRC2:USER_SGPR: 2
; COMPUTE_PGM_RSRC2:TRAP_HANDLER: 0
; COMPUTE_PGM_RSRC2:TGID_X_EN: 1
; COMPUTE_PGM_RSRC2:TGID_Y_EN: 0
; COMPUTE_PGM_RSRC2:TGID_Z_EN: 0
; COMPUTE_PGM_RSRC2:TIDIG_COMP_CNT: 0
; COMPUTE_PGM_RSRC3_GFX90A:ACCUM_OFFSET: 0
; COMPUTE_PGM_RSRC3_GFX90A:TG_SPLIT: 0
	.section	.text._ZN7rocprim17ROCPRIM_400000_NS6detail17trampoline_kernelINS0_14default_configENS1_35radix_sort_onesweep_config_selectorIssEEZZNS1_29radix_sort_onesweep_iterationIS3_Lb0EN6thrust23THRUST_200600_302600_NS6detail15normal_iteratorINS8_10device_ptrIsEEEESD_SD_SD_jNS0_19identity_decomposerENS1_16block_id_wrapperIjLb0EEEEE10hipError_tT1_PNSt15iterator_traitsISI_E10value_typeET2_T3_PNSJ_ISO_E10value_typeET4_T5_PST_SU_PNS1_23onesweep_lookback_stateEbbT6_jjT7_P12ihipStream_tbENKUlT_T0_SI_SN_E_clISD_PsSD_S15_EEDaS11_S12_SI_SN_EUlS11_E_NS1_11comp_targetILNS1_3genE8ELNS1_11target_archE1030ELNS1_3gpuE2ELNS1_3repE0EEENS1_47radix_sort_onesweep_sort_config_static_selectorELNS0_4arch9wavefront6targetE1EEEvSI_,"axG",@progbits,_ZN7rocprim17ROCPRIM_400000_NS6detail17trampoline_kernelINS0_14default_configENS1_35radix_sort_onesweep_config_selectorIssEEZZNS1_29radix_sort_onesweep_iterationIS3_Lb0EN6thrust23THRUST_200600_302600_NS6detail15normal_iteratorINS8_10device_ptrIsEEEESD_SD_SD_jNS0_19identity_decomposerENS1_16block_id_wrapperIjLb0EEEEE10hipError_tT1_PNSt15iterator_traitsISI_E10value_typeET2_T3_PNSJ_ISO_E10value_typeET4_T5_PST_SU_PNS1_23onesweep_lookback_stateEbbT6_jjT7_P12ihipStream_tbENKUlT_T0_SI_SN_E_clISD_PsSD_S15_EEDaS11_S12_SI_SN_EUlS11_E_NS1_11comp_targetILNS1_3genE8ELNS1_11target_archE1030ELNS1_3gpuE2ELNS1_3repE0EEENS1_47radix_sort_onesweep_sort_config_static_selectorELNS0_4arch9wavefront6targetE1EEEvSI_,comdat
	.protected	_ZN7rocprim17ROCPRIM_400000_NS6detail17trampoline_kernelINS0_14default_configENS1_35radix_sort_onesweep_config_selectorIssEEZZNS1_29radix_sort_onesweep_iterationIS3_Lb0EN6thrust23THRUST_200600_302600_NS6detail15normal_iteratorINS8_10device_ptrIsEEEESD_SD_SD_jNS0_19identity_decomposerENS1_16block_id_wrapperIjLb0EEEEE10hipError_tT1_PNSt15iterator_traitsISI_E10value_typeET2_T3_PNSJ_ISO_E10value_typeET4_T5_PST_SU_PNS1_23onesweep_lookback_stateEbbT6_jjT7_P12ihipStream_tbENKUlT_T0_SI_SN_E_clISD_PsSD_S15_EEDaS11_S12_SI_SN_EUlS11_E_NS1_11comp_targetILNS1_3genE8ELNS1_11target_archE1030ELNS1_3gpuE2ELNS1_3repE0EEENS1_47radix_sort_onesweep_sort_config_static_selectorELNS0_4arch9wavefront6targetE1EEEvSI_ ; -- Begin function _ZN7rocprim17ROCPRIM_400000_NS6detail17trampoline_kernelINS0_14default_configENS1_35radix_sort_onesweep_config_selectorIssEEZZNS1_29radix_sort_onesweep_iterationIS3_Lb0EN6thrust23THRUST_200600_302600_NS6detail15normal_iteratorINS8_10device_ptrIsEEEESD_SD_SD_jNS0_19identity_decomposerENS1_16block_id_wrapperIjLb0EEEEE10hipError_tT1_PNSt15iterator_traitsISI_E10value_typeET2_T3_PNSJ_ISO_E10value_typeET4_T5_PST_SU_PNS1_23onesweep_lookback_stateEbbT6_jjT7_P12ihipStream_tbENKUlT_T0_SI_SN_E_clISD_PsSD_S15_EEDaS11_S12_SI_SN_EUlS11_E_NS1_11comp_targetILNS1_3genE8ELNS1_11target_archE1030ELNS1_3gpuE2ELNS1_3repE0EEENS1_47radix_sort_onesweep_sort_config_static_selectorELNS0_4arch9wavefront6targetE1EEEvSI_
	.globl	_ZN7rocprim17ROCPRIM_400000_NS6detail17trampoline_kernelINS0_14default_configENS1_35radix_sort_onesweep_config_selectorIssEEZZNS1_29radix_sort_onesweep_iterationIS3_Lb0EN6thrust23THRUST_200600_302600_NS6detail15normal_iteratorINS8_10device_ptrIsEEEESD_SD_SD_jNS0_19identity_decomposerENS1_16block_id_wrapperIjLb0EEEEE10hipError_tT1_PNSt15iterator_traitsISI_E10value_typeET2_T3_PNSJ_ISO_E10value_typeET4_T5_PST_SU_PNS1_23onesweep_lookback_stateEbbT6_jjT7_P12ihipStream_tbENKUlT_T0_SI_SN_E_clISD_PsSD_S15_EEDaS11_S12_SI_SN_EUlS11_E_NS1_11comp_targetILNS1_3genE8ELNS1_11target_archE1030ELNS1_3gpuE2ELNS1_3repE0EEENS1_47radix_sort_onesweep_sort_config_static_selectorELNS0_4arch9wavefront6targetE1EEEvSI_
	.p2align	8
	.type	_ZN7rocprim17ROCPRIM_400000_NS6detail17trampoline_kernelINS0_14default_configENS1_35radix_sort_onesweep_config_selectorIssEEZZNS1_29radix_sort_onesweep_iterationIS3_Lb0EN6thrust23THRUST_200600_302600_NS6detail15normal_iteratorINS8_10device_ptrIsEEEESD_SD_SD_jNS0_19identity_decomposerENS1_16block_id_wrapperIjLb0EEEEE10hipError_tT1_PNSt15iterator_traitsISI_E10value_typeET2_T3_PNSJ_ISO_E10value_typeET4_T5_PST_SU_PNS1_23onesweep_lookback_stateEbbT6_jjT7_P12ihipStream_tbENKUlT_T0_SI_SN_E_clISD_PsSD_S15_EEDaS11_S12_SI_SN_EUlS11_E_NS1_11comp_targetILNS1_3genE8ELNS1_11target_archE1030ELNS1_3gpuE2ELNS1_3repE0EEENS1_47radix_sort_onesweep_sort_config_static_selectorELNS0_4arch9wavefront6targetE1EEEvSI_,@function
_ZN7rocprim17ROCPRIM_400000_NS6detail17trampoline_kernelINS0_14default_configENS1_35radix_sort_onesweep_config_selectorIssEEZZNS1_29radix_sort_onesweep_iterationIS3_Lb0EN6thrust23THRUST_200600_302600_NS6detail15normal_iteratorINS8_10device_ptrIsEEEESD_SD_SD_jNS0_19identity_decomposerENS1_16block_id_wrapperIjLb0EEEEE10hipError_tT1_PNSt15iterator_traitsISI_E10value_typeET2_T3_PNSJ_ISO_E10value_typeET4_T5_PST_SU_PNS1_23onesweep_lookback_stateEbbT6_jjT7_P12ihipStream_tbENKUlT_T0_SI_SN_E_clISD_PsSD_S15_EEDaS11_S12_SI_SN_EUlS11_E_NS1_11comp_targetILNS1_3genE8ELNS1_11target_archE1030ELNS1_3gpuE2ELNS1_3repE0EEENS1_47radix_sort_onesweep_sort_config_static_selectorELNS0_4arch9wavefront6targetE1EEEvSI_: ; @_ZN7rocprim17ROCPRIM_400000_NS6detail17trampoline_kernelINS0_14default_configENS1_35radix_sort_onesweep_config_selectorIssEEZZNS1_29radix_sort_onesweep_iterationIS3_Lb0EN6thrust23THRUST_200600_302600_NS6detail15normal_iteratorINS8_10device_ptrIsEEEESD_SD_SD_jNS0_19identity_decomposerENS1_16block_id_wrapperIjLb0EEEEE10hipError_tT1_PNSt15iterator_traitsISI_E10value_typeET2_T3_PNSJ_ISO_E10value_typeET4_T5_PST_SU_PNS1_23onesweep_lookback_stateEbbT6_jjT7_P12ihipStream_tbENKUlT_T0_SI_SN_E_clISD_PsSD_S15_EEDaS11_S12_SI_SN_EUlS11_E_NS1_11comp_targetILNS1_3genE8ELNS1_11target_archE1030ELNS1_3gpuE2ELNS1_3repE0EEENS1_47radix_sort_onesweep_sort_config_static_selectorELNS0_4arch9wavefront6targetE1EEEvSI_
; %bb.0:
	.section	.rodata,"a",@progbits
	.p2align	6, 0x0
	.amdhsa_kernel _ZN7rocprim17ROCPRIM_400000_NS6detail17trampoline_kernelINS0_14default_configENS1_35radix_sort_onesweep_config_selectorIssEEZZNS1_29radix_sort_onesweep_iterationIS3_Lb0EN6thrust23THRUST_200600_302600_NS6detail15normal_iteratorINS8_10device_ptrIsEEEESD_SD_SD_jNS0_19identity_decomposerENS1_16block_id_wrapperIjLb0EEEEE10hipError_tT1_PNSt15iterator_traitsISI_E10value_typeET2_T3_PNSJ_ISO_E10value_typeET4_T5_PST_SU_PNS1_23onesweep_lookback_stateEbbT6_jjT7_P12ihipStream_tbENKUlT_T0_SI_SN_E_clISD_PsSD_S15_EEDaS11_S12_SI_SN_EUlS11_E_NS1_11comp_targetILNS1_3genE8ELNS1_11target_archE1030ELNS1_3gpuE2ELNS1_3repE0EEENS1_47radix_sort_onesweep_sort_config_static_selectorELNS0_4arch9wavefront6targetE1EEEvSI_
		.amdhsa_group_segment_fixed_size 0
		.amdhsa_private_segment_fixed_size 0
		.amdhsa_kernarg_size 88
		.amdhsa_user_sgpr_count 2
		.amdhsa_user_sgpr_dispatch_ptr 0
		.amdhsa_user_sgpr_queue_ptr 0
		.amdhsa_user_sgpr_kernarg_segment_ptr 1
		.amdhsa_user_sgpr_dispatch_id 0
		.amdhsa_user_sgpr_kernarg_preload_length 0
		.amdhsa_user_sgpr_kernarg_preload_offset 0
		.amdhsa_user_sgpr_private_segment_size 0
		.amdhsa_uses_dynamic_stack 0
		.amdhsa_enable_private_segment 0
		.amdhsa_system_sgpr_workgroup_id_x 1
		.amdhsa_system_sgpr_workgroup_id_y 0
		.amdhsa_system_sgpr_workgroup_id_z 0
		.amdhsa_system_sgpr_workgroup_info 0
		.amdhsa_system_vgpr_workitem_id 0
		.amdhsa_next_free_vgpr 1
		.amdhsa_next_free_sgpr 0
		.amdhsa_accum_offset 4
		.amdhsa_reserve_vcc 0
		.amdhsa_float_round_mode_32 0
		.amdhsa_float_round_mode_16_64 0
		.amdhsa_float_denorm_mode_32 3
		.amdhsa_float_denorm_mode_16_64 3
		.amdhsa_dx10_clamp 1
		.amdhsa_ieee_mode 1
		.amdhsa_fp16_overflow 0
		.amdhsa_tg_split 0
		.amdhsa_exception_fp_ieee_invalid_op 0
		.amdhsa_exception_fp_denorm_src 0
		.amdhsa_exception_fp_ieee_div_zero 0
		.amdhsa_exception_fp_ieee_overflow 0
		.amdhsa_exception_fp_ieee_underflow 0
		.amdhsa_exception_fp_ieee_inexact 0
		.amdhsa_exception_int_div_zero 0
	.end_amdhsa_kernel
	.section	.text._ZN7rocprim17ROCPRIM_400000_NS6detail17trampoline_kernelINS0_14default_configENS1_35radix_sort_onesweep_config_selectorIssEEZZNS1_29radix_sort_onesweep_iterationIS3_Lb0EN6thrust23THRUST_200600_302600_NS6detail15normal_iteratorINS8_10device_ptrIsEEEESD_SD_SD_jNS0_19identity_decomposerENS1_16block_id_wrapperIjLb0EEEEE10hipError_tT1_PNSt15iterator_traitsISI_E10value_typeET2_T3_PNSJ_ISO_E10value_typeET4_T5_PST_SU_PNS1_23onesweep_lookback_stateEbbT6_jjT7_P12ihipStream_tbENKUlT_T0_SI_SN_E_clISD_PsSD_S15_EEDaS11_S12_SI_SN_EUlS11_E_NS1_11comp_targetILNS1_3genE8ELNS1_11target_archE1030ELNS1_3gpuE2ELNS1_3repE0EEENS1_47radix_sort_onesweep_sort_config_static_selectorELNS0_4arch9wavefront6targetE1EEEvSI_,"axG",@progbits,_ZN7rocprim17ROCPRIM_400000_NS6detail17trampoline_kernelINS0_14default_configENS1_35radix_sort_onesweep_config_selectorIssEEZZNS1_29radix_sort_onesweep_iterationIS3_Lb0EN6thrust23THRUST_200600_302600_NS6detail15normal_iteratorINS8_10device_ptrIsEEEESD_SD_SD_jNS0_19identity_decomposerENS1_16block_id_wrapperIjLb0EEEEE10hipError_tT1_PNSt15iterator_traitsISI_E10value_typeET2_T3_PNSJ_ISO_E10value_typeET4_T5_PST_SU_PNS1_23onesweep_lookback_stateEbbT6_jjT7_P12ihipStream_tbENKUlT_T0_SI_SN_E_clISD_PsSD_S15_EEDaS11_S12_SI_SN_EUlS11_E_NS1_11comp_targetILNS1_3genE8ELNS1_11target_archE1030ELNS1_3gpuE2ELNS1_3repE0EEENS1_47radix_sort_onesweep_sort_config_static_selectorELNS0_4arch9wavefront6targetE1EEEvSI_,comdat
.Lfunc_end1686:
	.size	_ZN7rocprim17ROCPRIM_400000_NS6detail17trampoline_kernelINS0_14default_configENS1_35radix_sort_onesweep_config_selectorIssEEZZNS1_29radix_sort_onesweep_iterationIS3_Lb0EN6thrust23THRUST_200600_302600_NS6detail15normal_iteratorINS8_10device_ptrIsEEEESD_SD_SD_jNS0_19identity_decomposerENS1_16block_id_wrapperIjLb0EEEEE10hipError_tT1_PNSt15iterator_traitsISI_E10value_typeET2_T3_PNSJ_ISO_E10value_typeET4_T5_PST_SU_PNS1_23onesweep_lookback_stateEbbT6_jjT7_P12ihipStream_tbENKUlT_T0_SI_SN_E_clISD_PsSD_S15_EEDaS11_S12_SI_SN_EUlS11_E_NS1_11comp_targetILNS1_3genE8ELNS1_11target_archE1030ELNS1_3gpuE2ELNS1_3repE0EEENS1_47radix_sort_onesweep_sort_config_static_selectorELNS0_4arch9wavefront6targetE1EEEvSI_, .Lfunc_end1686-_ZN7rocprim17ROCPRIM_400000_NS6detail17trampoline_kernelINS0_14default_configENS1_35radix_sort_onesweep_config_selectorIssEEZZNS1_29radix_sort_onesweep_iterationIS3_Lb0EN6thrust23THRUST_200600_302600_NS6detail15normal_iteratorINS8_10device_ptrIsEEEESD_SD_SD_jNS0_19identity_decomposerENS1_16block_id_wrapperIjLb0EEEEE10hipError_tT1_PNSt15iterator_traitsISI_E10value_typeET2_T3_PNSJ_ISO_E10value_typeET4_T5_PST_SU_PNS1_23onesweep_lookback_stateEbbT6_jjT7_P12ihipStream_tbENKUlT_T0_SI_SN_E_clISD_PsSD_S15_EEDaS11_S12_SI_SN_EUlS11_E_NS1_11comp_targetILNS1_3genE8ELNS1_11target_archE1030ELNS1_3gpuE2ELNS1_3repE0EEENS1_47radix_sort_onesweep_sort_config_static_selectorELNS0_4arch9wavefront6targetE1EEEvSI_
                                        ; -- End function
	.set _ZN7rocprim17ROCPRIM_400000_NS6detail17trampoline_kernelINS0_14default_configENS1_35radix_sort_onesweep_config_selectorIssEEZZNS1_29radix_sort_onesweep_iterationIS3_Lb0EN6thrust23THRUST_200600_302600_NS6detail15normal_iteratorINS8_10device_ptrIsEEEESD_SD_SD_jNS0_19identity_decomposerENS1_16block_id_wrapperIjLb0EEEEE10hipError_tT1_PNSt15iterator_traitsISI_E10value_typeET2_T3_PNSJ_ISO_E10value_typeET4_T5_PST_SU_PNS1_23onesweep_lookback_stateEbbT6_jjT7_P12ihipStream_tbENKUlT_T0_SI_SN_E_clISD_PsSD_S15_EEDaS11_S12_SI_SN_EUlS11_E_NS1_11comp_targetILNS1_3genE8ELNS1_11target_archE1030ELNS1_3gpuE2ELNS1_3repE0EEENS1_47radix_sort_onesweep_sort_config_static_selectorELNS0_4arch9wavefront6targetE1EEEvSI_.num_vgpr, 0
	.set _ZN7rocprim17ROCPRIM_400000_NS6detail17trampoline_kernelINS0_14default_configENS1_35radix_sort_onesweep_config_selectorIssEEZZNS1_29radix_sort_onesweep_iterationIS3_Lb0EN6thrust23THRUST_200600_302600_NS6detail15normal_iteratorINS8_10device_ptrIsEEEESD_SD_SD_jNS0_19identity_decomposerENS1_16block_id_wrapperIjLb0EEEEE10hipError_tT1_PNSt15iterator_traitsISI_E10value_typeET2_T3_PNSJ_ISO_E10value_typeET4_T5_PST_SU_PNS1_23onesweep_lookback_stateEbbT6_jjT7_P12ihipStream_tbENKUlT_T0_SI_SN_E_clISD_PsSD_S15_EEDaS11_S12_SI_SN_EUlS11_E_NS1_11comp_targetILNS1_3genE8ELNS1_11target_archE1030ELNS1_3gpuE2ELNS1_3repE0EEENS1_47radix_sort_onesweep_sort_config_static_selectorELNS0_4arch9wavefront6targetE1EEEvSI_.num_agpr, 0
	.set _ZN7rocprim17ROCPRIM_400000_NS6detail17trampoline_kernelINS0_14default_configENS1_35radix_sort_onesweep_config_selectorIssEEZZNS1_29radix_sort_onesweep_iterationIS3_Lb0EN6thrust23THRUST_200600_302600_NS6detail15normal_iteratorINS8_10device_ptrIsEEEESD_SD_SD_jNS0_19identity_decomposerENS1_16block_id_wrapperIjLb0EEEEE10hipError_tT1_PNSt15iterator_traitsISI_E10value_typeET2_T3_PNSJ_ISO_E10value_typeET4_T5_PST_SU_PNS1_23onesweep_lookback_stateEbbT6_jjT7_P12ihipStream_tbENKUlT_T0_SI_SN_E_clISD_PsSD_S15_EEDaS11_S12_SI_SN_EUlS11_E_NS1_11comp_targetILNS1_3genE8ELNS1_11target_archE1030ELNS1_3gpuE2ELNS1_3repE0EEENS1_47radix_sort_onesweep_sort_config_static_selectorELNS0_4arch9wavefront6targetE1EEEvSI_.numbered_sgpr, 0
	.set _ZN7rocprim17ROCPRIM_400000_NS6detail17trampoline_kernelINS0_14default_configENS1_35radix_sort_onesweep_config_selectorIssEEZZNS1_29radix_sort_onesweep_iterationIS3_Lb0EN6thrust23THRUST_200600_302600_NS6detail15normal_iteratorINS8_10device_ptrIsEEEESD_SD_SD_jNS0_19identity_decomposerENS1_16block_id_wrapperIjLb0EEEEE10hipError_tT1_PNSt15iterator_traitsISI_E10value_typeET2_T3_PNSJ_ISO_E10value_typeET4_T5_PST_SU_PNS1_23onesweep_lookback_stateEbbT6_jjT7_P12ihipStream_tbENKUlT_T0_SI_SN_E_clISD_PsSD_S15_EEDaS11_S12_SI_SN_EUlS11_E_NS1_11comp_targetILNS1_3genE8ELNS1_11target_archE1030ELNS1_3gpuE2ELNS1_3repE0EEENS1_47radix_sort_onesweep_sort_config_static_selectorELNS0_4arch9wavefront6targetE1EEEvSI_.num_named_barrier, 0
	.set _ZN7rocprim17ROCPRIM_400000_NS6detail17trampoline_kernelINS0_14default_configENS1_35radix_sort_onesweep_config_selectorIssEEZZNS1_29radix_sort_onesweep_iterationIS3_Lb0EN6thrust23THRUST_200600_302600_NS6detail15normal_iteratorINS8_10device_ptrIsEEEESD_SD_SD_jNS0_19identity_decomposerENS1_16block_id_wrapperIjLb0EEEEE10hipError_tT1_PNSt15iterator_traitsISI_E10value_typeET2_T3_PNSJ_ISO_E10value_typeET4_T5_PST_SU_PNS1_23onesweep_lookback_stateEbbT6_jjT7_P12ihipStream_tbENKUlT_T0_SI_SN_E_clISD_PsSD_S15_EEDaS11_S12_SI_SN_EUlS11_E_NS1_11comp_targetILNS1_3genE8ELNS1_11target_archE1030ELNS1_3gpuE2ELNS1_3repE0EEENS1_47radix_sort_onesweep_sort_config_static_selectorELNS0_4arch9wavefront6targetE1EEEvSI_.private_seg_size, 0
	.set _ZN7rocprim17ROCPRIM_400000_NS6detail17trampoline_kernelINS0_14default_configENS1_35radix_sort_onesweep_config_selectorIssEEZZNS1_29radix_sort_onesweep_iterationIS3_Lb0EN6thrust23THRUST_200600_302600_NS6detail15normal_iteratorINS8_10device_ptrIsEEEESD_SD_SD_jNS0_19identity_decomposerENS1_16block_id_wrapperIjLb0EEEEE10hipError_tT1_PNSt15iterator_traitsISI_E10value_typeET2_T3_PNSJ_ISO_E10value_typeET4_T5_PST_SU_PNS1_23onesweep_lookback_stateEbbT6_jjT7_P12ihipStream_tbENKUlT_T0_SI_SN_E_clISD_PsSD_S15_EEDaS11_S12_SI_SN_EUlS11_E_NS1_11comp_targetILNS1_3genE8ELNS1_11target_archE1030ELNS1_3gpuE2ELNS1_3repE0EEENS1_47radix_sort_onesweep_sort_config_static_selectorELNS0_4arch9wavefront6targetE1EEEvSI_.uses_vcc, 0
	.set _ZN7rocprim17ROCPRIM_400000_NS6detail17trampoline_kernelINS0_14default_configENS1_35radix_sort_onesweep_config_selectorIssEEZZNS1_29radix_sort_onesweep_iterationIS3_Lb0EN6thrust23THRUST_200600_302600_NS6detail15normal_iteratorINS8_10device_ptrIsEEEESD_SD_SD_jNS0_19identity_decomposerENS1_16block_id_wrapperIjLb0EEEEE10hipError_tT1_PNSt15iterator_traitsISI_E10value_typeET2_T3_PNSJ_ISO_E10value_typeET4_T5_PST_SU_PNS1_23onesweep_lookback_stateEbbT6_jjT7_P12ihipStream_tbENKUlT_T0_SI_SN_E_clISD_PsSD_S15_EEDaS11_S12_SI_SN_EUlS11_E_NS1_11comp_targetILNS1_3genE8ELNS1_11target_archE1030ELNS1_3gpuE2ELNS1_3repE0EEENS1_47radix_sort_onesweep_sort_config_static_selectorELNS0_4arch9wavefront6targetE1EEEvSI_.uses_flat_scratch, 0
	.set _ZN7rocprim17ROCPRIM_400000_NS6detail17trampoline_kernelINS0_14default_configENS1_35radix_sort_onesweep_config_selectorIssEEZZNS1_29radix_sort_onesweep_iterationIS3_Lb0EN6thrust23THRUST_200600_302600_NS6detail15normal_iteratorINS8_10device_ptrIsEEEESD_SD_SD_jNS0_19identity_decomposerENS1_16block_id_wrapperIjLb0EEEEE10hipError_tT1_PNSt15iterator_traitsISI_E10value_typeET2_T3_PNSJ_ISO_E10value_typeET4_T5_PST_SU_PNS1_23onesweep_lookback_stateEbbT6_jjT7_P12ihipStream_tbENKUlT_T0_SI_SN_E_clISD_PsSD_S15_EEDaS11_S12_SI_SN_EUlS11_E_NS1_11comp_targetILNS1_3genE8ELNS1_11target_archE1030ELNS1_3gpuE2ELNS1_3repE0EEENS1_47radix_sort_onesweep_sort_config_static_selectorELNS0_4arch9wavefront6targetE1EEEvSI_.has_dyn_sized_stack, 0
	.set _ZN7rocprim17ROCPRIM_400000_NS6detail17trampoline_kernelINS0_14default_configENS1_35radix_sort_onesweep_config_selectorIssEEZZNS1_29radix_sort_onesweep_iterationIS3_Lb0EN6thrust23THRUST_200600_302600_NS6detail15normal_iteratorINS8_10device_ptrIsEEEESD_SD_SD_jNS0_19identity_decomposerENS1_16block_id_wrapperIjLb0EEEEE10hipError_tT1_PNSt15iterator_traitsISI_E10value_typeET2_T3_PNSJ_ISO_E10value_typeET4_T5_PST_SU_PNS1_23onesweep_lookback_stateEbbT6_jjT7_P12ihipStream_tbENKUlT_T0_SI_SN_E_clISD_PsSD_S15_EEDaS11_S12_SI_SN_EUlS11_E_NS1_11comp_targetILNS1_3genE8ELNS1_11target_archE1030ELNS1_3gpuE2ELNS1_3repE0EEENS1_47radix_sort_onesweep_sort_config_static_selectorELNS0_4arch9wavefront6targetE1EEEvSI_.has_recursion, 0
	.set _ZN7rocprim17ROCPRIM_400000_NS6detail17trampoline_kernelINS0_14default_configENS1_35radix_sort_onesweep_config_selectorIssEEZZNS1_29radix_sort_onesweep_iterationIS3_Lb0EN6thrust23THRUST_200600_302600_NS6detail15normal_iteratorINS8_10device_ptrIsEEEESD_SD_SD_jNS0_19identity_decomposerENS1_16block_id_wrapperIjLb0EEEEE10hipError_tT1_PNSt15iterator_traitsISI_E10value_typeET2_T3_PNSJ_ISO_E10value_typeET4_T5_PST_SU_PNS1_23onesweep_lookback_stateEbbT6_jjT7_P12ihipStream_tbENKUlT_T0_SI_SN_E_clISD_PsSD_S15_EEDaS11_S12_SI_SN_EUlS11_E_NS1_11comp_targetILNS1_3genE8ELNS1_11target_archE1030ELNS1_3gpuE2ELNS1_3repE0EEENS1_47radix_sort_onesweep_sort_config_static_selectorELNS0_4arch9wavefront6targetE1EEEvSI_.has_indirect_call, 0
	.section	.AMDGPU.csdata,"",@progbits
; Kernel info:
; codeLenInByte = 0
; TotalNumSgprs: 6
; NumVgprs: 0
; NumAgprs: 0
; TotalNumVgprs: 0
; ScratchSize: 0
; MemoryBound: 0
; FloatMode: 240
; IeeeMode: 1
; LDSByteSize: 0 bytes/workgroup (compile time only)
; SGPRBlocks: 0
; VGPRBlocks: 0
; NumSGPRsForWavesPerEU: 6
; NumVGPRsForWavesPerEU: 1
; AccumOffset: 4
; Occupancy: 8
; WaveLimiterHint : 0
; COMPUTE_PGM_RSRC2:SCRATCH_EN: 0
; COMPUTE_PGM_RSRC2:USER_SGPR: 2
; COMPUTE_PGM_RSRC2:TRAP_HANDLER: 0
; COMPUTE_PGM_RSRC2:TGID_X_EN: 1
; COMPUTE_PGM_RSRC2:TGID_Y_EN: 0
; COMPUTE_PGM_RSRC2:TGID_Z_EN: 0
; COMPUTE_PGM_RSRC2:TIDIG_COMP_CNT: 0
; COMPUTE_PGM_RSRC3_GFX90A:ACCUM_OFFSET: 0
; COMPUTE_PGM_RSRC3_GFX90A:TG_SPLIT: 0
	.section	.text._ZN7rocprim17ROCPRIM_400000_NS6detail17trampoline_kernelINS0_14default_configENS1_35radix_sort_onesweep_config_selectorIssEEZZNS1_29radix_sort_onesweep_iterationIS3_Lb0EN6thrust23THRUST_200600_302600_NS6detail15normal_iteratorINS8_10device_ptrIsEEEESD_SD_SD_jNS0_19identity_decomposerENS1_16block_id_wrapperIjLb0EEEEE10hipError_tT1_PNSt15iterator_traitsISI_E10value_typeET2_T3_PNSJ_ISO_E10value_typeET4_T5_PST_SU_PNS1_23onesweep_lookback_stateEbbT6_jjT7_P12ihipStream_tbENKUlT_T0_SI_SN_E_clIPsSD_S15_SD_EEDaS11_S12_SI_SN_EUlS11_E_NS1_11comp_targetILNS1_3genE0ELNS1_11target_archE4294967295ELNS1_3gpuE0ELNS1_3repE0EEENS1_47radix_sort_onesweep_sort_config_static_selectorELNS0_4arch9wavefront6targetE1EEEvSI_,"axG",@progbits,_ZN7rocprim17ROCPRIM_400000_NS6detail17trampoline_kernelINS0_14default_configENS1_35radix_sort_onesweep_config_selectorIssEEZZNS1_29radix_sort_onesweep_iterationIS3_Lb0EN6thrust23THRUST_200600_302600_NS6detail15normal_iteratorINS8_10device_ptrIsEEEESD_SD_SD_jNS0_19identity_decomposerENS1_16block_id_wrapperIjLb0EEEEE10hipError_tT1_PNSt15iterator_traitsISI_E10value_typeET2_T3_PNSJ_ISO_E10value_typeET4_T5_PST_SU_PNS1_23onesweep_lookback_stateEbbT6_jjT7_P12ihipStream_tbENKUlT_T0_SI_SN_E_clIPsSD_S15_SD_EEDaS11_S12_SI_SN_EUlS11_E_NS1_11comp_targetILNS1_3genE0ELNS1_11target_archE4294967295ELNS1_3gpuE0ELNS1_3repE0EEENS1_47radix_sort_onesweep_sort_config_static_selectorELNS0_4arch9wavefront6targetE1EEEvSI_,comdat
	.protected	_ZN7rocprim17ROCPRIM_400000_NS6detail17trampoline_kernelINS0_14default_configENS1_35radix_sort_onesweep_config_selectorIssEEZZNS1_29radix_sort_onesweep_iterationIS3_Lb0EN6thrust23THRUST_200600_302600_NS6detail15normal_iteratorINS8_10device_ptrIsEEEESD_SD_SD_jNS0_19identity_decomposerENS1_16block_id_wrapperIjLb0EEEEE10hipError_tT1_PNSt15iterator_traitsISI_E10value_typeET2_T3_PNSJ_ISO_E10value_typeET4_T5_PST_SU_PNS1_23onesweep_lookback_stateEbbT6_jjT7_P12ihipStream_tbENKUlT_T0_SI_SN_E_clIPsSD_S15_SD_EEDaS11_S12_SI_SN_EUlS11_E_NS1_11comp_targetILNS1_3genE0ELNS1_11target_archE4294967295ELNS1_3gpuE0ELNS1_3repE0EEENS1_47radix_sort_onesweep_sort_config_static_selectorELNS0_4arch9wavefront6targetE1EEEvSI_ ; -- Begin function _ZN7rocprim17ROCPRIM_400000_NS6detail17trampoline_kernelINS0_14default_configENS1_35radix_sort_onesweep_config_selectorIssEEZZNS1_29radix_sort_onesweep_iterationIS3_Lb0EN6thrust23THRUST_200600_302600_NS6detail15normal_iteratorINS8_10device_ptrIsEEEESD_SD_SD_jNS0_19identity_decomposerENS1_16block_id_wrapperIjLb0EEEEE10hipError_tT1_PNSt15iterator_traitsISI_E10value_typeET2_T3_PNSJ_ISO_E10value_typeET4_T5_PST_SU_PNS1_23onesweep_lookback_stateEbbT6_jjT7_P12ihipStream_tbENKUlT_T0_SI_SN_E_clIPsSD_S15_SD_EEDaS11_S12_SI_SN_EUlS11_E_NS1_11comp_targetILNS1_3genE0ELNS1_11target_archE4294967295ELNS1_3gpuE0ELNS1_3repE0EEENS1_47radix_sort_onesweep_sort_config_static_selectorELNS0_4arch9wavefront6targetE1EEEvSI_
	.globl	_ZN7rocprim17ROCPRIM_400000_NS6detail17trampoline_kernelINS0_14default_configENS1_35radix_sort_onesweep_config_selectorIssEEZZNS1_29radix_sort_onesweep_iterationIS3_Lb0EN6thrust23THRUST_200600_302600_NS6detail15normal_iteratorINS8_10device_ptrIsEEEESD_SD_SD_jNS0_19identity_decomposerENS1_16block_id_wrapperIjLb0EEEEE10hipError_tT1_PNSt15iterator_traitsISI_E10value_typeET2_T3_PNSJ_ISO_E10value_typeET4_T5_PST_SU_PNS1_23onesweep_lookback_stateEbbT6_jjT7_P12ihipStream_tbENKUlT_T0_SI_SN_E_clIPsSD_S15_SD_EEDaS11_S12_SI_SN_EUlS11_E_NS1_11comp_targetILNS1_3genE0ELNS1_11target_archE4294967295ELNS1_3gpuE0ELNS1_3repE0EEENS1_47radix_sort_onesweep_sort_config_static_selectorELNS0_4arch9wavefront6targetE1EEEvSI_
	.p2align	8
	.type	_ZN7rocprim17ROCPRIM_400000_NS6detail17trampoline_kernelINS0_14default_configENS1_35radix_sort_onesweep_config_selectorIssEEZZNS1_29radix_sort_onesweep_iterationIS3_Lb0EN6thrust23THRUST_200600_302600_NS6detail15normal_iteratorINS8_10device_ptrIsEEEESD_SD_SD_jNS0_19identity_decomposerENS1_16block_id_wrapperIjLb0EEEEE10hipError_tT1_PNSt15iterator_traitsISI_E10value_typeET2_T3_PNSJ_ISO_E10value_typeET4_T5_PST_SU_PNS1_23onesweep_lookback_stateEbbT6_jjT7_P12ihipStream_tbENKUlT_T0_SI_SN_E_clIPsSD_S15_SD_EEDaS11_S12_SI_SN_EUlS11_E_NS1_11comp_targetILNS1_3genE0ELNS1_11target_archE4294967295ELNS1_3gpuE0ELNS1_3repE0EEENS1_47radix_sort_onesweep_sort_config_static_selectorELNS0_4arch9wavefront6targetE1EEEvSI_,@function
_ZN7rocprim17ROCPRIM_400000_NS6detail17trampoline_kernelINS0_14default_configENS1_35radix_sort_onesweep_config_selectorIssEEZZNS1_29radix_sort_onesweep_iterationIS3_Lb0EN6thrust23THRUST_200600_302600_NS6detail15normal_iteratorINS8_10device_ptrIsEEEESD_SD_SD_jNS0_19identity_decomposerENS1_16block_id_wrapperIjLb0EEEEE10hipError_tT1_PNSt15iterator_traitsISI_E10value_typeET2_T3_PNSJ_ISO_E10value_typeET4_T5_PST_SU_PNS1_23onesweep_lookback_stateEbbT6_jjT7_P12ihipStream_tbENKUlT_T0_SI_SN_E_clIPsSD_S15_SD_EEDaS11_S12_SI_SN_EUlS11_E_NS1_11comp_targetILNS1_3genE0ELNS1_11target_archE4294967295ELNS1_3gpuE0ELNS1_3repE0EEENS1_47radix_sort_onesweep_sort_config_static_selectorELNS0_4arch9wavefront6targetE1EEEvSI_: ; @_ZN7rocprim17ROCPRIM_400000_NS6detail17trampoline_kernelINS0_14default_configENS1_35radix_sort_onesweep_config_selectorIssEEZZNS1_29radix_sort_onesweep_iterationIS3_Lb0EN6thrust23THRUST_200600_302600_NS6detail15normal_iteratorINS8_10device_ptrIsEEEESD_SD_SD_jNS0_19identity_decomposerENS1_16block_id_wrapperIjLb0EEEEE10hipError_tT1_PNSt15iterator_traitsISI_E10value_typeET2_T3_PNSJ_ISO_E10value_typeET4_T5_PST_SU_PNS1_23onesweep_lookback_stateEbbT6_jjT7_P12ihipStream_tbENKUlT_T0_SI_SN_E_clIPsSD_S15_SD_EEDaS11_S12_SI_SN_EUlS11_E_NS1_11comp_targetILNS1_3genE0ELNS1_11target_archE4294967295ELNS1_3gpuE0ELNS1_3repE0EEENS1_47radix_sort_onesweep_sort_config_static_selectorELNS0_4arch9wavefront6targetE1EEEvSI_
; %bb.0:
	.section	.rodata,"a",@progbits
	.p2align	6, 0x0
	.amdhsa_kernel _ZN7rocprim17ROCPRIM_400000_NS6detail17trampoline_kernelINS0_14default_configENS1_35radix_sort_onesweep_config_selectorIssEEZZNS1_29radix_sort_onesweep_iterationIS3_Lb0EN6thrust23THRUST_200600_302600_NS6detail15normal_iteratorINS8_10device_ptrIsEEEESD_SD_SD_jNS0_19identity_decomposerENS1_16block_id_wrapperIjLb0EEEEE10hipError_tT1_PNSt15iterator_traitsISI_E10value_typeET2_T3_PNSJ_ISO_E10value_typeET4_T5_PST_SU_PNS1_23onesweep_lookback_stateEbbT6_jjT7_P12ihipStream_tbENKUlT_T0_SI_SN_E_clIPsSD_S15_SD_EEDaS11_S12_SI_SN_EUlS11_E_NS1_11comp_targetILNS1_3genE0ELNS1_11target_archE4294967295ELNS1_3gpuE0ELNS1_3repE0EEENS1_47radix_sort_onesweep_sort_config_static_selectorELNS0_4arch9wavefront6targetE1EEEvSI_
		.amdhsa_group_segment_fixed_size 0
		.amdhsa_private_segment_fixed_size 0
		.amdhsa_kernarg_size 88
		.amdhsa_user_sgpr_count 2
		.amdhsa_user_sgpr_dispatch_ptr 0
		.amdhsa_user_sgpr_queue_ptr 0
		.amdhsa_user_sgpr_kernarg_segment_ptr 1
		.amdhsa_user_sgpr_dispatch_id 0
		.amdhsa_user_sgpr_kernarg_preload_length 0
		.amdhsa_user_sgpr_kernarg_preload_offset 0
		.amdhsa_user_sgpr_private_segment_size 0
		.amdhsa_uses_dynamic_stack 0
		.amdhsa_enable_private_segment 0
		.amdhsa_system_sgpr_workgroup_id_x 1
		.amdhsa_system_sgpr_workgroup_id_y 0
		.amdhsa_system_sgpr_workgroup_id_z 0
		.amdhsa_system_sgpr_workgroup_info 0
		.amdhsa_system_vgpr_workitem_id 0
		.amdhsa_next_free_vgpr 1
		.amdhsa_next_free_sgpr 0
		.amdhsa_accum_offset 4
		.amdhsa_reserve_vcc 0
		.amdhsa_float_round_mode_32 0
		.amdhsa_float_round_mode_16_64 0
		.amdhsa_float_denorm_mode_32 3
		.amdhsa_float_denorm_mode_16_64 3
		.amdhsa_dx10_clamp 1
		.amdhsa_ieee_mode 1
		.amdhsa_fp16_overflow 0
		.amdhsa_tg_split 0
		.amdhsa_exception_fp_ieee_invalid_op 0
		.amdhsa_exception_fp_denorm_src 0
		.amdhsa_exception_fp_ieee_div_zero 0
		.amdhsa_exception_fp_ieee_overflow 0
		.amdhsa_exception_fp_ieee_underflow 0
		.amdhsa_exception_fp_ieee_inexact 0
		.amdhsa_exception_int_div_zero 0
	.end_amdhsa_kernel
	.section	.text._ZN7rocprim17ROCPRIM_400000_NS6detail17trampoline_kernelINS0_14default_configENS1_35radix_sort_onesweep_config_selectorIssEEZZNS1_29radix_sort_onesweep_iterationIS3_Lb0EN6thrust23THRUST_200600_302600_NS6detail15normal_iteratorINS8_10device_ptrIsEEEESD_SD_SD_jNS0_19identity_decomposerENS1_16block_id_wrapperIjLb0EEEEE10hipError_tT1_PNSt15iterator_traitsISI_E10value_typeET2_T3_PNSJ_ISO_E10value_typeET4_T5_PST_SU_PNS1_23onesweep_lookback_stateEbbT6_jjT7_P12ihipStream_tbENKUlT_T0_SI_SN_E_clIPsSD_S15_SD_EEDaS11_S12_SI_SN_EUlS11_E_NS1_11comp_targetILNS1_3genE0ELNS1_11target_archE4294967295ELNS1_3gpuE0ELNS1_3repE0EEENS1_47radix_sort_onesweep_sort_config_static_selectorELNS0_4arch9wavefront6targetE1EEEvSI_,"axG",@progbits,_ZN7rocprim17ROCPRIM_400000_NS6detail17trampoline_kernelINS0_14default_configENS1_35radix_sort_onesweep_config_selectorIssEEZZNS1_29radix_sort_onesweep_iterationIS3_Lb0EN6thrust23THRUST_200600_302600_NS6detail15normal_iteratorINS8_10device_ptrIsEEEESD_SD_SD_jNS0_19identity_decomposerENS1_16block_id_wrapperIjLb0EEEEE10hipError_tT1_PNSt15iterator_traitsISI_E10value_typeET2_T3_PNSJ_ISO_E10value_typeET4_T5_PST_SU_PNS1_23onesweep_lookback_stateEbbT6_jjT7_P12ihipStream_tbENKUlT_T0_SI_SN_E_clIPsSD_S15_SD_EEDaS11_S12_SI_SN_EUlS11_E_NS1_11comp_targetILNS1_3genE0ELNS1_11target_archE4294967295ELNS1_3gpuE0ELNS1_3repE0EEENS1_47radix_sort_onesweep_sort_config_static_selectorELNS0_4arch9wavefront6targetE1EEEvSI_,comdat
.Lfunc_end1687:
	.size	_ZN7rocprim17ROCPRIM_400000_NS6detail17trampoline_kernelINS0_14default_configENS1_35radix_sort_onesweep_config_selectorIssEEZZNS1_29radix_sort_onesweep_iterationIS3_Lb0EN6thrust23THRUST_200600_302600_NS6detail15normal_iteratorINS8_10device_ptrIsEEEESD_SD_SD_jNS0_19identity_decomposerENS1_16block_id_wrapperIjLb0EEEEE10hipError_tT1_PNSt15iterator_traitsISI_E10value_typeET2_T3_PNSJ_ISO_E10value_typeET4_T5_PST_SU_PNS1_23onesweep_lookback_stateEbbT6_jjT7_P12ihipStream_tbENKUlT_T0_SI_SN_E_clIPsSD_S15_SD_EEDaS11_S12_SI_SN_EUlS11_E_NS1_11comp_targetILNS1_3genE0ELNS1_11target_archE4294967295ELNS1_3gpuE0ELNS1_3repE0EEENS1_47radix_sort_onesweep_sort_config_static_selectorELNS0_4arch9wavefront6targetE1EEEvSI_, .Lfunc_end1687-_ZN7rocprim17ROCPRIM_400000_NS6detail17trampoline_kernelINS0_14default_configENS1_35radix_sort_onesweep_config_selectorIssEEZZNS1_29radix_sort_onesweep_iterationIS3_Lb0EN6thrust23THRUST_200600_302600_NS6detail15normal_iteratorINS8_10device_ptrIsEEEESD_SD_SD_jNS0_19identity_decomposerENS1_16block_id_wrapperIjLb0EEEEE10hipError_tT1_PNSt15iterator_traitsISI_E10value_typeET2_T3_PNSJ_ISO_E10value_typeET4_T5_PST_SU_PNS1_23onesweep_lookback_stateEbbT6_jjT7_P12ihipStream_tbENKUlT_T0_SI_SN_E_clIPsSD_S15_SD_EEDaS11_S12_SI_SN_EUlS11_E_NS1_11comp_targetILNS1_3genE0ELNS1_11target_archE4294967295ELNS1_3gpuE0ELNS1_3repE0EEENS1_47radix_sort_onesweep_sort_config_static_selectorELNS0_4arch9wavefront6targetE1EEEvSI_
                                        ; -- End function
	.set _ZN7rocprim17ROCPRIM_400000_NS6detail17trampoline_kernelINS0_14default_configENS1_35radix_sort_onesweep_config_selectorIssEEZZNS1_29radix_sort_onesweep_iterationIS3_Lb0EN6thrust23THRUST_200600_302600_NS6detail15normal_iteratorINS8_10device_ptrIsEEEESD_SD_SD_jNS0_19identity_decomposerENS1_16block_id_wrapperIjLb0EEEEE10hipError_tT1_PNSt15iterator_traitsISI_E10value_typeET2_T3_PNSJ_ISO_E10value_typeET4_T5_PST_SU_PNS1_23onesweep_lookback_stateEbbT6_jjT7_P12ihipStream_tbENKUlT_T0_SI_SN_E_clIPsSD_S15_SD_EEDaS11_S12_SI_SN_EUlS11_E_NS1_11comp_targetILNS1_3genE0ELNS1_11target_archE4294967295ELNS1_3gpuE0ELNS1_3repE0EEENS1_47radix_sort_onesweep_sort_config_static_selectorELNS0_4arch9wavefront6targetE1EEEvSI_.num_vgpr, 0
	.set _ZN7rocprim17ROCPRIM_400000_NS6detail17trampoline_kernelINS0_14default_configENS1_35radix_sort_onesweep_config_selectorIssEEZZNS1_29radix_sort_onesweep_iterationIS3_Lb0EN6thrust23THRUST_200600_302600_NS6detail15normal_iteratorINS8_10device_ptrIsEEEESD_SD_SD_jNS0_19identity_decomposerENS1_16block_id_wrapperIjLb0EEEEE10hipError_tT1_PNSt15iterator_traitsISI_E10value_typeET2_T3_PNSJ_ISO_E10value_typeET4_T5_PST_SU_PNS1_23onesweep_lookback_stateEbbT6_jjT7_P12ihipStream_tbENKUlT_T0_SI_SN_E_clIPsSD_S15_SD_EEDaS11_S12_SI_SN_EUlS11_E_NS1_11comp_targetILNS1_3genE0ELNS1_11target_archE4294967295ELNS1_3gpuE0ELNS1_3repE0EEENS1_47radix_sort_onesweep_sort_config_static_selectorELNS0_4arch9wavefront6targetE1EEEvSI_.num_agpr, 0
	.set _ZN7rocprim17ROCPRIM_400000_NS6detail17trampoline_kernelINS0_14default_configENS1_35radix_sort_onesweep_config_selectorIssEEZZNS1_29radix_sort_onesweep_iterationIS3_Lb0EN6thrust23THRUST_200600_302600_NS6detail15normal_iteratorINS8_10device_ptrIsEEEESD_SD_SD_jNS0_19identity_decomposerENS1_16block_id_wrapperIjLb0EEEEE10hipError_tT1_PNSt15iterator_traitsISI_E10value_typeET2_T3_PNSJ_ISO_E10value_typeET4_T5_PST_SU_PNS1_23onesweep_lookback_stateEbbT6_jjT7_P12ihipStream_tbENKUlT_T0_SI_SN_E_clIPsSD_S15_SD_EEDaS11_S12_SI_SN_EUlS11_E_NS1_11comp_targetILNS1_3genE0ELNS1_11target_archE4294967295ELNS1_3gpuE0ELNS1_3repE0EEENS1_47radix_sort_onesweep_sort_config_static_selectorELNS0_4arch9wavefront6targetE1EEEvSI_.numbered_sgpr, 0
	.set _ZN7rocprim17ROCPRIM_400000_NS6detail17trampoline_kernelINS0_14default_configENS1_35radix_sort_onesweep_config_selectorIssEEZZNS1_29radix_sort_onesweep_iterationIS3_Lb0EN6thrust23THRUST_200600_302600_NS6detail15normal_iteratorINS8_10device_ptrIsEEEESD_SD_SD_jNS0_19identity_decomposerENS1_16block_id_wrapperIjLb0EEEEE10hipError_tT1_PNSt15iterator_traitsISI_E10value_typeET2_T3_PNSJ_ISO_E10value_typeET4_T5_PST_SU_PNS1_23onesweep_lookback_stateEbbT6_jjT7_P12ihipStream_tbENKUlT_T0_SI_SN_E_clIPsSD_S15_SD_EEDaS11_S12_SI_SN_EUlS11_E_NS1_11comp_targetILNS1_3genE0ELNS1_11target_archE4294967295ELNS1_3gpuE0ELNS1_3repE0EEENS1_47radix_sort_onesweep_sort_config_static_selectorELNS0_4arch9wavefront6targetE1EEEvSI_.num_named_barrier, 0
	.set _ZN7rocprim17ROCPRIM_400000_NS6detail17trampoline_kernelINS0_14default_configENS1_35radix_sort_onesweep_config_selectorIssEEZZNS1_29radix_sort_onesweep_iterationIS3_Lb0EN6thrust23THRUST_200600_302600_NS6detail15normal_iteratorINS8_10device_ptrIsEEEESD_SD_SD_jNS0_19identity_decomposerENS1_16block_id_wrapperIjLb0EEEEE10hipError_tT1_PNSt15iterator_traitsISI_E10value_typeET2_T3_PNSJ_ISO_E10value_typeET4_T5_PST_SU_PNS1_23onesweep_lookback_stateEbbT6_jjT7_P12ihipStream_tbENKUlT_T0_SI_SN_E_clIPsSD_S15_SD_EEDaS11_S12_SI_SN_EUlS11_E_NS1_11comp_targetILNS1_3genE0ELNS1_11target_archE4294967295ELNS1_3gpuE0ELNS1_3repE0EEENS1_47radix_sort_onesweep_sort_config_static_selectorELNS0_4arch9wavefront6targetE1EEEvSI_.private_seg_size, 0
	.set _ZN7rocprim17ROCPRIM_400000_NS6detail17trampoline_kernelINS0_14default_configENS1_35radix_sort_onesweep_config_selectorIssEEZZNS1_29radix_sort_onesweep_iterationIS3_Lb0EN6thrust23THRUST_200600_302600_NS6detail15normal_iteratorINS8_10device_ptrIsEEEESD_SD_SD_jNS0_19identity_decomposerENS1_16block_id_wrapperIjLb0EEEEE10hipError_tT1_PNSt15iterator_traitsISI_E10value_typeET2_T3_PNSJ_ISO_E10value_typeET4_T5_PST_SU_PNS1_23onesweep_lookback_stateEbbT6_jjT7_P12ihipStream_tbENKUlT_T0_SI_SN_E_clIPsSD_S15_SD_EEDaS11_S12_SI_SN_EUlS11_E_NS1_11comp_targetILNS1_3genE0ELNS1_11target_archE4294967295ELNS1_3gpuE0ELNS1_3repE0EEENS1_47radix_sort_onesweep_sort_config_static_selectorELNS0_4arch9wavefront6targetE1EEEvSI_.uses_vcc, 0
	.set _ZN7rocprim17ROCPRIM_400000_NS6detail17trampoline_kernelINS0_14default_configENS1_35radix_sort_onesweep_config_selectorIssEEZZNS1_29radix_sort_onesweep_iterationIS3_Lb0EN6thrust23THRUST_200600_302600_NS6detail15normal_iteratorINS8_10device_ptrIsEEEESD_SD_SD_jNS0_19identity_decomposerENS1_16block_id_wrapperIjLb0EEEEE10hipError_tT1_PNSt15iterator_traitsISI_E10value_typeET2_T3_PNSJ_ISO_E10value_typeET4_T5_PST_SU_PNS1_23onesweep_lookback_stateEbbT6_jjT7_P12ihipStream_tbENKUlT_T0_SI_SN_E_clIPsSD_S15_SD_EEDaS11_S12_SI_SN_EUlS11_E_NS1_11comp_targetILNS1_3genE0ELNS1_11target_archE4294967295ELNS1_3gpuE0ELNS1_3repE0EEENS1_47radix_sort_onesweep_sort_config_static_selectorELNS0_4arch9wavefront6targetE1EEEvSI_.uses_flat_scratch, 0
	.set _ZN7rocprim17ROCPRIM_400000_NS6detail17trampoline_kernelINS0_14default_configENS1_35radix_sort_onesweep_config_selectorIssEEZZNS1_29radix_sort_onesweep_iterationIS3_Lb0EN6thrust23THRUST_200600_302600_NS6detail15normal_iteratorINS8_10device_ptrIsEEEESD_SD_SD_jNS0_19identity_decomposerENS1_16block_id_wrapperIjLb0EEEEE10hipError_tT1_PNSt15iterator_traitsISI_E10value_typeET2_T3_PNSJ_ISO_E10value_typeET4_T5_PST_SU_PNS1_23onesweep_lookback_stateEbbT6_jjT7_P12ihipStream_tbENKUlT_T0_SI_SN_E_clIPsSD_S15_SD_EEDaS11_S12_SI_SN_EUlS11_E_NS1_11comp_targetILNS1_3genE0ELNS1_11target_archE4294967295ELNS1_3gpuE0ELNS1_3repE0EEENS1_47radix_sort_onesweep_sort_config_static_selectorELNS0_4arch9wavefront6targetE1EEEvSI_.has_dyn_sized_stack, 0
	.set _ZN7rocprim17ROCPRIM_400000_NS6detail17trampoline_kernelINS0_14default_configENS1_35radix_sort_onesweep_config_selectorIssEEZZNS1_29radix_sort_onesweep_iterationIS3_Lb0EN6thrust23THRUST_200600_302600_NS6detail15normal_iteratorINS8_10device_ptrIsEEEESD_SD_SD_jNS0_19identity_decomposerENS1_16block_id_wrapperIjLb0EEEEE10hipError_tT1_PNSt15iterator_traitsISI_E10value_typeET2_T3_PNSJ_ISO_E10value_typeET4_T5_PST_SU_PNS1_23onesweep_lookback_stateEbbT6_jjT7_P12ihipStream_tbENKUlT_T0_SI_SN_E_clIPsSD_S15_SD_EEDaS11_S12_SI_SN_EUlS11_E_NS1_11comp_targetILNS1_3genE0ELNS1_11target_archE4294967295ELNS1_3gpuE0ELNS1_3repE0EEENS1_47radix_sort_onesweep_sort_config_static_selectorELNS0_4arch9wavefront6targetE1EEEvSI_.has_recursion, 0
	.set _ZN7rocprim17ROCPRIM_400000_NS6detail17trampoline_kernelINS0_14default_configENS1_35radix_sort_onesweep_config_selectorIssEEZZNS1_29radix_sort_onesweep_iterationIS3_Lb0EN6thrust23THRUST_200600_302600_NS6detail15normal_iteratorINS8_10device_ptrIsEEEESD_SD_SD_jNS0_19identity_decomposerENS1_16block_id_wrapperIjLb0EEEEE10hipError_tT1_PNSt15iterator_traitsISI_E10value_typeET2_T3_PNSJ_ISO_E10value_typeET4_T5_PST_SU_PNS1_23onesweep_lookback_stateEbbT6_jjT7_P12ihipStream_tbENKUlT_T0_SI_SN_E_clIPsSD_S15_SD_EEDaS11_S12_SI_SN_EUlS11_E_NS1_11comp_targetILNS1_3genE0ELNS1_11target_archE4294967295ELNS1_3gpuE0ELNS1_3repE0EEENS1_47radix_sort_onesweep_sort_config_static_selectorELNS0_4arch9wavefront6targetE1EEEvSI_.has_indirect_call, 0
	.section	.AMDGPU.csdata,"",@progbits
; Kernel info:
; codeLenInByte = 0
; TotalNumSgprs: 6
; NumVgprs: 0
; NumAgprs: 0
; TotalNumVgprs: 0
; ScratchSize: 0
; MemoryBound: 0
; FloatMode: 240
; IeeeMode: 1
; LDSByteSize: 0 bytes/workgroup (compile time only)
; SGPRBlocks: 0
; VGPRBlocks: 0
; NumSGPRsForWavesPerEU: 6
; NumVGPRsForWavesPerEU: 1
; AccumOffset: 4
; Occupancy: 8
; WaveLimiterHint : 0
; COMPUTE_PGM_RSRC2:SCRATCH_EN: 0
; COMPUTE_PGM_RSRC2:USER_SGPR: 2
; COMPUTE_PGM_RSRC2:TRAP_HANDLER: 0
; COMPUTE_PGM_RSRC2:TGID_X_EN: 1
; COMPUTE_PGM_RSRC2:TGID_Y_EN: 0
; COMPUTE_PGM_RSRC2:TGID_Z_EN: 0
; COMPUTE_PGM_RSRC2:TIDIG_COMP_CNT: 0
; COMPUTE_PGM_RSRC3_GFX90A:ACCUM_OFFSET: 0
; COMPUTE_PGM_RSRC3_GFX90A:TG_SPLIT: 0
	.section	.text._ZN7rocprim17ROCPRIM_400000_NS6detail17trampoline_kernelINS0_14default_configENS1_35radix_sort_onesweep_config_selectorIssEEZZNS1_29radix_sort_onesweep_iterationIS3_Lb0EN6thrust23THRUST_200600_302600_NS6detail15normal_iteratorINS8_10device_ptrIsEEEESD_SD_SD_jNS0_19identity_decomposerENS1_16block_id_wrapperIjLb0EEEEE10hipError_tT1_PNSt15iterator_traitsISI_E10value_typeET2_T3_PNSJ_ISO_E10value_typeET4_T5_PST_SU_PNS1_23onesweep_lookback_stateEbbT6_jjT7_P12ihipStream_tbENKUlT_T0_SI_SN_E_clIPsSD_S15_SD_EEDaS11_S12_SI_SN_EUlS11_E_NS1_11comp_targetILNS1_3genE6ELNS1_11target_archE950ELNS1_3gpuE13ELNS1_3repE0EEENS1_47radix_sort_onesweep_sort_config_static_selectorELNS0_4arch9wavefront6targetE1EEEvSI_,"axG",@progbits,_ZN7rocprim17ROCPRIM_400000_NS6detail17trampoline_kernelINS0_14default_configENS1_35radix_sort_onesweep_config_selectorIssEEZZNS1_29radix_sort_onesweep_iterationIS3_Lb0EN6thrust23THRUST_200600_302600_NS6detail15normal_iteratorINS8_10device_ptrIsEEEESD_SD_SD_jNS0_19identity_decomposerENS1_16block_id_wrapperIjLb0EEEEE10hipError_tT1_PNSt15iterator_traitsISI_E10value_typeET2_T3_PNSJ_ISO_E10value_typeET4_T5_PST_SU_PNS1_23onesweep_lookback_stateEbbT6_jjT7_P12ihipStream_tbENKUlT_T0_SI_SN_E_clIPsSD_S15_SD_EEDaS11_S12_SI_SN_EUlS11_E_NS1_11comp_targetILNS1_3genE6ELNS1_11target_archE950ELNS1_3gpuE13ELNS1_3repE0EEENS1_47radix_sort_onesweep_sort_config_static_selectorELNS0_4arch9wavefront6targetE1EEEvSI_,comdat
	.protected	_ZN7rocprim17ROCPRIM_400000_NS6detail17trampoline_kernelINS0_14default_configENS1_35radix_sort_onesweep_config_selectorIssEEZZNS1_29radix_sort_onesweep_iterationIS3_Lb0EN6thrust23THRUST_200600_302600_NS6detail15normal_iteratorINS8_10device_ptrIsEEEESD_SD_SD_jNS0_19identity_decomposerENS1_16block_id_wrapperIjLb0EEEEE10hipError_tT1_PNSt15iterator_traitsISI_E10value_typeET2_T3_PNSJ_ISO_E10value_typeET4_T5_PST_SU_PNS1_23onesweep_lookback_stateEbbT6_jjT7_P12ihipStream_tbENKUlT_T0_SI_SN_E_clIPsSD_S15_SD_EEDaS11_S12_SI_SN_EUlS11_E_NS1_11comp_targetILNS1_3genE6ELNS1_11target_archE950ELNS1_3gpuE13ELNS1_3repE0EEENS1_47radix_sort_onesweep_sort_config_static_selectorELNS0_4arch9wavefront6targetE1EEEvSI_ ; -- Begin function _ZN7rocprim17ROCPRIM_400000_NS6detail17trampoline_kernelINS0_14default_configENS1_35radix_sort_onesweep_config_selectorIssEEZZNS1_29radix_sort_onesweep_iterationIS3_Lb0EN6thrust23THRUST_200600_302600_NS6detail15normal_iteratorINS8_10device_ptrIsEEEESD_SD_SD_jNS0_19identity_decomposerENS1_16block_id_wrapperIjLb0EEEEE10hipError_tT1_PNSt15iterator_traitsISI_E10value_typeET2_T3_PNSJ_ISO_E10value_typeET4_T5_PST_SU_PNS1_23onesweep_lookback_stateEbbT6_jjT7_P12ihipStream_tbENKUlT_T0_SI_SN_E_clIPsSD_S15_SD_EEDaS11_S12_SI_SN_EUlS11_E_NS1_11comp_targetILNS1_3genE6ELNS1_11target_archE950ELNS1_3gpuE13ELNS1_3repE0EEENS1_47radix_sort_onesweep_sort_config_static_selectorELNS0_4arch9wavefront6targetE1EEEvSI_
	.globl	_ZN7rocprim17ROCPRIM_400000_NS6detail17trampoline_kernelINS0_14default_configENS1_35radix_sort_onesweep_config_selectorIssEEZZNS1_29radix_sort_onesweep_iterationIS3_Lb0EN6thrust23THRUST_200600_302600_NS6detail15normal_iteratorINS8_10device_ptrIsEEEESD_SD_SD_jNS0_19identity_decomposerENS1_16block_id_wrapperIjLb0EEEEE10hipError_tT1_PNSt15iterator_traitsISI_E10value_typeET2_T3_PNSJ_ISO_E10value_typeET4_T5_PST_SU_PNS1_23onesweep_lookback_stateEbbT6_jjT7_P12ihipStream_tbENKUlT_T0_SI_SN_E_clIPsSD_S15_SD_EEDaS11_S12_SI_SN_EUlS11_E_NS1_11comp_targetILNS1_3genE6ELNS1_11target_archE950ELNS1_3gpuE13ELNS1_3repE0EEENS1_47radix_sort_onesweep_sort_config_static_selectorELNS0_4arch9wavefront6targetE1EEEvSI_
	.p2align	8
	.type	_ZN7rocprim17ROCPRIM_400000_NS6detail17trampoline_kernelINS0_14default_configENS1_35radix_sort_onesweep_config_selectorIssEEZZNS1_29radix_sort_onesweep_iterationIS3_Lb0EN6thrust23THRUST_200600_302600_NS6detail15normal_iteratorINS8_10device_ptrIsEEEESD_SD_SD_jNS0_19identity_decomposerENS1_16block_id_wrapperIjLb0EEEEE10hipError_tT1_PNSt15iterator_traitsISI_E10value_typeET2_T3_PNSJ_ISO_E10value_typeET4_T5_PST_SU_PNS1_23onesweep_lookback_stateEbbT6_jjT7_P12ihipStream_tbENKUlT_T0_SI_SN_E_clIPsSD_S15_SD_EEDaS11_S12_SI_SN_EUlS11_E_NS1_11comp_targetILNS1_3genE6ELNS1_11target_archE950ELNS1_3gpuE13ELNS1_3repE0EEENS1_47radix_sort_onesweep_sort_config_static_selectorELNS0_4arch9wavefront6targetE1EEEvSI_,@function
_ZN7rocprim17ROCPRIM_400000_NS6detail17trampoline_kernelINS0_14default_configENS1_35radix_sort_onesweep_config_selectorIssEEZZNS1_29radix_sort_onesweep_iterationIS3_Lb0EN6thrust23THRUST_200600_302600_NS6detail15normal_iteratorINS8_10device_ptrIsEEEESD_SD_SD_jNS0_19identity_decomposerENS1_16block_id_wrapperIjLb0EEEEE10hipError_tT1_PNSt15iterator_traitsISI_E10value_typeET2_T3_PNSJ_ISO_E10value_typeET4_T5_PST_SU_PNS1_23onesweep_lookback_stateEbbT6_jjT7_P12ihipStream_tbENKUlT_T0_SI_SN_E_clIPsSD_S15_SD_EEDaS11_S12_SI_SN_EUlS11_E_NS1_11comp_targetILNS1_3genE6ELNS1_11target_archE950ELNS1_3gpuE13ELNS1_3repE0EEENS1_47radix_sort_onesweep_sort_config_static_selectorELNS0_4arch9wavefront6targetE1EEEvSI_: ; @_ZN7rocprim17ROCPRIM_400000_NS6detail17trampoline_kernelINS0_14default_configENS1_35radix_sort_onesweep_config_selectorIssEEZZNS1_29radix_sort_onesweep_iterationIS3_Lb0EN6thrust23THRUST_200600_302600_NS6detail15normal_iteratorINS8_10device_ptrIsEEEESD_SD_SD_jNS0_19identity_decomposerENS1_16block_id_wrapperIjLb0EEEEE10hipError_tT1_PNSt15iterator_traitsISI_E10value_typeET2_T3_PNSJ_ISO_E10value_typeET4_T5_PST_SU_PNS1_23onesweep_lookback_stateEbbT6_jjT7_P12ihipStream_tbENKUlT_T0_SI_SN_E_clIPsSD_S15_SD_EEDaS11_S12_SI_SN_EUlS11_E_NS1_11comp_targetILNS1_3genE6ELNS1_11target_archE950ELNS1_3gpuE13ELNS1_3repE0EEENS1_47radix_sort_onesweep_sort_config_static_selectorELNS0_4arch9wavefront6targetE1EEEvSI_
; %bb.0:
	s_load_dwordx4 s[8:11], s[0:1], 0x44
	s_load_dwordx8 s[92:99], s[0:1], 0x0
	s_load_dwordx4 s[4:7], s[0:1], 0x28
                                        ; implicit-def: $vgpr118 : SGPR spill to VGPR lane
	s_load_dwordx2 s[12:13], s[0:1], 0x38
	v_mbcnt_lo_u32_b32 v1, -1, 0
	s_waitcnt lgkmcnt(0)
	s_cmp_ge_u32 s2, s10
	v_writelane_b32 v118, s4, 0
	s_nop 1
	v_writelane_b32 v118, s5, 1
	v_writelane_b32 v118, s6, 2
	;; [unrolled: 1-line block ×3, first 2 shown]
	s_mov_b64 s[4:5], -1
	s_mul_i32 s6, s2, 0x2c00
	s_cbranch_scc0 .LBB1688_288
; %bb.1:
	s_load_dword s3, s[0:1], 0x20
	s_mul_i32 s4, s10, 0xffffd400
	s_mov_b32 s7, 0
	v_mbcnt_hi_u32_b32 v15, -1, v1
	s_lshl_b64 s[10:11], s[6:7], 1
	s_waitcnt lgkmcnt(0)
	s_add_i32 s7, s3, s4
	s_add_u32 s4, s92, s10
	v_and_b32_e32 v10, 63, v15
	v_and_b32_e32 v21, 0x1c0, v0
	s_addc_u32 s5, s93, s11
	v_mul_u32_u24_e32 v11, 22, v21
	v_mov_b32_e32 v5, 0
	v_lshlrev_b32_e32 v4, 1, v10
	v_lshl_add_u64 v[2:3], s[4:5], 0, v[4:5]
	v_lshlrev_b32_e32 v6, 1, v11
	v_mov_b32_e32 v7, v5
	v_lshl_add_u64 v[8:9], v[2:3], 0, v[6:7]
	v_or_b32_e32 v10, v10, v11
	v_mov_b32_e32 v3, -1
	v_mov_b32_e32 v5, -1
	v_cmp_gt_u32_e64 s[14:15], s7, v10
	s_mov_b64 s[4:5], exec
	s_nop 0
	v_writelane_b32 v118, s14, 4
	s_nop 1
	v_writelane_b32 v118, s15, 5
	s_and_b64 s[14:15], s[4:5], s[14:15]
	s_mov_b64 exec, s[14:15]
	s_cbranch_execz .LBB1688_3
; %bb.2:
	global_load_ushort v2, v[8:9], off
	s_waitcnt vmcnt(0)
	v_xor_b32_e32 v5, 0xffff8000, v2
.LBB1688_3:
	s_or_b64 exec, exec, s[4:5]
	v_or_b32_e32 v2, 64, v10
	v_cmp_gt_u32_e64 s[14:15], s7, v2
	s_mov_b64 s[4:5], exec
	s_nop 0
	v_writelane_b32 v118, s14, 6
	s_nop 1
	v_writelane_b32 v118, s15, 7
	s_and_b64 s[14:15], s[4:5], s[14:15]
	s_mov_b64 exec, s[14:15]
	s_cbranch_execz .LBB1688_5
; %bb.4:
	global_load_ushort v2, v[8:9], off offset:128
	s_waitcnt vmcnt(0)
	v_xor_b32_e32 v3, 0xffff8000, v2
.LBB1688_5:
	s_or_b64 exec, exec, s[4:5]
	v_add_u32_e32 v2, 0x80, v10
	v_mov_b32_e32 v7, -1
	v_mov_b32_e32 v12, -1
	v_cmp_gt_u32_e64 s[14:15], s7, v2
	s_mov_b64 s[4:5], exec
	s_nop 0
	v_writelane_b32 v118, s14, 8
	s_nop 1
	v_writelane_b32 v118, s15, 9
	s_and_b64 s[14:15], s[4:5], s[14:15]
	s_mov_b64 exec, s[14:15]
	s_cbranch_execz .LBB1688_7
; %bb.6:
	global_load_ushort v2, v[8:9], off offset:256
	s_waitcnt vmcnt(0)
	v_xor_b32_e32 v12, 0xffff8000, v2
.LBB1688_7:
	s_or_b64 exec, exec, s[4:5]
	v_add_u32_e32 v2, 0xc0, v10
	v_cmp_gt_u32_e64 s[14:15], s7, v2
	s_mov_b64 s[4:5], exec
	s_nop 0
	v_writelane_b32 v118, s14, 10
	s_nop 1
	v_writelane_b32 v118, s15, 11
	s_and_b64 s[14:15], s[4:5], s[14:15]
	s_mov_b64 exec, s[14:15]
	s_cbranch_execz .LBB1688_9
; %bb.8:
	global_load_ushort v2, v[8:9], off offset:384
	s_waitcnt vmcnt(0)
	v_xor_b32_e32 v7, 0xffff8000, v2
.LBB1688_9:
	s_or_b64 exec, exec, s[4:5]
	v_add_u32_e32 v2, 0x100, v10
	v_mov_b32_e32 v13, -1
	v_mov_b32_e32 v14, -1
	v_cmp_gt_u32_e64 s[14:15], s7, v2
	s_mov_b64 s[4:5], exec
	s_nop 0
	v_writelane_b32 v118, s14, 12
	s_nop 1
	v_writelane_b32 v118, s15, 13
	s_and_b64 s[14:15], s[4:5], s[14:15]
	s_mov_b64 exec, s[14:15]
	s_cbranch_execz .LBB1688_11
; %bb.10:
	global_load_ushort v2, v[8:9], off offset:512
	s_waitcnt vmcnt(0)
	v_xor_b32_e32 v14, 0xffff8000, v2
.LBB1688_11:
	s_or_b64 exec, exec, s[4:5]
	v_add_u32_e32 v2, 0x140, v10
	;; [unrolled: 34-line block ×3, first 2 shown]
	v_cmp_gt_u32_e32 vcc, s7, v2
	s_and_saveexec_b64 s[4:5], vcc
	s_cbranch_execz .LBB1688_17
; %bb.16:
	global_load_ushort v2, v[8:9], off offset:896
	s_waitcnt vmcnt(0)
	v_xor_b32_e32 v16, 0xffff8000, v2
.LBB1688_17:
	s_or_b64 exec, exec, s[4:5]
	v_add_u32_e32 v2, 0x200, v10
	v_cmp_gt_u32_e64 s[16:17], s7, v2
	v_mov_b32_e32 v18, -1
	v_mov_b32_e32 v19, -1
	s_and_saveexec_b64 s[4:5], s[16:17]
	s_cbranch_execz .LBB1688_19
; %bb.18:
	global_load_ushort v2, v[8:9], off offset:1024
	s_waitcnt vmcnt(0)
	v_xor_b32_e32 v19, 0xffff8000, v2
.LBB1688_19:
	s_or_b64 exec, exec, s[4:5]
	v_add_u32_e32 v2, 0x240, v10
	v_cmp_gt_u32_e64 s[18:19], s7, v2
	s_and_saveexec_b64 s[4:5], s[18:19]
	s_cbranch_execz .LBB1688_21
; %bb.20:
	global_load_ushort v2, v[8:9], off offset:1152
	s_waitcnt vmcnt(0)
	v_xor_b32_e32 v18, 0xffff8000, v2
.LBB1688_21:
	s_or_b64 exec, exec, s[4:5]
	v_add_u32_e32 v2, 0x280, v10
	v_cmp_gt_u32_e64 s[20:21], s7, v2
	v_mov_b32_e32 v20, -1
	v_mov_b32_e32 v22, -1
	s_and_saveexec_b64 s[4:5], s[20:21]
	s_cbranch_execz .LBB1688_23
; %bb.22:
	global_load_ushort v2, v[8:9], off offset:1280
	s_waitcnt vmcnt(0)
	v_xor_b32_e32 v22, 0xffff8000, v2
.LBB1688_23:
	s_or_b64 exec, exec, s[4:5]
	v_add_u32_e32 v2, 0x2c0, v10
	v_cmp_gt_u32_e64 s[22:23], s7, v2
	s_and_saveexec_b64 s[4:5], s[22:23]
	;; [unrolled: 22-line block ×6, first 2 shown]
	s_cbranch_execz .LBB1688_41
; %bb.40:
	global_load_ushort v2, v[8:9], off offset:2432
	s_waitcnt vmcnt(0)
	v_xor_b32_e32 v29, 0xffff8000, v2
.LBB1688_41:
	s_or_b64 exec, exec, s[4:5]
	v_add_u32_e32 v2, 0x500, v10
	v_cmp_gt_u32_e64 s[42:43], s7, v2
	v_mov_b32_e32 v31, -1
	v_mov_b32_e32 v32, -1
	s_and_saveexec_b64 s[4:5], s[42:43]
	s_cbranch_execz .LBB1688_43
; %bb.42:
	global_load_ushort v2, v[8:9], off offset:2560
	s_waitcnt vmcnt(0)
	v_xor_b32_e32 v32, 0xffff8000, v2
.LBB1688_43:
	s_or_b64 exec, exec, s[4:5]
	v_add_u32_e32 v10, 0x540, v10
	v_and_b32_e32 v2, 0x3ff, v0
	v_cmp_gt_u32_e64 s[44:45], s7, v10
	s_and_saveexec_b64 s[4:5], s[44:45]
	s_cbranch_execz .LBB1688_45
; %bb.44:
	global_load_ushort v8, v[8:9], off offset:2688
	s_waitcnt vmcnt(0)
	v_xor_b32_e32 v31, 0xffff8000, v8
.LBB1688_45:
	s_or_b64 exec, exec, s[4:5]
	s_load_dword s4, s[0:1], 0x64
	s_load_dword s3, s[0:1], 0x58
	s_add_u32 s5, s0, 0x58
	s_addc_u32 s14, s1, 0
	v_mov_b32_e32 v8, 0
	s_waitcnt lgkmcnt(0)
	s_lshr_b32 s15, s4, 16
	s_cmp_lt_u32 s2, s3
	s_cselect_b32 s4, 12, 18
	s_add_u32 s4, s5, s4
	s_addc_u32 s5, s14, 0
	global_load_ushort v36, v8, s[4:5]
	v_lshrrev_b32_sdwa v35, s8, v5 dst_sel:DWORD dst_unused:UNUSED_PAD src0_sel:DWORD src1_sel:WORD_0
	s_lshl_b32 s4, -1, s9
	v_bfe_u32 v10, v0, 10, 10
	v_bfe_u32 v34, v0, 20, 10
	v_lshlrev_b32_e32 v33, 3, v2
	v_mov_b32_e32 v9, v8
	v_bitop3_b32 v38, v35, s4, v35 bitop3:0x30
	v_mov_b32_e32 v11, v8
	ds_write_b64 v33, v[8:9] offset:32
	v_mad_u32_u24 v37, v34, s15, v10
	v_and_b32_e32 v10, 1, v38
	v_lshlrev_b32_e32 v9, 30, v38
	v_lshl_add_u64 v[34:35], v[10:11], 0, -1
	v_cmp_ne_u32_e64 s[46:47], 0, v10
	v_cmp_gt_i64_e64 s[48:49], 0, v[8:9]
	v_not_b32_e32 v10, v9
	v_lshlrev_b32_e32 v9, 29, v38
	v_xor_b32_e32 v11, s47, v35
	v_xor_b32_e32 v34, s46, v34
	v_ashrrev_i32_e32 v10, 31, v10
	v_cmp_gt_i64_e64 s[46:47], 0, v[8:9]
	v_not_b32_e32 v35, v9
	v_lshlrev_b32_e32 v9, 28, v38
	v_and_b32_e32 v11, exec_hi, v11
	v_and_b32_e32 v34, exec_lo, v34
	v_xor_b32_e32 v39, s49, v10
	v_xor_b32_e32 v10, s48, v10
	v_ashrrev_i32_e32 v35, 31, v35
	v_cmp_gt_i64_e64 s[48:49], 0, v[8:9]
	v_not_b32_e32 v40, v9
	v_lshlrev_b32_e32 v9, 27, v38
	v_and_b32_e32 v11, v11, v39
	v_and_b32_e32 v10, v34, v10
	v_xor_b32_e32 v34, s47, v35
	v_xor_b32_e32 v35, s46, v35
	v_ashrrev_i32_e32 v39, 31, v40
	v_cmp_gt_i64_e64 s[46:47], 0, v[8:9]
	v_not_b32_e32 v40, v9
	v_lshlrev_b32_e32 v9, 26, v38
	v_and_b32_e32 v11, v11, v34
	v_and_b32_e32 v10, v10, v35
	v_xor_b32_e32 v34, s49, v39
	v_xor_b32_e32 v35, s48, v39
	v_ashrrev_i32_e32 v39, 31, v40
	v_cmp_gt_i64_e64 s[48:49], 0, v[8:9]
	v_not_b32_e32 v9, v9
	v_and_b32_e32 v11, v11, v34
	v_and_b32_e32 v10, v10, v35
	v_xor_b32_e32 v34, s47, v39
	v_xor_b32_e32 v35, s46, v39
	v_ashrrev_i32_e32 v9, 31, v9
	v_and_b32_e32 v11, v11, v34
	v_and_b32_e32 v10, v10, v35
	v_xor_b32_e32 v34, s49, v9
	v_xor_b32_e32 v9, s48, v9
	v_and_b32_e32 v10, v10, v9
	s_not_b32 s33, s4
	v_and_b32_e32 v11, v11, v34
	v_mbcnt_lo_u32_b32 v9, v10, 0
	v_mbcnt_hi_u32_b32 v34, v11, v9
	v_cmp_ne_u64_e64 s[46:47], 0, v[10:11]
	v_cmp_eq_u32_e64 s[48:49], 0, v34
	s_and_b64 s[46:47], s[46:47], s[48:49]
	s_waitcnt lgkmcnt(0)
	s_barrier
	s_waitcnt vmcnt(0)
	; wave barrier
	v_mad_u64_u32 v[36:37], s[4:5], v37, v36, v[2:3]
	v_lshrrev_b32_e32 v9, 6, v36
	v_lshlrev_b32_e32 v44, 2, v9
	v_mad_u32_u24 v36, v38, 36, v44
	s_and_saveexec_b64 s[4:5], s[46:47]
; %bb.46:
	v_bcnt_u32_b32 v9, v10, 0
	v_bcnt_u32_b32 v9, v11, v9
	ds_write_b32 v36, v9 offset:32
; %bb.47:
	s_or_b64 exec, exec, s[4:5]
	v_lshrrev_b32_sdwa v9, s8, v3 dst_sel:DWORD dst_unused:UNUSED_PAD src0_sel:DWORD src1_sel:WORD_0
	v_and_b32_e32 v40, s33, v9
	v_and_b32_e32 v10, 1, v40
	v_mov_b32_e32 v11, v8
	v_lshl_add_u64 v[38:39], v[10:11], 0, -1
	v_cmp_ne_u32_e64 s[46:47], 0, v10
	v_mad_u32_u24 v37, v40, 36, v44
	s_nop 0
	v_xor_b32_e32 v9, s47, v39
	v_and_b32_e32 v11, exec_hi, v9
	v_lshlrev_b32_e32 v9, 30, v40
	v_xor_b32_e32 v10, s46, v38
	v_cmp_gt_i64_e64 s[46:47], 0, v[8:9]
	v_not_b32_e32 v9, v9
	v_ashrrev_i32_e32 v9, 31, v9
	v_and_b32_e32 v10, exec_lo, v10
	v_xor_b32_e32 v38, s47, v9
	v_xor_b32_e32 v9, s46, v9
	v_and_b32_e32 v10, v10, v9
	v_lshlrev_b32_e32 v9, 29, v40
	v_cmp_gt_i64_e64 s[46:47], 0, v[8:9]
	v_not_b32_e32 v9, v9
	v_ashrrev_i32_e32 v9, 31, v9
	v_and_b32_e32 v11, v11, v38
	v_xor_b32_e32 v38, s47, v9
	v_xor_b32_e32 v9, s46, v9
	v_and_b32_e32 v10, v10, v9
	v_lshlrev_b32_e32 v9, 28, v40
	v_cmp_gt_i64_e64 s[46:47], 0, v[8:9]
	v_not_b32_e32 v9, v9
	v_ashrrev_i32_e32 v9, 31, v9
	v_and_b32_e32 v11, v11, v38
	;; [unrolled: 8-line block ×3, first 2 shown]
	v_xor_b32_e32 v38, s47, v9
	v_xor_b32_e32 v9, s46, v9
	v_and_b32_e32 v10, v10, v9
	v_lshlrev_b32_e32 v9, 26, v40
	v_cmp_gt_i64_e64 s[46:47], 0, v[8:9]
	v_not_b32_e32 v8, v9
	v_ashrrev_i32_e32 v8, 31, v8
	v_xor_b32_e32 v9, s47, v8
	v_xor_b32_e32 v8, s46, v8
	; wave barrier
	ds_read_b32 v35, v37 offset:32
	v_and_b32_e32 v11, v11, v38
	v_and_b32_e32 v8, v10, v8
	;; [unrolled: 1-line block ×3, first 2 shown]
	v_mbcnt_lo_u32_b32 v10, v8, 0
	v_mbcnt_hi_u32_b32 v38, v9, v10
	v_cmp_eq_u32_e64 s[46:47], 0, v38
	v_cmp_ne_u64_e64 s[48:49], 0, v[8:9]
	s_and_b64 s[46:47], s[48:49], s[46:47]
	; wave barrier
	s_and_saveexec_b64 s[4:5], s[46:47]
	s_cbranch_execz .LBB1688_49
; %bb.48:
	v_bcnt_u32_b32 v8, v8, 0
	v_bcnt_u32_b32 v8, v9, v8
	s_waitcnt lgkmcnt(0)
	v_add_u32_e32 v8, v35, v8
	ds_write_b32 v37, v8 offset:32
.LBB1688_49:
	s_or_b64 exec, exec, s[4:5]
	v_lshrrev_b32_sdwa v8, s8, v12 dst_sel:DWORD dst_unused:UNUSED_PAD src0_sel:DWORD src1_sel:WORD_0
	v_and_b32_e32 v41, s33, v8
	v_and_b32_e32 v8, 1, v41
	v_mov_b32_e32 v9, 0
	v_lshl_add_u64 v[10:11], v[8:9], 0, -1
	v_cmp_ne_u32_e64 s[46:47], 0, v8
	v_mad_u32_u24 v40, v41, 36, v44
	s_nop 0
	v_xor_b32_e32 v10, s46, v10
	v_xor_b32_e32 v8, s47, v11
	v_and_b32_e32 v42, exec_lo, v10
	v_lshlrev_b32_e32 v11, 30, v41
	v_mov_b32_e32 v10, v9
	v_cmp_gt_i64_e64 s[46:47], 0, v[10:11]
	v_not_b32_e32 v10, v11
	v_ashrrev_i32_e32 v10, 31, v10
	v_and_b32_e32 v8, exec_hi, v8
	v_xor_b32_e32 v11, s47, v10
	v_xor_b32_e32 v10, s46, v10
	v_and_b32_e32 v8, v8, v11
	v_and_b32_e32 v42, v42, v10
	v_lshlrev_b32_e32 v11, 29, v41
	v_mov_b32_e32 v10, v9
	v_cmp_gt_i64_e64 s[46:47], 0, v[10:11]
	v_not_b32_e32 v10, v11
	v_ashrrev_i32_e32 v10, 31, v10
	v_xor_b32_e32 v11, s47, v10
	v_xor_b32_e32 v10, s46, v10
	v_and_b32_e32 v8, v8, v11
	v_and_b32_e32 v42, v42, v10
	v_lshlrev_b32_e32 v11, 28, v41
	v_mov_b32_e32 v10, v9
	v_cmp_gt_i64_e64 s[46:47], 0, v[10:11]
	v_not_b32_e32 v10, v11
	v_ashrrev_i32_e32 v10, 31, v10
	;; [unrolled: 9-line block ×4, first 2 shown]
	v_xor_b32_e32 v11, s47, v10
	v_xor_b32_e32 v10, s46, v10
	; wave barrier
	ds_read_b32 v39, v40 offset:32
	v_and_b32_e32 v10, v42, v10
	v_and_b32_e32 v11, v8, v11
	v_mbcnt_lo_u32_b32 v8, v10, 0
	v_mbcnt_hi_u32_b32 v41, v11, v8
	v_cmp_eq_u32_e64 s[46:47], 0, v41
	v_cmp_ne_u64_e64 s[48:49], 0, v[10:11]
	s_and_b64 s[46:47], s[48:49], s[46:47]
	; wave barrier
	s_and_saveexec_b64 s[4:5], s[46:47]
	s_cbranch_execz .LBB1688_51
; %bb.50:
	v_bcnt_u32_b32 v8, v10, 0
	v_bcnt_u32_b32 v8, v11, v8
	s_waitcnt lgkmcnt(0)
	v_add_u32_e32 v8, v39, v8
	ds_write_b32 v40, v8 offset:32
.LBB1688_51:
	s_or_b64 exec, exec, s[4:5]
	v_lshrrev_b32_sdwa v8, s8, v7 dst_sel:DWORD dst_unused:UNUSED_PAD src0_sel:DWORD src1_sel:WORD_0
	v_and_b32_e32 v45, s33, v8
	v_and_b32_e32 v8, 1, v45
	v_lshl_add_u64 v[10:11], v[8:9], 0, -1
	v_cmp_ne_u32_e64 s[46:47], 0, v8
	v_mad_u32_u24 v43, v45, 36, v44
	s_nop 0
	v_xor_b32_e32 v10, s46, v10
	v_xor_b32_e32 v8, s47, v11
	v_and_b32_e32 v46, exec_lo, v10
	v_lshlrev_b32_e32 v11, 30, v45
	v_mov_b32_e32 v10, v9
	v_cmp_gt_i64_e64 s[46:47], 0, v[10:11]
	v_not_b32_e32 v10, v11
	v_ashrrev_i32_e32 v10, 31, v10
	v_and_b32_e32 v8, exec_hi, v8
	v_xor_b32_e32 v11, s47, v10
	v_xor_b32_e32 v10, s46, v10
	v_and_b32_e32 v8, v8, v11
	v_and_b32_e32 v46, v46, v10
	v_lshlrev_b32_e32 v11, 29, v45
	v_mov_b32_e32 v10, v9
	v_cmp_gt_i64_e64 s[46:47], 0, v[10:11]
	v_not_b32_e32 v10, v11
	v_ashrrev_i32_e32 v10, 31, v10
	v_xor_b32_e32 v11, s47, v10
	v_xor_b32_e32 v10, s46, v10
	v_and_b32_e32 v8, v8, v11
	v_and_b32_e32 v46, v46, v10
	v_lshlrev_b32_e32 v11, 28, v45
	v_mov_b32_e32 v10, v9
	v_cmp_gt_i64_e64 s[46:47], 0, v[10:11]
	v_not_b32_e32 v10, v11
	v_ashrrev_i32_e32 v10, 31, v10
	;; [unrolled: 9-line block ×3, first 2 shown]
	v_xor_b32_e32 v11, s47, v10
	v_xor_b32_e32 v10, s46, v10
	v_and_b32_e32 v8, v8, v11
	v_lshlrev_b32_e32 v11, 26, v45
	v_and_b32_e32 v46, v46, v10
	v_mov_b32_e32 v10, v9
	v_not_b32_e32 v9, v11
	v_cmp_gt_i64_e64 s[46:47], 0, v[10:11]
	v_ashrrev_i32_e32 v9, 31, v9
	; wave barrier
	s_nop 0
	v_xor_b32_e32 v10, s47, v9
	v_xor_b32_e32 v11, s46, v9
	ds_read_b32 v42, v43 offset:32
	v_and_b32_e32 v9, v8, v10
	v_and_b32_e32 v8, v46, v11
	v_mbcnt_lo_u32_b32 v10, v8, 0
	v_mbcnt_hi_u32_b32 v45, v9, v10
	v_cmp_eq_u32_e64 s[46:47], 0, v45
	v_cmp_ne_u64_e64 s[48:49], 0, v[8:9]
	s_and_b64 s[46:47], s[48:49], s[46:47]
	; wave barrier
	s_and_saveexec_b64 s[4:5], s[46:47]
	s_cbranch_execz .LBB1688_53
; %bb.52:
	v_bcnt_u32_b32 v8, v8, 0
	v_bcnt_u32_b32 v8, v9, v8
	s_waitcnt lgkmcnt(0)
	v_add_u32_e32 v8, v42, v8
	ds_write_b32 v43, v8 offset:32
.LBB1688_53:
	s_or_b64 exec, exec, s[4:5]
	v_lshrrev_b32_sdwa v8, s8, v14 dst_sel:DWORD dst_unused:UNUSED_PAD src0_sel:DWORD src1_sel:WORD_0
	v_and_b32_e32 v48, s33, v8
	v_and_b32_e32 v8, 1, v48
	v_mov_b32_e32 v9, 0
	v_lshl_add_u64 v[10:11], v[8:9], 0, -1
	v_cmp_ne_u32_e64 s[46:47], 0, v8
	v_mad_u32_u24 v47, v48, 36, v44
	s_nop 0
	v_xor_b32_e32 v10, s46, v10
	v_xor_b32_e32 v8, s47, v11
	v_and_b32_e32 v49, exec_lo, v10
	v_lshlrev_b32_e32 v11, 30, v48
	v_mov_b32_e32 v10, v9
	v_cmp_gt_i64_e64 s[46:47], 0, v[10:11]
	v_not_b32_e32 v10, v11
	v_ashrrev_i32_e32 v10, 31, v10
	v_and_b32_e32 v8, exec_hi, v8
	v_xor_b32_e32 v11, s47, v10
	v_xor_b32_e32 v10, s46, v10
	v_and_b32_e32 v8, v8, v11
	v_and_b32_e32 v49, v49, v10
	v_lshlrev_b32_e32 v11, 29, v48
	v_mov_b32_e32 v10, v9
	v_cmp_gt_i64_e64 s[46:47], 0, v[10:11]
	v_not_b32_e32 v10, v11
	v_ashrrev_i32_e32 v10, 31, v10
	v_xor_b32_e32 v11, s47, v10
	v_xor_b32_e32 v10, s46, v10
	v_and_b32_e32 v8, v8, v11
	v_and_b32_e32 v49, v49, v10
	v_lshlrev_b32_e32 v11, 28, v48
	v_mov_b32_e32 v10, v9
	v_cmp_gt_i64_e64 s[46:47], 0, v[10:11]
	v_not_b32_e32 v10, v11
	v_ashrrev_i32_e32 v10, 31, v10
	;; [unrolled: 9-line block ×4, first 2 shown]
	v_xor_b32_e32 v11, s47, v10
	v_xor_b32_e32 v10, s46, v10
	; wave barrier
	ds_read_b32 v46, v47 offset:32
	v_and_b32_e32 v10, v49, v10
	v_and_b32_e32 v11, v8, v11
	v_mbcnt_lo_u32_b32 v8, v10, 0
	v_mbcnt_hi_u32_b32 v48, v11, v8
	v_cmp_eq_u32_e64 s[46:47], 0, v48
	v_cmp_ne_u64_e64 s[48:49], 0, v[10:11]
	s_and_b64 s[46:47], s[48:49], s[46:47]
	; wave barrier
	s_and_saveexec_b64 s[4:5], s[46:47]
	s_cbranch_execz .LBB1688_55
; %bb.54:
	v_bcnt_u32_b32 v8, v10, 0
	v_bcnt_u32_b32 v8, v11, v8
	s_waitcnt lgkmcnt(0)
	v_add_u32_e32 v8, v46, v8
	ds_write_b32 v47, v8 offset:32
.LBB1688_55:
	s_or_b64 exec, exec, s[4:5]
	v_lshrrev_b32_sdwa v8, s8, v13 dst_sel:DWORD dst_unused:UNUSED_PAD src0_sel:DWORD src1_sel:WORD_0
	v_and_b32_e32 v51, s33, v8
	v_and_b32_e32 v8, 1, v51
	v_lshl_add_u64 v[10:11], v[8:9], 0, -1
	v_cmp_ne_u32_e64 s[46:47], 0, v8
	v_mad_u32_u24 v50, v51, 36, v44
	s_nop 0
	v_xor_b32_e32 v10, s46, v10
	v_xor_b32_e32 v8, s47, v11
	v_and_b32_e32 v52, exec_lo, v10
	v_lshlrev_b32_e32 v11, 30, v51
	v_mov_b32_e32 v10, v9
	v_cmp_gt_i64_e64 s[46:47], 0, v[10:11]
	v_not_b32_e32 v10, v11
	v_ashrrev_i32_e32 v10, 31, v10
	v_and_b32_e32 v8, exec_hi, v8
	v_xor_b32_e32 v11, s47, v10
	v_xor_b32_e32 v10, s46, v10
	v_and_b32_e32 v8, v8, v11
	v_and_b32_e32 v52, v52, v10
	v_lshlrev_b32_e32 v11, 29, v51
	v_mov_b32_e32 v10, v9
	v_cmp_gt_i64_e64 s[46:47], 0, v[10:11]
	v_not_b32_e32 v10, v11
	v_ashrrev_i32_e32 v10, 31, v10
	v_xor_b32_e32 v11, s47, v10
	v_xor_b32_e32 v10, s46, v10
	v_and_b32_e32 v8, v8, v11
	v_and_b32_e32 v52, v52, v10
	v_lshlrev_b32_e32 v11, 28, v51
	v_mov_b32_e32 v10, v9
	v_cmp_gt_i64_e64 s[46:47], 0, v[10:11]
	v_not_b32_e32 v10, v11
	v_ashrrev_i32_e32 v10, 31, v10
	;; [unrolled: 9-line block ×3, first 2 shown]
	v_xor_b32_e32 v11, s47, v10
	v_xor_b32_e32 v10, s46, v10
	v_and_b32_e32 v8, v8, v11
	v_lshlrev_b32_e32 v11, 26, v51
	v_and_b32_e32 v52, v52, v10
	v_mov_b32_e32 v10, v9
	v_not_b32_e32 v9, v11
	v_cmp_gt_i64_e64 s[46:47], 0, v[10:11]
	v_ashrrev_i32_e32 v9, 31, v9
	; wave barrier
	s_nop 0
	v_xor_b32_e32 v10, s47, v9
	v_xor_b32_e32 v11, s46, v9
	ds_read_b32 v49, v50 offset:32
	v_and_b32_e32 v9, v8, v10
	v_and_b32_e32 v8, v52, v11
	v_mbcnt_lo_u32_b32 v10, v8, 0
	v_mbcnt_hi_u32_b32 v51, v9, v10
	v_cmp_eq_u32_e64 s[46:47], 0, v51
	v_cmp_ne_u64_e64 s[48:49], 0, v[8:9]
	s_and_b64 s[46:47], s[48:49], s[46:47]
	; wave barrier
	s_and_saveexec_b64 s[4:5], s[46:47]
	s_cbranch_execz .LBB1688_57
; %bb.56:
	v_bcnt_u32_b32 v8, v8, 0
	v_bcnt_u32_b32 v8, v9, v8
	s_waitcnt lgkmcnt(0)
	v_add_u32_e32 v8, v49, v8
	ds_write_b32 v50, v8 offset:32
.LBB1688_57:
	s_or_b64 exec, exec, s[4:5]
	v_lshrrev_b32_sdwa v8, s8, v17 dst_sel:DWORD dst_unused:UNUSED_PAD src0_sel:DWORD src1_sel:WORD_0
	v_and_b32_e32 v54, s33, v8
	v_and_b32_e32 v8, 1, v54
	v_mov_b32_e32 v9, 0
	v_lshl_add_u64 v[10:11], v[8:9], 0, -1
	v_cmp_ne_u32_e64 s[46:47], 0, v8
	v_mad_u32_u24 v53, v54, 36, v44
	s_nop 0
	v_xor_b32_e32 v10, s46, v10
	v_xor_b32_e32 v8, s47, v11
	v_and_b32_e32 v55, exec_lo, v10
	v_lshlrev_b32_e32 v11, 30, v54
	v_mov_b32_e32 v10, v9
	v_cmp_gt_i64_e64 s[46:47], 0, v[10:11]
	v_not_b32_e32 v10, v11
	v_ashrrev_i32_e32 v10, 31, v10
	v_and_b32_e32 v8, exec_hi, v8
	v_xor_b32_e32 v11, s47, v10
	v_xor_b32_e32 v10, s46, v10
	v_and_b32_e32 v8, v8, v11
	v_and_b32_e32 v55, v55, v10
	v_lshlrev_b32_e32 v11, 29, v54
	v_mov_b32_e32 v10, v9
	v_cmp_gt_i64_e64 s[46:47], 0, v[10:11]
	v_not_b32_e32 v10, v11
	v_ashrrev_i32_e32 v10, 31, v10
	v_xor_b32_e32 v11, s47, v10
	v_xor_b32_e32 v10, s46, v10
	v_and_b32_e32 v8, v8, v11
	v_and_b32_e32 v55, v55, v10
	v_lshlrev_b32_e32 v11, 28, v54
	v_mov_b32_e32 v10, v9
	v_cmp_gt_i64_e64 s[46:47], 0, v[10:11]
	v_not_b32_e32 v10, v11
	v_ashrrev_i32_e32 v10, 31, v10
	;; [unrolled: 9-line block ×4, first 2 shown]
	v_xor_b32_e32 v11, s47, v10
	v_xor_b32_e32 v10, s46, v10
	; wave barrier
	ds_read_b32 v52, v53 offset:32
	v_and_b32_e32 v10, v55, v10
	v_and_b32_e32 v11, v8, v11
	v_mbcnt_lo_u32_b32 v8, v10, 0
	v_mbcnt_hi_u32_b32 v54, v11, v8
	v_cmp_eq_u32_e64 s[46:47], 0, v54
	v_cmp_ne_u64_e64 s[48:49], 0, v[10:11]
	s_and_b64 s[46:47], s[48:49], s[46:47]
	; wave barrier
	s_and_saveexec_b64 s[4:5], s[46:47]
	s_cbranch_execz .LBB1688_59
; %bb.58:
	v_bcnt_u32_b32 v8, v10, 0
	v_bcnt_u32_b32 v8, v11, v8
	s_waitcnt lgkmcnt(0)
	v_add_u32_e32 v8, v52, v8
	ds_write_b32 v53, v8 offset:32
.LBB1688_59:
	s_or_b64 exec, exec, s[4:5]
	v_lshrrev_b32_sdwa v8, s8, v16 dst_sel:DWORD dst_unused:UNUSED_PAD src0_sel:DWORD src1_sel:WORD_0
	v_and_b32_e32 v57, s33, v8
	v_and_b32_e32 v8, 1, v57
	v_lshl_add_u64 v[10:11], v[8:9], 0, -1
	v_cmp_ne_u32_e64 s[46:47], 0, v8
	v_mad_u32_u24 v56, v57, 36, v44
	s_nop 0
	v_xor_b32_e32 v10, s46, v10
	v_xor_b32_e32 v8, s47, v11
	v_and_b32_e32 v58, exec_lo, v10
	v_lshlrev_b32_e32 v11, 30, v57
	v_mov_b32_e32 v10, v9
	v_cmp_gt_i64_e64 s[46:47], 0, v[10:11]
	v_not_b32_e32 v10, v11
	v_ashrrev_i32_e32 v10, 31, v10
	v_and_b32_e32 v8, exec_hi, v8
	v_xor_b32_e32 v11, s47, v10
	v_xor_b32_e32 v10, s46, v10
	v_and_b32_e32 v8, v8, v11
	v_and_b32_e32 v58, v58, v10
	v_lshlrev_b32_e32 v11, 29, v57
	v_mov_b32_e32 v10, v9
	v_cmp_gt_i64_e64 s[46:47], 0, v[10:11]
	v_not_b32_e32 v10, v11
	v_ashrrev_i32_e32 v10, 31, v10
	v_xor_b32_e32 v11, s47, v10
	v_xor_b32_e32 v10, s46, v10
	v_and_b32_e32 v8, v8, v11
	v_and_b32_e32 v58, v58, v10
	v_lshlrev_b32_e32 v11, 28, v57
	v_mov_b32_e32 v10, v9
	v_cmp_gt_i64_e64 s[46:47], 0, v[10:11]
	v_not_b32_e32 v10, v11
	v_ashrrev_i32_e32 v10, 31, v10
	;; [unrolled: 9-line block ×3, first 2 shown]
	v_xor_b32_e32 v11, s47, v10
	v_xor_b32_e32 v10, s46, v10
	v_and_b32_e32 v8, v8, v11
	v_lshlrev_b32_e32 v11, 26, v57
	v_and_b32_e32 v58, v58, v10
	v_mov_b32_e32 v10, v9
	v_not_b32_e32 v9, v11
	v_cmp_gt_i64_e64 s[46:47], 0, v[10:11]
	v_ashrrev_i32_e32 v9, 31, v9
	; wave barrier
	s_nop 0
	v_xor_b32_e32 v10, s47, v9
	v_xor_b32_e32 v11, s46, v9
	ds_read_b32 v55, v56 offset:32
	v_and_b32_e32 v9, v8, v10
	v_and_b32_e32 v8, v58, v11
	v_mbcnt_lo_u32_b32 v10, v8, 0
	v_mbcnt_hi_u32_b32 v57, v9, v10
	v_cmp_eq_u32_e64 s[46:47], 0, v57
	v_cmp_ne_u64_e64 s[48:49], 0, v[8:9]
	s_and_b64 s[46:47], s[48:49], s[46:47]
	; wave barrier
	s_and_saveexec_b64 s[4:5], s[46:47]
	s_cbranch_execz .LBB1688_61
; %bb.60:
	v_bcnt_u32_b32 v8, v8, 0
	v_bcnt_u32_b32 v8, v9, v8
	s_waitcnt lgkmcnt(0)
	v_add_u32_e32 v8, v55, v8
	ds_write_b32 v56, v8 offset:32
.LBB1688_61:
	s_or_b64 exec, exec, s[4:5]
	v_lshrrev_b32_sdwa v8, s8, v19 dst_sel:DWORD dst_unused:UNUSED_PAD src0_sel:DWORD src1_sel:WORD_0
	v_and_b32_e32 v60, s33, v8
	v_and_b32_e32 v8, 1, v60
	v_mov_b32_e32 v9, 0
	v_lshl_add_u64 v[10:11], v[8:9], 0, -1
	v_cmp_ne_u32_e64 s[46:47], 0, v8
	v_mad_u32_u24 v59, v60, 36, v44
	s_nop 0
	v_xor_b32_e32 v10, s46, v10
	v_xor_b32_e32 v8, s47, v11
	v_and_b32_e32 v61, exec_lo, v10
	v_lshlrev_b32_e32 v11, 30, v60
	v_mov_b32_e32 v10, v9
	v_cmp_gt_i64_e64 s[46:47], 0, v[10:11]
	v_not_b32_e32 v10, v11
	v_ashrrev_i32_e32 v10, 31, v10
	v_and_b32_e32 v8, exec_hi, v8
	v_xor_b32_e32 v11, s47, v10
	v_xor_b32_e32 v10, s46, v10
	v_and_b32_e32 v8, v8, v11
	v_and_b32_e32 v61, v61, v10
	v_lshlrev_b32_e32 v11, 29, v60
	v_mov_b32_e32 v10, v9
	v_cmp_gt_i64_e64 s[46:47], 0, v[10:11]
	v_not_b32_e32 v10, v11
	v_ashrrev_i32_e32 v10, 31, v10
	v_xor_b32_e32 v11, s47, v10
	v_xor_b32_e32 v10, s46, v10
	v_and_b32_e32 v8, v8, v11
	v_and_b32_e32 v61, v61, v10
	v_lshlrev_b32_e32 v11, 28, v60
	v_mov_b32_e32 v10, v9
	v_cmp_gt_i64_e64 s[46:47], 0, v[10:11]
	v_not_b32_e32 v10, v11
	v_ashrrev_i32_e32 v10, 31, v10
	;; [unrolled: 9-line block ×4, first 2 shown]
	v_xor_b32_e32 v11, s47, v10
	v_xor_b32_e32 v10, s46, v10
	; wave barrier
	ds_read_b32 v58, v59 offset:32
	v_and_b32_e32 v10, v61, v10
	v_and_b32_e32 v11, v8, v11
	v_mbcnt_lo_u32_b32 v8, v10, 0
	v_mbcnt_hi_u32_b32 v60, v11, v8
	v_cmp_eq_u32_e64 s[46:47], 0, v60
	v_cmp_ne_u64_e64 s[48:49], 0, v[10:11]
	s_and_b64 s[46:47], s[48:49], s[46:47]
	; wave barrier
	s_and_saveexec_b64 s[4:5], s[46:47]
	s_cbranch_execz .LBB1688_63
; %bb.62:
	v_bcnt_u32_b32 v8, v10, 0
	v_bcnt_u32_b32 v8, v11, v8
	s_waitcnt lgkmcnt(0)
	v_add_u32_e32 v8, v58, v8
	ds_write_b32 v59, v8 offset:32
.LBB1688_63:
	s_or_b64 exec, exec, s[4:5]
	v_lshrrev_b32_sdwa v8, s8, v18 dst_sel:DWORD dst_unused:UNUSED_PAD src0_sel:DWORD src1_sel:WORD_0
	v_and_b32_e32 v63, s33, v8
	v_and_b32_e32 v8, 1, v63
	v_lshl_add_u64 v[10:11], v[8:9], 0, -1
	v_cmp_ne_u32_e64 s[46:47], 0, v8
	v_mad_u32_u24 v62, v63, 36, v44
	s_nop 0
	v_xor_b32_e32 v10, s46, v10
	v_xor_b32_e32 v8, s47, v11
	v_and_b32_e32 v64, exec_lo, v10
	v_lshlrev_b32_e32 v11, 30, v63
	v_mov_b32_e32 v10, v9
	v_cmp_gt_i64_e64 s[46:47], 0, v[10:11]
	v_not_b32_e32 v10, v11
	v_ashrrev_i32_e32 v10, 31, v10
	v_and_b32_e32 v8, exec_hi, v8
	v_xor_b32_e32 v11, s47, v10
	v_xor_b32_e32 v10, s46, v10
	v_and_b32_e32 v8, v8, v11
	v_and_b32_e32 v64, v64, v10
	v_lshlrev_b32_e32 v11, 29, v63
	v_mov_b32_e32 v10, v9
	v_cmp_gt_i64_e64 s[46:47], 0, v[10:11]
	v_not_b32_e32 v10, v11
	v_ashrrev_i32_e32 v10, 31, v10
	v_xor_b32_e32 v11, s47, v10
	v_xor_b32_e32 v10, s46, v10
	v_and_b32_e32 v8, v8, v11
	v_and_b32_e32 v64, v64, v10
	v_lshlrev_b32_e32 v11, 28, v63
	v_mov_b32_e32 v10, v9
	v_cmp_gt_i64_e64 s[46:47], 0, v[10:11]
	v_not_b32_e32 v10, v11
	v_ashrrev_i32_e32 v10, 31, v10
	;; [unrolled: 9-line block ×3, first 2 shown]
	v_xor_b32_e32 v11, s47, v10
	v_xor_b32_e32 v10, s46, v10
	v_and_b32_e32 v8, v8, v11
	v_lshlrev_b32_e32 v11, 26, v63
	v_and_b32_e32 v64, v64, v10
	v_mov_b32_e32 v10, v9
	v_not_b32_e32 v9, v11
	v_cmp_gt_i64_e64 s[46:47], 0, v[10:11]
	v_ashrrev_i32_e32 v9, 31, v9
	; wave barrier
	s_nop 0
	v_xor_b32_e32 v10, s47, v9
	v_xor_b32_e32 v11, s46, v9
	ds_read_b32 v61, v62 offset:32
	v_and_b32_e32 v9, v8, v10
	v_and_b32_e32 v8, v64, v11
	v_mbcnt_lo_u32_b32 v10, v8, 0
	v_mbcnt_hi_u32_b32 v63, v9, v10
	v_cmp_eq_u32_e64 s[46:47], 0, v63
	v_cmp_ne_u64_e64 s[48:49], 0, v[8:9]
	s_and_b64 s[46:47], s[48:49], s[46:47]
	; wave barrier
	s_and_saveexec_b64 s[4:5], s[46:47]
	s_cbranch_execz .LBB1688_65
; %bb.64:
	v_bcnt_u32_b32 v8, v8, 0
	v_bcnt_u32_b32 v8, v9, v8
	s_waitcnt lgkmcnt(0)
	v_add_u32_e32 v8, v61, v8
	ds_write_b32 v62, v8 offset:32
.LBB1688_65:
	s_or_b64 exec, exec, s[4:5]
	v_lshrrev_b32_sdwa v8, s8, v22 dst_sel:DWORD dst_unused:UNUSED_PAD src0_sel:DWORD src1_sel:WORD_0
	v_and_b32_e32 v66, s33, v8
	v_and_b32_e32 v8, 1, v66
	v_mov_b32_e32 v9, 0
	v_lshl_add_u64 v[10:11], v[8:9], 0, -1
	v_cmp_ne_u32_e64 s[46:47], 0, v8
	v_mad_u32_u24 v65, v66, 36, v44
	s_nop 0
	v_xor_b32_e32 v10, s46, v10
	v_xor_b32_e32 v8, s47, v11
	v_and_b32_e32 v67, exec_lo, v10
	v_lshlrev_b32_e32 v11, 30, v66
	v_mov_b32_e32 v10, v9
	v_cmp_gt_i64_e64 s[46:47], 0, v[10:11]
	v_not_b32_e32 v10, v11
	v_ashrrev_i32_e32 v10, 31, v10
	v_and_b32_e32 v8, exec_hi, v8
	v_xor_b32_e32 v11, s47, v10
	v_xor_b32_e32 v10, s46, v10
	v_and_b32_e32 v8, v8, v11
	v_and_b32_e32 v67, v67, v10
	v_lshlrev_b32_e32 v11, 29, v66
	v_mov_b32_e32 v10, v9
	v_cmp_gt_i64_e64 s[46:47], 0, v[10:11]
	v_not_b32_e32 v10, v11
	v_ashrrev_i32_e32 v10, 31, v10
	v_xor_b32_e32 v11, s47, v10
	v_xor_b32_e32 v10, s46, v10
	v_and_b32_e32 v8, v8, v11
	v_and_b32_e32 v67, v67, v10
	v_lshlrev_b32_e32 v11, 28, v66
	v_mov_b32_e32 v10, v9
	v_cmp_gt_i64_e64 s[46:47], 0, v[10:11]
	v_not_b32_e32 v10, v11
	v_ashrrev_i32_e32 v10, 31, v10
	;; [unrolled: 9-line block ×4, first 2 shown]
	v_xor_b32_e32 v11, s47, v10
	v_xor_b32_e32 v10, s46, v10
	; wave barrier
	ds_read_b32 v64, v65 offset:32
	v_and_b32_e32 v10, v67, v10
	v_and_b32_e32 v11, v8, v11
	v_mbcnt_lo_u32_b32 v8, v10, 0
	v_mbcnt_hi_u32_b32 v66, v11, v8
	v_cmp_eq_u32_e64 s[46:47], 0, v66
	v_cmp_ne_u64_e64 s[48:49], 0, v[10:11]
	s_and_b64 s[46:47], s[48:49], s[46:47]
	; wave barrier
	s_and_saveexec_b64 s[4:5], s[46:47]
	s_cbranch_execz .LBB1688_67
; %bb.66:
	v_bcnt_u32_b32 v8, v10, 0
	v_bcnt_u32_b32 v8, v11, v8
	s_waitcnt lgkmcnt(0)
	v_add_u32_e32 v8, v64, v8
	ds_write_b32 v65, v8 offset:32
.LBB1688_67:
	s_or_b64 exec, exec, s[4:5]
	v_lshrrev_b32_sdwa v8, s8, v20 dst_sel:DWORD dst_unused:UNUSED_PAD src0_sel:DWORD src1_sel:WORD_0
	v_and_b32_e32 v69, s33, v8
	v_and_b32_e32 v8, 1, v69
	v_lshl_add_u64 v[10:11], v[8:9], 0, -1
	v_cmp_ne_u32_e64 s[46:47], 0, v8
	v_mad_u32_u24 v68, v69, 36, v44
	s_nop 0
	v_xor_b32_e32 v10, s46, v10
	v_xor_b32_e32 v8, s47, v11
	v_and_b32_e32 v70, exec_lo, v10
	v_lshlrev_b32_e32 v11, 30, v69
	v_mov_b32_e32 v10, v9
	v_cmp_gt_i64_e64 s[46:47], 0, v[10:11]
	v_not_b32_e32 v10, v11
	v_ashrrev_i32_e32 v10, 31, v10
	v_and_b32_e32 v8, exec_hi, v8
	v_xor_b32_e32 v11, s47, v10
	v_xor_b32_e32 v10, s46, v10
	v_and_b32_e32 v8, v8, v11
	v_and_b32_e32 v70, v70, v10
	v_lshlrev_b32_e32 v11, 29, v69
	v_mov_b32_e32 v10, v9
	v_cmp_gt_i64_e64 s[46:47], 0, v[10:11]
	v_not_b32_e32 v10, v11
	v_ashrrev_i32_e32 v10, 31, v10
	v_xor_b32_e32 v11, s47, v10
	v_xor_b32_e32 v10, s46, v10
	v_and_b32_e32 v8, v8, v11
	v_and_b32_e32 v70, v70, v10
	v_lshlrev_b32_e32 v11, 28, v69
	v_mov_b32_e32 v10, v9
	v_cmp_gt_i64_e64 s[46:47], 0, v[10:11]
	v_not_b32_e32 v10, v11
	v_ashrrev_i32_e32 v10, 31, v10
	;; [unrolled: 9-line block ×3, first 2 shown]
	v_xor_b32_e32 v11, s47, v10
	v_xor_b32_e32 v10, s46, v10
	v_and_b32_e32 v8, v8, v11
	v_lshlrev_b32_e32 v11, 26, v69
	v_and_b32_e32 v70, v70, v10
	v_mov_b32_e32 v10, v9
	v_not_b32_e32 v9, v11
	v_cmp_gt_i64_e64 s[46:47], 0, v[10:11]
	v_ashrrev_i32_e32 v9, 31, v9
	; wave barrier
	s_nop 0
	v_xor_b32_e32 v10, s47, v9
	v_xor_b32_e32 v11, s46, v9
	ds_read_b32 v67, v68 offset:32
	v_and_b32_e32 v9, v8, v10
	v_and_b32_e32 v8, v70, v11
	v_mbcnt_lo_u32_b32 v10, v8, 0
	v_mbcnt_hi_u32_b32 v69, v9, v10
	v_cmp_eq_u32_e64 s[46:47], 0, v69
	v_cmp_ne_u64_e64 s[48:49], 0, v[8:9]
	s_and_b64 s[46:47], s[48:49], s[46:47]
	; wave barrier
	s_and_saveexec_b64 s[4:5], s[46:47]
	s_cbranch_execz .LBB1688_69
; %bb.68:
	v_bcnt_u32_b32 v8, v8, 0
	v_bcnt_u32_b32 v8, v9, v8
	s_waitcnt lgkmcnt(0)
	v_add_u32_e32 v8, v67, v8
	ds_write_b32 v68, v8 offset:32
.LBB1688_69:
	s_or_b64 exec, exec, s[4:5]
	v_lshrrev_b32_sdwa v8, s8, v24 dst_sel:DWORD dst_unused:UNUSED_PAD src0_sel:DWORD src1_sel:WORD_0
	v_and_b32_e32 v72, s33, v8
	v_and_b32_e32 v8, 1, v72
	v_mov_b32_e32 v9, 0
	v_lshl_add_u64 v[10:11], v[8:9], 0, -1
	v_cmp_ne_u32_e64 s[46:47], 0, v8
	v_mad_u32_u24 v71, v72, 36, v44
	s_nop 0
	v_xor_b32_e32 v10, s46, v10
	v_xor_b32_e32 v8, s47, v11
	v_and_b32_e32 v73, exec_lo, v10
	v_lshlrev_b32_e32 v11, 30, v72
	v_mov_b32_e32 v10, v9
	v_cmp_gt_i64_e64 s[46:47], 0, v[10:11]
	v_not_b32_e32 v10, v11
	v_ashrrev_i32_e32 v10, 31, v10
	v_and_b32_e32 v8, exec_hi, v8
	v_xor_b32_e32 v11, s47, v10
	v_xor_b32_e32 v10, s46, v10
	v_and_b32_e32 v8, v8, v11
	v_and_b32_e32 v73, v73, v10
	v_lshlrev_b32_e32 v11, 29, v72
	v_mov_b32_e32 v10, v9
	v_cmp_gt_i64_e64 s[46:47], 0, v[10:11]
	v_not_b32_e32 v10, v11
	v_ashrrev_i32_e32 v10, 31, v10
	v_xor_b32_e32 v11, s47, v10
	v_xor_b32_e32 v10, s46, v10
	v_and_b32_e32 v8, v8, v11
	v_and_b32_e32 v73, v73, v10
	v_lshlrev_b32_e32 v11, 28, v72
	v_mov_b32_e32 v10, v9
	v_cmp_gt_i64_e64 s[46:47], 0, v[10:11]
	v_not_b32_e32 v10, v11
	v_ashrrev_i32_e32 v10, 31, v10
	;; [unrolled: 9-line block ×4, first 2 shown]
	v_xor_b32_e32 v11, s47, v10
	v_xor_b32_e32 v10, s46, v10
	; wave barrier
	ds_read_b32 v70, v71 offset:32
	v_and_b32_e32 v10, v73, v10
	v_and_b32_e32 v11, v8, v11
	v_mbcnt_lo_u32_b32 v8, v10, 0
	v_mbcnt_hi_u32_b32 v72, v11, v8
	v_cmp_eq_u32_e64 s[46:47], 0, v72
	v_cmp_ne_u64_e64 s[48:49], 0, v[10:11]
	s_and_b64 s[46:47], s[48:49], s[46:47]
	; wave barrier
	s_and_saveexec_b64 s[4:5], s[46:47]
	s_cbranch_execz .LBB1688_71
; %bb.70:
	v_bcnt_u32_b32 v8, v10, 0
	v_bcnt_u32_b32 v8, v11, v8
	s_waitcnt lgkmcnt(0)
	v_add_u32_e32 v8, v70, v8
	ds_write_b32 v71, v8 offset:32
.LBB1688_71:
	s_or_b64 exec, exec, s[4:5]
	v_lshrrev_b32_sdwa v8, s8, v23 dst_sel:DWORD dst_unused:UNUSED_PAD src0_sel:DWORD src1_sel:WORD_0
	v_and_b32_e32 v75, s33, v8
	v_and_b32_e32 v8, 1, v75
	v_lshl_add_u64 v[10:11], v[8:9], 0, -1
	v_cmp_ne_u32_e64 s[46:47], 0, v8
	v_mad_u32_u24 v74, v75, 36, v44
	s_nop 0
	v_xor_b32_e32 v10, s46, v10
	v_xor_b32_e32 v8, s47, v11
	v_and_b32_e32 v76, exec_lo, v10
	v_lshlrev_b32_e32 v11, 30, v75
	v_mov_b32_e32 v10, v9
	v_cmp_gt_i64_e64 s[46:47], 0, v[10:11]
	v_not_b32_e32 v10, v11
	v_ashrrev_i32_e32 v10, 31, v10
	v_and_b32_e32 v8, exec_hi, v8
	v_xor_b32_e32 v11, s47, v10
	v_xor_b32_e32 v10, s46, v10
	v_and_b32_e32 v8, v8, v11
	v_and_b32_e32 v76, v76, v10
	v_lshlrev_b32_e32 v11, 29, v75
	v_mov_b32_e32 v10, v9
	v_cmp_gt_i64_e64 s[46:47], 0, v[10:11]
	v_not_b32_e32 v10, v11
	v_ashrrev_i32_e32 v10, 31, v10
	v_xor_b32_e32 v11, s47, v10
	v_xor_b32_e32 v10, s46, v10
	v_and_b32_e32 v8, v8, v11
	v_and_b32_e32 v76, v76, v10
	v_lshlrev_b32_e32 v11, 28, v75
	v_mov_b32_e32 v10, v9
	v_cmp_gt_i64_e64 s[46:47], 0, v[10:11]
	v_not_b32_e32 v10, v11
	v_ashrrev_i32_e32 v10, 31, v10
	v_xor_b32_e32 v11, s47, v10
	v_xor_b32_e32 v10, s46, v10
	v_and_b32_e32 v8, v8, v11
	v_and_b32_e32 v76, v76, v10
	v_lshlrev_b32_e32 v11, 27, v75
	v_mov_b32_e32 v10, v9
	v_cmp_gt_i64_e64 s[46:47], 0, v[10:11]
	v_not_b32_e32 v10, v11
	v_ashrrev_i32_e32 v10, 31, v10
	v_xor_b32_e32 v11, s47, v10
	v_xor_b32_e32 v10, s46, v10
	v_and_b32_e32 v8, v8, v11
	v_lshlrev_b32_e32 v11, 26, v75
	v_and_b32_e32 v76, v76, v10
	v_mov_b32_e32 v10, v9
	v_not_b32_e32 v9, v11
	v_cmp_gt_i64_e64 s[46:47], 0, v[10:11]
	v_ashrrev_i32_e32 v9, 31, v9
	; wave barrier
	s_nop 0
	v_xor_b32_e32 v10, s47, v9
	v_xor_b32_e32 v11, s46, v9
	ds_read_b32 v73, v74 offset:32
	v_and_b32_e32 v9, v8, v10
	v_and_b32_e32 v8, v76, v11
	v_mbcnt_lo_u32_b32 v10, v8, 0
	v_mbcnt_hi_u32_b32 v75, v9, v10
	v_cmp_eq_u32_e64 s[46:47], 0, v75
	v_cmp_ne_u64_e64 s[48:49], 0, v[8:9]
	s_and_b64 s[46:47], s[48:49], s[46:47]
	; wave barrier
	s_and_saveexec_b64 s[4:5], s[46:47]
	s_cbranch_execz .LBB1688_73
; %bb.72:
	v_bcnt_u32_b32 v8, v8, 0
	v_bcnt_u32_b32 v8, v9, v8
	s_waitcnt lgkmcnt(0)
	v_add_u32_e32 v8, v73, v8
	ds_write_b32 v74, v8 offset:32
.LBB1688_73:
	s_or_b64 exec, exec, s[4:5]
	v_lshrrev_b32_sdwa v8, s8, v26 dst_sel:DWORD dst_unused:UNUSED_PAD src0_sel:DWORD src1_sel:WORD_0
	v_and_b32_e32 v78, s33, v8
	v_and_b32_e32 v8, 1, v78
	v_mov_b32_e32 v9, 0
	v_lshl_add_u64 v[10:11], v[8:9], 0, -1
	v_cmp_ne_u32_e64 s[46:47], 0, v8
	v_mad_u32_u24 v77, v78, 36, v44
	s_nop 0
	v_xor_b32_e32 v10, s46, v10
	v_xor_b32_e32 v8, s47, v11
	v_and_b32_e32 v79, exec_lo, v10
	v_lshlrev_b32_e32 v11, 30, v78
	v_mov_b32_e32 v10, v9
	v_cmp_gt_i64_e64 s[46:47], 0, v[10:11]
	v_not_b32_e32 v10, v11
	v_ashrrev_i32_e32 v10, 31, v10
	v_and_b32_e32 v8, exec_hi, v8
	v_xor_b32_e32 v11, s47, v10
	v_xor_b32_e32 v10, s46, v10
	v_and_b32_e32 v8, v8, v11
	v_and_b32_e32 v79, v79, v10
	v_lshlrev_b32_e32 v11, 29, v78
	v_mov_b32_e32 v10, v9
	v_cmp_gt_i64_e64 s[46:47], 0, v[10:11]
	v_not_b32_e32 v10, v11
	v_ashrrev_i32_e32 v10, 31, v10
	v_xor_b32_e32 v11, s47, v10
	v_xor_b32_e32 v10, s46, v10
	v_and_b32_e32 v8, v8, v11
	v_and_b32_e32 v79, v79, v10
	v_lshlrev_b32_e32 v11, 28, v78
	v_mov_b32_e32 v10, v9
	v_cmp_gt_i64_e64 s[46:47], 0, v[10:11]
	v_not_b32_e32 v10, v11
	v_ashrrev_i32_e32 v10, 31, v10
	;; [unrolled: 9-line block ×4, first 2 shown]
	v_xor_b32_e32 v11, s47, v10
	v_xor_b32_e32 v10, s46, v10
	; wave barrier
	ds_read_b32 v76, v77 offset:32
	v_and_b32_e32 v10, v79, v10
	v_and_b32_e32 v11, v8, v11
	v_mbcnt_lo_u32_b32 v8, v10, 0
	v_mbcnt_hi_u32_b32 v78, v11, v8
	v_cmp_eq_u32_e64 s[46:47], 0, v78
	v_cmp_ne_u64_e64 s[48:49], 0, v[10:11]
	s_and_b64 s[46:47], s[48:49], s[46:47]
	; wave barrier
	s_and_saveexec_b64 s[4:5], s[46:47]
	s_cbranch_execz .LBB1688_75
; %bb.74:
	v_bcnt_u32_b32 v8, v10, 0
	v_bcnt_u32_b32 v8, v11, v8
	s_waitcnt lgkmcnt(0)
	v_add_u32_e32 v8, v76, v8
	ds_write_b32 v77, v8 offset:32
.LBB1688_75:
	s_or_b64 exec, exec, s[4:5]
	v_lshrrev_b32_sdwa v8, s8, v25 dst_sel:DWORD dst_unused:UNUSED_PAD src0_sel:DWORD src1_sel:WORD_0
	v_and_b32_e32 v81, s33, v8
	v_and_b32_e32 v8, 1, v81
	v_lshl_add_u64 v[10:11], v[8:9], 0, -1
	v_cmp_ne_u32_e64 s[46:47], 0, v8
	v_mad_u32_u24 v80, v81, 36, v44
	s_nop 0
	v_xor_b32_e32 v10, s46, v10
	v_xor_b32_e32 v8, s47, v11
	v_and_b32_e32 v82, exec_lo, v10
	v_lshlrev_b32_e32 v11, 30, v81
	v_mov_b32_e32 v10, v9
	v_cmp_gt_i64_e64 s[46:47], 0, v[10:11]
	v_not_b32_e32 v10, v11
	v_ashrrev_i32_e32 v10, 31, v10
	v_and_b32_e32 v8, exec_hi, v8
	v_xor_b32_e32 v11, s47, v10
	v_xor_b32_e32 v10, s46, v10
	v_and_b32_e32 v8, v8, v11
	v_and_b32_e32 v82, v82, v10
	v_lshlrev_b32_e32 v11, 29, v81
	v_mov_b32_e32 v10, v9
	v_cmp_gt_i64_e64 s[46:47], 0, v[10:11]
	v_not_b32_e32 v10, v11
	v_ashrrev_i32_e32 v10, 31, v10
	v_xor_b32_e32 v11, s47, v10
	v_xor_b32_e32 v10, s46, v10
	v_and_b32_e32 v8, v8, v11
	v_and_b32_e32 v82, v82, v10
	v_lshlrev_b32_e32 v11, 28, v81
	v_mov_b32_e32 v10, v9
	v_cmp_gt_i64_e64 s[46:47], 0, v[10:11]
	v_not_b32_e32 v10, v11
	v_ashrrev_i32_e32 v10, 31, v10
	;; [unrolled: 9-line block ×3, first 2 shown]
	v_xor_b32_e32 v11, s47, v10
	v_xor_b32_e32 v10, s46, v10
	v_and_b32_e32 v8, v8, v11
	v_lshlrev_b32_e32 v11, 26, v81
	v_and_b32_e32 v82, v82, v10
	v_mov_b32_e32 v10, v9
	v_not_b32_e32 v9, v11
	v_cmp_gt_i64_e64 s[46:47], 0, v[10:11]
	v_ashrrev_i32_e32 v9, 31, v9
	; wave barrier
	s_nop 0
	v_xor_b32_e32 v10, s47, v9
	v_xor_b32_e32 v11, s46, v9
	ds_read_b32 v79, v80 offset:32
	v_and_b32_e32 v9, v8, v10
	v_and_b32_e32 v8, v82, v11
	v_mbcnt_lo_u32_b32 v10, v8, 0
	v_mbcnt_hi_u32_b32 v81, v9, v10
	v_cmp_eq_u32_e64 s[46:47], 0, v81
	v_cmp_ne_u64_e64 s[48:49], 0, v[8:9]
	s_and_b64 s[46:47], s[48:49], s[46:47]
	; wave barrier
	s_and_saveexec_b64 s[4:5], s[46:47]
	s_cbranch_execz .LBB1688_77
; %bb.76:
	v_bcnt_u32_b32 v8, v8, 0
	v_bcnt_u32_b32 v8, v9, v8
	s_waitcnt lgkmcnt(0)
	v_add_u32_e32 v8, v79, v8
	ds_write_b32 v80, v8 offset:32
.LBB1688_77:
	s_or_b64 exec, exec, s[4:5]
	v_lshrrev_b32_sdwa v8, s8, v28 dst_sel:DWORD dst_unused:UNUSED_PAD src0_sel:DWORD src1_sel:WORD_0
	v_and_b32_e32 v84, s33, v8
	v_and_b32_e32 v8, 1, v84
	v_mov_b32_e32 v9, 0
	v_lshl_add_u64 v[10:11], v[8:9], 0, -1
	v_cmp_ne_u32_e64 s[46:47], 0, v8
	v_mad_u32_u24 v83, v84, 36, v44
	s_nop 0
	v_xor_b32_e32 v10, s46, v10
	v_xor_b32_e32 v8, s47, v11
	v_and_b32_e32 v85, exec_lo, v10
	v_lshlrev_b32_e32 v11, 30, v84
	v_mov_b32_e32 v10, v9
	v_cmp_gt_i64_e64 s[46:47], 0, v[10:11]
	v_not_b32_e32 v10, v11
	v_ashrrev_i32_e32 v10, 31, v10
	v_and_b32_e32 v8, exec_hi, v8
	v_xor_b32_e32 v11, s47, v10
	v_xor_b32_e32 v10, s46, v10
	v_and_b32_e32 v8, v8, v11
	v_and_b32_e32 v85, v85, v10
	v_lshlrev_b32_e32 v11, 29, v84
	v_mov_b32_e32 v10, v9
	v_cmp_gt_i64_e64 s[46:47], 0, v[10:11]
	v_not_b32_e32 v10, v11
	v_ashrrev_i32_e32 v10, 31, v10
	v_xor_b32_e32 v11, s47, v10
	v_xor_b32_e32 v10, s46, v10
	v_and_b32_e32 v8, v8, v11
	v_and_b32_e32 v85, v85, v10
	v_lshlrev_b32_e32 v11, 28, v84
	v_mov_b32_e32 v10, v9
	v_cmp_gt_i64_e64 s[46:47], 0, v[10:11]
	v_not_b32_e32 v10, v11
	v_ashrrev_i32_e32 v10, 31, v10
	;; [unrolled: 9-line block ×4, first 2 shown]
	v_xor_b32_e32 v11, s47, v10
	v_xor_b32_e32 v10, s46, v10
	; wave barrier
	ds_read_b32 v82, v83 offset:32
	v_and_b32_e32 v10, v85, v10
	v_and_b32_e32 v11, v8, v11
	v_mbcnt_lo_u32_b32 v8, v10, 0
	v_mbcnt_hi_u32_b32 v84, v11, v8
	v_cmp_eq_u32_e64 s[46:47], 0, v84
	v_cmp_ne_u64_e64 s[48:49], 0, v[10:11]
	s_and_b64 s[46:47], s[48:49], s[46:47]
	; wave barrier
	s_and_saveexec_b64 s[4:5], s[46:47]
	s_cbranch_execz .LBB1688_79
; %bb.78:
	v_bcnt_u32_b32 v8, v10, 0
	v_bcnt_u32_b32 v8, v11, v8
	s_waitcnt lgkmcnt(0)
	v_add_u32_e32 v8, v82, v8
	ds_write_b32 v83, v8 offset:32
.LBB1688_79:
	s_or_b64 exec, exec, s[4:5]
	v_lshrrev_b32_sdwa v8, s8, v27 dst_sel:DWORD dst_unused:UNUSED_PAD src0_sel:DWORD src1_sel:WORD_0
	v_and_b32_e32 v87, s33, v8
	v_and_b32_e32 v8, 1, v87
	v_lshl_add_u64 v[10:11], v[8:9], 0, -1
	v_cmp_ne_u32_e64 s[46:47], 0, v8
	v_mad_u32_u24 v86, v87, 36, v44
	s_nop 0
	v_xor_b32_e32 v10, s46, v10
	v_xor_b32_e32 v8, s47, v11
	v_and_b32_e32 v88, exec_lo, v10
	v_lshlrev_b32_e32 v11, 30, v87
	v_mov_b32_e32 v10, v9
	v_cmp_gt_i64_e64 s[46:47], 0, v[10:11]
	v_not_b32_e32 v10, v11
	v_ashrrev_i32_e32 v10, 31, v10
	v_and_b32_e32 v8, exec_hi, v8
	v_xor_b32_e32 v11, s47, v10
	v_xor_b32_e32 v10, s46, v10
	v_and_b32_e32 v8, v8, v11
	v_and_b32_e32 v88, v88, v10
	v_lshlrev_b32_e32 v11, 29, v87
	v_mov_b32_e32 v10, v9
	v_cmp_gt_i64_e64 s[46:47], 0, v[10:11]
	v_not_b32_e32 v10, v11
	v_ashrrev_i32_e32 v10, 31, v10
	v_xor_b32_e32 v11, s47, v10
	v_xor_b32_e32 v10, s46, v10
	v_and_b32_e32 v8, v8, v11
	v_and_b32_e32 v88, v88, v10
	v_lshlrev_b32_e32 v11, 28, v87
	v_mov_b32_e32 v10, v9
	v_cmp_gt_i64_e64 s[46:47], 0, v[10:11]
	v_not_b32_e32 v10, v11
	v_ashrrev_i32_e32 v10, 31, v10
	;; [unrolled: 9-line block ×3, first 2 shown]
	v_xor_b32_e32 v11, s47, v10
	v_xor_b32_e32 v10, s46, v10
	v_and_b32_e32 v8, v8, v11
	v_lshlrev_b32_e32 v11, 26, v87
	v_and_b32_e32 v88, v88, v10
	v_mov_b32_e32 v10, v9
	v_not_b32_e32 v9, v11
	v_cmp_gt_i64_e64 s[46:47], 0, v[10:11]
	v_ashrrev_i32_e32 v9, 31, v9
	; wave barrier
	s_nop 0
	v_xor_b32_e32 v10, s47, v9
	v_xor_b32_e32 v11, s46, v9
	ds_read_b32 v85, v86 offset:32
	v_and_b32_e32 v9, v8, v10
	v_and_b32_e32 v8, v88, v11
	v_mbcnt_lo_u32_b32 v10, v8, 0
	v_mbcnt_hi_u32_b32 v87, v9, v10
	v_cmp_eq_u32_e64 s[46:47], 0, v87
	v_cmp_ne_u64_e64 s[48:49], 0, v[8:9]
	s_and_b64 s[46:47], s[48:49], s[46:47]
	; wave barrier
	s_and_saveexec_b64 s[4:5], s[46:47]
	s_cbranch_execz .LBB1688_81
; %bb.80:
	v_bcnt_u32_b32 v8, v8, 0
	v_bcnt_u32_b32 v8, v9, v8
	s_waitcnt lgkmcnt(0)
	v_add_u32_e32 v8, v85, v8
	ds_write_b32 v86, v8 offset:32
.LBB1688_81:
	s_or_b64 exec, exec, s[4:5]
	v_lshrrev_b32_sdwa v8, s8, v30 dst_sel:DWORD dst_unused:UNUSED_PAD src0_sel:DWORD src1_sel:WORD_0
	v_and_b32_e32 v90, s33, v8
	v_and_b32_e32 v8, 1, v90
	v_mov_b32_e32 v9, 0
	v_lshl_add_u64 v[10:11], v[8:9], 0, -1
	v_cmp_ne_u32_e64 s[46:47], 0, v8
	v_mad_u32_u24 v89, v90, 36, v44
	s_nop 0
	v_xor_b32_e32 v10, s46, v10
	v_xor_b32_e32 v8, s47, v11
	v_and_b32_e32 v91, exec_lo, v10
	v_lshlrev_b32_e32 v11, 30, v90
	v_mov_b32_e32 v10, v9
	v_cmp_gt_i64_e64 s[46:47], 0, v[10:11]
	v_not_b32_e32 v10, v11
	v_ashrrev_i32_e32 v10, 31, v10
	v_and_b32_e32 v8, exec_hi, v8
	v_xor_b32_e32 v11, s47, v10
	v_xor_b32_e32 v10, s46, v10
	v_and_b32_e32 v8, v8, v11
	v_and_b32_e32 v91, v91, v10
	v_lshlrev_b32_e32 v11, 29, v90
	v_mov_b32_e32 v10, v9
	v_cmp_gt_i64_e64 s[46:47], 0, v[10:11]
	v_not_b32_e32 v10, v11
	v_ashrrev_i32_e32 v10, 31, v10
	v_xor_b32_e32 v11, s47, v10
	v_xor_b32_e32 v10, s46, v10
	v_and_b32_e32 v8, v8, v11
	v_and_b32_e32 v91, v91, v10
	v_lshlrev_b32_e32 v11, 28, v90
	v_mov_b32_e32 v10, v9
	v_cmp_gt_i64_e64 s[46:47], 0, v[10:11]
	v_not_b32_e32 v10, v11
	v_ashrrev_i32_e32 v10, 31, v10
	;; [unrolled: 9-line block ×4, first 2 shown]
	v_xor_b32_e32 v11, s47, v10
	v_xor_b32_e32 v10, s46, v10
	; wave barrier
	ds_read_b32 v88, v89 offset:32
	v_and_b32_e32 v10, v91, v10
	v_and_b32_e32 v11, v8, v11
	v_mbcnt_lo_u32_b32 v8, v10, 0
	v_mbcnt_hi_u32_b32 v90, v11, v8
	v_cmp_eq_u32_e64 s[46:47], 0, v90
	v_cmp_ne_u64_e64 s[48:49], 0, v[10:11]
	s_and_b64 s[46:47], s[48:49], s[46:47]
	; wave barrier
	s_and_saveexec_b64 s[4:5], s[46:47]
	s_cbranch_execz .LBB1688_83
; %bb.82:
	v_bcnt_u32_b32 v8, v10, 0
	v_bcnt_u32_b32 v8, v11, v8
	s_waitcnt lgkmcnt(0)
	v_add_u32_e32 v8, v88, v8
	ds_write_b32 v89, v8 offset:32
.LBB1688_83:
	s_or_b64 exec, exec, s[4:5]
	v_lshrrev_b32_sdwa v8, s8, v29 dst_sel:DWORD dst_unused:UNUSED_PAD src0_sel:DWORD src1_sel:WORD_0
	v_and_b32_e32 v93, s33, v8
	v_and_b32_e32 v8, 1, v93
	v_lshl_add_u64 v[10:11], v[8:9], 0, -1
	v_cmp_ne_u32_e64 s[46:47], 0, v8
	v_mad_u32_u24 v92, v93, 36, v44
	s_nop 0
	v_xor_b32_e32 v10, s46, v10
	v_xor_b32_e32 v8, s47, v11
	v_and_b32_e32 v94, exec_lo, v10
	v_lshlrev_b32_e32 v11, 30, v93
	v_mov_b32_e32 v10, v9
	v_cmp_gt_i64_e64 s[46:47], 0, v[10:11]
	v_not_b32_e32 v10, v11
	v_ashrrev_i32_e32 v10, 31, v10
	v_and_b32_e32 v8, exec_hi, v8
	v_xor_b32_e32 v11, s47, v10
	v_xor_b32_e32 v10, s46, v10
	v_and_b32_e32 v8, v8, v11
	v_and_b32_e32 v94, v94, v10
	v_lshlrev_b32_e32 v11, 29, v93
	v_mov_b32_e32 v10, v9
	v_cmp_gt_i64_e64 s[46:47], 0, v[10:11]
	v_not_b32_e32 v10, v11
	v_ashrrev_i32_e32 v10, 31, v10
	v_xor_b32_e32 v11, s47, v10
	v_xor_b32_e32 v10, s46, v10
	v_and_b32_e32 v8, v8, v11
	v_and_b32_e32 v94, v94, v10
	v_lshlrev_b32_e32 v11, 28, v93
	v_mov_b32_e32 v10, v9
	v_cmp_gt_i64_e64 s[46:47], 0, v[10:11]
	v_not_b32_e32 v10, v11
	v_ashrrev_i32_e32 v10, 31, v10
	;; [unrolled: 9-line block ×3, first 2 shown]
	v_xor_b32_e32 v11, s47, v10
	v_xor_b32_e32 v10, s46, v10
	v_and_b32_e32 v8, v8, v11
	v_lshlrev_b32_e32 v11, 26, v93
	v_and_b32_e32 v94, v94, v10
	v_mov_b32_e32 v10, v9
	v_not_b32_e32 v9, v11
	v_cmp_gt_i64_e64 s[46:47], 0, v[10:11]
	v_ashrrev_i32_e32 v9, 31, v9
	; wave barrier
	s_nop 0
	v_xor_b32_e32 v10, s47, v9
	v_xor_b32_e32 v11, s46, v9
	ds_read_b32 v91, v92 offset:32
	v_and_b32_e32 v9, v8, v10
	v_and_b32_e32 v8, v94, v11
	v_mbcnt_lo_u32_b32 v10, v8, 0
	v_mbcnt_hi_u32_b32 v93, v9, v10
	v_cmp_eq_u32_e64 s[46:47], 0, v93
	v_cmp_ne_u64_e64 s[48:49], 0, v[8:9]
	s_and_b64 s[46:47], s[48:49], s[46:47]
	; wave barrier
	s_and_saveexec_b64 s[4:5], s[46:47]
	s_cbranch_execz .LBB1688_85
; %bb.84:
	v_bcnt_u32_b32 v8, v8, 0
	v_bcnt_u32_b32 v8, v9, v8
	s_waitcnt lgkmcnt(0)
	v_add_u32_e32 v8, v91, v8
	ds_write_b32 v92, v8 offset:32
.LBB1688_85:
	s_or_b64 exec, exec, s[4:5]
	v_lshrrev_b32_sdwa v8, s8, v32 dst_sel:DWORD dst_unused:UNUSED_PAD src0_sel:DWORD src1_sel:WORD_0
	v_and_b32_e32 v96, s33, v8
	v_and_b32_e32 v8, 1, v96
	v_mov_b32_e32 v9, 0
	v_lshl_add_u64 v[10:11], v[8:9], 0, -1
	v_cmp_ne_u32_e64 s[46:47], 0, v8
	v_mad_u32_u24 v95, v96, 36, v44
	s_nop 0
	v_xor_b32_e32 v10, s46, v10
	v_xor_b32_e32 v8, s47, v11
	v_and_b32_e32 v97, exec_lo, v10
	v_lshlrev_b32_e32 v11, 30, v96
	v_mov_b32_e32 v10, v9
	v_cmp_gt_i64_e64 s[46:47], 0, v[10:11]
	v_not_b32_e32 v10, v11
	v_ashrrev_i32_e32 v10, 31, v10
	v_and_b32_e32 v8, exec_hi, v8
	v_xor_b32_e32 v11, s47, v10
	v_xor_b32_e32 v10, s46, v10
	v_and_b32_e32 v8, v8, v11
	v_and_b32_e32 v97, v97, v10
	v_lshlrev_b32_e32 v11, 29, v96
	v_mov_b32_e32 v10, v9
	v_cmp_gt_i64_e64 s[46:47], 0, v[10:11]
	v_not_b32_e32 v10, v11
	v_ashrrev_i32_e32 v10, 31, v10
	v_xor_b32_e32 v11, s47, v10
	v_xor_b32_e32 v10, s46, v10
	v_and_b32_e32 v8, v8, v11
	v_and_b32_e32 v97, v97, v10
	v_lshlrev_b32_e32 v11, 28, v96
	v_mov_b32_e32 v10, v9
	v_cmp_gt_i64_e64 s[46:47], 0, v[10:11]
	v_not_b32_e32 v10, v11
	v_ashrrev_i32_e32 v10, 31, v10
	;; [unrolled: 9-line block ×4, first 2 shown]
	v_xor_b32_e32 v11, s47, v10
	v_xor_b32_e32 v10, s46, v10
	; wave barrier
	ds_read_b32 v94, v95 offset:32
	v_and_b32_e32 v10, v97, v10
	v_and_b32_e32 v11, v8, v11
	v_mbcnt_lo_u32_b32 v8, v10, 0
	v_mbcnt_hi_u32_b32 v96, v11, v8
	v_cmp_eq_u32_e64 s[46:47], 0, v96
	v_cmp_ne_u64_e64 s[48:49], 0, v[10:11]
	s_and_b64 s[46:47], s[48:49], s[46:47]
	; wave barrier
	s_and_saveexec_b64 s[4:5], s[46:47]
	s_cbranch_execz .LBB1688_87
; %bb.86:
	v_bcnt_u32_b32 v8, v10, 0
	v_bcnt_u32_b32 v8, v11, v8
	s_waitcnt lgkmcnt(0)
	v_add_u32_e32 v8, v94, v8
	ds_write_b32 v95, v8 offset:32
.LBB1688_87:
	s_or_b64 exec, exec, s[4:5]
	v_lshrrev_b32_sdwa v8, s8, v31 dst_sel:DWORD dst_unused:UNUSED_PAD src0_sel:DWORD src1_sel:WORD_0
	v_and_b32_e32 v97, s33, v8
	v_and_b32_e32 v8, 1, v97
	v_lshl_add_u64 v[98:99], v[8:9], 0, -1
	v_cmp_ne_u32_e64 s[46:47], 0, v8
	v_mad_u32_u24 v11, v97, 36, v44
	s_nop 0
	v_xor_b32_e32 v8, s47, v99
	v_xor_b32_e32 v44, s46, v98
	v_lshlrev_b32_e32 v99, 30, v97
	v_mov_b32_e32 v98, v9
	v_cmp_gt_i64_e64 s[46:47], 0, v[98:99]
	v_not_b32_e32 v98, v99
	v_ashrrev_i32_e32 v98, 31, v98
	v_and_b32_e32 v8, exec_hi, v8
	v_and_b32_e32 v44, exec_lo, v44
	v_xor_b32_e32 v99, s47, v98
	v_xor_b32_e32 v98, s46, v98
	v_and_b32_e32 v8, v8, v99
	v_and_b32_e32 v44, v44, v98
	v_lshlrev_b32_e32 v99, 29, v97
	v_mov_b32_e32 v98, v9
	v_cmp_gt_i64_e64 s[46:47], 0, v[98:99]
	v_not_b32_e32 v98, v99
	v_ashrrev_i32_e32 v98, 31, v98
	v_xor_b32_e32 v99, s47, v98
	v_xor_b32_e32 v98, s46, v98
	v_and_b32_e32 v8, v8, v99
	v_and_b32_e32 v44, v44, v98
	v_lshlrev_b32_e32 v99, 28, v97
	v_mov_b32_e32 v98, v9
	v_cmp_gt_i64_e64 s[46:47], 0, v[98:99]
	v_not_b32_e32 v98, v99
	v_ashrrev_i32_e32 v98, 31, v98
	;; [unrolled: 9-line block ×3, first 2 shown]
	v_xor_b32_e32 v99, s47, v98
	v_xor_b32_e32 v98, s46, v98
	v_and_b32_e32 v8, v8, v99
	v_lshlrev_b32_e32 v99, 26, v97
	v_and_b32_e32 v44, v44, v98
	v_mov_b32_e32 v98, v9
	v_not_b32_e32 v9, v99
	v_cmp_gt_i64_e64 s[46:47], 0, v[98:99]
	v_ashrrev_i32_e32 v9, 31, v9
	; wave barrier
	s_nop 0
	v_xor_b32_e32 v97, s47, v9
	v_xor_b32_e32 v98, s46, v9
	ds_read_b32 v10, v11 offset:32
	v_and_b32_e32 v9, v8, v97
	v_and_b32_e32 v8, v44, v98
	v_mbcnt_lo_u32_b32 v44, v8, 0
	v_mbcnt_hi_u32_b32 v97, v9, v44
	v_cmp_eq_u32_e64 s[46:47], 0, v97
	v_cmp_ne_u64_e64 s[48:49], 0, v[8:9]
	s_and_b64 s[46:47], s[48:49], s[46:47]
	; wave barrier
	s_and_saveexec_b64 s[4:5], s[46:47]
	s_cbranch_execz .LBB1688_89
; %bb.88:
	v_bcnt_u32_b32 v8, v8, 0
	v_bcnt_u32_b32 v8, v9, v8
	s_waitcnt lgkmcnt(0)
	v_add_u32_e32 v8, v10, v8
	ds_write_b32 v11, v8 offset:32
.LBB1688_89:
	s_or_b64 exec, exec, s[4:5]
	; wave barrier
	s_waitcnt lgkmcnt(0)
	s_barrier
	ds_read_b64 v[8:9], v33 offset:32
	v_and_b32_e32 v44, 15, v15
	v_cmp_ne_u32_e64 s[46:47], 0, v44
	v_min_u32_e32 v21, 0x1c0, v21
	v_or_b32_e32 v21, 63, v21
	s_waitcnt lgkmcnt(0)
	v_add_u32_e32 v9, v9, v8
	s_nop 1
	v_mov_b32_dpp v98, v9 row_shr:1 row_mask:0xf bank_mask:0xf
	v_cndmask_b32_e64 v98, 0, v98, s[46:47]
	v_add_u32_e32 v9, v98, v9
	v_cmp_lt_u32_e64 s[46:47], 1, v44
	s_nop 0
	v_mov_b32_dpp v98, v9 row_shr:2 row_mask:0xf bank_mask:0xf
	v_cndmask_b32_e64 v98, 0, v98, s[46:47]
	v_add_u32_e32 v9, v9, v98
	v_cmp_lt_u32_e64 s[46:47], 3, v44
	;; [unrolled: 5-line block ×3, first 2 shown]
	s_nop 0
	v_mov_b32_dpp v98, v9 row_shr:8 row_mask:0xf bank_mask:0xf
	v_cndmask_b32_e64 v44, 0, v98, s[46:47]
	v_add_u32_e32 v9, v9, v44
	v_bfe_i32 v98, v15, 4, 1
	v_cmp_lt_u32_e64 s[46:47], 31, v15
	v_mov_b32_dpp v44, v9 row_bcast:15 row_mask:0xf bank_mask:0xf
	v_and_b32_e32 v44, v98, v44
	v_add_u32_e32 v9, v9, v44
	s_nop 1
	v_mov_b32_dpp v44, v9 row_bcast:31 row_mask:0xf bank_mask:0xf
	v_cndmask_b32_e64 v44, 0, v44, s[46:47]
	v_add_u32_e32 v9, v9, v44
	v_lshrrev_b32_e32 v44, 6, v2
	v_cmp_eq_u32_e64 s[46:47], v2, v21
	s_and_saveexec_b64 s[4:5], s[46:47]
; %bb.90:
	v_lshlrev_b32_e32 v21, 2, v44
	ds_write_b32 v21, v9
; %bb.91:
	s_or_b64 exec, exec, s[4:5]
	v_cmp_gt_u32_e64 s[46:47], 8, v2
	v_lshlrev_b32_e32 v21, 2, v2
	s_waitcnt lgkmcnt(0)
	s_barrier
	s_and_saveexec_b64 s[48:49], s[46:47]
	s_cbranch_execz .LBB1688_93
; %bb.92:
	ds_read_b32 v98, v21
	v_and_b32_e32 v99, 7, v15
	v_cmp_ne_u32_e64 s[46:47], 0, v99
	s_waitcnt lgkmcnt(0)
	v_mov_b32_dpp v100, v98 row_shr:1 row_mask:0xf bank_mask:0xf
	v_cndmask_b32_e64 v100, 0, v100, s[46:47]
	v_add_u32_e32 v98, v100, v98
	v_cmp_lt_u32_e64 s[46:47], 1, v99
	s_nop 0
	v_mov_b32_dpp v100, v98 row_shr:2 row_mask:0xf bank_mask:0xf
	v_cndmask_b32_e64 v100, 0, v100, s[46:47]
	v_add_u32_e32 v98, v98, v100
	v_cmp_lt_u32_e64 s[46:47], 3, v99
	s_nop 0
	v_mov_b32_dpp v100, v98 row_shr:4 row_mask:0xf bank_mask:0xf
	v_cndmask_b32_e64 v99, 0, v100, s[46:47]
	v_add_u32_e32 v98, v98, v99
	ds_write_b32 v21, v98
.LBB1688_93:
	s_or_b64 exec, exec, s[48:49]
	v_cmp_gt_u32_e64 s[48:49], 64, v2
	v_cmp_lt_u32_e64 s[46:47], 63, v2
	v_mov_b32_e32 v98, 0
	s_waitcnt lgkmcnt(0)
	s_barrier
	s_and_saveexec_b64 s[4:5], s[46:47]
; %bb.94:
	v_lshl_add_u32 v44, v44, 2, -4
	ds_read_b32 v98, v44
; %bb.95:
	s_or_b64 exec, exec, s[4:5]
	v_subrev_co_u32_e64 v44, s[50:51], 1, v15
	v_and_b32_e32 v99, 64, v15
	v_cmp_lt_i32_e64 s[52:53], v44, v99
	s_waitcnt lgkmcnt(0)
	v_add_u32_e32 v9, v98, v9
	v_cndmask_b32_e64 v15, v44, v15, s[52:53]
	v_lshlrev_b32_e32 v15, 2, v15
	ds_bpermute_b32 v9, v15, v9
                                        ; implicit-def: $vgpr15
	s_waitcnt lgkmcnt(0)
	v_cndmask_b32_e64 v9, v9, v98, s[50:51]
	v_cmp_ne_u32_e64 s[50:51], 0, v2
	s_nop 1
	v_cndmask_b32_e64 v98, 0, v9, s[50:51]
	v_add_u32_e32 v99, v98, v8
	ds_write_b64 v33, v[98:99] offset:32
	s_waitcnt lgkmcnt(0)
	s_barrier
	ds_read_b32 v8, v36 offset:32
	ds_read_b32 v9, v37 offset:32
	;; [unrolled: 1-line block ×22, first 2 shown]
                                        ; implicit-def: $vgpr33
	s_and_saveexec_b64 s[52:53], s[48:49]
	s_cbranch_execz .LBB1688_99
; %bb.96:
	v_mul_u32_u24_e32 v15, 36, v2
	ds_read_b32 v15, v15 offset:32
	v_add_u32_e32 v53, 1, v2
	v_cmp_ne_u32_e64 s[50:51], 64, v53
	v_mov_b32_e32 v33, 0x2c00
	s_and_saveexec_b64 s[4:5], s[50:51]
; %bb.97:
	v_mul_u32_u24_e32 v33, 36, v53
	ds_read_b32 v33, v33 offset:32
; %bb.98:
	s_or_b64 exec, exec, s[4:5]
	s_waitcnt lgkmcnt(0)
	v_sub_u32_e32 v33, v33, v15
.LBB1688_99:
	s_or_b64 exec, exec, s[52:53]
	s_waitcnt lgkmcnt(14)
	v_add_u32_e32 v71, v8, v34
	v_add3_u32 v68, v38, v35, v9
	v_add3_u32 v65, v41, v39, v36
	;; [unrolled: 1-line block ×7, first 2 shown]
	s_waitcnt lgkmcnt(13)
	v_add3_u32 v48, v60, v58, v50
	s_waitcnt lgkmcnt(12)
	v_add3_u32 v46, v63, v61, v98
	;; [unrolled: 2-line block ×6, first 2 shown]
	v_lshlrev_b32_e32 v74, 1, v71
	v_lshlrev_b32_e32 v69, 1, v68
	v_lshlrev_b32_e32 v66, 1, v65
	v_lshlrev_b32_e32 v61, 1, v62
	v_lshlrev_b32_e32 v60, 1, v59
	v_lshlrev_b32_e32 v58, 1, v56
	v_lshlrev_b32_e32 v57, 1, v53
	v_lshlrev_b32_e32 v55, 1, v51
	v_lshlrev_b32_e32 v54, 1, v48
	v_lshlrev_b32_e32 v52, 1, v46
	v_lshlrev_b32_e32 v50, 1, v45
	v_lshlrev_b32_e32 v49, 1, v44
	v_lshlrev_b32_e32 v47, 1, v43
	s_waitcnt lgkmcnt(7)
	v_add3_u32 v41, v78, v76, v77
	s_waitcnt lgkmcnt(6)
	v_add3_u32 v40, v81, v79, v80
	s_waitcnt lgkmcnt(5)
	v_add3_u32 v39, v84, v82, v83
	s_waitcnt lgkmcnt(4)
	v_add3_u32 v38, v87, v85, v86
	s_waitcnt lgkmcnt(3)
	v_add3_u32 v37, v90, v88, v89
	s_waitcnt lgkmcnt(2)
	v_add3_u32 v36, v93, v91, v92
	s_waitcnt lgkmcnt(1)
	v_add3_u32 v35, v96, v94, v95
	s_waitcnt lgkmcnt(0)
	v_add3_u32 v34, v97, v10, v11
	s_barrier
	ds_write_b16 v74, v5 offset:256
	ds_write_b16 v69, v3 offset:256
	;; [unrolled: 1-line block ×13, first 2 shown]
	v_lshlrev_b32_e32 v24, 1, v42
	ds_write_b16 v24, v23 offset:256
	v_lshlrev_b32_e32 v23, 1, v41
	v_lshlrev_b32_e32 v22, 1, v40
	;; [unrolled: 1-line block ×8, first 2 shown]
	v_mov_b32_e32 v9, 0
	ds_write_b16 v23, v26 offset:256
	ds_write_b16 v22, v25 offset:256
	;; [unrolled: 1-line block ×8, first 2 shown]
	s_and_saveexec_b64 s[50:51], s[48:49]
	s_cbranch_execz .LBB1688_109
; %bb.100:
	v_lshl_add_u32 v8, s2, 6, v2
	v_lshl_add_u64 v[10:11], v[8:9], 2, s[12:13]
	v_or_b32_e32 v3, 2.0, v33
	global_store_dword v[10:11], v3, off sc1
	s_mov_b64 s[52:53], 0
	s_brev_b32 s56, -4
	s_mov_b32 s57, s2
	v_mov_b32_e32 v3, 0
                                        ; implicit-def: $sgpr48_sgpr49
	s_branch .LBB1688_103
.LBB1688_101:                           ;   in Loop: Header=BB1688_103 Depth=1
	s_or_b64 exec, exec, s[4:5]
.LBB1688_102:                           ;   in Loop: Header=BB1688_103 Depth=1
	s_or_b64 exec, exec, s[54:55]
	v_and_b32_e32 v7, 0x3fffffff, v5
	v_add_u32_e32 v3, v7, v3
	v_cmp_gt_i32_e64 s[48:49], -2.0, v5
	s_and_b64 s[4:5], exec, s[48:49]
	s_or_b64 s[52:53], s[4:5], s[52:53]
	s_andn2_b64 exec, exec, s[52:53]
	s_cbranch_execz .LBB1688_108
.LBB1688_103:                           ; =>This Loop Header: Depth=1
                                        ;     Child Loop BB1688_106 Depth 2
	s_or_b64 s[48:49], s[48:49], exec
	s_cmp_eq_u32 s57, 0
	s_cbranch_scc1 .LBB1688_107
; %bb.104:                              ;   in Loop: Header=BB1688_103 Depth=1
	s_add_i32 s57, s57, -1
	v_lshl_or_b32 v8, s57, 6, v2
	v_lshl_add_u64 v[12:13], v[8:9], 2, s[12:13]
	global_load_dword v5, v[12:13], off sc1
	s_waitcnt vmcnt(0)
	v_cmp_gt_u32_e64 s[48:49], 2.0, v5
	s_and_saveexec_b64 s[54:55], s[48:49]
	s_cbranch_execz .LBB1688_102
; %bb.105:                              ;   in Loop: Header=BB1688_103 Depth=1
	s_mov_b64 s[4:5], 0
.LBB1688_106:                           ;   Parent Loop BB1688_103 Depth=1
                                        ; =>  This Inner Loop Header: Depth=2
	global_load_dword v5, v[12:13], off sc1
	s_waitcnt vmcnt(0)
	v_cmp_lt_u32_e64 s[48:49], s56, v5
	s_or_b64 s[4:5], s[48:49], s[4:5]
	s_andn2_b64 exec, exec, s[4:5]
	s_cbranch_execnz .LBB1688_106
	s_branch .LBB1688_101
.LBB1688_107:                           ;   in Loop: Header=BB1688_103 Depth=1
                                        ; implicit-def: $sgpr57
	s_and_b64 s[4:5], exec, s[48:49]
	s_or_b64 s[52:53], s[4:5], s[52:53]
	s_andn2_b64 exec, exec, s[52:53]
	s_cbranch_execnz .LBB1688_103
.LBB1688_108:
	s_or_b64 exec, exec, s[52:53]
	s_load_dwordx4 s[52:55], s[0:1], 0x28
	v_add_u32_e32 v5, v3, v33
	v_or_b32_e32 v5, 0x80000000, v5
	global_store_dword v[10:11], v5, off sc1
	v_sub_u32_e32 v3, v3, v15
	s_waitcnt lgkmcnt(0)
	global_load_dword v5, v21, s[52:53]
	s_waitcnt vmcnt(0)
	v_add_u32_e32 v3, v3, v5
	ds_write_b32 v21, v3
.LBB1688_109:
	s_or_b64 exec, exec, s[50:51]
	v_cmp_gt_u32_e64 s[48:49], s7, v2
	v_mov_b32_e32 v8, 0
	v_lshlrev_b32_e32 v3, 1, v2
	v_mov_b32_e32 v10, 0
	s_waitcnt lgkmcnt(0)
	s_barrier
	s_and_saveexec_b64 s[50:51], s[48:49]
	s_cbranch_execz .LBB1688_111
; %bb.110:
	v_sub_u32_e32 v5, v21, v3
	ds_read_u16 v5, v5 offset:256
	v_mov_b32_e32 v13, 0
	s_waitcnt lgkmcnt(0)
	v_lshrrev_b32_sdwa v7, s8, v5 dst_sel:DWORD dst_unused:UNUSED_PAD src0_sel:DWORD src1_sel:WORD_0
	v_and_b32_e32 v10, s33, v7
	v_lshlrev_b32_e32 v7, 2, v10
	ds_read_b32 v7, v7
	v_xor_b32_e32 v5, 0xffff8000, v5
	s_waitcnt lgkmcnt(0)
	v_add_u32_e32 v12, v7, v2
	v_lshl_add_u64 v[12:13], v[12:13], 1, s[94:95]
	global_store_short v[12:13], v5, off
.LBB1688_111:
	s_or_b64 exec, exec, s[50:51]
	v_add_u32_e32 v9, 0x200, v2
	v_cmp_gt_u32_e64 s[50:51], s7, v9
	s_and_saveexec_b64 s[52:53], s[50:51]
	s_cbranch_execz .LBB1688_113
; %bb.112:
	v_sub_u32_e32 v5, v21, v3
	ds_read_u16 v5, v5 offset:1280
	v_mov_b32_e32 v13, 0
	s_waitcnt lgkmcnt(0)
	v_lshrrev_b32_sdwa v7, s8, v5 dst_sel:DWORD dst_unused:UNUSED_PAD src0_sel:DWORD src1_sel:WORD_0
	v_and_b32_e32 v8, s33, v7
	v_lshlrev_b32_e32 v7, 2, v8
	ds_read_b32 v7, v7
	v_xor_b32_e32 v5, 0xffff8000, v5
	s_waitcnt lgkmcnt(0)
	v_add_u32_e32 v12, v7, v9
	v_lshl_add_u64 v[12:13], v[12:13], 1, s[94:95]
	global_store_short v[12:13], v5, off
.LBB1688_113:
	s_or_b64 exec, exec, s[52:53]
	v_or_b32_e32 v12, 0x400, v2
	v_cmp_gt_u32_e64 s[52:53], s7, v12
	v_mov_b32_e32 v11, 0
	v_mov_b32_e32 v25, 0
	s_and_saveexec_b64 s[54:55], s[52:53]
	s_cbranch_execz .LBB1688_115
; %bb.114:
	v_sub_u32_e32 v5, v21, v3
	ds_read_u16 v5, v5 offset:2304
	v_mov_b32_e32 v27, 0
	s_waitcnt lgkmcnt(0)
	v_lshrrev_b32_sdwa v7, s8, v5 dst_sel:DWORD dst_unused:UNUSED_PAD src0_sel:DWORD src1_sel:WORD_0
	v_and_b32_e32 v25, s33, v7
	v_lshlrev_b32_e32 v7, 2, v25
	ds_read_b32 v7, v7
	v_xor_b32_e32 v5, 0xffff8000, v5
	s_waitcnt lgkmcnt(0)
	v_add_u32_e32 v26, v7, v12
	v_lshl_add_u64 v[26:27], v[26:27], 1, s[94:95]
	global_store_short v[26:27], v5, off
.LBB1688_115:
	s_or_b64 exec, exec, s[54:55]
	v_add_u32_e32 v13, 0x600, v2
	v_cmp_gt_u32_e64 s[54:55], s7, v13
	s_and_saveexec_b64 s[56:57], s[54:55]
	s_cbranch_execz .LBB1688_117
; %bb.116:
	v_sub_u32_e32 v5, v21, v3
	ds_read_u16 v5, v5 offset:3328
	v_mov_b32_e32 v27, 0
	s_waitcnt lgkmcnt(0)
	v_lshrrev_b32_sdwa v7, s8, v5 dst_sel:DWORD dst_unused:UNUSED_PAD src0_sel:DWORD src1_sel:WORD_0
	v_and_b32_e32 v11, s33, v7
	v_lshlrev_b32_e32 v7, 2, v11
	ds_read_b32 v7, v7
	v_xor_b32_e32 v5, 0xffff8000, v5
	s_waitcnt lgkmcnt(0)
	v_add_u32_e32 v26, v7, v13
	v_lshl_add_u64 v[26:27], v[26:27], 1, s[94:95]
	global_store_short v[26:27], v5, off
.LBB1688_117:
	s_or_b64 exec, exec, s[56:57]
	v_or_b32_e32 v27, 0x800, v2
	v_cmp_gt_u32_e64 s[56:57], s7, v27
	v_mov_b32_e32 v26, 0
	v_mov_b32_e32 v30, 0
	s_and_saveexec_b64 s[58:59], s[56:57]
	s_cbranch_execz .LBB1688_119
; %bb.118:
	v_sub_u32_e32 v5, v21, v3
	ds_read_u16 v5, v5 offset:4352
	v_mov_b32_e32 v29, 0
	s_waitcnt lgkmcnt(0)
	v_lshrrev_b32_sdwa v7, s8, v5 dst_sel:DWORD dst_unused:UNUSED_PAD src0_sel:DWORD src1_sel:WORD_0
	v_and_b32_e32 v30, s33, v7
	v_lshlrev_b32_e32 v7, 2, v30
	ds_read_b32 v7, v7
	v_xor_b32_e32 v5, 0xffff8000, v5
	s_waitcnt lgkmcnt(0)
	v_add_u32_e32 v28, v7, v27
	v_lshl_add_u64 v[28:29], v[28:29], 1, s[94:95]
	global_store_short v[28:29], v5, off
.LBB1688_119:
	s_or_b64 exec, exec, s[58:59]
	v_add_u32_e32 v29, 0xa00, v2
	v_cmp_gt_u32_e64 s[58:59], s7, v29
	s_and_saveexec_b64 s[60:61], s[58:59]
	s_cbranch_execz .LBB1688_121
; %bb.120:
	v_sub_u32_e32 v5, v21, v3
	ds_read_u16 v5, v5 offset:5376
	v_mov_b32_e32 v73, 0
	s_waitcnt lgkmcnt(0)
	v_lshrrev_b32_sdwa v7, s8, v5 dst_sel:DWORD dst_unused:UNUSED_PAD src0_sel:DWORD src1_sel:WORD_0
	v_and_b32_e32 v26, s33, v7
	v_lshlrev_b32_e32 v7, 2, v26
	ds_read_b32 v7, v7
	v_xor_b32_e32 v5, 0xffff8000, v5
	s_waitcnt lgkmcnt(0)
	v_add_u32_e32 v72, v7, v29
	v_lshl_add_u64 v[72:73], v[72:73], 1, s[94:95]
	global_store_short v[72:73], v5, off
.LBB1688_121:
	s_or_b64 exec, exec, s[60:61]
	v_or_b32_e32 v31, 0xc00, v2
	v_cmp_gt_u32_e64 s[60:61], s7, v31
	v_mov_b32_e32 v28, 0
	v_mov_b32_e32 v64, 0
	s_and_saveexec_b64 s[62:63], s[60:61]
	s_cbranch_execz .LBB1688_123
; %bb.122:
	v_sub_u32_e32 v5, v21, v3
	ds_read_u16 v5, v5 offset:6400
	v_mov_b32_e32 v73, 0
	s_waitcnt lgkmcnt(0)
	v_lshrrev_b32_sdwa v7, s8, v5 dst_sel:DWORD dst_unused:UNUSED_PAD src0_sel:DWORD src1_sel:WORD_0
	v_and_b32_e32 v64, s33, v7
	v_lshlrev_b32_e32 v7, 2, v64
	ds_read_b32 v7, v7
	v_xor_b32_e32 v5, 0xffff8000, v5
	s_waitcnt lgkmcnt(0)
	v_add_u32_e32 v72, v7, v31
	v_lshl_add_u64 v[72:73], v[72:73], 1, s[94:95]
	global_store_short v[72:73], v5, off
.LBB1688_123:
	s_or_b64 exec, exec, s[62:63]
	v_add_u32_e32 v63, 0xe00, v2
	v_cmp_gt_u32_e64 s[62:63], s7, v63
	s_and_saveexec_b64 s[64:65], s[62:63]
	s_cbranch_execz .LBB1688_125
; %bb.124:
	ds_read_u16 v5, v3 offset:7424
	v_mov_b32_e32 v73, 0
	s_waitcnt lgkmcnt(0)
	v_lshrrev_b32_sdwa v7, s8, v5 dst_sel:DWORD dst_unused:UNUSED_PAD src0_sel:DWORD src1_sel:WORD_0
	v_and_b32_e32 v28, s33, v7
	v_lshlrev_b32_e32 v7, 2, v28
	ds_read_b32 v7, v7
	v_xor_b32_e32 v5, 0xffff8000, v5
	s_waitcnt lgkmcnt(0)
	v_add_u32_e32 v72, v7, v63
	v_lshl_add_u64 v[72:73], v[72:73], 1, s[94:95]
	global_store_short v[72:73], v5, off
.LBB1688_125:
	s_or_b64 exec, exec, s[64:65]
	v_or_b32_e32 v67, 0x1000, v2
	v_cmp_gt_u32_e64 s[64:65], s7, v67
	v_mov_b32_e32 v32, 0
	v_mov_b32_e32 v73, 0
	s_and_saveexec_b64 s[66:67], s[64:65]
	s_cbranch_execz .LBB1688_127
; %bb.126:
	ds_read_u16 v5, v3 offset:8448
	v_mov_b32_e32 v77, 0
	s_waitcnt lgkmcnt(0)
	v_lshrrev_b32_sdwa v7, s8, v5 dst_sel:DWORD dst_unused:UNUSED_PAD src0_sel:DWORD src1_sel:WORD_0
	v_and_b32_e32 v73, s33, v7
	v_lshlrev_b32_e32 v7, 2, v73
	ds_read_b32 v7, v7
	v_xor_b32_e32 v5, 0xffff8000, v5
	s_waitcnt lgkmcnt(0)
	v_add_u32_e32 v76, v7, v67
	v_lshl_add_u64 v[76:77], v[76:77], 1, s[94:95]
	global_store_short v[76:77], v5, off
.LBB1688_127:
	s_or_b64 exec, exec, s[66:67]
	v_add_u32_e32 v72, 0x1200, v2
	v_cmp_gt_u32_e64 s[66:67], s7, v72
	s_and_saveexec_b64 s[68:69], s[66:67]
	s_cbranch_execz .LBB1688_129
; %bb.128:
	ds_read_u16 v5, v3 offset:9472
	v_mov_b32_e32 v77, 0
	s_waitcnt lgkmcnt(0)
	v_lshrrev_b32_sdwa v7, s8, v5 dst_sel:DWORD dst_unused:UNUSED_PAD src0_sel:DWORD src1_sel:WORD_0
	v_and_b32_e32 v32, s33, v7
	v_lshlrev_b32_e32 v7, 2, v32
	ds_read_b32 v7, v7
	v_xor_b32_e32 v5, 0xffff8000, v5
	s_waitcnt lgkmcnt(0)
	v_add_u32_e32 v76, v7, v72
	v_lshl_add_u64 v[76:77], v[76:77], 1, s[94:95]
	global_store_short v[76:77], v5, off
.LBB1688_129:
	s_or_b64 exec, exec, s[68:69]
	v_or_b32_e32 v75, 0x1400, v2
	v_cmp_gt_u32_e64 s[68:69], s7, v75
	v_mov_b32_e32 v70, 0
	v_mov_b32_e32 v78, 0
	s_and_saveexec_b64 s[70:71], s[68:69]
	s_cbranch_execz .LBB1688_131
; %bb.130:
	ds_read_u16 v5, v3 offset:10496
	v_mov_b32_e32 v77, 0
	s_waitcnt lgkmcnt(0)
	v_lshrrev_b32_sdwa v7, s8, v5 dst_sel:DWORD dst_unused:UNUSED_PAD src0_sel:DWORD src1_sel:WORD_0
	v_and_b32_e32 v78, s33, v7
	v_lshlrev_b32_e32 v7, 2, v78
	ds_read_b32 v7, v7
	v_xor_b32_e32 v5, 0xffff8000, v5
	s_waitcnt lgkmcnt(0)
	v_add_u32_e32 v76, v7, v75
	v_lshl_add_u64 v[76:77], v[76:77], 1, s[94:95]
	global_store_short v[76:77], v5, off
.LBB1688_131:
	;; [unrolled: 40-line block ×7, first 2 shown]
	s_or_b64 exec, exec, s[90:91]
	v_add_u32_e32 v96, 0x2a00, v2
	v_cmp_gt_u32_e64 s[90:91], s7, v96
	s_and_saveexec_b64 s[4:5], s[90:91]
	s_cbranch_execz .LBB1688_153
; %bb.152:
	ds_read_u16 v5, v3 offset:21760
	v_mov_b32_e32 v99, 0
	s_waitcnt lgkmcnt(0)
	v_lshrrev_b32_sdwa v7, s8, v5 dst_sel:DWORD dst_unused:UNUSED_PAD src0_sel:DWORD src1_sel:WORD_0
	v_and_b32_e32 v92, s33, v7
	v_lshlrev_b32_e32 v7, 2, v92
	ds_read_b32 v7, v7
	v_xor_b32_e32 v5, 0xffff8000, v5
	s_waitcnt lgkmcnt(0)
	v_add_u32_e32 v98, v7, v96
	v_lshl_add_u64 v[98:99], v[98:99], 1, s[94:95]
	global_store_short v[98:99], v5, off
.LBB1688_153:
	s_or_b64 exec, exec, s[4:5]
	s_add_u32 s4, s96, s10
	s_addc_u32 s5, s97, s11
	v_mov_b32_e32 v5, 0
	v_lshl_add_u64 v[98:99], s[4:5], 0, v[4:5]
	v_mov_b32_e32 v7, v5
	v_lshl_add_u64 v[4:5], v[98:99], 0, v[6:7]
                                        ; implicit-def: $vgpr6
	s_mov_b64 s[4:5], exec
	v_readlane_b32 s10, v118, 4
	v_readlane_b32 s11, v118, 5
	s_and_b64 s[10:11], s[4:5], s[10:11]
	s_xor_b64 s[4:5], s[10:11], s[4:5]
	s_mov_b64 exec, s[10:11]
	s_cbranch_execz .LBB1688_155
; %bb.154:
	global_load_ushort v6, v[4:5], off
.LBB1688_155:
	s_or_b64 exec, exec, s[4:5]
                                        ; implicit-def: $vgpr7
	s_mov_b64 s[4:5], exec
	v_readlane_b32 s10, v118, 6
	v_readlane_b32 s11, v118, 7
	s_and_b64 s[10:11], s[4:5], s[10:11]
	s_mov_b64 exec, s[10:11]
	s_cbranch_execz .LBB1688_157
; %bb.156:
	global_load_ushort v7, v[4:5], off offset:128
.LBB1688_157:
	s_or_b64 exec, exec, s[4:5]
                                        ; implicit-def: $vgpr98
	s_mov_b64 s[4:5], exec
	v_readlane_b32 s10, v118, 8
	v_readlane_b32 s11, v118, 9
	s_and_b64 s[10:11], s[4:5], s[10:11]
	s_mov_b64 exec, s[10:11]
	s_cbranch_execz .LBB1688_159
; %bb.158:
	global_load_ushort v98, v[4:5], off offset:256
.LBB1688_159:
	s_or_b64 exec, exec, s[4:5]
                                        ; implicit-def: $vgpr99
	s_mov_b64 s[4:5], exec
	v_readlane_b32 s10, v118, 10
	v_readlane_b32 s11, v118, 11
	s_and_b64 s[10:11], s[4:5], s[10:11]
	s_mov_b64 exec, s[10:11]
	s_cbranch_execz .LBB1688_161
; %bb.160:
	global_load_ushort v99, v[4:5], off offset:384
.LBB1688_161:
	s_or_b64 exec, exec, s[4:5]
                                        ; implicit-def: $vgpr100
	s_mov_b64 s[4:5], exec
	v_readlane_b32 s10, v118, 12
	v_readlane_b32 s11, v118, 13
	s_and_b64 s[10:11], s[4:5], s[10:11]
	s_mov_b64 exec, s[10:11]
	s_cbranch_execz .LBB1688_163
; %bb.162:
	global_load_ushort v100, v[4:5], off offset:512
.LBB1688_163:
	s_or_b64 exec, exec, s[4:5]
                                        ; implicit-def: $vgpr101
	s_mov_b64 s[4:5], exec
	v_readlane_b32 s10, v118, 14
	v_readlane_b32 s11, v118, 15
	s_and_b64 s[10:11], s[4:5], s[10:11]
	s_mov_b64 exec, s[10:11]
	s_cbranch_execz .LBB1688_165
; %bb.164:
	global_load_ushort v101, v[4:5], off offset:640
.LBB1688_165:
	s_or_b64 exec, exec, s[4:5]
                                        ; implicit-def: $vgpr102
	s_mov_b64 s[4:5], exec
	v_readlane_b32 s10, v118, 16
	v_readlane_b32 s11, v118, 17
	s_and_b64 s[10:11], s[4:5], s[10:11]
	s_mov_b64 exec, s[10:11]
	s_cbranch_execz .LBB1688_181
; %bb.166:
	global_load_ushort v102, v[4:5], off offset:768
	s_or_b64 exec, exec, s[4:5]
                                        ; implicit-def: $vgpr103
	s_and_saveexec_b64 s[4:5], vcc
	s_cbranch_execnz .LBB1688_182
.LBB1688_167:
	s_or_b64 exec, exec, s[4:5]
                                        ; implicit-def: $vgpr104
	s_and_saveexec_b64 s[4:5], s[16:17]
	s_cbranch_execz .LBB1688_183
.LBB1688_168:
	global_load_ushort v104, v[4:5], off offset:1024
	s_or_b64 exec, exec, s[4:5]
                                        ; implicit-def: $vgpr105
	s_and_saveexec_b64 s[4:5], s[18:19]
	s_cbranch_execnz .LBB1688_184
.LBB1688_169:
	s_or_b64 exec, exec, s[4:5]
                                        ; implicit-def: $vgpr106
	s_and_saveexec_b64 s[4:5], s[20:21]
	s_cbranch_execz .LBB1688_185
.LBB1688_170:
	global_load_ushort v106, v[4:5], off offset:1280
	s_or_b64 exec, exec, s[4:5]
                                        ; implicit-def: $vgpr107
	s_and_saveexec_b64 s[4:5], s[22:23]
	s_cbranch_execnz .LBB1688_186
.LBB1688_171:
	s_or_b64 exec, exec, s[4:5]
                                        ; implicit-def: $vgpr108
	s_and_saveexec_b64 s[4:5], s[24:25]
	s_cbranch_execz .LBB1688_187
.LBB1688_172:
	global_load_ushort v108, v[4:5], off offset:1536
	s_or_b64 exec, exec, s[4:5]
                                        ; implicit-def: $vgpr109
	s_and_saveexec_b64 s[4:5], s[26:27]
	s_cbranch_execnz .LBB1688_188
.LBB1688_173:
	s_or_b64 exec, exec, s[4:5]
                                        ; implicit-def: $vgpr110
	s_and_saveexec_b64 s[4:5], s[28:29]
	s_cbranch_execz .LBB1688_189
.LBB1688_174:
	global_load_ushort v110, v[4:5], off offset:1792
	s_or_b64 exec, exec, s[4:5]
                                        ; implicit-def: $vgpr111
	s_and_saveexec_b64 s[4:5], s[30:31]
	s_cbranch_execnz .LBB1688_190
.LBB1688_175:
	s_or_b64 exec, exec, s[4:5]
                                        ; implicit-def: $vgpr112
	s_and_saveexec_b64 s[4:5], s[34:35]
	s_cbranch_execz .LBB1688_191
.LBB1688_176:
	global_load_ushort v112, v[4:5], off offset:2048
	s_or_b64 exec, exec, s[4:5]
                                        ; implicit-def: $vgpr113
	s_and_saveexec_b64 s[4:5], s[36:37]
	s_cbranch_execnz .LBB1688_192
.LBB1688_177:
	s_or_b64 exec, exec, s[4:5]
                                        ; implicit-def: $vgpr114
	s_and_saveexec_b64 s[4:5], s[38:39]
	s_cbranch_execz .LBB1688_193
.LBB1688_178:
	global_load_ushort v114, v[4:5], off offset:2304
	s_or_b64 exec, exec, s[4:5]
                                        ; implicit-def: $vgpr115
	s_and_saveexec_b64 s[4:5], s[40:41]
	s_cbranch_execnz .LBB1688_194
.LBB1688_179:
	s_or_b64 exec, exec, s[4:5]
                                        ; implicit-def: $vgpr116
	s_and_saveexec_b64 s[4:5], s[42:43]
	s_cbranch_execz .LBB1688_195
.LBB1688_180:
	global_load_ushort v116, v[4:5], off offset:2560
	s_or_b64 exec, exec, s[4:5]
                                        ; implicit-def: $vgpr117
	s_and_saveexec_b64 s[4:5], s[44:45]
	s_cbranch_execnz .LBB1688_196
	s_branch .LBB1688_197
.LBB1688_181:
	s_or_b64 exec, exec, s[4:5]
                                        ; implicit-def: $vgpr103
	s_and_saveexec_b64 s[4:5], vcc
	s_cbranch_execz .LBB1688_167
.LBB1688_182:
	global_load_ushort v103, v[4:5], off offset:896
	s_or_b64 exec, exec, s[4:5]
                                        ; implicit-def: $vgpr104
	s_and_saveexec_b64 s[4:5], s[16:17]
	s_cbranch_execnz .LBB1688_168
.LBB1688_183:
	s_or_b64 exec, exec, s[4:5]
                                        ; implicit-def: $vgpr105
	s_and_saveexec_b64 s[4:5], s[18:19]
	s_cbranch_execz .LBB1688_169
.LBB1688_184:
	global_load_ushort v105, v[4:5], off offset:1152
	s_or_b64 exec, exec, s[4:5]
                                        ; implicit-def: $vgpr106
	s_and_saveexec_b64 s[4:5], s[20:21]
	s_cbranch_execnz .LBB1688_170
.LBB1688_185:
	s_or_b64 exec, exec, s[4:5]
                                        ; implicit-def: $vgpr107
	s_and_saveexec_b64 s[4:5], s[22:23]
	s_cbranch_execz .LBB1688_171
.LBB1688_186:
	global_load_ushort v107, v[4:5], off offset:1408
	s_or_b64 exec, exec, s[4:5]
                                        ; implicit-def: $vgpr108
	s_and_saveexec_b64 s[4:5], s[24:25]
	s_cbranch_execnz .LBB1688_172
.LBB1688_187:
	s_or_b64 exec, exec, s[4:5]
                                        ; implicit-def: $vgpr109
	s_and_saveexec_b64 s[4:5], s[26:27]
	s_cbranch_execz .LBB1688_173
.LBB1688_188:
	global_load_ushort v109, v[4:5], off offset:1664
	s_or_b64 exec, exec, s[4:5]
                                        ; implicit-def: $vgpr110
	s_and_saveexec_b64 s[4:5], s[28:29]
	s_cbranch_execnz .LBB1688_174
.LBB1688_189:
	s_or_b64 exec, exec, s[4:5]
                                        ; implicit-def: $vgpr111
	s_and_saveexec_b64 s[4:5], s[30:31]
	s_cbranch_execz .LBB1688_175
.LBB1688_190:
	global_load_ushort v111, v[4:5], off offset:1920
	s_or_b64 exec, exec, s[4:5]
                                        ; implicit-def: $vgpr112
	s_and_saveexec_b64 s[4:5], s[34:35]
	s_cbranch_execnz .LBB1688_176
.LBB1688_191:
	s_or_b64 exec, exec, s[4:5]
                                        ; implicit-def: $vgpr113
	s_and_saveexec_b64 s[4:5], s[36:37]
	s_cbranch_execz .LBB1688_177
.LBB1688_192:
	global_load_ushort v113, v[4:5], off offset:2176
	s_or_b64 exec, exec, s[4:5]
                                        ; implicit-def: $vgpr114
	s_and_saveexec_b64 s[4:5], s[38:39]
	s_cbranch_execnz .LBB1688_178
.LBB1688_193:
	s_or_b64 exec, exec, s[4:5]
                                        ; implicit-def: $vgpr115
	s_and_saveexec_b64 s[4:5], s[40:41]
	s_cbranch_execz .LBB1688_179
.LBB1688_194:
	global_load_ushort v115, v[4:5], off offset:2432
	s_or_b64 exec, exec, s[4:5]
                                        ; implicit-def: $vgpr116
	s_and_saveexec_b64 s[4:5], s[42:43]
	s_cbranch_execnz .LBB1688_180
.LBB1688_195:
	s_or_b64 exec, exec, s[4:5]
                                        ; implicit-def: $vgpr117
	s_and_saveexec_b64 s[4:5], s[44:45]
	s_cbranch_execz .LBB1688_197
.LBB1688_196:
	global_load_ushort v117, v[4:5], off offset:2688
.LBB1688_197:
	s_or_b64 exec, exec, s[4:5]
	s_movk_i32 s7, 0x2c00
	v_cmp_gt_u32_e32 vcc, s7, v71
	s_barrier
	s_and_saveexec_b64 s[4:5], vcc
	s_cbranch_execz .LBB1688_219
; %bb.198:
	s_waitcnt vmcnt(0)
	ds_write_b16 v74, v6 offset:256
	s_or_b64 exec, exec, s[4:5]
	v_cmp_gt_u32_e32 vcc, s7, v68
	s_and_saveexec_b64 s[4:5], vcc
	s_cbranch_execnz .LBB1688_220
.LBB1688_199:
	s_or_b64 exec, exec, s[4:5]
	v_cmp_gt_u32_e32 vcc, s7, v65
	s_and_saveexec_b64 s[4:5], vcc
	s_cbranch_execz .LBB1688_221
.LBB1688_200:
	s_waitcnt vmcnt(0)
	ds_write_b16 v66, v98 offset:256
	s_or_b64 exec, exec, s[4:5]
	v_cmp_gt_u32_e32 vcc, s7, v62
	s_and_saveexec_b64 s[4:5], vcc
	s_cbranch_execnz .LBB1688_222
.LBB1688_201:
	s_or_b64 exec, exec, s[4:5]
	v_cmp_gt_u32_e32 vcc, s7, v59
	s_and_saveexec_b64 s[4:5], vcc
	s_cbranch_execz .LBB1688_223
.LBB1688_202:
	s_waitcnt vmcnt(0)
	ds_write_b16 v60, v100 offset:256
	s_or_b64 exec, exec, s[4:5]
	v_cmp_gt_u32_e32 vcc, s7, v56
	s_and_saveexec_b64 s[4:5], vcc
	s_cbranch_execnz .LBB1688_224
.LBB1688_203:
	s_or_b64 exec, exec, s[4:5]
	v_cmp_gt_u32_e32 vcc, s7, v53
	s_and_saveexec_b64 s[4:5], vcc
	s_cbranch_execz .LBB1688_225
.LBB1688_204:
	s_waitcnt vmcnt(0)
	ds_write_b16 v57, v102 offset:256
	s_or_b64 exec, exec, s[4:5]
	v_cmp_gt_u32_e32 vcc, s7, v51
	s_and_saveexec_b64 s[4:5], vcc
	s_cbranch_execnz .LBB1688_226
.LBB1688_205:
	s_or_b64 exec, exec, s[4:5]
	v_cmp_gt_u32_e32 vcc, s7, v48
	s_and_saveexec_b64 s[4:5], vcc
	s_cbranch_execz .LBB1688_227
.LBB1688_206:
	s_waitcnt vmcnt(0)
	ds_write_b16 v54, v104 offset:256
	s_or_b64 exec, exec, s[4:5]
	v_cmp_gt_u32_e32 vcc, s7, v46
	s_and_saveexec_b64 s[4:5], vcc
	s_cbranch_execnz .LBB1688_228
.LBB1688_207:
	s_or_b64 exec, exec, s[4:5]
	v_cmp_gt_u32_e32 vcc, s7, v45
	s_and_saveexec_b64 s[4:5], vcc
	s_cbranch_execz .LBB1688_229
.LBB1688_208:
	s_waitcnt vmcnt(0)
	ds_write_b16 v50, v106 offset:256
	s_or_b64 exec, exec, s[4:5]
	v_cmp_gt_u32_e32 vcc, s7, v44
	s_and_saveexec_b64 s[4:5], vcc
	s_cbranch_execnz .LBB1688_230
.LBB1688_209:
	s_or_b64 exec, exec, s[4:5]
	v_cmp_gt_u32_e32 vcc, s7, v43
	s_and_saveexec_b64 s[4:5], vcc
	s_cbranch_execz .LBB1688_231
.LBB1688_210:
	s_waitcnt vmcnt(0)
	ds_write_b16 v47, v108 offset:256
	s_or_b64 exec, exec, s[4:5]
	v_cmp_gt_u32_e32 vcc, s7, v42
	s_and_saveexec_b64 s[4:5], vcc
	s_cbranch_execnz .LBB1688_232
.LBB1688_211:
	s_or_b64 exec, exec, s[4:5]
	v_cmp_gt_u32_e32 vcc, s7, v41
	s_and_saveexec_b64 s[4:5], vcc
	s_cbranch_execz .LBB1688_233
.LBB1688_212:
	s_waitcnt vmcnt(0)
	ds_write_b16 v23, v110 offset:256
	s_or_b64 exec, exec, s[4:5]
	v_cmp_gt_u32_e32 vcc, s7, v40
	s_and_saveexec_b64 s[4:5], vcc
	s_cbranch_execnz .LBB1688_234
.LBB1688_213:
	s_or_b64 exec, exec, s[4:5]
	v_cmp_gt_u32_e32 vcc, s7, v39
	s_and_saveexec_b64 s[4:5], vcc
	s_cbranch_execz .LBB1688_235
.LBB1688_214:
	s_waitcnt vmcnt(0)
	ds_write_b16 v20, v112 offset:256
	s_or_b64 exec, exec, s[4:5]
	v_cmp_gt_u32_e32 vcc, s7, v38
	s_and_saveexec_b64 s[4:5], vcc
	s_cbranch_execnz .LBB1688_236
.LBB1688_215:
	s_or_b64 exec, exec, s[4:5]
	v_cmp_gt_u32_e32 vcc, s7, v37
	s_and_saveexec_b64 s[4:5], vcc
	s_cbranch_execz .LBB1688_237
.LBB1688_216:
	s_waitcnt vmcnt(0)
	ds_write_b16 v18, v114 offset:256
	s_or_b64 exec, exec, s[4:5]
	v_cmp_gt_u32_e32 vcc, s7, v36
	s_and_saveexec_b64 s[4:5], vcc
	s_cbranch_execnz .LBB1688_238
.LBB1688_217:
	s_or_b64 exec, exec, s[4:5]
	v_cmp_gt_u32_e32 vcc, s7, v35
	s_and_saveexec_b64 s[4:5], vcc
	s_cbranch_execz .LBB1688_239
.LBB1688_218:
	s_waitcnt vmcnt(0)
	ds_write_b16 v16, v116 offset:256
	s_or_b64 exec, exec, s[4:5]
	v_cmp_gt_u32_e32 vcc, s7, v34
	s_and_saveexec_b64 s[4:5], vcc
	s_cbranch_execnz .LBB1688_240
	s_branch .LBB1688_241
.LBB1688_219:
	s_or_b64 exec, exec, s[4:5]
	v_cmp_gt_u32_e32 vcc, s7, v68
	s_and_saveexec_b64 s[4:5], vcc
	s_cbranch_execz .LBB1688_199
.LBB1688_220:
	s_waitcnt vmcnt(0)
	ds_write_b16 v69, v7 offset:256
	s_or_b64 exec, exec, s[4:5]
	v_cmp_gt_u32_e32 vcc, s7, v65
	s_and_saveexec_b64 s[4:5], vcc
	s_cbranch_execnz .LBB1688_200
.LBB1688_221:
	s_or_b64 exec, exec, s[4:5]
	v_cmp_gt_u32_e32 vcc, s7, v62
	s_and_saveexec_b64 s[4:5], vcc
	s_cbranch_execz .LBB1688_201
.LBB1688_222:
	s_waitcnt vmcnt(0)
	ds_write_b16 v61, v99 offset:256
	s_or_b64 exec, exec, s[4:5]
	v_cmp_gt_u32_e32 vcc, s7, v59
	s_and_saveexec_b64 s[4:5], vcc
	s_cbranch_execnz .LBB1688_202
.LBB1688_223:
	s_or_b64 exec, exec, s[4:5]
	v_cmp_gt_u32_e32 vcc, s7, v56
	s_and_saveexec_b64 s[4:5], vcc
	s_cbranch_execz .LBB1688_203
.LBB1688_224:
	s_waitcnt vmcnt(0)
	ds_write_b16 v58, v101 offset:256
	s_or_b64 exec, exec, s[4:5]
	v_cmp_gt_u32_e32 vcc, s7, v53
	s_and_saveexec_b64 s[4:5], vcc
	s_cbranch_execnz .LBB1688_204
.LBB1688_225:
	s_or_b64 exec, exec, s[4:5]
	v_cmp_gt_u32_e32 vcc, s7, v51
	s_and_saveexec_b64 s[4:5], vcc
	s_cbranch_execz .LBB1688_205
.LBB1688_226:
	s_waitcnt vmcnt(0)
	ds_write_b16 v55, v103 offset:256
	s_or_b64 exec, exec, s[4:5]
	v_cmp_gt_u32_e32 vcc, s7, v48
	s_and_saveexec_b64 s[4:5], vcc
	s_cbranch_execnz .LBB1688_206
.LBB1688_227:
	s_or_b64 exec, exec, s[4:5]
	v_cmp_gt_u32_e32 vcc, s7, v46
	s_and_saveexec_b64 s[4:5], vcc
	s_cbranch_execz .LBB1688_207
.LBB1688_228:
	s_waitcnt vmcnt(0)
	ds_write_b16 v52, v105 offset:256
	s_or_b64 exec, exec, s[4:5]
	v_cmp_gt_u32_e32 vcc, s7, v45
	s_and_saveexec_b64 s[4:5], vcc
	s_cbranch_execnz .LBB1688_208
.LBB1688_229:
	s_or_b64 exec, exec, s[4:5]
	v_cmp_gt_u32_e32 vcc, s7, v44
	s_and_saveexec_b64 s[4:5], vcc
	s_cbranch_execz .LBB1688_209
.LBB1688_230:
	s_waitcnt vmcnt(0)
	ds_write_b16 v49, v107 offset:256
	s_or_b64 exec, exec, s[4:5]
	v_cmp_gt_u32_e32 vcc, s7, v43
	s_and_saveexec_b64 s[4:5], vcc
	s_cbranch_execnz .LBB1688_210
.LBB1688_231:
	s_or_b64 exec, exec, s[4:5]
	v_cmp_gt_u32_e32 vcc, s7, v42
	s_and_saveexec_b64 s[4:5], vcc
	s_cbranch_execz .LBB1688_211
.LBB1688_232:
	s_waitcnt vmcnt(0)
	ds_write_b16 v24, v109 offset:256
	s_or_b64 exec, exec, s[4:5]
	v_cmp_gt_u32_e32 vcc, s7, v41
	s_and_saveexec_b64 s[4:5], vcc
	s_cbranch_execnz .LBB1688_212
.LBB1688_233:
	s_or_b64 exec, exec, s[4:5]
	v_cmp_gt_u32_e32 vcc, s7, v40
	s_and_saveexec_b64 s[4:5], vcc
	s_cbranch_execz .LBB1688_213
.LBB1688_234:
	s_waitcnt vmcnt(0)
	ds_write_b16 v22, v111 offset:256
	s_or_b64 exec, exec, s[4:5]
	v_cmp_gt_u32_e32 vcc, s7, v39
	s_and_saveexec_b64 s[4:5], vcc
	s_cbranch_execnz .LBB1688_214
.LBB1688_235:
	s_or_b64 exec, exec, s[4:5]
	v_cmp_gt_u32_e32 vcc, s7, v38
	s_and_saveexec_b64 s[4:5], vcc
	s_cbranch_execz .LBB1688_215
.LBB1688_236:
	s_waitcnt vmcnt(0)
	ds_write_b16 v19, v113 offset:256
	s_or_b64 exec, exec, s[4:5]
	v_cmp_gt_u32_e32 vcc, s7, v37
	s_and_saveexec_b64 s[4:5], vcc
	s_cbranch_execnz .LBB1688_216
.LBB1688_237:
	s_or_b64 exec, exec, s[4:5]
	v_cmp_gt_u32_e32 vcc, s7, v36
	s_and_saveexec_b64 s[4:5], vcc
	s_cbranch_execz .LBB1688_217
.LBB1688_238:
	s_waitcnt vmcnt(0)
	ds_write_b16 v17, v115 offset:256
	s_or_b64 exec, exec, s[4:5]
	v_cmp_gt_u32_e32 vcc, s7, v35
	s_and_saveexec_b64 s[4:5], vcc
	s_cbranch_execnz .LBB1688_218
.LBB1688_239:
	s_or_b64 exec, exec, s[4:5]
	v_cmp_gt_u32_e32 vcc, s7, v34
	s_and_saveexec_b64 s[4:5], vcc
	s_cbranch_execz .LBB1688_241
.LBB1688_240:
	s_waitcnt vmcnt(0)
	ds_write_b16 v14, v117 offset:256
.LBB1688_241:
	s_or_b64 exec, exec, s[4:5]
	s_waitcnt lgkmcnt(0)
	s_barrier
	s_and_saveexec_b64 s[4:5], s[48:49]
	s_cbranch_execz .LBB1688_263
; %bb.242:
	v_lshlrev_b32_e32 v4, 2, v10
	ds_read_b32 v4, v4
	s_waitcnt vmcnt(0)
	ds_read_u16 v6, v3 offset:256
	v_mov_b32_e32 v5, 0
	s_waitcnt lgkmcnt(1)
	v_add_u32_e32 v4, v4, v2
	v_lshl_add_u64 v[4:5], v[4:5], 1, s[98:99]
	s_waitcnt lgkmcnt(0)
	global_store_short v[4:5], v6, off
	s_or_b64 exec, exec, s[4:5]
	s_and_saveexec_b64 s[4:5], s[50:51]
	s_cbranch_execnz .LBB1688_264
.LBB1688_243:
	s_or_b64 exec, exec, s[4:5]
	s_and_saveexec_b64 s[4:5], s[52:53]
	s_cbranch_execz .LBB1688_265
.LBB1688_244:
	v_lshlrev_b32_e32 v2, 2, v25
	ds_read_b32 v2, v2
	s_waitcnt vmcnt(0)
	ds_read_u16 v6, v3 offset:2304
	v_mov_b32_e32 v5, 0
	s_waitcnt lgkmcnt(1)
	v_add_u32_e32 v4, v2, v12
	v_lshl_add_u64 v[4:5], v[4:5], 1, s[98:99]
	s_waitcnt lgkmcnt(0)
	global_store_short v[4:5], v6, off
	s_or_b64 exec, exec, s[4:5]
	s_and_saveexec_b64 s[4:5], s[54:55]
	s_cbranch_execnz .LBB1688_266
.LBB1688_245:
	s_or_b64 exec, exec, s[4:5]
	s_and_saveexec_b64 s[4:5], s[56:57]
	s_cbranch_execz .LBB1688_267
.LBB1688_246:
	v_lshlrev_b32_e32 v2, 2, v30
	ds_read_b32 v2, v2
	s_waitcnt vmcnt(0)
	ds_read_u16 v6, v3 offset:4352
	v_mov_b32_e32 v5, 0
	s_waitcnt lgkmcnt(1)
	v_add_u32_e32 v4, v2, v27
	v_lshl_add_u64 v[4:5], v[4:5], 1, s[98:99]
	s_waitcnt lgkmcnt(0)
	global_store_short v[4:5], v6, off
	s_or_b64 exec, exec, s[4:5]
	s_and_saveexec_b64 s[4:5], s[58:59]
	s_cbranch_execnz .LBB1688_268
.LBB1688_247:
	s_or_b64 exec, exec, s[4:5]
	s_and_saveexec_b64 s[4:5], s[60:61]
	s_cbranch_execz .LBB1688_269
.LBB1688_248:
	v_lshlrev_b32_e32 v2, 2, v64
	ds_read_b32 v2, v2
	s_waitcnt vmcnt(0)
	ds_read_u16 v6, v3 offset:6400
	v_mov_b32_e32 v5, 0
	s_waitcnt lgkmcnt(1)
	v_add_u32_e32 v4, v2, v31
	v_lshl_add_u64 v[4:5], v[4:5], 1, s[98:99]
	s_waitcnt lgkmcnt(0)
	global_store_short v[4:5], v6, off
	s_or_b64 exec, exec, s[4:5]
	s_and_saveexec_b64 s[4:5], s[62:63]
	s_cbranch_execnz .LBB1688_270
.LBB1688_249:
	s_or_b64 exec, exec, s[4:5]
	s_and_saveexec_b64 s[4:5], s[64:65]
	s_cbranch_execz .LBB1688_271
.LBB1688_250:
	v_lshlrev_b32_e32 v2, 2, v73
	ds_read_b32 v2, v2
	s_waitcnt vmcnt(0)
	ds_read_u16 v6, v3 offset:8448
	v_mov_b32_e32 v5, 0
	s_waitcnt lgkmcnt(1)
	v_add_u32_e32 v4, v2, v67
	v_lshl_add_u64 v[4:5], v[4:5], 1, s[98:99]
	s_waitcnt lgkmcnt(0)
	global_store_short v[4:5], v6, off
	s_or_b64 exec, exec, s[4:5]
	s_and_saveexec_b64 s[4:5], s[66:67]
	s_cbranch_execnz .LBB1688_272
.LBB1688_251:
	s_or_b64 exec, exec, s[4:5]
	s_and_saveexec_b64 s[4:5], s[68:69]
	s_cbranch_execz .LBB1688_273
.LBB1688_252:
	v_lshlrev_b32_e32 v2, 2, v78
	ds_read_b32 v2, v2
	s_waitcnt vmcnt(0)
	ds_read_u16 v6, v3 offset:10496
	v_mov_b32_e32 v5, 0
	s_waitcnt lgkmcnt(1)
	v_add_u32_e32 v4, v2, v75
	v_lshl_add_u64 v[4:5], v[4:5], 1, s[98:99]
	s_waitcnt lgkmcnt(0)
	global_store_short v[4:5], v6, off
	s_or_b64 exec, exec, s[4:5]
	s_and_saveexec_b64 s[4:5], s[70:71]
	s_cbranch_execnz .LBB1688_274
.LBB1688_253:
	s_or_b64 exec, exec, s[4:5]
	s_and_saveexec_b64 s[4:5], s[72:73]
	s_cbranch_execz .LBB1688_275
.LBB1688_254:
	v_lshlrev_b32_e32 v2, 2, v82
	ds_read_b32 v2, v2
	s_waitcnt vmcnt(0)
	ds_read_u16 v6, v3 offset:12544
	v_mov_b32_e32 v5, 0
	s_waitcnt lgkmcnt(1)
	v_add_u32_e32 v4, v2, v79
	v_lshl_add_u64 v[4:5], v[4:5], 1, s[98:99]
	s_waitcnt lgkmcnt(0)
	global_store_short v[4:5], v6, off
	s_or_b64 exec, exec, s[4:5]
	s_and_saveexec_b64 s[4:5], s[74:75]
	s_cbranch_execnz .LBB1688_276
.LBB1688_255:
	s_or_b64 exec, exec, s[4:5]
	s_and_saveexec_b64 s[4:5], s[76:77]
	s_cbranch_execz .LBB1688_277
.LBB1688_256:
	v_lshlrev_b32_e32 v2, 2, v86
	ds_read_b32 v2, v2
	s_waitcnt vmcnt(0)
	ds_read_u16 v6, v3 offset:14592
	v_mov_b32_e32 v5, 0
	s_waitcnt lgkmcnt(1)
	v_add_u32_e32 v4, v2, v83
	v_lshl_add_u64 v[4:5], v[4:5], 1, s[98:99]
	s_waitcnt lgkmcnt(0)
	global_store_short v[4:5], v6, off
	s_or_b64 exec, exec, s[4:5]
	s_and_saveexec_b64 s[4:5], s[78:79]
	s_cbranch_execnz .LBB1688_278
.LBB1688_257:
	s_or_b64 exec, exec, s[4:5]
	s_and_saveexec_b64 s[4:5], s[80:81]
	s_cbranch_execz .LBB1688_279
.LBB1688_258:
	v_lshlrev_b32_e32 v2, 2, v90
	ds_read_b32 v2, v2
	s_waitcnt vmcnt(0)
	ds_read_u16 v6, v3 offset:16640
	v_mov_b32_e32 v5, 0
	s_waitcnt lgkmcnt(1)
	v_add_u32_e32 v4, v2, v87
	v_lshl_add_u64 v[4:5], v[4:5], 1, s[98:99]
	s_waitcnt lgkmcnt(0)
	global_store_short v[4:5], v6, off
	s_or_b64 exec, exec, s[4:5]
	s_and_saveexec_b64 s[4:5], s[82:83]
	s_cbranch_execnz .LBB1688_280
.LBB1688_259:
	s_or_b64 exec, exec, s[4:5]
	s_and_saveexec_b64 s[4:5], s[84:85]
	s_cbranch_execz .LBB1688_281
.LBB1688_260:
	v_lshlrev_b32_e32 v2, 2, v94
	ds_read_b32 v2, v2
	s_waitcnt vmcnt(0)
	ds_read_u16 v6, v3 offset:18688
	v_mov_b32_e32 v5, 0
	s_waitcnt lgkmcnt(1)
	v_add_u32_e32 v4, v2, v91
	v_lshl_add_u64 v[4:5], v[4:5], 1, s[98:99]
	s_waitcnt lgkmcnt(0)
	global_store_short v[4:5], v6, off
	s_or_b64 exec, exec, s[4:5]
	s_and_saveexec_b64 s[4:5], s[86:87]
	s_cbranch_execnz .LBB1688_282
.LBB1688_261:
	s_or_b64 exec, exec, s[4:5]
	s_and_saveexec_b64 s[4:5], s[88:89]
	s_cbranch_execz .LBB1688_283
.LBB1688_262:
	v_lshlrev_b32_e32 v2, 2, v97
	ds_read_b32 v2, v2
	s_waitcnt vmcnt(0)
	ds_read_u16 v6, v3 offset:20736
	v_mov_b32_e32 v5, 0
	s_waitcnt lgkmcnt(1)
	v_add_u32_e32 v4, v2, v95
	v_lshl_add_u64 v[4:5], v[4:5], 1, s[98:99]
	s_waitcnt lgkmcnt(0)
	global_store_short v[4:5], v6, off
	s_or_b64 exec, exec, s[4:5]
	s_and_saveexec_b64 s[4:5], s[90:91]
	s_cbranch_execnz .LBB1688_284
	s_branch .LBB1688_285
.LBB1688_263:
	s_or_b64 exec, exec, s[4:5]
	s_and_saveexec_b64 s[4:5], s[50:51]
	s_cbranch_execz .LBB1688_243
.LBB1688_264:
	v_lshlrev_b32_e32 v2, 2, v8
	ds_read_b32 v2, v2
	s_waitcnt vmcnt(0)
	ds_read_u16 v6, v3 offset:1280
	v_mov_b32_e32 v5, 0
	s_waitcnt lgkmcnt(1)
	v_add_u32_e32 v4, v2, v9
	v_lshl_add_u64 v[4:5], v[4:5], 1, s[98:99]
	s_waitcnt lgkmcnt(0)
	global_store_short v[4:5], v6, off
	s_or_b64 exec, exec, s[4:5]
	s_and_saveexec_b64 s[4:5], s[52:53]
	s_cbranch_execnz .LBB1688_244
.LBB1688_265:
	s_or_b64 exec, exec, s[4:5]
	s_and_saveexec_b64 s[4:5], s[54:55]
	s_cbranch_execz .LBB1688_245
.LBB1688_266:
	v_lshlrev_b32_e32 v2, 2, v11
	ds_read_b32 v2, v2
	s_waitcnt vmcnt(0)
	ds_read_u16 v6, v3 offset:3328
	v_mov_b32_e32 v5, 0
	s_waitcnt lgkmcnt(1)
	v_add_u32_e32 v4, v2, v13
	v_lshl_add_u64 v[4:5], v[4:5], 1, s[98:99]
	s_waitcnt lgkmcnt(0)
	global_store_short v[4:5], v6, off
	s_or_b64 exec, exec, s[4:5]
	s_and_saveexec_b64 s[4:5], s[56:57]
	s_cbranch_execnz .LBB1688_246
.LBB1688_267:
	s_or_b64 exec, exec, s[4:5]
	s_and_saveexec_b64 s[4:5], s[58:59]
	s_cbranch_execz .LBB1688_247
.LBB1688_268:
	v_lshlrev_b32_e32 v2, 2, v26
	ds_read_b32 v2, v2
	s_waitcnt vmcnt(0)
	ds_read_u16 v6, v3 offset:5376
	v_mov_b32_e32 v5, 0
	s_waitcnt lgkmcnt(1)
	v_add_u32_e32 v4, v2, v29
	v_lshl_add_u64 v[4:5], v[4:5], 1, s[98:99]
	s_waitcnt lgkmcnt(0)
	global_store_short v[4:5], v6, off
	s_or_b64 exec, exec, s[4:5]
	s_and_saveexec_b64 s[4:5], s[60:61]
	s_cbranch_execnz .LBB1688_248
.LBB1688_269:
	s_or_b64 exec, exec, s[4:5]
	s_and_saveexec_b64 s[4:5], s[62:63]
	s_cbranch_execz .LBB1688_249
.LBB1688_270:
	v_lshlrev_b32_e32 v2, 2, v28
	ds_read_b32 v2, v2
	s_waitcnt vmcnt(0)
	ds_read_u16 v6, v3 offset:7424
	v_mov_b32_e32 v5, 0
	s_waitcnt lgkmcnt(1)
	v_add_u32_e32 v4, v2, v63
	v_lshl_add_u64 v[4:5], v[4:5], 1, s[98:99]
	s_waitcnt lgkmcnt(0)
	global_store_short v[4:5], v6, off
	s_or_b64 exec, exec, s[4:5]
	s_and_saveexec_b64 s[4:5], s[64:65]
	s_cbranch_execnz .LBB1688_250
.LBB1688_271:
	s_or_b64 exec, exec, s[4:5]
	s_and_saveexec_b64 s[4:5], s[66:67]
	s_cbranch_execz .LBB1688_251
.LBB1688_272:
	v_lshlrev_b32_e32 v2, 2, v32
	ds_read_b32 v2, v2
	s_waitcnt vmcnt(0)
	ds_read_u16 v6, v3 offset:9472
	v_mov_b32_e32 v5, 0
	s_waitcnt lgkmcnt(1)
	v_add_u32_e32 v4, v2, v72
	v_lshl_add_u64 v[4:5], v[4:5], 1, s[98:99]
	s_waitcnt lgkmcnt(0)
	global_store_short v[4:5], v6, off
	s_or_b64 exec, exec, s[4:5]
	s_and_saveexec_b64 s[4:5], s[68:69]
	s_cbranch_execnz .LBB1688_252
.LBB1688_273:
	s_or_b64 exec, exec, s[4:5]
	s_and_saveexec_b64 s[4:5], s[70:71]
	s_cbranch_execz .LBB1688_253
.LBB1688_274:
	v_lshlrev_b32_e32 v2, 2, v70
	ds_read_b32 v2, v2
	s_waitcnt vmcnt(0)
	ds_read_u16 v6, v3 offset:11520
	v_mov_b32_e32 v5, 0
	s_waitcnt lgkmcnt(1)
	v_add_u32_e32 v4, v2, v77
	v_lshl_add_u64 v[4:5], v[4:5], 1, s[98:99]
	s_waitcnt lgkmcnt(0)
	global_store_short v[4:5], v6, off
	s_or_b64 exec, exec, s[4:5]
	s_and_saveexec_b64 s[4:5], s[72:73]
	s_cbranch_execnz .LBB1688_254
.LBB1688_275:
	s_or_b64 exec, exec, s[4:5]
	s_and_saveexec_b64 s[4:5], s[74:75]
	s_cbranch_execz .LBB1688_255
.LBB1688_276:
	v_lshlrev_b32_e32 v2, 2, v76
	ds_read_b32 v2, v2
	s_waitcnt vmcnt(0)
	ds_read_u16 v6, v3 offset:13568
	v_mov_b32_e32 v5, 0
	s_waitcnt lgkmcnt(1)
	v_add_u32_e32 v4, v2, v81
	v_lshl_add_u64 v[4:5], v[4:5], 1, s[98:99]
	s_waitcnt lgkmcnt(0)
	global_store_short v[4:5], v6, off
	s_or_b64 exec, exec, s[4:5]
	s_and_saveexec_b64 s[4:5], s[76:77]
	s_cbranch_execnz .LBB1688_256
.LBB1688_277:
	s_or_b64 exec, exec, s[4:5]
	s_and_saveexec_b64 s[4:5], s[78:79]
	s_cbranch_execz .LBB1688_257
.LBB1688_278:
	v_lshlrev_b32_e32 v2, 2, v80
	ds_read_b32 v2, v2
	s_waitcnt vmcnt(0)
	ds_read_u16 v6, v3 offset:15616
	v_mov_b32_e32 v5, 0
	s_waitcnt lgkmcnt(1)
	v_add_u32_e32 v4, v2, v85
	v_lshl_add_u64 v[4:5], v[4:5], 1, s[98:99]
	s_waitcnt lgkmcnt(0)
	global_store_short v[4:5], v6, off
	s_or_b64 exec, exec, s[4:5]
	s_and_saveexec_b64 s[4:5], s[80:81]
	s_cbranch_execnz .LBB1688_258
.LBB1688_279:
	s_or_b64 exec, exec, s[4:5]
	s_and_saveexec_b64 s[4:5], s[82:83]
	s_cbranch_execz .LBB1688_259
.LBB1688_280:
	v_lshlrev_b32_e32 v2, 2, v84
	ds_read_b32 v2, v2
	s_waitcnt vmcnt(0)
	ds_read_u16 v6, v3 offset:17664
	v_mov_b32_e32 v5, 0
	s_waitcnt lgkmcnt(1)
	v_add_u32_e32 v4, v2, v89
	v_lshl_add_u64 v[4:5], v[4:5], 1, s[98:99]
	s_waitcnt lgkmcnt(0)
	global_store_short v[4:5], v6, off
	s_or_b64 exec, exec, s[4:5]
	s_and_saveexec_b64 s[4:5], s[84:85]
	s_cbranch_execnz .LBB1688_260
.LBB1688_281:
	s_or_b64 exec, exec, s[4:5]
	s_and_saveexec_b64 s[4:5], s[86:87]
	s_cbranch_execz .LBB1688_261
.LBB1688_282:
	v_lshlrev_b32_e32 v2, 2, v88
	ds_read_b32 v2, v2
	s_waitcnt vmcnt(0)
	ds_read_u16 v6, v3 offset:19712
	v_mov_b32_e32 v5, 0
	s_waitcnt lgkmcnt(1)
	v_add_u32_e32 v4, v2, v93
	v_lshl_add_u64 v[4:5], v[4:5], 1, s[98:99]
	s_waitcnt lgkmcnt(0)
	global_store_short v[4:5], v6, off
	s_or_b64 exec, exec, s[4:5]
	s_and_saveexec_b64 s[4:5], s[88:89]
	s_cbranch_execnz .LBB1688_262
.LBB1688_283:
	s_or_b64 exec, exec, s[4:5]
	s_and_saveexec_b64 s[4:5], s[90:91]
	s_cbranch_execz .LBB1688_285
.LBB1688_284:
	v_lshlrev_b32_e32 v2, 2, v92
	ds_read_b32 v2, v2
	ds_read_u16 v4, v3 offset:21760
	v_mov_b32_e32 v3, 0
	s_waitcnt lgkmcnt(1)
	v_add_u32_e32 v2, v2, v96
	v_lshl_add_u64 v[2:3], v[2:3], 1, s[98:99]
	s_waitcnt lgkmcnt(0)
	global_store_short v[2:3], v4, off
.LBB1688_285:
	s_or_b64 exec, exec, s[4:5]
	s_add_i32 s3, s3, -1
	s_cmp_eq_u32 s2, s3
	s_cselect_b64 s[4:5], -1, 0
	s_xor_b64 s[10:11], s[46:47], -1
	s_and_b64 s[10:11], s[10:11], s[4:5]
	s_and_saveexec_b64 s[4:5], s[10:11]
	s_cbranch_execz .LBB1688_287
; %bb.286:
	ds_read_b32 v2, v21
	s_load_dwordx4 s[16:19], s[0:1], 0x28
	s_waitcnt lgkmcnt(0)
	v_add3_u32 v2, v15, v33, v2
	global_store_dword v21, v2, s[18:19]
.LBB1688_287:
	s_or_b64 exec, exec, s[4:5]
	s_mov_b64 s[4:5], 0
.LBB1688_288:
	s_and_b64 vcc, exec, s[4:5]
	s_cbranch_vccz .LBB1688_379
; %bb.289:
	s_mov_b32 s7, 0
	s_lshl_b64 s[10:11], s[6:7], 1
	v_mbcnt_hi_u32_b32 v3, -1, v1
	s_add_u32 s4, s92, s10
	v_and_b32_e32 v2, 63, v3
	v_and_b32_e32 v10, 0x1c0, v0
	v_mov_b32_e32 v1, 0
	s_addc_u32 s5, s93, s11
	s_waitcnt vmcnt(0)
	v_mul_u32_u24_e32 v6, 22, v10
	v_lshlrev_b32_e32 v4, 1, v2
	v_mov_b32_e32 v5, v1
	v_lshl_add_u64 v[8:9], s[4:5], 0, v[4:5]
	v_lshlrev_b32_e32 v6, 1, v6
	v_mov_b32_e32 v7, v1
	v_lshl_add_u64 v[8:9], v[8:9], 0, v[6:7]
	s_load_dword s3, s[0:1], 0x58
	s_load_dword s4, s[0:1], 0x64
	global_load_ushort v5, v[8:9], off
	s_add_u32 s0, s0, 0x58
	s_addc_u32 s1, s1, 0
	v_and_b32_e32 v2, 0x3ff, v0
	s_waitcnt lgkmcnt(0)
	s_lshr_b32 s4, s4, 16
	s_cmp_lt_u32 s2, s3
	s_cselect_b32 s5, 12, 18
	s_add_u32 s0, s0, s5
	s_addc_u32 s1, s1, 0
	global_load_ushort v14, v1, s[0:1]
	global_load_ushort v11, v[8:9], off offset:128
	global_load_ushort v15, v[8:9], off offset:256
	;; [unrolled: 1-line block ×14, first 2 shown]
                                        ; kill: killed $sgpr0 killed $sgpr1
	global_load_ushort v50, v[8:9], off offset:1920
	global_load_ushort v45, v[8:9], off offset:2048
	;; [unrolled: 1-line block ×7, first 2 shown]
	v_bfe_u32 v9, v0, 10, 10
	v_bfe_u32 v13, v0, 20, 10
	v_lshlrev_b32_e32 v7, 3, v2
	v_mov_b32_e32 v0, v1
	ds_write_b64 v7, v[0:1] offset:32
	s_lshl_b32 s0, -1, s9
	v_mad_u32_u24 v18, v13, s4, v9
	v_mov_b32_e32 v8, v1
	v_mov_b32_e32 v12, v1
	s_not_b32 s9, s0
	v_mov_b32_e32 v16, v1
	s_waitcnt lgkmcnt(0)
	s_barrier
	s_waitcnt vmcnt(22)
	; wave barrier
	v_xor_b32_e32 v5, 0xffff8000, v5
	v_lshrrev_b32_sdwa v0, s8, v5 dst_sel:DWORD dst_unused:UNUSED_PAD src0_sel:DWORD src1_sel:WORD_0
	v_bitop3_b32 v21, v0, s0, v0 bitop3:0x30
	v_and_b32_e32 v0, 1, v21
	v_lshlrev_b32_e32 v9, 30, v21
	v_lshlrev_b32_e32 v13, 29, v21
	s_waitcnt vmcnt(21)
	v_mad_u64_u32 v[22:23], s[0:1], v18, v14, v[2:3]
	v_lshl_add_u64 v[28:29], v[0:1], 0, -1
	v_cmp_ne_u32_e32 vcc, 0, v0
	v_not_b32_e32 v0, v9
	v_cmp_gt_i64_e64 s[0:1], 0, v[8:9]
	v_cmp_gt_i64_e64 s[4:5], 0, v[12:13]
	v_not_b32_e32 v8, v13
	v_lshrrev_b32_e32 v9, 6, v22
	v_xor_b32_e32 v12, vcc_hi, v29
	v_xor_b32_e32 v13, vcc_lo, v28
	v_ashrrev_i32_e32 v0, 31, v0
	v_lshlrev_b32_e32 v17, 28, v21
	v_ashrrev_i32_e32 v8, 31, v8
	v_lshlrev_b32_e32 v24, 2, v9
	v_and_b32_e32 v9, exec_hi, v12
	v_and_b32_e32 v12, exec_lo, v13
	v_xor_b32_e32 v13, s1, v0
	v_xor_b32_e32 v0, s0, v0
	v_cmp_gt_i64_e64 s[6:7], 0, v[16:17]
	v_xor_b32_e32 v16, s5, v8
	v_xor_b32_e32 v8, s4, v8
	v_and_b32_e32 v0, v12, v0
	v_and_b32_e32 v0, v0, v8
	v_not_b32_e32 v8, v17
	v_and_b32_e32 v9, v9, v13
	v_ashrrev_i32_e32 v8, 31, v8
	v_and_b32_e32 v9, v9, v16
	v_xor_b32_e32 v12, s7, v8
	v_xor_b32_e32 v8, s6, v8
	v_and_b32_e32 v12, v9, v12
	v_and_b32_e32 v0, v0, v8
	v_lshlrev_b32_e32 v9, 27, v21
	v_mov_b32_e32 v8, v1
	v_cmp_gt_i64_e32 vcc, 0, v[8:9]
	v_not_b32_e32 v8, v9
	v_ashrrev_i32_e32 v8, 31, v8
	v_xor_b32_e32 v9, vcc_hi, v8
	v_xor_b32_e32 v8, vcc_lo, v8
	v_and_b32_e32 v12, v12, v9
	v_and_b32_e32 v0, v0, v8
	v_lshlrev_b32_e32 v9, 26, v21
	v_mov_b32_e32 v8, v1
	v_cmp_gt_i64_e32 vcc, 0, v[8:9]
	v_not_b32_e32 v8, v9
	v_ashrrev_i32_e32 v8, 31, v8
	v_xor_b32_e32 v9, vcc_hi, v8
	v_xor_b32_e32 v8, vcc_lo, v8
	v_and_b32_e32 v8, v0, v8
	v_and_b32_e32 v9, v12, v9
	v_mbcnt_lo_u32_b32 v0, v8, 0
	v_mbcnt_hi_u32_b32 v12, v9, v0
	v_cmp_eq_u32_e32 vcc, 0, v12
	v_cmp_ne_u64_e64 s[0:1], 0, v[8:9]
	v_mad_u32_u24 v14, v21, 36, v24
	s_and_b64 s[4:5], s[0:1], vcc
	s_and_saveexec_b64 s[0:1], s[4:5]
; %bb.290:
	v_bcnt_u32_b32 v0, v8, 0
	v_bcnt_u32_b32 v0, v9, v0
	ds_write_b32 v14, v0 offset:32
; %bb.291:
	s_or_b64 exec, exec, s[0:1]
	s_waitcnt vmcnt(20)
	v_xor_b32_e32 v11, 0xffff8000, v11
	v_lshrrev_b32_sdwa v0, s8, v11 dst_sel:DWORD dst_unused:UNUSED_PAD src0_sel:DWORD src1_sel:WORD_0
	v_and_b32_e32 v17, s9, v0
	v_and_b32_e32 v0, 1, v17
	v_lshl_add_u64 v[8:9], v[0:1], 0, -1
	v_cmp_ne_u32_e32 vcc, 0, v0
	v_mad_u32_u24 v16, v17, 36, v24
	s_nop 0
	v_xor_b32_e32 v8, vcc_lo, v8
	v_xor_b32_e32 v0, vcc_hi, v9
	v_and_b32_e32 v18, exec_lo, v8
	v_lshlrev_b32_e32 v9, 30, v17
	v_mov_b32_e32 v8, v1
	v_cmp_gt_i64_e32 vcc, 0, v[8:9]
	v_not_b32_e32 v8, v9
	v_ashrrev_i32_e32 v8, 31, v8
	v_and_b32_e32 v0, exec_hi, v0
	v_xor_b32_e32 v9, vcc_hi, v8
	v_xor_b32_e32 v8, vcc_lo, v8
	v_and_b32_e32 v0, v0, v9
	v_and_b32_e32 v18, v18, v8
	v_lshlrev_b32_e32 v9, 29, v17
	v_mov_b32_e32 v8, v1
	v_cmp_gt_i64_e32 vcc, 0, v[8:9]
	v_not_b32_e32 v8, v9
	v_ashrrev_i32_e32 v8, 31, v8
	v_xor_b32_e32 v9, vcc_hi, v8
	v_xor_b32_e32 v8, vcc_lo, v8
	v_and_b32_e32 v0, v0, v9
	v_and_b32_e32 v18, v18, v8
	v_lshlrev_b32_e32 v9, 28, v17
	v_mov_b32_e32 v8, v1
	v_cmp_gt_i64_e32 vcc, 0, v[8:9]
	v_not_b32_e32 v8, v9
	v_ashrrev_i32_e32 v8, 31, v8
	;; [unrolled: 9-line block ×3, first 2 shown]
	v_xor_b32_e32 v9, vcc_hi, v8
	v_xor_b32_e32 v8, vcc_lo, v8
	v_and_b32_e32 v0, v0, v9
	v_lshlrev_b32_e32 v9, 26, v17
	v_and_b32_e32 v18, v18, v8
	v_mov_b32_e32 v8, v1
	v_not_b32_e32 v1, v9
	v_cmp_gt_i64_e32 vcc, 0, v[8:9]
	v_ashrrev_i32_e32 v1, 31, v1
	; wave barrier
	s_nop 0
	v_xor_b32_e32 v8, vcc_hi, v1
	v_xor_b32_e32 v9, vcc_lo, v1
	ds_read_b32 v13, v16 offset:32
	v_and_b32_e32 v1, v0, v8
	v_and_b32_e32 v0, v18, v9
	v_mbcnt_lo_u32_b32 v8, v0, 0
	v_mbcnt_hi_u32_b32 v17, v1, v8
	v_cmp_eq_u32_e32 vcc, 0, v17
	v_cmp_ne_u64_e64 s[0:1], 0, v[0:1]
	s_and_b64 s[4:5], s[0:1], vcc
	; wave barrier
	s_and_saveexec_b64 s[0:1], s[4:5]
	s_cbranch_execz .LBB1688_293
; %bb.292:
	v_bcnt_u32_b32 v0, v0, 0
	v_bcnt_u32_b32 v0, v1, v0
	s_waitcnt lgkmcnt(0)
	v_add_u32_e32 v0, v13, v0
	ds_write_b32 v16, v0 offset:32
.LBB1688_293:
	s_or_b64 exec, exec, s[0:1]
	s_waitcnt vmcnt(19)
	v_xor_b32_e32 v15, 0xffff8000, v15
	v_lshrrev_b32_sdwa v0, s8, v15 dst_sel:DWORD dst_unused:UNUSED_PAD src0_sel:DWORD src1_sel:WORD_0
	v_and_b32_e32 v22, s9, v0
	v_and_b32_e32 v0, 1, v22
	v_mov_b32_e32 v1, 0
	v_lshl_add_u64 v[8:9], v[0:1], 0, -1
	v_cmp_ne_u32_e32 vcc, 0, v0
	v_mad_u32_u24 v21, v22, 36, v24
	s_nop 0
	v_xor_b32_e32 v8, vcc_lo, v8
	v_xor_b32_e32 v0, vcc_hi, v9
	v_and_b32_e32 v23, exec_lo, v8
	v_lshlrev_b32_e32 v9, 30, v22
	v_mov_b32_e32 v8, v1
	v_cmp_gt_i64_e32 vcc, 0, v[8:9]
	v_not_b32_e32 v8, v9
	v_ashrrev_i32_e32 v8, 31, v8
	v_and_b32_e32 v0, exec_hi, v0
	v_xor_b32_e32 v9, vcc_hi, v8
	v_xor_b32_e32 v8, vcc_lo, v8
	v_and_b32_e32 v0, v0, v9
	v_and_b32_e32 v23, v23, v8
	v_lshlrev_b32_e32 v9, 29, v22
	v_mov_b32_e32 v8, v1
	v_cmp_gt_i64_e32 vcc, 0, v[8:9]
	v_not_b32_e32 v8, v9
	v_ashrrev_i32_e32 v8, 31, v8
	v_xor_b32_e32 v9, vcc_hi, v8
	v_xor_b32_e32 v8, vcc_lo, v8
	v_and_b32_e32 v0, v0, v9
	v_and_b32_e32 v23, v23, v8
	v_lshlrev_b32_e32 v9, 28, v22
	v_mov_b32_e32 v8, v1
	v_cmp_gt_i64_e32 vcc, 0, v[8:9]
	v_not_b32_e32 v8, v9
	v_ashrrev_i32_e32 v8, 31, v8
	;; [unrolled: 9-line block ×4, first 2 shown]
	v_xor_b32_e32 v9, vcc_hi, v8
	v_xor_b32_e32 v8, vcc_lo, v8
	; wave barrier
	ds_read_b32 v18, v21 offset:32
	v_and_b32_e32 v8, v23, v8
	v_and_b32_e32 v9, v0, v9
	v_mbcnt_lo_u32_b32 v0, v8, 0
	v_mbcnt_hi_u32_b32 v22, v9, v0
	v_cmp_eq_u32_e32 vcc, 0, v22
	v_cmp_ne_u64_e64 s[0:1], 0, v[8:9]
	s_and_b64 s[4:5], s[0:1], vcc
	; wave barrier
	s_and_saveexec_b64 s[0:1], s[4:5]
	s_cbranch_execz .LBB1688_295
; %bb.294:
	v_bcnt_u32_b32 v0, v8, 0
	v_bcnt_u32_b32 v0, v9, v0
	s_waitcnt lgkmcnt(0)
	v_add_u32_e32 v0, v18, v0
	ds_write_b32 v21, v0 offset:32
.LBB1688_295:
	s_or_b64 exec, exec, s[0:1]
	s_waitcnt vmcnt(18)
	v_xor_b32_e32 v20, 0xffff8000, v20
	v_lshrrev_b32_sdwa v0, s8, v20 dst_sel:DWORD dst_unused:UNUSED_PAD src0_sel:DWORD src1_sel:WORD_0
	v_and_b32_e32 v28, s9, v0
	v_and_b32_e32 v0, 1, v28
	v_lshl_add_u64 v[8:9], v[0:1], 0, -1
	v_cmp_ne_u32_e32 vcc, 0, v0
	v_mad_u32_u24 v27, v28, 36, v24
	s_nop 0
	v_xor_b32_e32 v8, vcc_lo, v8
	v_xor_b32_e32 v0, vcc_hi, v9
	v_and_b32_e32 v29, exec_lo, v8
	v_lshlrev_b32_e32 v9, 30, v28
	v_mov_b32_e32 v8, v1
	v_cmp_gt_i64_e32 vcc, 0, v[8:9]
	v_not_b32_e32 v8, v9
	v_ashrrev_i32_e32 v8, 31, v8
	v_and_b32_e32 v0, exec_hi, v0
	v_xor_b32_e32 v9, vcc_hi, v8
	v_xor_b32_e32 v8, vcc_lo, v8
	v_and_b32_e32 v0, v0, v9
	v_and_b32_e32 v29, v29, v8
	v_lshlrev_b32_e32 v9, 29, v28
	v_mov_b32_e32 v8, v1
	v_cmp_gt_i64_e32 vcc, 0, v[8:9]
	v_not_b32_e32 v8, v9
	v_ashrrev_i32_e32 v8, 31, v8
	v_xor_b32_e32 v9, vcc_hi, v8
	v_xor_b32_e32 v8, vcc_lo, v8
	v_and_b32_e32 v0, v0, v9
	v_and_b32_e32 v29, v29, v8
	v_lshlrev_b32_e32 v9, 28, v28
	v_mov_b32_e32 v8, v1
	v_cmp_gt_i64_e32 vcc, 0, v[8:9]
	v_not_b32_e32 v8, v9
	v_ashrrev_i32_e32 v8, 31, v8
	;; [unrolled: 9-line block ×3, first 2 shown]
	v_xor_b32_e32 v9, vcc_hi, v8
	v_xor_b32_e32 v8, vcc_lo, v8
	v_and_b32_e32 v0, v0, v9
	v_lshlrev_b32_e32 v9, 26, v28
	v_and_b32_e32 v29, v29, v8
	v_mov_b32_e32 v8, v1
	v_not_b32_e32 v1, v9
	v_cmp_gt_i64_e32 vcc, 0, v[8:9]
	v_ashrrev_i32_e32 v1, 31, v1
	; wave barrier
	s_nop 0
	v_xor_b32_e32 v8, vcc_hi, v1
	v_xor_b32_e32 v9, vcc_lo, v1
	ds_read_b32 v23, v27 offset:32
	v_and_b32_e32 v1, v0, v8
	v_and_b32_e32 v0, v29, v9
	v_mbcnt_lo_u32_b32 v8, v0, 0
	v_mbcnt_hi_u32_b32 v28, v1, v8
	v_cmp_eq_u32_e32 vcc, 0, v28
	v_cmp_ne_u64_e64 s[0:1], 0, v[0:1]
	s_and_b64 s[4:5], s[0:1], vcc
	; wave barrier
	s_and_saveexec_b64 s[0:1], s[4:5]
	s_cbranch_execz .LBB1688_297
; %bb.296:
	v_bcnt_u32_b32 v0, v0, 0
	v_bcnt_u32_b32 v0, v1, v0
	s_waitcnt lgkmcnt(0)
	v_add_u32_e32 v0, v23, v0
	ds_write_b32 v27, v0 offset:32
.LBB1688_297:
	s_or_b64 exec, exec, s[0:1]
	s_waitcnt vmcnt(17)
	v_xor_b32_e32 v26, 0xffff8000, v26
	v_lshrrev_b32_sdwa v0, s8, v26 dst_sel:DWORD dst_unused:UNUSED_PAD src0_sel:DWORD src1_sel:WORD_0
	v_and_b32_e32 v33, s9, v0
	v_and_b32_e32 v0, 1, v33
	v_mov_b32_e32 v1, 0
	v_lshl_add_u64 v[8:9], v[0:1], 0, -1
	v_cmp_ne_u32_e32 vcc, 0, v0
	v_mad_u32_u24 v32, v33, 36, v24
	s_nop 0
	v_xor_b32_e32 v8, vcc_lo, v8
	v_xor_b32_e32 v0, vcc_hi, v9
	v_and_b32_e32 v34, exec_lo, v8
	v_lshlrev_b32_e32 v9, 30, v33
	v_mov_b32_e32 v8, v1
	v_cmp_gt_i64_e32 vcc, 0, v[8:9]
	v_not_b32_e32 v8, v9
	v_ashrrev_i32_e32 v8, 31, v8
	v_and_b32_e32 v0, exec_hi, v0
	v_xor_b32_e32 v9, vcc_hi, v8
	v_xor_b32_e32 v8, vcc_lo, v8
	v_and_b32_e32 v0, v0, v9
	v_and_b32_e32 v34, v34, v8
	v_lshlrev_b32_e32 v9, 29, v33
	v_mov_b32_e32 v8, v1
	v_cmp_gt_i64_e32 vcc, 0, v[8:9]
	v_not_b32_e32 v8, v9
	v_ashrrev_i32_e32 v8, 31, v8
	v_xor_b32_e32 v9, vcc_hi, v8
	v_xor_b32_e32 v8, vcc_lo, v8
	v_and_b32_e32 v0, v0, v9
	v_and_b32_e32 v34, v34, v8
	v_lshlrev_b32_e32 v9, 28, v33
	v_mov_b32_e32 v8, v1
	v_cmp_gt_i64_e32 vcc, 0, v[8:9]
	v_not_b32_e32 v8, v9
	v_ashrrev_i32_e32 v8, 31, v8
	;; [unrolled: 9-line block ×4, first 2 shown]
	v_xor_b32_e32 v9, vcc_hi, v8
	v_xor_b32_e32 v8, vcc_lo, v8
	; wave barrier
	ds_read_b32 v29, v32 offset:32
	v_and_b32_e32 v8, v34, v8
	v_and_b32_e32 v9, v0, v9
	v_mbcnt_lo_u32_b32 v0, v8, 0
	v_mbcnt_hi_u32_b32 v33, v9, v0
	v_cmp_eq_u32_e32 vcc, 0, v33
	v_cmp_ne_u64_e64 s[0:1], 0, v[8:9]
	s_and_b64 s[4:5], s[0:1], vcc
	; wave barrier
	s_and_saveexec_b64 s[0:1], s[4:5]
	s_cbranch_execz .LBB1688_299
; %bb.298:
	v_bcnt_u32_b32 v0, v8, 0
	v_bcnt_u32_b32 v0, v9, v0
	s_waitcnt lgkmcnt(0)
	v_add_u32_e32 v0, v29, v0
	ds_write_b32 v32, v0 offset:32
.LBB1688_299:
	s_or_b64 exec, exec, s[0:1]
	s_waitcnt vmcnt(16)
	v_xor_b32_e32 v31, 0xffff8000, v31
	v_lshrrev_b32_sdwa v0, s8, v31 dst_sel:DWORD dst_unused:UNUSED_PAD src0_sel:DWORD src1_sel:WORD_0
	v_and_b32_e32 v38, s9, v0
	v_and_b32_e32 v0, 1, v38
	v_lshl_add_u64 v[8:9], v[0:1], 0, -1
	v_cmp_ne_u32_e32 vcc, 0, v0
	v_mad_u32_u24 v37, v38, 36, v24
	s_nop 0
	v_xor_b32_e32 v8, vcc_lo, v8
	v_xor_b32_e32 v0, vcc_hi, v9
	v_and_b32_e32 v39, exec_lo, v8
	v_lshlrev_b32_e32 v9, 30, v38
	v_mov_b32_e32 v8, v1
	v_cmp_gt_i64_e32 vcc, 0, v[8:9]
	v_not_b32_e32 v8, v9
	v_ashrrev_i32_e32 v8, 31, v8
	v_and_b32_e32 v0, exec_hi, v0
	v_xor_b32_e32 v9, vcc_hi, v8
	v_xor_b32_e32 v8, vcc_lo, v8
	v_and_b32_e32 v0, v0, v9
	v_and_b32_e32 v39, v39, v8
	v_lshlrev_b32_e32 v9, 29, v38
	v_mov_b32_e32 v8, v1
	v_cmp_gt_i64_e32 vcc, 0, v[8:9]
	v_not_b32_e32 v8, v9
	v_ashrrev_i32_e32 v8, 31, v8
	v_xor_b32_e32 v9, vcc_hi, v8
	v_xor_b32_e32 v8, vcc_lo, v8
	v_and_b32_e32 v0, v0, v9
	v_and_b32_e32 v39, v39, v8
	v_lshlrev_b32_e32 v9, 28, v38
	v_mov_b32_e32 v8, v1
	v_cmp_gt_i64_e32 vcc, 0, v[8:9]
	v_not_b32_e32 v8, v9
	v_ashrrev_i32_e32 v8, 31, v8
	;; [unrolled: 9-line block ×3, first 2 shown]
	v_xor_b32_e32 v9, vcc_hi, v8
	v_xor_b32_e32 v8, vcc_lo, v8
	v_and_b32_e32 v0, v0, v9
	v_lshlrev_b32_e32 v9, 26, v38
	v_and_b32_e32 v39, v39, v8
	v_mov_b32_e32 v8, v1
	v_not_b32_e32 v1, v9
	v_cmp_gt_i64_e32 vcc, 0, v[8:9]
	v_ashrrev_i32_e32 v1, 31, v1
	; wave barrier
	s_nop 0
	v_xor_b32_e32 v8, vcc_hi, v1
	v_xor_b32_e32 v9, vcc_lo, v1
	ds_read_b32 v34, v37 offset:32
	v_and_b32_e32 v1, v0, v8
	v_and_b32_e32 v0, v39, v9
	v_mbcnt_lo_u32_b32 v8, v0, 0
	v_mbcnt_hi_u32_b32 v38, v1, v8
	v_cmp_eq_u32_e32 vcc, 0, v38
	v_cmp_ne_u64_e64 s[0:1], 0, v[0:1]
	s_and_b64 s[4:5], s[0:1], vcc
	; wave barrier
	s_and_saveexec_b64 s[0:1], s[4:5]
	s_cbranch_execz .LBB1688_301
; %bb.300:
	v_bcnt_u32_b32 v0, v0, 0
	v_bcnt_u32_b32 v0, v1, v0
	s_waitcnt lgkmcnt(0)
	v_add_u32_e32 v0, v34, v0
	ds_write_b32 v37, v0 offset:32
.LBB1688_301:
	s_or_b64 exec, exec, s[0:1]
	s_waitcnt vmcnt(15)
	v_xor_b32_e32 v36, 0xffff8000, v36
	v_lshrrev_b32_sdwa v0, s8, v36 dst_sel:DWORD dst_unused:UNUSED_PAD src0_sel:DWORD src1_sel:WORD_0
	v_and_b32_e32 v43, s9, v0
	v_and_b32_e32 v0, 1, v43
	v_mov_b32_e32 v1, 0
	v_lshl_add_u64 v[8:9], v[0:1], 0, -1
	v_cmp_ne_u32_e32 vcc, 0, v0
	v_mad_u32_u24 v42, v43, 36, v24
	s_nop 0
	v_xor_b32_e32 v8, vcc_lo, v8
	v_xor_b32_e32 v0, vcc_hi, v9
	v_and_b32_e32 v44, exec_lo, v8
	v_lshlrev_b32_e32 v9, 30, v43
	v_mov_b32_e32 v8, v1
	v_cmp_gt_i64_e32 vcc, 0, v[8:9]
	v_not_b32_e32 v8, v9
	v_ashrrev_i32_e32 v8, 31, v8
	v_and_b32_e32 v0, exec_hi, v0
	v_xor_b32_e32 v9, vcc_hi, v8
	v_xor_b32_e32 v8, vcc_lo, v8
	v_and_b32_e32 v0, v0, v9
	v_and_b32_e32 v44, v44, v8
	v_lshlrev_b32_e32 v9, 29, v43
	v_mov_b32_e32 v8, v1
	v_cmp_gt_i64_e32 vcc, 0, v[8:9]
	v_not_b32_e32 v8, v9
	v_ashrrev_i32_e32 v8, 31, v8
	v_xor_b32_e32 v9, vcc_hi, v8
	v_xor_b32_e32 v8, vcc_lo, v8
	v_and_b32_e32 v0, v0, v9
	v_and_b32_e32 v44, v44, v8
	v_lshlrev_b32_e32 v9, 28, v43
	v_mov_b32_e32 v8, v1
	v_cmp_gt_i64_e32 vcc, 0, v[8:9]
	v_not_b32_e32 v8, v9
	v_ashrrev_i32_e32 v8, 31, v8
	;; [unrolled: 9-line block ×4, first 2 shown]
	v_xor_b32_e32 v9, vcc_hi, v8
	v_xor_b32_e32 v8, vcc_lo, v8
	; wave barrier
	ds_read_b32 v39, v42 offset:32
	v_and_b32_e32 v8, v44, v8
	v_and_b32_e32 v9, v0, v9
	v_mbcnt_lo_u32_b32 v0, v8, 0
	v_mbcnt_hi_u32_b32 v43, v9, v0
	v_cmp_eq_u32_e32 vcc, 0, v43
	v_cmp_ne_u64_e64 s[0:1], 0, v[8:9]
	s_and_b64 s[4:5], s[0:1], vcc
	; wave barrier
	s_and_saveexec_b64 s[0:1], s[4:5]
	s_cbranch_execz .LBB1688_303
; %bb.302:
	v_bcnt_u32_b32 v0, v8, 0
	v_bcnt_u32_b32 v0, v9, v0
	s_waitcnt lgkmcnt(0)
	v_add_u32_e32 v0, v39, v0
	ds_write_b32 v42, v0 offset:32
.LBB1688_303:
	s_or_b64 exec, exec, s[0:1]
	s_waitcnt vmcnt(14)
	v_xor_b32_e32 v41, 0xffff8000, v41
	v_lshrrev_b32_sdwa v0, s8, v41 dst_sel:DWORD dst_unused:UNUSED_PAD src0_sel:DWORD src1_sel:WORD_0
	v_and_b32_e32 v48, s9, v0
	v_and_b32_e32 v0, 1, v48
	v_lshl_add_u64 v[8:9], v[0:1], 0, -1
	v_cmp_ne_u32_e32 vcc, 0, v0
	v_mad_u32_u24 v47, v48, 36, v24
	s_nop 0
	v_xor_b32_e32 v8, vcc_lo, v8
	v_xor_b32_e32 v0, vcc_hi, v9
	v_and_b32_e32 v49, exec_lo, v8
	v_lshlrev_b32_e32 v9, 30, v48
	v_mov_b32_e32 v8, v1
	v_cmp_gt_i64_e32 vcc, 0, v[8:9]
	v_not_b32_e32 v8, v9
	v_ashrrev_i32_e32 v8, 31, v8
	v_and_b32_e32 v0, exec_hi, v0
	v_xor_b32_e32 v9, vcc_hi, v8
	v_xor_b32_e32 v8, vcc_lo, v8
	v_and_b32_e32 v0, v0, v9
	v_and_b32_e32 v49, v49, v8
	v_lshlrev_b32_e32 v9, 29, v48
	v_mov_b32_e32 v8, v1
	v_cmp_gt_i64_e32 vcc, 0, v[8:9]
	v_not_b32_e32 v8, v9
	v_ashrrev_i32_e32 v8, 31, v8
	v_xor_b32_e32 v9, vcc_hi, v8
	v_xor_b32_e32 v8, vcc_lo, v8
	v_and_b32_e32 v0, v0, v9
	v_and_b32_e32 v49, v49, v8
	v_lshlrev_b32_e32 v9, 28, v48
	v_mov_b32_e32 v8, v1
	v_cmp_gt_i64_e32 vcc, 0, v[8:9]
	v_not_b32_e32 v8, v9
	v_ashrrev_i32_e32 v8, 31, v8
	;; [unrolled: 9-line block ×3, first 2 shown]
	v_xor_b32_e32 v9, vcc_hi, v8
	v_xor_b32_e32 v8, vcc_lo, v8
	v_and_b32_e32 v0, v0, v9
	v_lshlrev_b32_e32 v9, 26, v48
	v_and_b32_e32 v49, v49, v8
	v_mov_b32_e32 v8, v1
	v_not_b32_e32 v1, v9
	v_cmp_gt_i64_e32 vcc, 0, v[8:9]
	v_ashrrev_i32_e32 v1, 31, v1
	; wave barrier
	s_nop 0
	v_xor_b32_e32 v8, vcc_hi, v1
	v_xor_b32_e32 v9, vcc_lo, v1
	ds_read_b32 v44, v47 offset:32
	v_and_b32_e32 v1, v0, v8
	v_and_b32_e32 v0, v49, v9
	v_mbcnt_lo_u32_b32 v8, v0, 0
	v_mbcnt_hi_u32_b32 v48, v1, v8
	v_cmp_eq_u32_e32 vcc, 0, v48
	v_cmp_ne_u64_e64 s[0:1], 0, v[0:1]
	s_and_b64 s[4:5], s[0:1], vcc
	; wave barrier
	s_and_saveexec_b64 s[0:1], s[4:5]
	s_cbranch_execz .LBB1688_305
; %bb.304:
	v_bcnt_u32_b32 v0, v0, 0
	v_bcnt_u32_b32 v0, v1, v0
	s_waitcnt lgkmcnt(0)
	v_add_u32_e32 v0, v44, v0
	ds_write_b32 v47, v0 offset:32
.LBB1688_305:
	s_or_b64 exec, exec, s[0:1]
	s_waitcnt vmcnt(13)
	v_xor_b32_e32 v46, 0xffff8000, v46
	v_lshrrev_b32_sdwa v0, s8, v46 dst_sel:DWORD dst_unused:UNUSED_PAD src0_sel:DWORD src1_sel:WORD_0
	v_and_b32_e32 v53, s9, v0
	v_and_b32_e32 v0, 1, v53
	v_mov_b32_e32 v1, 0
	v_lshl_add_u64 v[8:9], v[0:1], 0, -1
	v_cmp_ne_u32_e32 vcc, 0, v0
	v_mad_u32_u24 v52, v53, 36, v24
	s_nop 0
	v_xor_b32_e32 v8, vcc_lo, v8
	v_xor_b32_e32 v0, vcc_hi, v9
	v_and_b32_e32 v54, exec_lo, v8
	v_lshlrev_b32_e32 v9, 30, v53
	v_mov_b32_e32 v8, v1
	v_cmp_gt_i64_e32 vcc, 0, v[8:9]
	v_not_b32_e32 v8, v9
	v_ashrrev_i32_e32 v8, 31, v8
	v_and_b32_e32 v0, exec_hi, v0
	v_xor_b32_e32 v9, vcc_hi, v8
	v_xor_b32_e32 v8, vcc_lo, v8
	v_and_b32_e32 v0, v0, v9
	v_and_b32_e32 v54, v54, v8
	v_lshlrev_b32_e32 v9, 29, v53
	v_mov_b32_e32 v8, v1
	v_cmp_gt_i64_e32 vcc, 0, v[8:9]
	v_not_b32_e32 v8, v9
	v_ashrrev_i32_e32 v8, 31, v8
	v_xor_b32_e32 v9, vcc_hi, v8
	v_xor_b32_e32 v8, vcc_lo, v8
	v_and_b32_e32 v0, v0, v9
	v_and_b32_e32 v54, v54, v8
	v_lshlrev_b32_e32 v9, 28, v53
	v_mov_b32_e32 v8, v1
	v_cmp_gt_i64_e32 vcc, 0, v[8:9]
	v_not_b32_e32 v8, v9
	v_ashrrev_i32_e32 v8, 31, v8
	;; [unrolled: 9-line block ×4, first 2 shown]
	v_xor_b32_e32 v9, vcc_hi, v8
	v_xor_b32_e32 v8, vcc_lo, v8
	; wave barrier
	ds_read_b32 v49, v52 offset:32
	v_and_b32_e32 v8, v54, v8
	v_and_b32_e32 v9, v0, v9
	v_mbcnt_lo_u32_b32 v0, v8, 0
	v_mbcnt_hi_u32_b32 v53, v9, v0
	v_cmp_eq_u32_e32 vcc, 0, v53
	v_cmp_ne_u64_e64 s[0:1], 0, v[8:9]
	s_and_b64 s[4:5], s[0:1], vcc
	; wave barrier
	s_and_saveexec_b64 s[0:1], s[4:5]
	s_cbranch_execz .LBB1688_307
; %bb.306:
	v_bcnt_u32_b32 v0, v8, 0
	v_bcnt_u32_b32 v0, v9, v0
	s_waitcnt lgkmcnt(0)
	v_add_u32_e32 v0, v49, v0
	ds_write_b32 v52, v0 offset:32
.LBB1688_307:
	s_or_b64 exec, exec, s[0:1]
	s_waitcnt vmcnt(12)
	v_xor_b32_e32 v51, 0xffff8000, v51
	v_lshrrev_b32_sdwa v0, s8, v51 dst_sel:DWORD dst_unused:UNUSED_PAD src0_sel:DWORD src1_sel:WORD_0
	v_and_b32_e32 v58, s9, v0
	v_and_b32_e32 v0, 1, v58
	v_lshl_add_u64 v[8:9], v[0:1], 0, -1
	v_cmp_ne_u32_e32 vcc, 0, v0
	v_mad_u32_u24 v57, v58, 36, v24
	s_nop 0
	v_xor_b32_e32 v8, vcc_lo, v8
	v_xor_b32_e32 v0, vcc_hi, v9
	v_and_b32_e32 v59, exec_lo, v8
	v_lshlrev_b32_e32 v9, 30, v58
	v_mov_b32_e32 v8, v1
	v_cmp_gt_i64_e32 vcc, 0, v[8:9]
	v_not_b32_e32 v8, v9
	v_ashrrev_i32_e32 v8, 31, v8
	v_and_b32_e32 v0, exec_hi, v0
	v_xor_b32_e32 v9, vcc_hi, v8
	v_xor_b32_e32 v8, vcc_lo, v8
	v_and_b32_e32 v0, v0, v9
	v_and_b32_e32 v59, v59, v8
	v_lshlrev_b32_e32 v9, 29, v58
	v_mov_b32_e32 v8, v1
	v_cmp_gt_i64_e32 vcc, 0, v[8:9]
	v_not_b32_e32 v8, v9
	v_ashrrev_i32_e32 v8, 31, v8
	v_xor_b32_e32 v9, vcc_hi, v8
	v_xor_b32_e32 v8, vcc_lo, v8
	v_and_b32_e32 v0, v0, v9
	v_and_b32_e32 v59, v59, v8
	v_lshlrev_b32_e32 v9, 28, v58
	v_mov_b32_e32 v8, v1
	v_cmp_gt_i64_e32 vcc, 0, v[8:9]
	v_not_b32_e32 v8, v9
	v_ashrrev_i32_e32 v8, 31, v8
	;; [unrolled: 9-line block ×3, first 2 shown]
	v_xor_b32_e32 v9, vcc_hi, v8
	v_xor_b32_e32 v8, vcc_lo, v8
	v_and_b32_e32 v0, v0, v9
	v_lshlrev_b32_e32 v9, 26, v58
	v_and_b32_e32 v59, v59, v8
	v_mov_b32_e32 v8, v1
	v_not_b32_e32 v1, v9
	v_cmp_gt_i64_e32 vcc, 0, v[8:9]
	v_ashrrev_i32_e32 v1, 31, v1
	; wave barrier
	s_nop 0
	v_xor_b32_e32 v8, vcc_hi, v1
	v_xor_b32_e32 v9, vcc_lo, v1
	ds_read_b32 v54, v57 offset:32
	v_and_b32_e32 v1, v0, v8
	v_and_b32_e32 v0, v59, v9
	v_mbcnt_lo_u32_b32 v8, v0, 0
	v_mbcnt_hi_u32_b32 v58, v1, v8
	v_cmp_eq_u32_e32 vcc, 0, v58
	v_cmp_ne_u64_e64 s[0:1], 0, v[0:1]
	s_and_b64 s[4:5], s[0:1], vcc
	; wave barrier
	s_and_saveexec_b64 s[0:1], s[4:5]
	s_cbranch_execz .LBB1688_309
; %bb.308:
	v_bcnt_u32_b32 v0, v0, 0
	v_bcnt_u32_b32 v0, v1, v0
	s_waitcnt lgkmcnt(0)
	v_add_u32_e32 v0, v54, v0
	ds_write_b32 v57, v0 offset:32
.LBB1688_309:
	s_or_b64 exec, exec, s[0:1]
	s_waitcnt vmcnt(11)
	v_xor_b32_e32 v56, 0xffff8000, v56
	v_lshrrev_b32_sdwa v0, s8, v56 dst_sel:DWORD dst_unused:UNUSED_PAD src0_sel:DWORD src1_sel:WORD_0
	v_and_b32_e32 v63, s9, v0
	v_and_b32_e32 v0, 1, v63
	v_mov_b32_e32 v1, 0
	v_lshl_add_u64 v[8:9], v[0:1], 0, -1
	v_cmp_ne_u32_e32 vcc, 0, v0
	v_mad_u32_u24 v62, v63, 36, v24
	s_nop 0
	v_xor_b32_e32 v8, vcc_lo, v8
	v_xor_b32_e32 v0, vcc_hi, v9
	v_and_b32_e32 v64, exec_lo, v8
	v_lshlrev_b32_e32 v9, 30, v63
	v_mov_b32_e32 v8, v1
	v_cmp_gt_i64_e32 vcc, 0, v[8:9]
	v_not_b32_e32 v8, v9
	v_ashrrev_i32_e32 v8, 31, v8
	v_and_b32_e32 v0, exec_hi, v0
	v_xor_b32_e32 v9, vcc_hi, v8
	v_xor_b32_e32 v8, vcc_lo, v8
	v_and_b32_e32 v0, v0, v9
	v_and_b32_e32 v64, v64, v8
	v_lshlrev_b32_e32 v9, 29, v63
	v_mov_b32_e32 v8, v1
	v_cmp_gt_i64_e32 vcc, 0, v[8:9]
	v_not_b32_e32 v8, v9
	v_ashrrev_i32_e32 v8, 31, v8
	v_xor_b32_e32 v9, vcc_hi, v8
	v_xor_b32_e32 v8, vcc_lo, v8
	v_and_b32_e32 v0, v0, v9
	v_and_b32_e32 v64, v64, v8
	v_lshlrev_b32_e32 v9, 28, v63
	v_mov_b32_e32 v8, v1
	v_cmp_gt_i64_e32 vcc, 0, v[8:9]
	v_not_b32_e32 v8, v9
	v_ashrrev_i32_e32 v8, 31, v8
	v_xor_b32_e32 v9, vcc_hi, v8
	v_xor_b32_e32 v8, vcc_lo, v8
	v_and_b32_e32 v0, v0, v9
	v_and_b32_e32 v64, v64, v8
	v_lshlrev_b32_e32 v9, 27, v63
	v_mov_b32_e32 v8, v1
	v_cmp_gt_i64_e32 vcc, 0, v[8:9]
	v_not_b32_e32 v8, v9
	v_ashrrev_i32_e32 v8, 31, v8
	v_xor_b32_e32 v9, vcc_hi, v8
	v_xor_b32_e32 v8, vcc_lo, v8
	v_and_b32_e32 v0, v0, v9
	v_and_b32_e32 v64, v64, v8
	v_lshlrev_b32_e32 v9, 26, v63
	v_mov_b32_e32 v8, v1
	v_cmp_gt_i64_e32 vcc, 0, v[8:9]
	v_not_b32_e32 v8, v9
	v_ashrrev_i32_e32 v8, 31, v8
	v_xor_b32_e32 v9, vcc_hi, v8
	v_xor_b32_e32 v8, vcc_lo, v8
	; wave barrier
	ds_read_b32 v59, v62 offset:32
	v_and_b32_e32 v8, v64, v8
	v_and_b32_e32 v9, v0, v9
	v_mbcnt_lo_u32_b32 v0, v8, 0
	v_mbcnt_hi_u32_b32 v63, v9, v0
	v_cmp_eq_u32_e32 vcc, 0, v63
	v_cmp_ne_u64_e64 s[0:1], 0, v[8:9]
	s_and_b64 s[4:5], s[0:1], vcc
	; wave barrier
	s_and_saveexec_b64 s[0:1], s[4:5]
	s_cbranch_execz .LBB1688_311
; %bb.310:
	v_bcnt_u32_b32 v0, v8, 0
	v_bcnt_u32_b32 v0, v9, v0
	s_waitcnt lgkmcnt(0)
	v_add_u32_e32 v0, v59, v0
	ds_write_b32 v62, v0 offset:32
.LBB1688_311:
	s_or_b64 exec, exec, s[0:1]
	s_waitcnt vmcnt(10)
	v_xor_b32_e32 v61, 0xffff8000, v61
	v_lshrrev_b32_sdwa v0, s8, v61 dst_sel:DWORD dst_unused:UNUSED_PAD src0_sel:DWORD src1_sel:WORD_0
	v_and_b32_e32 v67, s9, v0
	v_and_b32_e32 v0, 1, v67
	v_lshl_add_u64 v[8:9], v[0:1], 0, -1
	v_cmp_ne_u32_e32 vcc, 0, v0
	v_mad_u32_u24 v66, v67, 36, v24
	s_nop 0
	v_xor_b32_e32 v8, vcc_lo, v8
	v_xor_b32_e32 v0, vcc_hi, v9
	v_and_b32_e32 v68, exec_lo, v8
	v_lshlrev_b32_e32 v9, 30, v67
	v_mov_b32_e32 v8, v1
	v_cmp_gt_i64_e32 vcc, 0, v[8:9]
	v_not_b32_e32 v8, v9
	v_ashrrev_i32_e32 v8, 31, v8
	v_and_b32_e32 v0, exec_hi, v0
	v_xor_b32_e32 v9, vcc_hi, v8
	v_xor_b32_e32 v8, vcc_lo, v8
	v_and_b32_e32 v0, v0, v9
	v_and_b32_e32 v68, v68, v8
	v_lshlrev_b32_e32 v9, 29, v67
	v_mov_b32_e32 v8, v1
	v_cmp_gt_i64_e32 vcc, 0, v[8:9]
	v_not_b32_e32 v8, v9
	v_ashrrev_i32_e32 v8, 31, v8
	v_xor_b32_e32 v9, vcc_hi, v8
	v_xor_b32_e32 v8, vcc_lo, v8
	v_and_b32_e32 v0, v0, v9
	v_and_b32_e32 v68, v68, v8
	v_lshlrev_b32_e32 v9, 28, v67
	v_mov_b32_e32 v8, v1
	v_cmp_gt_i64_e32 vcc, 0, v[8:9]
	v_not_b32_e32 v8, v9
	v_ashrrev_i32_e32 v8, 31, v8
	;; [unrolled: 9-line block ×3, first 2 shown]
	v_xor_b32_e32 v9, vcc_hi, v8
	v_xor_b32_e32 v8, vcc_lo, v8
	v_and_b32_e32 v0, v0, v9
	v_lshlrev_b32_e32 v9, 26, v67
	v_and_b32_e32 v68, v68, v8
	v_mov_b32_e32 v8, v1
	v_not_b32_e32 v1, v9
	v_cmp_gt_i64_e32 vcc, 0, v[8:9]
	v_ashrrev_i32_e32 v1, 31, v1
	; wave barrier
	s_nop 0
	v_xor_b32_e32 v8, vcc_hi, v1
	v_xor_b32_e32 v9, vcc_lo, v1
	ds_read_b32 v64, v66 offset:32
	v_and_b32_e32 v1, v0, v8
	v_and_b32_e32 v0, v68, v9
	v_mbcnt_lo_u32_b32 v8, v0, 0
	v_mbcnt_hi_u32_b32 v67, v1, v8
	v_cmp_eq_u32_e32 vcc, 0, v67
	v_cmp_ne_u64_e64 s[0:1], 0, v[0:1]
	s_and_b64 s[4:5], s[0:1], vcc
	; wave barrier
	s_and_saveexec_b64 s[0:1], s[4:5]
	s_cbranch_execz .LBB1688_313
; %bb.312:
	v_bcnt_u32_b32 v0, v0, 0
	v_bcnt_u32_b32 v0, v1, v0
	s_waitcnt lgkmcnt(0)
	v_add_u32_e32 v0, v64, v0
	ds_write_b32 v66, v0 offset:32
.LBB1688_313:
	s_or_b64 exec, exec, s[0:1]
	s_waitcnt vmcnt(9)
	v_xor_b32_e32 v65, 0xffff8000, v65
	v_lshrrev_b32_sdwa v0, s8, v65 dst_sel:DWORD dst_unused:UNUSED_PAD src0_sel:DWORD src1_sel:WORD_0
	v_and_b32_e32 v70, s9, v0
	v_and_b32_e32 v0, 1, v70
	v_mov_b32_e32 v1, 0
	v_lshl_add_u64 v[8:9], v[0:1], 0, -1
	v_cmp_ne_u32_e32 vcc, 0, v0
	v_mad_u32_u24 v69, v70, 36, v24
	s_nop 0
	v_xor_b32_e32 v8, vcc_lo, v8
	v_xor_b32_e32 v0, vcc_hi, v9
	v_and_b32_e32 v71, exec_lo, v8
	v_lshlrev_b32_e32 v9, 30, v70
	v_mov_b32_e32 v8, v1
	v_cmp_gt_i64_e32 vcc, 0, v[8:9]
	v_not_b32_e32 v8, v9
	v_ashrrev_i32_e32 v8, 31, v8
	v_and_b32_e32 v0, exec_hi, v0
	v_xor_b32_e32 v9, vcc_hi, v8
	v_xor_b32_e32 v8, vcc_lo, v8
	v_and_b32_e32 v0, v0, v9
	v_and_b32_e32 v71, v71, v8
	v_lshlrev_b32_e32 v9, 29, v70
	v_mov_b32_e32 v8, v1
	v_cmp_gt_i64_e32 vcc, 0, v[8:9]
	v_not_b32_e32 v8, v9
	v_ashrrev_i32_e32 v8, 31, v8
	v_xor_b32_e32 v9, vcc_hi, v8
	v_xor_b32_e32 v8, vcc_lo, v8
	v_and_b32_e32 v0, v0, v9
	v_and_b32_e32 v71, v71, v8
	v_lshlrev_b32_e32 v9, 28, v70
	v_mov_b32_e32 v8, v1
	v_cmp_gt_i64_e32 vcc, 0, v[8:9]
	v_not_b32_e32 v8, v9
	v_ashrrev_i32_e32 v8, 31, v8
	v_xor_b32_e32 v9, vcc_hi, v8
	v_xor_b32_e32 v8, vcc_lo, v8
	v_and_b32_e32 v0, v0, v9
	v_and_b32_e32 v71, v71, v8
	v_lshlrev_b32_e32 v9, 27, v70
	v_mov_b32_e32 v8, v1
	v_cmp_gt_i64_e32 vcc, 0, v[8:9]
	v_not_b32_e32 v8, v9
	v_ashrrev_i32_e32 v8, 31, v8
	v_xor_b32_e32 v9, vcc_hi, v8
	v_xor_b32_e32 v8, vcc_lo, v8
	v_and_b32_e32 v0, v0, v9
	v_and_b32_e32 v71, v71, v8
	v_lshlrev_b32_e32 v9, 26, v70
	v_mov_b32_e32 v8, v1
	v_cmp_gt_i64_e32 vcc, 0, v[8:9]
	v_not_b32_e32 v8, v9
	v_ashrrev_i32_e32 v8, 31, v8
	v_xor_b32_e32 v9, vcc_hi, v8
	v_xor_b32_e32 v8, vcc_lo, v8
	; wave barrier
	ds_read_b32 v68, v69 offset:32
	v_and_b32_e32 v8, v71, v8
	v_and_b32_e32 v9, v0, v9
	v_mbcnt_lo_u32_b32 v0, v8, 0
	v_mbcnt_hi_u32_b32 v70, v9, v0
	v_cmp_eq_u32_e32 vcc, 0, v70
	v_cmp_ne_u64_e64 s[0:1], 0, v[8:9]
	s_and_b64 s[4:5], s[0:1], vcc
	; wave barrier
	s_and_saveexec_b64 s[0:1], s[4:5]
	s_cbranch_execz .LBB1688_315
; %bb.314:
	v_bcnt_u32_b32 v0, v8, 0
	v_bcnt_u32_b32 v0, v9, v0
	s_waitcnt lgkmcnt(0)
	v_add_u32_e32 v0, v68, v0
	ds_write_b32 v69, v0 offset:32
.LBB1688_315:
	s_or_b64 exec, exec, s[0:1]
	s_waitcnt vmcnt(8)
	v_xor_b32_e32 v60, 0xffff8000, v60
	v_lshrrev_b32_sdwa v0, s8, v60 dst_sel:DWORD dst_unused:UNUSED_PAD src0_sel:DWORD src1_sel:WORD_0
	v_and_b32_e32 v73, s9, v0
	v_and_b32_e32 v0, 1, v73
	v_lshl_add_u64 v[8:9], v[0:1], 0, -1
	v_cmp_ne_u32_e32 vcc, 0, v0
	v_mad_u32_u24 v72, v73, 36, v24
	s_nop 0
	v_xor_b32_e32 v8, vcc_lo, v8
	v_xor_b32_e32 v0, vcc_hi, v9
	v_and_b32_e32 v74, exec_lo, v8
	v_lshlrev_b32_e32 v9, 30, v73
	v_mov_b32_e32 v8, v1
	v_cmp_gt_i64_e32 vcc, 0, v[8:9]
	v_not_b32_e32 v8, v9
	v_ashrrev_i32_e32 v8, 31, v8
	v_and_b32_e32 v0, exec_hi, v0
	v_xor_b32_e32 v9, vcc_hi, v8
	v_xor_b32_e32 v8, vcc_lo, v8
	v_and_b32_e32 v0, v0, v9
	v_and_b32_e32 v74, v74, v8
	v_lshlrev_b32_e32 v9, 29, v73
	v_mov_b32_e32 v8, v1
	v_cmp_gt_i64_e32 vcc, 0, v[8:9]
	v_not_b32_e32 v8, v9
	v_ashrrev_i32_e32 v8, 31, v8
	v_xor_b32_e32 v9, vcc_hi, v8
	v_xor_b32_e32 v8, vcc_lo, v8
	v_and_b32_e32 v0, v0, v9
	v_and_b32_e32 v74, v74, v8
	v_lshlrev_b32_e32 v9, 28, v73
	v_mov_b32_e32 v8, v1
	v_cmp_gt_i64_e32 vcc, 0, v[8:9]
	v_not_b32_e32 v8, v9
	v_ashrrev_i32_e32 v8, 31, v8
	;; [unrolled: 9-line block ×3, first 2 shown]
	v_xor_b32_e32 v9, vcc_hi, v8
	v_xor_b32_e32 v8, vcc_lo, v8
	v_and_b32_e32 v0, v0, v9
	v_lshlrev_b32_e32 v9, 26, v73
	v_and_b32_e32 v74, v74, v8
	v_mov_b32_e32 v8, v1
	v_not_b32_e32 v1, v9
	v_cmp_gt_i64_e32 vcc, 0, v[8:9]
	v_ashrrev_i32_e32 v1, 31, v1
	; wave barrier
	s_nop 0
	v_xor_b32_e32 v8, vcc_hi, v1
	v_xor_b32_e32 v9, vcc_lo, v1
	ds_read_b32 v71, v72 offset:32
	v_and_b32_e32 v1, v0, v8
	v_and_b32_e32 v0, v74, v9
	v_mbcnt_lo_u32_b32 v8, v0, 0
	v_mbcnt_hi_u32_b32 v73, v1, v8
	v_cmp_eq_u32_e32 vcc, 0, v73
	v_cmp_ne_u64_e64 s[0:1], 0, v[0:1]
	s_and_b64 s[4:5], s[0:1], vcc
	; wave barrier
	s_and_saveexec_b64 s[0:1], s[4:5]
	s_cbranch_execz .LBB1688_317
; %bb.316:
	v_bcnt_u32_b32 v0, v0, 0
	v_bcnt_u32_b32 v0, v1, v0
	s_waitcnt lgkmcnt(0)
	v_add_u32_e32 v0, v71, v0
	ds_write_b32 v72, v0 offset:32
.LBB1688_317:
	s_or_b64 exec, exec, s[0:1]
	s_waitcnt vmcnt(7)
	v_xor_b32_e32 v55, 0xffff8000, v55
	v_lshrrev_b32_sdwa v0, s8, v55 dst_sel:DWORD dst_unused:UNUSED_PAD src0_sel:DWORD src1_sel:WORD_0
	v_and_b32_e32 v76, s9, v0
	v_and_b32_e32 v0, 1, v76
	v_mov_b32_e32 v1, 0
	v_lshl_add_u64 v[8:9], v[0:1], 0, -1
	v_cmp_ne_u32_e32 vcc, 0, v0
	v_mad_u32_u24 v75, v76, 36, v24
	s_nop 0
	v_xor_b32_e32 v8, vcc_lo, v8
	v_xor_b32_e32 v0, vcc_hi, v9
	v_and_b32_e32 v77, exec_lo, v8
	v_lshlrev_b32_e32 v9, 30, v76
	v_mov_b32_e32 v8, v1
	v_cmp_gt_i64_e32 vcc, 0, v[8:9]
	v_not_b32_e32 v8, v9
	v_ashrrev_i32_e32 v8, 31, v8
	v_and_b32_e32 v0, exec_hi, v0
	v_xor_b32_e32 v9, vcc_hi, v8
	v_xor_b32_e32 v8, vcc_lo, v8
	v_and_b32_e32 v0, v0, v9
	v_and_b32_e32 v77, v77, v8
	v_lshlrev_b32_e32 v9, 29, v76
	v_mov_b32_e32 v8, v1
	v_cmp_gt_i64_e32 vcc, 0, v[8:9]
	v_not_b32_e32 v8, v9
	v_ashrrev_i32_e32 v8, 31, v8
	v_xor_b32_e32 v9, vcc_hi, v8
	v_xor_b32_e32 v8, vcc_lo, v8
	v_and_b32_e32 v0, v0, v9
	v_and_b32_e32 v77, v77, v8
	v_lshlrev_b32_e32 v9, 28, v76
	v_mov_b32_e32 v8, v1
	v_cmp_gt_i64_e32 vcc, 0, v[8:9]
	v_not_b32_e32 v8, v9
	v_ashrrev_i32_e32 v8, 31, v8
	;; [unrolled: 9-line block ×4, first 2 shown]
	v_xor_b32_e32 v9, vcc_hi, v8
	v_xor_b32_e32 v8, vcc_lo, v8
	; wave barrier
	ds_read_b32 v74, v75 offset:32
	v_and_b32_e32 v8, v77, v8
	v_and_b32_e32 v9, v0, v9
	v_mbcnt_lo_u32_b32 v0, v8, 0
	v_mbcnt_hi_u32_b32 v76, v9, v0
	v_cmp_eq_u32_e32 vcc, 0, v76
	v_cmp_ne_u64_e64 s[0:1], 0, v[8:9]
	s_and_b64 s[4:5], s[0:1], vcc
	; wave barrier
	s_and_saveexec_b64 s[0:1], s[4:5]
	s_cbranch_execz .LBB1688_319
; %bb.318:
	v_bcnt_u32_b32 v0, v8, 0
	v_bcnt_u32_b32 v0, v9, v0
	s_waitcnt lgkmcnt(0)
	v_add_u32_e32 v0, v74, v0
	ds_write_b32 v75, v0 offset:32
.LBB1688_319:
	s_or_b64 exec, exec, s[0:1]
	s_waitcnt vmcnt(6)
	v_xor_b32_e32 v50, 0xffff8000, v50
	v_lshrrev_b32_sdwa v0, s8, v50 dst_sel:DWORD dst_unused:UNUSED_PAD src0_sel:DWORD src1_sel:WORD_0
	v_and_b32_e32 v79, s9, v0
	v_and_b32_e32 v0, 1, v79
	v_lshl_add_u64 v[8:9], v[0:1], 0, -1
	v_cmp_ne_u32_e32 vcc, 0, v0
	v_mad_u32_u24 v78, v79, 36, v24
	s_nop 0
	v_xor_b32_e32 v8, vcc_lo, v8
	v_xor_b32_e32 v0, vcc_hi, v9
	v_and_b32_e32 v80, exec_lo, v8
	v_lshlrev_b32_e32 v9, 30, v79
	v_mov_b32_e32 v8, v1
	v_cmp_gt_i64_e32 vcc, 0, v[8:9]
	v_not_b32_e32 v8, v9
	v_ashrrev_i32_e32 v8, 31, v8
	v_and_b32_e32 v0, exec_hi, v0
	v_xor_b32_e32 v9, vcc_hi, v8
	v_xor_b32_e32 v8, vcc_lo, v8
	v_and_b32_e32 v0, v0, v9
	v_and_b32_e32 v80, v80, v8
	v_lshlrev_b32_e32 v9, 29, v79
	v_mov_b32_e32 v8, v1
	v_cmp_gt_i64_e32 vcc, 0, v[8:9]
	v_not_b32_e32 v8, v9
	v_ashrrev_i32_e32 v8, 31, v8
	v_xor_b32_e32 v9, vcc_hi, v8
	v_xor_b32_e32 v8, vcc_lo, v8
	v_and_b32_e32 v0, v0, v9
	v_and_b32_e32 v80, v80, v8
	v_lshlrev_b32_e32 v9, 28, v79
	v_mov_b32_e32 v8, v1
	v_cmp_gt_i64_e32 vcc, 0, v[8:9]
	v_not_b32_e32 v8, v9
	v_ashrrev_i32_e32 v8, 31, v8
	;; [unrolled: 9-line block ×3, first 2 shown]
	v_xor_b32_e32 v9, vcc_hi, v8
	v_xor_b32_e32 v8, vcc_lo, v8
	v_and_b32_e32 v0, v0, v9
	v_lshlrev_b32_e32 v9, 26, v79
	v_and_b32_e32 v80, v80, v8
	v_mov_b32_e32 v8, v1
	v_not_b32_e32 v1, v9
	v_cmp_gt_i64_e32 vcc, 0, v[8:9]
	v_ashrrev_i32_e32 v1, 31, v1
	; wave barrier
	s_nop 0
	v_xor_b32_e32 v8, vcc_hi, v1
	v_xor_b32_e32 v9, vcc_lo, v1
	ds_read_b32 v77, v78 offset:32
	v_and_b32_e32 v1, v0, v8
	v_and_b32_e32 v0, v80, v9
	v_mbcnt_lo_u32_b32 v8, v0, 0
	v_mbcnt_hi_u32_b32 v79, v1, v8
	v_cmp_eq_u32_e32 vcc, 0, v79
	v_cmp_ne_u64_e64 s[0:1], 0, v[0:1]
	s_and_b64 s[4:5], s[0:1], vcc
	; wave barrier
	s_and_saveexec_b64 s[0:1], s[4:5]
	s_cbranch_execz .LBB1688_321
; %bb.320:
	v_bcnt_u32_b32 v0, v0, 0
	v_bcnt_u32_b32 v0, v1, v0
	s_waitcnt lgkmcnt(0)
	v_add_u32_e32 v0, v77, v0
	ds_write_b32 v78, v0 offset:32
.LBB1688_321:
	s_or_b64 exec, exec, s[0:1]
	s_waitcnt vmcnt(5)
	v_xor_b32_e32 v45, 0xffff8000, v45
	v_lshrrev_b32_sdwa v0, s8, v45 dst_sel:DWORD dst_unused:UNUSED_PAD src0_sel:DWORD src1_sel:WORD_0
	v_and_b32_e32 v81, s9, v0
	v_and_b32_e32 v0, 1, v81
	v_mov_b32_e32 v1, 0
	v_lshl_add_u64 v[8:9], v[0:1], 0, -1
	v_cmp_ne_u32_e32 vcc, 0, v0
	v_mad_u32_u24 v82, v81, 36, v24
	s_nop 0
	v_xor_b32_e32 v8, vcc_lo, v8
	v_xor_b32_e32 v0, vcc_hi, v9
	v_and_b32_e32 v83, exec_lo, v8
	v_lshlrev_b32_e32 v9, 30, v81
	v_mov_b32_e32 v8, v1
	v_cmp_gt_i64_e32 vcc, 0, v[8:9]
	v_not_b32_e32 v8, v9
	v_ashrrev_i32_e32 v8, 31, v8
	v_and_b32_e32 v0, exec_hi, v0
	v_xor_b32_e32 v9, vcc_hi, v8
	v_xor_b32_e32 v8, vcc_lo, v8
	v_and_b32_e32 v0, v0, v9
	v_and_b32_e32 v83, v83, v8
	v_lshlrev_b32_e32 v9, 29, v81
	v_mov_b32_e32 v8, v1
	v_cmp_gt_i64_e32 vcc, 0, v[8:9]
	v_not_b32_e32 v8, v9
	v_ashrrev_i32_e32 v8, 31, v8
	v_xor_b32_e32 v9, vcc_hi, v8
	v_xor_b32_e32 v8, vcc_lo, v8
	v_and_b32_e32 v0, v0, v9
	v_and_b32_e32 v83, v83, v8
	v_lshlrev_b32_e32 v9, 28, v81
	v_mov_b32_e32 v8, v1
	v_cmp_gt_i64_e32 vcc, 0, v[8:9]
	v_not_b32_e32 v8, v9
	v_ashrrev_i32_e32 v8, 31, v8
	;; [unrolled: 9-line block ×4, first 2 shown]
	v_xor_b32_e32 v9, vcc_hi, v8
	v_xor_b32_e32 v8, vcc_lo, v8
	; wave barrier
	ds_read_b32 v80, v82 offset:32
	v_and_b32_e32 v8, v83, v8
	v_and_b32_e32 v9, v0, v9
	v_mbcnt_lo_u32_b32 v0, v8, 0
	v_mbcnt_hi_u32_b32 v83, v9, v0
	v_cmp_eq_u32_e32 vcc, 0, v83
	v_cmp_ne_u64_e64 s[0:1], 0, v[8:9]
	s_and_b64 s[4:5], s[0:1], vcc
	; wave barrier
	s_and_saveexec_b64 s[0:1], s[4:5]
	s_cbranch_execz .LBB1688_323
; %bb.322:
	v_bcnt_u32_b32 v0, v8, 0
	v_bcnt_u32_b32 v0, v9, v0
	s_waitcnt lgkmcnt(0)
	v_add_u32_e32 v0, v80, v0
	ds_write_b32 v82, v0 offset:32
.LBB1688_323:
	s_or_b64 exec, exec, s[0:1]
	s_waitcnt vmcnt(4)
	v_xor_b32_e32 v81, 0xffff8000, v40
	v_lshrrev_b32_sdwa v0, s8, v81 dst_sel:DWORD dst_unused:UNUSED_PAD src0_sel:DWORD src1_sel:WORD_0
	v_and_b32_e32 v85, s9, v0
	v_and_b32_e32 v0, 1, v85
	v_lshl_add_u64 v[8:9], v[0:1], 0, -1
	v_cmp_ne_u32_e32 vcc, 0, v0
	v_mad_u32_u24 v40, v85, 36, v24
	s_nop 0
	v_xor_b32_e32 v8, vcc_lo, v8
	v_xor_b32_e32 v0, vcc_hi, v9
	v_and_b32_e32 v86, exec_lo, v8
	v_lshlrev_b32_e32 v9, 30, v85
	v_mov_b32_e32 v8, v1
	v_cmp_gt_i64_e32 vcc, 0, v[8:9]
	v_not_b32_e32 v8, v9
	v_ashrrev_i32_e32 v8, 31, v8
	v_and_b32_e32 v0, exec_hi, v0
	v_xor_b32_e32 v9, vcc_hi, v8
	v_xor_b32_e32 v8, vcc_lo, v8
	v_and_b32_e32 v0, v0, v9
	v_and_b32_e32 v86, v86, v8
	v_lshlrev_b32_e32 v9, 29, v85
	v_mov_b32_e32 v8, v1
	v_cmp_gt_i64_e32 vcc, 0, v[8:9]
	v_not_b32_e32 v8, v9
	v_ashrrev_i32_e32 v8, 31, v8
	v_xor_b32_e32 v9, vcc_hi, v8
	v_xor_b32_e32 v8, vcc_lo, v8
	v_and_b32_e32 v0, v0, v9
	v_and_b32_e32 v86, v86, v8
	v_lshlrev_b32_e32 v9, 28, v85
	v_mov_b32_e32 v8, v1
	v_cmp_gt_i64_e32 vcc, 0, v[8:9]
	v_not_b32_e32 v8, v9
	v_ashrrev_i32_e32 v8, 31, v8
	;; [unrolled: 9-line block ×3, first 2 shown]
	v_xor_b32_e32 v9, vcc_hi, v8
	v_xor_b32_e32 v8, vcc_lo, v8
	v_and_b32_e32 v0, v0, v9
	v_lshlrev_b32_e32 v9, 26, v85
	v_and_b32_e32 v86, v86, v8
	v_mov_b32_e32 v8, v1
	v_not_b32_e32 v1, v9
	v_cmp_gt_i64_e32 vcc, 0, v[8:9]
	v_ashrrev_i32_e32 v1, 31, v1
	; wave barrier
	s_nop 0
	v_xor_b32_e32 v8, vcc_hi, v1
	v_xor_b32_e32 v9, vcc_lo, v1
	ds_read_b32 v84, v40 offset:32
	v_and_b32_e32 v1, v0, v8
	v_and_b32_e32 v0, v86, v9
	v_mbcnt_lo_u32_b32 v8, v0, 0
	v_mbcnt_hi_u32_b32 v86, v1, v8
	v_cmp_eq_u32_e32 vcc, 0, v86
	v_cmp_ne_u64_e64 s[0:1], 0, v[0:1]
	s_and_b64 s[4:5], s[0:1], vcc
	; wave barrier
	s_and_saveexec_b64 s[0:1], s[4:5]
	s_cbranch_execz .LBB1688_325
; %bb.324:
	v_bcnt_u32_b32 v0, v0, 0
	v_bcnt_u32_b32 v0, v1, v0
	s_waitcnt lgkmcnt(0)
	v_add_u32_e32 v0, v84, v0
	ds_write_b32 v40, v0 offset:32
.LBB1688_325:
	s_or_b64 exec, exec, s[0:1]
	s_waitcnt vmcnt(3)
	v_xor_b32_e32 v85, 0xffff8000, v35
	v_lshrrev_b32_sdwa v0, s8, v85 dst_sel:DWORD dst_unused:UNUSED_PAD src0_sel:DWORD src1_sel:WORD_0
	v_and_b32_e32 v88, s9, v0
	v_and_b32_e32 v0, 1, v88
	v_mov_b32_e32 v1, 0
	v_lshl_add_u64 v[8:9], v[0:1], 0, -1
	v_cmp_ne_u32_e32 vcc, 0, v0
	v_mad_u32_u24 v35, v88, 36, v24
	s_nop 0
	v_xor_b32_e32 v8, vcc_lo, v8
	v_xor_b32_e32 v0, vcc_hi, v9
	v_and_b32_e32 v89, exec_lo, v8
	v_lshlrev_b32_e32 v9, 30, v88
	v_mov_b32_e32 v8, v1
	v_cmp_gt_i64_e32 vcc, 0, v[8:9]
	v_not_b32_e32 v8, v9
	v_ashrrev_i32_e32 v8, 31, v8
	v_and_b32_e32 v0, exec_hi, v0
	v_xor_b32_e32 v9, vcc_hi, v8
	v_xor_b32_e32 v8, vcc_lo, v8
	v_and_b32_e32 v0, v0, v9
	v_and_b32_e32 v89, v89, v8
	v_lshlrev_b32_e32 v9, 29, v88
	v_mov_b32_e32 v8, v1
	v_cmp_gt_i64_e32 vcc, 0, v[8:9]
	v_not_b32_e32 v8, v9
	v_ashrrev_i32_e32 v8, 31, v8
	v_xor_b32_e32 v9, vcc_hi, v8
	v_xor_b32_e32 v8, vcc_lo, v8
	v_and_b32_e32 v0, v0, v9
	v_and_b32_e32 v89, v89, v8
	v_lshlrev_b32_e32 v9, 28, v88
	v_mov_b32_e32 v8, v1
	v_cmp_gt_i64_e32 vcc, 0, v[8:9]
	v_not_b32_e32 v8, v9
	v_ashrrev_i32_e32 v8, 31, v8
	;; [unrolled: 9-line block ×4, first 2 shown]
	v_xor_b32_e32 v9, vcc_hi, v8
	v_xor_b32_e32 v8, vcc_lo, v8
	; wave barrier
	ds_read_b32 v87, v35 offset:32
	v_and_b32_e32 v8, v89, v8
	v_and_b32_e32 v9, v0, v9
	v_mbcnt_lo_u32_b32 v0, v8, 0
	v_mbcnt_hi_u32_b32 v89, v9, v0
	v_cmp_eq_u32_e32 vcc, 0, v89
	v_cmp_ne_u64_e64 s[0:1], 0, v[8:9]
	s_and_b64 s[4:5], s[0:1], vcc
	; wave barrier
	s_and_saveexec_b64 s[0:1], s[4:5]
	s_cbranch_execz .LBB1688_327
; %bb.326:
	v_bcnt_u32_b32 v0, v8, 0
	v_bcnt_u32_b32 v0, v9, v0
	s_waitcnt lgkmcnt(0)
	v_add_u32_e32 v0, v87, v0
	ds_write_b32 v35, v0 offset:32
.LBB1688_327:
	s_or_b64 exec, exec, s[0:1]
	s_waitcnt vmcnt(2)
	v_xor_b32_e32 v88, 0xffff8000, v30
	v_lshrrev_b32_sdwa v0, s8, v88 dst_sel:DWORD dst_unused:UNUSED_PAD src0_sel:DWORD src1_sel:WORD_0
	v_and_b32_e32 v90, s9, v0
	v_and_b32_e32 v0, 1, v90
	v_lshl_add_u64 v[8:9], v[0:1], 0, -1
	v_cmp_ne_u32_e32 vcc, 0, v0
	v_mad_u32_u24 v91, v90, 36, v24
	s_nop 0
	v_xor_b32_e32 v8, vcc_lo, v8
	v_xor_b32_e32 v0, vcc_hi, v9
	v_and_b32_e32 v92, exec_lo, v8
	v_lshlrev_b32_e32 v9, 30, v90
	v_mov_b32_e32 v8, v1
	v_cmp_gt_i64_e32 vcc, 0, v[8:9]
	v_not_b32_e32 v8, v9
	v_ashrrev_i32_e32 v8, 31, v8
	v_and_b32_e32 v0, exec_hi, v0
	v_xor_b32_e32 v9, vcc_hi, v8
	v_xor_b32_e32 v8, vcc_lo, v8
	v_and_b32_e32 v0, v0, v9
	v_and_b32_e32 v92, v92, v8
	v_lshlrev_b32_e32 v9, 29, v90
	v_mov_b32_e32 v8, v1
	v_cmp_gt_i64_e32 vcc, 0, v[8:9]
	v_not_b32_e32 v8, v9
	v_ashrrev_i32_e32 v8, 31, v8
	v_xor_b32_e32 v9, vcc_hi, v8
	v_xor_b32_e32 v8, vcc_lo, v8
	v_and_b32_e32 v0, v0, v9
	v_and_b32_e32 v92, v92, v8
	v_lshlrev_b32_e32 v9, 28, v90
	v_mov_b32_e32 v8, v1
	v_cmp_gt_i64_e32 vcc, 0, v[8:9]
	v_not_b32_e32 v8, v9
	v_ashrrev_i32_e32 v8, 31, v8
	;; [unrolled: 9-line block ×3, first 2 shown]
	v_xor_b32_e32 v9, vcc_hi, v8
	v_xor_b32_e32 v8, vcc_lo, v8
	v_and_b32_e32 v0, v0, v9
	v_lshlrev_b32_e32 v9, 26, v90
	v_and_b32_e32 v92, v92, v8
	v_mov_b32_e32 v8, v1
	v_not_b32_e32 v1, v9
	v_cmp_gt_i64_e32 vcc, 0, v[8:9]
	v_ashrrev_i32_e32 v1, 31, v1
	; wave barrier
	s_nop 0
	v_xor_b32_e32 v8, vcc_hi, v1
	v_xor_b32_e32 v9, vcc_lo, v1
	ds_read_b32 v30, v91 offset:32
	v_and_b32_e32 v1, v0, v8
	v_and_b32_e32 v0, v92, v9
	v_mbcnt_lo_u32_b32 v8, v0, 0
	v_mbcnt_hi_u32_b32 v92, v1, v8
	v_cmp_eq_u32_e32 vcc, 0, v92
	v_cmp_ne_u64_e64 s[0:1], 0, v[0:1]
	s_and_b64 s[4:5], s[0:1], vcc
	; wave barrier
	s_and_saveexec_b64 s[0:1], s[4:5]
	s_cbranch_execz .LBB1688_329
; %bb.328:
	v_bcnt_u32_b32 v0, v0, 0
	v_bcnt_u32_b32 v0, v1, v0
	s_waitcnt lgkmcnt(0)
	v_add_u32_e32 v0, v30, v0
	ds_write_b32 v91, v0 offset:32
.LBB1688_329:
	s_or_b64 exec, exec, s[0:1]
	s_waitcnt vmcnt(1)
	v_xor_b32_e32 v90, 0xffff8000, v25
	v_lshrrev_b32_sdwa v0, s8, v90 dst_sel:DWORD dst_unused:UNUSED_PAD src0_sel:DWORD src1_sel:WORD_0
	v_and_b32_e32 v94, s9, v0
	v_and_b32_e32 v0, 1, v94
	v_mov_b32_e32 v1, 0
	v_lshl_add_u64 v[8:9], v[0:1], 0, -1
	v_cmp_ne_u32_e32 vcc, 0, v0
	v_mad_u32_u24 v25, v94, 36, v24
	s_nop 0
	v_xor_b32_e32 v8, vcc_lo, v8
	v_xor_b32_e32 v0, vcc_hi, v9
	v_and_b32_e32 v95, exec_lo, v8
	v_lshlrev_b32_e32 v9, 30, v94
	v_mov_b32_e32 v8, v1
	v_cmp_gt_i64_e32 vcc, 0, v[8:9]
	v_not_b32_e32 v8, v9
	v_ashrrev_i32_e32 v8, 31, v8
	v_and_b32_e32 v0, exec_hi, v0
	v_xor_b32_e32 v9, vcc_hi, v8
	v_xor_b32_e32 v8, vcc_lo, v8
	v_and_b32_e32 v0, v0, v9
	v_and_b32_e32 v95, v95, v8
	v_lshlrev_b32_e32 v9, 29, v94
	v_mov_b32_e32 v8, v1
	v_cmp_gt_i64_e32 vcc, 0, v[8:9]
	v_not_b32_e32 v8, v9
	v_ashrrev_i32_e32 v8, 31, v8
	v_xor_b32_e32 v9, vcc_hi, v8
	v_xor_b32_e32 v8, vcc_lo, v8
	v_and_b32_e32 v0, v0, v9
	v_and_b32_e32 v95, v95, v8
	v_lshlrev_b32_e32 v9, 28, v94
	v_mov_b32_e32 v8, v1
	v_cmp_gt_i64_e32 vcc, 0, v[8:9]
	v_not_b32_e32 v8, v9
	v_ashrrev_i32_e32 v8, 31, v8
	;; [unrolled: 9-line block ×4, first 2 shown]
	v_xor_b32_e32 v9, vcc_hi, v8
	v_xor_b32_e32 v8, vcc_lo, v8
	; wave barrier
	ds_read_b32 v93, v25 offset:32
	v_and_b32_e32 v8, v95, v8
	v_and_b32_e32 v9, v0, v9
	v_mbcnt_lo_u32_b32 v0, v8, 0
	v_mbcnt_hi_u32_b32 v94, v9, v0
	v_cmp_eq_u32_e32 vcc, 0, v94
	v_cmp_ne_u64_e64 s[0:1], 0, v[8:9]
	s_and_b64 s[4:5], s[0:1], vcc
	; wave barrier
	s_and_saveexec_b64 s[0:1], s[4:5]
	s_cbranch_execz .LBB1688_331
; %bb.330:
	v_bcnt_u32_b32 v0, v8, 0
	v_bcnt_u32_b32 v0, v9, v0
	s_waitcnt lgkmcnt(0)
	v_add_u32_e32 v0, v93, v0
	ds_write_b32 v25, v0 offset:32
.LBB1688_331:
	s_or_b64 exec, exec, s[0:1]
	s_waitcnt vmcnt(0)
	v_xor_b32_e32 v8, 0xffff8000, v19
	v_lshrrev_b32_sdwa v0, s8, v8 dst_sel:DWORD dst_unused:UNUSED_PAD src0_sel:DWORD src1_sel:WORD_0
	v_and_b32_e32 v19, s9, v0
	v_and_b32_e32 v0, 1, v19
	v_lshl_add_u64 v[96:97], v[0:1], 0, -1
	v_cmp_ne_u32_e32 vcc, 0, v0
	v_mad_u32_u24 v24, v19, 36, v24
	s_nop 0
	v_xor_b32_e32 v0, vcc_hi, v97
	v_xor_b32_e32 v95, vcc_lo, v96
	v_lshlrev_b32_e32 v97, 30, v19
	v_mov_b32_e32 v96, v1
	v_cmp_gt_i64_e32 vcc, 0, v[96:97]
	v_not_b32_e32 v96, v97
	v_ashrrev_i32_e32 v96, 31, v96
	v_and_b32_e32 v0, exec_hi, v0
	v_and_b32_e32 v95, exec_lo, v95
	v_xor_b32_e32 v97, vcc_hi, v96
	v_xor_b32_e32 v96, vcc_lo, v96
	v_and_b32_e32 v0, v0, v97
	v_and_b32_e32 v95, v95, v96
	v_lshlrev_b32_e32 v97, 29, v19
	v_mov_b32_e32 v96, v1
	v_cmp_gt_i64_e32 vcc, 0, v[96:97]
	v_not_b32_e32 v96, v97
	v_ashrrev_i32_e32 v96, 31, v96
	v_xor_b32_e32 v97, vcc_hi, v96
	v_xor_b32_e32 v96, vcc_lo, v96
	v_and_b32_e32 v0, v0, v97
	v_and_b32_e32 v95, v95, v96
	v_lshlrev_b32_e32 v97, 28, v19
	v_mov_b32_e32 v96, v1
	v_cmp_gt_i64_e32 vcc, 0, v[96:97]
	v_not_b32_e32 v96, v97
	v_ashrrev_i32_e32 v96, 31, v96
	;; [unrolled: 9-line block ×3, first 2 shown]
	v_xor_b32_e32 v97, vcc_hi, v96
	v_xor_b32_e32 v96, vcc_lo, v96
	v_and_b32_e32 v0, v0, v97
	v_lshlrev_b32_e32 v97, 26, v19
	v_and_b32_e32 v95, v95, v96
	v_mov_b32_e32 v96, v1
	v_not_b32_e32 v1, v97
	v_cmp_gt_i64_e32 vcc, 0, v[96:97]
	v_ashrrev_i32_e32 v1, 31, v1
	; wave barrier
	s_nop 0
	v_xor_b32_e32 v19, vcc_hi, v1
	v_xor_b32_e32 v96, vcc_lo, v1
	ds_read_b32 v9, v24 offset:32
	v_and_b32_e32 v1, v0, v19
	v_and_b32_e32 v0, v95, v96
	v_mbcnt_lo_u32_b32 v19, v0, 0
	v_mbcnt_hi_u32_b32 v95, v1, v19
	v_cmp_eq_u32_e32 vcc, 0, v95
	v_cmp_ne_u64_e64 s[0:1], 0, v[0:1]
	s_and_b64 s[4:5], s[0:1], vcc
	; wave barrier
	s_and_saveexec_b64 s[0:1], s[4:5]
	s_cbranch_execz .LBB1688_333
; %bb.332:
	v_bcnt_u32_b32 v0, v0, 0
	v_bcnt_u32_b32 v0, v1, v0
	s_waitcnt lgkmcnt(0)
	v_add_u32_e32 v0, v9, v0
	ds_write_b32 v24, v0 offset:32
.LBB1688_333:
	s_or_b64 exec, exec, s[0:1]
	; wave barrier
	s_waitcnt lgkmcnt(0)
	s_barrier
	ds_read_b64 v[0:1], v7 offset:32
	v_and_b32_e32 v19, 15, v3
	v_cmp_ne_u32_e32 vcc, 0, v19
	v_min_u32_e32 v10, 0x1c0, v10
	v_or_b32_e32 v10, 63, v10
	s_waitcnt lgkmcnt(0)
	v_add_u32_e32 v1, v1, v0
	s_nop 1
	v_mov_b32_dpp v96, v1 row_shr:1 row_mask:0xf bank_mask:0xf
	v_cndmask_b32_e32 v96, 0, v96, vcc
	v_add_u32_e32 v1, v96, v1
	v_cmp_lt_u32_e32 vcc, 1, v19
	s_nop 0
	v_mov_b32_dpp v96, v1 row_shr:2 row_mask:0xf bank_mask:0xf
	v_cndmask_b32_e32 v96, 0, v96, vcc
	v_add_u32_e32 v1, v1, v96
	v_cmp_lt_u32_e32 vcc, 3, v19
	;; [unrolled: 5-line block ×3, first 2 shown]
	s_nop 0
	v_mov_b32_dpp v96, v1 row_shr:8 row_mask:0xf bank_mask:0xf
	v_cndmask_b32_e32 v19, 0, v96, vcc
	v_add_u32_e32 v1, v1, v19
	v_bfe_i32 v96, v3, 4, 1
	v_cmp_lt_u32_e32 vcc, 31, v3
	v_mov_b32_dpp v19, v1 row_bcast:15 row_mask:0xf bank_mask:0xf
	v_and_b32_e32 v19, v96, v19
	v_add_u32_e32 v1, v1, v19
	v_lshrrev_b32_e32 v96, 6, v2
	s_nop 0
	v_mov_b32_dpp v19, v1 row_bcast:31 row_mask:0xf bank_mask:0xf
	v_cndmask_b32_e32 v19, 0, v19, vcc
	v_add_u32_e32 v1, v1, v19
	v_cmp_eq_u32_e32 vcc, v2, v10
	s_and_saveexec_b64 s[0:1], vcc
; %bb.334:
	v_lshlrev_b32_e32 v10, 2, v96
	ds_write_b32 v10, v1
; %bb.335:
	s_or_b64 exec, exec, s[0:1]
	v_cmp_gt_u32_e32 vcc, 8, v2
	v_lshlrev_b32_e32 v19, 2, v2
	s_waitcnt lgkmcnt(0)
	s_barrier
	s_and_saveexec_b64 s[0:1], vcc
	s_cbranch_execz .LBB1688_337
; %bb.336:
	ds_read_b32 v10, v19
	v_and_b32_e32 v97, 7, v3
	v_cmp_ne_u32_e32 vcc, 0, v97
	s_waitcnt lgkmcnt(0)
	v_mov_b32_dpp v98, v10 row_shr:1 row_mask:0xf bank_mask:0xf
	v_cndmask_b32_e32 v98, 0, v98, vcc
	v_add_u32_e32 v10, v98, v10
	v_cmp_lt_u32_e32 vcc, 1, v97
	s_nop 0
	v_mov_b32_dpp v98, v10 row_shr:2 row_mask:0xf bank_mask:0xf
	v_cndmask_b32_e32 v98, 0, v98, vcc
	v_add_u32_e32 v10, v10, v98
	v_cmp_lt_u32_e32 vcc, 3, v97
	s_nop 0
	v_mov_b32_dpp v98, v10 row_shr:4 row_mask:0xf bank_mask:0xf
	v_cndmask_b32_e32 v97, 0, v98, vcc
	v_add_u32_e32 v10, v10, v97
	ds_write_b32 v19, v10
.LBB1688_337:
	s_or_b64 exec, exec, s[0:1]
	v_cmp_gt_u32_e64 s[0:1], 64, v2
	v_cmp_lt_u32_e32 vcc, 63, v2
	v_mov_b32_e32 v10, 0
	s_waitcnt lgkmcnt(0)
	s_barrier
	s_and_saveexec_b64 s[4:5], vcc
; %bb.338:
	v_lshl_add_u32 v10, v96, 2, -4
	ds_read_b32 v10, v10
; %bb.339:
	s_or_b64 exec, exec, s[4:5]
	v_subrev_co_u32_e64 v96, s[4:5], 1, v3
	v_and_b32_e32 v97, 64, v3
	v_cmp_lt_i32_e64 s[6:7], v96, v97
	s_waitcnt lgkmcnt(0)
	v_add_u32_e32 v1, v10, v1
	v_cndmask_b32_e64 v3, v96, v3, s[6:7]
	v_lshlrev_b32_e32 v3, 2, v3
	ds_bpermute_b32 v1, v3, v1
                                        ; implicit-def: $vgpr3
	s_waitcnt lgkmcnt(0)
	v_cndmask_b32_e64 v1, v1, v10, s[4:5]
	v_cmp_ne_u32_e64 s[4:5], 0, v2
	s_nop 1
	v_cndmask_b32_e64 v96, 0, v1, s[4:5]
	v_add_u32_e32 v97, v96, v0
	ds_write_b64 v7, v[96:97] offset:32
	s_waitcnt lgkmcnt(0)
	s_barrier
	ds_read_b32 v0, v14 offset:32
	ds_read_b32 v1, v16 offset:32
	;; [unrolled: 1-line block ×22, first 2 shown]
                                        ; implicit-def: $vgpr14
	s_and_saveexec_b64 s[6:7], s[0:1]
	s_cbranch_execz .LBB1688_343
; %bb.340:
	v_mul_u32_u24_e32 v3, 36, v2
	ds_read_b32 v3, v3 offset:32
	v_add_u32_e32 v25, 1, v2
	v_cmp_ne_u32_e64 s[4:5], 64, v25
	v_mov_b32_e32 v14, 0x2c00
	s_and_saveexec_b64 s[14:15], s[4:5]
; %bb.341:
	v_mul_u32_u24_e32 v14, 36, v25
	ds_read_b32 v14, v14 offset:32
; %bb.342:
	s_or_b64 exec, exec, s[14:15]
	s_waitcnt lgkmcnt(0)
	v_sub_u32_e32 v14, v14, v3
.LBB1688_343:
	s_or_b64 exec, exec, s[6:7]
	s_waitcnt lgkmcnt(14)
	v_add_u32_e32 v69, v0, v12
	v_add3_u32 v66, v17, v13, v1
	v_add3_u32 v62, v22, v18, v7
	;; [unrolled: 1-line block ×7, first 2 shown]
	s_waitcnt lgkmcnt(13)
	v_add3_u32 v37, v53, v49, v37
	s_waitcnt lgkmcnt(12)
	v_add3_u32 v35, v58, v54, v96
	;; [unrolled: 2-line block ×14, first 2 shown]
	v_lshlrev_b32_e32 v63, 1, v69
	v_lshlrev_b32_e32 v59, 1, v66
	;; [unrolled: 1-line block ×8, first 2 shown]
	s_barrier
	ds_write_b16 v63, v5 offset:256
	ds_write_b16 v59, v11 offset:256
	ds_write_b16 v58, v15 offset:256
	ds_write_b16 v54, v20 offset:256
	ds_write_b16 v53, v26 offset:256
	ds_write_b16 v49, v31 offset:256
	ds_write_b16 v48, v36 offset:256
	ds_write_b16 v44, v41 offset:256
	v_lshlrev_b32_e32 v43, 1, v37
	v_lshlrev_b32_e32 v41, 1, v35
	;; [unrolled: 1-line block ×14, first 2 shown]
	v_mov_b32_e32 v1, 0
	ds_write_b16 v43, v46 offset:256
	ds_write_b16 v41, v51 offset:256
	;; [unrolled: 1-line block ×14, first 2 shown]
	s_and_saveexec_b64 s[4:5], s[0:1]
	s_cbranch_execz .LBB1688_353
; %bb.344:
	v_lshl_add_u32 v0, s2, 6, v2
	v_lshl_add_u64 v[8:9], v[0:1], 2, s[12:13]
	v_or_b32_e32 v0, 2.0, v14
	s_mov_b64 s[6:7], 0
	s_brev_b32 s18, -4
	s_mov_b32 s19, s2
	v_mov_b32_e32 v5, 0
	global_store_dword v[8:9], v0, off sc1
                                        ; implicit-def: $sgpr0_sgpr1
	s_branch .LBB1688_347
.LBB1688_345:                           ;   in Loop: Header=BB1688_347 Depth=1
	s_or_b64 exec, exec, s[16:17]
.LBB1688_346:                           ;   in Loop: Header=BB1688_347 Depth=1
	s_or_b64 exec, exec, s[14:15]
	v_and_b32_e32 v7, 0x3fffffff, v0
	v_add_u32_e32 v5, v7, v5
	v_cmp_gt_i32_e64 s[0:1], -2.0, v0
	s_and_b64 s[14:15], exec, s[0:1]
	s_or_b64 s[6:7], s[14:15], s[6:7]
	s_andn2_b64 exec, exec, s[6:7]
	s_cbranch_execz .LBB1688_352
.LBB1688_347:                           ; =>This Loop Header: Depth=1
                                        ;     Child Loop BB1688_350 Depth 2
	s_or_b64 s[0:1], s[0:1], exec
	s_cmp_eq_u32 s19, 0
	s_cbranch_scc1 .LBB1688_351
; %bb.348:                              ;   in Loop: Header=BB1688_347 Depth=1
	s_add_i32 s19, s19, -1
	v_lshl_or_b32 v0, s19, 6, v2
	v_lshl_add_u64 v[10:11], v[0:1], 2, s[12:13]
	global_load_dword v0, v[10:11], off sc1
	s_waitcnt vmcnt(0)
	v_cmp_gt_u32_e64 s[0:1], 2.0, v0
	s_and_saveexec_b64 s[14:15], s[0:1]
	s_cbranch_execz .LBB1688_346
; %bb.349:                              ;   in Loop: Header=BB1688_347 Depth=1
	s_mov_b64 s[16:17], 0
.LBB1688_350:                           ;   Parent Loop BB1688_347 Depth=1
                                        ; =>  This Inner Loop Header: Depth=2
	global_load_dword v0, v[10:11], off sc1
	s_waitcnt vmcnt(0)
	v_cmp_lt_u32_e64 s[0:1], s18, v0
	s_or_b64 s[16:17], s[0:1], s[16:17]
	s_andn2_b64 exec, exec, s[16:17]
	s_cbranch_execnz .LBB1688_350
	s_branch .LBB1688_345
.LBB1688_351:                           ;   in Loop: Header=BB1688_347 Depth=1
                                        ; implicit-def: $sgpr19
	s_and_b64 s[14:15], exec, s[0:1]
	s_or_b64 s[6:7], s[14:15], s[6:7]
	s_andn2_b64 exec, exec, s[6:7]
	s_cbranch_execnz .LBB1688_347
.LBB1688_352:
	s_or_b64 exec, exec, s[6:7]
	v_add_u32_e32 v0, v5, v14
	v_or_b32_e32 v0, 0x80000000, v0
	v_readlane_b32 s12, v118, 0
	global_store_dword v[8:9], v0, off sc1
	v_readlane_b32 s13, v118, 1
	v_sub_u32_e32 v1, v5, v3
	v_readlane_b32 s14, v118, 2
	v_readlane_b32 s15, v118, 3
	s_nop 1
	global_load_dword v0, v19, s[12:13]
	s_waitcnt vmcnt(0)
	v_add_u32_e32 v0, v1, v0
	ds_write_b32 v19, v0
.LBB1688_353:
	s_or_b64 exec, exec, s[4:5]
	v_lshlrev_b32_e32 v0, 1, v2
	v_sub_u32_e32 v5, v19, v0
	s_waitcnt lgkmcnt(0)
	s_barrier
	ds_read_u16 v7, v5 offset:10496
	ds_read_u16 v82, v5 offset:11520
	;; [unrolled: 1-line block ×12, first 2 shown]
	s_waitcnt lgkmcnt(8)
	v_lshrrev_b32_sdwa v1, s8, v84 dst_sel:DWORD dst_unused:UNUSED_PAD src0_sel:DWORD src1_sel:WORD_0
	s_waitcnt lgkmcnt(5)
	v_lshrrev_b32_sdwa v8, s8, v87 dst_sel:DWORD dst_unused:UNUSED_PAD src0_sel:DWORD src1_sel:WORD_0
	v_and_b32_e32 v1, s9, v1
	s_waitcnt lgkmcnt(3)
	v_lshrrev_b32_sdwa v9, s8, v99 dst_sel:DWORD dst_unused:UNUSED_PAD src0_sel:DWORD src1_sel:WORD_0
	v_and_b32_e32 v9, s9, v9
	v_lshlrev_b32_e32 v45, 2, v9
	s_waitcnt lgkmcnt(2)
	v_lshrrev_b32_sdwa v9, s8, v100 dst_sel:DWORD dst_unused:UNUSED_PAD src0_sel:DWORD src1_sel:WORD_0
	v_and_b32_e32 v9, s9, v9
	v_lshlrev_b32_e32 v11, 2, v9
	s_waitcnt lgkmcnt(1)
	v_lshrrev_b32_sdwa v9, s8, v101 dst_sel:DWORD dst_unused:UNUSED_PAD src0_sel:DWORD src1_sel:WORD_0
	v_and_b32_e32 v9, s9, v9
	v_lshlrev_b32_e32 v10, 2, v9
	s_waitcnt lgkmcnt(0)
	v_lshrrev_b32_sdwa v9, s8, v102 dst_sel:DWORD dst_unused:UNUSED_PAD src0_sel:DWORD src1_sel:WORD_0
	v_and_b32_e32 v8, s9, v8
	v_and_b32_e32 v9, s9, v9
	v_lshlrev_b32_e32 v1, 2, v1
	v_lshlrev_b32_e32 v8, 2, v8
	;; [unrolled: 1-line block ×3, first 2 shown]
	ds_read_u16 v46, v5 offset:256
	ds_read_u16 v56, v5 offset:1280
	ds_read_b32 v103, v1
	ds_read_b32 v104, v8
	;; [unrolled: 1-line block ×6, first 2 shown]
	s_waitcnt lgkmcnt(7)
	v_lshrrev_b32_sdwa v50, s8, v46 dst_sel:DWORD dst_unused:UNUSED_PAD src0_sel:DWORD src1_sel:WORD_0
	v_and_b32_e32 v50, s9, v50
	v_lshlrev_b32_e32 v95, 2, v50
	s_waitcnt lgkmcnt(6)
	v_lshrrev_b32_sdwa v50, s8, v56 dst_sel:DWORD dst_unused:UNUSED_PAD src0_sel:DWORD src1_sel:WORD_0
	v_and_b32_e32 v50, s9, v50
	v_lshlrev_b32_e32 v92, 2, v50
	ds_read_u16 v61, v5 offset:2304
	ds_read_u16 v64, v5 offset:3328
	;; [unrolled: 1-line block ×8, first 2 shown]
	s_waitcnt lgkmcnt(7)
	v_lshrrev_b32_sdwa v50, s8, v61 dst_sel:DWORD dst_unused:UNUSED_PAD src0_sel:DWORD src1_sel:WORD_0
	v_and_b32_e32 v50, s9, v50
	v_lshlrev_b32_e32 v94, 2, v50
	s_waitcnt lgkmcnt(6)
	v_lshrrev_b32_sdwa v50, s8, v64 dst_sel:DWORD dst_unused:UNUSED_PAD src0_sel:DWORD src1_sel:WORD_0
	v_and_b32_e32 v50, s9, v50
	v_lshlrev_b32_e32 v93, 2, v50
	;; [unrolled: 4-line block ×6, first 2 shown]
	ds_read_b32 v50, v95
	ds_read_b32 v60, v92
	;; [unrolled: 1-line block ×8, first 2 shown]
	s_waitcnt lgkmcnt(7)
	v_add_u32_e32 v96, v50, v2
	v_mov_b32_e32 v97, 0
	v_add_u32_e32 v55, 0x200, v2
	v_xor_b32_e32 v46, 0xffff8000, v46
	v_lshl_add_u64 v[50:51], v[96:97], 1, s[94:95]
	s_waitcnt lgkmcnt(6)
	v_add_u32_e32 v96, v60, v55
	v_or_b32_e32 v60, 0x400, v2
	global_store_short v[50:51], v46, off
	v_xor_b32_e32 v46, 0xffff8000, v56
	v_lshl_add_u64 v[50:51], v[96:97], 1, s[94:95]
	s_waitcnt lgkmcnt(5)
	v_add_u32_e32 v96, v71, v60
	global_store_short v[50:51], v46, off
	v_xor_b32_e32 v46, 0xffff8000, v61
	v_lshl_add_u64 v[50:51], v[96:97], 1, s[94:95]
	global_store_short v[50:51], v46, off
	v_add_u32_e32 v46, 0x600, v2
	s_waitcnt lgkmcnt(4)
	v_add_u32_e32 v96, v73, v46
	v_xor_b32_e32 v56, 0xffff8000, v64
	v_lshl_add_u64 v[50:51], v[96:97], 1, s[94:95]
	global_store_short v[50:51], v56, off
	v_or_b32_e32 v50, 0x800, v2
	s_waitcnt lgkmcnt(3)
	v_add_u32_e32 v96, v74, v50
	v_add_u32_e32 v56, 0xa00, v2
	v_xor_b32_e32 v51, 0xffff8000, v65
	v_lshl_add_u64 v[64:65], v[96:97], 1, s[94:95]
	s_waitcnt lgkmcnt(2)
	v_add_u32_e32 v96, v75, v56
	v_or_b32_e32 v61, 0xc00, v2
	global_store_short v[64:65], v51, off
	v_xor_b32_e32 v51, 0xffff8000, v67
	v_lshl_add_u64 v[64:65], v[96:97], 1, s[94:95]
	s_waitcnt lgkmcnt(1)
	v_add_u32_e32 v96, v76, v61
	global_store_short v[64:65], v51, off
	v_xor_b32_e32 v51, 0xffff8000, v68
	v_lshl_add_u64 v[64:65], v[96:97], 1, s[94:95]
	global_store_short v[64:65], v51, off
	v_add_u32_e32 v64, 0xe00, v2
	s_waitcnt lgkmcnt(0)
	v_add_u32_e32 v96, v77, v64
	v_xor_b32_e32 v51, 0xffff8000, v70
	v_lshl_add_u64 v[70:71], v[96:97], 1, s[94:95]
	v_lshrrev_b32_sdwa v65, s8, v72 dst_sel:DWORD dst_unused:UNUSED_PAD src0_sel:DWORD src1_sel:WORD_0
	global_store_short v[70:71], v51, off
	v_and_b32_e32 v65, s9, v65
	v_xor_b32_e32 v75, 0xffff8000, v72
	v_lshrrev_b32_sdwa v67, s8, v5 dst_sel:DWORD dst_unused:UNUSED_PAD src0_sel:DWORD src1_sel:WORD_0
	v_lshrrev_b32_sdwa v68, s8, v7 dst_sel:DWORD dst_unused:UNUSED_PAD src0_sel:DWORD src1_sel:WORD_0
	;; [unrolled: 1-line block ×7, first 2 shown]
	v_or_b32_e32 v51, 0x1000, v2
	v_lshlrev_b32_e32 v65, 2, v65
	v_and_b32_e32 v67, s9, v67
	v_and_b32_e32 v68, s9, v68
	;; [unrolled: 1-line block ×7, first 2 shown]
	v_lshlrev_b32_e32 v67, 2, v67
	v_lshlrev_b32_e32 v68, 2, v68
	;; [unrolled: 1-line block ×7, first 2 shown]
	ds_read_b32 v76, v65
	ds_read_b32 v78, v67
	ds_read_b32 v80, v68
	ds_read_b32 v109, v70
	ds_read_b32 v110, v71
	ds_read_b32 v111, v72
	ds_read_b32 v112, v73
	ds_read_b32 v113, v74
	s_waitcnt lgkmcnt(7)
	v_add_u32_e32 v96, v76, v51
	v_lshl_add_u64 v[76:77], v[96:97], 1, s[94:95]
	global_store_short v[76:77], v75, off
	v_add_u32_e32 v77, 0x1200, v2
	s_waitcnt lgkmcnt(6)
	v_add_u32_e32 v96, v78, v77
	v_xor_b32_e32 v5, 0xffff8000, v5
	v_lshl_add_u64 v[78:79], v[96:97], 1, s[94:95]
	global_store_short v[78:79], v5, off
	v_or_b32_e32 v79, 0x1400, v2
	s_waitcnt lgkmcnt(5)
	v_add_u32_e32 v96, v80, v79
	v_add_u32_e32 v75, 0x1600, v2
	v_xor_b32_e32 v5, 0xffff8000, v7
	v_lshl_add_u64 v[80:81], v[96:97], 1, s[94:95]
	s_waitcnt lgkmcnt(4)
	v_add_u32_e32 v96, v109, v75
	v_or_b32_e32 v76, 0x1800, v2
	global_store_short v[80:81], v5, off
	v_xor_b32_e32 v5, 0xffff8000, v82
	v_lshl_add_u64 v[80:81], v[96:97], 1, s[94:95]
	s_waitcnt lgkmcnt(3)
	v_add_u32_e32 v96, v110, v76
	v_add_u32_e32 v78, 0x1a00, v2
	global_store_short v[80:81], v5, off
	v_xor_b32_e32 v5, 0xffff8000, v83
	v_lshl_add_u64 v[80:81], v[96:97], 1, s[94:95]
	s_waitcnt lgkmcnt(2)
	v_add_u32_e32 v96, v111, v78
	global_store_short v[80:81], v5, off
	v_xor_b32_e32 v5, 0xffff8000, v85
	v_lshl_add_u64 v[80:81], v[96:97], 1, s[94:95]
	global_store_short v[80:81], v5, off
	v_or_b32_e32 v80, 0x1c00, v2
	s_waitcnt lgkmcnt(1)
	v_add_u32_e32 v96, v112, v80
	v_add_u32_e32 v81, 0x1e00, v2
	v_xor_b32_e32 v5, 0xffff8000, v86
	v_lshl_add_u64 v[82:83], v[96:97], 1, s[94:95]
	s_waitcnt lgkmcnt(0)
	v_add_u32_e32 v96, v113, v81
	global_store_short v[82:83], v5, off
	v_xor_b32_e32 v5, 0xffff8000, v98
	v_lshl_add_u64 v[82:83], v[96:97], 1, s[94:95]
	global_store_short v[82:83], v5, off
	v_or_b32_e32 v82, 0x2000, v2
	v_add_u32_e32 v96, v103, v82
	v_add_u32_e32 v83, 0x2200, v2
	v_xor_b32_e32 v5, 0xffff8000, v84
	v_lshl_add_u64 v[84:85], v[96:97], 1, s[94:95]
	v_add_u32_e32 v96, v104, v83
	global_store_short v[84:85], v5, off
	v_xor_b32_e32 v5, 0xffff8000, v87
	v_lshl_add_u64 v[84:85], v[96:97], 1, s[94:95]
	global_store_short v[84:85], v5, off
	v_or_b32_e32 v85, 0x2400, v2
	v_add_u32_e32 v96, v105, v85
	v_add_u32_e32 v84, 0x2600, v2
	v_xor_b32_e32 v5, 0xffff8000, v99
	v_lshl_add_u64 v[86:87], v[96:97], 1, s[94:95]
	;; [unrolled: 10-line block ×3, first 2 shown]
	v_add_u32_e32 v96, v108, v87
	global_store_short v[98:99], v5, off
	v_xor_b32_e32 v5, 0xffff8000, v102
	v_lshl_add_u64 v[98:99], v[96:97], 1, s[94:95]
	s_add_u32 s0, s96, s10
	global_store_short v[98:99], v5, off
	s_addc_u32 s1, s97, s11
	v_mov_b32_e32 v5, v97
	v_lshl_add_u64 v[4:5], s[0:1], 0, v[4:5]
	v_mov_b32_e32 v7, v97
	v_lshl_add_u64 v[114:115], v[4:5], 0, v[6:7]
	global_load_ushort v113, v[114:115], off
	global_load_ushort v112, v[114:115], off offset:128
	global_load_ushort v111, v[114:115], off offset:256
	global_load_ushort v110, v[114:115], off offset:384
	global_load_ushort v109, v[114:115], off offset:512
	global_load_ushort v108, v[114:115], off offset:640
	global_load_ushort v107, v[114:115], off offset:768
	global_load_ushort v106, v[114:115], off offset:896
	global_load_ushort v105, v[114:115], off offset:1024
	global_load_ushort v104, v[114:115], off offset:1152
	global_load_ushort v103, v[114:115], off offset:1280
	global_load_ushort v102, v[114:115], off offset:1408
	global_load_ushort v101, v[114:115], off offset:1536
	global_load_ushort v100, v[114:115], off offset:1664
	global_load_ushort v99, v[114:115], off offset:1792
	global_load_ushort v98, v[114:115], off offset:1920
	global_load_ushort v97, v[114:115], off offset:2048
	global_load_ushort v96, v[114:115], off offset:2176
	global_load_ushort v7, v[114:115], off offset:2304
	global_load_ushort v6, v[114:115], off offset:2432
	global_load_ushort v5, v[114:115], off offset:2560
	global_load_ushort v4, v[114:115], off offset:2688
	s_movk_i32 s6, 0x2c00
	v_cmp_gt_u32_e64 s[0:1], s6, v69
	s_barrier
	s_and_saveexec_b64 s[4:5], s[0:1]
	s_cbranch_execz .LBB1688_380
; %bb.354:
	s_waitcnt vmcnt(21)
	ds_write_b16 v63, v113 offset:256
	s_or_b64 exec, exec, s[4:5]
	v_cmp_gt_u32_e64 s[0:1], s6, v66
	s_and_saveexec_b64 s[4:5], s[0:1]
	s_cbranch_execnz .LBB1688_381
.LBB1688_355:
	s_or_b64 exec, exec, s[4:5]
	v_cmp_gt_u32_e64 s[0:1], s6, v62
	s_and_saveexec_b64 s[4:5], s[0:1]
	s_cbranch_execz .LBB1688_382
.LBB1688_356:
	s_waitcnt vmcnt(19)
	ds_write_b16 v58, v111 offset:256
	s_or_b64 exec, exec, s[4:5]
	v_cmp_gt_u32_e64 s[0:1], s6, v57
	s_and_saveexec_b64 s[4:5], s[0:1]
	s_cbranch_execnz .LBB1688_383
.LBB1688_357:
	s_or_b64 exec, exec, s[4:5]
	v_cmp_gt_u32_e64 s[0:1], s6, v52
	s_and_saveexec_b64 s[4:5], s[0:1]
	s_cbranch_execz .LBB1688_384
.LBB1688_358:
	s_waitcnt vmcnt(17)
	ds_write_b16 v53, v109 offset:256
	s_or_b64 exec, exec, s[4:5]
	v_cmp_gt_u32_e64 s[0:1], s6, v47
	s_and_saveexec_b64 s[4:5], s[0:1]
	s_cbranch_execnz .LBB1688_385
.LBB1688_359:
	s_or_b64 exec, exec, s[4:5]
	v_cmp_gt_u32_e64 s[0:1], s6, v42
	s_and_saveexec_b64 s[4:5], s[0:1]
	s_cbranch_execz .LBB1688_386
.LBB1688_360:
	s_waitcnt vmcnt(15)
	ds_write_b16 v48, v107 offset:256
	s_or_b64 exec, exec, s[4:5]
	v_cmp_gt_u32_e64 s[0:1], s6, v40
	s_and_saveexec_b64 s[4:5], s[0:1]
	s_cbranch_execnz .LBB1688_387
.LBB1688_361:
	s_or_b64 exec, exec, s[4:5]
	v_cmp_gt_u32_e64 s[0:1], s6, v37
	s_and_saveexec_b64 s[4:5], s[0:1]
	s_cbranch_execz .LBB1688_388
.LBB1688_362:
	s_waitcnt vmcnt(13)
	ds_write_b16 v43, v105 offset:256
	s_or_b64 exec, exec, s[4:5]
	v_cmp_gt_u32_e64 s[0:1], s6, v35
	s_and_saveexec_b64 s[4:5], s[0:1]
	s_cbranch_execnz .LBB1688_389
.LBB1688_363:
	s_or_b64 exec, exec, s[4:5]
	v_cmp_gt_u32_e64 s[0:1], s6, v33
	s_and_saveexec_b64 s[4:5], s[0:1]
	s_cbranch_execz .LBB1688_390
.LBB1688_364:
	s_waitcnt vmcnt(11)
	ds_write_b16 v39, v103 offset:256
	s_or_b64 exec, exec, s[4:5]
	v_cmp_gt_u32_e64 s[0:1], s6, v32
	s_and_saveexec_b64 s[4:5], s[0:1]
	s_cbranch_execnz .LBB1688_391
.LBB1688_365:
	s_or_b64 exec, exec, s[4:5]
	v_cmp_gt_u32_e64 s[0:1], s6, v29
	s_and_saveexec_b64 s[4:5], s[0:1]
	s_cbranch_execz .LBB1688_392
.LBB1688_366:
	s_waitcnt vmcnt(9)
	ds_write_b16 v36, v101 offset:256
	s_or_b64 exec, exec, s[4:5]
	v_cmp_gt_u32_e64 s[0:1], s6, v27
	s_and_saveexec_b64 s[4:5], s[0:1]
	s_cbranch_execnz .LBB1688_393
.LBB1688_367:
	s_or_b64 exec, exec, s[4:5]
	v_cmp_gt_u32_e64 s[0:1], s6, v25
	s_and_saveexec_b64 s[4:5], s[0:1]
	s_cbranch_execz .LBB1688_394
.LBB1688_368:
	s_waitcnt vmcnt(7)
	ds_write_b16 v31, v99 offset:256
	s_or_b64 exec, exec, s[4:5]
	v_cmp_gt_u32_e64 s[0:1], s6, v23
	s_and_saveexec_b64 s[4:5], s[0:1]
	s_cbranch_execnz .LBB1688_395
.LBB1688_369:
	s_or_b64 exec, exec, s[4:5]
	v_cmp_gt_u32_e64 s[0:1], s6, v21
	s_and_saveexec_b64 s[4:5], s[0:1]
	s_cbranch_execz .LBB1688_396
.LBB1688_370:
	s_waitcnt vmcnt(5)
	ds_write_b16 v28, v97 offset:256
	s_or_b64 exec, exec, s[4:5]
	v_cmp_gt_u32_e64 s[0:1], s6, v18
	s_and_saveexec_b64 s[4:5], s[0:1]
	s_cbranch_execnz .LBB1688_397
.LBB1688_371:
	s_or_b64 exec, exec, s[4:5]
	v_cmp_gt_u32_e64 s[0:1], s6, v17
	s_and_saveexec_b64 s[4:5], s[0:1]
	s_cbranch_execz .LBB1688_398
.LBB1688_372:
	s_waitcnt vmcnt(3)
	ds_write_b16 v24, v7 offset:256
	s_or_b64 exec, exec, s[4:5]
	v_cmp_gt_u32_e64 s[0:1], s6, v16
	s_and_saveexec_b64 s[4:5], s[0:1]
	s_cbranch_execnz .LBB1688_399
.LBB1688_373:
	s_or_b64 exec, exec, s[4:5]
	v_cmp_gt_u32_e64 s[0:1], s6, v13
	s_and_saveexec_b64 s[4:5], s[0:1]
	s_cbranch_execz .LBB1688_375
.LBB1688_374:
	s_waitcnt vmcnt(1)
	ds_write_b16 v20, v5 offset:256
.LBB1688_375:
	s_or_b64 exec, exec, s[4:5]
	v_sub_u32_e32 v0, 0, v0
	v_cmp_gt_u32_e64 s[0:1], s6, v12
	s_and_saveexec_b64 s[4:5], s[0:1]
	s_cbranch_execz .LBB1688_377
; %bb.376:
	s_waitcnt vmcnt(0)
	ds_write_b16 v15, v4 offset:256
.LBB1688_377:
	s_or_b64 exec, exec, s[4:5]
	s_waitcnt lgkmcnt(0)
	s_barrier
	v_add_u32_e32 v12, v19, v0
	ds_read_b32 v0, v95
	ds_read_b32 v13, v92
	;; [unrolled: 1-line block ×8, first 2 shown]
	s_waitcnt vmcnt(0) lgkmcnt(7)
	v_add_u32_e32 v4, v0, v2
	v_mov_b32_e32 v5, 0
	v_lshl_add_u64 v[6:7], v[4:5], 1, s[98:99]
	ds_read_u16 v0, v12 offset:256
	ds_read_u16 v2, v12 offset:1280
	ds_read_b32 v22, v1
	ds_read_b32 v8, v8
	;; [unrolled: 1-line block ×6, first 2 shown]
	s_waitcnt lgkmcnt(14)
	v_add_u32_e32 v4, v13, v55
	s_waitcnt lgkmcnt(7)
	global_store_short v[6:7], v0, off
	v_lshl_add_u64 v[0:1], v[4:5], 1, s[98:99]
	v_add_u32_e32 v4, v15, v60
	s_waitcnt lgkmcnt(6)
	global_store_short v[0:1], v2, off
	v_lshl_add_u64 v[0:1], v[4:5], 1, s[98:99]
	v_add_u32_e32 v4, v16, v46
	ds_read_u16 v2, v12 offset:2304
	ds_read_u16 v6, v12 offset:3328
	;; [unrolled: 1-line block ×8, first 2 shown]
	s_waitcnt lgkmcnt(7)
	global_store_short v[0:1], v2, off
	v_lshl_add_u64 v[0:1], v[4:5], 1, s[98:99]
	v_add_u32_e32 v4, v17, v50
	s_waitcnt lgkmcnt(6)
	global_store_short v[0:1], v6, off
	v_lshl_add_u64 v[0:1], v[4:5], 1, s[98:99]
	v_add_u32_e32 v4, v18, v56
	;; [unrolled: 4-line block ×4, first 2 shown]
	s_waitcnt lgkmcnt(3)
	global_store_short v[0:1], v15, off
	v_lshl_add_u64 v[0:1], v[4:5], 1, s[98:99]
	s_waitcnt lgkmcnt(2)
	global_store_short v[0:1], v24, off
	ds_read_b32 v0, v65
	ds_read_b32 v2, v67
	;; [unrolled: 1-line block ×8, first 2 shown]
	s_waitcnt lgkmcnt(7)
	v_add_u32_e32 v4, v0, v51
	v_lshl_add_u64 v[0:1], v[4:5], 1, s[98:99]
	s_waitcnt lgkmcnt(6)
	v_add_u32_e32 v4, v2, v77
	global_store_short v[0:1], v25, off
	v_lshl_add_u64 v[0:1], v[4:5], 1, s[98:99]
	s_waitcnt lgkmcnt(5)
	v_add_u32_e32 v4, v6, v79
	global_store_short v[0:1], v26, off
	v_lshl_add_u64 v[0:1], v[4:5], 1, s[98:99]
	s_waitcnt lgkmcnt(4)
	v_add_u32_e32 v4, v7, v75
	ds_read_u16 v2, v12 offset:10496
	ds_read_u16 v6, v12 offset:11520
	;; [unrolled: 1-line block ×8, first 2 shown]
	s_waitcnt lgkmcnt(7)
	global_store_short v[0:1], v2, off
	v_lshl_add_u64 v[0:1], v[4:5], 1, s[98:99]
	v_add_u32_e32 v4, v13, v76
	s_waitcnt lgkmcnt(6)
	global_store_short v[0:1], v6, off
	v_lshl_add_u64 v[0:1], v[4:5], 1, s[98:99]
	v_add_u32_e32 v4, v15, v78
	;; [unrolled: 4-line block ×6, first 2 shown]
	ds_read_u16 v2, v12 offset:18688
	s_waitcnt lgkmcnt(2)
	global_store_short v[0:1], v25, off
	v_lshl_add_u64 v[0:1], v[4:5], 1, s[98:99]
	s_waitcnt lgkmcnt(1)
	global_store_short v[0:1], v26, off
	v_add_u32_e32 v4, v23, v85
	ds_read_u16 v6, v12 offset:19712
	ds_read_u16 v7, v12 offset:20736
	;; [unrolled: 1-line block ×3, first 2 shown]
	v_lshl_add_u64 v[0:1], v[4:5], 1, s[98:99]
	v_add_u32_e32 v4, v11, v84
	s_add_i32 s3, s3, -1
	s_waitcnt lgkmcnt(3)
	global_store_short v[0:1], v2, off
	v_lshl_add_u64 v[0:1], v[4:5], 1, s[98:99]
	v_add_u32_e32 v4, v10, v86
	s_cmp_eq_u32 s2, s3
	s_waitcnt lgkmcnt(2)
	global_store_short v[0:1], v6, off
	v_lshl_add_u64 v[0:1], v[4:5], 1, s[98:99]
	v_add_u32_e32 v4, v9, v87
	s_cselect_b64 s[0:1], -1, 0
	s_xor_b64 s[2:3], vcc, -1
	s_waitcnt lgkmcnt(1)
	global_store_short v[0:1], v7, off
	v_lshl_add_u64 v[0:1], v[4:5], 1, s[98:99]
	s_and_b64 s[0:1], s[2:3], s[0:1]
	s_waitcnt lgkmcnt(0)
	global_store_short v[0:1], v8, off
	s_and_saveexec_b64 s[2:3], s[0:1]
	s_cbranch_execz .LBB1688_379
; %bb.378:
	ds_read_b32 v0, v19
	v_readlane_b32 s0, v118, 0
	v_readlane_b32 s2, v118, 2
	;; [unrolled: 1-line block ×4, first 2 shown]
	s_waitcnt lgkmcnt(0)
	v_add3_u32 v0, v3, v14, v0
	s_nop 1
	global_store_dword v19, v0, s[2:3]
.LBB1688_379:
	s_endpgm
.LBB1688_380:
	s_or_b64 exec, exec, s[4:5]
	v_cmp_gt_u32_e64 s[0:1], s6, v66
	s_and_saveexec_b64 s[4:5], s[0:1]
	s_cbranch_execz .LBB1688_355
.LBB1688_381:
	s_waitcnt vmcnt(20)
	ds_write_b16 v59, v112 offset:256
	s_or_b64 exec, exec, s[4:5]
	v_cmp_gt_u32_e64 s[0:1], s6, v62
	s_and_saveexec_b64 s[4:5], s[0:1]
	s_cbranch_execnz .LBB1688_356
.LBB1688_382:
	s_or_b64 exec, exec, s[4:5]
	v_cmp_gt_u32_e64 s[0:1], s6, v57
	s_and_saveexec_b64 s[4:5], s[0:1]
	s_cbranch_execz .LBB1688_357
.LBB1688_383:
	s_waitcnt vmcnt(18)
	ds_write_b16 v54, v110 offset:256
	s_or_b64 exec, exec, s[4:5]
	v_cmp_gt_u32_e64 s[0:1], s6, v52
	s_and_saveexec_b64 s[4:5], s[0:1]
	s_cbranch_execnz .LBB1688_358
.LBB1688_384:
	s_or_b64 exec, exec, s[4:5]
	v_cmp_gt_u32_e64 s[0:1], s6, v47
	s_and_saveexec_b64 s[4:5], s[0:1]
	s_cbranch_execz .LBB1688_359
.LBB1688_385:
	s_waitcnt vmcnt(16)
	ds_write_b16 v49, v108 offset:256
	s_or_b64 exec, exec, s[4:5]
	v_cmp_gt_u32_e64 s[0:1], s6, v42
	s_and_saveexec_b64 s[4:5], s[0:1]
	s_cbranch_execnz .LBB1688_360
.LBB1688_386:
	s_or_b64 exec, exec, s[4:5]
	v_cmp_gt_u32_e64 s[0:1], s6, v40
	s_and_saveexec_b64 s[4:5], s[0:1]
	s_cbranch_execz .LBB1688_361
.LBB1688_387:
	s_waitcnt vmcnt(14)
	ds_write_b16 v44, v106 offset:256
	s_or_b64 exec, exec, s[4:5]
	v_cmp_gt_u32_e64 s[0:1], s6, v37
	s_and_saveexec_b64 s[4:5], s[0:1]
	s_cbranch_execnz .LBB1688_362
.LBB1688_388:
	s_or_b64 exec, exec, s[4:5]
	v_cmp_gt_u32_e64 s[0:1], s6, v35
	s_and_saveexec_b64 s[4:5], s[0:1]
	s_cbranch_execz .LBB1688_363
.LBB1688_389:
	s_waitcnt vmcnt(12)
	ds_write_b16 v41, v104 offset:256
	s_or_b64 exec, exec, s[4:5]
	v_cmp_gt_u32_e64 s[0:1], s6, v33
	s_and_saveexec_b64 s[4:5], s[0:1]
	s_cbranch_execnz .LBB1688_364
.LBB1688_390:
	s_or_b64 exec, exec, s[4:5]
	v_cmp_gt_u32_e64 s[0:1], s6, v32
	s_and_saveexec_b64 s[4:5], s[0:1]
	s_cbranch_execz .LBB1688_365
.LBB1688_391:
	s_waitcnt vmcnt(10)
	ds_write_b16 v38, v102 offset:256
	s_or_b64 exec, exec, s[4:5]
	v_cmp_gt_u32_e64 s[0:1], s6, v29
	s_and_saveexec_b64 s[4:5], s[0:1]
	s_cbranch_execnz .LBB1688_366
.LBB1688_392:
	s_or_b64 exec, exec, s[4:5]
	v_cmp_gt_u32_e64 s[0:1], s6, v27
	s_and_saveexec_b64 s[4:5], s[0:1]
	s_cbranch_execz .LBB1688_367
.LBB1688_393:
	s_waitcnt vmcnt(8)
	ds_write_b16 v34, v100 offset:256
	s_or_b64 exec, exec, s[4:5]
	v_cmp_gt_u32_e64 s[0:1], s6, v25
	s_and_saveexec_b64 s[4:5], s[0:1]
	s_cbranch_execnz .LBB1688_368
.LBB1688_394:
	s_or_b64 exec, exec, s[4:5]
	v_cmp_gt_u32_e64 s[0:1], s6, v23
	s_and_saveexec_b64 s[4:5], s[0:1]
	s_cbranch_execz .LBB1688_369
.LBB1688_395:
	s_waitcnt vmcnt(6)
	ds_write_b16 v30, v98 offset:256
	s_or_b64 exec, exec, s[4:5]
	v_cmp_gt_u32_e64 s[0:1], s6, v21
	s_and_saveexec_b64 s[4:5], s[0:1]
	s_cbranch_execnz .LBB1688_370
.LBB1688_396:
	s_or_b64 exec, exec, s[4:5]
	v_cmp_gt_u32_e64 s[0:1], s6, v18
	s_and_saveexec_b64 s[4:5], s[0:1]
	s_cbranch_execz .LBB1688_371
.LBB1688_397:
	s_waitcnt vmcnt(4)
	ds_write_b16 v26, v96 offset:256
	s_or_b64 exec, exec, s[4:5]
	v_cmp_gt_u32_e64 s[0:1], s6, v17
	s_and_saveexec_b64 s[4:5], s[0:1]
	s_cbranch_execnz .LBB1688_372
.LBB1688_398:
	s_or_b64 exec, exec, s[4:5]
	v_cmp_gt_u32_e64 s[0:1], s6, v16
	s_and_saveexec_b64 s[4:5], s[0:1]
	s_cbranch_execz .LBB1688_373
.LBB1688_399:
	s_waitcnt vmcnt(2)
	ds_write_b16 v22, v6 offset:256
	s_or_b64 exec, exec, s[4:5]
	v_cmp_gt_u32_e64 s[0:1], s6, v13
	s_and_saveexec_b64 s[4:5], s[0:1]
	s_cbranch_execnz .LBB1688_374
	s_branch .LBB1688_375
	.section	.rodata,"a",@progbits
	.p2align	6, 0x0
	.amdhsa_kernel _ZN7rocprim17ROCPRIM_400000_NS6detail17trampoline_kernelINS0_14default_configENS1_35radix_sort_onesweep_config_selectorIssEEZZNS1_29radix_sort_onesweep_iterationIS3_Lb0EN6thrust23THRUST_200600_302600_NS6detail15normal_iteratorINS8_10device_ptrIsEEEESD_SD_SD_jNS0_19identity_decomposerENS1_16block_id_wrapperIjLb0EEEEE10hipError_tT1_PNSt15iterator_traitsISI_E10value_typeET2_T3_PNSJ_ISO_E10value_typeET4_T5_PST_SU_PNS1_23onesweep_lookback_stateEbbT6_jjT7_P12ihipStream_tbENKUlT_T0_SI_SN_E_clIPsSD_S15_SD_EEDaS11_S12_SI_SN_EUlS11_E_NS1_11comp_targetILNS1_3genE6ELNS1_11target_archE950ELNS1_3gpuE13ELNS1_3repE0EEENS1_47radix_sort_onesweep_sort_config_static_selectorELNS0_4arch9wavefront6targetE1EEEvSI_
		.amdhsa_group_segment_fixed_size 22792
		.amdhsa_private_segment_fixed_size 0
		.amdhsa_kernarg_size 344
		.amdhsa_user_sgpr_count 2
		.amdhsa_user_sgpr_dispatch_ptr 0
		.amdhsa_user_sgpr_queue_ptr 0
		.amdhsa_user_sgpr_kernarg_segment_ptr 1
		.amdhsa_user_sgpr_dispatch_id 0
		.amdhsa_user_sgpr_kernarg_preload_length 0
		.amdhsa_user_sgpr_kernarg_preload_offset 0
		.amdhsa_user_sgpr_private_segment_size 0
		.amdhsa_uses_dynamic_stack 0
		.amdhsa_enable_private_segment 0
		.amdhsa_system_sgpr_workgroup_id_x 1
		.amdhsa_system_sgpr_workgroup_id_y 0
		.amdhsa_system_sgpr_workgroup_id_z 0
		.amdhsa_system_sgpr_workgroup_info 0
		.amdhsa_system_vgpr_workitem_id 2
		.amdhsa_next_free_vgpr 119
		.amdhsa_next_free_sgpr 100
		.amdhsa_accum_offset 120
		.amdhsa_reserve_vcc 1
		.amdhsa_float_round_mode_32 0
		.amdhsa_float_round_mode_16_64 0
		.amdhsa_float_denorm_mode_32 3
		.amdhsa_float_denorm_mode_16_64 3
		.amdhsa_dx10_clamp 1
		.amdhsa_ieee_mode 1
		.amdhsa_fp16_overflow 0
		.amdhsa_tg_split 0
		.amdhsa_exception_fp_ieee_invalid_op 0
		.amdhsa_exception_fp_denorm_src 0
		.amdhsa_exception_fp_ieee_div_zero 0
		.amdhsa_exception_fp_ieee_overflow 0
		.amdhsa_exception_fp_ieee_underflow 0
		.amdhsa_exception_fp_ieee_inexact 0
		.amdhsa_exception_int_div_zero 0
	.end_amdhsa_kernel
	.section	.text._ZN7rocprim17ROCPRIM_400000_NS6detail17trampoline_kernelINS0_14default_configENS1_35radix_sort_onesweep_config_selectorIssEEZZNS1_29radix_sort_onesweep_iterationIS3_Lb0EN6thrust23THRUST_200600_302600_NS6detail15normal_iteratorINS8_10device_ptrIsEEEESD_SD_SD_jNS0_19identity_decomposerENS1_16block_id_wrapperIjLb0EEEEE10hipError_tT1_PNSt15iterator_traitsISI_E10value_typeET2_T3_PNSJ_ISO_E10value_typeET4_T5_PST_SU_PNS1_23onesweep_lookback_stateEbbT6_jjT7_P12ihipStream_tbENKUlT_T0_SI_SN_E_clIPsSD_S15_SD_EEDaS11_S12_SI_SN_EUlS11_E_NS1_11comp_targetILNS1_3genE6ELNS1_11target_archE950ELNS1_3gpuE13ELNS1_3repE0EEENS1_47radix_sort_onesweep_sort_config_static_selectorELNS0_4arch9wavefront6targetE1EEEvSI_,"axG",@progbits,_ZN7rocprim17ROCPRIM_400000_NS6detail17trampoline_kernelINS0_14default_configENS1_35radix_sort_onesweep_config_selectorIssEEZZNS1_29radix_sort_onesweep_iterationIS3_Lb0EN6thrust23THRUST_200600_302600_NS6detail15normal_iteratorINS8_10device_ptrIsEEEESD_SD_SD_jNS0_19identity_decomposerENS1_16block_id_wrapperIjLb0EEEEE10hipError_tT1_PNSt15iterator_traitsISI_E10value_typeET2_T3_PNSJ_ISO_E10value_typeET4_T5_PST_SU_PNS1_23onesweep_lookback_stateEbbT6_jjT7_P12ihipStream_tbENKUlT_T0_SI_SN_E_clIPsSD_S15_SD_EEDaS11_S12_SI_SN_EUlS11_E_NS1_11comp_targetILNS1_3genE6ELNS1_11target_archE950ELNS1_3gpuE13ELNS1_3repE0EEENS1_47radix_sort_onesweep_sort_config_static_selectorELNS0_4arch9wavefront6targetE1EEEvSI_,comdat
.Lfunc_end1688:
	.size	_ZN7rocprim17ROCPRIM_400000_NS6detail17trampoline_kernelINS0_14default_configENS1_35radix_sort_onesweep_config_selectorIssEEZZNS1_29radix_sort_onesweep_iterationIS3_Lb0EN6thrust23THRUST_200600_302600_NS6detail15normal_iteratorINS8_10device_ptrIsEEEESD_SD_SD_jNS0_19identity_decomposerENS1_16block_id_wrapperIjLb0EEEEE10hipError_tT1_PNSt15iterator_traitsISI_E10value_typeET2_T3_PNSJ_ISO_E10value_typeET4_T5_PST_SU_PNS1_23onesweep_lookback_stateEbbT6_jjT7_P12ihipStream_tbENKUlT_T0_SI_SN_E_clIPsSD_S15_SD_EEDaS11_S12_SI_SN_EUlS11_E_NS1_11comp_targetILNS1_3genE6ELNS1_11target_archE950ELNS1_3gpuE13ELNS1_3repE0EEENS1_47radix_sort_onesweep_sort_config_static_selectorELNS0_4arch9wavefront6targetE1EEEvSI_, .Lfunc_end1688-_ZN7rocprim17ROCPRIM_400000_NS6detail17trampoline_kernelINS0_14default_configENS1_35radix_sort_onesweep_config_selectorIssEEZZNS1_29radix_sort_onesweep_iterationIS3_Lb0EN6thrust23THRUST_200600_302600_NS6detail15normal_iteratorINS8_10device_ptrIsEEEESD_SD_SD_jNS0_19identity_decomposerENS1_16block_id_wrapperIjLb0EEEEE10hipError_tT1_PNSt15iterator_traitsISI_E10value_typeET2_T3_PNSJ_ISO_E10value_typeET4_T5_PST_SU_PNS1_23onesweep_lookback_stateEbbT6_jjT7_P12ihipStream_tbENKUlT_T0_SI_SN_E_clIPsSD_S15_SD_EEDaS11_S12_SI_SN_EUlS11_E_NS1_11comp_targetILNS1_3genE6ELNS1_11target_archE950ELNS1_3gpuE13ELNS1_3repE0EEENS1_47radix_sort_onesweep_sort_config_static_selectorELNS0_4arch9wavefront6targetE1EEEvSI_
                                        ; -- End function
	.set _ZN7rocprim17ROCPRIM_400000_NS6detail17trampoline_kernelINS0_14default_configENS1_35radix_sort_onesweep_config_selectorIssEEZZNS1_29radix_sort_onesweep_iterationIS3_Lb0EN6thrust23THRUST_200600_302600_NS6detail15normal_iteratorINS8_10device_ptrIsEEEESD_SD_SD_jNS0_19identity_decomposerENS1_16block_id_wrapperIjLb0EEEEE10hipError_tT1_PNSt15iterator_traitsISI_E10value_typeET2_T3_PNSJ_ISO_E10value_typeET4_T5_PST_SU_PNS1_23onesweep_lookback_stateEbbT6_jjT7_P12ihipStream_tbENKUlT_T0_SI_SN_E_clIPsSD_S15_SD_EEDaS11_S12_SI_SN_EUlS11_E_NS1_11comp_targetILNS1_3genE6ELNS1_11target_archE950ELNS1_3gpuE13ELNS1_3repE0EEENS1_47radix_sort_onesweep_sort_config_static_selectorELNS0_4arch9wavefront6targetE1EEEvSI_.num_vgpr, 119
	.set _ZN7rocprim17ROCPRIM_400000_NS6detail17trampoline_kernelINS0_14default_configENS1_35radix_sort_onesweep_config_selectorIssEEZZNS1_29radix_sort_onesweep_iterationIS3_Lb0EN6thrust23THRUST_200600_302600_NS6detail15normal_iteratorINS8_10device_ptrIsEEEESD_SD_SD_jNS0_19identity_decomposerENS1_16block_id_wrapperIjLb0EEEEE10hipError_tT1_PNSt15iterator_traitsISI_E10value_typeET2_T3_PNSJ_ISO_E10value_typeET4_T5_PST_SU_PNS1_23onesweep_lookback_stateEbbT6_jjT7_P12ihipStream_tbENKUlT_T0_SI_SN_E_clIPsSD_S15_SD_EEDaS11_S12_SI_SN_EUlS11_E_NS1_11comp_targetILNS1_3genE6ELNS1_11target_archE950ELNS1_3gpuE13ELNS1_3repE0EEENS1_47radix_sort_onesweep_sort_config_static_selectorELNS0_4arch9wavefront6targetE1EEEvSI_.num_agpr, 0
	.set _ZN7rocprim17ROCPRIM_400000_NS6detail17trampoline_kernelINS0_14default_configENS1_35radix_sort_onesweep_config_selectorIssEEZZNS1_29radix_sort_onesweep_iterationIS3_Lb0EN6thrust23THRUST_200600_302600_NS6detail15normal_iteratorINS8_10device_ptrIsEEEESD_SD_SD_jNS0_19identity_decomposerENS1_16block_id_wrapperIjLb0EEEEE10hipError_tT1_PNSt15iterator_traitsISI_E10value_typeET2_T3_PNSJ_ISO_E10value_typeET4_T5_PST_SU_PNS1_23onesweep_lookback_stateEbbT6_jjT7_P12ihipStream_tbENKUlT_T0_SI_SN_E_clIPsSD_S15_SD_EEDaS11_S12_SI_SN_EUlS11_E_NS1_11comp_targetILNS1_3genE6ELNS1_11target_archE950ELNS1_3gpuE13ELNS1_3repE0EEENS1_47radix_sort_onesweep_sort_config_static_selectorELNS0_4arch9wavefront6targetE1EEEvSI_.numbered_sgpr, 100
	.set _ZN7rocprim17ROCPRIM_400000_NS6detail17trampoline_kernelINS0_14default_configENS1_35radix_sort_onesweep_config_selectorIssEEZZNS1_29radix_sort_onesweep_iterationIS3_Lb0EN6thrust23THRUST_200600_302600_NS6detail15normal_iteratorINS8_10device_ptrIsEEEESD_SD_SD_jNS0_19identity_decomposerENS1_16block_id_wrapperIjLb0EEEEE10hipError_tT1_PNSt15iterator_traitsISI_E10value_typeET2_T3_PNSJ_ISO_E10value_typeET4_T5_PST_SU_PNS1_23onesweep_lookback_stateEbbT6_jjT7_P12ihipStream_tbENKUlT_T0_SI_SN_E_clIPsSD_S15_SD_EEDaS11_S12_SI_SN_EUlS11_E_NS1_11comp_targetILNS1_3genE6ELNS1_11target_archE950ELNS1_3gpuE13ELNS1_3repE0EEENS1_47radix_sort_onesweep_sort_config_static_selectorELNS0_4arch9wavefront6targetE1EEEvSI_.num_named_barrier, 0
	.set _ZN7rocprim17ROCPRIM_400000_NS6detail17trampoline_kernelINS0_14default_configENS1_35radix_sort_onesweep_config_selectorIssEEZZNS1_29radix_sort_onesweep_iterationIS3_Lb0EN6thrust23THRUST_200600_302600_NS6detail15normal_iteratorINS8_10device_ptrIsEEEESD_SD_SD_jNS0_19identity_decomposerENS1_16block_id_wrapperIjLb0EEEEE10hipError_tT1_PNSt15iterator_traitsISI_E10value_typeET2_T3_PNSJ_ISO_E10value_typeET4_T5_PST_SU_PNS1_23onesweep_lookback_stateEbbT6_jjT7_P12ihipStream_tbENKUlT_T0_SI_SN_E_clIPsSD_S15_SD_EEDaS11_S12_SI_SN_EUlS11_E_NS1_11comp_targetILNS1_3genE6ELNS1_11target_archE950ELNS1_3gpuE13ELNS1_3repE0EEENS1_47radix_sort_onesweep_sort_config_static_selectorELNS0_4arch9wavefront6targetE1EEEvSI_.private_seg_size, 0
	.set _ZN7rocprim17ROCPRIM_400000_NS6detail17trampoline_kernelINS0_14default_configENS1_35radix_sort_onesweep_config_selectorIssEEZZNS1_29radix_sort_onesweep_iterationIS3_Lb0EN6thrust23THRUST_200600_302600_NS6detail15normal_iteratorINS8_10device_ptrIsEEEESD_SD_SD_jNS0_19identity_decomposerENS1_16block_id_wrapperIjLb0EEEEE10hipError_tT1_PNSt15iterator_traitsISI_E10value_typeET2_T3_PNSJ_ISO_E10value_typeET4_T5_PST_SU_PNS1_23onesweep_lookback_stateEbbT6_jjT7_P12ihipStream_tbENKUlT_T0_SI_SN_E_clIPsSD_S15_SD_EEDaS11_S12_SI_SN_EUlS11_E_NS1_11comp_targetILNS1_3genE6ELNS1_11target_archE950ELNS1_3gpuE13ELNS1_3repE0EEENS1_47radix_sort_onesweep_sort_config_static_selectorELNS0_4arch9wavefront6targetE1EEEvSI_.uses_vcc, 1
	.set _ZN7rocprim17ROCPRIM_400000_NS6detail17trampoline_kernelINS0_14default_configENS1_35radix_sort_onesweep_config_selectorIssEEZZNS1_29radix_sort_onesweep_iterationIS3_Lb0EN6thrust23THRUST_200600_302600_NS6detail15normal_iteratorINS8_10device_ptrIsEEEESD_SD_SD_jNS0_19identity_decomposerENS1_16block_id_wrapperIjLb0EEEEE10hipError_tT1_PNSt15iterator_traitsISI_E10value_typeET2_T3_PNSJ_ISO_E10value_typeET4_T5_PST_SU_PNS1_23onesweep_lookback_stateEbbT6_jjT7_P12ihipStream_tbENKUlT_T0_SI_SN_E_clIPsSD_S15_SD_EEDaS11_S12_SI_SN_EUlS11_E_NS1_11comp_targetILNS1_3genE6ELNS1_11target_archE950ELNS1_3gpuE13ELNS1_3repE0EEENS1_47radix_sort_onesweep_sort_config_static_selectorELNS0_4arch9wavefront6targetE1EEEvSI_.uses_flat_scratch, 0
	.set _ZN7rocprim17ROCPRIM_400000_NS6detail17trampoline_kernelINS0_14default_configENS1_35radix_sort_onesweep_config_selectorIssEEZZNS1_29radix_sort_onesweep_iterationIS3_Lb0EN6thrust23THRUST_200600_302600_NS6detail15normal_iteratorINS8_10device_ptrIsEEEESD_SD_SD_jNS0_19identity_decomposerENS1_16block_id_wrapperIjLb0EEEEE10hipError_tT1_PNSt15iterator_traitsISI_E10value_typeET2_T3_PNSJ_ISO_E10value_typeET4_T5_PST_SU_PNS1_23onesweep_lookback_stateEbbT6_jjT7_P12ihipStream_tbENKUlT_T0_SI_SN_E_clIPsSD_S15_SD_EEDaS11_S12_SI_SN_EUlS11_E_NS1_11comp_targetILNS1_3genE6ELNS1_11target_archE950ELNS1_3gpuE13ELNS1_3repE0EEENS1_47radix_sort_onesweep_sort_config_static_selectorELNS0_4arch9wavefront6targetE1EEEvSI_.has_dyn_sized_stack, 0
	.set _ZN7rocprim17ROCPRIM_400000_NS6detail17trampoline_kernelINS0_14default_configENS1_35radix_sort_onesweep_config_selectorIssEEZZNS1_29radix_sort_onesweep_iterationIS3_Lb0EN6thrust23THRUST_200600_302600_NS6detail15normal_iteratorINS8_10device_ptrIsEEEESD_SD_SD_jNS0_19identity_decomposerENS1_16block_id_wrapperIjLb0EEEEE10hipError_tT1_PNSt15iterator_traitsISI_E10value_typeET2_T3_PNSJ_ISO_E10value_typeET4_T5_PST_SU_PNS1_23onesweep_lookback_stateEbbT6_jjT7_P12ihipStream_tbENKUlT_T0_SI_SN_E_clIPsSD_S15_SD_EEDaS11_S12_SI_SN_EUlS11_E_NS1_11comp_targetILNS1_3genE6ELNS1_11target_archE950ELNS1_3gpuE13ELNS1_3repE0EEENS1_47radix_sort_onesweep_sort_config_static_selectorELNS0_4arch9wavefront6targetE1EEEvSI_.has_recursion, 0
	.set _ZN7rocprim17ROCPRIM_400000_NS6detail17trampoline_kernelINS0_14default_configENS1_35radix_sort_onesweep_config_selectorIssEEZZNS1_29radix_sort_onesweep_iterationIS3_Lb0EN6thrust23THRUST_200600_302600_NS6detail15normal_iteratorINS8_10device_ptrIsEEEESD_SD_SD_jNS0_19identity_decomposerENS1_16block_id_wrapperIjLb0EEEEE10hipError_tT1_PNSt15iterator_traitsISI_E10value_typeET2_T3_PNSJ_ISO_E10value_typeET4_T5_PST_SU_PNS1_23onesweep_lookback_stateEbbT6_jjT7_P12ihipStream_tbENKUlT_T0_SI_SN_E_clIPsSD_S15_SD_EEDaS11_S12_SI_SN_EUlS11_E_NS1_11comp_targetILNS1_3genE6ELNS1_11target_archE950ELNS1_3gpuE13ELNS1_3repE0EEENS1_47radix_sort_onesweep_sort_config_static_selectorELNS0_4arch9wavefront6targetE1EEEvSI_.has_indirect_call, 0
	.section	.AMDGPU.csdata,"",@progbits
; Kernel info:
; codeLenInByte = 30208
; TotalNumSgprs: 106
; NumVgprs: 119
; NumAgprs: 0
; TotalNumVgprs: 119
; ScratchSize: 0
; MemoryBound: 0
; FloatMode: 240
; IeeeMode: 1
; LDSByteSize: 22792 bytes/workgroup (compile time only)
; SGPRBlocks: 13
; VGPRBlocks: 14
; NumSGPRsForWavesPerEU: 106
; NumVGPRsForWavesPerEU: 119
; AccumOffset: 120
; Occupancy: 4
; WaveLimiterHint : 1
; COMPUTE_PGM_RSRC2:SCRATCH_EN: 0
; COMPUTE_PGM_RSRC2:USER_SGPR: 2
; COMPUTE_PGM_RSRC2:TRAP_HANDLER: 0
; COMPUTE_PGM_RSRC2:TGID_X_EN: 1
; COMPUTE_PGM_RSRC2:TGID_Y_EN: 0
; COMPUTE_PGM_RSRC2:TGID_Z_EN: 0
; COMPUTE_PGM_RSRC2:TIDIG_COMP_CNT: 2
; COMPUTE_PGM_RSRC3_GFX90A:ACCUM_OFFSET: 29
; COMPUTE_PGM_RSRC3_GFX90A:TG_SPLIT: 0
	.section	.text._ZN7rocprim17ROCPRIM_400000_NS6detail17trampoline_kernelINS0_14default_configENS1_35radix_sort_onesweep_config_selectorIssEEZZNS1_29radix_sort_onesweep_iterationIS3_Lb0EN6thrust23THRUST_200600_302600_NS6detail15normal_iteratorINS8_10device_ptrIsEEEESD_SD_SD_jNS0_19identity_decomposerENS1_16block_id_wrapperIjLb0EEEEE10hipError_tT1_PNSt15iterator_traitsISI_E10value_typeET2_T3_PNSJ_ISO_E10value_typeET4_T5_PST_SU_PNS1_23onesweep_lookback_stateEbbT6_jjT7_P12ihipStream_tbENKUlT_T0_SI_SN_E_clIPsSD_S15_SD_EEDaS11_S12_SI_SN_EUlS11_E_NS1_11comp_targetILNS1_3genE5ELNS1_11target_archE942ELNS1_3gpuE9ELNS1_3repE0EEENS1_47radix_sort_onesweep_sort_config_static_selectorELNS0_4arch9wavefront6targetE1EEEvSI_,"axG",@progbits,_ZN7rocprim17ROCPRIM_400000_NS6detail17trampoline_kernelINS0_14default_configENS1_35radix_sort_onesweep_config_selectorIssEEZZNS1_29radix_sort_onesweep_iterationIS3_Lb0EN6thrust23THRUST_200600_302600_NS6detail15normal_iteratorINS8_10device_ptrIsEEEESD_SD_SD_jNS0_19identity_decomposerENS1_16block_id_wrapperIjLb0EEEEE10hipError_tT1_PNSt15iterator_traitsISI_E10value_typeET2_T3_PNSJ_ISO_E10value_typeET4_T5_PST_SU_PNS1_23onesweep_lookback_stateEbbT6_jjT7_P12ihipStream_tbENKUlT_T0_SI_SN_E_clIPsSD_S15_SD_EEDaS11_S12_SI_SN_EUlS11_E_NS1_11comp_targetILNS1_3genE5ELNS1_11target_archE942ELNS1_3gpuE9ELNS1_3repE0EEENS1_47radix_sort_onesweep_sort_config_static_selectorELNS0_4arch9wavefront6targetE1EEEvSI_,comdat
	.protected	_ZN7rocprim17ROCPRIM_400000_NS6detail17trampoline_kernelINS0_14default_configENS1_35radix_sort_onesweep_config_selectorIssEEZZNS1_29radix_sort_onesweep_iterationIS3_Lb0EN6thrust23THRUST_200600_302600_NS6detail15normal_iteratorINS8_10device_ptrIsEEEESD_SD_SD_jNS0_19identity_decomposerENS1_16block_id_wrapperIjLb0EEEEE10hipError_tT1_PNSt15iterator_traitsISI_E10value_typeET2_T3_PNSJ_ISO_E10value_typeET4_T5_PST_SU_PNS1_23onesweep_lookback_stateEbbT6_jjT7_P12ihipStream_tbENKUlT_T0_SI_SN_E_clIPsSD_S15_SD_EEDaS11_S12_SI_SN_EUlS11_E_NS1_11comp_targetILNS1_3genE5ELNS1_11target_archE942ELNS1_3gpuE9ELNS1_3repE0EEENS1_47radix_sort_onesweep_sort_config_static_selectorELNS0_4arch9wavefront6targetE1EEEvSI_ ; -- Begin function _ZN7rocprim17ROCPRIM_400000_NS6detail17trampoline_kernelINS0_14default_configENS1_35radix_sort_onesweep_config_selectorIssEEZZNS1_29radix_sort_onesweep_iterationIS3_Lb0EN6thrust23THRUST_200600_302600_NS6detail15normal_iteratorINS8_10device_ptrIsEEEESD_SD_SD_jNS0_19identity_decomposerENS1_16block_id_wrapperIjLb0EEEEE10hipError_tT1_PNSt15iterator_traitsISI_E10value_typeET2_T3_PNSJ_ISO_E10value_typeET4_T5_PST_SU_PNS1_23onesweep_lookback_stateEbbT6_jjT7_P12ihipStream_tbENKUlT_T0_SI_SN_E_clIPsSD_S15_SD_EEDaS11_S12_SI_SN_EUlS11_E_NS1_11comp_targetILNS1_3genE5ELNS1_11target_archE942ELNS1_3gpuE9ELNS1_3repE0EEENS1_47radix_sort_onesweep_sort_config_static_selectorELNS0_4arch9wavefront6targetE1EEEvSI_
	.globl	_ZN7rocprim17ROCPRIM_400000_NS6detail17trampoline_kernelINS0_14default_configENS1_35radix_sort_onesweep_config_selectorIssEEZZNS1_29radix_sort_onesweep_iterationIS3_Lb0EN6thrust23THRUST_200600_302600_NS6detail15normal_iteratorINS8_10device_ptrIsEEEESD_SD_SD_jNS0_19identity_decomposerENS1_16block_id_wrapperIjLb0EEEEE10hipError_tT1_PNSt15iterator_traitsISI_E10value_typeET2_T3_PNSJ_ISO_E10value_typeET4_T5_PST_SU_PNS1_23onesweep_lookback_stateEbbT6_jjT7_P12ihipStream_tbENKUlT_T0_SI_SN_E_clIPsSD_S15_SD_EEDaS11_S12_SI_SN_EUlS11_E_NS1_11comp_targetILNS1_3genE5ELNS1_11target_archE942ELNS1_3gpuE9ELNS1_3repE0EEENS1_47radix_sort_onesweep_sort_config_static_selectorELNS0_4arch9wavefront6targetE1EEEvSI_
	.p2align	8
	.type	_ZN7rocprim17ROCPRIM_400000_NS6detail17trampoline_kernelINS0_14default_configENS1_35radix_sort_onesweep_config_selectorIssEEZZNS1_29radix_sort_onesweep_iterationIS3_Lb0EN6thrust23THRUST_200600_302600_NS6detail15normal_iteratorINS8_10device_ptrIsEEEESD_SD_SD_jNS0_19identity_decomposerENS1_16block_id_wrapperIjLb0EEEEE10hipError_tT1_PNSt15iterator_traitsISI_E10value_typeET2_T3_PNSJ_ISO_E10value_typeET4_T5_PST_SU_PNS1_23onesweep_lookback_stateEbbT6_jjT7_P12ihipStream_tbENKUlT_T0_SI_SN_E_clIPsSD_S15_SD_EEDaS11_S12_SI_SN_EUlS11_E_NS1_11comp_targetILNS1_3genE5ELNS1_11target_archE942ELNS1_3gpuE9ELNS1_3repE0EEENS1_47radix_sort_onesweep_sort_config_static_selectorELNS0_4arch9wavefront6targetE1EEEvSI_,@function
_ZN7rocprim17ROCPRIM_400000_NS6detail17trampoline_kernelINS0_14default_configENS1_35radix_sort_onesweep_config_selectorIssEEZZNS1_29radix_sort_onesweep_iterationIS3_Lb0EN6thrust23THRUST_200600_302600_NS6detail15normal_iteratorINS8_10device_ptrIsEEEESD_SD_SD_jNS0_19identity_decomposerENS1_16block_id_wrapperIjLb0EEEEE10hipError_tT1_PNSt15iterator_traitsISI_E10value_typeET2_T3_PNSJ_ISO_E10value_typeET4_T5_PST_SU_PNS1_23onesweep_lookback_stateEbbT6_jjT7_P12ihipStream_tbENKUlT_T0_SI_SN_E_clIPsSD_S15_SD_EEDaS11_S12_SI_SN_EUlS11_E_NS1_11comp_targetILNS1_3genE5ELNS1_11target_archE942ELNS1_3gpuE9ELNS1_3repE0EEENS1_47radix_sort_onesweep_sort_config_static_selectorELNS0_4arch9wavefront6targetE1EEEvSI_: ; @_ZN7rocprim17ROCPRIM_400000_NS6detail17trampoline_kernelINS0_14default_configENS1_35radix_sort_onesweep_config_selectorIssEEZZNS1_29radix_sort_onesweep_iterationIS3_Lb0EN6thrust23THRUST_200600_302600_NS6detail15normal_iteratorINS8_10device_ptrIsEEEESD_SD_SD_jNS0_19identity_decomposerENS1_16block_id_wrapperIjLb0EEEEE10hipError_tT1_PNSt15iterator_traitsISI_E10value_typeET2_T3_PNSJ_ISO_E10value_typeET4_T5_PST_SU_PNS1_23onesweep_lookback_stateEbbT6_jjT7_P12ihipStream_tbENKUlT_T0_SI_SN_E_clIPsSD_S15_SD_EEDaS11_S12_SI_SN_EUlS11_E_NS1_11comp_targetILNS1_3genE5ELNS1_11target_archE942ELNS1_3gpuE9ELNS1_3repE0EEENS1_47radix_sort_onesweep_sort_config_static_selectorELNS0_4arch9wavefront6targetE1EEEvSI_
; %bb.0:
	.section	.rodata,"a",@progbits
	.p2align	6, 0x0
	.amdhsa_kernel _ZN7rocprim17ROCPRIM_400000_NS6detail17trampoline_kernelINS0_14default_configENS1_35radix_sort_onesweep_config_selectorIssEEZZNS1_29radix_sort_onesweep_iterationIS3_Lb0EN6thrust23THRUST_200600_302600_NS6detail15normal_iteratorINS8_10device_ptrIsEEEESD_SD_SD_jNS0_19identity_decomposerENS1_16block_id_wrapperIjLb0EEEEE10hipError_tT1_PNSt15iterator_traitsISI_E10value_typeET2_T3_PNSJ_ISO_E10value_typeET4_T5_PST_SU_PNS1_23onesweep_lookback_stateEbbT6_jjT7_P12ihipStream_tbENKUlT_T0_SI_SN_E_clIPsSD_S15_SD_EEDaS11_S12_SI_SN_EUlS11_E_NS1_11comp_targetILNS1_3genE5ELNS1_11target_archE942ELNS1_3gpuE9ELNS1_3repE0EEENS1_47radix_sort_onesweep_sort_config_static_selectorELNS0_4arch9wavefront6targetE1EEEvSI_
		.amdhsa_group_segment_fixed_size 0
		.amdhsa_private_segment_fixed_size 0
		.amdhsa_kernarg_size 88
		.amdhsa_user_sgpr_count 2
		.amdhsa_user_sgpr_dispatch_ptr 0
		.amdhsa_user_sgpr_queue_ptr 0
		.amdhsa_user_sgpr_kernarg_segment_ptr 1
		.amdhsa_user_sgpr_dispatch_id 0
		.amdhsa_user_sgpr_kernarg_preload_length 0
		.amdhsa_user_sgpr_kernarg_preload_offset 0
		.amdhsa_user_sgpr_private_segment_size 0
		.amdhsa_uses_dynamic_stack 0
		.amdhsa_enable_private_segment 0
		.amdhsa_system_sgpr_workgroup_id_x 1
		.amdhsa_system_sgpr_workgroup_id_y 0
		.amdhsa_system_sgpr_workgroup_id_z 0
		.amdhsa_system_sgpr_workgroup_info 0
		.amdhsa_system_vgpr_workitem_id 0
		.amdhsa_next_free_vgpr 1
		.amdhsa_next_free_sgpr 0
		.amdhsa_accum_offset 4
		.amdhsa_reserve_vcc 0
		.amdhsa_float_round_mode_32 0
		.amdhsa_float_round_mode_16_64 0
		.amdhsa_float_denorm_mode_32 3
		.amdhsa_float_denorm_mode_16_64 3
		.amdhsa_dx10_clamp 1
		.amdhsa_ieee_mode 1
		.amdhsa_fp16_overflow 0
		.amdhsa_tg_split 0
		.amdhsa_exception_fp_ieee_invalid_op 0
		.amdhsa_exception_fp_denorm_src 0
		.amdhsa_exception_fp_ieee_div_zero 0
		.amdhsa_exception_fp_ieee_overflow 0
		.amdhsa_exception_fp_ieee_underflow 0
		.amdhsa_exception_fp_ieee_inexact 0
		.amdhsa_exception_int_div_zero 0
	.end_amdhsa_kernel
	.section	.text._ZN7rocprim17ROCPRIM_400000_NS6detail17trampoline_kernelINS0_14default_configENS1_35radix_sort_onesweep_config_selectorIssEEZZNS1_29radix_sort_onesweep_iterationIS3_Lb0EN6thrust23THRUST_200600_302600_NS6detail15normal_iteratorINS8_10device_ptrIsEEEESD_SD_SD_jNS0_19identity_decomposerENS1_16block_id_wrapperIjLb0EEEEE10hipError_tT1_PNSt15iterator_traitsISI_E10value_typeET2_T3_PNSJ_ISO_E10value_typeET4_T5_PST_SU_PNS1_23onesweep_lookback_stateEbbT6_jjT7_P12ihipStream_tbENKUlT_T0_SI_SN_E_clIPsSD_S15_SD_EEDaS11_S12_SI_SN_EUlS11_E_NS1_11comp_targetILNS1_3genE5ELNS1_11target_archE942ELNS1_3gpuE9ELNS1_3repE0EEENS1_47radix_sort_onesweep_sort_config_static_selectorELNS0_4arch9wavefront6targetE1EEEvSI_,"axG",@progbits,_ZN7rocprim17ROCPRIM_400000_NS6detail17trampoline_kernelINS0_14default_configENS1_35radix_sort_onesweep_config_selectorIssEEZZNS1_29radix_sort_onesweep_iterationIS3_Lb0EN6thrust23THRUST_200600_302600_NS6detail15normal_iteratorINS8_10device_ptrIsEEEESD_SD_SD_jNS0_19identity_decomposerENS1_16block_id_wrapperIjLb0EEEEE10hipError_tT1_PNSt15iterator_traitsISI_E10value_typeET2_T3_PNSJ_ISO_E10value_typeET4_T5_PST_SU_PNS1_23onesweep_lookback_stateEbbT6_jjT7_P12ihipStream_tbENKUlT_T0_SI_SN_E_clIPsSD_S15_SD_EEDaS11_S12_SI_SN_EUlS11_E_NS1_11comp_targetILNS1_3genE5ELNS1_11target_archE942ELNS1_3gpuE9ELNS1_3repE0EEENS1_47radix_sort_onesweep_sort_config_static_selectorELNS0_4arch9wavefront6targetE1EEEvSI_,comdat
.Lfunc_end1689:
	.size	_ZN7rocprim17ROCPRIM_400000_NS6detail17trampoline_kernelINS0_14default_configENS1_35radix_sort_onesweep_config_selectorIssEEZZNS1_29radix_sort_onesweep_iterationIS3_Lb0EN6thrust23THRUST_200600_302600_NS6detail15normal_iteratorINS8_10device_ptrIsEEEESD_SD_SD_jNS0_19identity_decomposerENS1_16block_id_wrapperIjLb0EEEEE10hipError_tT1_PNSt15iterator_traitsISI_E10value_typeET2_T3_PNSJ_ISO_E10value_typeET4_T5_PST_SU_PNS1_23onesweep_lookback_stateEbbT6_jjT7_P12ihipStream_tbENKUlT_T0_SI_SN_E_clIPsSD_S15_SD_EEDaS11_S12_SI_SN_EUlS11_E_NS1_11comp_targetILNS1_3genE5ELNS1_11target_archE942ELNS1_3gpuE9ELNS1_3repE0EEENS1_47radix_sort_onesweep_sort_config_static_selectorELNS0_4arch9wavefront6targetE1EEEvSI_, .Lfunc_end1689-_ZN7rocprim17ROCPRIM_400000_NS6detail17trampoline_kernelINS0_14default_configENS1_35radix_sort_onesweep_config_selectorIssEEZZNS1_29radix_sort_onesweep_iterationIS3_Lb0EN6thrust23THRUST_200600_302600_NS6detail15normal_iteratorINS8_10device_ptrIsEEEESD_SD_SD_jNS0_19identity_decomposerENS1_16block_id_wrapperIjLb0EEEEE10hipError_tT1_PNSt15iterator_traitsISI_E10value_typeET2_T3_PNSJ_ISO_E10value_typeET4_T5_PST_SU_PNS1_23onesweep_lookback_stateEbbT6_jjT7_P12ihipStream_tbENKUlT_T0_SI_SN_E_clIPsSD_S15_SD_EEDaS11_S12_SI_SN_EUlS11_E_NS1_11comp_targetILNS1_3genE5ELNS1_11target_archE942ELNS1_3gpuE9ELNS1_3repE0EEENS1_47radix_sort_onesweep_sort_config_static_selectorELNS0_4arch9wavefront6targetE1EEEvSI_
                                        ; -- End function
	.set _ZN7rocprim17ROCPRIM_400000_NS6detail17trampoline_kernelINS0_14default_configENS1_35radix_sort_onesweep_config_selectorIssEEZZNS1_29radix_sort_onesweep_iterationIS3_Lb0EN6thrust23THRUST_200600_302600_NS6detail15normal_iteratorINS8_10device_ptrIsEEEESD_SD_SD_jNS0_19identity_decomposerENS1_16block_id_wrapperIjLb0EEEEE10hipError_tT1_PNSt15iterator_traitsISI_E10value_typeET2_T3_PNSJ_ISO_E10value_typeET4_T5_PST_SU_PNS1_23onesweep_lookback_stateEbbT6_jjT7_P12ihipStream_tbENKUlT_T0_SI_SN_E_clIPsSD_S15_SD_EEDaS11_S12_SI_SN_EUlS11_E_NS1_11comp_targetILNS1_3genE5ELNS1_11target_archE942ELNS1_3gpuE9ELNS1_3repE0EEENS1_47radix_sort_onesweep_sort_config_static_selectorELNS0_4arch9wavefront6targetE1EEEvSI_.num_vgpr, 0
	.set _ZN7rocprim17ROCPRIM_400000_NS6detail17trampoline_kernelINS0_14default_configENS1_35radix_sort_onesweep_config_selectorIssEEZZNS1_29radix_sort_onesweep_iterationIS3_Lb0EN6thrust23THRUST_200600_302600_NS6detail15normal_iteratorINS8_10device_ptrIsEEEESD_SD_SD_jNS0_19identity_decomposerENS1_16block_id_wrapperIjLb0EEEEE10hipError_tT1_PNSt15iterator_traitsISI_E10value_typeET2_T3_PNSJ_ISO_E10value_typeET4_T5_PST_SU_PNS1_23onesweep_lookback_stateEbbT6_jjT7_P12ihipStream_tbENKUlT_T0_SI_SN_E_clIPsSD_S15_SD_EEDaS11_S12_SI_SN_EUlS11_E_NS1_11comp_targetILNS1_3genE5ELNS1_11target_archE942ELNS1_3gpuE9ELNS1_3repE0EEENS1_47radix_sort_onesweep_sort_config_static_selectorELNS0_4arch9wavefront6targetE1EEEvSI_.num_agpr, 0
	.set _ZN7rocprim17ROCPRIM_400000_NS6detail17trampoline_kernelINS0_14default_configENS1_35radix_sort_onesweep_config_selectorIssEEZZNS1_29radix_sort_onesweep_iterationIS3_Lb0EN6thrust23THRUST_200600_302600_NS6detail15normal_iteratorINS8_10device_ptrIsEEEESD_SD_SD_jNS0_19identity_decomposerENS1_16block_id_wrapperIjLb0EEEEE10hipError_tT1_PNSt15iterator_traitsISI_E10value_typeET2_T3_PNSJ_ISO_E10value_typeET4_T5_PST_SU_PNS1_23onesweep_lookback_stateEbbT6_jjT7_P12ihipStream_tbENKUlT_T0_SI_SN_E_clIPsSD_S15_SD_EEDaS11_S12_SI_SN_EUlS11_E_NS1_11comp_targetILNS1_3genE5ELNS1_11target_archE942ELNS1_3gpuE9ELNS1_3repE0EEENS1_47radix_sort_onesweep_sort_config_static_selectorELNS0_4arch9wavefront6targetE1EEEvSI_.numbered_sgpr, 0
	.set _ZN7rocprim17ROCPRIM_400000_NS6detail17trampoline_kernelINS0_14default_configENS1_35radix_sort_onesweep_config_selectorIssEEZZNS1_29radix_sort_onesweep_iterationIS3_Lb0EN6thrust23THRUST_200600_302600_NS6detail15normal_iteratorINS8_10device_ptrIsEEEESD_SD_SD_jNS0_19identity_decomposerENS1_16block_id_wrapperIjLb0EEEEE10hipError_tT1_PNSt15iterator_traitsISI_E10value_typeET2_T3_PNSJ_ISO_E10value_typeET4_T5_PST_SU_PNS1_23onesweep_lookback_stateEbbT6_jjT7_P12ihipStream_tbENKUlT_T0_SI_SN_E_clIPsSD_S15_SD_EEDaS11_S12_SI_SN_EUlS11_E_NS1_11comp_targetILNS1_3genE5ELNS1_11target_archE942ELNS1_3gpuE9ELNS1_3repE0EEENS1_47radix_sort_onesweep_sort_config_static_selectorELNS0_4arch9wavefront6targetE1EEEvSI_.num_named_barrier, 0
	.set _ZN7rocprim17ROCPRIM_400000_NS6detail17trampoline_kernelINS0_14default_configENS1_35radix_sort_onesweep_config_selectorIssEEZZNS1_29radix_sort_onesweep_iterationIS3_Lb0EN6thrust23THRUST_200600_302600_NS6detail15normal_iteratorINS8_10device_ptrIsEEEESD_SD_SD_jNS0_19identity_decomposerENS1_16block_id_wrapperIjLb0EEEEE10hipError_tT1_PNSt15iterator_traitsISI_E10value_typeET2_T3_PNSJ_ISO_E10value_typeET4_T5_PST_SU_PNS1_23onesweep_lookback_stateEbbT6_jjT7_P12ihipStream_tbENKUlT_T0_SI_SN_E_clIPsSD_S15_SD_EEDaS11_S12_SI_SN_EUlS11_E_NS1_11comp_targetILNS1_3genE5ELNS1_11target_archE942ELNS1_3gpuE9ELNS1_3repE0EEENS1_47radix_sort_onesweep_sort_config_static_selectorELNS0_4arch9wavefront6targetE1EEEvSI_.private_seg_size, 0
	.set _ZN7rocprim17ROCPRIM_400000_NS6detail17trampoline_kernelINS0_14default_configENS1_35radix_sort_onesweep_config_selectorIssEEZZNS1_29radix_sort_onesweep_iterationIS3_Lb0EN6thrust23THRUST_200600_302600_NS6detail15normal_iteratorINS8_10device_ptrIsEEEESD_SD_SD_jNS0_19identity_decomposerENS1_16block_id_wrapperIjLb0EEEEE10hipError_tT1_PNSt15iterator_traitsISI_E10value_typeET2_T3_PNSJ_ISO_E10value_typeET4_T5_PST_SU_PNS1_23onesweep_lookback_stateEbbT6_jjT7_P12ihipStream_tbENKUlT_T0_SI_SN_E_clIPsSD_S15_SD_EEDaS11_S12_SI_SN_EUlS11_E_NS1_11comp_targetILNS1_3genE5ELNS1_11target_archE942ELNS1_3gpuE9ELNS1_3repE0EEENS1_47radix_sort_onesweep_sort_config_static_selectorELNS0_4arch9wavefront6targetE1EEEvSI_.uses_vcc, 0
	.set _ZN7rocprim17ROCPRIM_400000_NS6detail17trampoline_kernelINS0_14default_configENS1_35radix_sort_onesweep_config_selectorIssEEZZNS1_29radix_sort_onesweep_iterationIS3_Lb0EN6thrust23THRUST_200600_302600_NS6detail15normal_iteratorINS8_10device_ptrIsEEEESD_SD_SD_jNS0_19identity_decomposerENS1_16block_id_wrapperIjLb0EEEEE10hipError_tT1_PNSt15iterator_traitsISI_E10value_typeET2_T3_PNSJ_ISO_E10value_typeET4_T5_PST_SU_PNS1_23onesweep_lookback_stateEbbT6_jjT7_P12ihipStream_tbENKUlT_T0_SI_SN_E_clIPsSD_S15_SD_EEDaS11_S12_SI_SN_EUlS11_E_NS1_11comp_targetILNS1_3genE5ELNS1_11target_archE942ELNS1_3gpuE9ELNS1_3repE0EEENS1_47radix_sort_onesweep_sort_config_static_selectorELNS0_4arch9wavefront6targetE1EEEvSI_.uses_flat_scratch, 0
	.set _ZN7rocprim17ROCPRIM_400000_NS6detail17trampoline_kernelINS0_14default_configENS1_35radix_sort_onesweep_config_selectorIssEEZZNS1_29radix_sort_onesweep_iterationIS3_Lb0EN6thrust23THRUST_200600_302600_NS6detail15normal_iteratorINS8_10device_ptrIsEEEESD_SD_SD_jNS0_19identity_decomposerENS1_16block_id_wrapperIjLb0EEEEE10hipError_tT1_PNSt15iterator_traitsISI_E10value_typeET2_T3_PNSJ_ISO_E10value_typeET4_T5_PST_SU_PNS1_23onesweep_lookback_stateEbbT6_jjT7_P12ihipStream_tbENKUlT_T0_SI_SN_E_clIPsSD_S15_SD_EEDaS11_S12_SI_SN_EUlS11_E_NS1_11comp_targetILNS1_3genE5ELNS1_11target_archE942ELNS1_3gpuE9ELNS1_3repE0EEENS1_47radix_sort_onesweep_sort_config_static_selectorELNS0_4arch9wavefront6targetE1EEEvSI_.has_dyn_sized_stack, 0
	.set _ZN7rocprim17ROCPRIM_400000_NS6detail17trampoline_kernelINS0_14default_configENS1_35radix_sort_onesweep_config_selectorIssEEZZNS1_29radix_sort_onesweep_iterationIS3_Lb0EN6thrust23THRUST_200600_302600_NS6detail15normal_iteratorINS8_10device_ptrIsEEEESD_SD_SD_jNS0_19identity_decomposerENS1_16block_id_wrapperIjLb0EEEEE10hipError_tT1_PNSt15iterator_traitsISI_E10value_typeET2_T3_PNSJ_ISO_E10value_typeET4_T5_PST_SU_PNS1_23onesweep_lookback_stateEbbT6_jjT7_P12ihipStream_tbENKUlT_T0_SI_SN_E_clIPsSD_S15_SD_EEDaS11_S12_SI_SN_EUlS11_E_NS1_11comp_targetILNS1_3genE5ELNS1_11target_archE942ELNS1_3gpuE9ELNS1_3repE0EEENS1_47radix_sort_onesweep_sort_config_static_selectorELNS0_4arch9wavefront6targetE1EEEvSI_.has_recursion, 0
	.set _ZN7rocprim17ROCPRIM_400000_NS6detail17trampoline_kernelINS0_14default_configENS1_35radix_sort_onesweep_config_selectorIssEEZZNS1_29radix_sort_onesweep_iterationIS3_Lb0EN6thrust23THRUST_200600_302600_NS6detail15normal_iteratorINS8_10device_ptrIsEEEESD_SD_SD_jNS0_19identity_decomposerENS1_16block_id_wrapperIjLb0EEEEE10hipError_tT1_PNSt15iterator_traitsISI_E10value_typeET2_T3_PNSJ_ISO_E10value_typeET4_T5_PST_SU_PNS1_23onesweep_lookback_stateEbbT6_jjT7_P12ihipStream_tbENKUlT_T0_SI_SN_E_clIPsSD_S15_SD_EEDaS11_S12_SI_SN_EUlS11_E_NS1_11comp_targetILNS1_3genE5ELNS1_11target_archE942ELNS1_3gpuE9ELNS1_3repE0EEENS1_47radix_sort_onesweep_sort_config_static_selectorELNS0_4arch9wavefront6targetE1EEEvSI_.has_indirect_call, 0
	.section	.AMDGPU.csdata,"",@progbits
; Kernel info:
; codeLenInByte = 0
; TotalNumSgprs: 6
; NumVgprs: 0
; NumAgprs: 0
; TotalNumVgprs: 0
; ScratchSize: 0
; MemoryBound: 0
; FloatMode: 240
; IeeeMode: 1
; LDSByteSize: 0 bytes/workgroup (compile time only)
; SGPRBlocks: 0
; VGPRBlocks: 0
; NumSGPRsForWavesPerEU: 6
; NumVGPRsForWavesPerEU: 1
; AccumOffset: 4
; Occupancy: 8
; WaveLimiterHint : 0
; COMPUTE_PGM_RSRC2:SCRATCH_EN: 0
; COMPUTE_PGM_RSRC2:USER_SGPR: 2
; COMPUTE_PGM_RSRC2:TRAP_HANDLER: 0
; COMPUTE_PGM_RSRC2:TGID_X_EN: 1
; COMPUTE_PGM_RSRC2:TGID_Y_EN: 0
; COMPUTE_PGM_RSRC2:TGID_Z_EN: 0
; COMPUTE_PGM_RSRC2:TIDIG_COMP_CNT: 0
; COMPUTE_PGM_RSRC3_GFX90A:ACCUM_OFFSET: 0
; COMPUTE_PGM_RSRC3_GFX90A:TG_SPLIT: 0
	.section	.text._ZN7rocprim17ROCPRIM_400000_NS6detail17trampoline_kernelINS0_14default_configENS1_35radix_sort_onesweep_config_selectorIssEEZZNS1_29radix_sort_onesweep_iterationIS3_Lb0EN6thrust23THRUST_200600_302600_NS6detail15normal_iteratorINS8_10device_ptrIsEEEESD_SD_SD_jNS0_19identity_decomposerENS1_16block_id_wrapperIjLb0EEEEE10hipError_tT1_PNSt15iterator_traitsISI_E10value_typeET2_T3_PNSJ_ISO_E10value_typeET4_T5_PST_SU_PNS1_23onesweep_lookback_stateEbbT6_jjT7_P12ihipStream_tbENKUlT_T0_SI_SN_E_clIPsSD_S15_SD_EEDaS11_S12_SI_SN_EUlS11_E_NS1_11comp_targetILNS1_3genE2ELNS1_11target_archE906ELNS1_3gpuE6ELNS1_3repE0EEENS1_47radix_sort_onesweep_sort_config_static_selectorELNS0_4arch9wavefront6targetE1EEEvSI_,"axG",@progbits,_ZN7rocprim17ROCPRIM_400000_NS6detail17trampoline_kernelINS0_14default_configENS1_35radix_sort_onesweep_config_selectorIssEEZZNS1_29radix_sort_onesweep_iterationIS3_Lb0EN6thrust23THRUST_200600_302600_NS6detail15normal_iteratorINS8_10device_ptrIsEEEESD_SD_SD_jNS0_19identity_decomposerENS1_16block_id_wrapperIjLb0EEEEE10hipError_tT1_PNSt15iterator_traitsISI_E10value_typeET2_T3_PNSJ_ISO_E10value_typeET4_T5_PST_SU_PNS1_23onesweep_lookback_stateEbbT6_jjT7_P12ihipStream_tbENKUlT_T0_SI_SN_E_clIPsSD_S15_SD_EEDaS11_S12_SI_SN_EUlS11_E_NS1_11comp_targetILNS1_3genE2ELNS1_11target_archE906ELNS1_3gpuE6ELNS1_3repE0EEENS1_47radix_sort_onesweep_sort_config_static_selectorELNS0_4arch9wavefront6targetE1EEEvSI_,comdat
	.protected	_ZN7rocprim17ROCPRIM_400000_NS6detail17trampoline_kernelINS0_14default_configENS1_35radix_sort_onesweep_config_selectorIssEEZZNS1_29radix_sort_onesweep_iterationIS3_Lb0EN6thrust23THRUST_200600_302600_NS6detail15normal_iteratorINS8_10device_ptrIsEEEESD_SD_SD_jNS0_19identity_decomposerENS1_16block_id_wrapperIjLb0EEEEE10hipError_tT1_PNSt15iterator_traitsISI_E10value_typeET2_T3_PNSJ_ISO_E10value_typeET4_T5_PST_SU_PNS1_23onesweep_lookback_stateEbbT6_jjT7_P12ihipStream_tbENKUlT_T0_SI_SN_E_clIPsSD_S15_SD_EEDaS11_S12_SI_SN_EUlS11_E_NS1_11comp_targetILNS1_3genE2ELNS1_11target_archE906ELNS1_3gpuE6ELNS1_3repE0EEENS1_47radix_sort_onesweep_sort_config_static_selectorELNS0_4arch9wavefront6targetE1EEEvSI_ ; -- Begin function _ZN7rocprim17ROCPRIM_400000_NS6detail17trampoline_kernelINS0_14default_configENS1_35radix_sort_onesweep_config_selectorIssEEZZNS1_29radix_sort_onesweep_iterationIS3_Lb0EN6thrust23THRUST_200600_302600_NS6detail15normal_iteratorINS8_10device_ptrIsEEEESD_SD_SD_jNS0_19identity_decomposerENS1_16block_id_wrapperIjLb0EEEEE10hipError_tT1_PNSt15iterator_traitsISI_E10value_typeET2_T3_PNSJ_ISO_E10value_typeET4_T5_PST_SU_PNS1_23onesweep_lookback_stateEbbT6_jjT7_P12ihipStream_tbENKUlT_T0_SI_SN_E_clIPsSD_S15_SD_EEDaS11_S12_SI_SN_EUlS11_E_NS1_11comp_targetILNS1_3genE2ELNS1_11target_archE906ELNS1_3gpuE6ELNS1_3repE0EEENS1_47radix_sort_onesweep_sort_config_static_selectorELNS0_4arch9wavefront6targetE1EEEvSI_
	.globl	_ZN7rocprim17ROCPRIM_400000_NS6detail17trampoline_kernelINS0_14default_configENS1_35radix_sort_onesweep_config_selectorIssEEZZNS1_29radix_sort_onesweep_iterationIS3_Lb0EN6thrust23THRUST_200600_302600_NS6detail15normal_iteratorINS8_10device_ptrIsEEEESD_SD_SD_jNS0_19identity_decomposerENS1_16block_id_wrapperIjLb0EEEEE10hipError_tT1_PNSt15iterator_traitsISI_E10value_typeET2_T3_PNSJ_ISO_E10value_typeET4_T5_PST_SU_PNS1_23onesweep_lookback_stateEbbT6_jjT7_P12ihipStream_tbENKUlT_T0_SI_SN_E_clIPsSD_S15_SD_EEDaS11_S12_SI_SN_EUlS11_E_NS1_11comp_targetILNS1_3genE2ELNS1_11target_archE906ELNS1_3gpuE6ELNS1_3repE0EEENS1_47radix_sort_onesweep_sort_config_static_selectorELNS0_4arch9wavefront6targetE1EEEvSI_
	.p2align	8
	.type	_ZN7rocprim17ROCPRIM_400000_NS6detail17trampoline_kernelINS0_14default_configENS1_35radix_sort_onesweep_config_selectorIssEEZZNS1_29radix_sort_onesweep_iterationIS3_Lb0EN6thrust23THRUST_200600_302600_NS6detail15normal_iteratorINS8_10device_ptrIsEEEESD_SD_SD_jNS0_19identity_decomposerENS1_16block_id_wrapperIjLb0EEEEE10hipError_tT1_PNSt15iterator_traitsISI_E10value_typeET2_T3_PNSJ_ISO_E10value_typeET4_T5_PST_SU_PNS1_23onesweep_lookback_stateEbbT6_jjT7_P12ihipStream_tbENKUlT_T0_SI_SN_E_clIPsSD_S15_SD_EEDaS11_S12_SI_SN_EUlS11_E_NS1_11comp_targetILNS1_3genE2ELNS1_11target_archE906ELNS1_3gpuE6ELNS1_3repE0EEENS1_47radix_sort_onesweep_sort_config_static_selectorELNS0_4arch9wavefront6targetE1EEEvSI_,@function
_ZN7rocprim17ROCPRIM_400000_NS6detail17trampoline_kernelINS0_14default_configENS1_35radix_sort_onesweep_config_selectorIssEEZZNS1_29radix_sort_onesweep_iterationIS3_Lb0EN6thrust23THRUST_200600_302600_NS6detail15normal_iteratorINS8_10device_ptrIsEEEESD_SD_SD_jNS0_19identity_decomposerENS1_16block_id_wrapperIjLb0EEEEE10hipError_tT1_PNSt15iterator_traitsISI_E10value_typeET2_T3_PNSJ_ISO_E10value_typeET4_T5_PST_SU_PNS1_23onesweep_lookback_stateEbbT6_jjT7_P12ihipStream_tbENKUlT_T0_SI_SN_E_clIPsSD_S15_SD_EEDaS11_S12_SI_SN_EUlS11_E_NS1_11comp_targetILNS1_3genE2ELNS1_11target_archE906ELNS1_3gpuE6ELNS1_3repE0EEENS1_47radix_sort_onesweep_sort_config_static_selectorELNS0_4arch9wavefront6targetE1EEEvSI_: ; @_ZN7rocprim17ROCPRIM_400000_NS6detail17trampoline_kernelINS0_14default_configENS1_35radix_sort_onesweep_config_selectorIssEEZZNS1_29radix_sort_onesweep_iterationIS3_Lb0EN6thrust23THRUST_200600_302600_NS6detail15normal_iteratorINS8_10device_ptrIsEEEESD_SD_SD_jNS0_19identity_decomposerENS1_16block_id_wrapperIjLb0EEEEE10hipError_tT1_PNSt15iterator_traitsISI_E10value_typeET2_T3_PNSJ_ISO_E10value_typeET4_T5_PST_SU_PNS1_23onesweep_lookback_stateEbbT6_jjT7_P12ihipStream_tbENKUlT_T0_SI_SN_E_clIPsSD_S15_SD_EEDaS11_S12_SI_SN_EUlS11_E_NS1_11comp_targetILNS1_3genE2ELNS1_11target_archE906ELNS1_3gpuE6ELNS1_3repE0EEENS1_47radix_sort_onesweep_sort_config_static_selectorELNS0_4arch9wavefront6targetE1EEEvSI_
; %bb.0:
	.section	.rodata,"a",@progbits
	.p2align	6, 0x0
	.amdhsa_kernel _ZN7rocprim17ROCPRIM_400000_NS6detail17trampoline_kernelINS0_14default_configENS1_35radix_sort_onesweep_config_selectorIssEEZZNS1_29radix_sort_onesweep_iterationIS3_Lb0EN6thrust23THRUST_200600_302600_NS6detail15normal_iteratorINS8_10device_ptrIsEEEESD_SD_SD_jNS0_19identity_decomposerENS1_16block_id_wrapperIjLb0EEEEE10hipError_tT1_PNSt15iterator_traitsISI_E10value_typeET2_T3_PNSJ_ISO_E10value_typeET4_T5_PST_SU_PNS1_23onesweep_lookback_stateEbbT6_jjT7_P12ihipStream_tbENKUlT_T0_SI_SN_E_clIPsSD_S15_SD_EEDaS11_S12_SI_SN_EUlS11_E_NS1_11comp_targetILNS1_3genE2ELNS1_11target_archE906ELNS1_3gpuE6ELNS1_3repE0EEENS1_47radix_sort_onesweep_sort_config_static_selectorELNS0_4arch9wavefront6targetE1EEEvSI_
		.amdhsa_group_segment_fixed_size 0
		.amdhsa_private_segment_fixed_size 0
		.amdhsa_kernarg_size 88
		.amdhsa_user_sgpr_count 2
		.amdhsa_user_sgpr_dispatch_ptr 0
		.amdhsa_user_sgpr_queue_ptr 0
		.amdhsa_user_sgpr_kernarg_segment_ptr 1
		.amdhsa_user_sgpr_dispatch_id 0
		.amdhsa_user_sgpr_kernarg_preload_length 0
		.amdhsa_user_sgpr_kernarg_preload_offset 0
		.amdhsa_user_sgpr_private_segment_size 0
		.amdhsa_uses_dynamic_stack 0
		.amdhsa_enable_private_segment 0
		.amdhsa_system_sgpr_workgroup_id_x 1
		.amdhsa_system_sgpr_workgroup_id_y 0
		.amdhsa_system_sgpr_workgroup_id_z 0
		.amdhsa_system_sgpr_workgroup_info 0
		.amdhsa_system_vgpr_workitem_id 0
		.amdhsa_next_free_vgpr 1
		.amdhsa_next_free_sgpr 0
		.amdhsa_accum_offset 4
		.amdhsa_reserve_vcc 0
		.amdhsa_float_round_mode_32 0
		.amdhsa_float_round_mode_16_64 0
		.amdhsa_float_denorm_mode_32 3
		.amdhsa_float_denorm_mode_16_64 3
		.amdhsa_dx10_clamp 1
		.amdhsa_ieee_mode 1
		.amdhsa_fp16_overflow 0
		.amdhsa_tg_split 0
		.amdhsa_exception_fp_ieee_invalid_op 0
		.amdhsa_exception_fp_denorm_src 0
		.amdhsa_exception_fp_ieee_div_zero 0
		.amdhsa_exception_fp_ieee_overflow 0
		.amdhsa_exception_fp_ieee_underflow 0
		.amdhsa_exception_fp_ieee_inexact 0
		.amdhsa_exception_int_div_zero 0
	.end_amdhsa_kernel
	.section	.text._ZN7rocprim17ROCPRIM_400000_NS6detail17trampoline_kernelINS0_14default_configENS1_35radix_sort_onesweep_config_selectorIssEEZZNS1_29radix_sort_onesweep_iterationIS3_Lb0EN6thrust23THRUST_200600_302600_NS6detail15normal_iteratorINS8_10device_ptrIsEEEESD_SD_SD_jNS0_19identity_decomposerENS1_16block_id_wrapperIjLb0EEEEE10hipError_tT1_PNSt15iterator_traitsISI_E10value_typeET2_T3_PNSJ_ISO_E10value_typeET4_T5_PST_SU_PNS1_23onesweep_lookback_stateEbbT6_jjT7_P12ihipStream_tbENKUlT_T0_SI_SN_E_clIPsSD_S15_SD_EEDaS11_S12_SI_SN_EUlS11_E_NS1_11comp_targetILNS1_3genE2ELNS1_11target_archE906ELNS1_3gpuE6ELNS1_3repE0EEENS1_47radix_sort_onesweep_sort_config_static_selectorELNS0_4arch9wavefront6targetE1EEEvSI_,"axG",@progbits,_ZN7rocprim17ROCPRIM_400000_NS6detail17trampoline_kernelINS0_14default_configENS1_35radix_sort_onesweep_config_selectorIssEEZZNS1_29radix_sort_onesweep_iterationIS3_Lb0EN6thrust23THRUST_200600_302600_NS6detail15normal_iteratorINS8_10device_ptrIsEEEESD_SD_SD_jNS0_19identity_decomposerENS1_16block_id_wrapperIjLb0EEEEE10hipError_tT1_PNSt15iterator_traitsISI_E10value_typeET2_T3_PNSJ_ISO_E10value_typeET4_T5_PST_SU_PNS1_23onesweep_lookback_stateEbbT6_jjT7_P12ihipStream_tbENKUlT_T0_SI_SN_E_clIPsSD_S15_SD_EEDaS11_S12_SI_SN_EUlS11_E_NS1_11comp_targetILNS1_3genE2ELNS1_11target_archE906ELNS1_3gpuE6ELNS1_3repE0EEENS1_47radix_sort_onesweep_sort_config_static_selectorELNS0_4arch9wavefront6targetE1EEEvSI_,comdat
.Lfunc_end1690:
	.size	_ZN7rocprim17ROCPRIM_400000_NS6detail17trampoline_kernelINS0_14default_configENS1_35radix_sort_onesweep_config_selectorIssEEZZNS1_29radix_sort_onesweep_iterationIS3_Lb0EN6thrust23THRUST_200600_302600_NS6detail15normal_iteratorINS8_10device_ptrIsEEEESD_SD_SD_jNS0_19identity_decomposerENS1_16block_id_wrapperIjLb0EEEEE10hipError_tT1_PNSt15iterator_traitsISI_E10value_typeET2_T3_PNSJ_ISO_E10value_typeET4_T5_PST_SU_PNS1_23onesweep_lookback_stateEbbT6_jjT7_P12ihipStream_tbENKUlT_T0_SI_SN_E_clIPsSD_S15_SD_EEDaS11_S12_SI_SN_EUlS11_E_NS1_11comp_targetILNS1_3genE2ELNS1_11target_archE906ELNS1_3gpuE6ELNS1_3repE0EEENS1_47radix_sort_onesweep_sort_config_static_selectorELNS0_4arch9wavefront6targetE1EEEvSI_, .Lfunc_end1690-_ZN7rocprim17ROCPRIM_400000_NS6detail17trampoline_kernelINS0_14default_configENS1_35radix_sort_onesweep_config_selectorIssEEZZNS1_29radix_sort_onesweep_iterationIS3_Lb0EN6thrust23THRUST_200600_302600_NS6detail15normal_iteratorINS8_10device_ptrIsEEEESD_SD_SD_jNS0_19identity_decomposerENS1_16block_id_wrapperIjLb0EEEEE10hipError_tT1_PNSt15iterator_traitsISI_E10value_typeET2_T3_PNSJ_ISO_E10value_typeET4_T5_PST_SU_PNS1_23onesweep_lookback_stateEbbT6_jjT7_P12ihipStream_tbENKUlT_T0_SI_SN_E_clIPsSD_S15_SD_EEDaS11_S12_SI_SN_EUlS11_E_NS1_11comp_targetILNS1_3genE2ELNS1_11target_archE906ELNS1_3gpuE6ELNS1_3repE0EEENS1_47radix_sort_onesweep_sort_config_static_selectorELNS0_4arch9wavefront6targetE1EEEvSI_
                                        ; -- End function
	.set _ZN7rocprim17ROCPRIM_400000_NS6detail17trampoline_kernelINS0_14default_configENS1_35radix_sort_onesweep_config_selectorIssEEZZNS1_29radix_sort_onesweep_iterationIS3_Lb0EN6thrust23THRUST_200600_302600_NS6detail15normal_iteratorINS8_10device_ptrIsEEEESD_SD_SD_jNS0_19identity_decomposerENS1_16block_id_wrapperIjLb0EEEEE10hipError_tT1_PNSt15iterator_traitsISI_E10value_typeET2_T3_PNSJ_ISO_E10value_typeET4_T5_PST_SU_PNS1_23onesweep_lookback_stateEbbT6_jjT7_P12ihipStream_tbENKUlT_T0_SI_SN_E_clIPsSD_S15_SD_EEDaS11_S12_SI_SN_EUlS11_E_NS1_11comp_targetILNS1_3genE2ELNS1_11target_archE906ELNS1_3gpuE6ELNS1_3repE0EEENS1_47radix_sort_onesweep_sort_config_static_selectorELNS0_4arch9wavefront6targetE1EEEvSI_.num_vgpr, 0
	.set _ZN7rocprim17ROCPRIM_400000_NS6detail17trampoline_kernelINS0_14default_configENS1_35radix_sort_onesweep_config_selectorIssEEZZNS1_29radix_sort_onesweep_iterationIS3_Lb0EN6thrust23THRUST_200600_302600_NS6detail15normal_iteratorINS8_10device_ptrIsEEEESD_SD_SD_jNS0_19identity_decomposerENS1_16block_id_wrapperIjLb0EEEEE10hipError_tT1_PNSt15iterator_traitsISI_E10value_typeET2_T3_PNSJ_ISO_E10value_typeET4_T5_PST_SU_PNS1_23onesweep_lookback_stateEbbT6_jjT7_P12ihipStream_tbENKUlT_T0_SI_SN_E_clIPsSD_S15_SD_EEDaS11_S12_SI_SN_EUlS11_E_NS1_11comp_targetILNS1_3genE2ELNS1_11target_archE906ELNS1_3gpuE6ELNS1_3repE0EEENS1_47radix_sort_onesweep_sort_config_static_selectorELNS0_4arch9wavefront6targetE1EEEvSI_.num_agpr, 0
	.set _ZN7rocprim17ROCPRIM_400000_NS6detail17trampoline_kernelINS0_14default_configENS1_35radix_sort_onesweep_config_selectorIssEEZZNS1_29radix_sort_onesweep_iterationIS3_Lb0EN6thrust23THRUST_200600_302600_NS6detail15normal_iteratorINS8_10device_ptrIsEEEESD_SD_SD_jNS0_19identity_decomposerENS1_16block_id_wrapperIjLb0EEEEE10hipError_tT1_PNSt15iterator_traitsISI_E10value_typeET2_T3_PNSJ_ISO_E10value_typeET4_T5_PST_SU_PNS1_23onesweep_lookback_stateEbbT6_jjT7_P12ihipStream_tbENKUlT_T0_SI_SN_E_clIPsSD_S15_SD_EEDaS11_S12_SI_SN_EUlS11_E_NS1_11comp_targetILNS1_3genE2ELNS1_11target_archE906ELNS1_3gpuE6ELNS1_3repE0EEENS1_47radix_sort_onesweep_sort_config_static_selectorELNS0_4arch9wavefront6targetE1EEEvSI_.numbered_sgpr, 0
	.set _ZN7rocprim17ROCPRIM_400000_NS6detail17trampoline_kernelINS0_14default_configENS1_35radix_sort_onesweep_config_selectorIssEEZZNS1_29radix_sort_onesweep_iterationIS3_Lb0EN6thrust23THRUST_200600_302600_NS6detail15normal_iteratorINS8_10device_ptrIsEEEESD_SD_SD_jNS0_19identity_decomposerENS1_16block_id_wrapperIjLb0EEEEE10hipError_tT1_PNSt15iterator_traitsISI_E10value_typeET2_T3_PNSJ_ISO_E10value_typeET4_T5_PST_SU_PNS1_23onesweep_lookback_stateEbbT6_jjT7_P12ihipStream_tbENKUlT_T0_SI_SN_E_clIPsSD_S15_SD_EEDaS11_S12_SI_SN_EUlS11_E_NS1_11comp_targetILNS1_3genE2ELNS1_11target_archE906ELNS1_3gpuE6ELNS1_3repE0EEENS1_47radix_sort_onesweep_sort_config_static_selectorELNS0_4arch9wavefront6targetE1EEEvSI_.num_named_barrier, 0
	.set _ZN7rocprim17ROCPRIM_400000_NS6detail17trampoline_kernelINS0_14default_configENS1_35radix_sort_onesweep_config_selectorIssEEZZNS1_29radix_sort_onesweep_iterationIS3_Lb0EN6thrust23THRUST_200600_302600_NS6detail15normal_iteratorINS8_10device_ptrIsEEEESD_SD_SD_jNS0_19identity_decomposerENS1_16block_id_wrapperIjLb0EEEEE10hipError_tT1_PNSt15iterator_traitsISI_E10value_typeET2_T3_PNSJ_ISO_E10value_typeET4_T5_PST_SU_PNS1_23onesweep_lookback_stateEbbT6_jjT7_P12ihipStream_tbENKUlT_T0_SI_SN_E_clIPsSD_S15_SD_EEDaS11_S12_SI_SN_EUlS11_E_NS1_11comp_targetILNS1_3genE2ELNS1_11target_archE906ELNS1_3gpuE6ELNS1_3repE0EEENS1_47radix_sort_onesweep_sort_config_static_selectorELNS0_4arch9wavefront6targetE1EEEvSI_.private_seg_size, 0
	.set _ZN7rocprim17ROCPRIM_400000_NS6detail17trampoline_kernelINS0_14default_configENS1_35radix_sort_onesweep_config_selectorIssEEZZNS1_29radix_sort_onesweep_iterationIS3_Lb0EN6thrust23THRUST_200600_302600_NS6detail15normal_iteratorINS8_10device_ptrIsEEEESD_SD_SD_jNS0_19identity_decomposerENS1_16block_id_wrapperIjLb0EEEEE10hipError_tT1_PNSt15iterator_traitsISI_E10value_typeET2_T3_PNSJ_ISO_E10value_typeET4_T5_PST_SU_PNS1_23onesweep_lookback_stateEbbT6_jjT7_P12ihipStream_tbENKUlT_T0_SI_SN_E_clIPsSD_S15_SD_EEDaS11_S12_SI_SN_EUlS11_E_NS1_11comp_targetILNS1_3genE2ELNS1_11target_archE906ELNS1_3gpuE6ELNS1_3repE0EEENS1_47radix_sort_onesweep_sort_config_static_selectorELNS0_4arch9wavefront6targetE1EEEvSI_.uses_vcc, 0
	.set _ZN7rocprim17ROCPRIM_400000_NS6detail17trampoline_kernelINS0_14default_configENS1_35radix_sort_onesweep_config_selectorIssEEZZNS1_29radix_sort_onesweep_iterationIS3_Lb0EN6thrust23THRUST_200600_302600_NS6detail15normal_iteratorINS8_10device_ptrIsEEEESD_SD_SD_jNS0_19identity_decomposerENS1_16block_id_wrapperIjLb0EEEEE10hipError_tT1_PNSt15iterator_traitsISI_E10value_typeET2_T3_PNSJ_ISO_E10value_typeET4_T5_PST_SU_PNS1_23onesweep_lookback_stateEbbT6_jjT7_P12ihipStream_tbENKUlT_T0_SI_SN_E_clIPsSD_S15_SD_EEDaS11_S12_SI_SN_EUlS11_E_NS1_11comp_targetILNS1_3genE2ELNS1_11target_archE906ELNS1_3gpuE6ELNS1_3repE0EEENS1_47radix_sort_onesweep_sort_config_static_selectorELNS0_4arch9wavefront6targetE1EEEvSI_.uses_flat_scratch, 0
	.set _ZN7rocprim17ROCPRIM_400000_NS6detail17trampoline_kernelINS0_14default_configENS1_35radix_sort_onesweep_config_selectorIssEEZZNS1_29radix_sort_onesweep_iterationIS3_Lb0EN6thrust23THRUST_200600_302600_NS6detail15normal_iteratorINS8_10device_ptrIsEEEESD_SD_SD_jNS0_19identity_decomposerENS1_16block_id_wrapperIjLb0EEEEE10hipError_tT1_PNSt15iterator_traitsISI_E10value_typeET2_T3_PNSJ_ISO_E10value_typeET4_T5_PST_SU_PNS1_23onesweep_lookback_stateEbbT6_jjT7_P12ihipStream_tbENKUlT_T0_SI_SN_E_clIPsSD_S15_SD_EEDaS11_S12_SI_SN_EUlS11_E_NS1_11comp_targetILNS1_3genE2ELNS1_11target_archE906ELNS1_3gpuE6ELNS1_3repE0EEENS1_47radix_sort_onesweep_sort_config_static_selectorELNS0_4arch9wavefront6targetE1EEEvSI_.has_dyn_sized_stack, 0
	.set _ZN7rocprim17ROCPRIM_400000_NS6detail17trampoline_kernelINS0_14default_configENS1_35radix_sort_onesweep_config_selectorIssEEZZNS1_29radix_sort_onesweep_iterationIS3_Lb0EN6thrust23THRUST_200600_302600_NS6detail15normal_iteratorINS8_10device_ptrIsEEEESD_SD_SD_jNS0_19identity_decomposerENS1_16block_id_wrapperIjLb0EEEEE10hipError_tT1_PNSt15iterator_traitsISI_E10value_typeET2_T3_PNSJ_ISO_E10value_typeET4_T5_PST_SU_PNS1_23onesweep_lookback_stateEbbT6_jjT7_P12ihipStream_tbENKUlT_T0_SI_SN_E_clIPsSD_S15_SD_EEDaS11_S12_SI_SN_EUlS11_E_NS1_11comp_targetILNS1_3genE2ELNS1_11target_archE906ELNS1_3gpuE6ELNS1_3repE0EEENS1_47radix_sort_onesweep_sort_config_static_selectorELNS0_4arch9wavefront6targetE1EEEvSI_.has_recursion, 0
	.set _ZN7rocprim17ROCPRIM_400000_NS6detail17trampoline_kernelINS0_14default_configENS1_35radix_sort_onesweep_config_selectorIssEEZZNS1_29radix_sort_onesweep_iterationIS3_Lb0EN6thrust23THRUST_200600_302600_NS6detail15normal_iteratorINS8_10device_ptrIsEEEESD_SD_SD_jNS0_19identity_decomposerENS1_16block_id_wrapperIjLb0EEEEE10hipError_tT1_PNSt15iterator_traitsISI_E10value_typeET2_T3_PNSJ_ISO_E10value_typeET4_T5_PST_SU_PNS1_23onesweep_lookback_stateEbbT6_jjT7_P12ihipStream_tbENKUlT_T0_SI_SN_E_clIPsSD_S15_SD_EEDaS11_S12_SI_SN_EUlS11_E_NS1_11comp_targetILNS1_3genE2ELNS1_11target_archE906ELNS1_3gpuE6ELNS1_3repE0EEENS1_47radix_sort_onesweep_sort_config_static_selectorELNS0_4arch9wavefront6targetE1EEEvSI_.has_indirect_call, 0
	.section	.AMDGPU.csdata,"",@progbits
; Kernel info:
; codeLenInByte = 0
; TotalNumSgprs: 6
; NumVgprs: 0
; NumAgprs: 0
; TotalNumVgprs: 0
; ScratchSize: 0
; MemoryBound: 0
; FloatMode: 240
; IeeeMode: 1
; LDSByteSize: 0 bytes/workgroup (compile time only)
; SGPRBlocks: 0
; VGPRBlocks: 0
; NumSGPRsForWavesPerEU: 6
; NumVGPRsForWavesPerEU: 1
; AccumOffset: 4
; Occupancy: 8
; WaveLimiterHint : 0
; COMPUTE_PGM_RSRC2:SCRATCH_EN: 0
; COMPUTE_PGM_RSRC2:USER_SGPR: 2
; COMPUTE_PGM_RSRC2:TRAP_HANDLER: 0
; COMPUTE_PGM_RSRC2:TGID_X_EN: 1
; COMPUTE_PGM_RSRC2:TGID_Y_EN: 0
; COMPUTE_PGM_RSRC2:TGID_Z_EN: 0
; COMPUTE_PGM_RSRC2:TIDIG_COMP_CNT: 0
; COMPUTE_PGM_RSRC3_GFX90A:ACCUM_OFFSET: 0
; COMPUTE_PGM_RSRC3_GFX90A:TG_SPLIT: 0
	.section	.text._ZN7rocprim17ROCPRIM_400000_NS6detail17trampoline_kernelINS0_14default_configENS1_35radix_sort_onesweep_config_selectorIssEEZZNS1_29radix_sort_onesweep_iterationIS3_Lb0EN6thrust23THRUST_200600_302600_NS6detail15normal_iteratorINS8_10device_ptrIsEEEESD_SD_SD_jNS0_19identity_decomposerENS1_16block_id_wrapperIjLb0EEEEE10hipError_tT1_PNSt15iterator_traitsISI_E10value_typeET2_T3_PNSJ_ISO_E10value_typeET4_T5_PST_SU_PNS1_23onesweep_lookback_stateEbbT6_jjT7_P12ihipStream_tbENKUlT_T0_SI_SN_E_clIPsSD_S15_SD_EEDaS11_S12_SI_SN_EUlS11_E_NS1_11comp_targetILNS1_3genE4ELNS1_11target_archE910ELNS1_3gpuE8ELNS1_3repE0EEENS1_47radix_sort_onesweep_sort_config_static_selectorELNS0_4arch9wavefront6targetE1EEEvSI_,"axG",@progbits,_ZN7rocprim17ROCPRIM_400000_NS6detail17trampoline_kernelINS0_14default_configENS1_35radix_sort_onesweep_config_selectorIssEEZZNS1_29radix_sort_onesweep_iterationIS3_Lb0EN6thrust23THRUST_200600_302600_NS6detail15normal_iteratorINS8_10device_ptrIsEEEESD_SD_SD_jNS0_19identity_decomposerENS1_16block_id_wrapperIjLb0EEEEE10hipError_tT1_PNSt15iterator_traitsISI_E10value_typeET2_T3_PNSJ_ISO_E10value_typeET4_T5_PST_SU_PNS1_23onesweep_lookback_stateEbbT6_jjT7_P12ihipStream_tbENKUlT_T0_SI_SN_E_clIPsSD_S15_SD_EEDaS11_S12_SI_SN_EUlS11_E_NS1_11comp_targetILNS1_3genE4ELNS1_11target_archE910ELNS1_3gpuE8ELNS1_3repE0EEENS1_47radix_sort_onesweep_sort_config_static_selectorELNS0_4arch9wavefront6targetE1EEEvSI_,comdat
	.protected	_ZN7rocprim17ROCPRIM_400000_NS6detail17trampoline_kernelINS0_14default_configENS1_35radix_sort_onesweep_config_selectorIssEEZZNS1_29radix_sort_onesweep_iterationIS3_Lb0EN6thrust23THRUST_200600_302600_NS6detail15normal_iteratorINS8_10device_ptrIsEEEESD_SD_SD_jNS0_19identity_decomposerENS1_16block_id_wrapperIjLb0EEEEE10hipError_tT1_PNSt15iterator_traitsISI_E10value_typeET2_T3_PNSJ_ISO_E10value_typeET4_T5_PST_SU_PNS1_23onesweep_lookback_stateEbbT6_jjT7_P12ihipStream_tbENKUlT_T0_SI_SN_E_clIPsSD_S15_SD_EEDaS11_S12_SI_SN_EUlS11_E_NS1_11comp_targetILNS1_3genE4ELNS1_11target_archE910ELNS1_3gpuE8ELNS1_3repE0EEENS1_47radix_sort_onesweep_sort_config_static_selectorELNS0_4arch9wavefront6targetE1EEEvSI_ ; -- Begin function _ZN7rocprim17ROCPRIM_400000_NS6detail17trampoline_kernelINS0_14default_configENS1_35radix_sort_onesweep_config_selectorIssEEZZNS1_29radix_sort_onesweep_iterationIS3_Lb0EN6thrust23THRUST_200600_302600_NS6detail15normal_iteratorINS8_10device_ptrIsEEEESD_SD_SD_jNS0_19identity_decomposerENS1_16block_id_wrapperIjLb0EEEEE10hipError_tT1_PNSt15iterator_traitsISI_E10value_typeET2_T3_PNSJ_ISO_E10value_typeET4_T5_PST_SU_PNS1_23onesweep_lookback_stateEbbT6_jjT7_P12ihipStream_tbENKUlT_T0_SI_SN_E_clIPsSD_S15_SD_EEDaS11_S12_SI_SN_EUlS11_E_NS1_11comp_targetILNS1_3genE4ELNS1_11target_archE910ELNS1_3gpuE8ELNS1_3repE0EEENS1_47radix_sort_onesweep_sort_config_static_selectorELNS0_4arch9wavefront6targetE1EEEvSI_
	.globl	_ZN7rocprim17ROCPRIM_400000_NS6detail17trampoline_kernelINS0_14default_configENS1_35radix_sort_onesweep_config_selectorIssEEZZNS1_29radix_sort_onesweep_iterationIS3_Lb0EN6thrust23THRUST_200600_302600_NS6detail15normal_iteratorINS8_10device_ptrIsEEEESD_SD_SD_jNS0_19identity_decomposerENS1_16block_id_wrapperIjLb0EEEEE10hipError_tT1_PNSt15iterator_traitsISI_E10value_typeET2_T3_PNSJ_ISO_E10value_typeET4_T5_PST_SU_PNS1_23onesweep_lookback_stateEbbT6_jjT7_P12ihipStream_tbENKUlT_T0_SI_SN_E_clIPsSD_S15_SD_EEDaS11_S12_SI_SN_EUlS11_E_NS1_11comp_targetILNS1_3genE4ELNS1_11target_archE910ELNS1_3gpuE8ELNS1_3repE0EEENS1_47radix_sort_onesweep_sort_config_static_selectorELNS0_4arch9wavefront6targetE1EEEvSI_
	.p2align	8
	.type	_ZN7rocprim17ROCPRIM_400000_NS6detail17trampoline_kernelINS0_14default_configENS1_35radix_sort_onesweep_config_selectorIssEEZZNS1_29radix_sort_onesweep_iterationIS3_Lb0EN6thrust23THRUST_200600_302600_NS6detail15normal_iteratorINS8_10device_ptrIsEEEESD_SD_SD_jNS0_19identity_decomposerENS1_16block_id_wrapperIjLb0EEEEE10hipError_tT1_PNSt15iterator_traitsISI_E10value_typeET2_T3_PNSJ_ISO_E10value_typeET4_T5_PST_SU_PNS1_23onesweep_lookback_stateEbbT6_jjT7_P12ihipStream_tbENKUlT_T0_SI_SN_E_clIPsSD_S15_SD_EEDaS11_S12_SI_SN_EUlS11_E_NS1_11comp_targetILNS1_3genE4ELNS1_11target_archE910ELNS1_3gpuE8ELNS1_3repE0EEENS1_47radix_sort_onesweep_sort_config_static_selectorELNS0_4arch9wavefront6targetE1EEEvSI_,@function
_ZN7rocprim17ROCPRIM_400000_NS6detail17trampoline_kernelINS0_14default_configENS1_35radix_sort_onesweep_config_selectorIssEEZZNS1_29radix_sort_onesweep_iterationIS3_Lb0EN6thrust23THRUST_200600_302600_NS6detail15normal_iteratorINS8_10device_ptrIsEEEESD_SD_SD_jNS0_19identity_decomposerENS1_16block_id_wrapperIjLb0EEEEE10hipError_tT1_PNSt15iterator_traitsISI_E10value_typeET2_T3_PNSJ_ISO_E10value_typeET4_T5_PST_SU_PNS1_23onesweep_lookback_stateEbbT6_jjT7_P12ihipStream_tbENKUlT_T0_SI_SN_E_clIPsSD_S15_SD_EEDaS11_S12_SI_SN_EUlS11_E_NS1_11comp_targetILNS1_3genE4ELNS1_11target_archE910ELNS1_3gpuE8ELNS1_3repE0EEENS1_47radix_sort_onesweep_sort_config_static_selectorELNS0_4arch9wavefront6targetE1EEEvSI_: ; @_ZN7rocprim17ROCPRIM_400000_NS6detail17trampoline_kernelINS0_14default_configENS1_35radix_sort_onesweep_config_selectorIssEEZZNS1_29radix_sort_onesweep_iterationIS3_Lb0EN6thrust23THRUST_200600_302600_NS6detail15normal_iteratorINS8_10device_ptrIsEEEESD_SD_SD_jNS0_19identity_decomposerENS1_16block_id_wrapperIjLb0EEEEE10hipError_tT1_PNSt15iterator_traitsISI_E10value_typeET2_T3_PNSJ_ISO_E10value_typeET4_T5_PST_SU_PNS1_23onesweep_lookback_stateEbbT6_jjT7_P12ihipStream_tbENKUlT_T0_SI_SN_E_clIPsSD_S15_SD_EEDaS11_S12_SI_SN_EUlS11_E_NS1_11comp_targetILNS1_3genE4ELNS1_11target_archE910ELNS1_3gpuE8ELNS1_3repE0EEENS1_47radix_sort_onesweep_sort_config_static_selectorELNS0_4arch9wavefront6targetE1EEEvSI_
; %bb.0:
	.section	.rodata,"a",@progbits
	.p2align	6, 0x0
	.amdhsa_kernel _ZN7rocprim17ROCPRIM_400000_NS6detail17trampoline_kernelINS0_14default_configENS1_35radix_sort_onesweep_config_selectorIssEEZZNS1_29radix_sort_onesweep_iterationIS3_Lb0EN6thrust23THRUST_200600_302600_NS6detail15normal_iteratorINS8_10device_ptrIsEEEESD_SD_SD_jNS0_19identity_decomposerENS1_16block_id_wrapperIjLb0EEEEE10hipError_tT1_PNSt15iterator_traitsISI_E10value_typeET2_T3_PNSJ_ISO_E10value_typeET4_T5_PST_SU_PNS1_23onesweep_lookback_stateEbbT6_jjT7_P12ihipStream_tbENKUlT_T0_SI_SN_E_clIPsSD_S15_SD_EEDaS11_S12_SI_SN_EUlS11_E_NS1_11comp_targetILNS1_3genE4ELNS1_11target_archE910ELNS1_3gpuE8ELNS1_3repE0EEENS1_47radix_sort_onesweep_sort_config_static_selectorELNS0_4arch9wavefront6targetE1EEEvSI_
		.amdhsa_group_segment_fixed_size 0
		.amdhsa_private_segment_fixed_size 0
		.amdhsa_kernarg_size 88
		.amdhsa_user_sgpr_count 2
		.amdhsa_user_sgpr_dispatch_ptr 0
		.amdhsa_user_sgpr_queue_ptr 0
		.amdhsa_user_sgpr_kernarg_segment_ptr 1
		.amdhsa_user_sgpr_dispatch_id 0
		.amdhsa_user_sgpr_kernarg_preload_length 0
		.amdhsa_user_sgpr_kernarg_preload_offset 0
		.amdhsa_user_sgpr_private_segment_size 0
		.amdhsa_uses_dynamic_stack 0
		.amdhsa_enable_private_segment 0
		.amdhsa_system_sgpr_workgroup_id_x 1
		.amdhsa_system_sgpr_workgroup_id_y 0
		.amdhsa_system_sgpr_workgroup_id_z 0
		.amdhsa_system_sgpr_workgroup_info 0
		.amdhsa_system_vgpr_workitem_id 0
		.amdhsa_next_free_vgpr 1
		.amdhsa_next_free_sgpr 0
		.amdhsa_accum_offset 4
		.amdhsa_reserve_vcc 0
		.amdhsa_float_round_mode_32 0
		.amdhsa_float_round_mode_16_64 0
		.amdhsa_float_denorm_mode_32 3
		.amdhsa_float_denorm_mode_16_64 3
		.amdhsa_dx10_clamp 1
		.amdhsa_ieee_mode 1
		.amdhsa_fp16_overflow 0
		.amdhsa_tg_split 0
		.amdhsa_exception_fp_ieee_invalid_op 0
		.amdhsa_exception_fp_denorm_src 0
		.amdhsa_exception_fp_ieee_div_zero 0
		.amdhsa_exception_fp_ieee_overflow 0
		.amdhsa_exception_fp_ieee_underflow 0
		.amdhsa_exception_fp_ieee_inexact 0
		.amdhsa_exception_int_div_zero 0
	.end_amdhsa_kernel
	.section	.text._ZN7rocprim17ROCPRIM_400000_NS6detail17trampoline_kernelINS0_14default_configENS1_35radix_sort_onesweep_config_selectorIssEEZZNS1_29radix_sort_onesweep_iterationIS3_Lb0EN6thrust23THRUST_200600_302600_NS6detail15normal_iteratorINS8_10device_ptrIsEEEESD_SD_SD_jNS0_19identity_decomposerENS1_16block_id_wrapperIjLb0EEEEE10hipError_tT1_PNSt15iterator_traitsISI_E10value_typeET2_T3_PNSJ_ISO_E10value_typeET4_T5_PST_SU_PNS1_23onesweep_lookback_stateEbbT6_jjT7_P12ihipStream_tbENKUlT_T0_SI_SN_E_clIPsSD_S15_SD_EEDaS11_S12_SI_SN_EUlS11_E_NS1_11comp_targetILNS1_3genE4ELNS1_11target_archE910ELNS1_3gpuE8ELNS1_3repE0EEENS1_47radix_sort_onesweep_sort_config_static_selectorELNS0_4arch9wavefront6targetE1EEEvSI_,"axG",@progbits,_ZN7rocprim17ROCPRIM_400000_NS6detail17trampoline_kernelINS0_14default_configENS1_35radix_sort_onesweep_config_selectorIssEEZZNS1_29radix_sort_onesweep_iterationIS3_Lb0EN6thrust23THRUST_200600_302600_NS6detail15normal_iteratorINS8_10device_ptrIsEEEESD_SD_SD_jNS0_19identity_decomposerENS1_16block_id_wrapperIjLb0EEEEE10hipError_tT1_PNSt15iterator_traitsISI_E10value_typeET2_T3_PNSJ_ISO_E10value_typeET4_T5_PST_SU_PNS1_23onesweep_lookback_stateEbbT6_jjT7_P12ihipStream_tbENKUlT_T0_SI_SN_E_clIPsSD_S15_SD_EEDaS11_S12_SI_SN_EUlS11_E_NS1_11comp_targetILNS1_3genE4ELNS1_11target_archE910ELNS1_3gpuE8ELNS1_3repE0EEENS1_47radix_sort_onesweep_sort_config_static_selectorELNS0_4arch9wavefront6targetE1EEEvSI_,comdat
.Lfunc_end1691:
	.size	_ZN7rocprim17ROCPRIM_400000_NS6detail17trampoline_kernelINS0_14default_configENS1_35radix_sort_onesweep_config_selectorIssEEZZNS1_29radix_sort_onesweep_iterationIS3_Lb0EN6thrust23THRUST_200600_302600_NS6detail15normal_iteratorINS8_10device_ptrIsEEEESD_SD_SD_jNS0_19identity_decomposerENS1_16block_id_wrapperIjLb0EEEEE10hipError_tT1_PNSt15iterator_traitsISI_E10value_typeET2_T3_PNSJ_ISO_E10value_typeET4_T5_PST_SU_PNS1_23onesweep_lookback_stateEbbT6_jjT7_P12ihipStream_tbENKUlT_T0_SI_SN_E_clIPsSD_S15_SD_EEDaS11_S12_SI_SN_EUlS11_E_NS1_11comp_targetILNS1_3genE4ELNS1_11target_archE910ELNS1_3gpuE8ELNS1_3repE0EEENS1_47radix_sort_onesweep_sort_config_static_selectorELNS0_4arch9wavefront6targetE1EEEvSI_, .Lfunc_end1691-_ZN7rocprim17ROCPRIM_400000_NS6detail17trampoline_kernelINS0_14default_configENS1_35radix_sort_onesweep_config_selectorIssEEZZNS1_29radix_sort_onesweep_iterationIS3_Lb0EN6thrust23THRUST_200600_302600_NS6detail15normal_iteratorINS8_10device_ptrIsEEEESD_SD_SD_jNS0_19identity_decomposerENS1_16block_id_wrapperIjLb0EEEEE10hipError_tT1_PNSt15iterator_traitsISI_E10value_typeET2_T3_PNSJ_ISO_E10value_typeET4_T5_PST_SU_PNS1_23onesweep_lookback_stateEbbT6_jjT7_P12ihipStream_tbENKUlT_T0_SI_SN_E_clIPsSD_S15_SD_EEDaS11_S12_SI_SN_EUlS11_E_NS1_11comp_targetILNS1_3genE4ELNS1_11target_archE910ELNS1_3gpuE8ELNS1_3repE0EEENS1_47radix_sort_onesweep_sort_config_static_selectorELNS0_4arch9wavefront6targetE1EEEvSI_
                                        ; -- End function
	.set _ZN7rocprim17ROCPRIM_400000_NS6detail17trampoline_kernelINS0_14default_configENS1_35radix_sort_onesweep_config_selectorIssEEZZNS1_29radix_sort_onesweep_iterationIS3_Lb0EN6thrust23THRUST_200600_302600_NS6detail15normal_iteratorINS8_10device_ptrIsEEEESD_SD_SD_jNS0_19identity_decomposerENS1_16block_id_wrapperIjLb0EEEEE10hipError_tT1_PNSt15iterator_traitsISI_E10value_typeET2_T3_PNSJ_ISO_E10value_typeET4_T5_PST_SU_PNS1_23onesweep_lookback_stateEbbT6_jjT7_P12ihipStream_tbENKUlT_T0_SI_SN_E_clIPsSD_S15_SD_EEDaS11_S12_SI_SN_EUlS11_E_NS1_11comp_targetILNS1_3genE4ELNS1_11target_archE910ELNS1_3gpuE8ELNS1_3repE0EEENS1_47radix_sort_onesweep_sort_config_static_selectorELNS0_4arch9wavefront6targetE1EEEvSI_.num_vgpr, 0
	.set _ZN7rocprim17ROCPRIM_400000_NS6detail17trampoline_kernelINS0_14default_configENS1_35radix_sort_onesweep_config_selectorIssEEZZNS1_29radix_sort_onesweep_iterationIS3_Lb0EN6thrust23THRUST_200600_302600_NS6detail15normal_iteratorINS8_10device_ptrIsEEEESD_SD_SD_jNS0_19identity_decomposerENS1_16block_id_wrapperIjLb0EEEEE10hipError_tT1_PNSt15iterator_traitsISI_E10value_typeET2_T3_PNSJ_ISO_E10value_typeET4_T5_PST_SU_PNS1_23onesweep_lookback_stateEbbT6_jjT7_P12ihipStream_tbENKUlT_T0_SI_SN_E_clIPsSD_S15_SD_EEDaS11_S12_SI_SN_EUlS11_E_NS1_11comp_targetILNS1_3genE4ELNS1_11target_archE910ELNS1_3gpuE8ELNS1_3repE0EEENS1_47radix_sort_onesweep_sort_config_static_selectorELNS0_4arch9wavefront6targetE1EEEvSI_.num_agpr, 0
	.set _ZN7rocprim17ROCPRIM_400000_NS6detail17trampoline_kernelINS0_14default_configENS1_35radix_sort_onesweep_config_selectorIssEEZZNS1_29radix_sort_onesweep_iterationIS3_Lb0EN6thrust23THRUST_200600_302600_NS6detail15normal_iteratorINS8_10device_ptrIsEEEESD_SD_SD_jNS0_19identity_decomposerENS1_16block_id_wrapperIjLb0EEEEE10hipError_tT1_PNSt15iterator_traitsISI_E10value_typeET2_T3_PNSJ_ISO_E10value_typeET4_T5_PST_SU_PNS1_23onesweep_lookback_stateEbbT6_jjT7_P12ihipStream_tbENKUlT_T0_SI_SN_E_clIPsSD_S15_SD_EEDaS11_S12_SI_SN_EUlS11_E_NS1_11comp_targetILNS1_3genE4ELNS1_11target_archE910ELNS1_3gpuE8ELNS1_3repE0EEENS1_47radix_sort_onesweep_sort_config_static_selectorELNS0_4arch9wavefront6targetE1EEEvSI_.numbered_sgpr, 0
	.set _ZN7rocprim17ROCPRIM_400000_NS6detail17trampoline_kernelINS0_14default_configENS1_35radix_sort_onesweep_config_selectorIssEEZZNS1_29radix_sort_onesweep_iterationIS3_Lb0EN6thrust23THRUST_200600_302600_NS6detail15normal_iteratorINS8_10device_ptrIsEEEESD_SD_SD_jNS0_19identity_decomposerENS1_16block_id_wrapperIjLb0EEEEE10hipError_tT1_PNSt15iterator_traitsISI_E10value_typeET2_T3_PNSJ_ISO_E10value_typeET4_T5_PST_SU_PNS1_23onesweep_lookback_stateEbbT6_jjT7_P12ihipStream_tbENKUlT_T0_SI_SN_E_clIPsSD_S15_SD_EEDaS11_S12_SI_SN_EUlS11_E_NS1_11comp_targetILNS1_3genE4ELNS1_11target_archE910ELNS1_3gpuE8ELNS1_3repE0EEENS1_47radix_sort_onesweep_sort_config_static_selectorELNS0_4arch9wavefront6targetE1EEEvSI_.num_named_barrier, 0
	.set _ZN7rocprim17ROCPRIM_400000_NS6detail17trampoline_kernelINS0_14default_configENS1_35radix_sort_onesweep_config_selectorIssEEZZNS1_29radix_sort_onesweep_iterationIS3_Lb0EN6thrust23THRUST_200600_302600_NS6detail15normal_iteratorINS8_10device_ptrIsEEEESD_SD_SD_jNS0_19identity_decomposerENS1_16block_id_wrapperIjLb0EEEEE10hipError_tT1_PNSt15iterator_traitsISI_E10value_typeET2_T3_PNSJ_ISO_E10value_typeET4_T5_PST_SU_PNS1_23onesweep_lookback_stateEbbT6_jjT7_P12ihipStream_tbENKUlT_T0_SI_SN_E_clIPsSD_S15_SD_EEDaS11_S12_SI_SN_EUlS11_E_NS1_11comp_targetILNS1_3genE4ELNS1_11target_archE910ELNS1_3gpuE8ELNS1_3repE0EEENS1_47radix_sort_onesweep_sort_config_static_selectorELNS0_4arch9wavefront6targetE1EEEvSI_.private_seg_size, 0
	.set _ZN7rocprim17ROCPRIM_400000_NS6detail17trampoline_kernelINS0_14default_configENS1_35radix_sort_onesweep_config_selectorIssEEZZNS1_29radix_sort_onesweep_iterationIS3_Lb0EN6thrust23THRUST_200600_302600_NS6detail15normal_iteratorINS8_10device_ptrIsEEEESD_SD_SD_jNS0_19identity_decomposerENS1_16block_id_wrapperIjLb0EEEEE10hipError_tT1_PNSt15iterator_traitsISI_E10value_typeET2_T3_PNSJ_ISO_E10value_typeET4_T5_PST_SU_PNS1_23onesweep_lookback_stateEbbT6_jjT7_P12ihipStream_tbENKUlT_T0_SI_SN_E_clIPsSD_S15_SD_EEDaS11_S12_SI_SN_EUlS11_E_NS1_11comp_targetILNS1_3genE4ELNS1_11target_archE910ELNS1_3gpuE8ELNS1_3repE0EEENS1_47radix_sort_onesweep_sort_config_static_selectorELNS0_4arch9wavefront6targetE1EEEvSI_.uses_vcc, 0
	.set _ZN7rocprim17ROCPRIM_400000_NS6detail17trampoline_kernelINS0_14default_configENS1_35radix_sort_onesweep_config_selectorIssEEZZNS1_29radix_sort_onesweep_iterationIS3_Lb0EN6thrust23THRUST_200600_302600_NS6detail15normal_iteratorINS8_10device_ptrIsEEEESD_SD_SD_jNS0_19identity_decomposerENS1_16block_id_wrapperIjLb0EEEEE10hipError_tT1_PNSt15iterator_traitsISI_E10value_typeET2_T3_PNSJ_ISO_E10value_typeET4_T5_PST_SU_PNS1_23onesweep_lookback_stateEbbT6_jjT7_P12ihipStream_tbENKUlT_T0_SI_SN_E_clIPsSD_S15_SD_EEDaS11_S12_SI_SN_EUlS11_E_NS1_11comp_targetILNS1_3genE4ELNS1_11target_archE910ELNS1_3gpuE8ELNS1_3repE0EEENS1_47radix_sort_onesweep_sort_config_static_selectorELNS0_4arch9wavefront6targetE1EEEvSI_.uses_flat_scratch, 0
	.set _ZN7rocprim17ROCPRIM_400000_NS6detail17trampoline_kernelINS0_14default_configENS1_35radix_sort_onesweep_config_selectorIssEEZZNS1_29radix_sort_onesweep_iterationIS3_Lb0EN6thrust23THRUST_200600_302600_NS6detail15normal_iteratorINS8_10device_ptrIsEEEESD_SD_SD_jNS0_19identity_decomposerENS1_16block_id_wrapperIjLb0EEEEE10hipError_tT1_PNSt15iterator_traitsISI_E10value_typeET2_T3_PNSJ_ISO_E10value_typeET4_T5_PST_SU_PNS1_23onesweep_lookback_stateEbbT6_jjT7_P12ihipStream_tbENKUlT_T0_SI_SN_E_clIPsSD_S15_SD_EEDaS11_S12_SI_SN_EUlS11_E_NS1_11comp_targetILNS1_3genE4ELNS1_11target_archE910ELNS1_3gpuE8ELNS1_3repE0EEENS1_47radix_sort_onesweep_sort_config_static_selectorELNS0_4arch9wavefront6targetE1EEEvSI_.has_dyn_sized_stack, 0
	.set _ZN7rocprim17ROCPRIM_400000_NS6detail17trampoline_kernelINS0_14default_configENS1_35radix_sort_onesweep_config_selectorIssEEZZNS1_29radix_sort_onesweep_iterationIS3_Lb0EN6thrust23THRUST_200600_302600_NS6detail15normal_iteratorINS8_10device_ptrIsEEEESD_SD_SD_jNS0_19identity_decomposerENS1_16block_id_wrapperIjLb0EEEEE10hipError_tT1_PNSt15iterator_traitsISI_E10value_typeET2_T3_PNSJ_ISO_E10value_typeET4_T5_PST_SU_PNS1_23onesweep_lookback_stateEbbT6_jjT7_P12ihipStream_tbENKUlT_T0_SI_SN_E_clIPsSD_S15_SD_EEDaS11_S12_SI_SN_EUlS11_E_NS1_11comp_targetILNS1_3genE4ELNS1_11target_archE910ELNS1_3gpuE8ELNS1_3repE0EEENS1_47radix_sort_onesweep_sort_config_static_selectorELNS0_4arch9wavefront6targetE1EEEvSI_.has_recursion, 0
	.set _ZN7rocprim17ROCPRIM_400000_NS6detail17trampoline_kernelINS0_14default_configENS1_35radix_sort_onesweep_config_selectorIssEEZZNS1_29radix_sort_onesweep_iterationIS3_Lb0EN6thrust23THRUST_200600_302600_NS6detail15normal_iteratorINS8_10device_ptrIsEEEESD_SD_SD_jNS0_19identity_decomposerENS1_16block_id_wrapperIjLb0EEEEE10hipError_tT1_PNSt15iterator_traitsISI_E10value_typeET2_T3_PNSJ_ISO_E10value_typeET4_T5_PST_SU_PNS1_23onesweep_lookback_stateEbbT6_jjT7_P12ihipStream_tbENKUlT_T0_SI_SN_E_clIPsSD_S15_SD_EEDaS11_S12_SI_SN_EUlS11_E_NS1_11comp_targetILNS1_3genE4ELNS1_11target_archE910ELNS1_3gpuE8ELNS1_3repE0EEENS1_47radix_sort_onesweep_sort_config_static_selectorELNS0_4arch9wavefront6targetE1EEEvSI_.has_indirect_call, 0
	.section	.AMDGPU.csdata,"",@progbits
; Kernel info:
; codeLenInByte = 0
; TotalNumSgprs: 6
; NumVgprs: 0
; NumAgprs: 0
; TotalNumVgprs: 0
; ScratchSize: 0
; MemoryBound: 0
; FloatMode: 240
; IeeeMode: 1
; LDSByteSize: 0 bytes/workgroup (compile time only)
; SGPRBlocks: 0
; VGPRBlocks: 0
; NumSGPRsForWavesPerEU: 6
; NumVGPRsForWavesPerEU: 1
; AccumOffset: 4
; Occupancy: 8
; WaveLimiterHint : 0
; COMPUTE_PGM_RSRC2:SCRATCH_EN: 0
; COMPUTE_PGM_RSRC2:USER_SGPR: 2
; COMPUTE_PGM_RSRC2:TRAP_HANDLER: 0
; COMPUTE_PGM_RSRC2:TGID_X_EN: 1
; COMPUTE_PGM_RSRC2:TGID_Y_EN: 0
; COMPUTE_PGM_RSRC2:TGID_Z_EN: 0
; COMPUTE_PGM_RSRC2:TIDIG_COMP_CNT: 0
; COMPUTE_PGM_RSRC3_GFX90A:ACCUM_OFFSET: 0
; COMPUTE_PGM_RSRC3_GFX90A:TG_SPLIT: 0
	.section	.text._ZN7rocprim17ROCPRIM_400000_NS6detail17trampoline_kernelINS0_14default_configENS1_35radix_sort_onesweep_config_selectorIssEEZZNS1_29radix_sort_onesweep_iterationIS3_Lb0EN6thrust23THRUST_200600_302600_NS6detail15normal_iteratorINS8_10device_ptrIsEEEESD_SD_SD_jNS0_19identity_decomposerENS1_16block_id_wrapperIjLb0EEEEE10hipError_tT1_PNSt15iterator_traitsISI_E10value_typeET2_T3_PNSJ_ISO_E10value_typeET4_T5_PST_SU_PNS1_23onesweep_lookback_stateEbbT6_jjT7_P12ihipStream_tbENKUlT_T0_SI_SN_E_clIPsSD_S15_SD_EEDaS11_S12_SI_SN_EUlS11_E_NS1_11comp_targetILNS1_3genE3ELNS1_11target_archE908ELNS1_3gpuE7ELNS1_3repE0EEENS1_47radix_sort_onesweep_sort_config_static_selectorELNS0_4arch9wavefront6targetE1EEEvSI_,"axG",@progbits,_ZN7rocprim17ROCPRIM_400000_NS6detail17trampoline_kernelINS0_14default_configENS1_35radix_sort_onesweep_config_selectorIssEEZZNS1_29radix_sort_onesweep_iterationIS3_Lb0EN6thrust23THRUST_200600_302600_NS6detail15normal_iteratorINS8_10device_ptrIsEEEESD_SD_SD_jNS0_19identity_decomposerENS1_16block_id_wrapperIjLb0EEEEE10hipError_tT1_PNSt15iterator_traitsISI_E10value_typeET2_T3_PNSJ_ISO_E10value_typeET4_T5_PST_SU_PNS1_23onesweep_lookback_stateEbbT6_jjT7_P12ihipStream_tbENKUlT_T0_SI_SN_E_clIPsSD_S15_SD_EEDaS11_S12_SI_SN_EUlS11_E_NS1_11comp_targetILNS1_3genE3ELNS1_11target_archE908ELNS1_3gpuE7ELNS1_3repE0EEENS1_47radix_sort_onesweep_sort_config_static_selectorELNS0_4arch9wavefront6targetE1EEEvSI_,comdat
	.protected	_ZN7rocprim17ROCPRIM_400000_NS6detail17trampoline_kernelINS0_14default_configENS1_35radix_sort_onesweep_config_selectorIssEEZZNS1_29radix_sort_onesweep_iterationIS3_Lb0EN6thrust23THRUST_200600_302600_NS6detail15normal_iteratorINS8_10device_ptrIsEEEESD_SD_SD_jNS0_19identity_decomposerENS1_16block_id_wrapperIjLb0EEEEE10hipError_tT1_PNSt15iterator_traitsISI_E10value_typeET2_T3_PNSJ_ISO_E10value_typeET4_T5_PST_SU_PNS1_23onesweep_lookback_stateEbbT6_jjT7_P12ihipStream_tbENKUlT_T0_SI_SN_E_clIPsSD_S15_SD_EEDaS11_S12_SI_SN_EUlS11_E_NS1_11comp_targetILNS1_3genE3ELNS1_11target_archE908ELNS1_3gpuE7ELNS1_3repE0EEENS1_47radix_sort_onesweep_sort_config_static_selectorELNS0_4arch9wavefront6targetE1EEEvSI_ ; -- Begin function _ZN7rocprim17ROCPRIM_400000_NS6detail17trampoline_kernelINS0_14default_configENS1_35radix_sort_onesweep_config_selectorIssEEZZNS1_29radix_sort_onesweep_iterationIS3_Lb0EN6thrust23THRUST_200600_302600_NS6detail15normal_iteratorINS8_10device_ptrIsEEEESD_SD_SD_jNS0_19identity_decomposerENS1_16block_id_wrapperIjLb0EEEEE10hipError_tT1_PNSt15iterator_traitsISI_E10value_typeET2_T3_PNSJ_ISO_E10value_typeET4_T5_PST_SU_PNS1_23onesweep_lookback_stateEbbT6_jjT7_P12ihipStream_tbENKUlT_T0_SI_SN_E_clIPsSD_S15_SD_EEDaS11_S12_SI_SN_EUlS11_E_NS1_11comp_targetILNS1_3genE3ELNS1_11target_archE908ELNS1_3gpuE7ELNS1_3repE0EEENS1_47radix_sort_onesweep_sort_config_static_selectorELNS0_4arch9wavefront6targetE1EEEvSI_
	.globl	_ZN7rocprim17ROCPRIM_400000_NS6detail17trampoline_kernelINS0_14default_configENS1_35radix_sort_onesweep_config_selectorIssEEZZNS1_29radix_sort_onesweep_iterationIS3_Lb0EN6thrust23THRUST_200600_302600_NS6detail15normal_iteratorINS8_10device_ptrIsEEEESD_SD_SD_jNS0_19identity_decomposerENS1_16block_id_wrapperIjLb0EEEEE10hipError_tT1_PNSt15iterator_traitsISI_E10value_typeET2_T3_PNSJ_ISO_E10value_typeET4_T5_PST_SU_PNS1_23onesweep_lookback_stateEbbT6_jjT7_P12ihipStream_tbENKUlT_T0_SI_SN_E_clIPsSD_S15_SD_EEDaS11_S12_SI_SN_EUlS11_E_NS1_11comp_targetILNS1_3genE3ELNS1_11target_archE908ELNS1_3gpuE7ELNS1_3repE0EEENS1_47radix_sort_onesweep_sort_config_static_selectorELNS0_4arch9wavefront6targetE1EEEvSI_
	.p2align	8
	.type	_ZN7rocprim17ROCPRIM_400000_NS6detail17trampoline_kernelINS0_14default_configENS1_35radix_sort_onesweep_config_selectorIssEEZZNS1_29radix_sort_onesweep_iterationIS3_Lb0EN6thrust23THRUST_200600_302600_NS6detail15normal_iteratorINS8_10device_ptrIsEEEESD_SD_SD_jNS0_19identity_decomposerENS1_16block_id_wrapperIjLb0EEEEE10hipError_tT1_PNSt15iterator_traitsISI_E10value_typeET2_T3_PNSJ_ISO_E10value_typeET4_T5_PST_SU_PNS1_23onesweep_lookback_stateEbbT6_jjT7_P12ihipStream_tbENKUlT_T0_SI_SN_E_clIPsSD_S15_SD_EEDaS11_S12_SI_SN_EUlS11_E_NS1_11comp_targetILNS1_3genE3ELNS1_11target_archE908ELNS1_3gpuE7ELNS1_3repE0EEENS1_47radix_sort_onesweep_sort_config_static_selectorELNS0_4arch9wavefront6targetE1EEEvSI_,@function
_ZN7rocprim17ROCPRIM_400000_NS6detail17trampoline_kernelINS0_14default_configENS1_35radix_sort_onesweep_config_selectorIssEEZZNS1_29radix_sort_onesweep_iterationIS3_Lb0EN6thrust23THRUST_200600_302600_NS6detail15normal_iteratorINS8_10device_ptrIsEEEESD_SD_SD_jNS0_19identity_decomposerENS1_16block_id_wrapperIjLb0EEEEE10hipError_tT1_PNSt15iterator_traitsISI_E10value_typeET2_T3_PNSJ_ISO_E10value_typeET4_T5_PST_SU_PNS1_23onesweep_lookback_stateEbbT6_jjT7_P12ihipStream_tbENKUlT_T0_SI_SN_E_clIPsSD_S15_SD_EEDaS11_S12_SI_SN_EUlS11_E_NS1_11comp_targetILNS1_3genE3ELNS1_11target_archE908ELNS1_3gpuE7ELNS1_3repE0EEENS1_47radix_sort_onesweep_sort_config_static_selectorELNS0_4arch9wavefront6targetE1EEEvSI_: ; @_ZN7rocprim17ROCPRIM_400000_NS6detail17trampoline_kernelINS0_14default_configENS1_35radix_sort_onesweep_config_selectorIssEEZZNS1_29radix_sort_onesweep_iterationIS3_Lb0EN6thrust23THRUST_200600_302600_NS6detail15normal_iteratorINS8_10device_ptrIsEEEESD_SD_SD_jNS0_19identity_decomposerENS1_16block_id_wrapperIjLb0EEEEE10hipError_tT1_PNSt15iterator_traitsISI_E10value_typeET2_T3_PNSJ_ISO_E10value_typeET4_T5_PST_SU_PNS1_23onesweep_lookback_stateEbbT6_jjT7_P12ihipStream_tbENKUlT_T0_SI_SN_E_clIPsSD_S15_SD_EEDaS11_S12_SI_SN_EUlS11_E_NS1_11comp_targetILNS1_3genE3ELNS1_11target_archE908ELNS1_3gpuE7ELNS1_3repE0EEENS1_47radix_sort_onesweep_sort_config_static_selectorELNS0_4arch9wavefront6targetE1EEEvSI_
; %bb.0:
	.section	.rodata,"a",@progbits
	.p2align	6, 0x0
	.amdhsa_kernel _ZN7rocprim17ROCPRIM_400000_NS6detail17trampoline_kernelINS0_14default_configENS1_35radix_sort_onesweep_config_selectorIssEEZZNS1_29radix_sort_onesweep_iterationIS3_Lb0EN6thrust23THRUST_200600_302600_NS6detail15normal_iteratorINS8_10device_ptrIsEEEESD_SD_SD_jNS0_19identity_decomposerENS1_16block_id_wrapperIjLb0EEEEE10hipError_tT1_PNSt15iterator_traitsISI_E10value_typeET2_T3_PNSJ_ISO_E10value_typeET4_T5_PST_SU_PNS1_23onesweep_lookback_stateEbbT6_jjT7_P12ihipStream_tbENKUlT_T0_SI_SN_E_clIPsSD_S15_SD_EEDaS11_S12_SI_SN_EUlS11_E_NS1_11comp_targetILNS1_3genE3ELNS1_11target_archE908ELNS1_3gpuE7ELNS1_3repE0EEENS1_47radix_sort_onesweep_sort_config_static_selectorELNS0_4arch9wavefront6targetE1EEEvSI_
		.amdhsa_group_segment_fixed_size 0
		.amdhsa_private_segment_fixed_size 0
		.amdhsa_kernarg_size 88
		.amdhsa_user_sgpr_count 2
		.amdhsa_user_sgpr_dispatch_ptr 0
		.amdhsa_user_sgpr_queue_ptr 0
		.amdhsa_user_sgpr_kernarg_segment_ptr 1
		.amdhsa_user_sgpr_dispatch_id 0
		.amdhsa_user_sgpr_kernarg_preload_length 0
		.amdhsa_user_sgpr_kernarg_preload_offset 0
		.amdhsa_user_sgpr_private_segment_size 0
		.amdhsa_uses_dynamic_stack 0
		.amdhsa_enable_private_segment 0
		.amdhsa_system_sgpr_workgroup_id_x 1
		.amdhsa_system_sgpr_workgroup_id_y 0
		.amdhsa_system_sgpr_workgroup_id_z 0
		.amdhsa_system_sgpr_workgroup_info 0
		.amdhsa_system_vgpr_workitem_id 0
		.amdhsa_next_free_vgpr 1
		.amdhsa_next_free_sgpr 0
		.amdhsa_accum_offset 4
		.amdhsa_reserve_vcc 0
		.amdhsa_float_round_mode_32 0
		.amdhsa_float_round_mode_16_64 0
		.amdhsa_float_denorm_mode_32 3
		.amdhsa_float_denorm_mode_16_64 3
		.amdhsa_dx10_clamp 1
		.amdhsa_ieee_mode 1
		.amdhsa_fp16_overflow 0
		.amdhsa_tg_split 0
		.amdhsa_exception_fp_ieee_invalid_op 0
		.amdhsa_exception_fp_denorm_src 0
		.amdhsa_exception_fp_ieee_div_zero 0
		.amdhsa_exception_fp_ieee_overflow 0
		.amdhsa_exception_fp_ieee_underflow 0
		.amdhsa_exception_fp_ieee_inexact 0
		.amdhsa_exception_int_div_zero 0
	.end_amdhsa_kernel
	.section	.text._ZN7rocprim17ROCPRIM_400000_NS6detail17trampoline_kernelINS0_14default_configENS1_35radix_sort_onesweep_config_selectorIssEEZZNS1_29radix_sort_onesweep_iterationIS3_Lb0EN6thrust23THRUST_200600_302600_NS6detail15normal_iteratorINS8_10device_ptrIsEEEESD_SD_SD_jNS0_19identity_decomposerENS1_16block_id_wrapperIjLb0EEEEE10hipError_tT1_PNSt15iterator_traitsISI_E10value_typeET2_T3_PNSJ_ISO_E10value_typeET4_T5_PST_SU_PNS1_23onesweep_lookback_stateEbbT6_jjT7_P12ihipStream_tbENKUlT_T0_SI_SN_E_clIPsSD_S15_SD_EEDaS11_S12_SI_SN_EUlS11_E_NS1_11comp_targetILNS1_3genE3ELNS1_11target_archE908ELNS1_3gpuE7ELNS1_3repE0EEENS1_47radix_sort_onesweep_sort_config_static_selectorELNS0_4arch9wavefront6targetE1EEEvSI_,"axG",@progbits,_ZN7rocprim17ROCPRIM_400000_NS6detail17trampoline_kernelINS0_14default_configENS1_35radix_sort_onesweep_config_selectorIssEEZZNS1_29radix_sort_onesweep_iterationIS3_Lb0EN6thrust23THRUST_200600_302600_NS6detail15normal_iteratorINS8_10device_ptrIsEEEESD_SD_SD_jNS0_19identity_decomposerENS1_16block_id_wrapperIjLb0EEEEE10hipError_tT1_PNSt15iterator_traitsISI_E10value_typeET2_T3_PNSJ_ISO_E10value_typeET4_T5_PST_SU_PNS1_23onesweep_lookback_stateEbbT6_jjT7_P12ihipStream_tbENKUlT_T0_SI_SN_E_clIPsSD_S15_SD_EEDaS11_S12_SI_SN_EUlS11_E_NS1_11comp_targetILNS1_3genE3ELNS1_11target_archE908ELNS1_3gpuE7ELNS1_3repE0EEENS1_47radix_sort_onesweep_sort_config_static_selectorELNS0_4arch9wavefront6targetE1EEEvSI_,comdat
.Lfunc_end1692:
	.size	_ZN7rocprim17ROCPRIM_400000_NS6detail17trampoline_kernelINS0_14default_configENS1_35radix_sort_onesweep_config_selectorIssEEZZNS1_29radix_sort_onesweep_iterationIS3_Lb0EN6thrust23THRUST_200600_302600_NS6detail15normal_iteratorINS8_10device_ptrIsEEEESD_SD_SD_jNS0_19identity_decomposerENS1_16block_id_wrapperIjLb0EEEEE10hipError_tT1_PNSt15iterator_traitsISI_E10value_typeET2_T3_PNSJ_ISO_E10value_typeET4_T5_PST_SU_PNS1_23onesweep_lookback_stateEbbT6_jjT7_P12ihipStream_tbENKUlT_T0_SI_SN_E_clIPsSD_S15_SD_EEDaS11_S12_SI_SN_EUlS11_E_NS1_11comp_targetILNS1_3genE3ELNS1_11target_archE908ELNS1_3gpuE7ELNS1_3repE0EEENS1_47radix_sort_onesweep_sort_config_static_selectorELNS0_4arch9wavefront6targetE1EEEvSI_, .Lfunc_end1692-_ZN7rocprim17ROCPRIM_400000_NS6detail17trampoline_kernelINS0_14default_configENS1_35radix_sort_onesweep_config_selectorIssEEZZNS1_29radix_sort_onesweep_iterationIS3_Lb0EN6thrust23THRUST_200600_302600_NS6detail15normal_iteratorINS8_10device_ptrIsEEEESD_SD_SD_jNS0_19identity_decomposerENS1_16block_id_wrapperIjLb0EEEEE10hipError_tT1_PNSt15iterator_traitsISI_E10value_typeET2_T3_PNSJ_ISO_E10value_typeET4_T5_PST_SU_PNS1_23onesweep_lookback_stateEbbT6_jjT7_P12ihipStream_tbENKUlT_T0_SI_SN_E_clIPsSD_S15_SD_EEDaS11_S12_SI_SN_EUlS11_E_NS1_11comp_targetILNS1_3genE3ELNS1_11target_archE908ELNS1_3gpuE7ELNS1_3repE0EEENS1_47radix_sort_onesweep_sort_config_static_selectorELNS0_4arch9wavefront6targetE1EEEvSI_
                                        ; -- End function
	.set _ZN7rocprim17ROCPRIM_400000_NS6detail17trampoline_kernelINS0_14default_configENS1_35radix_sort_onesweep_config_selectorIssEEZZNS1_29radix_sort_onesweep_iterationIS3_Lb0EN6thrust23THRUST_200600_302600_NS6detail15normal_iteratorINS8_10device_ptrIsEEEESD_SD_SD_jNS0_19identity_decomposerENS1_16block_id_wrapperIjLb0EEEEE10hipError_tT1_PNSt15iterator_traitsISI_E10value_typeET2_T3_PNSJ_ISO_E10value_typeET4_T5_PST_SU_PNS1_23onesweep_lookback_stateEbbT6_jjT7_P12ihipStream_tbENKUlT_T0_SI_SN_E_clIPsSD_S15_SD_EEDaS11_S12_SI_SN_EUlS11_E_NS1_11comp_targetILNS1_3genE3ELNS1_11target_archE908ELNS1_3gpuE7ELNS1_3repE0EEENS1_47radix_sort_onesweep_sort_config_static_selectorELNS0_4arch9wavefront6targetE1EEEvSI_.num_vgpr, 0
	.set _ZN7rocprim17ROCPRIM_400000_NS6detail17trampoline_kernelINS0_14default_configENS1_35radix_sort_onesweep_config_selectorIssEEZZNS1_29radix_sort_onesweep_iterationIS3_Lb0EN6thrust23THRUST_200600_302600_NS6detail15normal_iteratorINS8_10device_ptrIsEEEESD_SD_SD_jNS0_19identity_decomposerENS1_16block_id_wrapperIjLb0EEEEE10hipError_tT1_PNSt15iterator_traitsISI_E10value_typeET2_T3_PNSJ_ISO_E10value_typeET4_T5_PST_SU_PNS1_23onesweep_lookback_stateEbbT6_jjT7_P12ihipStream_tbENKUlT_T0_SI_SN_E_clIPsSD_S15_SD_EEDaS11_S12_SI_SN_EUlS11_E_NS1_11comp_targetILNS1_3genE3ELNS1_11target_archE908ELNS1_3gpuE7ELNS1_3repE0EEENS1_47radix_sort_onesweep_sort_config_static_selectorELNS0_4arch9wavefront6targetE1EEEvSI_.num_agpr, 0
	.set _ZN7rocprim17ROCPRIM_400000_NS6detail17trampoline_kernelINS0_14default_configENS1_35radix_sort_onesweep_config_selectorIssEEZZNS1_29radix_sort_onesweep_iterationIS3_Lb0EN6thrust23THRUST_200600_302600_NS6detail15normal_iteratorINS8_10device_ptrIsEEEESD_SD_SD_jNS0_19identity_decomposerENS1_16block_id_wrapperIjLb0EEEEE10hipError_tT1_PNSt15iterator_traitsISI_E10value_typeET2_T3_PNSJ_ISO_E10value_typeET4_T5_PST_SU_PNS1_23onesweep_lookback_stateEbbT6_jjT7_P12ihipStream_tbENKUlT_T0_SI_SN_E_clIPsSD_S15_SD_EEDaS11_S12_SI_SN_EUlS11_E_NS1_11comp_targetILNS1_3genE3ELNS1_11target_archE908ELNS1_3gpuE7ELNS1_3repE0EEENS1_47radix_sort_onesweep_sort_config_static_selectorELNS0_4arch9wavefront6targetE1EEEvSI_.numbered_sgpr, 0
	.set _ZN7rocprim17ROCPRIM_400000_NS6detail17trampoline_kernelINS0_14default_configENS1_35radix_sort_onesweep_config_selectorIssEEZZNS1_29radix_sort_onesweep_iterationIS3_Lb0EN6thrust23THRUST_200600_302600_NS6detail15normal_iteratorINS8_10device_ptrIsEEEESD_SD_SD_jNS0_19identity_decomposerENS1_16block_id_wrapperIjLb0EEEEE10hipError_tT1_PNSt15iterator_traitsISI_E10value_typeET2_T3_PNSJ_ISO_E10value_typeET4_T5_PST_SU_PNS1_23onesweep_lookback_stateEbbT6_jjT7_P12ihipStream_tbENKUlT_T0_SI_SN_E_clIPsSD_S15_SD_EEDaS11_S12_SI_SN_EUlS11_E_NS1_11comp_targetILNS1_3genE3ELNS1_11target_archE908ELNS1_3gpuE7ELNS1_3repE0EEENS1_47radix_sort_onesweep_sort_config_static_selectorELNS0_4arch9wavefront6targetE1EEEvSI_.num_named_barrier, 0
	.set _ZN7rocprim17ROCPRIM_400000_NS6detail17trampoline_kernelINS0_14default_configENS1_35radix_sort_onesweep_config_selectorIssEEZZNS1_29radix_sort_onesweep_iterationIS3_Lb0EN6thrust23THRUST_200600_302600_NS6detail15normal_iteratorINS8_10device_ptrIsEEEESD_SD_SD_jNS0_19identity_decomposerENS1_16block_id_wrapperIjLb0EEEEE10hipError_tT1_PNSt15iterator_traitsISI_E10value_typeET2_T3_PNSJ_ISO_E10value_typeET4_T5_PST_SU_PNS1_23onesweep_lookback_stateEbbT6_jjT7_P12ihipStream_tbENKUlT_T0_SI_SN_E_clIPsSD_S15_SD_EEDaS11_S12_SI_SN_EUlS11_E_NS1_11comp_targetILNS1_3genE3ELNS1_11target_archE908ELNS1_3gpuE7ELNS1_3repE0EEENS1_47radix_sort_onesweep_sort_config_static_selectorELNS0_4arch9wavefront6targetE1EEEvSI_.private_seg_size, 0
	.set _ZN7rocprim17ROCPRIM_400000_NS6detail17trampoline_kernelINS0_14default_configENS1_35radix_sort_onesweep_config_selectorIssEEZZNS1_29radix_sort_onesweep_iterationIS3_Lb0EN6thrust23THRUST_200600_302600_NS6detail15normal_iteratorINS8_10device_ptrIsEEEESD_SD_SD_jNS0_19identity_decomposerENS1_16block_id_wrapperIjLb0EEEEE10hipError_tT1_PNSt15iterator_traitsISI_E10value_typeET2_T3_PNSJ_ISO_E10value_typeET4_T5_PST_SU_PNS1_23onesweep_lookback_stateEbbT6_jjT7_P12ihipStream_tbENKUlT_T0_SI_SN_E_clIPsSD_S15_SD_EEDaS11_S12_SI_SN_EUlS11_E_NS1_11comp_targetILNS1_3genE3ELNS1_11target_archE908ELNS1_3gpuE7ELNS1_3repE0EEENS1_47radix_sort_onesweep_sort_config_static_selectorELNS0_4arch9wavefront6targetE1EEEvSI_.uses_vcc, 0
	.set _ZN7rocprim17ROCPRIM_400000_NS6detail17trampoline_kernelINS0_14default_configENS1_35radix_sort_onesweep_config_selectorIssEEZZNS1_29radix_sort_onesweep_iterationIS3_Lb0EN6thrust23THRUST_200600_302600_NS6detail15normal_iteratorINS8_10device_ptrIsEEEESD_SD_SD_jNS0_19identity_decomposerENS1_16block_id_wrapperIjLb0EEEEE10hipError_tT1_PNSt15iterator_traitsISI_E10value_typeET2_T3_PNSJ_ISO_E10value_typeET4_T5_PST_SU_PNS1_23onesweep_lookback_stateEbbT6_jjT7_P12ihipStream_tbENKUlT_T0_SI_SN_E_clIPsSD_S15_SD_EEDaS11_S12_SI_SN_EUlS11_E_NS1_11comp_targetILNS1_3genE3ELNS1_11target_archE908ELNS1_3gpuE7ELNS1_3repE0EEENS1_47radix_sort_onesweep_sort_config_static_selectorELNS0_4arch9wavefront6targetE1EEEvSI_.uses_flat_scratch, 0
	.set _ZN7rocprim17ROCPRIM_400000_NS6detail17trampoline_kernelINS0_14default_configENS1_35radix_sort_onesweep_config_selectorIssEEZZNS1_29radix_sort_onesweep_iterationIS3_Lb0EN6thrust23THRUST_200600_302600_NS6detail15normal_iteratorINS8_10device_ptrIsEEEESD_SD_SD_jNS0_19identity_decomposerENS1_16block_id_wrapperIjLb0EEEEE10hipError_tT1_PNSt15iterator_traitsISI_E10value_typeET2_T3_PNSJ_ISO_E10value_typeET4_T5_PST_SU_PNS1_23onesweep_lookback_stateEbbT6_jjT7_P12ihipStream_tbENKUlT_T0_SI_SN_E_clIPsSD_S15_SD_EEDaS11_S12_SI_SN_EUlS11_E_NS1_11comp_targetILNS1_3genE3ELNS1_11target_archE908ELNS1_3gpuE7ELNS1_3repE0EEENS1_47radix_sort_onesweep_sort_config_static_selectorELNS0_4arch9wavefront6targetE1EEEvSI_.has_dyn_sized_stack, 0
	.set _ZN7rocprim17ROCPRIM_400000_NS6detail17trampoline_kernelINS0_14default_configENS1_35radix_sort_onesweep_config_selectorIssEEZZNS1_29radix_sort_onesweep_iterationIS3_Lb0EN6thrust23THRUST_200600_302600_NS6detail15normal_iteratorINS8_10device_ptrIsEEEESD_SD_SD_jNS0_19identity_decomposerENS1_16block_id_wrapperIjLb0EEEEE10hipError_tT1_PNSt15iterator_traitsISI_E10value_typeET2_T3_PNSJ_ISO_E10value_typeET4_T5_PST_SU_PNS1_23onesweep_lookback_stateEbbT6_jjT7_P12ihipStream_tbENKUlT_T0_SI_SN_E_clIPsSD_S15_SD_EEDaS11_S12_SI_SN_EUlS11_E_NS1_11comp_targetILNS1_3genE3ELNS1_11target_archE908ELNS1_3gpuE7ELNS1_3repE0EEENS1_47radix_sort_onesweep_sort_config_static_selectorELNS0_4arch9wavefront6targetE1EEEvSI_.has_recursion, 0
	.set _ZN7rocprim17ROCPRIM_400000_NS6detail17trampoline_kernelINS0_14default_configENS1_35radix_sort_onesweep_config_selectorIssEEZZNS1_29radix_sort_onesweep_iterationIS3_Lb0EN6thrust23THRUST_200600_302600_NS6detail15normal_iteratorINS8_10device_ptrIsEEEESD_SD_SD_jNS0_19identity_decomposerENS1_16block_id_wrapperIjLb0EEEEE10hipError_tT1_PNSt15iterator_traitsISI_E10value_typeET2_T3_PNSJ_ISO_E10value_typeET4_T5_PST_SU_PNS1_23onesweep_lookback_stateEbbT6_jjT7_P12ihipStream_tbENKUlT_T0_SI_SN_E_clIPsSD_S15_SD_EEDaS11_S12_SI_SN_EUlS11_E_NS1_11comp_targetILNS1_3genE3ELNS1_11target_archE908ELNS1_3gpuE7ELNS1_3repE0EEENS1_47radix_sort_onesweep_sort_config_static_selectorELNS0_4arch9wavefront6targetE1EEEvSI_.has_indirect_call, 0
	.section	.AMDGPU.csdata,"",@progbits
; Kernel info:
; codeLenInByte = 0
; TotalNumSgprs: 6
; NumVgprs: 0
; NumAgprs: 0
; TotalNumVgprs: 0
; ScratchSize: 0
; MemoryBound: 0
; FloatMode: 240
; IeeeMode: 1
; LDSByteSize: 0 bytes/workgroup (compile time only)
; SGPRBlocks: 0
; VGPRBlocks: 0
; NumSGPRsForWavesPerEU: 6
; NumVGPRsForWavesPerEU: 1
; AccumOffset: 4
; Occupancy: 8
; WaveLimiterHint : 0
; COMPUTE_PGM_RSRC2:SCRATCH_EN: 0
; COMPUTE_PGM_RSRC2:USER_SGPR: 2
; COMPUTE_PGM_RSRC2:TRAP_HANDLER: 0
; COMPUTE_PGM_RSRC2:TGID_X_EN: 1
; COMPUTE_PGM_RSRC2:TGID_Y_EN: 0
; COMPUTE_PGM_RSRC2:TGID_Z_EN: 0
; COMPUTE_PGM_RSRC2:TIDIG_COMP_CNT: 0
; COMPUTE_PGM_RSRC3_GFX90A:ACCUM_OFFSET: 0
; COMPUTE_PGM_RSRC3_GFX90A:TG_SPLIT: 0
	.section	.text._ZN7rocprim17ROCPRIM_400000_NS6detail17trampoline_kernelINS0_14default_configENS1_35radix_sort_onesweep_config_selectorIssEEZZNS1_29radix_sort_onesweep_iterationIS3_Lb0EN6thrust23THRUST_200600_302600_NS6detail15normal_iteratorINS8_10device_ptrIsEEEESD_SD_SD_jNS0_19identity_decomposerENS1_16block_id_wrapperIjLb0EEEEE10hipError_tT1_PNSt15iterator_traitsISI_E10value_typeET2_T3_PNSJ_ISO_E10value_typeET4_T5_PST_SU_PNS1_23onesweep_lookback_stateEbbT6_jjT7_P12ihipStream_tbENKUlT_T0_SI_SN_E_clIPsSD_S15_SD_EEDaS11_S12_SI_SN_EUlS11_E_NS1_11comp_targetILNS1_3genE10ELNS1_11target_archE1201ELNS1_3gpuE5ELNS1_3repE0EEENS1_47radix_sort_onesweep_sort_config_static_selectorELNS0_4arch9wavefront6targetE1EEEvSI_,"axG",@progbits,_ZN7rocprim17ROCPRIM_400000_NS6detail17trampoline_kernelINS0_14default_configENS1_35radix_sort_onesweep_config_selectorIssEEZZNS1_29radix_sort_onesweep_iterationIS3_Lb0EN6thrust23THRUST_200600_302600_NS6detail15normal_iteratorINS8_10device_ptrIsEEEESD_SD_SD_jNS0_19identity_decomposerENS1_16block_id_wrapperIjLb0EEEEE10hipError_tT1_PNSt15iterator_traitsISI_E10value_typeET2_T3_PNSJ_ISO_E10value_typeET4_T5_PST_SU_PNS1_23onesweep_lookback_stateEbbT6_jjT7_P12ihipStream_tbENKUlT_T0_SI_SN_E_clIPsSD_S15_SD_EEDaS11_S12_SI_SN_EUlS11_E_NS1_11comp_targetILNS1_3genE10ELNS1_11target_archE1201ELNS1_3gpuE5ELNS1_3repE0EEENS1_47radix_sort_onesweep_sort_config_static_selectorELNS0_4arch9wavefront6targetE1EEEvSI_,comdat
	.protected	_ZN7rocprim17ROCPRIM_400000_NS6detail17trampoline_kernelINS0_14default_configENS1_35radix_sort_onesweep_config_selectorIssEEZZNS1_29radix_sort_onesweep_iterationIS3_Lb0EN6thrust23THRUST_200600_302600_NS6detail15normal_iteratorINS8_10device_ptrIsEEEESD_SD_SD_jNS0_19identity_decomposerENS1_16block_id_wrapperIjLb0EEEEE10hipError_tT1_PNSt15iterator_traitsISI_E10value_typeET2_T3_PNSJ_ISO_E10value_typeET4_T5_PST_SU_PNS1_23onesweep_lookback_stateEbbT6_jjT7_P12ihipStream_tbENKUlT_T0_SI_SN_E_clIPsSD_S15_SD_EEDaS11_S12_SI_SN_EUlS11_E_NS1_11comp_targetILNS1_3genE10ELNS1_11target_archE1201ELNS1_3gpuE5ELNS1_3repE0EEENS1_47radix_sort_onesweep_sort_config_static_selectorELNS0_4arch9wavefront6targetE1EEEvSI_ ; -- Begin function _ZN7rocprim17ROCPRIM_400000_NS6detail17trampoline_kernelINS0_14default_configENS1_35radix_sort_onesweep_config_selectorIssEEZZNS1_29radix_sort_onesweep_iterationIS3_Lb0EN6thrust23THRUST_200600_302600_NS6detail15normal_iteratorINS8_10device_ptrIsEEEESD_SD_SD_jNS0_19identity_decomposerENS1_16block_id_wrapperIjLb0EEEEE10hipError_tT1_PNSt15iterator_traitsISI_E10value_typeET2_T3_PNSJ_ISO_E10value_typeET4_T5_PST_SU_PNS1_23onesweep_lookback_stateEbbT6_jjT7_P12ihipStream_tbENKUlT_T0_SI_SN_E_clIPsSD_S15_SD_EEDaS11_S12_SI_SN_EUlS11_E_NS1_11comp_targetILNS1_3genE10ELNS1_11target_archE1201ELNS1_3gpuE5ELNS1_3repE0EEENS1_47radix_sort_onesweep_sort_config_static_selectorELNS0_4arch9wavefront6targetE1EEEvSI_
	.globl	_ZN7rocprim17ROCPRIM_400000_NS6detail17trampoline_kernelINS0_14default_configENS1_35radix_sort_onesweep_config_selectorIssEEZZNS1_29radix_sort_onesweep_iterationIS3_Lb0EN6thrust23THRUST_200600_302600_NS6detail15normal_iteratorINS8_10device_ptrIsEEEESD_SD_SD_jNS0_19identity_decomposerENS1_16block_id_wrapperIjLb0EEEEE10hipError_tT1_PNSt15iterator_traitsISI_E10value_typeET2_T3_PNSJ_ISO_E10value_typeET4_T5_PST_SU_PNS1_23onesweep_lookback_stateEbbT6_jjT7_P12ihipStream_tbENKUlT_T0_SI_SN_E_clIPsSD_S15_SD_EEDaS11_S12_SI_SN_EUlS11_E_NS1_11comp_targetILNS1_3genE10ELNS1_11target_archE1201ELNS1_3gpuE5ELNS1_3repE0EEENS1_47radix_sort_onesweep_sort_config_static_selectorELNS0_4arch9wavefront6targetE1EEEvSI_
	.p2align	8
	.type	_ZN7rocprim17ROCPRIM_400000_NS6detail17trampoline_kernelINS0_14default_configENS1_35radix_sort_onesweep_config_selectorIssEEZZNS1_29radix_sort_onesweep_iterationIS3_Lb0EN6thrust23THRUST_200600_302600_NS6detail15normal_iteratorINS8_10device_ptrIsEEEESD_SD_SD_jNS0_19identity_decomposerENS1_16block_id_wrapperIjLb0EEEEE10hipError_tT1_PNSt15iterator_traitsISI_E10value_typeET2_T3_PNSJ_ISO_E10value_typeET4_T5_PST_SU_PNS1_23onesweep_lookback_stateEbbT6_jjT7_P12ihipStream_tbENKUlT_T0_SI_SN_E_clIPsSD_S15_SD_EEDaS11_S12_SI_SN_EUlS11_E_NS1_11comp_targetILNS1_3genE10ELNS1_11target_archE1201ELNS1_3gpuE5ELNS1_3repE0EEENS1_47radix_sort_onesweep_sort_config_static_selectorELNS0_4arch9wavefront6targetE1EEEvSI_,@function
_ZN7rocprim17ROCPRIM_400000_NS6detail17trampoline_kernelINS0_14default_configENS1_35radix_sort_onesweep_config_selectorIssEEZZNS1_29radix_sort_onesweep_iterationIS3_Lb0EN6thrust23THRUST_200600_302600_NS6detail15normal_iteratorINS8_10device_ptrIsEEEESD_SD_SD_jNS0_19identity_decomposerENS1_16block_id_wrapperIjLb0EEEEE10hipError_tT1_PNSt15iterator_traitsISI_E10value_typeET2_T3_PNSJ_ISO_E10value_typeET4_T5_PST_SU_PNS1_23onesweep_lookback_stateEbbT6_jjT7_P12ihipStream_tbENKUlT_T0_SI_SN_E_clIPsSD_S15_SD_EEDaS11_S12_SI_SN_EUlS11_E_NS1_11comp_targetILNS1_3genE10ELNS1_11target_archE1201ELNS1_3gpuE5ELNS1_3repE0EEENS1_47radix_sort_onesweep_sort_config_static_selectorELNS0_4arch9wavefront6targetE1EEEvSI_: ; @_ZN7rocprim17ROCPRIM_400000_NS6detail17trampoline_kernelINS0_14default_configENS1_35radix_sort_onesweep_config_selectorIssEEZZNS1_29radix_sort_onesweep_iterationIS3_Lb0EN6thrust23THRUST_200600_302600_NS6detail15normal_iteratorINS8_10device_ptrIsEEEESD_SD_SD_jNS0_19identity_decomposerENS1_16block_id_wrapperIjLb0EEEEE10hipError_tT1_PNSt15iterator_traitsISI_E10value_typeET2_T3_PNSJ_ISO_E10value_typeET4_T5_PST_SU_PNS1_23onesweep_lookback_stateEbbT6_jjT7_P12ihipStream_tbENKUlT_T0_SI_SN_E_clIPsSD_S15_SD_EEDaS11_S12_SI_SN_EUlS11_E_NS1_11comp_targetILNS1_3genE10ELNS1_11target_archE1201ELNS1_3gpuE5ELNS1_3repE0EEENS1_47radix_sort_onesweep_sort_config_static_selectorELNS0_4arch9wavefront6targetE1EEEvSI_
; %bb.0:
	.section	.rodata,"a",@progbits
	.p2align	6, 0x0
	.amdhsa_kernel _ZN7rocprim17ROCPRIM_400000_NS6detail17trampoline_kernelINS0_14default_configENS1_35radix_sort_onesweep_config_selectorIssEEZZNS1_29radix_sort_onesweep_iterationIS3_Lb0EN6thrust23THRUST_200600_302600_NS6detail15normal_iteratorINS8_10device_ptrIsEEEESD_SD_SD_jNS0_19identity_decomposerENS1_16block_id_wrapperIjLb0EEEEE10hipError_tT1_PNSt15iterator_traitsISI_E10value_typeET2_T3_PNSJ_ISO_E10value_typeET4_T5_PST_SU_PNS1_23onesweep_lookback_stateEbbT6_jjT7_P12ihipStream_tbENKUlT_T0_SI_SN_E_clIPsSD_S15_SD_EEDaS11_S12_SI_SN_EUlS11_E_NS1_11comp_targetILNS1_3genE10ELNS1_11target_archE1201ELNS1_3gpuE5ELNS1_3repE0EEENS1_47radix_sort_onesweep_sort_config_static_selectorELNS0_4arch9wavefront6targetE1EEEvSI_
		.amdhsa_group_segment_fixed_size 0
		.amdhsa_private_segment_fixed_size 0
		.amdhsa_kernarg_size 88
		.amdhsa_user_sgpr_count 2
		.amdhsa_user_sgpr_dispatch_ptr 0
		.amdhsa_user_sgpr_queue_ptr 0
		.amdhsa_user_sgpr_kernarg_segment_ptr 1
		.amdhsa_user_sgpr_dispatch_id 0
		.amdhsa_user_sgpr_kernarg_preload_length 0
		.amdhsa_user_sgpr_kernarg_preload_offset 0
		.amdhsa_user_sgpr_private_segment_size 0
		.amdhsa_uses_dynamic_stack 0
		.amdhsa_enable_private_segment 0
		.amdhsa_system_sgpr_workgroup_id_x 1
		.amdhsa_system_sgpr_workgroup_id_y 0
		.amdhsa_system_sgpr_workgroup_id_z 0
		.amdhsa_system_sgpr_workgroup_info 0
		.amdhsa_system_vgpr_workitem_id 0
		.amdhsa_next_free_vgpr 1
		.amdhsa_next_free_sgpr 0
		.amdhsa_accum_offset 4
		.amdhsa_reserve_vcc 0
		.amdhsa_float_round_mode_32 0
		.amdhsa_float_round_mode_16_64 0
		.amdhsa_float_denorm_mode_32 3
		.amdhsa_float_denorm_mode_16_64 3
		.amdhsa_dx10_clamp 1
		.amdhsa_ieee_mode 1
		.amdhsa_fp16_overflow 0
		.amdhsa_tg_split 0
		.amdhsa_exception_fp_ieee_invalid_op 0
		.amdhsa_exception_fp_denorm_src 0
		.amdhsa_exception_fp_ieee_div_zero 0
		.amdhsa_exception_fp_ieee_overflow 0
		.amdhsa_exception_fp_ieee_underflow 0
		.amdhsa_exception_fp_ieee_inexact 0
		.amdhsa_exception_int_div_zero 0
	.end_amdhsa_kernel
	.section	.text._ZN7rocprim17ROCPRIM_400000_NS6detail17trampoline_kernelINS0_14default_configENS1_35radix_sort_onesweep_config_selectorIssEEZZNS1_29radix_sort_onesweep_iterationIS3_Lb0EN6thrust23THRUST_200600_302600_NS6detail15normal_iteratorINS8_10device_ptrIsEEEESD_SD_SD_jNS0_19identity_decomposerENS1_16block_id_wrapperIjLb0EEEEE10hipError_tT1_PNSt15iterator_traitsISI_E10value_typeET2_T3_PNSJ_ISO_E10value_typeET4_T5_PST_SU_PNS1_23onesweep_lookback_stateEbbT6_jjT7_P12ihipStream_tbENKUlT_T0_SI_SN_E_clIPsSD_S15_SD_EEDaS11_S12_SI_SN_EUlS11_E_NS1_11comp_targetILNS1_3genE10ELNS1_11target_archE1201ELNS1_3gpuE5ELNS1_3repE0EEENS1_47radix_sort_onesweep_sort_config_static_selectorELNS0_4arch9wavefront6targetE1EEEvSI_,"axG",@progbits,_ZN7rocprim17ROCPRIM_400000_NS6detail17trampoline_kernelINS0_14default_configENS1_35radix_sort_onesweep_config_selectorIssEEZZNS1_29radix_sort_onesweep_iterationIS3_Lb0EN6thrust23THRUST_200600_302600_NS6detail15normal_iteratorINS8_10device_ptrIsEEEESD_SD_SD_jNS0_19identity_decomposerENS1_16block_id_wrapperIjLb0EEEEE10hipError_tT1_PNSt15iterator_traitsISI_E10value_typeET2_T3_PNSJ_ISO_E10value_typeET4_T5_PST_SU_PNS1_23onesweep_lookback_stateEbbT6_jjT7_P12ihipStream_tbENKUlT_T0_SI_SN_E_clIPsSD_S15_SD_EEDaS11_S12_SI_SN_EUlS11_E_NS1_11comp_targetILNS1_3genE10ELNS1_11target_archE1201ELNS1_3gpuE5ELNS1_3repE0EEENS1_47radix_sort_onesweep_sort_config_static_selectorELNS0_4arch9wavefront6targetE1EEEvSI_,comdat
.Lfunc_end1693:
	.size	_ZN7rocprim17ROCPRIM_400000_NS6detail17trampoline_kernelINS0_14default_configENS1_35radix_sort_onesweep_config_selectorIssEEZZNS1_29radix_sort_onesweep_iterationIS3_Lb0EN6thrust23THRUST_200600_302600_NS6detail15normal_iteratorINS8_10device_ptrIsEEEESD_SD_SD_jNS0_19identity_decomposerENS1_16block_id_wrapperIjLb0EEEEE10hipError_tT1_PNSt15iterator_traitsISI_E10value_typeET2_T3_PNSJ_ISO_E10value_typeET4_T5_PST_SU_PNS1_23onesweep_lookback_stateEbbT6_jjT7_P12ihipStream_tbENKUlT_T0_SI_SN_E_clIPsSD_S15_SD_EEDaS11_S12_SI_SN_EUlS11_E_NS1_11comp_targetILNS1_3genE10ELNS1_11target_archE1201ELNS1_3gpuE5ELNS1_3repE0EEENS1_47radix_sort_onesweep_sort_config_static_selectorELNS0_4arch9wavefront6targetE1EEEvSI_, .Lfunc_end1693-_ZN7rocprim17ROCPRIM_400000_NS6detail17trampoline_kernelINS0_14default_configENS1_35radix_sort_onesweep_config_selectorIssEEZZNS1_29radix_sort_onesweep_iterationIS3_Lb0EN6thrust23THRUST_200600_302600_NS6detail15normal_iteratorINS8_10device_ptrIsEEEESD_SD_SD_jNS0_19identity_decomposerENS1_16block_id_wrapperIjLb0EEEEE10hipError_tT1_PNSt15iterator_traitsISI_E10value_typeET2_T3_PNSJ_ISO_E10value_typeET4_T5_PST_SU_PNS1_23onesweep_lookback_stateEbbT6_jjT7_P12ihipStream_tbENKUlT_T0_SI_SN_E_clIPsSD_S15_SD_EEDaS11_S12_SI_SN_EUlS11_E_NS1_11comp_targetILNS1_3genE10ELNS1_11target_archE1201ELNS1_3gpuE5ELNS1_3repE0EEENS1_47radix_sort_onesweep_sort_config_static_selectorELNS0_4arch9wavefront6targetE1EEEvSI_
                                        ; -- End function
	.set _ZN7rocprim17ROCPRIM_400000_NS6detail17trampoline_kernelINS0_14default_configENS1_35radix_sort_onesweep_config_selectorIssEEZZNS1_29radix_sort_onesweep_iterationIS3_Lb0EN6thrust23THRUST_200600_302600_NS6detail15normal_iteratorINS8_10device_ptrIsEEEESD_SD_SD_jNS0_19identity_decomposerENS1_16block_id_wrapperIjLb0EEEEE10hipError_tT1_PNSt15iterator_traitsISI_E10value_typeET2_T3_PNSJ_ISO_E10value_typeET4_T5_PST_SU_PNS1_23onesweep_lookback_stateEbbT6_jjT7_P12ihipStream_tbENKUlT_T0_SI_SN_E_clIPsSD_S15_SD_EEDaS11_S12_SI_SN_EUlS11_E_NS1_11comp_targetILNS1_3genE10ELNS1_11target_archE1201ELNS1_3gpuE5ELNS1_3repE0EEENS1_47radix_sort_onesweep_sort_config_static_selectorELNS0_4arch9wavefront6targetE1EEEvSI_.num_vgpr, 0
	.set _ZN7rocprim17ROCPRIM_400000_NS6detail17trampoline_kernelINS0_14default_configENS1_35radix_sort_onesweep_config_selectorIssEEZZNS1_29radix_sort_onesweep_iterationIS3_Lb0EN6thrust23THRUST_200600_302600_NS6detail15normal_iteratorINS8_10device_ptrIsEEEESD_SD_SD_jNS0_19identity_decomposerENS1_16block_id_wrapperIjLb0EEEEE10hipError_tT1_PNSt15iterator_traitsISI_E10value_typeET2_T3_PNSJ_ISO_E10value_typeET4_T5_PST_SU_PNS1_23onesweep_lookback_stateEbbT6_jjT7_P12ihipStream_tbENKUlT_T0_SI_SN_E_clIPsSD_S15_SD_EEDaS11_S12_SI_SN_EUlS11_E_NS1_11comp_targetILNS1_3genE10ELNS1_11target_archE1201ELNS1_3gpuE5ELNS1_3repE0EEENS1_47radix_sort_onesweep_sort_config_static_selectorELNS0_4arch9wavefront6targetE1EEEvSI_.num_agpr, 0
	.set _ZN7rocprim17ROCPRIM_400000_NS6detail17trampoline_kernelINS0_14default_configENS1_35radix_sort_onesweep_config_selectorIssEEZZNS1_29radix_sort_onesweep_iterationIS3_Lb0EN6thrust23THRUST_200600_302600_NS6detail15normal_iteratorINS8_10device_ptrIsEEEESD_SD_SD_jNS0_19identity_decomposerENS1_16block_id_wrapperIjLb0EEEEE10hipError_tT1_PNSt15iterator_traitsISI_E10value_typeET2_T3_PNSJ_ISO_E10value_typeET4_T5_PST_SU_PNS1_23onesweep_lookback_stateEbbT6_jjT7_P12ihipStream_tbENKUlT_T0_SI_SN_E_clIPsSD_S15_SD_EEDaS11_S12_SI_SN_EUlS11_E_NS1_11comp_targetILNS1_3genE10ELNS1_11target_archE1201ELNS1_3gpuE5ELNS1_3repE0EEENS1_47radix_sort_onesweep_sort_config_static_selectorELNS0_4arch9wavefront6targetE1EEEvSI_.numbered_sgpr, 0
	.set _ZN7rocprim17ROCPRIM_400000_NS6detail17trampoline_kernelINS0_14default_configENS1_35radix_sort_onesweep_config_selectorIssEEZZNS1_29radix_sort_onesweep_iterationIS3_Lb0EN6thrust23THRUST_200600_302600_NS6detail15normal_iteratorINS8_10device_ptrIsEEEESD_SD_SD_jNS0_19identity_decomposerENS1_16block_id_wrapperIjLb0EEEEE10hipError_tT1_PNSt15iterator_traitsISI_E10value_typeET2_T3_PNSJ_ISO_E10value_typeET4_T5_PST_SU_PNS1_23onesweep_lookback_stateEbbT6_jjT7_P12ihipStream_tbENKUlT_T0_SI_SN_E_clIPsSD_S15_SD_EEDaS11_S12_SI_SN_EUlS11_E_NS1_11comp_targetILNS1_3genE10ELNS1_11target_archE1201ELNS1_3gpuE5ELNS1_3repE0EEENS1_47radix_sort_onesweep_sort_config_static_selectorELNS0_4arch9wavefront6targetE1EEEvSI_.num_named_barrier, 0
	.set _ZN7rocprim17ROCPRIM_400000_NS6detail17trampoline_kernelINS0_14default_configENS1_35radix_sort_onesweep_config_selectorIssEEZZNS1_29radix_sort_onesweep_iterationIS3_Lb0EN6thrust23THRUST_200600_302600_NS6detail15normal_iteratorINS8_10device_ptrIsEEEESD_SD_SD_jNS0_19identity_decomposerENS1_16block_id_wrapperIjLb0EEEEE10hipError_tT1_PNSt15iterator_traitsISI_E10value_typeET2_T3_PNSJ_ISO_E10value_typeET4_T5_PST_SU_PNS1_23onesweep_lookback_stateEbbT6_jjT7_P12ihipStream_tbENKUlT_T0_SI_SN_E_clIPsSD_S15_SD_EEDaS11_S12_SI_SN_EUlS11_E_NS1_11comp_targetILNS1_3genE10ELNS1_11target_archE1201ELNS1_3gpuE5ELNS1_3repE0EEENS1_47radix_sort_onesweep_sort_config_static_selectorELNS0_4arch9wavefront6targetE1EEEvSI_.private_seg_size, 0
	.set _ZN7rocprim17ROCPRIM_400000_NS6detail17trampoline_kernelINS0_14default_configENS1_35radix_sort_onesweep_config_selectorIssEEZZNS1_29radix_sort_onesweep_iterationIS3_Lb0EN6thrust23THRUST_200600_302600_NS6detail15normal_iteratorINS8_10device_ptrIsEEEESD_SD_SD_jNS0_19identity_decomposerENS1_16block_id_wrapperIjLb0EEEEE10hipError_tT1_PNSt15iterator_traitsISI_E10value_typeET2_T3_PNSJ_ISO_E10value_typeET4_T5_PST_SU_PNS1_23onesweep_lookback_stateEbbT6_jjT7_P12ihipStream_tbENKUlT_T0_SI_SN_E_clIPsSD_S15_SD_EEDaS11_S12_SI_SN_EUlS11_E_NS1_11comp_targetILNS1_3genE10ELNS1_11target_archE1201ELNS1_3gpuE5ELNS1_3repE0EEENS1_47radix_sort_onesweep_sort_config_static_selectorELNS0_4arch9wavefront6targetE1EEEvSI_.uses_vcc, 0
	.set _ZN7rocprim17ROCPRIM_400000_NS6detail17trampoline_kernelINS0_14default_configENS1_35radix_sort_onesweep_config_selectorIssEEZZNS1_29radix_sort_onesweep_iterationIS3_Lb0EN6thrust23THRUST_200600_302600_NS6detail15normal_iteratorINS8_10device_ptrIsEEEESD_SD_SD_jNS0_19identity_decomposerENS1_16block_id_wrapperIjLb0EEEEE10hipError_tT1_PNSt15iterator_traitsISI_E10value_typeET2_T3_PNSJ_ISO_E10value_typeET4_T5_PST_SU_PNS1_23onesweep_lookback_stateEbbT6_jjT7_P12ihipStream_tbENKUlT_T0_SI_SN_E_clIPsSD_S15_SD_EEDaS11_S12_SI_SN_EUlS11_E_NS1_11comp_targetILNS1_3genE10ELNS1_11target_archE1201ELNS1_3gpuE5ELNS1_3repE0EEENS1_47radix_sort_onesweep_sort_config_static_selectorELNS0_4arch9wavefront6targetE1EEEvSI_.uses_flat_scratch, 0
	.set _ZN7rocprim17ROCPRIM_400000_NS6detail17trampoline_kernelINS0_14default_configENS1_35radix_sort_onesweep_config_selectorIssEEZZNS1_29radix_sort_onesweep_iterationIS3_Lb0EN6thrust23THRUST_200600_302600_NS6detail15normal_iteratorINS8_10device_ptrIsEEEESD_SD_SD_jNS0_19identity_decomposerENS1_16block_id_wrapperIjLb0EEEEE10hipError_tT1_PNSt15iterator_traitsISI_E10value_typeET2_T3_PNSJ_ISO_E10value_typeET4_T5_PST_SU_PNS1_23onesweep_lookback_stateEbbT6_jjT7_P12ihipStream_tbENKUlT_T0_SI_SN_E_clIPsSD_S15_SD_EEDaS11_S12_SI_SN_EUlS11_E_NS1_11comp_targetILNS1_3genE10ELNS1_11target_archE1201ELNS1_3gpuE5ELNS1_3repE0EEENS1_47radix_sort_onesweep_sort_config_static_selectorELNS0_4arch9wavefront6targetE1EEEvSI_.has_dyn_sized_stack, 0
	.set _ZN7rocprim17ROCPRIM_400000_NS6detail17trampoline_kernelINS0_14default_configENS1_35radix_sort_onesweep_config_selectorIssEEZZNS1_29radix_sort_onesweep_iterationIS3_Lb0EN6thrust23THRUST_200600_302600_NS6detail15normal_iteratorINS8_10device_ptrIsEEEESD_SD_SD_jNS0_19identity_decomposerENS1_16block_id_wrapperIjLb0EEEEE10hipError_tT1_PNSt15iterator_traitsISI_E10value_typeET2_T3_PNSJ_ISO_E10value_typeET4_T5_PST_SU_PNS1_23onesweep_lookback_stateEbbT6_jjT7_P12ihipStream_tbENKUlT_T0_SI_SN_E_clIPsSD_S15_SD_EEDaS11_S12_SI_SN_EUlS11_E_NS1_11comp_targetILNS1_3genE10ELNS1_11target_archE1201ELNS1_3gpuE5ELNS1_3repE0EEENS1_47radix_sort_onesweep_sort_config_static_selectorELNS0_4arch9wavefront6targetE1EEEvSI_.has_recursion, 0
	.set _ZN7rocprim17ROCPRIM_400000_NS6detail17trampoline_kernelINS0_14default_configENS1_35radix_sort_onesweep_config_selectorIssEEZZNS1_29radix_sort_onesweep_iterationIS3_Lb0EN6thrust23THRUST_200600_302600_NS6detail15normal_iteratorINS8_10device_ptrIsEEEESD_SD_SD_jNS0_19identity_decomposerENS1_16block_id_wrapperIjLb0EEEEE10hipError_tT1_PNSt15iterator_traitsISI_E10value_typeET2_T3_PNSJ_ISO_E10value_typeET4_T5_PST_SU_PNS1_23onesweep_lookback_stateEbbT6_jjT7_P12ihipStream_tbENKUlT_T0_SI_SN_E_clIPsSD_S15_SD_EEDaS11_S12_SI_SN_EUlS11_E_NS1_11comp_targetILNS1_3genE10ELNS1_11target_archE1201ELNS1_3gpuE5ELNS1_3repE0EEENS1_47radix_sort_onesweep_sort_config_static_selectorELNS0_4arch9wavefront6targetE1EEEvSI_.has_indirect_call, 0
	.section	.AMDGPU.csdata,"",@progbits
; Kernel info:
; codeLenInByte = 0
; TotalNumSgprs: 6
; NumVgprs: 0
; NumAgprs: 0
; TotalNumVgprs: 0
; ScratchSize: 0
; MemoryBound: 0
; FloatMode: 240
; IeeeMode: 1
; LDSByteSize: 0 bytes/workgroup (compile time only)
; SGPRBlocks: 0
; VGPRBlocks: 0
; NumSGPRsForWavesPerEU: 6
; NumVGPRsForWavesPerEU: 1
; AccumOffset: 4
; Occupancy: 8
; WaveLimiterHint : 0
; COMPUTE_PGM_RSRC2:SCRATCH_EN: 0
; COMPUTE_PGM_RSRC2:USER_SGPR: 2
; COMPUTE_PGM_RSRC2:TRAP_HANDLER: 0
; COMPUTE_PGM_RSRC2:TGID_X_EN: 1
; COMPUTE_PGM_RSRC2:TGID_Y_EN: 0
; COMPUTE_PGM_RSRC2:TGID_Z_EN: 0
; COMPUTE_PGM_RSRC2:TIDIG_COMP_CNT: 0
; COMPUTE_PGM_RSRC3_GFX90A:ACCUM_OFFSET: 0
; COMPUTE_PGM_RSRC3_GFX90A:TG_SPLIT: 0
	.section	.text._ZN7rocprim17ROCPRIM_400000_NS6detail17trampoline_kernelINS0_14default_configENS1_35radix_sort_onesweep_config_selectorIssEEZZNS1_29radix_sort_onesweep_iterationIS3_Lb0EN6thrust23THRUST_200600_302600_NS6detail15normal_iteratorINS8_10device_ptrIsEEEESD_SD_SD_jNS0_19identity_decomposerENS1_16block_id_wrapperIjLb0EEEEE10hipError_tT1_PNSt15iterator_traitsISI_E10value_typeET2_T3_PNSJ_ISO_E10value_typeET4_T5_PST_SU_PNS1_23onesweep_lookback_stateEbbT6_jjT7_P12ihipStream_tbENKUlT_T0_SI_SN_E_clIPsSD_S15_SD_EEDaS11_S12_SI_SN_EUlS11_E_NS1_11comp_targetILNS1_3genE9ELNS1_11target_archE1100ELNS1_3gpuE3ELNS1_3repE0EEENS1_47radix_sort_onesweep_sort_config_static_selectorELNS0_4arch9wavefront6targetE1EEEvSI_,"axG",@progbits,_ZN7rocprim17ROCPRIM_400000_NS6detail17trampoline_kernelINS0_14default_configENS1_35radix_sort_onesweep_config_selectorIssEEZZNS1_29radix_sort_onesweep_iterationIS3_Lb0EN6thrust23THRUST_200600_302600_NS6detail15normal_iteratorINS8_10device_ptrIsEEEESD_SD_SD_jNS0_19identity_decomposerENS1_16block_id_wrapperIjLb0EEEEE10hipError_tT1_PNSt15iterator_traitsISI_E10value_typeET2_T3_PNSJ_ISO_E10value_typeET4_T5_PST_SU_PNS1_23onesweep_lookback_stateEbbT6_jjT7_P12ihipStream_tbENKUlT_T0_SI_SN_E_clIPsSD_S15_SD_EEDaS11_S12_SI_SN_EUlS11_E_NS1_11comp_targetILNS1_3genE9ELNS1_11target_archE1100ELNS1_3gpuE3ELNS1_3repE0EEENS1_47radix_sort_onesweep_sort_config_static_selectorELNS0_4arch9wavefront6targetE1EEEvSI_,comdat
	.protected	_ZN7rocprim17ROCPRIM_400000_NS6detail17trampoline_kernelINS0_14default_configENS1_35radix_sort_onesweep_config_selectorIssEEZZNS1_29radix_sort_onesweep_iterationIS3_Lb0EN6thrust23THRUST_200600_302600_NS6detail15normal_iteratorINS8_10device_ptrIsEEEESD_SD_SD_jNS0_19identity_decomposerENS1_16block_id_wrapperIjLb0EEEEE10hipError_tT1_PNSt15iterator_traitsISI_E10value_typeET2_T3_PNSJ_ISO_E10value_typeET4_T5_PST_SU_PNS1_23onesweep_lookback_stateEbbT6_jjT7_P12ihipStream_tbENKUlT_T0_SI_SN_E_clIPsSD_S15_SD_EEDaS11_S12_SI_SN_EUlS11_E_NS1_11comp_targetILNS1_3genE9ELNS1_11target_archE1100ELNS1_3gpuE3ELNS1_3repE0EEENS1_47radix_sort_onesweep_sort_config_static_selectorELNS0_4arch9wavefront6targetE1EEEvSI_ ; -- Begin function _ZN7rocprim17ROCPRIM_400000_NS6detail17trampoline_kernelINS0_14default_configENS1_35radix_sort_onesweep_config_selectorIssEEZZNS1_29radix_sort_onesweep_iterationIS3_Lb0EN6thrust23THRUST_200600_302600_NS6detail15normal_iteratorINS8_10device_ptrIsEEEESD_SD_SD_jNS0_19identity_decomposerENS1_16block_id_wrapperIjLb0EEEEE10hipError_tT1_PNSt15iterator_traitsISI_E10value_typeET2_T3_PNSJ_ISO_E10value_typeET4_T5_PST_SU_PNS1_23onesweep_lookback_stateEbbT6_jjT7_P12ihipStream_tbENKUlT_T0_SI_SN_E_clIPsSD_S15_SD_EEDaS11_S12_SI_SN_EUlS11_E_NS1_11comp_targetILNS1_3genE9ELNS1_11target_archE1100ELNS1_3gpuE3ELNS1_3repE0EEENS1_47radix_sort_onesweep_sort_config_static_selectorELNS0_4arch9wavefront6targetE1EEEvSI_
	.globl	_ZN7rocprim17ROCPRIM_400000_NS6detail17trampoline_kernelINS0_14default_configENS1_35radix_sort_onesweep_config_selectorIssEEZZNS1_29radix_sort_onesweep_iterationIS3_Lb0EN6thrust23THRUST_200600_302600_NS6detail15normal_iteratorINS8_10device_ptrIsEEEESD_SD_SD_jNS0_19identity_decomposerENS1_16block_id_wrapperIjLb0EEEEE10hipError_tT1_PNSt15iterator_traitsISI_E10value_typeET2_T3_PNSJ_ISO_E10value_typeET4_T5_PST_SU_PNS1_23onesweep_lookback_stateEbbT6_jjT7_P12ihipStream_tbENKUlT_T0_SI_SN_E_clIPsSD_S15_SD_EEDaS11_S12_SI_SN_EUlS11_E_NS1_11comp_targetILNS1_3genE9ELNS1_11target_archE1100ELNS1_3gpuE3ELNS1_3repE0EEENS1_47radix_sort_onesweep_sort_config_static_selectorELNS0_4arch9wavefront6targetE1EEEvSI_
	.p2align	8
	.type	_ZN7rocprim17ROCPRIM_400000_NS6detail17trampoline_kernelINS0_14default_configENS1_35radix_sort_onesweep_config_selectorIssEEZZNS1_29radix_sort_onesweep_iterationIS3_Lb0EN6thrust23THRUST_200600_302600_NS6detail15normal_iteratorINS8_10device_ptrIsEEEESD_SD_SD_jNS0_19identity_decomposerENS1_16block_id_wrapperIjLb0EEEEE10hipError_tT1_PNSt15iterator_traitsISI_E10value_typeET2_T3_PNSJ_ISO_E10value_typeET4_T5_PST_SU_PNS1_23onesweep_lookback_stateEbbT6_jjT7_P12ihipStream_tbENKUlT_T0_SI_SN_E_clIPsSD_S15_SD_EEDaS11_S12_SI_SN_EUlS11_E_NS1_11comp_targetILNS1_3genE9ELNS1_11target_archE1100ELNS1_3gpuE3ELNS1_3repE0EEENS1_47radix_sort_onesweep_sort_config_static_selectorELNS0_4arch9wavefront6targetE1EEEvSI_,@function
_ZN7rocprim17ROCPRIM_400000_NS6detail17trampoline_kernelINS0_14default_configENS1_35radix_sort_onesweep_config_selectorIssEEZZNS1_29radix_sort_onesweep_iterationIS3_Lb0EN6thrust23THRUST_200600_302600_NS6detail15normal_iteratorINS8_10device_ptrIsEEEESD_SD_SD_jNS0_19identity_decomposerENS1_16block_id_wrapperIjLb0EEEEE10hipError_tT1_PNSt15iterator_traitsISI_E10value_typeET2_T3_PNSJ_ISO_E10value_typeET4_T5_PST_SU_PNS1_23onesweep_lookback_stateEbbT6_jjT7_P12ihipStream_tbENKUlT_T0_SI_SN_E_clIPsSD_S15_SD_EEDaS11_S12_SI_SN_EUlS11_E_NS1_11comp_targetILNS1_3genE9ELNS1_11target_archE1100ELNS1_3gpuE3ELNS1_3repE0EEENS1_47radix_sort_onesweep_sort_config_static_selectorELNS0_4arch9wavefront6targetE1EEEvSI_: ; @_ZN7rocprim17ROCPRIM_400000_NS6detail17trampoline_kernelINS0_14default_configENS1_35radix_sort_onesweep_config_selectorIssEEZZNS1_29radix_sort_onesweep_iterationIS3_Lb0EN6thrust23THRUST_200600_302600_NS6detail15normal_iteratorINS8_10device_ptrIsEEEESD_SD_SD_jNS0_19identity_decomposerENS1_16block_id_wrapperIjLb0EEEEE10hipError_tT1_PNSt15iterator_traitsISI_E10value_typeET2_T3_PNSJ_ISO_E10value_typeET4_T5_PST_SU_PNS1_23onesweep_lookback_stateEbbT6_jjT7_P12ihipStream_tbENKUlT_T0_SI_SN_E_clIPsSD_S15_SD_EEDaS11_S12_SI_SN_EUlS11_E_NS1_11comp_targetILNS1_3genE9ELNS1_11target_archE1100ELNS1_3gpuE3ELNS1_3repE0EEENS1_47radix_sort_onesweep_sort_config_static_selectorELNS0_4arch9wavefront6targetE1EEEvSI_
; %bb.0:
	.section	.rodata,"a",@progbits
	.p2align	6, 0x0
	.amdhsa_kernel _ZN7rocprim17ROCPRIM_400000_NS6detail17trampoline_kernelINS0_14default_configENS1_35radix_sort_onesweep_config_selectorIssEEZZNS1_29radix_sort_onesweep_iterationIS3_Lb0EN6thrust23THRUST_200600_302600_NS6detail15normal_iteratorINS8_10device_ptrIsEEEESD_SD_SD_jNS0_19identity_decomposerENS1_16block_id_wrapperIjLb0EEEEE10hipError_tT1_PNSt15iterator_traitsISI_E10value_typeET2_T3_PNSJ_ISO_E10value_typeET4_T5_PST_SU_PNS1_23onesweep_lookback_stateEbbT6_jjT7_P12ihipStream_tbENKUlT_T0_SI_SN_E_clIPsSD_S15_SD_EEDaS11_S12_SI_SN_EUlS11_E_NS1_11comp_targetILNS1_3genE9ELNS1_11target_archE1100ELNS1_3gpuE3ELNS1_3repE0EEENS1_47radix_sort_onesweep_sort_config_static_selectorELNS0_4arch9wavefront6targetE1EEEvSI_
		.amdhsa_group_segment_fixed_size 0
		.amdhsa_private_segment_fixed_size 0
		.amdhsa_kernarg_size 88
		.amdhsa_user_sgpr_count 2
		.amdhsa_user_sgpr_dispatch_ptr 0
		.amdhsa_user_sgpr_queue_ptr 0
		.amdhsa_user_sgpr_kernarg_segment_ptr 1
		.amdhsa_user_sgpr_dispatch_id 0
		.amdhsa_user_sgpr_kernarg_preload_length 0
		.amdhsa_user_sgpr_kernarg_preload_offset 0
		.amdhsa_user_sgpr_private_segment_size 0
		.amdhsa_uses_dynamic_stack 0
		.amdhsa_enable_private_segment 0
		.amdhsa_system_sgpr_workgroup_id_x 1
		.amdhsa_system_sgpr_workgroup_id_y 0
		.amdhsa_system_sgpr_workgroup_id_z 0
		.amdhsa_system_sgpr_workgroup_info 0
		.amdhsa_system_vgpr_workitem_id 0
		.amdhsa_next_free_vgpr 1
		.amdhsa_next_free_sgpr 0
		.amdhsa_accum_offset 4
		.amdhsa_reserve_vcc 0
		.amdhsa_float_round_mode_32 0
		.amdhsa_float_round_mode_16_64 0
		.amdhsa_float_denorm_mode_32 3
		.amdhsa_float_denorm_mode_16_64 3
		.amdhsa_dx10_clamp 1
		.amdhsa_ieee_mode 1
		.amdhsa_fp16_overflow 0
		.amdhsa_tg_split 0
		.amdhsa_exception_fp_ieee_invalid_op 0
		.amdhsa_exception_fp_denorm_src 0
		.amdhsa_exception_fp_ieee_div_zero 0
		.amdhsa_exception_fp_ieee_overflow 0
		.amdhsa_exception_fp_ieee_underflow 0
		.amdhsa_exception_fp_ieee_inexact 0
		.amdhsa_exception_int_div_zero 0
	.end_amdhsa_kernel
	.section	.text._ZN7rocprim17ROCPRIM_400000_NS6detail17trampoline_kernelINS0_14default_configENS1_35radix_sort_onesweep_config_selectorIssEEZZNS1_29radix_sort_onesweep_iterationIS3_Lb0EN6thrust23THRUST_200600_302600_NS6detail15normal_iteratorINS8_10device_ptrIsEEEESD_SD_SD_jNS0_19identity_decomposerENS1_16block_id_wrapperIjLb0EEEEE10hipError_tT1_PNSt15iterator_traitsISI_E10value_typeET2_T3_PNSJ_ISO_E10value_typeET4_T5_PST_SU_PNS1_23onesweep_lookback_stateEbbT6_jjT7_P12ihipStream_tbENKUlT_T0_SI_SN_E_clIPsSD_S15_SD_EEDaS11_S12_SI_SN_EUlS11_E_NS1_11comp_targetILNS1_3genE9ELNS1_11target_archE1100ELNS1_3gpuE3ELNS1_3repE0EEENS1_47radix_sort_onesweep_sort_config_static_selectorELNS0_4arch9wavefront6targetE1EEEvSI_,"axG",@progbits,_ZN7rocprim17ROCPRIM_400000_NS6detail17trampoline_kernelINS0_14default_configENS1_35radix_sort_onesweep_config_selectorIssEEZZNS1_29radix_sort_onesweep_iterationIS3_Lb0EN6thrust23THRUST_200600_302600_NS6detail15normal_iteratorINS8_10device_ptrIsEEEESD_SD_SD_jNS0_19identity_decomposerENS1_16block_id_wrapperIjLb0EEEEE10hipError_tT1_PNSt15iterator_traitsISI_E10value_typeET2_T3_PNSJ_ISO_E10value_typeET4_T5_PST_SU_PNS1_23onesweep_lookback_stateEbbT6_jjT7_P12ihipStream_tbENKUlT_T0_SI_SN_E_clIPsSD_S15_SD_EEDaS11_S12_SI_SN_EUlS11_E_NS1_11comp_targetILNS1_3genE9ELNS1_11target_archE1100ELNS1_3gpuE3ELNS1_3repE0EEENS1_47radix_sort_onesweep_sort_config_static_selectorELNS0_4arch9wavefront6targetE1EEEvSI_,comdat
.Lfunc_end1694:
	.size	_ZN7rocprim17ROCPRIM_400000_NS6detail17trampoline_kernelINS0_14default_configENS1_35radix_sort_onesweep_config_selectorIssEEZZNS1_29radix_sort_onesweep_iterationIS3_Lb0EN6thrust23THRUST_200600_302600_NS6detail15normal_iteratorINS8_10device_ptrIsEEEESD_SD_SD_jNS0_19identity_decomposerENS1_16block_id_wrapperIjLb0EEEEE10hipError_tT1_PNSt15iterator_traitsISI_E10value_typeET2_T3_PNSJ_ISO_E10value_typeET4_T5_PST_SU_PNS1_23onesweep_lookback_stateEbbT6_jjT7_P12ihipStream_tbENKUlT_T0_SI_SN_E_clIPsSD_S15_SD_EEDaS11_S12_SI_SN_EUlS11_E_NS1_11comp_targetILNS1_3genE9ELNS1_11target_archE1100ELNS1_3gpuE3ELNS1_3repE0EEENS1_47radix_sort_onesweep_sort_config_static_selectorELNS0_4arch9wavefront6targetE1EEEvSI_, .Lfunc_end1694-_ZN7rocprim17ROCPRIM_400000_NS6detail17trampoline_kernelINS0_14default_configENS1_35radix_sort_onesweep_config_selectorIssEEZZNS1_29radix_sort_onesweep_iterationIS3_Lb0EN6thrust23THRUST_200600_302600_NS6detail15normal_iteratorINS8_10device_ptrIsEEEESD_SD_SD_jNS0_19identity_decomposerENS1_16block_id_wrapperIjLb0EEEEE10hipError_tT1_PNSt15iterator_traitsISI_E10value_typeET2_T3_PNSJ_ISO_E10value_typeET4_T5_PST_SU_PNS1_23onesweep_lookback_stateEbbT6_jjT7_P12ihipStream_tbENKUlT_T0_SI_SN_E_clIPsSD_S15_SD_EEDaS11_S12_SI_SN_EUlS11_E_NS1_11comp_targetILNS1_3genE9ELNS1_11target_archE1100ELNS1_3gpuE3ELNS1_3repE0EEENS1_47radix_sort_onesweep_sort_config_static_selectorELNS0_4arch9wavefront6targetE1EEEvSI_
                                        ; -- End function
	.set _ZN7rocprim17ROCPRIM_400000_NS6detail17trampoline_kernelINS0_14default_configENS1_35radix_sort_onesweep_config_selectorIssEEZZNS1_29radix_sort_onesweep_iterationIS3_Lb0EN6thrust23THRUST_200600_302600_NS6detail15normal_iteratorINS8_10device_ptrIsEEEESD_SD_SD_jNS0_19identity_decomposerENS1_16block_id_wrapperIjLb0EEEEE10hipError_tT1_PNSt15iterator_traitsISI_E10value_typeET2_T3_PNSJ_ISO_E10value_typeET4_T5_PST_SU_PNS1_23onesweep_lookback_stateEbbT6_jjT7_P12ihipStream_tbENKUlT_T0_SI_SN_E_clIPsSD_S15_SD_EEDaS11_S12_SI_SN_EUlS11_E_NS1_11comp_targetILNS1_3genE9ELNS1_11target_archE1100ELNS1_3gpuE3ELNS1_3repE0EEENS1_47radix_sort_onesweep_sort_config_static_selectorELNS0_4arch9wavefront6targetE1EEEvSI_.num_vgpr, 0
	.set _ZN7rocprim17ROCPRIM_400000_NS6detail17trampoline_kernelINS0_14default_configENS1_35radix_sort_onesweep_config_selectorIssEEZZNS1_29radix_sort_onesweep_iterationIS3_Lb0EN6thrust23THRUST_200600_302600_NS6detail15normal_iteratorINS8_10device_ptrIsEEEESD_SD_SD_jNS0_19identity_decomposerENS1_16block_id_wrapperIjLb0EEEEE10hipError_tT1_PNSt15iterator_traitsISI_E10value_typeET2_T3_PNSJ_ISO_E10value_typeET4_T5_PST_SU_PNS1_23onesweep_lookback_stateEbbT6_jjT7_P12ihipStream_tbENKUlT_T0_SI_SN_E_clIPsSD_S15_SD_EEDaS11_S12_SI_SN_EUlS11_E_NS1_11comp_targetILNS1_3genE9ELNS1_11target_archE1100ELNS1_3gpuE3ELNS1_3repE0EEENS1_47radix_sort_onesweep_sort_config_static_selectorELNS0_4arch9wavefront6targetE1EEEvSI_.num_agpr, 0
	.set _ZN7rocprim17ROCPRIM_400000_NS6detail17trampoline_kernelINS0_14default_configENS1_35radix_sort_onesweep_config_selectorIssEEZZNS1_29radix_sort_onesweep_iterationIS3_Lb0EN6thrust23THRUST_200600_302600_NS6detail15normal_iteratorINS8_10device_ptrIsEEEESD_SD_SD_jNS0_19identity_decomposerENS1_16block_id_wrapperIjLb0EEEEE10hipError_tT1_PNSt15iterator_traitsISI_E10value_typeET2_T3_PNSJ_ISO_E10value_typeET4_T5_PST_SU_PNS1_23onesweep_lookback_stateEbbT6_jjT7_P12ihipStream_tbENKUlT_T0_SI_SN_E_clIPsSD_S15_SD_EEDaS11_S12_SI_SN_EUlS11_E_NS1_11comp_targetILNS1_3genE9ELNS1_11target_archE1100ELNS1_3gpuE3ELNS1_3repE0EEENS1_47radix_sort_onesweep_sort_config_static_selectorELNS0_4arch9wavefront6targetE1EEEvSI_.numbered_sgpr, 0
	.set _ZN7rocprim17ROCPRIM_400000_NS6detail17trampoline_kernelINS0_14default_configENS1_35radix_sort_onesweep_config_selectorIssEEZZNS1_29radix_sort_onesweep_iterationIS3_Lb0EN6thrust23THRUST_200600_302600_NS6detail15normal_iteratorINS8_10device_ptrIsEEEESD_SD_SD_jNS0_19identity_decomposerENS1_16block_id_wrapperIjLb0EEEEE10hipError_tT1_PNSt15iterator_traitsISI_E10value_typeET2_T3_PNSJ_ISO_E10value_typeET4_T5_PST_SU_PNS1_23onesweep_lookback_stateEbbT6_jjT7_P12ihipStream_tbENKUlT_T0_SI_SN_E_clIPsSD_S15_SD_EEDaS11_S12_SI_SN_EUlS11_E_NS1_11comp_targetILNS1_3genE9ELNS1_11target_archE1100ELNS1_3gpuE3ELNS1_3repE0EEENS1_47radix_sort_onesweep_sort_config_static_selectorELNS0_4arch9wavefront6targetE1EEEvSI_.num_named_barrier, 0
	.set _ZN7rocprim17ROCPRIM_400000_NS6detail17trampoline_kernelINS0_14default_configENS1_35radix_sort_onesweep_config_selectorIssEEZZNS1_29radix_sort_onesweep_iterationIS3_Lb0EN6thrust23THRUST_200600_302600_NS6detail15normal_iteratorINS8_10device_ptrIsEEEESD_SD_SD_jNS0_19identity_decomposerENS1_16block_id_wrapperIjLb0EEEEE10hipError_tT1_PNSt15iterator_traitsISI_E10value_typeET2_T3_PNSJ_ISO_E10value_typeET4_T5_PST_SU_PNS1_23onesweep_lookback_stateEbbT6_jjT7_P12ihipStream_tbENKUlT_T0_SI_SN_E_clIPsSD_S15_SD_EEDaS11_S12_SI_SN_EUlS11_E_NS1_11comp_targetILNS1_3genE9ELNS1_11target_archE1100ELNS1_3gpuE3ELNS1_3repE0EEENS1_47radix_sort_onesweep_sort_config_static_selectorELNS0_4arch9wavefront6targetE1EEEvSI_.private_seg_size, 0
	.set _ZN7rocprim17ROCPRIM_400000_NS6detail17trampoline_kernelINS0_14default_configENS1_35radix_sort_onesweep_config_selectorIssEEZZNS1_29radix_sort_onesweep_iterationIS3_Lb0EN6thrust23THRUST_200600_302600_NS6detail15normal_iteratorINS8_10device_ptrIsEEEESD_SD_SD_jNS0_19identity_decomposerENS1_16block_id_wrapperIjLb0EEEEE10hipError_tT1_PNSt15iterator_traitsISI_E10value_typeET2_T3_PNSJ_ISO_E10value_typeET4_T5_PST_SU_PNS1_23onesweep_lookback_stateEbbT6_jjT7_P12ihipStream_tbENKUlT_T0_SI_SN_E_clIPsSD_S15_SD_EEDaS11_S12_SI_SN_EUlS11_E_NS1_11comp_targetILNS1_3genE9ELNS1_11target_archE1100ELNS1_3gpuE3ELNS1_3repE0EEENS1_47radix_sort_onesweep_sort_config_static_selectorELNS0_4arch9wavefront6targetE1EEEvSI_.uses_vcc, 0
	.set _ZN7rocprim17ROCPRIM_400000_NS6detail17trampoline_kernelINS0_14default_configENS1_35radix_sort_onesweep_config_selectorIssEEZZNS1_29radix_sort_onesweep_iterationIS3_Lb0EN6thrust23THRUST_200600_302600_NS6detail15normal_iteratorINS8_10device_ptrIsEEEESD_SD_SD_jNS0_19identity_decomposerENS1_16block_id_wrapperIjLb0EEEEE10hipError_tT1_PNSt15iterator_traitsISI_E10value_typeET2_T3_PNSJ_ISO_E10value_typeET4_T5_PST_SU_PNS1_23onesweep_lookback_stateEbbT6_jjT7_P12ihipStream_tbENKUlT_T0_SI_SN_E_clIPsSD_S15_SD_EEDaS11_S12_SI_SN_EUlS11_E_NS1_11comp_targetILNS1_3genE9ELNS1_11target_archE1100ELNS1_3gpuE3ELNS1_3repE0EEENS1_47radix_sort_onesweep_sort_config_static_selectorELNS0_4arch9wavefront6targetE1EEEvSI_.uses_flat_scratch, 0
	.set _ZN7rocprim17ROCPRIM_400000_NS6detail17trampoline_kernelINS0_14default_configENS1_35radix_sort_onesweep_config_selectorIssEEZZNS1_29radix_sort_onesweep_iterationIS3_Lb0EN6thrust23THRUST_200600_302600_NS6detail15normal_iteratorINS8_10device_ptrIsEEEESD_SD_SD_jNS0_19identity_decomposerENS1_16block_id_wrapperIjLb0EEEEE10hipError_tT1_PNSt15iterator_traitsISI_E10value_typeET2_T3_PNSJ_ISO_E10value_typeET4_T5_PST_SU_PNS1_23onesweep_lookback_stateEbbT6_jjT7_P12ihipStream_tbENKUlT_T0_SI_SN_E_clIPsSD_S15_SD_EEDaS11_S12_SI_SN_EUlS11_E_NS1_11comp_targetILNS1_3genE9ELNS1_11target_archE1100ELNS1_3gpuE3ELNS1_3repE0EEENS1_47radix_sort_onesweep_sort_config_static_selectorELNS0_4arch9wavefront6targetE1EEEvSI_.has_dyn_sized_stack, 0
	.set _ZN7rocprim17ROCPRIM_400000_NS6detail17trampoline_kernelINS0_14default_configENS1_35radix_sort_onesweep_config_selectorIssEEZZNS1_29radix_sort_onesweep_iterationIS3_Lb0EN6thrust23THRUST_200600_302600_NS6detail15normal_iteratorINS8_10device_ptrIsEEEESD_SD_SD_jNS0_19identity_decomposerENS1_16block_id_wrapperIjLb0EEEEE10hipError_tT1_PNSt15iterator_traitsISI_E10value_typeET2_T3_PNSJ_ISO_E10value_typeET4_T5_PST_SU_PNS1_23onesweep_lookback_stateEbbT6_jjT7_P12ihipStream_tbENKUlT_T0_SI_SN_E_clIPsSD_S15_SD_EEDaS11_S12_SI_SN_EUlS11_E_NS1_11comp_targetILNS1_3genE9ELNS1_11target_archE1100ELNS1_3gpuE3ELNS1_3repE0EEENS1_47radix_sort_onesweep_sort_config_static_selectorELNS0_4arch9wavefront6targetE1EEEvSI_.has_recursion, 0
	.set _ZN7rocprim17ROCPRIM_400000_NS6detail17trampoline_kernelINS0_14default_configENS1_35radix_sort_onesweep_config_selectorIssEEZZNS1_29radix_sort_onesweep_iterationIS3_Lb0EN6thrust23THRUST_200600_302600_NS6detail15normal_iteratorINS8_10device_ptrIsEEEESD_SD_SD_jNS0_19identity_decomposerENS1_16block_id_wrapperIjLb0EEEEE10hipError_tT1_PNSt15iterator_traitsISI_E10value_typeET2_T3_PNSJ_ISO_E10value_typeET4_T5_PST_SU_PNS1_23onesweep_lookback_stateEbbT6_jjT7_P12ihipStream_tbENKUlT_T0_SI_SN_E_clIPsSD_S15_SD_EEDaS11_S12_SI_SN_EUlS11_E_NS1_11comp_targetILNS1_3genE9ELNS1_11target_archE1100ELNS1_3gpuE3ELNS1_3repE0EEENS1_47radix_sort_onesweep_sort_config_static_selectorELNS0_4arch9wavefront6targetE1EEEvSI_.has_indirect_call, 0
	.section	.AMDGPU.csdata,"",@progbits
; Kernel info:
; codeLenInByte = 0
; TotalNumSgprs: 6
; NumVgprs: 0
; NumAgprs: 0
; TotalNumVgprs: 0
; ScratchSize: 0
; MemoryBound: 0
; FloatMode: 240
; IeeeMode: 1
; LDSByteSize: 0 bytes/workgroup (compile time only)
; SGPRBlocks: 0
; VGPRBlocks: 0
; NumSGPRsForWavesPerEU: 6
; NumVGPRsForWavesPerEU: 1
; AccumOffset: 4
; Occupancy: 8
; WaveLimiterHint : 0
; COMPUTE_PGM_RSRC2:SCRATCH_EN: 0
; COMPUTE_PGM_RSRC2:USER_SGPR: 2
; COMPUTE_PGM_RSRC2:TRAP_HANDLER: 0
; COMPUTE_PGM_RSRC2:TGID_X_EN: 1
; COMPUTE_PGM_RSRC2:TGID_Y_EN: 0
; COMPUTE_PGM_RSRC2:TGID_Z_EN: 0
; COMPUTE_PGM_RSRC2:TIDIG_COMP_CNT: 0
; COMPUTE_PGM_RSRC3_GFX90A:ACCUM_OFFSET: 0
; COMPUTE_PGM_RSRC3_GFX90A:TG_SPLIT: 0
	.section	.text._ZN7rocprim17ROCPRIM_400000_NS6detail17trampoline_kernelINS0_14default_configENS1_35radix_sort_onesweep_config_selectorIssEEZZNS1_29radix_sort_onesweep_iterationIS3_Lb0EN6thrust23THRUST_200600_302600_NS6detail15normal_iteratorINS8_10device_ptrIsEEEESD_SD_SD_jNS0_19identity_decomposerENS1_16block_id_wrapperIjLb0EEEEE10hipError_tT1_PNSt15iterator_traitsISI_E10value_typeET2_T3_PNSJ_ISO_E10value_typeET4_T5_PST_SU_PNS1_23onesweep_lookback_stateEbbT6_jjT7_P12ihipStream_tbENKUlT_T0_SI_SN_E_clIPsSD_S15_SD_EEDaS11_S12_SI_SN_EUlS11_E_NS1_11comp_targetILNS1_3genE8ELNS1_11target_archE1030ELNS1_3gpuE2ELNS1_3repE0EEENS1_47radix_sort_onesweep_sort_config_static_selectorELNS0_4arch9wavefront6targetE1EEEvSI_,"axG",@progbits,_ZN7rocprim17ROCPRIM_400000_NS6detail17trampoline_kernelINS0_14default_configENS1_35radix_sort_onesweep_config_selectorIssEEZZNS1_29radix_sort_onesweep_iterationIS3_Lb0EN6thrust23THRUST_200600_302600_NS6detail15normal_iteratorINS8_10device_ptrIsEEEESD_SD_SD_jNS0_19identity_decomposerENS1_16block_id_wrapperIjLb0EEEEE10hipError_tT1_PNSt15iterator_traitsISI_E10value_typeET2_T3_PNSJ_ISO_E10value_typeET4_T5_PST_SU_PNS1_23onesweep_lookback_stateEbbT6_jjT7_P12ihipStream_tbENKUlT_T0_SI_SN_E_clIPsSD_S15_SD_EEDaS11_S12_SI_SN_EUlS11_E_NS1_11comp_targetILNS1_3genE8ELNS1_11target_archE1030ELNS1_3gpuE2ELNS1_3repE0EEENS1_47radix_sort_onesweep_sort_config_static_selectorELNS0_4arch9wavefront6targetE1EEEvSI_,comdat
	.protected	_ZN7rocprim17ROCPRIM_400000_NS6detail17trampoline_kernelINS0_14default_configENS1_35radix_sort_onesweep_config_selectorIssEEZZNS1_29radix_sort_onesweep_iterationIS3_Lb0EN6thrust23THRUST_200600_302600_NS6detail15normal_iteratorINS8_10device_ptrIsEEEESD_SD_SD_jNS0_19identity_decomposerENS1_16block_id_wrapperIjLb0EEEEE10hipError_tT1_PNSt15iterator_traitsISI_E10value_typeET2_T3_PNSJ_ISO_E10value_typeET4_T5_PST_SU_PNS1_23onesweep_lookback_stateEbbT6_jjT7_P12ihipStream_tbENKUlT_T0_SI_SN_E_clIPsSD_S15_SD_EEDaS11_S12_SI_SN_EUlS11_E_NS1_11comp_targetILNS1_3genE8ELNS1_11target_archE1030ELNS1_3gpuE2ELNS1_3repE0EEENS1_47radix_sort_onesweep_sort_config_static_selectorELNS0_4arch9wavefront6targetE1EEEvSI_ ; -- Begin function _ZN7rocprim17ROCPRIM_400000_NS6detail17trampoline_kernelINS0_14default_configENS1_35radix_sort_onesweep_config_selectorIssEEZZNS1_29radix_sort_onesweep_iterationIS3_Lb0EN6thrust23THRUST_200600_302600_NS6detail15normal_iteratorINS8_10device_ptrIsEEEESD_SD_SD_jNS0_19identity_decomposerENS1_16block_id_wrapperIjLb0EEEEE10hipError_tT1_PNSt15iterator_traitsISI_E10value_typeET2_T3_PNSJ_ISO_E10value_typeET4_T5_PST_SU_PNS1_23onesweep_lookback_stateEbbT6_jjT7_P12ihipStream_tbENKUlT_T0_SI_SN_E_clIPsSD_S15_SD_EEDaS11_S12_SI_SN_EUlS11_E_NS1_11comp_targetILNS1_3genE8ELNS1_11target_archE1030ELNS1_3gpuE2ELNS1_3repE0EEENS1_47radix_sort_onesweep_sort_config_static_selectorELNS0_4arch9wavefront6targetE1EEEvSI_
	.globl	_ZN7rocprim17ROCPRIM_400000_NS6detail17trampoline_kernelINS0_14default_configENS1_35radix_sort_onesweep_config_selectorIssEEZZNS1_29radix_sort_onesweep_iterationIS3_Lb0EN6thrust23THRUST_200600_302600_NS6detail15normal_iteratorINS8_10device_ptrIsEEEESD_SD_SD_jNS0_19identity_decomposerENS1_16block_id_wrapperIjLb0EEEEE10hipError_tT1_PNSt15iterator_traitsISI_E10value_typeET2_T3_PNSJ_ISO_E10value_typeET4_T5_PST_SU_PNS1_23onesweep_lookback_stateEbbT6_jjT7_P12ihipStream_tbENKUlT_T0_SI_SN_E_clIPsSD_S15_SD_EEDaS11_S12_SI_SN_EUlS11_E_NS1_11comp_targetILNS1_3genE8ELNS1_11target_archE1030ELNS1_3gpuE2ELNS1_3repE0EEENS1_47radix_sort_onesweep_sort_config_static_selectorELNS0_4arch9wavefront6targetE1EEEvSI_
	.p2align	8
	.type	_ZN7rocprim17ROCPRIM_400000_NS6detail17trampoline_kernelINS0_14default_configENS1_35radix_sort_onesweep_config_selectorIssEEZZNS1_29radix_sort_onesweep_iterationIS3_Lb0EN6thrust23THRUST_200600_302600_NS6detail15normal_iteratorINS8_10device_ptrIsEEEESD_SD_SD_jNS0_19identity_decomposerENS1_16block_id_wrapperIjLb0EEEEE10hipError_tT1_PNSt15iterator_traitsISI_E10value_typeET2_T3_PNSJ_ISO_E10value_typeET4_T5_PST_SU_PNS1_23onesweep_lookback_stateEbbT6_jjT7_P12ihipStream_tbENKUlT_T0_SI_SN_E_clIPsSD_S15_SD_EEDaS11_S12_SI_SN_EUlS11_E_NS1_11comp_targetILNS1_3genE8ELNS1_11target_archE1030ELNS1_3gpuE2ELNS1_3repE0EEENS1_47radix_sort_onesweep_sort_config_static_selectorELNS0_4arch9wavefront6targetE1EEEvSI_,@function
_ZN7rocprim17ROCPRIM_400000_NS6detail17trampoline_kernelINS0_14default_configENS1_35radix_sort_onesweep_config_selectorIssEEZZNS1_29radix_sort_onesweep_iterationIS3_Lb0EN6thrust23THRUST_200600_302600_NS6detail15normal_iteratorINS8_10device_ptrIsEEEESD_SD_SD_jNS0_19identity_decomposerENS1_16block_id_wrapperIjLb0EEEEE10hipError_tT1_PNSt15iterator_traitsISI_E10value_typeET2_T3_PNSJ_ISO_E10value_typeET4_T5_PST_SU_PNS1_23onesweep_lookback_stateEbbT6_jjT7_P12ihipStream_tbENKUlT_T0_SI_SN_E_clIPsSD_S15_SD_EEDaS11_S12_SI_SN_EUlS11_E_NS1_11comp_targetILNS1_3genE8ELNS1_11target_archE1030ELNS1_3gpuE2ELNS1_3repE0EEENS1_47radix_sort_onesweep_sort_config_static_selectorELNS0_4arch9wavefront6targetE1EEEvSI_: ; @_ZN7rocprim17ROCPRIM_400000_NS6detail17trampoline_kernelINS0_14default_configENS1_35radix_sort_onesweep_config_selectorIssEEZZNS1_29radix_sort_onesweep_iterationIS3_Lb0EN6thrust23THRUST_200600_302600_NS6detail15normal_iteratorINS8_10device_ptrIsEEEESD_SD_SD_jNS0_19identity_decomposerENS1_16block_id_wrapperIjLb0EEEEE10hipError_tT1_PNSt15iterator_traitsISI_E10value_typeET2_T3_PNSJ_ISO_E10value_typeET4_T5_PST_SU_PNS1_23onesweep_lookback_stateEbbT6_jjT7_P12ihipStream_tbENKUlT_T0_SI_SN_E_clIPsSD_S15_SD_EEDaS11_S12_SI_SN_EUlS11_E_NS1_11comp_targetILNS1_3genE8ELNS1_11target_archE1030ELNS1_3gpuE2ELNS1_3repE0EEENS1_47radix_sort_onesweep_sort_config_static_selectorELNS0_4arch9wavefront6targetE1EEEvSI_
; %bb.0:
	.section	.rodata,"a",@progbits
	.p2align	6, 0x0
	.amdhsa_kernel _ZN7rocprim17ROCPRIM_400000_NS6detail17trampoline_kernelINS0_14default_configENS1_35radix_sort_onesweep_config_selectorIssEEZZNS1_29radix_sort_onesweep_iterationIS3_Lb0EN6thrust23THRUST_200600_302600_NS6detail15normal_iteratorINS8_10device_ptrIsEEEESD_SD_SD_jNS0_19identity_decomposerENS1_16block_id_wrapperIjLb0EEEEE10hipError_tT1_PNSt15iterator_traitsISI_E10value_typeET2_T3_PNSJ_ISO_E10value_typeET4_T5_PST_SU_PNS1_23onesweep_lookback_stateEbbT6_jjT7_P12ihipStream_tbENKUlT_T0_SI_SN_E_clIPsSD_S15_SD_EEDaS11_S12_SI_SN_EUlS11_E_NS1_11comp_targetILNS1_3genE8ELNS1_11target_archE1030ELNS1_3gpuE2ELNS1_3repE0EEENS1_47radix_sort_onesweep_sort_config_static_selectorELNS0_4arch9wavefront6targetE1EEEvSI_
		.amdhsa_group_segment_fixed_size 0
		.amdhsa_private_segment_fixed_size 0
		.amdhsa_kernarg_size 88
		.amdhsa_user_sgpr_count 2
		.amdhsa_user_sgpr_dispatch_ptr 0
		.amdhsa_user_sgpr_queue_ptr 0
		.amdhsa_user_sgpr_kernarg_segment_ptr 1
		.amdhsa_user_sgpr_dispatch_id 0
		.amdhsa_user_sgpr_kernarg_preload_length 0
		.amdhsa_user_sgpr_kernarg_preload_offset 0
		.amdhsa_user_sgpr_private_segment_size 0
		.amdhsa_uses_dynamic_stack 0
		.amdhsa_enable_private_segment 0
		.amdhsa_system_sgpr_workgroup_id_x 1
		.amdhsa_system_sgpr_workgroup_id_y 0
		.amdhsa_system_sgpr_workgroup_id_z 0
		.amdhsa_system_sgpr_workgroup_info 0
		.amdhsa_system_vgpr_workitem_id 0
		.amdhsa_next_free_vgpr 1
		.amdhsa_next_free_sgpr 0
		.amdhsa_accum_offset 4
		.amdhsa_reserve_vcc 0
		.amdhsa_float_round_mode_32 0
		.amdhsa_float_round_mode_16_64 0
		.amdhsa_float_denorm_mode_32 3
		.amdhsa_float_denorm_mode_16_64 3
		.amdhsa_dx10_clamp 1
		.amdhsa_ieee_mode 1
		.amdhsa_fp16_overflow 0
		.amdhsa_tg_split 0
		.amdhsa_exception_fp_ieee_invalid_op 0
		.amdhsa_exception_fp_denorm_src 0
		.amdhsa_exception_fp_ieee_div_zero 0
		.amdhsa_exception_fp_ieee_overflow 0
		.amdhsa_exception_fp_ieee_underflow 0
		.amdhsa_exception_fp_ieee_inexact 0
		.amdhsa_exception_int_div_zero 0
	.end_amdhsa_kernel
	.section	.text._ZN7rocprim17ROCPRIM_400000_NS6detail17trampoline_kernelINS0_14default_configENS1_35radix_sort_onesweep_config_selectorIssEEZZNS1_29radix_sort_onesweep_iterationIS3_Lb0EN6thrust23THRUST_200600_302600_NS6detail15normal_iteratorINS8_10device_ptrIsEEEESD_SD_SD_jNS0_19identity_decomposerENS1_16block_id_wrapperIjLb0EEEEE10hipError_tT1_PNSt15iterator_traitsISI_E10value_typeET2_T3_PNSJ_ISO_E10value_typeET4_T5_PST_SU_PNS1_23onesweep_lookback_stateEbbT6_jjT7_P12ihipStream_tbENKUlT_T0_SI_SN_E_clIPsSD_S15_SD_EEDaS11_S12_SI_SN_EUlS11_E_NS1_11comp_targetILNS1_3genE8ELNS1_11target_archE1030ELNS1_3gpuE2ELNS1_3repE0EEENS1_47radix_sort_onesweep_sort_config_static_selectorELNS0_4arch9wavefront6targetE1EEEvSI_,"axG",@progbits,_ZN7rocprim17ROCPRIM_400000_NS6detail17trampoline_kernelINS0_14default_configENS1_35radix_sort_onesweep_config_selectorIssEEZZNS1_29radix_sort_onesweep_iterationIS3_Lb0EN6thrust23THRUST_200600_302600_NS6detail15normal_iteratorINS8_10device_ptrIsEEEESD_SD_SD_jNS0_19identity_decomposerENS1_16block_id_wrapperIjLb0EEEEE10hipError_tT1_PNSt15iterator_traitsISI_E10value_typeET2_T3_PNSJ_ISO_E10value_typeET4_T5_PST_SU_PNS1_23onesweep_lookback_stateEbbT6_jjT7_P12ihipStream_tbENKUlT_T0_SI_SN_E_clIPsSD_S15_SD_EEDaS11_S12_SI_SN_EUlS11_E_NS1_11comp_targetILNS1_3genE8ELNS1_11target_archE1030ELNS1_3gpuE2ELNS1_3repE0EEENS1_47radix_sort_onesweep_sort_config_static_selectorELNS0_4arch9wavefront6targetE1EEEvSI_,comdat
.Lfunc_end1695:
	.size	_ZN7rocprim17ROCPRIM_400000_NS6detail17trampoline_kernelINS0_14default_configENS1_35radix_sort_onesweep_config_selectorIssEEZZNS1_29radix_sort_onesweep_iterationIS3_Lb0EN6thrust23THRUST_200600_302600_NS6detail15normal_iteratorINS8_10device_ptrIsEEEESD_SD_SD_jNS0_19identity_decomposerENS1_16block_id_wrapperIjLb0EEEEE10hipError_tT1_PNSt15iterator_traitsISI_E10value_typeET2_T3_PNSJ_ISO_E10value_typeET4_T5_PST_SU_PNS1_23onesweep_lookback_stateEbbT6_jjT7_P12ihipStream_tbENKUlT_T0_SI_SN_E_clIPsSD_S15_SD_EEDaS11_S12_SI_SN_EUlS11_E_NS1_11comp_targetILNS1_3genE8ELNS1_11target_archE1030ELNS1_3gpuE2ELNS1_3repE0EEENS1_47radix_sort_onesweep_sort_config_static_selectorELNS0_4arch9wavefront6targetE1EEEvSI_, .Lfunc_end1695-_ZN7rocprim17ROCPRIM_400000_NS6detail17trampoline_kernelINS0_14default_configENS1_35radix_sort_onesweep_config_selectorIssEEZZNS1_29radix_sort_onesweep_iterationIS3_Lb0EN6thrust23THRUST_200600_302600_NS6detail15normal_iteratorINS8_10device_ptrIsEEEESD_SD_SD_jNS0_19identity_decomposerENS1_16block_id_wrapperIjLb0EEEEE10hipError_tT1_PNSt15iterator_traitsISI_E10value_typeET2_T3_PNSJ_ISO_E10value_typeET4_T5_PST_SU_PNS1_23onesweep_lookback_stateEbbT6_jjT7_P12ihipStream_tbENKUlT_T0_SI_SN_E_clIPsSD_S15_SD_EEDaS11_S12_SI_SN_EUlS11_E_NS1_11comp_targetILNS1_3genE8ELNS1_11target_archE1030ELNS1_3gpuE2ELNS1_3repE0EEENS1_47radix_sort_onesweep_sort_config_static_selectorELNS0_4arch9wavefront6targetE1EEEvSI_
                                        ; -- End function
	.set _ZN7rocprim17ROCPRIM_400000_NS6detail17trampoline_kernelINS0_14default_configENS1_35radix_sort_onesweep_config_selectorIssEEZZNS1_29radix_sort_onesweep_iterationIS3_Lb0EN6thrust23THRUST_200600_302600_NS6detail15normal_iteratorINS8_10device_ptrIsEEEESD_SD_SD_jNS0_19identity_decomposerENS1_16block_id_wrapperIjLb0EEEEE10hipError_tT1_PNSt15iterator_traitsISI_E10value_typeET2_T3_PNSJ_ISO_E10value_typeET4_T5_PST_SU_PNS1_23onesweep_lookback_stateEbbT6_jjT7_P12ihipStream_tbENKUlT_T0_SI_SN_E_clIPsSD_S15_SD_EEDaS11_S12_SI_SN_EUlS11_E_NS1_11comp_targetILNS1_3genE8ELNS1_11target_archE1030ELNS1_3gpuE2ELNS1_3repE0EEENS1_47radix_sort_onesweep_sort_config_static_selectorELNS0_4arch9wavefront6targetE1EEEvSI_.num_vgpr, 0
	.set _ZN7rocprim17ROCPRIM_400000_NS6detail17trampoline_kernelINS0_14default_configENS1_35radix_sort_onesweep_config_selectorIssEEZZNS1_29radix_sort_onesweep_iterationIS3_Lb0EN6thrust23THRUST_200600_302600_NS6detail15normal_iteratorINS8_10device_ptrIsEEEESD_SD_SD_jNS0_19identity_decomposerENS1_16block_id_wrapperIjLb0EEEEE10hipError_tT1_PNSt15iterator_traitsISI_E10value_typeET2_T3_PNSJ_ISO_E10value_typeET4_T5_PST_SU_PNS1_23onesweep_lookback_stateEbbT6_jjT7_P12ihipStream_tbENKUlT_T0_SI_SN_E_clIPsSD_S15_SD_EEDaS11_S12_SI_SN_EUlS11_E_NS1_11comp_targetILNS1_3genE8ELNS1_11target_archE1030ELNS1_3gpuE2ELNS1_3repE0EEENS1_47radix_sort_onesweep_sort_config_static_selectorELNS0_4arch9wavefront6targetE1EEEvSI_.num_agpr, 0
	.set _ZN7rocprim17ROCPRIM_400000_NS6detail17trampoline_kernelINS0_14default_configENS1_35radix_sort_onesweep_config_selectorIssEEZZNS1_29radix_sort_onesweep_iterationIS3_Lb0EN6thrust23THRUST_200600_302600_NS6detail15normal_iteratorINS8_10device_ptrIsEEEESD_SD_SD_jNS0_19identity_decomposerENS1_16block_id_wrapperIjLb0EEEEE10hipError_tT1_PNSt15iterator_traitsISI_E10value_typeET2_T3_PNSJ_ISO_E10value_typeET4_T5_PST_SU_PNS1_23onesweep_lookback_stateEbbT6_jjT7_P12ihipStream_tbENKUlT_T0_SI_SN_E_clIPsSD_S15_SD_EEDaS11_S12_SI_SN_EUlS11_E_NS1_11comp_targetILNS1_3genE8ELNS1_11target_archE1030ELNS1_3gpuE2ELNS1_3repE0EEENS1_47radix_sort_onesweep_sort_config_static_selectorELNS0_4arch9wavefront6targetE1EEEvSI_.numbered_sgpr, 0
	.set _ZN7rocprim17ROCPRIM_400000_NS6detail17trampoline_kernelINS0_14default_configENS1_35radix_sort_onesweep_config_selectorIssEEZZNS1_29radix_sort_onesweep_iterationIS3_Lb0EN6thrust23THRUST_200600_302600_NS6detail15normal_iteratorINS8_10device_ptrIsEEEESD_SD_SD_jNS0_19identity_decomposerENS1_16block_id_wrapperIjLb0EEEEE10hipError_tT1_PNSt15iterator_traitsISI_E10value_typeET2_T3_PNSJ_ISO_E10value_typeET4_T5_PST_SU_PNS1_23onesweep_lookback_stateEbbT6_jjT7_P12ihipStream_tbENKUlT_T0_SI_SN_E_clIPsSD_S15_SD_EEDaS11_S12_SI_SN_EUlS11_E_NS1_11comp_targetILNS1_3genE8ELNS1_11target_archE1030ELNS1_3gpuE2ELNS1_3repE0EEENS1_47radix_sort_onesweep_sort_config_static_selectorELNS0_4arch9wavefront6targetE1EEEvSI_.num_named_barrier, 0
	.set _ZN7rocprim17ROCPRIM_400000_NS6detail17trampoline_kernelINS0_14default_configENS1_35radix_sort_onesweep_config_selectorIssEEZZNS1_29radix_sort_onesweep_iterationIS3_Lb0EN6thrust23THRUST_200600_302600_NS6detail15normal_iteratorINS8_10device_ptrIsEEEESD_SD_SD_jNS0_19identity_decomposerENS1_16block_id_wrapperIjLb0EEEEE10hipError_tT1_PNSt15iterator_traitsISI_E10value_typeET2_T3_PNSJ_ISO_E10value_typeET4_T5_PST_SU_PNS1_23onesweep_lookback_stateEbbT6_jjT7_P12ihipStream_tbENKUlT_T0_SI_SN_E_clIPsSD_S15_SD_EEDaS11_S12_SI_SN_EUlS11_E_NS1_11comp_targetILNS1_3genE8ELNS1_11target_archE1030ELNS1_3gpuE2ELNS1_3repE0EEENS1_47radix_sort_onesweep_sort_config_static_selectorELNS0_4arch9wavefront6targetE1EEEvSI_.private_seg_size, 0
	.set _ZN7rocprim17ROCPRIM_400000_NS6detail17trampoline_kernelINS0_14default_configENS1_35radix_sort_onesweep_config_selectorIssEEZZNS1_29radix_sort_onesweep_iterationIS3_Lb0EN6thrust23THRUST_200600_302600_NS6detail15normal_iteratorINS8_10device_ptrIsEEEESD_SD_SD_jNS0_19identity_decomposerENS1_16block_id_wrapperIjLb0EEEEE10hipError_tT1_PNSt15iterator_traitsISI_E10value_typeET2_T3_PNSJ_ISO_E10value_typeET4_T5_PST_SU_PNS1_23onesweep_lookback_stateEbbT6_jjT7_P12ihipStream_tbENKUlT_T0_SI_SN_E_clIPsSD_S15_SD_EEDaS11_S12_SI_SN_EUlS11_E_NS1_11comp_targetILNS1_3genE8ELNS1_11target_archE1030ELNS1_3gpuE2ELNS1_3repE0EEENS1_47radix_sort_onesweep_sort_config_static_selectorELNS0_4arch9wavefront6targetE1EEEvSI_.uses_vcc, 0
	.set _ZN7rocprim17ROCPRIM_400000_NS6detail17trampoline_kernelINS0_14default_configENS1_35radix_sort_onesweep_config_selectorIssEEZZNS1_29radix_sort_onesweep_iterationIS3_Lb0EN6thrust23THRUST_200600_302600_NS6detail15normal_iteratorINS8_10device_ptrIsEEEESD_SD_SD_jNS0_19identity_decomposerENS1_16block_id_wrapperIjLb0EEEEE10hipError_tT1_PNSt15iterator_traitsISI_E10value_typeET2_T3_PNSJ_ISO_E10value_typeET4_T5_PST_SU_PNS1_23onesweep_lookback_stateEbbT6_jjT7_P12ihipStream_tbENKUlT_T0_SI_SN_E_clIPsSD_S15_SD_EEDaS11_S12_SI_SN_EUlS11_E_NS1_11comp_targetILNS1_3genE8ELNS1_11target_archE1030ELNS1_3gpuE2ELNS1_3repE0EEENS1_47radix_sort_onesweep_sort_config_static_selectorELNS0_4arch9wavefront6targetE1EEEvSI_.uses_flat_scratch, 0
	.set _ZN7rocprim17ROCPRIM_400000_NS6detail17trampoline_kernelINS0_14default_configENS1_35radix_sort_onesweep_config_selectorIssEEZZNS1_29radix_sort_onesweep_iterationIS3_Lb0EN6thrust23THRUST_200600_302600_NS6detail15normal_iteratorINS8_10device_ptrIsEEEESD_SD_SD_jNS0_19identity_decomposerENS1_16block_id_wrapperIjLb0EEEEE10hipError_tT1_PNSt15iterator_traitsISI_E10value_typeET2_T3_PNSJ_ISO_E10value_typeET4_T5_PST_SU_PNS1_23onesweep_lookback_stateEbbT6_jjT7_P12ihipStream_tbENKUlT_T0_SI_SN_E_clIPsSD_S15_SD_EEDaS11_S12_SI_SN_EUlS11_E_NS1_11comp_targetILNS1_3genE8ELNS1_11target_archE1030ELNS1_3gpuE2ELNS1_3repE0EEENS1_47radix_sort_onesweep_sort_config_static_selectorELNS0_4arch9wavefront6targetE1EEEvSI_.has_dyn_sized_stack, 0
	.set _ZN7rocprim17ROCPRIM_400000_NS6detail17trampoline_kernelINS0_14default_configENS1_35radix_sort_onesweep_config_selectorIssEEZZNS1_29radix_sort_onesweep_iterationIS3_Lb0EN6thrust23THRUST_200600_302600_NS6detail15normal_iteratorINS8_10device_ptrIsEEEESD_SD_SD_jNS0_19identity_decomposerENS1_16block_id_wrapperIjLb0EEEEE10hipError_tT1_PNSt15iterator_traitsISI_E10value_typeET2_T3_PNSJ_ISO_E10value_typeET4_T5_PST_SU_PNS1_23onesweep_lookback_stateEbbT6_jjT7_P12ihipStream_tbENKUlT_T0_SI_SN_E_clIPsSD_S15_SD_EEDaS11_S12_SI_SN_EUlS11_E_NS1_11comp_targetILNS1_3genE8ELNS1_11target_archE1030ELNS1_3gpuE2ELNS1_3repE0EEENS1_47radix_sort_onesweep_sort_config_static_selectorELNS0_4arch9wavefront6targetE1EEEvSI_.has_recursion, 0
	.set _ZN7rocprim17ROCPRIM_400000_NS6detail17trampoline_kernelINS0_14default_configENS1_35radix_sort_onesweep_config_selectorIssEEZZNS1_29radix_sort_onesweep_iterationIS3_Lb0EN6thrust23THRUST_200600_302600_NS6detail15normal_iteratorINS8_10device_ptrIsEEEESD_SD_SD_jNS0_19identity_decomposerENS1_16block_id_wrapperIjLb0EEEEE10hipError_tT1_PNSt15iterator_traitsISI_E10value_typeET2_T3_PNSJ_ISO_E10value_typeET4_T5_PST_SU_PNS1_23onesweep_lookback_stateEbbT6_jjT7_P12ihipStream_tbENKUlT_T0_SI_SN_E_clIPsSD_S15_SD_EEDaS11_S12_SI_SN_EUlS11_E_NS1_11comp_targetILNS1_3genE8ELNS1_11target_archE1030ELNS1_3gpuE2ELNS1_3repE0EEENS1_47radix_sort_onesweep_sort_config_static_selectorELNS0_4arch9wavefront6targetE1EEEvSI_.has_indirect_call, 0
	.section	.AMDGPU.csdata,"",@progbits
; Kernel info:
; codeLenInByte = 0
; TotalNumSgprs: 6
; NumVgprs: 0
; NumAgprs: 0
; TotalNumVgprs: 0
; ScratchSize: 0
; MemoryBound: 0
; FloatMode: 240
; IeeeMode: 1
; LDSByteSize: 0 bytes/workgroup (compile time only)
; SGPRBlocks: 0
; VGPRBlocks: 0
; NumSGPRsForWavesPerEU: 6
; NumVGPRsForWavesPerEU: 1
; AccumOffset: 4
; Occupancy: 8
; WaveLimiterHint : 0
; COMPUTE_PGM_RSRC2:SCRATCH_EN: 0
; COMPUTE_PGM_RSRC2:USER_SGPR: 2
; COMPUTE_PGM_RSRC2:TRAP_HANDLER: 0
; COMPUTE_PGM_RSRC2:TGID_X_EN: 1
; COMPUTE_PGM_RSRC2:TGID_Y_EN: 0
; COMPUTE_PGM_RSRC2:TGID_Z_EN: 0
; COMPUTE_PGM_RSRC2:TIDIG_COMP_CNT: 0
; COMPUTE_PGM_RSRC3_GFX90A:ACCUM_OFFSET: 0
; COMPUTE_PGM_RSRC3_GFX90A:TG_SPLIT: 0
	.section	.text._ZN7rocprim17ROCPRIM_400000_NS6detail17trampoline_kernelINS0_14default_configENS1_22reduce_config_selectorIN6thrust23THRUST_200600_302600_NS5tupleIblNS6_9null_typeES8_S8_S8_S8_S8_S8_S8_EEEEZNS1_11reduce_implILb1ES3_NS6_12zip_iteratorINS7_INS6_11hip_rocprim26transform_input_iterator_tIbNSD_35transform_pair_of_input_iterators_tIbNS6_6detail15normal_iteratorINS6_10device_ptrIKsEEEESL_NS6_8equal_toIsEEEENSG_9not_fun_tINSD_8identityEEEEENSD_19counting_iterator_tIlEES8_S8_S8_S8_S8_S8_S8_S8_EEEEPS9_S9_NSD_9__find_if7functorIS9_EEEE10hipError_tPvRmT1_T2_T3_mT4_P12ihipStream_tbEUlT_E0_NS1_11comp_targetILNS1_3genE0ELNS1_11target_archE4294967295ELNS1_3gpuE0ELNS1_3repE0EEENS1_30default_config_static_selectorELNS0_4arch9wavefront6targetE1EEEvS14_,"axG",@progbits,_ZN7rocprim17ROCPRIM_400000_NS6detail17trampoline_kernelINS0_14default_configENS1_22reduce_config_selectorIN6thrust23THRUST_200600_302600_NS5tupleIblNS6_9null_typeES8_S8_S8_S8_S8_S8_S8_EEEEZNS1_11reduce_implILb1ES3_NS6_12zip_iteratorINS7_INS6_11hip_rocprim26transform_input_iterator_tIbNSD_35transform_pair_of_input_iterators_tIbNS6_6detail15normal_iteratorINS6_10device_ptrIKsEEEESL_NS6_8equal_toIsEEEENSG_9not_fun_tINSD_8identityEEEEENSD_19counting_iterator_tIlEES8_S8_S8_S8_S8_S8_S8_S8_EEEEPS9_S9_NSD_9__find_if7functorIS9_EEEE10hipError_tPvRmT1_T2_T3_mT4_P12ihipStream_tbEUlT_E0_NS1_11comp_targetILNS1_3genE0ELNS1_11target_archE4294967295ELNS1_3gpuE0ELNS1_3repE0EEENS1_30default_config_static_selectorELNS0_4arch9wavefront6targetE1EEEvS14_,comdat
	.protected	_ZN7rocprim17ROCPRIM_400000_NS6detail17trampoline_kernelINS0_14default_configENS1_22reduce_config_selectorIN6thrust23THRUST_200600_302600_NS5tupleIblNS6_9null_typeES8_S8_S8_S8_S8_S8_S8_EEEEZNS1_11reduce_implILb1ES3_NS6_12zip_iteratorINS7_INS6_11hip_rocprim26transform_input_iterator_tIbNSD_35transform_pair_of_input_iterators_tIbNS6_6detail15normal_iteratorINS6_10device_ptrIKsEEEESL_NS6_8equal_toIsEEEENSG_9not_fun_tINSD_8identityEEEEENSD_19counting_iterator_tIlEES8_S8_S8_S8_S8_S8_S8_S8_EEEEPS9_S9_NSD_9__find_if7functorIS9_EEEE10hipError_tPvRmT1_T2_T3_mT4_P12ihipStream_tbEUlT_E0_NS1_11comp_targetILNS1_3genE0ELNS1_11target_archE4294967295ELNS1_3gpuE0ELNS1_3repE0EEENS1_30default_config_static_selectorELNS0_4arch9wavefront6targetE1EEEvS14_ ; -- Begin function _ZN7rocprim17ROCPRIM_400000_NS6detail17trampoline_kernelINS0_14default_configENS1_22reduce_config_selectorIN6thrust23THRUST_200600_302600_NS5tupleIblNS6_9null_typeES8_S8_S8_S8_S8_S8_S8_EEEEZNS1_11reduce_implILb1ES3_NS6_12zip_iteratorINS7_INS6_11hip_rocprim26transform_input_iterator_tIbNSD_35transform_pair_of_input_iterators_tIbNS6_6detail15normal_iteratorINS6_10device_ptrIKsEEEESL_NS6_8equal_toIsEEEENSG_9not_fun_tINSD_8identityEEEEENSD_19counting_iterator_tIlEES8_S8_S8_S8_S8_S8_S8_S8_EEEEPS9_S9_NSD_9__find_if7functorIS9_EEEE10hipError_tPvRmT1_T2_T3_mT4_P12ihipStream_tbEUlT_E0_NS1_11comp_targetILNS1_3genE0ELNS1_11target_archE4294967295ELNS1_3gpuE0ELNS1_3repE0EEENS1_30default_config_static_selectorELNS0_4arch9wavefront6targetE1EEEvS14_
	.globl	_ZN7rocprim17ROCPRIM_400000_NS6detail17trampoline_kernelINS0_14default_configENS1_22reduce_config_selectorIN6thrust23THRUST_200600_302600_NS5tupleIblNS6_9null_typeES8_S8_S8_S8_S8_S8_S8_EEEEZNS1_11reduce_implILb1ES3_NS6_12zip_iteratorINS7_INS6_11hip_rocprim26transform_input_iterator_tIbNSD_35transform_pair_of_input_iterators_tIbNS6_6detail15normal_iteratorINS6_10device_ptrIKsEEEESL_NS6_8equal_toIsEEEENSG_9not_fun_tINSD_8identityEEEEENSD_19counting_iterator_tIlEES8_S8_S8_S8_S8_S8_S8_S8_EEEEPS9_S9_NSD_9__find_if7functorIS9_EEEE10hipError_tPvRmT1_T2_T3_mT4_P12ihipStream_tbEUlT_E0_NS1_11comp_targetILNS1_3genE0ELNS1_11target_archE4294967295ELNS1_3gpuE0ELNS1_3repE0EEENS1_30default_config_static_selectorELNS0_4arch9wavefront6targetE1EEEvS14_
	.p2align	8
	.type	_ZN7rocprim17ROCPRIM_400000_NS6detail17trampoline_kernelINS0_14default_configENS1_22reduce_config_selectorIN6thrust23THRUST_200600_302600_NS5tupleIblNS6_9null_typeES8_S8_S8_S8_S8_S8_S8_EEEEZNS1_11reduce_implILb1ES3_NS6_12zip_iteratorINS7_INS6_11hip_rocprim26transform_input_iterator_tIbNSD_35transform_pair_of_input_iterators_tIbNS6_6detail15normal_iteratorINS6_10device_ptrIKsEEEESL_NS6_8equal_toIsEEEENSG_9not_fun_tINSD_8identityEEEEENSD_19counting_iterator_tIlEES8_S8_S8_S8_S8_S8_S8_S8_EEEEPS9_S9_NSD_9__find_if7functorIS9_EEEE10hipError_tPvRmT1_T2_T3_mT4_P12ihipStream_tbEUlT_E0_NS1_11comp_targetILNS1_3genE0ELNS1_11target_archE4294967295ELNS1_3gpuE0ELNS1_3repE0EEENS1_30default_config_static_selectorELNS0_4arch9wavefront6targetE1EEEvS14_,@function
_ZN7rocprim17ROCPRIM_400000_NS6detail17trampoline_kernelINS0_14default_configENS1_22reduce_config_selectorIN6thrust23THRUST_200600_302600_NS5tupleIblNS6_9null_typeES8_S8_S8_S8_S8_S8_S8_EEEEZNS1_11reduce_implILb1ES3_NS6_12zip_iteratorINS7_INS6_11hip_rocprim26transform_input_iterator_tIbNSD_35transform_pair_of_input_iterators_tIbNS6_6detail15normal_iteratorINS6_10device_ptrIKsEEEESL_NS6_8equal_toIsEEEENSG_9not_fun_tINSD_8identityEEEEENSD_19counting_iterator_tIlEES8_S8_S8_S8_S8_S8_S8_S8_EEEEPS9_S9_NSD_9__find_if7functorIS9_EEEE10hipError_tPvRmT1_T2_T3_mT4_P12ihipStream_tbEUlT_E0_NS1_11comp_targetILNS1_3genE0ELNS1_11target_archE4294967295ELNS1_3gpuE0ELNS1_3repE0EEENS1_30default_config_static_selectorELNS0_4arch9wavefront6targetE1EEEvS14_: ; @_ZN7rocprim17ROCPRIM_400000_NS6detail17trampoline_kernelINS0_14default_configENS1_22reduce_config_selectorIN6thrust23THRUST_200600_302600_NS5tupleIblNS6_9null_typeES8_S8_S8_S8_S8_S8_S8_EEEEZNS1_11reduce_implILb1ES3_NS6_12zip_iteratorINS7_INS6_11hip_rocprim26transform_input_iterator_tIbNSD_35transform_pair_of_input_iterators_tIbNS6_6detail15normal_iteratorINS6_10device_ptrIKsEEEESL_NS6_8equal_toIsEEEENSG_9not_fun_tINSD_8identityEEEEENSD_19counting_iterator_tIlEES8_S8_S8_S8_S8_S8_S8_S8_EEEEPS9_S9_NSD_9__find_if7functorIS9_EEEE10hipError_tPvRmT1_T2_T3_mT4_P12ihipStream_tbEUlT_E0_NS1_11comp_targetILNS1_3genE0ELNS1_11target_archE4294967295ELNS1_3gpuE0ELNS1_3repE0EEENS1_30default_config_static_selectorELNS0_4arch9wavefront6targetE1EEEvS14_
; %bb.0:
	s_load_dwordx8 s[8:15], s[0:1], 0x20
	s_load_dwordx4 s[4:7], s[0:1], 0x0
	s_load_dwordx4 s[16:19], s[0:1], 0x40
	s_mov_b32 s27, 0
	s_mov_b32 s3, s27
	s_waitcnt lgkmcnt(0)
	s_lshl_b64 s[20:21], s[10:11], 1
	s_add_u32 s22, s4, s20
	s_addc_u32 s23, s5, s21
	s_add_u32 s24, s6, s20
	s_addc_u32 s25, s7, s21
	s_lshl_b32 s26, s2, 8
	s_lshr_b64 s[4:5], s[12:13], 8
	s_lshl_b64 s[6:7], s[26:27], 1
	s_add_u32 s20, s22, s6
	s_addc_u32 s21, s23, s7
	s_add_u32 s22, s24, s6
	s_addc_u32 s23, s25, s7
	;; [unrolled: 2-line block ×4, first 2 shown]
	s_cmp_lg_u64 s[4:5], s[2:3]
	v_lshlrev_b32_e32 v10, 1, v0
	v_mbcnt_lo_u32_b32 v9, -1, 0
	s_cbranch_scc0 .LBB1696_10
; %bb.1:
	global_load_ushort v5, v10, s[22:23]
	global_load_ushort v8, v10, s[22:23] offset:256
	global_load_ushort v11, v10, s[20:21] offset:256
	global_load_ushort v12, v10, s[20:21]
	v_mov_b32_e32 v1, 0
	s_mov_b64 s[4:5], 0x80
	v_lshl_add_u64 v[2:3], s[24:25], 0, v[0:1]
	v_lshl_add_u64 v[6:7], v[2:3], 0, s[4:5]
	v_mbcnt_hi_u32_b32 v4, -1, v9
	v_lshlrev_b32_e32 v1, 2, v4
	v_or_b32_e32 v13, 0xfc, v1
	s_waitcnt vmcnt(1)
	v_cmp_ne_u16_e32 vcc, v11, v8
	s_waitcnt vmcnt(0)
	v_cmp_ne_u16_e64 s[4:5], v12, v5
	s_nop 1
	v_cndmask_b32_e64 v3, v7, v3, s[4:5]
	v_cndmask_b32_e64 v2, v6, v2, s[4:5]
	s_or_b64 s[4:5], s[4:5], vcc
	v_cndmask_b32_e64 v5, 0, 1, s[4:5]
	v_mov_b32_dpp v7, v3 quad_perm:[1,0,3,2] row_mask:0xf bank_mask:0xf bound_ctrl:1
	v_mov_b32_dpp v6, v2 quad_perm:[1,0,3,2] row_mask:0xf bank_mask:0xf bound_ctrl:1
	;; [unrolled: 1-line block ×3, first 2 shown]
	v_cmp_lt_i64_e32 vcc, v[2:3], v[6:7]
	v_and_b32_e32 v8, 1, v8
	s_and_b64 vcc, s[4:5], vcc
	v_cndmask_b32_e32 v6, v6, v2, vcc
	v_cndmask_b32_e32 v7, v7, v3, vcc
	v_cmp_eq_u32_e32 vcc, 1, v8
	s_nop 1
	v_cndmask_b32_e64 v5, v5, 1, vcc
	v_cndmask_b32_e32 v3, v3, v7, vcc
	v_cndmask_b32_e32 v2, v2, v6, vcc
	v_mov_b32_dpp v8, v5 quad_perm:[2,3,0,1] row_mask:0xf bank_mask:0xf bound_ctrl:1
	v_and_b32_e32 v8, 1, v8
	v_mov_b32_dpp v6, v2 quad_perm:[2,3,0,1] row_mask:0xf bank_mask:0xf bound_ctrl:1
	v_mov_b32_dpp v7, v3 quad_perm:[2,3,0,1] row_mask:0xf bank_mask:0xf bound_ctrl:1
	v_and_b32_e32 v11, 1, v5
	v_cmp_eq_u32_e64 s[6:7], 1, v8
	v_cmp_eq_u32_e32 vcc, 1, v11
	v_cmp_lt_i64_e64 s[4:5], v[2:3], v[6:7]
	v_cndmask_b32_e64 v5, v5, 1, s[6:7]
	s_and_b64 vcc, vcc, s[4:5]
	v_cndmask_b32_e32 v6, v6, v2, vcc
	v_mov_b32_dpp v8, v5 row_ror:4 row_mask:0xf bank_mask:0xf bound_ctrl:1
	v_cndmask_b32_e32 v7, v7, v3, vcc
	v_and_b32_e32 v8, 1, v8
	v_cndmask_b32_e64 v2, v2, v6, s[6:7]
	v_cndmask_b32_e64 v3, v3, v7, s[6:7]
	v_cmp_eq_u32_e64 s[4:5], 1, v8
	v_and_b32_e32 v11, 1, v5
	v_mov_b32_dpp v6, v2 row_ror:4 row_mask:0xf bank_mask:0xf bound_ctrl:1
	v_mov_b32_dpp v7, v3 row_ror:4 row_mask:0xf bank_mask:0xf bound_ctrl:1
	v_cndmask_b32_e64 v5, v5, 1, s[4:5]
	v_cmp_eq_u32_e32 vcc, 1, v11
	v_cmp_lt_i64_e64 s[6:7], v[2:3], v[6:7]
	v_mov_b32_dpp v8, v5 row_ror:8 row_mask:0xf bank_mask:0xf bound_ctrl:1
	s_and_b64 vcc, vcc, s[6:7]
	v_and_b32_e32 v8, 1, v8
	v_cndmask_b32_e32 v6, v6, v2, vcc
	v_cndmask_b32_e32 v7, v7, v3, vcc
	v_cmp_eq_u32_e32 vcc, 1, v8
	v_and_b32_e32 v11, 1, v5
	v_cndmask_b32_e64 v2, v2, v6, s[4:5]
	v_cndmask_b32_e64 v5, v5, 1, vcc
	v_cndmask_b32_e64 v3, v3, v7, s[4:5]
	v_mov_b32_dpp v6, v2 row_ror:8 row_mask:0xf bank_mask:0xf bound_ctrl:1
	v_mov_b32_dpp v8, v5 row_bcast:15 row_mask:0xf bank_mask:0xf bound_ctrl:1
	v_mov_b32_dpp v7, v3 row_ror:8 row_mask:0xf bank_mask:0xf bound_ctrl:1
	v_cmp_eq_u32_e64 s[6:7], 1, v11
	v_and_b32_e32 v8, 1, v8
	v_cmp_lt_i64_e64 s[8:9], v[2:3], v[6:7]
	v_cmp_eq_u32_e64 s[10:11], 1, v8
	s_and_b64 s[6:7], s[6:7], s[8:9]
	v_and_b32_e32 v11, 1, v5
	v_cndmask_b32_e64 v5, v5, 1, s[10:11]
	v_cndmask_b32_e64 v6, v6, v2, s[6:7]
	v_cndmask_b32_e64 v7, v7, v3, s[6:7]
	v_mov_b32_dpp v8, v5 row_bcast:31 row_mask:0xf bank_mask:0xf bound_ctrl:1
	v_cndmask_b32_e32 v2, v2, v6, vcc
	v_cndmask_b32_e32 v3, v3, v7, vcc
	v_and_b32_e32 v8, 1, v8
	v_mov_b32_dpp v6, v2 row_bcast:15 row_mask:0xf bank_mask:0xf bound_ctrl:1
	v_mov_b32_dpp v7, v3 row_bcast:15 row_mask:0xf bank_mask:0xf bound_ctrl:1
	v_cmp_eq_u32_e64 s[4:5], 1, v11
	v_cmp_eq_u32_e32 vcc, 1, v8
	v_cmp_lt_i64_e64 s[8:9], v[2:3], v[6:7]
	v_and_b32_e32 v11, 1, v5
	v_cndmask_b32_e64 v5, v5, 1, vcc
	s_and_b64 s[4:5], s[4:5], s[8:9]
	ds_bpermute_b32 v8, v13, v5
	v_cndmask_b32_e64 v5, v6, v2, s[4:5]
	v_cndmask_b32_e64 v6, v7, v3, s[4:5]
	;; [unrolled: 1-line block ×4, first 2 shown]
	v_cmp_eq_u32_e64 s[6:7], 1, v11
	v_mov_b32_dpp v6, v2 row_bcast:31 row_mask:0xf bank_mask:0xf bound_ctrl:1
	v_mov_b32_dpp v7, v3 row_bcast:31 row_mask:0xf bank_mask:0xf bound_ctrl:1
	v_cmp_lt_i64_e64 s[4:5], v[2:3], v[6:7]
	s_and_b64 s[4:5], s[6:7], s[4:5]
	s_nop 0
	v_cndmask_b32_e64 v5, v6, v2, s[4:5]
	v_cndmask_b32_e64 v6, v7, v3, s[4:5]
	v_cndmask_b32_e32 v2, v2, v5, vcc
	v_cndmask_b32_e32 v3, v3, v6, vcc
	ds_bpermute_b32 v2, v13, v2
	ds_bpermute_b32 v3, v13, v3
	v_cmp_eq_u32_e32 vcc, 0, v4
	s_and_saveexec_b64 s[4:5], vcc
	s_cbranch_execz .LBB1696_3
; %bb.2:
	v_lshrrev_b32_e32 v5, 2, v0
	v_and_b32_e32 v5, 16, v5
	s_waitcnt lgkmcnt(2)
	ds_write_b8 v5, v8
	s_waitcnt lgkmcnt(1)
	ds_write_b64 v5, v[2:3] offset:8
.LBB1696_3:
	s_or_b64 exec, exec, s[4:5]
	v_cmp_gt_u32_e32 vcc, 64, v0
	s_waitcnt lgkmcnt(0)
	s_barrier
	s_and_saveexec_b64 s[4:5], vcc
	s_cbranch_execz .LBB1696_9
; %bb.4:
	v_and_b32_e32 v2, 1, v4
	v_lshlrev_b32_e32 v2, 4, v2
	ds_read_u8 v11, v2
	ds_read_b64 v[4:5], v2 offset:8
	v_or_b32_e32 v3, 4, v1
	s_waitcnt lgkmcnt(1)
	v_and_b32_e32 v2, 0xff, v11
	ds_bpermute_b32 v1, v3, v2
	s_waitcnt lgkmcnt(1)
	ds_bpermute_b32 v6, v3, v4
	ds_bpermute_b32 v7, v3, v5
	s_waitcnt lgkmcnt(2)
	v_and_b32_e32 v2, v11, v1
	v_and_b32_e32 v2, 1, v2
	v_cmp_eq_u32_e32 vcc, 1, v2
                                        ; implicit-def: $vgpr2_vgpr3
	s_and_saveexec_b64 s[6:7], vcc
	s_xor_b64 s[6:7], exec, s[6:7]
	s_cbranch_execz .LBB1696_6
; %bb.5:
	s_waitcnt lgkmcnt(0)
	v_cmp_lt_i64_e32 vcc, v[6:7], v[4:5]
                                        ; implicit-def: $vgpr11
                                        ; implicit-def: $vgpr1
	s_nop 1
	v_cndmask_b32_e32 v3, v5, v7, vcc
	v_cndmask_b32_e32 v2, v4, v6, vcc
                                        ; implicit-def: $vgpr6_vgpr7
                                        ; implicit-def: $vgpr4_vgpr5
.LBB1696_6:
	s_or_saveexec_b64 s[6:7], s[6:7]
	v_mov_b32_e32 v8, 1
	s_xor_b64 exec, exec, s[6:7]
	s_cbranch_execz .LBB1696_8
; %bb.7:
	v_and_b32_e32 v2, 1, v11
	v_cmp_eq_u32_e32 vcc, 1, v2
	s_waitcnt lgkmcnt(0)
	s_nop 0
	v_cndmask_b32_e32 v3, v7, v5, vcc
	v_cndmask_b32_e32 v2, v6, v4, vcc
	v_cndmask_b32_e64 v8, v1, 1, vcc
.LBB1696_8:
	s_or_b64 exec, exec, s[6:7]
.LBB1696_9:
	s_or_b64 exec, exec, s[4:5]
	s_load_dword s10, s[0:1], 0x50
	s_load_dwordx2 s[8:9], s[0:1], 0x58
	s_branch .LBB1696_62
.LBB1696_10:
                                        ; implicit-def: $vgpr2_vgpr3
                                        ; implicit-def: $vgpr8
	s_load_dword s10, s[0:1], 0x50
	s_load_dwordx2 s[8:9], s[0:1], 0x58
	s_cbranch_execz .LBB1696_62
; %bb.11:
	s_sub_i32 s11, s12, s26
	v_cmp_gt_u32_e32 vcc, s11, v0
	s_waitcnt lgkmcnt(0)
	v_mov_b32_e32 v7, 0
	v_mov_b64_e32 v[4:5], 0
	v_mov_b64_e32 v[2:3], 0
	v_mov_b32_e32 v1, 0
	s_and_saveexec_b64 s[0:1], vcc
	s_cbranch_execz .LBB1696_13
; %bb.12:
	global_load_ushort v6, v10, s[20:21]
	global_load_ushort v8, v10, s[22:23]
	v_mov_b32_e32 v1, 0
	v_lshl_add_u64 v[2:3], s[24:25], 0, v[0:1]
	s_waitcnt vmcnt(0)
	v_cmp_ne_u16_e32 vcc, v6, v8
	s_nop 1
	v_cndmask_b32_e64 v1, 0, 1, vcc
.LBB1696_13:
	s_or_b64 exec, exec, s[0:1]
	v_or_b32_e32 v6, 0x80, v0
	v_cmp_gt_u32_e32 vcc, s11, v6
	s_and_saveexec_b64 s[4:5], vcc
	s_cbranch_execz .LBB1696_15
; %bb.14:
	global_load_ushort v8, v10, s[20:21] offset:256
	global_load_ushort v11, v10, s[22:23] offset:256
	v_mov_b32_e32 v7, 0
	v_lshl_add_u64 v[4:5], s[24:25], 0, v[6:7]
	s_waitcnt vmcnt(0)
	v_cmp_ne_u16_e64 s[0:1], v8, v11
	s_nop 1
	v_cndmask_b32_e64 v7, 0, 1, s[0:1]
.LBB1696_15:
	s_or_b64 exec, exec, s[4:5]
	v_and_b32_e32 v8, 0xffff, v7
	v_and_b32_e32 v7, 1, v7
	;; [unrolled: 1-line block ×3, first 2 shown]
	v_cmp_eq_u32_e64 s[0:1], 1, v7
	v_and_b32_e32 v1, 1, v1
	v_cmp_lt_i64_e64 s[4:5], v[4:5], v[2:3]
	v_cmp_eq_u32_e64 s[6:7], 1, v1
	s_and_b64 s[0:1], s[0:1], s[4:5]
	v_cndmask_b32_e64 v7, v3, v5, s[0:1]
	v_cndmask_b32_e64 v1, v8, 1, s[6:7]
	;; [unrolled: 1-line block ×4, first 2 shown]
	v_cndmask_b32_e32 v8, v6, v1, vcc
	v_mbcnt_hi_u32_b32 v1, -1, v9
	v_cndmask_b32_e64 v5, v5, v7, s[6:7]
	v_and_b32_e32 v6, 63, v1
	v_cndmask_b32_e32 v3, v3, v5, vcc
	v_cndmask_b32_e32 v2, v2, v4, vcc
	v_cmp_ne_u32_e32 vcc, 63, v6
	s_min_u32 s6, s11, 0x80
	v_and_b32_e32 v7, 64, v0
	v_addc_co_u32_e32 v4, vcc, 0, v1, vcc
	v_lshlrev_b32_e32 v5, 2, v4
	ds_bpermute_b32 v9, v5, v8
	ds_bpermute_b32 v4, v5, v2
	;; [unrolled: 1-line block ×3, first 2 shown]
	v_sub_u32_e64 v7, s6, v7 clamp
	v_add_u32_e32 v10, 1, v6
	v_cmp_lt_u32_e32 vcc, v10, v7
	s_and_saveexec_b64 s[0:1], vcc
	s_cbranch_execz .LBB1696_21
; %bb.16:
	s_waitcnt lgkmcnt(2)
	v_and_b32_e32 v10, v9, v8
	v_cmp_ne_u32_e32 vcc, 0, v10
	s_and_saveexec_b64 s[4:5], vcc
	s_xor_b64 s[4:5], exec, s[4:5]
	s_cbranch_execz .LBB1696_18
; %bb.17:
	s_waitcnt lgkmcnt(0)
	v_cmp_lt_i64_e32 vcc, v[4:5], v[2:3]
                                        ; implicit-def: $vgpr8
                                        ; implicit-def: $vgpr9
	s_nop 1
	v_cndmask_b32_e32 v3, v3, v5, vcc
	v_cndmask_b32_e32 v2, v2, v4, vcc
                                        ; implicit-def: $vgpr4_vgpr5
.LBB1696_18:
	s_or_saveexec_b64 s[4:5], s[4:5]
	v_mov_b32_e32 v10, 1
	s_xor_b64 exec, exec, s[4:5]
	s_cbranch_execz .LBB1696_20
; %bb.19:
	v_and_b32_e32 v8, 1, v8
	v_cmp_eq_u32_e32 vcc, 1, v8
	s_waitcnt lgkmcnt(1)
	s_nop 0
	v_cndmask_b32_e32 v2, v4, v2, vcc
	v_and_b32_e32 v4, 0xff, v9
	s_waitcnt lgkmcnt(0)
	v_cndmask_b32_e32 v3, v5, v3, vcc
	v_cndmask_b32_e64 v10, v4, 1, vcc
.LBB1696_20:
	s_or_b64 exec, exec, s[4:5]
	v_mov_b32_e32 v8, v10
.LBB1696_21:
	s_or_b64 exec, exec, s[0:1]
	v_cmp_gt_u32_e32 vcc, 62, v6
	v_add_u32_e32 v10, 2, v6
	s_waitcnt lgkmcnt(1)
	v_cndmask_b32_e64 v4, 0, 2, vcc
	s_waitcnt lgkmcnt(0)
	v_add_lshl_u32 v5, v4, v1, 2
	ds_bpermute_b32 v9, v5, v8
	ds_bpermute_b32 v4, v5, v2
	ds_bpermute_b32 v5, v5, v3
	v_cmp_lt_u32_e32 vcc, v10, v7
	s_and_saveexec_b64 s[0:1], vcc
	s_cbranch_execz .LBB1696_27
; %bb.22:
	s_waitcnt lgkmcnt(2)
	v_and_b32_e32 v10, v8, v9
	v_and_b32_e32 v10, 1, v10
	v_cmp_eq_u32_e32 vcc, 1, v10
	s_and_saveexec_b64 s[4:5], vcc
	s_xor_b64 s[4:5], exec, s[4:5]
	s_cbranch_execz .LBB1696_24
; %bb.23:
	s_waitcnt lgkmcnt(0)
	v_cmp_lt_i64_e32 vcc, v[4:5], v[2:3]
                                        ; implicit-def: $vgpr8
                                        ; implicit-def: $vgpr9
	s_nop 1
	v_cndmask_b32_e32 v3, v3, v5, vcc
	v_cndmask_b32_e32 v2, v2, v4, vcc
                                        ; implicit-def: $vgpr4_vgpr5
.LBB1696_24:
	s_or_saveexec_b64 s[4:5], s[4:5]
	v_mov_b32_e32 v10, 1
	s_xor_b64 exec, exec, s[4:5]
	s_cbranch_execz .LBB1696_26
; %bb.25:
	v_and_b32_e32 v8, 1, v8
	v_cmp_eq_u32_e32 vcc, 1, v8
	s_waitcnt lgkmcnt(1)
	s_nop 0
	v_cndmask_b32_e32 v2, v4, v2, vcc
	v_and_b32_e32 v4, 0xff, v9
	s_waitcnt lgkmcnt(0)
	v_cndmask_b32_e32 v3, v5, v3, vcc
	v_cndmask_b32_e64 v10, v4, 1, vcc
.LBB1696_26:
	s_or_b64 exec, exec, s[4:5]
	v_mov_b32_e32 v8, v10
.LBB1696_27:
	s_or_b64 exec, exec, s[0:1]
	v_cmp_gt_u32_e32 vcc, 60, v6
	v_add_u32_e32 v10, 4, v6
	s_waitcnt lgkmcnt(1)
	v_cndmask_b32_e64 v4, 0, 4, vcc
	s_waitcnt lgkmcnt(0)
	v_add_lshl_u32 v5, v4, v1, 2
	ds_bpermute_b32 v9, v5, v8
	ds_bpermute_b32 v4, v5, v2
	ds_bpermute_b32 v5, v5, v3
	v_cmp_lt_u32_e32 vcc, v10, v7
	s_and_saveexec_b64 s[0:1], vcc
	s_cbranch_execz .LBB1696_33
; %bb.28:
	s_waitcnt lgkmcnt(2)
	v_and_b32_e32 v10, v8, v9
	v_and_b32_e32 v10, 1, v10
	v_cmp_eq_u32_e32 vcc, 1, v10
	s_and_saveexec_b64 s[4:5], vcc
	s_xor_b64 s[4:5], exec, s[4:5]
	s_cbranch_execz .LBB1696_30
; %bb.29:
	s_waitcnt lgkmcnt(0)
	v_cmp_lt_i64_e32 vcc, v[4:5], v[2:3]
                                        ; implicit-def: $vgpr8
                                        ; implicit-def: $vgpr9
	s_nop 1
	v_cndmask_b32_e32 v3, v3, v5, vcc
	v_cndmask_b32_e32 v2, v2, v4, vcc
                                        ; implicit-def: $vgpr4_vgpr5
.LBB1696_30:
	s_or_saveexec_b64 s[4:5], s[4:5]
	v_mov_b32_e32 v10, 1
	s_xor_b64 exec, exec, s[4:5]
	s_cbranch_execz .LBB1696_32
; %bb.31:
	v_and_b32_e32 v8, 1, v8
	v_cmp_eq_u32_e32 vcc, 1, v8
	s_waitcnt lgkmcnt(1)
	s_nop 0
	v_cndmask_b32_e32 v2, v4, v2, vcc
	v_and_b32_e32 v4, 0xff, v9
	s_waitcnt lgkmcnt(0)
	v_cndmask_b32_e32 v3, v5, v3, vcc
	v_cndmask_b32_e64 v10, v4, 1, vcc
.LBB1696_32:
	s_or_b64 exec, exec, s[4:5]
	v_mov_b32_e32 v8, v10
.LBB1696_33:
	;; [unrolled: 49-line block ×4, first 2 shown]
	s_or_b64 exec, exec, s[0:1]
	s_waitcnt lgkmcnt(2)
	v_lshlrev_b32_e32 v9, 2, v1
	s_waitcnt lgkmcnt(0)
	v_or_b32_e32 v5, 0x80, v9
	ds_bpermute_b32 v10, v5, v8
	ds_bpermute_b32 v4, v5, v2
	;; [unrolled: 1-line block ×3, first 2 shown]
	v_add_u32_e32 v6, 32, v6
	v_cmp_lt_u32_e32 vcc, v6, v7
	v_mov_b32_e32 v6, v8
	s_and_saveexec_b64 s[0:1], vcc
	s_cbranch_execz .LBB1696_51
; %bb.46:
	s_waitcnt lgkmcnt(2)
	v_and_b32_e32 v6, v8, v10
	v_and_b32_e32 v6, 1, v6
	v_cmp_eq_u32_e32 vcc, 1, v6
	s_and_saveexec_b64 s[4:5], vcc
	s_xor_b64 s[4:5], exec, s[4:5]
	s_cbranch_execz .LBB1696_48
; %bb.47:
	s_waitcnt lgkmcnt(0)
	v_cmp_lt_i64_e32 vcc, v[4:5], v[2:3]
                                        ; implicit-def: $vgpr8
                                        ; implicit-def: $vgpr10
	s_nop 1
	v_cndmask_b32_e32 v3, v3, v5, vcc
	v_cndmask_b32_e32 v2, v2, v4, vcc
                                        ; implicit-def: $vgpr4_vgpr5
.LBB1696_48:
	s_or_saveexec_b64 s[4:5], s[4:5]
	v_mov_b32_e32 v6, 1
	s_xor_b64 exec, exec, s[4:5]
	s_cbranch_execz .LBB1696_50
; %bb.49:
	v_and_b32_e32 v6, 1, v8
	v_cmp_eq_u32_e32 vcc, 1, v6
	s_nop 1
	v_cndmask_b32_e64 v6, v10, 1, vcc
	s_waitcnt lgkmcnt(0)
	v_cndmask_b32_e32 v3, v5, v3, vcc
	v_cndmask_b32_e32 v2, v4, v2, vcc
.LBB1696_50:
	s_or_b64 exec, exec, s[4:5]
	v_and_b32_e32 v8, 0xff, v6
.LBB1696_51:
	s_or_b64 exec, exec, s[0:1]
	v_cmp_eq_u32_e32 vcc, 0, v1
	s_and_saveexec_b64 s[0:1], vcc
	s_cbranch_execz .LBB1696_53
; %bb.52:
	s_waitcnt lgkmcnt(1)
	v_lshrrev_b32_e32 v4, 2, v0
	v_and_b32_e32 v4, 16, v4
	ds_write_b8 v4, v6 offset:32
	ds_write_b64 v4, v[2:3] offset:40
.LBB1696_53:
	s_or_b64 exec, exec, s[0:1]
	v_cmp_gt_u32_e32 vcc, 2, v0
	s_waitcnt lgkmcnt(0)
	s_barrier
	s_and_saveexec_b64 s[0:1], vcc
	s_cbranch_execz .LBB1696_61
; %bb.54:
	v_lshlrev_b32_e32 v2, 4, v1
	ds_read_u8 v6, v2 offset:32
	ds_read_b64 v[2:3], v2 offset:40
	v_or_b32_e32 v5, 4, v9
	s_add_i32 s6, s6, 63
	v_and_b32_e32 v1, 1, v1
	s_waitcnt lgkmcnt(1)
	v_and_b32_e32 v8, 0xff, v6
	s_waitcnt lgkmcnt(0)
	ds_bpermute_b32 v4, v5, v2
	ds_bpermute_b32 v7, v5, v8
	;; [unrolled: 1-line block ×3, first 2 shown]
	s_lshr_b32 s4, s6, 6
	v_add_u32_e32 v1, 1, v1
	v_cmp_gt_u32_e32 vcc, s4, v1
	s_and_saveexec_b64 s[4:5], vcc
	s_cbranch_execz .LBB1696_60
; %bb.55:
	s_waitcnt lgkmcnt(1)
	v_and_b32_e32 v1, v8, v7
	v_and_b32_e32 v1, 1, v1
	v_cmp_eq_u32_e32 vcc, 1, v1
	s_and_saveexec_b64 s[6:7], vcc
	s_xor_b64 s[6:7], exec, s[6:7]
	s_cbranch_execz .LBB1696_57
; %bb.56:
	s_waitcnt lgkmcnt(0)
	v_cmp_lt_i64_e32 vcc, v[4:5], v[2:3]
                                        ; implicit-def: $vgpr6
                                        ; implicit-def: $vgpr7
	s_nop 1
	v_cndmask_b32_e32 v3, v3, v5, vcc
	v_cndmask_b32_e32 v2, v2, v4, vcc
                                        ; implicit-def: $vgpr4_vgpr5
.LBB1696_57:
	s_or_saveexec_b64 s[6:7], s[6:7]
	v_mov_b32_e32 v8, 1
	s_xor_b64 exec, exec, s[6:7]
	s_cbranch_execz .LBB1696_59
; %bb.58:
	v_and_b32_e32 v1, 1, v6
	v_cmp_eq_u32_e32 vcc, 1, v1
	s_waitcnt lgkmcnt(0)
	s_nop 0
	v_cndmask_b32_e32 v3, v5, v3, vcc
	v_cndmask_b32_e32 v2, v4, v2, vcc
	v_cndmask_b32_e64 v8, v7, 1, vcc
.LBB1696_59:
	s_or_b64 exec, exec, s[6:7]
.LBB1696_60:
	s_or_b64 exec, exec, s[4:5]
.LBB1696_61:
	s_or_b64 exec, exec, s[0:1]
.LBB1696_62:
	v_cmp_eq_u32_e32 vcc, 0, v0
	s_and_saveexec_b64 s[0:1], vcc
	s_cbranch_execnz .LBB1696_64
; %bb.63:
	s_endpgm
.LBB1696_64:
	s_mul_i32 s0, s18, s17
	s_mul_hi_u32 s1, s18, s16
	s_add_i32 s0, s1, s0
	s_mul_i32 s1, s19, s16
	s_add_i32 s1, s0, s1
	s_mul_i32 s0, s18, s16
	s_lshl_b64 s[0:1], s[0:1], 4
	s_add_u32 s4, s14, s0
	s_addc_u32 s5, s15, s1
	s_cmp_eq_u64 s[12:13], 0
	s_waitcnt lgkmcnt(0)
	v_mov_b32_e32 v0, s9
	s_cselect_b64 vcc, -1, 0
	v_cndmask_b32_e32 v1, v3, v0, vcc
	v_mov_b32_e32 v0, s8
	s_lshl_b64 s[0:1], s[2:3], 4
	v_cndmask_b32_e32 v0, v2, v0, vcc
	v_mov_b32_e32 v2, s10
	s_add_u32 s0, s4, s0
	v_cndmask_b32_e32 v2, v8, v2, vcc
	s_addc_u32 s1, s5, s1
	v_mov_b32_e32 v3, 0
	global_store_byte v3, v2, s[0:1]
	global_store_dwordx2 v3, v[0:1], s[0:1] offset:8
	s_endpgm
	.section	.rodata,"a",@progbits
	.p2align	6, 0x0
	.amdhsa_kernel _ZN7rocprim17ROCPRIM_400000_NS6detail17trampoline_kernelINS0_14default_configENS1_22reduce_config_selectorIN6thrust23THRUST_200600_302600_NS5tupleIblNS6_9null_typeES8_S8_S8_S8_S8_S8_S8_EEEEZNS1_11reduce_implILb1ES3_NS6_12zip_iteratorINS7_INS6_11hip_rocprim26transform_input_iterator_tIbNSD_35transform_pair_of_input_iterators_tIbNS6_6detail15normal_iteratorINS6_10device_ptrIKsEEEESL_NS6_8equal_toIsEEEENSG_9not_fun_tINSD_8identityEEEEENSD_19counting_iterator_tIlEES8_S8_S8_S8_S8_S8_S8_S8_EEEEPS9_S9_NSD_9__find_if7functorIS9_EEEE10hipError_tPvRmT1_T2_T3_mT4_P12ihipStream_tbEUlT_E0_NS1_11comp_targetILNS1_3genE0ELNS1_11target_archE4294967295ELNS1_3gpuE0ELNS1_3repE0EEENS1_30default_config_static_selectorELNS0_4arch9wavefront6targetE1EEEvS14_
		.amdhsa_group_segment_fixed_size 64
		.amdhsa_private_segment_fixed_size 0
		.amdhsa_kernarg_size 104
		.amdhsa_user_sgpr_count 2
		.amdhsa_user_sgpr_dispatch_ptr 0
		.amdhsa_user_sgpr_queue_ptr 0
		.amdhsa_user_sgpr_kernarg_segment_ptr 1
		.amdhsa_user_sgpr_dispatch_id 0
		.amdhsa_user_sgpr_kernarg_preload_length 0
		.amdhsa_user_sgpr_kernarg_preload_offset 0
		.amdhsa_user_sgpr_private_segment_size 0
		.amdhsa_uses_dynamic_stack 0
		.amdhsa_enable_private_segment 0
		.amdhsa_system_sgpr_workgroup_id_x 1
		.amdhsa_system_sgpr_workgroup_id_y 0
		.amdhsa_system_sgpr_workgroup_id_z 0
		.amdhsa_system_sgpr_workgroup_info 0
		.amdhsa_system_vgpr_workitem_id 0
		.amdhsa_next_free_vgpr 14
		.amdhsa_next_free_sgpr 28
		.amdhsa_accum_offset 16
		.amdhsa_reserve_vcc 1
		.amdhsa_float_round_mode_32 0
		.amdhsa_float_round_mode_16_64 0
		.amdhsa_float_denorm_mode_32 3
		.amdhsa_float_denorm_mode_16_64 3
		.amdhsa_dx10_clamp 1
		.amdhsa_ieee_mode 1
		.amdhsa_fp16_overflow 0
		.amdhsa_tg_split 0
		.amdhsa_exception_fp_ieee_invalid_op 0
		.amdhsa_exception_fp_denorm_src 0
		.amdhsa_exception_fp_ieee_div_zero 0
		.amdhsa_exception_fp_ieee_overflow 0
		.amdhsa_exception_fp_ieee_underflow 0
		.amdhsa_exception_fp_ieee_inexact 0
		.amdhsa_exception_int_div_zero 0
	.end_amdhsa_kernel
	.section	.text._ZN7rocprim17ROCPRIM_400000_NS6detail17trampoline_kernelINS0_14default_configENS1_22reduce_config_selectorIN6thrust23THRUST_200600_302600_NS5tupleIblNS6_9null_typeES8_S8_S8_S8_S8_S8_S8_EEEEZNS1_11reduce_implILb1ES3_NS6_12zip_iteratorINS7_INS6_11hip_rocprim26transform_input_iterator_tIbNSD_35transform_pair_of_input_iterators_tIbNS6_6detail15normal_iteratorINS6_10device_ptrIKsEEEESL_NS6_8equal_toIsEEEENSG_9not_fun_tINSD_8identityEEEEENSD_19counting_iterator_tIlEES8_S8_S8_S8_S8_S8_S8_S8_EEEEPS9_S9_NSD_9__find_if7functorIS9_EEEE10hipError_tPvRmT1_T2_T3_mT4_P12ihipStream_tbEUlT_E0_NS1_11comp_targetILNS1_3genE0ELNS1_11target_archE4294967295ELNS1_3gpuE0ELNS1_3repE0EEENS1_30default_config_static_selectorELNS0_4arch9wavefront6targetE1EEEvS14_,"axG",@progbits,_ZN7rocprim17ROCPRIM_400000_NS6detail17trampoline_kernelINS0_14default_configENS1_22reduce_config_selectorIN6thrust23THRUST_200600_302600_NS5tupleIblNS6_9null_typeES8_S8_S8_S8_S8_S8_S8_EEEEZNS1_11reduce_implILb1ES3_NS6_12zip_iteratorINS7_INS6_11hip_rocprim26transform_input_iterator_tIbNSD_35transform_pair_of_input_iterators_tIbNS6_6detail15normal_iteratorINS6_10device_ptrIKsEEEESL_NS6_8equal_toIsEEEENSG_9not_fun_tINSD_8identityEEEEENSD_19counting_iterator_tIlEES8_S8_S8_S8_S8_S8_S8_S8_EEEEPS9_S9_NSD_9__find_if7functorIS9_EEEE10hipError_tPvRmT1_T2_T3_mT4_P12ihipStream_tbEUlT_E0_NS1_11comp_targetILNS1_3genE0ELNS1_11target_archE4294967295ELNS1_3gpuE0ELNS1_3repE0EEENS1_30default_config_static_selectorELNS0_4arch9wavefront6targetE1EEEvS14_,comdat
.Lfunc_end1696:
	.size	_ZN7rocprim17ROCPRIM_400000_NS6detail17trampoline_kernelINS0_14default_configENS1_22reduce_config_selectorIN6thrust23THRUST_200600_302600_NS5tupleIblNS6_9null_typeES8_S8_S8_S8_S8_S8_S8_EEEEZNS1_11reduce_implILb1ES3_NS6_12zip_iteratorINS7_INS6_11hip_rocprim26transform_input_iterator_tIbNSD_35transform_pair_of_input_iterators_tIbNS6_6detail15normal_iteratorINS6_10device_ptrIKsEEEESL_NS6_8equal_toIsEEEENSG_9not_fun_tINSD_8identityEEEEENSD_19counting_iterator_tIlEES8_S8_S8_S8_S8_S8_S8_S8_EEEEPS9_S9_NSD_9__find_if7functorIS9_EEEE10hipError_tPvRmT1_T2_T3_mT4_P12ihipStream_tbEUlT_E0_NS1_11comp_targetILNS1_3genE0ELNS1_11target_archE4294967295ELNS1_3gpuE0ELNS1_3repE0EEENS1_30default_config_static_selectorELNS0_4arch9wavefront6targetE1EEEvS14_, .Lfunc_end1696-_ZN7rocprim17ROCPRIM_400000_NS6detail17trampoline_kernelINS0_14default_configENS1_22reduce_config_selectorIN6thrust23THRUST_200600_302600_NS5tupleIblNS6_9null_typeES8_S8_S8_S8_S8_S8_S8_EEEEZNS1_11reduce_implILb1ES3_NS6_12zip_iteratorINS7_INS6_11hip_rocprim26transform_input_iterator_tIbNSD_35transform_pair_of_input_iterators_tIbNS6_6detail15normal_iteratorINS6_10device_ptrIKsEEEESL_NS6_8equal_toIsEEEENSG_9not_fun_tINSD_8identityEEEEENSD_19counting_iterator_tIlEES8_S8_S8_S8_S8_S8_S8_S8_EEEEPS9_S9_NSD_9__find_if7functorIS9_EEEE10hipError_tPvRmT1_T2_T3_mT4_P12ihipStream_tbEUlT_E0_NS1_11comp_targetILNS1_3genE0ELNS1_11target_archE4294967295ELNS1_3gpuE0ELNS1_3repE0EEENS1_30default_config_static_selectorELNS0_4arch9wavefront6targetE1EEEvS14_
                                        ; -- End function
	.set _ZN7rocprim17ROCPRIM_400000_NS6detail17trampoline_kernelINS0_14default_configENS1_22reduce_config_selectorIN6thrust23THRUST_200600_302600_NS5tupleIblNS6_9null_typeES8_S8_S8_S8_S8_S8_S8_EEEEZNS1_11reduce_implILb1ES3_NS6_12zip_iteratorINS7_INS6_11hip_rocprim26transform_input_iterator_tIbNSD_35transform_pair_of_input_iterators_tIbNS6_6detail15normal_iteratorINS6_10device_ptrIKsEEEESL_NS6_8equal_toIsEEEENSG_9not_fun_tINSD_8identityEEEEENSD_19counting_iterator_tIlEES8_S8_S8_S8_S8_S8_S8_S8_EEEEPS9_S9_NSD_9__find_if7functorIS9_EEEE10hipError_tPvRmT1_T2_T3_mT4_P12ihipStream_tbEUlT_E0_NS1_11comp_targetILNS1_3genE0ELNS1_11target_archE4294967295ELNS1_3gpuE0ELNS1_3repE0EEENS1_30default_config_static_selectorELNS0_4arch9wavefront6targetE1EEEvS14_.num_vgpr, 14
	.set _ZN7rocprim17ROCPRIM_400000_NS6detail17trampoline_kernelINS0_14default_configENS1_22reduce_config_selectorIN6thrust23THRUST_200600_302600_NS5tupleIblNS6_9null_typeES8_S8_S8_S8_S8_S8_S8_EEEEZNS1_11reduce_implILb1ES3_NS6_12zip_iteratorINS7_INS6_11hip_rocprim26transform_input_iterator_tIbNSD_35transform_pair_of_input_iterators_tIbNS6_6detail15normal_iteratorINS6_10device_ptrIKsEEEESL_NS6_8equal_toIsEEEENSG_9not_fun_tINSD_8identityEEEEENSD_19counting_iterator_tIlEES8_S8_S8_S8_S8_S8_S8_S8_EEEEPS9_S9_NSD_9__find_if7functorIS9_EEEE10hipError_tPvRmT1_T2_T3_mT4_P12ihipStream_tbEUlT_E0_NS1_11comp_targetILNS1_3genE0ELNS1_11target_archE4294967295ELNS1_3gpuE0ELNS1_3repE0EEENS1_30default_config_static_selectorELNS0_4arch9wavefront6targetE1EEEvS14_.num_agpr, 0
	.set _ZN7rocprim17ROCPRIM_400000_NS6detail17trampoline_kernelINS0_14default_configENS1_22reduce_config_selectorIN6thrust23THRUST_200600_302600_NS5tupleIblNS6_9null_typeES8_S8_S8_S8_S8_S8_S8_EEEEZNS1_11reduce_implILb1ES3_NS6_12zip_iteratorINS7_INS6_11hip_rocprim26transform_input_iterator_tIbNSD_35transform_pair_of_input_iterators_tIbNS6_6detail15normal_iteratorINS6_10device_ptrIKsEEEESL_NS6_8equal_toIsEEEENSG_9not_fun_tINSD_8identityEEEEENSD_19counting_iterator_tIlEES8_S8_S8_S8_S8_S8_S8_S8_EEEEPS9_S9_NSD_9__find_if7functorIS9_EEEE10hipError_tPvRmT1_T2_T3_mT4_P12ihipStream_tbEUlT_E0_NS1_11comp_targetILNS1_3genE0ELNS1_11target_archE4294967295ELNS1_3gpuE0ELNS1_3repE0EEENS1_30default_config_static_selectorELNS0_4arch9wavefront6targetE1EEEvS14_.numbered_sgpr, 28
	.set _ZN7rocprim17ROCPRIM_400000_NS6detail17trampoline_kernelINS0_14default_configENS1_22reduce_config_selectorIN6thrust23THRUST_200600_302600_NS5tupleIblNS6_9null_typeES8_S8_S8_S8_S8_S8_S8_EEEEZNS1_11reduce_implILb1ES3_NS6_12zip_iteratorINS7_INS6_11hip_rocprim26transform_input_iterator_tIbNSD_35transform_pair_of_input_iterators_tIbNS6_6detail15normal_iteratorINS6_10device_ptrIKsEEEESL_NS6_8equal_toIsEEEENSG_9not_fun_tINSD_8identityEEEEENSD_19counting_iterator_tIlEES8_S8_S8_S8_S8_S8_S8_S8_EEEEPS9_S9_NSD_9__find_if7functorIS9_EEEE10hipError_tPvRmT1_T2_T3_mT4_P12ihipStream_tbEUlT_E0_NS1_11comp_targetILNS1_3genE0ELNS1_11target_archE4294967295ELNS1_3gpuE0ELNS1_3repE0EEENS1_30default_config_static_selectorELNS0_4arch9wavefront6targetE1EEEvS14_.num_named_barrier, 0
	.set _ZN7rocprim17ROCPRIM_400000_NS6detail17trampoline_kernelINS0_14default_configENS1_22reduce_config_selectorIN6thrust23THRUST_200600_302600_NS5tupleIblNS6_9null_typeES8_S8_S8_S8_S8_S8_S8_EEEEZNS1_11reduce_implILb1ES3_NS6_12zip_iteratorINS7_INS6_11hip_rocprim26transform_input_iterator_tIbNSD_35transform_pair_of_input_iterators_tIbNS6_6detail15normal_iteratorINS6_10device_ptrIKsEEEESL_NS6_8equal_toIsEEEENSG_9not_fun_tINSD_8identityEEEEENSD_19counting_iterator_tIlEES8_S8_S8_S8_S8_S8_S8_S8_EEEEPS9_S9_NSD_9__find_if7functorIS9_EEEE10hipError_tPvRmT1_T2_T3_mT4_P12ihipStream_tbEUlT_E0_NS1_11comp_targetILNS1_3genE0ELNS1_11target_archE4294967295ELNS1_3gpuE0ELNS1_3repE0EEENS1_30default_config_static_selectorELNS0_4arch9wavefront6targetE1EEEvS14_.private_seg_size, 0
	.set _ZN7rocprim17ROCPRIM_400000_NS6detail17trampoline_kernelINS0_14default_configENS1_22reduce_config_selectorIN6thrust23THRUST_200600_302600_NS5tupleIblNS6_9null_typeES8_S8_S8_S8_S8_S8_S8_EEEEZNS1_11reduce_implILb1ES3_NS6_12zip_iteratorINS7_INS6_11hip_rocprim26transform_input_iterator_tIbNSD_35transform_pair_of_input_iterators_tIbNS6_6detail15normal_iteratorINS6_10device_ptrIKsEEEESL_NS6_8equal_toIsEEEENSG_9not_fun_tINSD_8identityEEEEENSD_19counting_iterator_tIlEES8_S8_S8_S8_S8_S8_S8_S8_EEEEPS9_S9_NSD_9__find_if7functorIS9_EEEE10hipError_tPvRmT1_T2_T3_mT4_P12ihipStream_tbEUlT_E0_NS1_11comp_targetILNS1_3genE0ELNS1_11target_archE4294967295ELNS1_3gpuE0ELNS1_3repE0EEENS1_30default_config_static_selectorELNS0_4arch9wavefront6targetE1EEEvS14_.uses_vcc, 1
	.set _ZN7rocprim17ROCPRIM_400000_NS6detail17trampoline_kernelINS0_14default_configENS1_22reduce_config_selectorIN6thrust23THRUST_200600_302600_NS5tupleIblNS6_9null_typeES8_S8_S8_S8_S8_S8_S8_EEEEZNS1_11reduce_implILb1ES3_NS6_12zip_iteratorINS7_INS6_11hip_rocprim26transform_input_iterator_tIbNSD_35transform_pair_of_input_iterators_tIbNS6_6detail15normal_iteratorINS6_10device_ptrIKsEEEESL_NS6_8equal_toIsEEEENSG_9not_fun_tINSD_8identityEEEEENSD_19counting_iterator_tIlEES8_S8_S8_S8_S8_S8_S8_S8_EEEEPS9_S9_NSD_9__find_if7functorIS9_EEEE10hipError_tPvRmT1_T2_T3_mT4_P12ihipStream_tbEUlT_E0_NS1_11comp_targetILNS1_3genE0ELNS1_11target_archE4294967295ELNS1_3gpuE0ELNS1_3repE0EEENS1_30default_config_static_selectorELNS0_4arch9wavefront6targetE1EEEvS14_.uses_flat_scratch, 0
	.set _ZN7rocprim17ROCPRIM_400000_NS6detail17trampoline_kernelINS0_14default_configENS1_22reduce_config_selectorIN6thrust23THRUST_200600_302600_NS5tupleIblNS6_9null_typeES8_S8_S8_S8_S8_S8_S8_EEEEZNS1_11reduce_implILb1ES3_NS6_12zip_iteratorINS7_INS6_11hip_rocprim26transform_input_iterator_tIbNSD_35transform_pair_of_input_iterators_tIbNS6_6detail15normal_iteratorINS6_10device_ptrIKsEEEESL_NS6_8equal_toIsEEEENSG_9not_fun_tINSD_8identityEEEEENSD_19counting_iterator_tIlEES8_S8_S8_S8_S8_S8_S8_S8_EEEEPS9_S9_NSD_9__find_if7functorIS9_EEEE10hipError_tPvRmT1_T2_T3_mT4_P12ihipStream_tbEUlT_E0_NS1_11comp_targetILNS1_3genE0ELNS1_11target_archE4294967295ELNS1_3gpuE0ELNS1_3repE0EEENS1_30default_config_static_selectorELNS0_4arch9wavefront6targetE1EEEvS14_.has_dyn_sized_stack, 0
	.set _ZN7rocprim17ROCPRIM_400000_NS6detail17trampoline_kernelINS0_14default_configENS1_22reduce_config_selectorIN6thrust23THRUST_200600_302600_NS5tupleIblNS6_9null_typeES8_S8_S8_S8_S8_S8_S8_EEEEZNS1_11reduce_implILb1ES3_NS6_12zip_iteratorINS7_INS6_11hip_rocprim26transform_input_iterator_tIbNSD_35transform_pair_of_input_iterators_tIbNS6_6detail15normal_iteratorINS6_10device_ptrIKsEEEESL_NS6_8equal_toIsEEEENSG_9not_fun_tINSD_8identityEEEEENSD_19counting_iterator_tIlEES8_S8_S8_S8_S8_S8_S8_S8_EEEEPS9_S9_NSD_9__find_if7functorIS9_EEEE10hipError_tPvRmT1_T2_T3_mT4_P12ihipStream_tbEUlT_E0_NS1_11comp_targetILNS1_3genE0ELNS1_11target_archE4294967295ELNS1_3gpuE0ELNS1_3repE0EEENS1_30default_config_static_selectorELNS0_4arch9wavefront6targetE1EEEvS14_.has_recursion, 0
	.set _ZN7rocprim17ROCPRIM_400000_NS6detail17trampoline_kernelINS0_14default_configENS1_22reduce_config_selectorIN6thrust23THRUST_200600_302600_NS5tupleIblNS6_9null_typeES8_S8_S8_S8_S8_S8_S8_EEEEZNS1_11reduce_implILb1ES3_NS6_12zip_iteratorINS7_INS6_11hip_rocprim26transform_input_iterator_tIbNSD_35transform_pair_of_input_iterators_tIbNS6_6detail15normal_iteratorINS6_10device_ptrIKsEEEESL_NS6_8equal_toIsEEEENSG_9not_fun_tINSD_8identityEEEEENSD_19counting_iterator_tIlEES8_S8_S8_S8_S8_S8_S8_S8_EEEEPS9_S9_NSD_9__find_if7functorIS9_EEEE10hipError_tPvRmT1_T2_T3_mT4_P12ihipStream_tbEUlT_E0_NS1_11comp_targetILNS1_3genE0ELNS1_11target_archE4294967295ELNS1_3gpuE0ELNS1_3repE0EEENS1_30default_config_static_selectorELNS0_4arch9wavefront6targetE1EEEvS14_.has_indirect_call, 0
	.section	.AMDGPU.csdata,"",@progbits
; Kernel info:
; codeLenInByte = 2864
; TotalNumSgprs: 34
; NumVgprs: 14
; NumAgprs: 0
; TotalNumVgprs: 14
; ScratchSize: 0
; MemoryBound: 0
; FloatMode: 240
; IeeeMode: 1
; LDSByteSize: 64 bytes/workgroup (compile time only)
; SGPRBlocks: 4
; VGPRBlocks: 1
; NumSGPRsForWavesPerEU: 34
; NumVGPRsForWavesPerEU: 14
; AccumOffset: 16
; Occupancy: 8
; WaveLimiterHint : 0
; COMPUTE_PGM_RSRC2:SCRATCH_EN: 0
; COMPUTE_PGM_RSRC2:USER_SGPR: 2
; COMPUTE_PGM_RSRC2:TRAP_HANDLER: 0
; COMPUTE_PGM_RSRC2:TGID_X_EN: 1
; COMPUTE_PGM_RSRC2:TGID_Y_EN: 0
; COMPUTE_PGM_RSRC2:TGID_Z_EN: 0
; COMPUTE_PGM_RSRC2:TIDIG_COMP_CNT: 0
; COMPUTE_PGM_RSRC3_GFX90A:ACCUM_OFFSET: 3
; COMPUTE_PGM_RSRC3_GFX90A:TG_SPLIT: 0
	.section	.text._ZN7rocprim17ROCPRIM_400000_NS6detail17trampoline_kernelINS0_14default_configENS1_22reduce_config_selectorIN6thrust23THRUST_200600_302600_NS5tupleIblNS6_9null_typeES8_S8_S8_S8_S8_S8_S8_EEEEZNS1_11reduce_implILb1ES3_NS6_12zip_iteratorINS7_INS6_11hip_rocprim26transform_input_iterator_tIbNSD_35transform_pair_of_input_iterators_tIbNS6_6detail15normal_iteratorINS6_10device_ptrIKsEEEESL_NS6_8equal_toIsEEEENSG_9not_fun_tINSD_8identityEEEEENSD_19counting_iterator_tIlEES8_S8_S8_S8_S8_S8_S8_S8_EEEEPS9_S9_NSD_9__find_if7functorIS9_EEEE10hipError_tPvRmT1_T2_T3_mT4_P12ihipStream_tbEUlT_E0_NS1_11comp_targetILNS1_3genE5ELNS1_11target_archE942ELNS1_3gpuE9ELNS1_3repE0EEENS1_30default_config_static_selectorELNS0_4arch9wavefront6targetE1EEEvS14_,"axG",@progbits,_ZN7rocprim17ROCPRIM_400000_NS6detail17trampoline_kernelINS0_14default_configENS1_22reduce_config_selectorIN6thrust23THRUST_200600_302600_NS5tupleIblNS6_9null_typeES8_S8_S8_S8_S8_S8_S8_EEEEZNS1_11reduce_implILb1ES3_NS6_12zip_iteratorINS7_INS6_11hip_rocprim26transform_input_iterator_tIbNSD_35transform_pair_of_input_iterators_tIbNS6_6detail15normal_iteratorINS6_10device_ptrIKsEEEESL_NS6_8equal_toIsEEEENSG_9not_fun_tINSD_8identityEEEEENSD_19counting_iterator_tIlEES8_S8_S8_S8_S8_S8_S8_S8_EEEEPS9_S9_NSD_9__find_if7functorIS9_EEEE10hipError_tPvRmT1_T2_T3_mT4_P12ihipStream_tbEUlT_E0_NS1_11comp_targetILNS1_3genE5ELNS1_11target_archE942ELNS1_3gpuE9ELNS1_3repE0EEENS1_30default_config_static_selectorELNS0_4arch9wavefront6targetE1EEEvS14_,comdat
	.protected	_ZN7rocprim17ROCPRIM_400000_NS6detail17trampoline_kernelINS0_14default_configENS1_22reduce_config_selectorIN6thrust23THRUST_200600_302600_NS5tupleIblNS6_9null_typeES8_S8_S8_S8_S8_S8_S8_EEEEZNS1_11reduce_implILb1ES3_NS6_12zip_iteratorINS7_INS6_11hip_rocprim26transform_input_iterator_tIbNSD_35transform_pair_of_input_iterators_tIbNS6_6detail15normal_iteratorINS6_10device_ptrIKsEEEESL_NS6_8equal_toIsEEEENSG_9not_fun_tINSD_8identityEEEEENSD_19counting_iterator_tIlEES8_S8_S8_S8_S8_S8_S8_S8_EEEEPS9_S9_NSD_9__find_if7functorIS9_EEEE10hipError_tPvRmT1_T2_T3_mT4_P12ihipStream_tbEUlT_E0_NS1_11comp_targetILNS1_3genE5ELNS1_11target_archE942ELNS1_3gpuE9ELNS1_3repE0EEENS1_30default_config_static_selectorELNS0_4arch9wavefront6targetE1EEEvS14_ ; -- Begin function _ZN7rocprim17ROCPRIM_400000_NS6detail17trampoline_kernelINS0_14default_configENS1_22reduce_config_selectorIN6thrust23THRUST_200600_302600_NS5tupleIblNS6_9null_typeES8_S8_S8_S8_S8_S8_S8_EEEEZNS1_11reduce_implILb1ES3_NS6_12zip_iteratorINS7_INS6_11hip_rocprim26transform_input_iterator_tIbNSD_35transform_pair_of_input_iterators_tIbNS6_6detail15normal_iteratorINS6_10device_ptrIKsEEEESL_NS6_8equal_toIsEEEENSG_9not_fun_tINSD_8identityEEEEENSD_19counting_iterator_tIlEES8_S8_S8_S8_S8_S8_S8_S8_EEEEPS9_S9_NSD_9__find_if7functorIS9_EEEE10hipError_tPvRmT1_T2_T3_mT4_P12ihipStream_tbEUlT_E0_NS1_11comp_targetILNS1_3genE5ELNS1_11target_archE942ELNS1_3gpuE9ELNS1_3repE0EEENS1_30default_config_static_selectorELNS0_4arch9wavefront6targetE1EEEvS14_
	.globl	_ZN7rocprim17ROCPRIM_400000_NS6detail17trampoline_kernelINS0_14default_configENS1_22reduce_config_selectorIN6thrust23THRUST_200600_302600_NS5tupleIblNS6_9null_typeES8_S8_S8_S8_S8_S8_S8_EEEEZNS1_11reduce_implILb1ES3_NS6_12zip_iteratorINS7_INS6_11hip_rocprim26transform_input_iterator_tIbNSD_35transform_pair_of_input_iterators_tIbNS6_6detail15normal_iteratorINS6_10device_ptrIKsEEEESL_NS6_8equal_toIsEEEENSG_9not_fun_tINSD_8identityEEEEENSD_19counting_iterator_tIlEES8_S8_S8_S8_S8_S8_S8_S8_EEEEPS9_S9_NSD_9__find_if7functorIS9_EEEE10hipError_tPvRmT1_T2_T3_mT4_P12ihipStream_tbEUlT_E0_NS1_11comp_targetILNS1_3genE5ELNS1_11target_archE942ELNS1_3gpuE9ELNS1_3repE0EEENS1_30default_config_static_selectorELNS0_4arch9wavefront6targetE1EEEvS14_
	.p2align	8
	.type	_ZN7rocprim17ROCPRIM_400000_NS6detail17trampoline_kernelINS0_14default_configENS1_22reduce_config_selectorIN6thrust23THRUST_200600_302600_NS5tupleIblNS6_9null_typeES8_S8_S8_S8_S8_S8_S8_EEEEZNS1_11reduce_implILb1ES3_NS6_12zip_iteratorINS7_INS6_11hip_rocprim26transform_input_iterator_tIbNSD_35transform_pair_of_input_iterators_tIbNS6_6detail15normal_iteratorINS6_10device_ptrIKsEEEESL_NS6_8equal_toIsEEEENSG_9not_fun_tINSD_8identityEEEEENSD_19counting_iterator_tIlEES8_S8_S8_S8_S8_S8_S8_S8_EEEEPS9_S9_NSD_9__find_if7functorIS9_EEEE10hipError_tPvRmT1_T2_T3_mT4_P12ihipStream_tbEUlT_E0_NS1_11comp_targetILNS1_3genE5ELNS1_11target_archE942ELNS1_3gpuE9ELNS1_3repE0EEENS1_30default_config_static_selectorELNS0_4arch9wavefront6targetE1EEEvS14_,@function
_ZN7rocprim17ROCPRIM_400000_NS6detail17trampoline_kernelINS0_14default_configENS1_22reduce_config_selectorIN6thrust23THRUST_200600_302600_NS5tupleIblNS6_9null_typeES8_S8_S8_S8_S8_S8_S8_EEEEZNS1_11reduce_implILb1ES3_NS6_12zip_iteratorINS7_INS6_11hip_rocprim26transform_input_iterator_tIbNSD_35transform_pair_of_input_iterators_tIbNS6_6detail15normal_iteratorINS6_10device_ptrIKsEEEESL_NS6_8equal_toIsEEEENSG_9not_fun_tINSD_8identityEEEEENSD_19counting_iterator_tIlEES8_S8_S8_S8_S8_S8_S8_S8_EEEEPS9_S9_NSD_9__find_if7functorIS9_EEEE10hipError_tPvRmT1_T2_T3_mT4_P12ihipStream_tbEUlT_E0_NS1_11comp_targetILNS1_3genE5ELNS1_11target_archE942ELNS1_3gpuE9ELNS1_3repE0EEENS1_30default_config_static_selectorELNS0_4arch9wavefront6targetE1EEEvS14_: ; @_ZN7rocprim17ROCPRIM_400000_NS6detail17trampoline_kernelINS0_14default_configENS1_22reduce_config_selectorIN6thrust23THRUST_200600_302600_NS5tupleIblNS6_9null_typeES8_S8_S8_S8_S8_S8_S8_EEEEZNS1_11reduce_implILb1ES3_NS6_12zip_iteratorINS7_INS6_11hip_rocprim26transform_input_iterator_tIbNSD_35transform_pair_of_input_iterators_tIbNS6_6detail15normal_iteratorINS6_10device_ptrIKsEEEESL_NS6_8equal_toIsEEEENSG_9not_fun_tINSD_8identityEEEEENSD_19counting_iterator_tIlEES8_S8_S8_S8_S8_S8_S8_S8_EEEEPS9_S9_NSD_9__find_if7functorIS9_EEEE10hipError_tPvRmT1_T2_T3_mT4_P12ihipStream_tbEUlT_E0_NS1_11comp_targetILNS1_3genE5ELNS1_11target_archE942ELNS1_3gpuE9ELNS1_3repE0EEENS1_30default_config_static_selectorELNS0_4arch9wavefront6targetE1EEEvS14_
; %bb.0:
	.section	.rodata,"a",@progbits
	.p2align	6, 0x0
	.amdhsa_kernel _ZN7rocprim17ROCPRIM_400000_NS6detail17trampoline_kernelINS0_14default_configENS1_22reduce_config_selectorIN6thrust23THRUST_200600_302600_NS5tupleIblNS6_9null_typeES8_S8_S8_S8_S8_S8_S8_EEEEZNS1_11reduce_implILb1ES3_NS6_12zip_iteratorINS7_INS6_11hip_rocprim26transform_input_iterator_tIbNSD_35transform_pair_of_input_iterators_tIbNS6_6detail15normal_iteratorINS6_10device_ptrIKsEEEESL_NS6_8equal_toIsEEEENSG_9not_fun_tINSD_8identityEEEEENSD_19counting_iterator_tIlEES8_S8_S8_S8_S8_S8_S8_S8_EEEEPS9_S9_NSD_9__find_if7functorIS9_EEEE10hipError_tPvRmT1_T2_T3_mT4_P12ihipStream_tbEUlT_E0_NS1_11comp_targetILNS1_3genE5ELNS1_11target_archE942ELNS1_3gpuE9ELNS1_3repE0EEENS1_30default_config_static_selectorELNS0_4arch9wavefront6targetE1EEEvS14_
		.amdhsa_group_segment_fixed_size 0
		.amdhsa_private_segment_fixed_size 0
		.amdhsa_kernarg_size 104
		.amdhsa_user_sgpr_count 2
		.amdhsa_user_sgpr_dispatch_ptr 0
		.amdhsa_user_sgpr_queue_ptr 0
		.amdhsa_user_sgpr_kernarg_segment_ptr 1
		.amdhsa_user_sgpr_dispatch_id 0
		.amdhsa_user_sgpr_kernarg_preload_length 0
		.amdhsa_user_sgpr_kernarg_preload_offset 0
		.amdhsa_user_sgpr_private_segment_size 0
		.amdhsa_uses_dynamic_stack 0
		.amdhsa_enable_private_segment 0
		.amdhsa_system_sgpr_workgroup_id_x 1
		.amdhsa_system_sgpr_workgroup_id_y 0
		.amdhsa_system_sgpr_workgroup_id_z 0
		.amdhsa_system_sgpr_workgroup_info 0
		.amdhsa_system_vgpr_workitem_id 0
		.amdhsa_next_free_vgpr 1
		.amdhsa_next_free_sgpr 0
		.amdhsa_accum_offset 4
		.amdhsa_reserve_vcc 0
		.amdhsa_float_round_mode_32 0
		.amdhsa_float_round_mode_16_64 0
		.amdhsa_float_denorm_mode_32 3
		.amdhsa_float_denorm_mode_16_64 3
		.amdhsa_dx10_clamp 1
		.amdhsa_ieee_mode 1
		.amdhsa_fp16_overflow 0
		.amdhsa_tg_split 0
		.amdhsa_exception_fp_ieee_invalid_op 0
		.amdhsa_exception_fp_denorm_src 0
		.amdhsa_exception_fp_ieee_div_zero 0
		.amdhsa_exception_fp_ieee_overflow 0
		.amdhsa_exception_fp_ieee_underflow 0
		.amdhsa_exception_fp_ieee_inexact 0
		.amdhsa_exception_int_div_zero 0
	.end_amdhsa_kernel
	.section	.text._ZN7rocprim17ROCPRIM_400000_NS6detail17trampoline_kernelINS0_14default_configENS1_22reduce_config_selectorIN6thrust23THRUST_200600_302600_NS5tupleIblNS6_9null_typeES8_S8_S8_S8_S8_S8_S8_EEEEZNS1_11reduce_implILb1ES3_NS6_12zip_iteratorINS7_INS6_11hip_rocprim26transform_input_iterator_tIbNSD_35transform_pair_of_input_iterators_tIbNS6_6detail15normal_iteratorINS6_10device_ptrIKsEEEESL_NS6_8equal_toIsEEEENSG_9not_fun_tINSD_8identityEEEEENSD_19counting_iterator_tIlEES8_S8_S8_S8_S8_S8_S8_S8_EEEEPS9_S9_NSD_9__find_if7functorIS9_EEEE10hipError_tPvRmT1_T2_T3_mT4_P12ihipStream_tbEUlT_E0_NS1_11comp_targetILNS1_3genE5ELNS1_11target_archE942ELNS1_3gpuE9ELNS1_3repE0EEENS1_30default_config_static_selectorELNS0_4arch9wavefront6targetE1EEEvS14_,"axG",@progbits,_ZN7rocprim17ROCPRIM_400000_NS6detail17trampoline_kernelINS0_14default_configENS1_22reduce_config_selectorIN6thrust23THRUST_200600_302600_NS5tupleIblNS6_9null_typeES8_S8_S8_S8_S8_S8_S8_EEEEZNS1_11reduce_implILb1ES3_NS6_12zip_iteratorINS7_INS6_11hip_rocprim26transform_input_iterator_tIbNSD_35transform_pair_of_input_iterators_tIbNS6_6detail15normal_iteratorINS6_10device_ptrIKsEEEESL_NS6_8equal_toIsEEEENSG_9not_fun_tINSD_8identityEEEEENSD_19counting_iterator_tIlEES8_S8_S8_S8_S8_S8_S8_S8_EEEEPS9_S9_NSD_9__find_if7functorIS9_EEEE10hipError_tPvRmT1_T2_T3_mT4_P12ihipStream_tbEUlT_E0_NS1_11comp_targetILNS1_3genE5ELNS1_11target_archE942ELNS1_3gpuE9ELNS1_3repE0EEENS1_30default_config_static_selectorELNS0_4arch9wavefront6targetE1EEEvS14_,comdat
.Lfunc_end1697:
	.size	_ZN7rocprim17ROCPRIM_400000_NS6detail17trampoline_kernelINS0_14default_configENS1_22reduce_config_selectorIN6thrust23THRUST_200600_302600_NS5tupleIblNS6_9null_typeES8_S8_S8_S8_S8_S8_S8_EEEEZNS1_11reduce_implILb1ES3_NS6_12zip_iteratorINS7_INS6_11hip_rocprim26transform_input_iterator_tIbNSD_35transform_pair_of_input_iterators_tIbNS6_6detail15normal_iteratorINS6_10device_ptrIKsEEEESL_NS6_8equal_toIsEEEENSG_9not_fun_tINSD_8identityEEEEENSD_19counting_iterator_tIlEES8_S8_S8_S8_S8_S8_S8_S8_EEEEPS9_S9_NSD_9__find_if7functorIS9_EEEE10hipError_tPvRmT1_T2_T3_mT4_P12ihipStream_tbEUlT_E0_NS1_11comp_targetILNS1_3genE5ELNS1_11target_archE942ELNS1_3gpuE9ELNS1_3repE0EEENS1_30default_config_static_selectorELNS0_4arch9wavefront6targetE1EEEvS14_, .Lfunc_end1697-_ZN7rocprim17ROCPRIM_400000_NS6detail17trampoline_kernelINS0_14default_configENS1_22reduce_config_selectorIN6thrust23THRUST_200600_302600_NS5tupleIblNS6_9null_typeES8_S8_S8_S8_S8_S8_S8_EEEEZNS1_11reduce_implILb1ES3_NS6_12zip_iteratorINS7_INS6_11hip_rocprim26transform_input_iterator_tIbNSD_35transform_pair_of_input_iterators_tIbNS6_6detail15normal_iteratorINS6_10device_ptrIKsEEEESL_NS6_8equal_toIsEEEENSG_9not_fun_tINSD_8identityEEEEENSD_19counting_iterator_tIlEES8_S8_S8_S8_S8_S8_S8_S8_EEEEPS9_S9_NSD_9__find_if7functorIS9_EEEE10hipError_tPvRmT1_T2_T3_mT4_P12ihipStream_tbEUlT_E0_NS1_11comp_targetILNS1_3genE5ELNS1_11target_archE942ELNS1_3gpuE9ELNS1_3repE0EEENS1_30default_config_static_selectorELNS0_4arch9wavefront6targetE1EEEvS14_
                                        ; -- End function
	.set _ZN7rocprim17ROCPRIM_400000_NS6detail17trampoline_kernelINS0_14default_configENS1_22reduce_config_selectorIN6thrust23THRUST_200600_302600_NS5tupleIblNS6_9null_typeES8_S8_S8_S8_S8_S8_S8_EEEEZNS1_11reduce_implILb1ES3_NS6_12zip_iteratorINS7_INS6_11hip_rocprim26transform_input_iterator_tIbNSD_35transform_pair_of_input_iterators_tIbNS6_6detail15normal_iteratorINS6_10device_ptrIKsEEEESL_NS6_8equal_toIsEEEENSG_9not_fun_tINSD_8identityEEEEENSD_19counting_iterator_tIlEES8_S8_S8_S8_S8_S8_S8_S8_EEEEPS9_S9_NSD_9__find_if7functorIS9_EEEE10hipError_tPvRmT1_T2_T3_mT4_P12ihipStream_tbEUlT_E0_NS1_11comp_targetILNS1_3genE5ELNS1_11target_archE942ELNS1_3gpuE9ELNS1_3repE0EEENS1_30default_config_static_selectorELNS0_4arch9wavefront6targetE1EEEvS14_.num_vgpr, 0
	.set _ZN7rocprim17ROCPRIM_400000_NS6detail17trampoline_kernelINS0_14default_configENS1_22reduce_config_selectorIN6thrust23THRUST_200600_302600_NS5tupleIblNS6_9null_typeES8_S8_S8_S8_S8_S8_S8_EEEEZNS1_11reduce_implILb1ES3_NS6_12zip_iteratorINS7_INS6_11hip_rocprim26transform_input_iterator_tIbNSD_35transform_pair_of_input_iterators_tIbNS6_6detail15normal_iteratorINS6_10device_ptrIKsEEEESL_NS6_8equal_toIsEEEENSG_9not_fun_tINSD_8identityEEEEENSD_19counting_iterator_tIlEES8_S8_S8_S8_S8_S8_S8_S8_EEEEPS9_S9_NSD_9__find_if7functorIS9_EEEE10hipError_tPvRmT1_T2_T3_mT4_P12ihipStream_tbEUlT_E0_NS1_11comp_targetILNS1_3genE5ELNS1_11target_archE942ELNS1_3gpuE9ELNS1_3repE0EEENS1_30default_config_static_selectorELNS0_4arch9wavefront6targetE1EEEvS14_.num_agpr, 0
	.set _ZN7rocprim17ROCPRIM_400000_NS6detail17trampoline_kernelINS0_14default_configENS1_22reduce_config_selectorIN6thrust23THRUST_200600_302600_NS5tupleIblNS6_9null_typeES8_S8_S8_S8_S8_S8_S8_EEEEZNS1_11reduce_implILb1ES3_NS6_12zip_iteratorINS7_INS6_11hip_rocprim26transform_input_iterator_tIbNSD_35transform_pair_of_input_iterators_tIbNS6_6detail15normal_iteratorINS6_10device_ptrIKsEEEESL_NS6_8equal_toIsEEEENSG_9not_fun_tINSD_8identityEEEEENSD_19counting_iterator_tIlEES8_S8_S8_S8_S8_S8_S8_S8_EEEEPS9_S9_NSD_9__find_if7functorIS9_EEEE10hipError_tPvRmT1_T2_T3_mT4_P12ihipStream_tbEUlT_E0_NS1_11comp_targetILNS1_3genE5ELNS1_11target_archE942ELNS1_3gpuE9ELNS1_3repE0EEENS1_30default_config_static_selectorELNS0_4arch9wavefront6targetE1EEEvS14_.numbered_sgpr, 0
	.set _ZN7rocprim17ROCPRIM_400000_NS6detail17trampoline_kernelINS0_14default_configENS1_22reduce_config_selectorIN6thrust23THRUST_200600_302600_NS5tupleIblNS6_9null_typeES8_S8_S8_S8_S8_S8_S8_EEEEZNS1_11reduce_implILb1ES3_NS6_12zip_iteratorINS7_INS6_11hip_rocprim26transform_input_iterator_tIbNSD_35transform_pair_of_input_iterators_tIbNS6_6detail15normal_iteratorINS6_10device_ptrIKsEEEESL_NS6_8equal_toIsEEEENSG_9not_fun_tINSD_8identityEEEEENSD_19counting_iterator_tIlEES8_S8_S8_S8_S8_S8_S8_S8_EEEEPS9_S9_NSD_9__find_if7functorIS9_EEEE10hipError_tPvRmT1_T2_T3_mT4_P12ihipStream_tbEUlT_E0_NS1_11comp_targetILNS1_3genE5ELNS1_11target_archE942ELNS1_3gpuE9ELNS1_3repE0EEENS1_30default_config_static_selectorELNS0_4arch9wavefront6targetE1EEEvS14_.num_named_barrier, 0
	.set _ZN7rocprim17ROCPRIM_400000_NS6detail17trampoline_kernelINS0_14default_configENS1_22reduce_config_selectorIN6thrust23THRUST_200600_302600_NS5tupleIblNS6_9null_typeES8_S8_S8_S8_S8_S8_S8_EEEEZNS1_11reduce_implILb1ES3_NS6_12zip_iteratorINS7_INS6_11hip_rocprim26transform_input_iterator_tIbNSD_35transform_pair_of_input_iterators_tIbNS6_6detail15normal_iteratorINS6_10device_ptrIKsEEEESL_NS6_8equal_toIsEEEENSG_9not_fun_tINSD_8identityEEEEENSD_19counting_iterator_tIlEES8_S8_S8_S8_S8_S8_S8_S8_EEEEPS9_S9_NSD_9__find_if7functorIS9_EEEE10hipError_tPvRmT1_T2_T3_mT4_P12ihipStream_tbEUlT_E0_NS1_11comp_targetILNS1_3genE5ELNS1_11target_archE942ELNS1_3gpuE9ELNS1_3repE0EEENS1_30default_config_static_selectorELNS0_4arch9wavefront6targetE1EEEvS14_.private_seg_size, 0
	.set _ZN7rocprim17ROCPRIM_400000_NS6detail17trampoline_kernelINS0_14default_configENS1_22reduce_config_selectorIN6thrust23THRUST_200600_302600_NS5tupleIblNS6_9null_typeES8_S8_S8_S8_S8_S8_S8_EEEEZNS1_11reduce_implILb1ES3_NS6_12zip_iteratorINS7_INS6_11hip_rocprim26transform_input_iterator_tIbNSD_35transform_pair_of_input_iterators_tIbNS6_6detail15normal_iteratorINS6_10device_ptrIKsEEEESL_NS6_8equal_toIsEEEENSG_9not_fun_tINSD_8identityEEEEENSD_19counting_iterator_tIlEES8_S8_S8_S8_S8_S8_S8_S8_EEEEPS9_S9_NSD_9__find_if7functorIS9_EEEE10hipError_tPvRmT1_T2_T3_mT4_P12ihipStream_tbEUlT_E0_NS1_11comp_targetILNS1_3genE5ELNS1_11target_archE942ELNS1_3gpuE9ELNS1_3repE0EEENS1_30default_config_static_selectorELNS0_4arch9wavefront6targetE1EEEvS14_.uses_vcc, 0
	.set _ZN7rocprim17ROCPRIM_400000_NS6detail17trampoline_kernelINS0_14default_configENS1_22reduce_config_selectorIN6thrust23THRUST_200600_302600_NS5tupleIblNS6_9null_typeES8_S8_S8_S8_S8_S8_S8_EEEEZNS1_11reduce_implILb1ES3_NS6_12zip_iteratorINS7_INS6_11hip_rocprim26transform_input_iterator_tIbNSD_35transform_pair_of_input_iterators_tIbNS6_6detail15normal_iteratorINS6_10device_ptrIKsEEEESL_NS6_8equal_toIsEEEENSG_9not_fun_tINSD_8identityEEEEENSD_19counting_iterator_tIlEES8_S8_S8_S8_S8_S8_S8_S8_EEEEPS9_S9_NSD_9__find_if7functorIS9_EEEE10hipError_tPvRmT1_T2_T3_mT4_P12ihipStream_tbEUlT_E0_NS1_11comp_targetILNS1_3genE5ELNS1_11target_archE942ELNS1_3gpuE9ELNS1_3repE0EEENS1_30default_config_static_selectorELNS0_4arch9wavefront6targetE1EEEvS14_.uses_flat_scratch, 0
	.set _ZN7rocprim17ROCPRIM_400000_NS6detail17trampoline_kernelINS0_14default_configENS1_22reduce_config_selectorIN6thrust23THRUST_200600_302600_NS5tupleIblNS6_9null_typeES8_S8_S8_S8_S8_S8_S8_EEEEZNS1_11reduce_implILb1ES3_NS6_12zip_iteratorINS7_INS6_11hip_rocprim26transform_input_iterator_tIbNSD_35transform_pair_of_input_iterators_tIbNS6_6detail15normal_iteratorINS6_10device_ptrIKsEEEESL_NS6_8equal_toIsEEEENSG_9not_fun_tINSD_8identityEEEEENSD_19counting_iterator_tIlEES8_S8_S8_S8_S8_S8_S8_S8_EEEEPS9_S9_NSD_9__find_if7functorIS9_EEEE10hipError_tPvRmT1_T2_T3_mT4_P12ihipStream_tbEUlT_E0_NS1_11comp_targetILNS1_3genE5ELNS1_11target_archE942ELNS1_3gpuE9ELNS1_3repE0EEENS1_30default_config_static_selectorELNS0_4arch9wavefront6targetE1EEEvS14_.has_dyn_sized_stack, 0
	.set _ZN7rocprim17ROCPRIM_400000_NS6detail17trampoline_kernelINS0_14default_configENS1_22reduce_config_selectorIN6thrust23THRUST_200600_302600_NS5tupleIblNS6_9null_typeES8_S8_S8_S8_S8_S8_S8_EEEEZNS1_11reduce_implILb1ES3_NS6_12zip_iteratorINS7_INS6_11hip_rocprim26transform_input_iterator_tIbNSD_35transform_pair_of_input_iterators_tIbNS6_6detail15normal_iteratorINS6_10device_ptrIKsEEEESL_NS6_8equal_toIsEEEENSG_9not_fun_tINSD_8identityEEEEENSD_19counting_iterator_tIlEES8_S8_S8_S8_S8_S8_S8_S8_EEEEPS9_S9_NSD_9__find_if7functorIS9_EEEE10hipError_tPvRmT1_T2_T3_mT4_P12ihipStream_tbEUlT_E0_NS1_11comp_targetILNS1_3genE5ELNS1_11target_archE942ELNS1_3gpuE9ELNS1_3repE0EEENS1_30default_config_static_selectorELNS0_4arch9wavefront6targetE1EEEvS14_.has_recursion, 0
	.set _ZN7rocprim17ROCPRIM_400000_NS6detail17trampoline_kernelINS0_14default_configENS1_22reduce_config_selectorIN6thrust23THRUST_200600_302600_NS5tupleIblNS6_9null_typeES8_S8_S8_S8_S8_S8_S8_EEEEZNS1_11reduce_implILb1ES3_NS6_12zip_iteratorINS7_INS6_11hip_rocprim26transform_input_iterator_tIbNSD_35transform_pair_of_input_iterators_tIbNS6_6detail15normal_iteratorINS6_10device_ptrIKsEEEESL_NS6_8equal_toIsEEEENSG_9not_fun_tINSD_8identityEEEEENSD_19counting_iterator_tIlEES8_S8_S8_S8_S8_S8_S8_S8_EEEEPS9_S9_NSD_9__find_if7functorIS9_EEEE10hipError_tPvRmT1_T2_T3_mT4_P12ihipStream_tbEUlT_E0_NS1_11comp_targetILNS1_3genE5ELNS1_11target_archE942ELNS1_3gpuE9ELNS1_3repE0EEENS1_30default_config_static_selectorELNS0_4arch9wavefront6targetE1EEEvS14_.has_indirect_call, 0
	.section	.AMDGPU.csdata,"",@progbits
; Kernel info:
; codeLenInByte = 0
; TotalNumSgprs: 6
; NumVgprs: 0
; NumAgprs: 0
; TotalNumVgprs: 0
; ScratchSize: 0
; MemoryBound: 0
; FloatMode: 240
; IeeeMode: 1
; LDSByteSize: 0 bytes/workgroup (compile time only)
; SGPRBlocks: 0
; VGPRBlocks: 0
; NumSGPRsForWavesPerEU: 6
; NumVGPRsForWavesPerEU: 1
; AccumOffset: 4
; Occupancy: 8
; WaveLimiterHint : 0
; COMPUTE_PGM_RSRC2:SCRATCH_EN: 0
; COMPUTE_PGM_RSRC2:USER_SGPR: 2
; COMPUTE_PGM_RSRC2:TRAP_HANDLER: 0
; COMPUTE_PGM_RSRC2:TGID_X_EN: 1
; COMPUTE_PGM_RSRC2:TGID_Y_EN: 0
; COMPUTE_PGM_RSRC2:TGID_Z_EN: 0
; COMPUTE_PGM_RSRC2:TIDIG_COMP_CNT: 0
; COMPUTE_PGM_RSRC3_GFX90A:ACCUM_OFFSET: 0
; COMPUTE_PGM_RSRC3_GFX90A:TG_SPLIT: 0
	.section	.text._ZN7rocprim17ROCPRIM_400000_NS6detail17trampoline_kernelINS0_14default_configENS1_22reduce_config_selectorIN6thrust23THRUST_200600_302600_NS5tupleIblNS6_9null_typeES8_S8_S8_S8_S8_S8_S8_EEEEZNS1_11reduce_implILb1ES3_NS6_12zip_iteratorINS7_INS6_11hip_rocprim26transform_input_iterator_tIbNSD_35transform_pair_of_input_iterators_tIbNS6_6detail15normal_iteratorINS6_10device_ptrIKsEEEESL_NS6_8equal_toIsEEEENSG_9not_fun_tINSD_8identityEEEEENSD_19counting_iterator_tIlEES8_S8_S8_S8_S8_S8_S8_S8_EEEEPS9_S9_NSD_9__find_if7functorIS9_EEEE10hipError_tPvRmT1_T2_T3_mT4_P12ihipStream_tbEUlT_E0_NS1_11comp_targetILNS1_3genE4ELNS1_11target_archE910ELNS1_3gpuE8ELNS1_3repE0EEENS1_30default_config_static_selectorELNS0_4arch9wavefront6targetE1EEEvS14_,"axG",@progbits,_ZN7rocprim17ROCPRIM_400000_NS6detail17trampoline_kernelINS0_14default_configENS1_22reduce_config_selectorIN6thrust23THRUST_200600_302600_NS5tupleIblNS6_9null_typeES8_S8_S8_S8_S8_S8_S8_EEEEZNS1_11reduce_implILb1ES3_NS6_12zip_iteratorINS7_INS6_11hip_rocprim26transform_input_iterator_tIbNSD_35transform_pair_of_input_iterators_tIbNS6_6detail15normal_iteratorINS6_10device_ptrIKsEEEESL_NS6_8equal_toIsEEEENSG_9not_fun_tINSD_8identityEEEEENSD_19counting_iterator_tIlEES8_S8_S8_S8_S8_S8_S8_S8_EEEEPS9_S9_NSD_9__find_if7functorIS9_EEEE10hipError_tPvRmT1_T2_T3_mT4_P12ihipStream_tbEUlT_E0_NS1_11comp_targetILNS1_3genE4ELNS1_11target_archE910ELNS1_3gpuE8ELNS1_3repE0EEENS1_30default_config_static_selectorELNS0_4arch9wavefront6targetE1EEEvS14_,comdat
	.protected	_ZN7rocprim17ROCPRIM_400000_NS6detail17trampoline_kernelINS0_14default_configENS1_22reduce_config_selectorIN6thrust23THRUST_200600_302600_NS5tupleIblNS6_9null_typeES8_S8_S8_S8_S8_S8_S8_EEEEZNS1_11reduce_implILb1ES3_NS6_12zip_iteratorINS7_INS6_11hip_rocprim26transform_input_iterator_tIbNSD_35transform_pair_of_input_iterators_tIbNS6_6detail15normal_iteratorINS6_10device_ptrIKsEEEESL_NS6_8equal_toIsEEEENSG_9not_fun_tINSD_8identityEEEEENSD_19counting_iterator_tIlEES8_S8_S8_S8_S8_S8_S8_S8_EEEEPS9_S9_NSD_9__find_if7functorIS9_EEEE10hipError_tPvRmT1_T2_T3_mT4_P12ihipStream_tbEUlT_E0_NS1_11comp_targetILNS1_3genE4ELNS1_11target_archE910ELNS1_3gpuE8ELNS1_3repE0EEENS1_30default_config_static_selectorELNS0_4arch9wavefront6targetE1EEEvS14_ ; -- Begin function _ZN7rocprim17ROCPRIM_400000_NS6detail17trampoline_kernelINS0_14default_configENS1_22reduce_config_selectorIN6thrust23THRUST_200600_302600_NS5tupleIblNS6_9null_typeES8_S8_S8_S8_S8_S8_S8_EEEEZNS1_11reduce_implILb1ES3_NS6_12zip_iteratorINS7_INS6_11hip_rocprim26transform_input_iterator_tIbNSD_35transform_pair_of_input_iterators_tIbNS6_6detail15normal_iteratorINS6_10device_ptrIKsEEEESL_NS6_8equal_toIsEEEENSG_9not_fun_tINSD_8identityEEEEENSD_19counting_iterator_tIlEES8_S8_S8_S8_S8_S8_S8_S8_EEEEPS9_S9_NSD_9__find_if7functorIS9_EEEE10hipError_tPvRmT1_T2_T3_mT4_P12ihipStream_tbEUlT_E0_NS1_11comp_targetILNS1_3genE4ELNS1_11target_archE910ELNS1_3gpuE8ELNS1_3repE0EEENS1_30default_config_static_selectorELNS0_4arch9wavefront6targetE1EEEvS14_
	.globl	_ZN7rocprim17ROCPRIM_400000_NS6detail17trampoline_kernelINS0_14default_configENS1_22reduce_config_selectorIN6thrust23THRUST_200600_302600_NS5tupleIblNS6_9null_typeES8_S8_S8_S8_S8_S8_S8_EEEEZNS1_11reduce_implILb1ES3_NS6_12zip_iteratorINS7_INS6_11hip_rocprim26transform_input_iterator_tIbNSD_35transform_pair_of_input_iterators_tIbNS6_6detail15normal_iteratorINS6_10device_ptrIKsEEEESL_NS6_8equal_toIsEEEENSG_9not_fun_tINSD_8identityEEEEENSD_19counting_iterator_tIlEES8_S8_S8_S8_S8_S8_S8_S8_EEEEPS9_S9_NSD_9__find_if7functorIS9_EEEE10hipError_tPvRmT1_T2_T3_mT4_P12ihipStream_tbEUlT_E0_NS1_11comp_targetILNS1_3genE4ELNS1_11target_archE910ELNS1_3gpuE8ELNS1_3repE0EEENS1_30default_config_static_selectorELNS0_4arch9wavefront6targetE1EEEvS14_
	.p2align	8
	.type	_ZN7rocprim17ROCPRIM_400000_NS6detail17trampoline_kernelINS0_14default_configENS1_22reduce_config_selectorIN6thrust23THRUST_200600_302600_NS5tupleIblNS6_9null_typeES8_S8_S8_S8_S8_S8_S8_EEEEZNS1_11reduce_implILb1ES3_NS6_12zip_iteratorINS7_INS6_11hip_rocprim26transform_input_iterator_tIbNSD_35transform_pair_of_input_iterators_tIbNS6_6detail15normal_iteratorINS6_10device_ptrIKsEEEESL_NS6_8equal_toIsEEEENSG_9not_fun_tINSD_8identityEEEEENSD_19counting_iterator_tIlEES8_S8_S8_S8_S8_S8_S8_S8_EEEEPS9_S9_NSD_9__find_if7functorIS9_EEEE10hipError_tPvRmT1_T2_T3_mT4_P12ihipStream_tbEUlT_E0_NS1_11comp_targetILNS1_3genE4ELNS1_11target_archE910ELNS1_3gpuE8ELNS1_3repE0EEENS1_30default_config_static_selectorELNS0_4arch9wavefront6targetE1EEEvS14_,@function
_ZN7rocprim17ROCPRIM_400000_NS6detail17trampoline_kernelINS0_14default_configENS1_22reduce_config_selectorIN6thrust23THRUST_200600_302600_NS5tupleIblNS6_9null_typeES8_S8_S8_S8_S8_S8_S8_EEEEZNS1_11reduce_implILb1ES3_NS6_12zip_iteratorINS7_INS6_11hip_rocprim26transform_input_iterator_tIbNSD_35transform_pair_of_input_iterators_tIbNS6_6detail15normal_iteratorINS6_10device_ptrIKsEEEESL_NS6_8equal_toIsEEEENSG_9not_fun_tINSD_8identityEEEEENSD_19counting_iterator_tIlEES8_S8_S8_S8_S8_S8_S8_S8_EEEEPS9_S9_NSD_9__find_if7functorIS9_EEEE10hipError_tPvRmT1_T2_T3_mT4_P12ihipStream_tbEUlT_E0_NS1_11comp_targetILNS1_3genE4ELNS1_11target_archE910ELNS1_3gpuE8ELNS1_3repE0EEENS1_30default_config_static_selectorELNS0_4arch9wavefront6targetE1EEEvS14_: ; @_ZN7rocprim17ROCPRIM_400000_NS6detail17trampoline_kernelINS0_14default_configENS1_22reduce_config_selectorIN6thrust23THRUST_200600_302600_NS5tupleIblNS6_9null_typeES8_S8_S8_S8_S8_S8_S8_EEEEZNS1_11reduce_implILb1ES3_NS6_12zip_iteratorINS7_INS6_11hip_rocprim26transform_input_iterator_tIbNSD_35transform_pair_of_input_iterators_tIbNS6_6detail15normal_iteratorINS6_10device_ptrIKsEEEESL_NS6_8equal_toIsEEEENSG_9not_fun_tINSD_8identityEEEEENSD_19counting_iterator_tIlEES8_S8_S8_S8_S8_S8_S8_S8_EEEEPS9_S9_NSD_9__find_if7functorIS9_EEEE10hipError_tPvRmT1_T2_T3_mT4_P12ihipStream_tbEUlT_E0_NS1_11comp_targetILNS1_3genE4ELNS1_11target_archE910ELNS1_3gpuE8ELNS1_3repE0EEENS1_30default_config_static_selectorELNS0_4arch9wavefront6targetE1EEEvS14_
; %bb.0:
	.section	.rodata,"a",@progbits
	.p2align	6, 0x0
	.amdhsa_kernel _ZN7rocprim17ROCPRIM_400000_NS6detail17trampoline_kernelINS0_14default_configENS1_22reduce_config_selectorIN6thrust23THRUST_200600_302600_NS5tupleIblNS6_9null_typeES8_S8_S8_S8_S8_S8_S8_EEEEZNS1_11reduce_implILb1ES3_NS6_12zip_iteratorINS7_INS6_11hip_rocprim26transform_input_iterator_tIbNSD_35transform_pair_of_input_iterators_tIbNS6_6detail15normal_iteratorINS6_10device_ptrIKsEEEESL_NS6_8equal_toIsEEEENSG_9not_fun_tINSD_8identityEEEEENSD_19counting_iterator_tIlEES8_S8_S8_S8_S8_S8_S8_S8_EEEEPS9_S9_NSD_9__find_if7functorIS9_EEEE10hipError_tPvRmT1_T2_T3_mT4_P12ihipStream_tbEUlT_E0_NS1_11comp_targetILNS1_3genE4ELNS1_11target_archE910ELNS1_3gpuE8ELNS1_3repE0EEENS1_30default_config_static_selectorELNS0_4arch9wavefront6targetE1EEEvS14_
		.amdhsa_group_segment_fixed_size 0
		.amdhsa_private_segment_fixed_size 0
		.amdhsa_kernarg_size 104
		.amdhsa_user_sgpr_count 2
		.amdhsa_user_sgpr_dispatch_ptr 0
		.amdhsa_user_sgpr_queue_ptr 0
		.amdhsa_user_sgpr_kernarg_segment_ptr 1
		.amdhsa_user_sgpr_dispatch_id 0
		.amdhsa_user_sgpr_kernarg_preload_length 0
		.amdhsa_user_sgpr_kernarg_preload_offset 0
		.amdhsa_user_sgpr_private_segment_size 0
		.amdhsa_uses_dynamic_stack 0
		.amdhsa_enable_private_segment 0
		.amdhsa_system_sgpr_workgroup_id_x 1
		.amdhsa_system_sgpr_workgroup_id_y 0
		.amdhsa_system_sgpr_workgroup_id_z 0
		.amdhsa_system_sgpr_workgroup_info 0
		.amdhsa_system_vgpr_workitem_id 0
		.amdhsa_next_free_vgpr 1
		.amdhsa_next_free_sgpr 0
		.amdhsa_accum_offset 4
		.amdhsa_reserve_vcc 0
		.amdhsa_float_round_mode_32 0
		.amdhsa_float_round_mode_16_64 0
		.amdhsa_float_denorm_mode_32 3
		.amdhsa_float_denorm_mode_16_64 3
		.amdhsa_dx10_clamp 1
		.amdhsa_ieee_mode 1
		.amdhsa_fp16_overflow 0
		.amdhsa_tg_split 0
		.amdhsa_exception_fp_ieee_invalid_op 0
		.amdhsa_exception_fp_denorm_src 0
		.amdhsa_exception_fp_ieee_div_zero 0
		.amdhsa_exception_fp_ieee_overflow 0
		.amdhsa_exception_fp_ieee_underflow 0
		.amdhsa_exception_fp_ieee_inexact 0
		.amdhsa_exception_int_div_zero 0
	.end_amdhsa_kernel
	.section	.text._ZN7rocprim17ROCPRIM_400000_NS6detail17trampoline_kernelINS0_14default_configENS1_22reduce_config_selectorIN6thrust23THRUST_200600_302600_NS5tupleIblNS6_9null_typeES8_S8_S8_S8_S8_S8_S8_EEEEZNS1_11reduce_implILb1ES3_NS6_12zip_iteratorINS7_INS6_11hip_rocprim26transform_input_iterator_tIbNSD_35transform_pair_of_input_iterators_tIbNS6_6detail15normal_iteratorINS6_10device_ptrIKsEEEESL_NS6_8equal_toIsEEEENSG_9not_fun_tINSD_8identityEEEEENSD_19counting_iterator_tIlEES8_S8_S8_S8_S8_S8_S8_S8_EEEEPS9_S9_NSD_9__find_if7functorIS9_EEEE10hipError_tPvRmT1_T2_T3_mT4_P12ihipStream_tbEUlT_E0_NS1_11comp_targetILNS1_3genE4ELNS1_11target_archE910ELNS1_3gpuE8ELNS1_3repE0EEENS1_30default_config_static_selectorELNS0_4arch9wavefront6targetE1EEEvS14_,"axG",@progbits,_ZN7rocprim17ROCPRIM_400000_NS6detail17trampoline_kernelINS0_14default_configENS1_22reduce_config_selectorIN6thrust23THRUST_200600_302600_NS5tupleIblNS6_9null_typeES8_S8_S8_S8_S8_S8_S8_EEEEZNS1_11reduce_implILb1ES3_NS6_12zip_iteratorINS7_INS6_11hip_rocprim26transform_input_iterator_tIbNSD_35transform_pair_of_input_iterators_tIbNS6_6detail15normal_iteratorINS6_10device_ptrIKsEEEESL_NS6_8equal_toIsEEEENSG_9not_fun_tINSD_8identityEEEEENSD_19counting_iterator_tIlEES8_S8_S8_S8_S8_S8_S8_S8_EEEEPS9_S9_NSD_9__find_if7functorIS9_EEEE10hipError_tPvRmT1_T2_T3_mT4_P12ihipStream_tbEUlT_E0_NS1_11comp_targetILNS1_3genE4ELNS1_11target_archE910ELNS1_3gpuE8ELNS1_3repE0EEENS1_30default_config_static_selectorELNS0_4arch9wavefront6targetE1EEEvS14_,comdat
.Lfunc_end1698:
	.size	_ZN7rocprim17ROCPRIM_400000_NS6detail17trampoline_kernelINS0_14default_configENS1_22reduce_config_selectorIN6thrust23THRUST_200600_302600_NS5tupleIblNS6_9null_typeES8_S8_S8_S8_S8_S8_S8_EEEEZNS1_11reduce_implILb1ES3_NS6_12zip_iteratorINS7_INS6_11hip_rocprim26transform_input_iterator_tIbNSD_35transform_pair_of_input_iterators_tIbNS6_6detail15normal_iteratorINS6_10device_ptrIKsEEEESL_NS6_8equal_toIsEEEENSG_9not_fun_tINSD_8identityEEEEENSD_19counting_iterator_tIlEES8_S8_S8_S8_S8_S8_S8_S8_EEEEPS9_S9_NSD_9__find_if7functorIS9_EEEE10hipError_tPvRmT1_T2_T3_mT4_P12ihipStream_tbEUlT_E0_NS1_11comp_targetILNS1_3genE4ELNS1_11target_archE910ELNS1_3gpuE8ELNS1_3repE0EEENS1_30default_config_static_selectorELNS0_4arch9wavefront6targetE1EEEvS14_, .Lfunc_end1698-_ZN7rocprim17ROCPRIM_400000_NS6detail17trampoline_kernelINS0_14default_configENS1_22reduce_config_selectorIN6thrust23THRUST_200600_302600_NS5tupleIblNS6_9null_typeES8_S8_S8_S8_S8_S8_S8_EEEEZNS1_11reduce_implILb1ES3_NS6_12zip_iteratorINS7_INS6_11hip_rocprim26transform_input_iterator_tIbNSD_35transform_pair_of_input_iterators_tIbNS6_6detail15normal_iteratorINS6_10device_ptrIKsEEEESL_NS6_8equal_toIsEEEENSG_9not_fun_tINSD_8identityEEEEENSD_19counting_iterator_tIlEES8_S8_S8_S8_S8_S8_S8_S8_EEEEPS9_S9_NSD_9__find_if7functorIS9_EEEE10hipError_tPvRmT1_T2_T3_mT4_P12ihipStream_tbEUlT_E0_NS1_11comp_targetILNS1_3genE4ELNS1_11target_archE910ELNS1_3gpuE8ELNS1_3repE0EEENS1_30default_config_static_selectorELNS0_4arch9wavefront6targetE1EEEvS14_
                                        ; -- End function
	.set _ZN7rocprim17ROCPRIM_400000_NS6detail17trampoline_kernelINS0_14default_configENS1_22reduce_config_selectorIN6thrust23THRUST_200600_302600_NS5tupleIblNS6_9null_typeES8_S8_S8_S8_S8_S8_S8_EEEEZNS1_11reduce_implILb1ES3_NS6_12zip_iteratorINS7_INS6_11hip_rocprim26transform_input_iterator_tIbNSD_35transform_pair_of_input_iterators_tIbNS6_6detail15normal_iteratorINS6_10device_ptrIKsEEEESL_NS6_8equal_toIsEEEENSG_9not_fun_tINSD_8identityEEEEENSD_19counting_iterator_tIlEES8_S8_S8_S8_S8_S8_S8_S8_EEEEPS9_S9_NSD_9__find_if7functorIS9_EEEE10hipError_tPvRmT1_T2_T3_mT4_P12ihipStream_tbEUlT_E0_NS1_11comp_targetILNS1_3genE4ELNS1_11target_archE910ELNS1_3gpuE8ELNS1_3repE0EEENS1_30default_config_static_selectorELNS0_4arch9wavefront6targetE1EEEvS14_.num_vgpr, 0
	.set _ZN7rocprim17ROCPRIM_400000_NS6detail17trampoline_kernelINS0_14default_configENS1_22reduce_config_selectorIN6thrust23THRUST_200600_302600_NS5tupleIblNS6_9null_typeES8_S8_S8_S8_S8_S8_S8_EEEEZNS1_11reduce_implILb1ES3_NS6_12zip_iteratorINS7_INS6_11hip_rocprim26transform_input_iterator_tIbNSD_35transform_pair_of_input_iterators_tIbNS6_6detail15normal_iteratorINS6_10device_ptrIKsEEEESL_NS6_8equal_toIsEEEENSG_9not_fun_tINSD_8identityEEEEENSD_19counting_iterator_tIlEES8_S8_S8_S8_S8_S8_S8_S8_EEEEPS9_S9_NSD_9__find_if7functorIS9_EEEE10hipError_tPvRmT1_T2_T3_mT4_P12ihipStream_tbEUlT_E0_NS1_11comp_targetILNS1_3genE4ELNS1_11target_archE910ELNS1_3gpuE8ELNS1_3repE0EEENS1_30default_config_static_selectorELNS0_4arch9wavefront6targetE1EEEvS14_.num_agpr, 0
	.set _ZN7rocprim17ROCPRIM_400000_NS6detail17trampoline_kernelINS0_14default_configENS1_22reduce_config_selectorIN6thrust23THRUST_200600_302600_NS5tupleIblNS6_9null_typeES8_S8_S8_S8_S8_S8_S8_EEEEZNS1_11reduce_implILb1ES3_NS6_12zip_iteratorINS7_INS6_11hip_rocprim26transform_input_iterator_tIbNSD_35transform_pair_of_input_iterators_tIbNS6_6detail15normal_iteratorINS6_10device_ptrIKsEEEESL_NS6_8equal_toIsEEEENSG_9not_fun_tINSD_8identityEEEEENSD_19counting_iterator_tIlEES8_S8_S8_S8_S8_S8_S8_S8_EEEEPS9_S9_NSD_9__find_if7functorIS9_EEEE10hipError_tPvRmT1_T2_T3_mT4_P12ihipStream_tbEUlT_E0_NS1_11comp_targetILNS1_3genE4ELNS1_11target_archE910ELNS1_3gpuE8ELNS1_3repE0EEENS1_30default_config_static_selectorELNS0_4arch9wavefront6targetE1EEEvS14_.numbered_sgpr, 0
	.set _ZN7rocprim17ROCPRIM_400000_NS6detail17trampoline_kernelINS0_14default_configENS1_22reduce_config_selectorIN6thrust23THRUST_200600_302600_NS5tupleIblNS6_9null_typeES8_S8_S8_S8_S8_S8_S8_EEEEZNS1_11reduce_implILb1ES3_NS6_12zip_iteratorINS7_INS6_11hip_rocprim26transform_input_iterator_tIbNSD_35transform_pair_of_input_iterators_tIbNS6_6detail15normal_iteratorINS6_10device_ptrIKsEEEESL_NS6_8equal_toIsEEEENSG_9not_fun_tINSD_8identityEEEEENSD_19counting_iterator_tIlEES8_S8_S8_S8_S8_S8_S8_S8_EEEEPS9_S9_NSD_9__find_if7functorIS9_EEEE10hipError_tPvRmT1_T2_T3_mT4_P12ihipStream_tbEUlT_E0_NS1_11comp_targetILNS1_3genE4ELNS1_11target_archE910ELNS1_3gpuE8ELNS1_3repE0EEENS1_30default_config_static_selectorELNS0_4arch9wavefront6targetE1EEEvS14_.num_named_barrier, 0
	.set _ZN7rocprim17ROCPRIM_400000_NS6detail17trampoline_kernelINS0_14default_configENS1_22reduce_config_selectorIN6thrust23THRUST_200600_302600_NS5tupleIblNS6_9null_typeES8_S8_S8_S8_S8_S8_S8_EEEEZNS1_11reduce_implILb1ES3_NS6_12zip_iteratorINS7_INS6_11hip_rocprim26transform_input_iterator_tIbNSD_35transform_pair_of_input_iterators_tIbNS6_6detail15normal_iteratorINS6_10device_ptrIKsEEEESL_NS6_8equal_toIsEEEENSG_9not_fun_tINSD_8identityEEEEENSD_19counting_iterator_tIlEES8_S8_S8_S8_S8_S8_S8_S8_EEEEPS9_S9_NSD_9__find_if7functorIS9_EEEE10hipError_tPvRmT1_T2_T3_mT4_P12ihipStream_tbEUlT_E0_NS1_11comp_targetILNS1_3genE4ELNS1_11target_archE910ELNS1_3gpuE8ELNS1_3repE0EEENS1_30default_config_static_selectorELNS0_4arch9wavefront6targetE1EEEvS14_.private_seg_size, 0
	.set _ZN7rocprim17ROCPRIM_400000_NS6detail17trampoline_kernelINS0_14default_configENS1_22reduce_config_selectorIN6thrust23THRUST_200600_302600_NS5tupleIblNS6_9null_typeES8_S8_S8_S8_S8_S8_S8_EEEEZNS1_11reduce_implILb1ES3_NS6_12zip_iteratorINS7_INS6_11hip_rocprim26transform_input_iterator_tIbNSD_35transform_pair_of_input_iterators_tIbNS6_6detail15normal_iteratorINS6_10device_ptrIKsEEEESL_NS6_8equal_toIsEEEENSG_9not_fun_tINSD_8identityEEEEENSD_19counting_iterator_tIlEES8_S8_S8_S8_S8_S8_S8_S8_EEEEPS9_S9_NSD_9__find_if7functorIS9_EEEE10hipError_tPvRmT1_T2_T3_mT4_P12ihipStream_tbEUlT_E0_NS1_11comp_targetILNS1_3genE4ELNS1_11target_archE910ELNS1_3gpuE8ELNS1_3repE0EEENS1_30default_config_static_selectorELNS0_4arch9wavefront6targetE1EEEvS14_.uses_vcc, 0
	.set _ZN7rocprim17ROCPRIM_400000_NS6detail17trampoline_kernelINS0_14default_configENS1_22reduce_config_selectorIN6thrust23THRUST_200600_302600_NS5tupleIblNS6_9null_typeES8_S8_S8_S8_S8_S8_S8_EEEEZNS1_11reduce_implILb1ES3_NS6_12zip_iteratorINS7_INS6_11hip_rocprim26transform_input_iterator_tIbNSD_35transform_pair_of_input_iterators_tIbNS6_6detail15normal_iteratorINS6_10device_ptrIKsEEEESL_NS6_8equal_toIsEEEENSG_9not_fun_tINSD_8identityEEEEENSD_19counting_iterator_tIlEES8_S8_S8_S8_S8_S8_S8_S8_EEEEPS9_S9_NSD_9__find_if7functorIS9_EEEE10hipError_tPvRmT1_T2_T3_mT4_P12ihipStream_tbEUlT_E0_NS1_11comp_targetILNS1_3genE4ELNS1_11target_archE910ELNS1_3gpuE8ELNS1_3repE0EEENS1_30default_config_static_selectorELNS0_4arch9wavefront6targetE1EEEvS14_.uses_flat_scratch, 0
	.set _ZN7rocprim17ROCPRIM_400000_NS6detail17trampoline_kernelINS0_14default_configENS1_22reduce_config_selectorIN6thrust23THRUST_200600_302600_NS5tupleIblNS6_9null_typeES8_S8_S8_S8_S8_S8_S8_EEEEZNS1_11reduce_implILb1ES3_NS6_12zip_iteratorINS7_INS6_11hip_rocprim26transform_input_iterator_tIbNSD_35transform_pair_of_input_iterators_tIbNS6_6detail15normal_iteratorINS6_10device_ptrIKsEEEESL_NS6_8equal_toIsEEEENSG_9not_fun_tINSD_8identityEEEEENSD_19counting_iterator_tIlEES8_S8_S8_S8_S8_S8_S8_S8_EEEEPS9_S9_NSD_9__find_if7functorIS9_EEEE10hipError_tPvRmT1_T2_T3_mT4_P12ihipStream_tbEUlT_E0_NS1_11comp_targetILNS1_3genE4ELNS1_11target_archE910ELNS1_3gpuE8ELNS1_3repE0EEENS1_30default_config_static_selectorELNS0_4arch9wavefront6targetE1EEEvS14_.has_dyn_sized_stack, 0
	.set _ZN7rocprim17ROCPRIM_400000_NS6detail17trampoline_kernelINS0_14default_configENS1_22reduce_config_selectorIN6thrust23THRUST_200600_302600_NS5tupleIblNS6_9null_typeES8_S8_S8_S8_S8_S8_S8_EEEEZNS1_11reduce_implILb1ES3_NS6_12zip_iteratorINS7_INS6_11hip_rocprim26transform_input_iterator_tIbNSD_35transform_pair_of_input_iterators_tIbNS6_6detail15normal_iteratorINS6_10device_ptrIKsEEEESL_NS6_8equal_toIsEEEENSG_9not_fun_tINSD_8identityEEEEENSD_19counting_iterator_tIlEES8_S8_S8_S8_S8_S8_S8_S8_EEEEPS9_S9_NSD_9__find_if7functorIS9_EEEE10hipError_tPvRmT1_T2_T3_mT4_P12ihipStream_tbEUlT_E0_NS1_11comp_targetILNS1_3genE4ELNS1_11target_archE910ELNS1_3gpuE8ELNS1_3repE0EEENS1_30default_config_static_selectorELNS0_4arch9wavefront6targetE1EEEvS14_.has_recursion, 0
	.set _ZN7rocprim17ROCPRIM_400000_NS6detail17trampoline_kernelINS0_14default_configENS1_22reduce_config_selectorIN6thrust23THRUST_200600_302600_NS5tupleIblNS6_9null_typeES8_S8_S8_S8_S8_S8_S8_EEEEZNS1_11reduce_implILb1ES3_NS6_12zip_iteratorINS7_INS6_11hip_rocprim26transform_input_iterator_tIbNSD_35transform_pair_of_input_iterators_tIbNS6_6detail15normal_iteratorINS6_10device_ptrIKsEEEESL_NS6_8equal_toIsEEEENSG_9not_fun_tINSD_8identityEEEEENSD_19counting_iterator_tIlEES8_S8_S8_S8_S8_S8_S8_S8_EEEEPS9_S9_NSD_9__find_if7functorIS9_EEEE10hipError_tPvRmT1_T2_T3_mT4_P12ihipStream_tbEUlT_E0_NS1_11comp_targetILNS1_3genE4ELNS1_11target_archE910ELNS1_3gpuE8ELNS1_3repE0EEENS1_30default_config_static_selectorELNS0_4arch9wavefront6targetE1EEEvS14_.has_indirect_call, 0
	.section	.AMDGPU.csdata,"",@progbits
; Kernel info:
; codeLenInByte = 0
; TotalNumSgprs: 6
; NumVgprs: 0
; NumAgprs: 0
; TotalNumVgprs: 0
; ScratchSize: 0
; MemoryBound: 0
; FloatMode: 240
; IeeeMode: 1
; LDSByteSize: 0 bytes/workgroup (compile time only)
; SGPRBlocks: 0
; VGPRBlocks: 0
; NumSGPRsForWavesPerEU: 6
; NumVGPRsForWavesPerEU: 1
; AccumOffset: 4
; Occupancy: 8
; WaveLimiterHint : 0
; COMPUTE_PGM_RSRC2:SCRATCH_EN: 0
; COMPUTE_PGM_RSRC2:USER_SGPR: 2
; COMPUTE_PGM_RSRC2:TRAP_HANDLER: 0
; COMPUTE_PGM_RSRC2:TGID_X_EN: 1
; COMPUTE_PGM_RSRC2:TGID_Y_EN: 0
; COMPUTE_PGM_RSRC2:TGID_Z_EN: 0
; COMPUTE_PGM_RSRC2:TIDIG_COMP_CNT: 0
; COMPUTE_PGM_RSRC3_GFX90A:ACCUM_OFFSET: 0
; COMPUTE_PGM_RSRC3_GFX90A:TG_SPLIT: 0
	.section	.text._ZN7rocprim17ROCPRIM_400000_NS6detail17trampoline_kernelINS0_14default_configENS1_22reduce_config_selectorIN6thrust23THRUST_200600_302600_NS5tupleIblNS6_9null_typeES8_S8_S8_S8_S8_S8_S8_EEEEZNS1_11reduce_implILb1ES3_NS6_12zip_iteratorINS7_INS6_11hip_rocprim26transform_input_iterator_tIbNSD_35transform_pair_of_input_iterators_tIbNS6_6detail15normal_iteratorINS6_10device_ptrIKsEEEESL_NS6_8equal_toIsEEEENSG_9not_fun_tINSD_8identityEEEEENSD_19counting_iterator_tIlEES8_S8_S8_S8_S8_S8_S8_S8_EEEEPS9_S9_NSD_9__find_if7functorIS9_EEEE10hipError_tPvRmT1_T2_T3_mT4_P12ihipStream_tbEUlT_E0_NS1_11comp_targetILNS1_3genE3ELNS1_11target_archE908ELNS1_3gpuE7ELNS1_3repE0EEENS1_30default_config_static_selectorELNS0_4arch9wavefront6targetE1EEEvS14_,"axG",@progbits,_ZN7rocprim17ROCPRIM_400000_NS6detail17trampoline_kernelINS0_14default_configENS1_22reduce_config_selectorIN6thrust23THRUST_200600_302600_NS5tupleIblNS6_9null_typeES8_S8_S8_S8_S8_S8_S8_EEEEZNS1_11reduce_implILb1ES3_NS6_12zip_iteratorINS7_INS6_11hip_rocprim26transform_input_iterator_tIbNSD_35transform_pair_of_input_iterators_tIbNS6_6detail15normal_iteratorINS6_10device_ptrIKsEEEESL_NS6_8equal_toIsEEEENSG_9not_fun_tINSD_8identityEEEEENSD_19counting_iterator_tIlEES8_S8_S8_S8_S8_S8_S8_S8_EEEEPS9_S9_NSD_9__find_if7functorIS9_EEEE10hipError_tPvRmT1_T2_T3_mT4_P12ihipStream_tbEUlT_E0_NS1_11comp_targetILNS1_3genE3ELNS1_11target_archE908ELNS1_3gpuE7ELNS1_3repE0EEENS1_30default_config_static_selectorELNS0_4arch9wavefront6targetE1EEEvS14_,comdat
	.protected	_ZN7rocprim17ROCPRIM_400000_NS6detail17trampoline_kernelINS0_14default_configENS1_22reduce_config_selectorIN6thrust23THRUST_200600_302600_NS5tupleIblNS6_9null_typeES8_S8_S8_S8_S8_S8_S8_EEEEZNS1_11reduce_implILb1ES3_NS6_12zip_iteratorINS7_INS6_11hip_rocprim26transform_input_iterator_tIbNSD_35transform_pair_of_input_iterators_tIbNS6_6detail15normal_iteratorINS6_10device_ptrIKsEEEESL_NS6_8equal_toIsEEEENSG_9not_fun_tINSD_8identityEEEEENSD_19counting_iterator_tIlEES8_S8_S8_S8_S8_S8_S8_S8_EEEEPS9_S9_NSD_9__find_if7functorIS9_EEEE10hipError_tPvRmT1_T2_T3_mT4_P12ihipStream_tbEUlT_E0_NS1_11comp_targetILNS1_3genE3ELNS1_11target_archE908ELNS1_3gpuE7ELNS1_3repE0EEENS1_30default_config_static_selectorELNS0_4arch9wavefront6targetE1EEEvS14_ ; -- Begin function _ZN7rocprim17ROCPRIM_400000_NS6detail17trampoline_kernelINS0_14default_configENS1_22reduce_config_selectorIN6thrust23THRUST_200600_302600_NS5tupleIblNS6_9null_typeES8_S8_S8_S8_S8_S8_S8_EEEEZNS1_11reduce_implILb1ES3_NS6_12zip_iteratorINS7_INS6_11hip_rocprim26transform_input_iterator_tIbNSD_35transform_pair_of_input_iterators_tIbNS6_6detail15normal_iteratorINS6_10device_ptrIKsEEEESL_NS6_8equal_toIsEEEENSG_9not_fun_tINSD_8identityEEEEENSD_19counting_iterator_tIlEES8_S8_S8_S8_S8_S8_S8_S8_EEEEPS9_S9_NSD_9__find_if7functorIS9_EEEE10hipError_tPvRmT1_T2_T3_mT4_P12ihipStream_tbEUlT_E0_NS1_11comp_targetILNS1_3genE3ELNS1_11target_archE908ELNS1_3gpuE7ELNS1_3repE0EEENS1_30default_config_static_selectorELNS0_4arch9wavefront6targetE1EEEvS14_
	.globl	_ZN7rocprim17ROCPRIM_400000_NS6detail17trampoline_kernelINS0_14default_configENS1_22reduce_config_selectorIN6thrust23THRUST_200600_302600_NS5tupleIblNS6_9null_typeES8_S8_S8_S8_S8_S8_S8_EEEEZNS1_11reduce_implILb1ES3_NS6_12zip_iteratorINS7_INS6_11hip_rocprim26transform_input_iterator_tIbNSD_35transform_pair_of_input_iterators_tIbNS6_6detail15normal_iteratorINS6_10device_ptrIKsEEEESL_NS6_8equal_toIsEEEENSG_9not_fun_tINSD_8identityEEEEENSD_19counting_iterator_tIlEES8_S8_S8_S8_S8_S8_S8_S8_EEEEPS9_S9_NSD_9__find_if7functorIS9_EEEE10hipError_tPvRmT1_T2_T3_mT4_P12ihipStream_tbEUlT_E0_NS1_11comp_targetILNS1_3genE3ELNS1_11target_archE908ELNS1_3gpuE7ELNS1_3repE0EEENS1_30default_config_static_selectorELNS0_4arch9wavefront6targetE1EEEvS14_
	.p2align	8
	.type	_ZN7rocprim17ROCPRIM_400000_NS6detail17trampoline_kernelINS0_14default_configENS1_22reduce_config_selectorIN6thrust23THRUST_200600_302600_NS5tupleIblNS6_9null_typeES8_S8_S8_S8_S8_S8_S8_EEEEZNS1_11reduce_implILb1ES3_NS6_12zip_iteratorINS7_INS6_11hip_rocprim26transform_input_iterator_tIbNSD_35transform_pair_of_input_iterators_tIbNS6_6detail15normal_iteratorINS6_10device_ptrIKsEEEESL_NS6_8equal_toIsEEEENSG_9not_fun_tINSD_8identityEEEEENSD_19counting_iterator_tIlEES8_S8_S8_S8_S8_S8_S8_S8_EEEEPS9_S9_NSD_9__find_if7functorIS9_EEEE10hipError_tPvRmT1_T2_T3_mT4_P12ihipStream_tbEUlT_E0_NS1_11comp_targetILNS1_3genE3ELNS1_11target_archE908ELNS1_3gpuE7ELNS1_3repE0EEENS1_30default_config_static_selectorELNS0_4arch9wavefront6targetE1EEEvS14_,@function
_ZN7rocprim17ROCPRIM_400000_NS6detail17trampoline_kernelINS0_14default_configENS1_22reduce_config_selectorIN6thrust23THRUST_200600_302600_NS5tupleIblNS6_9null_typeES8_S8_S8_S8_S8_S8_S8_EEEEZNS1_11reduce_implILb1ES3_NS6_12zip_iteratorINS7_INS6_11hip_rocprim26transform_input_iterator_tIbNSD_35transform_pair_of_input_iterators_tIbNS6_6detail15normal_iteratorINS6_10device_ptrIKsEEEESL_NS6_8equal_toIsEEEENSG_9not_fun_tINSD_8identityEEEEENSD_19counting_iterator_tIlEES8_S8_S8_S8_S8_S8_S8_S8_EEEEPS9_S9_NSD_9__find_if7functorIS9_EEEE10hipError_tPvRmT1_T2_T3_mT4_P12ihipStream_tbEUlT_E0_NS1_11comp_targetILNS1_3genE3ELNS1_11target_archE908ELNS1_3gpuE7ELNS1_3repE0EEENS1_30default_config_static_selectorELNS0_4arch9wavefront6targetE1EEEvS14_: ; @_ZN7rocprim17ROCPRIM_400000_NS6detail17trampoline_kernelINS0_14default_configENS1_22reduce_config_selectorIN6thrust23THRUST_200600_302600_NS5tupleIblNS6_9null_typeES8_S8_S8_S8_S8_S8_S8_EEEEZNS1_11reduce_implILb1ES3_NS6_12zip_iteratorINS7_INS6_11hip_rocprim26transform_input_iterator_tIbNSD_35transform_pair_of_input_iterators_tIbNS6_6detail15normal_iteratorINS6_10device_ptrIKsEEEESL_NS6_8equal_toIsEEEENSG_9not_fun_tINSD_8identityEEEEENSD_19counting_iterator_tIlEES8_S8_S8_S8_S8_S8_S8_S8_EEEEPS9_S9_NSD_9__find_if7functorIS9_EEEE10hipError_tPvRmT1_T2_T3_mT4_P12ihipStream_tbEUlT_E0_NS1_11comp_targetILNS1_3genE3ELNS1_11target_archE908ELNS1_3gpuE7ELNS1_3repE0EEENS1_30default_config_static_selectorELNS0_4arch9wavefront6targetE1EEEvS14_
; %bb.0:
	.section	.rodata,"a",@progbits
	.p2align	6, 0x0
	.amdhsa_kernel _ZN7rocprim17ROCPRIM_400000_NS6detail17trampoline_kernelINS0_14default_configENS1_22reduce_config_selectorIN6thrust23THRUST_200600_302600_NS5tupleIblNS6_9null_typeES8_S8_S8_S8_S8_S8_S8_EEEEZNS1_11reduce_implILb1ES3_NS6_12zip_iteratorINS7_INS6_11hip_rocprim26transform_input_iterator_tIbNSD_35transform_pair_of_input_iterators_tIbNS6_6detail15normal_iteratorINS6_10device_ptrIKsEEEESL_NS6_8equal_toIsEEEENSG_9not_fun_tINSD_8identityEEEEENSD_19counting_iterator_tIlEES8_S8_S8_S8_S8_S8_S8_S8_EEEEPS9_S9_NSD_9__find_if7functorIS9_EEEE10hipError_tPvRmT1_T2_T3_mT4_P12ihipStream_tbEUlT_E0_NS1_11comp_targetILNS1_3genE3ELNS1_11target_archE908ELNS1_3gpuE7ELNS1_3repE0EEENS1_30default_config_static_selectorELNS0_4arch9wavefront6targetE1EEEvS14_
		.amdhsa_group_segment_fixed_size 0
		.amdhsa_private_segment_fixed_size 0
		.amdhsa_kernarg_size 104
		.amdhsa_user_sgpr_count 2
		.amdhsa_user_sgpr_dispatch_ptr 0
		.amdhsa_user_sgpr_queue_ptr 0
		.amdhsa_user_sgpr_kernarg_segment_ptr 1
		.amdhsa_user_sgpr_dispatch_id 0
		.amdhsa_user_sgpr_kernarg_preload_length 0
		.amdhsa_user_sgpr_kernarg_preload_offset 0
		.amdhsa_user_sgpr_private_segment_size 0
		.amdhsa_uses_dynamic_stack 0
		.amdhsa_enable_private_segment 0
		.amdhsa_system_sgpr_workgroup_id_x 1
		.amdhsa_system_sgpr_workgroup_id_y 0
		.amdhsa_system_sgpr_workgroup_id_z 0
		.amdhsa_system_sgpr_workgroup_info 0
		.amdhsa_system_vgpr_workitem_id 0
		.amdhsa_next_free_vgpr 1
		.amdhsa_next_free_sgpr 0
		.amdhsa_accum_offset 4
		.amdhsa_reserve_vcc 0
		.amdhsa_float_round_mode_32 0
		.amdhsa_float_round_mode_16_64 0
		.amdhsa_float_denorm_mode_32 3
		.amdhsa_float_denorm_mode_16_64 3
		.amdhsa_dx10_clamp 1
		.amdhsa_ieee_mode 1
		.amdhsa_fp16_overflow 0
		.amdhsa_tg_split 0
		.amdhsa_exception_fp_ieee_invalid_op 0
		.amdhsa_exception_fp_denorm_src 0
		.amdhsa_exception_fp_ieee_div_zero 0
		.amdhsa_exception_fp_ieee_overflow 0
		.amdhsa_exception_fp_ieee_underflow 0
		.amdhsa_exception_fp_ieee_inexact 0
		.amdhsa_exception_int_div_zero 0
	.end_amdhsa_kernel
	.section	.text._ZN7rocprim17ROCPRIM_400000_NS6detail17trampoline_kernelINS0_14default_configENS1_22reduce_config_selectorIN6thrust23THRUST_200600_302600_NS5tupleIblNS6_9null_typeES8_S8_S8_S8_S8_S8_S8_EEEEZNS1_11reduce_implILb1ES3_NS6_12zip_iteratorINS7_INS6_11hip_rocprim26transform_input_iterator_tIbNSD_35transform_pair_of_input_iterators_tIbNS6_6detail15normal_iteratorINS6_10device_ptrIKsEEEESL_NS6_8equal_toIsEEEENSG_9not_fun_tINSD_8identityEEEEENSD_19counting_iterator_tIlEES8_S8_S8_S8_S8_S8_S8_S8_EEEEPS9_S9_NSD_9__find_if7functorIS9_EEEE10hipError_tPvRmT1_T2_T3_mT4_P12ihipStream_tbEUlT_E0_NS1_11comp_targetILNS1_3genE3ELNS1_11target_archE908ELNS1_3gpuE7ELNS1_3repE0EEENS1_30default_config_static_selectorELNS0_4arch9wavefront6targetE1EEEvS14_,"axG",@progbits,_ZN7rocprim17ROCPRIM_400000_NS6detail17trampoline_kernelINS0_14default_configENS1_22reduce_config_selectorIN6thrust23THRUST_200600_302600_NS5tupleIblNS6_9null_typeES8_S8_S8_S8_S8_S8_S8_EEEEZNS1_11reduce_implILb1ES3_NS6_12zip_iteratorINS7_INS6_11hip_rocprim26transform_input_iterator_tIbNSD_35transform_pair_of_input_iterators_tIbNS6_6detail15normal_iteratorINS6_10device_ptrIKsEEEESL_NS6_8equal_toIsEEEENSG_9not_fun_tINSD_8identityEEEEENSD_19counting_iterator_tIlEES8_S8_S8_S8_S8_S8_S8_S8_EEEEPS9_S9_NSD_9__find_if7functorIS9_EEEE10hipError_tPvRmT1_T2_T3_mT4_P12ihipStream_tbEUlT_E0_NS1_11comp_targetILNS1_3genE3ELNS1_11target_archE908ELNS1_3gpuE7ELNS1_3repE0EEENS1_30default_config_static_selectorELNS0_4arch9wavefront6targetE1EEEvS14_,comdat
.Lfunc_end1699:
	.size	_ZN7rocprim17ROCPRIM_400000_NS6detail17trampoline_kernelINS0_14default_configENS1_22reduce_config_selectorIN6thrust23THRUST_200600_302600_NS5tupleIblNS6_9null_typeES8_S8_S8_S8_S8_S8_S8_EEEEZNS1_11reduce_implILb1ES3_NS6_12zip_iteratorINS7_INS6_11hip_rocprim26transform_input_iterator_tIbNSD_35transform_pair_of_input_iterators_tIbNS6_6detail15normal_iteratorINS6_10device_ptrIKsEEEESL_NS6_8equal_toIsEEEENSG_9not_fun_tINSD_8identityEEEEENSD_19counting_iterator_tIlEES8_S8_S8_S8_S8_S8_S8_S8_EEEEPS9_S9_NSD_9__find_if7functorIS9_EEEE10hipError_tPvRmT1_T2_T3_mT4_P12ihipStream_tbEUlT_E0_NS1_11comp_targetILNS1_3genE3ELNS1_11target_archE908ELNS1_3gpuE7ELNS1_3repE0EEENS1_30default_config_static_selectorELNS0_4arch9wavefront6targetE1EEEvS14_, .Lfunc_end1699-_ZN7rocprim17ROCPRIM_400000_NS6detail17trampoline_kernelINS0_14default_configENS1_22reduce_config_selectorIN6thrust23THRUST_200600_302600_NS5tupleIblNS6_9null_typeES8_S8_S8_S8_S8_S8_S8_EEEEZNS1_11reduce_implILb1ES3_NS6_12zip_iteratorINS7_INS6_11hip_rocprim26transform_input_iterator_tIbNSD_35transform_pair_of_input_iterators_tIbNS6_6detail15normal_iteratorINS6_10device_ptrIKsEEEESL_NS6_8equal_toIsEEEENSG_9not_fun_tINSD_8identityEEEEENSD_19counting_iterator_tIlEES8_S8_S8_S8_S8_S8_S8_S8_EEEEPS9_S9_NSD_9__find_if7functorIS9_EEEE10hipError_tPvRmT1_T2_T3_mT4_P12ihipStream_tbEUlT_E0_NS1_11comp_targetILNS1_3genE3ELNS1_11target_archE908ELNS1_3gpuE7ELNS1_3repE0EEENS1_30default_config_static_selectorELNS0_4arch9wavefront6targetE1EEEvS14_
                                        ; -- End function
	.set _ZN7rocprim17ROCPRIM_400000_NS6detail17trampoline_kernelINS0_14default_configENS1_22reduce_config_selectorIN6thrust23THRUST_200600_302600_NS5tupleIblNS6_9null_typeES8_S8_S8_S8_S8_S8_S8_EEEEZNS1_11reduce_implILb1ES3_NS6_12zip_iteratorINS7_INS6_11hip_rocprim26transform_input_iterator_tIbNSD_35transform_pair_of_input_iterators_tIbNS6_6detail15normal_iteratorINS6_10device_ptrIKsEEEESL_NS6_8equal_toIsEEEENSG_9not_fun_tINSD_8identityEEEEENSD_19counting_iterator_tIlEES8_S8_S8_S8_S8_S8_S8_S8_EEEEPS9_S9_NSD_9__find_if7functorIS9_EEEE10hipError_tPvRmT1_T2_T3_mT4_P12ihipStream_tbEUlT_E0_NS1_11comp_targetILNS1_3genE3ELNS1_11target_archE908ELNS1_3gpuE7ELNS1_3repE0EEENS1_30default_config_static_selectorELNS0_4arch9wavefront6targetE1EEEvS14_.num_vgpr, 0
	.set _ZN7rocprim17ROCPRIM_400000_NS6detail17trampoline_kernelINS0_14default_configENS1_22reduce_config_selectorIN6thrust23THRUST_200600_302600_NS5tupleIblNS6_9null_typeES8_S8_S8_S8_S8_S8_S8_EEEEZNS1_11reduce_implILb1ES3_NS6_12zip_iteratorINS7_INS6_11hip_rocprim26transform_input_iterator_tIbNSD_35transform_pair_of_input_iterators_tIbNS6_6detail15normal_iteratorINS6_10device_ptrIKsEEEESL_NS6_8equal_toIsEEEENSG_9not_fun_tINSD_8identityEEEEENSD_19counting_iterator_tIlEES8_S8_S8_S8_S8_S8_S8_S8_EEEEPS9_S9_NSD_9__find_if7functorIS9_EEEE10hipError_tPvRmT1_T2_T3_mT4_P12ihipStream_tbEUlT_E0_NS1_11comp_targetILNS1_3genE3ELNS1_11target_archE908ELNS1_3gpuE7ELNS1_3repE0EEENS1_30default_config_static_selectorELNS0_4arch9wavefront6targetE1EEEvS14_.num_agpr, 0
	.set _ZN7rocprim17ROCPRIM_400000_NS6detail17trampoline_kernelINS0_14default_configENS1_22reduce_config_selectorIN6thrust23THRUST_200600_302600_NS5tupleIblNS6_9null_typeES8_S8_S8_S8_S8_S8_S8_EEEEZNS1_11reduce_implILb1ES3_NS6_12zip_iteratorINS7_INS6_11hip_rocprim26transform_input_iterator_tIbNSD_35transform_pair_of_input_iterators_tIbNS6_6detail15normal_iteratorINS6_10device_ptrIKsEEEESL_NS6_8equal_toIsEEEENSG_9not_fun_tINSD_8identityEEEEENSD_19counting_iterator_tIlEES8_S8_S8_S8_S8_S8_S8_S8_EEEEPS9_S9_NSD_9__find_if7functorIS9_EEEE10hipError_tPvRmT1_T2_T3_mT4_P12ihipStream_tbEUlT_E0_NS1_11comp_targetILNS1_3genE3ELNS1_11target_archE908ELNS1_3gpuE7ELNS1_3repE0EEENS1_30default_config_static_selectorELNS0_4arch9wavefront6targetE1EEEvS14_.numbered_sgpr, 0
	.set _ZN7rocprim17ROCPRIM_400000_NS6detail17trampoline_kernelINS0_14default_configENS1_22reduce_config_selectorIN6thrust23THRUST_200600_302600_NS5tupleIblNS6_9null_typeES8_S8_S8_S8_S8_S8_S8_EEEEZNS1_11reduce_implILb1ES3_NS6_12zip_iteratorINS7_INS6_11hip_rocprim26transform_input_iterator_tIbNSD_35transform_pair_of_input_iterators_tIbNS6_6detail15normal_iteratorINS6_10device_ptrIKsEEEESL_NS6_8equal_toIsEEEENSG_9not_fun_tINSD_8identityEEEEENSD_19counting_iterator_tIlEES8_S8_S8_S8_S8_S8_S8_S8_EEEEPS9_S9_NSD_9__find_if7functorIS9_EEEE10hipError_tPvRmT1_T2_T3_mT4_P12ihipStream_tbEUlT_E0_NS1_11comp_targetILNS1_3genE3ELNS1_11target_archE908ELNS1_3gpuE7ELNS1_3repE0EEENS1_30default_config_static_selectorELNS0_4arch9wavefront6targetE1EEEvS14_.num_named_barrier, 0
	.set _ZN7rocprim17ROCPRIM_400000_NS6detail17trampoline_kernelINS0_14default_configENS1_22reduce_config_selectorIN6thrust23THRUST_200600_302600_NS5tupleIblNS6_9null_typeES8_S8_S8_S8_S8_S8_S8_EEEEZNS1_11reduce_implILb1ES3_NS6_12zip_iteratorINS7_INS6_11hip_rocprim26transform_input_iterator_tIbNSD_35transform_pair_of_input_iterators_tIbNS6_6detail15normal_iteratorINS6_10device_ptrIKsEEEESL_NS6_8equal_toIsEEEENSG_9not_fun_tINSD_8identityEEEEENSD_19counting_iterator_tIlEES8_S8_S8_S8_S8_S8_S8_S8_EEEEPS9_S9_NSD_9__find_if7functorIS9_EEEE10hipError_tPvRmT1_T2_T3_mT4_P12ihipStream_tbEUlT_E0_NS1_11comp_targetILNS1_3genE3ELNS1_11target_archE908ELNS1_3gpuE7ELNS1_3repE0EEENS1_30default_config_static_selectorELNS0_4arch9wavefront6targetE1EEEvS14_.private_seg_size, 0
	.set _ZN7rocprim17ROCPRIM_400000_NS6detail17trampoline_kernelINS0_14default_configENS1_22reduce_config_selectorIN6thrust23THRUST_200600_302600_NS5tupleIblNS6_9null_typeES8_S8_S8_S8_S8_S8_S8_EEEEZNS1_11reduce_implILb1ES3_NS6_12zip_iteratorINS7_INS6_11hip_rocprim26transform_input_iterator_tIbNSD_35transform_pair_of_input_iterators_tIbNS6_6detail15normal_iteratorINS6_10device_ptrIKsEEEESL_NS6_8equal_toIsEEEENSG_9not_fun_tINSD_8identityEEEEENSD_19counting_iterator_tIlEES8_S8_S8_S8_S8_S8_S8_S8_EEEEPS9_S9_NSD_9__find_if7functorIS9_EEEE10hipError_tPvRmT1_T2_T3_mT4_P12ihipStream_tbEUlT_E0_NS1_11comp_targetILNS1_3genE3ELNS1_11target_archE908ELNS1_3gpuE7ELNS1_3repE0EEENS1_30default_config_static_selectorELNS0_4arch9wavefront6targetE1EEEvS14_.uses_vcc, 0
	.set _ZN7rocprim17ROCPRIM_400000_NS6detail17trampoline_kernelINS0_14default_configENS1_22reduce_config_selectorIN6thrust23THRUST_200600_302600_NS5tupleIblNS6_9null_typeES8_S8_S8_S8_S8_S8_S8_EEEEZNS1_11reduce_implILb1ES3_NS6_12zip_iteratorINS7_INS6_11hip_rocprim26transform_input_iterator_tIbNSD_35transform_pair_of_input_iterators_tIbNS6_6detail15normal_iteratorINS6_10device_ptrIKsEEEESL_NS6_8equal_toIsEEEENSG_9not_fun_tINSD_8identityEEEEENSD_19counting_iterator_tIlEES8_S8_S8_S8_S8_S8_S8_S8_EEEEPS9_S9_NSD_9__find_if7functorIS9_EEEE10hipError_tPvRmT1_T2_T3_mT4_P12ihipStream_tbEUlT_E0_NS1_11comp_targetILNS1_3genE3ELNS1_11target_archE908ELNS1_3gpuE7ELNS1_3repE0EEENS1_30default_config_static_selectorELNS0_4arch9wavefront6targetE1EEEvS14_.uses_flat_scratch, 0
	.set _ZN7rocprim17ROCPRIM_400000_NS6detail17trampoline_kernelINS0_14default_configENS1_22reduce_config_selectorIN6thrust23THRUST_200600_302600_NS5tupleIblNS6_9null_typeES8_S8_S8_S8_S8_S8_S8_EEEEZNS1_11reduce_implILb1ES3_NS6_12zip_iteratorINS7_INS6_11hip_rocprim26transform_input_iterator_tIbNSD_35transform_pair_of_input_iterators_tIbNS6_6detail15normal_iteratorINS6_10device_ptrIKsEEEESL_NS6_8equal_toIsEEEENSG_9not_fun_tINSD_8identityEEEEENSD_19counting_iterator_tIlEES8_S8_S8_S8_S8_S8_S8_S8_EEEEPS9_S9_NSD_9__find_if7functorIS9_EEEE10hipError_tPvRmT1_T2_T3_mT4_P12ihipStream_tbEUlT_E0_NS1_11comp_targetILNS1_3genE3ELNS1_11target_archE908ELNS1_3gpuE7ELNS1_3repE0EEENS1_30default_config_static_selectorELNS0_4arch9wavefront6targetE1EEEvS14_.has_dyn_sized_stack, 0
	.set _ZN7rocprim17ROCPRIM_400000_NS6detail17trampoline_kernelINS0_14default_configENS1_22reduce_config_selectorIN6thrust23THRUST_200600_302600_NS5tupleIblNS6_9null_typeES8_S8_S8_S8_S8_S8_S8_EEEEZNS1_11reduce_implILb1ES3_NS6_12zip_iteratorINS7_INS6_11hip_rocprim26transform_input_iterator_tIbNSD_35transform_pair_of_input_iterators_tIbNS6_6detail15normal_iteratorINS6_10device_ptrIKsEEEESL_NS6_8equal_toIsEEEENSG_9not_fun_tINSD_8identityEEEEENSD_19counting_iterator_tIlEES8_S8_S8_S8_S8_S8_S8_S8_EEEEPS9_S9_NSD_9__find_if7functorIS9_EEEE10hipError_tPvRmT1_T2_T3_mT4_P12ihipStream_tbEUlT_E0_NS1_11comp_targetILNS1_3genE3ELNS1_11target_archE908ELNS1_3gpuE7ELNS1_3repE0EEENS1_30default_config_static_selectorELNS0_4arch9wavefront6targetE1EEEvS14_.has_recursion, 0
	.set _ZN7rocprim17ROCPRIM_400000_NS6detail17trampoline_kernelINS0_14default_configENS1_22reduce_config_selectorIN6thrust23THRUST_200600_302600_NS5tupleIblNS6_9null_typeES8_S8_S8_S8_S8_S8_S8_EEEEZNS1_11reduce_implILb1ES3_NS6_12zip_iteratorINS7_INS6_11hip_rocprim26transform_input_iterator_tIbNSD_35transform_pair_of_input_iterators_tIbNS6_6detail15normal_iteratorINS6_10device_ptrIKsEEEESL_NS6_8equal_toIsEEEENSG_9not_fun_tINSD_8identityEEEEENSD_19counting_iterator_tIlEES8_S8_S8_S8_S8_S8_S8_S8_EEEEPS9_S9_NSD_9__find_if7functorIS9_EEEE10hipError_tPvRmT1_T2_T3_mT4_P12ihipStream_tbEUlT_E0_NS1_11comp_targetILNS1_3genE3ELNS1_11target_archE908ELNS1_3gpuE7ELNS1_3repE0EEENS1_30default_config_static_selectorELNS0_4arch9wavefront6targetE1EEEvS14_.has_indirect_call, 0
	.section	.AMDGPU.csdata,"",@progbits
; Kernel info:
; codeLenInByte = 0
; TotalNumSgprs: 6
; NumVgprs: 0
; NumAgprs: 0
; TotalNumVgprs: 0
; ScratchSize: 0
; MemoryBound: 0
; FloatMode: 240
; IeeeMode: 1
; LDSByteSize: 0 bytes/workgroup (compile time only)
; SGPRBlocks: 0
; VGPRBlocks: 0
; NumSGPRsForWavesPerEU: 6
; NumVGPRsForWavesPerEU: 1
; AccumOffset: 4
; Occupancy: 8
; WaveLimiterHint : 0
; COMPUTE_PGM_RSRC2:SCRATCH_EN: 0
; COMPUTE_PGM_RSRC2:USER_SGPR: 2
; COMPUTE_PGM_RSRC2:TRAP_HANDLER: 0
; COMPUTE_PGM_RSRC2:TGID_X_EN: 1
; COMPUTE_PGM_RSRC2:TGID_Y_EN: 0
; COMPUTE_PGM_RSRC2:TGID_Z_EN: 0
; COMPUTE_PGM_RSRC2:TIDIG_COMP_CNT: 0
; COMPUTE_PGM_RSRC3_GFX90A:ACCUM_OFFSET: 0
; COMPUTE_PGM_RSRC3_GFX90A:TG_SPLIT: 0
	.section	.text._ZN7rocprim17ROCPRIM_400000_NS6detail17trampoline_kernelINS0_14default_configENS1_22reduce_config_selectorIN6thrust23THRUST_200600_302600_NS5tupleIblNS6_9null_typeES8_S8_S8_S8_S8_S8_S8_EEEEZNS1_11reduce_implILb1ES3_NS6_12zip_iteratorINS7_INS6_11hip_rocprim26transform_input_iterator_tIbNSD_35transform_pair_of_input_iterators_tIbNS6_6detail15normal_iteratorINS6_10device_ptrIKsEEEESL_NS6_8equal_toIsEEEENSG_9not_fun_tINSD_8identityEEEEENSD_19counting_iterator_tIlEES8_S8_S8_S8_S8_S8_S8_S8_EEEEPS9_S9_NSD_9__find_if7functorIS9_EEEE10hipError_tPvRmT1_T2_T3_mT4_P12ihipStream_tbEUlT_E0_NS1_11comp_targetILNS1_3genE2ELNS1_11target_archE906ELNS1_3gpuE6ELNS1_3repE0EEENS1_30default_config_static_selectorELNS0_4arch9wavefront6targetE1EEEvS14_,"axG",@progbits,_ZN7rocprim17ROCPRIM_400000_NS6detail17trampoline_kernelINS0_14default_configENS1_22reduce_config_selectorIN6thrust23THRUST_200600_302600_NS5tupleIblNS6_9null_typeES8_S8_S8_S8_S8_S8_S8_EEEEZNS1_11reduce_implILb1ES3_NS6_12zip_iteratorINS7_INS6_11hip_rocprim26transform_input_iterator_tIbNSD_35transform_pair_of_input_iterators_tIbNS6_6detail15normal_iteratorINS6_10device_ptrIKsEEEESL_NS6_8equal_toIsEEEENSG_9not_fun_tINSD_8identityEEEEENSD_19counting_iterator_tIlEES8_S8_S8_S8_S8_S8_S8_S8_EEEEPS9_S9_NSD_9__find_if7functorIS9_EEEE10hipError_tPvRmT1_T2_T3_mT4_P12ihipStream_tbEUlT_E0_NS1_11comp_targetILNS1_3genE2ELNS1_11target_archE906ELNS1_3gpuE6ELNS1_3repE0EEENS1_30default_config_static_selectorELNS0_4arch9wavefront6targetE1EEEvS14_,comdat
	.protected	_ZN7rocprim17ROCPRIM_400000_NS6detail17trampoline_kernelINS0_14default_configENS1_22reduce_config_selectorIN6thrust23THRUST_200600_302600_NS5tupleIblNS6_9null_typeES8_S8_S8_S8_S8_S8_S8_EEEEZNS1_11reduce_implILb1ES3_NS6_12zip_iteratorINS7_INS6_11hip_rocprim26transform_input_iterator_tIbNSD_35transform_pair_of_input_iterators_tIbNS6_6detail15normal_iteratorINS6_10device_ptrIKsEEEESL_NS6_8equal_toIsEEEENSG_9not_fun_tINSD_8identityEEEEENSD_19counting_iterator_tIlEES8_S8_S8_S8_S8_S8_S8_S8_EEEEPS9_S9_NSD_9__find_if7functorIS9_EEEE10hipError_tPvRmT1_T2_T3_mT4_P12ihipStream_tbEUlT_E0_NS1_11comp_targetILNS1_3genE2ELNS1_11target_archE906ELNS1_3gpuE6ELNS1_3repE0EEENS1_30default_config_static_selectorELNS0_4arch9wavefront6targetE1EEEvS14_ ; -- Begin function _ZN7rocprim17ROCPRIM_400000_NS6detail17trampoline_kernelINS0_14default_configENS1_22reduce_config_selectorIN6thrust23THRUST_200600_302600_NS5tupleIblNS6_9null_typeES8_S8_S8_S8_S8_S8_S8_EEEEZNS1_11reduce_implILb1ES3_NS6_12zip_iteratorINS7_INS6_11hip_rocprim26transform_input_iterator_tIbNSD_35transform_pair_of_input_iterators_tIbNS6_6detail15normal_iteratorINS6_10device_ptrIKsEEEESL_NS6_8equal_toIsEEEENSG_9not_fun_tINSD_8identityEEEEENSD_19counting_iterator_tIlEES8_S8_S8_S8_S8_S8_S8_S8_EEEEPS9_S9_NSD_9__find_if7functorIS9_EEEE10hipError_tPvRmT1_T2_T3_mT4_P12ihipStream_tbEUlT_E0_NS1_11comp_targetILNS1_3genE2ELNS1_11target_archE906ELNS1_3gpuE6ELNS1_3repE0EEENS1_30default_config_static_selectorELNS0_4arch9wavefront6targetE1EEEvS14_
	.globl	_ZN7rocprim17ROCPRIM_400000_NS6detail17trampoline_kernelINS0_14default_configENS1_22reduce_config_selectorIN6thrust23THRUST_200600_302600_NS5tupleIblNS6_9null_typeES8_S8_S8_S8_S8_S8_S8_EEEEZNS1_11reduce_implILb1ES3_NS6_12zip_iteratorINS7_INS6_11hip_rocprim26transform_input_iterator_tIbNSD_35transform_pair_of_input_iterators_tIbNS6_6detail15normal_iteratorINS6_10device_ptrIKsEEEESL_NS6_8equal_toIsEEEENSG_9not_fun_tINSD_8identityEEEEENSD_19counting_iterator_tIlEES8_S8_S8_S8_S8_S8_S8_S8_EEEEPS9_S9_NSD_9__find_if7functorIS9_EEEE10hipError_tPvRmT1_T2_T3_mT4_P12ihipStream_tbEUlT_E0_NS1_11comp_targetILNS1_3genE2ELNS1_11target_archE906ELNS1_3gpuE6ELNS1_3repE0EEENS1_30default_config_static_selectorELNS0_4arch9wavefront6targetE1EEEvS14_
	.p2align	8
	.type	_ZN7rocprim17ROCPRIM_400000_NS6detail17trampoline_kernelINS0_14default_configENS1_22reduce_config_selectorIN6thrust23THRUST_200600_302600_NS5tupleIblNS6_9null_typeES8_S8_S8_S8_S8_S8_S8_EEEEZNS1_11reduce_implILb1ES3_NS6_12zip_iteratorINS7_INS6_11hip_rocprim26transform_input_iterator_tIbNSD_35transform_pair_of_input_iterators_tIbNS6_6detail15normal_iteratorINS6_10device_ptrIKsEEEESL_NS6_8equal_toIsEEEENSG_9not_fun_tINSD_8identityEEEEENSD_19counting_iterator_tIlEES8_S8_S8_S8_S8_S8_S8_S8_EEEEPS9_S9_NSD_9__find_if7functorIS9_EEEE10hipError_tPvRmT1_T2_T3_mT4_P12ihipStream_tbEUlT_E0_NS1_11comp_targetILNS1_3genE2ELNS1_11target_archE906ELNS1_3gpuE6ELNS1_3repE0EEENS1_30default_config_static_selectorELNS0_4arch9wavefront6targetE1EEEvS14_,@function
_ZN7rocprim17ROCPRIM_400000_NS6detail17trampoline_kernelINS0_14default_configENS1_22reduce_config_selectorIN6thrust23THRUST_200600_302600_NS5tupleIblNS6_9null_typeES8_S8_S8_S8_S8_S8_S8_EEEEZNS1_11reduce_implILb1ES3_NS6_12zip_iteratorINS7_INS6_11hip_rocprim26transform_input_iterator_tIbNSD_35transform_pair_of_input_iterators_tIbNS6_6detail15normal_iteratorINS6_10device_ptrIKsEEEESL_NS6_8equal_toIsEEEENSG_9not_fun_tINSD_8identityEEEEENSD_19counting_iterator_tIlEES8_S8_S8_S8_S8_S8_S8_S8_EEEEPS9_S9_NSD_9__find_if7functorIS9_EEEE10hipError_tPvRmT1_T2_T3_mT4_P12ihipStream_tbEUlT_E0_NS1_11comp_targetILNS1_3genE2ELNS1_11target_archE906ELNS1_3gpuE6ELNS1_3repE0EEENS1_30default_config_static_selectorELNS0_4arch9wavefront6targetE1EEEvS14_: ; @_ZN7rocprim17ROCPRIM_400000_NS6detail17trampoline_kernelINS0_14default_configENS1_22reduce_config_selectorIN6thrust23THRUST_200600_302600_NS5tupleIblNS6_9null_typeES8_S8_S8_S8_S8_S8_S8_EEEEZNS1_11reduce_implILb1ES3_NS6_12zip_iteratorINS7_INS6_11hip_rocprim26transform_input_iterator_tIbNSD_35transform_pair_of_input_iterators_tIbNS6_6detail15normal_iteratorINS6_10device_ptrIKsEEEESL_NS6_8equal_toIsEEEENSG_9not_fun_tINSD_8identityEEEEENSD_19counting_iterator_tIlEES8_S8_S8_S8_S8_S8_S8_S8_EEEEPS9_S9_NSD_9__find_if7functorIS9_EEEE10hipError_tPvRmT1_T2_T3_mT4_P12ihipStream_tbEUlT_E0_NS1_11comp_targetILNS1_3genE2ELNS1_11target_archE906ELNS1_3gpuE6ELNS1_3repE0EEENS1_30default_config_static_selectorELNS0_4arch9wavefront6targetE1EEEvS14_
; %bb.0:
	.section	.rodata,"a",@progbits
	.p2align	6, 0x0
	.amdhsa_kernel _ZN7rocprim17ROCPRIM_400000_NS6detail17trampoline_kernelINS0_14default_configENS1_22reduce_config_selectorIN6thrust23THRUST_200600_302600_NS5tupleIblNS6_9null_typeES8_S8_S8_S8_S8_S8_S8_EEEEZNS1_11reduce_implILb1ES3_NS6_12zip_iteratorINS7_INS6_11hip_rocprim26transform_input_iterator_tIbNSD_35transform_pair_of_input_iterators_tIbNS6_6detail15normal_iteratorINS6_10device_ptrIKsEEEESL_NS6_8equal_toIsEEEENSG_9not_fun_tINSD_8identityEEEEENSD_19counting_iterator_tIlEES8_S8_S8_S8_S8_S8_S8_S8_EEEEPS9_S9_NSD_9__find_if7functorIS9_EEEE10hipError_tPvRmT1_T2_T3_mT4_P12ihipStream_tbEUlT_E0_NS1_11comp_targetILNS1_3genE2ELNS1_11target_archE906ELNS1_3gpuE6ELNS1_3repE0EEENS1_30default_config_static_selectorELNS0_4arch9wavefront6targetE1EEEvS14_
		.amdhsa_group_segment_fixed_size 0
		.amdhsa_private_segment_fixed_size 0
		.amdhsa_kernarg_size 104
		.amdhsa_user_sgpr_count 2
		.amdhsa_user_sgpr_dispatch_ptr 0
		.amdhsa_user_sgpr_queue_ptr 0
		.amdhsa_user_sgpr_kernarg_segment_ptr 1
		.amdhsa_user_sgpr_dispatch_id 0
		.amdhsa_user_sgpr_kernarg_preload_length 0
		.amdhsa_user_sgpr_kernarg_preload_offset 0
		.amdhsa_user_sgpr_private_segment_size 0
		.amdhsa_uses_dynamic_stack 0
		.amdhsa_enable_private_segment 0
		.amdhsa_system_sgpr_workgroup_id_x 1
		.amdhsa_system_sgpr_workgroup_id_y 0
		.amdhsa_system_sgpr_workgroup_id_z 0
		.amdhsa_system_sgpr_workgroup_info 0
		.amdhsa_system_vgpr_workitem_id 0
		.amdhsa_next_free_vgpr 1
		.amdhsa_next_free_sgpr 0
		.amdhsa_accum_offset 4
		.amdhsa_reserve_vcc 0
		.amdhsa_float_round_mode_32 0
		.amdhsa_float_round_mode_16_64 0
		.amdhsa_float_denorm_mode_32 3
		.amdhsa_float_denorm_mode_16_64 3
		.amdhsa_dx10_clamp 1
		.amdhsa_ieee_mode 1
		.amdhsa_fp16_overflow 0
		.amdhsa_tg_split 0
		.amdhsa_exception_fp_ieee_invalid_op 0
		.amdhsa_exception_fp_denorm_src 0
		.amdhsa_exception_fp_ieee_div_zero 0
		.amdhsa_exception_fp_ieee_overflow 0
		.amdhsa_exception_fp_ieee_underflow 0
		.amdhsa_exception_fp_ieee_inexact 0
		.amdhsa_exception_int_div_zero 0
	.end_amdhsa_kernel
	.section	.text._ZN7rocprim17ROCPRIM_400000_NS6detail17trampoline_kernelINS0_14default_configENS1_22reduce_config_selectorIN6thrust23THRUST_200600_302600_NS5tupleIblNS6_9null_typeES8_S8_S8_S8_S8_S8_S8_EEEEZNS1_11reduce_implILb1ES3_NS6_12zip_iteratorINS7_INS6_11hip_rocprim26transform_input_iterator_tIbNSD_35transform_pair_of_input_iterators_tIbNS6_6detail15normal_iteratorINS6_10device_ptrIKsEEEESL_NS6_8equal_toIsEEEENSG_9not_fun_tINSD_8identityEEEEENSD_19counting_iterator_tIlEES8_S8_S8_S8_S8_S8_S8_S8_EEEEPS9_S9_NSD_9__find_if7functorIS9_EEEE10hipError_tPvRmT1_T2_T3_mT4_P12ihipStream_tbEUlT_E0_NS1_11comp_targetILNS1_3genE2ELNS1_11target_archE906ELNS1_3gpuE6ELNS1_3repE0EEENS1_30default_config_static_selectorELNS0_4arch9wavefront6targetE1EEEvS14_,"axG",@progbits,_ZN7rocprim17ROCPRIM_400000_NS6detail17trampoline_kernelINS0_14default_configENS1_22reduce_config_selectorIN6thrust23THRUST_200600_302600_NS5tupleIblNS6_9null_typeES8_S8_S8_S8_S8_S8_S8_EEEEZNS1_11reduce_implILb1ES3_NS6_12zip_iteratorINS7_INS6_11hip_rocprim26transform_input_iterator_tIbNSD_35transform_pair_of_input_iterators_tIbNS6_6detail15normal_iteratorINS6_10device_ptrIKsEEEESL_NS6_8equal_toIsEEEENSG_9not_fun_tINSD_8identityEEEEENSD_19counting_iterator_tIlEES8_S8_S8_S8_S8_S8_S8_S8_EEEEPS9_S9_NSD_9__find_if7functorIS9_EEEE10hipError_tPvRmT1_T2_T3_mT4_P12ihipStream_tbEUlT_E0_NS1_11comp_targetILNS1_3genE2ELNS1_11target_archE906ELNS1_3gpuE6ELNS1_3repE0EEENS1_30default_config_static_selectorELNS0_4arch9wavefront6targetE1EEEvS14_,comdat
.Lfunc_end1700:
	.size	_ZN7rocprim17ROCPRIM_400000_NS6detail17trampoline_kernelINS0_14default_configENS1_22reduce_config_selectorIN6thrust23THRUST_200600_302600_NS5tupleIblNS6_9null_typeES8_S8_S8_S8_S8_S8_S8_EEEEZNS1_11reduce_implILb1ES3_NS6_12zip_iteratorINS7_INS6_11hip_rocprim26transform_input_iterator_tIbNSD_35transform_pair_of_input_iterators_tIbNS6_6detail15normal_iteratorINS6_10device_ptrIKsEEEESL_NS6_8equal_toIsEEEENSG_9not_fun_tINSD_8identityEEEEENSD_19counting_iterator_tIlEES8_S8_S8_S8_S8_S8_S8_S8_EEEEPS9_S9_NSD_9__find_if7functorIS9_EEEE10hipError_tPvRmT1_T2_T3_mT4_P12ihipStream_tbEUlT_E0_NS1_11comp_targetILNS1_3genE2ELNS1_11target_archE906ELNS1_3gpuE6ELNS1_3repE0EEENS1_30default_config_static_selectorELNS0_4arch9wavefront6targetE1EEEvS14_, .Lfunc_end1700-_ZN7rocprim17ROCPRIM_400000_NS6detail17trampoline_kernelINS0_14default_configENS1_22reduce_config_selectorIN6thrust23THRUST_200600_302600_NS5tupleIblNS6_9null_typeES8_S8_S8_S8_S8_S8_S8_EEEEZNS1_11reduce_implILb1ES3_NS6_12zip_iteratorINS7_INS6_11hip_rocprim26transform_input_iterator_tIbNSD_35transform_pair_of_input_iterators_tIbNS6_6detail15normal_iteratorINS6_10device_ptrIKsEEEESL_NS6_8equal_toIsEEEENSG_9not_fun_tINSD_8identityEEEEENSD_19counting_iterator_tIlEES8_S8_S8_S8_S8_S8_S8_S8_EEEEPS9_S9_NSD_9__find_if7functorIS9_EEEE10hipError_tPvRmT1_T2_T3_mT4_P12ihipStream_tbEUlT_E0_NS1_11comp_targetILNS1_3genE2ELNS1_11target_archE906ELNS1_3gpuE6ELNS1_3repE0EEENS1_30default_config_static_selectorELNS0_4arch9wavefront6targetE1EEEvS14_
                                        ; -- End function
	.set _ZN7rocprim17ROCPRIM_400000_NS6detail17trampoline_kernelINS0_14default_configENS1_22reduce_config_selectorIN6thrust23THRUST_200600_302600_NS5tupleIblNS6_9null_typeES8_S8_S8_S8_S8_S8_S8_EEEEZNS1_11reduce_implILb1ES3_NS6_12zip_iteratorINS7_INS6_11hip_rocprim26transform_input_iterator_tIbNSD_35transform_pair_of_input_iterators_tIbNS6_6detail15normal_iteratorINS6_10device_ptrIKsEEEESL_NS6_8equal_toIsEEEENSG_9not_fun_tINSD_8identityEEEEENSD_19counting_iterator_tIlEES8_S8_S8_S8_S8_S8_S8_S8_EEEEPS9_S9_NSD_9__find_if7functorIS9_EEEE10hipError_tPvRmT1_T2_T3_mT4_P12ihipStream_tbEUlT_E0_NS1_11comp_targetILNS1_3genE2ELNS1_11target_archE906ELNS1_3gpuE6ELNS1_3repE0EEENS1_30default_config_static_selectorELNS0_4arch9wavefront6targetE1EEEvS14_.num_vgpr, 0
	.set _ZN7rocprim17ROCPRIM_400000_NS6detail17trampoline_kernelINS0_14default_configENS1_22reduce_config_selectorIN6thrust23THRUST_200600_302600_NS5tupleIblNS6_9null_typeES8_S8_S8_S8_S8_S8_S8_EEEEZNS1_11reduce_implILb1ES3_NS6_12zip_iteratorINS7_INS6_11hip_rocprim26transform_input_iterator_tIbNSD_35transform_pair_of_input_iterators_tIbNS6_6detail15normal_iteratorINS6_10device_ptrIKsEEEESL_NS6_8equal_toIsEEEENSG_9not_fun_tINSD_8identityEEEEENSD_19counting_iterator_tIlEES8_S8_S8_S8_S8_S8_S8_S8_EEEEPS9_S9_NSD_9__find_if7functorIS9_EEEE10hipError_tPvRmT1_T2_T3_mT4_P12ihipStream_tbEUlT_E0_NS1_11comp_targetILNS1_3genE2ELNS1_11target_archE906ELNS1_3gpuE6ELNS1_3repE0EEENS1_30default_config_static_selectorELNS0_4arch9wavefront6targetE1EEEvS14_.num_agpr, 0
	.set _ZN7rocprim17ROCPRIM_400000_NS6detail17trampoline_kernelINS0_14default_configENS1_22reduce_config_selectorIN6thrust23THRUST_200600_302600_NS5tupleIblNS6_9null_typeES8_S8_S8_S8_S8_S8_S8_EEEEZNS1_11reduce_implILb1ES3_NS6_12zip_iteratorINS7_INS6_11hip_rocprim26transform_input_iterator_tIbNSD_35transform_pair_of_input_iterators_tIbNS6_6detail15normal_iteratorINS6_10device_ptrIKsEEEESL_NS6_8equal_toIsEEEENSG_9not_fun_tINSD_8identityEEEEENSD_19counting_iterator_tIlEES8_S8_S8_S8_S8_S8_S8_S8_EEEEPS9_S9_NSD_9__find_if7functorIS9_EEEE10hipError_tPvRmT1_T2_T3_mT4_P12ihipStream_tbEUlT_E0_NS1_11comp_targetILNS1_3genE2ELNS1_11target_archE906ELNS1_3gpuE6ELNS1_3repE0EEENS1_30default_config_static_selectorELNS0_4arch9wavefront6targetE1EEEvS14_.numbered_sgpr, 0
	.set _ZN7rocprim17ROCPRIM_400000_NS6detail17trampoline_kernelINS0_14default_configENS1_22reduce_config_selectorIN6thrust23THRUST_200600_302600_NS5tupleIblNS6_9null_typeES8_S8_S8_S8_S8_S8_S8_EEEEZNS1_11reduce_implILb1ES3_NS6_12zip_iteratorINS7_INS6_11hip_rocprim26transform_input_iterator_tIbNSD_35transform_pair_of_input_iterators_tIbNS6_6detail15normal_iteratorINS6_10device_ptrIKsEEEESL_NS6_8equal_toIsEEEENSG_9not_fun_tINSD_8identityEEEEENSD_19counting_iterator_tIlEES8_S8_S8_S8_S8_S8_S8_S8_EEEEPS9_S9_NSD_9__find_if7functorIS9_EEEE10hipError_tPvRmT1_T2_T3_mT4_P12ihipStream_tbEUlT_E0_NS1_11comp_targetILNS1_3genE2ELNS1_11target_archE906ELNS1_3gpuE6ELNS1_3repE0EEENS1_30default_config_static_selectorELNS0_4arch9wavefront6targetE1EEEvS14_.num_named_barrier, 0
	.set _ZN7rocprim17ROCPRIM_400000_NS6detail17trampoline_kernelINS0_14default_configENS1_22reduce_config_selectorIN6thrust23THRUST_200600_302600_NS5tupleIblNS6_9null_typeES8_S8_S8_S8_S8_S8_S8_EEEEZNS1_11reduce_implILb1ES3_NS6_12zip_iteratorINS7_INS6_11hip_rocprim26transform_input_iterator_tIbNSD_35transform_pair_of_input_iterators_tIbNS6_6detail15normal_iteratorINS6_10device_ptrIKsEEEESL_NS6_8equal_toIsEEEENSG_9not_fun_tINSD_8identityEEEEENSD_19counting_iterator_tIlEES8_S8_S8_S8_S8_S8_S8_S8_EEEEPS9_S9_NSD_9__find_if7functorIS9_EEEE10hipError_tPvRmT1_T2_T3_mT4_P12ihipStream_tbEUlT_E0_NS1_11comp_targetILNS1_3genE2ELNS1_11target_archE906ELNS1_3gpuE6ELNS1_3repE0EEENS1_30default_config_static_selectorELNS0_4arch9wavefront6targetE1EEEvS14_.private_seg_size, 0
	.set _ZN7rocprim17ROCPRIM_400000_NS6detail17trampoline_kernelINS0_14default_configENS1_22reduce_config_selectorIN6thrust23THRUST_200600_302600_NS5tupleIblNS6_9null_typeES8_S8_S8_S8_S8_S8_S8_EEEEZNS1_11reduce_implILb1ES3_NS6_12zip_iteratorINS7_INS6_11hip_rocprim26transform_input_iterator_tIbNSD_35transform_pair_of_input_iterators_tIbNS6_6detail15normal_iteratorINS6_10device_ptrIKsEEEESL_NS6_8equal_toIsEEEENSG_9not_fun_tINSD_8identityEEEEENSD_19counting_iterator_tIlEES8_S8_S8_S8_S8_S8_S8_S8_EEEEPS9_S9_NSD_9__find_if7functorIS9_EEEE10hipError_tPvRmT1_T2_T3_mT4_P12ihipStream_tbEUlT_E0_NS1_11comp_targetILNS1_3genE2ELNS1_11target_archE906ELNS1_3gpuE6ELNS1_3repE0EEENS1_30default_config_static_selectorELNS0_4arch9wavefront6targetE1EEEvS14_.uses_vcc, 0
	.set _ZN7rocprim17ROCPRIM_400000_NS6detail17trampoline_kernelINS0_14default_configENS1_22reduce_config_selectorIN6thrust23THRUST_200600_302600_NS5tupleIblNS6_9null_typeES8_S8_S8_S8_S8_S8_S8_EEEEZNS1_11reduce_implILb1ES3_NS6_12zip_iteratorINS7_INS6_11hip_rocprim26transform_input_iterator_tIbNSD_35transform_pair_of_input_iterators_tIbNS6_6detail15normal_iteratorINS6_10device_ptrIKsEEEESL_NS6_8equal_toIsEEEENSG_9not_fun_tINSD_8identityEEEEENSD_19counting_iterator_tIlEES8_S8_S8_S8_S8_S8_S8_S8_EEEEPS9_S9_NSD_9__find_if7functorIS9_EEEE10hipError_tPvRmT1_T2_T3_mT4_P12ihipStream_tbEUlT_E0_NS1_11comp_targetILNS1_3genE2ELNS1_11target_archE906ELNS1_3gpuE6ELNS1_3repE0EEENS1_30default_config_static_selectorELNS0_4arch9wavefront6targetE1EEEvS14_.uses_flat_scratch, 0
	.set _ZN7rocprim17ROCPRIM_400000_NS6detail17trampoline_kernelINS0_14default_configENS1_22reduce_config_selectorIN6thrust23THRUST_200600_302600_NS5tupleIblNS6_9null_typeES8_S8_S8_S8_S8_S8_S8_EEEEZNS1_11reduce_implILb1ES3_NS6_12zip_iteratorINS7_INS6_11hip_rocprim26transform_input_iterator_tIbNSD_35transform_pair_of_input_iterators_tIbNS6_6detail15normal_iteratorINS6_10device_ptrIKsEEEESL_NS6_8equal_toIsEEEENSG_9not_fun_tINSD_8identityEEEEENSD_19counting_iterator_tIlEES8_S8_S8_S8_S8_S8_S8_S8_EEEEPS9_S9_NSD_9__find_if7functorIS9_EEEE10hipError_tPvRmT1_T2_T3_mT4_P12ihipStream_tbEUlT_E0_NS1_11comp_targetILNS1_3genE2ELNS1_11target_archE906ELNS1_3gpuE6ELNS1_3repE0EEENS1_30default_config_static_selectorELNS0_4arch9wavefront6targetE1EEEvS14_.has_dyn_sized_stack, 0
	.set _ZN7rocprim17ROCPRIM_400000_NS6detail17trampoline_kernelINS0_14default_configENS1_22reduce_config_selectorIN6thrust23THRUST_200600_302600_NS5tupleIblNS6_9null_typeES8_S8_S8_S8_S8_S8_S8_EEEEZNS1_11reduce_implILb1ES3_NS6_12zip_iteratorINS7_INS6_11hip_rocprim26transform_input_iterator_tIbNSD_35transform_pair_of_input_iterators_tIbNS6_6detail15normal_iteratorINS6_10device_ptrIKsEEEESL_NS6_8equal_toIsEEEENSG_9not_fun_tINSD_8identityEEEEENSD_19counting_iterator_tIlEES8_S8_S8_S8_S8_S8_S8_S8_EEEEPS9_S9_NSD_9__find_if7functorIS9_EEEE10hipError_tPvRmT1_T2_T3_mT4_P12ihipStream_tbEUlT_E0_NS1_11comp_targetILNS1_3genE2ELNS1_11target_archE906ELNS1_3gpuE6ELNS1_3repE0EEENS1_30default_config_static_selectorELNS0_4arch9wavefront6targetE1EEEvS14_.has_recursion, 0
	.set _ZN7rocprim17ROCPRIM_400000_NS6detail17trampoline_kernelINS0_14default_configENS1_22reduce_config_selectorIN6thrust23THRUST_200600_302600_NS5tupleIblNS6_9null_typeES8_S8_S8_S8_S8_S8_S8_EEEEZNS1_11reduce_implILb1ES3_NS6_12zip_iteratorINS7_INS6_11hip_rocprim26transform_input_iterator_tIbNSD_35transform_pair_of_input_iterators_tIbNS6_6detail15normal_iteratorINS6_10device_ptrIKsEEEESL_NS6_8equal_toIsEEEENSG_9not_fun_tINSD_8identityEEEEENSD_19counting_iterator_tIlEES8_S8_S8_S8_S8_S8_S8_S8_EEEEPS9_S9_NSD_9__find_if7functorIS9_EEEE10hipError_tPvRmT1_T2_T3_mT4_P12ihipStream_tbEUlT_E0_NS1_11comp_targetILNS1_3genE2ELNS1_11target_archE906ELNS1_3gpuE6ELNS1_3repE0EEENS1_30default_config_static_selectorELNS0_4arch9wavefront6targetE1EEEvS14_.has_indirect_call, 0
	.section	.AMDGPU.csdata,"",@progbits
; Kernel info:
; codeLenInByte = 0
; TotalNumSgprs: 6
; NumVgprs: 0
; NumAgprs: 0
; TotalNumVgprs: 0
; ScratchSize: 0
; MemoryBound: 0
; FloatMode: 240
; IeeeMode: 1
; LDSByteSize: 0 bytes/workgroup (compile time only)
; SGPRBlocks: 0
; VGPRBlocks: 0
; NumSGPRsForWavesPerEU: 6
; NumVGPRsForWavesPerEU: 1
; AccumOffset: 4
; Occupancy: 8
; WaveLimiterHint : 0
; COMPUTE_PGM_RSRC2:SCRATCH_EN: 0
; COMPUTE_PGM_RSRC2:USER_SGPR: 2
; COMPUTE_PGM_RSRC2:TRAP_HANDLER: 0
; COMPUTE_PGM_RSRC2:TGID_X_EN: 1
; COMPUTE_PGM_RSRC2:TGID_Y_EN: 0
; COMPUTE_PGM_RSRC2:TGID_Z_EN: 0
; COMPUTE_PGM_RSRC2:TIDIG_COMP_CNT: 0
; COMPUTE_PGM_RSRC3_GFX90A:ACCUM_OFFSET: 0
; COMPUTE_PGM_RSRC3_GFX90A:TG_SPLIT: 0
	.section	.text._ZN7rocprim17ROCPRIM_400000_NS6detail17trampoline_kernelINS0_14default_configENS1_22reduce_config_selectorIN6thrust23THRUST_200600_302600_NS5tupleIblNS6_9null_typeES8_S8_S8_S8_S8_S8_S8_EEEEZNS1_11reduce_implILb1ES3_NS6_12zip_iteratorINS7_INS6_11hip_rocprim26transform_input_iterator_tIbNSD_35transform_pair_of_input_iterators_tIbNS6_6detail15normal_iteratorINS6_10device_ptrIKsEEEESL_NS6_8equal_toIsEEEENSG_9not_fun_tINSD_8identityEEEEENSD_19counting_iterator_tIlEES8_S8_S8_S8_S8_S8_S8_S8_EEEEPS9_S9_NSD_9__find_if7functorIS9_EEEE10hipError_tPvRmT1_T2_T3_mT4_P12ihipStream_tbEUlT_E0_NS1_11comp_targetILNS1_3genE10ELNS1_11target_archE1201ELNS1_3gpuE5ELNS1_3repE0EEENS1_30default_config_static_selectorELNS0_4arch9wavefront6targetE1EEEvS14_,"axG",@progbits,_ZN7rocprim17ROCPRIM_400000_NS6detail17trampoline_kernelINS0_14default_configENS1_22reduce_config_selectorIN6thrust23THRUST_200600_302600_NS5tupleIblNS6_9null_typeES8_S8_S8_S8_S8_S8_S8_EEEEZNS1_11reduce_implILb1ES3_NS6_12zip_iteratorINS7_INS6_11hip_rocprim26transform_input_iterator_tIbNSD_35transform_pair_of_input_iterators_tIbNS6_6detail15normal_iteratorINS6_10device_ptrIKsEEEESL_NS6_8equal_toIsEEEENSG_9not_fun_tINSD_8identityEEEEENSD_19counting_iterator_tIlEES8_S8_S8_S8_S8_S8_S8_S8_EEEEPS9_S9_NSD_9__find_if7functorIS9_EEEE10hipError_tPvRmT1_T2_T3_mT4_P12ihipStream_tbEUlT_E0_NS1_11comp_targetILNS1_3genE10ELNS1_11target_archE1201ELNS1_3gpuE5ELNS1_3repE0EEENS1_30default_config_static_selectorELNS0_4arch9wavefront6targetE1EEEvS14_,comdat
	.protected	_ZN7rocprim17ROCPRIM_400000_NS6detail17trampoline_kernelINS0_14default_configENS1_22reduce_config_selectorIN6thrust23THRUST_200600_302600_NS5tupleIblNS6_9null_typeES8_S8_S8_S8_S8_S8_S8_EEEEZNS1_11reduce_implILb1ES3_NS6_12zip_iteratorINS7_INS6_11hip_rocprim26transform_input_iterator_tIbNSD_35transform_pair_of_input_iterators_tIbNS6_6detail15normal_iteratorINS6_10device_ptrIKsEEEESL_NS6_8equal_toIsEEEENSG_9not_fun_tINSD_8identityEEEEENSD_19counting_iterator_tIlEES8_S8_S8_S8_S8_S8_S8_S8_EEEEPS9_S9_NSD_9__find_if7functorIS9_EEEE10hipError_tPvRmT1_T2_T3_mT4_P12ihipStream_tbEUlT_E0_NS1_11comp_targetILNS1_3genE10ELNS1_11target_archE1201ELNS1_3gpuE5ELNS1_3repE0EEENS1_30default_config_static_selectorELNS0_4arch9wavefront6targetE1EEEvS14_ ; -- Begin function _ZN7rocprim17ROCPRIM_400000_NS6detail17trampoline_kernelINS0_14default_configENS1_22reduce_config_selectorIN6thrust23THRUST_200600_302600_NS5tupleIblNS6_9null_typeES8_S8_S8_S8_S8_S8_S8_EEEEZNS1_11reduce_implILb1ES3_NS6_12zip_iteratorINS7_INS6_11hip_rocprim26transform_input_iterator_tIbNSD_35transform_pair_of_input_iterators_tIbNS6_6detail15normal_iteratorINS6_10device_ptrIKsEEEESL_NS6_8equal_toIsEEEENSG_9not_fun_tINSD_8identityEEEEENSD_19counting_iterator_tIlEES8_S8_S8_S8_S8_S8_S8_S8_EEEEPS9_S9_NSD_9__find_if7functorIS9_EEEE10hipError_tPvRmT1_T2_T3_mT4_P12ihipStream_tbEUlT_E0_NS1_11comp_targetILNS1_3genE10ELNS1_11target_archE1201ELNS1_3gpuE5ELNS1_3repE0EEENS1_30default_config_static_selectorELNS0_4arch9wavefront6targetE1EEEvS14_
	.globl	_ZN7rocprim17ROCPRIM_400000_NS6detail17trampoline_kernelINS0_14default_configENS1_22reduce_config_selectorIN6thrust23THRUST_200600_302600_NS5tupleIblNS6_9null_typeES8_S8_S8_S8_S8_S8_S8_EEEEZNS1_11reduce_implILb1ES3_NS6_12zip_iteratorINS7_INS6_11hip_rocprim26transform_input_iterator_tIbNSD_35transform_pair_of_input_iterators_tIbNS6_6detail15normal_iteratorINS6_10device_ptrIKsEEEESL_NS6_8equal_toIsEEEENSG_9not_fun_tINSD_8identityEEEEENSD_19counting_iterator_tIlEES8_S8_S8_S8_S8_S8_S8_S8_EEEEPS9_S9_NSD_9__find_if7functorIS9_EEEE10hipError_tPvRmT1_T2_T3_mT4_P12ihipStream_tbEUlT_E0_NS1_11comp_targetILNS1_3genE10ELNS1_11target_archE1201ELNS1_3gpuE5ELNS1_3repE0EEENS1_30default_config_static_selectorELNS0_4arch9wavefront6targetE1EEEvS14_
	.p2align	8
	.type	_ZN7rocprim17ROCPRIM_400000_NS6detail17trampoline_kernelINS0_14default_configENS1_22reduce_config_selectorIN6thrust23THRUST_200600_302600_NS5tupleIblNS6_9null_typeES8_S8_S8_S8_S8_S8_S8_EEEEZNS1_11reduce_implILb1ES3_NS6_12zip_iteratorINS7_INS6_11hip_rocprim26transform_input_iterator_tIbNSD_35transform_pair_of_input_iterators_tIbNS6_6detail15normal_iteratorINS6_10device_ptrIKsEEEESL_NS6_8equal_toIsEEEENSG_9not_fun_tINSD_8identityEEEEENSD_19counting_iterator_tIlEES8_S8_S8_S8_S8_S8_S8_S8_EEEEPS9_S9_NSD_9__find_if7functorIS9_EEEE10hipError_tPvRmT1_T2_T3_mT4_P12ihipStream_tbEUlT_E0_NS1_11comp_targetILNS1_3genE10ELNS1_11target_archE1201ELNS1_3gpuE5ELNS1_3repE0EEENS1_30default_config_static_selectorELNS0_4arch9wavefront6targetE1EEEvS14_,@function
_ZN7rocprim17ROCPRIM_400000_NS6detail17trampoline_kernelINS0_14default_configENS1_22reduce_config_selectorIN6thrust23THRUST_200600_302600_NS5tupleIblNS6_9null_typeES8_S8_S8_S8_S8_S8_S8_EEEEZNS1_11reduce_implILb1ES3_NS6_12zip_iteratorINS7_INS6_11hip_rocprim26transform_input_iterator_tIbNSD_35transform_pair_of_input_iterators_tIbNS6_6detail15normal_iteratorINS6_10device_ptrIKsEEEESL_NS6_8equal_toIsEEEENSG_9not_fun_tINSD_8identityEEEEENSD_19counting_iterator_tIlEES8_S8_S8_S8_S8_S8_S8_S8_EEEEPS9_S9_NSD_9__find_if7functorIS9_EEEE10hipError_tPvRmT1_T2_T3_mT4_P12ihipStream_tbEUlT_E0_NS1_11comp_targetILNS1_3genE10ELNS1_11target_archE1201ELNS1_3gpuE5ELNS1_3repE0EEENS1_30default_config_static_selectorELNS0_4arch9wavefront6targetE1EEEvS14_: ; @_ZN7rocprim17ROCPRIM_400000_NS6detail17trampoline_kernelINS0_14default_configENS1_22reduce_config_selectorIN6thrust23THRUST_200600_302600_NS5tupleIblNS6_9null_typeES8_S8_S8_S8_S8_S8_S8_EEEEZNS1_11reduce_implILb1ES3_NS6_12zip_iteratorINS7_INS6_11hip_rocprim26transform_input_iterator_tIbNSD_35transform_pair_of_input_iterators_tIbNS6_6detail15normal_iteratorINS6_10device_ptrIKsEEEESL_NS6_8equal_toIsEEEENSG_9not_fun_tINSD_8identityEEEEENSD_19counting_iterator_tIlEES8_S8_S8_S8_S8_S8_S8_S8_EEEEPS9_S9_NSD_9__find_if7functorIS9_EEEE10hipError_tPvRmT1_T2_T3_mT4_P12ihipStream_tbEUlT_E0_NS1_11comp_targetILNS1_3genE10ELNS1_11target_archE1201ELNS1_3gpuE5ELNS1_3repE0EEENS1_30default_config_static_selectorELNS0_4arch9wavefront6targetE1EEEvS14_
; %bb.0:
	.section	.rodata,"a",@progbits
	.p2align	6, 0x0
	.amdhsa_kernel _ZN7rocprim17ROCPRIM_400000_NS6detail17trampoline_kernelINS0_14default_configENS1_22reduce_config_selectorIN6thrust23THRUST_200600_302600_NS5tupleIblNS6_9null_typeES8_S8_S8_S8_S8_S8_S8_EEEEZNS1_11reduce_implILb1ES3_NS6_12zip_iteratorINS7_INS6_11hip_rocprim26transform_input_iterator_tIbNSD_35transform_pair_of_input_iterators_tIbNS6_6detail15normal_iteratorINS6_10device_ptrIKsEEEESL_NS6_8equal_toIsEEEENSG_9not_fun_tINSD_8identityEEEEENSD_19counting_iterator_tIlEES8_S8_S8_S8_S8_S8_S8_S8_EEEEPS9_S9_NSD_9__find_if7functorIS9_EEEE10hipError_tPvRmT1_T2_T3_mT4_P12ihipStream_tbEUlT_E0_NS1_11comp_targetILNS1_3genE10ELNS1_11target_archE1201ELNS1_3gpuE5ELNS1_3repE0EEENS1_30default_config_static_selectorELNS0_4arch9wavefront6targetE1EEEvS14_
		.amdhsa_group_segment_fixed_size 0
		.amdhsa_private_segment_fixed_size 0
		.amdhsa_kernarg_size 104
		.amdhsa_user_sgpr_count 2
		.amdhsa_user_sgpr_dispatch_ptr 0
		.amdhsa_user_sgpr_queue_ptr 0
		.amdhsa_user_sgpr_kernarg_segment_ptr 1
		.amdhsa_user_sgpr_dispatch_id 0
		.amdhsa_user_sgpr_kernarg_preload_length 0
		.amdhsa_user_sgpr_kernarg_preload_offset 0
		.amdhsa_user_sgpr_private_segment_size 0
		.amdhsa_uses_dynamic_stack 0
		.amdhsa_enable_private_segment 0
		.amdhsa_system_sgpr_workgroup_id_x 1
		.amdhsa_system_sgpr_workgroup_id_y 0
		.amdhsa_system_sgpr_workgroup_id_z 0
		.amdhsa_system_sgpr_workgroup_info 0
		.amdhsa_system_vgpr_workitem_id 0
		.amdhsa_next_free_vgpr 1
		.amdhsa_next_free_sgpr 0
		.amdhsa_accum_offset 4
		.amdhsa_reserve_vcc 0
		.amdhsa_float_round_mode_32 0
		.amdhsa_float_round_mode_16_64 0
		.amdhsa_float_denorm_mode_32 3
		.amdhsa_float_denorm_mode_16_64 3
		.amdhsa_dx10_clamp 1
		.amdhsa_ieee_mode 1
		.amdhsa_fp16_overflow 0
		.amdhsa_tg_split 0
		.amdhsa_exception_fp_ieee_invalid_op 0
		.amdhsa_exception_fp_denorm_src 0
		.amdhsa_exception_fp_ieee_div_zero 0
		.amdhsa_exception_fp_ieee_overflow 0
		.amdhsa_exception_fp_ieee_underflow 0
		.amdhsa_exception_fp_ieee_inexact 0
		.amdhsa_exception_int_div_zero 0
	.end_amdhsa_kernel
	.section	.text._ZN7rocprim17ROCPRIM_400000_NS6detail17trampoline_kernelINS0_14default_configENS1_22reduce_config_selectorIN6thrust23THRUST_200600_302600_NS5tupleIblNS6_9null_typeES8_S8_S8_S8_S8_S8_S8_EEEEZNS1_11reduce_implILb1ES3_NS6_12zip_iteratorINS7_INS6_11hip_rocprim26transform_input_iterator_tIbNSD_35transform_pair_of_input_iterators_tIbNS6_6detail15normal_iteratorINS6_10device_ptrIKsEEEESL_NS6_8equal_toIsEEEENSG_9not_fun_tINSD_8identityEEEEENSD_19counting_iterator_tIlEES8_S8_S8_S8_S8_S8_S8_S8_EEEEPS9_S9_NSD_9__find_if7functorIS9_EEEE10hipError_tPvRmT1_T2_T3_mT4_P12ihipStream_tbEUlT_E0_NS1_11comp_targetILNS1_3genE10ELNS1_11target_archE1201ELNS1_3gpuE5ELNS1_3repE0EEENS1_30default_config_static_selectorELNS0_4arch9wavefront6targetE1EEEvS14_,"axG",@progbits,_ZN7rocprim17ROCPRIM_400000_NS6detail17trampoline_kernelINS0_14default_configENS1_22reduce_config_selectorIN6thrust23THRUST_200600_302600_NS5tupleIblNS6_9null_typeES8_S8_S8_S8_S8_S8_S8_EEEEZNS1_11reduce_implILb1ES3_NS6_12zip_iteratorINS7_INS6_11hip_rocprim26transform_input_iterator_tIbNSD_35transform_pair_of_input_iterators_tIbNS6_6detail15normal_iteratorINS6_10device_ptrIKsEEEESL_NS6_8equal_toIsEEEENSG_9not_fun_tINSD_8identityEEEEENSD_19counting_iterator_tIlEES8_S8_S8_S8_S8_S8_S8_S8_EEEEPS9_S9_NSD_9__find_if7functorIS9_EEEE10hipError_tPvRmT1_T2_T3_mT4_P12ihipStream_tbEUlT_E0_NS1_11comp_targetILNS1_3genE10ELNS1_11target_archE1201ELNS1_3gpuE5ELNS1_3repE0EEENS1_30default_config_static_selectorELNS0_4arch9wavefront6targetE1EEEvS14_,comdat
.Lfunc_end1701:
	.size	_ZN7rocprim17ROCPRIM_400000_NS6detail17trampoline_kernelINS0_14default_configENS1_22reduce_config_selectorIN6thrust23THRUST_200600_302600_NS5tupleIblNS6_9null_typeES8_S8_S8_S8_S8_S8_S8_EEEEZNS1_11reduce_implILb1ES3_NS6_12zip_iteratorINS7_INS6_11hip_rocprim26transform_input_iterator_tIbNSD_35transform_pair_of_input_iterators_tIbNS6_6detail15normal_iteratorINS6_10device_ptrIKsEEEESL_NS6_8equal_toIsEEEENSG_9not_fun_tINSD_8identityEEEEENSD_19counting_iterator_tIlEES8_S8_S8_S8_S8_S8_S8_S8_EEEEPS9_S9_NSD_9__find_if7functorIS9_EEEE10hipError_tPvRmT1_T2_T3_mT4_P12ihipStream_tbEUlT_E0_NS1_11comp_targetILNS1_3genE10ELNS1_11target_archE1201ELNS1_3gpuE5ELNS1_3repE0EEENS1_30default_config_static_selectorELNS0_4arch9wavefront6targetE1EEEvS14_, .Lfunc_end1701-_ZN7rocprim17ROCPRIM_400000_NS6detail17trampoline_kernelINS0_14default_configENS1_22reduce_config_selectorIN6thrust23THRUST_200600_302600_NS5tupleIblNS6_9null_typeES8_S8_S8_S8_S8_S8_S8_EEEEZNS1_11reduce_implILb1ES3_NS6_12zip_iteratorINS7_INS6_11hip_rocprim26transform_input_iterator_tIbNSD_35transform_pair_of_input_iterators_tIbNS6_6detail15normal_iteratorINS6_10device_ptrIKsEEEESL_NS6_8equal_toIsEEEENSG_9not_fun_tINSD_8identityEEEEENSD_19counting_iterator_tIlEES8_S8_S8_S8_S8_S8_S8_S8_EEEEPS9_S9_NSD_9__find_if7functorIS9_EEEE10hipError_tPvRmT1_T2_T3_mT4_P12ihipStream_tbEUlT_E0_NS1_11comp_targetILNS1_3genE10ELNS1_11target_archE1201ELNS1_3gpuE5ELNS1_3repE0EEENS1_30default_config_static_selectorELNS0_4arch9wavefront6targetE1EEEvS14_
                                        ; -- End function
	.set _ZN7rocprim17ROCPRIM_400000_NS6detail17trampoline_kernelINS0_14default_configENS1_22reduce_config_selectorIN6thrust23THRUST_200600_302600_NS5tupleIblNS6_9null_typeES8_S8_S8_S8_S8_S8_S8_EEEEZNS1_11reduce_implILb1ES3_NS6_12zip_iteratorINS7_INS6_11hip_rocprim26transform_input_iterator_tIbNSD_35transform_pair_of_input_iterators_tIbNS6_6detail15normal_iteratorINS6_10device_ptrIKsEEEESL_NS6_8equal_toIsEEEENSG_9not_fun_tINSD_8identityEEEEENSD_19counting_iterator_tIlEES8_S8_S8_S8_S8_S8_S8_S8_EEEEPS9_S9_NSD_9__find_if7functorIS9_EEEE10hipError_tPvRmT1_T2_T3_mT4_P12ihipStream_tbEUlT_E0_NS1_11comp_targetILNS1_3genE10ELNS1_11target_archE1201ELNS1_3gpuE5ELNS1_3repE0EEENS1_30default_config_static_selectorELNS0_4arch9wavefront6targetE1EEEvS14_.num_vgpr, 0
	.set _ZN7rocprim17ROCPRIM_400000_NS6detail17trampoline_kernelINS0_14default_configENS1_22reduce_config_selectorIN6thrust23THRUST_200600_302600_NS5tupleIblNS6_9null_typeES8_S8_S8_S8_S8_S8_S8_EEEEZNS1_11reduce_implILb1ES3_NS6_12zip_iteratorINS7_INS6_11hip_rocprim26transform_input_iterator_tIbNSD_35transform_pair_of_input_iterators_tIbNS6_6detail15normal_iteratorINS6_10device_ptrIKsEEEESL_NS6_8equal_toIsEEEENSG_9not_fun_tINSD_8identityEEEEENSD_19counting_iterator_tIlEES8_S8_S8_S8_S8_S8_S8_S8_EEEEPS9_S9_NSD_9__find_if7functorIS9_EEEE10hipError_tPvRmT1_T2_T3_mT4_P12ihipStream_tbEUlT_E0_NS1_11comp_targetILNS1_3genE10ELNS1_11target_archE1201ELNS1_3gpuE5ELNS1_3repE0EEENS1_30default_config_static_selectorELNS0_4arch9wavefront6targetE1EEEvS14_.num_agpr, 0
	.set _ZN7rocprim17ROCPRIM_400000_NS6detail17trampoline_kernelINS0_14default_configENS1_22reduce_config_selectorIN6thrust23THRUST_200600_302600_NS5tupleIblNS6_9null_typeES8_S8_S8_S8_S8_S8_S8_EEEEZNS1_11reduce_implILb1ES3_NS6_12zip_iteratorINS7_INS6_11hip_rocprim26transform_input_iterator_tIbNSD_35transform_pair_of_input_iterators_tIbNS6_6detail15normal_iteratorINS6_10device_ptrIKsEEEESL_NS6_8equal_toIsEEEENSG_9not_fun_tINSD_8identityEEEEENSD_19counting_iterator_tIlEES8_S8_S8_S8_S8_S8_S8_S8_EEEEPS9_S9_NSD_9__find_if7functorIS9_EEEE10hipError_tPvRmT1_T2_T3_mT4_P12ihipStream_tbEUlT_E0_NS1_11comp_targetILNS1_3genE10ELNS1_11target_archE1201ELNS1_3gpuE5ELNS1_3repE0EEENS1_30default_config_static_selectorELNS0_4arch9wavefront6targetE1EEEvS14_.numbered_sgpr, 0
	.set _ZN7rocprim17ROCPRIM_400000_NS6detail17trampoline_kernelINS0_14default_configENS1_22reduce_config_selectorIN6thrust23THRUST_200600_302600_NS5tupleIblNS6_9null_typeES8_S8_S8_S8_S8_S8_S8_EEEEZNS1_11reduce_implILb1ES3_NS6_12zip_iteratorINS7_INS6_11hip_rocprim26transform_input_iterator_tIbNSD_35transform_pair_of_input_iterators_tIbNS6_6detail15normal_iteratorINS6_10device_ptrIKsEEEESL_NS6_8equal_toIsEEEENSG_9not_fun_tINSD_8identityEEEEENSD_19counting_iterator_tIlEES8_S8_S8_S8_S8_S8_S8_S8_EEEEPS9_S9_NSD_9__find_if7functorIS9_EEEE10hipError_tPvRmT1_T2_T3_mT4_P12ihipStream_tbEUlT_E0_NS1_11comp_targetILNS1_3genE10ELNS1_11target_archE1201ELNS1_3gpuE5ELNS1_3repE0EEENS1_30default_config_static_selectorELNS0_4arch9wavefront6targetE1EEEvS14_.num_named_barrier, 0
	.set _ZN7rocprim17ROCPRIM_400000_NS6detail17trampoline_kernelINS0_14default_configENS1_22reduce_config_selectorIN6thrust23THRUST_200600_302600_NS5tupleIblNS6_9null_typeES8_S8_S8_S8_S8_S8_S8_EEEEZNS1_11reduce_implILb1ES3_NS6_12zip_iteratorINS7_INS6_11hip_rocprim26transform_input_iterator_tIbNSD_35transform_pair_of_input_iterators_tIbNS6_6detail15normal_iteratorINS6_10device_ptrIKsEEEESL_NS6_8equal_toIsEEEENSG_9not_fun_tINSD_8identityEEEEENSD_19counting_iterator_tIlEES8_S8_S8_S8_S8_S8_S8_S8_EEEEPS9_S9_NSD_9__find_if7functorIS9_EEEE10hipError_tPvRmT1_T2_T3_mT4_P12ihipStream_tbEUlT_E0_NS1_11comp_targetILNS1_3genE10ELNS1_11target_archE1201ELNS1_3gpuE5ELNS1_3repE0EEENS1_30default_config_static_selectorELNS0_4arch9wavefront6targetE1EEEvS14_.private_seg_size, 0
	.set _ZN7rocprim17ROCPRIM_400000_NS6detail17trampoline_kernelINS0_14default_configENS1_22reduce_config_selectorIN6thrust23THRUST_200600_302600_NS5tupleIblNS6_9null_typeES8_S8_S8_S8_S8_S8_S8_EEEEZNS1_11reduce_implILb1ES3_NS6_12zip_iteratorINS7_INS6_11hip_rocprim26transform_input_iterator_tIbNSD_35transform_pair_of_input_iterators_tIbNS6_6detail15normal_iteratorINS6_10device_ptrIKsEEEESL_NS6_8equal_toIsEEEENSG_9not_fun_tINSD_8identityEEEEENSD_19counting_iterator_tIlEES8_S8_S8_S8_S8_S8_S8_S8_EEEEPS9_S9_NSD_9__find_if7functorIS9_EEEE10hipError_tPvRmT1_T2_T3_mT4_P12ihipStream_tbEUlT_E0_NS1_11comp_targetILNS1_3genE10ELNS1_11target_archE1201ELNS1_3gpuE5ELNS1_3repE0EEENS1_30default_config_static_selectorELNS0_4arch9wavefront6targetE1EEEvS14_.uses_vcc, 0
	.set _ZN7rocprim17ROCPRIM_400000_NS6detail17trampoline_kernelINS0_14default_configENS1_22reduce_config_selectorIN6thrust23THRUST_200600_302600_NS5tupleIblNS6_9null_typeES8_S8_S8_S8_S8_S8_S8_EEEEZNS1_11reduce_implILb1ES3_NS6_12zip_iteratorINS7_INS6_11hip_rocprim26transform_input_iterator_tIbNSD_35transform_pair_of_input_iterators_tIbNS6_6detail15normal_iteratorINS6_10device_ptrIKsEEEESL_NS6_8equal_toIsEEEENSG_9not_fun_tINSD_8identityEEEEENSD_19counting_iterator_tIlEES8_S8_S8_S8_S8_S8_S8_S8_EEEEPS9_S9_NSD_9__find_if7functorIS9_EEEE10hipError_tPvRmT1_T2_T3_mT4_P12ihipStream_tbEUlT_E0_NS1_11comp_targetILNS1_3genE10ELNS1_11target_archE1201ELNS1_3gpuE5ELNS1_3repE0EEENS1_30default_config_static_selectorELNS0_4arch9wavefront6targetE1EEEvS14_.uses_flat_scratch, 0
	.set _ZN7rocprim17ROCPRIM_400000_NS6detail17trampoline_kernelINS0_14default_configENS1_22reduce_config_selectorIN6thrust23THRUST_200600_302600_NS5tupleIblNS6_9null_typeES8_S8_S8_S8_S8_S8_S8_EEEEZNS1_11reduce_implILb1ES3_NS6_12zip_iteratorINS7_INS6_11hip_rocprim26transform_input_iterator_tIbNSD_35transform_pair_of_input_iterators_tIbNS6_6detail15normal_iteratorINS6_10device_ptrIKsEEEESL_NS6_8equal_toIsEEEENSG_9not_fun_tINSD_8identityEEEEENSD_19counting_iterator_tIlEES8_S8_S8_S8_S8_S8_S8_S8_EEEEPS9_S9_NSD_9__find_if7functorIS9_EEEE10hipError_tPvRmT1_T2_T3_mT4_P12ihipStream_tbEUlT_E0_NS1_11comp_targetILNS1_3genE10ELNS1_11target_archE1201ELNS1_3gpuE5ELNS1_3repE0EEENS1_30default_config_static_selectorELNS0_4arch9wavefront6targetE1EEEvS14_.has_dyn_sized_stack, 0
	.set _ZN7rocprim17ROCPRIM_400000_NS6detail17trampoline_kernelINS0_14default_configENS1_22reduce_config_selectorIN6thrust23THRUST_200600_302600_NS5tupleIblNS6_9null_typeES8_S8_S8_S8_S8_S8_S8_EEEEZNS1_11reduce_implILb1ES3_NS6_12zip_iteratorINS7_INS6_11hip_rocprim26transform_input_iterator_tIbNSD_35transform_pair_of_input_iterators_tIbNS6_6detail15normal_iteratorINS6_10device_ptrIKsEEEESL_NS6_8equal_toIsEEEENSG_9not_fun_tINSD_8identityEEEEENSD_19counting_iterator_tIlEES8_S8_S8_S8_S8_S8_S8_S8_EEEEPS9_S9_NSD_9__find_if7functorIS9_EEEE10hipError_tPvRmT1_T2_T3_mT4_P12ihipStream_tbEUlT_E0_NS1_11comp_targetILNS1_3genE10ELNS1_11target_archE1201ELNS1_3gpuE5ELNS1_3repE0EEENS1_30default_config_static_selectorELNS0_4arch9wavefront6targetE1EEEvS14_.has_recursion, 0
	.set _ZN7rocprim17ROCPRIM_400000_NS6detail17trampoline_kernelINS0_14default_configENS1_22reduce_config_selectorIN6thrust23THRUST_200600_302600_NS5tupleIblNS6_9null_typeES8_S8_S8_S8_S8_S8_S8_EEEEZNS1_11reduce_implILb1ES3_NS6_12zip_iteratorINS7_INS6_11hip_rocprim26transform_input_iterator_tIbNSD_35transform_pair_of_input_iterators_tIbNS6_6detail15normal_iteratorINS6_10device_ptrIKsEEEESL_NS6_8equal_toIsEEEENSG_9not_fun_tINSD_8identityEEEEENSD_19counting_iterator_tIlEES8_S8_S8_S8_S8_S8_S8_S8_EEEEPS9_S9_NSD_9__find_if7functorIS9_EEEE10hipError_tPvRmT1_T2_T3_mT4_P12ihipStream_tbEUlT_E0_NS1_11comp_targetILNS1_3genE10ELNS1_11target_archE1201ELNS1_3gpuE5ELNS1_3repE0EEENS1_30default_config_static_selectorELNS0_4arch9wavefront6targetE1EEEvS14_.has_indirect_call, 0
	.section	.AMDGPU.csdata,"",@progbits
; Kernel info:
; codeLenInByte = 0
; TotalNumSgprs: 6
; NumVgprs: 0
; NumAgprs: 0
; TotalNumVgprs: 0
; ScratchSize: 0
; MemoryBound: 0
; FloatMode: 240
; IeeeMode: 1
; LDSByteSize: 0 bytes/workgroup (compile time only)
; SGPRBlocks: 0
; VGPRBlocks: 0
; NumSGPRsForWavesPerEU: 6
; NumVGPRsForWavesPerEU: 1
; AccumOffset: 4
; Occupancy: 8
; WaveLimiterHint : 0
; COMPUTE_PGM_RSRC2:SCRATCH_EN: 0
; COMPUTE_PGM_RSRC2:USER_SGPR: 2
; COMPUTE_PGM_RSRC2:TRAP_HANDLER: 0
; COMPUTE_PGM_RSRC2:TGID_X_EN: 1
; COMPUTE_PGM_RSRC2:TGID_Y_EN: 0
; COMPUTE_PGM_RSRC2:TGID_Z_EN: 0
; COMPUTE_PGM_RSRC2:TIDIG_COMP_CNT: 0
; COMPUTE_PGM_RSRC3_GFX90A:ACCUM_OFFSET: 0
; COMPUTE_PGM_RSRC3_GFX90A:TG_SPLIT: 0
	.section	.text._ZN7rocprim17ROCPRIM_400000_NS6detail17trampoline_kernelINS0_14default_configENS1_22reduce_config_selectorIN6thrust23THRUST_200600_302600_NS5tupleIblNS6_9null_typeES8_S8_S8_S8_S8_S8_S8_EEEEZNS1_11reduce_implILb1ES3_NS6_12zip_iteratorINS7_INS6_11hip_rocprim26transform_input_iterator_tIbNSD_35transform_pair_of_input_iterators_tIbNS6_6detail15normal_iteratorINS6_10device_ptrIKsEEEESL_NS6_8equal_toIsEEEENSG_9not_fun_tINSD_8identityEEEEENSD_19counting_iterator_tIlEES8_S8_S8_S8_S8_S8_S8_S8_EEEEPS9_S9_NSD_9__find_if7functorIS9_EEEE10hipError_tPvRmT1_T2_T3_mT4_P12ihipStream_tbEUlT_E0_NS1_11comp_targetILNS1_3genE10ELNS1_11target_archE1200ELNS1_3gpuE4ELNS1_3repE0EEENS1_30default_config_static_selectorELNS0_4arch9wavefront6targetE1EEEvS14_,"axG",@progbits,_ZN7rocprim17ROCPRIM_400000_NS6detail17trampoline_kernelINS0_14default_configENS1_22reduce_config_selectorIN6thrust23THRUST_200600_302600_NS5tupleIblNS6_9null_typeES8_S8_S8_S8_S8_S8_S8_EEEEZNS1_11reduce_implILb1ES3_NS6_12zip_iteratorINS7_INS6_11hip_rocprim26transform_input_iterator_tIbNSD_35transform_pair_of_input_iterators_tIbNS6_6detail15normal_iteratorINS6_10device_ptrIKsEEEESL_NS6_8equal_toIsEEEENSG_9not_fun_tINSD_8identityEEEEENSD_19counting_iterator_tIlEES8_S8_S8_S8_S8_S8_S8_S8_EEEEPS9_S9_NSD_9__find_if7functorIS9_EEEE10hipError_tPvRmT1_T2_T3_mT4_P12ihipStream_tbEUlT_E0_NS1_11comp_targetILNS1_3genE10ELNS1_11target_archE1200ELNS1_3gpuE4ELNS1_3repE0EEENS1_30default_config_static_selectorELNS0_4arch9wavefront6targetE1EEEvS14_,comdat
	.protected	_ZN7rocprim17ROCPRIM_400000_NS6detail17trampoline_kernelINS0_14default_configENS1_22reduce_config_selectorIN6thrust23THRUST_200600_302600_NS5tupleIblNS6_9null_typeES8_S8_S8_S8_S8_S8_S8_EEEEZNS1_11reduce_implILb1ES3_NS6_12zip_iteratorINS7_INS6_11hip_rocprim26transform_input_iterator_tIbNSD_35transform_pair_of_input_iterators_tIbNS6_6detail15normal_iteratorINS6_10device_ptrIKsEEEESL_NS6_8equal_toIsEEEENSG_9not_fun_tINSD_8identityEEEEENSD_19counting_iterator_tIlEES8_S8_S8_S8_S8_S8_S8_S8_EEEEPS9_S9_NSD_9__find_if7functorIS9_EEEE10hipError_tPvRmT1_T2_T3_mT4_P12ihipStream_tbEUlT_E0_NS1_11comp_targetILNS1_3genE10ELNS1_11target_archE1200ELNS1_3gpuE4ELNS1_3repE0EEENS1_30default_config_static_selectorELNS0_4arch9wavefront6targetE1EEEvS14_ ; -- Begin function _ZN7rocprim17ROCPRIM_400000_NS6detail17trampoline_kernelINS0_14default_configENS1_22reduce_config_selectorIN6thrust23THRUST_200600_302600_NS5tupleIblNS6_9null_typeES8_S8_S8_S8_S8_S8_S8_EEEEZNS1_11reduce_implILb1ES3_NS6_12zip_iteratorINS7_INS6_11hip_rocprim26transform_input_iterator_tIbNSD_35transform_pair_of_input_iterators_tIbNS6_6detail15normal_iteratorINS6_10device_ptrIKsEEEESL_NS6_8equal_toIsEEEENSG_9not_fun_tINSD_8identityEEEEENSD_19counting_iterator_tIlEES8_S8_S8_S8_S8_S8_S8_S8_EEEEPS9_S9_NSD_9__find_if7functorIS9_EEEE10hipError_tPvRmT1_T2_T3_mT4_P12ihipStream_tbEUlT_E0_NS1_11comp_targetILNS1_3genE10ELNS1_11target_archE1200ELNS1_3gpuE4ELNS1_3repE0EEENS1_30default_config_static_selectorELNS0_4arch9wavefront6targetE1EEEvS14_
	.globl	_ZN7rocprim17ROCPRIM_400000_NS6detail17trampoline_kernelINS0_14default_configENS1_22reduce_config_selectorIN6thrust23THRUST_200600_302600_NS5tupleIblNS6_9null_typeES8_S8_S8_S8_S8_S8_S8_EEEEZNS1_11reduce_implILb1ES3_NS6_12zip_iteratorINS7_INS6_11hip_rocprim26transform_input_iterator_tIbNSD_35transform_pair_of_input_iterators_tIbNS6_6detail15normal_iteratorINS6_10device_ptrIKsEEEESL_NS6_8equal_toIsEEEENSG_9not_fun_tINSD_8identityEEEEENSD_19counting_iterator_tIlEES8_S8_S8_S8_S8_S8_S8_S8_EEEEPS9_S9_NSD_9__find_if7functorIS9_EEEE10hipError_tPvRmT1_T2_T3_mT4_P12ihipStream_tbEUlT_E0_NS1_11comp_targetILNS1_3genE10ELNS1_11target_archE1200ELNS1_3gpuE4ELNS1_3repE0EEENS1_30default_config_static_selectorELNS0_4arch9wavefront6targetE1EEEvS14_
	.p2align	8
	.type	_ZN7rocprim17ROCPRIM_400000_NS6detail17trampoline_kernelINS0_14default_configENS1_22reduce_config_selectorIN6thrust23THRUST_200600_302600_NS5tupleIblNS6_9null_typeES8_S8_S8_S8_S8_S8_S8_EEEEZNS1_11reduce_implILb1ES3_NS6_12zip_iteratorINS7_INS6_11hip_rocprim26transform_input_iterator_tIbNSD_35transform_pair_of_input_iterators_tIbNS6_6detail15normal_iteratorINS6_10device_ptrIKsEEEESL_NS6_8equal_toIsEEEENSG_9not_fun_tINSD_8identityEEEEENSD_19counting_iterator_tIlEES8_S8_S8_S8_S8_S8_S8_S8_EEEEPS9_S9_NSD_9__find_if7functorIS9_EEEE10hipError_tPvRmT1_T2_T3_mT4_P12ihipStream_tbEUlT_E0_NS1_11comp_targetILNS1_3genE10ELNS1_11target_archE1200ELNS1_3gpuE4ELNS1_3repE0EEENS1_30default_config_static_selectorELNS0_4arch9wavefront6targetE1EEEvS14_,@function
_ZN7rocprim17ROCPRIM_400000_NS6detail17trampoline_kernelINS0_14default_configENS1_22reduce_config_selectorIN6thrust23THRUST_200600_302600_NS5tupleIblNS6_9null_typeES8_S8_S8_S8_S8_S8_S8_EEEEZNS1_11reduce_implILb1ES3_NS6_12zip_iteratorINS7_INS6_11hip_rocprim26transform_input_iterator_tIbNSD_35transform_pair_of_input_iterators_tIbNS6_6detail15normal_iteratorINS6_10device_ptrIKsEEEESL_NS6_8equal_toIsEEEENSG_9not_fun_tINSD_8identityEEEEENSD_19counting_iterator_tIlEES8_S8_S8_S8_S8_S8_S8_S8_EEEEPS9_S9_NSD_9__find_if7functorIS9_EEEE10hipError_tPvRmT1_T2_T3_mT4_P12ihipStream_tbEUlT_E0_NS1_11comp_targetILNS1_3genE10ELNS1_11target_archE1200ELNS1_3gpuE4ELNS1_3repE0EEENS1_30default_config_static_selectorELNS0_4arch9wavefront6targetE1EEEvS14_: ; @_ZN7rocprim17ROCPRIM_400000_NS6detail17trampoline_kernelINS0_14default_configENS1_22reduce_config_selectorIN6thrust23THRUST_200600_302600_NS5tupleIblNS6_9null_typeES8_S8_S8_S8_S8_S8_S8_EEEEZNS1_11reduce_implILb1ES3_NS6_12zip_iteratorINS7_INS6_11hip_rocprim26transform_input_iterator_tIbNSD_35transform_pair_of_input_iterators_tIbNS6_6detail15normal_iteratorINS6_10device_ptrIKsEEEESL_NS6_8equal_toIsEEEENSG_9not_fun_tINSD_8identityEEEEENSD_19counting_iterator_tIlEES8_S8_S8_S8_S8_S8_S8_S8_EEEEPS9_S9_NSD_9__find_if7functorIS9_EEEE10hipError_tPvRmT1_T2_T3_mT4_P12ihipStream_tbEUlT_E0_NS1_11comp_targetILNS1_3genE10ELNS1_11target_archE1200ELNS1_3gpuE4ELNS1_3repE0EEENS1_30default_config_static_selectorELNS0_4arch9wavefront6targetE1EEEvS14_
; %bb.0:
	.section	.rodata,"a",@progbits
	.p2align	6, 0x0
	.amdhsa_kernel _ZN7rocprim17ROCPRIM_400000_NS6detail17trampoline_kernelINS0_14default_configENS1_22reduce_config_selectorIN6thrust23THRUST_200600_302600_NS5tupleIblNS6_9null_typeES8_S8_S8_S8_S8_S8_S8_EEEEZNS1_11reduce_implILb1ES3_NS6_12zip_iteratorINS7_INS6_11hip_rocprim26transform_input_iterator_tIbNSD_35transform_pair_of_input_iterators_tIbNS6_6detail15normal_iteratorINS6_10device_ptrIKsEEEESL_NS6_8equal_toIsEEEENSG_9not_fun_tINSD_8identityEEEEENSD_19counting_iterator_tIlEES8_S8_S8_S8_S8_S8_S8_S8_EEEEPS9_S9_NSD_9__find_if7functorIS9_EEEE10hipError_tPvRmT1_T2_T3_mT4_P12ihipStream_tbEUlT_E0_NS1_11comp_targetILNS1_3genE10ELNS1_11target_archE1200ELNS1_3gpuE4ELNS1_3repE0EEENS1_30default_config_static_selectorELNS0_4arch9wavefront6targetE1EEEvS14_
		.amdhsa_group_segment_fixed_size 0
		.amdhsa_private_segment_fixed_size 0
		.amdhsa_kernarg_size 104
		.amdhsa_user_sgpr_count 2
		.amdhsa_user_sgpr_dispatch_ptr 0
		.amdhsa_user_sgpr_queue_ptr 0
		.amdhsa_user_sgpr_kernarg_segment_ptr 1
		.amdhsa_user_sgpr_dispatch_id 0
		.amdhsa_user_sgpr_kernarg_preload_length 0
		.amdhsa_user_sgpr_kernarg_preload_offset 0
		.amdhsa_user_sgpr_private_segment_size 0
		.amdhsa_uses_dynamic_stack 0
		.amdhsa_enable_private_segment 0
		.amdhsa_system_sgpr_workgroup_id_x 1
		.amdhsa_system_sgpr_workgroup_id_y 0
		.amdhsa_system_sgpr_workgroup_id_z 0
		.amdhsa_system_sgpr_workgroup_info 0
		.amdhsa_system_vgpr_workitem_id 0
		.amdhsa_next_free_vgpr 1
		.amdhsa_next_free_sgpr 0
		.amdhsa_accum_offset 4
		.amdhsa_reserve_vcc 0
		.amdhsa_float_round_mode_32 0
		.amdhsa_float_round_mode_16_64 0
		.amdhsa_float_denorm_mode_32 3
		.amdhsa_float_denorm_mode_16_64 3
		.amdhsa_dx10_clamp 1
		.amdhsa_ieee_mode 1
		.amdhsa_fp16_overflow 0
		.amdhsa_tg_split 0
		.amdhsa_exception_fp_ieee_invalid_op 0
		.amdhsa_exception_fp_denorm_src 0
		.amdhsa_exception_fp_ieee_div_zero 0
		.amdhsa_exception_fp_ieee_overflow 0
		.amdhsa_exception_fp_ieee_underflow 0
		.amdhsa_exception_fp_ieee_inexact 0
		.amdhsa_exception_int_div_zero 0
	.end_amdhsa_kernel
	.section	.text._ZN7rocprim17ROCPRIM_400000_NS6detail17trampoline_kernelINS0_14default_configENS1_22reduce_config_selectorIN6thrust23THRUST_200600_302600_NS5tupleIblNS6_9null_typeES8_S8_S8_S8_S8_S8_S8_EEEEZNS1_11reduce_implILb1ES3_NS6_12zip_iteratorINS7_INS6_11hip_rocprim26transform_input_iterator_tIbNSD_35transform_pair_of_input_iterators_tIbNS6_6detail15normal_iteratorINS6_10device_ptrIKsEEEESL_NS6_8equal_toIsEEEENSG_9not_fun_tINSD_8identityEEEEENSD_19counting_iterator_tIlEES8_S8_S8_S8_S8_S8_S8_S8_EEEEPS9_S9_NSD_9__find_if7functorIS9_EEEE10hipError_tPvRmT1_T2_T3_mT4_P12ihipStream_tbEUlT_E0_NS1_11comp_targetILNS1_3genE10ELNS1_11target_archE1200ELNS1_3gpuE4ELNS1_3repE0EEENS1_30default_config_static_selectorELNS0_4arch9wavefront6targetE1EEEvS14_,"axG",@progbits,_ZN7rocprim17ROCPRIM_400000_NS6detail17trampoline_kernelINS0_14default_configENS1_22reduce_config_selectorIN6thrust23THRUST_200600_302600_NS5tupleIblNS6_9null_typeES8_S8_S8_S8_S8_S8_S8_EEEEZNS1_11reduce_implILb1ES3_NS6_12zip_iteratorINS7_INS6_11hip_rocprim26transform_input_iterator_tIbNSD_35transform_pair_of_input_iterators_tIbNS6_6detail15normal_iteratorINS6_10device_ptrIKsEEEESL_NS6_8equal_toIsEEEENSG_9not_fun_tINSD_8identityEEEEENSD_19counting_iterator_tIlEES8_S8_S8_S8_S8_S8_S8_S8_EEEEPS9_S9_NSD_9__find_if7functorIS9_EEEE10hipError_tPvRmT1_T2_T3_mT4_P12ihipStream_tbEUlT_E0_NS1_11comp_targetILNS1_3genE10ELNS1_11target_archE1200ELNS1_3gpuE4ELNS1_3repE0EEENS1_30default_config_static_selectorELNS0_4arch9wavefront6targetE1EEEvS14_,comdat
.Lfunc_end1702:
	.size	_ZN7rocprim17ROCPRIM_400000_NS6detail17trampoline_kernelINS0_14default_configENS1_22reduce_config_selectorIN6thrust23THRUST_200600_302600_NS5tupleIblNS6_9null_typeES8_S8_S8_S8_S8_S8_S8_EEEEZNS1_11reduce_implILb1ES3_NS6_12zip_iteratorINS7_INS6_11hip_rocprim26transform_input_iterator_tIbNSD_35transform_pair_of_input_iterators_tIbNS6_6detail15normal_iteratorINS6_10device_ptrIKsEEEESL_NS6_8equal_toIsEEEENSG_9not_fun_tINSD_8identityEEEEENSD_19counting_iterator_tIlEES8_S8_S8_S8_S8_S8_S8_S8_EEEEPS9_S9_NSD_9__find_if7functorIS9_EEEE10hipError_tPvRmT1_T2_T3_mT4_P12ihipStream_tbEUlT_E0_NS1_11comp_targetILNS1_3genE10ELNS1_11target_archE1200ELNS1_3gpuE4ELNS1_3repE0EEENS1_30default_config_static_selectorELNS0_4arch9wavefront6targetE1EEEvS14_, .Lfunc_end1702-_ZN7rocprim17ROCPRIM_400000_NS6detail17trampoline_kernelINS0_14default_configENS1_22reduce_config_selectorIN6thrust23THRUST_200600_302600_NS5tupleIblNS6_9null_typeES8_S8_S8_S8_S8_S8_S8_EEEEZNS1_11reduce_implILb1ES3_NS6_12zip_iteratorINS7_INS6_11hip_rocprim26transform_input_iterator_tIbNSD_35transform_pair_of_input_iterators_tIbNS6_6detail15normal_iteratorINS6_10device_ptrIKsEEEESL_NS6_8equal_toIsEEEENSG_9not_fun_tINSD_8identityEEEEENSD_19counting_iterator_tIlEES8_S8_S8_S8_S8_S8_S8_S8_EEEEPS9_S9_NSD_9__find_if7functorIS9_EEEE10hipError_tPvRmT1_T2_T3_mT4_P12ihipStream_tbEUlT_E0_NS1_11comp_targetILNS1_3genE10ELNS1_11target_archE1200ELNS1_3gpuE4ELNS1_3repE0EEENS1_30default_config_static_selectorELNS0_4arch9wavefront6targetE1EEEvS14_
                                        ; -- End function
	.set _ZN7rocprim17ROCPRIM_400000_NS6detail17trampoline_kernelINS0_14default_configENS1_22reduce_config_selectorIN6thrust23THRUST_200600_302600_NS5tupleIblNS6_9null_typeES8_S8_S8_S8_S8_S8_S8_EEEEZNS1_11reduce_implILb1ES3_NS6_12zip_iteratorINS7_INS6_11hip_rocprim26transform_input_iterator_tIbNSD_35transform_pair_of_input_iterators_tIbNS6_6detail15normal_iteratorINS6_10device_ptrIKsEEEESL_NS6_8equal_toIsEEEENSG_9not_fun_tINSD_8identityEEEEENSD_19counting_iterator_tIlEES8_S8_S8_S8_S8_S8_S8_S8_EEEEPS9_S9_NSD_9__find_if7functorIS9_EEEE10hipError_tPvRmT1_T2_T3_mT4_P12ihipStream_tbEUlT_E0_NS1_11comp_targetILNS1_3genE10ELNS1_11target_archE1200ELNS1_3gpuE4ELNS1_3repE0EEENS1_30default_config_static_selectorELNS0_4arch9wavefront6targetE1EEEvS14_.num_vgpr, 0
	.set _ZN7rocprim17ROCPRIM_400000_NS6detail17trampoline_kernelINS0_14default_configENS1_22reduce_config_selectorIN6thrust23THRUST_200600_302600_NS5tupleIblNS6_9null_typeES8_S8_S8_S8_S8_S8_S8_EEEEZNS1_11reduce_implILb1ES3_NS6_12zip_iteratorINS7_INS6_11hip_rocprim26transform_input_iterator_tIbNSD_35transform_pair_of_input_iterators_tIbNS6_6detail15normal_iteratorINS6_10device_ptrIKsEEEESL_NS6_8equal_toIsEEEENSG_9not_fun_tINSD_8identityEEEEENSD_19counting_iterator_tIlEES8_S8_S8_S8_S8_S8_S8_S8_EEEEPS9_S9_NSD_9__find_if7functorIS9_EEEE10hipError_tPvRmT1_T2_T3_mT4_P12ihipStream_tbEUlT_E0_NS1_11comp_targetILNS1_3genE10ELNS1_11target_archE1200ELNS1_3gpuE4ELNS1_3repE0EEENS1_30default_config_static_selectorELNS0_4arch9wavefront6targetE1EEEvS14_.num_agpr, 0
	.set _ZN7rocprim17ROCPRIM_400000_NS6detail17trampoline_kernelINS0_14default_configENS1_22reduce_config_selectorIN6thrust23THRUST_200600_302600_NS5tupleIblNS6_9null_typeES8_S8_S8_S8_S8_S8_S8_EEEEZNS1_11reduce_implILb1ES3_NS6_12zip_iteratorINS7_INS6_11hip_rocprim26transform_input_iterator_tIbNSD_35transform_pair_of_input_iterators_tIbNS6_6detail15normal_iteratorINS6_10device_ptrIKsEEEESL_NS6_8equal_toIsEEEENSG_9not_fun_tINSD_8identityEEEEENSD_19counting_iterator_tIlEES8_S8_S8_S8_S8_S8_S8_S8_EEEEPS9_S9_NSD_9__find_if7functorIS9_EEEE10hipError_tPvRmT1_T2_T3_mT4_P12ihipStream_tbEUlT_E0_NS1_11comp_targetILNS1_3genE10ELNS1_11target_archE1200ELNS1_3gpuE4ELNS1_3repE0EEENS1_30default_config_static_selectorELNS0_4arch9wavefront6targetE1EEEvS14_.numbered_sgpr, 0
	.set _ZN7rocprim17ROCPRIM_400000_NS6detail17trampoline_kernelINS0_14default_configENS1_22reduce_config_selectorIN6thrust23THRUST_200600_302600_NS5tupleIblNS6_9null_typeES8_S8_S8_S8_S8_S8_S8_EEEEZNS1_11reduce_implILb1ES3_NS6_12zip_iteratorINS7_INS6_11hip_rocprim26transform_input_iterator_tIbNSD_35transform_pair_of_input_iterators_tIbNS6_6detail15normal_iteratorINS6_10device_ptrIKsEEEESL_NS6_8equal_toIsEEEENSG_9not_fun_tINSD_8identityEEEEENSD_19counting_iterator_tIlEES8_S8_S8_S8_S8_S8_S8_S8_EEEEPS9_S9_NSD_9__find_if7functorIS9_EEEE10hipError_tPvRmT1_T2_T3_mT4_P12ihipStream_tbEUlT_E0_NS1_11comp_targetILNS1_3genE10ELNS1_11target_archE1200ELNS1_3gpuE4ELNS1_3repE0EEENS1_30default_config_static_selectorELNS0_4arch9wavefront6targetE1EEEvS14_.num_named_barrier, 0
	.set _ZN7rocprim17ROCPRIM_400000_NS6detail17trampoline_kernelINS0_14default_configENS1_22reduce_config_selectorIN6thrust23THRUST_200600_302600_NS5tupleIblNS6_9null_typeES8_S8_S8_S8_S8_S8_S8_EEEEZNS1_11reduce_implILb1ES3_NS6_12zip_iteratorINS7_INS6_11hip_rocprim26transform_input_iterator_tIbNSD_35transform_pair_of_input_iterators_tIbNS6_6detail15normal_iteratorINS6_10device_ptrIKsEEEESL_NS6_8equal_toIsEEEENSG_9not_fun_tINSD_8identityEEEEENSD_19counting_iterator_tIlEES8_S8_S8_S8_S8_S8_S8_S8_EEEEPS9_S9_NSD_9__find_if7functorIS9_EEEE10hipError_tPvRmT1_T2_T3_mT4_P12ihipStream_tbEUlT_E0_NS1_11comp_targetILNS1_3genE10ELNS1_11target_archE1200ELNS1_3gpuE4ELNS1_3repE0EEENS1_30default_config_static_selectorELNS0_4arch9wavefront6targetE1EEEvS14_.private_seg_size, 0
	.set _ZN7rocprim17ROCPRIM_400000_NS6detail17trampoline_kernelINS0_14default_configENS1_22reduce_config_selectorIN6thrust23THRUST_200600_302600_NS5tupleIblNS6_9null_typeES8_S8_S8_S8_S8_S8_S8_EEEEZNS1_11reduce_implILb1ES3_NS6_12zip_iteratorINS7_INS6_11hip_rocprim26transform_input_iterator_tIbNSD_35transform_pair_of_input_iterators_tIbNS6_6detail15normal_iteratorINS6_10device_ptrIKsEEEESL_NS6_8equal_toIsEEEENSG_9not_fun_tINSD_8identityEEEEENSD_19counting_iterator_tIlEES8_S8_S8_S8_S8_S8_S8_S8_EEEEPS9_S9_NSD_9__find_if7functorIS9_EEEE10hipError_tPvRmT1_T2_T3_mT4_P12ihipStream_tbEUlT_E0_NS1_11comp_targetILNS1_3genE10ELNS1_11target_archE1200ELNS1_3gpuE4ELNS1_3repE0EEENS1_30default_config_static_selectorELNS0_4arch9wavefront6targetE1EEEvS14_.uses_vcc, 0
	.set _ZN7rocprim17ROCPRIM_400000_NS6detail17trampoline_kernelINS0_14default_configENS1_22reduce_config_selectorIN6thrust23THRUST_200600_302600_NS5tupleIblNS6_9null_typeES8_S8_S8_S8_S8_S8_S8_EEEEZNS1_11reduce_implILb1ES3_NS6_12zip_iteratorINS7_INS6_11hip_rocprim26transform_input_iterator_tIbNSD_35transform_pair_of_input_iterators_tIbNS6_6detail15normal_iteratorINS6_10device_ptrIKsEEEESL_NS6_8equal_toIsEEEENSG_9not_fun_tINSD_8identityEEEEENSD_19counting_iterator_tIlEES8_S8_S8_S8_S8_S8_S8_S8_EEEEPS9_S9_NSD_9__find_if7functorIS9_EEEE10hipError_tPvRmT1_T2_T3_mT4_P12ihipStream_tbEUlT_E0_NS1_11comp_targetILNS1_3genE10ELNS1_11target_archE1200ELNS1_3gpuE4ELNS1_3repE0EEENS1_30default_config_static_selectorELNS0_4arch9wavefront6targetE1EEEvS14_.uses_flat_scratch, 0
	.set _ZN7rocprim17ROCPRIM_400000_NS6detail17trampoline_kernelINS0_14default_configENS1_22reduce_config_selectorIN6thrust23THRUST_200600_302600_NS5tupleIblNS6_9null_typeES8_S8_S8_S8_S8_S8_S8_EEEEZNS1_11reduce_implILb1ES3_NS6_12zip_iteratorINS7_INS6_11hip_rocprim26transform_input_iterator_tIbNSD_35transform_pair_of_input_iterators_tIbNS6_6detail15normal_iteratorINS6_10device_ptrIKsEEEESL_NS6_8equal_toIsEEEENSG_9not_fun_tINSD_8identityEEEEENSD_19counting_iterator_tIlEES8_S8_S8_S8_S8_S8_S8_S8_EEEEPS9_S9_NSD_9__find_if7functorIS9_EEEE10hipError_tPvRmT1_T2_T3_mT4_P12ihipStream_tbEUlT_E0_NS1_11comp_targetILNS1_3genE10ELNS1_11target_archE1200ELNS1_3gpuE4ELNS1_3repE0EEENS1_30default_config_static_selectorELNS0_4arch9wavefront6targetE1EEEvS14_.has_dyn_sized_stack, 0
	.set _ZN7rocprim17ROCPRIM_400000_NS6detail17trampoline_kernelINS0_14default_configENS1_22reduce_config_selectorIN6thrust23THRUST_200600_302600_NS5tupleIblNS6_9null_typeES8_S8_S8_S8_S8_S8_S8_EEEEZNS1_11reduce_implILb1ES3_NS6_12zip_iteratorINS7_INS6_11hip_rocprim26transform_input_iterator_tIbNSD_35transform_pair_of_input_iterators_tIbNS6_6detail15normal_iteratorINS6_10device_ptrIKsEEEESL_NS6_8equal_toIsEEEENSG_9not_fun_tINSD_8identityEEEEENSD_19counting_iterator_tIlEES8_S8_S8_S8_S8_S8_S8_S8_EEEEPS9_S9_NSD_9__find_if7functorIS9_EEEE10hipError_tPvRmT1_T2_T3_mT4_P12ihipStream_tbEUlT_E0_NS1_11comp_targetILNS1_3genE10ELNS1_11target_archE1200ELNS1_3gpuE4ELNS1_3repE0EEENS1_30default_config_static_selectorELNS0_4arch9wavefront6targetE1EEEvS14_.has_recursion, 0
	.set _ZN7rocprim17ROCPRIM_400000_NS6detail17trampoline_kernelINS0_14default_configENS1_22reduce_config_selectorIN6thrust23THRUST_200600_302600_NS5tupleIblNS6_9null_typeES8_S8_S8_S8_S8_S8_S8_EEEEZNS1_11reduce_implILb1ES3_NS6_12zip_iteratorINS7_INS6_11hip_rocprim26transform_input_iterator_tIbNSD_35transform_pair_of_input_iterators_tIbNS6_6detail15normal_iteratorINS6_10device_ptrIKsEEEESL_NS6_8equal_toIsEEEENSG_9not_fun_tINSD_8identityEEEEENSD_19counting_iterator_tIlEES8_S8_S8_S8_S8_S8_S8_S8_EEEEPS9_S9_NSD_9__find_if7functorIS9_EEEE10hipError_tPvRmT1_T2_T3_mT4_P12ihipStream_tbEUlT_E0_NS1_11comp_targetILNS1_3genE10ELNS1_11target_archE1200ELNS1_3gpuE4ELNS1_3repE0EEENS1_30default_config_static_selectorELNS0_4arch9wavefront6targetE1EEEvS14_.has_indirect_call, 0
	.section	.AMDGPU.csdata,"",@progbits
; Kernel info:
; codeLenInByte = 0
; TotalNumSgprs: 6
; NumVgprs: 0
; NumAgprs: 0
; TotalNumVgprs: 0
; ScratchSize: 0
; MemoryBound: 0
; FloatMode: 240
; IeeeMode: 1
; LDSByteSize: 0 bytes/workgroup (compile time only)
; SGPRBlocks: 0
; VGPRBlocks: 0
; NumSGPRsForWavesPerEU: 6
; NumVGPRsForWavesPerEU: 1
; AccumOffset: 4
; Occupancy: 8
; WaveLimiterHint : 0
; COMPUTE_PGM_RSRC2:SCRATCH_EN: 0
; COMPUTE_PGM_RSRC2:USER_SGPR: 2
; COMPUTE_PGM_RSRC2:TRAP_HANDLER: 0
; COMPUTE_PGM_RSRC2:TGID_X_EN: 1
; COMPUTE_PGM_RSRC2:TGID_Y_EN: 0
; COMPUTE_PGM_RSRC2:TGID_Z_EN: 0
; COMPUTE_PGM_RSRC2:TIDIG_COMP_CNT: 0
; COMPUTE_PGM_RSRC3_GFX90A:ACCUM_OFFSET: 0
; COMPUTE_PGM_RSRC3_GFX90A:TG_SPLIT: 0
	.section	.text._ZN7rocprim17ROCPRIM_400000_NS6detail17trampoline_kernelINS0_14default_configENS1_22reduce_config_selectorIN6thrust23THRUST_200600_302600_NS5tupleIblNS6_9null_typeES8_S8_S8_S8_S8_S8_S8_EEEEZNS1_11reduce_implILb1ES3_NS6_12zip_iteratorINS7_INS6_11hip_rocprim26transform_input_iterator_tIbNSD_35transform_pair_of_input_iterators_tIbNS6_6detail15normal_iteratorINS6_10device_ptrIKsEEEESL_NS6_8equal_toIsEEEENSG_9not_fun_tINSD_8identityEEEEENSD_19counting_iterator_tIlEES8_S8_S8_S8_S8_S8_S8_S8_EEEEPS9_S9_NSD_9__find_if7functorIS9_EEEE10hipError_tPvRmT1_T2_T3_mT4_P12ihipStream_tbEUlT_E0_NS1_11comp_targetILNS1_3genE9ELNS1_11target_archE1100ELNS1_3gpuE3ELNS1_3repE0EEENS1_30default_config_static_selectorELNS0_4arch9wavefront6targetE1EEEvS14_,"axG",@progbits,_ZN7rocprim17ROCPRIM_400000_NS6detail17trampoline_kernelINS0_14default_configENS1_22reduce_config_selectorIN6thrust23THRUST_200600_302600_NS5tupleIblNS6_9null_typeES8_S8_S8_S8_S8_S8_S8_EEEEZNS1_11reduce_implILb1ES3_NS6_12zip_iteratorINS7_INS6_11hip_rocprim26transform_input_iterator_tIbNSD_35transform_pair_of_input_iterators_tIbNS6_6detail15normal_iteratorINS6_10device_ptrIKsEEEESL_NS6_8equal_toIsEEEENSG_9not_fun_tINSD_8identityEEEEENSD_19counting_iterator_tIlEES8_S8_S8_S8_S8_S8_S8_S8_EEEEPS9_S9_NSD_9__find_if7functorIS9_EEEE10hipError_tPvRmT1_T2_T3_mT4_P12ihipStream_tbEUlT_E0_NS1_11comp_targetILNS1_3genE9ELNS1_11target_archE1100ELNS1_3gpuE3ELNS1_3repE0EEENS1_30default_config_static_selectorELNS0_4arch9wavefront6targetE1EEEvS14_,comdat
	.protected	_ZN7rocprim17ROCPRIM_400000_NS6detail17trampoline_kernelINS0_14default_configENS1_22reduce_config_selectorIN6thrust23THRUST_200600_302600_NS5tupleIblNS6_9null_typeES8_S8_S8_S8_S8_S8_S8_EEEEZNS1_11reduce_implILb1ES3_NS6_12zip_iteratorINS7_INS6_11hip_rocprim26transform_input_iterator_tIbNSD_35transform_pair_of_input_iterators_tIbNS6_6detail15normal_iteratorINS6_10device_ptrIKsEEEESL_NS6_8equal_toIsEEEENSG_9not_fun_tINSD_8identityEEEEENSD_19counting_iterator_tIlEES8_S8_S8_S8_S8_S8_S8_S8_EEEEPS9_S9_NSD_9__find_if7functorIS9_EEEE10hipError_tPvRmT1_T2_T3_mT4_P12ihipStream_tbEUlT_E0_NS1_11comp_targetILNS1_3genE9ELNS1_11target_archE1100ELNS1_3gpuE3ELNS1_3repE0EEENS1_30default_config_static_selectorELNS0_4arch9wavefront6targetE1EEEvS14_ ; -- Begin function _ZN7rocprim17ROCPRIM_400000_NS6detail17trampoline_kernelINS0_14default_configENS1_22reduce_config_selectorIN6thrust23THRUST_200600_302600_NS5tupleIblNS6_9null_typeES8_S8_S8_S8_S8_S8_S8_EEEEZNS1_11reduce_implILb1ES3_NS6_12zip_iteratorINS7_INS6_11hip_rocprim26transform_input_iterator_tIbNSD_35transform_pair_of_input_iterators_tIbNS6_6detail15normal_iteratorINS6_10device_ptrIKsEEEESL_NS6_8equal_toIsEEEENSG_9not_fun_tINSD_8identityEEEEENSD_19counting_iterator_tIlEES8_S8_S8_S8_S8_S8_S8_S8_EEEEPS9_S9_NSD_9__find_if7functorIS9_EEEE10hipError_tPvRmT1_T2_T3_mT4_P12ihipStream_tbEUlT_E0_NS1_11comp_targetILNS1_3genE9ELNS1_11target_archE1100ELNS1_3gpuE3ELNS1_3repE0EEENS1_30default_config_static_selectorELNS0_4arch9wavefront6targetE1EEEvS14_
	.globl	_ZN7rocprim17ROCPRIM_400000_NS6detail17trampoline_kernelINS0_14default_configENS1_22reduce_config_selectorIN6thrust23THRUST_200600_302600_NS5tupleIblNS6_9null_typeES8_S8_S8_S8_S8_S8_S8_EEEEZNS1_11reduce_implILb1ES3_NS6_12zip_iteratorINS7_INS6_11hip_rocprim26transform_input_iterator_tIbNSD_35transform_pair_of_input_iterators_tIbNS6_6detail15normal_iteratorINS6_10device_ptrIKsEEEESL_NS6_8equal_toIsEEEENSG_9not_fun_tINSD_8identityEEEEENSD_19counting_iterator_tIlEES8_S8_S8_S8_S8_S8_S8_S8_EEEEPS9_S9_NSD_9__find_if7functorIS9_EEEE10hipError_tPvRmT1_T2_T3_mT4_P12ihipStream_tbEUlT_E0_NS1_11comp_targetILNS1_3genE9ELNS1_11target_archE1100ELNS1_3gpuE3ELNS1_3repE0EEENS1_30default_config_static_selectorELNS0_4arch9wavefront6targetE1EEEvS14_
	.p2align	8
	.type	_ZN7rocprim17ROCPRIM_400000_NS6detail17trampoline_kernelINS0_14default_configENS1_22reduce_config_selectorIN6thrust23THRUST_200600_302600_NS5tupleIblNS6_9null_typeES8_S8_S8_S8_S8_S8_S8_EEEEZNS1_11reduce_implILb1ES3_NS6_12zip_iteratorINS7_INS6_11hip_rocprim26transform_input_iterator_tIbNSD_35transform_pair_of_input_iterators_tIbNS6_6detail15normal_iteratorINS6_10device_ptrIKsEEEESL_NS6_8equal_toIsEEEENSG_9not_fun_tINSD_8identityEEEEENSD_19counting_iterator_tIlEES8_S8_S8_S8_S8_S8_S8_S8_EEEEPS9_S9_NSD_9__find_if7functorIS9_EEEE10hipError_tPvRmT1_T2_T3_mT4_P12ihipStream_tbEUlT_E0_NS1_11comp_targetILNS1_3genE9ELNS1_11target_archE1100ELNS1_3gpuE3ELNS1_3repE0EEENS1_30default_config_static_selectorELNS0_4arch9wavefront6targetE1EEEvS14_,@function
_ZN7rocprim17ROCPRIM_400000_NS6detail17trampoline_kernelINS0_14default_configENS1_22reduce_config_selectorIN6thrust23THRUST_200600_302600_NS5tupleIblNS6_9null_typeES8_S8_S8_S8_S8_S8_S8_EEEEZNS1_11reduce_implILb1ES3_NS6_12zip_iteratorINS7_INS6_11hip_rocprim26transform_input_iterator_tIbNSD_35transform_pair_of_input_iterators_tIbNS6_6detail15normal_iteratorINS6_10device_ptrIKsEEEESL_NS6_8equal_toIsEEEENSG_9not_fun_tINSD_8identityEEEEENSD_19counting_iterator_tIlEES8_S8_S8_S8_S8_S8_S8_S8_EEEEPS9_S9_NSD_9__find_if7functorIS9_EEEE10hipError_tPvRmT1_T2_T3_mT4_P12ihipStream_tbEUlT_E0_NS1_11comp_targetILNS1_3genE9ELNS1_11target_archE1100ELNS1_3gpuE3ELNS1_3repE0EEENS1_30default_config_static_selectorELNS0_4arch9wavefront6targetE1EEEvS14_: ; @_ZN7rocprim17ROCPRIM_400000_NS6detail17trampoline_kernelINS0_14default_configENS1_22reduce_config_selectorIN6thrust23THRUST_200600_302600_NS5tupleIblNS6_9null_typeES8_S8_S8_S8_S8_S8_S8_EEEEZNS1_11reduce_implILb1ES3_NS6_12zip_iteratorINS7_INS6_11hip_rocprim26transform_input_iterator_tIbNSD_35transform_pair_of_input_iterators_tIbNS6_6detail15normal_iteratorINS6_10device_ptrIKsEEEESL_NS6_8equal_toIsEEEENSG_9not_fun_tINSD_8identityEEEEENSD_19counting_iterator_tIlEES8_S8_S8_S8_S8_S8_S8_S8_EEEEPS9_S9_NSD_9__find_if7functorIS9_EEEE10hipError_tPvRmT1_T2_T3_mT4_P12ihipStream_tbEUlT_E0_NS1_11comp_targetILNS1_3genE9ELNS1_11target_archE1100ELNS1_3gpuE3ELNS1_3repE0EEENS1_30default_config_static_selectorELNS0_4arch9wavefront6targetE1EEEvS14_
; %bb.0:
	.section	.rodata,"a",@progbits
	.p2align	6, 0x0
	.amdhsa_kernel _ZN7rocprim17ROCPRIM_400000_NS6detail17trampoline_kernelINS0_14default_configENS1_22reduce_config_selectorIN6thrust23THRUST_200600_302600_NS5tupleIblNS6_9null_typeES8_S8_S8_S8_S8_S8_S8_EEEEZNS1_11reduce_implILb1ES3_NS6_12zip_iteratorINS7_INS6_11hip_rocprim26transform_input_iterator_tIbNSD_35transform_pair_of_input_iterators_tIbNS6_6detail15normal_iteratorINS6_10device_ptrIKsEEEESL_NS6_8equal_toIsEEEENSG_9not_fun_tINSD_8identityEEEEENSD_19counting_iterator_tIlEES8_S8_S8_S8_S8_S8_S8_S8_EEEEPS9_S9_NSD_9__find_if7functorIS9_EEEE10hipError_tPvRmT1_T2_T3_mT4_P12ihipStream_tbEUlT_E0_NS1_11comp_targetILNS1_3genE9ELNS1_11target_archE1100ELNS1_3gpuE3ELNS1_3repE0EEENS1_30default_config_static_selectorELNS0_4arch9wavefront6targetE1EEEvS14_
		.amdhsa_group_segment_fixed_size 0
		.amdhsa_private_segment_fixed_size 0
		.amdhsa_kernarg_size 104
		.amdhsa_user_sgpr_count 2
		.amdhsa_user_sgpr_dispatch_ptr 0
		.amdhsa_user_sgpr_queue_ptr 0
		.amdhsa_user_sgpr_kernarg_segment_ptr 1
		.amdhsa_user_sgpr_dispatch_id 0
		.amdhsa_user_sgpr_kernarg_preload_length 0
		.amdhsa_user_sgpr_kernarg_preload_offset 0
		.amdhsa_user_sgpr_private_segment_size 0
		.amdhsa_uses_dynamic_stack 0
		.amdhsa_enable_private_segment 0
		.amdhsa_system_sgpr_workgroup_id_x 1
		.amdhsa_system_sgpr_workgroup_id_y 0
		.amdhsa_system_sgpr_workgroup_id_z 0
		.amdhsa_system_sgpr_workgroup_info 0
		.amdhsa_system_vgpr_workitem_id 0
		.amdhsa_next_free_vgpr 1
		.amdhsa_next_free_sgpr 0
		.amdhsa_accum_offset 4
		.amdhsa_reserve_vcc 0
		.amdhsa_float_round_mode_32 0
		.amdhsa_float_round_mode_16_64 0
		.amdhsa_float_denorm_mode_32 3
		.amdhsa_float_denorm_mode_16_64 3
		.amdhsa_dx10_clamp 1
		.amdhsa_ieee_mode 1
		.amdhsa_fp16_overflow 0
		.amdhsa_tg_split 0
		.amdhsa_exception_fp_ieee_invalid_op 0
		.amdhsa_exception_fp_denorm_src 0
		.amdhsa_exception_fp_ieee_div_zero 0
		.amdhsa_exception_fp_ieee_overflow 0
		.amdhsa_exception_fp_ieee_underflow 0
		.amdhsa_exception_fp_ieee_inexact 0
		.amdhsa_exception_int_div_zero 0
	.end_amdhsa_kernel
	.section	.text._ZN7rocprim17ROCPRIM_400000_NS6detail17trampoline_kernelINS0_14default_configENS1_22reduce_config_selectorIN6thrust23THRUST_200600_302600_NS5tupleIblNS6_9null_typeES8_S8_S8_S8_S8_S8_S8_EEEEZNS1_11reduce_implILb1ES3_NS6_12zip_iteratorINS7_INS6_11hip_rocprim26transform_input_iterator_tIbNSD_35transform_pair_of_input_iterators_tIbNS6_6detail15normal_iteratorINS6_10device_ptrIKsEEEESL_NS6_8equal_toIsEEEENSG_9not_fun_tINSD_8identityEEEEENSD_19counting_iterator_tIlEES8_S8_S8_S8_S8_S8_S8_S8_EEEEPS9_S9_NSD_9__find_if7functorIS9_EEEE10hipError_tPvRmT1_T2_T3_mT4_P12ihipStream_tbEUlT_E0_NS1_11comp_targetILNS1_3genE9ELNS1_11target_archE1100ELNS1_3gpuE3ELNS1_3repE0EEENS1_30default_config_static_selectorELNS0_4arch9wavefront6targetE1EEEvS14_,"axG",@progbits,_ZN7rocprim17ROCPRIM_400000_NS6detail17trampoline_kernelINS0_14default_configENS1_22reduce_config_selectorIN6thrust23THRUST_200600_302600_NS5tupleIblNS6_9null_typeES8_S8_S8_S8_S8_S8_S8_EEEEZNS1_11reduce_implILb1ES3_NS6_12zip_iteratorINS7_INS6_11hip_rocprim26transform_input_iterator_tIbNSD_35transform_pair_of_input_iterators_tIbNS6_6detail15normal_iteratorINS6_10device_ptrIKsEEEESL_NS6_8equal_toIsEEEENSG_9not_fun_tINSD_8identityEEEEENSD_19counting_iterator_tIlEES8_S8_S8_S8_S8_S8_S8_S8_EEEEPS9_S9_NSD_9__find_if7functorIS9_EEEE10hipError_tPvRmT1_T2_T3_mT4_P12ihipStream_tbEUlT_E0_NS1_11comp_targetILNS1_3genE9ELNS1_11target_archE1100ELNS1_3gpuE3ELNS1_3repE0EEENS1_30default_config_static_selectorELNS0_4arch9wavefront6targetE1EEEvS14_,comdat
.Lfunc_end1703:
	.size	_ZN7rocprim17ROCPRIM_400000_NS6detail17trampoline_kernelINS0_14default_configENS1_22reduce_config_selectorIN6thrust23THRUST_200600_302600_NS5tupleIblNS6_9null_typeES8_S8_S8_S8_S8_S8_S8_EEEEZNS1_11reduce_implILb1ES3_NS6_12zip_iteratorINS7_INS6_11hip_rocprim26transform_input_iterator_tIbNSD_35transform_pair_of_input_iterators_tIbNS6_6detail15normal_iteratorINS6_10device_ptrIKsEEEESL_NS6_8equal_toIsEEEENSG_9not_fun_tINSD_8identityEEEEENSD_19counting_iterator_tIlEES8_S8_S8_S8_S8_S8_S8_S8_EEEEPS9_S9_NSD_9__find_if7functorIS9_EEEE10hipError_tPvRmT1_T2_T3_mT4_P12ihipStream_tbEUlT_E0_NS1_11comp_targetILNS1_3genE9ELNS1_11target_archE1100ELNS1_3gpuE3ELNS1_3repE0EEENS1_30default_config_static_selectorELNS0_4arch9wavefront6targetE1EEEvS14_, .Lfunc_end1703-_ZN7rocprim17ROCPRIM_400000_NS6detail17trampoline_kernelINS0_14default_configENS1_22reduce_config_selectorIN6thrust23THRUST_200600_302600_NS5tupleIblNS6_9null_typeES8_S8_S8_S8_S8_S8_S8_EEEEZNS1_11reduce_implILb1ES3_NS6_12zip_iteratorINS7_INS6_11hip_rocprim26transform_input_iterator_tIbNSD_35transform_pair_of_input_iterators_tIbNS6_6detail15normal_iteratorINS6_10device_ptrIKsEEEESL_NS6_8equal_toIsEEEENSG_9not_fun_tINSD_8identityEEEEENSD_19counting_iterator_tIlEES8_S8_S8_S8_S8_S8_S8_S8_EEEEPS9_S9_NSD_9__find_if7functorIS9_EEEE10hipError_tPvRmT1_T2_T3_mT4_P12ihipStream_tbEUlT_E0_NS1_11comp_targetILNS1_3genE9ELNS1_11target_archE1100ELNS1_3gpuE3ELNS1_3repE0EEENS1_30default_config_static_selectorELNS0_4arch9wavefront6targetE1EEEvS14_
                                        ; -- End function
	.set _ZN7rocprim17ROCPRIM_400000_NS6detail17trampoline_kernelINS0_14default_configENS1_22reduce_config_selectorIN6thrust23THRUST_200600_302600_NS5tupleIblNS6_9null_typeES8_S8_S8_S8_S8_S8_S8_EEEEZNS1_11reduce_implILb1ES3_NS6_12zip_iteratorINS7_INS6_11hip_rocprim26transform_input_iterator_tIbNSD_35transform_pair_of_input_iterators_tIbNS6_6detail15normal_iteratorINS6_10device_ptrIKsEEEESL_NS6_8equal_toIsEEEENSG_9not_fun_tINSD_8identityEEEEENSD_19counting_iterator_tIlEES8_S8_S8_S8_S8_S8_S8_S8_EEEEPS9_S9_NSD_9__find_if7functorIS9_EEEE10hipError_tPvRmT1_T2_T3_mT4_P12ihipStream_tbEUlT_E0_NS1_11comp_targetILNS1_3genE9ELNS1_11target_archE1100ELNS1_3gpuE3ELNS1_3repE0EEENS1_30default_config_static_selectorELNS0_4arch9wavefront6targetE1EEEvS14_.num_vgpr, 0
	.set _ZN7rocprim17ROCPRIM_400000_NS6detail17trampoline_kernelINS0_14default_configENS1_22reduce_config_selectorIN6thrust23THRUST_200600_302600_NS5tupleIblNS6_9null_typeES8_S8_S8_S8_S8_S8_S8_EEEEZNS1_11reduce_implILb1ES3_NS6_12zip_iteratorINS7_INS6_11hip_rocprim26transform_input_iterator_tIbNSD_35transform_pair_of_input_iterators_tIbNS6_6detail15normal_iteratorINS6_10device_ptrIKsEEEESL_NS6_8equal_toIsEEEENSG_9not_fun_tINSD_8identityEEEEENSD_19counting_iterator_tIlEES8_S8_S8_S8_S8_S8_S8_S8_EEEEPS9_S9_NSD_9__find_if7functorIS9_EEEE10hipError_tPvRmT1_T2_T3_mT4_P12ihipStream_tbEUlT_E0_NS1_11comp_targetILNS1_3genE9ELNS1_11target_archE1100ELNS1_3gpuE3ELNS1_3repE0EEENS1_30default_config_static_selectorELNS0_4arch9wavefront6targetE1EEEvS14_.num_agpr, 0
	.set _ZN7rocprim17ROCPRIM_400000_NS6detail17trampoline_kernelINS0_14default_configENS1_22reduce_config_selectorIN6thrust23THRUST_200600_302600_NS5tupleIblNS6_9null_typeES8_S8_S8_S8_S8_S8_S8_EEEEZNS1_11reduce_implILb1ES3_NS6_12zip_iteratorINS7_INS6_11hip_rocprim26transform_input_iterator_tIbNSD_35transform_pair_of_input_iterators_tIbNS6_6detail15normal_iteratorINS6_10device_ptrIKsEEEESL_NS6_8equal_toIsEEEENSG_9not_fun_tINSD_8identityEEEEENSD_19counting_iterator_tIlEES8_S8_S8_S8_S8_S8_S8_S8_EEEEPS9_S9_NSD_9__find_if7functorIS9_EEEE10hipError_tPvRmT1_T2_T3_mT4_P12ihipStream_tbEUlT_E0_NS1_11comp_targetILNS1_3genE9ELNS1_11target_archE1100ELNS1_3gpuE3ELNS1_3repE0EEENS1_30default_config_static_selectorELNS0_4arch9wavefront6targetE1EEEvS14_.numbered_sgpr, 0
	.set _ZN7rocprim17ROCPRIM_400000_NS6detail17trampoline_kernelINS0_14default_configENS1_22reduce_config_selectorIN6thrust23THRUST_200600_302600_NS5tupleIblNS6_9null_typeES8_S8_S8_S8_S8_S8_S8_EEEEZNS1_11reduce_implILb1ES3_NS6_12zip_iteratorINS7_INS6_11hip_rocprim26transform_input_iterator_tIbNSD_35transform_pair_of_input_iterators_tIbNS6_6detail15normal_iteratorINS6_10device_ptrIKsEEEESL_NS6_8equal_toIsEEEENSG_9not_fun_tINSD_8identityEEEEENSD_19counting_iterator_tIlEES8_S8_S8_S8_S8_S8_S8_S8_EEEEPS9_S9_NSD_9__find_if7functorIS9_EEEE10hipError_tPvRmT1_T2_T3_mT4_P12ihipStream_tbEUlT_E0_NS1_11comp_targetILNS1_3genE9ELNS1_11target_archE1100ELNS1_3gpuE3ELNS1_3repE0EEENS1_30default_config_static_selectorELNS0_4arch9wavefront6targetE1EEEvS14_.num_named_barrier, 0
	.set _ZN7rocprim17ROCPRIM_400000_NS6detail17trampoline_kernelINS0_14default_configENS1_22reduce_config_selectorIN6thrust23THRUST_200600_302600_NS5tupleIblNS6_9null_typeES8_S8_S8_S8_S8_S8_S8_EEEEZNS1_11reduce_implILb1ES3_NS6_12zip_iteratorINS7_INS6_11hip_rocprim26transform_input_iterator_tIbNSD_35transform_pair_of_input_iterators_tIbNS6_6detail15normal_iteratorINS6_10device_ptrIKsEEEESL_NS6_8equal_toIsEEEENSG_9not_fun_tINSD_8identityEEEEENSD_19counting_iterator_tIlEES8_S8_S8_S8_S8_S8_S8_S8_EEEEPS9_S9_NSD_9__find_if7functorIS9_EEEE10hipError_tPvRmT1_T2_T3_mT4_P12ihipStream_tbEUlT_E0_NS1_11comp_targetILNS1_3genE9ELNS1_11target_archE1100ELNS1_3gpuE3ELNS1_3repE0EEENS1_30default_config_static_selectorELNS0_4arch9wavefront6targetE1EEEvS14_.private_seg_size, 0
	.set _ZN7rocprim17ROCPRIM_400000_NS6detail17trampoline_kernelINS0_14default_configENS1_22reduce_config_selectorIN6thrust23THRUST_200600_302600_NS5tupleIblNS6_9null_typeES8_S8_S8_S8_S8_S8_S8_EEEEZNS1_11reduce_implILb1ES3_NS6_12zip_iteratorINS7_INS6_11hip_rocprim26transform_input_iterator_tIbNSD_35transform_pair_of_input_iterators_tIbNS6_6detail15normal_iteratorINS6_10device_ptrIKsEEEESL_NS6_8equal_toIsEEEENSG_9not_fun_tINSD_8identityEEEEENSD_19counting_iterator_tIlEES8_S8_S8_S8_S8_S8_S8_S8_EEEEPS9_S9_NSD_9__find_if7functorIS9_EEEE10hipError_tPvRmT1_T2_T3_mT4_P12ihipStream_tbEUlT_E0_NS1_11comp_targetILNS1_3genE9ELNS1_11target_archE1100ELNS1_3gpuE3ELNS1_3repE0EEENS1_30default_config_static_selectorELNS0_4arch9wavefront6targetE1EEEvS14_.uses_vcc, 0
	.set _ZN7rocprim17ROCPRIM_400000_NS6detail17trampoline_kernelINS0_14default_configENS1_22reduce_config_selectorIN6thrust23THRUST_200600_302600_NS5tupleIblNS6_9null_typeES8_S8_S8_S8_S8_S8_S8_EEEEZNS1_11reduce_implILb1ES3_NS6_12zip_iteratorINS7_INS6_11hip_rocprim26transform_input_iterator_tIbNSD_35transform_pair_of_input_iterators_tIbNS6_6detail15normal_iteratorINS6_10device_ptrIKsEEEESL_NS6_8equal_toIsEEEENSG_9not_fun_tINSD_8identityEEEEENSD_19counting_iterator_tIlEES8_S8_S8_S8_S8_S8_S8_S8_EEEEPS9_S9_NSD_9__find_if7functorIS9_EEEE10hipError_tPvRmT1_T2_T3_mT4_P12ihipStream_tbEUlT_E0_NS1_11comp_targetILNS1_3genE9ELNS1_11target_archE1100ELNS1_3gpuE3ELNS1_3repE0EEENS1_30default_config_static_selectorELNS0_4arch9wavefront6targetE1EEEvS14_.uses_flat_scratch, 0
	.set _ZN7rocprim17ROCPRIM_400000_NS6detail17trampoline_kernelINS0_14default_configENS1_22reduce_config_selectorIN6thrust23THRUST_200600_302600_NS5tupleIblNS6_9null_typeES8_S8_S8_S8_S8_S8_S8_EEEEZNS1_11reduce_implILb1ES3_NS6_12zip_iteratorINS7_INS6_11hip_rocprim26transform_input_iterator_tIbNSD_35transform_pair_of_input_iterators_tIbNS6_6detail15normal_iteratorINS6_10device_ptrIKsEEEESL_NS6_8equal_toIsEEEENSG_9not_fun_tINSD_8identityEEEEENSD_19counting_iterator_tIlEES8_S8_S8_S8_S8_S8_S8_S8_EEEEPS9_S9_NSD_9__find_if7functorIS9_EEEE10hipError_tPvRmT1_T2_T3_mT4_P12ihipStream_tbEUlT_E0_NS1_11comp_targetILNS1_3genE9ELNS1_11target_archE1100ELNS1_3gpuE3ELNS1_3repE0EEENS1_30default_config_static_selectorELNS0_4arch9wavefront6targetE1EEEvS14_.has_dyn_sized_stack, 0
	.set _ZN7rocprim17ROCPRIM_400000_NS6detail17trampoline_kernelINS0_14default_configENS1_22reduce_config_selectorIN6thrust23THRUST_200600_302600_NS5tupleIblNS6_9null_typeES8_S8_S8_S8_S8_S8_S8_EEEEZNS1_11reduce_implILb1ES3_NS6_12zip_iteratorINS7_INS6_11hip_rocprim26transform_input_iterator_tIbNSD_35transform_pair_of_input_iterators_tIbNS6_6detail15normal_iteratorINS6_10device_ptrIKsEEEESL_NS6_8equal_toIsEEEENSG_9not_fun_tINSD_8identityEEEEENSD_19counting_iterator_tIlEES8_S8_S8_S8_S8_S8_S8_S8_EEEEPS9_S9_NSD_9__find_if7functorIS9_EEEE10hipError_tPvRmT1_T2_T3_mT4_P12ihipStream_tbEUlT_E0_NS1_11comp_targetILNS1_3genE9ELNS1_11target_archE1100ELNS1_3gpuE3ELNS1_3repE0EEENS1_30default_config_static_selectorELNS0_4arch9wavefront6targetE1EEEvS14_.has_recursion, 0
	.set _ZN7rocprim17ROCPRIM_400000_NS6detail17trampoline_kernelINS0_14default_configENS1_22reduce_config_selectorIN6thrust23THRUST_200600_302600_NS5tupleIblNS6_9null_typeES8_S8_S8_S8_S8_S8_S8_EEEEZNS1_11reduce_implILb1ES3_NS6_12zip_iteratorINS7_INS6_11hip_rocprim26transform_input_iterator_tIbNSD_35transform_pair_of_input_iterators_tIbNS6_6detail15normal_iteratorINS6_10device_ptrIKsEEEESL_NS6_8equal_toIsEEEENSG_9not_fun_tINSD_8identityEEEEENSD_19counting_iterator_tIlEES8_S8_S8_S8_S8_S8_S8_S8_EEEEPS9_S9_NSD_9__find_if7functorIS9_EEEE10hipError_tPvRmT1_T2_T3_mT4_P12ihipStream_tbEUlT_E0_NS1_11comp_targetILNS1_3genE9ELNS1_11target_archE1100ELNS1_3gpuE3ELNS1_3repE0EEENS1_30default_config_static_selectorELNS0_4arch9wavefront6targetE1EEEvS14_.has_indirect_call, 0
	.section	.AMDGPU.csdata,"",@progbits
; Kernel info:
; codeLenInByte = 0
; TotalNumSgprs: 6
; NumVgprs: 0
; NumAgprs: 0
; TotalNumVgprs: 0
; ScratchSize: 0
; MemoryBound: 0
; FloatMode: 240
; IeeeMode: 1
; LDSByteSize: 0 bytes/workgroup (compile time only)
; SGPRBlocks: 0
; VGPRBlocks: 0
; NumSGPRsForWavesPerEU: 6
; NumVGPRsForWavesPerEU: 1
; AccumOffset: 4
; Occupancy: 8
; WaveLimiterHint : 0
; COMPUTE_PGM_RSRC2:SCRATCH_EN: 0
; COMPUTE_PGM_RSRC2:USER_SGPR: 2
; COMPUTE_PGM_RSRC2:TRAP_HANDLER: 0
; COMPUTE_PGM_RSRC2:TGID_X_EN: 1
; COMPUTE_PGM_RSRC2:TGID_Y_EN: 0
; COMPUTE_PGM_RSRC2:TGID_Z_EN: 0
; COMPUTE_PGM_RSRC2:TIDIG_COMP_CNT: 0
; COMPUTE_PGM_RSRC3_GFX90A:ACCUM_OFFSET: 0
; COMPUTE_PGM_RSRC3_GFX90A:TG_SPLIT: 0
	.section	.text._ZN7rocprim17ROCPRIM_400000_NS6detail17trampoline_kernelINS0_14default_configENS1_22reduce_config_selectorIN6thrust23THRUST_200600_302600_NS5tupleIblNS6_9null_typeES8_S8_S8_S8_S8_S8_S8_EEEEZNS1_11reduce_implILb1ES3_NS6_12zip_iteratorINS7_INS6_11hip_rocprim26transform_input_iterator_tIbNSD_35transform_pair_of_input_iterators_tIbNS6_6detail15normal_iteratorINS6_10device_ptrIKsEEEESL_NS6_8equal_toIsEEEENSG_9not_fun_tINSD_8identityEEEEENSD_19counting_iterator_tIlEES8_S8_S8_S8_S8_S8_S8_S8_EEEEPS9_S9_NSD_9__find_if7functorIS9_EEEE10hipError_tPvRmT1_T2_T3_mT4_P12ihipStream_tbEUlT_E0_NS1_11comp_targetILNS1_3genE8ELNS1_11target_archE1030ELNS1_3gpuE2ELNS1_3repE0EEENS1_30default_config_static_selectorELNS0_4arch9wavefront6targetE1EEEvS14_,"axG",@progbits,_ZN7rocprim17ROCPRIM_400000_NS6detail17trampoline_kernelINS0_14default_configENS1_22reduce_config_selectorIN6thrust23THRUST_200600_302600_NS5tupleIblNS6_9null_typeES8_S8_S8_S8_S8_S8_S8_EEEEZNS1_11reduce_implILb1ES3_NS6_12zip_iteratorINS7_INS6_11hip_rocprim26transform_input_iterator_tIbNSD_35transform_pair_of_input_iterators_tIbNS6_6detail15normal_iteratorINS6_10device_ptrIKsEEEESL_NS6_8equal_toIsEEEENSG_9not_fun_tINSD_8identityEEEEENSD_19counting_iterator_tIlEES8_S8_S8_S8_S8_S8_S8_S8_EEEEPS9_S9_NSD_9__find_if7functorIS9_EEEE10hipError_tPvRmT1_T2_T3_mT4_P12ihipStream_tbEUlT_E0_NS1_11comp_targetILNS1_3genE8ELNS1_11target_archE1030ELNS1_3gpuE2ELNS1_3repE0EEENS1_30default_config_static_selectorELNS0_4arch9wavefront6targetE1EEEvS14_,comdat
	.protected	_ZN7rocprim17ROCPRIM_400000_NS6detail17trampoline_kernelINS0_14default_configENS1_22reduce_config_selectorIN6thrust23THRUST_200600_302600_NS5tupleIblNS6_9null_typeES8_S8_S8_S8_S8_S8_S8_EEEEZNS1_11reduce_implILb1ES3_NS6_12zip_iteratorINS7_INS6_11hip_rocprim26transform_input_iterator_tIbNSD_35transform_pair_of_input_iterators_tIbNS6_6detail15normal_iteratorINS6_10device_ptrIKsEEEESL_NS6_8equal_toIsEEEENSG_9not_fun_tINSD_8identityEEEEENSD_19counting_iterator_tIlEES8_S8_S8_S8_S8_S8_S8_S8_EEEEPS9_S9_NSD_9__find_if7functorIS9_EEEE10hipError_tPvRmT1_T2_T3_mT4_P12ihipStream_tbEUlT_E0_NS1_11comp_targetILNS1_3genE8ELNS1_11target_archE1030ELNS1_3gpuE2ELNS1_3repE0EEENS1_30default_config_static_selectorELNS0_4arch9wavefront6targetE1EEEvS14_ ; -- Begin function _ZN7rocprim17ROCPRIM_400000_NS6detail17trampoline_kernelINS0_14default_configENS1_22reduce_config_selectorIN6thrust23THRUST_200600_302600_NS5tupleIblNS6_9null_typeES8_S8_S8_S8_S8_S8_S8_EEEEZNS1_11reduce_implILb1ES3_NS6_12zip_iteratorINS7_INS6_11hip_rocprim26transform_input_iterator_tIbNSD_35transform_pair_of_input_iterators_tIbNS6_6detail15normal_iteratorINS6_10device_ptrIKsEEEESL_NS6_8equal_toIsEEEENSG_9not_fun_tINSD_8identityEEEEENSD_19counting_iterator_tIlEES8_S8_S8_S8_S8_S8_S8_S8_EEEEPS9_S9_NSD_9__find_if7functorIS9_EEEE10hipError_tPvRmT1_T2_T3_mT4_P12ihipStream_tbEUlT_E0_NS1_11comp_targetILNS1_3genE8ELNS1_11target_archE1030ELNS1_3gpuE2ELNS1_3repE0EEENS1_30default_config_static_selectorELNS0_4arch9wavefront6targetE1EEEvS14_
	.globl	_ZN7rocprim17ROCPRIM_400000_NS6detail17trampoline_kernelINS0_14default_configENS1_22reduce_config_selectorIN6thrust23THRUST_200600_302600_NS5tupleIblNS6_9null_typeES8_S8_S8_S8_S8_S8_S8_EEEEZNS1_11reduce_implILb1ES3_NS6_12zip_iteratorINS7_INS6_11hip_rocprim26transform_input_iterator_tIbNSD_35transform_pair_of_input_iterators_tIbNS6_6detail15normal_iteratorINS6_10device_ptrIKsEEEESL_NS6_8equal_toIsEEEENSG_9not_fun_tINSD_8identityEEEEENSD_19counting_iterator_tIlEES8_S8_S8_S8_S8_S8_S8_S8_EEEEPS9_S9_NSD_9__find_if7functorIS9_EEEE10hipError_tPvRmT1_T2_T3_mT4_P12ihipStream_tbEUlT_E0_NS1_11comp_targetILNS1_3genE8ELNS1_11target_archE1030ELNS1_3gpuE2ELNS1_3repE0EEENS1_30default_config_static_selectorELNS0_4arch9wavefront6targetE1EEEvS14_
	.p2align	8
	.type	_ZN7rocprim17ROCPRIM_400000_NS6detail17trampoline_kernelINS0_14default_configENS1_22reduce_config_selectorIN6thrust23THRUST_200600_302600_NS5tupleIblNS6_9null_typeES8_S8_S8_S8_S8_S8_S8_EEEEZNS1_11reduce_implILb1ES3_NS6_12zip_iteratorINS7_INS6_11hip_rocprim26transform_input_iterator_tIbNSD_35transform_pair_of_input_iterators_tIbNS6_6detail15normal_iteratorINS6_10device_ptrIKsEEEESL_NS6_8equal_toIsEEEENSG_9not_fun_tINSD_8identityEEEEENSD_19counting_iterator_tIlEES8_S8_S8_S8_S8_S8_S8_S8_EEEEPS9_S9_NSD_9__find_if7functorIS9_EEEE10hipError_tPvRmT1_T2_T3_mT4_P12ihipStream_tbEUlT_E0_NS1_11comp_targetILNS1_3genE8ELNS1_11target_archE1030ELNS1_3gpuE2ELNS1_3repE0EEENS1_30default_config_static_selectorELNS0_4arch9wavefront6targetE1EEEvS14_,@function
_ZN7rocprim17ROCPRIM_400000_NS6detail17trampoline_kernelINS0_14default_configENS1_22reduce_config_selectorIN6thrust23THRUST_200600_302600_NS5tupleIblNS6_9null_typeES8_S8_S8_S8_S8_S8_S8_EEEEZNS1_11reduce_implILb1ES3_NS6_12zip_iteratorINS7_INS6_11hip_rocprim26transform_input_iterator_tIbNSD_35transform_pair_of_input_iterators_tIbNS6_6detail15normal_iteratorINS6_10device_ptrIKsEEEESL_NS6_8equal_toIsEEEENSG_9not_fun_tINSD_8identityEEEEENSD_19counting_iterator_tIlEES8_S8_S8_S8_S8_S8_S8_S8_EEEEPS9_S9_NSD_9__find_if7functorIS9_EEEE10hipError_tPvRmT1_T2_T3_mT4_P12ihipStream_tbEUlT_E0_NS1_11comp_targetILNS1_3genE8ELNS1_11target_archE1030ELNS1_3gpuE2ELNS1_3repE0EEENS1_30default_config_static_selectorELNS0_4arch9wavefront6targetE1EEEvS14_: ; @_ZN7rocprim17ROCPRIM_400000_NS6detail17trampoline_kernelINS0_14default_configENS1_22reduce_config_selectorIN6thrust23THRUST_200600_302600_NS5tupleIblNS6_9null_typeES8_S8_S8_S8_S8_S8_S8_EEEEZNS1_11reduce_implILb1ES3_NS6_12zip_iteratorINS7_INS6_11hip_rocprim26transform_input_iterator_tIbNSD_35transform_pair_of_input_iterators_tIbNS6_6detail15normal_iteratorINS6_10device_ptrIKsEEEESL_NS6_8equal_toIsEEEENSG_9not_fun_tINSD_8identityEEEEENSD_19counting_iterator_tIlEES8_S8_S8_S8_S8_S8_S8_S8_EEEEPS9_S9_NSD_9__find_if7functorIS9_EEEE10hipError_tPvRmT1_T2_T3_mT4_P12ihipStream_tbEUlT_E0_NS1_11comp_targetILNS1_3genE8ELNS1_11target_archE1030ELNS1_3gpuE2ELNS1_3repE0EEENS1_30default_config_static_selectorELNS0_4arch9wavefront6targetE1EEEvS14_
; %bb.0:
	.section	.rodata,"a",@progbits
	.p2align	6, 0x0
	.amdhsa_kernel _ZN7rocprim17ROCPRIM_400000_NS6detail17trampoline_kernelINS0_14default_configENS1_22reduce_config_selectorIN6thrust23THRUST_200600_302600_NS5tupleIblNS6_9null_typeES8_S8_S8_S8_S8_S8_S8_EEEEZNS1_11reduce_implILb1ES3_NS6_12zip_iteratorINS7_INS6_11hip_rocprim26transform_input_iterator_tIbNSD_35transform_pair_of_input_iterators_tIbNS6_6detail15normal_iteratorINS6_10device_ptrIKsEEEESL_NS6_8equal_toIsEEEENSG_9not_fun_tINSD_8identityEEEEENSD_19counting_iterator_tIlEES8_S8_S8_S8_S8_S8_S8_S8_EEEEPS9_S9_NSD_9__find_if7functorIS9_EEEE10hipError_tPvRmT1_T2_T3_mT4_P12ihipStream_tbEUlT_E0_NS1_11comp_targetILNS1_3genE8ELNS1_11target_archE1030ELNS1_3gpuE2ELNS1_3repE0EEENS1_30default_config_static_selectorELNS0_4arch9wavefront6targetE1EEEvS14_
		.amdhsa_group_segment_fixed_size 0
		.amdhsa_private_segment_fixed_size 0
		.amdhsa_kernarg_size 104
		.amdhsa_user_sgpr_count 2
		.amdhsa_user_sgpr_dispatch_ptr 0
		.amdhsa_user_sgpr_queue_ptr 0
		.amdhsa_user_sgpr_kernarg_segment_ptr 1
		.amdhsa_user_sgpr_dispatch_id 0
		.amdhsa_user_sgpr_kernarg_preload_length 0
		.amdhsa_user_sgpr_kernarg_preload_offset 0
		.amdhsa_user_sgpr_private_segment_size 0
		.amdhsa_uses_dynamic_stack 0
		.amdhsa_enable_private_segment 0
		.amdhsa_system_sgpr_workgroup_id_x 1
		.amdhsa_system_sgpr_workgroup_id_y 0
		.amdhsa_system_sgpr_workgroup_id_z 0
		.amdhsa_system_sgpr_workgroup_info 0
		.amdhsa_system_vgpr_workitem_id 0
		.amdhsa_next_free_vgpr 1
		.amdhsa_next_free_sgpr 0
		.amdhsa_accum_offset 4
		.amdhsa_reserve_vcc 0
		.amdhsa_float_round_mode_32 0
		.amdhsa_float_round_mode_16_64 0
		.amdhsa_float_denorm_mode_32 3
		.amdhsa_float_denorm_mode_16_64 3
		.amdhsa_dx10_clamp 1
		.amdhsa_ieee_mode 1
		.amdhsa_fp16_overflow 0
		.amdhsa_tg_split 0
		.amdhsa_exception_fp_ieee_invalid_op 0
		.amdhsa_exception_fp_denorm_src 0
		.amdhsa_exception_fp_ieee_div_zero 0
		.amdhsa_exception_fp_ieee_overflow 0
		.amdhsa_exception_fp_ieee_underflow 0
		.amdhsa_exception_fp_ieee_inexact 0
		.amdhsa_exception_int_div_zero 0
	.end_amdhsa_kernel
	.section	.text._ZN7rocprim17ROCPRIM_400000_NS6detail17trampoline_kernelINS0_14default_configENS1_22reduce_config_selectorIN6thrust23THRUST_200600_302600_NS5tupleIblNS6_9null_typeES8_S8_S8_S8_S8_S8_S8_EEEEZNS1_11reduce_implILb1ES3_NS6_12zip_iteratorINS7_INS6_11hip_rocprim26transform_input_iterator_tIbNSD_35transform_pair_of_input_iterators_tIbNS6_6detail15normal_iteratorINS6_10device_ptrIKsEEEESL_NS6_8equal_toIsEEEENSG_9not_fun_tINSD_8identityEEEEENSD_19counting_iterator_tIlEES8_S8_S8_S8_S8_S8_S8_S8_EEEEPS9_S9_NSD_9__find_if7functorIS9_EEEE10hipError_tPvRmT1_T2_T3_mT4_P12ihipStream_tbEUlT_E0_NS1_11comp_targetILNS1_3genE8ELNS1_11target_archE1030ELNS1_3gpuE2ELNS1_3repE0EEENS1_30default_config_static_selectorELNS0_4arch9wavefront6targetE1EEEvS14_,"axG",@progbits,_ZN7rocprim17ROCPRIM_400000_NS6detail17trampoline_kernelINS0_14default_configENS1_22reduce_config_selectorIN6thrust23THRUST_200600_302600_NS5tupleIblNS6_9null_typeES8_S8_S8_S8_S8_S8_S8_EEEEZNS1_11reduce_implILb1ES3_NS6_12zip_iteratorINS7_INS6_11hip_rocprim26transform_input_iterator_tIbNSD_35transform_pair_of_input_iterators_tIbNS6_6detail15normal_iteratorINS6_10device_ptrIKsEEEESL_NS6_8equal_toIsEEEENSG_9not_fun_tINSD_8identityEEEEENSD_19counting_iterator_tIlEES8_S8_S8_S8_S8_S8_S8_S8_EEEEPS9_S9_NSD_9__find_if7functorIS9_EEEE10hipError_tPvRmT1_T2_T3_mT4_P12ihipStream_tbEUlT_E0_NS1_11comp_targetILNS1_3genE8ELNS1_11target_archE1030ELNS1_3gpuE2ELNS1_3repE0EEENS1_30default_config_static_selectorELNS0_4arch9wavefront6targetE1EEEvS14_,comdat
.Lfunc_end1704:
	.size	_ZN7rocprim17ROCPRIM_400000_NS6detail17trampoline_kernelINS0_14default_configENS1_22reduce_config_selectorIN6thrust23THRUST_200600_302600_NS5tupleIblNS6_9null_typeES8_S8_S8_S8_S8_S8_S8_EEEEZNS1_11reduce_implILb1ES3_NS6_12zip_iteratorINS7_INS6_11hip_rocprim26transform_input_iterator_tIbNSD_35transform_pair_of_input_iterators_tIbNS6_6detail15normal_iteratorINS6_10device_ptrIKsEEEESL_NS6_8equal_toIsEEEENSG_9not_fun_tINSD_8identityEEEEENSD_19counting_iterator_tIlEES8_S8_S8_S8_S8_S8_S8_S8_EEEEPS9_S9_NSD_9__find_if7functorIS9_EEEE10hipError_tPvRmT1_T2_T3_mT4_P12ihipStream_tbEUlT_E0_NS1_11comp_targetILNS1_3genE8ELNS1_11target_archE1030ELNS1_3gpuE2ELNS1_3repE0EEENS1_30default_config_static_selectorELNS0_4arch9wavefront6targetE1EEEvS14_, .Lfunc_end1704-_ZN7rocprim17ROCPRIM_400000_NS6detail17trampoline_kernelINS0_14default_configENS1_22reduce_config_selectorIN6thrust23THRUST_200600_302600_NS5tupleIblNS6_9null_typeES8_S8_S8_S8_S8_S8_S8_EEEEZNS1_11reduce_implILb1ES3_NS6_12zip_iteratorINS7_INS6_11hip_rocprim26transform_input_iterator_tIbNSD_35transform_pair_of_input_iterators_tIbNS6_6detail15normal_iteratorINS6_10device_ptrIKsEEEESL_NS6_8equal_toIsEEEENSG_9not_fun_tINSD_8identityEEEEENSD_19counting_iterator_tIlEES8_S8_S8_S8_S8_S8_S8_S8_EEEEPS9_S9_NSD_9__find_if7functorIS9_EEEE10hipError_tPvRmT1_T2_T3_mT4_P12ihipStream_tbEUlT_E0_NS1_11comp_targetILNS1_3genE8ELNS1_11target_archE1030ELNS1_3gpuE2ELNS1_3repE0EEENS1_30default_config_static_selectorELNS0_4arch9wavefront6targetE1EEEvS14_
                                        ; -- End function
	.set _ZN7rocprim17ROCPRIM_400000_NS6detail17trampoline_kernelINS0_14default_configENS1_22reduce_config_selectorIN6thrust23THRUST_200600_302600_NS5tupleIblNS6_9null_typeES8_S8_S8_S8_S8_S8_S8_EEEEZNS1_11reduce_implILb1ES3_NS6_12zip_iteratorINS7_INS6_11hip_rocprim26transform_input_iterator_tIbNSD_35transform_pair_of_input_iterators_tIbNS6_6detail15normal_iteratorINS6_10device_ptrIKsEEEESL_NS6_8equal_toIsEEEENSG_9not_fun_tINSD_8identityEEEEENSD_19counting_iterator_tIlEES8_S8_S8_S8_S8_S8_S8_S8_EEEEPS9_S9_NSD_9__find_if7functorIS9_EEEE10hipError_tPvRmT1_T2_T3_mT4_P12ihipStream_tbEUlT_E0_NS1_11comp_targetILNS1_3genE8ELNS1_11target_archE1030ELNS1_3gpuE2ELNS1_3repE0EEENS1_30default_config_static_selectorELNS0_4arch9wavefront6targetE1EEEvS14_.num_vgpr, 0
	.set _ZN7rocprim17ROCPRIM_400000_NS6detail17trampoline_kernelINS0_14default_configENS1_22reduce_config_selectorIN6thrust23THRUST_200600_302600_NS5tupleIblNS6_9null_typeES8_S8_S8_S8_S8_S8_S8_EEEEZNS1_11reduce_implILb1ES3_NS6_12zip_iteratorINS7_INS6_11hip_rocprim26transform_input_iterator_tIbNSD_35transform_pair_of_input_iterators_tIbNS6_6detail15normal_iteratorINS6_10device_ptrIKsEEEESL_NS6_8equal_toIsEEEENSG_9not_fun_tINSD_8identityEEEEENSD_19counting_iterator_tIlEES8_S8_S8_S8_S8_S8_S8_S8_EEEEPS9_S9_NSD_9__find_if7functorIS9_EEEE10hipError_tPvRmT1_T2_T3_mT4_P12ihipStream_tbEUlT_E0_NS1_11comp_targetILNS1_3genE8ELNS1_11target_archE1030ELNS1_3gpuE2ELNS1_3repE0EEENS1_30default_config_static_selectorELNS0_4arch9wavefront6targetE1EEEvS14_.num_agpr, 0
	.set _ZN7rocprim17ROCPRIM_400000_NS6detail17trampoline_kernelINS0_14default_configENS1_22reduce_config_selectorIN6thrust23THRUST_200600_302600_NS5tupleIblNS6_9null_typeES8_S8_S8_S8_S8_S8_S8_EEEEZNS1_11reduce_implILb1ES3_NS6_12zip_iteratorINS7_INS6_11hip_rocprim26transform_input_iterator_tIbNSD_35transform_pair_of_input_iterators_tIbNS6_6detail15normal_iteratorINS6_10device_ptrIKsEEEESL_NS6_8equal_toIsEEEENSG_9not_fun_tINSD_8identityEEEEENSD_19counting_iterator_tIlEES8_S8_S8_S8_S8_S8_S8_S8_EEEEPS9_S9_NSD_9__find_if7functorIS9_EEEE10hipError_tPvRmT1_T2_T3_mT4_P12ihipStream_tbEUlT_E0_NS1_11comp_targetILNS1_3genE8ELNS1_11target_archE1030ELNS1_3gpuE2ELNS1_3repE0EEENS1_30default_config_static_selectorELNS0_4arch9wavefront6targetE1EEEvS14_.numbered_sgpr, 0
	.set _ZN7rocprim17ROCPRIM_400000_NS6detail17trampoline_kernelINS0_14default_configENS1_22reduce_config_selectorIN6thrust23THRUST_200600_302600_NS5tupleIblNS6_9null_typeES8_S8_S8_S8_S8_S8_S8_EEEEZNS1_11reduce_implILb1ES3_NS6_12zip_iteratorINS7_INS6_11hip_rocprim26transform_input_iterator_tIbNSD_35transform_pair_of_input_iterators_tIbNS6_6detail15normal_iteratorINS6_10device_ptrIKsEEEESL_NS6_8equal_toIsEEEENSG_9not_fun_tINSD_8identityEEEEENSD_19counting_iterator_tIlEES8_S8_S8_S8_S8_S8_S8_S8_EEEEPS9_S9_NSD_9__find_if7functorIS9_EEEE10hipError_tPvRmT1_T2_T3_mT4_P12ihipStream_tbEUlT_E0_NS1_11comp_targetILNS1_3genE8ELNS1_11target_archE1030ELNS1_3gpuE2ELNS1_3repE0EEENS1_30default_config_static_selectorELNS0_4arch9wavefront6targetE1EEEvS14_.num_named_barrier, 0
	.set _ZN7rocprim17ROCPRIM_400000_NS6detail17trampoline_kernelINS0_14default_configENS1_22reduce_config_selectorIN6thrust23THRUST_200600_302600_NS5tupleIblNS6_9null_typeES8_S8_S8_S8_S8_S8_S8_EEEEZNS1_11reduce_implILb1ES3_NS6_12zip_iteratorINS7_INS6_11hip_rocprim26transform_input_iterator_tIbNSD_35transform_pair_of_input_iterators_tIbNS6_6detail15normal_iteratorINS6_10device_ptrIKsEEEESL_NS6_8equal_toIsEEEENSG_9not_fun_tINSD_8identityEEEEENSD_19counting_iterator_tIlEES8_S8_S8_S8_S8_S8_S8_S8_EEEEPS9_S9_NSD_9__find_if7functorIS9_EEEE10hipError_tPvRmT1_T2_T3_mT4_P12ihipStream_tbEUlT_E0_NS1_11comp_targetILNS1_3genE8ELNS1_11target_archE1030ELNS1_3gpuE2ELNS1_3repE0EEENS1_30default_config_static_selectorELNS0_4arch9wavefront6targetE1EEEvS14_.private_seg_size, 0
	.set _ZN7rocprim17ROCPRIM_400000_NS6detail17trampoline_kernelINS0_14default_configENS1_22reduce_config_selectorIN6thrust23THRUST_200600_302600_NS5tupleIblNS6_9null_typeES8_S8_S8_S8_S8_S8_S8_EEEEZNS1_11reduce_implILb1ES3_NS6_12zip_iteratorINS7_INS6_11hip_rocprim26transform_input_iterator_tIbNSD_35transform_pair_of_input_iterators_tIbNS6_6detail15normal_iteratorINS6_10device_ptrIKsEEEESL_NS6_8equal_toIsEEEENSG_9not_fun_tINSD_8identityEEEEENSD_19counting_iterator_tIlEES8_S8_S8_S8_S8_S8_S8_S8_EEEEPS9_S9_NSD_9__find_if7functorIS9_EEEE10hipError_tPvRmT1_T2_T3_mT4_P12ihipStream_tbEUlT_E0_NS1_11comp_targetILNS1_3genE8ELNS1_11target_archE1030ELNS1_3gpuE2ELNS1_3repE0EEENS1_30default_config_static_selectorELNS0_4arch9wavefront6targetE1EEEvS14_.uses_vcc, 0
	.set _ZN7rocprim17ROCPRIM_400000_NS6detail17trampoline_kernelINS0_14default_configENS1_22reduce_config_selectorIN6thrust23THRUST_200600_302600_NS5tupleIblNS6_9null_typeES8_S8_S8_S8_S8_S8_S8_EEEEZNS1_11reduce_implILb1ES3_NS6_12zip_iteratorINS7_INS6_11hip_rocprim26transform_input_iterator_tIbNSD_35transform_pair_of_input_iterators_tIbNS6_6detail15normal_iteratorINS6_10device_ptrIKsEEEESL_NS6_8equal_toIsEEEENSG_9not_fun_tINSD_8identityEEEEENSD_19counting_iterator_tIlEES8_S8_S8_S8_S8_S8_S8_S8_EEEEPS9_S9_NSD_9__find_if7functorIS9_EEEE10hipError_tPvRmT1_T2_T3_mT4_P12ihipStream_tbEUlT_E0_NS1_11comp_targetILNS1_3genE8ELNS1_11target_archE1030ELNS1_3gpuE2ELNS1_3repE0EEENS1_30default_config_static_selectorELNS0_4arch9wavefront6targetE1EEEvS14_.uses_flat_scratch, 0
	.set _ZN7rocprim17ROCPRIM_400000_NS6detail17trampoline_kernelINS0_14default_configENS1_22reduce_config_selectorIN6thrust23THRUST_200600_302600_NS5tupleIblNS6_9null_typeES8_S8_S8_S8_S8_S8_S8_EEEEZNS1_11reduce_implILb1ES3_NS6_12zip_iteratorINS7_INS6_11hip_rocprim26transform_input_iterator_tIbNSD_35transform_pair_of_input_iterators_tIbNS6_6detail15normal_iteratorINS6_10device_ptrIKsEEEESL_NS6_8equal_toIsEEEENSG_9not_fun_tINSD_8identityEEEEENSD_19counting_iterator_tIlEES8_S8_S8_S8_S8_S8_S8_S8_EEEEPS9_S9_NSD_9__find_if7functorIS9_EEEE10hipError_tPvRmT1_T2_T3_mT4_P12ihipStream_tbEUlT_E0_NS1_11comp_targetILNS1_3genE8ELNS1_11target_archE1030ELNS1_3gpuE2ELNS1_3repE0EEENS1_30default_config_static_selectorELNS0_4arch9wavefront6targetE1EEEvS14_.has_dyn_sized_stack, 0
	.set _ZN7rocprim17ROCPRIM_400000_NS6detail17trampoline_kernelINS0_14default_configENS1_22reduce_config_selectorIN6thrust23THRUST_200600_302600_NS5tupleIblNS6_9null_typeES8_S8_S8_S8_S8_S8_S8_EEEEZNS1_11reduce_implILb1ES3_NS6_12zip_iteratorINS7_INS6_11hip_rocprim26transform_input_iterator_tIbNSD_35transform_pair_of_input_iterators_tIbNS6_6detail15normal_iteratorINS6_10device_ptrIKsEEEESL_NS6_8equal_toIsEEEENSG_9not_fun_tINSD_8identityEEEEENSD_19counting_iterator_tIlEES8_S8_S8_S8_S8_S8_S8_S8_EEEEPS9_S9_NSD_9__find_if7functorIS9_EEEE10hipError_tPvRmT1_T2_T3_mT4_P12ihipStream_tbEUlT_E0_NS1_11comp_targetILNS1_3genE8ELNS1_11target_archE1030ELNS1_3gpuE2ELNS1_3repE0EEENS1_30default_config_static_selectorELNS0_4arch9wavefront6targetE1EEEvS14_.has_recursion, 0
	.set _ZN7rocprim17ROCPRIM_400000_NS6detail17trampoline_kernelINS0_14default_configENS1_22reduce_config_selectorIN6thrust23THRUST_200600_302600_NS5tupleIblNS6_9null_typeES8_S8_S8_S8_S8_S8_S8_EEEEZNS1_11reduce_implILb1ES3_NS6_12zip_iteratorINS7_INS6_11hip_rocprim26transform_input_iterator_tIbNSD_35transform_pair_of_input_iterators_tIbNS6_6detail15normal_iteratorINS6_10device_ptrIKsEEEESL_NS6_8equal_toIsEEEENSG_9not_fun_tINSD_8identityEEEEENSD_19counting_iterator_tIlEES8_S8_S8_S8_S8_S8_S8_S8_EEEEPS9_S9_NSD_9__find_if7functorIS9_EEEE10hipError_tPvRmT1_T2_T3_mT4_P12ihipStream_tbEUlT_E0_NS1_11comp_targetILNS1_3genE8ELNS1_11target_archE1030ELNS1_3gpuE2ELNS1_3repE0EEENS1_30default_config_static_selectorELNS0_4arch9wavefront6targetE1EEEvS14_.has_indirect_call, 0
	.section	.AMDGPU.csdata,"",@progbits
; Kernel info:
; codeLenInByte = 0
; TotalNumSgprs: 6
; NumVgprs: 0
; NumAgprs: 0
; TotalNumVgprs: 0
; ScratchSize: 0
; MemoryBound: 0
; FloatMode: 240
; IeeeMode: 1
; LDSByteSize: 0 bytes/workgroup (compile time only)
; SGPRBlocks: 0
; VGPRBlocks: 0
; NumSGPRsForWavesPerEU: 6
; NumVGPRsForWavesPerEU: 1
; AccumOffset: 4
; Occupancy: 8
; WaveLimiterHint : 0
; COMPUTE_PGM_RSRC2:SCRATCH_EN: 0
; COMPUTE_PGM_RSRC2:USER_SGPR: 2
; COMPUTE_PGM_RSRC2:TRAP_HANDLER: 0
; COMPUTE_PGM_RSRC2:TGID_X_EN: 1
; COMPUTE_PGM_RSRC2:TGID_Y_EN: 0
; COMPUTE_PGM_RSRC2:TGID_Z_EN: 0
; COMPUTE_PGM_RSRC2:TIDIG_COMP_CNT: 0
; COMPUTE_PGM_RSRC3_GFX90A:ACCUM_OFFSET: 0
; COMPUTE_PGM_RSRC3_GFX90A:TG_SPLIT: 0
	.section	.text._ZN7rocprim17ROCPRIM_400000_NS6detail17trampoline_kernelINS0_14default_configENS1_22reduce_config_selectorIN6thrust23THRUST_200600_302600_NS5tupleIblNS6_9null_typeES8_S8_S8_S8_S8_S8_S8_EEEEZNS1_11reduce_implILb1ES3_NS6_12zip_iteratorINS7_INS6_11hip_rocprim26transform_input_iterator_tIbNSD_35transform_pair_of_input_iterators_tIbNS6_6detail15normal_iteratorINS6_10device_ptrIKsEEEESL_NS6_8equal_toIsEEEENSG_9not_fun_tINSD_8identityEEEEENSD_19counting_iterator_tIlEES8_S8_S8_S8_S8_S8_S8_S8_EEEEPS9_S9_NSD_9__find_if7functorIS9_EEEE10hipError_tPvRmT1_T2_T3_mT4_P12ihipStream_tbEUlT_E1_NS1_11comp_targetILNS1_3genE0ELNS1_11target_archE4294967295ELNS1_3gpuE0ELNS1_3repE0EEENS1_30default_config_static_selectorELNS0_4arch9wavefront6targetE1EEEvS14_,"axG",@progbits,_ZN7rocprim17ROCPRIM_400000_NS6detail17trampoline_kernelINS0_14default_configENS1_22reduce_config_selectorIN6thrust23THRUST_200600_302600_NS5tupleIblNS6_9null_typeES8_S8_S8_S8_S8_S8_S8_EEEEZNS1_11reduce_implILb1ES3_NS6_12zip_iteratorINS7_INS6_11hip_rocprim26transform_input_iterator_tIbNSD_35transform_pair_of_input_iterators_tIbNS6_6detail15normal_iteratorINS6_10device_ptrIKsEEEESL_NS6_8equal_toIsEEEENSG_9not_fun_tINSD_8identityEEEEENSD_19counting_iterator_tIlEES8_S8_S8_S8_S8_S8_S8_S8_EEEEPS9_S9_NSD_9__find_if7functorIS9_EEEE10hipError_tPvRmT1_T2_T3_mT4_P12ihipStream_tbEUlT_E1_NS1_11comp_targetILNS1_3genE0ELNS1_11target_archE4294967295ELNS1_3gpuE0ELNS1_3repE0EEENS1_30default_config_static_selectorELNS0_4arch9wavefront6targetE1EEEvS14_,comdat
	.protected	_ZN7rocprim17ROCPRIM_400000_NS6detail17trampoline_kernelINS0_14default_configENS1_22reduce_config_selectorIN6thrust23THRUST_200600_302600_NS5tupleIblNS6_9null_typeES8_S8_S8_S8_S8_S8_S8_EEEEZNS1_11reduce_implILb1ES3_NS6_12zip_iteratorINS7_INS6_11hip_rocprim26transform_input_iterator_tIbNSD_35transform_pair_of_input_iterators_tIbNS6_6detail15normal_iteratorINS6_10device_ptrIKsEEEESL_NS6_8equal_toIsEEEENSG_9not_fun_tINSD_8identityEEEEENSD_19counting_iterator_tIlEES8_S8_S8_S8_S8_S8_S8_S8_EEEEPS9_S9_NSD_9__find_if7functorIS9_EEEE10hipError_tPvRmT1_T2_T3_mT4_P12ihipStream_tbEUlT_E1_NS1_11comp_targetILNS1_3genE0ELNS1_11target_archE4294967295ELNS1_3gpuE0ELNS1_3repE0EEENS1_30default_config_static_selectorELNS0_4arch9wavefront6targetE1EEEvS14_ ; -- Begin function _ZN7rocprim17ROCPRIM_400000_NS6detail17trampoline_kernelINS0_14default_configENS1_22reduce_config_selectorIN6thrust23THRUST_200600_302600_NS5tupleIblNS6_9null_typeES8_S8_S8_S8_S8_S8_S8_EEEEZNS1_11reduce_implILb1ES3_NS6_12zip_iteratorINS7_INS6_11hip_rocprim26transform_input_iterator_tIbNSD_35transform_pair_of_input_iterators_tIbNS6_6detail15normal_iteratorINS6_10device_ptrIKsEEEESL_NS6_8equal_toIsEEEENSG_9not_fun_tINSD_8identityEEEEENSD_19counting_iterator_tIlEES8_S8_S8_S8_S8_S8_S8_S8_EEEEPS9_S9_NSD_9__find_if7functorIS9_EEEE10hipError_tPvRmT1_T2_T3_mT4_P12ihipStream_tbEUlT_E1_NS1_11comp_targetILNS1_3genE0ELNS1_11target_archE4294967295ELNS1_3gpuE0ELNS1_3repE0EEENS1_30default_config_static_selectorELNS0_4arch9wavefront6targetE1EEEvS14_
	.globl	_ZN7rocprim17ROCPRIM_400000_NS6detail17trampoline_kernelINS0_14default_configENS1_22reduce_config_selectorIN6thrust23THRUST_200600_302600_NS5tupleIblNS6_9null_typeES8_S8_S8_S8_S8_S8_S8_EEEEZNS1_11reduce_implILb1ES3_NS6_12zip_iteratorINS7_INS6_11hip_rocprim26transform_input_iterator_tIbNSD_35transform_pair_of_input_iterators_tIbNS6_6detail15normal_iteratorINS6_10device_ptrIKsEEEESL_NS6_8equal_toIsEEEENSG_9not_fun_tINSD_8identityEEEEENSD_19counting_iterator_tIlEES8_S8_S8_S8_S8_S8_S8_S8_EEEEPS9_S9_NSD_9__find_if7functorIS9_EEEE10hipError_tPvRmT1_T2_T3_mT4_P12ihipStream_tbEUlT_E1_NS1_11comp_targetILNS1_3genE0ELNS1_11target_archE4294967295ELNS1_3gpuE0ELNS1_3repE0EEENS1_30default_config_static_selectorELNS0_4arch9wavefront6targetE1EEEvS14_
	.p2align	8
	.type	_ZN7rocprim17ROCPRIM_400000_NS6detail17trampoline_kernelINS0_14default_configENS1_22reduce_config_selectorIN6thrust23THRUST_200600_302600_NS5tupleIblNS6_9null_typeES8_S8_S8_S8_S8_S8_S8_EEEEZNS1_11reduce_implILb1ES3_NS6_12zip_iteratorINS7_INS6_11hip_rocprim26transform_input_iterator_tIbNSD_35transform_pair_of_input_iterators_tIbNS6_6detail15normal_iteratorINS6_10device_ptrIKsEEEESL_NS6_8equal_toIsEEEENSG_9not_fun_tINSD_8identityEEEEENSD_19counting_iterator_tIlEES8_S8_S8_S8_S8_S8_S8_S8_EEEEPS9_S9_NSD_9__find_if7functorIS9_EEEE10hipError_tPvRmT1_T2_T3_mT4_P12ihipStream_tbEUlT_E1_NS1_11comp_targetILNS1_3genE0ELNS1_11target_archE4294967295ELNS1_3gpuE0ELNS1_3repE0EEENS1_30default_config_static_selectorELNS0_4arch9wavefront6targetE1EEEvS14_,@function
_ZN7rocprim17ROCPRIM_400000_NS6detail17trampoline_kernelINS0_14default_configENS1_22reduce_config_selectorIN6thrust23THRUST_200600_302600_NS5tupleIblNS6_9null_typeES8_S8_S8_S8_S8_S8_S8_EEEEZNS1_11reduce_implILb1ES3_NS6_12zip_iteratorINS7_INS6_11hip_rocprim26transform_input_iterator_tIbNSD_35transform_pair_of_input_iterators_tIbNS6_6detail15normal_iteratorINS6_10device_ptrIKsEEEESL_NS6_8equal_toIsEEEENSG_9not_fun_tINSD_8identityEEEEENSD_19counting_iterator_tIlEES8_S8_S8_S8_S8_S8_S8_S8_EEEEPS9_S9_NSD_9__find_if7functorIS9_EEEE10hipError_tPvRmT1_T2_T3_mT4_P12ihipStream_tbEUlT_E1_NS1_11comp_targetILNS1_3genE0ELNS1_11target_archE4294967295ELNS1_3gpuE0ELNS1_3repE0EEENS1_30default_config_static_selectorELNS0_4arch9wavefront6targetE1EEEvS14_: ; @_ZN7rocprim17ROCPRIM_400000_NS6detail17trampoline_kernelINS0_14default_configENS1_22reduce_config_selectorIN6thrust23THRUST_200600_302600_NS5tupleIblNS6_9null_typeES8_S8_S8_S8_S8_S8_S8_EEEEZNS1_11reduce_implILb1ES3_NS6_12zip_iteratorINS7_INS6_11hip_rocprim26transform_input_iterator_tIbNSD_35transform_pair_of_input_iterators_tIbNS6_6detail15normal_iteratorINS6_10device_ptrIKsEEEESL_NS6_8equal_toIsEEEENSG_9not_fun_tINSD_8identityEEEEENSD_19counting_iterator_tIlEES8_S8_S8_S8_S8_S8_S8_S8_EEEEPS9_S9_NSD_9__find_if7functorIS9_EEEE10hipError_tPvRmT1_T2_T3_mT4_P12ihipStream_tbEUlT_E1_NS1_11comp_targetILNS1_3genE0ELNS1_11target_archE4294967295ELNS1_3gpuE0ELNS1_3repE0EEENS1_30default_config_static_selectorELNS0_4arch9wavefront6targetE1EEEvS14_
; %bb.0:
	s_load_dword s40, s[0:1], 0x4
	s_load_dwordx4 s[24:27], s[0:1], 0x8
	s_load_dwordx4 s[20:23], s[0:1], 0x28
	s_load_dword s33, s[0:1], 0x40
	s_load_dwordx2 s[18:19], s[0:1], 0x48
	s_waitcnt lgkmcnt(0)
	s_cmp_lt_i32 s40, 4
	s_cbranch_scc1 .LBB1705_13
; %bb.1:
	s_cmp_gt_i32 s40, 7
	s_cbranch_scc0 .LBB1705_14
; %bb.2:
	s_cmp_eq_u32 s40, 8
	s_mov_b64 s[28:29], 0
	s_cbranch_scc0 .LBB1705_15
; %bb.3:
	s_mov_b32 s3, 0
	s_lshl_b32 s38, s2, 10
	s_mov_b32 s39, s3
	s_lshr_b64 s[4:5], s[22:23], 10
	s_lshl_b64 s[6:7], s[38:39], 1
	s_add_u32 s30, s24, s6
	s_addc_u32 s31, s25, s7
	s_add_u32 s34, s26, s6
	s_addc_u32 s35, s27, s7
	;; [unrolled: 2-line block ×3, first 2 shown]
	s_cmp_lg_u64 s[4:5], s[2:3]
	s_cbranch_scc0 .LBB1705_28
; %bb.4:
	v_lshlrev_b32_e32 v1, 1, v0
	global_load_ushort v5, v1, s[34:35] offset:256
	global_load_ushort v6, v1, s[34:35] offset:512
	;; [unrolled: 1-line block ×14, first 2 shown]
	global_load_ushort v20, v1, s[30:31]
	global_load_ushort v21, v1, s[34:35]
	v_mov_b32_e32 v1, 0
	v_mov_b32_e32 v22, 0x100
	;; [unrolled: 1-line block ×3, first 2 shown]
	v_lshl_add_u64 v[2:3], s[36:37], 0, v[0:1]
	v_mov_b32_e32 v7, v1
	v_mov_b32_e32 v24, 0x200
	;; [unrolled: 1-line block ×6, first 2 shown]
	v_mbcnt_lo_u32_b32 v4, -1, 0
	v_mbcnt_hi_u32_b32 v4, -1, v4
	s_waitcnt vmcnt(10)
	v_cmp_ne_u16_e32 vcc, v11, v6
	s_waitcnt vmcnt(9)
	v_cmp_ne_u16_e64 s[4:5], v12, v8
	s_waitcnt vmcnt(8)
	v_cmp_ne_u16_e64 s[6:7], v13, v9
	;; [unrolled: 2-line block ×5, first 2 shown]
	v_cndmask_b32_e64 v1, v22, v23, s[10:11]
	s_nop 0
	v_cndmask_b32_e64 v5, v24, v25, s[12:13]
	s_waitcnt vmcnt(2)
	v_cmp_ne_u16_e64 s[14:15], v19, v18
	s_waitcnt vmcnt(0)
	v_cmp_ne_u16_e64 s[16:17], v20, v21
	s_or_b64 s[10:11], s[16:17], s[10:11]
	s_or_b64 vcc, s[10:11], vcc
	v_cndmask_b32_e64 v1, v1, 0, s[16:17]
	s_or_b64 s[10:11], vcc, s[12:13]
	v_cndmask_b32_e32 v1, v5, v1, vcc
	s_or_b64 vcc, s[10:11], s[4:5]
	v_cndmask_b32_e64 v6, v26, v27, s[14:15]
	s_or_b64 s[4:5], vcc, s[14:15]
	v_cndmask_b32_e32 v1, v6, v1, vcc
	s_or_b64 vcc, s[4:5], s[6:7]
	v_cndmask_b32_e32 v6, v28, v1, vcc
	v_lshl_add_u64 v[2:3], v[2:3], 0, v[6:7]
	s_or_b64 s[4:5], vcc, s[8:9]
	v_cndmask_b32_e64 v1, 0, 1, s[4:5]
	v_mov_b32_dpp v6, v2 quad_perm:[1,0,3,2] row_mask:0xf bank_mask:0xf bound_ctrl:1
	v_mov_b32_dpp v7, v3 quad_perm:[1,0,3,2] row_mask:0xf bank_mask:0xf bound_ctrl:1
	;; [unrolled: 1-line block ×3, first 2 shown]
	v_cmp_lt_i64_e32 vcc, v[2:3], v[6:7]
	v_and_b32_e32 v5, 1, v5
	s_and_b64 vcc, s[4:5], vcc
	v_cndmask_b32_e32 v6, v6, v2, vcc
	v_cndmask_b32_e32 v7, v7, v3, vcc
	v_cmp_eq_u32_e32 vcc, 1, v5
	s_nop 1
	v_cndmask_b32_e32 v3, v3, v7, vcc
	v_cndmask_b32_e32 v2, v2, v6, vcc
	v_cndmask_b32_e64 v1, v1, 1, vcc
	v_mov_b32_dpp v7, v3 quad_perm:[2,3,0,1] row_mask:0xf bank_mask:0xf bound_ctrl:1
	v_mov_b32_dpp v6, v2 quad_perm:[2,3,0,1] row_mask:0xf bank_mask:0xf bound_ctrl:1
	;; [unrolled: 1-line block ×3, first 2 shown]
	v_and_b32_e32 v8, 1, v1
	v_and_b32_e32 v5, 1, v5
	v_cmp_eq_u32_e32 vcc, 1, v8
	v_cmp_lt_i64_e64 s[4:5], v[2:3], v[6:7]
	v_cmp_eq_u32_e64 s[6:7], 1, v5
	s_and_b64 vcc, vcc, s[4:5]
	v_cndmask_b32_e32 v5, v6, v2, vcc
	v_cndmask_b32_e64 v1, v1, 1, s[6:7]
	v_cndmask_b32_e32 v6, v7, v3, vcc
	v_cndmask_b32_e64 v2, v2, v5, s[6:7]
	v_and_b32_e32 v7, 1, v1
	v_cndmask_b32_e64 v3, v3, v6, s[6:7]
	v_mov_b32_dpp v6, v2 row_ror:4 row_mask:0xf bank_mask:0xf bound_ctrl:1
	v_cmp_eq_u32_e32 vcc, 1, v7
	v_mov_b32_dpp v7, v3 row_ror:4 row_mask:0xf bank_mask:0xf bound_ctrl:1
	v_mov_b32_dpp v5, v1 row_ror:4 row_mask:0xf bank_mask:0xf bound_ctrl:1
	v_cmp_lt_i64_e64 s[6:7], v[2:3], v[6:7]
	v_and_b32_e32 v5, 1, v5
	s_and_b64 vcc, vcc, s[6:7]
	v_cmp_eq_u32_e64 s[4:5], 1, v5
	v_cndmask_b32_e32 v6, v6, v2, vcc
	v_cndmask_b32_e32 v7, v7, v3, vcc
	v_cndmask_b32_e64 v1, v1, 1, s[4:5]
	v_cndmask_b32_e64 v2, v2, v6, s[4:5]
	;; [unrolled: 1-line block ×3, first 2 shown]
	v_and_b32_e32 v8, 1, v1
	v_mov_b32_dpp v6, v2 row_ror:8 row_mask:0xf bank_mask:0xf bound_ctrl:1
	v_mov_b32_dpp v7, v3 row_ror:8 row_mask:0xf bank_mask:0xf bound_ctrl:1
	;; [unrolled: 1-line block ×3, first 2 shown]
	v_cmp_eq_u32_e64 s[6:7], 1, v8
	v_cmp_lt_i64_e64 s[4:5], v[2:3], v[6:7]
	v_and_b32_e32 v5, 1, v5
	s_and_b64 s[4:5], s[6:7], s[4:5]
	v_cmp_eq_u32_e32 vcc, 1, v5
	v_cndmask_b32_e64 v6, v6, v2, s[4:5]
	v_cndmask_b32_e64 v7, v7, v3, s[4:5]
	v_cndmask_b32_e64 v1, v1, 1, vcc
	v_cndmask_b32_e32 v2, v2, v6, vcc
	v_cndmask_b32_e32 v3, v3, v7, vcc
	v_and_b32_e32 v8, 1, v1
	v_mov_b32_dpp v6, v2 row_bcast:15 row_mask:0xf bank_mask:0xf bound_ctrl:1
	v_mov_b32_dpp v7, v3 row_bcast:15 row_mask:0xf bank_mask:0xf bound_ctrl:1
	v_mov_b32_dpp v5, v1 row_bcast:15 row_mask:0xf bank_mask:0xf bound_ctrl:1
	v_cmp_eq_u32_e32 vcc, 1, v8
	v_cmp_lt_i64_e64 s[4:5], v[2:3], v[6:7]
	v_and_b32_e32 v5, 1, v5
	s_and_b64 vcc, vcc, s[4:5]
	v_cmp_eq_u32_e64 s[6:7], 1, v5
	v_cndmask_b32_e32 v5, v6, v2, vcc
	v_cndmask_b32_e32 v6, v7, v3, vcc
	v_cndmask_b32_e64 v1, v1, 1, s[6:7]
	v_cndmask_b32_e64 v3, v3, v6, s[6:7]
	v_cndmask_b32_e64 v2, v2, v5, s[6:7]
	v_and_b32_e32 v8, 1, v1
	v_mov_b32_dpp v7, v3 row_bcast:31 row_mask:0xf bank_mask:0xf bound_ctrl:1
	v_mov_b32_dpp v6, v2 row_bcast:31 row_mask:0xf bank_mask:0xf bound_ctrl:1
	v_mov_b32_dpp v5, v1 row_bcast:31 row_mask:0xf bank_mask:0xf bound_ctrl:1
	v_cmp_eq_u32_e32 vcc, 1, v8
	v_cmp_lt_i64_e64 s[4:5], v[2:3], v[6:7]
	v_and_b32_e32 v5, 1, v5
	s_and_b64 vcc, vcc, s[4:5]
	v_cmp_eq_u32_e64 s[6:7], 1, v5
	v_cndmask_b32_e32 v5, v6, v2, vcc
	v_cndmask_b32_e32 v6, v7, v3, vcc
	v_cndmask_b32_e64 v3, v3, v6, s[6:7]
	v_lshlrev_b32_e32 v6, 2, v4
	v_cndmask_b32_e64 v1, v1, 1, s[6:7]
	v_cndmask_b32_e64 v2, v2, v5, s[6:7]
	v_or_b32_e32 v5, 0xfc, v6
	ds_bpermute_b32 v1, v5, v1
	ds_bpermute_b32 v2, v5, v2
	;; [unrolled: 1-line block ×3, first 2 shown]
	v_cmp_eq_u32_e32 vcc, 0, v4
	s_and_saveexec_b64 s[4:5], vcc
	s_cbranch_execz .LBB1705_6
; %bb.5:
	v_lshrrev_b32_e32 v5, 2, v0
	v_and_b32_e32 v5, 16, v5
	s_waitcnt lgkmcnt(2)
	ds_write_b8 v5, v1 offset:96
	s_waitcnt lgkmcnt(1)
	ds_write_b64 v5, v[2:3] offset:104
.LBB1705_6:
	s_or_b64 exec, exec, s[4:5]
	v_cmp_gt_u32_e32 vcc, 64, v0
	s_waitcnt lgkmcnt(0)
	s_barrier
	s_and_saveexec_b64 s[4:5], vcc
	s_cbranch_execz .LBB1705_12
; %bb.7:
	v_and_b32_e32 v1, 1, v4
	v_lshlrev_b32_e32 v1, 4, v1
	ds_read_u8 v8, v1 offset:96
	ds_read_b64 v[4:5], v1 offset:104
	v_or_b32_e32 v2, 4, v6
	s_waitcnt lgkmcnt(1)
	v_and_b32_e32 v1, 0xff, v8
	ds_bpermute_b32 v9, v2, v1
	s_waitcnt lgkmcnt(1)
	ds_bpermute_b32 v6, v2, v4
	ds_bpermute_b32 v7, v2, v5
                                        ; implicit-def: $vgpr2_vgpr3
	s_waitcnt lgkmcnt(2)
	v_and_b32_e32 v1, v8, v9
	v_and_b32_e32 v1, 1, v1
	v_cmp_eq_u32_e32 vcc, 1, v1
	s_and_saveexec_b64 s[6:7], vcc
	s_xor_b64 s[6:7], exec, s[6:7]
	s_cbranch_execz .LBB1705_9
; %bb.8:
	s_waitcnt lgkmcnt(0)
	v_cmp_lt_i64_e32 vcc, v[6:7], v[4:5]
                                        ; implicit-def: $vgpr8
                                        ; implicit-def: $vgpr9
	s_nop 1
	v_cndmask_b32_e32 v3, v5, v7, vcc
	v_cndmask_b32_e32 v2, v4, v6, vcc
                                        ; implicit-def: $vgpr6_vgpr7
                                        ; implicit-def: $vgpr4_vgpr5
.LBB1705_9:
	s_or_saveexec_b64 s[6:7], s[6:7]
	v_mov_b32_e32 v1, 1
	s_xor_b64 exec, exec, s[6:7]
	s_cbranch_execz .LBB1705_11
; %bb.10:
	v_and_b32_e32 v1, 1, v8
	v_cmp_eq_u32_e32 vcc, 1, v1
	s_waitcnt lgkmcnt(0)
	s_nop 0
	v_cndmask_b32_e32 v3, v7, v5, vcc
	v_cndmask_b32_e32 v2, v6, v4, vcc
	v_cndmask_b32_e64 v1, v9, 1, vcc
.LBB1705_11:
	s_or_b64 exec, exec, s[6:7]
.LBB1705_12:
	s_or_b64 exec, exec, s[4:5]
	s_branch .LBB1705_145
.LBB1705_13:
	s_mov_b64 s[12:13], 0
                                        ; implicit-def: $vgpr4_vgpr5
                                        ; implicit-def: $vgpr6
                                        ; implicit-def: $vgpr2_vgpr3
	s_cbranch_execnz .LBB1705_219
	s_branch .LBB1705_306
.LBB1705_14:
	s_mov_b64 s[28:29], -1
.LBB1705_15:
	s_mov_b64 s[12:13], 0
                                        ; implicit-def: $vgpr4_vgpr5
                                        ; implicit-def: $vgpr6
                                        ; implicit-def: $vgpr2_vgpr3
	s_and_b64 vcc, exec, s[28:29]
	s_cbranch_vccz .LBB1705_150
.LBB1705_16:
	s_cmp_eq_u32 s40, 4
	s_cbranch_scc0 .LBB1705_27
; %bb.17:
	s_mov_b32 s3, 0
	s_lshl_b32 s30, s2, 9
	s_mov_b32 s31, s3
	s_lshr_b64 s[4:5], s[22:23], 9
	s_lshl_b64 s[6:7], s[30:31], 1
	s_add_u32 s14, s24, s6
	s_addc_u32 s15, s25, s7
	s_add_u32 s16, s26, s6
	s_addc_u32 s17, s27, s7
	;; [unrolled: 2-line block ×3, first 2 shown]
	s_cmp_lg_u64 s[4:5], s[2:3]
	s_cbranch_scc0 .LBB1705_51
; %bb.18:
	v_lshlrev_b32_e32 v1, 1, v0
	s_waitcnt lgkmcnt(0)
	global_load_ushort v5, v1, s[16:17] offset:256
	global_load_ushort v7, v1, s[14:15] offset:512
	;; [unrolled: 1-line block ×6, first 2 shown]
	global_load_ushort v13, v1, s[16:17]
	global_load_ushort v14, v1, s[14:15]
	v_mov_b32_e32 v1, 0
	v_mov_b32_e32 v15, 0x100
	;; [unrolled: 1-line block ×3, first 2 shown]
	v_lshl_add_u64 v[2:3], s[28:29], 0, v[0:1]
	v_mov_b32_e32 v9, v1
	v_mov_b32_e32 v17, 0x180
	v_mbcnt_lo_u32_b32 v4, -1, 0
	v_mbcnt_hi_u32_b32 v4, -1, v4
	v_lshlrev_b32_e32 v6, 2, v4
	v_or_b32_e32 v18, 0xfc, v6
	s_waitcnt vmcnt(5)
	v_cmp_ne_u16_e32 vcc, v7, v8
	s_waitcnt vmcnt(3)
	v_cmp_ne_u16_e64 s[4:5], v11, v10
	s_waitcnt vmcnt(2)
	v_cmp_ne_u16_e64 s[6:7], v12, v5
	;; [unrolled: 2-line block ×3, first 2 shown]
	v_cndmask_b32_e64 v1, v15, v16, s[6:7]
	s_or_b64 s[6:7], s[8:9], s[6:7]
	v_cndmask_b32_e64 v1, v1, 0, s[8:9]
	s_or_b64 vcc, s[6:7], vcc
	v_cndmask_b32_e32 v8, v17, v1, vcc
	v_lshl_add_u64 v[2:3], v[2:3], 0, v[8:9]
	s_or_b64 s[4:5], vcc, s[4:5]
	v_cndmask_b32_e64 v1, 0, 1, s[4:5]
	v_mov_b32_dpp v8, v2 quad_perm:[1,0,3,2] row_mask:0xf bank_mask:0xf bound_ctrl:1
	v_mov_b32_dpp v9, v3 quad_perm:[1,0,3,2] row_mask:0xf bank_mask:0xf bound_ctrl:1
	v_mov_b32_dpp v5, v1 quad_perm:[1,0,3,2] row_mask:0xf bank_mask:0xf bound_ctrl:1
	v_cmp_lt_i64_e32 vcc, v[2:3], v[8:9]
	v_and_b32_e32 v5, 1, v5
	s_and_b64 vcc, s[4:5], vcc
	v_cndmask_b32_e32 v7, v8, v2, vcc
	v_cndmask_b32_e32 v8, v9, v3, vcc
	v_cmp_eq_u32_e32 vcc, 1, v5
	s_nop 1
	v_cndmask_b32_e32 v3, v3, v8, vcc
	v_cndmask_b32_e32 v2, v2, v7, vcc
	v_cndmask_b32_e64 v1, v1, 1, vcc
	v_mov_b32_dpp v9, v3 quad_perm:[2,3,0,1] row_mask:0xf bank_mask:0xf bound_ctrl:1
	v_mov_b32_dpp v8, v2 quad_perm:[2,3,0,1] row_mask:0xf bank_mask:0xf bound_ctrl:1
	;; [unrolled: 1-line block ×3, first 2 shown]
	v_and_b32_e32 v7, 1, v1
	v_and_b32_e32 v5, 1, v5
	v_cmp_eq_u32_e32 vcc, 1, v7
	v_cmp_lt_i64_e64 s[4:5], v[2:3], v[8:9]
	v_cmp_eq_u32_e64 s[6:7], 1, v5
	s_and_b64 vcc, vcc, s[4:5]
	v_cndmask_b32_e32 v5, v8, v2, vcc
	v_cndmask_b32_e64 v1, v1, 1, s[6:7]
	v_cndmask_b32_e64 v2, v2, v5, s[6:7]
	v_cndmask_b32_e32 v7, v9, v3, vcc
	v_mov_b32_dpp v5, v1 row_ror:4 row_mask:0xf bank_mask:0xf bound_ctrl:1
	v_and_b32_e32 v5, 1, v5
	v_and_b32_e32 v9, 1, v1
	v_cndmask_b32_e64 v3, v3, v7, s[6:7]
	v_cmp_eq_u32_e64 s[4:5], 1, v5
	v_mov_b32_dpp v8, v2 row_ror:4 row_mask:0xf bank_mask:0xf bound_ctrl:1
	v_cmp_eq_u32_e32 vcc, 1, v9
	v_mov_b32_dpp v9, v3 row_ror:4 row_mask:0xf bank_mask:0xf bound_ctrl:1
	v_cndmask_b32_e64 v1, v1, 1, s[4:5]
	v_cmp_lt_i64_e64 s[6:7], v[2:3], v[8:9]
	v_and_b32_e32 v7, 1, v1
	v_mov_b32_dpp v5, v1 row_ror:8 row_mask:0xf bank_mask:0xf bound_ctrl:1
	s_and_b64 vcc, vcc, s[6:7]
	v_and_b32_e32 v5, 1, v5
	v_cndmask_b32_e32 v8, v8, v2, vcc
	v_cmp_eq_u32_e64 s[6:7], 1, v7
	v_cndmask_b32_e32 v7, v9, v3, vcc
	v_cmp_eq_u32_e32 vcc, 1, v5
	v_cndmask_b32_e64 v2, v2, v8, s[4:5]
	v_cndmask_b32_e64 v3, v3, v7, s[4:5]
	v_cndmask_b32_e64 v1, v1, 1, vcc
	v_mov_b32_dpp v8, v2 row_ror:8 row_mask:0xf bank_mask:0xf bound_ctrl:1
	v_mov_b32_dpp v9, v3 row_ror:8 row_mask:0xf bank_mask:0xf bound_ctrl:1
	v_mov_b32_dpp v5, v1 row_bcast:15 row_mask:0xf bank_mask:0xf bound_ctrl:1
	v_and_b32_e32 v5, 1, v5
	v_cmp_lt_i64_e64 s[8:9], v[2:3], v[8:9]
	v_cmp_eq_u32_e64 s[10:11], 1, v5
	s_and_b64 s[6:7], s[6:7], s[8:9]
	v_and_b32_e32 v7, 1, v1
	v_cndmask_b32_e64 v1, v1, 1, s[10:11]
	v_cndmask_b32_e64 v5, v8, v2, s[6:7]
	;; [unrolled: 1-line block ×3, first 2 shown]
	v_and_b32_e32 v8, 1, v1
	v_cndmask_b32_e32 v2, v2, v5, vcc
	v_cndmask_b32_e32 v3, v3, v9, vcc
	v_cmp_eq_u32_e64 s[6:7], 1, v8
	v_mov_b32_dpp v8, v2 row_bcast:15 row_mask:0xf bank_mask:0xf bound_ctrl:1
	v_mov_b32_dpp v9, v3 row_bcast:15 row_mask:0xf bank_mask:0xf bound_ctrl:1
	v_cmp_eq_u32_e64 s[4:5], 1, v7
	v_mov_b32_dpp v7, v1 row_bcast:31 row_mask:0xf bank_mask:0xf bound_ctrl:1
	v_cmp_lt_i64_e64 s[8:9], v[2:3], v[8:9]
	v_and_b32_e32 v5, 1, v7
	s_and_b64 s[4:5], s[4:5], s[8:9]
	v_cmp_eq_u32_e32 vcc, 1, v5
	v_cndmask_b32_e64 v5, v8, v2, s[4:5]
	v_cndmask_b32_e64 v7, v9, v3, s[4:5]
	;; [unrolled: 1-line block ×4, first 2 shown]
	v_cndmask_b32_e64 v1, v1, 1, vcc
	v_mov_b32_dpp v8, v2 row_bcast:31 row_mask:0xf bank_mask:0xf bound_ctrl:1
	v_mov_b32_dpp v9, v3 row_bcast:31 row_mask:0xf bank_mask:0xf bound_ctrl:1
	v_cmp_lt_i64_e64 s[4:5], v[2:3], v[8:9]
	s_and_b64 s[4:5], s[6:7], s[4:5]
	ds_bpermute_b32 v1, v18, v1
	v_cndmask_b32_e64 v5, v8, v2, s[4:5]
	v_cndmask_b32_e64 v7, v9, v3, s[4:5]
	v_cndmask_b32_e32 v2, v2, v5, vcc
	v_cndmask_b32_e32 v3, v3, v7, vcc
	ds_bpermute_b32 v2, v18, v2
	ds_bpermute_b32 v3, v18, v3
	v_cmp_eq_u32_e32 vcc, 0, v4
	s_and_saveexec_b64 s[4:5], vcc
	s_cbranch_execz .LBB1705_20
; %bb.19:
	v_lshrrev_b32_e32 v5, 2, v0
	v_and_b32_e32 v5, 16, v5
	s_waitcnt lgkmcnt(2)
	ds_write_b8 v5, v1 offset:64
	s_waitcnt lgkmcnt(1)
	ds_write_b64 v5, v[2:3] offset:72
.LBB1705_20:
	s_or_b64 exec, exec, s[4:5]
	v_cmp_gt_u32_e32 vcc, 64, v0
	s_waitcnt lgkmcnt(0)
	s_barrier
	s_and_saveexec_b64 s[4:5], vcc
	s_cbranch_execz .LBB1705_26
; %bb.21:
	v_and_b32_e32 v1, 1, v4
	v_lshlrev_b32_e32 v1, 4, v1
	ds_read_u8 v8, v1 offset:64
	ds_read_b64 v[4:5], v1 offset:72
	v_or_b32_e32 v2, 4, v6
	s_waitcnt lgkmcnt(1)
	v_and_b32_e32 v1, 0xff, v8
	ds_bpermute_b32 v9, v2, v1
	s_waitcnt lgkmcnt(1)
	ds_bpermute_b32 v6, v2, v4
	ds_bpermute_b32 v7, v2, v5
                                        ; implicit-def: $vgpr2_vgpr3
	s_waitcnt lgkmcnt(2)
	v_and_b32_e32 v1, v8, v9
	v_and_b32_e32 v1, 1, v1
	v_cmp_eq_u32_e32 vcc, 1, v1
	s_and_saveexec_b64 s[6:7], vcc
	s_xor_b64 s[6:7], exec, s[6:7]
	s_cbranch_execz .LBB1705_23
; %bb.22:
	s_waitcnt lgkmcnt(0)
	v_cmp_lt_i64_e32 vcc, v[6:7], v[4:5]
                                        ; implicit-def: $vgpr8
                                        ; implicit-def: $vgpr9
	s_nop 1
	v_cndmask_b32_e32 v3, v5, v7, vcc
	v_cndmask_b32_e32 v2, v4, v6, vcc
                                        ; implicit-def: $vgpr6_vgpr7
                                        ; implicit-def: $vgpr4_vgpr5
.LBB1705_23:
	s_or_saveexec_b64 s[6:7], s[6:7]
	v_mov_b32_e32 v1, 1
	s_xor_b64 exec, exec, s[6:7]
	s_cbranch_execz .LBB1705_25
; %bb.24:
	v_and_b32_e32 v1, 1, v8
	v_cmp_eq_u32_e32 vcc, 1, v1
	s_waitcnt lgkmcnt(0)
	s_nop 0
	v_cndmask_b32_e32 v3, v7, v5, vcc
	v_cndmask_b32_e32 v2, v6, v4, vcc
	v_cndmask_b32_e64 v1, v9, 1, vcc
.LBB1705_25:
	s_or_b64 exec, exec, s[6:7]
.LBB1705_26:
	s_or_b64 exec, exec, s[4:5]
	s_branch .LBB1705_214
.LBB1705_27:
                                        ; implicit-def: $vgpr4_vgpr5
                                        ; implicit-def: $vgpr6
                                        ; implicit-def: $vgpr2_vgpr3
	s_branch .LBB1705_306
.LBB1705_28:
                                        ; implicit-def: $vgpr2_vgpr3
                                        ; implicit-def: $vgpr1
	s_cbranch_execz .LBB1705_145
; %bb.29:
	s_sub_i32 s41, s22, s38
	v_cmp_gt_u32_e32 vcc, s41, v0
	v_mov_b32_e32 v26, 0
	v_mov_b64_e32 v[16:17], 0
	v_mov_b64_e32 v[2:3], 0
	v_mov_b32_e32 v1, 0
	s_and_saveexec_b64 s[4:5], vcc
	s_cbranch_execz .LBB1705_31
; %bb.30:
	v_lshlrev_b32_e32 v1, 1, v0
	global_load_ushort v4, v1, s[30:31]
	global_load_ushort v5, v1, s[34:35]
	v_mov_b32_e32 v1, 0
	v_lshl_add_u64 v[2:3], s[36:37], 0, v[0:1]
	s_waitcnt vmcnt(0)
	v_cmp_ne_u16_e32 vcc, v4, v5
	s_nop 1
	v_cndmask_b32_e64 v1, 0, 1, vcc
.LBB1705_31:
	s_or_b64 exec, exec, s[4:5]
	v_or_b32_e32 v4, 0x80, v0
	v_cmp_gt_u32_e64 s[14:15], s41, v4
	s_and_saveexec_b64 s[4:5], s[14:15]
	s_cbranch_execz .LBB1705_33
; %bb.32:
	v_lshlrev_b32_e32 v5, 1, v0
	s_waitcnt lgkmcnt(1)
	global_load_ushort v6, v5, s[30:31] offset:256
	s_waitcnt lgkmcnt(0)
	global_load_ushort v7, v5, s[34:35] offset:256
	v_mov_b32_e32 v5, 0
	v_lshl_add_u64 v[16:17], s[36:37], 0, v[4:5]
	s_waitcnt vmcnt(0)
	v_cmp_ne_u16_e32 vcc, v6, v7
	s_nop 1
	v_cndmask_b32_e64 v26, 0, 1, vcc
.LBB1705_33:
	s_or_b64 exec, exec, s[4:5]
	v_or_b32_e32 v4, 0x100, v0
	v_cmp_gt_u32_e64 s[12:13], s41, v4
	v_mov_b32_e32 v24, 0
	v_mov_b64_e32 v[12:13], 0
	v_mov_b64_e32 v[14:15], 0
	v_mov_b32_e32 v25, 0
	s_and_saveexec_b64 s[4:5], s[12:13]
	s_cbranch_execz .LBB1705_35
; %bb.34:
	v_lshlrev_b32_e32 v5, 1, v0
	s_waitcnt lgkmcnt(1)
	global_load_ushort v6, v5, s[30:31] offset:512
	s_waitcnt lgkmcnt(0)
	global_load_ushort v7, v5, s[34:35] offset:512
	v_mov_b32_e32 v5, 0
	v_lshl_add_u64 v[14:15], s[36:37], 0, v[4:5]
	s_waitcnt vmcnt(0)
	v_cmp_ne_u16_e32 vcc, v6, v7
	s_nop 1
	v_cndmask_b32_e64 v25, 0, 1, vcc
.LBB1705_35:
	s_or_b64 exec, exec, s[4:5]
	v_or_b32_e32 v4, 0x180, v0
	v_cmp_gt_u32_e64 s[10:11], s41, v4
	s_and_saveexec_b64 s[4:5], s[10:11]
	s_cbranch_execz .LBB1705_37
; %bb.36:
	v_lshlrev_b32_e32 v5, 1, v0
	s_waitcnt lgkmcnt(1)
	global_load_ushort v6, v5, s[30:31] offset:768
	s_waitcnt lgkmcnt(0)
	global_load_ushort v7, v5, s[34:35] offset:768
	v_mov_b32_e32 v5, 0
	v_lshl_add_u64 v[12:13], s[36:37], 0, v[4:5]
	s_waitcnt vmcnt(0)
	v_cmp_ne_u16_e32 vcc, v6, v7
	s_nop 1
	v_cndmask_b32_e64 v24, 0, 1, vcc
.LBB1705_37:
	s_or_b64 exec, exec, s[4:5]
	v_or_b32_e32 v4, 0x200, v0
	v_cmp_gt_u32_e64 s[8:9], s41, v4
	v_mov_b32_e32 v22, 0
	v_mov_b64_e32 v[8:9], 0
	v_mov_b64_e32 v[10:11], 0
	v_mov_b32_e32 v23, 0
	s_and_saveexec_b64 s[4:5], s[8:9]
	s_cbranch_execz .LBB1705_39
; %bb.38:
	v_lshlrev_b32_e32 v5, 1, v0
	s_waitcnt lgkmcnt(1)
	global_load_ushort v6, v5, s[30:31] offset:1024
	s_waitcnt lgkmcnt(0)
	global_load_ushort v7, v5, s[34:35] offset:1024
	v_mov_b32_e32 v5, 0
	v_lshl_add_u64 v[10:11], s[36:37], 0, v[4:5]
	s_waitcnt vmcnt(0)
	v_cmp_ne_u16_e32 vcc, v6, v7
	s_nop 1
	v_cndmask_b32_e64 v23, 0, 1, vcc
.LBB1705_39:
	s_or_b64 exec, exec, s[4:5]
	v_or_b32_e32 v4, 0x280, v0
	v_cmp_gt_u32_e64 s[6:7], s41, v4
	s_and_saveexec_b64 s[4:5], s[6:7]
	s_cbranch_execz .LBB1705_41
; %bb.40:
	v_lshlrev_b32_e32 v5, 1, v0
	s_waitcnt lgkmcnt(1)
	global_load_ushort v6, v5, s[30:31] offset:1280
	s_waitcnt lgkmcnt(0)
	global_load_ushort v7, v5, s[34:35] offset:1280
	v_mov_b32_e32 v5, 0
	v_lshl_add_u64 v[8:9], s[36:37], 0, v[4:5]
	s_waitcnt vmcnt(0)
	v_cmp_ne_u16_e32 vcc, v6, v7
	s_nop 1
	v_cndmask_b32_e64 v22, 0, 1, vcc
.LBB1705_41:
	s_or_b64 exec, exec, s[4:5]
	v_or_b32_e32 v18, 0x300, v0
	v_cmp_gt_u32_e64 s[4:5], s41, v18
	v_mov_b64_e32 v[4:5], 0
	v_mov_b32_e32 v20, 0
	v_mov_b32_e32 v21, 0
	s_waitcnt lgkmcnt(0)
	v_mov_b64_e32 v[6:7], 0
	s_and_saveexec_b64 s[16:17], s[4:5]
	s_cbranch_execz .LBB1705_43
; %bb.42:
	v_lshlrev_b32_e32 v6, 1, v0
	global_load_ushort v21, v6, s[30:31] offset:1536
	global_load_ushort v27, v6, s[34:35] offset:1536
	v_mov_b32_e32 v19, 0
	v_lshl_add_u64 v[6:7], s[36:37], 0, v[18:19]
	s_waitcnt vmcnt(0)
	v_cmp_ne_u16_e32 vcc, v21, v27
	s_nop 1
	v_cndmask_b32_e64 v21, 0, 1, vcc
.LBB1705_43:
	s_or_b64 exec, exec, s[16:17]
	v_or_b32_e32 v18, 0x380, v0
	v_cmp_gt_u32_e32 vcc, s41, v18
	s_and_saveexec_b64 s[38:39], vcc
	s_cbranch_execnz .LBB1705_62
; %bb.44:
	s_or_b64 exec, exec, s[38:39]
	s_and_saveexec_b64 s[30:31], s[14:15]
	s_cbranch_execnz .LBB1705_63
.LBB1705_45:
	s_or_b64 exec, exec, s[30:31]
	s_and_saveexec_b64 s[16:17], s[12:13]
	s_cbranch_execnz .LBB1705_68
.LBB1705_46:
	s_or_b64 exec, exec, s[16:17]
	s_and_saveexec_b64 s[14:15], s[10:11]
	s_cbranch_execnz .LBB1705_73
.LBB1705_47:
	s_or_b64 exec, exec, s[14:15]
	s_and_saveexec_b64 s[12:13], s[8:9]
	s_cbranch_execnz .LBB1705_78
.LBB1705_48:
	s_or_b64 exec, exec, s[12:13]
	s_and_saveexec_b64 s[10:11], s[6:7]
	s_cbranch_execnz .LBB1705_83
.LBB1705_49:
	s_or_b64 exec, exec, s[10:11]
	s_and_saveexec_b64 s[8:9], s[4:5]
	s_cbranch_execnz .LBB1705_88
.LBB1705_50:
	s_or_b64 exec, exec, s[8:9]
	s_and_saveexec_b64 s[6:7], vcc
	s_cbranch_execnz .LBB1705_93
	s_branch .LBB1705_98
.LBB1705_51:
                                        ; implicit-def: $vgpr2_vgpr3
                                        ; implicit-def: $vgpr1
	s_cbranch_execz .LBB1705_214
; %bb.52:
	s_sub_i32 s30, s22, s30
	v_cmp_gt_u32_e32 vcc, s30, v0
	v_mov_b32_e32 v14, 0
	s_waitcnt lgkmcnt(1)
	v_mov_b64_e32 v[8:9], 0
	v_mov_b64_e32 v[2:3], 0
	v_mov_b32_e32 v1, 0
	s_and_saveexec_b64 s[4:5], vcc
	s_cbranch_execz .LBB1705_54
; %bb.53:
	v_lshlrev_b32_e32 v1, 1, v0
	global_load_ushort v4, v1, s[14:15]
	s_waitcnt lgkmcnt(0)
	global_load_ushort v5, v1, s[16:17]
	v_mov_b32_e32 v1, 0
	v_lshl_add_u64 v[2:3], s[28:29], 0, v[0:1]
	s_waitcnt vmcnt(0)
	v_cmp_ne_u16_e32 vcc, v4, v5
	s_nop 1
	v_cndmask_b32_e64 v1, 0, 1, vcc
.LBB1705_54:
	s_or_b64 exec, exec, s[4:5]
	v_or_b32_e32 v4, 0x80, v0
	v_cmp_gt_u32_e64 s[6:7], s30, v4
	s_and_saveexec_b64 s[4:5], s[6:7]
	s_cbranch_execz .LBB1705_56
; %bb.55:
	s_waitcnt lgkmcnt(0)
	v_lshlrev_b32_e32 v5, 1, v0
	global_load_ushort v6, v5, s[14:15] offset:256
	global_load_ushort v7, v5, s[16:17] offset:256
	v_mov_b32_e32 v5, 0
	v_lshl_add_u64 v[8:9], s[28:29], 0, v[4:5]
	s_waitcnt vmcnt(0)
	v_cmp_ne_u16_e32 vcc, v6, v7
	s_nop 1
	v_cndmask_b32_e64 v14, 0, 1, vcc
.LBB1705_56:
	s_or_b64 exec, exec, s[4:5]
	v_or_b32_e32 v10, 0x100, v0
	v_cmp_gt_u32_e64 s[4:5], s30, v10
	v_mov_b32_e32 v12, 0
	s_waitcnt lgkmcnt(0)
	v_mov_b64_e32 v[4:5], 0
	v_mov_b64_e32 v[6:7], 0
	v_mov_b32_e32 v13, 0
	s_and_saveexec_b64 s[8:9], s[4:5]
	s_cbranch_execz .LBB1705_58
; %bb.57:
	v_lshlrev_b32_e32 v6, 1, v0
	global_load_ushort v13, v6, s[14:15] offset:512
	global_load_ushort v15, v6, s[16:17] offset:512
	v_mov_b32_e32 v11, 0
	v_lshl_add_u64 v[6:7], s[28:29], 0, v[10:11]
	s_waitcnt vmcnt(0)
	v_cmp_ne_u16_e32 vcc, v13, v15
	s_nop 1
	v_cndmask_b32_e64 v13, 0, 1, vcc
.LBB1705_58:
	s_or_b64 exec, exec, s[8:9]
	v_or_b32_e32 v10, 0x180, v0
	v_cmp_gt_u32_e32 vcc, s30, v10
	s_and_saveexec_b64 s[10:11], vcc
	s_cbranch_execnz .LBB1705_151
; %bb.59:
	s_or_b64 exec, exec, s[10:11]
	s_and_saveexec_b64 s[10:11], s[6:7]
	s_cbranch_execnz .LBB1705_152
.LBB1705_60:
	s_or_b64 exec, exec, s[10:11]
	s_and_saveexec_b64 s[8:9], s[4:5]
	s_cbranch_execnz .LBB1705_157
.LBB1705_61:
	s_or_b64 exec, exec, s[8:9]
	s_and_saveexec_b64 s[6:7], vcc
	s_cbranch_execnz .LBB1705_162
	s_branch .LBB1705_167
.LBB1705_62:
	v_lshlrev_b32_e32 v4, 1, v0
	global_load_ushort v20, v4, s[30:31] offset:1792
	global_load_ushort v27, v4, s[34:35] offset:1792
	v_mov_b32_e32 v19, 0
	v_lshl_add_u64 v[4:5], s[36:37], 0, v[18:19]
	s_waitcnt vmcnt(0)
	v_cmp_ne_u16_e64 s[16:17], v20, v27
	s_nop 1
	v_cndmask_b32_e64 v20, 0, 1, s[16:17]
	s_or_b64 exec, exec, s[38:39]
	s_and_saveexec_b64 s[30:31], s[14:15]
	s_cbranch_execz .LBB1705_45
.LBB1705_63:
	v_and_b32_e32 v1, 1, v1
	v_cmp_eq_u32_e64 s[14:15], 1, v1
	v_and_b32_e32 v1, 1, v26
	v_cmp_eq_u32_e64 s[16:17], 1, v1
	s_and_b64 s[16:17], s[14:15], s[16:17]
	s_xor_b64 s[16:17], s[16:17], -1
                                        ; implicit-def: $vgpr1
	s_and_saveexec_b64 s[34:35], s[16:17]
	s_xor_b64 s[16:17], exec, s[34:35]
; %bb.64:
	v_and_b32_e32 v1, 0xffff, v26
	v_cndmask_b32_e64 v1, v1, 1, s[14:15]
	v_cndmask_b32_e64 v3, v17, v3, s[14:15]
	;; [unrolled: 1-line block ×3, first 2 shown]
                                        ; implicit-def: $vgpr16_vgpr17
; %bb.65:
	s_andn2_saveexec_b64 s[16:17], s[16:17]
; %bb.66:
	v_cmp_lt_i64_e64 s[14:15], v[16:17], v[2:3]
	v_mov_b32_e32 v1, 1
	s_nop 0
	v_cndmask_b32_e64 v3, v3, v17, s[14:15]
	v_cndmask_b32_e64 v2, v2, v16, s[14:15]
; %bb.67:
	s_or_b64 exec, exec, s[16:17]
	s_or_b64 exec, exec, s[30:31]
	s_and_saveexec_b64 s[16:17], s[12:13]
	s_cbranch_execz .LBB1705_46
.LBB1705_68:
	v_and_b32_e32 v1, 1, v1
	v_cmp_eq_u32_e64 s[12:13], 1, v1
	v_and_b32_e32 v1, 1, v25
	v_cmp_eq_u32_e64 s[14:15], 1, v1
	s_and_b64 s[14:15], s[12:13], s[14:15]
	s_xor_b64 s[14:15], s[14:15], -1
                                        ; implicit-def: $vgpr1
	s_and_saveexec_b64 s[30:31], s[14:15]
	s_xor_b64 s[14:15], exec, s[30:31]
; %bb.69:
	v_and_b32_e32 v1, 0xffff, v25
	v_cndmask_b32_e64 v1, v1, 1, s[12:13]
	v_cndmask_b32_e64 v3, v15, v3, s[12:13]
	;; [unrolled: 1-line block ×3, first 2 shown]
                                        ; implicit-def: $vgpr14_vgpr15
; %bb.70:
	s_andn2_saveexec_b64 s[14:15], s[14:15]
; %bb.71:
	v_cmp_lt_i64_e64 s[12:13], v[14:15], v[2:3]
	v_mov_b32_e32 v1, 1
	s_nop 0
	v_cndmask_b32_e64 v3, v3, v15, s[12:13]
	v_cndmask_b32_e64 v2, v2, v14, s[12:13]
; %bb.72:
	s_or_b64 exec, exec, s[14:15]
	s_or_b64 exec, exec, s[16:17]
	s_and_saveexec_b64 s[14:15], s[10:11]
	s_cbranch_execz .LBB1705_47
.LBB1705_73:
	v_and_b32_e32 v1, 1, v1
	v_cmp_eq_u32_e64 s[10:11], 1, v1
	v_and_b32_e32 v1, 1, v24
	v_cmp_eq_u32_e64 s[12:13], 1, v1
	s_and_b64 s[12:13], s[10:11], s[12:13]
	s_xor_b64 s[12:13], s[12:13], -1
                                        ; implicit-def: $vgpr1
	s_and_saveexec_b64 s[16:17], s[12:13]
	s_xor_b64 s[12:13], exec, s[16:17]
; %bb.74:
	v_and_b32_e32 v1, 0xffff, v24
	v_cndmask_b32_e64 v1, v1, 1, s[10:11]
	v_cndmask_b32_e64 v3, v13, v3, s[10:11]
	;; [unrolled: 1-line block ×3, first 2 shown]
                                        ; implicit-def: $vgpr12_vgpr13
; %bb.75:
	s_andn2_saveexec_b64 s[12:13], s[12:13]
; %bb.76:
	v_cmp_lt_i64_e64 s[10:11], v[12:13], v[2:3]
	v_mov_b32_e32 v1, 1
	s_nop 0
	v_cndmask_b32_e64 v3, v3, v13, s[10:11]
	v_cndmask_b32_e64 v2, v2, v12, s[10:11]
; %bb.77:
	s_or_b64 exec, exec, s[12:13]
	s_or_b64 exec, exec, s[14:15]
	s_and_saveexec_b64 s[12:13], s[8:9]
	s_cbranch_execz .LBB1705_48
.LBB1705_78:
	v_and_b32_e32 v1, 1, v1
	v_cmp_eq_u32_e64 s[8:9], 1, v1
	v_and_b32_e32 v1, 1, v23
	v_cmp_eq_u32_e64 s[10:11], 1, v1
	s_and_b64 s[10:11], s[8:9], s[10:11]
	s_xor_b64 s[10:11], s[10:11], -1
                                        ; implicit-def: $vgpr1
	s_and_saveexec_b64 s[14:15], s[10:11]
	s_xor_b64 s[10:11], exec, s[14:15]
; %bb.79:
	v_and_b32_e32 v1, 0xffff, v23
	v_cndmask_b32_e64 v1, v1, 1, s[8:9]
	v_cndmask_b32_e64 v3, v11, v3, s[8:9]
	;; [unrolled: 1-line block ×3, first 2 shown]
                                        ; implicit-def: $vgpr10_vgpr11
; %bb.80:
	s_andn2_saveexec_b64 s[10:11], s[10:11]
; %bb.81:
	v_cmp_lt_i64_e64 s[8:9], v[10:11], v[2:3]
	v_mov_b32_e32 v1, 1
	s_nop 0
	v_cndmask_b32_e64 v3, v3, v11, s[8:9]
	v_cndmask_b32_e64 v2, v2, v10, s[8:9]
; %bb.82:
	s_or_b64 exec, exec, s[10:11]
	s_or_b64 exec, exec, s[12:13]
	s_and_saveexec_b64 s[10:11], s[6:7]
	s_cbranch_execz .LBB1705_49
.LBB1705_83:
	v_and_b32_e32 v1, 1, v1
	v_cmp_eq_u32_e64 s[6:7], 1, v1
	v_and_b32_e32 v1, 1, v22
	v_cmp_eq_u32_e64 s[8:9], 1, v1
	s_and_b64 s[8:9], s[6:7], s[8:9]
	s_xor_b64 s[8:9], s[8:9], -1
                                        ; implicit-def: $vgpr1
	s_and_saveexec_b64 s[12:13], s[8:9]
	s_xor_b64 s[8:9], exec, s[12:13]
; %bb.84:
	v_and_b32_e32 v1, 0xffff, v22
	v_cndmask_b32_e64 v1, v1, 1, s[6:7]
	v_cndmask_b32_e64 v3, v9, v3, s[6:7]
	;; [unrolled: 1-line block ×3, first 2 shown]
                                        ; implicit-def: $vgpr8_vgpr9
; %bb.85:
	s_andn2_saveexec_b64 s[8:9], s[8:9]
; %bb.86:
	v_cmp_lt_i64_e64 s[6:7], v[8:9], v[2:3]
	v_mov_b32_e32 v1, 1
	s_nop 0
	v_cndmask_b32_e64 v3, v3, v9, s[6:7]
	v_cndmask_b32_e64 v2, v2, v8, s[6:7]
; %bb.87:
	s_or_b64 exec, exec, s[8:9]
	s_or_b64 exec, exec, s[10:11]
	s_and_saveexec_b64 s[8:9], s[4:5]
	s_cbranch_execz .LBB1705_50
.LBB1705_88:
	v_and_b32_e32 v1, 1, v1
	v_cmp_eq_u32_e64 s[4:5], 1, v1
	v_and_b32_e32 v1, 1, v21
	v_cmp_eq_u32_e64 s[6:7], 1, v1
	s_and_b64 s[6:7], s[4:5], s[6:7]
	s_xor_b64 s[6:7], s[6:7], -1
                                        ; implicit-def: $vgpr1
	s_and_saveexec_b64 s[10:11], s[6:7]
	s_xor_b64 s[6:7], exec, s[10:11]
; %bb.89:
	v_and_b32_e32 v1, 0xffff, v21
	v_cndmask_b32_e64 v1, v1, 1, s[4:5]
	v_cndmask_b32_e64 v3, v7, v3, s[4:5]
	;; [unrolled: 1-line block ×3, first 2 shown]
                                        ; implicit-def: $vgpr6_vgpr7
; %bb.90:
	s_andn2_saveexec_b64 s[6:7], s[6:7]
; %bb.91:
	v_cmp_lt_i64_e64 s[4:5], v[6:7], v[2:3]
	v_mov_b32_e32 v1, 1
	s_nop 0
	v_cndmask_b32_e64 v3, v3, v7, s[4:5]
	v_cndmask_b32_e64 v2, v2, v6, s[4:5]
; %bb.92:
	s_or_b64 exec, exec, s[6:7]
	s_or_b64 exec, exec, s[8:9]
	s_and_saveexec_b64 s[6:7], vcc
	s_cbranch_execz .LBB1705_98
.LBB1705_93:
	v_and_b32_e32 v1, 1, v1
	v_cmp_eq_u32_e32 vcc, 1, v1
	v_and_b32_e32 v1, 1, v20
	v_cmp_eq_u32_e64 s[4:5], 1, v1
	s_and_b64 s[4:5], vcc, s[4:5]
	s_xor_b64 s[4:5], s[4:5], -1
                                        ; implicit-def: $vgpr1
	s_and_saveexec_b64 s[8:9], s[4:5]
	s_xor_b64 s[4:5], exec, s[8:9]
; %bb.94:
	v_and_b32_e32 v1, 0xffff, v20
	v_cndmask_b32_e64 v1, v1, 1, vcc
	v_cndmask_b32_e32 v3, v5, v3, vcc
	v_cndmask_b32_e32 v2, v4, v2, vcc
                                        ; implicit-def: $vgpr4_vgpr5
; %bb.95:
	s_andn2_saveexec_b64 s[4:5], s[4:5]
; %bb.96:
	v_cmp_lt_i64_e32 vcc, v[4:5], v[2:3]
	v_mov_b32_e32 v1, 1
	s_nop 0
	v_cndmask_b32_e32 v3, v3, v5, vcc
	v_cndmask_b32_e32 v2, v2, v4, vcc
; %bb.97:
	s_or_b64 exec, exec, s[4:5]
.LBB1705_98:
	s_or_b64 exec, exec, s[6:7]
	v_mbcnt_lo_u32_b32 v4, -1, 0
	v_mbcnt_hi_u32_b32 v6, -1, v4
	v_and_b32_e32 v7, 63, v6
	v_cmp_ne_u32_e32 vcc, 63, v7
	s_min_u32 s8, s41, 0x80
	v_and_b32_e32 v8, 64, v0
	v_addc_co_u32_e32 v4, vcc, 0, v6, vcc
	v_lshlrev_b32_e32 v5, 2, v4
	ds_bpermute_b32 v9, v5, v1
	ds_bpermute_b32 v4, v5, v2
	ds_bpermute_b32 v5, v5, v3
	v_sub_u32_e64 v8, s8, v8 clamp
	v_add_u32_e32 v10, 1, v7
	v_cmp_lt_u32_e32 vcc, v10, v8
	s_and_saveexec_b64 s[4:5], vcc
	s_xor_b64 s[4:5], exec, s[4:5]
	s_cbranch_execz .LBB1705_104
; %bb.99:
	s_waitcnt lgkmcnt(2)
	v_and_b32_e32 v10, v9, v1
	v_cmp_ne_u32_e32 vcc, 0, v10
	s_and_saveexec_b64 s[6:7], vcc
	s_xor_b64 s[6:7], exec, s[6:7]
	s_cbranch_execz .LBB1705_101
; %bb.100:
	s_waitcnt lgkmcnt(0)
	v_cmp_lt_i64_e32 vcc, v[4:5], v[2:3]
                                        ; implicit-def: $vgpr1
                                        ; implicit-def: $vgpr9
	s_nop 1
	v_cndmask_b32_e32 v3, v3, v5, vcc
	v_cndmask_b32_e32 v2, v2, v4, vcc
                                        ; implicit-def: $vgpr4_vgpr5
.LBB1705_101:
	s_or_saveexec_b64 s[6:7], s[6:7]
	v_mov_b32_e32 v10, 1
	s_xor_b64 exec, exec, s[6:7]
	s_cbranch_execz .LBB1705_103
; %bb.102:
	v_and_b32_e32 v1, 1, v1
	v_cmp_eq_u32_e32 vcc, 1, v1
	v_and_b32_e32 v1, 0xff, v9
	s_waitcnt lgkmcnt(0)
	v_cndmask_b32_e32 v3, v5, v3, vcc
	v_cndmask_b32_e32 v2, v4, v2, vcc
	v_cndmask_b32_e64 v10, v1, 1, vcc
.LBB1705_103:
	s_or_b64 exec, exec, s[6:7]
	v_mov_b32_e32 v1, v10
.LBB1705_104:
	s_or_b64 exec, exec, s[4:5]
	v_cmp_gt_u32_e32 vcc, 62, v7
	v_add_u32_e32 v10, 2, v7
	s_waitcnt lgkmcnt(1)
	v_cndmask_b32_e64 v4, 0, 2, vcc
	s_waitcnt lgkmcnt(0)
	v_add_lshl_u32 v5, v4, v6, 2
	ds_bpermute_b32 v9, v5, v1
	ds_bpermute_b32 v4, v5, v2
	ds_bpermute_b32 v5, v5, v3
	v_cmp_lt_u32_e32 vcc, v10, v8
	s_and_saveexec_b64 s[4:5], vcc
	s_cbranch_execz .LBB1705_110
; %bb.105:
	s_waitcnt lgkmcnt(2)
	v_and_b32_e32 v10, v1, v9
	v_and_b32_e32 v10, 1, v10
	v_cmp_eq_u32_e32 vcc, 1, v10
	s_and_saveexec_b64 s[6:7], vcc
	s_xor_b64 s[6:7], exec, s[6:7]
	s_cbranch_execz .LBB1705_107
; %bb.106:
	s_waitcnt lgkmcnt(0)
	v_cmp_lt_i64_e32 vcc, v[4:5], v[2:3]
                                        ; implicit-def: $vgpr1
                                        ; implicit-def: $vgpr9
	s_nop 1
	v_cndmask_b32_e32 v3, v3, v5, vcc
	v_cndmask_b32_e32 v2, v2, v4, vcc
                                        ; implicit-def: $vgpr4_vgpr5
.LBB1705_107:
	s_or_saveexec_b64 s[6:7], s[6:7]
	v_mov_b32_e32 v10, 1
	s_xor_b64 exec, exec, s[6:7]
	s_cbranch_execz .LBB1705_109
; %bb.108:
	v_and_b32_e32 v1, 1, v1
	v_cmp_eq_u32_e32 vcc, 1, v1
	v_and_b32_e32 v1, 0xff, v9
	s_waitcnt lgkmcnt(0)
	v_cndmask_b32_e32 v3, v5, v3, vcc
	v_cndmask_b32_e32 v2, v4, v2, vcc
	v_cndmask_b32_e64 v10, v1, 1, vcc
.LBB1705_109:
	s_or_b64 exec, exec, s[6:7]
	v_mov_b32_e32 v1, v10
.LBB1705_110:
	s_or_b64 exec, exec, s[4:5]
	v_cmp_gt_u32_e32 vcc, 60, v7
	v_add_u32_e32 v10, 4, v7
	s_waitcnt lgkmcnt(1)
	v_cndmask_b32_e64 v4, 0, 4, vcc
	s_waitcnt lgkmcnt(0)
	v_add_lshl_u32 v5, v4, v6, 2
	ds_bpermute_b32 v9, v5, v1
	ds_bpermute_b32 v4, v5, v2
	ds_bpermute_b32 v5, v5, v3
	v_cmp_lt_u32_e32 vcc, v10, v8
	s_and_saveexec_b64 s[4:5], vcc
	s_cbranch_execz .LBB1705_116
; %bb.111:
	s_waitcnt lgkmcnt(2)
	v_and_b32_e32 v10, v1, v9
	v_and_b32_e32 v10, 1, v10
	v_cmp_eq_u32_e32 vcc, 1, v10
	s_and_saveexec_b64 s[6:7], vcc
	s_xor_b64 s[6:7], exec, s[6:7]
	s_cbranch_execz .LBB1705_113
; %bb.112:
	s_waitcnt lgkmcnt(0)
	v_cmp_lt_i64_e32 vcc, v[4:5], v[2:3]
                                        ; implicit-def: $vgpr1
                                        ; implicit-def: $vgpr9
	s_nop 1
	v_cndmask_b32_e32 v3, v3, v5, vcc
	v_cndmask_b32_e32 v2, v2, v4, vcc
                                        ; implicit-def: $vgpr4_vgpr5
.LBB1705_113:
	s_or_saveexec_b64 s[6:7], s[6:7]
	v_mov_b32_e32 v10, 1
	s_xor_b64 exec, exec, s[6:7]
	s_cbranch_execz .LBB1705_115
; %bb.114:
	v_and_b32_e32 v1, 1, v1
	v_cmp_eq_u32_e32 vcc, 1, v1
	v_and_b32_e32 v1, 0xff, v9
	s_waitcnt lgkmcnt(0)
	v_cndmask_b32_e32 v3, v5, v3, vcc
	v_cndmask_b32_e32 v2, v4, v2, vcc
	v_cndmask_b32_e64 v10, v1, 1, vcc
.LBB1705_115:
	s_or_b64 exec, exec, s[6:7]
	v_mov_b32_e32 v1, v10
.LBB1705_116:
	;; [unrolled: 47-line block ×4, first 2 shown]
	s_or_b64 exec, exec, s[4:5]
	s_waitcnt lgkmcnt(2)
	v_lshlrev_b32_e32 v9, 2, v6
	s_waitcnt lgkmcnt(0)
	v_or_b32_e32 v5, 0x80, v9
	ds_bpermute_b32 v10, v5, v1
	ds_bpermute_b32 v4, v5, v2
	;; [unrolled: 1-line block ×3, first 2 shown]
	v_add_u32_e32 v7, 32, v7
	v_cmp_lt_u32_e32 vcc, v7, v8
	v_mov_b32_e32 v7, v1
	s_and_saveexec_b64 s[4:5], vcc
	s_cbranch_execz .LBB1705_134
; %bb.129:
	s_waitcnt lgkmcnt(2)
	v_and_b32_e32 v7, v1, v10
	v_and_b32_e32 v7, 1, v7
	v_cmp_eq_u32_e32 vcc, 1, v7
	s_and_saveexec_b64 s[6:7], vcc
	s_xor_b64 s[6:7], exec, s[6:7]
	s_cbranch_execz .LBB1705_131
; %bb.130:
	s_waitcnt lgkmcnt(0)
	v_cmp_lt_i64_e32 vcc, v[4:5], v[2:3]
                                        ; implicit-def: $vgpr1
                                        ; implicit-def: $vgpr10
	s_nop 1
	v_cndmask_b32_e32 v3, v3, v5, vcc
	v_cndmask_b32_e32 v2, v2, v4, vcc
                                        ; implicit-def: $vgpr4_vgpr5
.LBB1705_131:
	s_or_saveexec_b64 s[6:7], s[6:7]
	v_mov_b32_e32 v7, 1
	s_xor_b64 exec, exec, s[6:7]
	s_cbranch_execz .LBB1705_133
; %bb.132:
	v_and_b32_e32 v1, 1, v1
	v_cmp_eq_u32_e32 vcc, 1, v1
	s_nop 1
	v_cndmask_b32_e64 v7, v10, 1, vcc
	s_waitcnt lgkmcnt(0)
	v_cndmask_b32_e32 v3, v5, v3, vcc
	v_cndmask_b32_e32 v2, v4, v2, vcc
.LBB1705_133:
	s_or_b64 exec, exec, s[6:7]
	v_and_b32_e32 v1, 0xff, v7
.LBB1705_134:
	s_or_b64 exec, exec, s[4:5]
	v_cmp_eq_u32_e32 vcc, 0, v6
	s_and_saveexec_b64 s[4:5], vcc
	s_cbranch_execz .LBB1705_136
; %bb.135:
	s_waitcnt lgkmcnt(1)
	v_lshrrev_b32_e32 v4, 2, v0
	v_and_b32_e32 v4, 16, v4
	ds_write_b8 v4, v7 offset:128
	ds_write_b64 v4, v[2:3] offset:136
.LBB1705_136:
	s_or_b64 exec, exec, s[4:5]
	v_cmp_gt_u32_e32 vcc, 2, v0
	s_waitcnt lgkmcnt(0)
	s_barrier
	s_and_saveexec_b64 s[4:5], vcc
	s_cbranch_execz .LBB1705_144
; %bb.137:
	v_lshlrev_b32_e32 v1, 4, v6
	ds_read_u8 v7, v1 offset:128
	ds_read_b64 v[2:3], v1 offset:136
	v_or_b32_e32 v5, 4, v9
	s_add_i32 s8, s8, 63
	v_and_b32_e32 v6, 1, v6
	s_waitcnt lgkmcnt(1)
	v_and_b32_e32 v1, 0xff, v7
	s_waitcnt lgkmcnt(0)
	ds_bpermute_b32 v4, v5, v2
	ds_bpermute_b32 v8, v5, v1
	;; [unrolled: 1-line block ×3, first 2 shown]
	s_lshr_b32 s6, s8, 6
	v_add_u32_e32 v6, 1, v6
	v_cmp_gt_u32_e32 vcc, s6, v6
	s_and_saveexec_b64 s[6:7], vcc
	s_cbranch_execz .LBB1705_143
; %bb.138:
	s_waitcnt lgkmcnt(1)
	v_and_b32_e32 v1, v1, v8
	v_and_b32_e32 v1, 1, v1
	v_cmp_eq_u32_e32 vcc, 1, v1
	s_and_saveexec_b64 s[8:9], vcc
	s_xor_b64 s[8:9], exec, s[8:9]
	s_cbranch_execz .LBB1705_140
; %bb.139:
	s_waitcnt lgkmcnt(0)
	v_cmp_lt_i64_e32 vcc, v[4:5], v[2:3]
                                        ; implicit-def: $vgpr7
                                        ; implicit-def: $vgpr8
	s_nop 1
	v_cndmask_b32_e32 v3, v3, v5, vcc
	v_cndmask_b32_e32 v2, v2, v4, vcc
                                        ; implicit-def: $vgpr4_vgpr5
.LBB1705_140:
	s_or_saveexec_b64 s[8:9], s[8:9]
	v_mov_b32_e32 v1, 1
	s_xor_b64 exec, exec, s[8:9]
	s_cbranch_execz .LBB1705_142
; %bb.141:
	v_and_b32_e32 v1, 1, v7
	v_cmp_eq_u32_e32 vcc, 1, v1
	s_waitcnt lgkmcnt(0)
	s_nop 0
	v_cndmask_b32_e32 v3, v5, v3, vcc
	v_cndmask_b32_e32 v2, v4, v2, vcc
	v_cndmask_b32_e64 v1, v8, 1, vcc
.LBB1705_142:
	s_or_b64 exec, exec, s[8:9]
.LBB1705_143:
	s_or_b64 exec, exec, s[6:7]
.LBB1705_144:
	s_or_b64 exec, exec, s[4:5]
.LBB1705_145:
	v_cmp_eq_u32_e32 vcc, 0, v0
	s_mov_b64 s[12:13], 0
                                        ; implicit-def: $vgpr4_vgpr5
                                        ; implicit-def: $vgpr6
	s_and_saveexec_b64 s[4:5], vcc
	s_xor_b64 s[8:9], exec, s[4:5]
	s_cbranch_execz .LBB1705_149
; %bb.146:
	s_cmp_eq_u64 s[22:23], 0
	s_waitcnt lgkmcnt(0)
	v_mov_b64_e32 v[4:5], s[18:19]
	v_mov_b32_e32 v6, s33
	s_cbranch_scc1 .LBB1705_148
; %bb.147:
	s_bitcmp1_b32 s33, 0
	v_and_b32_e32 v4, 1, v1
	v_cmp_eq_u32_e32 vcc, 1, v4
	v_cmp_gt_i64_e64 s[4:5], s[18:19], v[2:3]
	s_cselect_b64 s[6:7], -1, 0
	v_cndmask_b32_e64 v6, v1, 1, s[6:7]
	v_mov_b32_e32 v1, s18
	s_and_b64 vcc, vcc, s[4:5]
	v_mov_b32_e32 v4, s19
	v_cndmask_b32_e32 v1, v1, v2, vcc
	v_cndmask_b32_e32 v4, v4, v3, vcc
	v_cndmask_b32_e64 v5, v3, v4, s[6:7]
	v_cndmask_b32_e64 v4, v2, v1, s[6:7]
.LBB1705_148:
	s_mov_b64 s[12:13], exec
.LBB1705_149:
	s_or_b64 exec, exec, s[8:9]
	v_mov_b64_e32 v[2:3], s[2:3]
	s_and_b64 vcc, exec, s[28:29]
	s_cbranch_vccnz .LBB1705_16
.LBB1705_150:
	s_branch .LBB1705_306
.LBB1705_151:
	v_lshlrev_b32_e32 v4, 1, v0
	global_load_ushort v12, v4, s[14:15] offset:768
	global_load_ushort v15, v4, s[16:17] offset:768
	v_mov_b32_e32 v11, 0
	v_lshl_add_u64 v[4:5], s[28:29], 0, v[10:11]
	s_waitcnt vmcnt(0)
	v_cmp_ne_u16_e64 s[8:9], v12, v15
	s_nop 1
	v_cndmask_b32_e64 v12, 0, 1, s[8:9]
	s_or_b64 exec, exec, s[10:11]
	s_and_saveexec_b64 s[10:11], s[6:7]
	s_cbranch_execz .LBB1705_60
.LBB1705_152:
	v_and_b32_e32 v1, 1, v1
	v_cmp_eq_u32_e64 s[6:7], 1, v1
	v_and_b32_e32 v1, 1, v14
	v_cmp_eq_u32_e64 s[8:9], 1, v1
	s_and_b64 s[8:9], s[6:7], s[8:9]
	s_xor_b64 s[8:9], s[8:9], -1
                                        ; implicit-def: $vgpr1
	s_and_saveexec_b64 s[14:15], s[8:9]
	s_xor_b64 s[8:9], exec, s[14:15]
; %bb.153:
	v_and_b32_e32 v1, 0xffff, v14
	v_cndmask_b32_e64 v1, v1, 1, s[6:7]
	v_cndmask_b32_e64 v3, v9, v3, s[6:7]
	;; [unrolled: 1-line block ×3, first 2 shown]
                                        ; implicit-def: $vgpr8_vgpr9
; %bb.154:
	s_andn2_saveexec_b64 s[8:9], s[8:9]
; %bb.155:
	v_cmp_lt_i64_e64 s[6:7], v[8:9], v[2:3]
	v_mov_b32_e32 v1, 1
	s_nop 0
	v_cndmask_b32_e64 v3, v3, v9, s[6:7]
	v_cndmask_b32_e64 v2, v2, v8, s[6:7]
; %bb.156:
	s_or_b64 exec, exec, s[8:9]
	s_or_b64 exec, exec, s[10:11]
	s_and_saveexec_b64 s[8:9], s[4:5]
	s_cbranch_execz .LBB1705_61
.LBB1705_157:
	v_and_b32_e32 v1, 1, v1
	v_cmp_eq_u32_e64 s[4:5], 1, v1
	v_and_b32_e32 v1, 1, v13
	v_cmp_eq_u32_e64 s[6:7], 1, v1
	s_and_b64 s[6:7], s[4:5], s[6:7]
	s_xor_b64 s[6:7], s[6:7], -1
                                        ; implicit-def: $vgpr1
	s_and_saveexec_b64 s[10:11], s[6:7]
	s_xor_b64 s[6:7], exec, s[10:11]
; %bb.158:
	v_and_b32_e32 v1, 0xffff, v13
	v_cndmask_b32_e64 v1, v1, 1, s[4:5]
	v_cndmask_b32_e64 v3, v7, v3, s[4:5]
	;; [unrolled: 1-line block ×3, first 2 shown]
                                        ; implicit-def: $vgpr6_vgpr7
; %bb.159:
	s_andn2_saveexec_b64 s[6:7], s[6:7]
; %bb.160:
	v_cmp_lt_i64_e64 s[4:5], v[6:7], v[2:3]
	v_mov_b32_e32 v1, 1
	s_nop 0
	v_cndmask_b32_e64 v3, v3, v7, s[4:5]
	v_cndmask_b32_e64 v2, v2, v6, s[4:5]
; %bb.161:
	s_or_b64 exec, exec, s[6:7]
	s_or_b64 exec, exec, s[8:9]
	s_and_saveexec_b64 s[6:7], vcc
	s_cbranch_execz .LBB1705_167
.LBB1705_162:
	v_and_b32_e32 v1, 1, v1
	v_cmp_eq_u32_e32 vcc, 1, v1
	v_and_b32_e32 v1, 1, v12
	v_cmp_eq_u32_e64 s[4:5], 1, v1
	s_and_b64 s[4:5], vcc, s[4:5]
	s_xor_b64 s[4:5], s[4:5], -1
                                        ; implicit-def: $vgpr1
	s_and_saveexec_b64 s[8:9], s[4:5]
	s_xor_b64 s[4:5], exec, s[8:9]
; %bb.163:
	v_and_b32_e32 v1, 0xffff, v12
	v_cndmask_b32_e64 v1, v1, 1, vcc
	v_cndmask_b32_e32 v3, v5, v3, vcc
	v_cndmask_b32_e32 v2, v4, v2, vcc
                                        ; implicit-def: $vgpr4_vgpr5
; %bb.164:
	s_andn2_saveexec_b64 s[4:5], s[4:5]
; %bb.165:
	v_cmp_lt_i64_e32 vcc, v[4:5], v[2:3]
	v_mov_b32_e32 v1, 1
	s_nop 0
	v_cndmask_b32_e32 v3, v3, v5, vcc
	v_cndmask_b32_e32 v2, v2, v4, vcc
; %bb.166:
	s_or_b64 exec, exec, s[4:5]
.LBB1705_167:
	s_or_b64 exec, exec, s[6:7]
	v_mbcnt_lo_u32_b32 v4, -1, 0
	v_mbcnt_hi_u32_b32 v6, -1, v4
	v_and_b32_e32 v7, 63, v6
	v_cmp_ne_u32_e32 vcc, 63, v7
	s_min_u32 s8, s30, 0x80
	v_and_b32_e32 v8, 64, v0
	v_addc_co_u32_e32 v4, vcc, 0, v6, vcc
	v_lshlrev_b32_e32 v5, 2, v4
	ds_bpermute_b32 v9, v5, v1
	ds_bpermute_b32 v4, v5, v2
	;; [unrolled: 1-line block ×3, first 2 shown]
	v_sub_u32_e64 v8, s8, v8 clamp
	v_add_u32_e32 v10, 1, v7
	v_cmp_lt_u32_e32 vcc, v10, v8
	s_and_saveexec_b64 s[4:5], vcc
	s_xor_b64 s[4:5], exec, s[4:5]
	s_cbranch_execz .LBB1705_173
; %bb.168:
	s_waitcnt lgkmcnt(2)
	v_and_b32_e32 v10, v9, v1
	v_cmp_ne_u32_e32 vcc, 0, v10
	s_and_saveexec_b64 s[6:7], vcc
	s_xor_b64 s[6:7], exec, s[6:7]
	s_cbranch_execz .LBB1705_170
; %bb.169:
	s_waitcnt lgkmcnt(0)
	v_cmp_lt_i64_e32 vcc, v[4:5], v[2:3]
                                        ; implicit-def: $vgpr1
                                        ; implicit-def: $vgpr9
	s_nop 1
	v_cndmask_b32_e32 v3, v3, v5, vcc
	v_cndmask_b32_e32 v2, v2, v4, vcc
                                        ; implicit-def: $vgpr4_vgpr5
.LBB1705_170:
	s_or_saveexec_b64 s[6:7], s[6:7]
	v_mov_b32_e32 v10, 1
	s_xor_b64 exec, exec, s[6:7]
	s_cbranch_execz .LBB1705_172
; %bb.171:
	v_and_b32_e32 v1, 1, v1
	v_cmp_eq_u32_e32 vcc, 1, v1
	v_and_b32_e32 v1, 0xff, v9
	s_waitcnt lgkmcnt(0)
	v_cndmask_b32_e32 v3, v5, v3, vcc
	v_cndmask_b32_e32 v2, v4, v2, vcc
	v_cndmask_b32_e64 v10, v1, 1, vcc
.LBB1705_172:
	s_or_b64 exec, exec, s[6:7]
	v_mov_b32_e32 v1, v10
.LBB1705_173:
	s_or_b64 exec, exec, s[4:5]
	v_cmp_gt_u32_e32 vcc, 62, v7
	v_add_u32_e32 v10, 2, v7
	s_waitcnt lgkmcnt(1)
	v_cndmask_b32_e64 v4, 0, 2, vcc
	s_waitcnt lgkmcnt(0)
	v_add_lshl_u32 v5, v4, v6, 2
	ds_bpermute_b32 v9, v5, v1
	ds_bpermute_b32 v4, v5, v2
	ds_bpermute_b32 v5, v5, v3
	v_cmp_lt_u32_e32 vcc, v10, v8
	s_and_saveexec_b64 s[4:5], vcc
	s_cbranch_execz .LBB1705_179
; %bb.174:
	s_waitcnt lgkmcnt(2)
	v_and_b32_e32 v10, v1, v9
	v_and_b32_e32 v10, 1, v10
	v_cmp_eq_u32_e32 vcc, 1, v10
	s_and_saveexec_b64 s[6:7], vcc
	s_xor_b64 s[6:7], exec, s[6:7]
	s_cbranch_execz .LBB1705_176
; %bb.175:
	s_waitcnt lgkmcnt(0)
	v_cmp_lt_i64_e32 vcc, v[4:5], v[2:3]
                                        ; implicit-def: $vgpr1
                                        ; implicit-def: $vgpr9
	s_nop 1
	v_cndmask_b32_e32 v3, v3, v5, vcc
	v_cndmask_b32_e32 v2, v2, v4, vcc
                                        ; implicit-def: $vgpr4_vgpr5
.LBB1705_176:
	s_or_saveexec_b64 s[6:7], s[6:7]
	v_mov_b32_e32 v10, 1
	s_xor_b64 exec, exec, s[6:7]
	s_cbranch_execz .LBB1705_178
; %bb.177:
	v_and_b32_e32 v1, 1, v1
	v_cmp_eq_u32_e32 vcc, 1, v1
	v_and_b32_e32 v1, 0xff, v9
	s_waitcnt lgkmcnt(0)
	v_cndmask_b32_e32 v3, v5, v3, vcc
	v_cndmask_b32_e32 v2, v4, v2, vcc
	v_cndmask_b32_e64 v10, v1, 1, vcc
.LBB1705_178:
	s_or_b64 exec, exec, s[6:7]
	v_mov_b32_e32 v1, v10
.LBB1705_179:
	s_or_b64 exec, exec, s[4:5]
	v_cmp_gt_u32_e32 vcc, 60, v7
	v_add_u32_e32 v10, 4, v7
	s_waitcnt lgkmcnt(1)
	v_cndmask_b32_e64 v4, 0, 4, vcc
	s_waitcnt lgkmcnt(0)
	v_add_lshl_u32 v5, v4, v6, 2
	ds_bpermute_b32 v9, v5, v1
	ds_bpermute_b32 v4, v5, v2
	ds_bpermute_b32 v5, v5, v3
	v_cmp_lt_u32_e32 vcc, v10, v8
	s_and_saveexec_b64 s[4:5], vcc
	s_cbranch_execz .LBB1705_185
; %bb.180:
	s_waitcnt lgkmcnt(2)
	v_and_b32_e32 v10, v1, v9
	v_and_b32_e32 v10, 1, v10
	v_cmp_eq_u32_e32 vcc, 1, v10
	s_and_saveexec_b64 s[6:7], vcc
	s_xor_b64 s[6:7], exec, s[6:7]
	s_cbranch_execz .LBB1705_182
; %bb.181:
	s_waitcnt lgkmcnt(0)
	v_cmp_lt_i64_e32 vcc, v[4:5], v[2:3]
                                        ; implicit-def: $vgpr1
                                        ; implicit-def: $vgpr9
	s_nop 1
	v_cndmask_b32_e32 v3, v3, v5, vcc
	v_cndmask_b32_e32 v2, v2, v4, vcc
                                        ; implicit-def: $vgpr4_vgpr5
.LBB1705_182:
	s_or_saveexec_b64 s[6:7], s[6:7]
	v_mov_b32_e32 v10, 1
	s_xor_b64 exec, exec, s[6:7]
	s_cbranch_execz .LBB1705_184
; %bb.183:
	v_and_b32_e32 v1, 1, v1
	v_cmp_eq_u32_e32 vcc, 1, v1
	v_and_b32_e32 v1, 0xff, v9
	s_waitcnt lgkmcnt(0)
	v_cndmask_b32_e32 v3, v5, v3, vcc
	v_cndmask_b32_e32 v2, v4, v2, vcc
	v_cndmask_b32_e64 v10, v1, 1, vcc
.LBB1705_184:
	s_or_b64 exec, exec, s[6:7]
	v_mov_b32_e32 v1, v10
.LBB1705_185:
	;; [unrolled: 47-line block ×4, first 2 shown]
	s_or_b64 exec, exec, s[4:5]
	s_waitcnt lgkmcnt(2)
	v_lshlrev_b32_e32 v9, 2, v6
	s_waitcnt lgkmcnt(0)
	v_or_b32_e32 v5, 0x80, v9
	ds_bpermute_b32 v10, v5, v1
	ds_bpermute_b32 v4, v5, v2
	;; [unrolled: 1-line block ×3, first 2 shown]
	v_add_u32_e32 v7, 32, v7
	v_cmp_lt_u32_e32 vcc, v7, v8
	v_mov_b32_e32 v7, v1
	s_and_saveexec_b64 s[4:5], vcc
	s_cbranch_execz .LBB1705_203
; %bb.198:
	s_waitcnt lgkmcnt(2)
	v_and_b32_e32 v7, v1, v10
	v_and_b32_e32 v7, 1, v7
	v_cmp_eq_u32_e32 vcc, 1, v7
	s_and_saveexec_b64 s[6:7], vcc
	s_xor_b64 s[6:7], exec, s[6:7]
	s_cbranch_execz .LBB1705_200
; %bb.199:
	s_waitcnt lgkmcnt(0)
	v_cmp_lt_i64_e32 vcc, v[4:5], v[2:3]
                                        ; implicit-def: $vgpr1
                                        ; implicit-def: $vgpr10
	s_nop 1
	v_cndmask_b32_e32 v3, v3, v5, vcc
	v_cndmask_b32_e32 v2, v2, v4, vcc
                                        ; implicit-def: $vgpr4_vgpr5
.LBB1705_200:
	s_or_saveexec_b64 s[6:7], s[6:7]
	v_mov_b32_e32 v7, 1
	s_xor_b64 exec, exec, s[6:7]
	s_cbranch_execz .LBB1705_202
; %bb.201:
	v_and_b32_e32 v1, 1, v1
	v_cmp_eq_u32_e32 vcc, 1, v1
	s_nop 1
	v_cndmask_b32_e64 v7, v10, 1, vcc
	s_waitcnt lgkmcnt(0)
	v_cndmask_b32_e32 v3, v5, v3, vcc
	v_cndmask_b32_e32 v2, v4, v2, vcc
.LBB1705_202:
	s_or_b64 exec, exec, s[6:7]
	v_and_b32_e32 v1, 0xff, v7
.LBB1705_203:
	s_or_b64 exec, exec, s[4:5]
	v_cmp_eq_u32_e32 vcc, 0, v6
	s_and_saveexec_b64 s[4:5], vcc
	s_cbranch_execz .LBB1705_205
; %bb.204:
	s_waitcnt lgkmcnt(1)
	v_lshrrev_b32_e32 v4, 2, v0
	v_and_b32_e32 v4, 16, v4
	ds_write_b8 v4, v7 offset:128
	ds_write_b64 v4, v[2:3] offset:136
.LBB1705_205:
	s_or_b64 exec, exec, s[4:5]
	v_cmp_gt_u32_e32 vcc, 2, v0
	s_waitcnt lgkmcnt(0)
	s_barrier
	s_and_saveexec_b64 s[4:5], vcc
	s_cbranch_execz .LBB1705_213
; %bb.206:
	v_lshlrev_b32_e32 v1, 4, v6
	ds_read_u8 v7, v1 offset:128
	ds_read_b64 v[2:3], v1 offset:136
	v_or_b32_e32 v5, 4, v9
	s_add_i32 s8, s8, 63
	v_and_b32_e32 v6, 1, v6
	s_waitcnt lgkmcnt(1)
	v_and_b32_e32 v1, 0xff, v7
	s_waitcnt lgkmcnt(0)
	ds_bpermute_b32 v4, v5, v2
	ds_bpermute_b32 v8, v5, v1
	;; [unrolled: 1-line block ×3, first 2 shown]
	s_lshr_b32 s6, s8, 6
	v_add_u32_e32 v6, 1, v6
	v_cmp_gt_u32_e32 vcc, s6, v6
	s_and_saveexec_b64 s[6:7], vcc
	s_cbranch_execz .LBB1705_212
; %bb.207:
	s_waitcnt lgkmcnt(1)
	v_and_b32_e32 v1, v1, v8
	v_and_b32_e32 v1, 1, v1
	v_cmp_eq_u32_e32 vcc, 1, v1
	s_and_saveexec_b64 s[8:9], vcc
	s_xor_b64 s[8:9], exec, s[8:9]
	s_cbranch_execz .LBB1705_209
; %bb.208:
	s_waitcnt lgkmcnt(0)
	v_cmp_lt_i64_e32 vcc, v[4:5], v[2:3]
                                        ; implicit-def: $vgpr7
                                        ; implicit-def: $vgpr8
	s_nop 1
	v_cndmask_b32_e32 v3, v3, v5, vcc
	v_cndmask_b32_e32 v2, v2, v4, vcc
                                        ; implicit-def: $vgpr4_vgpr5
.LBB1705_209:
	s_or_saveexec_b64 s[8:9], s[8:9]
	v_mov_b32_e32 v1, 1
	s_xor_b64 exec, exec, s[8:9]
	s_cbranch_execz .LBB1705_211
; %bb.210:
	v_and_b32_e32 v1, 1, v7
	v_cmp_eq_u32_e32 vcc, 1, v1
	s_waitcnt lgkmcnt(0)
	s_nop 0
	v_cndmask_b32_e32 v3, v5, v3, vcc
	v_cndmask_b32_e32 v2, v4, v2, vcc
	v_cndmask_b32_e64 v1, v8, 1, vcc
.LBB1705_211:
	s_or_b64 exec, exec, s[8:9]
.LBB1705_212:
	s_or_b64 exec, exec, s[6:7]
.LBB1705_213:
	s_or_b64 exec, exec, s[4:5]
.LBB1705_214:
	v_cmp_eq_u32_e32 vcc, 0, v0
                                        ; implicit-def: $vgpr4_vgpr5
                                        ; implicit-def: $vgpr6
	s_and_saveexec_b64 s[4:5], vcc
	s_xor_b64 s[8:9], exec, s[4:5]
	s_cbranch_execz .LBB1705_218
; %bb.215:
	s_cmp_eq_u64 s[22:23], 0
	s_waitcnt lgkmcnt(0)
	v_mov_b64_e32 v[4:5], s[18:19]
	v_mov_b32_e32 v6, s33
	s_cbranch_scc1 .LBB1705_217
; %bb.216:
	s_bitcmp1_b32 s33, 0
	v_and_b32_e32 v4, 1, v1
	v_cmp_eq_u32_e32 vcc, 1, v4
	v_cmp_gt_i64_e64 s[4:5], s[18:19], v[2:3]
	s_cselect_b64 s[6:7], -1, 0
	v_cndmask_b32_e64 v6, v1, 1, s[6:7]
	v_mov_b32_e32 v1, s18
	s_and_b64 vcc, vcc, s[4:5]
	v_mov_b32_e32 v4, s19
	v_cndmask_b32_e32 v1, v1, v2, vcc
	v_cndmask_b32_e32 v4, v4, v3, vcc
	v_cndmask_b32_e64 v5, v3, v4, s[6:7]
	v_cndmask_b32_e64 v4, v2, v1, s[6:7]
.LBB1705_217:
	s_or_b64 s[12:13], s[12:13], exec
.LBB1705_218:
	s_or_b64 exec, exec, s[8:9]
	v_mov_b64_e32 v[2:3], s[2:3]
	s_branch .LBB1705_306
.LBB1705_219:
	s_cmp_gt_i32 s40, 1
	s_cbranch_scc0 .LBB1705_231
; %bb.220:
	s_cmp_eq_u32 s40, 2
	s_cbranch_scc0 .LBB1705_232
; %bb.221:
	s_mov_b32 s3, 0
	s_lshl_b32 s30, s2, 8
	s_mov_b32 s31, s3
	s_lshr_b64 s[4:5], s[22:23], 8
	s_lshl_b64 s[6:7], s[30:31], 1
	s_add_u32 s14, s24, s6
	s_addc_u32 s15, s25, s7
	s_add_u32 s16, s26, s6
	s_addc_u32 s17, s27, s7
	;; [unrolled: 2-line block ×3, first 2 shown]
	s_cmp_lg_u64 s[4:5], s[2:3]
	s_cbranch_scc0 .LBB1705_233
; %bb.222:
	v_lshlrev_b32_e32 v1, 1, v0
	s_waitcnt lgkmcnt(0)
	global_load_ushort v7, v1, s[16:17]
	global_load_ushort v8, v1, s[16:17] offset:256
	global_load_ushort v9, v1, s[14:15] offset:256
	global_load_ushort v10, v1, s[14:15]
	v_mov_b32_e32 v1, 0
	s_mov_b64 s[4:5], 0x80
	v_mbcnt_lo_u32_b32 v4, -1, 0
	v_lshl_add_u64 v[2:3], s[28:29], 0, v[0:1]
	v_mbcnt_hi_u32_b32 v1, -1, v4
	v_lshl_add_u64 v[4:5], v[2:3], 0, s[4:5]
	v_lshlrev_b32_e32 v6, 2, v1
	v_or_b32_e32 v11, 0xfc, v6
	s_waitcnt vmcnt(1)
	v_cmp_ne_u16_e32 vcc, v9, v8
	s_waitcnt vmcnt(0)
	v_cmp_ne_u16_e64 s[4:5], v10, v7
	s_nop 1
	v_cndmask_b32_e64 v3, v5, v3, s[4:5]
	v_cndmask_b32_e64 v2, v4, v2, s[4:5]
	s_or_b64 s[4:5], s[4:5], vcc
	v_cndmask_b32_e64 v7, 0, 1, s[4:5]
	v_mov_b32_dpp v5, v3 quad_perm:[1,0,3,2] row_mask:0xf bank_mask:0xf bound_ctrl:1
	v_mov_b32_dpp v4, v2 quad_perm:[1,0,3,2] row_mask:0xf bank_mask:0xf bound_ctrl:1
	v_mov_b32_dpp v8, v7 quad_perm:[1,0,3,2] row_mask:0xf bank_mask:0xf bound_ctrl:1
	v_cmp_lt_i64_e32 vcc, v[2:3], v[4:5]
	v_and_b32_e32 v8, 1, v8
	s_and_b64 vcc, s[4:5], vcc
	v_cndmask_b32_e32 v4, v4, v2, vcc
	v_cndmask_b32_e32 v5, v5, v3, vcc
	v_cmp_eq_u32_e32 vcc, 1, v8
	s_nop 1
	v_cndmask_b32_e32 v3, v3, v5, vcc
	v_cndmask_b32_e32 v2, v2, v4, vcc
	v_cndmask_b32_e64 v7, v7, 1, vcc
	v_mov_b32_dpp v5, v3 quad_perm:[2,3,0,1] row_mask:0xf bank_mask:0xf bound_ctrl:1
	v_mov_b32_dpp v4, v2 quad_perm:[2,3,0,1] row_mask:0xf bank_mask:0xf bound_ctrl:1
	v_and_b32_e32 v9, 1, v7
	v_mov_b32_dpp v8, v7 quad_perm:[2,3,0,1] row_mask:0xf bank_mask:0xf bound_ctrl:1
	v_cmp_eq_u32_e32 vcc, 1, v9
	v_cmp_lt_i64_e64 s[4:5], v[2:3], v[4:5]
	v_and_b32_e32 v8, 1, v8
	s_and_b64 vcc, vcc, s[4:5]
	v_cmp_eq_u32_e64 s[6:7], 1, v8
	v_cndmask_b32_e32 v4, v4, v2, vcc
	v_cndmask_b32_e32 v5, v5, v3, vcc
	v_cndmask_b32_e64 v7, v7, 1, s[6:7]
	v_cndmask_b32_e64 v2, v2, v4, s[6:7]
	;; [unrolled: 1-line block ×3, first 2 shown]
	v_and_b32_e32 v9, 1, v7
	v_mov_b32_dpp v4, v2 row_ror:4 row_mask:0xf bank_mask:0xf bound_ctrl:1
	v_mov_b32_dpp v5, v3 row_ror:4 row_mask:0xf bank_mask:0xf bound_ctrl:1
	;; [unrolled: 1-line block ×3, first 2 shown]
	v_cmp_eq_u32_e32 vcc, 1, v9
	v_cmp_lt_i64_e64 s[6:7], v[2:3], v[4:5]
	v_and_b32_e32 v8, 1, v8
	s_and_b64 vcc, vcc, s[6:7]
	v_cmp_eq_u32_e64 s[4:5], 1, v8
	v_cndmask_b32_e32 v4, v4, v2, vcc
	v_cndmask_b32_e32 v5, v5, v3, vcc
	v_cndmask_b32_e64 v7, v7, 1, s[4:5]
	v_cndmask_b32_e64 v2, v2, v4, s[4:5]
	;; [unrolled: 1-line block ×3, first 2 shown]
	v_and_b32_e32 v9, 1, v7
	v_mov_b32_dpp v4, v2 row_ror:8 row_mask:0xf bank_mask:0xf bound_ctrl:1
	v_mov_b32_dpp v5, v3 row_ror:8 row_mask:0xf bank_mask:0xf bound_ctrl:1
	;; [unrolled: 1-line block ×3, first 2 shown]
	v_cmp_eq_u32_e64 s[6:7], 1, v9
	v_cmp_lt_i64_e64 s[8:9], v[2:3], v[4:5]
	v_and_b32_e32 v8, 1, v8
	s_and_b64 s[6:7], s[6:7], s[8:9]
	v_cmp_eq_u32_e32 vcc, 1, v8
	v_cndmask_b32_e64 v4, v4, v2, s[6:7]
	v_cndmask_b32_e64 v5, v5, v3, s[6:7]
	v_cndmask_b32_e64 v7, v7, 1, vcc
	v_cndmask_b32_e32 v2, v2, v4, vcc
	v_cndmask_b32_e32 v3, v3, v5, vcc
	v_and_b32_e32 v9, 1, v7
	v_mov_b32_dpp v4, v2 row_bcast:15 row_mask:0xf bank_mask:0xf bound_ctrl:1
	v_mov_b32_dpp v5, v3 row_bcast:15 row_mask:0xf bank_mask:0xf bound_ctrl:1
	;; [unrolled: 1-line block ×3, first 2 shown]
	v_cmp_eq_u32_e64 s[4:5], 1, v9
	v_cmp_lt_i64_e64 s[8:9], v[2:3], v[4:5]
	v_and_b32_e32 v8, 1, v8
	s_and_b64 s[4:5], s[4:5], s[8:9]
	v_cmp_eq_u32_e64 s[10:11], 1, v8
	v_cndmask_b32_e64 v4, v4, v2, s[4:5]
	v_cndmask_b32_e64 v5, v5, v3, s[4:5]
	;; [unrolled: 1-line block ×5, first 2 shown]
	v_and_b32_e32 v9, 1, v7
	v_mov_b32_dpp v4, v2 row_bcast:31 row_mask:0xf bank_mask:0xf bound_ctrl:1
	v_mov_b32_dpp v5, v3 row_bcast:31 row_mask:0xf bank_mask:0xf bound_ctrl:1
	;; [unrolled: 1-line block ×3, first 2 shown]
	v_cmp_eq_u32_e64 s[6:7], 1, v9
	v_cmp_lt_i64_e64 s[4:5], v[2:3], v[4:5]
	v_and_b32_e32 v8, 1, v8
	s_and_b64 s[4:5], s[6:7], s[4:5]
	v_cmp_eq_u32_e32 vcc, 1, v8
	v_cndmask_b32_e64 v4, v4, v2, s[4:5]
	v_cndmask_b32_e64 v5, v5, v3, s[4:5]
	v_cndmask_b32_e64 v7, v7, 1, vcc
	v_cndmask_b32_e32 v2, v2, v4, vcc
	v_cndmask_b32_e32 v3, v3, v5, vcc
	ds_bpermute_b32 v8, v11, v7
	ds_bpermute_b32 v2, v11, v2
	;; [unrolled: 1-line block ×3, first 2 shown]
	v_cmp_eq_u32_e32 vcc, 0, v1
	s_and_saveexec_b64 s[4:5], vcc
	s_cbranch_execz .LBB1705_224
; %bb.223:
	v_lshrrev_b32_e32 v4, 2, v0
	v_and_b32_e32 v4, 16, v4
	s_waitcnt lgkmcnt(2)
	ds_write_b8 v4, v8 offset:32
	s_waitcnt lgkmcnt(1)
	ds_write_b64 v4, v[2:3] offset:40
.LBB1705_224:
	s_or_b64 exec, exec, s[4:5]
	v_cmp_gt_u32_e32 vcc, 64, v0
	s_waitcnt lgkmcnt(0)
	s_barrier
	s_and_saveexec_b64 s[4:5], vcc
	s_cbranch_execz .LBB1705_230
; %bb.225:
	v_and_b32_e32 v1, 1, v1
	v_lshlrev_b32_e32 v2, 4, v1
	ds_read_u8 v1, v2 offset:32
	ds_read_b64 v[4:5], v2 offset:40
	v_or_b32_e32 v3, 4, v6
	s_waitcnt lgkmcnt(1)
	v_and_b32_e32 v2, 0xff, v1
	ds_bpermute_b32 v9, v3, v2
	s_waitcnt lgkmcnt(1)
	ds_bpermute_b32 v6, v3, v4
	ds_bpermute_b32 v7, v3, v5
	s_waitcnt lgkmcnt(2)
	v_and_b32_e32 v2, v1, v9
	v_and_b32_e32 v2, 1, v2
	v_cmp_eq_u32_e32 vcc, 1, v2
                                        ; implicit-def: $vgpr2_vgpr3
	s_and_saveexec_b64 s[6:7], vcc
	s_xor_b64 s[6:7], exec, s[6:7]
	s_cbranch_execz .LBB1705_227
; %bb.226:
	s_waitcnt lgkmcnt(0)
	v_cmp_lt_i64_e32 vcc, v[6:7], v[4:5]
                                        ; implicit-def: $vgpr1
                                        ; implicit-def: $vgpr9
	s_nop 1
	v_cndmask_b32_e32 v3, v5, v7, vcc
	v_cndmask_b32_e32 v2, v4, v6, vcc
                                        ; implicit-def: $vgpr6_vgpr7
                                        ; implicit-def: $vgpr4_vgpr5
.LBB1705_227:
	s_or_saveexec_b64 s[6:7], s[6:7]
	v_mov_b32_e32 v8, 1
	s_xor_b64 exec, exec, s[6:7]
	s_cbranch_execz .LBB1705_229
; %bb.228:
	v_and_b32_e32 v1, 1, v1
	v_cmp_eq_u32_e32 vcc, 1, v1
	s_waitcnt lgkmcnt(0)
	s_nop 0
	v_cndmask_b32_e32 v3, v7, v5, vcc
	v_cndmask_b32_e32 v2, v6, v4, vcc
	v_cndmask_b32_e64 v8, v9, 1, vcc
.LBB1705_229:
	s_or_b64 exec, exec, s[6:7]
.LBB1705_230:
	s_or_b64 exec, exec, s[4:5]
	s_branch .LBB1705_285
.LBB1705_231:
                                        ; implicit-def: $vgpr4_vgpr5
                                        ; implicit-def: $vgpr6
                                        ; implicit-def: $vgpr2_vgpr3
	s_cbranch_execnz .LBB1705_290
	s_branch .LBB1705_306
.LBB1705_232:
                                        ; implicit-def: $vgpr4_vgpr5
                                        ; implicit-def: $vgpr6
                                        ; implicit-def: $vgpr2_vgpr3
	s_branch .LBB1705_306
.LBB1705_233:
                                        ; implicit-def: $vgpr2_vgpr3
                                        ; implicit-def: $vgpr8
	s_cbranch_execz .LBB1705_285
; %bb.234:
	s_sub_i32 s10, s22, s30
	v_cmp_gt_u32_e32 vcc, s10, v0
	s_waitcnt lgkmcnt(0)
	v_mov_b32_e32 v7, 0
	v_mov_b64_e32 v[4:5], 0
	v_mov_b64_e32 v[2:3], 0
	v_mov_b32_e32 v1, 0
	s_and_saveexec_b64 s[4:5], vcc
	s_cbranch_execz .LBB1705_236
; %bb.235:
	v_lshlrev_b32_e32 v1, 1, v0
	global_load_ushort v6, v1, s[14:15]
	global_load_ushort v8, v1, s[16:17]
	v_mov_b32_e32 v1, 0
	v_lshl_add_u64 v[2:3], s[28:29], 0, v[0:1]
	s_waitcnt vmcnt(0)
	v_cmp_ne_u16_e32 vcc, v6, v8
	s_nop 1
	v_cndmask_b32_e64 v1, 0, 1, vcc
.LBB1705_236:
	s_or_b64 exec, exec, s[4:5]
	v_or_b32_e32 v6, 0x80, v0
	v_cmp_gt_u32_e32 vcc, s10, v6
	s_and_saveexec_b64 s[6:7], vcc
	s_cbranch_execz .LBB1705_238
; %bb.237:
	v_lshlrev_b32_e32 v4, 1, v0
	global_load_ushort v8, v4, s[14:15] offset:256
	global_load_ushort v9, v4, s[16:17] offset:256
	v_mov_b32_e32 v7, 0
	v_lshl_add_u64 v[4:5], s[28:29], 0, v[6:7]
	s_waitcnt vmcnt(0)
	v_cmp_ne_u16_e64 s[4:5], v8, v9
	s_nop 1
	v_cndmask_b32_e64 v7, 0, 1, s[4:5]
.LBB1705_238:
	s_or_b64 exec, exec, s[6:7]
	v_and_b32_e32 v8, 0xffff, v7
	v_and_b32_e32 v7, 1, v7
	;; [unrolled: 1-line block ×3, first 2 shown]
	v_cmp_eq_u32_e64 s[4:5], 1, v7
	v_and_b32_e32 v1, 1, v1
	v_cmp_lt_i64_e64 s[6:7], v[4:5], v[2:3]
	v_cmp_eq_u32_e64 s[8:9], 1, v1
	s_and_b64 s[4:5], s[4:5], s[6:7]
	v_cndmask_b32_e64 v7, v3, v5, s[4:5]
	v_cndmask_b32_e64 v1, v8, 1, s[8:9]
	;; [unrolled: 1-line block ×4, first 2 shown]
	v_cndmask_b32_e32 v8, v6, v1, vcc
	v_mbcnt_lo_u32_b32 v1, -1, 0
	v_mbcnt_hi_u32_b32 v1, -1, v1
	v_cndmask_b32_e64 v5, v5, v7, s[8:9]
	v_and_b32_e32 v6, 63, v1
	v_cndmask_b32_e32 v3, v3, v5, vcc
	v_cndmask_b32_e32 v2, v2, v4, vcc
	v_cmp_ne_u32_e32 vcc, 63, v6
	s_min_u32 s8, s10, 0x80
	v_and_b32_e32 v7, 64, v0
	v_addc_co_u32_e32 v4, vcc, 0, v1, vcc
	v_lshlrev_b32_e32 v5, 2, v4
	ds_bpermute_b32 v9, v5, v8
	ds_bpermute_b32 v4, v5, v2
	ds_bpermute_b32 v5, v5, v3
	v_sub_u32_e64 v7, s8, v7 clamp
	v_add_u32_e32 v10, 1, v6
	v_cmp_lt_u32_e32 vcc, v10, v7
	s_and_saveexec_b64 s[4:5], vcc
	s_cbranch_execz .LBB1705_244
; %bb.239:
	s_waitcnt lgkmcnt(2)
	v_and_b32_e32 v10, v9, v8
	v_cmp_ne_u32_e32 vcc, 0, v10
	s_and_saveexec_b64 s[6:7], vcc
	s_xor_b64 s[6:7], exec, s[6:7]
	s_cbranch_execz .LBB1705_241
; %bb.240:
	s_waitcnt lgkmcnt(0)
	v_cmp_lt_i64_e32 vcc, v[4:5], v[2:3]
                                        ; implicit-def: $vgpr8
                                        ; implicit-def: $vgpr9
	s_nop 1
	v_cndmask_b32_e32 v3, v3, v5, vcc
	v_cndmask_b32_e32 v2, v2, v4, vcc
                                        ; implicit-def: $vgpr4_vgpr5
.LBB1705_241:
	s_or_saveexec_b64 s[6:7], s[6:7]
	v_mov_b32_e32 v10, 1
	s_xor_b64 exec, exec, s[6:7]
	s_cbranch_execz .LBB1705_243
; %bb.242:
	v_and_b32_e32 v8, 1, v8
	v_cmp_eq_u32_e32 vcc, 1, v8
	s_waitcnt lgkmcnt(1)
	s_nop 0
	v_cndmask_b32_e32 v2, v4, v2, vcc
	v_and_b32_e32 v4, 0xff, v9
	s_waitcnt lgkmcnt(0)
	v_cndmask_b32_e32 v3, v5, v3, vcc
	v_cndmask_b32_e64 v10, v4, 1, vcc
.LBB1705_243:
	s_or_b64 exec, exec, s[6:7]
	v_mov_b32_e32 v8, v10
.LBB1705_244:
	s_or_b64 exec, exec, s[4:5]
	v_cmp_gt_u32_e32 vcc, 62, v6
	v_add_u32_e32 v10, 2, v6
	s_waitcnt lgkmcnt(1)
	v_cndmask_b32_e64 v4, 0, 2, vcc
	s_waitcnt lgkmcnt(0)
	v_add_lshl_u32 v5, v4, v1, 2
	ds_bpermute_b32 v9, v5, v8
	ds_bpermute_b32 v4, v5, v2
	ds_bpermute_b32 v5, v5, v3
	v_cmp_lt_u32_e32 vcc, v10, v7
	s_and_saveexec_b64 s[4:5], vcc
	s_cbranch_execz .LBB1705_250
; %bb.245:
	s_waitcnt lgkmcnt(2)
	v_and_b32_e32 v10, v8, v9
	v_and_b32_e32 v10, 1, v10
	v_cmp_eq_u32_e32 vcc, 1, v10
	s_and_saveexec_b64 s[6:7], vcc
	s_xor_b64 s[6:7], exec, s[6:7]
	s_cbranch_execz .LBB1705_247
; %bb.246:
	s_waitcnt lgkmcnt(0)
	v_cmp_lt_i64_e32 vcc, v[4:5], v[2:3]
                                        ; implicit-def: $vgpr8
                                        ; implicit-def: $vgpr9
	s_nop 1
	v_cndmask_b32_e32 v3, v3, v5, vcc
	v_cndmask_b32_e32 v2, v2, v4, vcc
                                        ; implicit-def: $vgpr4_vgpr5
.LBB1705_247:
	s_or_saveexec_b64 s[6:7], s[6:7]
	v_mov_b32_e32 v10, 1
	s_xor_b64 exec, exec, s[6:7]
	s_cbranch_execz .LBB1705_249
; %bb.248:
	v_and_b32_e32 v8, 1, v8
	v_cmp_eq_u32_e32 vcc, 1, v8
	s_waitcnt lgkmcnt(1)
	s_nop 0
	v_cndmask_b32_e32 v2, v4, v2, vcc
	v_and_b32_e32 v4, 0xff, v9
	s_waitcnt lgkmcnt(0)
	v_cndmask_b32_e32 v3, v5, v3, vcc
	v_cndmask_b32_e64 v10, v4, 1, vcc
.LBB1705_249:
	s_or_b64 exec, exec, s[6:7]
	v_mov_b32_e32 v8, v10
.LBB1705_250:
	s_or_b64 exec, exec, s[4:5]
	v_cmp_gt_u32_e32 vcc, 60, v6
	v_add_u32_e32 v10, 4, v6
	s_waitcnt lgkmcnt(1)
	v_cndmask_b32_e64 v4, 0, 4, vcc
	s_waitcnt lgkmcnt(0)
	v_add_lshl_u32 v5, v4, v1, 2
	ds_bpermute_b32 v9, v5, v8
	ds_bpermute_b32 v4, v5, v2
	ds_bpermute_b32 v5, v5, v3
	v_cmp_lt_u32_e32 vcc, v10, v7
	s_and_saveexec_b64 s[4:5], vcc
	s_cbranch_execz .LBB1705_256
; %bb.251:
	s_waitcnt lgkmcnt(2)
	v_and_b32_e32 v10, v8, v9
	v_and_b32_e32 v10, 1, v10
	v_cmp_eq_u32_e32 vcc, 1, v10
	s_and_saveexec_b64 s[6:7], vcc
	s_xor_b64 s[6:7], exec, s[6:7]
	s_cbranch_execz .LBB1705_253
; %bb.252:
	s_waitcnt lgkmcnt(0)
	v_cmp_lt_i64_e32 vcc, v[4:5], v[2:3]
                                        ; implicit-def: $vgpr8
                                        ; implicit-def: $vgpr9
	s_nop 1
	v_cndmask_b32_e32 v3, v3, v5, vcc
	v_cndmask_b32_e32 v2, v2, v4, vcc
                                        ; implicit-def: $vgpr4_vgpr5
.LBB1705_253:
	s_or_saveexec_b64 s[6:7], s[6:7]
	v_mov_b32_e32 v10, 1
	s_xor_b64 exec, exec, s[6:7]
	s_cbranch_execz .LBB1705_255
; %bb.254:
	v_and_b32_e32 v8, 1, v8
	v_cmp_eq_u32_e32 vcc, 1, v8
	s_waitcnt lgkmcnt(1)
	s_nop 0
	v_cndmask_b32_e32 v2, v4, v2, vcc
	v_and_b32_e32 v4, 0xff, v9
	s_waitcnt lgkmcnt(0)
	v_cndmask_b32_e32 v3, v5, v3, vcc
	v_cndmask_b32_e64 v10, v4, 1, vcc
.LBB1705_255:
	s_or_b64 exec, exec, s[6:7]
	v_mov_b32_e32 v8, v10
.LBB1705_256:
	;; [unrolled: 49-line block ×4, first 2 shown]
	s_or_b64 exec, exec, s[4:5]
	s_waitcnt lgkmcnt(2)
	v_lshlrev_b32_e32 v9, 2, v1
	s_waitcnt lgkmcnt(0)
	v_or_b32_e32 v5, 0x80, v9
	ds_bpermute_b32 v10, v5, v8
	ds_bpermute_b32 v4, v5, v2
	;; [unrolled: 1-line block ×3, first 2 shown]
	v_add_u32_e32 v6, 32, v6
	v_cmp_lt_u32_e32 vcc, v6, v7
	v_mov_b32_e32 v6, v8
	s_and_saveexec_b64 s[4:5], vcc
	s_cbranch_execz .LBB1705_274
; %bb.269:
	s_waitcnt lgkmcnt(2)
	v_and_b32_e32 v6, v8, v10
	v_and_b32_e32 v6, 1, v6
	v_cmp_eq_u32_e32 vcc, 1, v6
	s_and_saveexec_b64 s[6:7], vcc
	s_xor_b64 s[6:7], exec, s[6:7]
	s_cbranch_execz .LBB1705_271
; %bb.270:
	s_waitcnt lgkmcnt(0)
	v_cmp_lt_i64_e32 vcc, v[4:5], v[2:3]
                                        ; implicit-def: $vgpr8
                                        ; implicit-def: $vgpr10
	s_nop 1
	v_cndmask_b32_e32 v3, v3, v5, vcc
	v_cndmask_b32_e32 v2, v2, v4, vcc
                                        ; implicit-def: $vgpr4_vgpr5
.LBB1705_271:
	s_or_saveexec_b64 s[6:7], s[6:7]
	v_mov_b32_e32 v6, 1
	s_xor_b64 exec, exec, s[6:7]
	s_cbranch_execz .LBB1705_273
; %bb.272:
	v_and_b32_e32 v6, 1, v8
	v_cmp_eq_u32_e32 vcc, 1, v6
	s_nop 1
	v_cndmask_b32_e64 v6, v10, 1, vcc
	s_waitcnt lgkmcnt(0)
	v_cndmask_b32_e32 v3, v5, v3, vcc
	v_cndmask_b32_e32 v2, v4, v2, vcc
.LBB1705_273:
	s_or_b64 exec, exec, s[6:7]
	v_and_b32_e32 v8, 0xff, v6
.LBB1705_274:
	s_or_b64 exec, exec, s[4:5]
	v_cmp_eq_u32_e32 vcc, 0, v1
	s_and_saveexec_b64 s[4:5], vcc
	s_cbranch_execz .LBB1705_276
; %bb.275:
	s_waitcnt lgkmcnt(1)
	v_lshrrev_b32_e32 v4, 2, v0
	v_and_b32_e32 v4, 16, v4
	ds_write_b8 v4, v6 offset:128
	ds_write_b64 v4, v[2:3] offset:136
.LBB1705_276:
	s_or_b64 exec, exec, s[4:5]
	v_cmp_gt_u32_e32 vcc, 2, v0
	s_waitcnt lgkmcnt(0)
	s_barrier
	s_and_saveexec_b64 s[4:5], vcc
	s_cbranch_execz .LBB1705_284
; %bb.277:
	v_lshlrev_b32_e32 v2, 4, v1
	ds_read_u8 v6, v2 offset:128
	ds_read_b64 v[2:3], v2 offset:136
	v_or_b32_e32 v5, 4, v9
	s_add_i32 s8, s8, 63
	v_and_b32_e32 v1, 1, v1
	s_waitcnt lgkmcnt(1)
	v_and_b32_e32 v8, 0xff, v6
	s_waitcnt lgkmcnt(0)
	ds_bpermute_b32 v4, v5, v2
	ds_bpermute_b32 v7, v5, v8
	;; [unrolled: 1-line block ×3, first 2 shown]
	s_lshr_b32 s6, s8, 6
	v_add_u32_e32 v1, 1, v1
	v_cmp_gt_u32_e32 vcc, s6, v1
	s_and_saveexec_b64 s[6:7], vcc
	s_cbranch_execz .LBB1705_283
; %bb.278:
	s_waitcnt lgkmcnt(1)
	v_and_b32_e32 v1, v8, v7
	v_and_b32_e32 v1, 1, v1
	v_cmp_eq_u32_e32 vcc, 1, v1
	s_and_saveexec_b64 s[8:9], vcc
	s_xor_b64 s[8:9], exec, s[8:9]
	s_cbranch_execz .LBB1705_280
; %bb.279:
	s_waitcnt lgkmcnt(0)
	v_cmp_lt_i64_e32 vcc, v[4:5], v[2:3]
                                        ; implicit-def: $vgpr6
                                        ; implicit-def: $vgpr7
	s_nop 1
	v_cndmask_b32_e32 v3, v3, v5, vcc
	v_cndmask_b32_e32 v2, v2, v4, vcc
                                        ; implicit-def: $vgpr4_vgpr5
.LBB1705_280:
	s_or_saveexec_b64 s[8:9], s[8:9]
	v_mov_b32_e32 v8, 1
	s_xor_b64 exec, exec, s[8:9]
	s_cbranch_execz .LBB1705_282
; %bb.281:
	v_and_b32_e32 v1, 1, v6
	v_cmp_eq_u32_e32 vcc, 1, v1
	s_waitcnt lgkmcnt(0)
	s_nop 0
	v_cndmask_b32_e32 v3, v5, v3, vcc
	v_cndmask_b32_e32 v2, v4, v2, vcc
	v_cndmask_b32_e64 v8, v7, 1, vcc
.LBB1705_282:
	s_or_b64 exec, exec, s[8:9]
.LBB1705_283:
	s_or_b64 exec, exec, s[6:7]
.LBB1705_284:
	s_or_b64 exec, exec, s[4:5]
.LBB1705_285:
	v_cmp_eq_u32_e32 vcc, 0, v0
                                        ; implicit-def: $vgpr4_vgpr5
                                        ; implicit-def: $vgpr6
	s_and_saveexec_b64 s[4:5], vcc
	s_xor_b64 s[8:9], exec, s[4:5]
	s_cbranch_execz .LBB1705_289
; %bb.286:
	s_cmp_eq_u64 s[22:23], 0
	s_waitcnt lgkmcnt(0)
	v_mov_b64_e32 v[4:5], s[18:19]
	v_mov_b32_e32 v6, s33
	s_cbranch_scc1 .LBB1705_288
; %bb.287:
	v_and_b32_e32 v1, 1, v8
	s_bitcmp1_b32 s33, 0
	v_cmp_eq_u32_e32 vcc, 1, v1
	v_cmp_gt_i64_e64 s[4:5], s[18:19], v[2:3]
	s_cselect_b64 s[6:7], -1, 0
	v_mov_b32_e32 v1, s18
	s_and_b64 vcc, vcc, s[4:5]
	v_mov_b32_e32 v4, s19
	v_cndmask_b32_e32 v1, v1, v2, vcc
	v_cndmask_b32_e32 v4, v4, v3, vcc
	v_cndmask_b32_e64 v6, v8, 1, s[6:7]
	v_cndmask_b32_e64 v5, v3, v4, s[6:7]
	;; [unrolled: 1-line block ×3, first 2 shown]
.LBB1705_288:
	s_or_b64 s[12:13], s[12:13], exec
.LBB1705_289:
	s_or_b64 exec, exec, s[8:9]
	v_mov_b64_e32 v[2:3], s[2:3]
	s_branch .LBB1705_306
.LBB1705_290:
	s_cmp_eq_u32 s40, 1
	s_cbranch_scc0 .LBB1705_305
; %bb.291:
	s_mov_b32 s9, 0
	s_lshl_b32 s8, s2, 7
	s_mov_b32 s3, s9
	s_lshr_b64 s[4:5], s[22:23], 7
	s_cmp_lg_u64 s[4:5], s[2:3]
	s_cbranch_scc0 .LBB1705_309
; %bb.292:
	s_lshl_b64 s[4:5], s[8:9], 1
	s_add_u32 s6, s24, s4
	s_addc_u32 s7, s25, s5
	s_add_u32 s4, s26, s4
	v_lshlrev_b32_e32 v1, 1, v0
	s_addc_u32 s5, s27, s5
	s_waitcnt lgkmcnt(1)
	global_load_ushort v6, v1, s[6:7]
	s_waitcnt lgkmcnt(0)
	global_load_ushort v7, v1, s[4:5]
	s_add_u32 s4, s20, s8
	v_mov_b32_e32 v1, 0
	s_addc_u32 s5, s21, 0
	v_lshl_add_u64 v[2:3], s[4:5], 0, v[0:1]
                                        ; implicit-def: $vgpr8
	s_waitcnt vmcnt(0)
	v_cmp_ne_u16_e64 s[4:5], v6, v7
	v_mov_b32_dpp v4, v2 quad_perm:[1,0,3,2] row_mask:0xf bank_mask:0xf bound_ctrl:1
	v_mov_b32_dpp v5, v3 quad_perm:[1,0,3,2] row_mask:0xf bank_mask:0xf bound_ctrl:1
	v_cndmask_b32_e64 v1, 0, 1, s[4:5]
	v_cmp_lt_i64_e32 vcc, v[2:3], v[4:5]
	s_and_b64 vcc, s[4:5], vcc
	v_mov_b32_dpp v1, v1 quad_perm:[1,0,3,2] row_mask:0xf bank_mask:0xf bound_ctrl:1
	v_and_b32_e32 v1, 1, v1
	v_cndmask_b32_e32 v4, v4, v2, vcc
	v_cndmask_b32_e32 v5, v5, v3, vcc
	v_cmp_eq_u32_e32 vcc, 1, v1
	s_or_b64 s[4:5], vcc, s[4:5]
	v_cndmask_b32_e64 v1, 0, 1, s[4:5]
	v_cndmask_b32_e32 v5, v3, v5, vcc
	v_cndmask_b32_e32 v4, v2, v4, vcc
	v_mov_b32_dpp v1, v1 quad_perm:[2,3,0,1] row_mask:0xf bank_mask:0xf bound_ctrl:1
	v_and_b32_e32 v1, 1, v1
	v_cmp_eq_u32_e32 vcc, 1, v1
	s_and_b64 s[6:7], vcc, s[4:5]
	v_mov_b32_dpp v6, v4 quad_perm:[2,3,0,1] row_mask:0xf bank_mask:0xf bound_ctrl:1
	v_mov_b32_dpp v7, v5 quad_perm:[2,3,0,1] row_mask:0xf bank_mask:0xf bound_ctrl:1
	s_xor_b64 s[6:7], s[6:7], -1
                                        ; implicit-def: $vgpr2_vgpr3
	s_and_saveexec_b64 s[10:11], s[6:7]
	s_xor_b64 s[6:7], exec, s[10:11]
; %bb.293:
	s_or_b64 s[4:5], vcc, s[4:5]
	v_cndmask_b32_e32 v3, v5, v7, vcc
	v_cndmask_b32_e32 v2, v4, v6, vcc
	v_cndmask_b32_e64 v8, 0, 1, s[4:5]
                                        ; implicit-def: $vgpr4_vgpr5
                                        ; implicit-def: $vgpr6_vgpr7
; %bb.294:
	s_andn2_saveexec_b64 s[4:5], s[6:7]
; %bb.295:
	v_cmp_lt_i64_e32 vcc, v[4:5], v[6:7]
	v_mov_b32_e32 v8, 1
	s_nop 0
	v_cndmask_b32_e32 v3, v7, v5, vcc
	v_cndmask_b32_e32 v2, v6, v4, vcc
; %bb.296:
	s_or_b64 exec, exec, s[4:5]
	s_nop 0
	v_mov_b32_dpp v4, v2 row_ror:4 row_mask:0xf bank_mask:0xf bound_ctrl:1
	v_mov_b32_dpp v5, v3 row_ror:4 row_mask:0xf bank_mask:0xf bound_ctrl:1
	v_and_b32_e32 v7, 1, v8
	v_mov_b32_dpp v6, v8 row_ror:4 row_mask:0xf bank_mask:0xf bound_ctrl:1
	v_cmp_eq_u32_e32 vcc, 1, v7
	v_cmp_lt_i64_e64 s[4:5], v[2:3], v[4:5]
	v_and_b32_e32 v6, 1, v6
	s_and_b64 vcc, vcc, s[4:5]
	v_cmp_eq_u32_e64 s[6:7], 1, v6
	v_cndmask_b32_e32 v4, v4, v2, vcc
	v_cndmask_b32_e32 v5, v5, v3, vcc
	v_cndmask_b32_e64 v6, v8, 1, s[6:7]
	v_cndmask_b32_e64 v3, v3, v5, s[6:7]
	;; [unrolled: 1-line block ×3, first 2 shown]
	v_and_b32_e32 v8, 1, v6
	v_mov_b32_dpp v5, v3 row_ror:8 row_mask:0xf bank_mask:0xf bound_ctrl:1
	v_mov_b32_dpp v4, v2 row_ror:8 row_mask:0xf bank_mask:0xf bound_ctrl:1
	;; [unrolled: 1-line block ×3, first 2 shown]
	v_cmp_eq_u32_e32 vcc, 1, v8
	v_cmp_lt_i64_e64 s[4:5], v[2:3], v[4:5]
	v_and_b32_e32 v7, 1, v7
	s_and_b64 vcc, vcc, s[4:5]
	v_cmp_eq_u32_e64 s[6:7], 1, v7
	v_cndmask_b32_e32 v4, v4, v2, vcc
	v_cndmask_b32_e32 v5, v5, v3, vcc
	v_cndmask_b32_e64 v6, v6, 1, s[6:7]
	v_cndmask_b32_e64 v3, v3, v5, s[6:7]
	;; [unrolled: 1-line block ×3, first 2 shown]
	v_and_b32_e32 v8, 1, v6
	v_mov_b32_dpp v5, v3 row_bcast:15 row_mask:0xf bank_mask:0xf bound_ctrl:1
	v_mov_b32_dpp v4, v2 row_bcast:15 row_mask:0xf bank_mask:0xf bound_ctrl:1
	v_mov_b32_dpp v7, v6 row_bcast:15 row_mask:0xf bank_mask:0xf bound_ctrl:1
	v_cmp_eq_u32_e32 vcc, 1, v8
	v_cmp_lt_i64_e64 s[4:5], v[2:3], v[4:5]
	v_and_b32_e32 v7, 1, v7
	s_and_b64 vcc, vcc, s[4:5]
	v_cmp_eq_u32_e64 s[6:7], 1, v7
	v_cndmask_b32_e32 v4, v4, v2, vcc
	v_cndmask_b32_e32 v5, v5, v3, vcc
	v_cndmask_b32_e64 v6, v6, 1, s[6:7]
	v_cndmask_b32_e64 v3, v3, v5, s[6:7]
	;; [unrolled: 1-line block ×3, first 2 shown]
	v_mov_b32_dpp v7, v6 row_bcast:31 row_mask:0xf bank_mask:0xf bound_ctrl:1
	v_mov_b32_dpp v5, v3 row_bcast:31 row_mask:0xf bank_mask:0xf bound_ctrl:1
	;; [unrolled: 1-line block ×3, first 2 shown]
	v_and_b32_e32 v8, 1, v6
	v_mbcnt_lo_u32_b32 v1, -1, 0
	v_and_b32_e32 v7, 1, v7
	v_cmp_eq_u32_e32 vcc, 1, v8
	v_cmp_lt_i64_e64 s[4:5], v[2:3], v[4:5]
	v_mbcnt_hi_u32_b32 v1, -1, v1
	v_cmp_eq_u32_e64 s[6:7], 1, v7
	s_and_b64 vcc, vcc, s[4:5]
	v_cndmask_b32_e32 v4, v4, v2, vcc
	v_cndmask_b32_e64 v7, v6, 1, s[6:7]
	v_cndmask_b32_e32 v5, v5, v3, vcc
	v_lshlrev_b32_e32 v6, 2, v1
	v_cndmask_b32_e64 v3, v3, v5, s[6:7]
	v_cndmask_b32_e64 v2, v2, v4, s[6:7]
	v_or_b32_e32 v4, 0xfc, v6
	ds_bpermute_b32 v8, v4, v7
	ds_bpermute_b32 v2, v4, v2
	;; [unrolled: 1-line block ×3, first 2 shown]
	v_cmp_eq_u32_e32 vcc, 0, v1
	s_and_saveexec_b64 s[4:5], vcc
	s_cbranch_execz .LBB1705_298
; %bb.297:
	v_lshrrev_b32_e32 v4, 2, v0
	v_and_b32_e32 v4, 16, v4
	s_waitcnt lgkmcnt(2)
	ds_write_b8 v4, v8
	s_waitcnt lgkmcnt(1)
	ds_write_b64 v4, v[2:3] offset:8
.LBB1705_298:
	s_or_b64 exec, exec, s[4:5]
	v_cmp_gt_u32_e32 vcc, 64, v0
	s_waitcnt lgkmcnt(0)
	s_barrier
	s_and_saveexec_b64 s[4:5], vcc
	s_cbranch_execz .LBB1705_304
; %bb.299:
	v_and_b32_e32 v1, 1, v1
	v_lshlrev_b32_e32 v2, 4, v1
	ds_read_u8 v1, v2
	ds_read_b64 v[4:5], v2 offset:8
	v_or_b32_e32 v3, 4, v6
	s_waitcnt lgkmcnt(1)
	v_and_b32_e32 v2, 0xff, v1
	ds_bpermute_b32 v9, v3, v2
	s_waitcnt lgkmcnt(1)
	ds_bpermute_b32 v6, v3, v4
	ds_bpermute_b32 v7, v3, v5
	s_waitcnt lgkmcnt(2)
	v_and_b32_e32 v2, v1, v9
	v_and_b32_e32 v2, 1, v2
	v_cmp_eq_u32_e32 vcc, 1, v2
                                        ; implicit-def: $vgpr2_vgpr3
	s_and_saveexec_b64 s[6:7], vcc
	s_xor_b64 s[6:7], exec, s[6:7]
	s_cbranch_execz .LBB1705_301
; %bb.300:
	s_waitcnt lgkmcnt(0)
	v_cmp_lt_i64_e32 vcc, v[6:7], v[4:5]
                                        ; implicit-def: $vgpr1
                                        ; implicit-def: $vgpr9
	s_nop 1
	v_cndmask_b32_e32 v3, v5, v7, vcc
	v_cndmask_b32_e32 v2, v4, v6, vcc
                                        ; implicit-def: $vgpr6_vgpr7
                                        ; implicit-def: $vgpr4_vgpr5
.LBB1705_301:
	s_or_saveexec_b64 s[6:7], s[6:7]
	v_mov_b32_e32 v8, 1
	s_xor_b64 exec, exec, s[6:7]
	s_cbranch_execz .LBB1705_303
; %bb.302:
	v_and_b32_e32 v1, 1, v1
	v_cmp_eq_u32_e32 vcc, 1, v1
	s_waitcnt lgkmcnt(0)
	s_nop 0
	v_cndmask_b32_e32 v3, v7, v5, vcc
	v_cndmask_b32_e32 v2, v6, v4, vcc
	v_cndmask_b32_e64 v8, v9, 1, vcc
.LBB1705_303:
	s_or_b64 exec, exec, s[6:7]
.LBB1705_304:
	s_or_b64 exec, exec, s[4:5]
	s_branch .LBB1705_359
.LBB1705_305:
                                        ; implicit-def: $vgpr4_vgpr5
                                        ; implicit-def: $vgpr6
                                        ; implicit-def: $vgpr2_vgpr3
.LBB1705_306:
	s_and_saveexec_b64 s[2:3], s[12:13]
	s_cbranch_execz .LBB1705_308
.LBB1705_307:
	s_load_dwordx2 s[0:1], s[0:1], 0x38
	v_lshlrev_b64 v[0:1], 4, v[2:3]
	s_waitcnt lgkmcnt(0)
	v_lshl_add_u64 v[0:1], s[0:1], 0, v[0:1]
	global_store_byte v[0:1], v6, off
	global_store_dwordx2 v[0:1], v[4:5], off offset:8
.LBB1705_308:
	s_endpgm
.LBB1705_309:
                                        ; implicit-def: $vgpr2_vgpr3
                                        ; implicit-def: $vgpr8
	s_cbranch_execz .LBB1705_359
; %bb.310:
	s_sub_i32 s6, s22, s8
	v_cmp_gt_u32_e32 vcc, s6, v0
	v_mov_b32_e32 v9, 0
	v_mov_b64_e32 v[2:3], 0
	s_and_saveexec_b64 s[4:5], vcc
	s_cbranch_execz .LBB1705_312
; %bb.311:
	s_lshl_b64 s[10:11], s[8:9], 1
	s_add_u32 s14, s26, s10
	s_addc_u32 s15, s27, s11
	s_add_u32 s10, s24, s10
	s_addc_u32 s11, s25, s11
	v_lshlrev_b32_e32 v1, 1, v0
	s_waitcnt lgkmcnt(2)
	global_load_ushort v4, v1, s[10:11]
	s_waitcnt lgkmcnt(0)
	global_load_ushort v5, v1, s[14:15]
	s_add_u32 s8, s20, s8
	v_mov_b32_e32 v1, 0
	s_addc_u32 s9, s21, 0
	v_lshl_add_u64 v[2:3], s[8:9], 0, v[0:1]
	s_waitcnt vmcnt(0)
	v_cmp_ne_u16_e32 vcc, v4, v5
	s_nop 1
	v_cndmask_b32_e64 v9, 0, 1, vcc
.LBB1705_312:
	s_or_b64 exec, exec, s[4:5]
	v_mbcnt_lo_u32_b32 v1, -1, 0
	v_mbcnt_hi_u32_b32 v1, -1, v1
	s_waitcnt lgkmcnt(1)
	v_and_b32_e32 v6, 63, v1
	v_cmp_ne_u32_e32 vcc, 63, v6
	v_and_b32_e32 v8, 0xffff, v9
	s_min_u32 s8, s6, 0x80
	v_addc_co_u32_e32 v4, vcc, 0, v1, vcc
	s_waitcnt lgkmcnt(0)
	v_lshlrev_b32_e32 v5, 2, v4
	ds_bpermute_b32 v10, v5, v8
	ds_bpermute_b32 v4, v5, v2
	;; [unrolled: 1-line block ×3, first 2 shown]
	v_and_b32_e32 v7, 64, v0
	v_sub_u32_e64 v7, s8, v7 clamp
	v_add_u32_e32 v11, 1, v6
	v_cmp_lt_u32_e32 vcc, v11, v7
	s_and_saveexec_b64 s[4:5], vcc
	s_cbranch_execz .LBB1705_318
; %bb.313:
	s_waitcnt lgkmcnt(2)
	v_and_b32_e32 v8, v10, v8
	v_and_b32_e32 v8, 1, v8
	v_cmp_eq_u32_e32 vcc, 1, v8
	s_and_saveexec_b64 s[6:7], vcc
	s_xor_b64 s[6:7], exec, s[6:7]
	s_cbranch_execz .LBB1705_315
; %bb.314:
	s_waitcnt lgkmcnt(0)
	v_cmp_lt_i64_e32 vcc, v[4:5], v[2:3]
                                        ; implicit-def: $vgpr9
                                        ; implicit-def: $vgpr10
	s_nop 1
	v_cndmask_b32_e32 v3, v3, v5, vcc
	v_cndmask_b32_e32 v2, v2, v4, vcc
                                        ; implicit-def: $vgpr4_vgpr5
.LBB1705_315:
	s_or_saveexec_b64 s[6:7], s[6:7]
	v_mov_b32_e32 v8, 1
	s_xor_b64 exec, exec, s[6:7]
	s_cbranch_execz .LBB1705_317
; %bb.316:
	v_and_b32_e32 v8, 1, v9
	v_cmp_eq_u32_e32 vcc, 1, v8
	s_waitcnt lgkmcnt(1)
	s_nop 0
	v_cndmask_b32_e32 v2, v4, v2, vcc
	v_and_b32_e32 v4, 0xff, v10
	s_waitcnt lgkmcnt(0)
	v_cndmask_b32_e32 v3, v5, v3, vcc
	v_cndmask_b32_e64 v8, v4, 1, vcc
.LBB1705_317:
	s_or_b64 exec, exec, s[6:7]
.LBB1705_318:
	s_or_b64 exec, exec, s[4:5]
	v_cmp_gt_u32_e32 vcc, 62, v6
	s_waitcnt lgkmcnt(2)
	v_add_u32_e32 v10, 2, v6
	s_waitcnt lgkmcnt(1)
	v_cndmask_b32_e64 v4, 0, 2, vcc
	s_waitcnt lgkmcnt(0)
	v_add_lshl_u32 v5, v4, v1, 2
	ds_bpermute_b32 v9, v5, v8
	ds_bpermute_b32 v4, v5, v2
	ds_bpermute_b32 v5, v5, v3
	v_cmp_lt_u32_e32 vcc, v10, v7
	s_and_saveexec_b64 s[4:5], vcc
	s_cbranch_execz .LBB1705_324
; %bb.319:
	s_waitcnt lgkmcnt(2)
	v_and_b32_e32 v10, v8, v9
	v_and_b32_e32 v10, 1, v10
	v_cmp_eq_u32_e32 vcc, 1, v10
	s_and_saveexec_b64 s[6:7], vcc
	s_xor_b64 s[6:7], exec, s[6:7]
	s_cbranch_execz .LBB1705_321
; %bb.320:
	s_waitcnt lgkmcnt(0)
	v_cmp_lt_i64_e32 vcc, v[4:5], v[2:3]
                                        ; implicit-def: $vgpr8
                                        ; implicit-def: $vgpr9
	s_nop 1
	v_cndmask_b32_e32 v3, v3, v5, vcc
	v_cndmask_b32_e32 v2, v2, v4, vcc
                                        ; implicit-def: $vgpr4_vgpr5
.LBB1705_321:
	s_or_saveexec_b64 s[6:7], s[6:7]
	v_mov_b32_e32 v10, 1
	s_xor_b64 exec, exec, s[6:7]
	s_cbranch_execz .LBB1705_323
; %bb.322:
	v_and_b32_e32 v8, 1, v8
	v_cmp_eq_u32_e32 vcc, 1, v8
	s_waitcnt lgkmcnt(1)
	s_nop 0
	v_cndmask_b32_e32 v2, v4, v2, vcc
	v_and_b32_e32 v4, 0xff, v9
	s_waitcnt lgkmcnt(0)
	v_cndmask_b32_e32 v3, v5, v3, vcc
	v_cndmask_b32_e64 v10, v4, 1, vcc
.LBB1705_323:
	s_or_b64 exec, exec, s[6:7]
	v_mov_b32_e32 v8, v10
.LBB1705_324:
	s_or_b64 exec, exec, s[4:5]
	v_cmp_gt_u32_e32 vcc, 60, v6
	v_add_u32_e32 v10, 4, v6
	s_waitcnt lgkmcnt(1)
	v_cndmask_b32_e64 v4, 0, 4, vcc
	s_waitcnt lgkmcnt(0)
	v_add_lshl_u32 v5, v4, v1, 2
	ds_bpermute_b32 v9, v5, v8
	ds_bpermute_b32 v4, v5, v2
	ds_bpermute_b32 v5, v5, v3
	v_cmp_lt_u32_e32 vcc, v10, v7
	s_and_saveexec_b64 s[4:5], vcc
	s_cbranch_execz .LBB1705_330
; %bb.325:
	s_waitcnt lgkmcnt(2)
	v_and_b32_e32 v10, v8, v9
	v_and_b32_e32 v10, 1, v10
	v_cmp_eq_u32_e32 vcc, 1, v10
	s_and_saveexec_b64 s[6:7], vcc
	s_xor_b64 s[6:7], exec, s[6:7]
	s_cbranch_execz .LBB1705_327
; %bb.326:
	s_waitcnt lgkmcnt(0)
	v_cmp_lt_i64_e32 vcc, v[4:5], v[2:3]
                                        ; implicit-def: $vgpr8
                                        ; implicit-def: $vgpr9
	s_nop 1
	v_cndmask_b32_e32 v3, v3, v5, vcc
	v_cndmask_b32_e32 v2, v2, v4, vcc
                                        ; implicit-def: $vgpr4_vgpr5
.LBB1705_327:
	s_or_saveexec_b64 s[6:7], s[6:7]
	v_mov_b32_e32 v10, 1
	s_xor_b64 exec, exec, s[6:7]
	s_cbranch_execz .LBB1705_329
; %bb.328:
	v_and_b32_e32 v8, 1, v8
	v_cmp_eq_u32_e32 vcc, 1, v8
	s_waitcnt lgkmcnt(1)
	s_nop 0
	v_cndmask_b32_e32 v2, v4, v2, vcc
	v_and_b32_e32 v4, 0xff, v9
	s_waitcnt lgkmcnt(0)
	v_cndmask_b32_e32 v3, v5, v3, vcc
	v_cndmask_b32_e64 v10, v4, 1, vcc
.LBB1705_329:
	s_or_b64 exec, exec, s[6:7]
	v_mov_b32_e32 v8, v10
.LBB1705_330:
	s_or_b64 exec, exec, s[4:5]
	v_cmp_gt_u32_e32 vcc, 56, v6
	;; [unrolled: 49-line block ×3, first 2 shown]
	v_add_u32_e32 v10, 16, v6
	s_waitcnt lgkmcnt(1)
	v_cndmask_b32_e64 v4, 0, 16, vcc
	s_waitcnt lgkmcnt(0)
	v_add_lshl_u32 v5, v4, v1, 2
	ds_bpermute_b32 v9, v5, v8
	ds_bpermute_b32 v4, v5, v2
	;; [unrolled: 1-line block ×3, first 2 shown]
	v_cmp_lt_u32_e32 vcc, v10, v7
	s_and_saveexec_b64 s[4:5], vcc
	s_cbranch_execz .LBB1705_342
; %bb.337:
	s_waitcnt lgkmcnt(2)
	v_and_b32_e32 v10, v8, v9
	v_and_b32_e32 v10, 1, v10
	v_cmp_eq_u32_e32 vcc, 1, v10
	s_and_saveexec_b64 s[6:7], vcc
	s_xor_b64 s[6:7], exec, s[6:7]
	s_cbranch_execz .LBB1705_339
; %bb.338:
	s_waitcnt lgkmcnt(0)
	v_cmp_lt_i64_e32 vcc, v[4:5], v[2:3]
                                        ; implicit-def: $vgpr8
                                        ; implicit-def: $vgpr9
	s_nop 1
	v_cndmask_b32_e32 v3, v3, v5, vcc
	v_cndmask_b32_e32 v2, v2, v4, vcc
                                        ; implicit-def: $vgpr4_vgpr5
.LBB1705_339:
	s_or_saveexec_b64 s[6:7], s[6:7]
	v_mov_b32_e32 v10, 1
	s_xor_b64 exec, exec, s[6:7]
	s_cbranch_execz .LBB1705_341
; %bb.340:
	v_and_b32_e32 v8, 1, v8
	v_cmp_eq_u32_e32 vcc, 1, v8
	s_waitcnt lgkmcnt(1)
	s_nop 0
	v_cndmask_b32_e32 v2, v4, v2, vcc
	v_and_b32_e32 v4, 0xff, v9
	s_waitcnt lgkmcnt(0)
	v_cndmask_b32_e32 v3, v5, v3, vcc
	v_cndmask_b32_e64 v10, v4, 1, vcc
.LBB1705_341:
	s_or_b64 exec, exec, s[6:7]
	v_mov_b32_e32 v8, v10
.LBB1705_342:
	s_or_b64 exec, exec, s[4:5]
	s_waitcnt lgkmcnt(2)
	v_lshlrev_b32_e32 v9, 2, v1
	s_waitcnt lgkmcnt(0)
	v_or_b32_e32 v5, 0x80, v9
	ds_bpermute_b32 v10, v5, v8
	ds_bpermute_b32 v4, v5, v2
	;; [unrolled: 1-line block ×3, first 2 shown]
	v_add_u32_e32 v6, 32, v6
	v_cmp_lt_u32_e32 vcc, v6, v7
	v_mov_b32_e32 v6, v8
	s_and_saveexec_b64 s[4:5], vcc
	s_cbranch_execz .LBB1705_348
; %bb.343:
	s_waitcnt lgkmcnt(2)
	v_and_b32_e32 v6, v8, v10
	v_and_b32_e32 v6, 1, v6
	v_cmp_eq_u32_e32 vcc, 1, v6
	s_and_saveexec_b64 s[6:7], vcc
	s_xor_b64 s[6:7], exec, s[6:7]
	s_cbranch_execz .LBB1705_345
; %bb.344:
	s_waitcnt lgkmcnt(0)
	v_cmp_lt_i64_e32 vcc, v[4:5], v[2:3]
                                        ; implicit-def: $vgpr8
                                        ; implicit-def: $vgpr10
	s_nop 1
	v_cndmask_b32_e32 v3, v3, v5, vcc
	v_cndmask_b32_e32 v2, v2, v4, vcc
                                        ; implicit-def: $vgpr4_vgpr5
.LBB1705_345:
	s_or_saveexec_b64 s[6:7], s[6:7]
	v_mov_b32_e32 v6, 1
	s_xor_b64 exec, exec, s[6:7]
	s_cbranch_execz .LBB1705_347
; %bb.346:
	v_and_b32_e32 v6, 1, v8
	v_cmp_eq_u32_e32 vcc, 1, v6
	s_nop 1
	v_cndmask_b32_e64 v6, v10, 1, vcc
	s_waitcnt lgkmcnt(0)
	v_cndmask_b32_e32 v3, v5, v3, vcc
	v_cndmask_b32_e32 v2, v4, v2, vcc
.LBB1705_347:
	s_or_b64 exec, exec, s[6:7]
	v_and_b32_e32 v8, 0xff, v6
.LBB1705_348:
	s_or_b64 exec, exec, s[4:5]
	v_cmp_eq_u32_e32 vcc, 0, v1
	s_and_saveexec_b64 s[4:5], vcc
	s_cbranch_execz .LBB1705_350
; %bb.349:
	s_waitcnt lgkmcnt(1)
	v_lshrrev_b32_e32 v4, 2, v0
	v_and_b32_e32 v4, 16, v4
	ds_write_b8 v4, v6 offset:128
	ds_write_b64 v4, v[2:3] offset:136
.LBB1705_350:
	s_or_b64 exec, exec, s[4:5]
	v_cmp_gt_u32_e32 vcc, 2, v0
	s_waitcnt lgkmcnt(0)
	s_barrier
	s_and_saveexec_b64 s[4:5], vcc
	s_cbranch_execz .LBB1705_358
; %bb.351:
	v_lshlrev_b32_e32 v2, 4, v1
	ds_read_u8 v6, v2 offset:128
	ds_read_b64 v[2:3], v2 offset:136
	v_or_b32_e32 v5, 4, v9
	s_add_i32 s8, s8, 63
	v_and_b32_e32 v1, 1, v1
	s_waitcnt lgkmcnt(1)
	v_and_b32_e32 v8, 0xff, v6
	s_waitcnt lgkmcnt(0)
	ds_bpermute_b32 v4, v5, v2
	ds_bpermute_b32 v7, v5, v8
	ds_bpermute_b32 v5, v5, v3
	s_lshr_b32 s6, s8, 6
	v_add_u32_e32 v1, 1, v1
	v_cmp_gt_u32_e32 vcc, s6, v1
	s_and_saveexec_b64 s[6:7], vcc
	s_cbranch_execz .LBB1705_357
; %bb.352:
	s_waitcnt lgkmcnt(1)
	v_and_b32_e32 v1, v8, v7
	v_and_b32_e32 v1, 1, v1
	v_cmp_eq_u32_e32 vcc, 1, v1
	s_and_saveexec_b64 s[8:9], vcc
	s_xor_b64 s[8:9], exec, s[8:9]
	s_cbranch_execz .LBB1705_354
; %bb.353:
	s_waitcnt lgkmcnt(0)
	v_cmp_lt_i64_e32 vcc, v[4:5], v[2:3]
                                        ; implicit-def: $vgpr6
                                        ; implicit-def: $vgpr7
	s_nop 1
	v_cndmask_b32_e32 v3, v3, v5, vcc
	v_cndmask_b32_e32 v2, v2, v4, vcc
                                        ; implicit-def: $vgpr4_vgpr5
.LBB1705_354:
	s_or_saveexec_b64 s[8:9], s[8:9]
	v_mov_b32_e32 v8, 1
	s_xor_b64 exec, exec, s[8:9]
	s_cbranch_execz .LBB1705_356
; %bb.355:
	v_and_b32_e32 v1, 1, v6
	v_cmp_eq_u32_e32 vcc, 1, v1
	s_waitcnt lgkmcnt(0)
	s_nop 0
	v_cndmask_b32_e32 v3, v5, v3, vcc
	v_cndmask_b32_e32 v2, v4, v2, vcc
	v_cndmask_b32_e64 v8, v7, 1, vcc
.LBB1705_356:
	s_or_b64 exec, exec, s[8:9]
.LBB1705_357:
	s_or_b64 exec, exec, s[6:7]
.LBB1705_358:
	s_or_b64 exec, exec, s[4:5]
.LBB1705_359:
	v_cmp_eq_u32_e32 vcc, 0, v0
                                        ; implicit-def: $vgpr4_vgpr5
                                        ; implicit-def: $vgpr6
	s_and_saveexec_b64 s[8:9], vcc
	s_cbranch_execz .LBB1705_363
; %bb.360:
	s_cmp_eq_u64 s[22:23], 0
	s_waitcnt lgkmcnt(0)
	v_mov_b64_e32 v[4:5], s[18:19]
	v_mov_b32_e32 v6, s33
	s_cbranch_scc1 .LBB1705_362
; %bb.361:
	v_and_b32_e32 v0, 1, v8
	s_bitcmp1_b32 s33, 0
	v_cmp_eq_u32_e32 vcc, 1, v0
	v_cmp_gt_i64_e64 s[4:5], s[18:19], v[2:3]
	s_cselect_b64 s[6:7], -1, 0
	v_mov_b32_e32 v0, s18
	s_and_b64 vcc, vcc, s[4:5]
	v_mov_b32_e32 v1, s19
	v_cndmask_b32_e32 v0, v0, v2, vcc
	v_cndmask_b32_e32 v1, v1, v3, vcc
	v_cndmask_b32_e64 v6, v8, 1, s[6:7]
	v_cndmask_b32_e64 v5, v3, v1, s[6:7]
	;; [unrolled: 1-line block ×3, first 2 shown]
.LBB1705_362:
	s_or_b64 s[12:13], s[12:13], exec
.LBB1705_363:
	s_or_b64 exec, exec, s[8:9]
	v_mov_b64_e32 v[2:3], s[2:3]
	s_and_saveexec_b64 s[2:3], s[12:13]
	s_cbranch_execnz .LBB1705_307
	s_branch .LBB1705_308
	.section	.rodata,"a",@progbits
	.p2align	6, 0x0
	.amdhsa_kernel _ZN7rocprim17ROCPRIM_400000_NS6detail17trampoline_kernelINS0_14default_configENS1_22reduce_config_selectorIN6thrust23THRUST_200600_302600_NS5tupleIblNS6_9null_typeES8_S8_S8_S8_S8_S8_S8_EEEEZNS1_11reduce_implILb1ES3_NS6_12zip_iteratorINS7_INS6_11hip_rocprim26transform_input_iterator_tIbNSD_35transform_pair_of_input_iterators_tIbNS6_6detail15normal_iteratorINS6_10device_ptrIKsEEEESL_NS6_8equal_toIsEEEENSG_9not_fun_tINSD_8identityEEEEENSD_19counting_iterator_tIlEES8_S8_S8_S8_S8_S8_S8_S8_EEEEPS9_S9_NSD_9__find_if7functorIS9_EEEE10hipError_tPvRmT1_T2_T3_mT4_P12ihipStream_tbEUlT_E1_NS1_11comp_targetILNS1_3genE0ELNS1_11target_archE4294967295ELNS1_3gpuE0ELNS1_3repE0EEENS1_30default_config_static_selectorELNS0_4arch9wavefront6targetE1EEEvS14_
		.amdhsa_group_segment_fixed_size 160
		.amdhsa_private_segment_fixed_size 0
		.amdhsa_kernarg_size 88
		.amdhsa_user_sgpr_count 2
		.amdhsa_user_sgpr_dispatch_ptr 0
		.amdhsa_user_sgpr_queue_ptr 0
		.amdhsa_user_sgpr_kernarg_segment_ptr 1
		.amdhsa_user_sgpr_dispatch_id 0
		.amdhsa_user_sgpr_kernarg_preload_length 0
		.amdhsa_user_sgpr_kernarg_preload_offset 0
		.amdhsa_user_sgpr_private_segment_size 0
		.amdhsa_uses_dynamic_stack 0
		.amdhsa_enable_private_segment 0
		.amdhsa_system_sgpr_workgroup_id_x 1
		.amdhsa_system_sgpr_workgroup_id_y 0
		.amdhsa_system_sgpr_workgroup_id_z 0
		.amdhsa_system_sgpr_workgroup_info 0
		.amdhsa_system_vgpr_workitem_id 0
		.amdhsa_next_free_vgpr 29
		.amdhsa_next_free_sgpr 42
		.amdhsa_accum_offset 32
		.amdhsa_reserve_vcc 1
		.amdhsa_float_round_mode_32 0
		.amdhsa_float_round_mode_16_64 0
		.amdhsa_float_denorm_mode_32 3
		.amdhsa_float_denorm_mode_16_64 3
		.amdhsa_dx10_clamp 1
		.amdhsa_ieee_mode 1
		.amdhsa_fp16_overflow 0
		.amdhsa_tg_split 0
		.amdhsa_exception_fp_ieee_invalid_op 0
		.amdhsa_exception_fp_denorm_src 0
		.amdhsa_exception_fp_ieee_div_zero 0
		.amdhsa_exception_fp_ieee_overflow 0
		.amdhsa_exception_fp_ieee_underflow 0
		.amdhsa_exception_fp_ieee_inexact 0
		.amdhsa_exception_int_div_zero 0
	.end_amdhsa_kernel
	.section	.text._ZN7rocprim17ROCPRIM_400000_NS6detail17trampoline_kernelINS0_14default_configENS1_22reduce_config_selectorIN6thrust23THRUST_200600_302600_NS5tupleIblNS6_9null_typeES8_S8_S8_S8_S8_S8_S8_EEEEZNS1_11reduce_implILb1ES3_NS6_12zip_iteratorINS7_INS6_11hip_rocprim26transform_input_iterator_tIbNSD_35transform_pair_of_input_iterators_tIbNS6_6detail15normal_iteratorINS6_10device_ptrIKsEEEESL_NS6_8equal_toIsEEEENSG_9not_fun_tINSD_8identityEEEEENSD_19counting_iterator_tIlEES8_S8_S8_S8_S8_S8_S8_S8_EEEEPS9_S9_NSD_9__find_if7functorIS9_EEEE10hipError_tPvRmT1_T2_T3_mT4_P12ihipStream_tbEUlT_E1_NS1_11comp_targetILNS1_3genE0ELNS1_11target_archE4294967295ELNS1_3gpuE0ELNS1_3repE0EEENS1_30default_config_static_selectorELNS0_4arch9wavefront6targetE1EEEvS14_,"axG",@progbits,_ZN7rocprim17ROCPRIM_400000_NS6detail17trampoline_kernelINS0_14default_configENS1_22reduce_config_selectorIN6thrust23THRUST_200600_302600_NS5tupleIblNS6_9null_typeES8_S8_S8_S8_S8_S8_S8_EEEEZNS1_11reduce_implILb1ES3_NS6_12zip_iteratorINS7_INS6_11hip_rocprim26transform_input_iterator_tIbNSD_35transform_pair_of_input_iterators_tIbNS6_6detail15normal_iteratorINS6_10device_ptrIKsEEEESL_NS6_8equal_toIsEEEENSG_9not_fun_tINSD_8identityEEEEENSD_19counting_iterator_tIlEES8_S8_S8_S8_S8_S8_S8_S8_EEEEPS9_S9_NSD_9__find_if7functorIS9_EEEE10hipError_tPvRmT1_T2_T3_mT4_P12ihipStream_tbEUlT_E1_NS1_11comp_targetILNS1_3genE0ELNS1_11target_archE4294967295ELNS1_3gpuE0ELNS1_3repE0EEENS1_30default_config_static_selectorELNS0_4arch9wavefront6targetE1EEEvS14_,comdat
.Lfunc_end1705:
	.size	_ZN7rocprim17ROCPRIM_400000_NS6detail17trampoline_kernelINS0_14default_configENS1_22reduce_config_selectorIN6thrust23THRUST_200600_302600_NS5tupleIblNS6_9null_typeES8_S8_S8_S8_S8_S8_S8_EEEEZNS1_11reduce_implILb1ES3_NS6_12zip_iteratorINS7_INS6_11hip_rocprim26transform_input_iterator_tIbNSD_35transform_pair_of_input_iterators_tIbNS6_6detail15normal_iteratorINS6_10device_ptrIKsEEEESL_NS6_8equal_toIsEEEENSG_9not_fun_tINSD_8identityEEEEENSD_19counting_iterator_tIlEES8_S8_S8_S8_S8_S8_S8_S8_EEEEPS9_S9_NSD_9__find_if7functorIS9_EEEE10hipError_tPvRmT1_T2_T3_mT4_P12ihipStream_tbEUlT_E1_NS1_11comp_targetILNS1_3genE0ELNS1_11target_archE4294967295ELNS1_3gpuE0ELNS1_3repE0EEENS1_30default_config_static_selectorELNS0_4arch9wavefront6targetE1EEEvS14_, .Lfunc_end1705-_ZN7rocprim17ROCPRIM_400000_NS6detail17trampoline_kernelINS0_14default_configENS1_22reduce_config_selectorIN6thrust23THRUST_200600_302600_NS5tupleIblNS6_9null_typeES8_S8_S8_S8_S8_S8_S8_EEEEZNS1_11reduce_implILb1ES3_NS6_12zip_iteratorINS7_INS6_11hip_rocprim26transform_input_iterator_tIbNSD_35transform_pair_of_input_iterators_tIbNS6_6detail15normal_iteratorINS6_10device_ptrIKsEEEESL_NS6_8equal_toIsEEEENSG_9not_fun_tINSD_8identityEEEEENSD_19counting_iterator_tIlEES8_S8_S8_S8_S8_S8_S8_S8_EEEEPS9_S9_NSD_9__find_if7functorIS9_EEEE10hipError_tPvRmT1_T2_T3_mT4_P12ihipStream_tbEUlT_E1_NS1_11comp_targetILNS1_3genE0ELNS1_11target_archE4294967295ELNS1_3gpuE0ELNS1_3repE0EEENS1_30default_config_static_selectorELNS0_4arch9wavefront6targetE1EEEvS14_
                                        ; -- End function
	.set _ZN7rocprim17ROCPRIM_400000_NS6detail17trampoline_kernelINS0_14default_configENS1_22reduce_config_selectorIN6thrust23THRUST_200600_302600_NS5tupleIblNS6_9null_typeES8_S8_S8_S8_S8_S8_S8_EEEEZNS1_11reduce_implILb1ES3_NS6_12zip_iteratorINS7_INS6_11hip_rocprim26transform_input_iterator_tIbNSD_35transform_pair_of_input_iterators_tIbNS6_6detail15normal_iteratorINS6_10device_ptrIKsEEEESL_NS6_8equal_toIsEEEENSG_9not_fun_tINSD_8identityEEEEENSD_19counting_iterator_tIlEES8_S8_S8_S8_S8_S8_S8_S8_EEEEPS9_S9_NSD_9__find_if7functorIS9_EEEE10hipError_tPvRmT1_T2_T3_mT4_P12ihipStream_tbEUlT_E1_NS1_11comp_targetILNS1_3genE0ELNS1_11target_archE4294967295ELNS1_3gpuE0ELNS1_3repE0EEENS1_30default_config_static_selectorELNS0_4arch9wavefront6targetE1EEEvS14_.num_vgpr, 29
	.set _ZN7rocprim17ROCPRIM_400000_NS6detail17trampoline_kernelINS0_14default_configENS1_22reduce_config_selectorIN6thrust23THRUST_200600_302600_NS5tupleIblNS6_9null_typeES8_S8_S8_S8_S8_S8_S8_EEEEZNS1_11reduce_implILb1ES3_NS6_12zip_iteratorINS7_INS6_11hip_rocprim26transform_input_iterator_tIbNSD_35transform_pair_of_input_iterators_tIbNS6_6detail15normal_iteratorINS6_10device_ptrIKsEEEESL_NS6_8equal_toIsEEEENSG_9not_fun_tINSD_8identityEEEEENSD_19counting_iterator_tIlEES8_S8_S8_S8_S8_S8_S8_S8_EEEEPS9_S9_NSD_9__find_if7functorIS9_EEEE10hipError_tPvRmT1_T2_T3_mT4_P12ihipStream_tbEUlT_E1_NS1_11comp_targetILNS1_3genE0ELNS1_11target_archE4294967295ELNS1_3gpuE0ELNS1_3repE0EEENS1_30default_config_static_selectorELNS0_4arch9wavefront6targetE1EEEvS14_.num_agpr, 0
	.set _ZN7rocprim17ROCPRIM_400000_NS6detail17trampoline_kernelINS0_14default_configENS1_22reduce_config_selectorIN6thrust23THRUST_200600_302600_NS5tupleIblNS6_9null_typeES8_S8_S8_S8_S8_S8_S8_EEEEZNS1_11reduce_implILb1ES3_NS6_12zip_iteratorINS7_INS6_11hip_rocprim26transform_input_iterator_tIbNSD_35transform_pair_of_input_iterators_tIbNS6_6detail15normal_iteratorINS6_10device_ptrIKsEEEESL_NS6_8equal_toIsEEEENSG_9not_fun_tINSD_8identityEEEEENSD_19counting_iterator_tIlEES8_S8_S8_S8_S8_S8_S8_S8_EEEEPS9_S9_NSD_9__find_if7functorIS9_EEEE10hipError_tPvRmT1_T2_T3_mT4_P12ihipStream_tbEUlT_E1_NS1_11comp_targetILNS1_3genE0ELNS1_11target_archE4294967295ELNS1_3gpuE0ELNS1_3repE0EEENS1_30default_config_static_selectorELNS0_4arch9wavefront6targetE1EEEvS14_.numbered_sgpr, 42
	.set _ZN7rocprim17ROCPRIM_400000_NS6detail17trampoline_kernelINS0_14default_configENS1_22reduce_config_selectorIN6thrust23THRUST_200600_302600_NS5tupleIblNS6_9null_typeES8_S8_S8_S8_S8_S8_S8_EEEEZNS1_11reduce_implILb1ES3_NS6_12zip_iteratorINS7_INS6_11hip_rocprim26transform_input_iterator_tIbNSD_35transform_pair_of_input_iterators_tIbNS6_6detail15normal_iteratorINS6_10device_ptrIKsEEEESL_NS6_8equal_toIsEEEENSG_9not_fun_tINSD_8identityEEEEENSD_19counting_iterator_tIlEES8_S8_S8_S8_S8_S8_S8_S8_EEEEPS9_S9_NSD_9__find_if7functorIS9_EEEE10hipError_tPvRmT1_T2_T3_mT4_P12ihipStream_tbEUlT_E1_NS1_11comp_targetILNS1_3genE0ELNS1_11target_archE4294967295ELNS1_3gpuE0ELNS1_3repE0EEENS1_30default_config_static_selectorELNS0_4arch9wavefront6targetE1EEEvS14_.num_named_barrier, 0
	.set _ZN7rocprim17ROCPRIM_400000_NS6detail17trampoline_kernelINS0_14default_configENS1_22reduce_config_selectorIN6thrust23THRUST_200600_302600_NS5tupleIblNS6_9null_typeES8_S8_S8_S8_S8_S8_S8_EEEEZNS1_11reduce_implILb1ES3_NS6_12zip_iteratorINS7_INS6_11hip_rocprim26transform_input_iterator_tIbNSD_35transform_pair_of_input_iterators_tIbNS6_6detail15normal_iteratorINS6_10device_ptrIKsEEEESL_NS6_8equal_toIsEEEENSG_9not_fun_tINSD_8identityEEEEENSD_19counting_iterator_tIlEES8_S8_S8_S8_S8_S8_S8_S8_EEEEPS9_S9_NSD_9__find_if7functorIS9_EEEE10hipError_tPvRmT1_T2_T3_mT4_P12ihipStream_tbEUlT_E1_NS1_11comp_targetILNS1_3genE0ELNS1_11target_archE4294967295ELNS1_3gpuE0ELNS1_3repE0EEENS1_30default_config_static_selectorELNS0_4arch9wavefront6targetE1EEEvS14_.private_seg_size, 0
	.set _ZN7rocprim17ROCPRIM_400000_NS6detail17trampoline_kernelINS0_14default_configENS1_22reduce_config_selectorIN6thrust23THRUST_200600_302600_NS5tupleIblNS6_9null_typeES8_S8_S8_S8_S8_S8_S8_EEEEZNS1_11reduce_implILb1ES3_NS6_12zip_iteratorINS7_INS6_11hip_rocprim26transform_input_iterator_tIbNSD_35transform_pair_of_input_iterators_tIbNS6_6detail15normal_iteratorINS6_10device_ptrIKsEEEESL_NS6_8equal_toIsEEEENSG_9not_fun_tINSD_8identityEEEEENSD_19counting_iterator_tIlEES8_S8_S8_S8_S8_S8_S8_S8_EEEEPS9_S9_NSD_9__find_if7functorIS9_EEEE10hipError_tPvRmT1_T2_T3_mT4_P12ihipStream_tbEUlT_E1_NS1_11comp_targetILNS1_3genE0ELNS1_11target_archE4294967295ELNS1_3gpuE0ELNS1_3repE0EEENS1_30default_config_static_selectorELNS0_4arch9wavefront6targetE1EEEvS14_.uses_vcc, 1
	.set _ZN7rocprim17ROCPRIM_400000_NS6detail17trampoline_kernelINS0_14default_configENS1_22reduce_config_selectorIN6thrust23THRUST_200600_302600_NS5tupleIblNS6_9null_typeES8_S8_S8_S8_S8_S8_S8_EEEEZNS1_11reduce_implILb1ES3_NS6_12zip_iteratorINS7_INS6_11hip_rocprim26transform_input_iterator_tIbNSD_35transform_pair_of_input_iterators_tIbNS6_6detail15normal_iteratorINS6_10device_ptrIKsEEEESL_NS6_8equal_toIsEEEENSG_9not_fun_tINSD_8identityEEEEENSD_19counting_iterator_tIlEES8_S8_S8_S8_S8_S8_S8_S8_EEEEPS9_S9_NSD_9__find_if7functorIS9_EEEE10hipError_tPvRmT1_T2_T3_mT4_P12ihipStream_tbEUlT_E1_NS1_11comp_targetILNS1_3genE0ELNS1_11target_archE4294967295ELNS1_3gpuE0ELNS1_3repE0EEENS1_30default_config_static_selectorELNS0_4arch9wavefront6targetE1EEEvS14_.uses_flat_scratch, 0
	.set _ZN7rocprim17ROCPRIM_400000_NS6detail17trampoline_kernelINS0_14default_configENS1_22reduce_config_selectorIN6thrust23THRUST_200600_302600_NS5tupleIblNS6_9null_typeES8_S8_S8_S8_S8_S8_S8_EEEEZNS1_11reduce_implILb1ES3_NS6_12zip_iteratorINS7_INS6_11hip_rocprim26transform_input_iterator_tIbNSD_35transform_pair_of_input_iterators_tIbNS6_6detail15normal_iteratorINS6_10device_ptrIKsEEEESL_NS6_8equal_toIsEEEENSG_9not_fun_tINSD_8identityEEEEENSD_19counting_iterator_tIlEES8_S8_S8_S8_S8_S8_S8_S8_EEEEPS9_S9_NSD_9__find_if7functorIS9_EEEE10hipError_tPvRmT1_T2_T3_mT4_P12ihipStream_tbEUlT_E1_NS1_11comp_targetILNS1_3genE0ELNS1_11target_archE4294967295ELNS1_3gpuE0ELNS1_3repE0EEENS1_30default_config_static_selectorELNS0_4arch9wavefront6targetE1EEEvS14_.has_dyn_sized_stack, 0
	.set _ZN7rocprim17ROCPRIM_400000_NS6detail17trampoline_kernelINS0_14default_configENS1_22reduce_config_selectorIN6thrust23THRUST_200600_302600_NS5tupleIblNS6_9null_typeES8_S8_S8_S8_S8_S8_S8_EEEEZNS1_11reduce_implILb1ES3_NS6_12zip_iteratorINS7_INS6_11hip_rocprim26transform_input_iterator_tIbNSD_35transform_pair_of_input_iterators_tIbNS6_6detail15normal_iteratorINS6_10device_ptrIKsEEEESL_NS6_8equal_toIsEEEENSG_9not_fun_tINSD_8identityEEEEENSD_19counting_iterator_tIlEES8_S8_S8_S8_S8_S8_S8_S8_EEEEPS9_S9_NSD_9__find_if7functorIS9_EEEE10hipError_tPvRmT1_T2_T3_mT4_P12ihipStream_tbEUlT_E1_NS1_11comp_targetILNS1_3genE0ELNS1_11target_archE4294967295ELNS1_3gpuE0ELNS1_3repE0EEENS1_30default_config_static_selectorELNS0_4arch9wavefront6targetE1EEEvS14_.has_recursion, 0
	.set _ZN7rocprim17ROCPRIM_400000_NS6detail17trampoline_kernelINS0_14default_configENS1_22reduce_config_selectorIN6thrust23THRUST_200600_302600_NS5tupleIblNS6_9null_typeES8_S8_S8_S8_S8_S8_S8_EEEEZNS1_11reduce_implILb1ES3_NS6_12zip_iteratorINS7_INS6_11hip_rocprim26transform_input_iterator_tIbNSD_35transform_pair_of_input_iterators_tIbNS6_6detail15normal_iteratorINS6_10device_ptrIKsEEEESL_NS6_8equal_toIsEEEENSG_9not_fun_tINSD_8identityEEEEENSD_19counting_iterator_tIlEES8_S8_S8_S8_S8_S8_S8_S8_EEEEPS9_S9_NSD_9__find_if7functorIS9_EEEE10hipError_tPvRmT1_T2_T3_mT4_P12ihipStream_tbEUlT_E1_NS1_11comp_targetILNS1_3genE0ELNS1_11target_archE4294967295ELNS1_3gpuE0ELNS1_3repE0EEENS1_30default_config_static_selectorELNS0_4arch9wavefront6targetE1EEEvS14_.has_indirect_call, 0
	.section	.AMDGPU.csdata,"",@progbits
; Kernel info:
; codeLenInByte = 13308
; TotalNumSgprs: 48
; NumVgprs: 29
; NumAgprs: 0
; TotalNumVgprs: 29
; ScratchSize: 0
; MemoryBound: 0
; FloatMode: 240
; IeeeMode: 1
; LDSByteSize: 160 bytes/workgroup (compile time only)
; SGPRBlocks: 5
; VGPRBlocks: 3
; NumSGPRsForWavesPerEU: 48
; NumVGPRsForWavesPerEU: 29
; AccumOffset: 32
; Occupancy: 8
; WaveLimiterHint : 0
; COMPUTE_PGM_RSRC2:SCRATCH_EN: 0
; COMPUTE_PGM_RSRC2:USER_SGPR: 2
; COMPUTE_PGM_RSRC2:TRAP_HANDLER: 0
; COMPUTE_PGM_RSRC2:TGID_X_EN: 1
; COMPUTE_PGM_RSRC2:TGID_Y_EN: 0
; COMPUTE_PGM_RSRC2:TGID_Z_EN: 0
; COMPUTE_PGM_RSRC2:TIDIG_COMP_CNT: 0
; COMPUTE_PGM_RSRC3_GFX90A:ACCUM_OFFSET: 7
; COMPUTE_PGM_RSRC3_GFX90A:TG_SPLIT: 0
	.section	.text._ZN7rocprim17ROCPRIM_400000_NS6detail17trampoline_kernelINS0_14default_configENS1_22reduce_config_selectorIN6thrust23THRUST_200600_302600_NS5tupleIblNS6_9null_typeES8_S8_S8_S8_S8_S8_S8_EEEEZNS1_11reduce_implILb1ES3_NS6_12zip_iteratorINS7_INS6_11hip_rocprim26transform_input_iterator_tIbNSD_35transform_pair_of_input_iterators_tIbNS6_6detail15normal_iteratorINS6_10device_ptrIKsEEEESL_NS6_8equal_toIsEEEENSG_9not_fun_tINSD_8identityEEEEENSD_19counting_iterator_tIlEES8_S8_S8_S8_S8_S8_S8_S8_EEEEPS9_S9_NSD_9__find_if7functorIS9_EEEE10hipError_tPvRmT1_T2_T3_mT4_P12ihipStream_tbEUlT_E1_NS1_11comp_targetILNS1_3genE5ELNS1_11target_archE942ELNS1_3gpuE9ELNS1_3repE0EEENS1_30default_config_static_selectorELNS0_4arch9wavefront6targetE1EEEvS14_,"axG",@progbits,_ZN7rocprim17ROCPRIM_400000_NS6detail17trampoline_kernelINS0_14default_configENS1_22reduce_config_selectorIN6thrust23THRUST_200600_302600_NS5tupleIblNS6_9null_typeES8_S8_S8_S8_S8_S8_S8_EEEEZNS1_11reduce_implILb1ES3_NS6_12zip_iteratorINS7_INS6_11hip_rocprim26transform_input_iterator_tIbNSD_35transform_pair_of_input_iterators_tIbNS6_6detail15normal_iteratorINS6_10device_ptrIKsEEEESL_NS6_8equal_toIsEEEENSG_9not_fun_tINSD_8identityEEEEENSD_19counting_iterator_tIlEES8_S8_S8_S8_S8_S8_S8_S8_EEEEPS9_S9_NSD_9__find_if7functorIS9_EEEE10hipError_tPvRmT1_T2_T3_mT4_P12ihipStream_tbEUlT_E1_NS1_11comp_targetILNS1_3genE5ELNS1_11target_archE942ELNS1_3gpuE9ELNS1_3repE0EEENS1_30default_config_static_selectorELNS0_4arch9wavefront6targetE1EEEvS14_,comdat
	.protected	_ZN7rocprim17ROCPRIM_400000_NS6detail17trampoline_kernelINS0_14default_configENS1_22reduce_config_selectorIN6thrust23THRUST_200600_302600_NS5tupleIblNS6_9null_typeES8_S8_S8_S8_S8_S8_S8_EEEEZNS1_11reduce_implILb1ES3_NS6_12zip_iteratorINS7_INS6_11hip_rocprim26transform_input_iterator_tIbNSD_35transform_pair_of_input_iterators_tIbNS6_6detail15normal_iteratorINS6_10device_ptrIKsEEEESL_NS6_8equal_toIsEEEENSG_9not_fun_tINSD_8identityEEEEENSD_19counting_iterator_tIlEES8_S8_S8_S8_S8_S8_S8_S8_EEEEPS9_S9_NSD_9__find_if7functorIS9_EEEE10hipError_tPvRmT1_T2_T3_mT4_P12ihipStream_tbEUlT_E1_NS1_11comp_targetILNS1_3genE5ELNS1_11target_archE942ELNS1_3gpuE9ELNS1_3repE0EEENS1_30default_config_static_selectorELNS0_4arch9wavefront6targetE1EEEvS14_ ; -- Begin function _ZN7rocprim17ROCPRIM_400000_NS6detail17trampoline_kernelINS0_14default_configENS1_22reduce_config_selectorIN6thrust23THRUST_200600_302600_NS5tupleIblNS6_9null_typeES8_S8_S8_S8_S8_S8_S8_EEEEZNS1_11reduce_implILb1ES3_NS6_12zip_iteratorINS7_INS6_11hip_rocprim26transform_input_iterator_tIbNSD_35transform_pair_of_input_iterators_tIbNS6_6detail15normal_iteratorINS6_10device_ptrIKsEEEESL_NS6_8equal_toIsEEEENSG_9not_fun_tINSD_8identityEEEEENSD_19counting_iterator_tIlEES8_S8_S8_S8_S8_S8_S8_S8_EEEEPS9_S9_NSD_9__find_if7functorIS9_EEEE10hipError_tPvRmT1_T2_T3_mT4_P12ihipStream_tbEUlT_E1_NS1_11comp_targetILNS1_3genE5ELNS1_11target_archE942ELNS1_3gpuE9ELNS1_3repE0EEENS1_30default_config_static_selectorELNS0_4arch9wavefront6targetE1EEEvS14_
	.globl	_ZN7rocprim17ROCPRIM_400000_NS6detail17trampoline_kernelINS0_14default_configENS1_22reduce_config_selectorIN6thrust23THRUST_200600_302600_NS5tupleIblNS6_9null_typeES8_S8_S8_S8_S8_S8_S8_EEEEZNS1_11reduce_implILb1ES3_NS6_12zip_iteratorINS7_INS6_11hip_rocprim26transform_input_iterator_tIbNSD_35transform_pair_of_input_iterators_tIbNS6_6detail15normal_iteratorINS6_10device_ptrIKsEEEESL_NS6_8equal_toIsEEEENSG_9not_fun_tINSD_8identityEEEEENSD_19counting_iterator_tIlEES8_S8_S8_S8_S8_S8_S8_S8_EEEEPS9_S9_NSD_9__find_if7functorIS9_EEEE10hipError_tPvRmT1_T2_T3_mT4_P12ihipStream_tbEUlT_E1_NS1_11comp_targetILNS1_3genE5ELNS1_11target_archE942ELNS1_3gpuE9ELNS1_3repE0EEENS1_30default_config_static_selectorELNS0_4arch9wavefront6targetE1EEEvS14_
	.p2align	8
	.type	_ZN7rocprim17ROCPRIM_400000_NS6detail17trampoline_kernelINS0_14default_configENS1_22reduce_config_selectorIN6thrust23THRUST_200600_302600_NS5tupleIblNS6_9null_typeES8_S8_S8_S8_S8_S8_S8_EEEEZNS1_11reduce_implILb1ES3_NS6_12zip_iteratorINS7_INS6_11hip_rocprim26transform_input_iterator_tIbNSD_35transform_pair_of_input_iterators_tIbNS6_6detail15normal_iteratorINS6_10device_ptrIKsEEEESL_NS6_8equal_toIsEEEENSG_9not_fun_tINSD_8identityEEEEENSD_19counting_iterator_tIlEES8_S8_S8_S8_S8_S8_S8_S8_EEEEPS9_S9_NSD_9__find_if7functorIS9_EEEE10hipError_tPvRmT1_T2_T3_mT4_P12ihipStream_tbEUlT_E1_NS1_11comp_targetILNS1_3genE5ELNS1_11target_archE942ELNS1_3gpuE9ELNS1_3repE0EEENS1_30default_config_static_selectorELNS0_4arch9wavefront6targetE1EEEvS14_,@function
_ZN7rocprim17ROCPRIM_400000_NS6detail17trampoline_kernelINS0_14default_configENS1_22reduce_config_selectorIN6thrust23THRUST_200600_302600_NS5tupleIblNS6_9null_typeES8_S8_S8_S8_S8_S8_S8_EEEEZNS1_11reduce_implILb1ES3_NS6_12zip_iteratorINS7_INS6_11hip_rocprim26transform_input_iterator_tIbNSD_35transform_pair_of_input_iterators_tIbNS6_6detail15normal_iteratorINS6_10device_ptrIKsEEEESL_NS6_8equal_toIsEEEENSG_9not_fun_tINSD_8identityEEEEENSD_19counting_iterator_tIlEES8_S8_S8_S8_S8_S8_S8_S8_EEEEPS9_S9_NSD_9__find_if7functorIS9_EEEE10hipError_tPvRmT1_T2_T3_mT4_P12ihipStream_tbEUlT_E1_NS1_11comp_targetILNS1_3genE5ELNS1_11target_archE942ELNS1_3gpuE9ELNS1_3repE0EEENS1_30default_config_static_selectorELNS0_4arch9wavefront6targetE1EEEvS14_: ; @_ZN7rocprim17ROCPRIM_400000_NS6detail17trampoline_kernelINS0_14default_configENS1_22reduce_config_selectorIN6thrust23THRUST_200600_302600_NS5tupleIblNS6_9null_typeES8_S8_S8_S8_S8_S8_S8_EEEEZNS1_11reduce_implILb1ES3_NS6_12zip_iteratorINS7_INS6_11hip_rocprim26transform_input_iterator_tIbNSD_35transform_pair_of_input_iterators_tIbNS6_6detail15normal_iteratorINS6_10device_ptrIKsEEEESL_NS6_8equal_toIsEEEENSG_9not_fun_tINSD_8identityEEEEENSD_19counting_iterator_tIlEES8_S8_S8_S8_S8_S8_S8_S8_EEEEPS9_S9_NSD_9__find_if7functorIS9_EEEE10hipError_tPvRmT1_T2_T3_mT4_P12ihipStream_tbEUlT_E1_NS1_11comp_targetILNS1_3genE5ELNS1_11target_archE942ELNS1_3gpuE9ELNS1_3repE0EEENS1_30default_config_static_selectorELNS0_4arch9wavefront6targetE1EEEvS14_
; %bb.0:
	.section	.rodata,"a",@progbits
	.p2align	6, 0x0
	.amdhsa_kernel _ZN7rocprim17ROCPRIM_400000_NS6detail17trampoline_kernelINS0_14default_configENS1_22reduce_config_selectorIN6thrust23THRUST_200600_302600_NS5tupleIblNS6_9null_typeES8_S8_S8_S8_S8_S8_S8_EEEEZNS1_11reduce_implILb1ES3_NS6_12zip_iteratorINS7_INS6_11hip_rocprim26transform_input_iterator_tIbNSD_35transform_pair_of_input_iterators_tIbNS6_6detail15normal_iteratorINS6_10device_ptrIKsEEEESL_NS6_8equal_toIsEEEENSG_9not_fun_tINSD_8identityEEEEENSD_19counting_iterator_tIlEES8_S8_S8_S8_S8_S8_S8_S8_EEEEPS9_S9_NSD_9__find_if7functorIS9_EEEE10hipError_tPvRmT1_T2_T3_mT4_P12ihipStream_tbEUlT_E1_NS1_11comp_targetILNS1_3genE5ELNS1_11target_archE942ELNS1_3gpuE9ELNS1_3repE0EEENS1_30default_config_static_selectorELNS0_4arch9wavefront6targetE1EEEvS14_
		.amdhsa_group_segment_fixed_size 0
		.amdhsa_private_segment_fixed_size 0
		.amdhsa_kernarg_size 88
		.amdhsa_user_sgpr_count 2
		.amdhsa_user_sgpr_dispatch_ptr 0
		.amdhsa_user_sgpr_queue_ptr 0
		.amdhsa_user_sgpr_kernarg_segment_ptr 1
		.amdhsa_user_sgpr_dispatch_id 0
		.amdhsa_user_sgpr_kernarg_preload_length 0
		.amdhsa_user_sgpr_kernarg_preload_offset 0
		.amdhsa_user_sgpr_private_segment_size 0
		.amdhsa_uses_dynamic_stack 0
		.amdhsa_enable_private_segment 0
		.amdhsa_system_sgpr_workgroup_id_x 1
		.amdhsa_system_sgpr_workgroup_id_y 0
		.amdhsa_system_sgpr_workgroup_id_z 0
		.amdhsa_system_sgpr_workgroup_info 0
		.amdhsa_system_vgpr_workitem_id 0
		.amdhsa_next_free_vgpr 1
		.amdhsa_next_free_sgpr 0
		.amdhsa_accum_offset 4
		.amdhsa_reserve_vcc 0
		.amdhsa_float_round_mode_32 0
		.amdhsa_float_round_mode_16_64 0
		.amdhsa_float_denorm_mode_32 3
		.amdhsa_float_denorm_mode_16_64 3
		.amdhsa_dx10_clamp 1
		.amdhsa_ieee_mode 1
		.amdhsa_fp16_overflow 0
		.amdhsa_tg_split 0
		.amdhsa_exception_fp_ieee_invalid_op 0
		.amdhsa_exception_fp_denorm_src 0
		.amdhsa_exception_fp_ieee_div_zero 0
		.amdhsa_exception_fp_ieee_overflow 0
		.amdhsa_exception_fp_ieee_underflow 0
		.amdhsa_exception_fp_ieee_inexact 0
		.amdhsa_exception_int_div_zero 0
	.end_amdhsa_kernel
	.section	.text._ZN7rocprim17ROCPRIM_400000_NS6detail17trampoline_kernelINS0_14default_configENS1_22reduce_config_selectorIN6thrust23THRUST_200600_302600_NS5tupleIblNS6_9null_typeES8_S8_S8_S8_S8_S8_S8_EEEEZNS1_11reduce_implILb1ES3_NS6_12zip_iteratorINS7_INS6_11hip_rocprim26transform_input_iterator_tIbNSD_35transform_pair_of_input_iterators_tIbNS6_6detail15normal_iteratorINS6_10device_ptrIKsEEEESL_NS6_8equal_toIsEEEENSG_9not_fun_tINSD_8identityEEEEENSD_19counting_iterator_tIlEES8_S8_S8_S8_S8_S8_S8_S8_EEEEPS9_S9_NSD_9__find_if7functorIS9_EEEE10hipError_tPvRmT1_T2_T3_mT4_P12ihipStream_tbEUlT_E1_NS1_11comp_targetILNS1_3genE5ELNS1_11target_archE942ELNS1_3gpuE9ELNS1_3repE0EEENS1_30default_config_static_selectorELNS0_4arch9wavefront6targetE1EEEvS14_,"axG",@progbits,_ZN7rocprim17ROCPRIM_400000_NS6detail17trampoline_kernelINS0_14default_configENS1_22reduce_config_selectorIN6thrust23THRUST_200600_302600_NS5tupleIblNS6_9null_typeES8_S8_S8_S8_S8_S8_S8_EEEEZNS1_11reduce_implILb1ES3_NS6_12zip_iteratorINS7_INS6_11hip_rocprim26transform_input_iterator_tIbNSD_35transform_pair_of_input_iterators_tIbNS6_6detail15normal_iteratorINS6_10device_ptrIKsEEEESL_NS6_8equal_toIsEEEENSG_9not_fun_tINSD_8identityEEEEENSD_19counting_iterator_tIlEES8_S8_S8_S8_S8_S8_S8_S8_EEEEPS9_S9_NSD_9__find_if7functorIS9_EEEE10hipError_tPvRmT1_T2_T3_mT4_P12ihipStream_tbEUlT_E1_NS1_11comp_targetILNS1_3genE5ELNS1_11target_archE942ELNS1_3gpuE9ELNS1_3repE0EEENS1_30default_config_static_selectorELNS0_4arch9wavefront6targetE1EEEvS14_,comdat
.Lfunc_end1706:
	.size	_ZN7rocprim17ROCPRIM_400000_NS6detail17trampoline_kernelINS0_14default_configENS1_22reduce_config_selectorIN6thrust23THRUST_200600_302600_NS5tupleIblNS6_9null_typeES8_S8_S8_S8_S8_S8_S8_EEEEZNS1_11reduce_implILb1ES3_NS6_12zip_iteratorINS7_INS6_11hip_rocprim26transform_input_iterator_tIbNSD_35transform_pair_of_input_iterators_tIbNS6_6detail15normal_iteratorINS6_10device_ptrIKsEEEESL_NS6_8equal_toIsEEEENSG_9not_fun_tINSD_8identityEEEEENSD_19counting_iterator_tIlEES8_S8_S8_S8_S8_S8_S8_S8_EEEEPS9_S9_NSD_9__find_if7functorIS9_EEEE10hipError_tPvRmT1_T2_T3_mT4_P12ihipStream_tbEUlT_E1_NS1_11comp_targetILNS1_3genE5ELNS1_11target_archE942ELNS1_3gpuE9ELNS1_3repE0EEENS1_30default_config_static_selectorELNS0_4arch9wavefront6targetE1EEEvS14_, .Lfunc_end1706-_ZN7rocprim17ROCPRIM_400000_NS6detail17trampoline_kernelINS0_14default_configENS1_22reduce_config_selectorIN6thrust23THRUST_200600_302600_NS5tupleIblNS6_9null_typeES8_S8_S8_S8_S8_S8_S8_EEEEZNS1_11reduce_implILb1ES3_NS6_12zip_iteratorINS7_INS6_11hip_rocprim26transform_input_iterator_tIbNSD_35transform_pair_of_input_iterators_tIbNS6_6detail15normal_iteratorINS6_10device_ptrIKsEEEESL_NS6_8equal_toIsEEEENSG_9not_fun_tINSD_8identityEEEEENSD_19counting_iterator_tIlEES8_S8_S8_S8_S8_S8_S8_S8_EEEEPS9_S9_NSD_9__find_if7functorIS9_EEEE10hipError_tPvRmT1_T2_T3_mT4_P12ihipStream_tbEUlT_E1_NS1_11comp_targetILNS1_3genE5ELNS1_11target_archE942ELNS1_3gpuE9ELNS1_3repE0EEENS1_30default_config_static_selectorELNS0_4arch9wavefront6targetE1EEEvS14_
                                        ; -- End function
	.set _ZN7rocprim17ROCPRIM_400000_NS6detail17trampoline_kernelINS0_14default_configENS1_22reduce_config_selectorIN6thrust23THRUST_200600_302600_NS5tupleIblNS6_9null_typeES8_S8_S8_S8_S8_S8_S8_EEEEZNS1_11reduce_implILb1ES3_NS6_12zip_iteratorINS7_INS6_11hip_rocprim26transform_input_iterator_tIbNSD_35transform_pair_of_input_iterators_tIbNS6_6detail15normal_iteratorINS6_10device_ptrIKsEEEESL_NS6_8equal_toIsEEEENSG_9not_fun_tINSD_8identityEEEEENSD_19counting_iterator_tIlEES8_S8_S8_S8_S8_S8_S8_S8_EEEEPS9_S9_NSD_9__find_if7functorIS9_EEEE10hipError_tPvRmT1_T2_T3_mT4_P12ihipStream_tbEUlT_E1_NS1_11comp_targetILNS1_3genE5ELNS1_11target_archE942ELNS1_3gpuE9ELNS1_3repE0EEENS1_30default_config_static_selectorELNS0_4arch9wavefront6targetE1EEEvS14_.num_vgpr, 0
	.set _ZN7rocprim17ROCPRIM_400000_NS6detail17trampoline_kernelINS0_14default_configENS1_22reduce_config_selectorIN6thrust23THRUST_200600_302600_NS5tupleIblNS6_9null_typeES8_S8_S8_S8_S8_S8_S8_EEEEZNS1_11reduce_implILb1ES3_NS6_12zip_iteratorINS7_INS6_11hip_rocprim26transform_input_iterator_tIbNSD_35transform_pair_of_input_iterators_tIbNS6_6detail15normal_iteratorINS6_10device_ptrIKsEEEESL_NS6_8equal_toIsEEEENSG_9not_fun_tINSD_8identityEEEEENSD_19counting_iterator_tIlEES8_S8_S8_S8_S8_S8_S8_S8_EEEEPS9_S9_NSD_9__find_if7functorIS9_EEEE10hipError_tPvRmT1_T2_T3_mT4_P12ihipStream_tbEUlT_E1_NS1_11comp_targetILNS1_3genE5ELNS1_11target_archE942ELNS1_3gpuE9ELNS1_3repE0EEENS1_30default_config_static_selectorELNS0_4arch9wavefront6targetE1EEEvS14_.num_agpr, 0
	.set _ZN7rocprim17ROCPRIM_400000_NS6detail17trampoline_kernelINS0_14default_configENS1_22reduce_config_selectorIN6thrust23THRUST_200600_302600_NS5tupleIblNS6_9null_typeES8_S8_S8_S8_S8_S8_S8_EEEEZNS1_11reduce_implILb1ES3_NS6_12zip_iteratorINS7_INS6_11hip_rocprim26transform_input_iterator_tIbNSD_35transform_pair_of_input_iterators_tIbNS6_6detail15normal_iteratorINS6_10device_ptrIKsEEEESL_NS6_8equal_toIsEEEENSG_9not_fun_tINSD_8identityEEEEENSD_19counting_iterator_tIlEES8_S8_S8_S8_S8_S8_S8_S8_EEEEPS9_S9_NSD_9__find_if7functorIS9_EEEE10hipError_tPvRmT1_T2_T3_mT4_P12ihipStream_tbEUlT_E1_NS1_11comp_targetILNS1_3genE5ELNS1_11target_archE942ELNS1_3gpuE9ELNS1_3repE0EEENS1_30default_config_static_selectorELNS0_4arch9wavefront6targetE1EEEvS14_.numbered_sgpr, 0
	.set _ZN7rocprim17ROCPRIM_400000_NS6detail17trampoline_kernelINS0_14default_configENS1_22reduce_config_selectorIN6thrust23THRUST_200600_302600_NS5tupleIblNS6_9null_typeES8_S8_S8_S8_S8_S8_S8_EEEEZNS1_11reduce_implILb1ES3_NS6_12zip_iteratorINS7_INS6_11hip_rocprim26transform_input_iterator_tIbNSD_35transform_pair_of_input_iterators_tIbNS6_6detail15normal_iteratorINS6_10device_ptrIKsEEEESL_NS6_8equal_toIsEEEENSG_9not_fun_tINSD_8identityEEEEENSD_19counting_iterator_tIlEES8_S8_S8_S8_S8_S8_S8_S8_EEEEPS9_S9_NSD_9__find_if7functorIS9_EEEE10hipError_tPvRmT1_T2_T3_mT4_P12ihipStream_tbEUlT_E1_NS1_11comp_targetILNS1_3genE5ELNS1_11target_archE942ELNS1_3gpuE9ELNS1_3repE0EEENS1_30default_config_static_selectorELNS0_4arch9wavefront6targetE1EEEvS14_.num_named_barrier, 0
	.set _ZN7rocprim17ROCPRIM_400000_NS6detail17trampoline_kernelINS0_14default_configENS1_22reduce_config_selectorIN6thrust23THRUST_200600_302600_NS5tupleIblNS6_9null_typeES8_S8_S8_S8_S8_S8_S8_EEEEZNS1_11reduce_implILb1ES3_NS6_12zip_iteratorINS7_INS6_11hip_rocprim26transform_input_iterator_tIbNSD_35transform_pair_of_input_iterators_tIbNS6_6detail15normal_iteratorINS6_10device_ptrIKsEEEESL_NS6_8equal_toIsEEEENSG_9not_fun_tINSD_8identityEEEEENSD_19counting_iterator_tIlEES8_S8_S8_S8_S8_S8_S8_S8_EEEEPS9_S9_NSD_9__find_if7functorIS9_EEEE10hipError_tPvRmT1_T2_T3_mT4_P12ihipStream_tbEUlT_E1_NS1_11comp_targetILNS1_3genE5ELNS1_11target_archE942ELNS1_3gpuE9ELNS1_3repE0EEENS1_30default_config_static_selectorELNS0_4arch9wavefront6targetE1EEEvS14_.private_seg_size, 0
	.set _ZN7rocprim17ROCPRIM_400000_NS6detail17trampoline_kernelINS0_14default_configENS1_22reduce_config_selectorIN6thrust23THRUST_200600_302600_NS5tupleIblNS6_9null_typeES8_S8_S8_S8_S8_S8_S8_EEEEZNS1_11reduce_implILb1ES3_NS6_12zip_iteratorINS7_INS6_11hip_rocprim26transform_input_iterator_tIbNSD_35transform_pair_of_input_iterators_tIbNS6_6detail15normal_iteratorINS6_10device_ptrIKsEEEESL_NS6_8equal_toIsEEEENSG_9not_fun_tINSD_8identityEEEEENSD_19counting_iterator_tIlEES8_S8_S8_S8_S8_S8_S8_S8_EEEEPS9_S9_NSD_9__find_if7functorIS9_EEEE10hipError_tPvRmT1_T2_T3_mT4_P12ihipStream_tbEUlT_E1_NS1_11comp_targetILNS1_3genE5ELNS1_11target_archE942ELNS1_3gpuE9ELNS1_3repE0EEENS1_30default_config_static_selectorELNS0_4arch9wavefront6targetE1EEEvS14_.uses_vcc, 0
	.set _ZN7rocprim17ROCPRIM_400000_NS6detail17trampoline_kernelINS0_14default_configENS1_22reduce_config_selectorIN6thrust23THRUST_200600_302600_NS5tupleIblNS6_9null_typeES8_S8_S8_S8_S8_S8_S8_EEEEZNS1_11reduce_implILb1ES3_NS6_12zip_iteratorINS7_INS6_11hip_rocprim26transform_input_iterator_tIbNSD_35transform_pair_of_input_iterators_tIbNS6_6detail15normal_iteratorINS6_10device_ptrIKsEEEESL_NS6_8equal_toIsEEEENSG_9not_fun_tINSD_8identityEEEEENSD_19counting_iterator_tIlEES8_S8_S8_S8_S8_S8_S8_S8_EEEEPS9_S9_NSD_9__find_if7functorIS9_EEEE10hipError_tPvRmT1_T2_T3_mT4_P12ihipStream_tbEUlT_E1_NS1_11comp_targetILNS1_3genE5ELNS1_11target_archE942ELNS1_3gpuE9ELNS1_3repE0EEENS1_30default_config_static_selectorELNS0_4arch9wavefront6targetE1EEEvS14_.uses_flat_scratch, 0
	.set _ZN7rocprim17ROCPRIM_400000_NS6detail17trampoline_kernelINS0_14default_configENS1_22reduce_config_selectorIN6thrust23THRUST_200600_302600_NS5tupleIblNS6_9null_typeES8_S8_S8_S8_S8_S8_S8_EEEEZNS1_11reduce_implILb1ES3_NS6_12zip_iteratorINS7_INS6_11hip_rocprim26transform_input_iterator_tIbNSD_35transform_pair_of_input_iterators_tIbNS6_6detail15normal_iteratorINS6_10device_ptrIKsEEEESL_NS6_8equal_toIsEEEENSG_9not_fun_tINSD_8identityEEEEENSD_19counting_iterator_tIlEES8_S8_S8_S8_S8_S8_S8_S8_EEEEPS9_S9_NSD_9__find_if7functorIS9_EEEE10hipError_tPvRmT1_T2_T3_mT4_P12ihipStream_tbEUlT_E1_NS1_11comp_targetILNS1_3genE5ELNS1_11target_archE942ELNS1_3gpuE9ELNS1_3repE0EEENS1_30default_config_static_selectorELNS0_4arch9wavefront6targetE1EEEvS14_.has_dyn_sized_stack, 0
	.set _ZN7rocprim17ROCPRIM_400000_NS6detail17trampoline_kernelINS0_14default_configENS1_22reduce_config_selectorIN6thrust23THRUST_200600_302600_NS5tupleIblNS6_9null_typeES8_S8_S8_S8_S8_S8_S8_EEEEZNS1_11reduce_implILb1ES3_NS6_12zip_iteratorINS7_INS6_11hip_rocprim26transform_input_iterator_tIbNSD_35transform_pair_of_input_iterators_tIbNS6_6detail15normal_iteratorINS6_10device_ptrIKsEEEESL_NS6_8equal_toIsEEEENSG_9not_fun_tINSD_8identityEEEEENSD_19counting_iterator_tIlEES8_S8_S8_S8_S8_S8_S8_S8_EEEEPS9_S9_NSD_9__find_if7functorIS9_EEEE10hipError_tPvRmT1_T2_T3_mT4_P12ihipStream_tbEUlT_E1_NS1_11comp_targetILNS1_3genE5ELNS1_11target_archE942ELNS1_3gpuE9ELNS1_3repE0EEENS1_30default_config_static_selectorELNS0_4arch9wavefront6targetE1EEEvS14_.has_recursion, 0
	.set _ZN7rocprim17ROCPRIM_400000_NS6detail17trampoline_kernelINS0_14default_configENS1_22reduce_config_selectorIN6thrust23THRUST_200600_302600_NS5tupleIblNS6_9null_typeES8_S8_S8_S8_S8_S8_S8_EEEEZNS1_11reduce_implILb1ES3_NS6_12zip_iteratorINS7_INS6_11hip_rocprim26transform_input_iterator_tIbNSD_35transform_pair_of_input_iterators_tIbNS6_6detail15normal_iteratorINS6_10device_ptrIKsEEEESL_NS6_8equal_toIsEEEENSG_9not_fun_tINSD_8identityEEEEENSD_19counting_iterator_tIlEES8_S8_S8_S8_S8_S8_S8_S8_EEEEPS9_S9_NSD_9__find_if7functorIS9_EEEE10hipError_tPvRmT1_T2_T3_mT4_P12ihipStream_tbEUlT_E1_NS1_11comp_targetILNS1_3genE5ELNS1_11target_archE942ELNS1_3gpuE9ELNS1_3repE0EEENS1_30default_config_static_selectorELNS0_4arch9wavefront6targetE1EEEvS14_.has_indirect_call, 0
	.section	.AMDGPU.csdata,"",@progbits
; Kernel info:
; codeLenInByte = 0
; TotalNumSgprs: 6
; NumVgprs: 0
; NumAgprs: 0
; TotalNumVgprs: 0
; ScratchSize: 0
; MemoryBound: 0
; FloatMode: 240
; IeeeMode: 1
; LDSByteSize: 0 bytes/workgroup (compile time only)
; SGPRBlocks: 0
; VGPRBlocks: 0
; NumSGPRsForWavesPerEU: 6
; NumVGPRsForWavesPerEU: 1
; AccumOffset: 4
; Occupancy: 8
; WaveLimiterHint : 0
; COMPUTE_PGM_RSRC2:SCRATCH_EN: 0
; COMPUTE_PGM_RSRC2:USER_SGPR: 2
; COMPUTE_PGM_RSRC2:TRAP_HANDLER: 0
; COMPUTE_PGM_RSRC2:TGID_X_EN: 1
; COMPUTE_PGM_RSRC2:TGID_Y_EN: 0
; COMPUTE_PGM_RSRC2:TGID_Z_EN: 0
; COMPUTE_PGM_RSRC2:TIDIG_COMP_CNT: 0
; COMPUTE_PGM_RSRC3_GFX90A:ACCUM_OFFSET: 0
; COMPUTE_PGM_RSRC3_GFX90A:TG_SPLIT: 0
	.section	.text._ZN7rocprim17ROCPRIM_400000_NS6detail17trampoline_kernelINS0_14default_configENS1_22reduce_config_selectorIN6thrust23THRUST_200600_302600_NS5tupleIblNS6_9null_typeES8_S8_S8_S8_S8_S8_S8_EEEEZNS1_11reduce_implILb1ES3_NS6_12zip_iteratorINS7_INS6_11hip_rocprim26transform_input_iterator_tIbNSD_35transform_pair_of_input_iterators_tIbNS6_6detail15normal_iteratorINS6_10device_ptrIKsEEEESL_NS6_8equal_toIsEEEENSG_9not_fun_tINSD_8identityEEEEENSD_19counting_iterator_tIlEES8_S8_S8_S8_S8_S8_S8_S8_EEEEPS9_S9_NSD_9__find_if7functorIS9_EEEE10hipError_tPvRmT1_T2_T3_mT4_P12ihipStream_tbEUlT_E1_NS1_11comp_targetILNS1_3genE4ELNS1_11target_archE910ELNS1_3gpuE8ELNS1_3repE0EEENS1_30default_config_static_selectorELNS0_4arch9wavefront6targetE1EEEvS14_,"axG",@progbits,_ZN7rocprim17ROCPRIM_400000_NS6detail17trampoline_kernelINS0_14default_configENS1_22reduce_config_selectorIN6thrust23THRUST_200600_302600_NS5tupleIblNS6_9null_typeES8_S8_S8_S8_S8_S8_S8_EEEEZNS1_11reduce_implILb1ES3_NS6_12zip_iteratorINS7_INS6_11hip_rocprim26transform_input_iterator_tIbNSD_35transform_pair_of_input_iterators_tIbNS6_6detail15normal_iteratorINS6_10device_ptrIKsEEEESL_NS6_8equal_toIsEEEENSG_9not_fun_tINSD_8identityEEEEENSD_19counting_iterator_tIlEES8_S8_S8_S8_S8_S8_S8_S8_EEEEPS9_S9_NSD_9__find_if7functorIS9_EEEE10hipError_tPvRmT1_T2_T3_mT4_P12ihipStream_tbEUlT_E1_NS1_11comp_targetILNS1_3genE4ELNS1_11target_archE910ELNS1_3gpuE8ELNS1_3repE0EEENS1_30default_config_static_selectorELNS0_4arch9wavefront6targetE1EEEvS14_,comdat
	.protected	_ZN7rocprim17ROCPRIM_400000_NS6detail17trampoline_kernelINS0_14default_configENS1_22reduce_config_selectorIN6thrust23THRUST_200600_302600_NS5tupleIblNS6_9null_typeES8_S8_S8_S8_S8_S8_S8_EEEEZNS1_11reduce_implILb1ES3_NS6_12zip_iteratorINS7_INS6_11hip_rocprim26transform_input_iterator_tIbNSD_35transform_pair_of_input_iterators_tIbNS6_6detail15normal_iteratorINS6_10device_ptrIKsEEEESL_NS6_8equal_toIsEEEENSG_9not_fun_tINSD_8identityEEEEENSD_19counting_iterator_tIlEES8_S8_S8_S8_S8_S8_S8_S8_EEEEPS9_S9_NSD_9__find_if7functorIS9_EEEE10hipError_tPvRmT1_T2_T3_mT4_P12ihipStream_tbEUlT_E1_NS1_11comp_targetILNS1_3genE4ELNS1_11target_archE910ELNS1_3gpuE8ELNS1_3repE0EEENS1_30default_config_static_selectorELNS0_4arch9wavefront6targetE1EEEvS14_ ; -- Begin function _ZN7rocprim17ROCPRIM_400000_NS6detail17trampoline_kernelINS0_14default_configENS1_22reduce_config_selectorIN6thrust23THRUST_200600_302600_NS5tupleIblNS6_9null_typeES8_S8_S8_S8_S8_S8_S8_EEEEZNS1_11reduce_implILb1ES3_NS6_12zip_iteratorINS7_INS6_11hip_rocprim26transform_input_iterator_tIbNSD_35transform_pair_of_input_iterators_tIbNS6_6detail15normal_iteratorINS6_10device_ptrIKsEEEESL_NS6_8equal_toIsEEEENSG_9not_fun_tINSD_8identityEEEEENSD_19counting_iterator_tIlEES8_S8_S8_S8_S8_S8_S8_S8_EEEEPS9_S9_NSD_9__find_if7functorIS9_EEEE10hipError_tPvRmT1_T2_T3_mT4_P12ihipStream_tbEUlT_E1_NS1_11comp_targetILNS1_3genE4ELNS1_11target_archE910ELNS1_3gpuE8ELNS1_3repE0EEENS1_30default_config_static_selectorELNS0_4arch9wavefront6targetE1EEEvS14_
	.globl	_ZN7rocprim17ROCPRIM_400000_NS6detail17trampoline_kernelINS0_14default_configENS1_22reduce_config_selectorIN6thrust23THRUST_200600_302600_NS5tupleIblNS6_9null_typeES8_S8_S8_S8_S8_S8_S8_EEEEZNS1_11reduce_implILb1ES3_NS6_12zip_iteratorINS7_INS6_11hip_rocprim26transform_input_iterator_tIbNSD_35transform_pair_of_input_iterators_tIbNS6_6detail15normal_iteratorINS6_10device_ptrIKsEEEESL_NS6_8equal_toIsEEEENSG_9not_fun_tINSD_8identityEEEEENSD_19counting_iterator_tIlEES8_S8_S8_S8_S8_S8_S8_S8_EEEEPS9_S9_NSD_9__find_if7functorIS9_EEEE10hipError_tPvRmT1_T2_T3_mT4_P12ihipStream_tbEUlT_E1_NS1_11comp_targetILNS1_3genE4ELNS1_11target_archE910ELNS1_3gpuE8ELNS1_3repE0EEENS1_30default_config_static_selectorELNS0_4arch9wavefront6targetE1EEEvS14_
	.p2align	8
	.type	_ZN7rocprim17ROCPRIM_400000_NS6detail17trampoline_kernelINS0_14default_configENS1_22reduce_config_selectorIN6thrust23THRUST_200600_302600_NS5tupleIblNS6_9null_typeES8_S8_S8_S8_S8_S8_S8_EEEEZNS1_11reduce_implILb1ES3_NS6_12zip_iteratorINS7_INS6_11hip_rocprim26transform_input_iterator_tIbNSD_35transform_pair_of_input_iterators_tIbNS6_6detail15normal_iteratorINS6_10device_ptrIKsEEEESL_NS6_8equal_toIsEEEENSG_9not_fun_tINSD_8identityEEEEENSD_19counting_iterator_tIlEES8_S8_S8_S8_S8_S8_S8_S8_EEEEPS9_S9_NSD_9__find_if7functorIS9_EEEE10hipError_tPvRmT1_T2_T3_mT4_P12ihipStream_tbEUlT_E1_NS1_11comp_targetILNS1_3genE4ELNS1_11target_archE910ELNS1_3gpuE8ELNS1_3repE0EEENS1_30default_config_static_selectorELNS0_4arch9wavefront6targetE1EEEvS14_,@function
_ZN7rocprim17ROCPRIM_400000_NS6detail17trampoline_kernelINS0_14default_configENS1_22reduce_config_selectorIN6thrust23THRUST_200600_302600_NS5tupleIblNS6_9null_typeES8_S8_S8_S8_S8_S8_S8_EEEEZNS1_11reduce_implILb1ES3_NS6_12zip_iteratorINS7_INS6_11hip_rocprim26transform_input_iterator_tIbNSD_35transform_pair_of_input_iterators_tIbNS6_6detail15normal_iteratorINS6_10device_ptrIKsEEEESL_NS6_8equal_toIsEEEENSG_9not_fun_tINSD_8identityEEEEENSD_19counting_iterator_tIlEES8_S8_S8_S8_S8_S8_S8_S8_EEEEPS9_S9_NSD_9__find_if7functorIS9_EEEE10hipError_tPvRmT1_T2_T3_mT4_P12ihipStream_tbEUlT_E1_NS1_11comp_targetILNS1_3genE4ELNS1_11target_archE910ELNS1_3gpuE8ELNS1_3repE0EEENS1_30default_config_static_selectorELNS0_4arch9wavefront6targetE1EEEvS14_: ; @_ZN7rocprim17ROCPRIM_400000_NS6detail17trampoline_kernelINS0_14default_configENS1_22reduce_config_selectorIN6thrust23THRUST_200600_302600_NS5tupleIblNS6_9null_typeES8_S8_S8_S8_S8_S8_S8_EEEEZNS1_11reduce_implILb1ES3_NS6_12zip_iteratorINS7_INS6_11hip_rocprim26transform_input_iterator_tIbNSD_35transform_pair_of_input_iterators_tIbNS6_6detail15normal_iteratorINS6_10device_ptrIKsEEEESL_NS6_8equal_toIsEEEENSG_9not_fun_tINSD_8identityEEEEENSD_19counting_iterator_tIlEES8_S8_S8_S8_S8_S8_S8_S8_EEEEPS9_S9_NSD_9__find_if7functorIS9_EEEE10hipError_tPvRmT1_T2_T3_mT4_P12ihipStream_tbEUlT_E1_NS1_11comp_targetILNS1_3genE4ELNS1_11target_archE910ELNS1_3gpuE8ELNS1_3repE0EEENS1_30default_config_static_selectorELNS0_4arch9wavefront6targetE1EEEvS14_
; %bb.0:
	.section	.rodata,"a",@progbits
	.p2align	6, 0x0
	.amdhsa_kernel _ZN7rocprim17ROCPRIM_400000_NS6detail17trampoline_kernelINS0_14default_configENS1_22reduce_config_selectorIN6thrust23THRUST_200600_302600_NS5tupleIblNS6_9null_typeES8_S8_S8_S8_S8_S8_S8_EEEEZNS1_11reduce_implILb1ES3_NS6_12zip_iteratorINS7_INS6_11hip_rocprim26transform_input_iterator_tIbNSD_35transform_pair_of_input_iterators_tIbNS6_6detail15normal_iteratorINS6_10device_ptrIKsEEEESL_NS6_8equal_toIsEEEENSG_9not_fun_tINSD_8identityEEEEENSD_19counting_iterator_tIlEES8_S8_S8_S8_S8_S8_S8_S8_EEEEPS9_S9_NSD_9__find_if7functorIS9_EEEE10hipError_tPvRmT1_T2_T3_mT4_P12ihipStream_tbEUlT_E1_NS1_11comp_targetILNS1_3genE4ELNS1_11target_archE910ELNS1_3gpuE8ELNS1_3repE0EEENS1_30default_config_static_selectorELNS0_4arch9wavefront6targetE1EEEvS14_
		.amdhsa_group_segment_fixed_size 0
		.amdhsa_private_segment_fixed_size 0
		.amdhsa_kernarg_size 88
		.amdhsa_user_sgpr_count 2
		.amdhsa_user_sgpr_dispatch_ptr 0
		.amdhsa_user_sgpr_queue_ptr 0
		.amdhsa_user_sgpr_kernarg_segment_ptr 1
		.amdhsa_user_sgpr_dispatch_id 0
		.amdhsa_user_sgpr_kernarg_preload_length 0
		.amdhsa_user_sgpr_kernarg_preload_offset 0
		.amdhsa_user_sgpr_private_segment_size 0
		.amdhsa_uses_dynamic_stack 0
		.amdhsa_enable_private_segment 0
		.amdhsa_system_sgpr_workgroup_id_x 1
		.amdhsa_system_sgpr_workgroup_id_y 0
		.amdhsa_system_sgpr_workgroup_id_z 0
		.amdhsa_system_sgpr_workgroup_info 0
		.amdhsa_system_vgpr_workitem_id 0
		.amdhsa_next_free_vgpr 1
		.amdhsa_next_free_sgpr 0
		.amdhsa_accum_offset 4
		.amdhsa_reserve_vcc 0
		.amdhsa_float_round_mode_32 0
		.amdhsa_float_round_mode_16_64 0
		.amdhsa_float_denorm_mode_32 3
		.amdhsa_float_denorm_mode_16_64 3
		.amdhsa_dx10_clamp 1
		.amdhsa_ieee_mode 1
		.amdhsa_fp16_overflow 0
		.amdhsa_tg_split 0
		.amdhsa_exception_fp_ieee_invalid_op 0
		.amdhsa_exception_fp_denorm_src 0
		.amdhsa_exception_fp_ieee_div_zero 0
		.amdhsa_exception_fp_ieee_overflow 0
		.amdhsa_exception_fp_ieee_underflow 0
		.amdhsa_exception_fp_ieee_inexact 0
		.amdhsa_exception_int_div_zero 0
	.end_amdhsa_kernel
	.section	.text._ZN7rocprim17ROCPRIM_400000_NS6detail17trampoline_kernelINS0_14default_configENS1_22reduce_config_selectorIN6thrust23THRUST_200600_302600_NS5tupleIblNS6_9null_typeES8_S8_S8_S8_S8_S8_S8_EEEEZNS1_11reduce_implILb1ES3_NS6_12zip_iteratorINS7_INS6_11hip_rocprim26transform_input_iterator_tIbNSD_35transform_pair_of_input_iterators_tIbNS6_6detail15normal_iteratorINS6_10device_ptrIKsEEEESL_NS6_8equal_toIsEEEENSG_9not_fun_tINSD_8identityEEEEENSD_19counting_iterator_tIlEES8_S8_S8_S8_S8_S8_S8_S8_EEEEPS9_S9_NSD_9__find_if7functorIS9_EEEE10hipError_tPvRmT1_T2_T3_mT4_P12ihipStream_tbEUlT_E1_NS1_11comp_targetILNS1_3genE4ELNS1_11target_archE910ELNS1_3gpuE8ELNS1_3repE0EEENS1_30default_config_static_selectorELNS0_4arch9wavefront6targetE1EEEvS14_,"axG",@progbits,_ZN7rocprim17ROCPRIM_400000_NS6detail17trampoline_kernelINS0_14default_configENS1_22reduce_config_selectorIN6thrust23THRUST_200600_302600_NS5tupleIblNS6_9null_typeES8_S8_S8_S8_S8_S8_S8_EEEEZNS1_11reduce_implILb1ES3_NS6_12zip_iteratorINS7_INS6_11hip_rocprim26transform_input_iterator_tIbNSD_35transform_pair_of_input_iterators_tIbNS6_6detail15normal_iteratorINS6_10device_ptrIKsEEEESL_NS6_8equal_toIsEEEENSG_9not_fun_tINSD_8identityEEEEENSD_19counting_iterator_tIlEES8_S8_S8_S8_S8_S8_S8_S8_EEEEPS9_S9_NSD_9__find_if7functorIS9_EEEE10hipError_tPvRmT1_T2_T3_mT4_P12ihipStream_tbEUlT_E1_NS1_11comp_targetILNS1_3genE4ELNS1_11target_archE910ELNS1_3gpuE8ELNS1_3repE0EEENS1_30default_config_static_selectorELNS0_4arch9wavefront6targetE1EEEvS14_,comdat
.Lfunc_end1707:
	.size	_ZN7rocprim17ROCPRIM_400000_NS6detail17trampoline_kernelINS0_14default_configENS1_22reduce_config_selectorIN6thrust23THRUST_200600_302600_NS5tupleIblNS6_9null_typeES8_S8_S8_S8_S8_S8_S8_EEEEZNS1_11reduce_implILb1ES3_NS6_12zip_iteratorINS7_INS6_11hip_rocprim26transform_input_iterator_tIbNSD_35transform_pair_of_input_iterators_tIbNS6_6detail15normal_iteratorINS6_10device_ptrIKsEEEESL_NS6_8equal_toIsEEEENSG_9not_fun_tINSD_8identityEEEEENSD_19counting_iterator_tIlEES8_S8_S8_S8_S8_S8_S8_S8_EEEEPS9_S9_NSD_9__find_if7functorIS9_EEEE10hipError_tPvRmT1_T2_T3_mT4_P12ihipStream_tbEUlT_E1_NS1_11comp_targetILNS1_3genE4ELNS1_11target_archE910ELNS1_3gpuE8ELNS1_3repE0EEENS1_30default_config_static_selectorELNS0_4arch9wavefront6targetE1EEEvS14_, .Lfunc_end1707-_ZN7rocprim17ROCPRIM_400000_NS6detail17trampoline_kernelINS0_14default_configENS1_22reduce_config_selectorIN6thrust23THRUST_200600_302600_NS5tupleIblNS6_9null_typeES8_S8_S8_S8_S8_S8_S8_EEEEZNS1_11reduce_implILb1ES3_NS6_12zip_iteratorINS7_INS6_11hip_rocprim26transform_input_iterator_tIbNSD_35transform_pair_of_input_iterators_tIbNS6_6detail15normal_iteratorINS6_10device_ptrIKsEEEESL_NS6_8equal_toIsEEEENSG_9not_fun_tINSD_8identityEEEEENSD_19counting_iterator_tIlEES8_S8_S8_S8_S8_S8_S8_S8_EEEEPS9_S9_NSD_9__find_if7functorIS9_EEEE10hipError_tPvRmT1_T2_T3_mT4_P12ihipStream_tbEUlT_E1_NS1_11comp_targetILNS1_3genE4ELNS1_11target_archE910ELNS1_3gpuE8ELNS1_3repE0EEENS1_30default_config_static_selectorELNS0_4arch9wavefront6targetE1EEEvS14_
                                        ; -- End function
	.set _ZN7rocprim17ROCPRIM_400000_NS6detail17trampoline_kernelINS0_14default_configENS1_22reduce_config_selectorIN6thrust23THRUST_200600_302600_NS5tupleIblNS6_9null_typeES8_S8_S8_S8_S8_S8_S8_EEEEZNS1_11reduce_implILb1ES3_NS6_12zip_iteratorINS7_INS6_11hip_rocprim26transform_input_iterator_tIbNSD_35transform_pair_of_input_iterators_tIbNS6_6detail15normal_iteratorINS6_10device_ptrIKsEEEESL_NS6_8equal_toIsEEEENSG_9not_fun_tINSD_8identityEEEEENSD_19counting_iterator_tIlEES8_S8_S8_S8_S8_S8_S8_S8_EEEEPS9_S9_NSD_9__find_if7functorIS9_EEEE10hipError_tPvRmT1_T2_T3_mT4_P12ihipStream_tbEUlT_E1_NS1_11comp_targetILNS1_3genE4ELNS1_11target_archE910ELNS1_3gpuE8ELNS1_3repE0EEENS1_30default_config_static_selectorELNS0_4arch9wavefront6targetE1EEEvS14_.num_vgpr, 0
	.set _ZN7rocprim17ROCPRIM_400000_NS6detail17trampoline_kernelINS0_14default_configENS1_22reduce_config_selectorIN6thrust23THRUST_200600_302600_NS5tupleIblNS6_9null_typeES8_S8_S8_S8_S8_S8_S8_EEEEZNS1_11reduce_implILb1ES3_NS6_12zip_iteratorINS7_INS6_11hip_rocprim26transform_input_iterator_tIbNSD_35transform_pair_of_input_iterators_tIbNS6_6detail15normal_iteratorINS6_10device_ptrIKsEEEESL_NS6_8equal_toIsEEEENSG_9not_fun_tINSD_8identityEEEEENSD_19counting_iterator_tIlEES8_S8_S8_S8_S8_S8_S8_S8_EEEEPS9_S9_NSD_9__find_if7functorIS9_EEEE10hipError_tPvRmT1_T2_T3_mT4_P12ihipStream_tbEUlT_E1_NS1_11comp_targetILNS1_3genE4ELNS1_11target_archE910ELNS1_3gpuE8ELNS1_3repE0EEENS1_30default_config_static_selectorELNS0_4arch9wavefront6targetE1EEEvS14_.num_agpr, 0
	.set _ZN7rocprim17ROCPRIM_400000_NS6detail17trampoline_kernelINS0_14default_configENS1_22reduce_config_selectorIN6thrust23THRUST_200600_302600_NS5tupleIblNS6_9null_typeES8_S8_S8_S8_S8_S8_S8_EEEEZNS1_11reduce_implILb1ES3_NS6_12zip_iteratorINS7_INS6_11hip_rocprim26transform_input_iterator_tIbNSD_35transform_pair_of_input_iterators_tIbNS6_6detail15normal_iteratorINS6_10device_ptrIKsEEEESL_NS6_8equal_toIsEEEENSG_9not_fun_tINSD_8identityEEEEENSD_19counting_iterator_tIlEES8_S8_S8_S8_S8_S8_S8_S8_EEEEPS9_S9_NSD_9__find_if7functorIS9_EEEE10hipError_tPvRmT1_T2_T3_mT4_P12ihipStream_tbEUlT_E1_NS1_11comp_targetILNS1_3genE4ELNS1_11target_archE910ELNS1_3gpuE8ELNS1_3repE0EEENS1_30default_config_static_selectorELNS0_4arch9wavefront6targetE1EEEvS14_.numbered_sgpr, 0
	.set _ZN7rocprim17ROCPRIM_400000_NS6detail17trampoline_kernelINS0_14default_configENS1_22reduce_config_selectorIN6thrust23THRUST_200600_302600_NS5tupleIblNS6_9null_typeES8_S8_S8_S8_S8_S8_S8_EEEEZNS1_11reduce_implILb1ES3_NS6_12zip_iteratorINS7_INS6_11hip_rocprim26transform_input_iterator_tIbNSD_35transform_pair_of_input_iterators_tIbNS6_6detail15normal_iteratorINS6_10device_ptrIKsEEEESL_NS6_8equal_toIsEEEENSG_9not_fun_tINSD_8identityEEEEENSD_19counting_iterator_tIlEES8_S8_S8_S8_S8_S8_S8_S8_EEEEPS9_S9_NSD_9__find_if7functorIS9_EEEE10hipError_tPvRmT1_T2_T3_mT4_P12ihipStream_tbEUlT_E1_NS1_11comp_targetILNS1_3genE4ELNS1_11target_archE910ELNS1_3gpuE8ELNS1_3repE0EEENS1_30default_config_static_selectorELNS0_4arch9wavefront6targetE1EEEvS14_.num_named_barrier, 0
	.set _ZN7rocprim17ROCPRIM_400000_NS6detail17trampoline_kernelINS0_14default_configENS1_22reduce_config_selectorIN6thrust23THRUST_200600_302600_NS5tupleIblNS6_9null_typeES8_S8_S8_S8_S8_S8_S8_EEEEZNS1_11reduce_implILb1ES3_NS6_12zip_iteratorINS7_INS6_11hip_rocprim26transform_input_iterator_tIbNSD_35transform_pair_of_input_iterators_tIbNS6_6detail15normal_iteratorINS6_10device_ptrIKsEEEESL_NS6_8equal_toIsEEEENSG_9not_fun_tINSD_8identityEEEEENSD_19counting_iterator_tIlEES8_S8_S8_S8_S8_S8_S8_S8_EEEEPS9_S9_NSD_9__find_if7functorIS9_EEEE10hipError_tPvRmT1_T2_T3_mT4_P12ihipStream_tbEUlT_E1_NS1_11comp_targetILNS1_3genE4ELNS1_11target_archE910ELNS1_3gpuE8ELNS1_3repE0EEENS1_30default_config_static_selectorELNS0_4arch9wavefront6targetE1EEEvS14_.private_seg_size, 0
	.set _ZN7rocprim17ROCPRIM_400000_NS6detail17trampoline_kernelINS0_14default_configENS1_22reduce_config_selectorIN6thrust23THRUST_200600_302600_NS5tupleIblNS6_9null_typeES8_S8_S8_S8_S8_S8_S8_EEEEZNS1_11reduce_implILb1ES3_NS6_12zip_iteratorINS7_INS6_11hip_rocprim26transform_input_iterator_tIbNSD_35transform_pair_of_input_iterators_tIbNS6_6detail15normal_iteratorINS6_10device_ptrIKsEEEESL_NS6_8equal_toIsEEEENSG_9not_fun_tINSD_8identityEEEEENSD_19counting_iterator_tIlEES8_S8_S8_S8_S8_S8_S8_S8_EEEEPS9_S9_NSD_9__find_if7functorIS9_EEEE10hipError_tPvRmT1_T2_T3_mT4_P12ihipStream_tbEUlT_E1_NS1_11comp_targetILNS1_3genE4ELNS1_11target_archE910ELNS1_3gpuE8ELNS1_3repE0EEENS1_30default_config_static_selectorELNS0_4arch9wavefront6targetE1EEEvS14_.uses_vcc, 0
	.set _ZN7rocprim17ROCPRIM_400000_NS6detail17trampoline_kernelINS0_14default_configENS1_22reduce_config_selectorIN6thrust23THRUST_200600_302600_NS5tupleIblNS6_9null_typeES8_S8_S8_S8_S8_S8_S8_EEEEZNS1_11reduce_implILb1ES3_NS6_12zip_iteratorINS7_INS6_11hip_rocprim26transform_input_iterator_tIbNSD_35transform_pair_of_input_iterators_tIbNS6_6detail15normal_iteratorINS6_10device_ptrIKsEEEESL_NS6_8equal_toIsEEEENSG_9not_fun_tINSD_8identityEEEEENSD_19counting_iterator_tIlEES8_S8_S8_S8_S8_S8_S8_S8_EEEEPS9_S9_NSD_9__find_if7functorIS9_EEEE10hipError_tPvRmT1_T2_T3_mT4_P12ihipStream_tbEUlT_E1_NS1_11comp_targetILNS1_3genE4ELNS1_11target_archE910ELNS1_3gpuE8ELNS1_3repE0EEENS1_30default_config_static_selectorELNS0_4arch9wavefront6targetE1EEEvS14_.uses_flat_scratch, 0
	.set _ZN7rocprim17ROCPRIM_400000_NS6detail17trampoline_kernelINS0_14default_configENS1_22reduce_config_selectorIN6thrust23THRUST_200600_302600_NS5tupleIblNS6_9null_typeES8_S8_S8_S8_S8_S8_S8_EEEEZNS1_11reduce_implILb1ES3_NS6_12zip_iteratorINS7_INS6_11hip_rocprim26transform_input_iterator_tIbNSD_35transform_pair_of_input_iterators_tIbNS6_6detail15normal_iteratorINS6_10device_ptrIKsEEEESL_NS6_8equal_toIsEEEENSG_9not_fun_tINSD_8identityEEEEENSD_19counting_iterator_tIlEES8_S8_S8_S8_S8_S8_S8_S8_EEEEPS9_S9_NSD_9__find_if7functorIS9_EEEE10hipError_tPvRmT1_T2_T3_mT4_P12ihipStream_tbEUlT_E1_NS1_11comp_targetILNS1_3genE4ELNS1_11target_archE910ELNS1_3gpuE8ELNS1_3repE0EEENS1_30default_config_static_selectorELNS0_4arch9wavefront6targetE1EEEvS14_.has_dyn_sized_stack, 0
	.set _ZN7rocprim17ROCPRIM_400000_NS6detail17trampoline_kernelINS0_14default_configENS1_22reduce_config_selectorIN6thrust23THRUST_200600_302600_NS5tupleIblNS6_9null_typeES8_S8_S8_S8_S8_S8_S8_EEEEZNS1_11reduce_implILb1ES3_NS6_12zip_iteratorINS7_INS6_11hip_rocprim26transform_input_iterator_tIbNSD_35transform_pair_of_input_iterators_tIbNS6_6detail15normal_iteratorINS6_10device_ptrIKsEEEESL_NS6_8equal_toIsEEEENSG_9not_fun_tINSD_8identityEEEEENSD_19counting_iterator_tIlEES8_S8_S8_S8_S8_S8_S8_S8_EEEEPS9_S9_NSD_9__find_if7functorIS9_EEEE10hipError_tPvRmT1_T2_T3_mT4_P12ihipStream_tbEUlT_E1_NS1_11comp_targetILNS1_3genE4ELNS1_11target_archE910ELNS1_3gpuE8ELNS1_3repE0EEENS1_30default_config_static_selectorELNS0_4arch9wavefront6targetE1EEEvS14_.has_recursion, 0
	.set _ZN7rocprim17ROCPRIM_400000_NS6detail17trampoline_kernelINS0_14default_configENS1_22reduce_config_selectorIN6thrust23THRUST_200600_302600_NS5tupleIblNS6_9null_typeES8_S8_S8_S8_S8_S8_S8_EEEEZNS1_11reduce_implILb1ES3_NS6_12zip_iteratorINS7_INS6_11hip_rocprim26transform_input_iterator_tIbNSD_35transform_pair_of_input_iterators_tIbNS6_6detail15normal_iteratorINS6_10device_ptrIKsEEEESL_NS6_8equal_toIsEEEENSG_9not_fun_tINSD_8identityEEEEENSD_19counting_iterator_tIlEES8_S8_S8_S8_S8_S8_S8_S8_EEEEPS9_S9_NSD_9__find_if7functorIS9_EEEE10hipError_tPvRmT1_T2_T3_mT4_P12ihipStream_tbEUlT_E1_NS1_11comp_targetILNS1_3genE4ELNS1_11target_archE910ELNS1_3gpuE8ELNS1_3repE0EEENS1_30default_config_static_selectorELNS0_4arch9wavefront6targetE1EEEvS14_.has_indirect_call, 0
	.section	.AMDGPU.csdata,"",@progbits
; Kernel info:
; codeLenInByte = 0
; TotalNumSgprs: 6
; NumVgprs: 0
; NumAgprs: 0
; TotalNumVgprs: 0
; ScratchSize: 0
; MemoryBound: 0
; FloatMode: 240
; IeeeMode: 1
; LDSByteSize: 0 bytes/workgroup (compile time only)
; SGPRBlocks: 0
; VGPRBlocks: 0
; NumSGPRsForWavesPerEU: 6
; NumVGPRsForWavesPerEU: 1
; AccumOffset: 4
; Occupancy: 8
; WaveLimiterHint : 0
; COMPUTE_PGM_RSRC2:SCRATCH_EN: 0
; COMPUTE_PGM_RSRC2:USER_SGPR: 2
; COMPUTE_PGM_RSRC2:TRAP_HANDLER: 0
; COMPUTE_PGM_RSRC2:TGID_X_EN: 1
; COMPUTE_PGM_RSRC2:TGID_Y_EN: 0
; COMPUTE_PGM_RSRC2:TGID_Z_EN: 0
; COMPUTE_PGM_RSRC2:TIDIG_COMP_CNT: 0
; COMPUTE_PGM_RSRC3_GFX90A:ACCUM_OFFSET: 0
; COMPUTE_PGM_RSRC3_GFX90A:TG_SPLIT: 0
	.section	.text._ZN7rocprim17ROCPRIM_400000_NS6detail17trampoline_kernelINS0_14default_configENS1_22reduce_config_selectorIN6thrust23THRUST_200600_302600_NS5tupleIblNS6_9null_typeES8_S8_S8_S8_S8_S8_S8_EEEEZNS1_11reduce_implILb1ES3_NS6_12zip_iteratorINS7_INS6_11hip_rocprim26transform_input_iterator_tIbNSD_35transform_pair_of_input_iterators_tIbNS6_6detail15normal_iteratorINS6_10device_ptrIKsEEEESL_NS6_8equal_toIsEEEENSG_9not_fun_tINSD_8identityEEEEENSD_19counting_iterator_tIlEES8_S8_S8_S8_S8_S8_S8_S8_EEEEPS9_S9_NSD_9__find_if7functorIS9_EEEE10hipError_tPvRmT1_T2_T3_mT4_P12ihipStream_tbEUlT_E1_NS1_11comp_targetILNS1_3genE3ELNS1_11target_archE908ELNS1_3gpuE7ELNS1_3repE0EEENS1_30default_config_static_selectorELNS0_4arch9wavefront6targetE1EEEvS14_,"axG",@progbits,_ZN7rocprim17ROCPRIM_400000_NS6detail17trampoline_kernelINS0_14default_configENS1_22reduce_config_selectorIN6thrust23THRUST_200600_302600_NS5tupleIblNS6_9null_typeES8_S8_S8_S8_S8_S8_S8_EEEEZNS1_11reduce_implILb1ES3_NS6_12zip_iteratorINS7_INS6_11hip_rocprim26transform_input_iterator_tIbNSD_35transform_pair_of_input_iterators_tIbNS6_6detail15normal_iteratorINS6_10device_ptrIKsEEEESL_NS6_8equal_toIsEEEENSG_9not_fun_tINSD_8identityEEEEENSD_19counting_iterator_tIlEES8_S8_S8_S8_S8_S8_S8_S8_EEEEPS9_S9_NSD_9__find_if7functorIS9_EEEE10hipError_tPvRmT1_T2_T3_mT4_P12ihipStream_tbEUlT_E1_NS1_11comp_targetILNS1_3genE3ELNS1_11target_archE908ELNS1_3gpuE7ELNS1_3repE0EEENS1_30default_config_static_selectorELNS0_4arch9wavefront6targetE1EEEvS14_,comdat
	.protected	_ZN7rocprim17ROCPRIM_400000_NS6detail17trampoline_kernelINS0_14default_configENS1_22reduce_config_selectorIN6thrust23THRUST_200600_302600_NS5tupleIblNS6_9null_typeES8_S8_S8_S8_S8_S8_S8_EEEEZNS1_11reduce_implILb1ES3_NS6_12zip_iteratorINS7_INS6_11hip_rocprim26transform_input_iterator_tIbNSD_35transform_pair_of_input_iterators_tIbNS6_6detail15normal_iteratorINS6_10device_ptrIKsEEEESL_NS6_8equal_toIsEEEENSG_9not_fun_tINSD_8identityEEEEENSD_19counting_iterator_tIlEES8_S8_S8_S8_S8_S8_S8_S8_EEEEPS9_S9_NSD_9__find_if7functorIS9_EEEE10hipError_tPvRmT1_T2_T3_mT4_P12ihipStream_tbEUlT_E1_NS1_11comp_targetILNS1_3genE3ELNS1_11target_archE908ELNS1_3gpuE7ELNS1_3repE0EEENS1_30default_config_static_selectorELNS0_4arch9wavefront6targetE1EEEvS14_ ; -- Begin function _ZN7rocprim17ROCPRIM_400000_NS6detail17trampoline_kernelINS0_14default_configENS1_22reduce_config_selectorIN6thrust23THRUST_200600_302600_NS5tupleIblNS6_9null_typeES8_S8_S8_S8_S8_S8_S8_EEEEZNS1_11reduce_implILb1ES3_NS6_12zip_iteratorINS7_INS6_11hip_rocprim26transform_input_iterator_tIbNSD_35transform_pair_of_input_iterators_tIbNS6_6detail15normal_iteratorINS6_10device_ptrIKsEEEESL_NS6_8equal_toIsEEEENSG_9not_fun_tINSD_8identityEEEEENSD_19counting_iterator_tIlEES8_S8_S8_S8_S8_S8_S8_S8_EEEEPS9_S9_NSD_9__find_if7functorIS9_EEEE10hipError_tPvRmT1_T2_T3_mT4_P12ihipStream_tbEUlT_E1_NS1_11comp_targetILNS1_3genE3ELNS1_11target_archE908ELNS1_3gpuE7ELNS1_3repE0EEENS1_30default_config_static_selectorELNS0_4arch9wavefront6targetE1EEEvS14_
	.globl	_ZN7rocprim17ROCPRIM_400000_NS6detail17trampoline_kernelINS0_14default_configENS1_22reduce_config_selectorIN6thrust23THRUST_200600_302600_NS5tupleIblNS6_9null_typeES8_S8_S8_S8_S8_S8_S8_EEEEZNS1_11reduce_implILb1ES3_NS6_12zip_iteratorINS7_INS6_11hip_rocprim26transform_input_iterator_tIbNSD_35transform_pair_of_input_iterators_tIbNS6_6detail15normal_iteratorINS6_10device_ptrIKsEEEESL_NS6_8equal_toIsEEEENSG_9not_fun_tINSD_8identityEEEEENSD_19counting_iterator_tIlEES8_S8_S8_S8_S8_S8_S8_S8_EEEEPS9_S9_NSD_9__find_if7functorIS9_EEEE10hipError_tPvRmT1_T2_T3_mT4_P12ihipStream_tbEUlT_E1_NS1_11comp_targetILNS1_3genE3ELNS1_11target_archE908ELNS1_3gpuE7ELNS1_3repE0EEENS1_30default_config_static_selectorELNS0_4arch9wavefront6targetE1EEEvS14_
	.p2align	8
	.type	_ZN7rocprim17ROCPRIM_400000_NS6detail17trampoline_kernelINS0_14default_configENS1_22reduce_config_selectorIN6thrust23THRUST_200600_302600_NS5tupleIblNS6_9null_typeES8_S8_S8_S8_S8_S8_S8_EEEEZNS1_11reduce_implILb1ES3_NS6_12zip_iteratorINS7_INS6_11hip_rocprim26transform_input_iterator_tIbNSD_35transform_pair_of_input_iterators_tIbNS6_6detail15normal_iteratorINS6_10device_ptrIKsEEEESL_NS6_8equal_toIsEEEENSG_9not_fun_tINSD_8identityEEEEENSD_19counting_iterator_tIlEES8_S8_S8_S8_S8_S8_S8_S8_EEEEPS9_S9_NSD_9__find_if7functorIS9_EEEE10hipError_tPvRmT1_T2_T3_mT4_P12ihipStream_tbEUlT_E1_NS1_11comp_targetILNS1_3genE3ELNS1_11target_archE908ELNS1_3gpuE7ELNS1_3repE0EEENS1_30default_config_static_selectorELNS0_4arch9wavefront6targetE1EEEvS14_,@function
_ZN7rocprim17ROCPRIM_400000_NS6detail17trampoline_kernelINS0_14default_configENS1_22reduce_config_selectorIN6thrust23THRUST_200600_302600_NS5tupleIblNS6_9null_typeES8_S8_S8_S8_S8_S8_S8_EEEEZNS1_11reduce_implILb1ES3_NS6_12zip_iteratorINS7_INS6_11hip_rocprim26transform_input_iterator_tIbNSD_35transform_pair_of_input_iterators_tIbNS6_6detail15normal_iteratorINS6_10device_ptrIKsEEEESL_NS6_8equal_toIsEEEENSG_9not_fun_tINSD_8identityEEEEENSD_19counting_iterator_tIlEES8_S8_S8_S8_S8_S8_S8_S8_EEEEPS9_S9_NSD_9__find_if7functorIS9_EEEE10hipError_tPvRmT1_T2_T3_mT4_P12ihipStream_tbEUlT_E1_NS1_11comp_targetILNS1_3genE3ELNS1_11target_archE908ELNS1_3gpuE7ELNS1_3repE0EEENS1_30default_config_static_selectorELNS0_4arch9wavefront6targetE1EEEvS14_: ; @_ZN7rocprim17ROCPRIM_400000_NS6detail17trampoline_kernelINS0_14default_configENS1_22reduce_config_selectorIN6thrust23THRUST_200600_302600_NS5tupleIblNS6_9null_typeES8_S8_S8_S8_S8_S8_S8_EEEEZNS1_11reduce_implILb1ES3_NS6_12zip_iteratorINS7_INS6_11hip_rocprim26transform_input_iterator_tIbNSD_35transform_pair_of_input_iterators_tIbNS6_6detail15normal_iteratorINS6_10device_ptrIKsEEEESL_NS6_8equal_toIsEEEENSG_9not_fun_tINSD_8identityEEEEENSD_19counting_iterator_tIlEES8_S8_S8_S8_S8_S8_S8_S8_EEEEPS9_S9_NSD_9__find_if7functorIS9_EEEE10hipError_tPvRmT1_T2_T3_mT4_P12ihipStream_tbEUlT_E1_NS1_11comp_targetILNS1_3genE3ELNS1_11target_archE908ELNS1_3gpuE7ELNS1_3repE0EEENS1_30default_config_static_selectorELNS0_4arch9wavefront6targetE1EEEvS14_
; %bb.0:
	.section	.rodata,"a",@progbits
	.p2align	6, 0x0
	.amdhsa_kernel _ZN7rocprim17ROCPRIM_400000_NS6detail17trampoline_kernelINS0_14default_configENS1_22reduce_config_selectorIN6thrust23THRUST_200600_302600_NS5tupleIblNS6_9null_typeES8_S8_S8_S8_S8_S8_S8_EEEEZNS1_11reduce_implILb1ES3_NS6_12zip_iteratorINS7_INS6_11hip_rocprim26transform_input_iterator_tIbNSD_35transform_pair_of_input_iterators_tIbNS6_6detail15normal_iteratorINS6_10device_ptrIKsEEEESL_NS6_8equal_toIsEEEENSG_9not_fun_tINSD_8identityEEEEENSD_19counting_iterator_tIlEES8_S8_S8_S8_S8_S8_S8_S8_EEEEPS9_S9_NSD_9__find_if7functorIS9_EEEE10hipError_tPvRmT1_T2_T3_mT4_P12ihipStream_tbEUlT_E1_NS1_11comp_targetILNS1_3genE3ELNS1_11target_archE908ELNS1_3gpuE7ELNS1_3repE0EEENS1_30default_config_static_selectorELNS0_4arch9wavefront6targetE1EEEvS14_
		.amdhsa_group_segment_fixed_size 0
		.amdhsa_private_segment_fixed_size 0
		.amdhsa_kernarg_size 88
		.amdhsa_user_sgpr_count 2
		.amdhsa_user_sgpr_dispatch_ptr 0
		.amdhsa_user_sgpr_queue_ptr 0
		.amdhsa_user_sgpr_kernarg_segment_ptr 1
		.amdhsa_user_sgpr_dispatch_id 0
		.amdhsa_user_sgpr_kernarg_preload_length 0
		.amdhsa_user_sgpr_kernarg_preload_offset 0
		.amdhsa_user_sgpr_private_segment_size 0
		.amdhsa_uses_dynamic_stack 0
		.amdhsa_enable_private_segment 0
		.amdhsa_system_sgpr_workgroup_id_x 1
		.amdhsa_system_sgpr_workgroup_id_y 0
		.amdhsa_system_sgpr_workgroup_id_z 0
		.amdhsa_system_sgpr_workgroup_info 0
		.amdhsa_system_vgpr_workitem_id 0
		.amdhsa_next_free_vgpr 1
		.amdhsa_next_free_sgpr 0
		.amdhsa_accum_offset 4
		.amdhsa_reserve_vcc 0
		.amdhsa_float_round_mode_32 0
		.amdhsa_float_round_mode_16_64 0
		.amdhsa_float_denorm_mode_32 3
		.amdhsa_float_denorm_mode_16_64 3
		.amdhsa_dx10_clamp 1
		.amdhsa_ieee_mode 1
		.amdhsa_fp16_overflow 0
		.amdhsa_tg_split 0
		.amdhsa_exception_fp_ieee_invalid_op 0
		.amdhsa_exception_fp_denorm_src 0
		.amdhsa_exception_fp_ieee_div_zero 0
		.amdhsa_exception_fp_ieee_overflow 0
		.amdhsa_exception_fp_ieee_underflow 0
		.amdhsa_exception_fp_ieee_inexact 0
		.amdhsa_exception_int_div_zero 0
	.end_amdhsa_kernel
	.section	.text._ZN7rocprim17ROCPRIM_400000_NS6detail17trampoline_kernelINS0_14default_configENS1_22reduce_config_selectorIN6thrust23THRUST_200600_302600_NS5tupleIblNS6_9null_typeES8_S8_S8_S8_S8_S8_S8_EEEEZNS1_11reduce_implILb1ES3_NS6_12zip_iteratorINS7_INS6_11hip_rocprim26transform_input_iterator_tIbNSD_35transform_pair_of_input_iterators_tIbNS6_6detail15normal_iteratorINS6_10device_ptrIKsEEEESL_NS6_8equal_toIsEEEENSG_9not_fun_tINSD_8identityEEEEENSD_19counting_iterator_tIlEES8_S8_S8_S8_S8_S8_S8_S8_EEEEPS9_S9_NSD_9__find_if7functorIS9_EEEE10hipError_tPvRmT1_T2_T3_mT4_P12ihipStream_tbEUlT_E1_NS1_11comp_targetILNS1_3genE3ELNS1_11target_archE908ELNS1_3gpuE7ELNS1_3repE0EEENS1_30default_config_static_selectorELNS0_4arch9wavefront6targetE1EEEvS14_,"axG",@progbits,_ZN7rocprim17ROCPRIM_400000_NS6detail17trampoline_kernelINS0_14default_configENS1_22reduce_config_selectorIN6thrust23THRUST_200600_302600_NS5tupleIblNS6_9null_typeES8_S8_S8_S8_S8_S8_S8_EEEEZNS1_11reduce_implILb1ES3_NS6_12zip_iteratorINS7_INS6_11hip_rocprim26transform_input_iterator_tIbNSD_35transform_pair_of_input_iterators_tIbNS6_6detail15normal_iteratorINS6_10device_ptrIKsEEEESL_NS6_8equal_toIsEEEENSG_9not_fun_tINSD_8identityEEEEENSD_19counting_iterator_tIlEES8_S8_S8_S8_S8_S8_S8_S8_EEEEPS9_S9_NSD_9__find_if7functorIS9_EEEE10hipError_tPvRmT1_T2_T3_mT4_P12ihipStream_tbEUlT_E1_NS1_11comp_targetILNS1_3genE3ELNS1_11target_archE908ELNS1_3gpuE7ELNS1_3repE0EEENS1_30default_config_static_selectorELNS0_4arch9wavefront6targetE1EEEvS14_,comdat
.Lfunc_end1708:
	.size	_ZN7rocprim17ROCPRIM_400000_NS6detail17trampoline_kernelINS0_14default_configENS1_22reduce_config_selectorIN6thrust23THRUST_200600_302600_NS5tupleIblNS6_9null_typeES8_S8_S8_S8_S8_S8_S8_EEEEZNS1_11reduce_implILb1ES3_NS6_12zip_iteratorINS7_INS6_11hip_rocprim26transform_input_iterator_tIbNSD_35transform_pair_of_input_iterators_tIbNS6_6detail15normal_iteratorINS6_10device_ptrIKsEEEESL_NS6_8equal_toIsEEEENSG_9not_fun_tINSD_8identityEEEEENSD_19counting_iterator_tIlEES8_S8_S8_S8_S8_S8_S8_S8_EEEEPS9_S9_NSD_9__find_if7functorIS9_EEEE10hipError_tPvRmT1_T2_T3_mT4_P12ihipStream_tbEUlT_E1_NS1_11comp_targetILNS1_3genE3ELNS1_11target_archE908ELNS1_3gpuE7ELNS1_3repE0EEENS1_30default_config_static_selectorELNS0_4arch9wavefront6targetE1EEEvS14_, .Lfunc_end1708-_ZN7rocprim17ROCPRIM_400000_NS6detail17trampoline_kernelINS0_14default_configENS1_22reduce_config_selectorIN6thrust23THRUST_200600_302600_NS5tupleIblNS6_9null_typeES8_S8_S8_S8_S8_S8_S8_EEEEZNS1_11reduce_implILb1ES3_NS6_12zip_iteratorINS7_INS6_11hip_rocprim26transform_input_iterator_tIbNSD_35transform_pair_of_input_iterators_tIbNS6_6detail15normal_iteratorINS6_10device_ptrIKsEEEESL_NS6_8equal_toIsEEEENSG_9not_fun_tINSD_8identityEEEEENSD_19counting_iterator_tIlEES8_S8_S8_S8_S8_S8_S8_S8_EEEEPS9_S9_NSD_9__find_if7functorIS9_EEEE10hipError_tPvRmT1_T2_T3_mT4_P12ihipStream_tbEUlT_E1_NS1_11comp_targetILNS1_3genE3ELNS1_11target_archE908ELNS1_3gpuE7ELNS1_3repE0EEENS1_30default_config_static_selectorELNS0_4arch9wavefront6targetE1EEEvS14_
                                        ; -- End function
	.set _ZN7rocprim17ROCPRIM_400000_NS6detail17trampoline_kernelINS0_14default_configENS1_22reduce_config_selectorIN6thrust23THRUST_200600_302600_NS5tupleIblNS6_9null_typeES8_S8_S8_S8_S8_S8_S8_EEEEZNS1_11reduce_implILb1ES3_NS6_12zip_iteratorINS7_INS6_11hip_rocprim26transform_input_iterator_tIbNSD_35transform_pair_of_input_iterators_tIbNS6_6detail15normal_iteratorINS6_10device_ptrIKsEEEESL_NS6_8equal_toIsEEEENSG_9not_fun_tINSD_8identityEEEEENSD_19counting_iterator_tIlEES8_S8_S8_S8_S8_S8_S8_S8_EEEEPS9_S9_NSD_9__find_if7functorIS9_EEEE10hipError_tPvRmT1_T2_T3_mT4_P12ihipStream_tbEUlT_E1_NS1_11comp_targetILNS1_3genE3ELNS1_11target_archE908ELNS1_3gpuE7ELNS1_3repE0EEENS1_30default_config_static_selectorELNS0_4arch9wavefront6targetE1EEEvS14_.num_vgpr, 0
	.set _ZN7rocprim17ROCPRIM_400000_NS6detail17trampoline_kernelINS0_14default_configENS1_22reduce_config_selectorIN6thrust23THRUST_200600_302600_NS5tupleIblNS6_9null_typeES8_S8_S8_S8_S8_S8_S8_EEEEZNS1_11reduce_implILb1ES3_NS6_12zip_iteratorINS7_INS6_11hip_rocprim26transform_input_iterator_tIbNSD_35transform_pair_of_input_iterators_tIbNS6_6detail15normal_iteratorINS6_10device_ptrIKsEEEESL_NS6_8equal_toIsEEEENSG_9not_fun_tINSD_8identityEEEEENSD_19counting_iterator_tIlEES8_S8_S8_S8_S8_S8_S8_S8_EEEEPS9_S9_NSD_9__find_if7functorIS9_EEEE10hipError_tPvRmT1_T2_T3_mT4_P12ihipStream_tbEUlT_E1_NS1_11comp_targetILNS1_3genE3ELNS1_11target_archE908ELNS1_3gpuE7ELNS1_3repE0EEENS1_30default_config_static_selectorELNS0_4arch9wavefront6targetE1EEEvS14_.num_agpr, 0
	.set _ZN7rocprim17ROCPRIM_400000_NS6detail17trampoline_kernelINS0_14default_configENS1_22reduce_config_selectorIN6thrust23THRUST_200600_302600_NS5tupleIblNS6_9null_typeES8_S8_S8_S8_S8_S8_S8_EEEEZNS1_11reduce_implILb1ES3_NS6_12zip_iteratorINS7_INS6_11hip_rocprim26transform_input_iterator_tIbNSD_35transform_pair_of_input_iterators_tIbNS6_6detail15normal_iteratorINS6_10device_ptrIKsEEEESL_NS6_8equal_toIsEEEENSG_9not_fun_tINSD_8identityEEEEENSD_19counting_iterator_tIlEES8_S8_S8_S8_S8_S8_S8_S8_EEEEPS9_S9_NSD_9__find_if7functorIS9_EEEE10hipError_tPvRmT1_T2_T3_mT4_P12ihipStream_tbEUlT_E1_NS1_11comp_targetILNS1_3genE3ELNS1_11target_archE908ELNS1_3gpuE7ELNS1_3repE0EEENS1_30default_config_static_selectorELNS0_4arch9wavefront6targetE1EEEvS14_.numbered_sgpr, 0
	.set _ZN7rocprim17ROCPRIM_400000_NS6detail17trampoline_kernelINS0_14default_configENS1_22reduce_config_selectorIN6thrust23THRUST_200600_302600_NS5tupleIblNS6_9null_typeES8_S8_S8_S8_S8_S8_S8_EEEEZNS1_11reduce_implILb1ES3_NS6_12zip_iteratorINS7_INS6_11hip_rocprim26transform_input_iterator_tIbNSD_35transform_pair_of_input_iterators_tIbNS6_6detail15normal_iteratorINS6_10device_ptrIKsEEEESL_NS6_8equal_toIsEEEENSG_9not_fun_tINSD_8identityEEEEENSD_19counting_iterator_tIlEES8_S8_S8_S8_S8_S8_S8_S8_EEEEPS9_S9_NSD_9__find_if7functorIS9_EEEE10hipError_tPvRmT1_T2_T3_mT4_P12ihipStream_tbEUlT_E1_NS1_11comp_targetILNS1_3genE3ELNS1_11target_archE908ELNS1_3gpuE7ELNS1_3repE0EEENS1_30default_config_static_selectorELNS0_4arch9wavefront6targetE1EEEvS14_.num_named_barrier, 0
	.set _ZN7rocprim17ROCPRIM_400000_NS6detail17trampoline_kernelINS0_14default_configENS1_22reduce_config_selectorIN6thrust23THRUST_200600_302600_NS5tupleIblNS6_9null_typeES8_S8_S8_S8_S8_S8_S8_EEEEZNS1_11reduce_implILb1ES3_NS6_12zip_iteratorINS7_INS6_11hip_rocprim26transform_input_iterator_tIbNSD_35transform_pair_of_input_iterators_tIbNS6_6detail15normal_iteratorINS6_10device_ptrIKsEEEESL_NS6_8equal_toIsEEEENSG_9not_fun_tINSD_8identityEEEEENSD_19counting_iterator_tIlEES8_S8_S8_S8_S8_S8_S8_S8_EEEEPS9_S9_NSD_9__find_if7functorIS9_EEEE10hipError_tPvRmT1_T2_T3_mT4_P12ihipStream_tbEUlT_E1_NS1_11comp_targetILNS1_3genE3ELNS1_11target_archE908ELNS1_3gpuE7ELNS1_3repE0EEENS1_30default_config_static_selectorELNS0_4arch9wavefront6targetE1EEEvS14_.private_seg_size, 0
	.set _ZN7rocprim17ROCPRIM_400000_NS6detail17trampoline_kernelINS0_14default_configENS1_22reduce_config_selectorIN6thrust23THRUST_200600_302600_NS5tupleIblNS6_9null_typeES8_S8_S8_S8_S8_S8_S8_EEEEZNS1_11reduce_implILb1ES3_NS6_12zip_iteratorINS7_INS6_11hip_rocprim26transform_input_iterator_tIbNSD_35transform_pair_of_input_iterators_tIbNS6_6detail15normal_iteratorINS6_10device_ptrIKsEEEESL_NS6_8equal_toIsEEEENSG_9not_fun_tINSD_8identityEEEEENSD_19counting_iterator_tIlEES8_S8_S8_S8_S8_S8_S8_S8_EEEEPS9_S9_NSD_9__find_if7functorIS9_EEEE10hipError_tPvRmT1_T2_T3_mT4_P12ihipStream_tbEUlT_E1_NS1_11comp_targetILNS1_3genE3ELNS1_11target_archE908ELNS1_3gpuE7ELNS1_3repE0EEENS1_30default_config_static_selectorELNS0_4arch9wavefront6targetE1EEEvS14_.uses_vcc, 0
	.set _ZN7rocprim17ROCPRIM_400000_NS6detail17trampoline_kernelINS0_14default_configENS1_22reduce_config_selectorIN6thrust23THRUST_200600_302600_NS5tupleIblNS6_9null_typeES8_S8_S8_S8_S8_S8_S8_EEEEZNS1_11reduce_implILb1ES3_NS6_12zip_iteratorINS7_INS6_11hip_rocprim26transform_input_iterator_tIbNSD_35transform_pair_of_input_iterators_tIbNS6_6detail15normal_iteratorINS6_10device_ptrIKsEEEESL_NS6_8equal_toIsEEEENSG_9not_fun_tINSD_8identityEEEEENSD_19counting_iterator_tIlEES8_S8_S8_S8_S8_S8_S8_S8_EEEEPS9_S9_NSD_9__find_if7functorIS9_EEEE10hipError_tPvRmT1_T2_T3_mT4_P12ihipStream_tbEUlT_E1_NS1_11comp_targetILNS1_3genE3ELNS1_11target_archE908ELNS1_3gpuE7ELNS1_3repE0EEENS1_30default_config_static_selectorELNS0_4arch9wavefront6targetE1EEEvS14_.uses_flat_scratch, 0
	.set _ZN7rocprim17ROCPRIM_400000_NS6detail17trampoline_kernelINS0_14default_configENS1_22reduce_config_selectorIN6thrust23THRUST_200600_302600_NS5tupleIblNS6_9null_typeES8_S8_S8_S8_S8_S8_S8_EEEEZNS1_11reduce_implILb1ES3_NS6_12zip_iteratorINS7_INS6_11hip_rocprim26transform_input_iterator_tIbNSD_35transform_pair_of_input_iterators_tIbNS6_6detail15normal_iteratorINS6_10device_ptrIKsEEEESL_NS6_8equal_toIsEEEENSG_9not_fun_tINSD_8identityEEEEENSD_19counting_iterator_tIlEES8_S8_S8_S8_S8_S8_S8_S8_EEEEPS9_S9_NSD_9__find_if7functorIS9_EEEE10hipError_tPvRmT1_T2_T3_mT4_P12ihipStream_tbEUlT_E1_NS1_11comp_targetILNS1_3genE3ELNS1_11target_archE908ELNS1_3gpuE7ELNS1_3repE0EEENS1_30default_config_static_selectorELNS0_4arch9wavefront6targetE1EEEvS14_.has_dyn_sized_stack, 0
	.set _ZN7rocprim17ROCPRIM_400000_NS6detail17trampoline_kernelINS0_14default_configENS1_22reduce_config_selectorIN6thrust23THRUST_200600_302600_NS5tupleIblNS6_9null_typeES8_S8_S8_S8_S8_S8_S8_EEEEZNS1_11reduce_implILb1ES3_NS6_12zip_iteratorINS7_INS6_11hip_rocprim26transform_input_iterator_tIbNSD_35transform_pair_of_input_iterators_tIbNS6_6detail15normal_iteratorINS6_10device_ptrIKsEEEESL_NS6_8equal_toIsEEEENSG_9not_fun_tINSD_8identityEEEEENSD_19counting_iterator_tIlEES8_S8_S8_S8_S8_S8_S8_S8_EEEEPS9_S9_NSD_9__find_if7functorIS9_EEEE10hipError_tPvRmT1_T2_T3_mT4_P12ihipStream_tbEUlT_E1_NS1_11comp_targetILNS1_3genE3ELNS1_11target_archE908ELNS1_3gpuE7ELNS1_3repE0EEENS1_30default_config_static_selectorELNS0_4arch9wavefront6targetE1EEEvS14_.has_recursion, 0
	.set _ZN7rocprim17ROCPRIM_400000_NS6detail17trampoline_kernelINS0_14default_configENS1_22reduce_config_selectorIN6thrust23THRUST_200600_302600_NS5tupleIblNS6_9null_typeES8_S8_S8_S8_S8_S8_S8_EEEEZNS1_11reduce_implILb1ES3_NS6_12zip_iteratorINS7_INS6_11hip_rocprim26transform_input_iterator_tIbNSD_35transform_pair_of_input_iterators_tIbNS6_6detail15normal_iteratorINS6_10device_ptrIKsEEEESL_NS6_8equal_toIsEEEENSG_9not_fun_tINSD_8identityEEEEENSD_19counting_iterator_tIlEES8_S8_S8_S8_S8_S8_S8_S8_EEEEPS9_S9_NSD_9__find_if7functorIS9_EEEE10hipError_tPvRmT1_T2_T3_mT4_P12ihipStream_tbEUlT_E1_NS1_11comp_targetILNS1_3genE3ELNS1_11target_archE908ELNS1_3gpuE7ELNS1_3repE0EEENS1_30default_config_static_selectorELNS0_4arch9wavefront6targetE1EEEvS14_.has_indirect_call, 0
	.section	.AMDGPU.csdata,"",@progbits
; Kernel info:
; codeLenInByte = 0
; TotalNumSgprs: 6
; NumVgprs: 0
; NumAgprs: 0
; TotalNumVgprs: 0
; ScratchSize: 0
; MemoryBound: 0
; FloatMode: 240
; IeeeMode: 1
; LDSByteSize: 0 bytes/workgroup (compile time only)
; SGPRBlocks: 0
; VGPRBlocks: 0
; NumSGPRsForWavesPerEU: 6
; NumVGPRsForWavesPerEU: 1
; AccumOffset: 4
; Occupancy: 8
; WaveLimiterHint : 0
; COMPUTE_PGM_RSRC2:SCRATCH_EN: 0
; COMPUTE_PGM_RSRC2:USER_SGPR: 2
; COMPUTE_PGM_RSRC2:TRAP_HANDLER: 0
; COMPUTE_PGM_RSRC2:TGID_X_EN: 1
; COMPUTE_PGM_RSRC2:TGID_Y_EN: 0
; COMPUTE_PGM_RSRC2:TGID_Z_EN: 0
; COMPUTE_PGM_RSRC2:TIDIG_COMP_CNT: 0
; COMPUTE_PGM_RSRC3_GFX90A:ACCUM_OFFSET: 0
; COMPUTE_PGM_RSRC3_GFX90A:TG_SPLIT: 0
	.section	.text._ZN7rocprim17ROCPRIM_400000_NS6detail17trampoline_kernelINS0_14default_configENS1_22reduce_config_selectorIN6thrust23THRUST_200600_302600_NS5tupleIblNS6_9null_typeES8_S8_S8_S8_S8_S8_S8_EEEEZNS1_11reduce_implILb1ES3_NS6_12zip_iteratorINS7_INS6_11hip_rocprim26transform_input_iterator_tIbNSD_35transform_pair_of_input_iterators_tIbNS6_6detail15normal_iteratorINS6_10device_ptrIKsEEEESL_NS6_8equal_toIsEEEENSG_9not_fun_tINSD_8identityEEEEENSD_19counting_iterator_tIlEES8_S8_S8_S8_S8_S8_S8_S8_EEEEPS9_S9_NSD_9__find_if7functorIS9_EEEE10hipError_tPvRmT1_T2_T3_mT4_P12ihipStream_tbEUlT_E1_NS1_11comp_targetILNS1_3genE2ELNS1_11target_archE906ELNS1_3gpuE6ELNS1_3repE0EEENS1_30default_config_static_selectorELNS0_4arch9wavefront6targetE1EEEvS14_,"axG",@progbits,_ZN7rocprim17ROCPRIM_400000_NS6detail17trampoline_kernelINS0_14default_configENS1_22reduce_config_selectorIN6thrust23THRUST_200600_302600_NS5tupleIblNS6_9null_typeES8_S8_S8_S8_S8_S8_S8_EEEEZNS1_11reduce_implILb1ES3_NS6_12zip_iteratorINS7_INS6_11hip_rocprim26transform_input_iterator_tIbNSD_35transform_pair_of_input_iterators_tIbNS6_6detail15normal_iteratorINS6_10device_ptrIKsEEEESL_NS6_8equal_toIsEEEENSG_9not_fun_tINSD_8identityEEEEENSD_19counting_iterator_tIlEES8_S8_S8_S8_S8_S8_S8_S8_EEEEPS9_S9_NSD_9__find_if7functorIS9_EEEE10hipError_tPvRmT1_T2_T3_mT4_P12ihipStream_tbEUlT_E1_NS1_11comp_targetILNS1_3genE2ELNS1_11target_archE906ELNS1_3gpuE6ELNS1_3repE0EEENS1_30default_config_static_selectorELNS0_4arch9wavefront6targetE1EEEvS14_,comdat
	.protected	_ZN7rocprim17ROCPRIM_400000_NS6detail17trampoline_kernelINS0_14default_configENS1_22reduce_config_selectorIN6thrust23THRUST_200600_302600_NS5tupleIblNS6_9null_typeES8_S8_S8_S8_S8_S8_S8_EEEEZNS1_11reduce_implILb1ES3_NS6_12zip_iteratorINS7_INS6_11hip_rocprim26transform_input_iterator_tIbNSD_35transform_pair_of_input_iterators_tIbNS6_6detail15normal_iteratorINS6_10device_ptrIKsEEEESL_NS6_8equal_toIsEEEENSG_9not_fun_tINSD_8identityEEEEENSD_19counting_iterator_tIlEES8_S8_S8_S8_S8_S8_S8_S8_EEEEPS9_S9_NSD_9__find_if7functorIS9_EEEE10hipError_tPvRmT1_T2_T3_mT4_P12ihipStream_tbEUlT_E1_NS1_11comp_targetILNS1_3genE2ELNS1_11target_archE906ELNS1_3gpuE6ELNS1_3repE0EEENS1_30default_config_static_selectorELNS0_4arch9wavefront6targetE1EEEvS14_ ; -- Begin function _ZN7rocprim17ROCPRIM_400000_NS6detail17trampoline_kernelINS0_14default_configENS1_22reduce_config_selectorIN6thrust23THRUST_200600_302600_NS5tupleIblNS6_9null_typeES8_S8_S8_S8_S8_S8_S8_EEEEZNS1_11reduce_implILb1ES3_NS6_12zip_iteratorINS7_INS6_11hip_rocprim26transform_input_iterator_tIbNSD_35transform_pair_of_input_iterators_tIbNS6_6detail15normal_iteratorINS6_10device_ptrIKsEEEESL_NS6_8equal_toIsEEEENSG_9not_fun_tINSD_8identityEEEEENSD_19counting_iterator_tIlEES8_S8_S8_S8_S8_S8_S8_S8_EEEEPS9_S9_NSD_9__find_if7functorIS9_EEEE10hipError_tPvRmT1_T2_T3_mT4_P12ihipStream_tbEUlT_E1_NS1_11comp_targetILNS1_3genE2ELNS1_11target_archE906ELNS1_3gpuE6ELNS1_3repE0EEENS1_30default_config_static_selectorELNS0_4arch9wavefront6targetE1EEEvS14_
	.globl	_ZN7rocprim17ROCPRIM_400000_NS6detail17trampoline_kernelINS0_14default_configENS1_22reduce_config_selectorIN6thrust23THRUST_200600_302600_NS5tupleIblNS6_9null_typeES8_S8_S8_S8_S8_S8_S8_EEEEZNS1_11reduce_implILb1ES3_NS6_12zip_iteratorINS7_INS6_11hip_rocprim26transform_input_iterator_tIbNSD_35transform_pair_of_input_iterators_tIbNS6_6detail15normal_iteratorINS6_10device_ptrIKsEEEESL_NS6_8equal_toIsEEEENSG_9not_fun_tINSD_8identityEEEEENSD_19counting_iterator_tIlEES8_S8_S8_S8_S8_S8_S8_S8_EEEEPS9_S9_NSD_9__find_if7functorIS9_EEEE10hipError_tPvRmT1_T2_T3_mT4_P12ihipStream_tbEUlT_E1_NS1_11comp_targetILNS1_3genE2ELNS1_11target_archE906ELNS1_3gpuE6ELNS1_3repE0EEENS1_30default_config_static_selectorELNS0_4arch9wavefront6targetE1EEEvS14_
	.p2align	8
	.type	_ZN7rocprim17ROCPRIM_400000_NS6detail17trampoline_kernelINS0_14default_configENS1_22reduce_config_selectorIN6thrust23THRUST_200600_302600_NS5tupleIblNS6_9null_typeES8_S8_S8_S8_S8_S8_S8_EEEEZNS1_11reduce_implILb1ES3_NS6_12zip_iteratorINS7_INS6_11hip_rocprim26transform_input_iterator_tIbNSD_35transform_pair_of_input_iterators_tIbNS6_6detail15normal_iteratorINS6_10device_ptrIKsEEEESL_NS6_8equal_toIsEEEENSG_9not_fun_tINSD_8identityEEEEENSD_19counting_iterator_tIlEES8_S8_S8_S8_S8_S8_S8_S8_EEEEPS9_S9_NSD_9__find_if7functorIS9_EEEE10hipError_tPvRmT1_T2_T3_mT4_P12ihipStream_tbEUlT_E1_NS1_11comp_targetILNS1_3genE2ELNS1_11target_archE906ELNS1_3gpuE6ELNS1_3repE0EEENS1_30default_config_static_selectorELNS0_4arch9wavefront6targetE1EEEvS14_,@function
_ZN7rocprim17ROCPRIM_400000_NS6detail17trampoline_kernelINS0_14default_configENS1_22reduce_config_selectorIN6thrust23THRUST_200600_302600_NS5tupleIblNS6_9null_typeES8_S8_S8_S8_S8_S8_S8_EEEEZNS1_11reduce_implILb1ES3_NS6_12zip_iteratorINS7_INS6_11hip_rocprim26transform_input_iterator_tIbNSD_35transform_pair_of_input_iterators_tIbNS6_6detail15normal_iteratorINS6_10device_ptrIKsEEEESL_NS6_8equal_toIsEEEENSG_9not_fun_tINSD_8identityEEEEENSD_19counting_iterator_tIlEES8_S8_S8_S8_S8_S8_S8_S8_EEEEPS9_S9_NSD_9__find_if7functorIS9_EEEE10hipError_tPvRmT1_T2_T3_mT4_P12ihipStream_tbEUlT_E1_NS1_11comp_targetILNS1_3genE2ELNS1_11target_archE906ELNS1_3gpuE6ELNS1_3repE0EEENS1_30default_config_static_selectorELNS0_4arch9wavefront6targetE1EEEvS14_: ; @_ZN7rocprim17ROCPRIM_400000_NS6detail17trampoline_kernelINS0_14default_configENS1_22reduce_config_selectorIN6thrust23THRUST_200600_302600_NS5tupleIblNS6_9null_typeES8_S8_S8_S8_S8_S8_S8_EEEEZNS1_11reduce_implILb1ES3_NS6_12zip_iteratorINS7_INS6_11hip_rocprim26transform_input_iterator_tIbNSD_35transform_pair_of_input_iterators_tIbNS6_6detail15normal_iteratorINS6_10device_ptrIKsEEEESL_NS6_8equal_toIsEEEENSG_9not_fun_tINSD_8identityEEEEENSD_19counting_iterator_tIlEES8_S8_S8_S8_S8_S8_S8_S8_EEEEPS9_S9_NSD_9__find_if7functorIS9_EEEE10hipError_tPvRmT1_T2_T3_mT4_P12ihipStream_tbEUlT_E1_NS1_11comp_targetILNS1_3genE2ELNS1_11target_archE906ELNS1_3gpuE6ELNS1_3repE0EEENS1_30default_config_static_selectorELNS0_4arch9wavefront6targetE1EEEvS14_
; %bb.0:
	.section	.rodata,"a",@progbits
	.p2align	6, 0x0
	.amdhsa_kernel _ZN7rocprim17ROCPRIM_400000_NS6detail17trampoline_kernelINS0_14default_configENS1_22reduce_config_selectorIN6thrust23THRUST_200600_302600_NS5tupleIblNS6_9null_typeES8_S8_S8_S8_S8_S8_S8_EEEEZNS1_11reduce_implILb1ES3_NS6_12zip_iteratorINS7_INS6_11hip_rocprim26transform_input_iterator_tIbNSD_35transform_pair_of_input_iterators_tIbNS6_6detail15normal_iteratorINS6_10device_ptrIKsEEEESL_NS6_8equal_toIsEEEENSG_9not_fun_tINSD_8identityEEEEENSD_19counting_iterator_tIlEES8_S8_S8_S8_S8_S8_S8_S8_EEEEPS9_S9_NSD_9__find_if7functorIS9_EEEE10hipError_tPvRmT1_T2_T3_mT4_P12ihipStream_tbEUlT_E1_NS1_11comp_targetILNS1_3genE2ELNS1_11target_archE906ELNS1_3gpuE6ELNS1_3repE0EEENS1_30default_config_static_selectorELNS0_4arch9wavefront6targetE1EEEvS14_
		.amdhsa_group_segment_fixed_size 0
		.amdhsa_private_segment_fixed_size 0
		.amdhsa_kernarg_size 88
		.amdhsa_user_sgpr_count 2
		.amdhsa_user_sgpr_dispatch_ptr 0
		.amdhsa_user_sgpr_queue_ptr 0
		.amdhsa_user_sgpr_kernarg_segment_ptr 1
		.amdhsa_user_sgpr_dispatch_id 0
		.amdhsa_user_sgpr_kernarg_preload_length 0
		.amdhsa_user_sgpr_kernarg_preload_offset 0
		.amdhsa_user_sgpr_private_segment_size 0
		.amdhsa_uses_dynamic_stack 0
		.amdhsa_enable_private_segment 0
		.amdhsa_system_sgpr_workgroup_id_x 1
		.amdhsa_system_sgpr_workgroup_id_y 0
		.amdhsa_system_sgpr_workgroup_id_z 0
		.amdhsa_system_sgpr_workgroup_info 0
		.amdhsa_system_vgpr_workitem_id 0
		.amdhsa_next_free_vgpr 1
		.amdhsa_next_free_sgpr 0
		.amdhsa_accum_offset 4
		.amdhsa_reserve_vcc 0
		.amdhsa_float_round_mode_32 0
		.amdhsa_float_round_mode_16_64 0
		.amdhsa_float_denorm_mode_32 3
		.amdhsa_float_denorm_mode_16_64 3
		.amdhsa_dx10_clamp 1
		.amdhsa_ieee_mode 1
		.amdhsa_fp16_overflow 0
		.amdhsa_tg_split 0
		.amdhsa_exception_fp_ieee_invalid_op 0
		.amdhsa_exception_fp_denorm_src 0
		.amdhsa_exception_fp_ieee_div_zero 0
		.amdhsa_exception_fp_ieee_overflow 0
		.amdhsa_exception_fp_ieee_underflow 0
		.amdhsa_exception_fp_ieee_inexact 0
		.amdhsa_exception_int_div_zero 0
	.end_amdhsa_kernel
	.section	.text._ZN7rocprim17ROCPRIM_400000_NS6detail17trampoline_kernelINS0_14default_configENS1_22reduce_config_selectorIN6thrust23THRUST_200600_302600_NS5tupleIblNS6_9null_typeES8_S8_S8_S8_S8_S8_S8_EEEEZNS1_11reduce_implILb1ES3_NS6_12zip_iteratorINS7_INS6_11hip_rocprim26transform_input_iterator_tIbNSD_35transform_pair_of_input_iterators_tIbNS6_6detail15normal_iteratorINS6_10device_ptrIKsEEEESL_NS6_8equal_toIsEEEENSG_9not_fun_tINSD_8identityEEEEENSD_19counting_iterator_tIlEES8_S8_S8_S8_S8_S8_S8_S8_EEEEPS9_S9_NSD_9__find_if7functorIS9_EEEE10hipError_tPvRmT1_T2_T3_mT4_P12ihipStream_tbEUlT_E1_NS1_11comp_targetILNS1_3genE2ELNS1_11target_archE906ELNS1_3gpuE6ELNS1_3repE0EEENS1_30default_config_static_selectorELNS0_4arch9wavefront6targetE1EEEvS14_,"axG",@progbits,_ZN7rocprim17ROCPRIM_400000_NS6detail17trampoline_kernelINS0_14default_configENS1_22reduce_config_selectorIN6thrust23THRUST_200600_302600_NS5tupleIblNS6_9null_typeES8_S8_S8_S8_S8_S8_S8_EEEEZNS1_11reduce_implILb1ES3_NS6_12zip_iteratorINS7_INS6_11hip_rocprim26transform_input_iterator_tIbNSD_35transform_pair_of_input_iterators_tIbNS6_6detail15normal_iteratorINS6_10device_ptrIKsEEEESL_NS6_8equal_toIsEEEENSG_9not_fun_tINSD_8identityEEEEENSD_19counting_iterator_tIlEES8_S8_S8_S8_S8_S8_S8_S8_EEEEPS9_S9_NSD_9__find_if7functorIS9_EEEE10hipError_tPvRmT1_T2_T3_mT4_P12ihipStream_tbEUlT_E1_NS1_11comp_targetILNS1_3genE2ELNS1_11target_archE906ELNS1_3gpuE6ELNS1_3repE0EEENS1_30default_config_static_selectorELNS0_4arch9wavefront6targetE1EEEvS14_,comdat
.Lfunc_end1709:
	.size	_ZN7rocprim17ROCPRIM_400000_NS6detail17trampoline_kernelINS0_14default_configENS1_22reduce_config_selectorIN6thrust23THRUST_200600_302600_NS5tupleIblNS6_9null_typeES8_S8_S8_S8_S8_S8_S8_EEEEZNS1_11reduce_implILb1ES3_NS6_12zip_iteratorINS7_INS6_11hip_rocprim26transform_input_iterator_tIbNSD_35transform_pair_of_input_iterators_tIbNS6_6detail15normal_iteratorINS6_10device_ptrIKsEEEESL_NS6_8equal_toIsEEEENSG_9not_fun_tINSD_8identityEEEEENSD_19counting_iterator_tIlEES8_S8_S8_S8_S8_S8_S8_S8_EEEEPS9_S9_NSD_9__find_if7functorIS9_EEEE10hipError_tPvRmT1_T2_T3_mT4_P12ihipStream_tbEUlT_E1_NS1_11comp_targetILNS1_3genE2ELNS1_11target_archE906ELNS1_3gpuE6ELNS1_3repE0EEENS1_30default_config_static_selectorELNS0_4arch9wavefront6targetE1EEEvS14_, .Lfunc_end1709-_ZN7rocprim17ROCPRIM_400000_NS6detail17trampoline_kernelINS0_14default_configENS1_22reduce_config_selectorIN6thrust23THRUST_200600_302600_NS5tupleIblNS6_9null_typeES8_S8_S8_S8_S8_S8_S8_EEEEZNS1_11reduce_implILb1ES3_NS6_12zip_iteratorINS7_INS6_11hip_rocprim26transform_input_iterator_tIbNSD_35transform_pair_of_input_iterators_tIbNS6_6detail15normal_iteratorINS6_10device_ptrIKsEEEESL_NS6_8equal_toIsEEEENSG_9not_fun_tINSD_8identityEEEEENSD_19counting_iterator_tIlEES8_S8_S8_S8_S8_S8_S8_S8_EEEEPS9_S9_NSD_9__find_if7functorIS9_EEEE10hipError_tPvRmT1_T2_T3_mT4_P12ihipStream_tbEUlT_E1_NS1_11comp_targetILNS1_3genE2ELNS1_11target_archE906ELNS1_3gpuE6ELNS1_3repE0EEENS1_30default_config_static_selectorELNS0_4arch9wavefront6targetE1EEEvS14_
                                        ; -- End function
	.set _ZN7rocprim17ROCPRIM_400000_NS6detail17trampoline_kernelINS0_14default_configENS1_22reduce_config_selectorIN6thrust23THRUST_200600_302600_NS5tupleIblNS6_9null_typeES8_S8_S8_S8_S8_S8_S8_EEEEZNS1_11reduce_implILb1ES3_NS6_12zip_iteratorINS7_INS6_11hip_rocprim26transform_input_iterator_tIbNSD_35transform_pair_of_input_iterators_tIbNS6_6detail15normal_iteratorINS6_10device_ptrIKsEEEESL_NS6_8equal_toIsEEEENSG_9not_fun_tINSD_8identityEEEEENSD_19counting_iterator_tIlEES8_S8_S8_S8_S8_S8_S8_S8_EEEEPS9_S9_NSD_9__find_if7functorIS9_EEEE10hipError_tPvRmT1_T2_T3_mT4_P12ihipStream_tbEUlT_E1_NS1_11comp_targetILNS1_3genE2ELNS1_11target_archE906ELNS1_3gpuE6ELNS1_3repE0EEENS1_30default_config_static_selectorELNS0_4arch9wavefront6targetE1EEEvS14_.num_vgpr, 0
	.set _ZN7rocprim17ROCPRIM_400000_NS6detail17trampoline_kernelINS0_14default_configENS1_22reduce_config_selectorIN6thrust23THRUST_200600_302600_NS5tupleIblNS6_9null_typeES8_S8_S8_S8_S8_S8_S8_EEEEZNS1_11reduce_implILb1ES3_NS6_12zip_iteratorINS7_INS6_11hip_rocprim26transform_input_iterator_tIbNSD_35transform_pair_of_input_iterators_tIbNS6_6detail15normal_iteratorINS6_10device_ptrIKsEEEESL_NS6_8equal_toIsEEEENSG_9not_fun_tINSD_8identityEEEEENSD_19counting_iterator_tIlEES8_S8_S8_S8_S8_S8_S8_S8_EEEEPS9_S9_NSD_9__find_if7functorIS9_EEEE10hipError_tPvRmT1_T2_T3_mT4_P12ihipStream_tbEUlT_E1_NS1_11comp_targetILNS1_3genE2ELNS1_11target_archE906ELNS1_3gpuE6ELNS1_3repE0EEENS1_30default_config_static_selectorELNS0_4arch9wavefront6targetE1EEEvS14_.num_agpr, 0
	.set _ZN7rocprim17ROCPRIM_400000_NS6detail17trampoline_kernelINS0_14default_configENS1_22reduce_config_selectorIN6thrust23THRUST_200600_302600_NS5tupleIblNS6_9null_typeES8_S8_S8_S8_S8_S8_S8_EEEEZNS1_11reduce_implILb1ES3_NS6_12zip_iteratorINS7_INS6_11hip_rocprim26transform_input_iterator_tIbNSD_35transform_pair_of_input_iterators_tIbNS6_6detail15normal_iteratorINS6_10device_ptrIKsEEEESL_NS6_8equal_toIsEEEENSG_9not_fun_tINSD_8identityEEEEENSD_19counting_iterator_tIlEES8_S8_S8_S8_S8_S8_S8_S8_EEEEPS9_S9_NSD_9__find_if7functorIS9_EEEE10hipError_tPvRmT1_T2_T3_mT4_P12ihipStream_tbEUlT_E1_NS1_11comp_targetILNS1_3genE2ELNS1_11target_archE906ELNS1_3gpuE6ELNS1_3repE0EEENS1_30default_config_static_selectorELNS0_4arch9wavefront6targetE1EEEvS14_.numbered_sgpr, 0
	.set _ZN7rocprim17ROCPRIM_400000_NS6detail17trampoline_kernelINS0_14default_configENS1_22reduce_config_selectorIN6thrust23THRUST_200600_302600_NS5tupleIblNS6_9null_typeES8_S8_S8_S8_S8_S8_S8_EEEEZNS1_11reduce_implILb1ES3_NS6_12zip_iteratorINS7_INS6_11hip_rocprim26transform_input_iterator_tIbNSD_35transform_pair_of_input_iterators_tIbNS6_6detail15normal_iteratorINS6_10device_ptrIKsEEEESL_NS6_8equal_toIsEEEENSG_9not_fun_tINSD_8identityEEEEENSD_19counting_iterator_tIlEES8_S8_S8_S8_S8_S8_S8_S8_EEEEPS9_S9_NSD_9__find_if7functorIS9_EEEE10hipError_tPvRmT1_T2_T3_mT4_P12ihipStream_tbEUlT_E1_NS1_11comp_targetILNS1_3genE2ELNS1_11target_archE906ELNS1_3gpuE6ELNS1_3repE0EEENS1_30default_config_static_selectorELNS0_4arch9wavefront6targetE1EEEvS14_.num_named_barrier, 0
	.set _ZN7rocprim17ROCPRIM_400000_NS6detail17trampoline_kernelINS0_14default_configENS1_22reduce_config_selectorIN6thrust23THRUST_200600_302600_NS5tupleIblNS6_9null_typeES8_S8_S8_S8_S8_S8_S8_EEEEZNS1_11reduce_implILb1ES3_NS6_12zip_iteratorINS7_INS6_11hip_rocprim26transform_input_iterator_tIbNSD_35transform_pair_of_input_iterators_tIbNS6_6detail15normal_iteratorINS6_10device_ptrIKsEEEESL_NS6_8equal_toIsEEEENSG_9not_fun_tINSD_8identityEEEEENSD_19counting_iterator_tIlEES8_S8_S8_S8_S8_S8_S8_S8_EEEEPS9_S9_NSD_9__find_if7functorIS9_EEEE10hipError_tPvRmT1_T2_T3_mT4_P12ihipStream_tbEUlT_E1_NS1_11comp_targetILNS1_3genE2ELNS1_11target_archE906ELNS1_3gpuE6ELNS1_3repE0EEENS1_30default_config_static_selectorELNS0_4arch9wavefront6targetE1EEEvS14_.private_seg_size, 0
	.set _ZN7rocprim17ROCPRIM_400000_NS6detail17trampoline_kernelINS0_14default_configENS1_22reduce_config_selectorIN6thrust23THRUST_200600_302600_NS5tupleIblNS6_9null_typeES8_S8_S8_S8_S8_S8_S8_EEEEZNS1_11reduce_implILb1ES3_NS6_12zip_iteratorINS7_INS6_11hip_rocprim26transform_input_iterator_tIbNSD_35transform_pair_of_input_iterators_tIbNS6_6detail15normal_iteratorINS6_10device_ptrIKsEEEESL_NS6_8equal_toIsEEEENSG_9not_fun_tINSD_8identityEEEEENSD_19counting_iterator_tIlEES8_S8_S8_S8_S8_S8_S8_S8_EEEEPS9_S9_NSD_9__find_if7functorIS9_EEEE10hipError_tPvRmT1_T2_T3_mT4_P12ihipStream_tbEUlT_E1_NS1_11comp_targetILNS1_3genE2ELNS1_11target_archE906ELNS1_3gpuE6ELNS1_3repE0EEENS1_30default_config_static_selectorELNS0_4arch9wavefront6targetE1EEEvS14_.uses_vcc, 0
	.set _ZN7rocprim17ROCPRIM_400000_NS6detail17trampoline_kernelINS0_14default_configENS1_22reduce_config_selectorIN6thrust23THRUST_200600_302600_NS5tupleIblNS6_9null_typeES8_S8_S8_S8_S8_S8_S8_EEEEZNS1_11reduce_implILb1ES3_NS6_12zip_iteratorINS7_INS6_11hip_rocprim26transform_input_iterator_tIbNSD_35transform_pair_of_input_iterators_tIbNS6_6detail15normal_iteratorINS6_10device_ptrIKsEEEESL_NS6_8equal_toIsEEEENSG_9not_fun_tINSD_8identityEEEEENSD_19counting_iterator_tIlEES8_S8_S8_S8_S8_S8_S8_S8_EEEEPS9_S9_NSD_9__find_if7functorIS9_EEEE10hipError_tPvRmT1_T2_T3_mT4_P12ihipStream_tbEUlT_E1_NS1_11comp_targetILNS1_3genE2ELNS1_11target_archE906ELNS1_3gpuE6ELNS1_3repE0EEENS1_30default_config_static_selectorELNS0_4arch9wavefront6targetE1EEEvS14_.uses_flat_scratch, 0
	.set _ZN7rocprim17ROCPRIM_400000_NS6detail17trampoline_kernelINS0_14default_configENS1_22reduce_config_selectorIN6thrust23THRUST_200600_302600_NS5tupleIblNS6_9null_typeES8_S8_S8_S8_S8_S8_S8_EEEEZNS1_11reduce_implILb1ES3_NS6_12zip_iteratorINS7_INS6_11hip_rocprim26transform_input_iterator_tIbNSD_35transform_pair_of_input_iterators_tIbNS6_6detail15normal_iteratorINS6_10device_ptrIKsEEEESL_NS6_8equal_toIsEEEENSG_9not_fun_tINSD_8identityEEEEENSD_19counting_iterator_tIlEES8_S8_S8_S8_S8_S8_S8_S8_EEEEPS9_S9_NSD_9__find_if7functorIS9_EEEE10hipError_tPvRmT1_T2_T3_mT4_P12ihipStream_tbEUlT_E1_NS1_11comp_targetILNS1_3genE2ELNS1_11target_archE906ELNS1_3gpuE6ELNS1_3repE0EEENS1_30default_config_static_selectorELNS0_4arch9wavefront6targetE1EEEvS14_.has_dyn_sized_stack, 0
	.set _ZN7rocprim17ROCPRIM_400000_NS6detail17trampoline_kernelINS0_14default_configENS1_22reduce_config_selectorIN6thrust23THRUST_200600_302600_NS5tupleIblNS6_9null_typeES8_S8_S8_S8_S8_S8_S8_EEEEZNS1_11reduce_implILb1ES3_NS6_12zip_iteratorINS7_INS6_11hip_rocprim26transform_input_iterator_tIbNSD_35transform_pair_of_input_iterators_tIbNS6_6detail15normal_iteratorINS6_10device_ptrIKsEEEESL_NS6_8equal_toIsEEEENSG_9not_fun_tINSD_8identityEEEEENSD_19counting_iterator_tIlEES8_S8_S8_S8_S8_S8_S8_S8_EEEEPS9_S9_NSD_9__find_if7functorIS9_EEEE10hipError_tPvRmT1_T2_T3_mT4_P12ihipStream_tbEUlT_E1_NS1_11comp_targetILNS1_3genE2ELNS1_11target_archE906ELNS1_3gpuE6ELNS1_3repE0EEENS1_30default_config_static_selectorELNS0_4arch9wavefront6targetE1EEEvS14_.has_recursion, 0
	.set _ZN7rocprim17ROCPRIM_400000_NS6detail17trampoline_kernelINS0_14default_configENS1_22reduce_config_selectorIN6thrust23THRUST_200600_302600_NS5tupleIblNS6_9null_typeES8_S8_S8_S8_S8_S8_S8_EEEEZNS1_11reduce_implILb1ES3_NS6_12zip_iteratorINS7_INS6_11hip_rocprim26transform_input_iterator_tIbNSD_35transform_pair_of_input_iterators_tIbNS6_6detail15normal_iteratorINS6_10device_ptrIKsEEEESL_NS6_8equal_toIsEEEENSG_9not_fun_tINSD_8identityEEEEENSD_19counting_iterator_tIlEES8_S8_S8_S8_S8_S8_S8_S8_EEEEPS9_S9_NSD_9__find_if7functorIS9_EEEE10hipError_tPvRmT1_T2_T3_mT4_P12ihipStream_tbEUlT_E1_NS1_11comp_targetILNS1_3genE2ELNS1_11target_archE906ELNS1_3gpuE6ELNS1_3repE0EEENS1_30default_config_static_selectorELNS0_4arch9wavefront6targetE1EEEvS14_.has_indirect_call, 0
	.section	.AMDGPU.csdata,"",@progbits
; Kernel info:
; codeLenInByte = 0
; TotalNumSgprs: 6
; NumVgprs: 0
; NumAgprs: 0
; TotalNumVgprs: 0
; ScratchSize: 0
; MemoryBound: 0
; FloatMode: 240
; IeeeMode: 1
; LDSByteSize: 0 bytes/workgroup (compile time only)
; SGPRBlocks: 0
; VGPRBlocks: 0
; NumSGPRsForWavesPerEU: 6
; NumVGPRsForWavesPerEU: 1
; AccumOffset: 4
; Occupancy: 8
; WaveLimiterHint : 0
; COMPUTE_PGM_RSRC2:SCRATCH_EN: 0
; COMPUTE_PGM_RSRC2:USER_SGPR: 2
; COMPUTE_PGM_RSRC2:TRAP_HANDLER: 0
; COMPUTE_PGM_RSRC2:TGID_X_EN: 1
; COMPUTE_PGM_RSRC2:TGID_Y_EN: 0
; COMPUTE_PGM_RSRC2:TGID_Z_EN: 0
; COMPUTE_PGM_RSRC2:TIDIG_COMP_CNT: 0
; COMPUTE_PGM_RSRC3_GFX90A:ACCUM_OFFSET: 0
; COMPUTE_PGM_RSRC3_GFX90A:TG_SPLIT: 0
	.section	.text._ZN7rocprim17ROCPRIM_400000_NS6detail17trampoline_kernelINS0_14default_configENS1_22reduce_config_selectorIN6thrust23THRUST_200600_302600_NS5tupleIblNS6_9null_typeES8_S8_S8_S8_S8_S8_S8_EEEEZNS1_11reduce_implILb1ES3_NS6_12zip_iteratorINS7_INS6_11hip_rocprim26transform_input_iterator_tIbNSD_35transform_pair_of_input_iterators_tIbNS6_6detail15normal_iteratorINS6_10device_ptrIKsEEEESL_NS6_8equal_toIsEEEENSG_9not_fun_tINSD_8identityEEEEENSD_19counting_iterator_tIlEES8_S8_S8_S8_S8_S8_S8_S8_EEEEPS9_S9_NSD_9__find_if7functorIS9_EEEE10hipError_tPvRmT1_T2_T3_mT4_P12ihipStream_tbEUlT_E1_NS1_11comp_targetILNS1_3genE10ELNS1_11target_archE1201ELNS1_3gpuE5ELNS1_3repE0EEENS1_30default_config_static_selectorELNS0_4arch9wavefront6targetE1EEEvS14_,"axG",@progbits,_ZN7rocprim17ROCPRIM_400000_NS6detail17trampoline_kernelINS0_14default_configENS1_22reduce_config_selectorIN6thrust23THRUST_200600_302600_NS5tupleIblNS6_9null_typeES8_S8_S8_S8_S8_S8_S8_EEEEZNS1_11reduce_implILb1ES3_NS6_12zip_iteratorINS7_INS6_11hip_rocprim26transform_input_iterator_tIbNSD_35transform_pair_of_input_iterators_tIbNS6_6detail15normal_iteratorINS6_10device_ptrIKsEEEESL_NS6_8equal_toIsEEEENSG_9not_fun_tINSD_8identityEEEEENSD_19counting_iterator_tIlEES8_S8_S8_S8_S8_S8_S8_S8_EEEEPS9_S9_NSD_9__find_if7functorIS9_EEEE10hipError_tPvRmT1_T2_T3_mT4_P12ihipStream_tbEUlT_E1_NS1_11comp_targetILNS1_3genE10ELNS1_11target_archE1201ELNS1_3gpuE5ELNS1_3repE0EEENS1_30default_config_static_selectorELNS0_4arch9wavefront6targetE1EEEvS14_,comdat
	.protected	_ZN7rocprim17ROCPRIM_400000_NS6detail17trampoline_kernelINS0_14default_configENS1_22reduce_config_selectorIN6thrust23THRUST_200600_302600_NS5tupleIblNS6_9null_typeES8_S8_S8_S8_S8_S8_S8_EEEEZNS1_11reduce_implILb1ES3_NS6_12zip_iteratorINS7_INS6_11hip_rocprim26transform_input_iterator_tIbNSD_35transform_pair_of_input_iterators_tIbNS6_6detail15normal_iteratorINS6_10device_ptrIKsEEEESL_NS6_8equal_toIsEEEENSG_9not_fun_tINSD_8identityEEEEENSD_19counting_iterator_tIlEES8_S8_S8_S8_S8_S8_S8_S8_EEEEPS9_S9_NSD_9__find_if7functorIS9_EEEE10hipError_tPvRmT1_T2_T3_mT4_P12ihipStream_tbEUlT_E1_NS1_11comp_targetILNS1_3genE10ELNS1_11target_archE1201ELNS1_3gpuE5ELNS1_3repE0EEENS1_30default_config_static_selectorELNS0_4arch9wavefront6targetE1EEEvS14_ ; -- Begin function _ZN7rocprim17ROCPRIM_400000_NS6detail17trampoline_kernelINS0_14default_configENS1_22reduce_config_selectorIN6thrust23THRUST_200600_302600_NS5tupleIblNS6_9null_typeES8_S8_S8_S8_S8_S8_S8_EEEEZNS1_11reduce_implILb1ES3_NS6_12zip_iteratorINS7_INS6_11hip_rocprim26transform_input_iterator_tIbNSD_35transform_pair_of_input_iterators_tIbNS6_6detail15normal_iteratorINS6_10device_ptrIKsEEEESL_NS6_8equal_toIsEEEENSG_9not_fun_tINSD_8identityEEEEENSD_19counting_iterator_tIlEES8_S8_S8_S8_S8_S8_S8_S8_EEEEPS9_S9_NSD_9__find_if7functorIS9_EEEE10hipError_tPvRmT1_T2_T3_mT4_P12ihipStream_tbEUlT_E1_NS1_11comp_targetILNS1_3genE10ELNS1_11target_archE1201ELNS1_3gpuE5ELNS1_3repE0EEENS1_30default_config_static_selectorELNS0_4arch9wavefront6targetE1EEEvS14_
	.globl	_ZN7rocprim17ROCPRIM_400000_NS6detail17trampoline_kernelINS0_14default_configENS1_22reduce_config_selectorIN6thrust23THRUST_200600_302600_NS5tupleIblNS6_9null_typeES8_S8_S8_S8_S8_S8_S8_EEEEZNS1_11reduce_implILb1ES3_NS6_12zip_iteratorINS7_INS6_11hip_rocprim26transform_input_iterator_tIbNSD_35transform_pair_of_input_iterators_tIbNS6_6detail15normal_iteratorINS6_10device_ptrIKsEEEESL_NS6_8equal_toIsEEEENSG_9not_fun_tINSD_8identityEEEEENSD_19counting_iterator_tIlEES8_S8_S8_S8_S8_S8_S8_S8_EEEEPS9_S9_NSD_9__find_if7functorIS9_EEEE10hipError_tPvRmT1_T2_T3_mT4_P12ihipStream_tbEUlT_E1_NS1_11comp_targetILNS1_3genE10ELNS1_11target_archE1201ELNS1_3gpuE5ELNS1_3repE0EEENS1_30default_config_static_selectorELNS0_4arch9wavefront6targetE1EEEvS14_
	.p2align	8
	.type	_ZN7rocprim17ROCPRIM_400000_NS6detail17trampoline_kernelINS0_14default_configENS1_22reduce_config_selectorIN6thrust23THRUST_200600_302600_NS5tupleIblNS6_9null_typeES8_S8_S8_S8_S8_S8_S8_EEEEZNS1_11reduce_implILb1ES3_NS6_12zip_iteratorINS7_INS6_11hip_rocprim26transform_input_iterator_tIbNSD_35transform_pair_of_input_iterators_tIbNS6_6detail15normal_iteratorINS6_10device_ptrIKsEEEESL_NS6_8equal_toIsEEEENSG_9not_fun_tINSD_8identityEEEEENSD_19counting_iterator_tIlEES8_S8_S8_S8_S8_S8_S8_S8_EEEEPS9_S9_NSD_9__find_if7functorIS9_EEEE10hipError_tPvRmT1_T2_T3_mT4_P12ihipStream_tbEUlT_E1_NS1_11comp_targetILNS1_3genE10ELNS1_11target_archE1201ELNS1_3gpuE5ELNS1_3repE0EEENS1_30default_config_static_selectorELNS0_4arch9wavefront6targetE1EEEvS14_,@function
_ZN7rocprim17ROCPRIM_400000_NS6detail17trampoline_kernelINS0_14default_configENS1_22reduce_config_selectorIN6thrust23THRUST_200600_302600_NS5tupleIblNS6_9null_typeES8_S8_S8_S8_S8_S8_S8_EEEEZNS1_11reduce_implILb1ES3_NS6_12zip_iteratorINS7_INS6_11hip_rocprim26transform_input_iterator_tIbNSD_35transform_pair_of_input_iterators_tIbNS6_6detail15normal_iteratorINS6_10device_ptrIKsEEEESL_NS6_8equal_toIsEEEENSG_9not_fun_tINSD_8identityEEEEENSD_19counting_iterator_tIlEES8_S8_S8_S8_S8_S8_S8_S8_EEEEPS9_S9_NSD_9__find_if7functorIS9_EEEE10hipError_tPvRmT1_T2_T3_mT4_P12ihipStream_tbEUlT_E1_NS1_11comp_targetILNS1_3genE10ELNS1_11target_archE1201ELNS1_3gpuE5ELNS1_3repE0EEENS1_30default_config_static_selectorELNS0_4arch9wavefront6targetE1EEEvS14_: ; @_ZN7rocprim17ROCPRIM_400000_NS6detail17trampoline_kernelINS0_14default_configENS1_22reduce_config_selectorIN6thrust23THRUST_200600_302600_NS5tupleIblNS6_9null_typeES8_S8_S8_S8_S8_S8_S8_EEEEZNS1_11reduce_implILb1ES3_NS6_12zip_iteratorINS7_INS6_11hip_rocprim26transform_input_iterator_tIbNSD_35transform_pair_of_input_iterators_tIbNS6_6detail15normal_iteratorINS6_10device_ptrIKsEEEESL_NS6_8equal_toIsEEEENSG_9not_fun_tINSD_8identityEEEEENSD_19counting_iterator_tIlEES8_S8_S8_S8_S8_S8_S8_S8_EEEEPS9_S9_NSD_9__find_if7functorIS9_EEEE10hipError_tPvRmT1_T2_T3_mT4_P12ihipStream_tbEUlT_E1_NS1_11comp_targetILNS1_3genE10ELNS1_11target_archE1201ELNS1_3gpuE5ELNS1_3repE0EEENS1_30default_config_static_selectorELNS0_4arch9wavefront6targetE1EEEvS14_
; %bb.0:
	.section	.rodata,"a",@progbits
	.p2align	6, 0x0
	.amdhsa_kernel _ZN7rocprim17ROCPRIM_400000_NS6detail17trampoline_kernelINS0_14default_configENS1_22reduce_config_selectorIN6thrust23THRUST_200600_302600_NS5tupleIblNS6_9null_typeES8_S8_S8_S8_S8_S8_S8_EEEEZNS1_11reduce_implILb1ES3_NS6_12zip_iteratorINS7_INS6_11hip_rocprim26transform_input_iterator_tIbNSD_35transform_pair_of_input_iterators_tIbNS6_6detail15normal_iteratorINS6_10device_ptrIKsEEEESL_NS6_8equal_toIsEEEENSG_9not_fun_tINSD_8identityEEEEENSD_19counting_iterator_tIlEES8_S8_S8_S8_S8_S8_S8_S8_EEEEPS9_S9_NSD_9__find_if7functorIS9_EEEE10hipError_tPvRmT1_T2_T3_mT4_P12ihipStream_tbEUlT_E1_NS1_11comp_targetILNS1_3genE10ELNS1_11target_archE1201ELNS1_3gpuE5ELNS1_3repE0EEENS1_30default_config_static_selectorELNS0_4arch9wavefront6targetE1EEEvS14_
		.amdhsa_group_segment_fixed_size 0
		.amdhsa_private_segment_fixed_size 0
		.amdhsa_kernarg_size 88
		.amdhsa_user_sgpr_count 2
		.amdhsa_user_sgpr_dispatch_ptr 0
		.amdhsa_user_sgpr_queue_ptr 0
		.amdhsa_user_sgpr_kernarg_segment_ptr 1
		.amdhsa_user_sgpr_dispatch_id 0
		.amdhsa_user_sgpr_kernarg_preload_length 0
		.amdhsa_user_sgpr_kernarg_preload_offset 0
		.amdhsa_user_sgpr_private_segment_size 0
		.amdhsa_uses_dynamic_stack 0
		.amdhsa_enable_private_segment 0
		.amdhsa_system_sgpr_workgroup_id_x 1
		.amdhsa_system_sgpr_workgroup_id_y 0
		.amdhsa_system_sgpr_workgroup_id_z 0
		.amdhsa_system_sgpr_workgroup_info 0
		.amdhsa_system_vgpr_workitem_id 0
		.amdhsa_next_free_vgpr 1
		.amdhsa_next_free_sgpr 0
		.amdhsa_accum_offset 4
		.amdhsa_reserve_vcc 0
		.amdhsa_float_round_mode_32 0
		.amdhsa_float_round_mode_16_64 0
		.amdhsa_float_denorm_mode_32 3
		.amdhsa_float_denorm_mode_16_64 3
		.amdhsa_dx10_clamp 1
		.amdhsa_ieee_mode 1
		.amdhsa_fp16_overflow 0
		.amdhsa_tg_split 0
		.amdhsa_exception_fp_ieee_invalid_op 0
		.amdhsa_exception_fp_denorm_src 0
		.amdhsa_exception_fp_ieee_div_zero 0
		.amdhsa_exception_fp_ieee_overflow 0
		.amdhsa_exception_fp_ieee_underflow 0
		.amdhsa_exception_fp_ieee_inexact 0
		.amdhsa_exception_int_div_zero 0
	.end_amdhsa_kernel
	.section	.text._ZN7rocprim17ROCPRIM_400000_NS6detail17trampoline_kernelINS0_14default_configENS1_22reduce_config_selectorIN6thrust23THRUST_200600_302600_NS5tupleIblNS6_9null_typeES8_S8_S8_S8_S8_S8_S8_EEEEZNS1_11reduce_implILb1ES3_NS6_12zip_iteratorINS7_INS6_11hip_rocprim26transform_input_iterator_tIbNSD_35transform_pair_of_input_iterators_tIbNS6_6detail15normal_iteratorINS6_10device_ptrIKsEEEESL_NS6_8equal_toIsEEEENSG_9not_fun_tINSD_8identityEEEEENSD_19counting_iterator_tIlEES8_S8_S8_S8_S8_S8_S8_S8_EEEEPS9_S9_NSD_9__find_if7functorIS9_EEEE10hipError_tPvRmT1_T2_T3_mT4_P12ihipStream_tbEUlT_E1_NS1_11comp_targetILNS1_3genE10ELNS1_11target_archE1201ELNS1_3gpuE5ELNS1_3repE0EEENS1_30default_config_static_selectorELNS0_4arch9wavefront6targetE1EEEvS14_,"axG",@progbits,_ZN7rocprim17ROCPRIM_400000_NS6detail17trampoline_kernelINS0_14default_configENS1_22reduce_config_selectorIN6thrust23THRUST_200600_302600_NS5tupleIblNS6_9null_typeES8_S8_S8_S8_S8_S8_S8_EEEEZNS1_11reduce_implILb1ES3_NS6_12zip_iteratorINS7_INS6_11hip_rocprim26transform_input_iterator_tIbNSD_35transform_pair_of_input_iterators_tIbNS6_6detail15normal_iteratorINS6_10device_ptrIKsEEEESL_NS6_8equal_toIsEEEENSG_9not_fun_tINSD_8identityEEEEENSD_19counting_iterator_tIlEES8_S8_S8_S8_S8_S8_S8_S8_EEEEPS9_S9_NSD_9__find_if7functorIS9_EEEE10hipError_tPvRmT1_T2_T3_mT4_P12ihipStream_tbEUlT_E1_NS1_11comp_targetILNS1_3genE10ELNS1_11target_archE1201ELNS1_3gpuE5ELNS1_3repE0EEENS1_30default_config_static_selectorELNS0_4arch9wavefront6targetE1EEEvS14_,comdat
.Lfunc_end1710:
	.size	_ZN7rocprim17ROCPRIM_400000_NS6detail17trampoline_kernelINS0_14default_configENS1_22reduce_config_selectorIN6thrust23THRUST_200600_302600_NS5tupleIblNS6_9null_typeES8_S8_S8_S8_S8_S8_S8_EEEEZNS1_11reduce_implILb1ES3_NS6_12zip_iteratorINS7_INS6_11hip_rocprim26transform_input_iterator_tIbNSD_35transform_pair_of_input_iterators_tIbNS6_6detail15normal_iteratorINS6_10device_ptrIKsEEEESL_NS6_8equal_toIsEEEENSG_9not_fun_tINSD_8identityEEEEENSD_19counting_iterator_tIlEES8_S8_S8_S8_S8_S8_S8_S8_EEEEPS9_S9_NSD_9__find_if7functorIS9_EEEE10hipError_tPvRmT1_T2_T3_mT4_P12ihipStream_tbEUlT_E1_NS1_11comp_targetILNS1_3genE10ELNS1_11target_archE1201ELNS1_3gpuE5ELNS1_3repE0EEENS1_30default_config_static_selectorELNS0_4arch9wavefront6targetE1EEEvS14_, .Lfunc_end1710-_ZN7rocprim17ROCPRIM_400000_NS6detail17trampoline_kernelINS0_14default_configENS1_22reduce_config_selectorIN6thrust23THRUST_200600_302600_NS5tupleIblNS6_9null_typeES8_S8_S8_S8_S8_S8_S8_EEEEZNS1_11reduce_implILb1ES3_NS6_12zip_iteratorINS7_INS6_11hip_rocprim26transform_input_iterator_tIbNSD_35transform_pair_of_input_iterators_tIbNS6_6detail15normal_iteratorINS6_10device_ptrIKsEEEESL_NS6_8equal_toIsEEEENSG_9not_fun_tINSD_8identityEEEEENSD_19counting_iterator_tIlEES8_S8_S8_S8_S8_S8_S8_S8_EEEEPS9_S9_NSD_9__find_if7functorIS9_EEEE10hipError_tPvRmT1_T2_T3_mT4_P12ihipStream_tbEUlT_E1_NS1_11comp_targetILNS1_3genE10ELNS1_11target_archE1201ELNS1_3gpuE5ELNS1_3repE0EEENS1_30default_config_static_selectorELNS0_4arch9wavefront6targetE1EEEvS14_
                                        ; -- End function
	.set _ZN7rocprim17ROCPRIM_400000_NS6detail17trampoline_kernelINS0_14default_configENS1_22reduce_config_selectorIN6thrust23THRUST_200600_302600_NS5tupleIblNS6_9null_typeES8_S8_S8_S8_S8_S8_S8_EEEEZNS1_11reduce_implILb1ES3_NS6_12zip_iteratorINS7_INS6_11hip_rocprim26transform_input_iterator_tIbNSD_35transform_pair_of_input_iterators_tIbNS6_6detail15normal_iteratorINS6_10device_ptrIKsEEEESL_NS6_8equal_toIsEEEENSG_9not_fun_tINSD_8identityEEEEENSD_19counting_iterator_tIlEES8_S8_S8_S8_S8_S8_S8_S8_EEEEPS9_S9_NSD_9__find_if7functorIS9_EEEE10hipError_tPvRmT1_T2_T3_mT4_P12ihipStream_tbEUlT_E1_NS1_11comp_targetILNS1_3genE10ELNS1_11target_archE1201ELNS1_3gpuE5ELNS1_3repE0EEENS1_30default_config_static_selectorELNS0_4arch9wavefront6targetE1EEEvS14_.num_vgpr, 0
	.set _ZN7rocprim17ROCPRIM_400000_NS6detail17trampoline_kernelINS0_14default_configENS1_22reduce_config_selectorIN6thrust23THRUST_200600_302600_NS5tupleIblNS6_9null_typeES8_S8_S8_S8_S8_S8_S8_EEEEZNS1_11reduce_implILb1ES3_NS6_12zip_iteratorINS7_INS6_11hip_rocprim26transform_input_iterator_tIbNSD_35transform_pair_of_input_iterators_tIbNS6_6detail15normal_iteratorINS6_10device_ptrIKsEEEESL_NS6_8equal_toIsEEEENSG_9not_fun_tINSD_8identityEEEEENSD_19counting_iterator_tIlEES8_S8_S8_S8_S8_S8_S8_S8_EEEEPS9_S9_NSD_9__find_if7functorIS9_EEEE10hipError_tPvRmT1_T2_T3_mT4_P12ihipStream_tbEUlT_E1_NS1_11comp_targetILNS1_3genE10ELNS1_11target_archE1201ELNS1_3gpuE5ELNS1_3repE0EEENS1_30default_config_static_selectorELNS0_4arch9wavefront6targetE1EEEvS14_.num_agpr, 0
	.set _ZN7rocprim17ROCPRIM_400000_NS6detail17trampoline_kernelINS0_14default_configENS1_22reduce_config_selectorIN6thrust23THRUST_200600_302600_NS5tupleIblNS6_9null_typeES8_S8_S8_S8_S8_S8_S8_EEEEZNS1_11reduce_implILb1ES3_NS6_12zip_iteratorINS7_INS6_11hip_rocprim26transform_input_iterator_tIbNSD_35transform_pair_of_input_iterators_tIbNS6_6detail15normal_iteratorINS6_10device_ptrIKsEEEESL_NS6_8equal_toIsEEEENSG_9not_fun_tINSD_8identityEEEEENSD_19counting_iterator_tIlEES8_S8_S8_S8_S8_S8_S8_S8_EEEEPS9_S9_NSD_9__find_if7functorIS9_EEEE10hipError_tPvRmT1_T2_T3_mT4_P12ihipStream_tbEUlT_E1_NS1_11comp_targetILNS1_3genE10ELNS1_11target_archE1201ELNS1_3gpuE5ELNS1_3repE0EEENS1_30default_config_static_selectorELNS0_4arch9wavefront6targetE1EEEvS14_.numbered_sgpr, 0
	.set _ZN7rocprim17ROCPRIM_400000_NS6detail17trampoline_kernelINS0_14default_configENS1_22reduce_config_selectorIN6thrust23THRUST_200600_302600_NS5tupleIblNS6_9null_typeES8_S8_S8_S8_S8_S8_S8_EEEEZNS1_11reduce_implILb1ES3_NS6_12zip_iteratorINS7_INS6_11hip_rocprim26transform_input_iterator_tIbNSD_35transform_pair_of_input_iterators_tIbNS6_6detail15normal_iteratorINS6_10device_ptrIKsEEEESL_NS6_8equal_toIsEEEENSG_9not_fun_tINSD_8identityEEEEENSD_19counting_iterator_tIlEES8_S8_S8_S8_S8_S8_S8_S8_EEEEPS9_S9_NSD_9__find_if7functorIS9_EEEE10hipError_tPvRmT1_T2_T3_mT4_P12ihipStream_tbEUlT_E1_NS1_11comp_targetILNS1_3genE10ELNS1_11target_archE1201ELNS1_3gpuE5ELNS1_3repE0EEENS1_30default_config_static_selectorELNS0_4arch9wavefront6targetE1EEEvS14_.num_named_barrier, 0
	.set _ZN7rocprim17ROCPRIM_400000_NS6detail17trampoline_kernelINS0_14default_configENS1_22reduce_config_selectorIN6thrust23THRUST_200600_302600_NS5tupleIblNS6_9null_typeES8_S8_S8_S8_S8_S8_S8_EEEEZNS1_11reduce_implILb1ES3_NS6_12zip_iteratorINS7_INS6_11hip_rocprim26transform_input_iterator_tIbNSD_35transform_pair_of_input_iterators_tIbNS6_6detail15normal_iteratorINS6_10device_ptrIKsEEEESL_NS6_8equal_toIsEEEENSG_9not_fun_tINSD_8identityEEEEENSD_19counting_iterator_tIlEES8_S8_S8_S8_S8_S8_S8_S8_EEEEPS9_S9_NSD_9__find_if7functorIS9_EEEE10hipError_tPvRmT1_T2_T3_mT4_P12ihipStream_tbEUlT_E1_NS1_11comp_targetILNS1_3genE10ELNS1_11target_archE1201ELNS1_3gpuE5ELNS1_3repE0EEENS1_30default_config_static_selectorELNS0_4arch9wavefront6targetE1EEEvS14_.private_seg_size, 0
	.set _ZN7rocprim17ROCPRIM_400000_NS6detail17trampoline_kernelINS0_14default_configENS1_22reduce_config_selectorIN6thrust23THRUST_200600_302600_NS5tupleIblNS6_9null_typeES8_S8_S8_S8_S8_S8_S8_EEEEZNS1_11reduce_implILb1ES3_NS6_12zip_iteratorINS7_INS6_11hip_rocprim26transform_input_iterator_tIbNSD_35transform_pair_of_input_iterators_tIbNS6_6detail15normal_iteratorINS6_10device_ptrIKsEEEESL_NS6_8equal_toIsEEEENSG_9not_fun_tINSD_8identityEEEEENSD_19counting_iterator_tIlEES8_S8_S8_S8_S8_S8_S8_S8_EEEEPS9_S9_NSD_9__find_if7functorIS9_EEEE10hipError_tPvRmT1_T2_T3_mT4_P12ihipStream_tbEUlT_E1_NS1_11comp_targetILNS1_3genE10ELNS1_11target_archE1201ELNS1_3gpuE5ELNS1_3repE0EEENS1_30default_config_static_selectorELNS0_4arch9wavefront6targetE1EEEvS14_.uses_vcc, 0
	.set _ZN7rocprim17ROCPRIM_400000_NS6detail17trampoline_kernelINS0_14default_configENS1_22reduce_config_selectorIN6thrust23THRUST_200600_302600_NS5tupleIblNS6_9null_typeES8_S8_S8_S8_S8_S8_S8_EEEEZNS1_11reduce_implILb1ES3_NS6_12zip_iteratorINS7_INS6_11hip_rocprim26transform_input_iterator_tIbNSD_35transform_pair_of_input_iterators_tIbNS6_6detail15normal_iteratorINS6_10device_ptrIKsEEEESL_NS6_8equal_toIsEEEENSG_9not_fun_tINSD_8identityEEEEENSD_19counting_iterator_tIlEES8_S8_S8_S8_S8_S8_S8_S8_EEEEPS9_S9_NSD_9__find_if7functorIS9_EEEE10hipError_tPvRmT1_T2_T3_mT4_P12ihipStream_tbEUlT_E1_NS1_11comp_targetILNS1_3genE10ELNS1_11target_archE1201ELNS1_3gpuE5ELNS1_3repE0EEENS1_30default_config_static_selectorELNS0_4arch9wavefront6targetE1EEEvS14_.uses_flat_scratch, 0
	.set _ZN7rocprim17ROCPRIM_400000_NS6detail17trampoline_kernelINS0_14default_configENS1_22reduce_config_selectorIN6thrust23THRUST_200600_302600_NS5tupleIblNS6_9null_typeES8_S8_S8_S8_S8_S8_S8_EEEEZNS1_11reduce_implILb1ES3_NS6_12zip_iteratorINS7_INS6_11hip_rocprim26transform_input_iterator_tIbNSD_35transform_pair_of_input_iterators_tIbNS6_6detail15normal_iteratorINS6_10device_ptrIKsEEEESL_NS6_8equal_toIsEEEENSG_9not_fun_tINSD_8identityEEEEENSD_19counting_iterator_tIlEES8_S8_S8_S8_S8_S8_S8_S8_EEEEPS9_S9_NSD_9__find_if7functorIS9_EEEE10hipError_tPvRmT1_T2_T3_mT4_P12ihipStream_tbEUlT_E1_NS1_11comp_targetILNS1_3genE10ELNS1_11target_archE1201ELNS1_3gpuE5ELNS1_3repE0EEENS1_30default_config_static_selectorELNS0_4arch9wavefront6targetE1EEEvS14_.has_dyn_sized_stack, 0
	.set _ZN7rocprim17ROCPRIM_400000_NS6detail17trampoline_kernelINS0_14default_configENS1_22reduce_config_selectorIN6thrust23THRUST_200600_302600_NS5tupleIblNS6_9null_typeES8_S8_S8_S8_S8_S8_S8_EEEEZNS1_11reduce_implILb1ES3_NS6_12zip_iteratorINS7_INS6_11hip_rocprim26transform_input_iterator_tIbNSD_35transform_pair_of_input_iterators_tIbNS6_6detail15normal_iteratorINS6_10device_ptrIKsEEEESL_NS6_8equal_toIsEEEENSG_9not_fun_tINSD_8identityEEEEENSD_19counting_iterator_tIlEES8_S8_S8_S8_S8_S8_S8_S8_EEEEPS9_S9_NSD_9__find_if7functorIS9_EEEE10hipError_tPvRmT1_T2_T3_mT4_P12ihipStream_tbEUlT_E1_NS1_11comp_targetILNS1_3genE10ELNS1_11target_archE1201ELNS1_3gpuE5ELNS1_3repE0EEENS1_30default_config_static_selectorELNS0_4arch9wavefront6targetE1EEEvS14_.has_recursion, 0
	.set _ZN7rocprim17ROCPRIM_400000_NS6detail17trampoline_kernelINS0_14default_configENS1_22reduce_config_selectorIN6thrust23THRUST_200600_302600_NS5tupleIblNS6_9null_typeES8_S8_S8_S8_S8_S8_S8_EEEEZNS1_11reduce_implILb1ES3_NS6_12zip_iteratorINS7_INS6_11hip_rocprim26transform_input_iterator_tIbNSD_35transform_pair_of_input_iterators_tIbNS6_6detail15normal_iteratorINS6_10device_ptrIKsEEEESL_NS6_8equal_toIsEEEENSG_9not_fun_tINSD_8identityEEEEENSD_19counting_iterator_tIlEES8_S8_S8_S8_S8_S8_S8_S8_EEEEPS9_S9_NSD_9__find_if7functorIS9_EEEE10hipError_tPvRmT1_T2_T3_mT4_P12ihipStream_tbEUlT_E1_NS1_11comp_targetILNS1_3genE10ELNS1_11target_archE1201ELNS1_3gpuE5ELNS1_3repE0EEENS1_30default_config_static_selectorELNS0_4arch9wavefront6targetE1EEEvS14_.has_indirect_call, 0
	.section	.AMDGPU.csdata,"",@progbits
; Kernel info:
; codeLenInByte = 0
; TotalNumSgprs: 6
; NumVgprs: 0
; NumAgprs: 0
; TotalNumVgprs: 0
; ScratchSize: 0
; MemoryBound: 0
; FloatMode: 240
; IeeeMode: 1
; LDSByteSize: 0 bytes/workgroup (compile time only)
; SGPRBlocks: 0
; VGPRBlocks: 0
; NumSGPRsForWavesPerEU: 6
; NumVGPRsForWavesPerEU: 1
; AccumOffset: 4
; Occupancy: 8
; WaveLimiterHint : 0
; COMPUTE_PGM_RSRC2:SCRATCH_EN: 0
; COMPUTE_PGM_RSRC2:USER_SGPR: 2
; COMPUTE_PGM_RSRC2:TRAP_HANDLER: 0
; COMPUTE_PGM_RSRC2:TGID_X_EN: 1
; COMPUTE_PGM_RSRC2:TGID_Y_EN: 0
; COMPUTE_PGM_RSRC2:TGID_Z_EN: 0
; COMPUTE_PGM_RSRC2:TIDIG_COMP_CNT: 0
; COMPUTE_PGM_RSRC3_GFX90A:ACCUM_OFFSET: 0
; COMPUTE_PGM_RSRC3_GFX90A:TG_SPLIT: 0
	.section	.text._ZN7rocprim17ROCPRIM_400000_NS6detail17trampoline_kernelINS0_14default_configENS1_22reduce_config_selectorIN6thrust23THRUST_200600_302600_NS5tupleIblNS6_9null_typeES8_S8_S8_S8_S8_S8_S8_EEEEZNS1_11reduce_implILb1ES3_NS6_12zip_iteratorINS7_INS6_11hip_rocprim26transform_input_iterator_tIbNSD_35transform_pair_of_input_iterators_tIbNS6_6detail15normal_iteratorINS6_10device_ptrIKsEEEESL_NS6_8equal_toIsEEEENSG_9not_fun_tINSD_8identityEEEEENSD_19counting_iterator_tIlEES8_S8_S8_S8_S8_S8_S8_S8_EEEEPS9_S9_NSD_9__find_if7functorIS9_EEEE10hipError_tPvRmT1_T2_T3_mT4_P12ihipStream_tbEUlT_E1_NS1_11comp_targetILNS1_3genE10ELNS1_11target_archE1200ELNS1_3gpuE4ELNS1_3repE0EEENS1_30default_config_static_selectorELNS0_4arch9wavefront6targetE1EEEvS14_,"axG",@progbits,_ZN7rocprim17ROCPRIM_400000_NS6detail17trampoline_kernelINS0_14default_configENS1_22reduce_config_selectorIN6thrust23THRUST_200600_302600_NS5tupleIblNS6_9null_typeES8_S8_S8_S8_S8_S8_S8_EEEEZNS1_11reduce_implILb1ES3_NS6_12zip_iteratorINS7_INS6_11hip_rocprim26transform_input_iterator_tIbNSD_35transform_pair_of_input_iterators_tIbNS6_6detail15normal_iteratorINS6_10device_ptrIKsEEEESL_NS6_8equal_toIsEEEENSG_9not_fun_tINSD_8identityEEEEENSD_19counting_iterator_tIlEES8_S8_S8_S8_S8_S8_S8_S8_EEEEPS9_S9_NSD_9__find_if7functorIS9_EEEE10hipError_tPvRmT1_T2_T3_mT4_P12ihipStream_tbEUlT_E1_NS1_11comp_targetILNS1_3genE10ELNS1_11target_archE1200ELNS1_3gpuE4ELNS1_3repE0EEENS1_30default_config_static_selectorELNS0_4arch9wavefront6targetE1EEEvS14_,comdat
	.protected	_ZN7rocprim17ROCPRIM_400000_NS6detail17trampoline_kernelINS0_14default_configENS1_22reduce_config_selectorIN6thrust23THRUST_200600_302600_NS5tupleIblNS6_9null_typeES8_S8_S8_S8_S8_S8_S8_EEEEZNS1_11reduce_implILb1ES3_NS6_12zip_iteratorINS7_INS6_11hip_rocprim26transform_input_iterator_tIbNSD_35transform_pair_of_input_iterators_tIbNS6_6detail15normal_iteratorINS6_10device_ptrIKsEEEESL_NS6_8equal_toIsEEEENSG_9not_fun_tINSD_8identityEEEEENSD_19counting_iterator_tIlEES8_S8_S8_S8_S8_S8_S8_S8_EEEEPS9_S9_NSD_9__find_if7functorIS9_EEEE10hipError_tPvRmT1_T2_T3_mT4_P12ihipStream_tbEUlT_E1_NS1_11comp_targetILNS1_3genE10ELNS1_11target_archE1200ELNS1_3gpuE4ELNS1_3repE0EEENS1_30default_config_static_selectorELNS0_4arch9wavefront6targetE1EEEvS14_ ; -- Begin function _ZN7rocprim17ROCPRIM_400000_NS6detail17trampoline_kernelINS0_14default_configENS1_22reduce_config_selectorIN6thrust23THRUST_200600_302600_NS5tupleIblNS6_9null_typeES8_S8_S8_S8_S8_S8_S8_EEEEZNS1_11reduce_implILb1ES3_NS6_12zip_iteratorINS7_INS6_11hip_rocprim26transform_input_iterator_tIbNSD_35transform_pair_of_input_iterators_tIbNS6_6detail15normal_iteratorINS6_10device_ptrIKsEEEESL_NS6_8equal_toIsEEEENSG_9not_fun_tINSD_8identityEEEEENSD_19counting_iterator_tIlEES8_S8_S8_S8_S8_S8_S8_S8_EEEEPS9_S9_NSD_9__find_if7functorIS9_EEEE10hipError_tPvRmT1_T2_T3_mT4_P12ihipStream_tbEUlT_E1_NS1_11comp_targetILNS1_3genE10ELNS1_11target_archE1200ELNS1_3gpuE4ELNS1_3repE0EEENS1_30default_config_static_selectorELNS0_4arch9wavefront6targetE1EEEvS14_
	.globl	_ZN7rocprim17ROCPRIM_400000_NS6detail17trampoline_kernelINS0_14default_configENS1_22reduce_config_selectorIN6thrust23THRUST_200600_302600_NS5tupleIblNS6_9null_typeES8_S8_S8_S8_S8_S8_S8_EEEEZNS1_11reduce_implILb1ES3_NS6_12zip_iteratorINS7_INS6_11hip_rocprim26transform_input_iterator_tIbNSD_35transform_pair_of_input_iterators_tIbNS6_6detail15normal_iteratorINS6_10device_ptrIKsEEEESL_NS6_8equal_toIsEEEENSG_9not_fun_tINSD_8identityEEEEENSD_19counting_iterator_tIlEES8_S8_S8_S8_S8_S8_S8_S8_EEEEPS9_S9_NSD_9__find_if7functorIS9_EEEE10hipError_tPvRmT1_T2_T3_mT4_P12ihipStream_tbEUlT_E1_NS1_11comp_targetILNS1_3genE10ELNS1_11target_archE1200ELNS1_3gpuE4ELNS1_3repE0EEENS1_30default_config_static_selectorELNS0_4arch9wavefront6targetE1EEEvS14_
	.p2align	8
	.type	_ZN7rocprim17ROCPRIM_400000_NS6detail17trampoline_kernelINS0_14default_configENS1_22reduce_config_selectorIN6thrust23THRUST_200600_302600_NS5tupleIblNS6_9null_typeES8_S8_S8_S8_S8_S8_S8_EEEEZNS1_11reduce_implILb1ES3_NS6_12zip_iteratorINS7_INS6_11hip_rocprim26transform_input_iterator_tIbNSD_35transform_pair_of_input_iterators_tIbNS6_6detail15normal_iteratorINS6_10device_ptrIKsEEEESL_NS6_8equal_toIsEEEENSG_9not_fun_tINSD_8identityEEEEENSD_19counting_iterator_tIlEES8_S8_S8_S8_S8_S8_S8_S8_EEEEPS9_S9_NSD_9__find_if7functorIS9_EEEE10hipError_tPvRmT1_T2_T3_mT4_P12ihipStream_tbEUlT_E1_NS1_11comp_targetILNS1_3genE10ELNS1_11target_archE1200ELNS1_3gpuE4ELNS1_3repE0EEENS1_30default_config_static_selectorELNS0_4arch9wavefront6targetE1EEEvS14_,@function
_ZN7rocprim17ROCPRIM_400000_NS6detail17trampoline_kernelINS0_14default_configENS1_22reduce_config_selectorIN6thrust23THRUST_200600_302600_NS5tupleIblNS6_9null_typeES8_S8_S8_S8_S8_S8_S8_EEEEZNS1_11reduce_implILb1ES3_NS6_12zip_iteratorINS7_INS6_11hip_rocprim26transform_input_iterator_tIbNSD_35transform_pair_of_input_iterators_tIbNS6_6detail15normal_iteratorINS6_10device_ptrIKsEEEESL_NS6_8equal_toIsEEEENSG_9not_fun_tINSD_8identityEEEEENSD_19counting_iterator_tIlEES8_S8_S8_S8_S8_S8_S8_S8_EEEEPS9_S9_NSD_9__find_if7functorIS9_EEEE10hipError_tPvRmT1_T2_T3_mT4_P12ihipStream_tbEUlT_E1_NS1_11comp_targetILNS1_3genE10ELNS1_11target_archE1200ELNS1_3gpuE4ELNS1_3repE0EEENS1_30default_config_static_selectorELNS0_4arch9wavefront6targetE1EEEvS14_: ; @_ZN7rocprim17ROCPRIM_400000_NS6detail17trampoline_kernelINS0_14default_configENS1_22reduce_config_selectorIN6thrust23THRUST_200600_302600_NS5tupleIblNS6_9null_typeES8_S8_S8_S8_S8_S8_S8_EEEEZNS1_11reduce_implILb1ES3_NS6_12zip_iteratorINS7_INS6_11hip_rocprim26transform_input_iterator_tIbNSD_35transform_pair_of_input_iterators_tIbNS6_6detail15normal_iteratorINS6_10device_ptrIKsEEEESL_NS6_8equal_toIsEEEENSG_9not_fun_tINSD_8identityEEEEENSD_19counting_iterator_tIlEES8_S8_S8_S8_S8_S8_S8_S8_EEEEPS9_S9_NSD_9__find_if7functorIS9_EEEE10hipError_tPvRmT1_T2_T3_mT4_P12ihipStream_tbEUlT_E1_NS1_11comp_targetILNS1_3genE10ELNS1_11target_archE1200ELNS1_3gpuE4ELNS1_3repE0EEENS1_30default_config_static_selectorELNS0_4arch9wavefront6targetE1EEEvS14_
; %bb.0:
	.section	.rodata,"a",@progbits
	.p2align	6, 0x0
	.amdhsa_kernel _ZN7rocprim17ROCPRIM_400000_NS6detail17trampoline_kernelINS0_14default_configENS1_22reduce_config_selectorIN6thrust23THRUST_200600_302600_NS5tupleIblNS6_9null_typeES8_S8_S8_S8_S8_S8_S8_EEEEZNS1_11reduce_implILb1ES3_NS6_12zip_iteratorINS7_INS6_11hip_rocprim26transform_input_iterator_tIbNSD_35transform_pair_of_input_iterators_tIbNS6_6detail15normal_iteratorINS6_10device_ptrIKsEEEESL_NS6_8equal_toIsEEEENSG_9not_fun_tINSD_8identityEEEEENSD_19counting_iterator_tIlEES8_S8_S8_S8_S8_S8_S8_S8_EEEEPS9_S9_NSD_9__find_if7functorIS9_EEEE10hipError_tPvRmT1_T2_T3_mT4_P12ihipStream_tbEUlT_E1_NS1_11comp_targetILNS1_3genE10ELNS1_11target_archE1200ELNS1_3gpuE4ELNS1_3repE0EEENS1_30default_config_static_selectorELNS0_4arch9wavefront6targetE1EEEvS14_
		.amdhsa_group_segment_fixed_size 0
		.amdhsa_private_segment_fixed_size 0
		.amdhsa_kernarg_size 88
		.amdhsa_user_sgpr_count 2
		.amdhsa_user_sgpr_dispatch_ptr 0
		.amdhsa_user_sgpr_queue_ptr 0
		.amdhsa_user_sgpr_kernarg_segment_ptr 1
		.amdhsa_user_sgpr_dispatch_id 0
		.amdhsa_user_sgpr_kernarg_preload_length 0
		.amdhsa_user_sgpr_kernarg_preload_offset 0
		.amdhsa_user_sgpr_private_segment_size 0
		.amdhsa_uses_dynamic_stack 0
		.amdhsa_enable_private_segment 0
		.amdhsa_system_sgpr_workgroup_id_x 1
		.amdhsa_system_sgpr_workgroup_id_y 0
		.amdhsa_system_sgpr_workgroup_id_z 0
		.amdhsa_system_sgpr_workgroup_info 0
		.amdhsa_system_vgpr_workitem_id 0
		.amdhsa_next_free_vgpr 1
		.amdhsa_next_free_sgpr 0
		.amdhsa_accum_offset 4
		.amdhsa_reserve_vcc 0
		.amdhsa_float_round_mode_32 0
		.amdhsa_float_round_mode_16_64 0
		.amdhsa_float_denorm_mode_32 3
		.amdhsa_float_denorm_mode_16_64 3
		.amdhsa_dx10_clamp 1
		.amdhsa_ieee_mode 1
		.amdhsa_fp16_overflow 0
		.amdhsa_tg_split 0
		.amdhsa_exception_fp_ieee_invalid_op 0
		.amdhsa_exception_fp_denorm_src 0
		.amdhsa_exception_fp_ieee_div_zero 0
		.amdhsa_exception_fp_ieee_overflow 0
		.amdhsa_exception_fp_ieee_underflow 0
		.amdhsa_exception_fp_ieee_inexact 0
		.amdhsa_exception_int_div_zero 0
	.end_amdhsa_kernel
	.section	.text._ZN7rocprim17ROCPRIM_400000_NS6detail17trampoline_kernelINS0_14default_configENS1_22reduce_config_selectorIN6thrust23THRUST_200600_302600_NS5tupleIblNS6_9null_typeES8_S8_S8_S8_S8_S8_S8_EEEEZNS1_11reduce_implILb1ES3_NS6_12zip_iteratorINS7_INS6_11hip_rocprim26transform_input_iterator_tIbNSD_35transform_pair_of_input_iterators_tIbNS6_6detail15normal_iteratorINS6_10device_ptrIKsEEEESL_NS6_8equal_toIsEEEENSG_9not_fun_tINSD_8identityEEEEENSD_19counting_iterator_tIlEES8_S8_S8_S8_S8_S8_S8_S8_EEEEPS9_S9_NSD_9__find_if7functorIS9_EEEE10hipError_tPvRmT1_T2_T3_mT4_P12ihipStream_tbEUlT_E1_NS1_11comp_targetILNS1_3genE10ELNS1_11target_archE1200ELNS1_3gpuE4ELNS1_3repE0EEENS1_30default_config_static_selectorELNS0_4arch9wavefront6targetE1EEEvS14_,"axG",@progbits,_ZN7rocprim17ROCPRIM_400000_NS6detail17trampoline_kernelINS0_14default_configENS1_22reduce_config_selectorIN6thrust23THRUST_200600_302600_NS5tupleIblNS6_9null_typeES8_S8_S8_S8_S8_S8_S8_EEEEZNS1_11reduce_implILb1ES3_NS6_12zip_iteratorINS7_INS6_11hip_rocprim26transform_input_iterator_tIbNSD_35transform_pair_of_input_iterators_tIbNS6_6detail15normal_iteratorINS6_10device_ptrIKsEEEESL_NS6_8equal_toIsEEEENSG_9not_fun_tINSD_8identityEEEEENSD_19counting_iterator_tIlEES8_S8_S8_S8_S8_S8_S8_S8_EEEEPS9_S9_NSD_9__find_if7functorIS9_EEEE10hipError_tPvRmT1_T2_T3_mT4_P12ihipStream_tbEUlT_E1_NS1_11comp_targetILNS1_3genE10ELNS1_11target_archE1200ELNS1_3gpuE4ELNS1_3repE0EEENS1_30default_config_static_selectorELNS0_4arch9wavefront6targetE1EEEvS14_,comdat
.Lfunc_end1711:
	.size	_ZN7rocprim17ROCPRIM_400000_NS6detail17trampoline_kernelINS0_14default_configENS1_22reduce_config_selectorIN6thrust23THRUST_200600_302600_NS5tupleIblNS6_9null_typeES8_S8_S8_S8_S8_S8_S8_EEEEZNS1_11reduce_implILb1ES3_NS6_12zip_iteratorINS7_INS6_11hip_rocprim26transform_input_iterator_tIbNSD_35transform_pair_of_input_iterators_tIbNS6_6detail15normal_iteratorINS6_10device_ptrIKsEEEESL_NS6_8equal_toIsEEEENSG_9not_fun_tINSD_8identityEEEEENSD_19counting_iterator_tIlEES8_S8_S8_S8_S8_S8_S8_S8_EEEEPS9_S9_NSD_9__find_if7functorIS9_EEEE10hipError_tPvRmT1_T2_T3_mT4_P12ihipStream_tbEUlT_E1_NS1_11comp_targetILNS1_3genE10ELNS1_11target_archE1200ELNS1_3gpuE4ELNS1_3repE0EEENS1_30default_config_static_selectorELNS0_4arch9wavefront6targetE1EEEvS14_, .Lfunc_end1711-_ZN7rocprim17ROCPRIM_400000_NS6detail17trampoline_kernelINS0_14default_configENS1_22reduce_config_selectorIN6thrust23THRUST_200600_302600_NS5tupleIblNS6_9null_typeES8_S8_S8_S8_S8_S8_S8_EEEEZNS1_11reduce_implILb1ES3_NS6_12zip_iteratorINS7_INS6_11hip_rocprim26transform_input_iterator_tIbNSD_35transform_pair_of_input_iterators_tIbNS6_6detail15normal_iteratorINS6_10device_ptrIKsEEEESL_NS6_8equal_toIsEEEENSG_9not_fun_tINSD_8identityEEEEENSD_19counting_iterator_tIlEES8_S8_S8_S8_S8_S8_S8_S8_EEEEPS9_S9_NSD_9__find_if7functorIS9_EEEE10hipError_tPvRmT1_T2_T3_mT4_P12ihipStream_tbEUlT_E1_NS1_11comp_targetILNS1_3genE10ELNS1_11target_archE1200ELNS1_3gpuE4ELNS1_3repE0EEENS1_30default_config_static_selectorELNS0_4arch9wavefront6targetE1EEEvS14_
                                        ; -- End function
	.set _ZN7rocprim17ROCPRIM_400000_NS6detail17trampoline_kernelINS0_14default_configENS1_22reduce_config_selectorIN6thrust23THRUST_200600_302600_NS5tupleIblNS6_9null_typeES8_S8_S8_S8_S8_S8_S8_EEEEZNS1_11reduce_implILb1ES3_NS6_12zip_iteratorINS7_INS6_11hip_rocprim26transform_input_iterator_tIbNSD_35transform_pair_of_input_iterators_tIbNS6_6detail15normal_iteratorINS6_10device_ptrIKsEEEESL_NS6_8equal_toIsEEEENSG_9not_fun_tINSD_8identityEEEEENSD_19counting_iterator_tIlEES8_S8_S8_S8_S8_S8_S8_S8_EEEEPS9_S9_NSD_9__find_if7functorIS9_EEEE10hipError_tPvRmT1_T2_T3_mT4_P12ihipStream_tbEUlT_E1_NS1_11comp_targetILNS1_3genE10ELNS1_11target_archE1200ELNS1_3gpuE4ELNS1_3repE0EEENS1_30default_config_static_selectorELNS0_4arch9wavefront6targetE1EEEvS14_.num_vgpr, 0
	.set _ZN7rocprim17ROCPRIM_400000_NS6detail17trampoline_kernelINS0_14default_configENS1_22reduce_config_selectorIN6thrust23THRUST_200600_302600_NS5tupleIblNS6_9null_typeES8_S8_S8_S8_S8_S8_S8_EEEEZNS1_11reduce_implILb1ES3_NS6_12zip_iteratorINS7_INS6_11hip_rocprim26transform_input_iterator_tIbNSD_35transform_pair_of_input_iterators_tIbNS6_6detail15normal_iteratorINS6_10device_ptrIKsEEEESL_NS6_8equal_toIsEEEENSG_9not_fun_tINSD_8identityEEEEENSD_19counting_iterator_tIlEES8_S8_S8_S8_S8_S8_S8_S8_EEEEPS9_S9_NSD_9__find_if7functorIS9_EEEE10hipError_tPvRmT1_T2_T3_mT4_P12ihipStream_tbEUlT_E1_NS1_11comp_targetILNS1_3genE10ELNS1_11target_archE1200ELNS1_3gpuE4ELNS1_3repE0EEENS1_30default_config_static_selectorELNS0_4arch9wavefront6targetE1EEEvS14_.num_agpr, 0
	.set _ZN7rocprim17ROCPRIM_400000_NS6detail17trampoline_kernelINS0_14default_configENS1_22reduce_config_selectorIN6thrust23THRUST_200600_302600_NS5tupleIblNS6_9null_typeES8_S8_S8_S8_S8_S8_S8_EEEEZNS1_11reduce_implILb1ES3_NS6_12zip_iteratorINS7_INS6_11hip_rocprim26transform_input_iterator_tIbNSD_35transform_pair_of_input_iterators_tIbNS6_6detail15normal_iteratorINS6_10device_ptrIKsEEEESL_NS6_8equal_toIsEEEENSG_9not_fun_tINSD_8identityEEEEENSD_19counting_iterator_tIlEES8_S8_S8_S8_S8_S8_S8_S8_EEEEPS9_S9_NSD_9__find_if7functorIS9_EEEE10hipError_tPvRmT1_T2_T3_mT4_P12ihipStream_tbEUlT_E1_NS1_11comp_targetILNS1_3genE10ELNS1_11target_archE1200ELNS1_3gpuE4ELNS1_3repE0EEENS1_30default_config_static_selectorELNS0_4arch9wavefront6targetE1EEEvS14_.numbered_sgpr, 0
	.set _ZN7rocprim17ROCPRIM_400000_NS6detail17trampoline_kernelINS0_14default_configENS1_22reduce_config_selectorIN6thrust23THRUST_200600_302600_NS5tupleIblNS6_9null_typeES8_S8_S8_S8_S8_S8_S8_EEEEZNS1_11reduce_implILb1ES3_NS6_12zip_iteratorINS7_INS6_11hip_rocprim26transform_input_iterator_tIbNSD_35transform_pair_of_input_iterators_tIbNS6_6detail15normal_iteratorINS6_10device_ptrIKsEEEESL_NS6_8equal_toIsEEEENSG_9not_fun_tINSD_8identityEEEEENSD_19counting_iterator_tIlEES8_S8_S8_S8_S8_S8_S8_S8_EEEEPS9_S9_NSD_9__find_if7functorIS9_EEEE10hipError_tPvRmT1_T2_T3_mT4_P12ihipStream_tbEUlT_E1_NS1_11comp_targetILNS1_3genE10ELNS1_11target_archE1200ELNS1_3gpuE4ELNS1_3repE0EEENS1_30default_config_static_selectorELNS0_4arch9wavefront6targetE1EEEvS14_.num_named_barrier, 0
	.set _ZN7rocprim17ROCPRIM_400000_NS6detail17trampoline_kernelINS0_14default_configENS1_22reduce_config_selectorIN6thrust23THRUST_200600_302600_NS5tupleIblNS6_9null_typeES8_S8_S8_S8_S8_S8_S8_EEEEZNS1_11reduce_implILb1ES3_NS6_12zip_iteratorINS7_INS6_11hip_rocprim26transform_input_iterator_tIbNSD_35transform_pair_of_input_iterators_tIbNS6_6detail15normal_iteratorINS6_10device_ptrIKsEEEESL_NS6_8equal_toIsEEEENSG_9not_fun_tINSD_8identityEEEEENSD_19counting_iterator_tIlEES8_S8_S8_S8_S8_S8_S8_S8_EEEEPS9_S9_NSD_9__find_if7functorIS9_EEEE10hipError_tPvRmT1_T2_T3_mT4_P12ihipStream_tbEUlT_E1_NS1_11comp_targetILNS1_3genE10ELNS1_11target_archE1200ELNS1_3gpuE4ELNS1_3repE0EEENS1_30default_config_static_selectorELNS0_4arch9wavefront6targetE1EEEvS14_.private_seg_size, 0
	.set _ZN7rocprim17ROCPRIM_400000_NS6detail17trampoline_kernelINS0_14default_configENS1_22reduce_config_selectorIN6thrust23THRUST_200600_302600_NS5tupleIblNS6_9null_typeES8_S8_S8_S8_S8_S8_S8_EEEEZNS1_11reduce_implILb1ES3_NS6_12zip_iteratorINS7_INS6_11hip_rocprim26transform_input_iterator_tIbNSD_35transform_pair_of_input_iterators_tIbNS6_6detail15normal_iteratorINS6_10device_ptrIKsEEEESL_NS6_8equal_toIsEEEENSG_9not_fun_tINSD_8identityEEEEENSD_19counting_iterator_tIlEES8_S8_S8_S8_S8_S8_S8_S8_EEEEPS9_S9_NSD_9__find_if7functorIS9_EEEE10hipError_tPvRmT1_T2_T3_mT4_P12ihipStream_tbEUlT_E1_NS1_11comp_targetILNS1_3genE10ELNS1_11target_archE1200ELNS1_3gpuE4ELNS1_3repE0EEENS1_30default_config_static_selectorELNS0_4arch9wavefront6targetE1EEEvS14_.uses_vcc, 0
	.set _ZN7rocprim17ROCPRIM_400000_NS6detail17trampoline_kernelINS0_14default_configENS1_22reduce_config_selectorIN6thrust23THRUST_200600_302600_NS5tupleIblNS6_9null_typeES8_S8_S8_S8_S8_S8_S8_EEEEZNS1_11reduce_implILb1ES3_NS6_12zip_iteratorINS7_INS6_11hip_rocprim26transform_input_iterator_tIbNSD_35transform_pair_of_input_iterators_tIbNS6_6detail15normal_iteratorINS6_10device_ptrIKsEEEESL_NS6_8equal_toIsEEEENSG_9not_fun_tINSD_8identityEEEEENSD_19counting_iterator_tIlEES8_S8_S8_S8_S8_S8_S8_S8_EEEEPS9_S9_NSD_9__find_if7functorIS9_EEEE10hipError_tPvRmT1_T2_T3_mT4_P12ihipStream_tbEUlT_E1_NS1_11comp_targetILNS1_3genE10ELNS1_11target_archE1200ELNS1_3gpuE4ELNS1_3repE0EEENS1_30default_config_static_selectorELNS0_4arch9wavefront6targetE1EEEvS14_.uses_flat_scratch, 0
	.set _ZN7rocprim17ROCPRIM_400000_NS6detail17trampoline_kernelINS0_14default_configENS1_22reduce_config_selectorIN6thrust23THRUST_200600_302600_NS5tupleIblNS6_9null_typeES8_S8_S8_S8_S8_S8_S8_EEEEZNS1_11reduce_implILb1ES3_NS6_12zip_iteratorINS7_INS6_11hip_rocprim26transform_input_iterator_tIbNSD_35transform_pair_of_input_iterators_tIbNS6_6detail15normal_iteratorINS6_10device_ptrIKsEEEESL_NS6_8equal_toIsEEEENSG_9not_fun_tINSD_8identityEEEEENSD_19counting_iterator_tIlEES8_S8_S8_S8_S8_S8_S8_S8_EEEEPS9_S9_NSD_9__find_if7functorIS9_EEEE10hipError_tPvRmT1_T2_T3_mT4_P12ihipStream_tbEUlT_E1_NS1_11comp_targetILNS1_3genE10ELNS1_11target_archE1200ELNS1_3gpuE4ELNS1_3repE0EEENS1_30default_config_static_selectorELNS0_4arch9wavefront6targetE1EEEvS14_.has_dyn_sized_stack, 0
	.set _ZN7rocprim17ROCPRIM_400000_NS6detail17trampoline_kernelINS0_14default_configENS1_22reduce_config_selectorIN6thrust23THRUST_200600_302600_NS5tupleIblNS6_9null_typeES8_S8_S8_S8_S8_S8_S8_EEEEZNS1_11reduce_implILb1ES3_NS6_12zip_iteratorINS7_INS6_11hip_rocprim26transform_input_iterator_tIbNSD_35transform_pair_of_input_iterators_tIbNS6_6detail15normal_iteratorINS6_10device_ptrIKsEEEESL_NS6_8equal_toIsEEEENSG_9not_fun_tINSD_8identityEEEEENSD_19counting_iterator_tIlEES8_S8_S8_S8_S8_S8_S8_S8_EEEEPS9_S9_NSD_9__find_if7functorIS9_EEEE10hipError_tPvRmT1_T2_T3_mT4_P12ihipStream_tbEUlT_E1_NS1_11comp_targetILNS1_3genE10ELNS1_11target_archE1200ELNS1_3gpuE4ELNS1_3repE0EEENS1_30default_config_static_selectorELNS0_4arch9wavefront6targetE1EEEvS14_.has_recursion, 0
	.set _ZN7rocprim17ROCPRIM_400000_NS6detail17trampoline_kernelINS0_14default_configENS1_22reduce_config_selectorIN6thrust23THRUST_200600_302600_NS5tupleIblNS6_9null_typeES8_S8_S8_S8_S8_S8_S8_EEEEZNS1_11reduce_implILb1ES3_NS6_12zip_iteratorINS7_INS6_11hip_rocprim26transform_input_iterator_tIbNSD_35transform_pair_of_input_iterators_tIbNS6_6detail15normal_iteratorINS6_10device_ptrIKsEEEESL_NS6_8equal_toIsEEEENSG_9not_fun_tINSD_8identityEEEEENSD_19counting_iterator_tIlEES8_S8_S8_S8_S8_S8_S8_S8_EEEEPS9_S9_NSD_9__find_if7functorIS9_EEEE10hipError_tPvRmT1_T2_T3_mT4_P12ihipStream_tbEUlT_E1_NS1_11comp_targetILNS1_3genE10ELNS1_11target_archE1200ELNS1_3gpuE4ELNS1_3repE0EEENS1_30default_config_static_selectorELNS0_4arch9wavefront6targetE1EEEvS14_.has_indirect_call, 0
	.section	.AMDGPU.csdata,"",@progbits
; Kernel info:
; codeLenInByte = 0
; TotalNumSgprs: 6
; NumVgprs: 0
; NumAgprs: 0
; TotalNumVgprs: 0
; ScratchSize: 0
; MemoryBound: 0
; FloatMode: 240
; IeeeMode: 1
; LDSByteSize: 0 bytes/workgroup (compile time only)
; SGPRBlocks: 0
; VGPRBlocks: 0
; NumSGPRsForWavesPerEU: 6
; NumVGPRsForWavesPerEU: 1
; AccumOffset: 4
; Occupancy: 8
; WaveLimiterHint : 0
; COMPUTE_PGM_RSRC2:SCRATCH_EN: 0
; COMPUTE_PGM_RSRC2:USER_SGPR: 2
; COMPUTE_PGM_RSRC2:TRAP_HANDLER: 0
; COMPUTE_PGM_RSRC2:TGID_X_EN: 1
; COMPUTE_PGM_RSRC2:TGID_Y_EN: 0
; COMPUTE_PGM_RSRC2:TGID_Z_EN: 0
; COMPUTE_PGM_RSRC2:TIDIG_COMP_CNT: 0
; COMPUTE_PGM_RSRC3_GFX90A:ACCUM_OFFSET: 0
; COMPUTE_PGM_RSRC3_GFX90A:TG_SPLIT: 0
	.section	.text._ZN7rocprim17ROCPRIM_400000_NS6detail17trampoline_kernelINS0_14default_configENS1_22reduce_config_selectorIN6thrust23THRUST_200600_302600_NS5tupleIblNS6_9null_typeES8_S8_S8_S8_S8_S8_S8_EEEEZNS1_11reduce_implILb1ES3_NS6_12zip_iteratorINS7_INS6_11hip_rocprim26transform_input_iterator_tIbNSD_35transform_pair_of_input_iterators_tIbNS6_6detail15normal_iteratorINS6_10device_ptrIKsEEEESL_NS6_8equal_toIsEEEENSG_9not_fun_tINSD_8identityEEEEENSD_19counting_iterator_tIlEES8_S8_S8_S8_S8_S8_S8_S8_EEEEPS9_S9_NSD_9__find_if7functorIS9_EEEE10hipError_tPvRmT1_T2_T3_mT4_P12ihipStream_tbEUlT_E1_NS1_11comp_targetILNS1_3genE9ELNS1_11target_archE1100ELNS1_3gpuE3ELNS1_3repE0EEENS1_30default_config_static_selectorELNS0_4arch9wavefront6targetE1EEEvS14_,"axG",@progbits,_ZN7rocprim17ROCPRIM_400000_NS6detail17trampoline_kernelINS0_14default_configENS1_22reduce_config_selectorIN6thrust23THRUST_200600_302600_NS5tupleIblNS6_9null_typeES8_S8_S8_S8_S8_S8_S8_EEEEZNS1_11reduce_implILb1ES3_NS6_12zip_iteratorINS7_INS6_11hip_rocprim26transform_input_iterator_tIbNSD_35transform_pair_of_input_iterators_tIbNS6_6detail15normal_iteratorINS6_10device_ptrIKsEEEESL_NS6_8equal_toIsEEEENSG_9not_fun_tINSD_8identityEEEEENSD_19counting_iterator_tIlEES8_S8_S8_S8_S8_S8_S8_S8_EEEEPS9_S9_NSD_9__find_if7functorIS9_EEEE10hipError_tPvRmT1_T2_T3_mT4_P12ihipStream_tbEUlT_E1_NS1_11comp_targetILNS1_3genE9ELNS1_11target_archE1100ELNS1_3gpuE3ELNS1_3repE0EEENS1_30default_config_static_selectorELNS0_4arch9wavefront6targetE1EEEvS14_,comdat
	.protected	_ZN7rocprim17ROCPRIM_400000_NS6detail17trampoline_kernelINS0_14default_configENS1_22reduce_config_selectorIN6thrust23THRUST_200600_302600_NS5tupleIblNS6_9null_typeES8_S8_S8_S8_S8_S8_S8_EEEEZNS1_11reduce_implILb1ES3_NS6_12zip_iteratorINS7_INS6_11hip_rocprim26transform_input_iterator_tIbNSD_35transform_pair_of_input_iterators_tIbNS6_6detail15normal_iteratorINS6_10device_ptrIKsEEEESL_NS6_8equal_toIsEEEENSG_9not_fun_tINSD_8identityEEEEENSD_19counting_iterator_tIlEES8_S8_S8_S8_S8_S8_S8_S8_EEEEPS9_S9_NSD_9__find_if7functorIS9_EEEE10hipError_tPvRmT1_T2_T3_mT4_P12ihipStream_tbEUlT_E1_NS1_11comp_targetILNS1_3genE9ELNS1_11target_archE1100ELNS1_3gpuE3ELNS1_3repE0EEENS1_30default_config_static_selectorELNS0_4arch9wavefront6targetE1EEEvS14_ ; -- Begin function _ZN7rocprim17ROCPRIM_400000_NS6detail17trampoline_kernelINS0_14default_configENS1_22reduce_config_selectorIN6thrust23THRUST_200600_302600_NS5tupleIblNS6_9null_typeES8_S8_S8_S8_S8_S8_S8_EEEEZNS1_11reduce_implILb1ES3_NS6_12zip_iteratorINS7_INS6_11hip_rocprim26transform_input_iterator_tIbNSD_35transform_pair_of_input_iterators_tIbNS6_6detail15normal_iteratorINS6_10device_ptrIKsEEEESL_NS6_8equal_toIsEEEENSG_9not_fun_tINSD_8identityEEEEENSD_19counting_iterator_tIlEES8_S8_S8_S8_S8_S8_S8_S8_EEEEPS9_S9_NSD_9__find_if7functorIS9_EEEE10hipError_tPvRmT1_T2_T3_mT4_P12ihipStream_tbEUlT_E1_NS1_11comp_targetILNS1_3genE9ELNS1_11target_archE1100ELNS1_3gpuE3ELNS1_3repE0EEENS1_30default_config_static_selectorELNS0_4arch9wavefront6targetE1EEEvS14_
	.globl	_ZN7rocprim17ROCPRIM_400000_NS6detail17trampoline_kernelINS0_14default_configENS1_22reduce_config_selectorIN6thrust23THRUST_200600_302600_NS5tupleIblNS6_9null_typeES8_S8_S8_S8_S8_S8_S8_EEEEZNS1_11reduce_implILb1ES3_NS6_12zip_iteratorINS7_INS6_11hip_rocprim26transform_input_iterator_tIbNSD_35transform_pair_of_input_iterators_tIbNS6_6detail15normal_iteratorINS6_10device_ptrIKsEEEESL_NS6_8equal_toIsEEEENSG_9not_fun_tINSD_8identityEEEEENSD_19counting_iterator_tIlEES8_S8_S8_S8_S8_S8_S8_S8_EEEEPS9_S9_NSD_9__find_if7functorIS9_EEEE10hipError_tPvRmT1_T2_T3_mT4_P12ihipStream_tbEUlT_E1_NS1_11comp_targetILNS1_3genE9ELNS1_11target_archE1100ELNS1_3gpuE3ELNS1_3repE0EEENS1_30default_config_static_selectorELNS0_4arch9wavefront6targetE1EEEvS14_
	.p2align	8
	.type	_ZN7rocprim17ROCPRIM_400000_NS6detail17trampoline_kernelINS0_14default_configENS1_22reduce_config_selectorIN6thrust23THRUST_200600_302600_NS5tupleIblNS6_9null_typeES8_S8_S8_S8_S8_S8_S8_EEEEZNS1_11reduce_implILb1ES3_NS6_12zip_iteratorINS7_INS6_11hip_rocprim26transform_input_iterator_tIbNSD_35transform_pair_of_input_iterators_tIbNS6_6detail15normal_iteratorINS6_10device_ptrIKsEEEESL_NS6_8equal_toIsEEEENSG_9not_fun_tINSD_8identityEEEEENSD_19counting_iterator_tIlEES8_S8_S8_S8_S8_S8_S8_S8_EEEEPS9_S9_NSD_9__find_if7functorIS9_EEEE10hipError_tPvRmT1_T2_T3_mT4_P12ihipStream_tbEUlT_E1_NS1_11comp_targetILNS1_3genE9ELNS1_11target_archE1100ELNS1_3gpuE3ELNS1_3repE0EEENS1_30default_config_static_selectorELNS0_4arch9wavefront6targetE1EEEvS14_,@function
_ZN7rocprim17ROCPRIM_400000_NS6detail17trampoline_kernelINS0_14default_configENS1_22reduce_config_selectorIN6thrust23THRUST_200600_302600_NS5tupleIblNS6_9null_typeES8_S8_S8_S8_S8_S8_S8_EEEEZNS1_11reduce_implILb1ES3_NS6_12zip_iteratorINS7_INS6_11hip_rocprim26transform_input_iterator_tIbNSD_35transform_pair_of_input_iterators_tIbNS6_6detail15normal_iteratorINS6_10device_ptrIKsEEEESL_NS6_8equal_toIsEEEENSG_9not_fun_tINSD_8identityEEEEENSD_19counting_iterator_tIlEES8_S8_S8_S8_S8_S8_S8_S8_EEEEPS9_S9_NSD_9__find_if7functorIS9_EEEE10hipError_tPvRmT1_T2_T3_mT4_P12ihipStream_tbEUlT_E1_NS1_11comp_targetILNS1_3genE9ELNS1_11target_archE1100ELNS1_3gpuE3ELNS1_3repE0EEENS1_30default_config_static_selectorELNS0_4arch9wavefront6targetE1EEEvS14_: ; @_ZN7rocprim17ROCPRIM_400000_NS6detail17trampoline_kernelINS0_14default_configENS1_22reduce_config_selectorIN6thrust23THRUST_200600_302600_NS5tupleIblNS6_9null_typeES8_S8_S8_S8_S8_S8_S8_EEEEZNS1_11reduce_implILb1ES3_NS6_12zip_iteratorINS7_INS6_11hip_rocprim26transform_input_iterator_tIbNSD_35transform_pair_of_input_iterators_tIbNS6_6detail15normal_iteratorINS6_10device_ptrIKsEEEESL_NS6_8equal_toIsEEEENSG_9not_fun_tINSD_8identityEEEEENSD_19counting_iterator_tIlEES8_S8_S8_S8_S8_S8_S8_S8_EEEEPS9_S9_NSD_9__find_if7functorIS9_EEEE10hipError_tPvRmT1_T2_T3_mT4_P12ihipStream_tbEUlT_E1_NS1_11comp_targetILNS1_3genE9ELNS1_11target_archE1100ELNS1_3gpuE3ELNS1_3repE0EEENS1_30default_config_static_selectorELNS0_4arch9wavefront6targetE1EEEvS14_
; %bb.0:
	.section	.rodata,"a",@progbits
	.p2align	6, 0x0
	.amdhsa_kernel _ZN7rocprim17ROCPRIM_400000_NS6detail17trampoline_kernelINS0_14default_configENS1_22reduce_config_selectorIN6thrust23THRUST_200600_302600_NS5tupleIblNS6_9null_typeES8_S8_S8_S8_S8_S8_S8_EEEEZNS1_11reduce_implILb1ES3_NS6_12zip_iteratorINS7_INS6_11hip_rocprim26transform_input_iterator_tIbNSD_35transform_pair_of_input_iterators_tIbNS6_6detail15normal_iteratorINS6_10device_ptrIKsEEEESL_NS6_8equal_toIsEEEENSG_9not_fun_tINSD_8identityEEEEENSD_19counting_iterator_tIlEES8_S8_S8_S8_S8_S8_S8_S8_EEEEPS9_S9_NSD_9__find_if7functorIS9_EEEE10hipError_tPvRmT1_T2_T3_mT4_P12ihipStream_tbEUlT_E1_NS1_11comp_targetILNS1_3genE9ELNS1_11target_archE1100ELNS1_3gpuE3ELNS1_3repE0EEENS1_30default_config_static_selectorELNS0_4arch9wavefront6targetE1EEEvS14_
		.amdhsa_group_segment_fixed_size 0
		.amdhsa_private_segment_fixed_size 0
		.amdhsa_kernarg_size 88
		.amdhsa_user_sgpr_count 2
		.amdhsa_user_sgpr_dispatch_ptr 0
		.amdhsa_user_sgpr_queue_ptr 0
		.amdhsa_user_sgpr_kernarg_segment_ptr 1
		.amdhsa_user_sgpr_dispatch_id 0
		.amdhsa_user_sgpr_kernarg_preload_length 0
		.amdhsa_user_sgpr_kernarg_preload_offset 0
		.amdhsa_user_sgpr_private_segment_size 0
		.amdhsa_uses_dynamic_stack 0
		.amdhsa_enable_private_segment 0
		.amdhsa_system_sgpr_workgroup_id_x 1
		.amdhsa_system_sgpr_workgroup_id_y 0
		.amdhsa_system_sgpr_workgroup_id_z 0
		.amdhsa_system_sgpr_workgroup_info 0
		.amdhsa_system_vgpr_workitem_id 0
		.amdhsa_next_free_vgpr 1
		.amdhsa_next_free_sgpr 0
		.amdhsa_accum_offset 4
		.amdhsa_reserve_vcc 0
		.amdhsa_float_round_mode_32 0
		.amdhsa_float_round_mode_16_64 0
		.amdhsa_float_denorm_mode_32 3
		.amdhsa_float_denorm_mode_16_64 3
		.amdhsa_dx10_clamp 1
		.amdhsa_ieee_mode 1
		.amdhsa_fp16_overflow 0
		.amdhsa_tg_split 0
		.amdhsa_exception_fp_ieee_invalid_op 0
		.amdhsa_exception_fp_denorm_src 0
		.amdhsa_exception_fp_ieee_div_zero 0
		.amdhsa_exception_fp_ieee_overflow 0
		.amdhsa_exception_fp_ieee_underflow 0
		.amdhsa_exception_fp_ieee_inexact 0
		.amdhsa_exception_int_div_zero 0
	.end_amdhsa_kernel
	.section	.text._ZN7rocprim17ROCPRIM_400000_NS6detail17trampoline_kernelINS0_14default_configENS1_22reduce_config_selectorIN6thrust23THRUST_200600_302600_NS5tupleIblNS6_9null_typeES8_S8_S8_S8_S8_S8_S8_EEEEZNS1_11reduce_implILb1ES3_NS6_12zip_iteratorINS7_INS6_11hip_rocprim26transform_input_iterator_tIbNSD_35transform_pair_of_input_iterators_tIbNS6_6detail15normal_iteratorINS6_10device_ptrIKsEEEESL_NS6_8equal_toIsEEEENSG_9not_fun_tINSD_8identityEEEEENSD_19counting_iterator_tIlEES8_S8_S8_S8_S8_S8_S8_S8_EEEEPS9_S9_NSD_9__find_if7functorIS9_EEEE10hipError_tPvRmT1_T2_T3_mT4_P12ihipStream_tbEUlT_E1_NS1_11comp_targetILNS1_3genE9ELNS1_11target_archE1100ELNS1_3gpuE3ELNS1_3repE0EEENS1_30default_config_static_selectorELNS0_4arch9wavefront6targetE1EEEvS14_,"axG",@progbits,_ZN7rocprim17ROCPRIM_400000_NS6detail17trampoline_kernelINS0_14default_configENS1_22reduce_config_selectorIN6thrust23THRUST_200600_302600_NS5tupleIblNS6_9null_typeES8_S8_S8_S8_S8_S8_S8_EEEEZNS1_11reduce_implILb1ES3_NS6_12zip_iteratorINS7_INS6_11hip_rocprim26transform_input_iterator_tIbNSD_35transform_pair_of_input_iterators_tIbNS6_6detail15normal_iteratorINS6_10device_ptrIKsEEEESL_NS6_8equal_toIsEEEENSG_9not_fun_tINSD_8identityEEEEENSD_19counting_iterator_tIlEES8_S8_S8_S8_S8_S8_S8_S8_EEEEPS9_S9_NSD_9__find_if7functorIS9_EEEE10hipError_tPvRmT1_T2_T3_mT4_P12ihipStream_tbEUlT_E1_NS1_11comp_targetILNS1_3genE9ELNS1_11target_archE1100ELNS1_3gpuE3ELNS1_3repE0EEENS1_30default_config_static_selectorELNS0_4arch9wavefront6targetE1EEEvS14_,comdat
.Lfunc_end1712:
	.size	_ZN7rocprim17ROCPRIM_400000_NS6detail17trampoline_kernelINS0_14default_configENS1_22reduce_config_selectorIN6thrust23THRUST_200600_302600_NS5tupleIblNS6_9null_typeES8_S8_S8_S8_S8_S8_S8_EEEEZNS1_11reduce_implILb1ES3_NS6_12zip_iteratorINS7_INS6_11hip_rocprim26transform_input_iterator_tIbNSD_35transform_pair_of_input_iterators_tIbNS6_6detail15normal_iteratorINS6_10device_ptrIKsEEEESL_NS6_8equal_toIsEEEENSG_9not_fun_tINSD_8identityEEEEENSD_19counting_iterator_tIlEES8_S8_S8_S8_S8_S8_S8_S8_EEEEPS9_S9_NSD_9__find_if7functorIS9_EEEE10hipError_tPvRmT1_T2_T3_mT4_P12ihipStream_tbEUlT_E1_NS1_11comp_targetILNS1_3genE9ELNS1_11target_archE1100ELNS1_3gpuE3ELNS1_3repE0EEENS1_30default_config_static_selectorELNS0_4arch9wavefront6targetE1EEEvS14_, .Lfunc_end1712-_ZN7rocprim17ROCPRIM_400000_NS6detail17trampoline_kernelINS0_14default_configENS1_22reduce_config_selectorIN6thrust23THRUST_200600_302600_NS5tupleIblNS6_9null_typeES8_S8_S8_S8_S8_S8_S8_EEEEZNS1_11reduce_implILb1ES3_NS6_12zip_iteratorINS7_INS6_11hip_rocprim26transform_input_iterator_tIbNSD_35transform_pair_of_input_iterators_tIbNS6_6detail15normal_iteratorINS6_10device_ptrIKsEEEESL_NS6_8equal_toIsEEEENSG_9not_fun_tINSD_8identityEEEEENSD_19counting_iterator_tIlEES8_S8_S8_S8_S8_S8_S8_S8_EEEEPS9_S9_NSD_9__find_if7functorIS9_EEEE10hipError_tPvRmT1_T2_T3_mT4_P12ihipStream_tbEUlT_E1_NS1_11comp_targetILNS1_3genE9ELNS1_11target_archE1100ELNS1_3gpuE3ELNS1_3repE0EEENS1_30default_config_static_selectorELNS0_4arch9wavefront6targetE1EEEvS14_
                                        ; -- End function
	.set _ZN7rocprim17ROCPRIM_400000_NS6detail17trampoline_kernelINS0_14default_configENS1_22reduce_config_selectorIN6thrust23THRUST_200600_302600_NS5tupleIblNS6_9null_typeES8_S8_S8_S8_S8_S8_S8_EEEEZNS1_11reduce_implILb1ES3_NS6_12zip_iteratorINS7_INS6_11hip_rocprim26transform_input_iterator_tIbNSD_35transform_pair_of_input_iterators_tIbNS6_6detail15normal_iteratorINS6_10device_ptrIKsEEEESL_NS6_8equal_toIsEEEENSG_9not_fun_tINSD_8identityEEEEENSD_19counting_iterator_tIlEES8_S8_S8_S8_S8_S8_S8_S8_EEEEPS9_S9_NSD_9__find_if7functorIS9_EEEE10hipError_tPvRmT1_T2_T3_mT4_P12ihipStream_tbEUlT_E1_NS1_11comp_targetILNS1_3genE9ELNS1_11target_archE1100ELNS1_3gpuE3ELNS1_3repE0EEENS1_30default_config_static_selectorELNS0_4arch9wavefront6targetE1EEEvS14_.num_vgpr, 0
	.set _ZN7rocprim17ROCPRIM_400000_NS6detail17trampoline_kernelINS0_14default_configENS1_22reduce_config_selectorIN6thrust23THRUST_200600_302600_NS5tupleIblNS6_9null_typeES8_S8_S8_S8_S8_S8_S8_EEEEZNS1_11reduce_implILb1ES3_NS6_12zip_iteratorINS7_INS6_11hip_rocprim26transform_input_iterator_tIbNSD_35transform_pair_of_input_iterators_tIbNS6_6detail15normal_iteratorINS6_10device_ptrIKsEEEESL_NS6_8equal_toIsEEEENSG_9not_fun_tINSD_8identityEEEEENSD_19counting_iterator_tIlEES8_S8_S8_S8_S8_S8_S8_S8_EEEEPS9_S9_NSD_9__find_if7functorIS9_EEEE10hipError_tPvRmT1_T2_T3_mT4_P12ihipStream_tbEUlT_E1_NS1_11comp_targetILNS1_3genE9ELNS1_11target_archE1100ELNS1_3gpuE3ELNS1_3repE0EEENS1_30default_config_static_selectorELNS0_4arch9wavefront6targetE1EEEvS14_.num_agpr, 0
	.set _ZN7rocprim17ROCPRIM_400000_NS6detail17trampoline_kernelINS0_14default_configENS1_22reduce_config_selectorIN6thrust23THRUST_200600_302600_NS5tupleIblNS6_9null_typeES8_S8_S8_S8_S8_S8_S8_EEEEZNS1_11reduce_implILb1ES3_NS6_12zip_iteratorINS7_INS6_11hip_rocprim26transform_input_iterator_tIbNSD_35transform_pair_of_input_iterators_tIbNS6_6detail15normal_iteratorINS6_10device_ptrIKsEEEESL_NS6_8equal_toIsEEEENSG_9not_fun_tINSD_8identityEEEEENSD_19counting_iterator_tIlEES8_S8_S8_S8_S8_S8_S8_S8_EEEEPS9_S9_NSD_9__find_if7functorIS9_EEEE10hipError_tPvRmT1_T2_T3_mT4_P12ihipStream_tbEUlT_E1_NS1_11comp_targetILNS1_3genE9ELNS1_11target_archE1100ELNS1_3gpuE3ELNS1_3repE0EEENS1_30default_config_static_selectorELNS0_4arch9wavefront6targetE1EEEvS14_.numbered_sgpr, 0
	.set _ZN7rocprim17ROCPRIM_400000_NS6detail17trampoline_kernelINS0_14default_configENS1_22reduce_config_selectorIN6thrust23THRUST_200600_302600_NS5tupleIblNS6_9null_typeES8_S8_S8_S8_S8_S8_S8_EEEEZNS1_11reduce_implILb1ES3_NS6_12zip_iteratorINS7_INS6_11hip_rocprim26transform_input_iterator_tIbNSD_35transform_pair_of_input_iterators_tIbNS6_6detail15normal_iteratorINS6_10device_ptrIKsEEEESL_NS6_8equal_toIsEEEENSG_9not_fun_tINSD_8identityEEEEENSD_19counting_iterator_tIlEES8_S8_S8_S8_S8_S8_S8_S8_EEEEPS9_S9_NSD_9__find_if7functorIS9_EEEE10hipError_tPvRmT1_T2_T3_mT4_P12ihipStream_tbEUlT_E1_NS1_11comp_targetILNS1_3genE9ELNS1_11target_archE1100ELNS1_3gpuE3ELNS1_3repE0EEENS1_30default_config_static_selectorELNS0_4arch9wavefront6targetE1EEEvS14_.num_named_barrier, 0
	.set _ZN7rocprim17ROCPRIM_400000_NS6detail17trampoline_kernelINS0_14default_configENS1_22reduce_config_selectorIN6thrust23THRUST_200600_302600_NS5tupleIblNS6_9null_typeES8_S8_S8_S8_S8_S8_S8_EEEEZNS1_11reduce_implILb1ES3_NS6_12zip_iteratorINS7_INS6_11hip_rocprim26transform_input_iterator_tIbNSD_35transform_pair_of_input_iterators_tIbNS6_6detail15normal_iteratorINS6_10device_ptrIKsEEEESL_NS6_8equal_toIsEEEENSG_9not_fun_tINSD_8identityEEEEENSD_19counting_iterator_tIlEES8_S8_S8_S8_S8_S8_S8_S8_EEEEPS9_S9_NSD_9__find_if7functorIS9_EEEE10hipError_tPvRmT1_T2_T3_mT4_P12ihipStream_tbEUlT_E1_NS1_11comp_targetILNS1_3genE9ELNS1_11target_archE1100ELNS1_3gpuE3ELNS1_3repE0EEENS1_30default_config_static_selectorELNS0_4arch9wavefront6targetE1EEEvS14_.private_seg_size, 0
	.set _ZN7rocprim17ROCPRIM_400000_NS6detail17trampoline_kernelINS0_14default_configENS1_22reduce_config_selectorIN6thrust23THRUST_200600_302600_NS5tupleIblNS6_9null_typeES8_S8_S8_S8_S8_S8_S8_EEEEZNS1_11reduce_implILb1ES3_NS6_12zip_iteratorINS7_INS6_11hip_rocprim26transform_input_iterator_tIbNSD_35transform_pair_of_input_iterators_tIbNS6_6detail15normal_iteratorINS6_10device_ptrIKsEEEESL_NS6_8equal_toIsEEEENSG_9not_fun_tINSD_8identityEEEEENSD_19counting_iterator_tIlEES8_S8_S8_S8_S8_S8_S8_S8_EEEEPS9_S9_NSD_9__find_if7functorIS9_EEEE10hipError_tPvRmT1_T2_T3_mT4_P12ihipStream_tbEUlT_E1_NS1_11comp_targetILNS1_3genE9ELNS1_11target_archE1100ELNS1_3gpuE3ELNS1_3repE0EEENS1_30default_config_static_selectorELNS0_4arch9wavefront6targetE1EEEvS14_.uses_vcc, 0
	.set _ZN7rocprim17ROCPRIM_400000_NS6detail17trampoline_kernelINS0_14default_configENS1_22reduce_config_selectorIN6thrust23THRUST_200600_302600_NS5tupleIblNS6_9null_typeES8_S8_S8_S8_S8_S8_S8_EEEEZNS1_11reduce_implILb1ES3_NS6_12zip_iteratorINS7_INS6_11hip_rocprim26transform_input_iterator_tIbNSD_35transform_pair_of_input_iterators_tIbNS6_6detail15normal_iteratorINS6_10device_ptrIKsEEEESL_NS6_8equal_toIsEEEENSG_9not_fun_tINSD_8identityEEEEENSD_19counting_iterator_tIlEES8_S8_S8_S8_S8_S8_S8_S8_EEEEPS9_S9_NSD_9__find_if7functorIS9_EEEE10hipError_tPvRmT1_T2_T3_mT4_P12ihipStream_tbEUlT_E1_NS1_11comp_targetILNS1_3genE9ELNS1_11target_archE1100ELNS1_3gpuE3ELNS1_3repE0EEENS1_30default_config_static_selectorELNS0_4arch9wavefront6targetE1EEEvS14_.uses_flat_scratch, 0
	.set _ZN7rocprim17ROCPRIM_400000_NS6detail17trampoline_kernelINS0_14default_configENS1_22reduce_config_selectorIN6thrust23THRUST_200600_302600_NS5tupleIblNS6_9null_typeES8_S8_S8_S8_S8_S8_S8_EEEEZNS1_11reduce_implILb1ES3_NS6_12zip_iteratorINS7_INS6_11hip_rocprim26transform_input_iterator_tIbNSD_35transform_pair_of_input_iterators_tIbNS6_6detail15normal_iteratorINS6_10device_ptrIKsEEEESL_NS6_8equal_toIsEEEENSG_9not_fun_tINSD_8identityEEEEENSD_19counting_iterator_tIlEES8_S8_S8_S8_S8_S8_S8_S8_EEEEPS9_S9_NSD_9__find_if7functorIS9_EEEE10hipError_tPvRmT1_T2_T3_mT4_P12ihipStream_tbEUlT_E1_NS1_11comp_targetILNS1_3genE9ELNS1_11target_archE1100ELNS1_3gpuE3ELNS1_3repE0EEENS1_30default_config_static_selectorELNS0_4arch9wavefront6targetE1EEEvS14_.has_dyn_sized_stack, 0
	.set _ZN7rocprim17ROCPRIM_400000_NS6detail17trampoline_kernelINS0_14default_configENS1_22reduce_config_selectorIN6thrust23THRUST_200600_302600_NS5tupleIblNS6_9null_typeES8_S8_S8_S8_S8_S8_S8_EEEEZNS1_11reduce_implILb1ES3_NS6_12zip_iteratorINS7_INS6_11hip_rocprim26transform_input_iterator_tIbNSD_35transform_pair_of_input_iterators_tIbNS6_6detail15normal_iteratorINS6_10device_ptrIKsEEEESL_NS6_8equal_toIsEEEENSG_9not_fun_tINSD_8identityEEEEENSD_19counting_iterator_tIlEES8_S8_S8_S8_S8_S8_S8_S8_EEEEPS9_S9_NSD_9__find_if7functorIS9_EEEE10hipError_tPvRmT1_T2_T3_mT4_P12ihipStream_tbEUlT_E1_NS1_11comp_targetILNS1_3genE9ELNS1_11target_archE1100ELNS1_3gpuE3ELNS1_3repE0EEENS1_30default_config_static_selectorELNS0_4arch9wavefront6targetE1EEEvS14_.has_recursion, 0
	.set _ZN7rocprim17ROCPRIM_400000_NS6detail17trampoline_kernelINS0_14default_configENS1_22reduce_config_selectorIN6thrust23THRUST_200600_302600_NS5tupleIblNS6_9null_typeES8_S8_S8_S8_S8_S8_S8_EEEEZNS1_11reduce_implILb1ES3_NS6_12zip_iteratorINS7_INS6_11hip_rocprim26transform_input_iterator_tIbNSD_35transform_pair_of_input_iterators_tIbNS6_6detail15normal_iteratorINS6_10device_ptrIKsEEEESL_NS6_8equal_toIsEEEENSG_9not_fun_tINSD_8identityEEEEENSD_19counting_iterator_tIlEES8_S8_S8_S8_S8_S8_S8_S8_EEEEPS9_S9_NSD_9__find_if7functorIS9_EEEE10hipError_tPvRmT1_T2_T3_mT4_P12ihipStream_tbEUlT_E1_NS1_11comp_targetILNS1_3genE9ELNS1_11target_archE1100ELNS1_3gpuE3ELNS1_3repE0EEENS1_30default_config_static_selectorELNS0_4arch9wavefront6targetE1EEEvS14_.has_indirect_call, 0
	.section	.AMDGPU.csdata,"",@progbits
; Kernel info:
; codeLenInByte = 0
; TotalNumSgprs: 6
; NumVgprs: 0
; NumAgprs: 0
; TotalNumVgprs: 0
; ScratchSize: 0
; MemoryBound: 0
; FloatMode: 240
; IeeeMode: 1
; LDSByteSize: 0 bytes/workgroup (compile time only)
; SGPRBlocks: 0
; VGPRBlocks: 0
; NumSGPRsForWavesPerEU: 6
; NumVGPRsForWavesPerEU: 1
; AccumOffset: 4
; Occupancy: 8
; WaveLimiterHint : 0
; COMPUTE_PGM_RSRC2:SCRATCH_EN: 0
; COMPUTE_PGM_RSRC2:USER_SGPR: 2
; COMPUTE_PGM_RSRC2:TRAP_HANDLER: 0
; COMPUTE_PGM_RSRC2:TGID_X_EN: 1
; COMPUTE_PGM_RSRC2:TGID_Y_EN: 0
; COMPUTE_PGM_RSRC2:TGID_Z_EN: 0
; COMPUTE_PGM_RSRC2:TIDIG_COMP_CNT: 0
; COMPUTE_PGM_RSRC3_GFX90A:ACCUM_OFFSET: 0
; COMPUTE_PGM_RSRC3_GFX90A:TG_SPLIT: 0
	.section	.text._ZN7rocprim17ROCPRIM_400000_NS6detail17trampoline_kernelINS0_14default_configENS1_22reduce_config_selectorIN6thrust23THRUST_200600_302600_NS5tupleIblNS6_9null_typeES8_S8_S8_S8_S8_S8_S8_EEEEZNS1_11reduce_implILb1ES3_NS6_12zip_iteratorINS7_INS6_11hip_rocprim26transform_input_iterator_tIbNSD_35transform_pair_of_input_iterators_tIbNS6_6detail15normal_iteratorINS6_10device_ptrIKsEEEESL_NS6_8equal_toIsEEEENSG_9not_fun_tINSD_8identityEEEEENSD_19counting_iterator_tIlEES8_S8_S8_S8_S8_S8_S8_S8_EEEEPS9_S9_NSD_9__find_if7functorIS9_EEEE10hipError_tPvRmT1_T2_T3_mT4_P12ihipStream_tbEUlT_E1_NS1_11comp_targetILNS1_3genE8ELNS1_11target_archE1030ELNS1_3gpuE2ELNS1_3repE0EEENS1_30default_config_static_selectorELNS0_4arch9wavefront6targetE1EEEvS14_,"axG",@progbits,_ZN7rocprim17ROCPRIM_400000_NS6detail17trampoline_kernelINS0_14default_configENS1_22reduce_config_selectorIN6thrust23THRUST_200600_302600_NS5tupleIblNS6_9null_typeES8_S8_S8_S8_S8_S8_S8_EEEEZNS1_11reduce_implILb1ES3_NS6_12zip_iteratorINS7_INS6_11hip_rocprim26transform_input_iterator_tIbNSD_35transform_pair_of_input_iterators_tIbNS6_6detail15normal_iteratorINS6_10device_ptrIKsEEEESL_NS6_8equal_toIsEEEENSG_9not_fun_tINSD_8identityEEEEENSD_19counting_iterator_tIlEES8_S8_S8_S8_S8_S8_S8_S8_EEEEPS9_S9_NSD_9__find_if7functorIS9_EEEE10hipError_tPvRmT1_T2_T3_mT4_P12ihipStream_tbEUlT_E1_NS1_11comp_targetILNS1_3genE8ELNS1_11target_archE1030ELNS1_3gpuE2ELNS1_3repE0EEENS1_30default_config_static_selectorELNS0_4arch9wavefront6targetE1EEEvS14_,comdat
	.protected	_ZN7rocprim17ROCPRIM_400000_NS6detail17trampoline_kernelINS0_14default_configENS1_22reduce_config_selectorIN6thrust23THRUST_200600_302600_NS5tupleIblNS6_9null_typeES8_S8_S8_S8_S8_S8_S8_EEEEZNS1_11reduce_implILb1ES3_NS6_12zip_iteratorINS7_INS6_11hip_rocprim26transform_input_iterator_tIbNSD_35transform_pair_of_input_iterators_tIbNS6_6detail15normal_iteratorINS6_10device_ptrIKsEEEESL_NS6_8equal_toIsEEEENSG_9not_fun_tINSD_8identityEEEEENSD_19counting_iterator_tIlEES8_S8_S8_S8_S8_S8_S8_S8_EEEEPS9_S9_NSD_9__find_if7functorIS9_EEEE10hipError_tPvRmT1_T2_T3_mT4_P12ihipStream_tbEUlT_E1_NS1_11comp_targetILNS1_3genE8ELNS1_11target_archE1030ELNS1_3gpuE2ELNS1_3repE0EEENS1_30default_config_static_selectorELNS0_4arch9wavefront6targetE1EEEvS14_ ; -- Begin function _ZN7rocprim17ROCPRIM_400000_NS6detail17trampoline_kernelINS0_14default_configENS1_22reduce_config_selectorIN6thrust23THRUST_200600_302600_NS5tupleIblNS6_9null_typeES8_S8_S8_S8_S8_S8_S8_EEEEZNS1_11reduce_implILb1ES3_NS6_12zip_iteratorINS7_INS6_11hip_rocprim26transform_input_iterator_tIbNSD_35transform_pair_of_input_iterators_tIbNS6_6detail15normal_iteratorINS6_10device_ptrIKsEEEESL_NS6_8equal_toIsEEEENSG_9not_fun_tINSD_8identityEEEEENSD_19counting_iterator_tIlEES8_S8_S8_S8_S8_S8_S8_S8_EEEEPS9_S9_NSD_9__find_if7functorIS9_EEEE10hipError_tPvRmT1_T2_T3_mT4_P12ihipStream_tbEUlT_E1_NS1_11comp_targetILNS1_3genE8ELNS1_11target_archE1030ELNS1_3gpuE2ELNS1_3repE0EEENS1_30default_config_static_selectorELNS0_4arch9wavefront6targetE1EEEvS14_
	.globl	_ZN7rocprim17ROCPRIM_400000_NS6detail17trampoline_kernelINS0_14default_configENS1_22reduce_config_selectorIN6thrust23THRUST_200600_302600_NS5tupleIblNS6_9null_typeES8_S8_S8_S8_S8_S8_S8_EEEEZNS1_11reduce_implILb1ES3_NS6_12zip_iteratorINS7_INS6_11hip_rocprim26transform_input_iterator_tIbNSD_35transform_pair_of_input_iterators_tIbNS6_6detail15normal_iteratorINS6_10device_ptrIKsEEEESL_NS6_8equal_toIsEEEENSG_9not_fun_tINSD_8identityEEEEENSD_19counting_iterator_tIlEES8_S8_S8_S8_S8_S8_S8_S8_EEEEPS9_S9_NSD_9__find_if7functorIS9_EEEE10hipError_tPvRmT1_T2_T3_mT4_P12ihipStream_tbEUlT_E1_NS1_11comp_targetILNS1_3genE8ELNS1_11target_archE1030ELNS1_3gpuE2ELNS1_3repE0EEENS1_30default_config_static_selectorELNS0_4arch9wavefront6targetE1EEEvS14_
	.p2align	8
	.type	_ZN7rocprim17ROCPRIM_400000_NS6detail17trampoline_kernelINS0_14default_configENS1_22reduce_config_selectorIN6thrust23THRUST_200600_302600_NS5tupleIblNS6_9null_typeES8_S8_S8_S8_S8_S8_S8_EEEEZNS1_11reduce_implILb1ES3_NS6_12zip_iteratorINS7_INS6_11hip_rocprim26transform_input_iterator_tIbNSD_35transform_pair_of_input_iterators_tIbNS6_6detail15normal_iteratorINS6_10device_ptrIKsEEEESL_NS6_8equal_toIsEEEENSG_9not_fun_tINSD_8identityEEEEENSD_19counting_iterator_tIlEES8_S8_S8_S8_S8_S8_S8_S8_EEEEPS9_S9_NSD_9__find_if7functorIS9_EEEE10hipError_tPvRmT1_T2_T3_mT4_P12ihipStream_tbEUlT_E1_NS1_11comp_targetILNS1_3genE8ELNS1_11target_archE1030ELNS1_3gpuE2ELNS1_3repE0EEENS1_30default_config_static_selectorELNS0_4arch9wavefront6targetE1EEEvS14_,@function
_ZN7rocprim17ROCPRIM_400000_NS6detail17trampoline_kernelINS0_14default_configENS1_22reduce_config_selectorIN6thrust23THRUST_200600_302600_NS5tupleIblNS6_9null_typeES8_S8_S8_S8_S8_S8_S8_EEEEZNS1_11reduce_implILb1ES3_NS6_12zip_iteratorINS7_INS6_11hip_rocprim26transform_input_iterator_tIbNSD_35transform_pair_of_input_iterators_tIbNS6_6detail15normal_iteratorINS6_10device_ptrIKsEEEESL_NS6_8equal_toIsEEEENSG_9not_fun_tINSD_8identityEEEEENSD_19counting_iterator_tIlEES8_S8_S8_S8_S8_S8_S8_S8_EEEEPS9_S9_NSD_9__find_if7functorIS9_EEEE10hipError_tPvRmT1_T2_T3_mT4_P12ihipStream_tbEUlT_E1_NS1_11comp_targetILNS1_3genE8ELNS1_11target_archE1030ELNS1_3gpuE2ELNS1_3repE0EEENS1_30default_config_static_selectorELNS0_4arch9wavefront6targetE1EEEvS14_: ; @_ZN7rocprim17ROCPRIM_400000_NS6detail17trampoline_kernelINS0_14default_configENS1_22reduce_config_selectorIN6thrust23THRUST_200600_302600_NS5tupleIblNS6_9null_typeES8_S8_S8_S8_S8_S8_S8_EEEEZNS1_11reduce_implILb1ES3_NS6_12zip_iteratorINS7_INS6_11hip_rocprim26transform_input_iterator_tIbNSD_35transform_pair_of_input_iterators_tIbNS6_6detail15normal_iteratorINS6_10device_ptrIKsEEEESL_NS6_8equal_toIsEEEENSG_9not_fun_tINSD_8identityEEEEENSD_19counting_iterator_tIlEES8_S8_S8_S8_S8_S8_S8_S8_EEEEPS9_S9_NSD_9__find_if7functorIS9_EEEE10hipError_tPvRmT1_T2_T3_mT4_P12ihipStream_tbEUlT_E1_NS1_11comp_targetILNS1_3genE8ELNS1_11target_archE1030ELNS1_3gpuE2ELNS1_3repE0EEENS1_30default_config_static_selectorELNS0_4arch9wavefront6targetE1EEEvS14_
; %bb.0:
	.section	.rodata,"a",@progbits
	.p2align	6, 0x0
	.amdhsa_kernel _ZN7rocprim17ROCPRIM_400000_NS6detail17trampoline_kernelINS0_14default_configENS1_22reduce_config_selectorIN6thrust23THRUST_200600_302600_NS5tupleIblNS6_9null_typeES8_S8_S8_S8_S8_S8_S8_EEEEZNS1_11reduce_implILb1ES3_NS6_12zip_iteratorINS7_INS6_11hip_rocprim26transform_input_iterator_tIbNSD_35transform_pair_of_input_iterators_tIbNS6_6detail15normal_iteratorINS6_10device_ptrIKsEEEESL_NS6_8equal_toIsEEEENSG_9not_fun_tINSD_8identityEEEEENSD_19counting_iterator_tIlEES8_S8_S8_S8_S8_S8_S8_S8_EEEEPS9_S9_NSD_9__find_if7functorIS9_EEEE10hipError_tPvRmT1_T2_T3_mT4_P12ihipStream_tbEUlT_E1_NS1_11comp_targetILNS1_3genE8ELNS1_11target_archE1030ELNS1_3gpuE2ELNS1_3repE0EEENS1_30default_config_static_selectorELNS0_4arch9wavefront6targetE1EEEvS14_
		.amdhsa_group_segment_fixed_size 0
		.amdhsa_private_segment_fixed_size 0
		.amdhsa_kernarg_size 88
		.amdhsa_user_sgpr_count 2
		.amdhsa_user_sgpr_dispatch_ptr 0
		.amdhsa_user_sgpr_queue_ptr 0
		.amdhsa_user_sgpr_kernarg_segment_ptr 1
		.amdhsa_user_sgpr_dispatch_id 0
		.amdhsa_user_sgpr_kernarg_preload_length 0
		.amdhsa_user_sgpr_kernarg_preload_offset 0
		.amdhsa_user_sgpr_private_segment_size 0
		.amdhsa_uses_dynamic_stack 0
		.amdhsa_enable_private_segment 0
		.amdhsa_system_sgpr_workgroup_id_x 1
		.amdhsa_system_sgpr_workgroup_id_y 0
		.amdhsa_system_sgpr_workgroup_id_z 0
		.amdhsa_system_sgpr_workgroup_info 0
		.amdhsa_system_vgpr_workitem_id 0
		.amdhsa_next_free_vgpr 1
		.amdhsa_next_free_sgpr 0
		.amdhsa_accum_offset 4
		.amdhsa_reserve_vcc 0
		.amdhsa_float_round_mode_32 0
		.amdhsa_float_round_mode_16_64 0
		.amdhsa_float_denorm_mode_32 3
		.amdhsa_float_denorm_mode_16_64 3
		.amdhsa_dx10_clamp 1
		.amdhsa_ieee_mode 1
		.amdhsa_fp16_overflow 0
		.amdhsa_tg_split 0
		.amdhsa_exception_fp_ieee_invalid_op 0
		.amdhsa_exception_fp_denorm_src 0
		.amdhsa_exception_fp_ieee_div_zero 0
		.amdhsa_exception_fp_ieee_overflow 0
		.amdhsa_exception_fp_ieee_underflow 0
		.amdhsa_exception_fp_ieee_inexact 0
		.amdhsa_exception_int_div_zero 0
	.end_amdhsa_kernel
	.section	.text._ZN7rocprim17ROCPRIM_400000_NS6detail17trampoline_kernelINS0_14default_configENS1_22reduce_config_selectorIN6thrust23THRUST_200600_302600_NS5tupleIblNS6_9null_typeES8_S8_S8_S8_S8_S8_S8_EEEEZNS1_11reduce_implILb1ES3_NS6_12zip_iteratorINS7_INS6_11hip_rocprim26transform_input_iterator_tIbNSD_35transform_pair_of_input_iterators_tIbNS6_6detail15normal_iteratorINS6_10device_ptrIKsEEEESL_NS6_8equal_toIsEEEENSG_9not_fun_tINSD_8identityEEEEENSD_19counting_iterator_tIlEES8_S8_S8_S8_S8_S8_S8_S8_EEEEPS9_S9_NSD_9__find_if7functorIS9_EEEE10hipError_tPvRmT1_T2_T3_mT4_P12ihipStream_tbEUlT_E1_NS1_11comp_targetILNS1_3genE8ELNS1_11target_archE1030ELNS1_3gpuE2ELNS1_3repE0EEENS1_30default_config_static_selectorELNS0_4arch9wavefront6targetE1EEEvS14_,"axG",@progbits,_ZN7rocprim17ROCPRIM_400000_NS6detail17trampoline_kernelINS0_14default_configENS1_22reduce_config_selectorIN6thrust23THRUST_200600_302600_NS5tupleIblNS6_9null_typeES8_S8_S8_S8_S8_S8_S8_EEEEZNS1_11reduce_implILb1ES3_NS6_12zip_iteratorINS7_INS6_11hip_rocprim26transform_input_iterator_tIbNSD_35transform_pair_of_input_iterators_tIbNS6_6detail15normal_iteratorINS6_10device_ptrIKsEEEESL_NS6_8equal_toIsEEEENSG_9not_fun_tINSD_8identityEEEEENSD_19counting_iterator_tIlEES8_S8_S8_S8_S8_S8_S8_S8_EEEEPS9_S9_NSD_9__find_if7functorIS9_EEEE10hipError_tPvRmT1_T2_T3_mT4_P12ihipStream_tbEUlT_E1_NS1_11comp_targetILNS1_3genE8ELNS1_11target_archE1030ELNS1_3gpuE2ELNS1_3repE0EEENS1_30default_config_static_selectorELNS0_4arch9wavefront6targetE1EEEvS14_,comdat
.Lfunc_end1713:
	.size	_ZN7rocprim17ROCPRIM_400000_NS6detail17trampoline_kernelINS0_14default_configENS1_22reduce_config_selectorIN6thrust23THRUST_200600_302600_NS5tupleIblNS6_9null_typeES8_S8_S8_S8_S8_S8_S8_EEEEZNS1_11reduce_implILb1ES3_NS6_12zip_iteratorINS7_INS6_11hip_rocprim26transform_input_iterator_tIbNSD_35transform_pair_of_input_iterators_tIbNS6_6detail15normal_iteratorINS6_10device_ptrIKsEEEESL_NS6_8equal_toIsEEEENSG_9not_fun_tINSD_8identityEEEEENSD_19counting_iterator_tIlEES8_S8_S8_S8_S8_S8_S8_S8_EEEEPS9_S9_NSD_9__find_if7functorIS9_EEEE10hipError_tPvRmT1_T2_T3_mT4_P12ihipStream_tbEUlT_E1_NS1_11comp_targetILNS1_3genE8ELNS1_11target_archE1030ELNS1_3gpuE2ELNS1_3repE0EEENS1_30default_config_static_selectorELNS0_4arch9wavefront6targetE1EEEvS14_, .Lfunc_end1713-_ZN7rocprim17ROCPRIM_400000_NS6detail17trampoline_kernelINS0_14default_configENS1_22reduce_config_selectorIN6thrust23THRUST_200600_302600_NS5tupleIblNS6_9null_typeES8_S8_S8_S8_S8_S8_S8_EEEEZNS1_11reduce_implILb1ES3_NS6_12zip_iteratorINS7_INS6_11hip_rocprim26transform_input_iterator_tIbNSD_35transform_pair_of_input_iterators_tIbNS6_6detail15normal_iteratorINS6_10device_ptrIKsEEEESL_NS6_8equal_toIsEEEENSG_9not_fun_tINSD_8identityEEEEENSD_19counting_iterator_tIlEES8_S8_S8_S8_S8_S8_S8_S8_EEEEPS9_S9_NSD_9__find_if7functorIS9_EEEE10hipError_tPvRmT1_T2_T3_mT4_P12ihipStream_tbEUlT_E1_NS1_11comp_targetILNS1_3genE8ELNS1_11target_archE1030ELNS1_3gpuE2ELNS1_3repE0EEENS1_30default_config_static_selectorELNS0_4arch9wavefront6targetE1EEEvS14_
                                        ; -- End function
	.set _ZN7rocprim17ROCPRIM_400000_NS6detail17trampoline_kernelINS0_14default_configENS1_22reduce_config_selectorIN6thrust23THRUST_200600_302600_NS5tupleIblNS6_9null_typeES8_S8_S8_S8_S8_S8_S8_EEEEZNS1_11reduce_implILb1ES3_NS6_12zip_iteratorINS7_INS6_11hip_rocprim26transform_input_iterator_tIbNSD_35transform_pair_of_input_iterators_tIbNS6_6detail15normal_iteratorINS6_10device_ptrIKsEEEESL_NS6_8equal_toIsEEEENSG_9not_fun_tINSD_8identityEEEEENSD_19counting_iterator_tIlEES8_S8_S8_S8_S8_S8_S8_S8_EEEEPS9_S9_NSD_9__find_if7functorIS9_EEEE10hipError_tPvRmT1_T2_T3_mT4_P12ihipStream_tbEUlT_E1_NS1_11comp_targetILNS1_3genE8ELNS1_11target_archE1030ELNS1_3gpuE2ELNS1_3repE0EEENS1_30default_config_static_selectorELNS0_4arch9wavefront6targetE1EEEvS14_.num_vgpr, 0
	.set _ZN7rocprim17ROCPRIM_400000_NS6detail17trampoline_kernelINS0_14default_configENS1_22reduce_config_selectorIN6thrust23THRUST_200600_302600_NS5tupleIblNS6_9null_typeES8_S8_S8_S8_S8_S8_S8_EEEEZNS1_11reduce_implILb1ES3_NS6_12zip_iteratorINS7_INS6_11hip_rocprim26transform_input_iterator_tIbNSD_35transform_pair_of_input_iterators_tIbNS6_6detail15normal_iteratorINS6_10device_ptrIKsEEEESL_NS6_8equal_toIsEEEENSG_9not_fun_tINSD_8identityEEEEENSD_19counting_iterator_tIlEES8_S8_S8_S8_S8_S8_S8_S8_EEEEPS9_S9_NSD_9__find_if7functorIS9_EEEE10hipError_tPvRmT1_T2_T3_mT4_P12ihipStream_tbEUlT_E1_NS1_11comp_targetILNS1_3genE8ELNS1_11target_archE1030ELNS1_3gpuE2ELNS1_3repE0EEENS1_30default_config_static_selectorELNS0_4arch9wavefront6targetE1EEEvS14_.num_agpr, 0
	.set _ZN7rocprim17ROCPRIM_400000_NS6detail17trampoline_kernelINS0_14default_configENS1_22reduce_config_selectorIN6thrust23THRUST_200600_302600_NS5tupleIblNS6_9null_typeES8_S8_S8_S8_S8_S8_S8_EEEEZNS1_11reduce_implILb1ES3_NS6_12zip_iteratorINS7_INS6_11hip_rocprim26transform_input_iterator_tIbNSD_35transform_pair_of_input_iterators_tIbNS6_6detail15normal_iteratorINS6_10device_ptrIKsEEEESL_NS6_8equal_toIsEEEENSG_9not_fun_tINSD_8identityEEEEENSD_19counting_iterator_tIlEES8_S8_S8_S8_S8_S8_S8_S8_EEEEPS9_S9_NSD_9__find_if7functorIS9_EEEE10hipError_tPvRmT1_T2_T3_mT4_P12ihipStream_tbEUlT_E1_NS1_11comp_targetILNS1_3genE8ELNS1_11target_archE1030ELNS1_3gpuE2ELNS1_3repE0EEENS1_30default_config_static_selectorELNS0_4arch9wavefront6targetE1EEEvS14_.numbered_sgpr, 0
	.set _ZN7rocprim17ROCPRIM_400000_NS6detail17trampoline_kernelINS0_14default_configENS1_22reduce_config_selectorIN6thrust23THRUST_200600_302600_NS5tupleIblNS6_9null_typeES8_S8_S8_S8_S8_S8_S8_EEEEZNS1_11reduce_implILb1ES3_NS6_12zip_iteratorINS7_INS6_11hip_rocprim26transform_input_iterator_tIbNSD_35transform_pair_of_input_iterators_tIbNS6_6detail15normal_iteratorINS6_10device_ptrIKsEEEESL_NS6_8equal_toIsEEEENSG_9not_fun_tINSD_8identityEEEEENSD_19counting_iterator_tIlEES8_S8_S8_S8_S8_S8_S8_S8_EEEEPS9_S9_NSD_9__find_if7functorIS9_EEEE10hipError_tPvRmT1_T2_T3_mT4_P12ihipStream_tbEUlT_E1_NS1_11comp_targetILNS1_3genE8ELNS1_11target_archE1030ELNS1_3gpuE2ELNS1_3repE0EEENS1_30default_config_static_selectorELNS0_4arch9wavefront6targetE1EEEvS14_.num_named_barrier, 0
	.set _ZN7rocprim17ROCPRIM_400000_NS6detail17trampoline_kernelINS0_14default_configENS1_22reduce_config_selectorIN6thrust23THRUST_200600_302600_NS5tupleIblNS6_9null_typeES8_S8_S8_S8_S8_S8_S8_EEEEZNS1_11reduce_implILb1ES3_NS6_12zip_iteratorINS7_INS6_11hip_rocprim26transform_input_iterator_tIbNSD_35transform_pair_of_input_iterators_tIbNS6_6detail15normal_iteratorINS6_10device_ptrIKsEEEESL_NS6_8equal_toIsEEEENSG_9not_fun_tINSD_8identityEEEEENSD_19counting_iterator_tIlEES8_S8_S8_S8_S8_S8_S8_S8_EEEEPS9_S9_NSD_9__find_if7functorIS9_EEEE10hipError_tPvRmT1_T2_T3_mT4_P12ihipStream_tbEUlT_E1_NS1_11comp_targetILNS1_3genE8ELNS1_11target_archE1030ELNS1_3gpuE2ELNS1_3repE0EEENS1_30default_config_static_selectorELNS0_4arch9wavefront6targetE1EEEvS14_.private_seg_size, 0
	.set _ZN7rocprim17ROCPRIM_400000_NS6detail17trampoline_kernelINS0_14default_configENS1_22reduce_config_selectorIN6thrust23THRUST_200600_302600_NS5tupleIblNS6_9null_typeES8_S8_S8_S8_S8_S8_S8_EEEEZNS1_11reduce_implILb1ES3_NS6_12zip_iteratorINS7_INS6_11hip_rocprim26transform_input_iterator_tIbNSD_35transform_pair_of_input_iterators_tIbNS6_6detail15normal_iteratorINS6_10device_ptrIKsEEEESL_NS6_8equal_toIsEEEENSG_9not_fun_tINSD_8identityEEEEENSD_19counting_iterator_tIlEES8_S8_S8_S8_S8_S8_S8_S8_EEEEPS9_S9_NSD_9__find_if7functorIS9_EEEE10hipError_tPvRmT1_T2_T3_mT4_P12ihipStream_tbEUlT_E1_NS1_11comp_targetILNS1_3genE8ELNS1_11target_archE1030ELNS1_3gpuE2ELNS1_3repE0EEENS1_30default_config_static_selectorELNS0_4arch9wavefront6targetE1EEEvS14_.uses_vcc, 0
	.set _ZN7rocprim17ROCPRIM_400000_NS6detail17trampoline_kernelINS0_14default_configENS1_22reduce_config_selectorIN6thrust23THRUST_200600_302600_NS5tupleIblNS6_9null_typeES8_S8_S8_S8_S8_S8_S8_EEEEZNS1_11reduce_implILb1ES3_NS6_12zip_iteratorINS7_INS6_11hip_rocprim26transform_input_iterator_tIbNSD_35transform_pair_of_input_iterators_tIbNS6_6detail15normal_iteratorINS6_10device_ptrIKsEEEESL_NS6_8equal_toIsEEEENSG_9not_fun_tINSD_8identityEEEEENSD_19counting_iterator_tIlEES8_S8_S8_S8_S8_S8_S8_S8_EEEEPS9_S9_NSD_9__find_if7functorIS9_EEEE10hipError_tPvRmT1_T2_T3_mT4_P12ihipStream_tbEUlT_E1_NS1_11comp_targetILNS1_3genE8ELNS1_11target_archE1030ELNS1_3gpuE2ELNS1_3repE0EEENS1_30default_config_static_selectorELNS0_4arch9wavefront6targetE1EEEvS14_.uses_flat_scratch, 0
	.set _ZN7rocprim17ROCPRIM_400000_NS6detail17trampoline_kernelINS0_14default_configENS1_22reduce_config_selectorIN6thrust23THRUST_200600_302600_NS5tupleIblNS6_9null_typeES8_S8_S8_S8_S8_S8_S8_EEEEZNS1_11reduce_implILb1ES3_NS6_12zip_iteratorINS7_INS6_11hip_rocprim26transform_input_iterator_tIbNSD_35transform_pair_of_input_iterators_tIbNS6_6detail15normal_iteratorINS6_10device_ptrIKsEEEESL_NS6_8equal_toIsEEEENSG_9not_fun_tINSD_8identityEEEEENSD_19counting_iterator_tIlEES8_S8_S8_S8_S8_S8_S8_S8_EEEEPS9_S9_NSD_9__find_if7functorIS9_EEEE10hipError_tPvRmT1_T2_T3_mT4_P12ihipStream_tbEUlT_E1_NS1_11comp_targetILNS1_3genE8ELNS1_11target_archE1030ELNS1_3gpuE2ELNS1_3repE0EEENS1_30default_config_static_selectorELNS0_4arch9wavefront6targetE1EEEvS14_.has_dyn_sized_stack, 0
	.set _ZN7rocprim17ROCPRIM_400000_NS6detail17trampoline_kernelINS0_14default_configENS1_22reduce_config_selectorIN6thrust23THRUST_200600_302600_NS5tupleIblNS6_9null_typeES8_S8_S8_S8_S8_S8_S8_EEEEZNS1_11reduce_implILb1ES3_NS6_12zip_iteratorINS7_INS6_11hip_rocprim26transform_input_iterator_tIbNSD_35transform_pair_of_input_iterators_tIbNS6_6detail15normal_iteratorINS6_10device_ptrIKsEEEESL_NS6_8equal_toIsEEEENSG_9not_fun_tINSD_8identityEEEEENSD_19counting_iterator_tIlEES8_S8_S8_S8_S8_S8_S8_S8_EEEEPS9_S9_NSD_9__find_if7functorIS9_EEEE10hipError_tPvRmT1_T2_T3_mT4_P12ihipStream_tbEUlT_E1_NS1_11comp_targetILNS1_3genE8ELNS1_11target_archE1030ELNS1_3gpuE2ELNS1_3repE0EEENS1_30default_config_static_selectorELNS0_4arch9wavefront6targetE1EEEvS14_.has_recursion, 0
	.set _ZN7rocprim17ROCPRIM_400000_NS6detail17trampoline_kernelINS0_14default_configENS1_22reduce_config_selectorIN6thrust23THRUST_200600_302600_NS5tupleIblNS6_9null_typeES8_S8_S8_S8_S8_S8_S8_EEEEZNS1_11reduce_implILb1ES3_NS6_12zip_iteratorINS7_INS6_11hip_rocprim26transform_input_iterator_tIbNSD_35transform_pair_of_input_iterators_tIbNS6_6detail15normal_iteratorINS6_10device_ptrIKsEEEESL_NS6_8equal_toIsEEEENSG_9not_fun_tINSD_8identityEEEEENSD_19counting_iterator_tIlEES8_S8_S8_S8_S8_S8_S8_S8_EEEEPS9_S9_NSD_9__find_if7functorIS9_EEEE10hipError_tPvRmT1_T2_T3_mT4_P12ihipStream_tbEUlT_E1_NS1_11comp_targetILNS1_3genE8ELNS1_11target_archE1030ELNS1_3gpuE2ELNS1_3repE0EEENS1_30default_config_static_selectorELNS0_4arch9wavefront6targetE1EEEvS14_.has_indirect_call, 0
	.section	.AMDGPU.csdata,"",@progbits
; Kernel info:
; codeLenInByte = 0
; TotalNumSgprs: 6
; NumVgprs: 0
; NumAgprs: 0
; TotalNumVgprs: 0
; ScratchSize: 0
; MemoryBound: 0
; FloatMode: 240
; IeeeMode: 1
; LDSByteSize: 0 bytes/workgroup (compile time only)
; SGPRBlocks: 0
; VGPRBlocks: 0
; NumSGPRsForWavesPerEU: 6
; NumVGPRsForWavesPerEU: 1
; AccumOffset: 4
; Occupancy: 8
; WaveLimiterHint : 0
; COMPUTE_PGM_RSRC2:SCRATCH_EN: 0
; COMPUTE_PGM_RSRC2:USER_SGPR: 2
; COMPUTE_PGM_RSRC2:TRAP_HANDLER: 0
; COMPUTE_PGM_RSRC2:TGID_X_EN: 1
; COMPUTE_PGM_RSRC2:TGID_Y_EN: 0
; COMPUTE_PGM_RSRC2:TGID_Z_EN: 0
; COMPUTE_PGM_RSRC2:TIDIG_COMP_CNT: 0
; COMPUTE_PGM_RSRC3_GFX90A:ACCUM_OFFSET: 0
; COMPUTE_PGM_RSRC3_GFX90A:TG_SPLIT: 0
	.section	.text._ZN7rocprim17ROCPRIM_400000_NS6detail17trampoline_kernelINS0_13kernel_configILj256ELj4ELj4294967295EEENS1_37radix_sort_block_sort_config_selectorIiiEEZNS1_21radix_sort_block_sortIS4_Lb1EN6thrust23THRUST_200600_302600_NS6detail15normal_iteratorINS9_10device_ptrIiEEEESE_SE_SE_NS0_19identity_decomposerEEE10hipError_tT1_T2_T3_T4_jRjT5_jjP12ihipStream_tbEUlT_E_NS1_11comp_targetILNS1_3genE0ELNS1_11target_archE4294967295ELNS1_3gpuE0ELNS1_3repE0EEENS1_44radix_sort_block_sort_config_static_selectorELNS0_4arch9wavefront6targetE1EEEvSH_,"axG",@progbits,_ZN7rocprim17ROCPRIM_400000_NS6detail17trampoline_kernelINS0_13kernel_configILj256ELj4ELj4294967295EEENS1_37radix_sort_block_sort_config_selectorIiiEEZNS1_21radix_sort_block_sortIS4_Lb1EN6thrust23THRUST_200600_302600_NS6detail15normal_iteratorINS9_10device_ptrIiEEEESE_SE_SE_NS0_19identity_decomposerEEE10hipError_tT1_T2_T3_T4_jRjT5_jjP12ihipStream_tbEUlT_E_NS1_11comp_targetILNS1_3genE0ELNS1_11target_archE4294967295ELNS1_3gpuE0ELNS1_3repE0EEENS1_44radix_sort_block_sort_config_static_selectorELNS0_4arch9wavefront6targetE1EEEvSH_,comdat
	.protected	_ZN7rocprim17ROCPRIM_400000_NS6detail17trampoline_kernelINS0_13kernel_configILj256ELj4ELj4294967295EEENS1_37radix_sort_block_sort_config_selectorIiiEEZNS1_21radix_sort_block_sortIS4_Lb1EN6thrust23THRUST_200600_302600_NS6detail15normal_iteratorINS9_10device_ptrIiEEEESE_SE_SE_NS0_19identity_decomposerEEE10hipError_tT1_T2_T3_T4_jRjT5_jjP12ihipStream_tbEUlT_E_NS1_11comp_targetILNS1_3genE0ELNS1_11target_archE4294967295ELNS1_3gpuE0ELNS1_3repE0EEENS1_44radix_sort_block_sort_config_static_selectorELNS0_4arch9wavefront6targetE1EEEvSH_ ; -- Begin function _ZN7rocprim17ROCPRIM_400000_NS6detail17trampoline_kernelINS0_13kernel_configILj256ELj4ELj4294967295EEENS1_37radix_sort_block_sort_config_selectorIiiEEZNS1_21radix_sort_block_sortIS4_Lb1EN6thrust23THRUST_200600_302600_NS6detail15normal_iteratorINS9_10device_ptrIiEEEESE_SE_SE_NS0_19identity_decomposerEEE10hipError_tT1_T2_T3_T4_jRjT5_jjP12ihipStream_tbEUlT_E_NS1_11comp_targetILNS1_3genE0ELNS1_11target_archE4294967295ELNS1_3gpuE0ELNS1_3repE0EEENS1_44radix_sort_block_sort_config_static_selectorELNS0_4arch9wavefront6targetE1EEEvSH_
	.globl	_ZN7rocprim17ROCPRIM_400000_NS6detail17trampoline_kernelINS0_13kernel_configILj256ELj4ELj4294967295EEENS1_37radix_sort_block_sort_config_selectorIiiEEZNS1_21radix_sort_block_sortIS4_Lb1EN6thrust23THRUST_200600_302600_NS6detail15normal_iteratorINS9_10device_ptrIiEEEESE_SE_SE_NS0_19identity_decomposerEEE10hipError_tT1_T2_T3_T4_jRjT5_jjP12ihipStream_tbEUlT_E_NS1_11comp_targetILNS1_3genE0ELNS1_11target_archE4294967295ELNS1_3gpuE0ELNS1_3repE0EEENS1_44radix_sort_block_sort_config_static_selectorELNS0_4arch9wavefront6targetE1EEEvSH_
	.p2align	8
	.type	_ZN7rocprim17ROCPRIM_400000_NS6detail17trampoline_kernelINS0_13kernel_configILj256ELj4ELj4294967295EEENS1_37radix_sort_block_sort_config_selectorIiiEEZNS1_21radix_sort_block_sortIS4_Lb1EN6thrust23THRUST_200600_302600_NS6detail15normal_iteratorINS9_10device_ptrIiEEEESE_SE_SE_NS0_19identity_decomposerEEE10hipError_tT1_T2_T3_T4_jRjT5_jjP12ihipStream_tbEUlT_E_NS1_11comp_targetILNS1_3genE0ELNS1_11target_archE4294967295ELNS1_3gpuE0ELNS1_3repE0EEENS1_44radix_sort_block_sort_config_static_selectorELNS0_4arch9wavefront6targetE1EEEvSH_,@function
_ZN7rocprim17ROCPRIM_400000_NS6detail17trampoline_kernelINS0_13kernel_configILj256ELj4ELj4294967295EEENS1_37radix_sort_block_sort_config_selectorIiiEEZNS1_21radix_sort_block_sortIS4_Lb1EN6thrust23THRUST_200600_302600_NS6detail15normal_iteratorINS9_10device_ptrIiEEEESE_SE_SE_NS0_19identity_decomposerEEE10hipError_tT1_T2_T3_T4_jRjT5_jjP12ihipStream_tbEUlT_E_NS1_11comp_targetILNS1_3genE0ELNS1_11target_archE4294967295ELNS1_3gpuE0ELNS1_3repE0EEENS1_44radix_sort_block_sort_config_static_selectorELNS0_4arch9wavefront6targetE1EEEvSH_: ; @_ZN7rocprim17ROCPRIM_400000_NS6detail17trampoline_kernelINS0_13kernel_configILj256ELj4ELj4294967295EEENS1_37radix_sort_block_sort_config_selectorIiiEEZNS1_21radix_sort_block_sortIS4_Lb1EN6thrust23THRUST_200600_302600_NS6detail15normal_iteratorINS9_10device_ptrIiEEEESE_SE_SE_NS0_19identity_decomposerEEE10hipError_tT1_T2_T3_T4_jRjT5_jjP12ihipStream_tbEUlT_E_NS1_11comp_targetILNS1_3genE0ELNS1_11target_archE4294967295ELNS1_3gpuE0ELNS1_3repE0EEENS1_44radix_sort_block_sort_config_static_selectorELNS0_4arch9wavefront6targetE1EEEvSH_
; %bb.0:
	s_load_dword s8, s[0:1], 0x20
	s_load_dwordx8 s[36:43], s[0:1], 0x0
	s_lshl_b32 s4, s2, 10
	s_mov_b32 s5, 0
	v_mbcnt_lo_u32_b32 v1, -1, 0
	s_waitcnt lgkmcnt(0)
	s_lshr_b32 s3, s8, 10
	s_cmp_lg_u32 s2, s3
	v_and_b32_e32 v10, 0x3ff, v0
	s_cselect_b64 s[30:31], -1, 0
	s_lshl_b64 s[28:29], s[4:5], 2
	v_mbcnt_hi_u32_b32 v16, -1, v1
	s_add_u32 s6, s36, s28
	v_and_b32_e32 v1, 63, v16
	v_lshlrev_b32_e32 v8, 2, v10
	s_addc_u32 s7, s37, s29
	v_and_b32_e32 v9, 0x300, v8
	v_mov_b32_e32 v13, 0
	v_lshlrev_b32_e32 v12, 2, v1
	v_lshl_add_u64 v[2:3], s[6:7], 0, v[12:13]
	v_lshlrev_b32_e32 v6, 2, v9
	v_mov_b32_e32 v7, v13
	s_cmp_eq_u32 s2, s3
	v_lshl_add_u64 v[14:15], v[2:3], 0, v[6:7]
	s_cbranch_scc1 .LBB1714_2
; %bb.1:
	s_add_u32 s2, s40, s28
	s_addc_u32 s3, s41, s29
	v_lshl_add_u64 v[18:19], s[2:3], 0, v[12:13]
	global_load_dword v2, v[14:15], off
	global_load_dword v3, v[14:15], off offset:256
	global_load_dword v4, v[14:15], off offset:512
	;; [unrolled: 1-line block ×3, first 2 shown]
	v_lshl_add_u64 v[18:19], v[18:19], 0, v[6:7]
	global_load_dword v30, v[18:19], off
	global_load_dword v31, v[18:19], off offset:256
	global_load_dword v32, v[18:19], off offset:512
	s_mov_b64 s[6:7], -1
	s_load_dwordx2 s[34:35], s[0:1], 0x28
	s_sub_i32 s33, s8, s4
	s_cbranch_execz .LBB1714_3
	s_branch .LBB1714_16
.LBB1714_2:
	s_mov_b64 s[6:7], 0
                                        ; implicit-def: $vgpr2_vgpr3_vgpr4_vgpr5
                                        ; implicit-def: $vgpr30_vgpr31_vgpr32_vgpr33
	s_load_dwordx2 s[34:35], s[0:1], 0x28
	s_sub_i32 s33, s8, s4
.LBB1714_3:
	v_or_b32_e32 v7, v1, v9
	s_waitcnt vmcnt(6)
	v_bfrev_b32_e32 v2, 1
	v_cmp_gt_u32_e32 vcc, s33, v7
	s_waitcnt vmcnt(5)
	v_mov_b32_e32 v3, v2
	s_waitcnt vmcnt(4)
	v_mov_b32_e32 v4, v2
	;; [unrolled: 2-line block ×3, first 2 shown]
	s_and_saveexec_b64 s[2:3], vcc
	s_cbranch_execz .LBB1714_5
; %bb.4:
	global_load_dword v18, v[14:15], off
	v_mov_b32_e32 v19, v2
	v_mov_b32_e32 v20, v2
	;; [unrolled: 1-line block ×3, first 2 shown]
	s_waitcnt vmcnt(0)
	v_mov_b64_e32 v[2:3], v[18:19]
	v_mov_b64_e32 v[4:5], v[20:21]
.LBB1714_5:
	s_or_b64 exec, exec, s[2:3]
	v_or_b32_e32 v9, 64, v7
	v_cmp_gt_u32_e64 s[2:3], s33, v9
	s_and_saveexec_b64 s[4:5], s[2:3]
	s_cbranch_execz .LBB1714_7
; %bb.6:
	global_load_dword v3, v[14:15], off offset:256
.LBB1714_7:
	s_or_b64 exec, exec, s[4:5]
	v_or_b32_e32 v9, 0x80, v7
	v_cmp_gt_u32_e64 s[4:5], s33, v9
	s_and_saveexec_b64 s[6:7], s[4:5]
	s_cbranch_execz .LBB1714_9
; %bb.8:
	global_load_dword v4, v[14:15], off offset:512
.LBB1714_9:
	;; [unrolled: 8-line block ×3, first 2 shown]
	s_or_b64 exec, exec, s[8:9]
	s_add_u32 s8, s40, s28
	s_addc_u32 s9, s41, s29
	v_mov_b32_e32 v13, 0
	v_lshl_add_u64 v[14:15], s[8:9], 0, v[12:13]
	v_mov_b32_e32 v7, v13
	v_lshl_add_u64 v[14:15], v[14:15], 0, v[6:7]
	s_waitcnt vmcnt(2)
	v_mov_b32_e32 v30, v13
	s_waitcnt vmcnt(1)
	v_mov_b32_e32 v31, v13
	;; [unrolled: 2-line block ×3, first 2 shown]
	v_mov_b32_e32 v33, v13
	s_and_saveexec_b64 s[8:9], vcc
	s_cbranch_execnz .LBB1714_55
; %bb.12:
	s_or_b64 exec, exec, s[8:9]
	s_and_saveexec_b64 s[8:9], s[2:3]
	s_cbranch_execnz .LBB1714_56
.LBB1714_13:
	s_or_b64 exec, exec, s[8:9]
	s_and_saveexec_b64 s[2:3], s[4:5]
	s_cbranch_execz .LBB1714_15
.LBB1714_14:
	global_load_dword v32, v[14:15], off offset:512
.LBB1714_15:
	s_or_b64 exec, exec, s[2:3]
.LBB1714_16:
	s_and_saveexec_b64 s[2:3], s[6:7]
	s_cbranch_execz .LBB1714_18
; %bb.17:
	s_add_u32 s4, s40, s28
	s_addc_u32 s5, s41, s29
	v_mov_b32_e32 v13, 0
	v_lshl_add_u64 v[14:15], s[4:5], 0, v[12:13]
	v_mov_b32_e32 v7, v13
	v_lshl_add_u64 v[12:13], v[14:15], 0, v[6:7]
	global_load_dword v33, v[12:13], off offset:768
.LBB1714_18:
	s_or_b64 exec, exec, s[2:3]
	s_load_dword s2, s[0:1], 0x3c
	s_waitcnt lgkmcnt(0)
	s_add_i32 s36, s35, s34
	s_getpc_b64 s[0:1]
	s_add_u32 s0, s0, _ZN7rocprim17ROCPRIM_400000_NS16block_radix_sortIiLj256ELj4EiLj1ELj1ELj0ELNS0_26block_radix_rank_algorithmE1ELNS0_18block_padding_hintE2ELNS0_4arch9wavefront6targetE1EE19radix_bits_per_passE@rel32@lo+4
	s_addc_u32 s1, s1, _ZN7rocprim17ROCPRIM_400000_NS16block_radix_sortIiLj256ELj4EiLj1ELj1ELj0ELNS0_26block_radix_rank_algorithmE1ELNS0_18block_padding_hintE2ELNS0_4arch9wavefront6targetE1EE19radix_bits_per_passE@rel32@hi+12
	s_waitcnt vmcnt(6)
	v_xor_b32_e32 v18, 0x7fffffff, v2
	s_load_dword s37, s[0:1], 0x0
	s_lshr_b32 s0, s2, 16
	v_bfe_u32 v2, v0, 10, 10
	v_bfe_u32 v0, v0, 20, 10
	s_and_b32 s1, s2, 0xffff
	v_mad_u32_u24 v0, v0, s0, v2
	s_waitcnt vmcnt(5)
	v_xor_b32_e32 v19, 0x7fffffff, v3
	v_mad_u64_u32 v[2:3], s[0:1], v0, s1, v[10:11]
	v_lshrrev_b32_e32 v0, 4, v2
	v_and_b32_e32 v11, 0xffffffc, v0
	v_and_b32_e32 v0, 15, v16
	v_cmp_eq_u32_e64 s[0:1], 0, v0
	v_cmp_lt_u32_e64 s[2:3], 1, v0
	v_cmp_lt_u32_e64 s[4:5], 3, v0
	;; [unrolled: 1-line block ×3, first 2 shown]
	v_and_b32_e32 v0, 16, v16
	v_cmp_eq_u32_e64 s[8:9], 0, v0
	v_and_b32_e32 v0, 0x3c0, v10
	v_min_u32_e32 v0, 0xc0, v0
	v_or_b32_e32 v0, 63, v0
	v_cmp_eq_u32_e64 s[12:13], v10, v0
	v_subrev_co_u32_e64 v0, s[18:19], 1, v16
	v_and_b32_e32 v2, 64, v16
	v_cmp_lt_i32_e32 vcc, v0, v2
	s_mov_b32 s26, 0
	s_mov_b32 s27, s26
	v_cndmask_b32_e32 v0, v0, v16, vcc
	v_lshlrev_b32_e32 v21, 2, v0
	v_lshrrev_b32_e32 v0, 4, v10
	v_and_b32_e32 v22, 60, v0
	v_and_b32_e32 v0, 3, v16
	s_mov_b32 s40, s26
	s_mov_b32 s41, s26
	s_waitcnt vmcnt(4)
	v_xor_b32_e32 v4, 0x7fffffff, v4
	s_waitcnt vmcnt(3)
	v_xor_b32_e32 v5, 0x7fffffff, v5
	v_lshlrev_b32_e32 v9, 2, v8
	v_cmp_lt_u32_e64 s[10:11], 31, v16
	v_cmp_gt_u32_e64 s[14:15], 4, v10
	v_cmp_lt_u32_e64 s[16:17], 63, v10
	v_cmp_eq_u32_e64 s[20:21], 0, v10
	v_mul_i32_i24_e32 v20, -12, v10
	v_cmp_eq_u32_e64 s[22:23], 0, v0
	v_cmp_lt_u32_e64 s[24:25], 1, v0
	v_add_u32_e32 v23, -4, v22
	v_lshl_add_u32 v24, v1, 2, v6
	v_mov_b64_e32 v[12:13], s[26:27]
	v_mov_b64_e32 v[14:15], s[40:41]
	v_mov_b32_e32 v17, 0
	s_branch .LBB1714_20
.LBB1714_19:                            ;   in Loop: Header=BB1714_20 Depth=1
	s_andn2_b64 vcc, exec, s[26:27]
	s_mov_b32 s35, s40
	s_cbranch_vccz .LBB1714_36
.LBB1714_20:                            ; =>This Inner Loop Header: Depth=1
	v_mov_b32_e32 v28, v18
	s_waitcnt lgkmcnt(0)
	s_min_u32 s26, s37, s35
	v_mov_b32_e32 v26, v4
	s_lshl_b32 s40, -1, s26
	v_lshrrev_b32_e32 v4, s34, v28
	v_bitop3_b32 v6, v4, s40, v4 bitop3:0x30
	v_and_b32_e32 v16, 1, v6
	v_mov_b32_e32 v25, v5
	v_lshl_add_u64 v[4:5], v[16:17], 0, -1
	v_cmp_ne_u32_e32 vcc, 0, v16
	v_lshlrev_b32_e32 v7, 4, v6
	s_waitcnt vmcnt(0)
	v_mov_b64_e32 v[0:1], v[30:31]
	v_xor_b32_e32 v5, vcc_hi, v5
	v_xor_b32_e32 v4, vcc_lo, v4
	v_and_b32_e32 v16, exec_hi, v5
	v_and_b32_e32 v18, exec_lo, v4
	v_lshlrev_b32_e32 v5, 30, v6
	v_mov_b32_e32 v4, v17
	v_cmp_gt_i64_e32 vcc, 0, v[4:5]
	v_not_b32_e32 v4, v5
	v_ashrrev_i32_e32 v4, 31, v4
	v_xor_b32_e32 v5, vcc_hi, v4
	v_xor_b32_e32 v4, vcc_lo, v4
	v_and_b32_e32 v16, v16, v5
	v_and_b32_e32 v18, v18, v4
	v_lshlrev_b32_e32 v5, 29, v6
	v_mov_b32_e32 v4, v17
	v_cmp_gt_i64_e32 vcc, 0, v[4:5]
	v_not_b32_e32 v4, v5
	v_ashrrev_i32_e32 v4, 31, v4
	v_xor_b32_e32 v5, vcc_hi, v4
	v_xor_b32_e32 v4, vcc_lo, v4
	v_and_b32_e32 v16, v16, v5
	v_and_b32_e32 v18, v18, v4
	;; [unrolled: 9-line block ×7, first 2 shown]
	v_mbcnt_lo_u32_b32 v6, v4, 0
	v_mbcnt_hi_u32_b32 v18, v5, v6
	v_cmp_eq_u32_e32 vcc, 0, v18
	v_cmp_ne_u64_e64 s[26:27], 0, v[4:5]
	v_mov_b32_e32 v27, v19
	v_mov_b64_e32 v[2:3], v[32:33]
	s_and_b64 s[44:45], s[26:27], vcc
	v_add_u32_e32 v19, v11, v7
	ds_write2_b64 v9, v[12:13], v[14:15] offset0:2 offset1:3
	s_waitcnt lgkmcnt(0)
	s_barrier
	; wave barrier
	s_and_saveexec_b64 s[26:27], s[44:45]
; %bb.21:                               ;   in Loop: Header=BB1714_20 Depth=1
	v_bcnt_u32_b32 v4, v4, 0
	v_bcnt_u32_b32 v4, v5, v4
	ds_write_b32 v19, v4 offset:16
; %bb.22:                               ;   in Loop: Header=BB1714_20 Depth=1
	s_or_b64 exec, exec, s[26:27]
	s_not_b32 s40, s40
	v_lshrrev_b32_e32 v4, s34, v27
	v_and_b32_e32 v6, s40, v4
	v_lshlrev_b32_e32 v4, 4, v6
	v_and_b32_e32 v16, 1, v6
	v_add_u32_e32 v30, v11, v4
	v_lshl_add_u64 v[4:5], v[16:17], 0, -1
	v_cmp_ne_u32_e32 vcc, 0, v16
	; wave barrier
	s_nop 1
	v_xor_b32_e32 v5, vcc_hi, v5
	v_xor_b32_e32 v4, vcc_lo, v4
	v_and_b32_e32 v7, exec_hi, v5
	v_and_b32_e32 v16, exec_lo, v4
	v_lshlrev_b32_e32 v5, 30, v6
	v_mov_b32_e32 v4, v17
	v_cmp_gt_i64_e32 vcc, 0, v[4:5]
	v_not_b32_e32 v4, v5
	v_ashrrev_i32_e32 v4, 31, v4
	v_xor_b32_e32 v5, vcc_hi, v4
	v_xor_b32_e32 v4, vcc_lo, v4
	v_and_b32_e32 v7, v7, v5
	v_and_b32_e32 v16, v16, v4
	v_lshlrev_b32_e32 v5, 29, v6
	v_mov_b32_e32 v4, v17
	v_cmp_gt_i64_e32 vcc, 0, v[4:5]
	v_not_b32_e32 v4, v5
	v_ashrrev_i32_e32 v4, 31, v4
	v_xor_b32_e32 v5, vcc_hi, v4
	v_xor_b32_e32 v4, vcc_lo, v4
	v_and_b32_e32 v7, v7, v5
	v_and_b32_e32 v16, v16, v4
	;; [unrolled: 9-line block ×6, first 2 shown]
	v_lshlrev_b32_e32 v5, 24, v6
	v_mov_b32_e32 v4, v17
	v_cmp_gt_i64_e32 vcc, 0, v[4:5]
	v_not_b32_e32 v4, v5
	v_ashrrev_i32_e32 v4, 31, v4
	v_xor_b32_e32 v5, vcc_hi, v4
	v_xor_b32_e32 v4, vcc_lo, v4
	ds_read_b32 v29, v30 offset:16
	v_and_b32_e32 v4, v16, v4
	v_and_b32_e32 v5, v7, v5
	v_mbcnt_lo_u32_b32 v6, v4, 0
	v_mbcnt_hi_u32_b32 v31, v5, v6
	v_cmp_eq_u32_e32 vcc, 0, v31
	v_cmp_ne_u64_e64 s[26:27], 0, v[4:5]
	s_and_b64 s[44:45], s[26:27], vcc
	; wave barrier
	s_and_saveexec_b64 s[26:27], s[44:45]
	s_cbranch_execz .LBB1714_24
; %bb.23:                               ;   in Loop: Header=BB1714_20 Depth=1
	v_bcnt_u32_b32 v4, v4, 0
	v_bcnt_u32_b32 v4, v5, v4
	s_waitcnt lgkmcnt(0)
	v_add_u32_e32 v4, v29, v4
	ds_write_b32 v30, v4 offset:16
.LBB1714_24:                            ;   in Loop: Header=BB1714_20 Depth=1
	s_or_b64 exec, exec, s[26:27]
	v_lshrrev_b32_e32 v4, s34, v26
	v_and_b32_e32 v6, s40, v4
	v_lshlrev_b32_e32 v4, 4, v6
	v_and_b32_e32 v16, 1, v6
	v_add_u32_e32 v33, v11, v4
	v_lshl_add_u64 v[4:5], v[16:17], 0, -1
	v_cmp_ne_u32_e32 vcc, 0, v16
	; wave barrier
	s_nop 1
	v_xor_b32_e32 v5, vcc_hi, v5
	v_xor_b32_e32 v4, vcc_lo, v4
	v_and_b32_e32 v7, exec_hi, v5
	v_and_b32_e32 v16, exec_lo, v4
	v_lshlrev_b32_e32 v5, 30, v6
	v_mov_b32_e32 v4, v17
	v_cmp_gt_i64_e32 vcc, 0, v[4:5]
	v_not_b32_e32 v4, v5
	v_ashrrev_i32_e32 v4, 31, v4
	v_xor_b32_e32 v5, vcc_hi, v4
	v_xor_b32_e32 v4, vcc_lo, v4
	v_and_b32_e32 v7, v7, v5
	v_and_b32_e32 v16, v16, v4
	v_lshlrev_b32_e32 v5, 29, v6
	v_mov_b32_e32 v4, v17
	v_cmp_gt_i64_e32 vcc, 0, v[4:5]
	v_not_b32_e32 v4, v5
	v_ashrrev_i32_e32 v4, 31, v4
	v_xor_b32_e32 v5, vcc_hi, v4
	v_xor_b32_e32 v4, vcc_lo, v4
	v_and_b32_e32 v7, v7, v5
	v_and_b32_e32 v16, v16, v4
	v_lshlrev_b32_e32 v5, 28, v6
	v_mov_b32_e32 v4, v17
	v_cmp_gt_i64_e32 vcc, 0, v[4:5]
	v_not_b32_e32 v4, v5
	v_ashrrev_i32_e32 v4, 31, v4
	v_xor_b32_e32 v5, vcc_hi, v4
	v_xor_b32_e32 v4, vcc_lo, v4
	v_and_b32_e32 v7, v7, v5
	v_and_b32_e32 v16, v16, v4
	v_lshlrev_b32_e32 v5, 27, v6
	v_mov_b32_e32 v4, v17
	v_cmp_gt_i64_e32 vcc, 0, v[4:5]
	v_not_b32_e32 v4, v5
	v_ashrrev_i32_e32 v4, 31, v4
	v_xor_b32_e32 v5, vcc_hi, v4
	v_xor_b32_e32 v4, vcc_lo, v4
	v_and_b32_e32 v7, v7, v5
	v_and_b32_e32 v16, v16, v4
	v_lshlrev_b32_e32 v5, 26, v6
	v_mov_b32_e32 v4, v17
	v_cmp_gt_i64_e32 vcc, 0, v[4:5]
	v_not_b32_e32 v4, v5
	v_ashrrev_i32_e32 v4, 31, v4
	v_xor_b32_e32 v5, vcc_hi, v4
	v_xor_b32_e32 v4, vcc_lo, v4
	v_and_b32_e32 v7, v7, v5
	v_and_b32_e32 v16, v16, v4
	v_lshlrev_b32_e32 v5, 25, v6
	v_mov_b32_e32 v4, v17
	v_cmp_gt_i64_e32 vcc, 0, v[4:5]
	v_not_b32_e32 v4, v5
	v_ashrrev_i32_e32 v4, 31, v4
	v_xor_b32_e32 v5, vcc_hi, v4
	v_xor_b32_e32 v4, vcc_lo, v4
	v_and_b32_e32 v7, v7, v5
	v_and_b32_e32 v16, v16, v4
	v_lshlrev_b32_e32 v5, 24, v6
	v_mov_b32_e32 v4, v17
	v_cmp_gt_i64_e32 vcc, 0, v[4:5]
	v_not_b32_e32 v4, v5
	v_ashrrev_i32_e32 v4, 31, v4
	v_xor_b32_e32 v5, vcc_hi, v4
	v_xor_b32_e32 v4, vcc_lo, v4
	ds_read_b32 v32, v33 offset:16
	v_and_b32_e32 v4, v16, v4
	v_and_b32_e32 v5, v7, v5
	v_mbcnt_lo_u32_b32 v6, v4, 0
	v_mbcnt_hi_u32_b32 v34, v5, v6
	v_cmp_eq_u32_e32 vcc, 0, v34
	v_cmp_ne_u64_e64 s[26:27], 0, v[4:5]
	s_and_b64 s[44:45], s[26:27], vcc
	; wave barrier
	s_and_saveexec_b64 s[26:27], s[44:45]
	s_cbranch_execz .LBB1714_26
; %bb.25:                               ;   in Loop: Header=BB1714_20 Depth=1
	v_bcnt_u32_b32 v4, v4, 0
	v_bcnt_u32_b32 v4, v5, v4
	s_waitcnt lgkmcnt(0)
	v_add_u32_e32 v4, v32, v4
	ds_write_b32 v33, v4 offset:16
.LBB1714_26:                            ;   in Loop: Header=BB1714_20 Depth=1
	s_or_b64 exec, exec, s[26:27]
	v_lshrrev_b32_e32 v4, s34, v25
	v_and_b32_e32 v6, s40, v4
	v_lshlrev_b32_e32 v4, 4, v6
	v_and_b32_e32 v16, 1, v6
	v_add_u32_e32 v36, v11, v4
	v_lshl_add_u64 v[4:5], v[16:17], 0, -1
	v_cmp_ne_u32_e32 vcc, 0, v16
	; wave barrier
	s_nop 1
	v_xor_b32_e32 v5, vcc_hi, v5
	v_xor_b32_e32 v4, vcc_lo, v4
	v_and_b32_e32 v7, exec_hi, v5
	v_and_b32_e32 v16, exec_lo, v4
	v_lshlrev_b32_e32 v5, 30, v6
	v_mov_b32_e32 v4, v17
	v_cmp_gt_i64_e32 vcc, 0, v[4:5]
	v_not_b32_e32 v4, v5
	v_ashrrev_i32_e32 v4, 31, v4
	v_xor_b32_e32 v5, vcc_hi, v4
	v_xor_b32_e32 v4, vcc_lo, v4
	v_and_b32_e32 v7, v7, v5
	v_and_b32_e32 v16, v16, v4
	v_lshlrev_b32_e32 v5, 29, v6
	v_mov_b32_e32 v4, v17
	v_cmp_gt_i64_e32 vcc, 0, v[4:5]
	v_not_b32_e32 v4, v5
	v_ashrrev_i32_e32 v4, 31, v4
	v_xor_b32_e32 v5, vcc_hi, v4
	v_xor_b32_e32 v4, vcc_lo, v4
	v_and_b32_e32 v7, v7, v5
	v_and_b32_e32 v16, v16, v4
	;; [unrolled: 9-line block ×6, first 2 shown]
	v_lshlrev_b32_e32 v5, 24, v6
	v_mov_b32_e32 v4, v17
	v_cmp_gt_i64_e32 vcc, 0, v[4:5]
	v_not_b32_e32 v4, v5
	v_ashrrev_i32_e32 v4, 31, v4
	v_xor_b32_e32 v5, vcc_hi, v4
	v_xor_b32_e32 v4, vcc_lo, v4
	ds_read_b32 v35, v36 offset:16
	v_and_b32_e32 v4, v16, v4
	v_and_b32_e32 v5, v7, v5
	v_mbcnt_lo_u32_b32 v6, v4, 0
	v_mbcnt_hi_u32_b32 v16, v5, v6
	v_cmp_eq_u32_e32 vcc, 0, v16
	v_cmp_ne_u64_e64 s[26:27], 0, v[4:5]
	s_and_b64 s[40:41], s[26:27], vcc
	; wave barrier
	s_and_saveexec_b64 s[26:27], s[40:41]
	s_cbranch_execz .LBB1714_28
; %bb.27:                               ;   in Loop: Header=BB1714_20 Depth=1
	v_bcnt_u32_b32 v4, v4, 0
	v_bcnt_u32_b32 v4, v5, v4
	s_waitcnt lgkmcnt(0)
	v_add_u32_e32 v4, v35, v4
	ds_write_b32 v36, v4 offset:16
.LBB1714_28:                            ;   in Loop: Header=BB1714_20 Depth=1
	s_or_b64 exec, exec, s[26:27]
	; wave barrier
	s_waitcnt lgkmcnt(0)
	s_barrier
	ds_read2_b64 v[4:7], v9 offset0:2 offset1:3
	s_waitcnt lgkmcnt(0)
	v_add_u32_e32 v37, v5, v4
	v_add3_u32 v7, v37, v6, v7
	s_nop 1
	v_mov_b32_dpp v37, v7 row_shr:1 row_mask:0xf bank_mask:0xf
	v_cndmask_b32_e64 v37, v37, 0, s[0:1]
	v_add_u32_e32 v7, v37, v7
	s_nop 1
	v_mov_b32_dpp v37, v7 row_shr:2 row_mask:0xf bank_mask:0xf
	v_cndmask_b32_e64 v37, 0, v37, s[2:3]
	v_add_u32_e32 v7, v7, v37
	;; [unrolled: 4-line block ×4, first 2 shown]
	s_nop 1
	v_mov_b32_dpp v37, v7 row_bcast:15 row_mask:0xf bank_mask:0xf
	v_cndmask_b32_e64 v37, v37, 0, s[8:9]
	v_add_u32_e32 v7, v7, v37
	s_nop 1
	v_mov_b32_dpp v37, v7 row_bcast:31 row_mask:0xf bank_mask:0xf
	v_cndmask_b32_e64 v37, 0, v37, s[10:11]
	v_add_u32_e32 v7, v7, v37
	s_and_saveexec_b64 s[26:27], s[12:13]
; %bb.29:                               ;   in Loop: Header=BB1714_20 Depth=1
	ds_write_b32 v22, v7
; %bb.30:                               ;   in Loop: Header=BB1714_20 Depth=1
	s_or_b64 exec, exec, s[26:27]
	s_waitcnt lgkmcnt(0)
	s_barrier
	s_and_saveexec_b64 s[26:27], s[14:15]
	s_cbranch_execz .LBB1714_32
; %bb.31:                               ;   in Loop: Header=BB1714_20 Depth=1
	v_add_u32_e32 v37, v9, v20
	ds_read_b32 v38, v37
	s_waitcnt lgkmcnt(0)
	s_nop 0
	v_mov_b32_dpp v39, v38 row_shr:1 row_mask:0xf bank_mask:0xf
	v_cndmask_b32_e64 v39, v39, 0, s[22:23]
	v_add_u32_e32 v38, v39, v38
	s_nop 1
	v_mov_b32_dpp v39, v38 row_shr:2 row_mask:0xf bank_mask:0xf
	v_cndmask_b32_e64 v39, 0, v39, s[24:25]
	v_add_u32_e32 v38, v38, v39
	ds_write_b32 v37, v38
.LBB1714_32:                            ;   in Loop: Header=BB1714_20 Depth=1
	s_or_b64 exec, exec, s[26:27]
	v_mov_b32_e32 v37, 0
	s_waitcnt lgkmcnt(0)
	s_barrier
	s_and_saveexec_b64 s[26:27], s[16:17]
; %bb.33:                               ;   in Loop: Header=BB1714_20 Depth=1
	ds_read_b32 v37, v23
; %bb.34:                               ;   in Loop: Header=BB1714_20 Depth=1
	s_or_b64 exec, exec, s[26:27]
	s_waitcnt lgkmcnt(0)
	v_add_u32_e32 v7, v37, v7
	ds_bpermute_b32 v7, v21, v7
	s_add_i32 s34, s34, 8
	s_cmp_ge_u32 s34, s36
	s_mov_b64 s[26:27], -1
	v_readfirstlane_b32 s40, v0
	s_waitcnt lgkmcnt(0)
	v_cndmask_b32_e64 v7, v7, v37, s[18:19]
	v_cndmask_b32_e64 v38, v7, 0, s[20:21]
	v_add_u32_e32 v39, v38, v4
	v_add_u32_e32 v4, v39, v5
	v_add_u32_e32 v5, v4, v6
	ds_write2_b64 v9, v[38:39], v[4:5] offset0:2 offset1:3
	s_waitcnt lgkmcnt(0)
	s_barrier
	ds_read_b32 v4, v19 offset:16
	ds_read_b32 v5, v30 offset:16
	;; [unrolled: 1-line block ×4, first 2 shown]
	v_lshlrev_b32_e32 v6, 2, v18
	s_waitcnt lgkmcnt(3)
	v_lshl_add_u32 v6, v4, 2, v6
	v_lshlrev_b32_e32 v4, 2, v31
	v_lshlrev_b32_e32 v7, 2, v29
	s_waitcnt lgkmcnt(2)
	v_lshlrev_b32_e32 v5, 2, v5
	v_add3_u32 v7, v4, v7, v5
	v_lshlrev_b32_e32 v4, 2, v34
	v_lshlrev_b32_e32 v5, 2, v32
	s_waitcnt lgkmcnt(1)
	v_lshlrev_b32_e32 v18, 2, v19
	v_add3_u32 v29, v4, v5, v18
	;; [unrolled: 5-line block ×3, first 2 shown]
                                        ; implicit-def: $vgpr5
                                        ; implicit-def: $vgpr19
                                        ; implicit-def: $vgpr30_vgpr31_vgpr32_vgpr33
	s_cbranch_scc1 .LBB1714_19
; %bb.35:                               ;   in Loop: Header=BB1714_20 Depth=1
	s_barrier
	ds_write_b32 v6, v28
	ds_write_b32 v7, v27
	;; [unrolled: 1-line block ×4, first 2 shown]
	s_waitcnt lgkmcnt(0)
	s_barrier
	ds_read2st64_b32 v[18:19], v24 offset1:1
	ds_read2st64_b32 v[4:5], v24 offset0:2 offset1:3
	s_waitcnt lgkmcnt(0)
	s_barrier
	ds_write_b32 v6, v0
	ds_write_b32 v7, v1
	;; [unrolled: 1-line block ×4, first 2 shown]
	s_waitcnt lgkmcnt(0)
	s_barrier
	ds_read2st64_b32 v[30:31], v24 offset1:1
	ds_read2st64_b32 v[32:33], v24 offset0:2 offset1:3
	s_add_i32 s40, s35, -8
	s_mov_b64 s[26:27], 0
	s_waitcnt lgkmcnt(0)
	s_barrier
	s_branch .LBB1714_19
.LBB1714_36:
	v_add_u32_e32 v9, v9, v20
	s_barrier
	ds_write_b32 v6, v28
	ds_write_b32 v7, v27
	;; [unrolled: 1-line block ×4, first 2 shown]
	s_waitcnt lgkmcnt(0)
	s_barrier
	ds_read2st64_b32 v[4:5], v9 offset1:4
	ds_read2st64_b32 v[14:15], v9 offset0:8 offset1:12
	s_waitcnt lgkmcnt(0)
	s_barrier
	ds_write_b32 v6, v0
	ds_write_b32 v7, v1
	ds_write_b32 v29, v2
	ds_write_b32 v16, v3
	s_waitcnt lgkmcnt(0)
	s_barrier
	ds_read2st64_b32 v[2:3], v9 offset1:4
	ds_read2st64_b32 v[0:1], v9 offset0:8 offset1:12
	s_add_u32 s0, s38, s28
	s_addc_u32 s1, s39, s29
	v_mov_b32_e32 v9, 0
	v_xor_b32_e32 v12, 0x7fffffff, v4
	v_xor_b32_e32 v11, 0x7fffffff, v5
	;; [unrolled: 1-line block ×4, first 2 shown]
	s_andn2_b64 vcc, exec, s[30:31]
	v_lshl_add_u64 v[4:5], s[0:1], 0, v[8:9]
	s_cbranch_vccnz .LBB1714_38
; %bb.37:
	s_add_u32 s0, s42, s28
	s_addc_u32 s1, s43, s29
	global_store_dword v[4:5], v12, off
	global_store_dword v[4:5], v11, off offset:1024
	global_store_dword v[4:5], v7, off offset:2048
	;; [unrolled: 1-line block ×3, first 2 shown]
	s_waitcnt lgkmcnt(1)
	global_store_dword v8, v2, s[0:1]
	global_store_dword v8, v3, s[0:1] offset:1024
	s_waitcnt lgkmcnt(0)
	global_store_dword v8, v0, s[0:1] offset:2048
	s_mov_b64 s[4:5], -1
	s_cbranch_execz .LBB1714_39
	s_branch .LBB1714_52
.LBB1714_38:
	s_mov_b64 s[4:5], 0
.LBB1714_39:
	v_cmp_gt_u32_e32 vcc, s33, v10
	s_and_saveexec_b64 s[0:1], vcc
	s_cbranch_execz .LBB1714_41
; %bb.40:
	global_store_dword v[4:5], v12, off
.LBB1714_41:
	s_or_b64 exec, exec, s[0:1]
	v_add_u32_e32 v9, 0x100, v10
	v_cmp_gt_u32_e64 s[0:1], s33, v9
	s_and_saveexec_b64 s[2:3], s[0:1]
	s_cbranch_execz .LBB1714_43
; %bb.42:
	global_store_dword v[4:5], v11, off offset:1024
.LBB1714_43:
	s_or_b64 exec, exec, s[2:3]
	v_add_u32_e32 v9, 0x200, v10
	v_cmp_gt_u32_e64 s[2:3], s33, v9
	s_and_saveexec_b64 s[4:5], s[2:3]
	s_cbranch_execz .LBB1714_45
; %bb.44:
	global_store_dword v[4:5], v7, off offset:2048
.LBB1714_45:
	;; [unrolled: 8-line block ×3, first 2 shown]
	s_or_b64 exec, exec, s[6:7]
	s_add_u32 s6, s42, s28
	s_addc_u32 s7, s43, s29
	v_mov_b32_e32 v9, 0
	v_lshl_add_u64 v[4:5], s[6:7], 0, v[8:9]
	s_and_saveexec_b64 s[6:7], vcc
	s_cbranch_execnz .LBB1714_57
; %bb.48:
	s_or_b64 exec, exec, s[6:7]
	s_and_saveexec_b64 s[6:7], s[0:1]
	s_cbranch_execnz .LBB1714_58
.LBB1714_49:
	s_or_b64 exec, exec, s[6:7]
	s_and_saveexec_b64 s[0:1], s[2:3]
	s_cbranch_execz .LBB1714_51
.LBB1714_50:
	s_waitcnt lgkmcnt(0)
	global_store_dword v[4:5], v0, off offset:2048
.LBB1714_51:
	s_or_b64 exec, exec, s[0:1]
.LBB1714_52:
	s_and_saveexec_b64 s[0:1], s[4:5]
	s_cbranch_execnz .LBB1714_54
; %bb.53:
	s_endpgm
.LBB1714_54:
	s_add_u32 s0, s42, s28
	s_addc_u32 s1, s43, s29
	s_waitcnt lgkmcnt(0)
	global_store_dword v8, v1, s[0:1] offset:3072
	s_endpgm
.LBB1714_55:
	global_load_dword v30, v[14:15], off
	v_mov_b32_e32 v31, v13
	v_mov_b32_e32 v32, v13
	;; [unrolled: 1-line block ×3, first 2 shown]
	s_or_b64 exec, exec, s[8:9]
	s_and_saveexec_b64 s[8:9], s[2:3]
	s_cbranch_execz .LBB1714_13
.LBB1714_56:
	global_load_dword v31, v[14:15], off offset:256
	s_or_b64 exec, exec, s[8:9]
	s_and_saveexec_b64 s[2:3], s[4:5]
	s_cbranch_execnz .LBB1714_14
	s_branch .LBB1714_15
.LBB1714_57:
	s_waitcnt lgkmcnt(1)
	global_store_dword v[4:5], v2, off
	s_or_b64 exec, exec, s[6:7]
	s_and_saveexec_b64 s[6:7], s[0:1]
	s_cbranch_execz .LBB1714_49
.LBB1714_58:
	s_waitcnt lgkmcnt(1)
	global_store_dword v[4:5], v3, off offset:1024
	s_or_b64 exec, exec, s[6:7]
	s_and_saveexec_b64 s[0:1], s[2:3]
	s_cbranch_execnz .LBB1714_50
	s_branch .LBB1714_51
	.section	.rodata,"a",@progbits
	.p2align	6, 0x0
	.amdhsa_kernel _ZN7rocprim17ROCPRIM_400000_NS6detail17trampoline_kernelINS0_13kernel_configILj256ELj4ELj4294967295EEENS1_37radix_sort_block_sort_config_selectorIiiEEZNS1_21radix_sort_block_sortIS4_Lb1EN6thrust23THRUST_200600_302600_NS6detail15normal_iteratorINS9_10device_ptrIiEEEESE_SE_SE_NS0_19identity_decomposerEEE10hipError_tT1_T2_T3_T4_jRjT5_jjP12ihipStream_tbEUlT_E_NS1_11comp_targetILNS1_3genE0ELNS1_11target_archE4294967295ELNS1_3gpuE0ELNS1_3repE0EEENS1_44radix_sort_block_sort_config_static_selectorELNS0_4arch9wavefront6targetE1EEEvSH_
		.amdhsa_group_segment_fixed_size 4112
		.amdhsa_private_segment_fixed_size 0
		.amdhsa_kernarg_size 304
		.amdhsa_user_sgpr_count 2
		.amdhsa_user_sgpr_dispatch_ptr 0
		.amdhsa_user_sgpr_queue_ptr 0
		.amdhsa_user_sgpr_kernarg_segment_ptr 1
		.amdhsa_user_sgpr_dispatch_id 0
		.amdhsa_user_sgpr_kernarg_preload_length 0
		.amdhsa_user_sgpr_kernarg_preload_offset 0
		.amdhsa_user_sgpr_private_segment_size 0
		.amdhsa_uses_dynamic_stack 0
		.amdhsa_enable_private_segment 0
		.amdhsa_system_sgpr_workgroup_id_x 1
		.amdhsa_system_sgpr_workgroup_id_y 0
		.amdhsa_system_sgpr_workgroup_id_z 0
		.amdhsa_system_sgpr_workgroup_info 0
		.amdhsa_system_vgpr_workitem_id 2
		.amdhsa_next_free_vgpr 40
		.amdhsa_next_free_sgpr 46
		.amdhsa_accum_offset 40
		.amdhsa_reserve_vcc 1
		.amdhsa_float_round_mode_32 0
		.amdhsa_float_round_mode_16_64 0
		.amdhsa_float_denorm_mode_32 3
		.amdhsa_float_denorm_mode_16_64 3
		.amdhsa_dx10_clamp 1
		.amdhsa_ieee_mode 1
		.amdhsa_fp16_overflow 0
		.amdhsa_tg_split 0
		.amdhsa_exception_fp_ieee_invalid_op 0
		.amdhsa_exception_fp_denorm_src 0
		.amdhsa_exception_fp_ieee_div_zero 0
		.amdhsa_exception_fp_ieee_overflow 0
		.amdhsa_exception_fp_ieee_underflow 0
		.amdhsa_exception_fp_ieee_inexact 0
		.amdhsa_exception_int_div_zero 0
	.end_amdhsa_kernel
	.section	.text._ZN7rocprim17ROCPRIM_400000_NS6detail17trampoline_kernelINS0_13kernel_configILj256ELj4ELj4294967295EEENS1_37radix_sort_block_sort_config_selectorIiiEEZNS1_21radix_sort_block_sortIS4_Lb1EN6thrust23THRUST_200600_302600_NS6detail15normal_iteratorINS9_10device_ptrIiEEEESE_SE_SE_NS0_19identity_decomposerEEE10hipError_tT1_T2_T3_T4_jRjT5_jjP12ihipStream_tbEUlT_E_NS1_11comp_targetILNS1_3genE0ELNS1_11target_archE4294967295ELNS1_3gpuE0ELNS1_3repE0EEENS1_44radix_sort_block_sort_config_static_selectorELNS0_4arch9wavefront6targetE1EEEvSH_,"axG",@progbits,_ZN7rocprim17ROCPRIM_400000_NS6detail17trampoline_kernelINS0_13kernel_configILj256ELj4ELj4294967295EEENS1_37radix_sort_block_sort_config_selectorIiiEEZNS1_21radix_sort_block_sortIS4_Lb1EN6thrust23THRUST_200600_302600_NS6detail15normal_iteratorINS9_10device_ptrIiEEEESE_SE_SE_NS0_19identity_decomposerEEE10hipError_tT1_T2_T3_T4_jRjT5_jjP12ihipStream_tbEUlT_E_NS1_11comp_targetILNS1_3genE0ELNS1_11target_archE4294967295ELNS1_3gpuE0ELNS1_3repE0EEENS1_44radix_sort_block_sort_config_static_selectorELNS0_4arch9wavefront6targetE1EEEvSH_,comdat
.Lfunc_end1714:
	.size	_ZN7rocprim17ROCPRIM_400000_NS6detail17trampoline_kernelINS0_13kernel_configILj256ELj4ELj4294967295EEENS1_37radix_sort_block_sort_config_selectorIiiEEZNS1_21radix_sort_block_sortIS4_Lb1EN6thrust23THRUST_200600_302600_NS6detail15normal_iteratorINS9_10device_ptrIiEEEESE_SE_SE_NS0_19identity_decomposerEEE10hipError_tT1_T2_T3_T4_jRjT5_jjP12ihipStream_tbEUlT_E_NS1_11comp_targetILNS1_3genE0ELNS1_11target_archE4294967295ELNS1_3gpuE0ELNS1_3repE0EEENS1_44radix_sort_block_sort_config_static_selectorELNS0_4arch9wavefront6targetE1EEEvSH_, .Lfunc_end1714-_ZN7rocprim17ROCPRIM_400000_NS6detail17trampoline_kernelINS0_13kernel_configILj256ELj4ELj4294967295EEENS1_37radix_sort_block_sort_config_selectorIiiEEZNS1_21radix_sort_block_sortIS4_Lb1EN6thrust23THRUST_200600_302600_NS6detail15normal_iteratorINS9_10device_ptrIiEEEESE_SE_SE_NS0_19identity_decomposerEEE10hipError_tT1_T2_T3_T4_jRjT5_jjP12ihipStream_tbEUlT_E_NS1_11comp_targetILNS1_3genE0ELNS1_11target_archE4294967295ELNS1_3gpuE0ELNS1_3repE0EEENS1_44radix_sort_block_sort_config_static_selectorELNS0_4arch9wavefront6targetE1EEEvSH_
                                        ; -- End function
	.set _ZN7rocprim17ROCPRIM_400000_NS6detail17trampoline_kernelINS0_13kernel_configILj256ELj4ELj4294967295EEENS1_37radix_sort_block_sort_config_selectorIiiEEZNS1_21radix_sort_block_sortIS4_Lb1EN6thrust23THRUST_200600_302600_NS6detail15normal_iteratorINS9_10device_ptrIiEEEESE_SE_SE_NS0_19identity_decomposerEEE10hipError_tT1_T2_T3_T4_jRjT5_jjP12ihipStream_tbEUlT_E_NS1_11comp_targetILNS1_3genE0ELNS1_11target_archE4294967295ELNS1_3gpuE0ELNS1_3repE0EEENS1_44radix_sort_block_sort_config_static_selectorELNS0_4arch9wavefront6targetE1EEEvSH_.num_vgpr, 40
	.set _ZN7rocprim17ROCPRIM_400000_NS6detail17trampoline_kernelINS0_13kernel_configILj256ELj4ELj4294967295EEENS1_37radix_sort_block_sort_config_selectorIiiEEZNS1_21radix_sort_block_sortIS4_Lb1EN6thrust23THRUST_200600_302600_NS6detail15normal_iteratorINS9_10device_ptrIiEEEESE_SE_SE_NS0_19identity_decomposerEEE10hipError_tT1_T2_T3_T4_jRjT5_jjP12ihipStream_tbEUlT_E_NS1_11comp_targetILNS1_3genE0ELNS1_11target_archE4294967295ELNS1_3gpuE0ELNS1_3repE0EEENS1_44radix_sort_block_sort_config_static_selectorELNS0_4arch9wavefront6targetE1EEEvSH_.num_agpr, 0
	.set _ZN7rocprim17ROCPRIM_400000_NS6detail17trampoline_kernelINS0_13kernel_configILj256ELj4ELj4294967295EEENS1_37radix_sort_block_sort_config_selectorIiiEEZNS1_21radix_sort_block_sortIS4_Lb1EN6thrust23THRUST_200600_302600_NS6detail15normal_iteratorINS9_10device_ptrIiEEEESE_SE_SE_NS0_19identity_decomposerEEE10hipError_tT1_T2_T3_T4_jRjT5_jjP12ihipStream_tbEUlT_E_NS1_11comp_targetILNS1_3genE0ELNS1_11target_archE4294967295ELNS1_3gpuE0ELNS1_3repE0EEENS1_44radix_sort_block_sort_config_static_selectorELNS0_4arch9wavefront6targetE1EEEvSH_.numbered_sgpr, 46
	.set _ZN7rocprim17ROCPRIM_400000_NS6detail17trampoline_kernelINS0_13kernel_configILj256ELj4ELj4294967295EEENS1_37radix_sort_block_sort_config_selectorIiiEEZNS1_21radix_sort_block_sortIS4_Lb1EN6thrust23THRUST_200600_302600_NS6detail15normal_iteratorINS9_10device_ptrIiEEEESE_SE_SE_NS0_19identity_decomposerEEE10hipError_tT1_T2_T3_T4_jRjT5_jjP12ihipStream_tbEUlT_E_NS1_11comp_targetILNS1_3genE0ELNS1_11target_archE4294967295ELNS1_3gpuE0ELNS1_3repE0EEENS1_44radix_sort_block_sort_config_static_selectorELNS0_4arch9wavefront6targetE1EEEvSH_.num_named_barrier, 0
	.set _ZN7rocprim17ROCPRIM_400000_NS6detail17trampoline_kernelINS0_13kernel_configILj256ELj4ELj4294967295EEENS1_37radix_sort_block_sort_config_selectorIiiEEZNS1_21radix_sort_block_sortIS4_Lb1EN6thrust23THRUST_200600_302600_NS6detail15normal_iteratorINS9_10device_ptrIiEEEESE_SE_SE_NS0_19identity_decomposerEEE10hipError_tT1_T2_T3_T4_jRjT5_jjP12ihipStream_tbEUlT_E_NS1_11comp_targetILNS1_3genE0ELNS1_11target_archE4294967295ELNS1_3gpuE0ELNS1_3repE0EEENS1_44radix_sort_block_sort_config_static_selectorELNS0_4arch9wavefront6targetE1EEEvSH_.private_seg_size, 0
	.set _ZN7rocprim17ROCPRIM_400000_NS6detail17trampoline_kernelINS0_13kernel_configILj256ELj4ELj4294967295EEENS1_37radix_sort_block_sort_config_selectorIiiEEZNS1_21radix_sort_block_sortIS4_Lb1EN6thrust23THRUST_200600_302600_NS6detail15normal_iteratorINS9_10device_ptrIiEEEESE_SE_SE_NS0_19identity_decomposerEEE10hipError_tT1_T2_T3_T4_jRjT5_jjP12ihipStream_tbEUlT_E_NS1_11comp_targetILNS1_3genE0ELNS1_11target_archE4294967295ELNS1_3gpuE0ELNS1_3repE0EEENS1_44radix_sort_block_sort_config_static_selectorELNS0_4arch9wavefront6targetE1EEEvSH_.uses_vcc, 1
	.set _ZN7rocprim17ROCPRIM_400000_NS6detail17trampoline_kernelINS0_13kernel_configILj256ELj4ELj4294967295EEENS1_37radix_sort_block_sort_config_selectorIiiEEZNS1_21radix_sort_block_sortIS4_Lb1EN6thrust23THRUST_200600_302600_NS6detail15normal_iteratorINS9_10device_ptrIiEEEESE_SE_SE_NS0_19identity_decomposerEEE10hipError_tT1_T2_T3_T4_jRjT5_jjP12ihipStream_tbEUlT_E_NS1_11comp_targetILNS1_3genE0ELNS1_11target_archE4294967295ELNS1_3gpuE0ELNS1_3repE0EEENS1_44radix_sort_block_sort_config_static_selectorELNS0_4arch9wavefront6targetE1EEEvSH_.uses_flat_scratch, 0
	.set _ZN7rocprim17ROCPRIM_400000_NS6detail17trampoline_kernelINS0_13kernel_configILj256ELj4ELj4294967295EEENS1_37radix_sort_block_sort_config_selectorIiiEEZNS1_21radix_sort_block_sortIS4_Lb1EN6thrust23THRUST_200600_302600_NS6detail15normal_iteratorINS9_10device_ptrIiEEEESE_SE_SE_NS0_19identity_decomposerEEE10hipError_tT1_T2_T3_T4_jRjT5_jjP12ihipStream_tbEUlT_E_NS1_11comp_targetILNS1_3genE0ELNS1_11target_archE4294967295ELNS1_3gpuE0ELNS1_3repE0EEENS1_44radix_sort_block_sort_config_static_selectorELNS0_4arch9wavefront6targetE1EEEvSH_.has_dyn_sized_stack, 0
	.set _ZN7rocprim17ROCPRIM_400000_NS6detail17trampoline_kernelINS0_13kernel_configILj256ELj4ELj4294967295EEENS1_37radix_sort_block_sort_config_selectorIiiEEZNS1_21radix_sort_block_sortIS4_Lb1EN6thrust23THRUST_200600_302600_NS6detail15normal_iteratorINS9_10device_ptrIiEEEESE_SE_SE_NS0_19identity_decomposerEEE10hipError_tT1_T2_T3_T4_jRjT5_jjP12ihipStream_tbEUlT_E_NS1_11comp_targetILNS1_3genE0ELNS1_11target_archE4294967295ELNS1_3gpuE0ELNS1_3repE0EEENS1_44radix_sort_block_sort_config_static_selectorELNS0_4arch9wavefront6targetE1EEEvSH_.has_recursion, 0
	.set _ZN7rocprim17ROCPRIM_400000_NS6detail17trampoline_kernelINS0_13kernel_configILj256ELj4ELj4294967295EEENS1_37radix_sort_block_sort_config_selectorIiiEEZNS1_21radix_sort_block_sortIS4_Lb1EN6thrust23THRUST_200600_302600_NS6detail15normal_iteratorINS9_10device_ptrIiEEEESE_SE_SE_NS0_19identity_decomposerEEE10hipError_tT1_T2_T3_T4_jRjT5_jjP12ihipStream_tbEUlT_E_NS1_11comp_targetILNS1_3genE0ELNS1_11target_archE4294967295ELNS1_3gpuE0ELNS1_3repE0EEENS1_44radix_sort_block_sort_config_static_selectorELNS0_4arch9wavefront6targetE1EEEvSH_.has_indirect_call, 0
	.section	.AMDGPU.csdata,"",@progbits
; Kernel info:
; codeLenInByte = 3840
; TotalNumSgprs: 52
; NumVgprs: 40
; NumAgprs: 0
; TotalNumVgprs: 40
; ScratchSize: 0
; MemoryBound: 0
; FloatMode: 240
; IeeeMode: 1
; LDSByteSize: 4112 bytes/workgroup (compile time only)
; SGPRBlocks: 6
; VGPRBlocks: 4
; NumSGPRsForWavesPerEU: 52
; NumVGPRsForWavesPerEU: 40
; AccumOffset: 40
; Occupancy: 8
; WaveLimiterHint : 1
; COMPUTE_PGM_RSRC2:SCRATCH_EN: 0
; COMPUTE_PGM_RSRC2:USER_SGPR: 2
; COMPUTE_PGM_RSRC2:TRAP_HANDLER: 0
; COMPUTE_PGM_RSRC2:TGID_X_EN: 1
; COMPUTE_PGM_RSRC2:TGID_Y_EN: 0
; COMPUTE_PGM_RSRC2:TGID_Z_EN: 0
; COMPUTE_PGM_RSRC2:TIDIG_COMP_CNT: 2
; COMPUTE_PGM_RSRC3_GFX90A:ACCUM_OFFSET: 9
; COMPUTE_PGM_RSRC3_GFX90A:TG_SPLIT: 0
	.section	.text._ZN7rocprim17ROCPRIM_400000_NS6detail17trampoline_kernelINS0_13kernel_configILj256ELj4ELj4294967295EEENS1_37radix_sort_block_sort_config_selectorIiiEEZNS1_21radix_sort_block_sortIS4_Lb1EN6thrust23THRUST_200600_302600_NS6detail15normal_iteratorINS9_10device_ptrIiEEEESE_SE_SE_NS0_19identity_decomposerEEE10hipError_tT1_T2_T3_T4_jRjT5_jjP12ihipStream_tbEUlT_E_NS1_11comp_targetILNS1_3genE5ELNS1_11target_archE942ELNS1_3gpuE9ELNS1_3repE0EEENS1_44radix_sort_block_sort_config_static_selectorELNS0_4arch9wavefront6targetE1EEEvSH_,"axG",@progbits,_ZN7rocprim17ROCPRIM_400000_NS6detail17trampoline_kernelINS0_13kernel_configILj256ELj4ELj4294967295EEENS1_37radix_sort_block_sort_config_selectorIiiEEZNS1_21radix_sort_block_sortIS4_Lb1EN6thrust23THRUST_200600_302600_NS6detail15normal_iteratorINS9_10device_ptrIiEEEESE_SE_SE_NS0_19identity_decomposerEEE10hipError_tT1_T2_T3_T4_jRjT5_jjP12ihipStream_tbEUlT_E_NS1_11comp_targetILNS1_3genE5ELNS1_11target_archE942ELNS1_3gpuE9ELNS1_3repE0EEENS1_44radix_sort_block_sort_config_static_selectorELNS0_4arch9wavefront6targetE1EEEvSH_,comdat
	.protected	_ZN7rocprim17ROCPRIM_400000_NS6detail17trampoline_kernelINS0_13kernel_configILj256ELj4ELj4294967295EEENS1_37radix_sort_block_sort_config_selectorIiiEEZNS1_21radix_sort_block_sortIS4_Lb1EN6thrust23THRUST_200600_302600_NS6detail15normal_iteratorINS9_10device_ptrIiEEEESE_SE_SE_NS0_19identity_decomposerEEE10hipError_tT1_T2_T3_T4_jRjT5_jjP12ihipStream_tbEUlT_E_NS1_11comp_targetILNS1_3genE5ELNS1_11target_archE942ELNS1_3gpuE9ELNS1_3repE0EEENS1_44radix_sort_block_sort_config_static_selectorELNS0_4arch9wavefront6targetE1EEEvSH_ ; -- Begin function _ZN7rocprim17ROCPRIM_400000_NS6detail17trampoline_kernelINS0_13kernel_configILj256ELj4ELj4294967295EEENS1_37radix_sort_block_sort_config_selectorIiiEEZNS1_21radix_sort_block_sortIS4_Lb1EN6thrust23THRUST_200600_302600_NS6detail15normal_iteratorINS9_10device_ptrIiEEEESE_SE_SE_NS0_19identity_decomposerEEE10hipError_tT1_T2_T3_T4_jRjT5_jjP12ihipStream_tbEUlT_E_NS1_11comp_targetILNS1_3genE5ELNS1_11target_archE942ELNS1_3gpuE9ELNS1_3repE0EEENS1_44radix_sort_block_sort_config_static_selectorELNS0_4arch9wavefront6targetE1EEEvSH_
	.globl	_ZN7rocprim17ROCPRIM_400000_NS6detail17trampoline_kernelINS0_13kernel_configILj256ELj4ELj4294967295EEENS1_37radix_sort_block_sort_config_selectorIiiEEZNS1_21radix_sort_block_sortIS4_Lb1EN6thrust23THRUST_200600_302600_NS6detail15normal_iteratorINS9_10device_ptrIiEEEESE_SE_SE_NS0_19identity_decomposerEEE10hipError_tT1_T2_T3_T4_jRjT5_jjP12ihipStream_tbEUlT_E_NS1_11comp_targetILNS1_3genE5ELNS1_11target_archE942ELNS1_3gpuE9ELNS1_3repE0EEENS1_44radix_sort_block_sort_config_static_selectorELNS0_4arch9wavefront6targetE1EEEvSH_
	.p2align	8
	.type	_ZN7rocprim17ROCPRIM_400000_NS6detail17trampoline_kernelINS0_13kernel_configILj256ELj4ELj4294967295EEENS1_37radix_sort_block_sort_config_selectorIiiEEZNS1_21radix_sort_block_sortIS4_Lb1EN6thrust23THRUST_200600_302600_NS6detail15normal_iteratorINS9_10device_ptrIiEEEESE_SE_SE_NS0_19identity_decomposerEEE10hipError_tT1_T2_T3_T4_jRjT5_jjP12ihipStream_tbEUlT_E_NS1_11comp_targetILNS1_3genE5ELNS1_11target_archE942ELNS1_3gpuE9ELNS1_3repE0EEENS1_44radix_sort_block_sort_config_static_selectorELNS0_4arch9wavefront6targetE1EEEvSH_,@function
_ZN7rocprim17ROCPRIM_400000_NS6detail17trampoline_kernelINS0_13kernel_configILj256ELj4ELj4294967295EEENS1_37radix_sort_block_sort_config_selectorIiiEEZNS1_21radix_sort_block_sortIS4_Lb1EN6thrust23THRUST_200600_302600_NS6detail15normal_iteratorINS9_10device_ptrIiEEEESE_SE_SE_NS0_19identity_decomposerEEE10hipError_tT1_T2_T3_T4_jRjT5_jjP12ihipStream_tbEUlT_E_NS1_11comp_targetILNS1_3genE5ELNS1_11target_archE942ELNS1_3gpuE9ELNS1_3repE0EEENS1_44radix_sort_block_sort_config_static_selectorELNS0_4arch9wavefront6targetE1EEEvSH_: ; @_ZN7rocprim17ROCPRIM_400000_NS6detail17trampoline_kernelINS0_13kernel_configILj256ELj4ELj4294967295EEENS1_37radix_sort_block_sort_config_selectorIiiEEZNS1_21radix_sort_block_sortIS4_Lb1EN6thrust23THRUST_200600_302600_NS6detail15normal_iteratorINS9_10device_ptrIiEEEESE_SE_SE_NS0_19identity_decomposerEEE10hipError_tT1_T2_T3_T4_jRjT5_jjP12ihipStream_tbEUlT_E_NS1_11comp_targetILNS1_3genE5ELNS1_11target_archE942ELNS1_3gpuE9ELNS1_3repE0EEENS1_44radix_sort_block_sort_config_static_selectorELNS0_4arch9wavefront6targetE1EEEvSH_
; %bb.0:
	.section	.rodata,"a",@progbits
	.p2align	6, 0x0
	.amdhsa_kernel _ZN7rocprim17ROCPRIM_400000_NS6detail17trampoline_kernelINS0_13kernel_configILj256ELj4ELj4294967295EEENS1_37radix_sort_block_sort_config_selectorIiiEEZNS1_21radix_sort_block_sortIS4_Lb1EN6thrust23THRUST_200600_302600_NS6detail15normal_iteratorINS9_10device_ptrIiEEEESE_SE_SE_NS0_19identity_decomposerEEE10hipError_tT1_T2_T3_T4_jRjT5_jjP12ihipStream_tbEUlT_E_NS1_11comp_targetILNS1_3genE5ELNS1_11target_archE942ELNS1_3gpuE9ELNS1_3repE0EEENS1_44radix_sort_block_sort_config_static_selectorELNS0_4arch9wavefront6targetE1EEEvSH_
		.amdhsa_group_segment_fixed_size 0
		.amdhsa_private_segment_fixed_size 0
		.amdhsa_kernarg_size 48
		.amdhsa_user_sgpr_count 2
		.amdhsa_user_sgpr_dispatch_ptr 0
		.amdhsa_user_sgpr_queue_ptr 0
		.amdhsa_user_sgpr_kernarg_segment_ptr 1
		.amdhsa_user_sgpr_dispatch_id 0
		.amdhsa_user_sgpr_kernarg_preload_length 0
		.amdhsa_user_sgpr_kernarg_preload_offset 0
		.amdhsa_user_sgpr_private_segment_size 0
		.amdhsa_uses_dynamic_stack 0
		.amdhsa_enable_private_segment 0
		.amdhsa_system_sgpr_workgroup_id_x 1
		.amdhsa_system_sgpr_workgroup_id_y 0
		.amdhsa_system_sgpr_workgroup_id_z 0
		.amdhsa_system_sgpr_workgroup_info 0
		.amdhsa_system_vgpr_workitem_id 0
		.amdhsa_next_free_vgpr 1
		.amdhsa_next_free_sgpr 0
		.amdhsa_accum_offset 4
		.amdhsa_reserve_vcc 0
		.amdhsa_float_round_mode_32 0
		.amdhsa_float_round_mode_16_64 0
		.amdhsa_float_denorm_mode_32 3
		.amdhsa_float_denorm_mode_16_64 3
		.amdhsa_dx10_clamp 1
		.amdhsa_ieee_mode 1
		.amdhsa_fp16_overflow 0
		.amdhsa_tg_split 0
		.amdhsa_exception_fp_ieee_invalid_op 0
		.amdhsa_exception_fp_denorm_src 0
		.amdhsa_exception_fp_ieee_div_zero 0
		.amdhsa_exception_fp_ieee_overflow 0
		.amdhsa_exception_fp_ieee_underflow 0
		.amdhsa_exception_fp_ieee_inexact 0
		.amdhsa_exception_int_div_zero 0
	.end_amdhsa_kernel
	.section	.text._ZN7rocprim17ROCPRIM_400000_NS6detail17trampoline_kernelINS0_13kernel_configILj256ELj4ELj4294967295EEENS1_37radix_sort_block_sort_config_selectorIiiEEZNS1_21radix_sort_block_sortIS4_Lb1EN6thrust23THRUST_200600_302600_NS6detail15normal_iteratorINS9_10device_ptrIiEEEESE_SE_SE_NS0_19identity_decomposerEEE10hipError_tT1_T2_T3_T4_jRjT5_jjP12ihipStream_tbEUlT_E_NS1_11comp_targetILNS1_3genE5ELNS1_11target_archE942ELNS1_3gpuE9ELNS1_3repE0EEENS1_44radix_sort_block_sort_config_static_selectorELNS0_4arch9wavefront6targetE1EEEvSH_,"axG",@progbits,_ZN7rocprim17ROCPRIM_400000_NS6detail17trampoline_kernelINS0_13kernel_configILj256ELj4ELj4294967295EEENS1_37radix_sort_block_sort_config_selectorIiiEEZNS1_21radix_sort_block_sortIS4_Lb1EN6thrust23THRUST_200600_302600_NS6detail15normal_iteratorINS9_10device_ptrIiEEEESE_SE_SE_NS0_19identity_decomposerEEE10hipError_tT1_T2_T3_T4_jRjT5_jjP12ihipStream_tbEUlT_E_NS1_11comp_targetILNS1_3genE5ELNS1_11target_archE942ELNS1_3gpuE9ELNS1_3repE0EEENS1_44radix_sort_block_sort_config_static_selectorELNS0_4arch9wavefront6targetE1EEEvSH_,comdat
.Lfunc_end1715:
	.size	_ZN7rocprim17ROCPRIM_400000_NS6detail17trampoline_kernelINS0_13kernel_configILj256ELj4ELj4294967295EEENS1_37radix_sort_block_sort_config_selectorIiiEEZNS1_21radix_sort_block_sortIS4_Lb1EN6thrust23THRUST_200600_302600_NS6detail15normal_iteratorINS9_10device_ptrIiEEEESE_SE_SE_NS0_19identity_decomposerEEE10hipError_tT1_T2_T3_T4_jRjT5_jjP12ihipStream_tbEUlT_E_NS1_11comp_targetILNS1_3genE5ELNS1_11target_archE942ELNS1_3gpuE9ELNS1_3repE0EEENS1_44radix_sort_block_sort_config_static_selectorELNS0_4arch9wavefront6targetE1EEEvSH_, .Lfunc_end1715-_ZN7rocprim17ROCPRIM_400000_NS6detail17trampoline_kernelINS0_13kernel_configILj256ELj4ELj4294967295EEENS1_37radix_sort_block_sort_config_selectorIiiEEZNS1_21radix_sort_block_sortIS4_Lb1EN6thrust23THRUST_200600_302600_NS6detail15normal_iteratorINS9_10device_ptrIiEEEESE_SE_SE_NS0_19identity_decomposerEEE10hipError_tT1_T2_T3_T4_jRjT5_jjP12ihipStream_tbEUlT_E_NS1_11comp_targetILNS1_3genE5ELNS1_11target_archE942ELNS1_3gpuE9ELNS1_3repE0EEENS1_44radix_sort_block_sort_config_static_selectorELNS0_4arch9wavefront6targetE1EEEvSH_
                                        ; -- End function
	.set _ZN7rocprim17ROCPRIM_400000_NS6detail17trampoline_kernelINS0_13kernel_configILj256ELj4ELj4294967295EEENS1_37radix_sort_block_sort_config_selectorIiiEEZNS1_21radix_sort_block_sortIS4_Lb1EN6thrust23THRUST_200600_302600_NS6detail15normal_iteratorINS9_10device_ptrIiEEEESE_SE_SE_NS0_19identity_decomposerEEE10hipError_tT1_T2_T3_T4_jRjT5_jjP12ihipStream_tbEUlT_E_NS1_11comp_targetILNS1_3genE5ELNS1_11target_archE942ELNS1_3gpuE9ELNS1_3repE0EEENS1_44radix_sort_block_sort_config_static_selectorELNS0_4arch9wavefront6targetE1EEEvSH_.num_vgpr, 0
	.set _ZN7rocprim17ROCPRIM_400000_NS6detail17trampoline_kernelINS0_13kernel_configILj256ELj4ELj4294967295EEENS1_37radix_sort_block_sort_config_selectorIiiEEZNS1_21radix_sort_block_sortIS4_Lb1EN6thrust23THRUST_200600_302600_NS6detail15normal_iteratorINS9_10device_ptrIiEEEESE_SE_SE_NS0_19identity_decomposerEEE10hipError_tT1_T2_T3_T4_jRjT5_jjP12ihipStream_tbEUlT_E_NS1_11comp_targetILNS1_3genE5ELNS1_11target_archE942ELNS1_3gpuE9ELNS1_3repE0EEENS1_44radix_sort_block_sort_config_static_selectorELNS0_4arch9wavefront6targetE1EEEvSH_.num_agpr, 0
	.set _ZN7rocprim17ROCPRIM_400000_NS6detail17trampoline_kernelINS0_13kernel_configILj256ELj4ELj4294967295EEENS1_37radix_sort_block_sort_config_selectorIiiEEZNS1_21radix_sort_block_sortIS4_Lb1EN6thrust23THRUST_200600_302600_NS6detail15normal_iteratorINS9_10device_ptrIiEEEESE_SE_SE_NS0_19identity_decomposerEEE10hipError_tT1_T2_T3_T4_jRjT5_jjP12ihipStream_tbEUlT_E_NS1_11comp_targetILNS1_3genE5ELNS1_11target_archE942ELNS1_3gpuE9ELNS1_3repE0EEENS1_44radix_sort_block_sort_config_static_selectorELNS0_4arch9wavefront6targetE1EEEvSH_.numbered_sgpr, 0
	.set _ZN7rocprim17ROCPRIM_400000_NS6detail17trampoline_kernelINS0_13kernel_configILj256ELj4ELj4294967295EEENS1_37radix_sort_block_sort_config_selectorIiiEEZNS1_21radix_sort_block_sortIS4_Lb1EN6thrust23THRUST_200600_302600_NS6detail15normal_iteratorINS9_10device_ptrIiEEEESE_SE_SE_NS0_19identity_decomposerEEE10hipError_tT1_T2_T3_T4_jRjT5_jjP12ihipStream_tbEUlT_E_NS1_11comp_targetILNS1_3genE5ELNS1_11target_archE942ELNS1_3gpuE9ELNS1_3repE0EEENS1_44radix_sort_block_sort_config_static_selectorELNS0_4arch9wavefront6targetE1EEEvSH_.num_named_barrier, 0
	.set _ZN7rocprim17ROCPRIM_400000_NS6detail17trampoline_kernelINS0_13kernel_configILj256ELj4ELj4294967295EEENS1_37radix_sort_block_sort_config_selectorIiiEEZNS1_21radix_sort_block_sortIS4_Lb1EN6thrust23THRUST_200600_302600_NS6detail15normal_iteratorINS9_10device_ptrIiEEEESE_SE_SE_NS0_19identity_decomposerEEE10hipError_tT1_T2_T3_T4_jRjT5_jjP12ihipStream_tbEUlT_E_NS1_11comp_targetILNS1_3genE5ELNS1_11target_archE942ELNS1_3gpuE9ELNS1_3repE0EEENS1_44radix_sort_block_sort_config_static_selectorELNS0_4arch9wavefront6targetE1EEEvSH_.private_seg_size, 0
	.set _ZN7rocprim17ROCPRIM_400000_NS6detail17trampoline_kernelINS0_13kernel_configILj256ELj4ELj4294967295EEENS1_37radix_sort_block_sort_config_selectorIiiEEZNS1_21radix_sort_block_sortIS4_Lb1EN6thrust23THRUST_200600_302600_NS6detail15normal_iteratorINS9_10device_ptrIiEEEESE_SE_SE_NS0_19identity_decomposerEEE10hipError_tT1_T2_T3_T4_jRjT5_jjP12ihipStream_tbEUlT_E_NS1_11comp_targetILNS1_3genE5ELNS1_11target_archE942ELNS1_3gpuE9ELNS1_3repE0EEENS1_44radix_sort_block_sort_config_static_selectorELNS0_4arch9wavefront6targetE1EEEvSH_.uses_vcc, 0
	.set _ZN7rocprim17ROCPRIM_400000_NS6detail17trampoline_kernelINS0_13kernel_configILj256ELj4ELj4294967295EEENS1_37radix_sort_block_sort_config_selectorIiiEEZNS1_21radix_sort_block_sortIS4_Lb1EN6thrust23THRUST_200600_302600_NS6detail15normal_iteratorINS9_10device_ptrIiEEEESE_SE_SE_NS0_19identity_decomposerEEE10hipError_tT1_T2_T3_T4_jRjT5_jjP12ihipStream_tbEUlT_E_NS1_11comp_targetILNS1_3genE5ELNS1_11target_archE942ELNS1_3gpuE9ELNS1_3repE0EEENS1_44radix_sort_block_sort_config_static_selectorELNS0_4arch9wavefront6targetE1EEEvSH_.uses_flat_scratch, 0
	.set _ZN7rocprim17ROCPRIM_400000_NS6detail17trampoline_kernelINS0_13kernel_configILj256ELj4ELj4294967295EEENS1_37radix_sort_block_sort_config_selectorIiiEEZNS1_21radix_sort_block_sortIS4_Lb1EN6thrust23THRUST_200600_302600_NS6detail15normal_iteratorINS9_10device_ptrIiEEEESE_SE_SE_NS0_19identity_decomposerEEE10hipError_tT1_T2_T3_T4_jRjT5_jjP12ihipStream_tbEUlT_E_NS1_11comp_targetILNS1_3genE5ELNS1_11target_archE942ELNS1_3gpuE9ELNS1_3repE0EEENS1_44radix_sort_block_sort_config_static_selectorELNS0_4arch9wavefront6targetE1EEEvSH_.has_dyn_sized_stack, 0
	.set _ZN7rocprim17ROCPRIM_400000_NS6detail17trampoline_kernelINS0_13kernel_configILj256ELj4ELj4294967295EEENS1_37radix_sort_block_sort_config_selectorIiiEEZNS1_21radix_sort_block_sortIS4_Lb1EN6thrust23THRUST_200600_302600_NS6detail15normal_iteratorINS9_10device_ptrIiEEEESE_SE_SE_NS0_19identity_decomposerEEE10hipError_tT1_T2_T3_T4_jRjT5_jjP12ihipStream_tbEUlT_E_NS1_11comp_targetILNS1_3genE5ELNS1_11target_archE942ELNS1_3gpuE9ELNS1_3repE0EEENS1_44radix_sort_block_sort_config_static_selectorELNS0_4arch9wavefront6targetE1EEEvSH_.has_recursion, 0
	.set _ZN7rocprim17ROCPRIM_400000_NS6detail17trampoline_kernelINS0_13kernel_configILj256ELj4ELj4294967295EEENS1_37radix_sort_block_sort_config_selectorIiiEEZNS1_21radix_sort_block_sortIS4_Lb1EN6thrust23THRUST_200600_302600_NS6detail15normal_iteratorINS9_10device_ptrIiEEEESE_SE_SE_NS0_19identity_decomposerEEE10hipError_tT1_T2_T3_T4_jRjT5_jjP12ihipStream_tbEUlT_E_NS1_11comp_targetILNS1_3genE5ELNS1_11target_archE942ELNS1_3gpuE9ELNS1_3repE0EEENS1_44radix_sort_block_sort_config_static_selectorELNS0_4arch9wavefront6targetE1EEEvSH_.has_indirect_call, 0
	.section	.AMDGPU.csdata,"",@progbits
; Kernel info:
; codeLenInByte = 0
; TotalNumSgprs: 6
; NumVgprs: 0
; NumAgprs: 0
; TotalNumVgprs: 0
; ScratchSize: 0
; MemoryBound: 0
; FloatMode: 240
; IeeeMode: 1
; LDSByteSize: 0 bytes/workgroup (compile time only)
; SGPRBlocks: 0
; VGPRBlocks: 0
; NumSGPRsForWavesPerEU: 6
; NumVGPRsForWavesPerEU: 1
; AccumOffset: 4
; Occupancy: 8
; WaveLimiterHint : 0
; COMPUTE_PGM_RSRC2:SCRATCH_EN: 0
; COMPUTE_PGM_RSRC2:USER_SGPR: 2
; COMPUTE_PGM_RSRC2:TRAP_HANDLER: 0
; COMPUTE_PGM_RSRC2:TGID_X_EN: 1
; COMPUTE_PGM_RSRC2:TGID_Y_EN: 0
; COMPUTE_PGM_RSRC2:TGID_Z_EN: 0
; COMPUTE_PGM_RSRC2:TIDIG_COMP_CNT: 0
; COMPUTE_PGM_RSRC3_GFX90A:ACCUM_OFFSET: 0
; COMPUTE_PGM_RSRC3_GFX90A:TG_SPLIT: 0
	.section	.text._ZN7rocprim17ROCPRIM_400000_NS6detail17trampoline_kernelINS0_13kernel_configILj256ELj4ELj4294967295EEENS1_37radix_sort_block_sort_config_selectorIiiEEZNS1_21radix_sort_block_sortIS4_Lb1EN6thrust23THRUST_200600_302600_NS6detail15normal_iteratorINS9_10device_ptrIiEEEESE_SE_SE_NS0_19identity_decomposerEEE10hipError_tT1_T2_T3_T4_jRjT5_jjP12ihipStream_tbEUlT_E_NS1_11comp_targetILNS1_3genE4ELNS1_11target_archE910ELNS1_3gpuE8ELNS1_3repE0EEENS1_44radix_sort_block_sort_config_static_selectorELNS0_4arch9wavefront6targetE1EEEvSH_,"axG",@progbits,_ZN7rocprim17ROCPRIM_400000_NS6detail17trampoline_kernelINS0_13kernel_configILj256ELj4ELj4294967295EEENS1_37radix_sort_block_sort_config_selectorIiiEEZNS1_21radix_sort_block_sortIS4_Lb1EN6thrust23THRUST_200600_302600_NS6detail15normal_iteratorINS9_10device_ptrIiEEEESE_SE_SE_NS0_19identity_decomposerEEE10hipError_tT1_T2_T3_T4_jRjT5_jjP12ihipStream_tbEUlT_E_NS1_11comp_targetILNS1_3genE4ELNS1_11target_archE910ELNS1_3gpuE8ELNS1_3repE0EEENS1_44radix_sort_block_sort_config_static_selectorELNS0_4arch9wavefront6targetE1EEEvSH_,comdat
	.protected	_ZN7rocprim17ROCPRIM_400000_NS6detail17trampoline_kernelINS0_13kernel_configILj256ELj4ELj4294967295EEENS1_37radix_sort_block_sort_config_selectorIiiEEZNS1_21radix_sort_block_sortIS4_Lb1EN6thrust23THRUST_200600_302600_NS6detail15normal_iteratorINS9_10device_ptrIiEEEESE_SE_SE_NS0_19identity_decomposerEEE10hipError_tT1_T2_T3_T4_jRjT5_jjP12ihipStream_tbEUlT_E_NS1_11comp_targetILNS1_3genE4ELNS1_11target_archE910ELNS1_3gpuE8ELNS1_3repE0EEENS1_44radix_sort_block_sort_config_static_selectorELNS0_4arch9wavefront6targetE1EEEvSH_ ; -- Begin function _ZN7rocprim17ROCPRIM_400000_NS6detail17trampoline_kernelINS0_13kernel_configILj256ELj4ELj4294967295EEENS1_37radix_sort_block_sort_config_selectorIiiEEZNS1_21radix_sort_block_sortIS4_Lb1EN6thrust23THRUST_200600_302600_NS6detail15normal_iteratorINS9_10device_ptrIiEEEESE_SE_SE_NS0_19identity_decomposerEEE10hipError_tT1_T2_T3_T4_jRjT5_jjP12ihipStream_tbEUlT_E_NS1_11comp_targetILNS1_3genE4ELNS1_11target_archE910ELNS1_3gpuE8ELNS1_3repE0EEENS1_44radix_sort_block_sort_config_static_selectorELNS0_4arch9wavefront6targetE1EEEvSH_
	.globl	_ZN7rocprim17ROCPRIM_400000_NS6detail17trampoline_kernelINS0_13kernel_configILj256ELj4ELj4294967295EEENS1_37radix_sort_block_sort_config_selectorIiiEEZNS1_21radix_sort_block_sortIS4_Lb1EN6thrust23THRUST_200600_302600_NS6detail15normal_iteratorINS9_10device_ptrIiEEEESE_SE_SE_NS0_19identity_decomposerEEE10hipError_tT1_T2_T3_T4_jRjT5_jjP12ihipStream_tbEUlT_E_NS1_11comp_targetILNS1_3genE4ELNS1_11target_archE910ELNS1_3gpuE8ELNS1_3repE0EEENS1_44radix_sort_block_sort_config_static_selectorELNS0_4arch9wavefront6targetE1EEEvSH_
	.p2align	8
	.type	_ZN7rocprim17ROCPRIM_400000_NS6detail17trampoline_kernelINS0_13kernel_configILj256ELj4ELj4294967295EEENS1_37radix_sort_block_sort_config_selectorIiiEEZNS1_21radix_sort_block_sortIS4_Lb1EN6thrust23THRUST_200600_302600_NS6detail15normal_iteratorINS9_10device_ptrIiEEEESE_SE_SE_NS0_19identity_decomposerEEE10hipError_tT1_T2_T3_T4_jRjT5_jjP12ihipStream_tbEUlT_E_NS1_11comp_targetILNS1_3genE4ELNS1_11target_archE910ELNS1_3gpuE8ELNS1_3repE0EEENS1_44radix_sort_block_sort_config_static_selectorELNS0_4arch9wavefront6targetE1EEEvSH_,@function
_ZN7rocprim17ROCPRIM_400000_NS6detail17trampoline_kernelINS0_13kernel_configILj256ELj4ELj4294967295EEENS1_37radix_sort_block_sort_config_selectorIiiEEZNS1_21radix_sort_block_sortIS4_Lb1EN6thrust23THRUST_200600_302600_NS6detail15normal_iteratorINS9_10device_ptrIiEEEESE_SE_SE_NS0_19identity_decomposerEEE10hipError_tT1_T2_T3_T4_jRjT5_jjP12ihipStream_tbEUlT_E_NS1_11comp_targetILNS1_3genE4ELNS1_11target_archE910ELNS1_3gpuE8ELNS1_3repE0EEENS1_44radix_sort_block_sort_config_static_selectorELNS0_4arch9wavefront6targetE1EEEvSH_: ; @_ZN7rocprim17ROCPRIM_400000_NS6detail17trampoline_kernelINS0_13kernel_configILj256ELj4ELj4294967295EEENS1_37radix_sort_block_sort_config_selectorIiiEEZNS1_21radix_sort_block_sortIS4_Lb1EN6thrust23THRUST_200600_302600_NS6detail15normal_iteratorINS9_10device_ptrIiEEEESE_SE_SE_NS0_19identity_decomposerEEE10hipError_tT1_T2_T3_T4_jRjT5_jjP12ihipStream_tbEUlT_E_NS1_11comp_targetILNS1_3genE4ELNS1_11target_archE910ELNS1_3gpuE8ELNS1_3repE0EEENS1_44radix_sort_block_sort_config_static_selectorELNS0_4arch9wavefront6targetE1EEEvSH_
; %bb.0:
	.section	.rodata,"a",@progbits
	.p2align	6, 0x0
	.amdhsa_kernel _ZN7rocprim17ROCPRIM_400000_NS6detail17trampoline_kernelINS0_13kernel_configILj256ELj4ELj4294967295EEENS1_37radix_sort_block_sort_config_selectorIiiEEZNS1_21radix_sort_block_sortIS4_Lb1EN6thrust23THRUST_200600_302600_NS6detail15normal_iteratorINS9_10device_ptrIiEEEESE_SE_SE_NS0_19identity_decomposerEEE10hipError_tT1_T2_T3_T4_jRjT5_jjP12ihipStream_tbEUlT_E_NS1_11comp_targetILNS1_3genE4ELNS1_11target_archE910ELNS1_3gpuE8ELNS1_3repE0EEENS1_44radix_sort_block_sort_config_static_selectorELNS0_4arch9wavefront6targetE1EEEvSH_
		.amdhsa_group_segment_fixed_size 0
		.amdhsa_private_segment_fixed_size 0
		.amdhsa_kernarg_size 48
		.amdhsa_user_sgpr_count 2
		.amdhsa_user_sgpr_dispatch_ptr 0
		.amdhsa_user_sgpr_queue_ptr 0
		.amdhsa_user_sgpr_kernarg_segment_ptr 1
		.amdhsa_user_sgpr_dispatch_id 0
		.amdhsa_user_sgpr_kernarg_preload_length 0
		.amdhsa_user_sgpr_kernarg_preload_offset 0
		.amdhsa_user_sgpr_private_segment_size 0
		.amdhsa_uses_dynamic_stack 0
		.amdhsa_enable_private_segment 0
		.amdhsa_system_sgpr_workgroup_id_x 1
		.amdhsa_system_sgpr_workgroup_id_y 0
		.amdhsa_system_sgpr_workgroup_id_z 0
		.amdhsa_system_sgpr_workgroup_info 0
		.amdhsa_system_vgpr_workitem_id 0
		.amdhsa_next_free_vgpr 1
		.amdhsa_next_free_sgpr 0
		.amdhsa_accum_offset 4
		.amdhsa_reserve_vcc 0
		.amdhsa_float_round_mode_32 0
		.amdhsa_float_round_mode_16_64 0
		.amdhsa_float_denorm_mode_32 3
		.amdhsa_float_denorm_mode_16_64 3
		.amdhsa_dx10_clamp 1
		.amdhsa_ieee_mode 1
		.amdhsa_fp16_overflow 0
		.amdhsa_tg_split 0
		.amdhsa_exception_fp_ieee_invalid_op 0
		.amdhsa_exception_fp_denorm_src 0
		.amdhsa_exception_fp_ieee_div_zero 0
		.amdhsa_exception_fp_ieee_overflow 0
		.amdhsa_exception_fp_ieee_underflow 0
		.amdhsa_exception_fp_ieee_inexact 0
		.amdhsa_exception_int_div_zero 0
	.end_amdhsa_kernel
	.section	.text._ZN7rocprim17ROCPRIM_400000_NS6detail17trampoline_kernelINS0_13kernel_configILj256ELj4ELj4294967295EEENS1_37radix_sort_block_sort_config_selectorIiiEEZNS1_21radix_sort_block_sortIS4_Lb1EN6thrust23THRUST_200600_302600_NS6detail15normal_iteratorINS9_10device_ptrIiEEEESE_SE_SE_NS0_19identity_decomposerEEE10hipError_tT1_T2_T3_T4_jRjT5_jjP12ihipStream_tbEUlT_E_NS1_11comp_targetILNS1_3genE4ELNS1_11target_archE910ELNS1_3gpuE8ELNS1_3repE0EEENS1_44radix_sort_block_sort_config_static_selectorELNS0_4arch9wavefront6targetE1EEEvSH_,"axG",@progbits,_ZN7rocprim17ROCPRIM_400000_NS6detail17trampoline_kernelINS0_13kernel_configILj256ELj4ELj4294967295EEENS1_37radix_sort_block_sort_config_selectorIiiEEZNS1_21radix_sort_block_sortIS4_Lb1EN6thrust23THRUST_200600_302600_NS6detail15normal_iteratorINS9_10device_ptrIiEEEESE_SE_SE_NS0_19identity_decomposerEEE10hipError_tT1_T2_T3_T4_jRjT5_jjP12ihipStream_tbEUlT_E_NS1_11comp_targetILNS1_3genE4ELNS1_11target_archE910ELNS1_3gpuE8ELNS1_3repE0EEENS1_44radix_sort_block_sort_config_static_selectorELNS0_4arch9wavefront6targetE1EEEvSH_,comdat
.Lfunc_end1716:
	.size	_ZN7rocprim17ROCPRIM_400000_NS6detail17trampoline_kernelINS0_13kernel_configILj256ELj4ELj4294967295EEENS1_37radix_sort_block_sort_config_selectorIiiEEZNS1_21radix_sort_block_sortIS4_Lb1EN6thrust23THRUST_200600_302600_NS6detail15normal_iteratorINS9_10device_ptrIiEEEESE_SE_SE_NS0_19identity_decomposerEEE10hipError_tT1_T2_T3_T4_jRjT5_jjP12ihipStream_tbEUlT_E_NS1_11comp_targetILNS1_3genE4ELNS1_11target_archE910ELNS1_3gpuE8ELNS1_3repE0EEENS1_44radix_sort_block_sort_config_static_selectorELNS0_4arch9wavefront6targetE1EEEvSH_, .Lfunc_end1716-_ZN7rocprim17ROCPRIM_400000_NS6detail17trampoline_kernelINS0_13kernel_configILj256ELj4ELj4294967295EEENS1_37radix_sort_block_sort_config_selectorIiiEEZNS1_21radix_sort_block_sortIS4_Lb1EN6thrust23THRUST_200600_302600_NS6detail15normal_iteratorINS9_10device_ptrIiEEEESE_SE_SE_NS0_19identity_decomposerEEE10hipError_tT1_T2_T3_T4_jRjT5_jjP12ihipStream_tbEUlT_E_NS1_11comp_targetILNS1_3genE4ELNS1_11target_archE910ELNS1_3gpuE8ELNS1_3repE0EEENS1_44radix_sort_block_sort_config_static_selectorELNS0_4arch9wavefront6targetE1EEEvSH_
                                        ; -- End function
	.set _ZN7rocprim17ROCPRIM_400000_NS6detail17trampoline_kernelINS0_13kernel_configILj256ELj4ELj4294967295EEENS1_37radix_sort_block_sort_config_selectorIiiEEZNS1_21radix_sort_block_sortIS4_Lb1EN6thrust23THRUST_200600_302600_NS6detail15normal_iteratorINS9_10device_ptrIiEEEESE_SE_SE_NS0_19identity_decomposerEEE10hipError_tT1_T2_T3_T4_jRjT5_jjP12ihipStream_tbEUlT_E_NS1_11comp_targetILNS1_3genE4ELNS1_11target_archE910ELNS1_3gpuE8ELNS1_3repE0EEENS1_44radix_sort_block_sort_config_static_selectorELNS0_4arch9wavefront6targetE1EEEvSH_.num_vgpr, 0
	.set _ZN7rocprim17ROCPRIM_400000_NS6detail17trampoline_kernelINS0_13kernel_configILj256ELj4ELj4294967295EEENS1_37radix_sort_block_sort_config_selectorIiiEEZNS1_21radix_sort_block_sortIS4_Lb1EN6thrust23THRUST_200600_302600_NS6detail15normal_iteratorINS9_10device_ptrIiEEEESE_SE_SE_NS0_19identity_decomposerEEE10hipError_tT1_T2_T3_T4_jRjT5_jjP12ihipStream_tbEUlT_E_NS1_11comp_targetILNS1_3genE4ELNS1_11target_archE910ELNS1_3gpuE8ELNS1_3repE0EEENS1_44radix_sort_block_sort_config_static_selectorELNS0_4arch9wavefront6targetE1EEEvSH_.num_agpr, 0
	.set _ZN7rocprim17ROCPRIM_400000_NS6detail17trampoline_kernelINS0_13kernel_configILj256ELj4ELj4294967295EEENS1_37radix_sort_block_sort_config_selectorIiiEEZNS1_21radix_sort_block_sortIS4_Lb1EN6thrust23THRUST_200600_302600_NS6detail15normal_iteratorINS9_10device_ptrIiEEEESE_SE_SE_NS0_19identity_decomposerEEE10hipError_tT1_T2_T3_T4_jRjT5_jjP12ihipStream_tbEUlT_E_NS1_11comp_targetILNS1_3genE4ELNS1_11target_archE910ELNS1_3gpuE8ELNS1_3repE0EEENS1_44radix_sort_block_sort_config_static_selectorELNS0_4arch9wavefront6targetE1EEEvSH_.numbered_sgpr, 0
	.set _ZN7rocprim17ROCPRIM_400000_NS6detail17trampoline_kernelINS0_13kernel_configILj256ELj4ELj4294967295EEENS1_37radix_sort_block_sort_config_selectorIiiEEZNS1_21radix_sort_block_sortIS4_Lb1EN6thrust23THRUST_200600_302600_NS6detail15normal_iteratorINS9_10device_ptrIiEEEESE_SE_SE_NS0_19identity_decomposerEEE10hipError_tT1_T2_T3_T4_jRjT5_jjP12ihipStream_tbEUlT_E_NS1_11comp_targetILNS1_3genE4ELNS1_11target_archE910ELNS1_3gpuE8ELNS1_3repE0EEENS1_44radix_sort_block_sort_config_static_selectorELNS0_4arch9wavefront6targetE1EEEvSH_.num_named_barrier, 0
	.set _ZN7rocprim17ROCPRIM_400000_NS6detail17trampoline_kernelINS0_13kernel_configILj256ELj4ELj4294967295EEENS1_37radix_sort_block_sort_config_selectorIiiEEZNS1_21radix_sort_block_sortIS4_Lb1EN6thrust23THRUST_200600_302600_NS6detail15normal_iteratorINS9_10device_ptrIiEEEESE_SE_SE_NS0_19identity_decomposerEEE10hipError_tT1_T2_T3_T4_jRjT5_jjP12ihipStream_tbEUlT_E_NS1_11comp_targetILNS1_3genE4ELNS1_11target_archE910ELNS1_3gpuE8ELNS1_3repE0EEENS1_44radix_sort_block_sort_config_static_selectorELNS0_4arch9wavefront6targetE1EEEvSH_.private_seg_size, 0
	.set _ZN7rocprim17ROCPRIM_400000_NS6detail17trampoline_kernelINS0_13kernel_configILj256ELj4ELj4294967295EEENS1_37radix_sort_block_sort_config_selectorIiiEEZNS1_21radix_sort_block_sortIS4_Lb1EN6thrust23THRUST_200600_302600_NS6detail15normal_iteratorINS9_10device_ptrIiEEEESE_SE_SE_NS0_19identity_decomposerEEE10hipError_tT1_T2_T3_T4_jRjT5_jjP12ihipStream_tbEUlT_E_NS1_11comp_targetILNS1_3genE4ELNS1_11target_archE910ELNS1_3gpuE8ELNS1_3repE0EEENS1_44radix_sort_block_sort_config_static_selectorELNS0_4arch9wavefront6targetE1EEEvSH_.uses_vcc, 0
	.set _ZN7rocprim17ROCPRIM_400000_NS6detail17trampoline_kernelINS0_13kernel_configILj256ELj4ELj4294967295EEENS1_37radix_sort_block_sort_config_selectorIiiEEZNS1_21radix_sort_block_sortIS4_Lb1EN6thrust23THRUST_200600_302600_NS6detail15normal_iteratorINS9_10device_ptrIiEEEESE_SE_SE_NS0_19identity_decomposerEEE10hipError_tT1_T2_T3_T4_jRjT5_jjP12ihipStream_tbEUlT_E_NS1_11comp_targetILNS1_3genE4ELNS1_11target_archE910ELNS1_3gpuE8ELNS1_3repE0EEENS1_44radix_sort_block_sort_config_static_selectorELNS0_4arch9wavefront6targetE1EEEvSH_.uses_flat_scratch, 0
	.set _ZN7rocprim17ROCPRIM_400000_NS6detail17trampoline_kernelINS0_13kernel_configILj256ELj4ELj4294967295EEENS1_37radix_sort_block_sort_config_selectorIiiEEZNS1_21radix_sort_block_sortIS4_Lb1EN6thrust23THRUST_200600_302600_NS6detail15normal_iteratorINS9_10device_ptrIiEEEESE_SE_SE_NS0_19identity_decomposerEEE10hipError_tT1_T2_T3_T4_jRjT5_jjP12ihipStream_tbEUlT_E_NS1_11comp_targetILNS1_3genE4ELNS1_11target_archE910ELNS1_3gpuE8ELNS1_3repE0EEENS1_44radix_sort_block_sort_config_static_selectorELNS0_4arch9wavefront6targetE1EEEvSH_.has_dyn_sized_stack, 0
	.set _ZN7rocprim17ROCPRIM_400000_NS6detail17trampoline_kernelINS0_13kernel_configILj256ELj4ELj4294967295EEENS1_37radix_sort_block_sort_config_selectorIiiEEZNS1_21radix_sort_block_sortIS4_Lb1EN6thrust23THRUST_200600_302600_NS6detail15normal_iteratorINS9_10device_ptrIiEEEESE_SE_SE_NS0_19identity_decomposerEEE10hipError_tT1_T2_T3_T4_jRjT5_jjP12ihipStream_tbEUlT_E_NS1_11comp_targetILNS1_3genE4ELNS1_11target_archE910ELNS1_3gpuE8ELNS1_3repE0EEENS1_44radix_sort_block_sort_config_static_selectorELNS0_4arch9wavefront6targetE1EEEvSH_.has_recursion, 0
	.set _ZN7rocprim17ROCPRIM_400000_NS6detail17trampoline_kernelINS0_13kernel_configILj256ELj4ELj4294967295EEENS1_37radix_sort_block_sort_config_selectorIiiEEZNS1_21radix_sort_block_sortIS4_Lb1EN6thrust23THRUST_200600_302600_NS6detail15normal_iteratorINS9_10device_ptrIiEEEESE_SE_SE_NS0_19identity_decomposerEEE10hipError_tT1_T2_T3_T4_jRjT5_jjP12ihipStream_tbEUlT_E_NS1_11comp_targetILNS1_3genE4ELNS1_11target_archE910ELNS1_3gpuE8ELNS1_3repE0EEENS1_44radix_sort_block_sort_config_static_selectorELNS0_4arch9wavefront6targetE1EEEvSH_.has_indirect_call, 0
	.section	.AMDGPU.csdata,"",@progbits
; Kernel info:
; codeLenInByte = 0
; TotalNumSgprs: 6
; NumVgprs: 0
; NumAgprs: 0
; TotalNumVgprs: 0
; ScratchSize: 0
; MemoryBound: 0
; FloatMode: 240
; IeeeMode: 1
; LDSByteSize: 0 bytes/workgroup (compile time only)
; SGPRBlocks: 0
; VGPRBlocks: 0
; NumSGPRsForWavesPerEU: 6
; NumVGPRsForWavesPerEU: 1
; AccumOffset: 4
; Occupancy: 8
; WaveLimiterHint : 0
; COMPUTE_PGM_RSRC2:SCRATCH_EN: 0
; COMPUTE_PGM_RSRC2:USER_SGPR: 2
; COMPUTE_PGM_RSRC2:TRAP_HANDLER: 0
; COMPUTE_PGM_RSRC2:TGID_X_EN: 1
; COMPUTE_PGM_RSRC2:TGID_Y_EN: 0
; COMPUTE_PGM_RSRC2:TGID_Z_EN: 0
; COMPUTE_PGM_RSRC2:TIDIG_COMP_CNT: 0
; COMPUTE_PGM_RSRC3_GFX90A:ACCUM_OFFSET: 0
; COMPUTE_PGM_RSRC3_GFX90A:TG_SPLIT: 0
	.section	.text._ZN7rocprim17ROCPRIM_400000_NS6detail17trampoline_kernelINS0_13kernel_configILj256ELj4ELj4294967295EEENS1_37radix_sort_block_sort_config_selectorIiiEEZNS1_21radix_sort_block_sortIS4_Lb1EN6thrust23THRUST_200600_302600_NS6detail15normal_iteratorINS9_10device_ptrIiEEEESE_SE_SE_NS0_19identity_decomposerEEE10hipError_tT1_T2_T3_T4_jRjT5_jjP12ihipStream_tbEUlT_E_NS1_11comp_targetILNS1_3genE3ELNS1_11target_archE908ELNS1_3gpuE7ELNS1_3repE0EEENS1_44radix_sort_block_sort_config_static_selectorELNS0_4arch9wavefront6targetE1EEEvSH_,"axG",@progbits,_ZN7rocprim17ROCPRIM_400000_NS6detail17trampoline_kernelINS0_13kernel_configILj256ELj4ELj4294967295EEENS1_37radix_sort_block_sort_config_selectorIiiEEZNS1_21radix_sort_block_sortIS4_Lb1EN6thrust23THRUST_200600_302600_NS6detail15normal_iteratorINS9_10device_ptrIiEEEESE_SE_SE_NS0_19identity_decomposerEEE10hipError_tT1_T2_T3_T4_jRjT5_jjP12ihipStream_tbEUlT_E_NS1_11comp_targetILNS1_3genE3ELNS1_11target_archE908ELNS1_3gpuE7ELNS1_3repE0EEENS1_44radix_sort_block_sort_config_static_selectorELNS0_4arch9wavefront6targetE1EEEvSH_,comdat
	.protected	_ZN7rocprim17ROCPRIM_400000_NS6detail17trampoline_kernelINS0_13kernel_configILj256ELj4ELj4294967295EEENS1_37radix_sort_block_sort_config_selectorIiiEEZNS1_21radix_sort_block_sortIS4_Lb1EN6thrust23THRUST_200600_302600_NS6detail15normal_iteratorINS9_10device_ptrIiEEEESE_SE_SE_NS0_19identity_decomposerEEE10hipError_tT1_T2_T3_T4_jRjT5_jjP12ihipStream_tbEUlT_E_NS1_11comp_targetILNS1_3genE3ELNS1_11target_archE908ELNS1_3gpuE7ELNS1_3repE0EEENS1_44radix_sort_block_sort_config_static_selectorELNS0_4arch9wavefront6targetE1EEEvSH_ ; -- Begin function _ZN7rocprim17ROCPRIM_400000_NS6detail17trampoline_kernelINS0_13kernel_configILj256ELj4ELj4294967295EEENS1_37radix_sort_block_sort_config_selectorIiiEEZNS1_21radix_sort_block_sortIS4_Lb1EN6thrust23THRUST_200600_302600_NS6detail15normal_iteratorINS9_10device_ptrIiEEEESE_SE_SE_NS0_19identity_decomposerEEE10hipError_tT1_T2_T3_T4_jRjT5_jjP12ihipStream_tbEUlT_E_NS1_11comp_targetILNS1_3genE3ELNS1_11target_archE908ELNS1_3gpuE7ELNS1_3repE0EEENS1_44radix_sort_block_sort_config_static_selectorELNS0_4arch9wavefront6targetE1EEEvSH_
	.globl	_ZN7rocprim17ROCPRIM_400000_NS6detail17trampoline_kernelINS0_13kernel_configILj256ELj4ELj4294967295EEENS1_37radix_sort_block_sort_config_selectorIiiEEZNS1_21radix_sort_block_sortIS4_Lb1EN6thrust23THRUST_200600_302600_NS6detail15normal_iteratorINS9_10device_ptrIiEEEESE_SE_SE_NS0_19identity_decomposerEEE10hipError_tT1_T2_T3_T4_jRjT5_jjP12ihipStream_tbEUlT_E_NS1_11comp_targetILNS1_3genE3ELNS1_11target_archE908ELNS1_3gpuE7ELNS1_3repE0EEENS1_44radix_sort_block_sort_config_static_selectorELNS0_4arch9wavefront6targetE1EEEvSH_
	.p2align	8
	.type	_ZN7rocprim17ROCPRIM_400000_NS6detail17trampoline_kernelINS0_13kernel_configILj256ELj4ELj4294967295EEENS1_37radix_sort_block_sort_config_selectorIiiEEZNS1_21radix_sort_block_sortIS4_Lb1EN6thrust23THRUST_200600_302600_NS6detail15normal_iteratorINS9_10device_ptrIiEEEESE_SE_SE_NS0_19identity_decomposerEEE10hipError_tT1_T2_T3_T4_jRjT5_jjP12ihipStream_tbEUlT_E_NS1_11comp_targetILNS1_3genE3ELNS1_11target_archE908ELNS1_3gpuE7ELNS1_3repE0EEENS1_44radix_sort_block_sort_config_static_selectorELNS0_4arch9wavefront6targetE1EEEvSH_,@function
_ZN7rocprim17ROCPRIM_400000_NS6detail17trampoline_kernelINS0_13kernel_configILj256ELj4ELj4294967295EEENS1_37radix_sort_block_sort_config_selectorIiiEEZNS1_21radix_sort_block_sortIS4_Lb1EN6thrust23THRUST_200600_302600_NS6detail15normal_iteratorINS9_10device_ptrIiEEEESE_SE_SE_NS0_19identity_decomposerEEE10hipError_tT1_T2_T3_T4_jRjT5_jjP12ihipStream_tbEUlT_E_NS1_11comp_targetILNS1_3genE3ELNS1_11target_archE908ELNS1_3gpuE7ELNS1_3repE0EEENS1_44radix_sort_block_sort_config_static_selectorELNS0_4arch9wavefront6targetE1EEEvSH_: ; @_ZN7rocprim17ROCPRIM_400000_NS6detail17trampoline_kernelINS0_13kernel_configILj256ELj4ELj4294967295EEENS1_37radix_sort_block_sort_config_selectorIiiEEZNS1_21radix_sort_block_sortIS4_Lb1EN6thrust23THRUST_200600_302600_NS6detail15normal_iteratorINS9_10device_ptrIiEEEESE_SE_SE_NS0_19identity_decomposerEEE10hipError_tT1_T2_T3_T4_jRjT5_jjP12ihipStream_tbEUlT_E_NS1_11comp_targetILNS1_3genE3ELNS1_11target_archE908ELNS1_3gpuE7ELNS1_3repE0EEENS1_44radix_sort_block_sort_config_static_selectorELNS0_4arch9wavefront6targetE1EEEvSH_
; %bb.0:
	.section	.rodata,"a",@progbits
	.p2align	6, 0x0
	.amdhsa_kernel _ZN7rocprim17ROCPRIM_400000_NS6detail17trampoline_kernelINS0_13kernel_configILj256ELj4ELj4294967295EEENS1_37radix_sort_block_sort_config_selectorIiiEEZNS1_21radix_sort_block_sortIS4_Lb1EN6thrust23THRUST_200600_302600_NS6detail15normal_iteratorINS9_10device_ptrIiEEEESE_SE_SE_NS0_19identity_decomposerEEE10hipError_tT1_T2_T3_T4_jRjT5_jjP12ihipStream_tbEUlT_E_NS1_11comp_targetILNS1_3genE3ELNS1_11target_archE908ELNS1_3gpuE7ELNS1_3repE0EEENS1_44radix_sort_block_sort_config_static_selectorELNS0_4arch9wavefront6targetE1EEEvSH_
		.amdhsa_group_segment_fixed_size 0
		.amdhsa_private_segment_fixed_size 0
		.amdhsa_kernarg_size 48
		.amdhsa_user_sgpr_count 2
		.amdhsa_user_sgpr_dispatch_ptr 0
		.amdhsa_user_sgpr_queue_ptr 0
		.amdhsa_user_sgpr_kernarg_segment_ptr 1
		.amdhsa_user_sgpr_dispatch_id 0
		.amdhsa_user_sgpr_kernarg_preload_length 0
		.amdhsa_user_sgpr_kernarg_preload_offset 0
		.amdhsa_user_sgpr_private_segment_size 0
		.amdhsa_uses_dynamic_stack 0
		.amdhsa_enable_private_segment 0
		.amdhsa_system_sgpr_workgroup_id_x 1
		.amdhsa_system_sgpr_workgroup_id_y 0
		.amdhsa_system_sgpr_workgroup_id_z 0
		.amdhsa_system_sgpr_workgroup_info 0
		.amdhsa_system_vgpr_workitem_id 0
		.amdhsa_next_free_vgpr 1
		.amdhsa_next_free_sgpr 0
		.amdhsa_accum_offset 4
		.amdhsa_reserve_vcc 0
		.amdhsa_float_round_mode_32 0
		.amdhsa_float_round_mode_16_64 0
		.amdhsa_float_denorm_mode_32 3
		.amdhsa_float_denorm_mode_16_64 3
		.amdhsa_dx10_clamp 1
		.amdhsa_ieee_mode 1
		.amdhsa_fp16_overflow 0
		.amdhsa_tg_split 0
		.amdhsa_exception_fp_ieee_invalid_op 0
		.amdhsa_exception_fp_denorm_src 0
		.amdhsa_exception_fp_ieee_div_zero 0
		.amdhsa_exception_fp_ieee_overflow 0
		.amdhsa_exception_fp_ieee_underflow 0
		.amdhsa_exception_fp_ieee_inexact 0
		.amdhsa_exception_int_div_zero 0
	.end_amdhsa_kernel
	.section	.text._ZN7rocprim17ROCPRIM_400000_NS6detail17trampoline_kernelINS0_13kernel_configILj256ELj4ELj4294967295EEENS1_37radix_sort_block_sort_config_selectorIiiEEZNS1_21radix_sort_block_sortIS4_Lb1EN6thrust23THRUST_200600_302600_NS6detail15normal_iteratorINS9_10device_ptrIiEEEESE_SE_SE_NS0_19identity_decomposerEEE10hipError_tT1_T2_T3_T4_jRjT5_jjP12ihipStream_tbEUlT_E_NS1_11comp_targetILNS1_3genE3ELNS1_11target_archE908ELNS1_3gpuE7ELNS1_3repE0EEENS1_44radix_sort_block_sort_config_static_selectorELNS0_4arch9wavefront6targetE1EEEvSH_,"axG",@progbits,_ZN7rocprim17ROCPRIM_400000_NS6detail17trampoline_kernelINS0_13kernel_configILj256ELj4ELj4294967295EEENS1_37radix_sort_block_sort_config_selectorIiiEEZNS1_21radix_sort_block_sortIS4_Lb1EN6thrust23THRUST_200600_302600_NS6detail15normal_iteratorINS9_10device_ptrIiEEEESE_SE_SE_NS0_19identity_decomposerEEE10hipError_tT1_T2_T3_T4_jRjT5_jjP12ihipStream_tbEUlT_E_NS1_11comp_targetILNS1_3genE3ELNS1_11target_archE908ELNS1_3gpuE7ELNS1_3repE0EEENS1_44radix_sort_block_sort_config_static_selectorELNS0_4arch9wavefront6targetE1EEEvSH_,comdat
.Lfunc_end1717:
	.size	_ZN7rocprim17ROCPRIM_400000_NS6detail17trampoline_kernelINS0_13kernel_configILj256ELj4ELj4294967295EEENS1_37radix_sort_block_sort_config_selectorIiiEEZNS1_21radix_sort_block_sortIS4_Lb1EN6thrust23THRUST_200600_302600_NS6detail15normal_iteratorINS9_10device_ptrIiEEEESE_SE_SE_NS0_19identity_decomposerEEE10hipError_tT1_T2_T3_T4_jRjT5_jjP12ihipStream_tbEUlT_E_NS1_11comp_targetILNS1_3genE3ELNS1_11target_archE908ELNS1_3gpuE7ELNS1_3repE0EEENS1_44radix_sort_block_sort_config_static_selectorELNS0_4arch9wavefront6targetE1EEEvSH_, .Lfunc_end1717-_ZN7rocprim17ROCPRIM_400000_NS6detail17trampoline_kernelINS0_13kernel_configILj256ELj4ELj4294967295EEENS1_37radix_sort_block_sort_config_selectorIiiEEZNS1_21radix_sort_block_sortIS4_Lb1EN6thrust23THRUST_200600_302600_NS6detail15normal_iteratorINS9_10device_ptrIiEEEESE_SE_SE_NS0_19identity_decomposerEEE10hipError_tT1_T2_T3_T4_jRjT5_jjP12ihipStream_tbEUlT_E_NS1_11comp_targetILNS1_3genE3ELNS1_11target_archE908ELNS1_3gpuE7ELNS1_3repE0EEENS1_44radix_sort_block_sort_config_static_selectorELNS0_4arch9wavefront6targetE1EEEvSH_
                                        ; -- End function
	.set _ZN7rocprim17ROCPRIM_400000_NS6detail17trampoline_kernelINS0_13kernel_configILj256ELj4ELj4294967295EEENS1_37radix_sort_block_sort_config_selectorIiiEEZNS1_21radix_sort_block_sortIS4_Lb1EN6thrust23THRUST_200600_302600_NS6detail15normal_iteratorINS9_10device_ptrIiEEEESE_SE_SE_NS0_19identity_decomposerEEE10hipError_tT1_T2_T3_T4_jRjT5_jjP12ihipStream_tbEUlT_E_NS1_11comp_targetILNS1_3genE3ELNS1_11target_archE908ELNS1_3gpuE7ELNS1_3repE0EEENS1_44radix_sort_block_sort_config_static_selectorELNS0_4arch9wavefront6targetE1EEEvSH_.num_vgpr, 0
	.set _ZN7rocprim17ROCPRIM_400000_NS6detail17trampoline_kernelINS0_13kernel_configILj256ELj4ELj4294967295EEENS1_37radix_sort_block_sort_config_selectorIiiEEZNS1_21radix_sort_block_sortIS4_Lb1EN6thrust23THRUST_200600_302600_NS6detail15normal_iteratorINS9_10device_ptrIiEEEESE_SE_SE_NS0_19identity_decomposerEEE10hipError_tT1_T2_T3_T4_jRjT5_jjP12ihipStream_tbEUlT_E_NS1_11comp_targetILNS1_3genE3ELNS1_11target_archE908ELNS1_3gpuE7ELNS1_3repE0EEENS1_44radix_sort_block_sort_config_static_selectorELNS0_4arch9wavefront6targetE1EEEvSH_.num_agpr, 0
	.set _ZN7rocprim17ROCPRIM_400000_NS6detail17trampoline_kernelINS0_13kernel_configILj256ELj4ELj4294967295EEENS1_37radix_sort_block_sort_config_selectorIiiEEZNS1_21radix_sort_block_sortIS4_Lb1EN6thrust23THRUST_200600_302600_NS6detail15normal_iteratorINS9_10device_ptrIiEEEESE_SE_SE_NS0_19identity_decomposerEEE10hipError_tT1_T2_T3_T4_jRjT5_jjP12ihipStream_tbEUlT_E_NS1_11comp_targetILNS1_3genE3ELNS1_11target_archE908ELNS1_3gpuE7ELNS1_3repE0EEENS1_44radix_sort_block_sort_config_static_selectorELNS0_4arch9wavefront6targetE1EEEvSH_.numbered_sgpr, 0
	.set _ZN7rocprim17ROCPRIM_400000_NS6detail17trampoline_kernelINS0_13kernel_configILj256ELj4ELj4294967295EEENS1_37radix_sort_block_sort_config_selectorIiiEEZNS1_21radix_sort_block_sortIS4_Lb1EN6thrust23THRUST_200600_302600_NS6detail15normal_iteratorINS9_10device_ptrIiEEEESE_SE_SE_NS0_19identity_decomposerEEE10hipError_tT1_T2_T3_T4_jRjT5_jjP12ihipStream_tbEUlT_E_NS1_11comp_targetILNS1_3genE3ELNS1_11target_archE908ELNS1_3gpuE7ELNS1_3repE0EEENS1_44radix_sort_block_sort_config_static_selectorELNS0_4arch9wavefront6targetE1EEEvSH_.num_named_barrier, 0
	.set _ZN7rocprim17ROCPRIM_400000_NS6detail17trampoline_kernelINS0_13kernel_configILj256ELj4ELj4294967295EEENS1_37radix_sort_block_sort_config_selectorIiiEEZNS1_21radix_sort_block_sortIS4_Lb1EN6thrust23THRUST_200600_302600_NS6detail15normal_iteratorINS9_10device_ptrIiEEEESE_SE_SE_NS0_19identity_decomposerEEE10hipError_tT1_T2_T3_T4_jRjT5_jjP12ihipStream_tbEUlT_E_NS1_11comp_targetILNS1_3genE3ELNS1_11target_archE908ELNS1_3gpuE7ELNS1_3repE0EEENS1_44radix_sort_block_sort_config_static_selectorELNS0_4arch9wavefront6targetE1EEEvSH_.private_seg_size, 0
	.set _ZN7rocprim17ROCPRIM_400000_NS6detail17trampoline_kernelINS0_13kernel_configILj256ELj4ELj4294967295EEENS1_37radix_sort_block_sort_config_selectorIiiEEZNS1_21radix_sort_block_sortIS4_Lb1EN6thrust23THRUST_200600_302600_NS6detail15normal_iteratorINS9_10device_ptrIiEEEESE_SE_SE_NS0_19identity_decomposerEEE10hipError_tT1_T2_T3_T4_jRjT5_jjP12ihipStream_tbEUlT_E_NS1_11comp_targetILNS1_3genE3ELNS1_11target_archE908ELNS1_3gpuE7ELNS1_3repE0EEENS1_44radix_sort_block_sort_config_static_selectorELNS0_4arch9wavefront6targetE1EEEvSH_.uses_vcc, 0
	.set _ZN7rocprim17ROCPRIM_400000_NS6detail17trampoline_kernelINS0_13kernel_configILj256ELj4ELj4294967295EEENS1_37radix_sort_block_sort_config_selectorIiiEEZNS1_21radix_sort_block_sortIS4_Lb1EN6thrust23THRUST_200600_302600_NS6detail15normal_iteratorINS9_10device_ptrIiEEEESE_SE_SE_NS0_19identity_decomposerEEE10hipError_tT1_T2_T3_T4_jRjT5_jjP12ihipStream_tbEUlT_E_NS1_11comp_targetILNS1_3genE3ELNS1_11target_archE908ELNS1_3gpuE7ELNS1_3repE0EEENS1_44radix_sort_block_sort_config_static_selectorELNS0_4arch9wavefront6targetE1EEEvSH_.uses_flat_scratch, 0
	.set _ZN7rocprim17ROCPRIM_400000_NS6detail17trampoline_kernelINS0_13kernel_configILj256ELj4ELj4294967295EEENS1_37radix_sort_block_sort_config_selectorIiiEEZNS1_21radix_sort_block_sortIS4_Lb1EN6thrust23THRUST_200600_302600_NS6detail15normal_iteratorINS9_10device_ptrIiEEEESE_SE_SE_NS0_19identity_decomposerEEE10hipError_tT1_T2_T3_T4_jRjT5_jjP12ihipStream_tbEUlT_E_NS1_11comp_targetILNS1_3genE3ELNS1_11target_archE908ELNS1_3gpuE7ELNS1_3repE0EEENS1_44radix_sort_block_sort_config_static_selectorELNS0_4arch9wavefront6targetE1EEEvSH_.has_dyn_sized_stack, 0
	.set _ZN7rocprim17ROCPRIM_400000_NS6detail17trampoline_kernelINS0_13kernel_configILj256ELj4ELj4294967295EEENS1_37radix_sort_block_sort_config_selectorIiiEEZNS1_21radix_sort_block_sortIS4_Lb1EN6thrust23THRUST_200600_302600_NS6detail15normal_iteratorINS9_10device_ptrIiEEEESE_SE_SE_NS0_19identity_decomposerEEE10hipError_tT1_T2_T3_T4_jRjT5_jjP12ihipStream_tbEUlT_E_NS1_11comp_targetILNS1_3genE3ELNS1_11target_archE908ELNS1_3gpuE7ELNS1_3repE0EEENS1_44radix_sort_block_sort_config_static_selectorELNS0_4arch9wavefront6targetE1EEEvSH_.has_recursion, 0
	.set _ZN7rocprim17ROCPRIM_400000_NS6detail17trampoline_kernelINS0_13kernel_configILj256ELj4ELj4294967295EEENS1_37radix_sort_block_sort_config_selectorIiiEEZNS1_21radix_sort_block_sortIS4_Lb1EN6thrust23THRUST_200600_302600_NS6detail15normal_iteratorINS9_10device_ptrIiEEEESE_SE_SE_NS0_19identity_decomposerEEE10hipError_tT1_T2_T3_T4_jRjT5_jjP12ihipStream_tbEUlT_E_NS1_11comp_targetILNS1_3genE3ELNS1_11target_archE908ELNS1_3gpuE7ELNS1_3repE0EEENS1_44radix_sort_block_sort_config_static_selectorELNS0_4arch9wavefront6targetE1EEEvSH_.has_indirect_call, 0
	.section	.AMDGPU.csdata,"",@progbits
; Kernel info:
; codeLenInByte = 0
; TotalNumSgprs: 6
; NumVgprs: 0
; NumAgprs: 0
; TotalNumVgprs: 0
; ScratchSize: 0
; MemoryBound: 0
; FloatMode: 240
; IeeeMode: 1
; LDSByteSize: 0 bytes/workgroup (compile time only)
; SGPRBlocks: 0
; VGPRBlocks: 0
; NumSGPRsForWavesPerEU: 6
; NumVGPRsForWavesPerEU: 1
; AccumOffset: 4
; Occupancy: 8
; WaveLimiterHint : 0
; COMPUTE_PGM_RSRC2:SCRATCH_EN: 0
; COMPUTE_PGM_RSRC2:USER_SGPR: 2
; COMPUTE_PGM_RSRC2:TRAP_HANDLER: 0
; COMPUTE_PGM_RSRC2:TGID_X_EN: 1
; COMPUTE_PGM_RSRC2:TGID_Y_EN: 0
; COMPUTE_PGM_RSRC2:TGID_Z_EN: 0
; COMPUTE_PGM_RSRC2:TIDIG_COMP_CNT: 0
; COMPUTE_PGM_RSRC3_GFX90A:ACCUM_OFFSET: 0
; COMPUTE_PGM_RSRC3_GFX90A:TG_SPLIT: 0
	.section	.text._ZN7rocprim17ROCPRIM_400000_NS6detail17trampoline_kernelINS0_13kernel_configILj256ELj4ELj4294967295EEENS1_37radix_sort_block_sort_config_selectorIiiEEZNS1_21radix_sort_block_sortIS4_Lb1EN6thrust23THRUST_200600_302600_NS6detail15normal_iteratorINS9_10device_ptrIiEEEESE_SE_SE_NS0_19identity_decomposerEEE10hipError_tT1_T2_T3_T4_jRjT5_jjP12ihipStream_tbEUlT_E_NS1_11comp_targetILNS1_3genE2ELNS1_11target_archE906ELNS1_3gpuE6ELNS1_3repE0EEENS1_44radix_sort_block_sort_config_static_selectorELNS0_4arch9wavefront6targetE1EEEvSH_,"axG",@progbits,_ZN7rocprim17ROCPRIM_400000_NS6detail17trampoline_kernelINS0_13kernel_configILj256ELj4ELj4294967295EEENS1_37radix_sort_block_sort_config_selectorIiiEEZNS1_21radix_sort_block_sortIS4_Lb1EN6thrust23THRUST_200600_302600_NS6detail15normal_iteratorINS9_10device_ptrIiEEEESE_SE_SE_NS0_19identity_decomposerEEE10hipError_tT1_T2_T3_T4_jRjT5_jjP12ihipStream_tbEUlT_E_NS1_11comp_targetILNS1_3genE2ELNS1_11target_archE906ELNS1_3gpuE6ELNS1_3repE0EEENS1_44radix_sort_block_sort_config_static_selectorELNS0_4arch9wavefront6targetE1EEEvSH_,comdat
	.protected	_ZN7rocprim17ROCPRIM_400000_NS6detail17trampoline_kernelINS0_13kernel_configILj256ELj4ELj4294967295EEENS1_37radix_sort_block_sort_config_selectorIiiEEZNS1_21radix_sort_block_sortIS4_Lb1EN6thrust23THRUST_200600_302600_NS6detail15normal_iteratorINS9_10device_ptrIiEEEESE_SE_SE_NS0_19identity_decomposerEEE10hipError_tT1_T2_T3_T4_jRjT5_jjP12ihipStream_tbEUlT_E_NS1_11comp_targetILNS1_3genE2ELNS1_11target_archE906ELNS1_3gpuE6ELNS1_3repE0EEENS1_44radix_sort_block_sort_config_static_selectorELNS0_4arch9wavefront6targetE1EEEvSH_ ; -- Begin function _ZN7rocprim17ROCPRIM_400000_NS6detail17trampoline_kernelINS0_13kernel_configILj256ELj4ELj4294967295EEENS1_37radix_sort_block_sort_config_selectorIiiEEZNS1_21radix_sort_block_sortIS4_Lb1EN6thrust23THRUST_200600_302600_NS6detail15normal_iteratorINS9_10device_ptrIiEEEESE_SE_SE_NS0_19identity_decomposerEEE10hipError_tT1_T2_T3_T4_jRjT5_jjP12ihipStream_tbEUlT_E_NS1_11comp_targetILNS1_3genE2ELNS1_11target_archE906ELNS1_3gpuE6ELNS1_3repE0EEENS1_44radix_sort_block_sort_config_static_selectorELNS0_4arch9wavefront6targetE1EEEvSH_
	.globl	_ZN7rocprim17ROCPRIM_400000_NS6detail17trampoline_kernelINS0_13kernel_configILj256ELj4ELj4294967295EEENS1_37radix_sort_block_sort_config_selectorIiiEEZNS1_21radix_sort_block_sortIS4_Lb1EN6thrust23THRUST_200600_302600_NS6detail15normal_iteratorINS9_10device_ptrIiEEEESE_SE_SE_NS0_19identity_decomposerEEE10hipError_tT1_T2_T3_T4_jRjT5_jjP12ihipStream_tbEUlT_E_NS1_11comp_targetILNS1_3genE2ELNS1_11target_archE906ELNS1_3gpuE6ELNS1_3repE0EEENS1_44radix_sort_block_sort_config_static_selectorELNS0_4arch9wavefront6targetE1EEEvSH_
	.p2align	8
	.type	_ZN7rocprim17ROCPRIM_400000_NS6detail17trampoline_kernelINS0_13kernel_configILj256ELj4ELj4294967295EEENS1_37radix_sort_block_sort_config_selectorIiiEEZNS1_21radix_sort_block_sortIS4_Lb1EN6thrust23THRUST_200600_302600_NS6detail15normal_iteratorINS9_10device_ptrIiEEEESE_SE_SE_NS0_19identity_decomposerEEE10hipError_tT1_T2_T3_T4_jRjT5_jjP12ihipStream_tbEUlT_E_NS1_11comp_targetILNS1_3genE2ELNS1_11target_archE906ELNS1_3gpuE6ELNS1_3repE0EEENS1_44radix_sort_block_sort_config_static_selectorELNS0_4arch9wavefront6targetE1EEEvSH_,@function
_ZN7rocprim17ROCPRIM_400000_NS6detail17trampoline_kernelINS0_13kernel_configILj256ELj4ELj4294967295EEENS1_37radix_sort_block_sort_config_selectorIiiEEZNS1_21radix_sort_block_sortIS4_Lb1EN6thrust23THRUST_200600_302600_NS6detail15normal_iteratorINS9_10device_ptrIiEEEESE_SE_SE_NS0_19identity_decomposerEEE10hipError_tT1_T2_T3_T4_jRjT5_jjP12ihipStream_tbEUlT_E_NS1_11comp_targetILNS1_3genE2ELNS1_11target_archE906ELNS1_3gpuE6ELNS1_3repE0EEENS1_44radix_sort_block_sort_config_static_selectorELNS0_4arch9wavefront6targetE1EEEvSH_: ; @_ZN7rocprim17ROCPRIM_400000_NS6detail17trampoline_kernelINS0_13kernel_configILj256ELj4ELj4294967295EEENS1_37radix_sort_block_sort_config_selectorIiiEEZNS1_21radix_sort_block_sortIS4_Lb1EN6thrust23THRUST_200600_302600_NS6detail15normal_iteratorINS9_10device_ptrIiEEEESE_SE_SE_NS0_19identity_decomposerEEE10hipError_tT1_T2_T3_T4_jRjT5_jjP12ihipStream_tbEUlT_E_NS1_11comp_targetILNS1_3genE2ELNS1_11target_archE906ELNS1_3gpuE6ELNS1_3repE0EEENS1_44radix_sort_block_sort_config_static_selectorELNS0_4arch9wavefront6targetE1EEEvSH_
; %bb.0:
	.section	.rodata,"a",@progbits
	.p2align	6, 0x0
	.amdhsa_kernel _ZN7rocprim17ROCPRIM_400000_NS6detail17trampoline_kernelINS0_13kernel_configILj256ELj4ELj4294967295EEENS1_37radix_sort_block_sort_config_selectorIiiEEZNS1_21radix_sort_block_sortIS4_Lb1EN6thrust23THRUST_200600_302600_NS6detail15normal_iteratorINS9_10device_ptrIiEEEESE_SE_SE_NS0_19identity_decomposerEEE10hipError_tT1_T2_T3_T4_jRjT5_jjP12ihipStream_tbEUlT_E_NS1_11comp_targetILNS1_3genE2ELNS1_11target_archE906ELNS1_3gpuE6ELNS1_3repE0EEENS1_44radix_sort_block_sort_config_static_selectorELNS0_4arch9wavefront6targetE1EEEvSH_
		.amdhsa_group_segment_fixed_size 0
		.amdhsa_private_segment_fixed_size 0
		.amdhsa_kernarg_size 48
		.amdhsa_user_sgpr_count 2
		.amdhsa_user_sgpr_dispatch_ptr 0
		.amdhsa_user_sgpr_queue_ptr 0
		.amdhsa_user_sgpr_kernarg_segment_ptr 1
		.amdhsa_user_sgpr_dispatch_id 0
		.amdhsa_user_sgpr_kernarg_preload_length 0
		.amdhsa_user_sgpr_kernarg_preload_offset 0
		.amdhsa_user_sgpr_private_segment_size 0
		.amdhsa_uses_dynamic_stack 0
		.amdhsa_enable_private_segment 0
		.amdhsa_system_sgpr_workgroup_id_x 1
		.amdhsa_system_sgpr_workgroup_id_y 0
		.amdhsa_system_sgpr_workgroup_id_z 0
		.amdhsa_system_sgpr_workgroup_info 0
		.amdhsa_system_vgpr_workitem_id 0
		.amdhsa_next_free_vgpr 1
		.amdhsa_next_free_sgpr 0
		.amdhsa_accum_offset 4
		.amdhsa_reserve_vcc 0
		.amdhsa_float_round_mode_32 0
		.amdhsa_float_round_mode_16_64 0
		.amdhsa_float_denorm_mode_32 3
		.amdhsa_float_denorm_mode_16_64 3
		.amdhsa_dx10_clamp 1
		.amdhsa_ieee_mode 1
		.amdhsa_fp16_overflow 0
		.amdhsa_tg_split 0
		.amdhsa_exception_fp_ieee_invalid_op 0
		.amdhsa_exception_fp_denorm_src 0
		.amdhsa_exception_fp_ieee_div_zero 0
		.amdhsa_exception_fp_ieee_overflow 0
		.amdhsa_exception_fp_ieee_underflow 0
		.amdhsa_exception_fp_ieee_inexact 0
		.amdhsa_exception_int_div_zero 0
	.end_amdhsa_kernel
	.section	.text._ZN7rocprim17ROCPRIM_400000_NS6detail17trampoline_kernelINS0_13kernel_configILj256ELj4ELj4294967295EEENS1_37radix_sort_block_sort_config_selectorIiiEEZNS1_21radix_sort_block_sortIS4_Lb1EN6thrust23THRUST_200600_302600_NS6detail15normal_iteratorINS9_10device_ptrIiEEEESE_SE_SE_NS0_19identity_decomposerEEE10hipError_tT1_T2_T3_T4_jRjT5_jjP12ihipStream_tbEUlT_E_NS1_11comp_targetILNS1_3genE2ELNS1_11target_archE906ELNS1_3gpuE6ELNS1_3repE0EEENS1_44radix_sort_block_sort_config_static_selectorELNS0_4arch9wavefront6targetE1EEEvSH_,"axG",@progbits,_ZN7rocprim17ROCPRIM_400000_NS6detail17trampoline_kernelINS0_13kernel_configILj256ELj4ELj4294967295EEENS1_37radix_sort_block_sort_config_selectorIiiEEZNS1_21radix_sort_block_sortIS4_Lb1EN6thrust23THRUST_200600_302600_NS6detail15normal_iteratorINS9_10device_ptrIiEEEESE_SE_SE_NS0_19identity_decomposerEEE10hipError_tT1_T2_T3_T4_jRjT5_jjP12ihipStream_tbEUlT_E_NS1_11comp_targetILNS1_3genE2ELNS1_11target_archE906ELNS1_3gpuE6ELNS1_3repE0EEENS1_44radix_sort_block_sort_config_static_selectorELNS0_4arch9wavefront6targetE1EEEvSH_,comdat
.Lfunc_end1718:
	.size	_ZN7rocprim17ROCPRIM_400000_NS6detail17trampoline_kernelINS0_13kernel_configILj256ELj4ELj4294967295EEENS1_37radix_sort_block_sort_config_selectorIiiEEZNS1_21radix_sort_block_sortIS4_Lb1EN6thrust23THRUST_200600_302600_NS6detail15normal_iteratorINS9_10device_ptrIiEEEESE_SE_SE_NS0_19identity_decomposerEEE10hipError_tT1_T2_T3_T4_jRjT5_jjP12ihipStream_tbEUlT_E_NS1_11comp_targetILNS1_3genE2ELNS1_11target_archE906ELNS1_3gpuE6ELNS1_3repE0EEENS1_44radix_sort_block_sort_config_static_selectorELNS0_4arch9wavefront6targetE1EEEvSH_, .Lfunc_end1718-_ZN7rocprim17ROCPRIM_400000_NS6detail17trampoline_kernelINS0_13kernel_configILj256ELj4ELj4294967295EEENS1_37radix_sort_block_sort_config_selectorIiiEEZNS1_21radix_sort_block_sortIS4_Lb1EN6thrust23THRUST_200600_302600_NS6detail15normal_iteratorINS9_10device_ptrIiEEEESE_SE_SE_NS0_19identity_decomposerEEE10hipError_tT1_T2_T3_T4_jRjT5_jjP12ihipStream_tbEUlT_E_NS1_11comp_targetILNS1_3genE2ELNS1_11target_archE906ELNS1_3gpuE6ELNS1_3repE0EEENS1_44radix_sort_block_sort_config_static_selectorELNS0_4arch9wavefront6targetE1EEEvSH_
                                        ; -- End function
	.set _ZN7rocprim17ROCPRIM_400000_NS6detail17trampoline_kernelINS0_13kernel_configILj256ELj4ELj4294967295EEENS1_37radix_sort_block_sort_config_selectorIiiEEZNS1_21radix_sort_block_sortIS4_Lb1EN6thrust23THRUST_200600_302600_NS6detail15normal_iteratorINS9_10device_ptrIiEEEESE_SE_SE_NS0_19identity_decomposerEEE10hipError_tT1_T2_T3_T4_jRjT5_jjP12ihipStream_tbEUlT_E_NS1_11comp_targetILNS1_3genE2ELNS1_11target_archE906ELNS1_3gpuE6ELNS1_3repE0EEENS1_44radix_sort_block_sort_config_static_selectorELNS0_4arch9wavefront6targetE1EEEvSH_.num_vgpr, 0
	.set _ZN7rocprim17ROCPRIM_400000_NS6detail17trampoline_kernelINS0_13kernel_configILj256ELj4ELj4294967295EEENS1_37radix_sort_block_sort_config_selectorIiiEEZNS1_21radix_sort_block_sortIS4_Lb1EN6thrust23THRUST_200600_302600_NS6detail15normal_iteratorINS9_10device_ptrIiEEEESE_SE_SE_NS0_19identity_decomposerEEE10hipError_tT1_T2_T3_T4_jRjT5_jjP12ihipStream_tbEUlT_E_NS1_11comp_targetILNS1_3genE2ELNS1_11target_archE906ELNS1_3gpuE6ELNS1_3repE0EEENS1_44radix_sort_block_sort_config_static_selectorELNS0_4arch9wavefront6targetE1EEEvSH_.num_agpr, 0
	.set _ZN7rocprim17ROCPRIM_400000_NS6detail17trampoline_kernelINS0_13kernel_configILj256ELj4ELj4294967295EEENS1_37radix_sort_block_sort_config_selectorIiiEEZNS1_21radix_sort_block_sortIS4_Lb1EN6thrust23THRUST_200600_302600_NS6detail15normal_iteratorINS9_10device_ptrIiEEEESE_SE_SE_NS0_19identity_decomposerEEE10hipError_tT1_T2_T3_T4_jRjT5_jjP12ihipStream_tbEUlT_E_NS1_11comp_targetILNS1_3genE2ELNS1_11target_archE906ELNS1_3gpuE6ELNS1_3repE0EEENS1_44radix_sort_block_sort_config_static_selectorELNS0_4arch9wavefront6targetE1EEEvSH_.numbered_sgpr, 0
	.set _ZN7rocprim17ROCPRIM_400000_NS6detail17trampoline_kernelINS0_13kernel_configILj256ELj4ELj4294967295EEENS1_37radix_sort_block_sort_config_selectorIiiEEZNS1_21radix_sort_block_sortIS4_Lb1EN6thrust23THRUST_200600_302600_NS6detail15normal_iteratorINS9_10device_ptrIiEEEESE_SE_SE_NS0_19identity_decomposerEEE10hipError_tT1_T2_T3_T4_jRjT5_jjP12ihipStream_tbEUlT_E_NS1_11comp_targetILNS1_3genE2ELNS1_11target_archE906ELNS1_3gpuE6ELNS1_3repE0EEENS1_44radix_sort_block_sort_config_static_selectorELNS0_4arch9wavefront6targetE1EEEvSH_.num_named_barrier, 0
	.set _ZN7rocprim17ROCPRIM_400000_NS6detail17trampoline_kernelINS0_13kernel_configILj256ELj4ELj4294967295EEENS1_37radix_sort_block_sort_config_selectorIiiEEZNS1_21radix_sort_block_sortIS4_Lb1EN6thrust23THRUST_200600_302600_NS6detail15normal_iteratorINS9_10device_ptrIiEEEESE_SE_SE_NS0_19identity_decomposerEEE10hipError_tT1_T2_T3_T4_jRjT5_jjP12ihipStream_tbEUlT_E_NS1_11comp_targetILNS1_3genE2ELNS1_11target_archE906ELNS1_3gpuE6ELNS1_3repE0EEENS1_44radix_sort_block_sort_config_static_selectorELNS0_4arch9wavefront6targetE1EEEvSH_.private_seg_size, 0
	.set _ZN7rocprim17ROCPRIM_400000_NS6detail17trampoline_kernelINS0_13kernel_configILj256ELj4ELj4294967295EEENS1_37radix_sort_block_sort_config_selectorIiiEEZNS1_21radix_sort_block_sortIS4_Lb1EN6thrust23THRUST_200600_302600_NS6detail15normal_iteratorINS9_10device_ptrIiEEEESE_SE_SE_NS0_19identity_decomposerEEE10hipError_tT1_T2_T3_T4_jRjT5_jjP12ihipStream_tbEUlT_E_NS1_11comp_targetILNS1_3genE2ELNS1_11target_archE906ELNS1_3gpuE6ELNS1_3repE0EEENS1_44radix_sort_block_sort_config_static_selectorELNS0_4arch9wavefront6targetE1EEEvSH_.uses_vcc, 0
	.set _ZN7rocprim17ROCPRIM_400000_NS6detail17trampoline_kernelINS0_13kernel_configILj256ELj4ELj4294967295EEENS1_37radix_sort_block_sort_config_selectorIiiEEZNS1_21radix_sort_block_sortIS4_Lb1EN6thrust23THRUST_200600_302600_NS6detail15normal_iteratorINS9_10device_ptrIiEEEESE_SE_SE_NS0_19identity_decomposerEEE10hipError_tT1_T2_T3_T4_jRjT5_jjP12ihipStream_tbEUlT_E_NS1_11comp_targetILNS1_3genE2ELNS1_11target_archE906ELNS1_3gpuE6ELNS1_3repE0EEENS1_44radix_sort_block_sort_config_static_selectorELNS0_4arch9wavefront6targetE1EEEvSH_.uses_flat_scratch, 0
	.set _ZN7rocprim17ROCPRIM_400000_NS6detail17trampoline_kernelINS0_13kernel_configILj256ELj4ELj4294967295EEENS1_37radix_sort_block_sort_config_selectorIiiEEZNS1_21radix_sort_block_sortIS4_Lb1EN6thrust23THRUST_200600_302600_NS6detail15normal_iteratorINS9_10device_ptrIiEEEESE_SE_SE_NS0_19identity_decomposerEEE10hipError_tT1_T2_T3_T4_jRjT5_jjP12ihipStream_tbEUlT_E_NS1_11comp_targetILNS1_3genE2ELNS1_11target_archE906ELNS1_3gpuE6ELNS1_3repE0EEENS1_44radix_sort_block_sort_config_static_selectorELNS0_4arch9wavefront6targetE1EEEvSH_.has_dyn_sized_stack, 0
	.set _ZN7rocprim17ROCPRIM_400000_NS6detail17trampoline_kernelINS0_13kernel_configILj256ELj4ELj4294967295EEENS1_37radix_sort_block_sort_config_selectorIiiEEZNS1_21radix_sort_block_sortIS4_Lb1EN6thrust23THRUST_200600_302600_NS6detail15normal_iteratorINS9_10device_ptrIiEEEESE_SE_SE_NS0_19identity_decomposerEEE10hipError_tT1_T2_T3_T4_jRjT5_jjP12ihipStream_tbEUlT_E_NS1_11comp_targetILNS1_3genE2ELNS1_11target_archE906ELNS1_3gpuE6ELNS1_3repE0EEENS1_44radix_sort_block_sort_config_static_selectorELNS0_4arch9wavefront6targetE1EEEvSH_.has_recursion, 0
	.set _ZN7rocprim17ROCPRIM_400000_NS6detail17trampoline_kernelINS0_13kernel_configILj256ELj4ELj4294967295EEENS1_37radix_sort_block_sort_config_selectorIiiEEZNS1_21radix_sort_block_sortIS4_Lb1EN6thrust23THRUST_200600_302600_NS6detail15normal_iteratorINS9_10device_ptrIiEEEESE_SE_SE_NS0_19identity_decomposerEEE10hipError_tT1_T2_T3_T4_jRjT5_jjP12ihipStream_tbEUlT_E_NS1_11comp_targetILNS1_3genE2ELNS1_11target_archE906ELNS1_3gpuE6ELNS1_3repE0EEENS1_44radix_sort_block_sort_config_static_selectorELNS0_4arch9wavefront6targetE1EEEvSH_.has_indirect_call, 0
	.section	.AMDGPU.csdata,"",@progbits
; Kernel info:
; codeLenInByte = 0
; TotalNumSgprs: 6
; NumVgprs: 0
; NumAgprs: 0
; TotalNumVgprs: 0
; ScratchSize: 0
; MemoryBound: 0
; FloatMode: 240
; IeeeMode: 1
; LDSByteSize: 0 bytes/workgroup (compile time only)
; SGPRBlocks: 0
; VGPRBlocks: 0
; NumSGPRsForWavesPerEU: 6
; NumVGPRsForWavesPerEU: 1
; AccumOffset: 4
; Occupancy: 8
; WaveLimiterHint : 0
; COMPUTE_PGM_RSRC2:SCRATCH_EN: 0
; COMPUTE_PGM_RSRC2:USER_SGPR: 2
; COMPUTE_PGM_RSRC2:TRAP_HANDLER: 0
; COMPUTE_PGM_RSRC2:TGID_X_EN: 1
; COMPUTE_PGM_RSRC2:TGID_Y_EN: 0
; COMPUTE_PGM_RSRC2:TGID_Z_EN: 0
; COMPUTE_PGM_RSRC2:TIDIG_COMP_CNT: 0
; COMPUTE_PGM_RSRC3_GFX90A:ACCUM_OFFSET: 0
; COMPUTE_PGM_RSRC3_GFX90A:TG_SPLIT: 0
	.section	.text._ZN7rocprim17ROCPRIM_400000_NS6detail17trampoline_kernelINS0_13kernel_configILj256ELj4ELj4294967295EEENS1_37radix_sort_block_sort_config_selectorIiiEEZNS1_21radix_sort_block_sortIS4_Lb1EN6thrust23THRUST_200600_302600_NS6detail15normal_iteratorINS9_10device_ptrIiEEEESE_SE_SE_NS0_19identity_decomposerEEE10hipError_tT1_T2_T3_T4_jRjT5_jjP12ihipStream_tbEUlT_E_NS1_11comp_targetILNS1_3genE10ELNS1_11target_archE1201ELNS1_3gpuE5ELNS1_3repE0EEENS1_44radix_sort_block_sort_config_static_selectorELNS0_4arch9wavefront6targetE1EEEvSH_,"axG",@progbits,_ZN7rocprim17ROCPRIM_400000_NS6detail17trampoline_kernelINS0_13kernel_configILj256ELj4ELj4294967295EEENS1_37radix_sort_block_sort_config_selectorIiiEEZNS1_21radix_sort_block_sortIS4_Lb1EN6thrust23THRUST_200600_302600_NS6detail15normal_iteratorINS9_10device_ptrIiEEEESE_SE_SE_NS0_19identity_decomposerEEE10hipError_tT1_T2_T3_T4_jRjT5_jjP12ihipStream_tbEUlT_E_NS1_11comp_targetILNS1_3genE10ELNS1_11target_archE1201ELNS1_3gpuE5ELNS1_3repE0EEENS1_44radix_sort_block_sort_config_static_selectorELNS0_4arch9wavefront6targetE1EEEvSH_,comdat
	.protected	_ZN7rocprim17ROCPRIM_400000_NS6detail17trampoline_kernelINS0_13kernel_configILj256ELj4ELj4294967295EEENS1_37radix_sort_block_sort_config_selectorIiiEEZNS1_21radix_sort_block_sortIS4_Lb1EN6thrust23THRUST_200600_302600_NS6detail15normal_iteratorINS9_10device_ptrIiEEEESE_SE_SE_NS0_19identity_decomposerEEE10hipError_tT1_T2_T3_T4_jRjT5_jjP12ihipStream_tbEUlT_E_NS1_11comp_targetILNS1_3genE10ELNS1_11target_archE1201ELNS1_3gpuE5ELNS1_3repE0EEENS1_44radix_sort_block_sort_config_static_selectorELNS0_4arch9wavefront6targetE1EEEvSH_ ; -- Begin function _ZN7rocprim17ROCPRIM_400000_NS6detail17trampoline_kernelINS0_13kernel_configILj256ELj4ELj4294967295EEENS1_37radix_sort_block_sort_config_selectorIiiEEZNS1_21radix_sort_block_sortIS4_Lb1EN6thrust23THRUST_200600_302600_NS6detail15normal_iteratorINS9_10device_ptrIiEEEESE_SE_SE_NS0_19identity_decomposerEEE10hipError_tT1_T2_T3_T4_jRjT5_jjP12ihipStream_tbEUlT_E_NS1_11comp_targetILNS1_3genE10ELNS1_11target_archE1201ELNS1_3gpuE5ELNS1_3repE0EEENS1_44radix_sort_block_sort_config_static_selectorELNS0_4arch9wavefront6targetE1EEEvSH_
	.globl	_ZN7rocprim17ROCPRIM_400000_NS6detail17trampoline_kernelINS0_13kernel_configILj256ELj4ELj4294967295EEENS1_37radix_sort_block_sort_config_selectorIiiEEZNS1_21radix_sort_block_sortIS4_Lb1EN6thrust23THRUST_200600_302600_NS6detail15normal_iteratorINS9_10device_ptrIiEEEESE_SE_SE_NS0_19identity_decomposerEEE10hipError_tT1_T2_T3_T4_jRjT5_jjP12ihipStream_tbEUlT_E_NS1_11comp_targetILNS1_3genE10ELNS1_11target_archE1201ELNS1_3gpuE5ELNS1_3repE0EEENS1_44radix_sort_block_sort_config_static_selectorELNS0_4arch9wavefront6targetE1EEEvSH_
	.p2align	8
	.type	_ZN7rocprim17ROCPRIM_400000_NS6detail17trampoline_kernelINS0_13kernel_configILj256ELj4ELj4294967295EEENS1_37radix_sort_block_sort_config_selectorIiiEEZNS1_21radix_sort_block_sortIS4_Lb1EN6thrust23THRUST_200600_302600_NS6detail15normal_iteratorINS9_10device_ptrIiEEEESE_SE_SE_NS0_19identity_decomposerEEE10hipError_tT1_T2_T3_T4_jRjT5_jjP12ihipStream_tbEUlT_E_NS1_11comp_targetILNS1_3genE10ELNS1_11target_archE1201ELNS1_3gpuE5ELNS1_3repE0EEENS1_44radix_sort_block_sort_config_static_selectorELNS0_4arch9wavefront6targetE1EEEvSH_,@function
_ZN7rocprim17ROCPRIM_400000_NS6detail17trampoline_kernelINS0_13kernel_configILj256ELj4ELj4294967295EEENS1_37radix_sort_block_sort_config_selectorIiiEEZNS1_21radix_sort_block_sortIS4_Lb1EN6thrust23THRUST_200600_302600_NS6detail15normal_iteratorINS9_10device_ptrIiEEEESE_SE_SE_NS0_19identity_decomposerEEE10hipError_tT1_T2_T3_T4_jRjT5_jjP12ihipStream_tbEUlT_E_NS1_11comp_targetILNS1_3genE10ELNS1_11target_archE1201ELNS1_3gpuE5ELNS1_3repE0EEENS1_44radix_sort_block_sort_config_static_selectorELNS0_4arch9wavefront6targetE1EEEvSH_: ; @_ZN7rocprim17ROCPRIM_400000_NS6detail17trampoline_kernelINS0_13kernel_configILj256ELj4ELj4294967295EEENS1_37radix_sort_block_sort_config_selectorIiiEEZNS1_21radix_sort_block_sortIS4_Lb1EN6thrust23THRUST_200600_302600_NS6detail15normal_iteratorINS9_10device_ptrIiEEEESE_SE_SE_NS0_19identity_decomposerEEE10hipError_tT1_T2_T3_T4_jRjT5_jjP12ihipStream_tbEUlT_E_NS1_11comp_targetILNS1_3genE10ELNS1_11target_archE1201ELNS1_3gpuE5ELNS1_3repE0EEENS1_44radix_sort_block_sort_config_static_selectorELNS0_4arch9wavefront6targetE1EEEvSH_
; %bb.0:
	.section	.rodata,"a",@progbits
	.p2align	6, 0x0
	.amdhsa_kernel _ZN7rocprim17ROCPRIM_400000_NS6detail17trampoline_kernelINS0_13kernel_configILj256ELj4ELj4294967295EEENS1_37radix_sort_block_sort_config_selectorIiiEEZNS1_21radix_sort_block_sortIS4_Lb1EN6thrust23THRUST_200600_302600_NS6detail15normal_iteratorINS9_10device_ptrIiEEEESE_SE_SE_NS0_19identity_decomposerEEE10hipError_tT1_T2_T3_T4_jRjT5_jjP12ihipStream_tbEUlT_E_NS1_11comp_targetILNS1_3genE10ELNS1_11target_archE1201ELNS1_3gpuE5ELNS1_3repE0EEENS1_44radix_sort_block_sort_config_static_selectorELNS0_4arch9wavefront6targetE1EEEvSH_
		.amdhsa_group_segment_fixed_size 0
		.amdhsa_private_segment_fixed_size 0
		.amdhsa_kernarg_size 48
		.amdhsa_user_sgpr_count 2
		.amdhsa_user_sgpr_dispatch_ptr 0
		.amdhsa_user_sgpr_queue_ptr 0
		.amdhsa_user_sgpr_kernarg_segment_ptr 1
		.amdhsa_user_sgpr_dispatch_id 0
		.amdhsa_user_sgpr_kernarg_preload_length 0
		.amdhsa_user_sgpr_kernarg_preload_offset 0
		.amdhsa_user_sgpr_private_segment_size 0
		.amdhsa_uses_dynamic_stack 0
		.amdhsa_enable_private_segment 0
		.amdhsa_system_sgpr_workgroup_id_x 1
		.amdhsa_system_sgpr_workgroup_id_y 0
		.amdhsa_system_sgpr_workgroup_id_z 0
		.amdhsa_system_sgpr_workgroup_info 0
		.amdhsa_system_vgpr_workitem_id 0
		.amdhsa_next_free_vgpr 1
		.amdhsa_next_free_sgpr 0
		.amdhsa_accum_offset 4
		.amdhsa_reserve_vcc 0
		.amdhsa_float_round_mode_32 0
		.amdhsa_float_round_mode_16_64 0
		.amdhsa_float_denorm_mode_32 3
		.amdhsa_float_denorm_mode_16_64 3
		.amdhsa_dx10_clamp 1
		.amdhsa_ieee_mode 1
		.amdhsa_fp16_overflow 0
		.amdhsa_tg_split 0
		.amdhsa_exception_fp_ieee_invalid_op 0
		.amdhsa_exception_fp_denorm_src 0
		.amdhsa_exception_fp_ieee_div_zero 0
		.amdhsa_exception_fp_ieee_overflow 0
		.amdhsa_exception_fp_ieee_underflow 0
		.amdhsa_exception_fp_ieee_inexact 0
		.amdhsa_exception_int_div_zero 0
	.end_amdhsa_kernel
	.section	.text._ZN7rocprim17ROCPRIM_400000_NS6detail17trampoline_kernelINS0_13kernel_configILj256ELj4ELj4294967295EEENS1_37radix_sort_block_sort_config_selectorIiiEEZNS1_21radix_sort_block_sortIS4_Lb1EN6thrust23THRUST_200600_302600_NS6detail15normal_iteratorINS9_10device_ptrIiEEEESE_SE_SE_NS0_19identity_decomposerEEE10hipError_tT1_T2_T3_T4_jRjT5_jjP12ihipStream_tbEUlT_E_NS1_11comp_targetILNS1_3genE10ELNS1_11target_archE1201ELNS1_3gpuE5ELNS1_3repE0EEENS1_44radix_sort_block_sort_config_static_selectorELNS0_4arch9wavefront6targetE1EEEvSH_,"axG",@progbits,_ZN7rocprim17ROCPRIM_400000_NS6detail17trampoline_kernelINS0_13kernel_configILj256ELj4ELj4294967295EEENS1_37radix_sort_block_sort_config_selectorIiiEEZNS1_21radix_sort_block_sortIS4_Lb1EN6thrust23THRUST_200600_302600_NS6detail15normal_iteratorINS9_10device_ptrIiEEEESE_SE_SE_NS0_19identity_decomposerEEE10hipError_tT1_T2_T3_T4_jRjT5_jjP12ihipStream_tbEUlT_E_NS1_11comp_targetILNS1_3genE10ELNS1_11target_archE1201ELNS1_3gpuE5ELNS1_3repE0EEENS1_44radix_sort_block_sort_config_static_selectorELNS0_4arch9wavefront6targetE1EEEvSH_,comdat
.Lfunc_end1719:
	.size	_ZN7rocprim17ROCPRIM_400000_NS6detail17trampoline_kernelINS0_13kernel_configILj256ELj4ELj4294967295EEENS1_37radix_sort_block_sort_config_selectorIiiEEZNS1_21radix_sort_block_sortIS4_Lb1EN6thrust23THRUST_200600_302600_NS6detail15normal_iteratorINS9_10device_ptrIiEEEESE_SE_SE_NS0_19identity_decomposerEEE10hipError_tT1_T2_T3_T4_jRjT5_jjP12ihipStream_tbEUlT_E_NS1_11comp_targetILNS1_3genE10ELNS1_11target_archE1201ELNS1_3gpuE5ELNS1_3repE0EEENS1_44radix_sort_block_sort_config_static_selectorELNS0_4arch9wavefront6targetE1EEEvSH_, .Lfunc_end1719-_ZN7rocprim17ROCPRIM_400000_NS6detail17trampoline_kernelINS0_13kernel_configILj256ELj4ELj4294967295EEENS1_37radix_sort_block_sort_config_selectorIiiEEZNS1_21radix_sort_block_sortIS4_Lb1EN6thrust23THRUST_200600_302600_NS6detail15normal_iteratorINS9_10device_ptrIiEEEESE_SE_SE_NS0_19identity_decomposerEEE10hipError_tT1_T2_T3_T4_jRjT5_jjP12ihipStream_tbEUlT_E_NS1_11comp_targetILNS1_3genE10ELNS1_11target_archE1201ELNS1_3gpuE5ELNS1_3repE0EEENS1_44radix_sort_block_sort_config_static_selectorELNS0_4arch9wavefront6targetE1EEEvSH_
                                        ; -- End function
	.set _ZN7rocprim17ROCPRIM_400000_NS6detail17trampoline_kernelINS0_13kernel_configILj256ELj4ELj4294967295EEENS1_37radix_sort_block_sort_config_selectorIiiEEZNS1_21radix_sort_block_sortIS4_Lb1EN6thrust23THRUST_200600_302600_NS6detail15normal_iteratorINS9_10device_ptrIiEEEESE_SE_SE_NS0_19identity_decomposerEEE10hipError_tT1_T2_T3_T4_jRjT5_jjP12ihipStream_tbEUlT_E_NS1_11comp_targetILNS1_3genE10ELNS1_11target_archE1201ELNS1_3gpuE5ELNS1_3repE0EEENS1_44radix_sort_block_sort_config_static_selectorELNS0_4arch9wavefront6targetE1EEEvSH_.num_vgpr, 0
	.set _ZN7rocprim17ROCPRIM_400000_NS6detail17trampoline_kernelINS0_13kernel_configILj256ELj4ELj4294967295EEENS1_37radix_sort_block_sort_config_selectorIiiEEZNS1_21radix_sort_block_sortIS4_Lb1EN6thrust23THRUST_200600_302600_NS6detail15normal_iteratorINS9_10device_ptrIiEEEESE_SE_SE_NS0_19identity_decomposerEEE10hipError_tT1_T2_T3_T4_jRjT5_jjP12ihipStream_tbEUlT_E_NS1_11comp_targetILNS1_3genE10ELNS1_11target_archE1201ELNS1_3gpuE5ELNS1_3repE0EEENS1_44radix_sort_block_sort_config_static_selectorELNS0_4arch9wavefront6targetE1EEEvSH_.num_agpr, 0
	.set _ZN7rocprim17ROCPRIM_400000_NS6detail17trampoline_kernelINS0_13kernel_configILj256ELj4ELj4294967295EEENS1_37radix_sort_block_sort_config_selectorIiiEEZNS1_21radix_sort_block_sortIS4_Lb1EN6thrust23THRUST_200600_302600_NS6detail15normal_iteratorINS9_10device_ptrIiEEEESE_SE_SE_NS0_19identity_decomposerEEE10hipError_tT1_T2_T3_T4_jRjT5_jjP12ihipStream_tbEUlT_E_NS1_11comp_targetILNS1_3genE10ELNS1_11target_archE1201ELNS1_3gpuE5ELNS1_3repE0EEENS1_44radix_sort_block_sort_config_static_selectorELNS0_4arch9wavefront6targetE1EEEvSH_.numbered_sgpr, 0
	.set _ZN7rocprim17ROCPRIM_400000_NS6detail17trampoline_kernelINS0_13kernel_configILj256ELj4ELj4294967295EEENS1_37radix_sort_block_sort_config_selectorIiiEEZNS1_21radix_sort_block_sortIS4_Lb1EN6thrust23THRUST_200600_302600_NS6detail15normal_iteratorINS9_10device_ptrIiEEEESE_SE_SE_NS0_19identity_decomposerEEE10hipError_tT1_T2_T3_T4_jRjT5_jjP12ihipStream_tbEUlT_E_NS1_11comp_targetILNS1_3genE10ELNS1_11target_archE1201ELNS1_3gpuE5ELNS1_3repE0EEENS1_44radix_sort_block_sort_config_static_selectorELNS0_4arch9wavefront6targetE1EEEvSH_.num_named_barrier, 0
	.set _ZN7rocprim17ROCPRIM_400000_NS6detail17trampoline_kernelINS0_13kernel_configILj256ELj4ELj4294967295EEENS1_37radix_sort_block_sort_config_selectorIiiEEZNS1_21radix_sort_block_sortIS4_Lb1EN6thrust23THRUST_200600_302600_NS6detail15normal_iteratorINS9_10device_ptrIiEEEESE_SE_SE_NS0_19identity_decomposerEEE10hipError_tT1_T2_T3_T4_jRjT5_jjP12ihipStream_tbEUlT_E_NS1_11comp_targetILNS1_3genE10ELNS1_11target_archE1201ELNS1_3gpuE5ELNS1_3repE0EEENS1_44radix_sort_block_sort_config_static_selectorELNS0_4arch9wavefront6targetE1EEEvSH_.private_seg_size, 0
	.set _ZN7rocprim17ROCPRIM_400000_NS6detail17trampoline_kernelINS0_13kernel_configILj256ELj4ELj4294967295EEENS1_37radix_sort_block_sort_config_selectorIiiEEZNS1_21radix_sort_block_sortIS4_Lb1EN6thrust23THRUST_200600_302600_NS6detail15normal_iteratorINS9_10device_ptrIiEEEESE_SE_SE_NS0_19identity_decomposerEEE10hipError_tT1_T2_T3_T4_jRjT5_jjP12ihipStream_tbEUlT_E_NS1_11comp_targetILNS1_3genE10ELNS1_11target_archE1201ELNS1_3gpuE5ELNS1_3repE0EEENS1_44radix_sort_block_sort_config_static_selectorELNS0_4arch9wavefront6targetE1EEEvSH_.uses_vcc, 0
	.set _ZN7rocprim17ROCPRIM_400000_NS6detail17trampoline_kernelINS0_13kernel_configILj256ELj4ELj4294967295EEENS1_37radix_sort_block_sort_config_selectorIiiEEZNS1_21radix_sort_block_sortIS4_Lb1EN6thrust23THRUST_200600_302600_NS6detail15normal_iteratorINS9_10device_ptrIiEEEESE_SE_SE_NS0_19identity_decomposerEEE10hipError_tT1_T2_T3_T4_jRjT5_jjP12ihipStream_tbEUlT_E_NS1_11comp_targetILNS1_3genE10ELNS1_11target_archE1201ELNS1_3gpuE5ELNS1_3repE0EEENS1_44radix_sort_block_sort_config_static_selectorELNS0_4arch9wavefront6targetE1EEEvSH_.uses_flat_scratch, 0
	.set _ZN7rocprim17ROCPRIM_400000_NS6detail17trampoline_kernelINS0_13kernel_configILj256ELj4ELj4294967295EEENS1_37radix_sort_block_sort_config_selectorIiiEEZNS1_21radix_sort_block_sortIS4_Lb1EN6thrust23THRUST_200600_302600_NS6detail15normal_iteratorINS9_10device_ptrIiEEEESE_SE_SE_NS0_19identity_decomposerEEE10hipError_tT1_T2_T3_T4_jRjT5_jjP12ihipStream_tbEUlT_E_NS1_11comp_targetILNS1_3genE10ELNS1_11target_archE1201ELNS1_3gpuE5ELNS1_3repE0EEENS1_44radix_sort_block_sort_config_static_selectorELNS0_4arch9wavefront6targetE1EEEvSH_.has_dyn_sized_stack, 0
	.set _ZN7rocprim17ROCPRIM_400000_NS6detail17trampoline_kernelINS0_13kernel_configILj256ELj4ELj4294967295EEENS1_37radix_sort_block_sort_config_selectorIiiEEZNS1_21radix_sort_block_sortIS4_Lb1EN6thrust23THRUST_200600_302600_NS6detail15normal_iteratorINS9_10device_ptrIiEEEESE_SE_SE_NS0_19identity_decomposerEEE10hipError_tT1_T2_T3_T4_jRjT5_jjP12ihipStream_tbEUlT_E_NS1_11comp_targetILNS1_3genE10ELNS1_11target_archE1201ELNS1_3gpuE5ELNS1_3repE0EEENS1_44radix_sort_block_sort_config_static_selectorELNS0_4arch9wavefront6targetE1EEEvSH_.has_recursion, 0
	.set _ZN7rocprim17ROCPRIM_400000_NS6detail17trampoline_kernelINS0_13kernel_configILj256ELj4ELj4294967295EEENS1_37radix_sort_block_sort_config_selectorIiiEEZNS1_21radix_sort_block_sortIS4_Lb1EN6thrust23THRUST_200600_302600_NS6detail15normal_iteratorINS9_10device_ptrIiEEEESE_SE_SE_NS0_19identity_decomposerEEE10hipError_tT1_T2_T3_T4_jRjT5_jjP12ihipStream_tbEUlT_E_NS1_11comp_targetILNS1_3genE10ELNS1_11target_archE1201ELNS1_3gpuE5ELNS1_3repE0EEENS1_44radix_sort_block_sort_config_static_selectorELNS0_4arch9wavefront6targetE1EEEvSH_.has_indirect_call, 0
	.section	.AMDGPU.csdata,"",@progbits
; Kernel info:
; codeLenInByte = 0
; TotalNumSgprs: 6
; NumVgprs: 0
; NumAgprs: 0
; TotalNumVgprs: 0
; ScratchSize: 0
; MemoryBound: 0
; FloatMode: 240
; IeeeMode: 1
; LDSByteSize: 0 bytes/workgroup (compile time only)
; SGPRBlocks: 0
; VGPRBlocks: 0
; NumSGPRsForWavesPerEU: 6
; NumVGPRsForWavesPerEU: 1
; AccumOffset: 4
; Occupancy: 8
; WaveLimiterHint : 0
; COMPUTE_PGM_RSRC2:SCRATCH_EN: 0
; COMPUTE_PGM_RSRC2:USER_SGPR: 2
; COMPUTE_PGM_RSRC2:TRAP_HANDLER: 0
; COMPUTE_PGM_RSRC2:TGID_X_EN: 1
; COMPUTE_PGM_RSRC2:TGID_Y_EN: 0
; COMPUTE_PGM_RSRC2:TGID_Z_EN: 0
; COMPUTE_PGM_RSRC2:TIDIG_COMP_CNT: 0
; COMPUTE_PGM_RSRC3_GFX90A:ACCUM_OFFSET: 0
; COMPUTE_PGM_RSRC3_GFX90A:TG_SPLIT: 0
	.section	.text._ZN7rocprim17ROCPRIM_400000_NS6detail17trampoline_kernelINS0_13kernel_configILj256ELj4ELj4294967295EEENS1_37radix_sort_block_sort_config_selectorIiiEEZNS1_21radix_sort_block_sortIS4_Lb1EN6thrust23THRUST_200600_302600_NS6detail15normal_iteratorINS9_10device_ptrIiEEEESE_SE_SE_NS0_19identity_decomposerEEE10hipError_tT1_T2_T3_T4_jRjT5_jjP12ihipStream_tbEUlT_E_NS1_11comp_targetILNS1_3genE10ELNS1_11target_archE1200ELNS1_3gpuE4ELNS1_3repE0EEENS1_44radix_sort_block_sort_config_static_selectorELNS0_4arch9wavefront6targetE1EEEvSH_,"axG",@progbits,_ZN7rocprim17ROCPRIM_400000_NS6detail17trampoline_kernelINS0_13kernel_configILj256ELj4ELj4294967295EEENS1_37radix_sort_block_sort_config_selectorIiiEEZNS1_21radix_sort_block_sortIS4_Lb1EN6thrust23THRUST_200600_302600_NS6detail15normal_iteratorINS9_10device_ptrIiEEEESE_SE_SE_NS0_19identity_decomposerEEE10hipError_tT1_T2_T3_T4_jRjT5_jjP12ihipStream_tbEUlT_E_NS1_11comp_targetILNS1_3genE10ELNS1_11target_archE1200ELNS1_3gpuE4ELNS1_3repE0EEENS1_44radix_sort_block_sort_config_static_selectorELNS0_4arch9wavefront6targetE1EEEvSH_,comdat
	.protected	_ZN7rocprim17ROCPRIM_400000_NS6detail17trampoline_kernelINS0_13kernel_configILj256ELj4ELj4294967295EEENS1_37radix_sort_block_sort_config_selectorIiiEEZNS1_21radix_sort_block_sortIS4_Lb1EN6thrust23THRUST_200600_302600_NS6detail15normal_iteratorINS9_10device_ptrIiEEEESE_SE_SE_NS0_19identity_decomposerEEE10hipError_tT1_T2_T3_T4_jRjT5_jjP12ihipStream_tbEUlT_E_NS1_11comp_targetILNS1_3genE10ELNS1_11target_archE1200ELNS1_3gpuE4ELNS1_3repE0EEENS1_44radix_sort_block_sort_config_static_selectorELNS0_4arch9wavefront6targetE1EEEvSH_ ; -- Begin function _ZN7rocprim17ROCPRIM_400000_NS6detail17trampoline_kernelINS0_13kernel_configILj256ELj4ELj4294967295EEENS1_37radix_sort_block_sort_config_selectorIiiEEZNS1_21radix_sort_block_sortIS4_Lb1EN6thrust23THRUST_200600_302600_NS6detail15normal_iteratorINS9_10device_ptrIiEEEESE_SE_SE_NS0_19identity_decomposerEEE10hipError_tT1_T2_T3_T4_jRjT5_jjP12ihipStream_tbEUlT_E_NS1_11comp_targetILNS1_3genE10ELNS1_11target_archE1200ELNS1_3gpuE4ELNS1_3repE0EEENS1_44radix_sort_block_sort_config_static_selectorELNS0_4arch9wavefront6targetE1EEEvSH_
	.globl	_ZN7rocprim17ROCPRIM_400000_NS6detail17trampoline_kernelINS0_13kernel_configILj256ELj4ELj4294967295EEENS1_37radix_sort_block_sort_config_selectorIiiEEZNS1_21radix_sort_block_sortIS4_Lb1EN6thrust23THRUST_200600_302600_NS6detail15normal_iteratorINS9_10device_ptrIiEEEESE_SE_SE_NS0_19identity_decomposerEEE10hipError_tT1_T2_T3_T4_jRjT5_jjP12ihipStream_tbEUlT_E_NS1_11comp_targetILNS1_3genE10ELNS1_11target_archE1200ELNS1_3gpuE4ELNS1_3repE0EEENS1_44radix_sort_block_sort_config_static_selectorELNS0_4arch9wavefront6targetE1EEEvSH_
	.p2align	8
	.type	_ZN7rocprim17ROCPRIM_400000_NS6detail17trampoline_kernelINS0_13kernel_configILj256ELj4ELj4294967295EEENS1_37radix_sort_block_sort_config_selectorIiiEEZNS1_21radix_sort_block_sortIS4_Lb1EN6thrust23THRUST_200600_302600_NS6detail15normal_iteratorINS9_10device_ptrIiEEEESE_SE_SE_NS0_19identity_decomposerEEE10hipError_tT1_T2_T3_T4_jRjT5_jjP12ihipStream_tbEUlT_E_NS1_11comp_targetILNS1_3genE10ELNS1_11target_archE1200ELNS1_3gpuE4ELNS1_3repE0EEENS1_44radix_sort_block_sort_config_static_selectorELNS0_4arch9wavefront6targetE1EEEvSH_,@function
_ZN7rocprim17ROCPRIM_400000_NS6detail17trampoline_kernelINS0_13kernel_configILj256ELj4ELj4294967295EEENS1_37radix_sort_block_sort_config_selectorIiiEEZNS1_21radix_sort_block_sortIS4_Lb1EN6thrust23THRUST_200600_302600_NS6detail15normal_iteratorINS9_10device_ptrIiEEEESE_SE_SE_NS0_19identity_decomposerEEE10hipError_tT1_T2_T3_T4_jRjT5_jjP12ihipStream_tbEUlT_E_NS1_11comp_targetILNS1_3genE10ELNS1_11target_archE1200ELNS1_3gpuE4ELNS1_3repE0EEENS1_44radix_sort_block_sort_config_static_selectorELNS0_4arch9wavefront6targetE1EEEvSH_: ; @_ZN7rocprim17ROCPRIM_400000_NS6detail17trampoline_kernelINS0_13kernel_configILj256ELj4ELj4294967295EEENS1_37radix_sort_block_sort_config_selectorIiiEEZNS1_21radix_sort_block_sortIS4_Lb1EN6thrust23THRUST_200600_302600_NS6detail15normal_iteratorINS9_10device_ptrIiEEEESE_SE_SE_NS0_19identity_decomposerEEE10hipError_tT1_T2_T3_T4_jRjT5_jjP12ihipStream_tbEUlT_E_NS1_11comp_targetILNS1_3genE10ELNS1_11target_archE1200ELNS1_3gpuE4ELNS1_3repE0EEENS1_44radix_sort_block_sort_config_static_selectorELNS0_4arch9wavefront6targetE1EEEvSH_
; %bb.0:
	.section	.rodata,"a",@progbits
	.p2align	6, 0x0
	.amdhsa_kernel _ZN7rocprim17ROCPRIM_400000_NS6detail17trampoline_kernelINS0_13kernel_configILj256ELj4ELj4294967295EEENS1_37radix_sort_block_sort_config_selectorIiiEEZNS1_21radix_sort_block_sortIS4_Lb1EN6thrust23THRUST_200600_302600_NS6detail15normal_iteratorINS9_10device_ptrIiEEEESE_SE_SE_NS0_19identity_decomposerEEE10hipError_tT1_T2_T3_T4_jRjT5_jjP12ihipStream_tbEUlT_E_NS1_11comp_targetILNS1_3genE10ELNS1_11target_archE1200ELNS1_3gpuE4ELNS1_3repE0EEENS1_44radix_sort_block_sort_config_static_selectorELNS0_4arch9wavefront6targetE1EEEvSH_
		.amdhsa_group_segment_fixed_size 0
		.amdhsa_private_segment_fixed_size 0
		.amdhsa_kernarg_size 48
		.amdhsa_user_sgpr_count 2
		.amdhsa_user_sgpr_dispatch_ptr 0
		.amdhsa_user_sgpr_queue_ptr 0
		.amdhsa_user_sgpr_kernarg_segment_ptr 1
		.amdhsa_user_sgpr_dispatch_id 0
		.amdhsa_user_sgpr_kernarg_preload_length 0
		.amdhsa_user_sgpr_kernarg_preload_offset 0
		.amdhsa_user_sgpr_private_segment_size 0
		.amdhsa_uses_dynamic_stack 0
		.amdhsa_enable_private_segment 0
		.amdhsa_system_sgpr_workgroup_id_x 1
		.amdhsa_system_sgpr_workgroup_id_y 0
		.amdhsa_system_sgpr_workgroup_id_z 0
		.amdhsa_system_sgpr_workgroup_info 0
		.amdhsa_system_vgpr_workitem_id 0
		.amdhsa_next_free_vgpr 1
		.amdhsa_next_free_sgpr 0
		.amdhsa_accum_offset 4
		.amdhsa_reserve_vcc 0
		.amdhsa_float_round_mode_32 0
		.amdhsa_float_round_mode_16_64 0
		.amdhsa_float_denorm_mode_32 3
		.amdhsa_float_denorm_mode_16_64 3
		.amdhsa_dx10_clamp 1
		.amdhsa_ieee_mode 1
		.amdhsa_fp16_overflow 0
		.amdhsa_tg_split 0
		.amdhsa_exception_fp_ieee_invalid_op 0
		.amdhsa_exception_fp_denorm_src 0
		.amdhsa_exception_fp_ieee_div_zero 0
		.amdhsa_exception_fp_ieee_overflow 0
		.amdhsa_exception_fp_ieee_underflow 0
		.amdhsa_exception_fp_ieee_inexact 0
		.amdhsa_exception_int_div_zero 0
	.end_amdhsa_kernel
	.section	.text._ZN7rocprim17ROCPRIM_400000_NS6detail17trampoline_kernelINS0_13kernel_configILj256ELj4ELj4294967295EEENS1_37radix_sort_block_sort_config_selectorIiiEEZNS1_21radix_sort_block_sortIS4_Lb1EN6thrust23THRUST_200600_302600_NS6detail15normal_iteratorINS9_10device_ptrIiEEEESE_SE_SE_NS0_19identity_decomposerEEE10hipError_tT1_T2_T3_T4_jRjT5_jjP12ihipStream_tbEUlT_E_NS1_11comp_targetILNS1_3genE10ELNS1_11target_archE1200ELNS1_3gpuE4ELNS1_3repE0EEENS1_44radix_sort_block_sort_config_static_selectorELNS0_4arch9wavefront6targetE1EEEvSH_,"axG",@progbits,_ZN7rocprim17ROCPRIM_400000_NS6detail17trampoline_kernelINS0_13kernel_configILj256ELj4ELj4294967295EEENS1_37radix_sort_block_sort_config_selectorIiiEEZNS1_21radix_sort_block_sortIS4_Lb1EN6thrust23THRUST_200600_302600_NS6detail15normal_iteratorINS9_10device_ptrIiEEEESE_SE_SE_NS0_19identity_decomposerEEE10hipError_tT1_T2_T3_T4_jRjT5_jjP12ihipStream_tbEUlT_E_NS1_11comp_targetILNS1_3genE10ELNS1_11target_archE1200ELNS1_3gpuE4ELNS1_3repE0EEENS1_44radix_sort_block_sort_config_static_selectorELNS0_4arch9wavefront6targetE1EEEvSH_,comdat
.Lfunc_end1720:
	.size	_ZN7rocprim17ROCPRIM_400000_NS6detail17trampoline_kernelINS0_13kernel_configILj256ELj4ELj4294967295EEENS1_37radix_sort_block_sort_config_selectorIiiEEZNS1_21radix_sort_block_sortIS4_Lb1EN6thrust23THRUST_200600_302600_NS6detail15normal_iteratorINS9_10device_ptrIiEEEESE_SE_SE_NS0_19identity_decomposerEEE10hipError_tT1_T2_T3_T4_jRjT5_jjP12ihipStream_tbEUlT_E_NS1_11comp_targetILNS1_3genE10ELNS1_11target_archE1200ELNS1_3gpuE4ELNS1_3repE0EEENS1_44radix_sort_block_sort_config_static_selectorELNS0_4arch9wavefront6targetE1EEEvSH_, .Lfunc_end1720-_ZN7rocprim17ROCPRIM_400000_NS6detail17trampoline_kernelINS0_13kernel_configILj256ELj4ELj4294967295EEENS1_37radix_sort_block_sort_config_selectorIiiEEZNS1_21radix_sort_block_sortIS4_Lb1EN6thrust23THRUST_200600_302600_NS6detail15normal_iteratorINS9_10device_ptrIiEEEESE_SE_SE_NS0_19identity_decomposerEEE10hipError_tT1_T2_T3_T4_jRjT5_jjP12ihipStream_tbEUlT_E_NS1_11comp_targetILNS1_3genE10ELNS1_11target_archE1200ELNS1_3gpuE4ELNS1_3repE0EEENS1_44radix_sort_block_sort_config_static_selectorELNS0_4arch9wavefront6targetE1EEEvSH_
                                        ; -- End function
	.set _ZN7rocprim17ROCPRIM_400000_NS6detail17trampoline_kernelINS0_13kernel_configILj256ELj4ELj4294967295EEENS1_37radix_sort_block_sort_config_selectorIiiEEZNS1_21radix_sort_block_sortIS4_Lb1EN6thrust23THRUST_200600_302600_NS6detail15normal_iteratorINS9_10device_ptrIiEEEESE_SE_SE_NS0_19identity_decomposerEEE10hipError_tT1_T2_T3_T4_jRjT5_jjP12ihipStream_tbEUlT_E_NS1_11comp_targetILNS1_3genE10ELNS1_11target_archE1200ELNS1_3gpuE4ELNS1_3repE0EEENS1_44radix_sort_block_sort_config_static_selectorELNS0_4arch9wavefront6targetE1EEEvSH_.num_vgpr, 0
	.set _ZN7rocprim17ROCPRIM_400000_NS6detail17trampoline_kernelINS0_13kernel_configILj256ELj4ELj4294967295EEENS1_37radix_sort_block_sort_config_selectorIiiEEZNS1_21radix_sort_block_sortIS4_Lb1EN6thrust23THRUST_200600_302600_NS6detail15normal_iteratorINS9_10device_ptrIiEEEESE_SE_SE_NS0_19identity_decomposerEEE10hipError_tT1_T2_T3_T4_jRjT5_jjP12ihipStream_tbEUlT_E_NS1_11comp_targetILNS1_3genE10ELNS1_11target_archE1200ELNS1_3gpuE4ELNS1_3repE0EEENS1_44radix_sort_block_sort_config_static_selectorELNS0_4arch9wavefront6targetE1EEEvSH_.num_agpr, 0
	.set _ZN7rocprim17ROCPRIM_400000_NS6detail17trampoline_kernelINS0_13kernel_configILj256ELj4ELj4294967295EEENS1_37radix_sort_block_sort_config_selectorIiiEEZNS1_21radix_sort_block_sortIS4_Lb1EN6thrust23THRUST_200600_302600_NS6detail15normal_iteratorINS9_10device_ptrIiEEEESE_SE_SE_NS0_19identity_decomposerEEE10hipError_tT1_T2_T3_T4_jRjT5_jjP12ihipStream_tbEUlT_E_NS1_11comp_targetILNS1_3genE10ELNS1_11target_archE1200ELNS1_3gpuE4ELNS1_3repE0EEENS1_44radix_sort_block_sort_config_static_selectorELNS0_4arch9wavefront6targetE1EEEvSH_.numbered_sgpr, 0
	.set _ZN7rocprim17ROCPRIM_400000_NS6detail17trampoline_kernelINS0_13kernel_configILj256ELj4ELj4294967295EEENS1_37radix_sort_block_sort_config_selectorIiiEEZNS1_21radix_sort_block_sortIS4_Lb1EN6thrust23THRUST_200600_302600_NS6detail15normal_iteratorINS9_10device_ptrIiEEEESE_SE_SE_NS0_19identity_decomposerEEE10hipError_tT1_T2_T3_T4_jRjT5_jjP12ihipStream_tbEUlT_E_NS1_11comp_targetILNS1_3genE10ELNS1_11target_archE1200ELNS1_3gpuE4ELNS1_3repE0EEENS1_44radix_sort_block_sort_config_static_selectorELNS0_4arch9wavefront6targetE1EEEvSH_.num_named_barrier, 0
	.set _ZN7rocprim17ROCPRIM_400000_NS6detail17trampoline_kernelINS0_13kernel_configILj256ELj4ELj4294967295EEENS1_37radix_sort_block_sort_config_selectorIiiEEZNS1_21radix_sort_block_sortIS4_Lb1EN6thrust23THRUST_200600_302600_NS6detail15normal_iteratorINS9_10device_ptrIiEEEESE_SE_SE_NS0_19identity_decomposerEEE10hipError_tT1_T2_T3_T4_jRjT5_jjP12ihipStream_tbEUlT_E_NS1_11comp_targetILNS1_3genE10ELNS1_11target_archE1200ELNS1_3gpuE4ELNS1_3repE0EEENS1_44radix_sort_block_sort_config_static_selectorELNS0_4arch9wavefront6targetE1EEEvSH_.private_seg_size, 0
	.set _ZN7rocprim17ROCPRIM_400000_NS6detail17trampoline_kernelINS0_13kernel_configILj256ELj4ELj4294967295EEENS1_37radix_sort_block_sort_config_selectorIiiEEZNS1_21radix_sort_block_sortIS4_Lb1EN6thrust23THRUST_200600_302600_NS6detail15normal_iteratorINS9_10device_ptrIiEEEESE_SE_SE_NS0_19identity_decomposerEEE10hipError_tT1_T2_T3_T4_jRjT5_jjP12ihipStream_tbEUlT_E_NS1_11comp_targetILNS1_3genE10ELNS1_11target_archE1200ELNS1_3gpuE4ELNS1_3repE0EEENS1_44radix_sort_block_sort_config_static_selectorELNS0_4arch9wavefront6targetE1EEEvSH_.uses_vcc, 0
	.set _ZN7rocprim17ROCPRIM_400000_NS6detail17trampoline_kernelINS0_13kernel_configILj256ELj4ELj4294967295EEENS1_37radix_sort_block_sort_config_selectorIiiEEZNS1_21radix_sort_block_sortIS4_Lb1EN6thrust23THRUST_200600_302600_NS6detail15normal_iteratorINS9_10device_ptrIiEEEESE_SE_SE_NS0_19identity_decomposerEEE10hipError_tT1_T2_T3_T4_jRjT5_jjP12ihipStream_tbEUlT_E_NS1_11comp_targetILNS1_3genE10ELNS1_11target_archE1200ELNS1_3gpuE4ELNS1_3repE0EEENS1_44radix_sort_block_sort_config_static_selectorELNS0_4arch9wavefront6targetE1EEEvSH_.uses_flat_scratch, 0
	.set _ZN7rocprim17ROCPRIM_400000_NS6detail17trampoline_kernelINS0_13kernel_configILj256ELj4ELj4294967295EEENS1_37radix_sort_block_sort_config_selectorIiiEEZNS1_21radix_sort_block_sortIS4_Lb1EN6thrust23THRUST_200600_302600_NS6detail15normal_iteratorINS9_10device_ptrIiEEEESE_SE_SE_NS0_19identity_decomposerEEE10hipError_tT1_T2_T3_T4_jRjT5_jjP12ihipStream_tbEUlT_E_NS1_11comp_targetILNS1_3genE10ELNS1_11target_archE1200ELNS1_3gpuE4ELNS1_3repE0EEENS1_44radix_sort_block_sort_config_static_selectorELNS0_4arch9wavefront6targetE1EEEvSH_.has_dyn_sized_stack, 0
	.set _ZN7rocprim17ROCPRIM_400000_NS6detail17trampoline_kernelINS0_13kernel_configILj256ELj4ELj4294967295EEENS1_37radix_sort_block_sort_config_selectorIiiEEZNS1_21radix_sort_block_sortIS4_Lb1EN6thrust23THRUST_200600_302600_NS6detail15normal_iteratorINS9_10device_ptrIiEEEESE_SE_SE_NS0_19identity_decomposerEEE10hipError_tT1_T2_T3_T4_jRjT5_jjP12ihipStream_tbEUlT_E_NS1_11comp_targetILNS1_3genE10ELNS1_11target_archE1200ELNS1_3gpuE4ELNS1_3repE0EEENS1_44radix_sort_block_sort_config_static_selectorELNS0_4arch9wavefront6targetE1EEEvSH_.has_recursion, 0
	.set _ZN7rocprim17ROCPRIM_400000_NS6detail17trampoline_kernelINS0_13kernel_configILj256ELj4ELj4294967295EEENS1_37radix_sort_block_sort_config_selectorIiiEEZNS1_21radix_sort_block_sortIS4_Lb1EN6thrust23THRUST_200600_302600_NS6detail15normal_iteratorINS9_10device_ptrIiEEEESE_SE_SE_NS0_19identity_decomposerEEE10hipError_tT1_T2_T3_T4_jRjT5_jjP12ihipStream_tbEUlT_E_NS1_11comp_targetILNS1_3genE10ELNS1_11target_archE1200ELNS1_3gpuE4ELNS1_3repE0EEENS1_44radix_sort_block_sort_config_static_selectorELNS0_4arch9wavefront6targetE1EEEvSH_.has_indirect_call, 0
	.section	.AMDGPU.csdata,"",@progbits
; Kernel info:
; codeLenInByte = 0
; TotalNumSgprs: 6
; NumVgprs: 0
; NumAgprs: 0
; TotalNumVgprs: 0
; ScratchSize: 0
; MemoryBound: 0
; FloatMode: 240
; IeeeMode: 1
; LDSByteSize: 0 bytes/workgroup (compile time only)
; SGPRBlocks: 0
; VGPRBlocks: 0
; NumSGPRsForWavesPerEU: 6
; NumVGPRsForWavesPerEU: 1
; AccumOffset: 4
; Occupancy: 8
; WaveLimiterHint : 0
; COMPUTE_PGM_RSRC2:SCRATCH_EN: 0
; COMPUTE_PGM_RSRC2:USER_SGPR: 2
; COMPUTE_PGM_RSRC2:TRAP_HANDLER: 0
; COMPUTE_PGM_RSRC2:TGID_X_EN: 1
; COMPUTE_PGM_RSRC2:TGID_Y_EN: 0
; COMPUTE_PGM_RSRC2:TGID_Z_EN: 0
; COMPUTE_PGM_RSRC2:TIDIG_COMP_CNT: 0
; COMPUTE_PGM_RSRC3_GFX90A:ACCUM_OFFSET: 0
; COMPUTE_PGM_RSRC3_GFX90A:TG_SPLIT: 0
	.section	.text._ZN7rocprim17ROCPRIM_400000_NS6detail17trampoline_kernelINS0_13kernel_configILj256ELj4ELj4294967295EEENS1_37radix_sort_block_sort_config_selectorIiiEEZNS1_21radix_sort_block_sortIS4_Lb1EN6thrust23THRUST_200600_302600_NS6detail15normal_iteratorINS9_10device_ptrIiEEEESE_SE_SE_NS0_19identity_decomposerEEE10hipError_tT1_T2_T3_T4_jRjT5_jjP12ihipStream_tbEUlT_E_NS1_11comp_targetILNS1_3genE9ELNS1_11target_archE1100ELNS1_3gpuE3ELNS1_3repE0EEENS1_44radix_sort_block_sort_config_static_selectorELNS0_4arch9wavefront6targetE1EEEvSH_,"axG",@progbits,_ZN7rocprim17ROCPRIM_400000_NS6detail17trampoline_kernelINS0_13kernel_configILj256ELj4ELj4294967295EEENS1_37radix_sort_block_sort_config_selectorIiiEEZNS1_21radix_sort_block_sortIS4_Lb1EN6thrust23THRUST_200600_302600_NS6detail15normal_iteratorINS9_10device_ptrIiEEEESE_SE_SE_NS0_19identity_decomposerEEE10hipError_tT1_T2_T3_T4_jRjT5_jjP12ihipStream_tbEUlT_E_NS1_11comp_targetILNS1_3genE9ELNS1_11target_archE1100ELNS1_3gpuE3ELNS1_3repE0EEENS1_44radix_sort_block_sort_config_static_selectorELNS0_4arch9wavefront6targetE1EEEvSH_,comdat
	.protected	_ZN7rocprim17ROCPRIM_400000_NS6detail17trampoline_kernelINS0_13kernel_configILj256ELj4ELj4294967295EEENS1_37radix_sort_block_sort_config_selectorIiiEEZNS1_21radix_sort_block_sortIS4_Lb1EN6thrust23THRUST_200600_302600_NS6detail15normal_iteratorINS9_10device_ptrIiEEEESE_SE_SE_NS0_19identity_decomposerEEE10hipError_tT1_T2_T3_T4_jRjT5_jjP12ihipStream_tbEUlT_E_NS1_11comp_targetILNS1_3genE9ELNS1_11target_archE1100ELNS1_3gpuE3ELNS1_3repE0EEENS1_44radix_sort_block_sort_config_static_selectorELNS0_4arch9wavefront6targetE1EEEvSH_ ; -- Begin function _ZN7rocprim17ROCPRIM_400000_NS6detail17trampoline_kernelINS0_13kernel_configILj256ELj4ELj4294967295EEENS1_37radix_sort_block_sort_config_selectorIiiEEZNS1_21radix_sort_block_sortIS4_Lb1EN6thrust23THRUST_200600_302600_NS6detail15normal_iteratorINS9_10device_ptrIiEEEESE_SE_SE_NS0_19identity_decomposerEEE10hipError_tT1_T2_T3_T4_jRjT5_jjP12ihipStream_tbEUlT_E_NS1_11comp_targetILNS1_3genE9ELNS1_11target_archE1100ELNS1_3gpuE3ELNS1_3repE0EEENS1_44radix_sort_block_sort_config_static_selectorELNS0_4arch9wavefront6targetE1EEEvSH_
	.globl	_ZN7rocprim17ROCPRIM_400000_NS6detail17trampoline_kernelINS0_13kernel_configILj256ELj4ELj4294967295EEENS1_37radix_sort_block_sort_config_selectorIiiEEZNS1_21radix_sort_block_sortIS4_Lb1EN6thrust23THRUST_200600_302600_NS6detail15normal_iteratorINS9_10device_ptrIiEEEESE_SE_SE_NS0_19identity_decomposerEEE10hipError_tT1_T2_T3_T4_jRjT5_jjP12ihipStream_tbEUlT_E_NS1_11comp_targetILNS1_3genE9ELNS1_11target_archE1100ELNS1_3gpuE3ELNS1_3repE0EEENS1_44radix_sort_block_sort_config_static_selectorELNS0_4arch9wavefront6targetE1EEEvSH_
	.p2align	8
	.type	_ZN7rocprim17ROCPRIM_400000_NS6detail17trampoline_kernelINS0_13kernel_configILj256ELj4ELj4294967295EEENS1_37radix_sort_block_sort_config_selectorIiiEEZNS1_21radix_sort_block_sortIS4_Lb1EN6thrust23THRUST_200600_302600_NS6detail15normal_iteratorINS9_10device_ptrIiEEEESE_SE_SE_NS0_19identity_decomposerEEE10hipError_tT1_T2_T3_T4_jRjT5_jjP12ihipStream_tbEUlT_E_NS1_11comp_targetILNS1_3genE9ELNS1_11target_archE1100ELNS1_3gpuE3ELNS1_3repE0EEENS1_44radix_sort_block_sort_config_static_selectorELNS0_4arch9wavefront6targetE1EEEvSH_,@function
_ZN7rocprim17ROCPRIM_400000_NS6detail17trampoline_kernelINS0_13kernel_configILj256ELj4ELj4294967295EEENS1_37radix_sort_block_sort_config_selectorIiiEEZNS1_21radix_sort_block_sortIS4_Lb1EN6thrust23THRUST_200600_302600_NS6detail15normal_iteratorINS9_10device_ptrIiEEEESE_SE_SE_NS0_19identity_decomposerEEE10hipError_tT1_T2_T3_T4_jRjT5_jjP12ihipStream_tbEUlT_E_NS1_11comp_targetILNS1_3genE9ELNS1_11target_archE1100ELNS1_3gpuE3ELNS1_3repE0EEENS1_44radix_sort_block_sort_config_static_selectorELNS0_4arch9wavefront6targetE1EEEvSH_: ; @_ZN7rocprim17ROCPRIM_400000_NS6detail17trampoline_kernelINS0_13kernel_configILj256ELj4ELj4294967295EEENS1_37radix_sort_block_sort_config_selectorIiiEEZNS1_21radix_sort_block_sortIS4_Lb1EN6thrust23THRUST_200600_302600_NS6detail15normal_iteratorINS9_10device_ptrIiEEEESE_SE_SE_NS0_19identity_decomposerEEE10hipError_tT1_T2_T3_T4_jRjT5_jjP12ihipStream_tbEUlT_E_NS1_11comp_targetILNS1_3genE9ELNS1_11target_archE1100ELNS1_3gpuE3ELNS1_3repE0EEENS1_44radix_sort_block_sort_config_static_selectorELNS0_4arch9wavefront6targetE1EEEvSH_
; %bb.0:
	.section	.rodata,"a",@progbits
	.p2align	6, 0x0
	.amdhsa_kernel _ZN7rocprim17ROCPRIM_400000_NS6detail17trampoline_kernelINS0_13kernel_configILj256ELj4ELj4294967295EEENS1_37radix_sort_block_sort_config_selectorIiiEEZNS1_21radix_sort_block_sortIS4_Lb1EN6thrust23THRUST_200600_302600_NS6detail15normal_iteratorINS9_10device_ptrIiEEEESE_SE_SE_NS0_19identity_decomposerEEE10hipError_tT1_T2_T3_T4_jRjT5_jjP12ihipStream_tbEUlT_E_NS1_11comp_targetILNS1_3genE9ELNS1_11target_archE1100ELNS1_3gpuE3ELNS1_3repE0EEENS1_44radix_sort_block_sort_config_static_selectorELNS0_4arch9wavefront6targetE1EEEvSH_
		.amdhsa_group_segment_fixed_size 0
		.amdhsa_private_segment_fixed_size 0
		.amdhsa_kernarg_size 48
		.amdhsa_user_sgpr_count 2
		.amdhsa_user_sgpr_dispatch_ptr 0
		.amdhsa_user_sgpr_queue_ptr 0
		.amdhsa_user_sgpr_kernarg_segment_ptr 1
		.amdhsa_user_sgpr_dispatch_id 0
		.amdhsa_user_sgpr_kernarg_preload_length 0
		.amdhsa_user_sgpr_kernarg_preload_offset 0
		.amdhsa_user_sgpr_private_segment_size 0
		.amdhsa_uses_dynamic_stack 0
		.amdhsa_enable_private_segment 0
		.amdhsa_system_sgpr_workgroup_id_x 1
		.amdhsa_system_sgpr_workgroup_id_y 0
		.amdhsa_system_sgpr_workgroup_id_z 0
		.amdhsa_system_sgpr_workgroup_info 0
		.amdhsa_system_vgpr_workitem_id 0
		.amdhsa_next_free_vgpr 1
		.amdhsa_next_free_sgpr 0
		.amdhsa_accum_offset 4
		.amdhsa_reserve_vcc 0
		.amdhsa_float_round_mode_32 0
		.amdhsa_float_round_mode_16_64 0
		.amdhsa_float_denorm_mode_32 3
		.amdhsa_float_denorm_mode_16_64 3
		.amdhsa_dx10_clamp 1
		.amdhsa_ieee_mode 1
		.amdhsa_fp16_overflow 0
		.amdhsa_tg_split 0
		.amdhsa_exception_fp_ieee_invalid_op 0
		.amdhsa_exception_fp_denorm_src 0
		.amdhsa_exception_fp_ieee_div_zero 0
		.amdhsa_exception_fp_ieee_overflow 0
		.amdhsa_exception_fp_ieee_underflow 0
		.amdhsa_exception_fp_ieee_inexact 0
		.amdhsa_exception_int_div_zero 0
	.end_amdhsa_kernel
	.section	.text._ZN7rocprim17ROCPRIM_400000_NS6detail17trampoline_kernelINS0_13kernel_configILj256ELj4ELj4294967295EEENS1_37radix_sort_block_sort_config_selectorIiiEEZNS1_21radix_sort_block_sortIS4_Lb1EN6thrust23THRUST_200600_302600_NS6detail15normal_iteratorINS9_10device_ptrIiEEEESE_SE_SE_NS0_19identity_decomposerEEE10hipError_tT1_T2_T3_T4_jRjT5_jjP12ihipStream_tbEUlT_E_NS1_11comp_targetILNS1_3genE9ELNS1_11target_archE1100ELNS1_3gpuE3ELNS1_3repE0EEENS1_44radix_sort_block_sort_config_static_selectorELNS0_4arch9wavefront6targetE1EEEvSH_,"axG",@progbits,_ZN7rocprim17ROCPRIM_400000_NS6detail17trampoline_kernelINS0_13kernel_configILj256ELj4ELj4294967295EEENS1_37radix_sort_block_sort_config_selectorIiiEEZNS1_21radix_sort_block_sortIS4_Lb1EN6thrust23THRUST_200600_302600_NS6detail15normal_iteratorINS9_10device_ptrIiEEEESE_SE_SE_NS0_19identity_decomposerEEE10hipError_tT1_T2_T3_T4_jRjT5_jjP12ihipStream_tbEUlT_E_NS1_11comp_targetILNS1_3genE9ELNS1_11target_archE1100ELNS1_3gpuE3ELNS1_3repE0EEENS1_44radix_sort_block_sort_config_static_selectorELNS0_4arch9wavefront6targetE1EEEvSH_,comdat
.Lfunc_end1721:
	.size	_ZN7rocprim17ROCPRIM_400000_NS6detail17trampoline_kernelINS0_13kernel_configILj256ELj4ELj4294967295EEENS1_37radix_sort_block_sort_config_selectorIiiEEZNS1_21radix_sort_block_sortIS4_Lb1EN6thrust23THRUST_200600_302600_NS6detail15normal_iteratorINS9_10device_ptrIiEEEESE_SE_SE_NS0_19identity_decomposerEEE10hipError_tT1_T2_T3_T4_jRjT5_jjP12ihipStream_tbEUlT_E_NS1_11comp_targetILNS1_3genE9ELNS1_11target_archE1100ELNS1_3gpuE3ELNS1_3repE0EEENS1_44radix_sort_block_sort_config_static_selectorELNS0_4arch9wavefront6targetE1EEEvSH_, .Lfunc_end1721-_ZN7rocprim17ROCPRIM_400000_NS6detail17trampoline_kernelINS0_13kernel_configILj256ELj4ELj4294967295EEENS1_37radix_sort_block_sort_config_selectorIiiEEZNS1_21radix_sort_block_sortIS4_Lb1EN6thrust23THRUST_200600_302600_NS6detail15normal_iteratorINS9_10device_ptrIiEEEESE_SE_SE_NS0_19identity_decomposerEEE10hipError_tT1_T2_T3_T4_jRjT5_jjP12ihipStream_tbEUlT_E_NS1_11comp_targetILNS1_3genE9ELNS1_11target_archE1100ELNS1_3gpuE3ELNS1_3repE0EEENS1_44radix_sort_block_sort_config_static_selectorELNS0_4arch9wavefront6targetE1EEEvSH_
                                        ; -- End function
	.set _ZN7rocprim17ROCPRIM_400000_NS6detail17trampoline_kernelINS0_13kernel_configILj256ELj4ELj4294967295EEENS1_37radix_sort_block_sort_config_selectorIiiEEZNS1_21radix_sort_block_sortIS4_Lb1EN6thrust23THRUST_200600_302600_NS6detail15normal_iteratorINS9_10device_ptrIiEEEESE_SE_SE_NS0_19identity_decomposerEEE10hipError_tT1_T2_T3_T4_jRjT5_jjP12ihipStream_tbEUlT_E_NS1_11comp_targetILNS1_3genE9ELNS1_11target_archE1100ELNS1_3gpuE3ELNS1_3repE0EEENS1_44radix_sort_block_sort_config_static_selectorELNS0_4arch9wavefront6targetE1EEEvSH_.num_vgpr, 0
	.set _ZN7rocprim17ROCPRIM_400000_NS6detail17trampoline_kernelINS0_13kernel_configILj256ELj4ELj4294967295EEENS1_37radix_sort_block_sort_config_selectorIiiEEZNS1_21radix_sort_block_sortIS4_Lb1EN6thrust23THRUST_200600_302600_NS6detail15normal_iteratorINS9_10device_ptrIiEEEESE_SE_SE_NS0_19identity_decomposerEEE10hipError_tT1_T2_T3_T4_jRjT5_jjP12ihipStream_tbEUlT_E_NS1_11comp_targetILNS1_3genE9ELNS1_11target_archE1100ELNS1_3gpuE3ELNS1_3repE0EEENS1_44radix_sort_block_sort_config_static_selectorELNS0_4arch9wavefront6targetE1EEEvSH_.num_agpr, 0
	.set _ZN7rocprim17ROCPRIM_400000_NS6detail17trampoline_kernelINS0_13kernel_configILj256ELj4ELj4294967295EEENS1_37radix_sort_block_sort_config_selectorIiiEEZNS1_21radix_sort_block_sortIS4_Lb1EN6thrust23THRUST_200600_302600_NS6detail15normal_iteratorINS9_10device_ptrIiEEEESE_SE_SE_NS0_19identity_decomposerEEE10hipError_tT1_T2_T3_T4_jRjT5_jjP12ihipStream_tbEUlT_E_NS1_11comp_targetILNS1_3genE9ELNS1_11target_archE1100ELNS1_3gpuE3ELNS1_3repE0EEENS1_44radix_sort_block_sort_config_static_selectorELNS0_4arch9wavefront6targetE1EEEvSH_.numbered_sgpr, 0
	.set _ZN7rocprim17ROCPRIM_400000_NS6detail17trampoline_kernelINS0_13kernel_configILj256ELj4ELj4294967295EEENS1_37radix_sort_block_sort_config_selectorIiiEEZNS1_21radix_sort_block_sortIS4_Lb1EN6thrust23THRUST_200600_302600_NS6detail15normal_iteratorINS9_10device_ptrIiEEEESE_SE_SE_NS0_19identity_decomposerEEE10hipError_tT1_T2_T3_T4_jRjT5_jjP12ihipStream_tbEUlT_E_NS1_11comp_targetILNS1_3genE9ELNS1_11target_archE1100ELNS1_3gpuE3ELNS1_3repE0EEENS1_44radix_sort_block_sort_config_static_selectorELNS0_4arch9wavefront6targetE1EEEvSH_.num_named_barrier, 0
	.set _ZN7rocprim17ROCPRIM_400000_NS6detail17trampoline_kernelINS0_13kernel_configILj256ELj4ELj4294967295EEENS1_37radix_sort_block_sort_config_selectorIiiEEZNS1_21radix_sort_block_sortIS4_Lb1EN6thrust23THRUST_200600_302600_NS6detail15normal_iteratorINS9_10device_ptrIiEEEESE_SE_SE_NS0_19identity_decomposerEEE10hipError_tT1_T2_T3_T4_jRjT5_jjP12ihipStream_tbEUlT_E_NS1_11comp_targetILNS1_3genE9ELNS1_11target_archE1100ELNS1_3gpuE3ELNS1_3repE0EEENS1_44radix_sort_block_sort_config_static_selectorELNS0_4arch9wavefront6targetE1EEEvSH_.private_seg_size, 0
	.set _ZN7rocprim17ROCPRIM_400000_NS6detail17trampoline_kernelINS0_13kernel_configILj256ELj4ELj4294967295EEENS1_37radix_sort_block_sort_config_selectorIiiEEZNS1_21radix_sort_block_sortIS4_Lb1EN6thrust23THRUST_200600_302600_NS6detail15normal_iteratorINS9_10device_ptrIiEEEESE_SE_SE_NS0_19identity_decomposerEEE10hipError_tT1_T2_T3_T4_jRjT5_jjP12ihipStream_tbEUlT_E_NS1_11comp_targetILNS1_3genE9ELNS1_11target_archE1100ELNS1_3gpuE3ELNS1_3repE0EEENS1_44radix_sort_block_sort_config_static_selectorELNS0_4arch9wavefront6targetE1EEEvSH_.uses_vcc, 0
	.set _ZN7rocprim17ROCPRIM_400000_NS6detail17trampoline_kernelINS0_13kernel_configILj256ELj4ELj4294967295EEENS1_37radix_sort_block_sort_config_selectorIiiEEZNS1_21radix_sort_block_sortIS4_Lb1EN6thrust23THRUST_200600_302600_NS6detail15normal_iteratorINS9_10device_ptrIiEEEESE_SE_SE_NS0_19identity_decomposerEEE10hipError_tT1_T2_T3_T4_jRjT5_jjP12ihipStream_tbEUlT_E_NS1_11comp_targetILNS1_3genE9ELNS1_11target_archE1100ELNS1_3gpuE3ELNS1_3repE0EEENS1_44radix_sort_block_sort_config_static_selectorELNS0_4arch9wavefront6targetE1EEEvSH_.uses_flat_scratch, 0
	.set _ZN7rocprim17ROCPRIM_400000_NS6detail17trampoline_kernelINS0_13kernel_configILj256ELj4ELj4294967295EEENS1_37radix_sort_block_sort_config_selectorIiiEEZNS1_21radix_sort_block_sortIS4_Lb1EN6thrust23THRUST_200600_302600_NS6detail15normal_iteratorINS9_10device_ptrIiEEEESE_SE_SE_NS0_19identity_decomposerEEE10hipError_tT1_T2_T3_T4_jRjT5_jjP12ihipStream_tbEUlT_E_NS1_11comp_targetILNS1_3genE9ELNS1_11target_archE1100ELNS1_3gpuE3ELNS1_3repE0EEENS1_44radix_sort_block_sort_config_static_selectorELNS0_4arch9wavefront6targetE1EEEvSH_.has_dyn_sized_stack, 0
	.set _ZN7rocprim17ROCPRIM_400000_NS6detail17trampoline_kernelINS0_13kernel_configILj256ELj4ELj4294967295EEENS1_37radix_sort_block_sort_config_selectorIiiEEZNS1_21radix_sort_block_sortIS4_Lb1EN6thrust23THRUST_200600_302600_NS6detail15normal_iteratorINS9_10device_ptrIiEEEESE_SE_SE_NS0_19identity_decomposerEEE10hipError_tT1_T2_T3_T4_jRjT5_jjP12ihipStream_tbEUlT_E_NS1_11comp_targetILNS1_3genE9ELNS1_11target_archE1100ELNS1_3gpuE3ELNS1_3repE0EEENS1_44radix_sort_block_sort_config_static_selectorELNS0_4arch9wavefront6targetE1EEEvSH_.has_recursion, 0
	.set _ZN7rocprim17ROCPRIM_400000_NS6detail17trampoline_kernelINS0_13kernel_configILj256ELj4ELj4294967295EEENS1_37radix_sort_block_sort_config_selectorIiiEEZNS1_21radix_sort_block_sortIS4_Lb1EN6thrust23THRUST_200600_302600_NS6detail15normal_iteratorINS9_10device_ptrIiEEEESE_SE_SE_NS0_19identity_decomposerEEE10hipError_tT1_T2_T3_T4_jRjT5_jjP12ihipStream_tbEUlT_E_NS1_11comp_targetILNS1_3genE9ELNS1_11target_archE1100ELNS1_3gpuE3ELNS1_3repE0EEENS1_44radix_sort_block_sort_config_static_selectorELNS0_4arch9wavefront6targetE1EEEvSH_.has_indirect_call, 0
	.section	.AMDGPU.csdata,"",@progbits
; Kernel info:
; codeLenInByte = 0
; TotalNumSgprs: 6
; NumVgprs: 0
; NumAgprs: 0
; TotalNumVgprs: 0
; ScratchSize: 0
; MemoryBound: 0
; FloatMode: 240
; IeeeMode: 1
; LDSByteSize: 0 bytes/workgroup (compile time only)
; SGPRBlocks: 0
; VGPRBlocks: 0
; NumSGPRsForWavesPerEU: 6
; NumVGPRsForWavesPerEU: 1
; AccumOffset: 4
; Occupancy: 8
; WaveLimiterHint : 0
; COMPUTE_PGM_RSRC2:SCRATCH_EN: 0
; COMPUTE_PGM_RSRC2:USER_SGPR: 2
; COMPUTE_PGM_RSRC2:TRAP_HANDLER: 0
; COMPUTE_PGM_RSRC2:TGID_X_EN: 1
; COMPUTE_PGM_RSRC2:TGID_Y_EN: 0
; COMPUTE_PGM_RSRC2:TGID_Z_EN: 0
; COMPUTE_PGM_RSRC2:TIDIG_COMP_CNT: 0
; COMPUTE_PGM_RSRC3_GFX90A:ACCUM_OFFSET: 0
; COMPUTE_PGM_RSRC3_GFX90A:TG_SPLIT: 0
	.section	.text._ZN7rocprim17ROCPRIM_400000_NS6detail17trampoline_kernelINS0_13kernel_configILj256ELj4ELj4294967295EEENS1_37radix_sort_block_sort_config_selectorIiiEEZNS1_21radix_sort_block_sortIS4_Lb1EN6thrust23THRUST_200600_302600_NS6detail15normal_iteratorINS9_10device_ptrIiEEEESE_SE_SE_NS0_19identity_decomposerEEE10hipError_tT1_T2_T3_T4_jRjT5_jjP12ihipStream_tbEUlT_E_NS1_11comp_targetILNS1_3genE8ELNS1_11target_archE1030ELNS1_3gpuE2ELNS1_3repE0EEENS1_44radix_sort_block_sort_config_static_selectorELNS0_4arch9wavefront6targetE1EEEvSH_,"axG",@progbits,_ZN7rocprim17ROCPRIM_400000_NS6detail17trampoline_kernelINS0_13kernel_configILj256ELj4ELj4294967295EEENS1_37radix_sort_block_sort_config_selectorIiiEEZNS1_21radix_sort_block_sortIS4_Lb1EN6thrust23THRUST_200600_302600_NS6detail15normal_iteratorINS9_10device_ptrIiEEEESE_SE_SE_NS0_19identity_decomposerEEE10hipError_tT1_T2_T3_T4_jRjT5_jjP12ihipStream_tbEUlT_E_NS1_11comp_targetILNS1_3genE8ELNS1_11target_archE1030ELNS1_3gpuE2ELNS1_3repE0EEENS1_44radix_sort_block_sort_config_static_selectorELNS0_4arch9wavefront6targetE1EEEvSH_,comdat
	.protected	_ZN7rocprim17ROCPRIM_400000_NS6detail17trampoline_kernelINS0_13kernel_configILj256ELj4ELj4294967295EEENS1_37radix_sort_block_sort_config_selectorIiiEEZNS1_21radix_sort_block_sortIS4_Lb1EN6thrust23THRUST_200600_302600_NS6detail15normal_iteratorINS9_10device_ptrIiEEEESE_SE_SE_NS0_19identity_decomposerEEE10hipError_tT1_T2_T3_T4_jRjT5_jjP12ihipStream_tbEUlT_E_NS1_11comp_targetILNS1_3genE8ELNS1_11target_archE1030ELNS1_3gpuE2ELNS1_3repE0EEENS1_44radix_sort_block_sort_config_static_selectorELNS0_4arch9wavefront6targetE1EEEvSH_ ; -- Begin function _ZN7rocprim17ROCPRIM_400000_NS6detail17trampoline_kernelINS0_13kernel_configILj256ELj4ELj4294967295EEENS1_37radix_sort_block_sort_config_selectorIiiEEZNS1_21radix_sort_block_sortIS4_Lb1EN6thrust23THRUST_200600_302600_NS6detail15normal_iteratorINS9_10device_ptrIiEEEESE_SE_SE_NS0_19identity_decomposerEEE10hipError_tT1_T2_T3_T4_jRjT5_jjP12ihipStream_tbEUlT_E_NS1_11comp_targetILNS1_3genE8ELNS1_11target_archE1030ELNS1_3gpuE2ELNS1_3repE0EEENS1_44radix_sort_block_sort_config_static_selectorELNS0_4arch9wavefront6targetE1EEEvSH_
	.globl	_ZN7rocprim17ROCPRIM_400000_NS6detail17trampoline_kernelINS0_13kernel_configILj256ELj4ELj4294967295EEENS1_37radix_sort_block_sort_config_selectorIiiEEZNS1_21radix_sort_block_sortIS4_Lb1EN6thrust23THRUST_200600_302600_NS6detail15normal_iteratorINS9_10device_ptrIiEEEESE_SE_SE_NS0_19identity_decomposerEEE10hipError_tT1_T2_T3_T4_jRjT5_jjP12ihipStream_tbEUlT_E_NS1_11comp_targetILNS1_3genE8ELNS1_11target_archE1030ELNS1_3gpuE2ELNS1_3repE0EEENS1_44radix_sort_block_sort_config_static_selectorELNS0_4arch9wavefront6targetE1EEEvSH_
	.p2align	8
	.type	_ZN7rocprim17ROCPRIM_400000_NS6detail17trampoline_kernelINS0_13kernel_configILj256ELj4ELj4294967295EEENS1_37radix_sort_block_sort_config_selectorIiiEEZNS1_21radix_sort_block_sortIS4_Lb1EN6thrust23THRUST_200600_302600_NS6detail15normal_iteratorINS9_10device_ptrIiEEEESE_SE_SE_NS0_19identity_decomposerEEE10hipError_tT1_T2_T3_T4_jRjT5_jjP12ihipStream_tbEUlT_E_NS1_11comp_targetILNS1_3genE8ELNS1_11target_archE1030ELNS1_3gpuE2ELNS1_3repE0EEENS1_44radix_sort_block_sort_config_static_selectorELNS0_4arch9wavefront6targetE1EEEvSH_,@function
_ZN7rocprim17ROCPRIM_400000_NS6detail17trampoline_kernelINS0_13kernel_configILj256ELj4ELj4294967295EEENS1_37radix_sort_block_sort_config_selectorIiiEEZNS1_21radix_sort_block_sortIS4_Lb1EN6thrust23THRUST_200600_302600_NS6detail15normal_iteratorINS9_10device_ptrIiEEEESE_SE_SE_NS0_19identity_decomposerEEE10hipError_tT1_T2_T3_T4_jRjT5_jjP12ihipStream_tbEUlT_E_NS1_11comp_targetILNS1_3genE8ELNS1_11target_archE1030ELNS1_3gpuE2ELNS1_3repE0EEENS1_44radix_sort_block_sort_config_static_selectorELNS0_4arch9wavefront6targetE1EEEvSH_: ; @_ZN7rocprim17ROCPRIM_400000_NS6detail17trampoline_kernelINS0_13kernel_configILj256ELj4ELj4294967295EEENS1_37radix_sort_block_sort_config_selectorIiiEEZNS1_21radix_sort_block_sortIS4_Lb1EN6thrust23THRUST_200600_302600_NS6detail15normal_iteratorINS9_10device_ptrIiEEEESE_SE_SE_NS0_19identity_decomposerEEE10hipError_tT1_T2_T3_T4_jRjT5_jjP12ihipStream_tbEUlT_E_NS1_11comp_targetILNS1_3genE8ELNS1_11target_archE1030ELNS1_3gpuE2ELNS1_3repE0EEENS1_44radix_sort_block_sort_config_static_selectorELNS0_4arch9wavefront6targetE1EEEvSH_
; %bb.0:
	.section	.rodata,"a",@progbits
	.p2align	6, 0x0
	.amdhsa_kernel _ZN7rocprim17ROCPRIM_400000_NS6detail17trampoline_kernelINS0_13kernel_configILj256ELj4ELj4294967295EEENS1_37radix_sort_block_sort_config_selectorIiiEEZNS1_21radix_sort_block_sortIS4_Lb1EN6thrust23THRUST_200600_302600_NS6detail15normal_iteratorINS9_10device_ptrIiEEEESE_SE_SE_NS0_19identity_decomposerEEE10hipError_tT1_T2_T3_T4_jRjT5_jjP12ihipStream_tbEUlT_E_NS1_11comp_targetILNS1_3genE8ELNS1_11target_archE1030ELNS1_3gpuE2ELNS1_3repE0EEENS1_44radix_sort_block_sort_config_static_selectorELNS0_4arch9wavefront6targetE1EEEvSH_
		.amdhsa_group_segment_fixed_size 0
		.amdhsa_private_segment_fixed_size 0
		.amdhsa_kernarg_size 48
		.amdhsa_user_sgpr_count 2
		.amdhsa_user_sgpr_dispatch_ptr 0
		.amdhsa_user_sgpr_queue_ptr 0
		.amdhsa_user_sgpr_kernarg_segment_ptr 1
		.amdhsa_user_sgpr_dispatch_id 0
		.amdhsa_user_sgpr_kernarg_preload_length 0
		.amdhsa_user_sgpr_kernarg_preload_offset 0
		.amdhsa_user_sgpr_private_segment_size 0
		.amdhsa_uses_dynamic_stack 0
		.amdhsa_enable_private_segment 0
		.amdhsa_system_sgpr_workgroup_id_x 1
		.amdhsa_system_sgpr_workgroup_id_y 0
		.amdhsa_system_sgpr_workgroup_id_z 0
		.amdhsa_system_sgpr_workgroup_info 0
		.amdhsa_system_vgpr_workitem_id 0
		.amdhsa_next_free_vgpr 1
		.amdhsa_next_free_sgpr 0
		.amdhsa_accum_offset 4
		.amdhsa_reserve_vcc 0
		.amdhsa_float_round_mode_32 0
		.amdhsa_float_round_mode_16_64 0
		.amdhsa_float_denorm_mode_32 3
		.amdhsa_float_denorm_mode_16_64 3
		.amdhsa_dx10_clamp 1
		.amdhsa_ieee_mode 1
		.amdhsa_fp16_overflow 0
		.amdhsa_tg_split 0
		.amdhsa_exception_fp_ieee_invalid_op 0
		.amdhsa_exception_fp_denorm_src 0
		.amdhsa_exception_fp_ieee_div_zero 0
		.amdhsa_exception_fp_ieee_overflow 0
		.amdhsa_exception_fp_ieee_underflow 0
		.amdhsa_exception_fp_ieee_inexact 0
		.amdhsa_exception_int_div_zero 0
	.end_amdhsa_kernel
	.section	.text._ZN7rocprim17ROCPRIM_400000_NS6detail17trampoline_kernelINS0_13kernel_configILj256ELj4ELj4294967295EEENS1_37radix_sort_block_sort_config_selectorIiiEEZNS1_21radix_sort_block_sortIS4_Lb1EN6thrust23THRUST_200600_302600_NS6detail15normal_iteratorINS9_10device_ptrIiEEEESE_SE_SE_NS0_19identity_decomposerEEE10hipError_tT1_T2_T3_T4_jRjT5_jjP12ihipStream_tbEUlT_E_NS1_11comp_targetILNS1_3genE8ELNS1_11target_archE1030ELNS1_3gpuE2ELNS1_3repE0EEENS1_44radix_sort_block_sort_config_static_selectorELNS0_4arch9wavefront6targetE1EEEvSH_,"axG",@progbits,_ZN7rocprim17ROCPRIM_400000_NS6detail17trampoline_kernelINS0_13kernel_configILj256ELj4ELj4294967295EEENS1_37radix_sort_block_sort_config_selectorIiiEEZNS1_21radix_sort_block_sortIS4_Lb1EN6thrust23THRUST_200600_302600_NS6detail15normal_iteratorINS9_10device_ptrIiEEEESE_SE_SE_NS0_19identity_decomposerEEE10hipError_tT1_T2_T3_T4_jRjT5_jjP12ihipStream_tbEUlT_E_NS1_11comp_targetILNS1_3genE8ELNS1_11target_archE1030ELNS1_3gpuE2ELNS1_3repE0EEENS1_44radix_sort_block_sort_config_static_selectorELNS0_4arch9wavefront6targetE1EEEvSH_,comdat
.Lfunc_end1722:
	.size	_ZN7rocprim17ROCPRIM_400000_NS6detail17trampoline_kernelINS0_13kernel_configILj256ELj4ELj4294967295EEENS1_37radix_sort_block_sort_config_selectorIiiEEZNS1_21radix_sort_block_sortIS4_Lb1EN6thrust23THRUST_200600_302600_NS6detail15normal_iteratorINS9_10device_ptrIiEEEESE_SE_SE_NS0_19identity_decomposerEEE10hipError_tT1_T2_T3_T4_jRjT5_jjP12ihipStream_tbEUlT_E_NS1_11comp_targetILNS1_3genE8ELNS1_11target_archE1030ELNS1_3gpuE2ELNS1_3repE0EEENS1_44radix_sort_block_sort_config_static_selectorELNS0_4arch9wavefront6targetE1EEEvSH_, .Lfunc_end1722-_ZN7rocprim17ROCPRIM_400000_NS6detail17trampoline_kernelINS0_13kernel_configILj256ELj4ELj4294967295EEENS1_37radix_sort_block_sort_config_selectorIiiEEZNS1_21radix_sort_block_sortIS4_Lb1EN6thrust23THRUST_200600_302600_NS6detail15normal_iteratorINS9_10device_ptrIiEEEESE_SE_SE_NS0_19identity_decomposerEEE10hipError_tT1_T2_T3_T4_jRjT5_jjP12ihipStream_tbEUlT_E_NS1_11comp_targetILNS1_3genE8ELNS1_11target_archE1030ELNS1_3gpuE2ELNS1_3repE0EEENS1_44radix_sort_block_sort_config_static_selectorELNS0_4arch9wavefront6targetE1EEEvSH_
                                        ; -- End function
	.set _ZN7rocprim17ROCPRIM_400000_NS6detail17trampoline_kernelINS0_13kernel_configILj256ELj4ELj4294967295EEENS1_37radix_sort_block_sort_config_selectorIiiEEZNS1_21radix_sort_block_sortIS4_Lb1EN6thrust23THRUST_200600_302600_NS6detail15normal_iteratorINS9_10device_ptrIiEEEESE_SE_SE_NS0_19identity_decomposerEEE10hipError_tT1_T2_T3_T4_jRjT5_jjP12ihipStream_tbEUlT_E_NS1_11comp_targetILNS1_3genE8ELNS1_11target_archE1030ELNS1_3gpuE2ELNS1_3repE0EEENS1_44radix_sort_block_sort_config_static_selectorELNS0_4arch9wavefront6targetE1EEEvSH_.num_vgpr, 0
	.set _ZN7rocprim17ROCPRIM_400000_NS6detail17trampoline_kernelINS0_13kernel_configILj256ELj4ELj4294967295EEENS1_37radix_sort_block_sort_config_selectorIiiEEZNS1_21radix_sort_block_sortIS4_Lb1EN6thrust23THRUST_200600_302600_NS6detail15normal_iteratorINS9_10device_ptrIiEEEESE_SE_SE_NS0_19identity_decomposerEEE10hipError_tT1_T2_T3_T4_jRjT5_jjP12ihipStream_tbEUlT_E_NS1_11comp_targetILNS1_3genE8ELNS1_11target_archE1030ELNS1_3gpuE2ELNS1_3repE0EEENS1_44radix_sort_block_sort_config_static_selectorELNS0_4arch9wavefront6targetE1EEEvSH_.num_agpr, 0
	.set _ZN7rocprim17ROCPRIM_400000_NS6detail17trampoline_kernelINS0_13kernel_configILj256ELj4ELj4294967295EEENS1_37radix_sort_block_sort_config_selectorIiiEEZNS1_21radix_sort_block_sortIS4_Lb1EN6thrust23THRUST_200600_302600_NS6detail15normal_iteratorINS9_10device_ptrIiEEEESE_SE_SE_NS0_19identity_decomposerEEE10hipError_tT1_T2_T3_T4_jRjT5_jjP12ihipStream_tbEUlT_E_NS1_11comp_targetILNS1_3genE8ELNS1_11target_archE1030ELNS1_3gpuE2ELNS1_3repE0EEENS1_44radix_sort_block_sort_config_static_selectorELNS0_4arch9wavefront6targetE1EEEvSH_.numbered_sgpr, 0
	.set _ZN7rocprim17ROCPRIM_400000_NS6detail17trampoline_kernelINS0_13kernel_configILj256ELj4ELj4294967295EEENS1_37radix_sort_block_sort_config_selectorIiiEEZNS1_21radix_sort_block_sortIS4_Lb1EN6thrust23THRUST_200600_302600_NS6detail15normal_iteratorINS9_10device_ptrIiEEEESE_SE_SE_NS0_19identity_decomposerEEE10hipError_tT1_T2_T3_T4_jRjT5_jjP12ihipStream_tbEUlT_E_NS1_11comp_targetILNS1_3genE8ELNS1_11target_archE1030ELNS1_3gpuE2ELNS1_3repE0EEENS1_44radix_sort_block_sort_config_static_selectorELNS0_4arch9wavefront6targetE1EEEvSH_.num_named_barrier, 0
	.set _ZN7rocprim17ROCPRIM_400000_NS6detail17trampoline_kernelINS0_13kernel_configILj256ELj4ELj4294967295EEENS1_37radix_sort_block_sort_config_selectorIiiEEZNS1_21radix_sort_block_sortIS4_Lb1EN6thrust23THRUST_200600_302600_NS6detail15normal_iteratorINS9_10device_ptrIiEEEESE_SE_SE_NS0_19identity_decomposerEEE10hipError_tT1_T2_T3_T4_jRjT5_jjP12ihipStream_tbEUlT_E_NS1_11comp_targetILNS1_3genE8ELNS1_11target_archE1030ELNS1_3gpuE2ELNS1_3repE0EEENS1_44radix_sort_block_sort_config_static_selectorELNS0_4arch9wavefront6targetE1EEEvSH_.private_seg_size, 0
	.set _ZN7rocprim17ROCPRIM_400000_NS6detail17trampoline_kernelINS0_13kernel_configILj256ELj4ELj4294967295EEENS1_37radix_sort_block_sort_config_selectorIiiEEZNS1_21radix_sort_block_sortIS4_Lb1EN6thrust23THRUST_200600_302600_NS6detail15normal_iteratorINS9_10device_ptrIiEEEESE_SE_SE_NS0_19identity_decomposerEEE10hipError_tT1_T2_T3_T4_jRjT5_jjP12ihipStream_tbEUlT_E_NS1_11comp_targetILNS1_3genE8ELNS1_11target_archE1030ELNS1_3gpuE2ELNS1_3repE0EEENS1_44radix_sort_block_sort_config_static_selectorELNS0_4arch9wavefront6targetE1EEEvSH_.uses_vcc, 0
	.set _ZN7rocprim17ROCPRIM_400000_NS6detail17trampoline_kernelINS0_13kernel_configILj256ELj4ELj4294967295EEENS1_37radix_sort_block_sort_config_selectorIiiEEZNS1_21radix_sort_block_sortIS4_Lb1EN6thrust23THRUST_200600_302600_NS6detail15normal_iteratorINS9_10device_ptrIiEEEESE_SE_SE_NS0_19identity_decomposerEEE10hipError_tT1_T2_T3_T4_jRjT5_jjP12ihipStream_tbEUlT_E_NS1_11comp_targetILNS1_3genE8ELNS1_11target_archE1030ELNS1_3gpuE2ELNS1_3repE0EEENS1_44radix_sort_block_sort_config_static_selectorELNS0_4arch9wavefront6targetE1EEEvSH_.uses_flat_scratch, 0
	.set _ZN7rocprim17ROCPRIM_400000_NS6detail17trampoline_kernelINS0_13kernel_configILj256ELj4ELj4294967295EEENS1_37radix_sort_block_sort_config_selectorIiiEEZNS1_21radix_sort_block_sortIS4_Lb1EN6thrust23THRUST_200600_302600_NS6detail15normal_iteratorINS9_10device_ptrIiEEEESE_SE_SE_NS0_19identity_decomposerEEE10hipError_tT1_T2_T3_T4_jRjT5_jjP12ihipStream_tbEUlT_E_NS1_11comp_targetILNS1_3genE8ELNS1_11target_archE1030ELNS1_3gpuE2ELNS1_3repE0EEENS1_44radix_sort_block_sort_config_static_selectorELNS0_4arch9wavefront6targetE1EEEvSH_.has_dyn_sized_stack, 0
	.set _ZN7rocprim17ROCPRIM_400000_NS6detail17trampoline_kernelINS0_13kernel_configILj256ELj4ELj4294967295EEENS1_37radix_sort_block_sort_config_selectorIiiEEZNS1_21radix_sort_block_sortIS4_Lb1EN6thrust23THRUST_200600_302600_NS6detail15normal_iteratorINS9_10device_ptrIiEEEESE_SE_SE_NS0_19identity_decomposerEEE10hipError_tT1_T2_T3_T4_jRjT5_jjP12ihipStream_tbEUlT_E_NS1_11comp_targetILNS1_3genE8ELNS1_11target_archE1030ELNS1_3gpuE2ELNS1_3repE0EEENS1_44radix_sort_block_sort_config_static_selectorELNS0_4arch9wavefront6targetE1EEEvSH_.has_recursion, 0
	.set _ZN7rocprim17ROCPRIM_400000_NS6detail17trampoline_kernelINS0_13kernel_configILj256ELj4ELj4294967295EEENS1_37radix_sort_block_sort_config_selectorIiiEEZNS1_21radix_sort_block_sortIS4_Lb1EN6thrust23THRUST_200600_302600_NS6detail15normal_iteratorINS9_10device_ptrIiEEEESE_SE_SE_NS0_19identity_decomposerEEE10hipError_tT1_T2_T3_T4_jRjT5_jjP12ihipStream_tbEUlT_E_NS1_11comp_targetILNS1_3genE8ELNS1_11target_archE1030ELNS1_3gpuE2ELNS1_3repE0EEENS1_44radix_sort_block_sort_config_static_selectorELNS0_4arch9wavefront6targetE1EEEvSH_.has_indirect_call, 0
	.section	.AMDGPU.csdata,"",@progbits
; Kernel info:
; codeLenInByte = 0
; TotalNumSgprs: 6
; NumVgprs: 0
; NumAgprs: 0
; TotalNumVgprs: 0
; ScratchSize: 0
; MemoryBound: 0
; FloatMode: 240
; IeeeMode: 1
; LDSByteSize: 0 bytes/workgroup (compile time only)
; SGPRBlocks: 0
; VGPRBlocks: 0
; NumSGPRsForWavesPerEU: 6
; NumVGPRsForWavesPerEU: 1
; AccumOffset: 4
; Occupancy: 8
; WaveLimiterHint : 0
; COMPUTE_PGM_RSRC2:SCRATCH_EN: 0
; COMPUTE_PGM_RSRC2:USER_SGPR: 2
; COMPUTE_PGM_RSRC2:TRAP_HANDLER: 0
; COMPUTE_PGM_RSRC2:TGID_X_EN: 1
; COMPUTE_PGM_RSRC2:TGID_Y_EN: 0
; COMPUTE_PGM_RSRC2:TGID_Z_EN: 0
; COMPUTE_PGM_RSRC2:TIDIG_COMP_CNT: 0
; COMPUTE_PGM_RSRC3_GFX90A:ACCUM_OFFSET: 0
; COMPUTE_PGM_RSRC3_GFX90A:TG_SPLIT: 0
	.section	.text._ZN7rocprim17ROCPRIM_400000_NS6detail17trampoline_kernelINS0_14default_configENS1_38merge_sort_block_merge_config_selectorIiiEEZZNS1_27merge_sort_block_merge_implIS3_N6thrust23THRUST_200600_302600_NS6detail15normal_iteratorINS8_10device_ptrIiEEEESD_jNS1_19radix_merge_compareILb1ELb0EiNS0_19identity_decomposerEEEEE10hipError_tT0_T1_T2_jT3_P12ihipStream_tbPNSt15iterator_traitsISI_E10value_typeEPNSO_ISJ_E10value_typeEPSK_NS1_7vsmem_tEENKUlT_SI_SJ_SK_E_clIPiSD_S10_SD_EESH_SX_SI_SJ_SK_EUlSX_E_NS1_11comp_targetILNS1_3genE0ELNS1_11target_archE4294967295ELNS1_3gpuE0ELNS1_3repE0EEENS1_48merge_mergepath_partition_config_static_selectorELNS0_4arch9wavefront6targetE1EEEvSJ_,"axG",@progbits,_ZN7rocprim17ROCPRIM_400000_NS6detail17trampoline_kernelINS0_14default_configENS1_38merge_sort_block_merge_config_selectorIiiEEZZNS1_27merge_sort_block_merge_implIS3_N6thrust23THRUST_200600_302600_NS6detail15normal_iteratorINS8_10device_ptrIiEEEESD_jNS1_19radix_merge_compareILb1ELb0EiNS0_19identity_decomposerEEEEE10hipError_tT0_T1_T2_jT3_P12ihipStream_tbPNSt15iterator_traitsISI_E10value_typeEPNSO_ISJ_E10value_typeEPSK_NS1_7vsmem_tEENKUlT_SI_SJ_SK_E_clIPiSD_S10_SD_EESH_SX_SI_SJ_SK_EUlSX_E_NS1_11comp_targetILNS1_3genE0ELNS1_11target_archE4294967295ELNS1_3gpuE0ELNS1_3repE0EEENS1_48merge_mergepath_partition_config_static_selectorELNS0_4arch9wavefront6targetE1EEEvSJ_,comdat
	.protected	_ZN7rocprim17ROCPRIM_400000_NS6detail17trampoline_kernelINS0_14default_configENS1_38merge_sort_block_merge_config_selectorIiiEEZZNS1_27merge_sort_block_merge_implIS3_N6thrust23THRUST_200600_302600_NS6detail15normal_iteratorINS8_10device_ptrIiEEEESD_jNS1_19radix_merge_compareILb1ELb0EiNS0_19identity_decomposerEEEEE10hipError_tT0_T1_T2_jT3_P12ihipStream_tbPNSt15iterator_traitsISI_E10value_typeEPNSO_ISJ_E10value_typeEPSK_NS1_7vsmem_tEENKUlT_SI_SJ_SK_E_clIPiSD_S10_SD_EESH_SX_SI_SJ_SK_EUlSX_E_NS1_11comp_targetILNS1_3genE0ELNS1_11target_archE4294967295ELNS1_3gpuE0ELNS1_3repE0EEENS1_48merge_mergepath_partition_config_static_selectorELNS0_4arch9wavefront6targetE1EEEvSJ_ ; -- Begin function _ZN7rocprim17ROCPRIM_400000_NS6detail17trampoline_kernelINS0_14default_configENS1_38merge_sort_block_merge_config_selectorIiiEEZZNS1_27merge_sort_block_merge_implIS3_N6thrust23THRUST_200600_302600_NS6detail15normal_iteratorINS8_10device_ptrIiEEEESD_jNS1_19radix_merge_compareILb1ELb0EiNS0_19identity_decomposerEEEEE10hipError_tT0_T1_T2_jT3_P12ihipStream_tbPNSt15iterator_traitsISI_E10value_typeEPNSO_ISJ_E10value_typeEPSK_NS1_7vsmem_tEENKUlT_SI_SJ_SK_E_clIPiSD_S10_SD_EESH_SX_SI_SJ_SK_EUlSX_E_NS1_11comp_targetILNS1_3genE0ELNS1_11target_archE4294967295ELNS1_3gpuE0ELNS1_3repE0EEENS1_48merge_mergepath_partition_config_static_selectorELNS0_4arch9wavefront6targetE1EEEvSJ_
	.globl	_ZN7rocprim17ROCPRIM_400000_NS6detail17trampoline_kernelINS0_14default_configENS1_38merge_sort_block_merge_config_selectorIiiEEZZNS1_27merge_sort_block_merge_implIS3_N6thrust23THRUST_200600_302600_NS6detail15normal_iteratorINS8_10device_ptrIiEEEESD_jNS1_19radix_merge_compareILb1ELb0EiNS0_19identity_decomposerEEEEE10hipError_tT0_T1_T2_jT3_P12ihipStream_tbPNSt15iterator_traitsISI_E10value_typeEPNSO_ISJ_E10value_typeEPSK_NS1_7vsmem_tEENKUlT_SI_SJ_SK_E_clIPiSD_S10_SD_EESH_SX_SI_SJ_SK_EUlSX_E_NS1_11comp_targetILNS1_3genE0ELNS1_11target_archE4294967295ELNS1_3gpuE0ELNS1_3repE0EEENS1_48merge_mergepath_partition_config_static_selectorELNS0_4arch9wavefront6targetE1EEEvSJ_
	.p2align	8
	.type	_ZN7rocprim17ROCPRIM_400000_NS6detail17trampoline_kernelINS0_14default_configENS1_38merge_sort_block_merge_config_selectorIiiEEZZNS1_27merge_sort_block_merge_implIS3_N6thrust23THRUST_200600_302600_NS6detail15normal_iteratorINS8_10device_ptrIiEEEESD_jNS1_19radix_merge_compareILb1ELb0EiNS0_19identity_decomposerEEEEE10hipError_tT0_T1_T2_jT3_P12ihipStream_tbPNSt15iterator_traitsISI_E10value_typeEPNSO_ISJ_E10value_typeEPSK_NS1_7vsmem_tEENKUlT_SI_SJ_SK_E_clIPiSD_S10_SD_EESH_SX_SI_SJ_SK_EUlSX_E_NS1_11comp_targetILNS1_3genE0ELNS1_11target_archE4294967295ELNS1_3gpuE0ELNS1_3repE0EEENS1_48merge_mergepath_partition_config_static_selectorELNS0_4arch9wavefront6targetE1EEEvSJ_,@function
_ZN7rocprim17ROCPRIM_400000_NS6detail17trampoline_kernelINS0_14default_configENS1_38merge_sort_block_merge_config_selectorIiiEEZZNS1_27merge_sort_block_merge_implIS3_N6thrust23THRUST_200600_302600_NS6detail15normal_iteratorINS8_10device_ptrIiEEEESD_jNS1_19radix_merge_compareILb1ELb0EiNS0_19identity_decomposerEEEEE10hipError_tT0_T1_T2_jT3_P12ihipStream_tbPNSt15iterator_traitsISI_E10value_typeEPNSO_ISJ_E10value_typeEPSK_NS1_7vsmem_tEENKUlT_SI_SJ_SK_E_clIPiSD_S10_SD_EESH_SX_SI_SJ_SK_EUlSX_E_NS1_11comp_targetILNS1_3genE0ELNS1_11target_archE4294967295ELNS1_3gpuE0ELNS1_3repE0EEENS1_48merge_mergepath_partition_config_static_selectorELNS0_4arch9wavefront6targetE1EEEvSJ_: ; @_ZN7rocprim17ROCPRIM_400000_NS6detail17trampoline_kernelINS0_14default_configENS1_38merge_sort_block_merge_config_selectorIiiEEZZNS1_27merge_sort_block_merge_implIS3_N6thrust23THRUST_200600_302600_NS6detail15normal_iteratorINS8_10device_ptrIiEEEESD_jNS1_19radix_merge_compareILb1ELb0EiNS0_19identity_decomposerEEEEE10hipError_tT0_T1_T2_jT3_P12ihipStream_tbPNSt15iterator_traitsISI_E10value_typeEPNSO_ISJ_E10value_typeEPSK_NS1_7vsmem_tEENKUlT_SI_SJ_SK_E_clIPiSD_S10_SD_EESH_SX_SI_SJ_SK_EUlSX_E_NS1_11comp_targetILNS1_3genE0ELNS1_11target_archE4294967295ELNS1_3gpuE0ELNS1_3repE0EEENS1_48merge_mergepath_partition_config_static_selectorELNS0_4arch9wavefront6targetE1EEEvSJ_
; %bb.0:
	s_load_dword s3, s[0:1], 0x0
	v_lshl_or_b32 v0, s2, 7, v0
	s_waitcnt lgkmcnt(0)
	v_cmp_gt_u32_e32 vcc, s3, v0
	s_and_saveexec_b64 s[2:3], vcc
	s_cbranch_execz .LBB1723_6
; %bb.1:
	s_load_dwordx2 s[4:5], s[0:1], 0x4
	s_load_dwordx2 s[2:3], s[0:1], 0x20
	s_waitcnt lgkmcnt(0)
	s_lshr_b32 s6, s4, 9
	s_and_b32 s6, s6, 0x7ffffe
	s_add_i32 s7, s6, -1
	s_sub_i32 s6, 0, s6
	v_and_b32_e32 v1, s6, v0
	v_lshlrev_b32_e32 v1, 10, v1
	v_min_u32_e32 v2, s5, v1
	v_add_u32_e32 v1, s4, v1
	v_min_u32_e32 v4, s5, v1
	v_add_u32_e32 v1, s4, v4
	v_and_b32_e32 v3, s7, v0
	v_min_u32_e32 v1, s5, v1
	v_sub_u32_e32 v5, v1, v2
	v_lshlrev_b32_e32 v3, 10, v3
	v_min_u32_e32 v10, v5, v3
	v_sub_u32_e32 v3, v4, v2
	v_sub_u32_e32 v1, v1, v4
	v_sub_u32_e64 v1, v10, v1 clamp
	v_min_u32_e32 v11, v10, v3
	v_cmp_lt_u32_e32 vcc, v1, v11
	s_and_saveexec_b64 s[4:5], vcc
	s_cbranch_execz .LBB1723_5
; %bb.2:
	s_load_dwordx2 s[0:1], s[0:1], 0x10
	v_mov_b32_e32 v5, 0
	v_mov_b32_e32 v3, v5
	s_waitcnt lgkmcnt(0)
	v_lshl_add_u64 v[6:7], v[2:3], 2, s[0:1]
	v_lshl_add_u64 v[8:9], v[4:5], 2, s[0:1]
	s_mov_b64 s[0:1], 0
.LBB1723_3:                             ; =>This Inner Loop Header: Depth=1
	v_add_u32_e32 v3, v11, v1
	v_lshrrev_b32_e32 v4, 1, v3
	v_mov_b32_e32 v13, v5
	v_xad_u32 v12, v4, -1, v10
	v_lshl_add_u64 v[14:15], v[4:5], 2, v[6:7]
	v_lshl_add_u64 v[12:13], v[12:13], 2, v[8:9]
	global_load_dword v3, v[14:15], off
	global_load_dword v16, v[12:13], off
	v_add_u32_e32 v12, 1, v4
	s_waitcnt vmcnt(0)
	v_cmp_gt_i32_e32 vcc, v16, v3
	s_nop 1
	v_cndmask_b32_e32 v11, v11, v4, vcc
	v_cndmask_b32_e32 v1, v12, v1, vcc
	v_cmp_ge_u32_e32 vcc, v1, v11
	s_or_b64 s[0:1], vcc, s[0:1]
	s_andn2_b64 exec, exec, s[0:1]
	s_cbranch_execnz .LBB1723_3
; %bb.4:
	s_or_b64 exec, exec, s[0:1]
.LBB1723_5:
	s_or_b64 exec, exec, s[4:5]
	v_add_u32_e32 v2, v1, v2
	v_mov_b32_e32 v1, 0
	v_lshl_add_u64 v[0:1], v[0:1], 2, s[2:3]
	global_store_dword v[0:1], v2, off
.LBB1723_6:
	s_endpgm
	.section	.rodata,"a",@progbits
	.p2align	6, 0x0
	.amdhsa_kernel _ZN7rocprim17ROCPRIM_400000_NS6detail17trampoline_kernelINS0_14default_configENS1_38merge_sort_block_merge_config_selectorIiiEEZZNS1_27merge_sort_block_merge_implIS3_N6thrust23THRUST_200600_302600_NS6detail15normal_iteratorINS8_10device_ptrIiEEEESD_jNS1_19radix_merge_compareILb1ELb0EiNS0_19identity_decomposerEEEEE10hipError_tT0_T1_T2_jT3_P12ihipStream_tbPNSt15iterator_traitsISI_E10value_typeEPNSO_ISJ_E10value_typeEPSK_NS1_7vsmem_tEENKUlT_SI_SJ_SK_E_clIPiSD_S10_SD_EESH_SX_SI_SJ_SK_EUlSX_E_NS1_11comp_targetILNS1_3genE0ELNS1_11target_archE4294967295ELNS1_3gpuE0ELNS1_3repE0EEENS1_48merge_mergepath_partition_config_static_selectorELNS0_4arch9wavefront6targetE1EEEvSJ_
		.amdhsa_group_segment_fixed_size 0
		.amdhsa_private_segment_fixed_size 0
		.amdhsa_kernarg_size 40
		.amdhsa_user_sgpr_count 2
		.amdhsa_user_sgpr_dispatch_ptr 0
		.amdhsa_user_sgpr_queue_ptr 0
		.amdhsa_user_sgpr_kernarg_segment_ptr 1
		.amdhsa_user_sgpr_dispatch_id 0
		.amdhsa_user_sgpr_kernarg_preload_length 0
		.amdhsa_user_sgpr_kernarg_preload_offset 0
		.amdhsa_user_sgpr_private_segment_size 0
		.amdhsa_uses_dynamic_stack 0
		.amdhsa_enable_private_segment 0
		.amdhsa_system_sgpr_workgroup_id_x 1
		.amdhsa_system_sgpr_workgroup_id_y 0
		.amdhsa_system_sgpr_workgroup_id_z 0
		.amdhsa_system_sgpr_workgroup_info 0
		.amdhsa_system_vgpr_workitem_id 0
		.amdhsa_next_free_vgpr 17
		.amdhsa_next_free_sgpr 8
		.amdhsa_accum_offset 20
		.amdhsa_reserve_vcc 1
		.amdhsa_float_round_mode_32 0
		.amdhsa_float_round_mode_16_64 0
		.amdhsa_float_denorm_mode_32 3
		.amdhsa_float_denorm_mode_16_64 3
		.amdhsa_dx10_clamp 1
		.amdhsa_ieee_mode 1
		.amdhsa_fp16_overflow 0
		.amdhsa_tg_split 0
		.amdhsa_exception_fp_ieee_invalid_op 0
		.amdhsa_exception_fp_denorm_src 0
		.amdhsa_exception_fp_ieee_div_zero 0
		.amdhsa_exception_fp_ieee_overflow 0
		.amdhsa_exception_fp_ieee_underflow 0
		.amdhsa_exception_fp_ieee_inexact 0
		.amdhsa_exception_int_div_zero 0
	.end_amdhsa_kernel
	.section	.text._ZN7rocprim17ROCPRIM_400000_NS6detail17trampoline_kernelINS0_14default_configENS1_38merge_sort_block_merge_config_selectorIiiEEZZNS1_27merge_sort_block_merge_implIS3_N6thrust23THRUST_200600_302600_NS6detail15normal_iteratorINS8_10device_ptrIiEEEESD_jNS1_19radix_merge_compareILb1ELb0EiNS0_19identity_decomposerEEEEE10hipError_tT0_T1_T2_jT3_P12ihipStream_tbPNSt15iterator_traitsISI_E10value_typeEPNSO_ISJ_E10value_typeEPSK_NS1_7vsmem_tEENKUlT_SI_SJ_SK_E_clIPiSD_S10_SD_EESH_SX_SI_SJ_SK_EUlSX_E_NS1_11comp_targetILNS1_3genE0ELNS1_11target_archE4294967295ELNS1_3gpuE0ELNS1_3repE0EEENS1_48merge_mergepath_partition_config_static_selectorELNS0_4arch9wavefront6targetE1EEEvSJ_,"axG",@progbits,_ZN7rocprim17ROCPRIM_400000_NS6detail17trampoline_kernelINS0_14default_configENS1_38merge_sort_block_merge_config_selectorIiiEEZZNS1_27merge_sort_block_merge_implIS3_N6thrust23THRUST_200600_302600_NS6detail15normal_iteratorINS8_10device_ptrIiEEEESD_jNS1_19radix_merge_compareILb1ELb0EiNS0_19identity_decomposerEEEEE10hipError_tT0_T1_T2_jT3_P12ihipStream_tbPNSt15iterator_traitsISI_E10value_typeEPNSO_ISJ_E10value_typeEPSK_NS1_7vsmem_tEENKUlT_SI_SJ_SK_E_clIPiSD_S10_SD_EESH_SX_SI_SJ_SK_EUlSX_E_NS1_11comp_targetILNS1_3genE0ELNS1_11target_archE4294967295ELNS1_3gpuE0ELNS1_3repE0EEENS1_48merge_mergepath_partition_config_static_selectorELNS0_4arch9wavefront6targetE1EEEvSJ_,comdat
.Lfunc_end1723:
	.size	_ZN7rocprim17ROCPRIM_400000_NS6detail17trampoline_kernelINS0_14default_configENS1_38merge_sort_block_merge_config_selectorIiiEEZZNS1_27merge_sort_block_merge_implIS3_N6thrust23THRUST_200600_302600_NS6detail15normal_iteratorINS8_10device_ptrIiEEEESD_jNS1_19radix_merge_compareILb1ELb0EiNS0_19identity_decomposerEEEEE10hipError_tT0_T1_T2_jT3_P12ihipStream_tbPNSt15iterator_traitsISI_E10value_typeEPNSO_ISJ_E10value_typeEPSK_NS1_7vsmem_tEENKUlT_SI_SJ_SK_E_clIPiSD_S10_SD_EESH_SX_SI_SJ_SK_EUlSX_E_NS1_11comp_targetILNS1_3genE0ELNS1_11target_archE4294967295ELNS1_3gpuE0ELNS1_3repE0EEENS1_48merge_mergepath_partition_config_static_selectorELNS0_4arch9wavefront6targetE1EEEvSJ_, .Lfunc_end1723-_ZN7rocprim17ROCPRIM_400000_NS6detail17trampoline_kernelINS0_14default_configENS1_38merge_sort_block_merge_config_selectorIiiEEZZNS1_27merge_sort_block_merge_implIS3_N6thrust23THRUST_200600_302600_NS6detail15normal_iteratorINS8_10device_ptrIiEEEESD_jNS1_19radix_merge_compareILb1ELb0EiNS0_19identity_decomposerEEEEE10hipError_tT0_T1_T2_jT3_P12ihipStream_tbPNSt15iterator_traitsISI_E10value_typeEPNSO_ISJ_E10value_typeEPSK_NS1_7vsmem_tEENKUlT_SI_SJ_SK_E_clIPiSD_S10_SD_EESH_SX_SI_SJ_SK_EUlSX_E_NS1_11comp_targetILNS1_3genE0ELNS1_11target_archE4294967295ELNS1_3gpuE0ELNS1_3repE0EEENS1_48merge_mergepath_partition_config_static_selectorELNS0_4arch9wavefront6targetE1EEEvSJ_
                                        ; -- End function
	.set _ZN7rocprim17ROCPRIM_400000_NS6detail17trampoline_kernelINS0_14default_configENS1_38merge_sort_block_merge_config_selectorIiiEEZZNS1_27merge_sort_block_merge_implIS3_N6thrust23THRUST_200600_302600_NS6detail15normal_iteratorINS8_10device_ptrIiEEEESD_jNS1_19radix_merge_compareILb1ELb0EiNS0_19identity_decomposerEEEEE10hipError_tT0_T1_T2_jT3_P12ihipStream_tbPNSt15iterator_traitsISI_E10value_typeEPNSO_ISJ_E10value_typeEPSK_NS1_7vsmem_tEENKUlT_SI_SJ_SK_E_clIPiSD_S10_SD_EESH_SX_SI_SJ_SK_EUlSX_E_NS1_11comp_targetILNS1_3genE0ELNS1_11target_archE4294967295ELNS1_3gpuE0ELNS1_3repE0EEENS1_48merge_mergepath_partition_config_static_selectorELNS0_4arch9wavefront6targetE1EEEvSJ_.num_vgpr, 17
	.set _ZN7rocprim17ROCPRIM_400000_NS6detail17trampoline_kernelINS0_14default_configENS1_38merge_sort_block_merge_config_selectorIiiEEZZNS1_27merge_sort_block_merge_implIS3_N6thrust23THRUST_200600_302600_NS6detail15normal_iteratorINS8_10device_ptrIiEEEESD_jNS1_19radix_merge_compareILb1ELb0EiNS0_19identity_decomposerEEEEE10hipError_tT0_T1_T2_jT3_P12ihipStream_tbPNSt15iterator_traitsISI_E10value_typeEPNSO_ISJ_E10value_typeEPSK_NS1_7vsmem_tEENKUlT_SI_SJ_SK_E_clIPiSD_S10_SD_EESH_SX_SI_SJ_SK_EUlSX_E_NS1_11comp_targetILNS1_3genE0ELNS1_11target_archE4294967295ELNS1_3gpuE0ELNS1_3repE0EEENS1_48merge_mergepath_partition_config_static_selectorELNS0_4arch9wavefront6targetE1EEEvSJ_.num_agpr, 0
	.set _ZN7rocprim17ROCPRIM_400000_NS6detail17trampoline_kernelINS0_14default_configENS1_38merge_sort_block_merge_config_selectorIiiEEZZNS1_27merge_sort_block_merge_implIS3_N6thrust23THRUST_200600_302600_NS6detail15normal_iteratorINS8_10device_ptrIiEEEESD_jNS1_19radix_merge_compareILb1ELb0EiNS0_19identity_decomposerEEEEE10hipError_tT0_T1_T2_jT3_P12ihipStream_tbPNSt15iterator_traitsISI_E10value_typeEPNSO_ISJ_E10value_typeEPSK_NS1_7vsmem_tEENKUlT_SI_SJ_SK_E_clIPiSD_S10_SD_EESH_SX_SI_SJ_SK_EUlSX_E_NS1_11comp_targetILNS1_3genE0ELNS1_11target_archE4294967295ELNS1_3gpuE0ELNS1_3repE0EEENS1_48merge_mergepath_partition_config_static_selectorELNS0_4arch9wavefront6targetE1EEEvSJ_.numbered_sgpr, 8
	.set _ZN7rocprim17ROCPRIM_400000_NS6detail17trampoline_kernelINS0_14default_configENS1_38merge_sort_block_merge_config_selectorIiiEEZZNS1_27merge_sort_block_merge_implIS3_N6thrust23THRUST_200600_302600_NS6detail15normal_iteratorINS8_10device_ptrIiEEEESD_jNS1_19radix_merge_compareILb1ELb0EiNS0_19identity_decomposerEEEEE10hipError_tT0_T1_T2_jT3_P12ihipStream_tbPNSt15iterator_traitsISI_E10value_typeEPNSO_ISJ_E10value_typeEPSK_NS1_7vsmem_tEENKUlT_SI_SJ_SK_E_clIPiSD_S10_SD_EESH_SX_SI_SJ_SK_EUlSX_E_NS1_11comp_targetILNS1_3genE0ELNS1_11target_archE4294967295ELNS1_3gpuE0ELNS1_3repE0EEENS1_48merge_mergepath_partition_config_static_selectorELNS0_4arch9wavefront6targetE1EEEvSJ_.num_named_barrier, 0
	.set _ZN7rocprim17ROCPRIM_400000_NS6detail17trampoline_kernelINS0_14default_configENS1_38merge_sort_block_merge_config_selectorIiiEEZZNS1_27merge_sort_block_merge_implIS3_N6thrust23THRUST_200600_302600_NS6detail15normal_iteratorINS8_10device_ptrIiEEEESD_jNS1_19radix_merge_compareILb1ELb0EiNS0_19identity_decomposerEEEEE10hipError_tT0_T1_T2_jT3_P12ihipStream_tbPNSt15iterator_traitsISI_E10value_typeEPNSO_ISJ_E10value_typeEPSK_NS1_7vsmem_tEENKUlT_SI_SJ_SK_E_clIPiSD_S10_SD_EESH_SX_SI_SJ_SK_EUlSX_E_NS1_11comp_targetILNS1_3genE0ELNS1_11target_archE4294967295ELNS1_3gpuE0ELNS1_3repE0EEENS1_48merge_mergepath_partition_config_static_selectorELNS0_4arch9wavefront6targetE1EEEvSJ_.private_seg_size, 0
	.set _ZN7rocprim17ROCPRIM_400000_NS6detail17trampoline_kernelINS0_14default_configENS1_38merge_sort_block_merge_config_selectorIiiEEZZNS1_27merge_sort_block_merge_implIS3_N6thrust23THRUST_200600_302600_NS6detail15normal_iteratorINS8_10device_ptrIiEEEESD_jNS1_19radix_merge_compareILb1ELb0EiNS0_19identity_decomposerEEEEE10hipError_tT0_T1_T2_jT3_P12ihipStream_tbPNSt15iterator_traitsISI_E10value_typeEPNSO_ISJ_E10value_typeEPSK_NS1_7vsmem_tEENKUlT_SI_SJ_SK_E_clIPiSD_S10_SD_EESH_SX_SI_SJ_SK_EUlSX_E_NS1_11comp_targetILNS1_3genE0ELNS1_11target_archE4294967295ELNS1_3gpuE0ELNS1_3repE0EEENS1_48merge_mergepath_partition_config_static_selectorELNS0_4arch9wavefront6targetE1EEEvSJ_.uses_vcc, 1
	.set _ZN7rocprim17ROCPRIM_400000_NS6detail17trampoline_kernelINS0_14default_configENS1_38merge_sort_block_merge_config_selectorIiiEEZZNS1_27merge_sort_block_merge_implIS3_N6thrust23THRUST_200600_302600_NS6detail15normal_iteratorINS8_10device_ptrIiEEEESD_jNS1_19radix_merge_compareILb1ELb0EiNS0_19identity_decomposerEEEEE10hipError_tT0_T1_T2_jT3_P12ihipStream_tbPNSt15iterator_traitsISI_E10value_typeEPNSO_ISJ_E10value_typeEPSK_NS1_7vsmem_tEENKUlT_SI_SJ_SK_E_clIPiSD_S10_SD_EESH_SX_SI_SJ_SK_EUlSX_E_NS1_11comp_targetILNS1_3genE0ELNS1_11target_archE4294967295ELNS1_3gpuE0ELNS1_3repE0EEENS1_48merge_mergepath_partition_config_static_selectorELNS0_4arch9wavefront6targetE1EEEvSJ_.uses_flat_scratch, 0
	.set _ZN7rocprim17ROCPRIM_400000_NS6detail17trampoline_kernelINS0_14default_configENS1_38merge_sort_block_merge_config_selectorIiiEEZZNS1_27merge_sort_block_merge_implIS3_N6thrust23THRUST_200600_302600_NS6detail15normal_iteratorINS8_10device_ptrIiEEEESD_jNS1_19radix_merge_compareILb1ELb0EiNS0_19identity_decomposerEEEEE10hipError_tT0_T1_T2_jT3_P12ihipStream_tbPNSt15iterator_traitsISI_E10value_typeEPNSO_ISJ_E10value_typeEPSK_NS1_7vsmem_tEENKUlT_SI_SJ_SK_E_clIPiSD_S10_SD_EESH_SX_SI_SJ_SK_EUlSX_E_NS1_11comp_targetILNS1_3genE0ELNS1_11target_archE4294967295ELNS1_3gpuE0ELNS1_3repE0EEENS1_48merge_mergepath_partition_config_static_selectorELNS0_4arch9wavefront6targetE1EEEvSJ_.has_dyn_sized_stack, 0
	.set _ZN7rocprim17ROCPRIM_400000_NS6detail17trampoline_kernelINS0_14default_configENS1_38merge_sort_block_merge_config_selectorIiiEEZZNS1_27merge_sort_block_merge_implIS3_N6thrust23THRUST_200600_302600_NS6detail15normal_iteratorINS8_10device_ptrIiEEEESD_jNS1_19radix_merge_compareILb1ELb0EiNS0_19identity_decomposerEEEEE10hipError_tT0_T1_T2_jT3_P12ihipStream_tbPNSt15iterator_traitsISI_E10value_typeEPNSO_ISJ_E10value_typeEPSK_NS1_7vsmem_tEENKUlT_SI_SJ_SK_E_clIPiSD_S10_SD_EESH_SX_SI_SJ_SK_EUlSX_E_NS1_11comp_targetILNS1_3genE0ELNS1_11target_archE4294967295ELNS1_3gpuE0ELNS1_3repE0EEENS1_48merge_mergepath_partition_config_static_selectorELNS0_4arch9wavefront6targetE1EEEvSJ_.has_recursion, 0
	.set _ZN7rocprim17ROCPRIM_400000_NS6detail17trampoline_kernelINS0_14default_configENS1_38merge_sort_block_merge_config_selectorIiiEEZZNS1_27merge_sort_block_merge_implIS3_N6thrust23THRUST_200600_302600_NS6detail15normal_iteratorINS8_10device_ptrIiEEEESD_jNS1_19radix_merge_compareILb1ELb0EiNS0_19identity_decomposerEEEEE10hipError_tT0_T1_T2_jT3_P12ihipStream_tbPNSt15iterator_traitsISI_E10value_typeEPNSO_ISJ_E10value_typeEPSK_NS1_7vsmem_tEENKUlT_SI_SJ_SK_E_clIPiSD_S10_SD_EESH_SX_SI_SJ_SK_EUlSX_E_NS1_11comp_targetILNS1_3genE0ELNS1_11target_archE4294967295ELNS1_3gpuE0ELNS1_3repE0EEENS1_48merge_mergepath_partition_config_static_selectorELNS0_4arch9wavefront6targetE1EEEvSJ_.has_indirect_call, 0
	.section	.AMDGPU.csdata,"",@progbits
; Kernel info:
; codeLenInByte = 316
; TotalNumSgprs: 14
; NumVgprs: 17
; NumAgprs: 0
; TotalNumVgprs: 17
; ScratchSize: 0
; MemoryBound: 0
; FloatMode: 240
; IeeeMode: 1
; LDSByteSize: 0 bytes/workgroup (compile time only)
; SGPRBlocks: 1
; VGPRBlocks: 2
; NumSGPRsForWavesPerEU: 14
; NumVGPRsForWavesPerEU: 17
; AccumOffset: 20
; Occupancy: 8
; WaveLimiterHint : 0
; COMPUTE_PGM_RSRC2:SCRATCH_EN: 0
; COMPUTE_PGM_RSRC2:USER_SGPR: 2
; COMPUTE_PGM_RSRC2:TRAP_HANDLER: 0
; COMPUTE_PGM_RSRC2:TGID_X_EN: 1
; COMPUTE_PGM_RSRC2:TGID_Y_EN: 0
; COMPUTE_PGM_RSRC2:TGID_Z_EN: 0
; COMPUTE_PGM_RSRC2:TIDIG_COMP_CNT: 0
; COMPUTE_PGM_RSRC3_GFX90A:ACCUM_OFFSET: 4
; COMPUTE_PGM_RSRC3_GFX90A:TG_SPLIT: 0
	.section	.text._ZN7rocprim17ROCPRIM_400000_NS6detail17trampoline_kernelINS0_14default_configENS1_38merge_sort_block_merge_config_selectorIiiEEZZNS1_27merge_sort_block_merge_implIS3_N6thrust23THRUST_200600_302600_NS6detail15normal_iteratorINS8_10device_ptrIiEEEESD_jNS1_19radix_merge_compareILb1ELb0EiNS0_19identity_decomposerEEEEE10hipError_tT0_T1_T2_jT3_P12ihipStream_tbPNSt15iterator_traitsISI_E10value_typeEPNSO_ISJ_E10value_typeEPSK_NS1_7vsmem_tEENKUlT_SI_SJ_SK_E_clIPiSD_S10_SD_EESH_SX_SI_SJ_SK_EUlSX_E_NS1_11comp_targetILNS1_3genE10ELNS1_11target_archE1201ELNS1_3gpuE5ELNS1_3repE0EEENS1_48merge_mergepath_partition_config_static_selectorELNS0_4arch9wavefront6targetE1EEEvSJ_,"axG",@progbits,_ZN7rocprim17ROCPRIM_400000_NS6detail17trampoline_kernelINS0_14default_configENS1_38merge_sort_block_merge_config_selectorIiiEEZZNS1_27merge_sort_block_merge_implIS3_N6thrust23THRUST_200600_302600_NS6detail15normal_iteratorINS8_10device_ptrIiEEEESD_jNS1_19radix_merge_compareILb1ELb0EiNS0_19identity_decomposerEEEEE10hipError_tT0_T1_T2_jT3_P12ihipStream_tbPNSt15iterator_traitsISI_E10value_typeEPNSO_ISJ_E10value_typeEPSK_NS1_7vsmem_tEENKUlT_SI_SJ_SK_E_clIPiSD_S10_SD_EESH_SX_SI_SJ_SK_EUlSX_E_NS1_11comp_targetILNS1_3genE10ELNS1_11target_archE1201ELNS1_3gpuE5ELNS1_3repE0EEENS1_48merge_mergepath_partition_config_static_selectorELNS0_4arch9wavefront6targetE1EEEvSJ_,comdat
	.protected	_ZN7rocprim17ROCPRIM_400000_NS6detail17trampoline_kernelINS0_14default_configENS1_38merge_sort_block_merge_config_selectorIiiEEZZNS1_27merge_sort_block_merge_implIS3_N6thrust23THRUST_200600_302600_NS6detail15normal_iteratorINS8_10device_ptrIiEEEESD_jNS1_19radix_merge_compareILb1ELb0EiNS0_19identity_decomposerEEEEE10hipError_tT0_T1_T2_jT3_P12ihipStream_tbPNSt15iterator_traitsISI_E10value_typeEPNSO_ISJ_E10value_typeEPSK_NS1_7vsmem_tEENKUlT_SI_SJ_SK_E_clIPiSD_S10_SD_EESH_SX_SI_SJ_SK_EUlSX_E_NS1_11comp_targetILNS1_3genE10ELNS1_11target_archE1201ELNS1_3gpuE5ELNS1_3repE0EEENS1_48merge_mergepath_partition_config_static_selectorELNS0_4arch9wavefront6targetE1EEEvSJ_ ; -- Begin function _ZN7rocprim17ROCPRIM_400000_NS6detail17trampoline_kernelINS0_14default_configENS1_38merge_sort_block_merge_config_selectorIiiEEZZNS1_27merge_sort_block_merge_implIS3_N6thrust23THRUST_200600_302600_NS6detail15normal_iteratorINS8_10device_ptrIiEEEESD_jNS1_19radix_merge_compareILb1ELb0EiNS0_19identity_decomposerEEEEE10hipError_tT0_T1_T2_jT3_P12ihipStream_tbPNSt15iterator_traitsISI_E10value_typeEPNSO_ISJ_E10value_typeEPSK_NS1_7vsmem_tEENKUlT_SI_SJ_SK_E_clIPiSD_S10_SD_EESH_SX_SI_SJ_SK_EUlSX_E_NS1_11comp_targetILNS1_3genE10ELNS1_11target_archE1201ELNS1_3gpuE5ELNS1_3repE0EEENS1_48merge_mergepath_partition_config_static_selectorELNS0_4arch9wavefront6targetE1EEEvSJ_
	.globl	_ZN7rocprim17ROCPRIM_400000_NS6detail17trampoline_kernelINS0_14default_configENS1_38merge_sort_block_merge_config_selectorIiiEEZZNS1_27merge_sort_block_merge_implIS3_N6thrust23THRUST_200600_302600_NS6detail15normal_iteratorINS8_10device_ptrIiEEEESD_jNS1_19radix_merge_compareILb1ELb0EiNS0_19identity_decomposerEEEEE10hipError_tT0_T1_T2_jT3_P12ihipStream_tbPNSt15iterator_traitsISI_E10value_typeEPNSO_ISJ_E10value_typeEPSK_NS1_7vsmem_tEENKUlT_SI_SJ_SK_E_clIPiSD_S10_SD_EESH_SX_SI_SJ_SK_EUlSX_E_NS1_11comp_targetILNS1_3genE10ELNS1_11target_archE1201ELNS1_3gpuE5ELNS1_3repE0EEENS1_48merge_mergepath_partition_config_static_selectorELNS0_4arch9wavefront6targetE1EEEvSJ_
	.p2align	8
	.type	_ZN7rocprim17ROCPRIM_400000_NS6detail17trampoline_kernelINS0_14default_configENS1_38merge_sort_block_merge_config_selectorIiiEEZZNS1_27merge_sort_block_merge_implIS3_N6thrust23THRUST_200600_302600_NS6detail15normal_iteratorINS8_10device_ptrIiEEEESD_jNS1_19radix_merge_compareILb1ELb0EiNS0_19identity_decomposerEEEEE10hipError_tT0_T1_T2_jT3_P12ihipStream_tbPNSt15iterator_traitsISI_E10value_typeEPNSO_ISJ_E10value_typeEPSK_NS1_7vsmem_tEENKUlT_SI_SJ_SK_E_clIPiSD_S10_SD_EESH_SX_SI_SJ_SK_EUlSX_E_NS1_11comp_targetILNS1_3genE10ELNS1_11target_archE1201ELNS1_3gpuE5ELNS1_3repE0EEENS1_48merge_mergepath_partition_config_static_selectorELNS0_4arch9wavefront6targetE1EEEvSJ_,@function
_ZN7rocprim17ROCPRIM_400000_NS6detail17trampoline_kernelINS0_14default_configENS1_38merge_sort_block_merge_config_selectorIiiEEZZNS1_27merge_sort_block_merge_implIS3_N6thrust23THRUST_200600_302600_NS6detail15normal_iteratorINS8_10device_ptrIiEEEESD_jNS1_19radix_merge_compareILb1ELb0EiNS0_19identity_decomposerEEEEE10hipError_tT0_T1_T2_jT3_P12ihipStream_tbPNSt15iterator_traitsISI_E10value_typeEPNSO_ISJ_E10value_typeEPSK_NS1_7vsmem_tEENKUlT_SI_SJ_SK_E_clIPiSD_S10_SD_EESH_SX_SI_SJ_SK_EUlSX_E_NS1_11comp_targetILNS1_3genE10ELNS1_11target_archE1201ELNS1_3gpuE5ELNS1_3repE0EEENS1_48merge_mergepath_partition_config_static_selectorELNS0_4arch9wavefront6targetE1EEEvSJ_: ; @_ZN7rocprim17ROCPRIM_400000_NS6detail17trampoline_kernelINS0_14default_configENS1_38merge_sort_block_merge_config_selectorIiiEEZZNS1_27merge_sort_block_merge_implIS3_N6thrust23THRUST_200600_302600_NS6detail15normal_iteratorINS8_10device_ptrIiEEEESD_jNS1_19radix_merge_compareILb1ELb0EiNS0_19identity_decomposerEEEEE10hipError_tT0_T1_T2_jT3_P12ihipStream_tbPNSt15iterator_traitsISI_E10value_typeEPNSO_ISJ_E10value_typeEPSK_NS1_7vsmem_tEENKUlT_SI_SJ_SK_E_clIPiSD_S10_SD_EESH_SX_SI_SJ_SK_EUlSX_E_NS1_11comp_targetILNS1_3genE10ELNS1_11target_archE1201ELNS1_3gpuE5ELNS1_3repE0EEENS1_48merge_mergepath_partition_config_static_selectorELNS0_4arch9wavefront6targetE1EEEvSJ_
; %bb.0:
	.section	.rodata,"a",@progbits
	.p2align	6, 0x0
	.amdhsa_kernel _ZN7rocprim17ROCPRIM_400000_NS6detail17trampoline_kernelINS0_14default_configENS1_38merge_sort_block_merge_config_selectorIiiEEZZNS1_27merge_sort_block_merge_implIS3_N6thrust23THRUST_200600_302600_NS6detail15normal_iteratorINS8_10device_ptrIiEEEESD_jNS1_19radix_merge_compareILb1ELb0EiNS0_19identity_decomposerEEEEE10hipError_tT0_T1_T2_jT3_P12ihipStream_tbPNSt15iterator_traitsISI_E10value_typeEPNSO_ISJ_E10value_typeEPSK_NS1_7vsmem_tEENKUlT_SI_SJ_SK_E_clIPiSD_S10_SD_EESH_SX_SI_SJ_SK_EUlSX_E_NS1_11comp_targetILNS1_3genE10ELNS1_11target_archE1201ELNS1_3gpuE5ELNS1_3repE0EEENS1_48merge_mergepath_partition_config_static_selectorELNS0_4arch9wavefront6targetE1EEEvSJ_
		.amdhsa_group_segment_fixed_size 0
		.amdhsa_private_segment_fixed_size 0
		.amdhsa_kernarg_size 40
		.amdhsa_user_sgpr_count 2
		.amdhsa_user_sgpr_dispatch_ptr 0
		.amdhsa_user_sgpr_queue_ptr 0
		.amdhsa_user_sgpr_kernarg_segment_ptr 1
		.amdhsa_user_sgpr_dispatch_id 0
		.amdhsa_user_sgpr_kernarg_preload_length 0
		.amdhsa_user_sgpr_kernarg_preload_offset 0
		.amdhsa_user_sgpr_private_segment_size 0
		.amdhsa_uses_dynamic_stack 0
		.amdhsa_enable_private_segment 0
		.amdhsa_system_sgpr_workgroup_id_x 1
		.amdhsa_system_sgpr_workgroup_id_y 0
		.amdhsa_system_sgpr_workgroup_id_z 0
		.amdhsa_system_sgpr_workgroup_info 0
		.amdhsa_system_vgpr_workitem_id 0
		.amdhsa_next_free_vgpr 1
		.amdhsa_next_free_sgpr 0
		.amdhsa_accum_offset 4
		.amdhsa_reserve_vcc 0
		.amdhsa_float_round_mode_32 0
		.amdhsa_float_round_mode_16_64 0
		.amdhsa_float_denorm_mode_32 3
		.amdhsa_float_denorm_mode_16_64 3
		.amdhsa_dx10_clamp 1
		.amdhsa_ieee_mode 1
		.amdhsa_fp16_overflow 0
		.amdhsa_tg_split 0
		.amdhsa_exception_fp_ieee_invalid_op 0
		.amdhsa_exception_fp_denorm_src 0
		.amdhsa_exception_fp_ieee_div_zero 0
		.amdhsa_exception_fp_ieee_overflow 0
		.amdhsa_exception_fp_ieee_underflow 0
		.amdhsa_exception_fp_ieee_inexact 0
		.amdhsa_exception_int_div_zero 0
	.end_amdhsa_kernel
	.section	.text._ZN7rocprim17ROCPRIM_400000_NS6detail17trampoline_kernelINS0_14default_configENS1_38merge_sort_block_merge_config_selectorIiiEEZZNS1_27merge_sort_block_merge_implIS3_N6thrust23THRUST_200600_302600_NS6detail15normal_iteratorINS8_10device_ptrIiEEEESD_jNS1_19radix_merge_compareILb1ELb0EiNS0_19identity_decomposerEEEEE10hipError_tT0_T1_T2_jT3_P12ihipStream_tbPNSt15iterator_traitsISI_E10value_typeEPNSO_ISJ_E10value_typeEPSK_NS1_7vsmem_tEENKUlT_SI_SJ_SK_E_clIPiSD_S10_SD_EESH_SX_SI_SJ_SK_EUlSX_E_NS1_11comp_targetILNS1_3genE10ELNS1_11target_archE1201ELNS1_3gpuE5ELNS1_3repE0EEENS1_48merge_mergepath_partition_config_static_selectorELNS0_4arch9wavefront6targetE1EEEvSJ_,"axG",@progbits,_ZN7rocprim17ROCPRIM_400000_NS6detail17trampoline_kernelINS0_14default_configENS1_38merge_sort_block_merge_config_selectorIiiEEZZNS1_27merge_sort_block_merge_implIS3_N6thrust23THRUST_200600_302600_NS6detail15normal_iteratorINS8_10device_ptrIiEEEESD_jNS1_19radix_merge_compareILb1ELb0EiNS0_19identity_decomposerEEEEE10hipError_tT0_T1_T2_jT3_P12ihipStream_tbPNSt15iterator_traitsISI_E10value_typeEPNSO_ISJ_E10value_typeEPSK_NS1_7vsmem_tEENKUlT_SI_SJ_SK_E_clIPiSD_S10_SD_EESH_SX_SI_SJ_SK_EUlSX_E_NS1_11comp_targetILNS1_3genE10ELNS1_11target_archE1201ELNS1_3gpuE5ELNS1_3repE0EEENS1_48merge_mergepath_partition_config_static_selectorELNS0_4arch9wavefront6targetE1EEEvSJ_,comdat
.Lfunc_end1724:
	.size	_ZN7rocprim17ROCPRIM_400000_NS6detail17trampoline_kernelINS0_14default_configENS1_38merge_sort_block_merge_config_selectorIiiEEZZNS1_27merge_sort_block_merge_implIS3_N6thrust23THRUST_200600_302600_NS6detail15normal_iteratorINS8_10device_ptrIiEEEESD_jNS1_19radix_merge_compareILb1ELb0EiNS0_19identity_decomposerEEEEE10hipError_tT0_T1_T2_jT3_P12ihipStream_tbPNSt15iterator_traitsISI_E10value_typeEPNSO_ISJ_E10value_typeEPSK_NS1_7vsmem_tEENKUlT_SI_SJ_SK_E_clIPiSD_S10_SD_EESH_SX_SI_SJ_SK_EUlSX_E_NS1_11comp_targetILNS1_3genE10ELNS1_11target_archE1201ELNS1_3gpuE5ELNS1_3repE0EEENS1_48merge_mergepath_partition_config_static_selectorELNS0_4arch9wavefront6targetE1EEEvSJ_, .Lfunc_end1724-_ZN7rocprim17ROCPRIM_400000_NS6detail17trampoline_kernelINS0_14default_configENS1_38merge_sort_block_merge_config_selectorIiiEEZZNS1_27merge_sort_block_merge_implIS3_N6thrust23THRUST_200600_302600_NS6detail15normal_iteratorINS8_10device_ptrIiEEEESD_jNS1_19radix_merge_compareILb1ELb0EiNS0_19identity_decomposerEEEEE10hipError_tT0_T1_T2_jT3_P12ihipStream_tbPNSt15iterator_traitsISI_E10value_typeEPNSO_ISJ_E10value_typeEPSK_NS1_7vsmem_tEENKUlT_SI_SJ_SK_E_clIPiSD_S10_SD_EESH_SX_SI_SJ_SK_EUlSX_E_NS1_11comp_targetILNS1_3genE10ELNS1_11target_archE1201ELNS1_3gpuE5ELNS1_3repE0EEENS1_48merge_mergepath_partition_config_static_selectorELNS0_4arch9wavefront6targetE1EEEvSJ_
                                        ; -- End function
	.set _ZN7rocprim17ROCPRIM_400000_NS6detail17trampoline_kernelINS0_14default_configENS1_38merge_sort_block_merge_config_selectorIiiEEZZNS1_27merge_sort_block_merge_implIS3_N6thrust23THRUST_200600_302600_NS6detail15normal_iteratorINS8_10device_ptrIiEEEESD_jNS1_19radix_merge_compareILb1ELb0EiNS0_19identity_decomposerEEEEE10hipError_tT0_T1_T2_jT3_P12ihipStream_tbPNSt15iterator_traitsISI_E10value_typeEPNSO_ISJ_E10value_typeEPSK_NS1_7vsmem_tEENKUlT_SI_SJ_SK_E_clIPiSD_S10_SD_EESH_SX_SI_SJ_SK_EUlSX_E_NS1_11comp_targetILNS1_3genE10ELNS1_11target_archE1201ELNS1_3gpuE5ELNS1_3repE0EEENS1_48merge_mergepath_partition_config_static_selectorELNS0_4arch9wavefront6targetE1EEEvSJ_.num_vgpr, 0
	.set _ZN7rocprim17ROCPRIM_400000_NS6detail17trampoline_kernelINS0_14default_configENS1_38merge_sort_block_merge_config_selectorIiiEEZZNS1_27merge_sort_block_merge_implIS3_N6thrust23THRUST_200600_302600_NS6detail15normal_iteratorINS8_10device_ptrIiEEEESD_jNS1_19radix_merge_compareILb1ELb0EiNS0_19identity_decomposerEEEEE10hipError_tT0_T1_T2_jT3_P12ihipStream_tbPNSt15iterator_traitsISI_E10value_typeEPNSO_ISJ_E10value_typeEPSK_NS1_7vsmem_tEENKUlT_SI_SJ_SK_E_clIPiSD_S10_SD_EESH_SX_SI_SJ_SK_EUlSX_E_NS1_11comp_targetILNS1_3genE10ELNS1_11target_archE1201ELNS1_3gpuE5ELNS1_3repE0EEENS1_48merge_mergepath_partition_config_static_selectorELNS0_4arch9wavefront6targetE1EEEvSJ_.num_agpr, 0
	.set _ZN7rocprim17ROCPRIM_400000_NS6detail17trampoline_kernelINS0_14default_configENS1_38merge_sort_block_merge_config_selectorIiiEEZZNS1_27merge_sort_block_merge_implIS3_N6thrust23THRUST_200600_302600_NS6detail15normal_iteratorINS8_10device_ptrIiEEEESD_jNS1_19radix_merge_compareILb1ELb0EiNS0_19identity_decomposerEEEEE10hipError_tT0_T1_T2_jT3_P12ihipStream_tbPNSt15iterator_traitsISI_E10value_typeEPNSO_ISJ_E10value_typeEPSK_NS1_7vsmem_tEENKUlT_SI_SJ_SK_E_clIPiSD_S10_SD_EESH_SX_SI_SJ_SK_EUlSX_E_NS1_11comp_targetILNS1_3genE10ELNS1_11target_archE1201ELNS1_3gpuE5ELNS1_3repE0EEENS1_48merge_mergepath_partition_config_static_selectorELNS0_4arch9wavefront6targetE1EEEvSJ_.numbered_sgpr, 0
	.set _ZN7rocprim17ROCPRIM_400000_NS6detail17trampoline_kernelINS0_14default_configENS1_38merge_sort_block_merge_config_selectorIiiEEZZNS1_27merge_sort_block_merge_implIS3_N6thrust23THRUST_200600_302600_NS6detail15normal_iteratorINS8_10device_ptrIiEEEESD_jNS1_19radix_merge_compareILb1ELb0EiNS0_19identity_decomposerEEEEE10hipError_tT0_T1_T2_jT3_P12ihipStream_tbPNSt15iterator_traitsISI_E10value_typeEPNSO_ISJ_E10value_typeEPSK_NS1_7vsmem_tEENKUlT_SI_SJ_SK_E_clIPiSD_S10_SD_EESH_SX_SI_SJ_SK_EUlSX_E_NS1_11comp_targetILNS1_3genE10ELNS1_11target_archE1201ELNS1_3gpuE5ELNS1_3repE0EEENS1_48merge_mergepath_partition_config_static_selectorELNS0_4arch9wavefront6targetE1EEEvSJ_.num_named_barrier, 0
	.set _ZN7rocprim17ROCPRIM_400000_NS6detail17trampoline_kernelINS0_14default_configENS1_38merge_sort_block_merge_config_selectorIiiEEZZNS1_27merge_sort_block_merge_implIS3_N6thrust23THRUST_200600_302600_NS6detail15normal_iteratorINS8_10device_ptrIiEEEESD_jNS1_19radix_merge_compareILb1ELb0EiNS0_19identity_decomposerEEEEE10hipError_tT0_T1_T2_jT3_P12ihipStream_tbPNSt15iterator_traitsISI_E10value_typeEPNSO_ISJ_E10value_typeEPSK_NS1_7vsmem_tEENKUlT_SI_SJ_SK_E_clIPiSD_S10_SD_EESH_SX_SI_SJ_SK_EUlSX_E_NS1_11comp_targetILNS1_3genE10ELNS1_11target_archE1201ELNS1_3gpuE5ELNS1_3repE0EEENS1_48merge_mergepath_partition_config_static_selectorELNS0_4arch9wavefront6targetE1EEEvSJ_.private_seg_size, 0
	.set _ZN7rocprim17ROCPRIM_400000_NS6detail17trampoline_kernelINS0_14default_configENS1_38merge_sort_block_merge_config_selectorIiiEEZZNS1_27merge_sort_block_merge_implIS3_N6thrust23THRUST_200600_302600_NS6detail15normal_iteratorINS8_10device_ptrIiEEEESD_jNS1_19radix_merge_compareILb1ELb0EiNS0_19identity_decomposerEEEEE10hipError_tT0_T1_T2_jT3_P12ihipStream_tbPNSt15iterator_traitsISI_E10value_typeEPNSO_ISJ_E10value_typeEPSK_NS1_7vsmem_tEENKUlT_SI_SJ_SK_E_clIPiSD_S10_SD_EESH_SX_SI_SJ_SK_EUlSX_E_NS1_11comp_targetILNS1_3genE10ELNS1_11target_archE1201ELNS1_3gpuE5ELNS1_3repE0EEENS1_48merge_mergepath_partition_config_static_selectorELNS0_4arch9wavefront6targetE1EEEvSJ_.uses_vcc, 0
	.set _ZN7rocprim17ROCPRIM_400000_NS6detail17trampoline_kernelINS0_14default_configENS1_38merge_sort_block_merge_config_selectorIiiEEZZNS1_27merge_sort_block_merge_implIS3_N6thrust23THRUST_200600_302600_NS6detail15normal_iteratorINS8_10device_ptrIiEEEESD_jNS1_19radix_merge_compareILb1ELb0EiNS0_19identity_decomposerEEEEE10hipError_tT0_T1_T2_jT3_P12ihipStream_tbPNSt15iterator_traitsISI_E10value_typeEPNSO_ISJ_E10value_typeEPSK_NS1_7vsmem_tEENKUlT_SI_SJ_SK_E_clIPiSD_S10_SD_EESH_SX_SI_SJ_SK_EUlSX_E_NS1_11comp_targetILNS1_3genE10ELNS1_11target_archE1201ELNS1_3gpuE5ELNS1_3repE0EEENS1_48merge_mergepath_partition_config_static_selectorELNS0_4arch9wavefront6targetE1EEEvSJ_.uses_flat_scratch, 0
	.set _ZN7rocprim17ROCPRIM_400000_NS6detail17trampoline_kernelINS0_14default_configENS1_38merge_sort_block_merge_config_selectorIiiEEZZNS1_27merge_sort_block_merge_implIS3_N6thrust23THRUST_200600_302600_NS6detail15normal_iteratorINS8_10device_ptrIiEEEESD_jNS1_19radix_merge_compareILb1ELb0EiNS0_19identity_decomposerEEEEE10hipError_tT0_T1_T2_jT3_P12ihipStream_tbPNSt15iterator_traitsISI_E10value_typeEPNSO_ISJ_E10value_typeEPSK_NS1_7vsmem_tEENKUlT_SI_SJ_SK_E_clIPiSD_S10_SD_EESH_SX_SI_SJ_SK_EUlSX_E_NS1_11comp_targetILNS1_3genE10ELNS1_11target_archE1201ELNS1_3gpuE5ELNS1_3repE0EEENS1_48merge_mergepath_partition_config_static_selectorELNS0_4arch9wavefront6targetE1EEEvSJ_.has_dyn_sized_stack, 0
	.set _ZN7rocprim17ROCPRIM_400000_NS6detail17trampoline_kernelINS0_14default_configENS1_38merge_sort_block_merge_config_selectorIiiEEZZNS1_27merge_sort_block_merge_implIS3_N6thrust23THRUST_200600_302600_NS6detail15normal_iteratorINS8_10device_ptrIiEEEESD_jNS1_19radix_merge_compareILb1ELb0EiNS0_19identity_decomposerEEEEE10hipError_tT0_T1_T2_jT3_P12ihipStream_tbPNSt15iterator_traitsISI_E10value_typeEPNSO_ISJ_E10value_typeEPSK_NS1_7vsmem_tEENKUlT_SI_SJ_SK_E_clIPiSD_S10_SD_EESH_SX_SI_SJ_SK_EUlSX_E_NS1_11comp_targetILNS1_3genE10ELNS1_11target_archE1201ELNS1_3gpuE5ELNS1_3repE0EEENS1_48merge_mergepath_partition_config_static_selectorELNS0_4arch9wavefront6targetE1EEEvSJ_.has_recursion, 0
	.set _ZN7rocprim17ROCPRIM_400000_NS6detail17trampoline_kernelINS0_14default_configENS1_38merge_sort_block_merge_config_selectorIiiEEZZNS1_27merge_sort_block_merge_implIS3_N6thrust23THRUST_200600_302600_NS6detail15normal_iteratorINS8_10device_ptrIiEEEESD_jNS1_19radix_merge_compareILb1ELb0EiNS0_19identity_decomposerEEEEE10hipError_tT0_T1_T2_jT3_P12ihipStream_tbPNSt15iterator_traitsISI_E10value_typeEPNSO_ISJ_E10value_typeEPSK_NS1_7vsmem_tEENKUlT_SI_SJ_SK_E_clIPiSD_S10_SD_EESH_SX_SI_SJ_SK_EUlSX_E_NS1_11comp_targetILNS1_3genE10ELNS1_11target_archE1201ELNS1_3gpuE5ELNS1_3repE0EEENS1_48merge_mergepath_partition_config_static_selectorELNS0_4arch9wavefront6targetE1EEEvSJ_.has_indirect_call, 0
	.section	.AMDGPU.csdata,"",@progbits
; Kernel info:
; codeLenInByte = 0
; TotalNumSgprs: 6
; NumVgprs: 0
; NumAgprs: 0
; TotalNumVgprs: 0
; ScratchSize: 0
; MemoryBound: 0
; FloatMode: 240
; IeeeMode: 1
; LDSByteSize: 0 bytes/workgroup (compile time only)
; SGPRBlocks: 0
; VGPRBlocks: 0
; NumSGPRsForWavesPerEU: 6
; NumVGPRsForWavesPerEU: 1
; AccumOffset: 4
; Occupancy: 8
; WaveLimiterHint : 0
; COMPUTE_PGM_RSRC2:SCRATCH_EN: 0
; COMPUTE_PGM_RSRC2:USER_SGPR: 2
; COMPUTE_PGM_RSRC2:TRAP_HANDLER: 0
; COMPUTE_PGM_RSRC2:TGID_X_EN: 1
; COMPUTE_PGM_RSRC2:TGID_Y_EN: 0
; COMPUTE_PGM_RSRC2:TGID_Z_EN: 0
; COMPUTE_PGM_RSRC2:TIDIG_COMP_CNT: 0
; COMPUTE_PGM_RSRC3_GFX90A:ACCUM_OFFSET: 0
; COMPUTE_PGM_RSRC3_GFX90A:TG_SPLIT: 0
	.section	.text._ZN7rocprim17ROCPRIM_400000_NS6detail17trampoline_kernelINS0_14default_configENS1_38merge_sort_block_merge_config_selectorIiiEEZZNS1_27merge_sort_block_merge_implIS3_N6thrust23THRUST_200600_302600_NS6detail15normal_iteratorINS8_10device_ptrIiEEEESD_jNS1_19radix_merge_compareILb1ELb0EiNS0_19identity_decomposerEEEEE10hipError_tT0_T1_T2_jT3_P12ihipStream_tbPNSt15iterator_traitsISI_E10value_typeEPNSO_ISJ_E10value_typeEPSK_NS1_7vsmem_tEENKUlT_SI_SJ_SK_E_clIPiSD_S10_SD_EESH_SX_SI_SJ_SK_EUlSX_E_NS1_11comp_targetILNS1_3genE5ELNS1_11target_archE942ELNS1_3gpuE9ELNS1_3repE0EEENS1_48merge_mergepath_partition_config_static_selectorELNS0_4arch9wavefront6targetE1EEEvSJ_,"axG",@progbits,_ZN7rocprim17ROCPRIM_400000_NS6detail17trampoline_kernelINS0_14default_configENS1_38merge_sort_block_merge_config_selectorIiiEEZZNS1_27merge_sort_block_merge_implIS3_N6thrust23THRUST_200600_302600_NS6detail15normal_iteratorINS8_10device_ptrIiEEEESD_jNS1_19radix_merge_compareILb1ELb0EiNS0_19identity_decomposerEEEEE10hipError_tT0_T1_T2_jT3_P12ihipStream_tbPNSt15iterator_traitsISI_E10value_typeEPNSO_ISJ_E10value_typeEPSK_NS1_7vsmem_tEENKUlT_SI_SJ_SK_E_clIPiSD_S10_SD_EESH_SX_SI_SJ_SK_EUlSX_E_NS1_11comp_targetILNS1_3genE5ELNS1_11target_archE942ELNS1_3gpuE9ELNS1_3repE0EEENS1_48merge_mergepath_partition_config_static_selectorELNS0_4arch9wavefront6targetE1EEEvSJ_,comdat
	.protected	_ZN7rocprim17ROCPRIM_400000_NS6detail17trampoline_kernelINS0_14default_configENS1_38merge_sort_block_merge_config_selectorIiiEEZZNS1_27merge_sort_block_merge_implIS3_N6thrust23THRUST_200600_302600_NS6detail15normal_iteratorINS8_10device_ptrIiEEEESD_jNS1_19radix_merge_compareILb1ELb0EiNS0_19identity_decomposerEEEEE10hipError_tT0_T1_T2_jT3_P12ihipStream_tbPNSt15iterator_traitsISI_E10value_typeEPNSO_ISJ_E10value_typeEPSK_NS1_7vsmem_tEENKUlT_SI_SJ_SK_E_clIPiSD_S10_SD_EESH_SX_SI_SJ_SK_EUlSX_E_NS1_11comp_targetILNS1_3genE5ELNS1_11target_archE942ELNS1_3gpuE9ELNS1_3repE0EEENS1_48merge_mergepath_partition_config_static_selectorELNS0_4arch9wavefront6targetE1EEEvSJ_ ; -- Begin function _ZN7rocprim17ROCPRIM_400000_NS6detail17trampoline_kernelINS0_14default_configENS1_38merge_sort_block_merge_config_selectorIiiEEZZNS1_27merge_sort_block_merge_implIS3_N6thrust23THRUST_200600_302600_NS6detail15normal_iteratorINS8_10device_ptrIiEEEESD_jNS1_19radix_merge_compareILb1ELb0EiNS0_19identity_decomposerEEEEE10hipError_tT0_T1_T2_jT3_P12ihipStream_tbPNSt15iterator_traitsISI_E10value_typeEPNSO_ISJ_E10value_typeEPSK_NS1_7vsmem_tEENKUlT_SI_SJ_SK_E_clIPiSD_S10_SD_EESH_SX_SI_SJ_SK_EUlSX_E_NS1_11comp_targetILNS1_3genE5ELNS1_11target_archE942ELNS1_3gpuE9ELNS1_3repE0EEENS1_48merge_mergepath_partition_config_static_selectorELNS0_4arch9wavefront6targetE1EEEvSJ_
	.globl	_ZN7rocprim17ROCPRIM_400000_NS6detail17trampoline_kernelINS0_14default_configENS1_38merge_sort_block_merge_config_selectorIiiEEZZNS1_27merge_sort_block_merge_implIS3_N6thrust23THRUST_200600_302600_NS6detail15normal_iteratorINS8_10device_ptrIiEEEESD_jNS1_19radix_merge_compareILb1ELb0EiNS0_19identity_decomposerEEEEE10hipError_tT0_T1_T2_jT3_P12ihipStream_tbPNSt15iterator_traitsISI_E10value_typeEPNSO_ISJ_E10value_typeEPSK_NS1_7vsmem_tEENKUlT_SI_SJ_SK_E_clIPiSD_S10_SD_EESH_SX_SI_SJ_SK_EUlSX_E_NS1_11comp_targetILNS1_3genE5ELNS1_11target_archE942ELNS1_3gpuE9ELNS1_3repE0EEENS1_48merge_mergepath_partition_config_static_selectorELNS0_4arch9wavefront6targetE1EEEvSJ_
	.p2align	8
	.type	_ZN7rocprim17ROCPRIM_400000_NS6detail17trampoline_kernelINS0_14default_configENS1_38merge_sort_block_merge_config_selectorIiiEEZZNS1_27merge_sort_block_merge_implIS3_N6thrust23THRUST_200600_302600_NS6detail15normal_iteratorINS8_10device_ptrIiEEEESD_jNS1_19radix_merge_compareILb1ELb0EiNS0_19identity_decomposerEEEEE10hipError_tT0_T1_T2_jT3_P12ihipStream_tbPNSt15iterator_traitsISI_E10value_typeEPNSO_ISJ_E10value_typeEPSK_NS1_7vsmem_tEENKUlT_SI_SJ_SK_E_clIPiSD_S10_SD_EESH_SX_SI_SJ_SK_EUlSX_E_NS1_11comp_targetILNS1_3genE5ELNS1_11target_archE942ELNS1_3gpuE9ELNS1_3repE0EEENS1_48merge_mergepath_partition_config_static_selectorELNS0_4arch9wavefront6targetE1EEEvSJ_,@function
_ZN7rocprim17ROCPRIM_400000_NS6detail17trampoline_kernelINS0_14default_configENS1_38merge_sort_block_merge_config_selectorIiiEEZZNS1_27merge_sort_block_merge_implIS3_N6thrust23THRUST_200600_302600_NS6detail15normal_iteratorINS8_10device_ptrIiEEEESD_jNS1_19radix_merge_compareILb1ELb0EiNS0_19identity_decomposerEEEEE10hipError_tT0_T1_T2_jT3_P12ihipStream_tbPNSt15iterator_traitsISI_E10value_typeEPNSO_ISJ_E10value_typeEPSK_NS1_7vsmem_tEENKUlT_SI_SJ_SK_E_clIPiSD_S10_SD_EESH_SX_SI_SJ_SK_EUlSX_E_NS1_11comp_targetILNS1_3genE5ELNS1_11target_archE942ELNS1_3gpuE9ELNS1_3repE0EEENS1_48merge_mergepath_partition_config_static_selectorELNS0_4arch9wavefront6targetE1EEEvSJ_: ; @_ZN7rocprim17ROCPRIM_400000_NS6detail17trampoline_kernelINS0_14default_configENS1_38merge_sort_block_merge_config_selectorIiiEEZZNS1_27merge_sort_block_merge_implIS3_N6thrust23THRUST_200600_302600_NS6detail15normal_iteratorINS8_10device_ptrIiEEEESD_jNS1_19radix_merge_compareILb1ELb0EiNS0_19identity_decomposerEEEEE10hipError_tT0_T1_T2_jT3_P12ihipStream_tbPNSt15iterator_traitsISI_E10value_typeEPNSO_ISJ_E10value_typeEPSK_NS1_7vsmem_tEENKUlT_SI_SJ_SK_E_clIPiSD_S10_SD_EESH_SX_SI_SJ_SK_EUlSX_E_NS1_11comp_targetILNS1_3genE5ELNS1_11target_archE942ELNS1_3gpuE9ELNS1_3repE0EEENS1_48merge_mergepath_partition_config_static_selectorELNS0_4arch9wavefront6targetE1EEEvSJ_
; %bb.0:
	.section	.rodata,"a",@progbits
	.p2align	6, 0x0
	.amdhsa_kernel _ZN7rocprim17ROCPRIM_400000_NS6detail17trampoline_kernelINS0_14default_configENS1_38merge_sort_block_merge_config_selectorIiiEEZZNS1_27merge_sort_block_merge_implIS3_N6thrust23THRUST_200600_302600_NS6detail15normal_iteratorINS8_10device_ptrIiEEEESD_jNS1_19radix_merge_compareILb1ELb0EiNS0_19identity_decomposerEEEEE10hipError_tT0_T1_T2_jT3_P12ihipStream_tbPNSt15iterator_traitsISI_E10value_typeEPNSO_ISJ_E10value_typeEPSK_NS1_7vsmem_tEENKUlT_SI_SJ_SK_E_clIPiSD_S10_SD_EESH_SX_SI_SJ_SK_EUlSX_E_NS1_11comp_targetILNS1_3genE5ELNS1_11target_archE942ELNS1_3gpuE9ELNS1_3repE0EEENS1_48merge_mergepath_partition_config_static_selectorELNS0_4arch9wavefront6targetE1EEEvSJ_
		.amdhsa_group_segment_fixed_size 0
		.amdhsa_private_segment_fixed_size 0
		.amdhsa_kernarg_size 40
		.amdhsa_user_sgpr_count 2
		.amdhsa_user_sgpr_dispatch_ptr 0
		.amdhsa_user_sgpr_queue_ptr 0
		.amdhsa_user_sgpr_kernarg_segment_ptr 1
		.amdhsa_user_sgpr_dispatch_id 0
		.amdhsa_user_sgpr_kernarg_preload_length 0
		.amdhsa_user_sgpr_kernarg_preload_offset 0
		.amdhsa_user_sgpr_private_segment_size 0
		.amdhsa_uses_dynamic_stack 0
		.amdhsa_enable_private_segment 0
		.amdhsa_system_sgpr_workgroup_id_x 1
		.amdhsa_system_sgpr_workgroup_id_y 0
		.amdhsa_system_sgpr_workgroup_id_z 0
		.amdhsa_system_sgpr_workgroup_info 0
		.amdhsa_system_vgpr_workitem_id 0
		.amdhsa_next_free_vgpr 1
		.amdhsa_next_free_sgpr 0
		.amdhsa_accum_offset 4
		.amdhsa_reserve_vcc 0
		.amdhsa_float_round_mode_32 0
		.amdhsa_float_round_mode_16_64 0
		.amdhsa_float_denorm_mode_32 3
		.amdhsa_float_denorm_mode_16_64 3
		.amdhsa_dx10_clamp 1
		.amdhsa_ieee_mode 1
		.amdhsa_fp16_overflow 0
		.amdhsa_tg_split 0
		.amdhsa_exception_fp_ieee_invalid_op 0
		.amdhsa_exception_fp_denorm_src 0
		.amdhsa_exception_fp_ieee_div_zero 0
		.amdhsa_exception_fp_ieee_overflow 0
		.amdhsa_exception_fp_ieee_underflow 0
		.amdhsa_exception_fp_ieee_inexact 0
		.amdhsa_exception_int_div_zero 0
	.end_amdhsa_kernel
	.section	.text._ZN7rocprim17ROCPRIM_400000_NS6detail17trampoline_kernelINS0_14default_configENS1_38merge_sort_block_merge_config_selectorIiiEEZZNS1_27merge_sort_block_merge_implIS3_N6thrust23THRUST_200600_302600_NS6detail15normal_iteratorINS8_10device_ptrIiEEEESD_jNS1_19radix_merge_compareILb1ELb0EiNS0_19identity_decomposerEEEEE10hipError_tT0_T1_T2_jT3_P12ihipStream_tbPNSt15iterator_traitsISI_E10value_typeEPNSO_ISJ_E10value_typeEPSK_NS1_7vsmem_tEENKUlT_SI_SJ_SK_E_clIPiSD_S10_SD_EESH_SX_SI_SJ_SK_EUlSX_E_NS1_11comp_targetILNS1_3genE5ELNS1_11target_archE942ELNS1_3gpuE9ELNS1_3repE0EEENS1_48merge_mergepath_partition_config_static_selectorELNS0_4arch9wavefront6targetE1EEEvSJ_,"axG",@progbits,_ZN7rocprim17ROCPRIM_400000_NS6detail17trampoline_kernelINS0_14default_configENS1_38merge_sort_block_merge_config_selectorIiiEEZZNS1_27merge_sort_block_merge_implIS3_N6thrust23THRUST_200600_302600_NS6detail15normal_iteratorINS8_10device_ptrIiEEEESD_jNS1_19radix_merge_compareILb1ELb0EiNS0_19identity_decomposerEEEEE10hipError_tT0_T1_T2_jT3_P12ihipStream_tbPNSt15iterator_traitsISI_E10value_typeEPNSO_ISJ_E10value_typeEPSK_NS1_7vsmem_tEENKUlT_SI_SJ_SK_E_clIPiSD_S10_SD_EESH_SX_SI_SJ_SK_EUlSX_E_NS1_11comp_targetILNS1_3genE5ELNS1_11target_archE942ELNS1_3gpuE9ELNS1_3repE0EEENS1_48merge_mergepath_partition_config_static_selectorELNS0_4arch9wavefront6targetE1EEEvSJ_,comdat
.Lfunc_end1725:
	.size	_ZN7rocprim17ROCPRIM_400000_NS6detail17trampoline_kernelINS0_14default_configENS1_38merge_sort_block_merge_config_selectorIiiEEZZNS1_27merge_sort_block_merge_implIS3_N6thrust23THRUST_200600_302600_NS6detail15normal_iteratorINS8_10device_ptrIiEEEESD_jNS1_19radix_merge_compareILb1ELb0EiNS0_19identity_decomposerEEEEE10hipError_tT0_T1_T2_jT3_P12ihipStream_tbPNSt15iterator_traitsISI_E10value_typeEPNSO_ISJ_E10value_typeEPSK_NS1_7vsmem_tEENKUlT_SI_SJ_SK_E_clIPiSD_S10_SD_EESH_SX_SI_SJ_SK_EUlSX_E_NS1_11comp_targetILNS1_3genE5ELNS1_11target_archE942ELNS1_3gpuE9ELNS1_3repE0EEENS1_48merge_mergepath_partition_config_static_selectorELNS0_4arch9wavefront6targetE1EEEvSJ_, .Lfunc_end1725-_ZN7rocprim17ROCPRIM_400000_NS6detail17trampoline_kernelINS0_14default_configENS1_38merge_sort_block_merge_config_selectorIiiEEZZNS1_27merge_sort_block_merge_implIS3_N6thrust23THRUST_200600_302600_NS6detail15normal_iteratorINS8_10device_ptrIiEEEESD_jNS1_19radix_merge_compareILb1ELb0EiNS0_19identity_decomposerEEEEE10hipError_tT0_T1_T2_jT3_P12ihipStream_tbPNSt15iterator_traitsISI_E10value_typeEPNSO_ISJ_E10value_typeEPSK_NS1_7vsmem_tEENKUlT_SI_SJ_SK_E_clIPiSD_S10_SD_EESH_SX_SI_SJ_SK_EUlSX_E_NS1_11comp_targetILNS1_3genE5ELNS1_11target_archE942ELNS1_3gpuE9ELNS1_3repE0EEENS1_48merge_mergepath_partition_config_static_selectorELNS0_4arch9wavefront6targetE1EEEvSJ_
                                        ; -- End function
	.set _ZN7rocprim17ROCPRIM_400000_NS6detail17trampoline_kernelINS0_14default_configENS1_38merge_sort_block_merge_config_selectorIiiEEZZNS1_27merge_sort_block_merge_implIS3_N6thrust23THRUST_200600_302600_NS6detail15normal_iteratorINS8_10device_ptrIiEEEESD_jNS1_19radix_merge_compareILb1ELb0EiNS0_19identity_decomposerEEEEE10hipError_tT0_T1_T2_jT3_P12ihipStream_tbPNSt15iterator_traitsISI_E10value_typeEPNSO_ISJ_E10value_typeEPSK_NS1_7vsmem_tEENKUlT_SI_SJ_SK_E_clIPiSD_S10_SD_EESH_SX_SI_SJ_SK_EUlSX_E_NS1_11comp_targetILNS1_3genE5ELNS1_11target_archE942ELNS1_3gpuE9ELNS1_3repE0EEENS1_48merge_mergepath_partition_config_static_selectorELNS0_4arch9wavefront6targetE1EEEvSJ_.num_vgpr, 0
	.set _ZN7rocprim17ROCPRIM_400000_NS6detail17trampoline_kernelINS0_14default_configENS1_38merge_sort_block_merge_config_selectorIiiEEZZNS1_27merge_sort_block_merge_implIS3_N6thrust23THRUST_200600_302600_NS6detail15normal_iteratorINS8_10device_ptrIiEEEESD_jNS1_19radix_merge_compareILb1ELb0EiNS0_19identity_decomposerEEEEE10hipError_tT0_T1_T2_jT3_P12ihipStream_tbPNSt15iterator_traitsISI_E10value_typeEPNSO_ISJ_E10value_typeEPSK_NS1_7vsmem_tEENKUlT_SI_SJ_SK_E_clIPiSD_S10_SD_EESH_SX_SI_SJ_SK_EUlSX_E_NS1_11comp_targetILNS1_3genE5ELNS1_11target_archE942ELNS1_3gpuE9ELNS1_3repE0EEENS1_48merge_mergepath_partition_config_static_selectorELNS0_4arch9wavefront6targetE1EEEvSJ_.num_agpr, 0
	.set _ZN7rocprim17ROCPRIM_400000_NS6detail17trampoline_kernelINS0_14default_configENS1_38merge_sort_block_merge_config_selectorIiiEEZZNS1_27merge_sort_block_merge_implIS3_N6thrust23THRUST_200600_302600_NS6detail15normal_iteratorINS8_10device_ptrIiEEEESD_jNS1_19radix_merge_compareILb1ELb0EiNS0_19identity_decomposerEEEEE10hipError_tT0_T1_T2_jT3_P12ihipStream_tbPNSt15iterator_traitsISI_E10value_typeEPNSO_ISJ_E10value_typeEPSK_NS1_7vsmem_tEENKUlT_SI_SJ_SK_E_clIPiSD_S10_SD_EESH_SX_SI_SJ_SK_EUlSX_E_NS1_11comp_targetILNS1_3genE5ELNS1_11target_archE942ELNS1_3gpuE9ELNS1_3repE0EEENS1_48merge_mergepath_partition_config_static_selectorELNS0_4arch9wavefront6targetE1EEEvSJ_.numbered_sgpr, 0
	.set _ZN7rocprim17ROCPRIM_400000_NS6detail17trampoline_kernelINS0_14default_configENS1_38merge_sort_block_merge_config_selectorIiiEEZZNS1_27merge_sort_block_merge_implIS3_N6thrust23THRUST_200600_302600_NS6detail15normal_iteratorINS8_10device_ptrIiEEEESD_jNS1_19radix_merge_compareILb1ELb0EiNS0_19identity_decomposerEEEEE10hipError_tT0_T1_T2_jT3_P12ihipStream_tbPNSt15iterator_traitsISI_E10value_typeEPNSO_ISJ_E10value_typeEPSK_NS1_7vsmem_tEENKUlT_SI_SJ_SK_E_clIPiSD_S10_SD_EESH_SX_SI_SJ_SK_EUlSX_E_NS1_11comp_targetILNS1_3genE5ELNS1_11target_archE942ELNS1_3gpuE9ELNS1_3repE0EEENS1_48merge_mergepath_partition_config_static_selectorELNS0_4arch9wavefront6targetE1EEEvSJ_.num_named_barrier, 0
	.set _ZN7rocprim17ROCPRIM_400000_NS6detail17trampoline_kernelINS0_14default_configENS1_38merge_sort_block_merge_config_selectorIiiEEZZNS1_27merge_sort_block_merge_implIS3_N6thrust23THRUST_200600_302600_NS6detail15normal_iteratorINS8_10device_ptrIiEEEESD_jNS1_19radix_merge_compareILb1ELb0EiNS0_19identity_decomposerEEEEE10hipError_tT0_T1_T2_jT3_P12ihipStream_tbPNSt15iterator_traitsISI_E10value_typeEPNSO_ISJ_E10value_typeEPSK_NS1_7vsmem_tEENKUlT_SI_SJ_SK_E_clIPiSD_S10_SD_EESH_SX_SI_SJ_SK_EUlSX_E_NS1_11comp_targetILNS1_3genE5ELNS1_11target_archE942ELNS1_3gpuE9ELNS1_3repE0EEENS1_48merge_mergepath_partition_config_static_selectorELNS0_4arch9wavefront6targetE1EEEvSJ_.private_seg_size, 0
	.set _ZN7rocprim17ROCPRIM_400000_NS6detail17trampoline_kernelINS0_14default_configENS1_38merge_sort_block_merge_config_selectorIiiEEZZNS1_27merge_sort_block_merge_implIS3_N6thrust23THRUST_200600_302600_NS6detail15normal_iteratorINS8_10device_ptrIiEEEESD_jNS1_19radix_merge_compareILb1ELb0EiNS0_19identity_decomposerEEEEE10hipError_tT0_T1_T2_jT3_P12ihipStream_tbPNSt15iterator_traitsISI_E10value_typeEPNSO_ISJ_E10value_typeEPSK_NS1_7vsmem_tEENKUlT_SI_SJ_SK_E_clIPiSD_S10_SD_EESH_SX_SI_SJ_SK_EUlSX_E_NS1_11comp_targetILNS1_3genE5ELNS1_11target_archE942ELNS1_3gpuE9ELNS1_3repE0EEENS1_48merge_mergepath_partition_config_static_selectorELNS0_4arch9wavefront6targetE1EEEvSJ_.uses_vcc, 0
	.set _ZN7rocprim17ROCPRIM_400000_NS6detail17trampoline_kernelINS0_14default_configENS1_38merge_sort_block_merge_config_selectorIiiEEZZNS1_27merge_sort_block_merge_implIS3_N6thrust23THRUST_200600_302600_NS6detail15normal_iteratorINS8_10device_ptrIiEEEESD_jNS1_19radix_merge_compareILb1ELb0EiNS0_19identity_decomposerEEEEE10hipError_tT0_T1_T2_jT3_P12ihipStream_tbPNSt15iterator_traitsISI_E10value_typeEPNSO_ISJ_E10value_typeEPSK_NS1_7vsmem_tEENKUlT_SI_SJ_SK_E_clIPiSD_S10_SD_EESH_SX_SI_SJ_SK_EUlSX_E_NS1_11comp_targetILNS1_3genE5ELNS1_11target_archE942ELNS1_3gpuE9ELNS1_3repE0EEENS1_48merge_mergepath_partition_config_static_selectorELNS0_4arch9wavefront6targetE1EEEvSJ_.uses_flat_scratch, 0
	.set _ZN7rocprim17ROCPRIM_400000_NS6detail17trampoline_kernelINS0_14default_configENS1_38merge_sort_block_merge_config_selectorIiiEEZZNS1_27merge_sort_block_merge_implIS3_N6thrust23THRUST_200600_302600_NS6detail15normal_iteratorINS8_10device_ptrIiEEEESD_jNS1_19radix_merge_compareILb1ELb0EiNS0_19identity_decomposerEEEEE10hipError_tT0_T1_T2_jT3_P12ihipStream_tbPNSt15iterator_traitsISI_E10value_typeEPNSO_ISJ_E10value_typeEPSK_NS1_7vsmem_tEENKUlT_SI_SJ_SK_E_clIPiSD_S10_SD_EESH_SX_SI_SJ_SK_EUlSX_E_NS1_11comp_targetILNS1_3genE5ELNS1_11target_archE942ELNS1_3gpuE9ELNS1_3repE0EEENS1_48merge_mergepath_partition_config_static_selectorELNS0_4arch9wavefront6targetE1EEEvSJ_.has_dyn_sized_stack, 0
	.set _ZN7rocprim17ROCPRIM_400000_NS6detail17trampoline_kernelINS0_14default_configENS1_38merge_sort_block_merge_config_selectorIiiEEZZNS1_27merge_sort_block_merge_implIS3_N6thrust23THRUST_200600_302600_NS6detail15normal_iteratorINS8_10device_ptrIiEEEESD_jNS1_19radix_merge_compareILb1ELb0EiNS0_19identity_decomposerEEEEE10hipError_tT0_T1_T2_jT3_P12ihipStream_tbPNSt15iterator_traitsISI_E10value_typeEPNSO_ISJ_E10value_typeEPSK_NS1_7vsmem_tEENKUlT_SI_SJ_SK_E_clIPiSD_S10_SD_EESH_SX_SI_SJ_SK_EUlSX_E_NS1_11comp_targetILNS1_3genE5ELNS1_11target_archE942ELNS1_3gpuE9ELNS1_3repE0EEENS1_48merge_mergepath_partition_config_static_selectorELNS0_4arch9wavefront6targetE1EEEvSJ_.has_recursion, 0
	.set _ZN7rocprim17ROCPRIM_400000_NS6detail17trampoline_kernelINS0_14default_configENS1_38merge_sort_block_merge_config_selectorIiiEEZZNS1_27merge_sort_block_merge_implIS3_N6thrust23THRUST_200600_302600_NS6detail15normal_iteratorINS8_10device_ptrIiEEEESD_jNS1_19radix_merge_compareILb1ELb0EiNS0_19identity_decomposerEEEEE10hipError_tT0_T1_T2_jT3_P12ihipStream_tbPNSt15iterator_traitsISI_E10value_typeEPNSO_ISJ_E10value_typeEPSK_NS1_7vsmem_tEENKUlT_SI_SJ_SK_E_clIPiSD_S10_SD_EESH_SX_SI_SJ_SK_EUlSX_E_NS1_11comp_targetILNS1_3genE5ELNS1_11target_archE942ELNS1_3gpuE9ELNS1_3repE0EEENS1_48merge_mergepath_partition_config_static_selectorELNS0_4arch9wavefront6targetE1EEEvSJ_.has_indirect_call, 0
	.section	.AMDGPU.csdata,"",@progbits
; Kernel info:
; codeLenInByte = 0
; TotalNumSgprs: 6
; NumVgprs: 0
; NumAgprs: 0
; TotalNumVgprs: 0
; ScratchSize: 0
; MemoryBound: 0
; FloatMode: 240
; IeeeMode: 1
; LDSByteSize: 0 bytes/workgroup (compile time only)
; SGPRBlocks: 0
; VGPRBlocks: 0
; NumSGPRsForWavesPerEU: 6
; NumVGPRsForWavesPerEU: 1
; AccumOffset: 4
; Occupancy: 8
; WaveLimiterHint : 0
; COMPUTE_PGM_RSRC2:SCRATCH_EN: 0
; COMPUTE_PGM_RSRC2:USER_SGPR: 2
; COMPUTE_PGM_RSRC2:TRAP_HANDLER: 0
; COMPUTE_PGM_RSRC2:TGID_X_EN: 1
; COMPUTE_PGM_RSRC2:TGID_Y_EN: 0
; COMPUTE_PGM_RSRC2:TGID_Z_EN: 0
; COMPUTE_PGM_RSRC2:TIDIG_COMP_CNT: 0
; COMPUTE_PGM_RSRC3_GFX90A:ACCUM_OFFSET: 0
; COMPUTE_PGM_RSRC3_GFX90A:TG_SPLIT: 0
	.section	.text._ZN7rocprim17ROCPRIM_400000_NS6detail17trampoline_kernelINS0_14default_configENS1_38merge_sort_block_merge_config_selectorIiiEEZZNS1_27merge_sort_block_merge_implIS3_N6thrust23THRUST_200600_302600_NS6detail15normal_iteratorINS8_10device_ptrIiEEEESD_jNS1_19radix_merge_compareILb1ELb0EiNS0_19identity_decomposerEEEEE10hipError_tT0_T1_T2_jT3_P12ihipStream_tbPNSt15iterator_traitsISI_E10value_typeEPNSO_ISJ_E10value_typeEPSK_NS1_7vsmem_tEENKUlT_SI_SJ_SK_E_clIPiSD_S10_SD_EESH_SX_SI_SJ_SK_EUlSX_E_NS1_11comp_targetILNS1_3genE4ELNS1_11target_archE910ELNS1_3gpuE8ELNS1_3repE0EEENS1_48merge_mergepath_partition_config_static_selectorELNS0_4arch9wavefront6targetE1EEEvSJ_,"axG",@progbits,_ZN7rocprim17ROCPRIM_400000_NS6detail17trampoline_kernelINS0_14default_configENS1_38merge_sort_block_merge_config_selectorIiiEEZZNS1_27merge_sort_block_merge_implIS3_N6thrust23THRUST_200600_302600_NS6detail15normal_iteratorINS8_10device_ptrIiEEEESD_jNS1_19radix_merge_compareILb1ELb0EiNS0_19identity_decomposerEEEEE10hipError_tT0_T1_T2_jT3_P12ihipStream_tbPNSt15iterator_traitsISI_E10value_typeEPNSO_ISJ_E10value_typeEPSK_NS1_7vsmem_tEENKUlT_SI_SJ_SK_E_clIPiSD_S10_SD_EESH_SX_SI_SJ_SK_EUlSX_E_NS1_11comp_targetILNS1_3genE4ELNS1_11target_archE910ELNS1_3gpuE8ELNS1_3repE0EEENS1_48merge_mergepath_partition_config_static_selectorELNS0_4arch9wavefront6targetE1EEEvSJ_,comdat
	.protected	_ZN7rocprim17ROCPRIM_400000_NS6detail17trampoline_kernelINS0_14default_configENS1_38merge_sort_block_merge_config_selectorIiiEEZZNS1_27merge_sort_block_merge_implIS3_N6thrust23THRUST_200600_302600_NS6detail15normal_iteratorINS8_10device_ptrIiEEEESD_jNS1_19radix_merge_compareILb1ELb0EiNS0_19identity_decomposerEEEEE10hipError_tT0_T1_T2_jT3_P12ihipStream_tbPNSt15iterator_traitsISI_E10value_typeEPNSO_ISJ_E10value_typeEPSK_NS1_7vsmem_tEENKUlT_SI_SJ_SK_E_clIPiSD_S10_SD_EESH_SX_SI_SJ_SK_EUlSX_E_NS1_11comp_targetILNS1_3genE4ELNS1_11target_archE910ELNS1_3gpuE8ELNS1_3repE0EEENS1_48merge_mergepath_partition_config_static_selectorELNS0_4arch9wavefront6targetE1EEEvSJ_ ; -- Begin function _ZN7rocprim17ROCPRIM_400000_NS6detail17trampoline_kernelINS0_14default_configENS1_38merge_sort_block_merge_config_selectorIiiEEZZNS1_27merge_sort_block_merge_implIS3_N6thrust23THRUST_200600_302600_NS6detail15normal_iteratorINS8_10device_ptrIiEEEESD_jNS1_19radix_merge_compareILb1ELb0EiNS0_19identity_decomposerEEEEE10hipError_tT0_T1_T2_jT3_P12ihipStream_tbPNSt15iterator_traitsISI_E10value_typeEPNSO_ISJ_E10value_typeEPSK_NS1_7vsmem_tEENKUlT_SI_SJ_SK_E_clIPiSD_S10_SD_EESH_SX_SI_SJ_SK_EUlSX_E_NS1_11comp_targetILNS1_3genE4ELNS1_11target_archE910ELNS1_3gpuE8ELNS1_3repE0EEENS1_48merge_mergepath_partition_config_static_selectorELNS0_4arch9wavefront6targetE1EEEvSJ_
	.globl	_ZN7rocprim17ROCPRIM_400000_NS6detail17trampoline_kernelINS0_14default_configENS1_38merge_sort_block_merge_config_selectorIiiEEZZNS1_27merge_sort_block_merge_implIS3_N6thrust23THRUST_200600_302600_NS6detail15normal_iteratorINS8_10device_ptrIiEEEESD_jNS1_19radix_merge_compareILb1ELb0EiNS0_19identity_decomposerEEEEE10hipError_tT0_T1_T2_jT3_P12ihipStream_tbPNSt15iterator_traitsISI_E10value_typeEPNSO_ISJ_E10value_typeEPSK_NS1_7vsmem_tEENKUlT_SI_SJ_SK_E_clIPiSD_S10_SD_EESH_SX_SI_SJ_SK_EUlSX_E_NS1_11comp_targetILNS1_3genE4ELNS1_11target_archE910ELNS1_3gpuE8ELNS1_3repE0EEENS1_48merge_mergepath_partition_config_static_selectorELNS0_4arch9wavefront6targetE1EEEvSJ_
	.p2align	8
	.type	_ZN7rocprim17ROCPRIM_400000_NS6detail17trampoline_kernelINS0_14default_configENS1_38merge_sort_block_merge_config_selectorIiiEEZZNS1_27merge_sort_block_merge_implIS3_N6thrust23THRUST_200600_302600_NS6detail15normal_iteratorINS8_10device_ptrIiEEEESD_jNS1_19radix_merge_compareILb1ELb0EiNS0_19identity_decomposerEEEEE10hipError_tT0_T1_T2_jT3_P12ihipStream_tbPNSt15iterator_traitsISI_E10value_typeEPNSO_ISJ_E10value_typeEPSK_NS1_7vsmem_tEENKUlT_SI_SJ_SK_E_clIPiSD_S10_SD_EESH_SX_SI_SJ_SK_EUlSX_E_NS1_11comp_targetILNS1_3genE4ELNS1_11target_archE910ELNS1_3gpuE8ELNS1_3repE0EEENS1_48merge_mergepath_partition_config_static_selectorELNS0_4arch9wavefront6targetE1EEEvSJ_,@function
_ZN7rocprim17ROCPRIM_400000_NS6detail17trampoline_kernelINS0_14default_configENS1_38merge_sort_block_merge_config_selectorIiiEEZZNS1_27merge_sort_block_merge_implIS3_N6thrust23THRUST_200600_302600_NS6detail15normal_iteratorINS8_10device_ptrIiEEEESD_jNS1_19radix_merge_compareILb1ELb0EiNS0_19identity_decomposerEEEEE10hipError_tT0_T1_T2_jT3_P12ihipStream_tbPNSt15iterator_traitsISI_E10value_typeEPNSO_ISJ_E10value_typeEPSK_NS1_7vsmem_tEENKUlT_SI_SJ_SK_E_clIPiSD_S10_SD_EESH_SX_SI_SJ_SK_EUlSX_E_NS1_11comp_targetILNS1_3genE4ELNS1_11target_archE910ELNS1_3gpuE8ELNS1_3repE0EEENS1_48merge_mergepath_partition_config_static_selectorELNS0_4arch9wavefront6targetE1EEEvSJ_: ; @_ZN7rocprim17ROCPRIM_400000_NS6detail17trampoline_kernelINS0_14default_configENS1_38merge_sort_block_merge_config_selectorIiiEEZZNS1_27merge_sort_block_merge_implIS3_N6thrust23THRUST_200600_302600_NS6detail15normal_iteratorINS8_10device_ptrIiEEEESD_jNS1_19radix_merge_compareILb1ELb0EiNS0_19identity_decomposerEEEEE10hipError_tT0_T1_T2_jT3_P12ihipStream_tbPNSt15iterator_traitsISI_E10value_typeEPNSO_ISJ_E10value_typeEPSK_NS1_7vsmem_tEENKUlT_SI_SJ_SK_E_clIPiSD_S10_SD_EESH_SX_SI_SJ_SK_EUlSX_E_NS1_11comp_targetILNS1_3genE4ELNS1_11target_archE910ELNS1_3gpuE8ELNS1_3repE0EEENS1_48merge_mergepath_partition_config_static_selectorELNS0_4arch9wavefront6targetE1EEEvSJ_
; %bb.0:
	.section	.rodata,"a",@progbits
	.p2align	6, 0x0
	.amdhsa_kernel _ZN7rocprim17ROCPRIM_400000_NS6detail17trampoline_kernelINS0_14default_configENS1_38merge_sort_block_merge_config_selectorIiiEEZZNS1_27merge_sort_block_merge_implIS3_N6thrust23THRUST_200600_302600_NS6detail15normal_iteratorINS8_10device_ptrIiEEEESD_jNS1_19radix_merge_compareILb1ELb0EiNS0_19identity_decomposerEEEEE10hipError_tT0_T1_T2_jT3_P12ihipStream_tbPNSt15iterator_traitsISI_E10value_typeEPNSO_ISJ_E10value_typeEPSK_NS1_7vsmem_tEENKUlT_SI_SJ_SK_E_clIPiSD_S10_SD_EESH_SX_SI_SJ_SK_EUlSX_E_NS1_11comp_targetILNS1_3genE4ELNS1_11target_archE910ELNS1_3gpuE8ELNS1_3repE0EEENS1_48merge_mergepath_partition_config_static_selectorELNS0_4arch9wavefront6targetE1EEEvSJ_
		.amdhsa_group_segment_fixed_size 0
		.amdhsa_private_segment_fixed_size 0
		.amdhsa_kernarg_size 40
		.amdhsa_user_sgpr_count 2
		.amdhsa_user_sgpr_dispatch_ptr 0
		.amdhsa_user_sgpr_queue_ptr 0
		.amdhsa_user_sgpr_kernarg_segment_ptr 1
		.amdhsa_user_sgpr_dispatch_id 0
		.amdhsa_user_sgpr_kernarg_preload_length 0
		.amdhsa_user_sgpr_kernarg_preload_offset 0
		.amdhsa_user_sgpr_private_segment_size 0
		.amdhsa_uses_dynamic_stack 0
		.amdhsa_enable_private_segment 0
		.amdhsa_system_sgpr_workgroup_id_x 1
		.amdhsa_system_sgpr_workgroup_id_y 0
		.amdhsa_system_sgpr_workgroup_id_z 0
		.amdhsa_system_sgpr_workgroup_info 0
		.amdhsa_system_vgpr_workitem_id 0
		.amdhsa_next_free_vgpr 1
		.amdhsa_next_free_sgpr 0
		.amdhsa_accum_offset 4
		.amdhsa_reserve_vcc 0
		.amdhsa_float_round_mode_32 0
		.amdhsa_float_round_mode_16_64 0
		.amdhsa_float_denorm_mode_32 3
		.amdhsa_float_denorm_mode_16_64 3
		.amdhsa_dx10_clamp 1
		.amdhsa_ieee_mode 1
		.amdhsa_fp16_overflow 0
		.amdhsa_tg_split 0
		.amdhsa_exception_fp_ieee_invalid_op 0
		.amdhsa_exception_fp_denorm_src 0
		.amdhsa_exception_fp_ieee_div_zero 0
		.amdhsa_exception_fp_ieee_overflow 0
		.amdhsa_exception_fp_ieee_underflow 0
		.amdhsa_exception_fp_ieee_inexact 0
		.amdhsa_exception_int_div_zero 0
	.end_amdhsa_kernel
	.section	.text._ZN7rocprim17ROCPRIM_400000_NS6detail17trampoline_kernelINS0_14default_configENS1_38merge_sort_block_merge_config_selectorIiiEEZZNS1_27merge_sort_block_merge_implIS3_N6thrust23THRUST_200600_302600_NS6detail15normal_iteratorINS8_10device_ptrIiEEEESD_jNS1_19radix_merge_compareILb1ELb0EiNS0_19identity_decomposerEEEEE10hipError_tT0_T1_T2_jT3_P12ihipStream_tbPNSt15iterator_traitsISI_E10value_typeEPNSO_ISJ_E10value_typeEPSK_NS1_7vsmem_tEENKUlT_SI_SJ_SK_E_clIPiSD_S10_SD_EESH_SX_SI_SJ_SK_EUlSX_E_NS1_11comp_targetILNS1_3genE4ELNS1_11target_archE910ELNS1_3gpuE8ELNS1_3repE0EEENS1_48merge_mergepath_partition_config_static_selectorELNS0_4arch9wavefront6targetE1EEEvSJ_,"axG",@progbits,_ZN7rocprim17ROCPRIM_400000_NS6detail17trampoline_kernelINS0_14default_configENS1_38merge_sort_block_merge_config_selectorIiiEEZZNS1_27merge_sort_block_merge_implIS3_N6thrust23THRUST_200600_302600_NS6detail15normal_iteratorINS8_10device_ptrIiEEEESD_jNS1_19radix_merge_compareILb1ELb0EiNS0_19identity_decomposerEEEEE10hipError_tT0_T1_T2_jT3_P12ihipStream_tbPNSt15iterator_traitsISI_E10value_typeEPNSO_ISJ_E10value_typeEPSK_NS1_7vsmem_tEENKUlT_SI_SJ_SK_E_clIPiSD_S10_SD_EESH_SX_SI_SJ_SK_EUlSX_E_NS1_11comp_targetILNS1_3genE4ELNS1_11target_archE910ELNS1_3gpuE8ELNS1_3repE0EEENS1_48merge_mergepath_partition_config_static_selectorELNS0_4arch9wavefront6targetE1EEEvSJ_,comdat
.Lfunc_end1726:
	.size	_ZN7rocprim17ROCPRIM_400000_NS6detail17trampoline_kernelINS0_14default_configENS1_38merge_sort_block_merge_config_selectorIiiEEZZNS1_27merge_sort_block_merge_implIS3_N6thrust23THRUST_200600_302600_NS6detail15normal_iteratorINS8_10device_ptrIiEEEESD_jNS1_19radix_merge_compareILb1ELb0EiNS0_19identity_decomposerEEEEE10hipError_tT0_T1_T2_jT3_P12ihipStream_tbPNSt15iterator_traitsISI_E10value_typeEPNSO_ISJ_E10value_typeEPSK_NS1_7vsmem_tEENKUlT_SI_SJ_SK_E_clIPiSD_S10_SD_EESH_SX_SI_SJ_SK_EUlSX_E_NS1_11comp_targetILNS1_3genE4ELNS1_11target_archE910ELNS1_3gpuE8ELNS1_3repE0EEENS1_48merge_mergepath_partition_config_static_selectorELNS0_4arch9wavefront6targetE1EEEvSJ_, .Lfunc_end1726-_ZN7rocprim17ROCPRIM_400000_NS6detail17trampoline_kernelINS0_14default_configENS1_38merge_sort_block_merge_config_selectorIiiEEZZNS1_27merge_sort_block_merge_implIS3_N6thrust23THRUST_200600_302600_NS6detail15normal_iteratorINS8_10device_ptrIiEEEESD_jNS1_19radix_merge_compareILb1ELb0EiNS0_19identity_decomposerEEEEE10hipError_tT0_T1_T2_jT3_P12ihipStream_tbPNSt15iterator_traitsISI_E10value_typeEPNSO_ISJ_E10value_typeEPSK_NS1_7vsmem_tEENKUlT_SI_SJ_SK_E_clIPiSD_S10_SD_EESH_SX_SI_SJ_SK_EUlSX_E_NS1_11comp_targetILNS1_3genE4ELNS1_11target_archE910ELNS1_3gpuE8ELNS1_3repE0EEENS1_48merge_mergepath_partition_config_static_selectorELNS0_4arch9wavefront6targetE1EEEvSJ_
                                        ; -- End function
	.set _ZN7rocprim17ROCPRIM_400000_NS6detail17trampoline_kernelINS0_14default_configENS1_38merge_sort_block_merge_config_selectorIiiEEZZNS1_27merge_sort_block_merge_implIS3_N6thrust23THRUST_200600_302600_NS6detail15normal_iteratorINS8_10device_ptrIiEEEESD_jNS1_19radix_merge_compareILb1ELb0EiNS0_19identity_decomposerEEEEE10hipError_tT0_T1_T2_jT3_P12ihipStream_tbPNSt15iterator_traitsISI_E10value_typeEPNSO_ISJ_E10value_typeEPSK_NS1_7vsmem_tEENKUlT_SI_SJ_SK_E_clIPiSD_S10_SD_EESH_SX_SI_SJ_SK_EUlSX_E_NS1_11comp_targetILNS1_3genE4ELNS1_11target_archE910ELNS1_3gpuE8ELNS1_3repE0EEENS1_48merge_mergepath_partition_config_static_selectorELNS0_4arch9wavefront6targetE1EEEvSJ_.num_vgpr, 0
	.set _ZN7rocprim17ROCPRIM_400000_NS6detail17trampoline_kernelINS0_14default_configENS1_38merge_sort_block_merge_config_selectorIiiEEZZNS1_27merge_sort_block_merge_implIS3_N6thrust23THRUST_200600_302600_NS6detail15normal_iteratorINS8_10device_ptrIiEEEESD_jNS1_19radix_merge_compareILb1ELb0EiNS0_19identity_decomposerEEEEE10hipError_tT0_T1_T2_jT3_P12ihipStream_tbPNSt15iterator_traitsISI_E10value_typeEPNSO_ISJ_E10value_typeEPSK_NS1_7vsmem_tEENKUlT_SI_SJ_SK_E_clIPiSD_S10_SD_EESH_SX_SI_SJ_SK_EUlSX_E_NS1_11comp_targetILNS1_3genE4ELNS1_11target_archE910ELNS1_3gpuE8ELNS1_3repE0EEENS1_48merge_mergepath_partition_config_static_selectorELNS0_4arch9wavefront6targetE1EEEvSJ_.num_agpr, 0
	.set _ZN7rocprim17ROCPRIM_400000_NS6detail17trampoline_kernelINS0_14default_configENS1_38merge_sort_block_merge_config_selectorIiiEEZZNS1_27merge_sort_block_merge_implIS3_N6thrust23THRUST_200600_302600_NS6detail15normal_iteratorINS8_10device_ptrIiEEEESD_jNS1_19radix_merge_compareILb1ELb0EiNS0_19identity_decomposerEEEEE10hipError_tT0_T1_T2_jT3_P12ihipStream_tbPNSt15iterator_traitsISI_E10value_typeEPNSO_ISJ_E10value_typeEPSK_NS1_7vsmem_tEENKUlT_SI_SJ_SK_E_clIPiSD_S10_SD_EESH_SX_SI_SJ_SK_EUlSX_E_NS1_11comp_targetILNS1_3genE4ELNS1_11target_archE910ELNS1_3gpuE8ELNS1_3repE0EEENS1_48merge_mergepath_partition_config_static_selectorELNS0_4arch9wavefront6targetE1EEEvSJ_.numbered_sgpr, 0
	.set _ZN7rocprim17ROCPRIM_400000_NS6detail17trampoline_kernelINS0_14default_configENS1_38merge_sort_block_merge_config_selectorIiiEEZZNS1_27merge_sort_block_merge_implIS3_N6thrust23THRUST_200600_302600_NS6detail15normal_iteratorINS8_10device_ptrIiEEEESD_jNS1_19radix_merge_compareILb1ELb0EiNS0_19identity_decomposerEEEEE10hipError_tT0_T1_T2_jT3_P12ihipStream_tbPNSt15iterator_traitsISI_E10value_typeEPNSO_ISJ_E10value_typeEPSK_NS1_7vsmem_tEENKUlT_SI_SJ_SK_E_clIPiSD_S10_SD_EESH_SX_SI_SJ_SK_EUlSX_E_NS1_11comp_targetILNS1_3genE4ELNS1_11target_archE910ELNS1_3gpuE8ELNS1_3repE0EEENS1_48merge_mergepath_partition_config_static_selectorELNS0_4arch9wavefront6targetE1EEEvSJ_.num_named_barrier, 0
	.set _ZN7rocprim17ROCPRIM_400000_NS6detail17trampoline_kernelINS0_14default_configENS1_38merge_sort_block_merge_config_selectorIiiEEZZNS1_27merge_sort_block_merge_implIS3_N6thrust23THRUST_200600_302600_NS6detail15normal_iteratorINS8_10device_ptrIiEEEESD_jNS1_19radix_merge_compareILb1ELb0EiNS0_19identity_decomposerEEEEE10hipError_tT0_T1_T2_jT3_P12ihipStream_tbPNSt15iterator_traitsISI_E10value_typeEPNSO_ISJ_E10value_typeEPSK_NS1_7vsmem_tEENKUlT_SI_SJ_SK_E_clIPiSD_S10_SD_EESH_SX_SI_SJ_SK_EUlSX_E_NS1_11comp_targetILNS1_3genE4ELNS1_11target_archE910ELNS1_3gpuE8ELNS1_3repE0EEENS1_48merge_mergepath_partition_config_static_selectorELNS0_4arch9wavefront6targetE1EEEvSJ_.private_seg_size, 0
	.set _ZN7rocprim17ROCPRIM_400000_NS6detail17trampoline_kernelINS0_14default_configENS1_38merge_sort_block_merge_config_selectorIiiEEZZNS1_27merge_sort_block_merge_implIS3_N6thrust23THRUST_200600_302600_NS6detail15normal_iteratorINS8_10device_ptrIiEEEESD_jNS1_19radix_merge_compareILb1ELb0EiNS0_19identity_decomposerEEEEE10hipError_tT0_T1_T2_jT3_P12ihipStream_tbPNSt15iterator_traitsISI_E10value_typeEPNSO_ISJ_E10value_typeEPSK_NS1_7vsmem_tEENKUlT_SI_SJ_SK_E_clIPiSD_S10_SD_EESH_SX_SI_SJ_SK_EUlSX_E_NS1_11comp_targetILNS1_3genE4ELNS1_11target_archE910ELNS1_3gpuE8ELNS1_3repE0EEENS1_48merge_mergepath_partition_config_static_selectorELNS0_4arch9wavefront6targetE1EEEvSJ_.uses_vcc, 0
	.set _ZN7rocprim17ROCPRIM_400000_NS6detail17trampoline_kernelINS0_14default_configENS1_38merge_sort_block_merge_config_selectorIiiEEZZNS1_27merge_sort_block_merge_implIS3_N6thrust23THRUST_200600_302600_NS6detail15normal_iteratorINS8_10device_ptrIiEEEESD_jNS1_19radix_merge_compareILb1ELb0EiNS0_19identity_decomposerEEEEE10hipError_tT0_T1_T2_jT3_P12ihipStream_tbPNSt15iterator_traitsISI_E10value_typeEPNSO_ISJ_E10value_typeEPSK_NS1_7vsmem_tEENKUlT_SI_SJ_SK_E_clIPiSD_S10_SD_EESH_SX_SI_SJ_SK_EUlSX_E_NS1_11comp_targetILNS1_3genE4ELNS1_11target_archE910ELNS1_3gpuE8ELNS1_3repE0EEENS1_48merge_mergepath_partition_config_static_selectorELNS0_4arch9wavefront6targetE1EEEvSJ_.uses_flat_scratch, 0
	.set _ZN7rocprim17ROCPRIM_400000_NS6detail17trampoline_kernelINS0_14default_configENS1_38merge_sort_block_merge_config_selectorIiiEEZZNS1_27merge_sort_block_merge_implIS3_N6thrust23THRUST_200600_302600_NS6detail15normal_iteratorINS8_10device_ptrIiEEEESD_jNS1_19radix_merge_compareILb1ELb0EiNS0_19identity_decomposerEEEEE10hipError_tT0_T1_T2_jT3_P12ihipStream_tbPNSt15iterator_traitsISI_E10value_typeEPNSO_ISJ_E10value_typeEPSK_NS1_7vsmem_tEENKUlT_SI_SJ_SK_E_clIPiSD_S10_SD_EESH_SX_SI_SJ_SK_EUlSX_E_NS1_11comp_targetILNS1_3genE4ELNS1_11target_archE910ELNS1_3gpuE8ELNS1_3repE0EEENS1_48merge_mergepath_partition_config_static_selectorELNS0_4arch9wavefront6targetE1EEEvSJ_.has_dyn_sized_stack, 0
	.set _ZN7rocprim17ROCPRIM_400000_NS6detail17trampoline_kernelINS0_14default_configENS1_38merge_sort_block_merge_config_selectorIiiEEZZNS1_27merge_sort_block_merge_implIS3_N6thrust23THRUST_200600_302600_NS6detail15normal_iteratorINS8_10device_ptrIiEEEESD_jNS1_19radix_merge_compareILb1ELb0EiNS0_19identity_decomposerEEEEE10hipError_tT0_T1_T2_jT3_P12ihipStream_tbPNSt15iterator_traitsISI_E10value_typeEPNSO_ISJ_E10value_typeEPSK_NS1_7vsmem_tEENKUlT_SI_SJ_SK_E_clIPiSD_S10_SD_EESH_SX_SI_SJ_SK_EUlSX_E_NS1_11comp_targetILNS1_3genE4ELNS1_11target_archE910ELNS1_3gpuE8ELNS1_3repE0EEENS1_48merge_mergepath_partition_config_static_selectorELNS0_4arch9wavefront6targetE1EEEvSJ_.has_recursion, 0
	.set _ZN7rocprim17ROCPRIM_400000_NS6detail17trampoline_kernelINS0_14default_configENS1_38merge_sort_block_merge_config_selectorIiiEEZZNS1_27merge_sort_block_merge_implIS3_N6thrust23THRUST_200600_302600_NS6detail15normal_iteratorINS8_10device_ptrIiEEEESD_jNS1_19radix_merge_compareILb1ELb0EiNS0_19identity_decomposerEEEEE10hipError_tT0_T1_T2_jT3_P12ihipStream_tbPNSt15iterator_traitsISI_E10value_typeEPNSO_ISJ_E10value_typeEPSK_NS1_7vsmem_tEENKUlT_SI_SJ_SK_E_clIPiSD_S10_SD_EESH_SX_SI_SJ_SK_EUlSX_E_NS1_11comp_targetILNS1_3genE4ELNS1_11target_archE910ELNS1_3gpuE8ELNS1_3repE0EEENS1_48merge_mergepath_partition_config_static_selectorELNS0_4arch9wavefront6targetE1EEEvSJ_.has_indirect_call, 0
	.section	.AMDGPU.csdata,"",@progbits
; Kernel info:
; codeLenInByte = 0
; TotalNumSgprs: 6
; NumVgprs: 0
; NumAgprs: 0
; TotalNumVgprs: 0
; ScratchSize: 0
; MemoryBound: 0
; FloatMode: 240
; IeeeMode: 1
; LDSByteSize: 0 bytes/workgroup (compile time only)
; SGPRBlocks: 0
; VGPRBlocks: 0
; NumSGPRsForWavesPerEU: 6
; NumVGPRsForWavesPerEU: 1
; AccumOffset: 4
; Occupancy: 8
; WaveLimiterHint : 0
; COMPUTE_PGM_RSRC2:SCRATCH_EN: 0
; COMPUTE_PGM_RSRC2:USER_SGPR: 2
; COMPUTE_PGM_RSRC2:TRAP_HANDLER: 0
; COMPUTE_PGM_RSRC2:TGID_X_EN: 1
; COMPUTE_PGM_RSRC2:TGID_Y_EN: 0
; COMPUTE_PGM_RSRC2:TGID_Z_EN: 0
; COMPUTE_PGM_RSRC2:TIDIG_COMP_CNT: 0
; COMPUTE_PGM_RSRC3_GFX90A:ACCUM_OFFSET: 0
; COMPUTE_PGM_RSRC3_GFX90A:TG_SPLIT: 0
	.section	.text._ZN7rocprim17ROCPRIM_400000_NS6detail17trampoline_kernelINS0_14default_configENS1_38merge_sort_block_merge_config_selectorIiiEEZZNS1_27merge_sort_block_merge_implIS3_N6thrust23THRUST_200600_302600_NS6detail15normal_iteratorINS8_10device_ptrIiEEEESD_jNS1_19radix_merge_compareILb1ELb0EiNS0_19identity_decomposerEEEEE10hipError_tT0_T1_T2_jT3_P12ihipStream_tbPNSt15iterator_traitsISI_E10value_typeEPNSO_ISJ_E10value_typeEPSK_NS1_7vsmem_tEENKUlT_SI_SJ_SK_E_clIPiSD_S10_SD_EESH_SX_SI_SJ_SK_EUlSX_E_NS1_11comp_targetILNS1_3genE3ELNS1_11target_archE908ELNS1_3gpuE7ELNS1_3repE0EEENS1_48merge_mergepath_partition_config_static_selectorELNS0_4arch9wavefront6targetE1EEEvSJ_,"axG",@progbits,_ZN7rocprim17ROCPRIM_400000_NS6detail17trampoline_kernelINS0_14default_configENS1_38merge_sort_block_merge_config_selectorIiiEEZZNS1_27merge_sort_block_merge_implIS3_N6thrust23THRUST_200600_302600_NS6detail15normal_iteratorINS8_10device_ptrIiEEEESD_jNS1_19radix_merge_compareILb1ELb0EiNS0_19identity_decomposerEEEEE10hipError_tT0_T1_T2_jT3_P12ihipStream_tbPNSt15iterator_traitsISI_E10value_typeEPNSO_ISJ_E10value_typeEPSK_NS1_7vsmem_tEENKUlT_SI_SJ_SK_E_clIPiSD_S10_SD_EESH_SX_SI_SJ_SK_EUlSX_E_NS1_11comp_targetILNS1_3genE3ELNS1_11target_archE908ELNS1_3gpuE7ELNS1_3repE0EEENS1_48merge_mergepath_partition_config_static_selectorELNS0_4arch9wavefront6targetE1EEEvSJ_,comdat
	.protected	_ZN7rocprim17ROCPRIM_400000_NS6detail17trampoline_kernelINS0_14default_configENS1_38merge_sort_block_merge_config_selectorIiiEEZZNS1_27merge_sort_block_merge_implIS3_N6thrust23THRUST_200600_302600_NS6detail15normal_iteratorINS8_10device_ptrIiEEEESD_jNS1_19radix_merge_compareILb1ELb0EiNS0_19identity_decomposerEEEEE10hipError_tT0_T1_T2_jT3_P12ihipStream_tbPNSt15iterator_traitsISI_E10value_typeEPNSO_ISJ_E10value_typeEPSK_NS1_7vsmem_tEENKUlT_SI_SJ_SK_E_clIPiSD_S10_SD_EESH_SX_SI_SJ_SK_EUlSX_E_NS1_11comp_targetILNS1_3genE3ELNS1_11target_archE908ELNS1_3gpuE7ELNS1_3repE0EEENS1_48merge_mergepath_partition_config_static_selectorELNS0_4arch9wavefront6targetE1EEEvSJ_ ; -- Begin function _ZN7rocprim17ROCPRIM_400000_NS6detail17trampoline_kernelINS0_14default_configENS1_38merge_sort_block_merge_config_selectorIiiEEZZNS1_27merge_sort_block_merge_implIS3_N6thrust23THRUST_200600_302600_NS6detail15normal_iteratorINS8_10device_ptrIiEEEESD_jNS1_19radix_merge_compareILb1ELb0EiNS0_19identity_decomposerEEEEE10hipError_tT0_T1_T2_jT3_P12ihipStream_tbPNSt15iterator_traitsISI_E10value_typeEPNSO_ISJ_E10value_typeEPSK_NS1_7vsmem_tEENKUlT_SI_SJ_SK_E_clIPiSD_S10_SD_EESH_SX_SI_SJ_SK_EUlSX_E_NS1_11comp_targetILNS1_3genE3ELNS1_11target_archE908ELNS1_3gpuE7ELNS1_3repE0EEENS1_48merge_mergepath_partition_config_static_selectorELNS0_4arch9wavefront6targetE1EEEvSJ_
	.globl	_ZN7rocprim17ROCPRIM_400000_NS6detail17trampoline_kernelINS0_14default_configENS1_38merge_sort_block_merge_config_selectorIiiEEZZNS1_27merge_sort_block_merge_implIS3_N6thrust23THRUST_200600_302600_NS6detail15normal_iteratorINS8_10device_ptrIiEEEESD_jNS1_19radix_merge_compareILb1ELb0EiNS0_19identity_decomposerEEEEE10hipError_tT0_T1_T2_jT3_P12ihipStream_tbPNSt15iterator_traitsISI_E10value_typeEPNSO_ISJ_E10value_typeEPSK_NS1_7vsmem_tEENKUlT_SI_SJ_SK_E_clIPiSD_S10_SD_EESH_SX_SI_SJ_SK_EUlSX_E_NS1_11comp_targetILNS1_3genE3ELNS1_11target_archE908ELNS1_3gpuE7ELNS1_3repE0EEENS1_48merge_mergepath_partition_config_static_selectorELNS0_4arch9wavefront6targetE1EEEvSJ_
	.p2align	8
	.type	_ZN7rocprim17ROCPRIM_400000_NS6detail17trampoline_kernelINS0_14default_configENS1_38merge_sort_block_merge_config_selectorIiiEEZZNS1_27merge_sort_block_merge_implIS3_N6thrust23THRUST_200600_302600_NS6detail15normal_iteratorINS8_10device_ptrIiEEEESD_jNS1_19radix_merge_compareILb1ELb0EiNS0_19identity_decomposerEEEEE10hipError_tT0_T1_T2_jT3_P12ihipStream_tbPNSt15iterator_traitsISI_E10value_typeEPNSO_ISJ_E10value_typeEPSK_NS1_7vsmem_tEENKUlT_SI_SJ_SK_E_clIPiSD_S10_SD_EESH_SX_SI_SJ_SK_EUlSX_E_NS1_11comp_targetILNS1_3genE3ELNS1_11target_archE908ELNS1_3gpuE7ELNS1_3repE0EEENS1_48merge_mergepath_partition_config_static_selectorELNS0_4arch9wavefront6targetE1EEEvSJ_,@function
_ZN7rocprim17ROCPRIM_400000_NS6detail17trampoline_kernelINS0_14default_configENS1_38merge_sort_block_merge_config_selectorIiiEEZZNS1_27merge_sort_block_merge_implIS3_N6thrust23THRUST_200600_302600_NS6detail15normal_iteratorINS8_10device_ptrIiEEEESD_jNS1_19radix_merge_compareILb1ELb0EiNS0_19identity_decomposerEEEEE10hipError_tT0_T1_T2_jT3_P12ihipStream_tbPNSt15iterator_traitsISI_E10value_typeEPNSO_ISJ_E10value_typeEPSK_NS1_7vsmem_tEENKUlT_SI_SJ_SK_E_clIPiSD_S10_SD_EESH_SX_SI_SJ_SK_EUlSX_E_NS1_11comp_targetILNS1_3genE3ELNS1_11target_archE908ELNS1_3gpuE7ELNS1_3repE0EEENS1_48merge_mergepath_partition_config_static_selectorELNS0_4arch9wavefront6targetE1EEEvSJ_: ; @_ZN7rocprim17ROCPRIM_400000_NS6detail17trampoline_kernelINS0_14default_configENS1_38merge_sort_block_merge_config_selectorIiiEEZZNS1_27merge_sort_block_merge_implIS3_N6thrust23THRUST_200600_302600_NS6detail15normal_iteratorINS8_10device_ptrIiEEEESD_jNS1_19radix_merge_compareILb1ELb0EiNS0_19identity_decomposerEEEEE10hipError_tT0_T1_T2_jT3_P12ihipStream_tbPNSt15iterator_traitsISI_E10value_typeEPNSO_ISJ_E10value_typeEPSK_NS1_7vsmem_tEENKUlT_SI_SJ_SK_E_clIPiSD_S10_SD_EESH_SX_SI_SJ_SK_EUlSX_E_NS1_11comp_targetILNS1_3genE3ELNS1_11target_archE908ELNS1_3gpuE7ELNS1_3repE0EEENS1_48merge_mergepath_partition_config_static_selectorELNS0_4arch9wavefront6targetE1EEEvSJ_
; %bb.0:
	.section	.rodata,"a",@progbits
	.p2align	6, 0x0
	.amdhsa_kernel _ZN7rocprim17ROCPRIM_400000_NS6detail17trampoline_kernelINS0_14default_configENS1_38merge_sort_block_merge_config_selectorIiiEEZZNS1_27merge_sort_block_merge_implIS3_N6thrust23THRUST_200600_302600_NS6detail15normal_iteratorINS8_10device_ptrIiEEEESD_jNS1_19radix_merge_compareILb1ELb0EiNS0_19identity_decomposerEEEEE10hipError_tT0_T1_T2_jT3_P12ihipStream_tbPNSt15iterator_traitsISI_E10value_typeEPNSO_ISJ_E10value_typeEPSK_NS1_7vsmem_tEENKUlT_SI_SJ_SK_E_clIPiSD_S10_SD_EESH_SX_SI_SJ_SK_EUlSX_E_NS1_11comp_targetILNS1_3genE3ELNS1_11target_archE908ELNS1_3gpuE7ELNS1_3repE0EEENS1_48merge_mergepath_partition_config_static_selectorELNS0_4arch9wavefront6targetE1EEEvSJ_
		.amdhsa_group_segment_fixed_size 0
		.amdhsa_private_segment_fixed_size 0
		.amdhsa_kernarg_size 40
		.amdhsa_user_sgpr_count 2
		.amdhsa_user_sgpr_dispatch_ptr 0
		.amdhsa_user_sgpr_queue_ptr 0
		.amdhsa_user_sgpr_kernarg_segment_ptr 1
		.amdhsa_user_sgpr_dispatch_id 0
		.amdhsa_user_sgpr_kernarg_preload_length 0
		.amdhsa_user_sgpr_kernarg_preload_offset 0
		.amdhsa_user_sgpr_private_segment_size 0
		.amdhsa_uses_dynamic_stack 0
		.amdhsa_enable_private_segment 0
		.amdhsa_system_sgpr_workgroup_id_x 1
		.amdhsa_system_sgpr_workgroup_id_y 0
		.amdhsa_system_sgpr_workgroup_id_z 0
		.amdhsa_system_sgpr_workgroup_info 0
		.amdhsa_system_vgpr_workitem_id 0
		.amdhsa_next_free_vgpr 1
		.amdhsa_next_free_sgpr 0
		.amdhsa_accum_offset 4
		.amdhsa_reserve_vcc 0
		.amdhsa_float_round_mode_32 0
		.amdhsa_float_round_mode_16_64 0
		.amdhsa_float_denorm_mode_32 3
		.amdhsa_float_denorm_mode_16_64 3
		.amdhsa_dx10_clamp 1
		.amdhsa_ieee_mode 1
		.amdhsa_fp16_overflow 0
		.amdhsa_tg_split 0
		.amdhsa_exception_fp_ieee_invalid_op 0
		.amdhsa_exception_fp_denorm_src 0
		.amdhsa_exception_fp_ieee_div_zero 0
		.amdhsa_exception_fp_ieee_overflow 0
		.amdhsa_exception_fp_ieee_underflow 0
		.amdhsa_exception_fp_ieee_inexact 0
		.amdhsa_exception_int_div_zero 0
	.end_amdhsa_kernel
	.section	.text._ZN7rocprim17ROCPRIM_400000_NS6detail17trampoline_kernelINS0_14default_configENS1_38merge_sort_block_merge_config_selectorIiiEEZZNS1_27merge_sort_block_merge_implIS3_N6thrust23THRUST_200600_302600_NS6detail15normal_iteratorINS8_10device_ptrIiEEEESD_jNS1_19radix_merge_compareILb1ELb0EiNS0_19identity_decomposerEEEEE10hipError_tT0_T1_T2_jT3_P12ihipStream_tbPNSt15iterator_traitsISI_E10value_typeEPNSO_ISJ_E10value_typeEPSK_NS1_7vsmem_tEENKUlT_SI_SJ_SK_E_clIPiSD_S10_SD_EESH_SX_SI_SJ_SK_EUlSX_E_NS1_11comp_targetILNS1_3genE3ELNS1_11target_archE908ELNS1_3gpuE7ELNS1_3repE0EEENS1_48merge_mergepath_partition_config_static_selectorELNS0_4arch9wavefront6targetE1EEEvSJ_,"axG",@progbits,_ZN7rocprim17ROCPRIM_400000_NS6detail17trampoline_kernelINS0_14default_configENS1_38merge_sort_block_merge_config_selectorIiiEEZZNS1_27merge_sort_block_merge_implIS3_N6thrust23THRUST_200600_302600_NS6detail15normal_iteratorINS8_10device_ptrIiEEEESD_jNS1_19radix_merge_compareILb1ELb0EiNS0_19identity_decomposerEEEEE10hipError_tT0_T1_T2_jT3_P12ihipStream_tbPNSt15iterator_traitsISI_E10value_typeEPNSO_ISJ_E10value_typeEPSK_NS1_7vsmem_tEENKUlT_SI_SJ_SK_E_clIPiSD_S10_SD_EESH_SX_SI_SJ_SK_EUlSX_E_NS1_11comp_targetILNS1_3genE3ELNS1_11target_archE908ELNS1_3gpuE7ELNS1_3repE0EEENS1_48merge_mergepath_partition_config_static_selectorELNS0_4arch9wavefront6targetE1EEEvSJ_,comdat
.Lfunc_end1727:
	.size	_ZN7rocprim17ROCPRIM_400000_NS6detail17trampoline_kernelINS0_14default_configENS1_38merge_sort_block_merge_config_selectorIiiEEZZNS1_27merge_sort_block_merge_implIS3_N6thrust23THRUST_200600_302600_NS6detail15normal_iteratorINS8_10device_ptrIiEEEESD_jNS1_19radix_merge_compareILb1ELb0EiNS0_19identity_decomposerEEEEE10hipError_tT0_T1_T2_jT3_P12ihipStream_tbPNSt15iterator_traitsISI_E10value_typeEPNSO_ISJ_E10value_typeEPSK_NS1_7vsmem_tEENKUlT_SI_SJ_SK_E_clIPiSD_S10_SD_EESH_SX_SI_SJ_SK_EUlSX_E_NS1_11comp_targetILNS1_3genE3ELNS1_11target_archE908ELNS1_3gpuE7ELNS1_3repE0EEENS1_48merge_mergepath_partition_config_static_selectorELNS0_4arch9wavefront6targetE1EEEvSJ_, .Lfunc_end1727-_ZN7rocprim17ROCPRIM_400000_NS6detail17trampoline_kernelINS0_14default_configENS1_38merge_sort_block_merge_config_selectorIiiEEZZNS1_27merge_sort_block_merge_implIS3_N6thrust23THRUST_200600_302600_NS6detail15normal_iteratorINS8_10device_ptrIiEEEESD_jNS1_19radix_merge_compareILb1ELb0EiNS0_19identity_decomposerEEEEE10hipError_tT0_T1_T2_jT3_P12ihipStream_tbPNSt15iterator_traitsISI_E10value_typeEPNSO_ISJ_E10value_typeEPSK_NS1_7vsmem_tEENKUlT_SI_SJ_SK_E_clIPiSD_S10_SD_EESH_SX_SI_SJ_SK_EUlSX_E_NS1_11comp_targetILNS1_3genE3ELNS1_11target_archE908ELNS1_3gpuE7ELNS1_3repE0EEENS1_48merge_mergepath_partition_config_static_selectorELNS0_4arch9wavefront6targetE1EEEvSJ_
                                        ; -- End function
	.set _ZN7rocprim17ROCPRIM_400000_NS6detail17trampoline_kernelINS0_14default_configENS1_38merge_sort_block_merge_config_selectorIiiEEZZNS1_27merge_sort_block_merge_implIS3_N6thrust23THRUST_200600_302600_NS6detail15normal_iteratorINS8_10device_ptrIiEEEESD_jNS1_19radix_merge_compareILb1ELb0EiNS0_19identity_decomposerEEEEE10hipError_tT0_T1_T2_jT3_P12ihipStream_tbPNSt15iterator_traitsISI_E10value_typeEPNSO_ISJ_E10value_typeEPSK_NS1_7vsmem_tEENKUlT_SI_SJ_SK_E_clIPiSD_S10_SD_EESH_SX_SI_SJ_SK_EUlSX_E_NS1_11comp_targetILNS1_3genE3ELNS1_11target_archE908ELNS1_3gpuE7ELNS1_3repE0EEENS1_48merge_mergepath_partition_config_static_selectorELNS0_4arch9wavefront6targetE1EEEvSJ_.num_vgpr, 0
	.set _ZN7rocprim17ROCPRIM_400000_NS6detail17trampoline_kernelINS0_14default_configENS1_38merge_sort_block_merge_config_selectorIiiEEZZNS1_27merge_sort_block_merge_implIS3_N6thrust23THRUST_200600_302600_NS6detail15normal_iteratorINS8_10device_ptrIiEEEESD_jNS1_19radix_merge_compareILb1ELb0EiNS0_19identity_decomposerEEEEE10hipError_tT0_T1_T2_jT3_P12ihipStream_tbPNSt15iterator_traitsISI_E10value_typeEPNSO_ISJ_E10value_typeEPSK_NS1_7vsmem_tEENKUlT_SI_SJ_SK_E_clIPiSD_S10_SD_EESH_SX_SI_SJ_SK_EUlSX_E_NS1_11comp_targetILNS1_3genE3ELNS1_11target_archE908ELNS1_3gpuE7ELNS1_3repE0EEENS1_48merge_mergepath_partition_config_static_selectorELNS0_4arch9wavefront6targetE1EEEvSJ_.num_agpr, 0
	.set _ZN7rocprim17ROCPRIM_400000_NS6detail17trampoline_kernelINS0_14default_configENS1_38merge_sort_block_merge_config_selectorIiiEEZZNS1_27merge_sort_block_merge_implIS3_N6thrust23THRUST_200600_302600_NS6detail15normal_iteratorINS8_10device_ptrIiEEEESD_jNS1_19radix_merge_compareILb1ELb0EiNS0_19identity_decomposerEEEEE10hipError_tT0_T1_T2_jT3_P12ihipStream_tbPNSt15iterator_traitsISI_E10value_typeEPNSO_ISJ_E10value_typeEPSK_NS1_7vsmem_tEENKUlT_SI_SJ_SK_E_clIPiSD_S10_SD_EESH_SX_SI_SJ_SK_EUlSX_E_NS1_11comp_targetILNS1_3genE3ELNS1_11target_archE908ELNS1_3gpuE7ELNS1_3repE0EEENS1_48merge_mergepath_partition_config_static_selectorELNS0_4arch9wavefront6targetE1EEEvSJ_.numbered_sgpr, 0
	.set _ZN7rocprim17ROCPRIM_400000_NS6detail17trampoline_kernelINS0_14default_configENS1_38merge_sort_block_merge_config_selectorIiiEEZZNS1_27merge_sort_block_merge_implIS3_N6thrust23THRUST_200600_302600_NS6detail15normal_iteratorINS8_10device_ptrIiEEEESD_jNS1_19radix_merge_compareILb1ELb0EiNS0_19identity_decomposerEEEEE10hipError_tT0_T1_T2_jT3_P12ihipStream_tbPNSt15iterator_traitsISI_E10value_typeEPNSO_ISJ_E10value_typeEPSK_NS1_7vsmem_tEENKUlT_SI_SJ_SK_E_clIPiSD_S10_SD_EESH_SX_SI_SJ_SK_EUlSX_E_NS1_11comp_targetILNS1_3genE3ELNS1_11target_archE908ELNS1_3gpuE7ELNS1_3repE0EEENS1_48merge_mergepath_partition_config_static_selectorELNS0_4arch9wavefront6targetE1EEEvSJ_.num_named_barrier, 0
	.set _ZN7rocprim17ROCPRIM_400000_NS6detail17trampoline_kernelINS0_14default_configENS1_38merge_sort_block_merge_config_selectorIiiEEZZNS1_27merge_sort_block_merge_implIS3_N6thrust23THRUST_200600_302600_NS6detail15normal_iteratorINS8_10device_ptrIiEEEESD_jNS1_19radix_merge_compareILb1ELb0EiNS0_19identity_decomposerEEEEE10hipError_tT0_T1_T2_jT3_P12ihipStream_tbPNSt15iterator_traitsISI_E10value_typeEPNSO_ISJ_E10value_typeEPSK_NS1_7vsmem_tEENKUlT_SI_SJ_SK_E_clIPiSD_S10_SD_EESH_SX_SI_SJ_SK_EUlSX_E_NS1_11comp_targetILNS1_3genE3ELNS1_11target_archE908ELNS1_3gpuE7ELNS1_3repE0EEENS1_48merge_mergepath_partition_config_static_selectorELNS0_4arch9wavefront6targetE1EEEvSJ_.private_seg_size, 0
	.set _ZN7rocprim17ROCPRIM_400000_NS6detail17trampoline_kernelINS0_14default_configENS1_38merge_sort_block_merge_config_selectorIiiEEZZNS1_27merge_sort_block_merge_implIS3_N6thrust23THRUST_200600_302600_NS6detail15normal_iteratorINS8_10device_ptrIiEEEESD_jNS1_19radix_merge_compareILb1ELb0EiNS0_19identity_decomposerEEEEE10hipError_tT0_T1_T2_jT3_P12ihipStream_tbPNSt15iterator_traitsISI_E10value_typeEPNSO_ISJ_E10value_typeEPSK_NS1_7vsmem_tEENKUlT_SI_SJ_SK_E_clIPiSD_S10_SD_EESH_SX_SI_SJ_SK_EUlSX_E_NS1_11comp_targetILNS1_3genE3ELNS1_11target_archE908ELNS1_3gpuE7ELNS1_3repE0EEENS1_48merge_mergepath_partition_config_static_selectorELNS0_4arch9wavefront6targetE1EEEvSJ_.uses_vcc, 0
	.set _ZN7rocprim17ROCPRIM_400000_NS6detail17trampoline_kernelINS0_14default_configENS1_38merge_sort_block_merge_config_selectorIiiEEZZNS1_27merge_sort_block_merge_implIS3_N6thrust23THRUST_200600_302600_NS6detail15normal_iteratorINS8_10device_ptrIiEEEESD_jNS1_19radix_merge_compareILb1ELb0EiNS0_19identity_decomposerEEEEE10hipError_tT0_T1_T2_jT3_P12ihipStream_tbPNSt15iterator_traitsISI_E10value_typeEPNSO_ISJ_E10value_typeEPSK_NS1_7vsmem_tEENKUlT_SI_SJ_SK_E_clIPiSD_S10_SD_EESH_SX_SI_SJ_SK_EUlSX_E_NS1_11comp_targetILNS1_3genE3ELNS1_11target_archE908ELNS1_3gpuE7ELNS1_3repE0EEENS1_48merge_mergepath_partition_config_static_selectorELNS0_4arch9wavefront6targetE1EEEvSJ_.uses_flat_scratch, 0
	.set _ZN7rocprim17ROCPRIM_400000_NS6detail17trampoline_kernelINS0_14default_configENS1_38merge_sort_block_merge_config_selectorIiiEEZZNS1_27merge_sort_block_merge_implIS3_N6thrust23THRUST_200600_302600_NS6detail15normal_iteratorINS8_10device_ptrIiEEEESD_jNS1_19radix_merge_compareILb1ELb0EiNS0_19identity_decomposerEEEEE10hipError_tT0_T1_T2_jT3_P12ihipStream_tbPNSt15iterator_traitsISI_E10value_typeEPNSO_ISJ_E10value_typeEPSK_NS1_7vsmem_tEENKUlT_SI_SJ_SK_E_clIPiSD_S10_SD_EESH_SX_SI_SJ_SK_EUlSX_E_NS1_11comp_targetILNS1_3genE3ELNS1_11target_archE908ELNS1_3gpuE7ELNS1_3repE0EEENS1_48merge_mergepath_partition_config_static_selectorELNS0_4arch9wavefront6targetE1EEEvSJ_.has_dyn_sized_stack, 0
	.set _ZN7rocprim17ROCPRIM_400000_NS6detail17trampoline_kernelINS0_14default_configENS1_38merge_sort_block_merge_config_selectorIiiEEZZNS1_27merge_sort_block_merge_implIS3_N6thrust23THRUST_200600_302600_NS6detail15normal_iteratorINS8_10device_ptrIiEEEESD_jNS1_19radix_merge_compareILb1ELb0EiNS0_19identity_decomposerEEEEE10hipError_tT0_T1_T2_jT3_P12ihipStream_tbPNSt15iterator_traitsISI_E10value_typeEPNSO_ISJ_E10value_typeEPSK_NS1_7vsmem_tEENKUlT_SI_SJ_SK_E_clIPiSD_S10_SD_EESH_SX_SI_SJ_SK_EUlSX_E_NS1_11comp_targetILNS1_3genE3ELNS1_11target_archE908ELNS1_3gpuE7ELNS1_3repE0EEENS1_48merge_mergepath_partition_config_static_selectorELNS0_4arch9wavefront6targetE1EEEvSJ_.has_recursion, 0
	.set _ZN7rocprim17ROCPRIM_400000_NS6detail17trampoline_kernelINS0_14default_configENS1_38merge_sort_block_merge_config_selectorIiiEEZZNS1_27merge_sort_block_merge_implIS3_N6thrust23THRUST_200600_302600_NS6detail15normal_iteratorINS8_10device_ptrIiEEEESD_jNS1_19radix_merge_compareILb1ELb0EiNS0_19identity_decomposerEEEEE10hipError_tT0_T1_T2_jT3_P12ihipStream_tbPNSt15iterator_traitsISI_E10value_typeEPNSO_ISJ_E10value_typeEPSK_NS1_7vsmem_tEENKUlT_SI_SJ_SK_E_clIPiSD_S10_SD_EESH_SX_SI_SJ_SK_EUlSX_E_NS1_11comp_targetILNS1_3genE3ELNS1_11target_archE908ELNS1_3gpuE7ELNS1_3repE0EEENS1_48merge_mergepath_partition_config_static_selectorELNS0_4arch9wavefront6targetE1EEEvSJ_.has_indirect_call, 0
	.section	.AMDGPU.csdata,"",@progbits
; Kernel info:
; codeLenInByte = 0
; TotalNumSgprs: 6
; NumVgprs: 0
; NumAgprs: 0
; TotalNumVgprs: 0
; ScratchSize: 0
; MemoryBound: 0
; FloatMode: 240
; IeeeMode: 1
; LDSByteSize: 0 bytes/workgroup (compile time only)
; SGPRBlocks: 0
; VGPRBlocks: 0
; NumSGPRsForWavesPerEU: 6
; NumVGPRsForWavesPerEU: 1
; AccumOffset: 4
; Occupancy: 8
; WaveLimiterHint : 0
; COMPUTE_PGM_RSRC2:SCRATCH_EN: 0
; COMPUTE_PGM_RSRC2:USER_SGPR: 2
; COMPUTE_PGM_RSRC2:TRAP_HANDLER: 0
; COMPUTE_PGM_RSRC2:TGID_X_EN: 1
; COMPUTE_PGM_RSRC2:TGID_Y_EN: 0
; COMPUTE_PGM_RSRC2:TGID_Z_EN: 0
; COMPUTE_PGM_RSRC2:TIDIG_COMP_CNT: 0
; COMPUTE_PGM_RSRC3_GFX90A:ACCUM_OFFSET: 0
; COMPUTE_PGM_RSRC3_GFX90A:TG_SPLIT: 0
	.section	.text._ZN7rocprim17ROCPRIM_400000_NS6detail17trampoline_kernelINS0_14default_configENS1_38merge_sort_block_merge_config_selectorIiiEEZZNS1_27merge_sort_block_merge_implIS3_N6thrust23THRUST_200600_302600_NS6detail15normal_iteratorINS8_10device_ptrIiEEEESD_jNS1_19radix_merge_compareILb1ELb0EiNS0_19identity_decomposerEEEEE10hipError_tT0_T1_T2_jT3_P12ihipStream_tbPNSt15iterator_traitsISI_E10value_typeEPNSO_ISJ_E10value_typeEPSK_NS1_7vsmem_tEENKUlT_SI_SJ_SK_E_clIPiSD_S10_SD_EESH_SX_SI_SJ_SK_EUlSX_E_NS1_11comp_targetILNS1_3genE2ELNS1_11target_archE906ELNS1_3gpuE6ELNS1_3repE0EEENS1_48merge_mergepath_partition_config_static_selectorELNS0_4arch9wavefront6targetE1EEEvSJ_,"axG",@progbits,_ZN7rocprim17ROCPRIM_400000_NS6detail17trampoline_kernelINS0_14default_configENS1_38merge_sort_block_merge_config_selectorIiiEEZZNS1_27merge_sort_block_merge_implIS3_N6thrust23THRUST_200600_302600_NS6detail15normal_iteratorINS8_10device_ptrIiEEEESD_jNS1_19radix_merge_compareILb1ELb0EiNS0_19identity_decomposerEEEEE10hipError_tT0_T1_T2_jT3_P12ihipStream_tbPNSt15iterator_traitsISI_E10value_typeEPNSO_ISJ_E10value_typeEPSK_NS1_7vsmem_tEENKUlT_SI_SJ_SK_E_clIPiSD_S10_SD_EESH_SX_SI_SJ_SK_EUlSX_E_NS1_11comp_targetILNS1_3genE2ELNS1_11target_archE906ELNS1_3gpuE6ELNS1_3repE0EEENS1_48merge_mergepath_partition_config_static_selectorELNS0_4arch9wavefront6targetE1EEEvSJ_,comdat
	.protected	_ZN7rocprim17ROCPRIM_400000_NS6detail17trampoline_kernelINS0_14default_configENS1_38merge_sort_block_merge_config_selectorIiiEEZZNS1_27merge_sort_block_merge_implIS3_N6thrust23THRUST_200600_302600_NS6detail15normal_iteratorINS8_10device_ptrIiEEEESD_jNS1_19radix_merge_compareILb1ELb0EiNS0_19identity_decomposerEEEEE10hipError_tT0_T1_T2_jT3_P12ihipStream_tbPNSt15iterator_traitsISI_E10value_typeEPNSO_ISJ_E10value_typeEPSK_NS1_7vsmem_tEENKUlT_SI_SJ_SK_E_clIPiSD_S10_SD_EESH_SX_SI_SJ_SK_EUlSX_E_NS1_11comp_targetILNS1_3genE2ELNS1_11target_archE906ELNS1_3gpuE6ELNS1_3repE0EEENS1_48merge_mergepath_partition_config_static_selectorELNS0_4arch9wavefront6targetE1EEEvSJ_ ; -- Begin function _ZN7rocprim17ROCPRIM_400000_NS6detail17trampoline_kernelINS0_14default_configENS1_38merge_sort_block_merge_config_selectorIiiEEZZNS1_27merge_sort_block_merge_implIS3_N6thrust23THRUST_200600_302600_NS6detail15normal_iteratorINS8_10device_ptrIiEEEESD_jNS1_19radix_merge_compareILb1ELb0EiNS0_19identity_decomposerEEEEE10hipError_tT0_T1_T2_jT3_P12ihipStream_tbPNSt15iterator_traitsISI_E10value_typeEPNSO_ISJ_E10value_typeEPSK_NS1_7vsmem_tEENKUlT_SI_SJ_SK_E_clIPiSD_S10_SD_EESH_SX_SI_SJ_SK_EUlSX_E_NS1_11comp_targetILNS1_3genE2ELNS1_11target_archE906ELNS1_3gpuE6ELNS1_3repE0EEENS1_48merge_mergepath_partition_config_static_selectorELNS0_4arch9wavefront6targetE1EEEvSJ_
	.globl	_ZN7rocprim17ROCPRIM_400000_NS6detail17trampoline_kernelINS0_14default_configENS1_38merge_sort_block_merge_config_selectorIiiEEZZNS1_27merge_sort_block_merge_implIS3_N6thrust23THRUST_200600_302600_NS6detail15normal_iteratorINS8_10device_ptrIiEEEESD_jNS1_19radix_merge_compareILb1ELb0EiNS0_19identity_decomposerEEEEE10hipError_tT0_T1_T2_jT3_P12ihipStream_tbPNSt15iterator_traitsISI_E10value_typeEPNSO_ISJ_E10value_typeEPSK_NS1_7vsmem_tEENKUlT_SI_SJ_SK_E_clIPiSD_S10_SD_EESH_SX_SI_SJ_SK_EUlSX_E_NS1_11comp_targetILNS1_3genE2ELNS1_11target_archE906ELNS1_3gpuE6ELNS1_3repE0EEENS1_48merge_mergepath_partition_config_static_selectorELNS0_4arch9wavefront6targetE1EEEvSJ_
	.p2align	8
	.type	_ZN7rocprim17ROCPRIM_400000_NS6detail17trampoline_kernelINS0_14default_configENS1_38merge_sort_block_merge_config_selectorIiiEEZZNS1_27merge_sort_block_merge_implIS3_N6thrust23THRUST_200600_302600_NS6detail15normal_iteratorINS8_10device_ptrIiEEEESD_jNS1_19radix_merge_compareILb1ELb0EiNS0_19identity_decomposerEEEEE10hipError_tT0_T1_T2_jT3_P12ihipStream_tbPNSt15iterator_traitsISI_E10value_typeEPNSO_ISJ_E10value_typeEPSK_NS1_7vsmem_tEENKUlT_SI_SJ_SK_E_clIPiSD_S10_SD_EESH_SX_SI_SJ_SK_EUlSX_E_NS1_11comp_targetILNS1_3genE2ELNS1_11target_archE906ELNS1_3gpuE6ELNS1_3repE0EEENS1_48merge_mergepath_partition_config_static_selectorELNS0_4arch9wavefront6targetE1EEEvSJ_,@function
_ZN7rocprim17ROCPRIM_400000_NS6detail17trampoline_kernelINS0_14default_configENS1_38merge_sort_block_merge_config_selectorIiiEEZZNS1_27merge_sort_block_merge_implIS3_N6thrust23THRUST_200600_302600_NS6detail15normal_iteratorINS8_10device_ptrIiEEEESD_jNS1_19radix_merge_compareILb1ELb0EiNS0_19identity_decomposerEEEEE10hipError_tT0_T1_T2_jT3_P12ihipStream_tbPNSt15iterator_traitsISI_E10value_typeEPNSO_ISJ_E10value_typeEPSK_NS1_7vsmem_tEENKUlT_SI_SJ_SK_E_clIPiSD_S10_SD_EESH_SX_SI_SJ_SK_EUlSX_E_NS1_11comp_targetILNS1_3genE2ELNS1_11target_archE906ELNS1_3gpuE6ELNS1_3repE0EEENS1_48merge_mergepath_partition_config_static_selectorELNS0_4arch9wavefront6targetE1EEEvSJ_: ; @_ZN7rocprim17ROCPRIM_400000_NS6detail17trampoline_kernelINS0_14default_configENS1_38merge_sort_block_merge_config_selectorIiiEEZZNS1_27merge_sort_block_merge_implIS3_N6thrust23THRUST_200600_302600_NS6detail15normal_iteratorINS8_10device_ptrIiEEEESD_jNS1_19radix_merge_compareILb1ELb0EiNS0_19identity_decomposerEEEEE10hipError_tT0_T1_T2_jT3_P12ihipStream_tbPNSt15iterator_traitsISI_E10value_typeEPNSO_ISJ_E10value_typeEPSK_NS1_7vsmem_tEENKUlT_SI_SJ_SK_E_clIPiSD_S10_SD_EESH_SX_SI_SJ_SK_EUlSX_E_NS1_11comp_targetILNS1_3genE2ELNS1_11target_archE906ELNS1_3gpuE6ELNS1_3repE0EEENS1_48merge_mergepath_partition_config_static_selectorELNS0_4arch9wavefront6targetE1EEEvSJ_
; %bb.0:
	.section	.rodata,"a",@progbits
	.p2align	6, 0x0
	.amdhsa_kernel _ZN7rocprim17ROCPRIM_400000_NS6detail17trampoline_kernelINS0_14default_configENS1_38merge_sort_block_merge_config_selectorIiiEEZZNS1_27merge_sort_block_merge_implIS3_N6thrust23THRUST_200600_302600_NS6detail15normal_iteratorINS8_10device_ptrIiEEEESD_jNS1_19radix_merge_compareILb1ELb0EiNS0_19identity_decomposerEEEEE10hipError_tT0_T1_T2_jT3_P12ihipStream_tbPNSt15iterator_traitsISI_E10value_typeEPNSO_ISJ_E10value_typeEPSK_NS1_7vsmem_tEENKUlT_SI_SJ_SK_E_clIPiSD_S10_SD_EESH_SX_SI_SJ_SK_EUlSX_E_NS1_11comp_targetILNS1_3genE2ELNS1_11target_archE906ELNS1_3gpuE6ELNS1_3repE0EEENS1_48merge_mergepath_partition_config_static_selectorELNS0_4arch9wavefront6targetE1EEEvSJ_
		.amdhsa_group_segment_fixed_size 0
		.amdhsa_private_segment_fixed_size 0
		.amdhsa_kernarg_size 40
		.amdhsa_user_sgpr_count 2
		.amdhsa_user_sgpr_dispatch_ptr 0
		.amdhsa_user_sgpr_queue_ptr 0
		.amdhsa_user_sgpr_kernarg_segment_ptr 1
		.amdhsa_user_sgpr_dispatch_id 0
		.amdhsa_user_sgpr_kernarg_preload_length 0
		.amdhsa_user_sgpr_kernarg_preload_offset 0
		.amdhsa_user_sgpr_private_segment_size 0
		.amdhsa_uses_dynamic_stack 0
		.amdhsa_enable_private_segment 0
		.amdhsa_system_sgpr_workgroup_id_x 1
		.amdhsa_system_sgpr_workgroup_id_y 0
		.amdhsa_system_sgpr_workgroup_id_z 0
		.amdhsa_system_sgpr_workgroup_info 0
		.amdhsa_system_vgpr_workitem_id 0
		.amdhsa_next_free_vgpr 1
		.amdhsa_next_free_sgpr 0
		.amdhsa_accum_offset 4
		.amdhsa_reserve_vcc 0
		.amdhsa_float_round_mode_32 0
		.amdhsa_float_round_mode_16_64 0
		.amdhsa_float_denorm_mode_32 3
		.amdhsa_float_denorm_mode_16_64 3
		.amdhsa_dx10_clamp 1
		.amdhsa_ieee_mode 1
		.amdhsa_fp16_overflow 0
		.amdhsa_tg_split 0
		.amdhsa_exception_fp_ieee_invalid_op 0
		.amdhsa_exception_fp_denorm_src 0
		.amdhsa_exception_fp_ieee_div_zero 0
		.amdhsa_exception_fp_ieee_overflow 0
		.amdhsa_exception_fp_ieee_underflow 0
		.amdhsa_exception_fp_ieee_inexact 0
		.amdhsa_exception_int_div_zero 0
	.end_amdhsa_kernel
	.section	.text._ZN7rocprim17ROCPRIM_400000_NS6detail17trampoline_kernelINS0_14default_configENS1_38merge_sort_block_merge_config_selectorIiiEEZZNS1_27merge_sort_block_merge_implIS3_N6thrust23THRUST_200600_302600_NS6detail15normal_iteratorINS8_10device_ptrIiEEEESD_jNS1_19radix_merge_compareILb1ELb0EiNS0_19identity_decomposerEEEEE10hipError_tT0_T1_T2_jT3_P12ihipStream_tbPNSt15iterator_traitsISI_E10value_typeEPNSO_ISJ_E10value_typeEPSK_NS1_7vsmem_tEENKUlT_SI_SJ_SK_E_clIPiSD_S10_SD_EESH_SX_SI_SJ_SK_EUlSX_E_NS1_11comp_targetILNS1_3genE2ELNS1_11target_archE906ELNS1_3gpuE6ELNS1_3repE0EEENS1_48merge_mergepath_partition_config_static_selectorELNS0_4arch9wavefront6targetE1EEEvSJ_,"axG",@progbits,_ZN7rocprim17ROCPRIM_400000_NS6detail17trampoline_kernelINS0_14default_configENS1_38merge_sort_block_merge_config_selectorIiiEEZZNS1_27merge_sort_block_merge_implIS3_N6thrust23THRUST_200600_302600_NS6detail15normal_iteratorINS8_10device_ptrIiEEEESD_jNS1_19radix_merge_compareILb1ELb0EiNS0_19identity_decomposerEEEEE10hipError_tT0_T1_T2_jT3_P12ihipStream_tbPNSt15iterator_traitsISI_E10value_typeEPNSO_ISJ_E10value_typeEPSK_NS1_7vsmem_tEENKUlT_SI_SJ_SK_E_clIPiSD_S10_SD_EESH_SX_SI_SJ_SK_EUlSX_E_NS1_11comp_targetILNS1_3genE2ELNS1_11target_archE906ELNS1_3gpuE6ELNS1_3repE0EEENS1_48merge_mergepath_partition_config_static_selectorELNS0_4arch9wavefront6targetE1EEEvSJ_,comdat
.Lfunc_end1728:
	.size	_ZN7rocprim17ROCPRIM_400000_NS6detail17trampoline_kernelINS0_14default_configENS1_38merge_sort_block_merge_config_selectorIiiEEZZNS1_27merge_sort_block_merge_implIS3_N6thrust23THRUST_200600_302600_NS6detail15normal_iteratorINS8_10device_ptrIiEEEESD_jNS1_19radix_merge_compareILb1ELb0EiNS0_19identity_decomposerEEEEE10hipError_tT0_T1_T2_jT3_P12ihipStream_tbPNSt15iterator_traitsISI_E10value_typeEPNSO_ISJ_E10value_typeEPSK_NS1_7vsmem_tEENKUlT_SI_SJ_SK_E_clIPiSD_S10_SD_EESH_SX_SI_SJ_SK_EUlSX_E_NS1_11comp_targetILNS1_3genE2ELNS1_11target_archE906ELNS1_3gpuE6ELNS1_3repE0EEENS1_48merge_mergepath_partition_config_static_selectorELNS0_4arch9wavefront6targetE1EEEvSJ_, .Lfunc_end1728-_ZN7rocprim17ROCPRIM_400000_NS6detail17trampoline_kernelINS0_14default_configENS1_38merge_sort_block_merge_config_selectorIiiEEZZNS1_27merge_sort_block_merge_implIS3_N6thrust23THRUST_200600_302600_NS6detail15normal_iteratorINS8_10device_ptrIiEEEESD_jNS1_19radix_merge_compareILb1ELb0EiNS0_19identity_decomposerEEEEE10hipError_tT0_T1_T2_jT3_P12ihipStream_tbPNSt15iterator_traitsISI_E10value_typeEPNSO_ISJ_E10value_typeEPSK_NS1_7vsmem_tEENKUlT_SI_SJ_SK_E_clIPiSD_S10_SD_EESH_SX_SI_SJ_SK_EUlSX_E_NS1_11comp_targetILNS1_3genE2ELNS1_11target_archE906ELNS1_3gpuE6ELNS1_3repE0EEENS1_48merge_mergepath_partition_config_static_selectorELNS0_4arch9wavefront6targetE1EEEvSJ_
                                        ; -- End function
	.set _ZN7rocprim17ROCPRIM_400000_NS6detail17trampoline_kernelINS0_14default_configENS1_38merge_sort_block_merge_config_selectorIiiEEZZNS1_27merge_sort_block_merge_implIS3_N6thrust23THRUST_200600_302600_NS6detail15normal_iteratorINS8_10device_ptrIiEEEESD_jNS1_19radix_merge_compareILb1ELb0EiNS0_19identity_decomposerEEEEE10hipError_tT0_T1_T2_jT3_P12ihipStream_tbPNSt15iterator_traitsISI_E10value_typeEPNSO_ISJ_E10value_typeEPSK_NS1_7vsmem_tEENKUlT_SI_SJ_SK_E_clIPiSD_S10_SD_EESH_SX_SI_SJ_SK_EUlSX_E_NS1_11comp_targetILNS1_3genE2ELNS1_11target_archE906ELNS1_3gpuE6ELNS1_3repE0EEENS1_48merge_mergepath_partition_config_static_selectorELNS0_4arch9wavefront6targetE1EEEvSJ_.num_vgpr, 0
	.set _ZN7rocprim17ROCPRIM_400000_NS6detail17trampoline_kernelINS0_14default_configENS1_38merge_sort_block_merge_config_selectorIiiEEZZNS1_27merge_sort_block_merge_implIS3_N6thrust23THRUST_200600_302600_NS6detail15normal_iteratorINS8_10device_ptrIiEEEESD_jNS1_19radix_merge_compareILb1ELb0EiNS0_19identity_decomposerEEEEE10hipError_tT0_T1_T2_jT3_P12ihipStream_tbPNSt15iterator_traitsISI_E10value_typeEPNSO_ISJ_E10value_typeEPSK_NS1_7vsmem_tEENKUlT_SI_SJ_SK_E_clIPiSD_S10_SD_EESH_SX_SI_SJ_SK_EUlSX_E_NS1_11comp_targetILNS1_3genE2ELNS1_11target_archE906ELNS1_3gpuE6ELNS1_3repE0EEENS1_48merge_mergepath_partition_config_static_selectorELNS0_4arch9wavefront6targetE1EEEvSJ_.num_agpr, 0
	.set _ZN7rocprim17ROCPRIM_400000_NS6detail17trampoline_kernelINS0_14default_configENS1_38merge_sort_block_merge_config_selectorIiiEEZZNS1_27merge_sort_block_merge_implIS3_N6thrust23THRUST_200600_302600_NS6detail15normal_iteratorINS8_10device_ptrIiEEEESD_jNS1_19radix_merge_compareILb1ELb0EiNS0_19identity_decomposerEEEEE10hipError_tT0_T1_T2_jT3_P12ihipStream_tbPNSt15iterator_traitsISI_E10value_typeEPNSO_ISJ_E10value_typeEPSK_NS1_7vsmem_tEENKUlT_SI_SJ_SK_E_clIPiSD_S10_SD_EESH_SX_SI_SJ_SK_EUlSX_E_NS1_11comp_targetILNS1_3genE2ELNS1_11target_archE906ELNS1_3gpuE6ELNS1_3repE0EEENS1_48merge_mergepath_partition_config_static_selectorELNS0_4arch9wavefront6targetE1EEEvSJ_.numbered_sgpr, 0
	.set _ZN7rocprim17ROCPRIM_400000_NS6detail17trampoline_kernelINS0_14default_configENS1_38merge_sort_block_merge_config_selectorIiiEEZZNS1_27merge_sort_block_merge_implIS3_N6thrust23THRUST_200600_302600_NS6detail15normal_iteratorINS8_10device_ptrIiEEEESD_jNS1_19radix_merge_compareILb1ELb0EiNS0_19identity_decomposerEEEEE10hipError_tT0_T1_T2_jT3_P12ihipStream_tbPNSt15iterator_traitsISI_E10value_typeEPNSO_ISJ_E10value_typeEPSK_NS1_7vsmem_tEENKUlT_SI_SJ_SK_E_clIPiSD_S10_SD_EESH_SX_SI_SJ_SK_EUlSX_E_NS1_11comp_targetILNS1_3genE2ELNS1_11target_archE906ELNS1_3gpuE6ELNS1_3repE0EEENS1_48merge_mergepath_partition_config_static_selectorELNS0_4arch9wavefront6targetE1EEEvSJ_.num_named_barrier, 0
	.set _ZN7rocprim17ROCPRIM_400000_NS6detail17trampoline_kernelINS0_14default_configENS1_38merge_sort_block_merge_config_selectorIiiEEZZNS1_27merge_sort_block_merge_implIS3_N6thrust23THRUST_200600_302600_NS6detail15normal_iteratorINS8_10device_ptrIiEEEESD_jNS1_19radix_merge_compareILb1ELb0EiNS0_19identity_decomposerEEEEE10hipError_tT0_T1_T2_jT3_P12ihipStream_tbPNSt15iterator_traitsISI_E10value_typeEPNSO_ISJ_E10value_typeEPSK_NS1_7vsmem_tEENKUlT_SI_SJ_SK_E_clIPiSD_S10_SD_EESH_SX_SI_SJ_SK_EUlSX_E_NS1_11comp_targetILNS1_3genE2ELNS1_11target_archE906ELNS1_3gpuE6ELNS1_3repE0EEENS1_48merge_mergepath_partition_config_static_selectorELNS0_4arch9wavefront6targetE1EEEvSJ_.private_seg_size, 0
	.set _ZN7rocprim17ROCPRIM_400000_NS6detail17trampoline_kernelINS0_14default_configENS1_38merge_sort_block_merge_config_selectorIiiEEZZNS1_27merge_sort_block_merge_implIS3_N6thrust23THRUST_200600_302600_NS6detail15normal_iteratorINS8_10device_ptrIiEEEESD_jNS1_19radix_merge_compareILb1ELb0EiNS0_19identity_decomposerEEEEE10hipError_tT0_T1_T2_jT3_P12ihipStream_tbPNSt15iterator_traitsISI_E10value_typeEPNSO_ISJ_E10value_typeEPSK_NS1_7vsmem_tEENKUlT_SI_SJ_SK_E_clIPiSD_S10_SD_EESH_SX_SI_SJ_SK_EUlSX_E_NS1_11comp_targetILNS1_3genE2ELNS1_11target_archE906ELNS1_3gpuE6ELNS1_3repE0EEENS1_48merge_mergepath_partition_config_static_selectorELNS0_4arch9wavefront6targetE1EEEvSJ_.uses_vcc, 0
	.set _ZN7rocprim17ROCPRIM_400000_NS6detail17trampoline_kernelINS0_14default_configENS1_38merge_sort_block_merge_config_selectorIiiEEZZNS1_27merge_sort_block_merge_implIS3_N6thrust23THRUST_200600_302600_NS6detail15normal_iteratorINS8_10device_ptrIiEEEESD_jNS1_19radix_merge_compareILb1ELb0EiNS0_19identity_decomposerEEEEE10hipError_tT0_T1_T2_jT3_P12ihipStream_tbPNSt15iterator_traitsISI_E10value_typeEPNSO_ISJ_E10value_typeEPSK_NS1_7vsmem_tEENKUlT_SI_SJ_SK_E_clIPiSD_S10_SD_EESH_SX_SI_SJ_SK_EUlSX_E_NS1_11comp_targetILNS1_3genE2ELNS1_11target_archE906ELNS1_3gpuE6ELNS1_3repE0EEENS1_48merge_mergepath_partition_config_static_selectorELNS0_4arch9wavefront6targetE1EEEvSJ_.uses_flat_scratch, 0
	.set _ZN7rocprim17ROCPRIM_400000_NS6detail17trampoline_kernelINS0_14default_configENS1_38merge_sort_block_merge_config_selectorIiiEEZZNS1_27merge_sort_block_merge_implIS3_N6thrust23THRUST_200600_302600_NS6detail15normal_iteratorINS8_10device_ptrIiEEEESD_jNS1_19radix_merge_compareILb1ELb0EiNS0_19identity_decomposerEEEEE10hipError_tT0_T1_T2_jT3_P12ihipStream_tbPNSt15iterator_traitsISI_E10value_typeEPNSO_ISJ_E10value_typeEPSK_NS1_7vsmem_tEENKUlT_SI_SJ_SK_E_clIPiSD_S10_SD_EESH_SX_SI_SJ_SK_EUlSX_E_NS1_11comp_targetILNS1_3genE2ELNS1_11target_archE906ELNS1_3gpuE6ELNS1_3repE0EEENS1_48merge_mergepath_partition_config_static_selectorELNS0_4arch9wavefront6targetE1EEEvSJ_.has_dyn_sized_stack, 0
	.set _ZN7rocprim17ROCPRIM_400000_NS6detail17trampoline_kernelINS0_14default_configENS1_38merge_sort_block_merge_config_selectorIiiEEZZNS1_27merge_sort_block_merge_implIS3_N6thrust23THRUST_200600_302600_NS6detail15normal_iteratorINS8_10device_ptrIiEEEESD_jNS1_19radix_merge_compareILb1ELb0EiNS0_19identity_decomposerEEEEE10hipError_tT0_T1_T2_jT3_P12ihipStream_tbPNSt15iterator_traitsISI_E10value_typeEPNSO_ISJ_E10value_typeEPSK_NS1_7vsmem_tEENKUlT_SI_SJ_SK_E_clIPiSD_S10_SD_EESH_SX_SI_SJ_SK_EUlSX_E_NS1_11comp_targetILNS1_3genE2ELNS1_11target_archE906ELNS1_3gpuE6ELNS1_3repE0EEENS1_48merge_mergepath_partition_config_static_selectorELNS0_4arch9wavefront6targetE1EEEvSJ_.has_recursion, 0
	.set _ZN7rocprim17ROCPRIM_400000_NS6detail17trampoline_kernelINS0_14default_configENS1_38merge_sort_block_merge_config_selectorIiiEEZZNS1_27merge_sort_block_merge_implIS3_N6thrust23THRUST_200600_302600_NS6detail15normal_iteratorINS8_10device_ptrIiEEEESD_jNS1_19radix_merge_compareILb1ELb0EiNS0_19identity_decomposerEEEEE10hipError_tT0_T1_T2_jT3_P12ihipStream_tbPNSt15iterator_traitsISI_E10value_typeEPNSO_ISJ_E10value_typeEPSK_NS1_7vsmem_tEENKUlT_SI_SJ_SK_E_clIPiSD_S10_SD_EESH_SX_SI_SJ_SK_EUlSX_E_NS1_11comp_targetILNS1_3genE2ELNS1_11target_archE906ELNS1_3gpuE6ELNS1_3repE0EEENS1_48merge_mergepath_partition_config_static_selectorELNS0_4arch9wavefront6targetE1EEEvSJ_.has_indirect_call, 0
	.section	.AMDGPU.csdata,"",@progbits
; Kernel info:
; codeLenInByte = 0
; TotalNumSgprs: 6
; NumVgprs: 0
; NumAgprs: 0
; TotalNumVgprs: 0
; ScratchSize: 0
; MemoryBound: 0
; FloatMode: 240
; IeeeMode: 1
; LDSByteSize: 0 bytes/workgroup (compile time only)
; SGPRBlocks: 0
; VGPRBlocks: 0
; NumSGPRsForWavesPerEU: 6
; NumVGPRsForWavesPerEU: 1
; AccumOffset: 4
; Occupancy: 8
; WaveLimiterHint : 0
; COMPUTE_PGM_RSRC2:SCRATCH_EN: 0
; COMPUTE_PGM_RSRC2:USER_SGPR: 2
; COMPUTE_PGM_RSRC2:TRAP_HANDLER: 0
; COMPUTE_PGM_RSRC2:TGID_X_EN: 1
; COMPUTE_PGM_RSRC2:TGID_Y_EN: 0
; COMPUTE_PGM_RSRC2:TGID_Z_EN: 0
; COMPUTE_PGM_RSRC2:TIDIG_COMP_CNT: 0
; COMPUTE_PGM_RSRC3_GFX90A:ACCUM_OFFSET: 0
; COMPUTE_PGM_RSRC3_GFX90A:TG_SPLIT: 0
	.section	.text._ZN7rocprim17ROCPRIM_400000_NS6detail17trampoline_kernelINS0_14default_configENS1_38merge_sort_block_merge_config_selectorIiiEEZZNS1_27merge_sort_block_merge_implIS3_N6thrust23THRUST_200600_302600_NS6detail15normal_iteratorINS8_10device_ptrIiEEEESD_jNS1_19radix_merge_compareILb1ELb0EiNS0_19identity_decomposerEEEEE10hipError_tT0_T1_T2_jT3_P12ihipStream_tbPNSt15iterator_traitsISI_E10value_typeEPNSO_ISJ_E10value_typeEPSK_NS1_7vsmem_tEENKUlT_SI_SJ_SK_E_clIPiSD_S10_SD_EESH_SX_SI_SJ_SK_EUlSX_E_NS1_11comp_targetILNS1_3genE9ELNS1_11target_archE1100ELNS1_3gpuE3ELNS1_3repE0EEENS1_48merge_mergepath_partition_config_static_selectorELNS0_4arch9wavefront6targetE1EEEvSJ_,"axG",@progbits,_ZN7rocprim17ROCPRIM_400000_NS6detail17trampoline_kernelINS0_14default_configENS1_38merge_sort_block_merge_config_selectorIiiEEZZNS1_27merge_sort_block_merge_implIS3_N6thrust23THRUST_200600_302600_NS6detail15normal_iteratorINS8_10device_ptrIiEEEESD_jNS1_19radix_merge_compareILb1ELb0EiNS0_19identity_decomposerEEEEE10hipError_tT0_T1_T2_jT3_P12ihipStream_tbPNSt15iterator_traitsISI_E10value_typeEPNSO_ISJ_E10value_typeEPSK_NS1_7vsmem_tEENKUlT_SI_SJ_SK_E_clIPiSD_S10_SD_EESH_SX_SI_SJ_SK_EUlSX_E_NS1_11comp_targetILNS1_3genE9ELNS1_11target_archE1100ELNS1_3gpuE3ELNS1_3repE0EEENS1_48merge_mergepath_partition_config_static_selectorELNS0_4arch9wavefront6targetE1EEEvSJ_,comdat
	.protected	_ZN7rocprim17ROCPRIM_400000_NS6detail17trampoline_kernelINS0_14default_configENS1_38merge_sort_block_merge_config_selectorIiiEEZZNS1_27merge_sort_block_merge_implIS3_N6thrust23THRUST_200600_302600_NS6detail15normal_iteratorINS8_10device_ptrIiEEEESD_jNS1_19radix_merge_compareILb1ELb0EiNS0_19identity_decomposerEEEEE10hipError_tT0_T1_T2_jT3_P12ihipStream_tbPNSt15iterator_traitsISI_E10value_typeEPNSO_ISJ_E10value_typeEPSK_NS1_7vsmem_tEENKUlT_SI_SJ_SK_E_clIPiSD_S10_SD_EESH_SX_SI_SJ_SK_EUlSX_E_NS1_11comp_targetILNS1_3genE9ELNS1_11target_archE1100ELNS1_3gpuE3ELNS1_3repE0EEENS1_48merge_mergepath_partition_config_static_selectorELNS0_4arch9wavefront6targetE1EEEvSJ_ ; -- Begin function _ZN7rocprim17ROCPRIM_400000_NS6detail17trampoline_kernelINS0_14default_configENS1_38merge_sort_block_merge_config_selectorIiiEEZZNS1_27merge_sort_block_merge_implIS3_N6thrust23THRUST_200600_302600_NS6detail15normal_iteratorINS8_10device_ptrIiEEEESD_jNS1_19radix_merge_compareILb1ELb0EiNS0_19identity_decomposerEEEEE10hipError_tT0_T1_T2_jT3_P12ihipStream_tbPNSt15iterator_traitsISI_E10value_typeEPNSO_ISJ_E10value_typeEPSK_NS1_7vsmem_tEENKUlT_SI_SJ_SK_E_clIPiSD_S10_SD_EESH_SX_SI_SJ_SK_EUlSX_E_NS1_11comp_targetILNS1_3genE9ELNS1_11target_archE1100ELNS1_3gpuE3ELNS1_3repE0EEENS1_48merge_mergepath_partition_config_static_selectorELNS0_4arch9wavefront6targetE1EEEvSJ_
	.globl	_ZN7rocprim17ROCPRIM_400000_NS6detail17trampoline_kernelINS0_14default_configENS1_38merge_sort_block_merge_config_selectorIiiEEZZNS1_27merge_sort_block_merge_implIS3_N6thrust23THRUST_200600_302600_NS6detail15normal_iteratorINS8_10device_ptrIiEEEESD_jNS1_19radix_merge_compareILb1ELb0EiNS0_19identity_decomposerEEEEE10hipError_tT0_T1_T2_jT3_P12ihipStream_tbPNSt15iterator_traitsISI_E10value_typeEPNSO_ISJ_E10value_typeEPSK_NS1_7vsmem_tEENKUlT_SI_SJ_SK_E_clIPiSD_S10_SD_EESH_SX_SI_SJ_SK_EUlSX_E_NS1_11comp_targetILNS1_3genE9ELNS1_11target_archE1100ELNS1_3gpuE3ELNS1_3repE0EEENS1_48merge_mergepath_partition_config_static_selectorELNS0_4arch9wavefront6targetE1EEEvSJ_
	.p2align	8
	.type	_ZN7rocprim17ROCPRIM_400000_NS6detail17trampoline_kernelINS0_14default_configENS1_38merge_sort_block_merge_config_selectorIiiEEZZNS1_27merge_sort_block_merge_implIS3_N6thrust23THRUST_200600_302600_NS6detail15normal_iteratorINS8_10device_ptrIiEEEESD_jNS1_19radix_merge_compareILb1ELb0EiNS0_19identity_decomposerEEEEE10hipError_tT0_T1_T2_jT3_P12ihipStream_tbPNSt15iterator_traitsISI_E10value_typeEPNSO_ISJ_E10value_typeEPSK_NS1_7vsmem_tEENKUlT_SI_SJ_SK_E_clIPiSD_S10_SD_EESH_SX_SI_SJ_SK_EUlSX_E_NS1_11comp_targetILNS1_3genE9ELNS1_11target_archE1100ELNS1_3gpuE3ELNS1_3repE0EEENS1_48merge_mergepath_partition_config_static_selectorELNS0_4arch9wavefront6targetE1EEEvSJ_,@function
_ZN7rocprim17ROCPRIM_400000_NS6detail17trampoline_kernelINS0_14default_configENS1_38merge_sort_block_merge_config_selectorIiiEEZZNS1_27merge_sort_block_merge_implIS3_N6thrust23THRUST_200600_302600_NS6detail15normal_iteratorINS8_10device_ptrIiEEEESD_jNS1_19radix_merge_compareILb1ELb0EiNS0_19identity_decomposerEEEEE10hipError_tT0_T1_T2_jT3_P12ihipStream_tbPNSt15iterator_traitsISI_E10value_typeEPNSO_ISJ_E10value_typeEPSK_NS1_7vsmem_tEENKUlT_SI_SJ_SK_E_clIPiSD_S10_SD_EESH_SX_SI_SJ_SK_EUlSX_E_NS1_11comp_targetILNS1_3genE9ELNS1_11target_archE1100ELNS1_3gpuE3ELNS1_3repE0EEENS1_48merge_mergepath_partition_config_static_selectorELNS0_4arch9wavefront6targetE1EEEvSJ_: ; @_ZN7rocprim17ROCPRIM_400000_NS6detail17trampoline_kernelINS0_14default_configENS1_38merge_sort_block_merge_config_selectorIiiEEZZNS1_27merge_sort_block_merge_implIS3_N6thrust23THRUST_200600_302600_NS6detail15normal_iteratorINS8_10device_ptrIiEEEESD_jNS1_19radix_merge_compareILb1ELb0EiNS0_19identity_decomposerEEEEE10hipError_tT0_T1_T2_jT3_P12ihipStream_tbPNSt15iterator_traitsISI_E10value_typeEPNSO_ISJ_E10value_typeEPSK_NS1_7vsmem_tEENKUlT_SI_SJ_SK_E_clIPiSD_S10_SD_EESH_SX_SI_SJ_SK_EUlSX_E_NS1_11comp_targetILNS1_3genE9ELNS1_11target_archE1100ELNS1_3gpuE3ELNS1_3repE0EEENS1_48merge_mergepath_partition_config_static_selectorELNS0_4arch9wavefront6targetE1EEEvSJ_
; %bb.0:
	.section	.rodata,"a",@progbits
	.p2align	6, 0x0
	.amdhsa_kernel _ZN7rocprim17ROCPRIM_400000_NS6detail17trampoline_kernelINS0_14default_configENS1_38merge_sort_block_merge_config_selectorIiiEEZZNS1_27merge_sort_block_merge_implIS3_N6thrust23THRUST_200600_302600_NS6detail15normal_iteratorINS8_10device_ptrIiEEEESD_jNS1_19radix_merge_compareILb1ELb0EiNS0_19identity_decomposerEEEEE10hipError_tT0_T1_T2_jT3_P12ihipStream_tbPNSt15iterator_traitsISI_E10value_typeEPNSO_ISJ_E10value_typeEPSK_NS1_7vsmem_tEENKUlT_SI_SJ_SK_E_clIPiSD_S10_SD_EESH_SX_SI_SJ_SK_EUlSX_E_NS1_11comp_targetILNS1_3genE9ELNS1_11target_archE1100ELNS1_3gpuE3ELNS1_3repE0EEENS1_48merge_mergepath_partition_config_static_selectorELNS0_4arch9wavefront6targetE1EEEvSJ_
		.amdhsa_group_segment_fixed_size 0
		.amdhsa_private_segment_fixed_size 0
		.amdhsa_kernarg_size 40
		.amdhsa_user_sgpr_count 2
		.amdhsa_user_sgpr_dispatch_ptr 0
		.amdhsa_user_sgpr_queue_ptr 0
		.amdhsa_user_sgpr_kernarg_segment_ptr 1
		.amdhsa_user_sgpr_dispatch_id 0
		.amdhsa_user_sgpr_kernarg_preload_length 0
		.amdhsa_user_sgpr_kernarg_preload_offset 0
		.amdhsa_user_sgpr_private_segment_size 0
		.amdhsa_uses_dynamic_stack 0
		.amdhsa_enable_private_segment 0
		.amdhsa_system_sgpr_workgroup_id_x 1
		.amdhsa_system_sgpr_workgroup_id_y 0
		.amdhsa_system_sgpr_workgroup_id_z 0
		.amdhsa_system_sgpr_workgroup_info 0
		.amdhsa_system_vgpr_workitem_id 0
		.amdhsa_next_free_vgpr 1
		.amdhsa_next_free_sgpr 0
		.amdhsa_accum_offset 4
		.amdhsa_reserve_vcc 0
		.amdhsa_float_round_mode_32 0
		.amdhsa_float_round_mode_16_64 0
		.amdhsa_float_denorm_mode_32 3
		.amdhsa_float_denorm_mode_16_64 3
		.amdhsa_dx10_clamp 1
		.amdhsa_ieee_mode 1
		.amdhsa_fp16_overflow 0
		.amdhsa_tg_split 0
		.amdhsa_exception_fp_ieee_invalid_op 0
		.amdhsa_exception_fp_denorm_src 0
		.amdhsa_exception_fp_ieee_div_zero 0
		.amdhsa_exception_fp_ieee_overflow 0
		.amdhsa_exception_fp_ieee_underflow 0
		.amdhsa_exception_fp_ieee_inexact 0
		.amdhsa_exception_int_div_zero 0
	.end_amdhsa_kernel
	.section	.text._ZN7rocprim17ROCPRIM_400000_NS6detail17trampoline_kernelINS0_14default_configENS1_38merge_sort_block_merge_config_selectorIiiEEZZNS1_27merge_sort_block_merge_implIS3_N6thrust23THRUST_200600_302600_NS6detail15normal_iteratorINS8_10device_ptrIiEEEESD_jNS1_19radix_merge_compareILb1ELb0EiNS0_19identity_decomposerEEEEE10hipError_tT0_T1_T2_jT3_P12ihipStream_tbPNSt15iterator_traitsISI_E10value_typeEPNSO_ISJ_E10value_typeEPSK_NS1_7vsmem_tEENKUlT_SI_SJ_SK_E_clIPiSD_S10_SD_EESH_SX_SI_SJ_SK_EUlSX_E_NS1_11comp_targetILNS1_3genE9ELNS1_11target_archE1100ELNS1_3gpuE3ELNS1_3repE0EEENS1_48merge_mergepath_partition_config_static_selectorELNS0_4arch9wavefront6targetE1EEEvSJ_,"axG",@progbits,_ZN7rocprim17ROCPRIM_400000_NS6detail17trampoline_kernelINS0_14default_configENS1_38merge_sort_block_merge_config_selectorIiiEEZZNS1_27merge_sort_block_merge_implIS3_N6thrust23THRUST_200600_302600_NS6detail15normal_iteratorINS8_10device_ptrIiEEEESD_jNS1_19radix_merge_compareILb1ELb0EiNS0_19identity_decomposerEEEEE10hipError_tT0_T1_T2_jT3_P12ihipStream_tbPNSt15iterator_traitsISI_E10value_typeEPNSO_ISJ_E10value_typeEPSK_NS1_7vsmem_tEENKUlT_SI_SJ_SK_E_clIPiSD_S10_SD_EESH_SX_SI_SJ_SK_EUlSX_E_NS1_11comp_targetILNS1_3genE9ELNS1_11target_archE1100ELNS1_3gpuE3ELNS1_3repE0EEENS1_48merge_mergepath_partition_config_static_selectorELNS0_4arch9wavefront6targetE1EEEvSJ_,comdat
.Lfunc_end1729:
	.size	_ZN7rocprim17ROCPRIM_400000_NS6detail17trampoline_kernelINS0_14default_configENS1_38merge_sort_block_merge_config_selectorIiiEEZZNS1_27merge_sort_block_merge_implIS3_N6thrust23THRUST_200600_302600_NS6detail15normal_iteratorINS8_10device_ptrIiEEEESD_jNS1_19radix_merge_compareILb1ELb0EiNS0_19identity_decomposerEEEEE10hipError_tT0_T1_T2_jT3_P12ihipStream_tbPNSt15iterator_traitsISI_E10value_typeEPNSO_ISJ_E10value_typeEPSK_NS1_7vsmem_tEENKUlT_SI_SJ_SK_E_clIPiSD_S10_SD_EESH_SX_SI_SJ_SK_EUlSX_E_NS1_11comp_targetILNS1_3genE9ELNS1_11target_archE1100ELNS1_3gpuE3ELNS1_3repE0EEENS1_48merge_mergepath_partition_config_static_selectorELNS0_4arch9wavefront6targetE1EEEvSJ_, .Lfunc_end1729-_ZN7rocprim17ROCPRIM_400000_NS6detail17trampoline_kernelINS0_14default_configENS1_38merge_sort_block_merge_config_selectorIiiEEZZNS1_27merge_sort_block_merge_implIS3_N6thrust23THRUST_200600_302600_NS6detail15normal_iteratorINS8_10device_ptrIiEEEESD_jNS1_19radix_merge_compareILb1ELb0EiNS0_19identity_decomposerEEEEE10hipError_tT0_T1_T2_jT3_P12ihipStream_tbPNSt15iterator_traitsISI_E10value_typeEPNSO_ISJ_E10value_typeEPSK_NS1_7vsmem_tEENKUlT_SI_SJ_SK_E_clIPiSD_S10_SD_EESH_SX_SI_SJ_SK_EUlSX_E_NS1_11comp_targetILNS1_3genE9ELNS1_11target_archE1100ELNS1_3gpuE3ELNS1_3repE0EEENS1_48merge_mergepath_partition_config_static_selectorELNS0_4arch9wavefront6targetE1EEEvSJ_
                                        ; -- End function
	.set _ZN7rocprim17ROCPRIM_400000_NS6detail17trampoline_kernelINS0_14default_configENS1_38merge_sort_block_merge_config_selectorIiiEEZZNS1_27merge_sort_block_merge_implIS3_N6thrust23THRUST_200600_302600_NS6detail15normal_iteratorINS8_10device_ptrIiEEEESD_jNS1_19radix_merge_compareILb1ELb0EiNS0_19identity_decomposerEEEEE10hipError_tT0_T1_T2_jT3_P12ihipStream_tbPNSt15iterator_traitsISI_E10value_typeEPNSO_ISJ_E10value_typeEPSK_NS1_7vsmem_tEENKUlT_SI_SJ_SK_E_clIPiSD_S10_SD_EESH_SX_SI_SJ_SK_EUlSX_E_NS1_11comp_targetILNS1_3genE9ELNS1_11target_archE1100ELNS1_3gpuE3ELNS1_3repE0EEENS1_48merge_mergepath_partition_config_static_selectorELNS0_4arch9wavefront6targetE1EEEvSJ_.num_vgpr, 0
	.set _ZN7rocprim17ROCPRIM_400000_NS6detail17trampoline_kernelINS0_14default_configENS1_38merge_sort_block_merge_config_selectorIiiEEZZNS1_27merge_sort_block_merge_implIS3_N6thrust23THRUST_200600_302600_NS6detail15normal_iteratorINS8_10device_ptrIiEEEESD_jNS1_19radix_merge_compareILb1ELb0EiNS0_19identity_decomposerEEEEE10hipError_tT0_T1_T2_jT3_P12ihipStream_tbPNSt15iterator_traitsISI_E10value_typeEPNSO_ISJ_E10value_typeEPSK_NS1_7vsmem_tEENKUlT_SI_SJ_SK_E_clIPiSD_S10_SD_EESH_SX_SI_SJ_SK_EUlSX_E_NS1_11comp_targetILNS1_3genE9ELNS1_11target_archE1100ELNS1_3gpuE3ELNS1_3repE0EEENS1_48merge_mergepath_partition_config_static_selectorELNS0_4arch9wavefront6targetE1EEEvSJ_.num_agpr, 0
	.set _ZN7rocprim17ROCPRIM_400000_NS6detail17trampoline_kernelINS0_14default_configENS1_38merge_sort_block_merge_config_selectorIiiEEZZNS1_27merge_sort_block_merge_implIS3_N6thrust23THRUST_200600_302600_NS6detail15normal_iteratorINS8_10device_ptrIiEEEESD_jNS1_19radix_merge_compareILb1ELb0EiNS0_19identity_decomposerEEEEE10hipError_tT0_T1_T2_jT3_P12ihipStream_tbPNSt15iterator_traitsISI_E10value_typeEPNSO_ISJ_E10value_typeEPSK_NS1_7vsmem_tEENKUlT_SI_SJ_SK_E_clIPiSD_S10_SD_EESH_SX_SI_SJ_SK_EUlSX_E_NS1_11comp_targetILNS1_3genE9ELNS1_11target_archE1100ELNS1_3gpuE3ELNS1_3repE0EEENS1_48merge_mergepath_partition_config_static_selectorELNS0_4arch9wavefront6targetE1EEEvSJ_.numbered_sgpr, 0
	.set _ZN7rocprim17ROCPRIM_400000_NS6detail17trampoline_kernelINS0_14default_configENS1_38merge_sort_block_merge_config_selectorIiiEEZZNS1_27merge_sort_block_merge_implIS3_N6thrust23THRUST_200600_302600_NS6detail15normal_iteratorINS8_10device_ptrIiEEEESD_jNS1_19radix_merge_compareILb1ELb0EiNS0_19identity_decomposerEEEEE10hipError_tT0_T1_T2_jT3_P12ihipStream_tbPNSt15iterator_traitsISI_E10value_typeEPNSO_ISJ_E10value_typeEPSK_NS1_7vsmem_tEENKUlT_SI_SJ_SK_E_clIPiSD_S10_SD_EESH_SX_SI_SJ_SK_EUlSX_E_NS1_11comp_targetILNS1_3genE9ELNS1_11target_archE1100ELNS1_3gpuE3ELNS1_3repE0EEENS1_48merge_mergepath_partition_config_static_selectorELNS0_4arch9wavefront6targetE1EEEvSJ_.num_named_barrier, 0
	.set _ZN7rocprim17ROCPRIM_400000_NS6detail17trampoline_kernelINS0_14default_configENS1_38merge_sort_block_merge_config_selectorIiiEEZZNS1_27merge_sort_block_merge_implIS3_N6thrust23THRUST_200600_302600_NS6detail15normal_iteratorINS8_10device_ptrIiEEEESD_jNS1_19radix_merge_compareILb1ELb0EiNS0_19identity_decomposerEEEEE10hipError_tT0_T1_T2_jT3_P12ihipStream_tbPNSt15iterator_traitsISI_E10value_typeEPNSO_ISJ_E10value_typeEPSK_NS1_7vsmem_tEENKUlT_SI_SJ_SK_E_clIPiSD_S10_SD_EESH_SX_SI_SJ_SK_EUlSX_E_NS1_11comp_targetILNS1_3genE9ELNS1_11target_archE1100ELNS1_3gpuE3ELNS1_3repE0EEENS1_48merge_mergepath_partition_config_static_selectorELNS0_4arch9wavefront6targetE1EEEvSJ_.private_seg_size, 0
	.set _ZN7rocprim17ROCPRIM_400000_NS6detail17trampoline_kernelINS0_14default_configENS1_38merge_sort_block_merge_config_selectorIiiEEZZNS1_27merge_sort_block_merge_implIS3_N6thrust23THRUST_200600_302600_NS6detail15normal_iteratorINS8_10device_ptrIiEEEESD_jNS1_19radix_merge_compareILb1ELb0EiNS0_19identity_decomposerEEEEE10hipError_tT0_T1_T2_jT3_P12ihipStream_tbPNSt15iterator_traitsISI_E10value_typeEPNSO_ISJ_E10value_typeEPSK_NS1_7vsmem_tEENKUlT_SI_SJ_SK_E_clIPiSD_S10_SD_EESH_SX_SI_SJ_SK_EUlSX_E_NS1_11comp_targetILNS1_3genE9ELNS1_11target_archE1100ELNS1_3gpuE3ELNS1_3repE0EEENS1_48merge_mergepath_partition_config_static_selectorELNS0_4arch9wavefront6targetE1EEEvSJ_.uses_vcc, 0
	.set _ZN7rocprim17ROCPRIM_400000_NS6detail17trampoline_kernelINS0_14default_configENS1_38merge_sort_block_merge_config_selectorIiiEEZZNS1_27merge_sort_block_merge_implIS3_N6thrust23THRUST_200600_302600_NS6detail15normal_iteratorINS8_10device_ptrIiEEEESD_jNS1_19radix_merge_compareILb1ELb0EiNS0_19identity_decomposerEEEEE10hipError_tT0_T1_T2_jT3_P12ihipStream_tbPNSt15iterator_traitsISI_E10value_typeEPNSO_ISJ_E10value_typeEPSK_NS1_7vsmem_tEENKUlT_SI_SJ_SK_E_clIPiSD_S10_SD_EESH_SX_SI_SJ_SK_EUlSX_E_NS1_11comp_targetILNS1_3genE9ELNS1_11target_archE1100ELNS1_3gpuE3ELNS1_3repE0EEENS1_48merge_mergepath_partition_config_static_selectorELNS0_4arch9wavefront6targetE1EEEvSJ_.uses_flat_scratch, 0
	.set _ZN7rocprim17ROCPRIM_400000_NS6detail17trampoline_kernelINS0_14default_configENS1_38merge_sort_block_merge_config_selectorIiiEEZZNS1_27merge_sort_block_merge_implIS3_N6thrust23THRUST_200600_302600_NS6detail15normal_iteratorINS8_10device_ptrIiEEEESD_jNS1_19radix_merge_compareILb1ELb0EiNS0_19identity_decomposerEEEEE10hipError_tT0_T1_T2_jT3_P12ihipStream_tbPNSt15iterator_traitsISI_E10value_typeEPNSO_ISJ_E10value_typeEPSK_NS1_7vsmem_tEENKUlT_SI_SJ_SK_E_clIPiSD_S10_SD_EESH_SX_SI_SJ_SK_EUlSX_E_NS1_11comp_targetILNS1_3genE9ELNS1_11target_archE1100ELNS1_3gpuE3ELNS1_3repE0EEENS1_48merge_mergepath_partition_config_static_selectorELNS0_4arch9wavefront6targetE1EEEvSJ_.has_dyn_sized_stack, 0
	.set _ZN7rocprim17ROCPRIM_400000_NS6detail17trampoline_kernelINS0_14default_configENS1_38merge_sort_block_merge_config_selectorIiiEEZZNS1_27merge_sort_block_merge_implIS3_N6thrust23THRUST_200600_302600_NS6detail15normal_iteratorINS8_10device_ptrIiEEEESD_jNS1_19radix_merge_compareILb1ELb0EiNS0_19identity_decomposerEEEEE10hipError_tT0_T1_T2_jT3_P12ihipStream_tbPNSt15iterator_traitsISI_E10value_typeEPNSO_ISJ_E10value_typeEPSK_NS1_7vsmem_tEENKUlT_SI_SJ_SK_E_clIPiSD_S10_SD_EESH_SX_SI_SJ_SK_EUlSX_E_NS1_11comp_targetILNS1_3genE9ELNS1_11target_archE1100ELNS1_3gpuE3ELNS1_3repE0EEENS1_48merge_mergepath_partition_config_static_selectorELNS0_4arch9wavefront6targetE1EEEvSJ_.has_recursion, 0
	.set _ZN7rocprim17ROCPRIM_400000_NS6detail17trampoline_kernelINS0_14default_configENS1_38merge_sort_block_merge_config_selectorIiiEEZZNS1_27merge_sort_block_merge_implIS3_N6thrust23THRUST_200600_302600_NS6detail15normal_iteratorINS8_10device_ptrIiEEEESD_jNS1_19radix_merge_compareILb1ELb0EiNS0_19identity_decomposerEEEEE10hipError_tT0_T1_T2_jT3_P12ihipStream_tbPNSt15iterator_traitsISI_E10value_typeEPNSO_ISJ_E10value_typeEPSK_NS1_7vsmem_tEENKUlT_SI_SJ_SK_E_clIPiSD_S10_SD_EESH_SX_SI_SJ_SK_EUlSX_E_NS1_11comp_targetILNS1_3genE9ELNS1_11target_archE1100ELNS1_3gpuE3ELNS1_3repE0EEENS1_48merge_mergepath_partition_config_static_selectorELNS0_4arch9wavefront6targetE1EEEvSJ_.has_indirect_call, 0
	.section	.AMDGPU.csdata,"",@progbits
; Kernel info:
; codeLenInByte = 0
; TotalNumSgprs: 6
; NumVgprs: 0
; NumAgprs: 0
; TotalNumVgprs: 0
; ScratchSize: 0
; MemoryBound: 0
; FloatMode: 240
; IeeeMode: 1
; LDSByteSize: 0 bytes/workgroup (compile time only)
; SGPRBlocks: 0
; VGPRBlocks: 0
; NumSGPRsForWavesPerEU: 6
; NumVGPRsForWavesPerEU: 1
; AccumOffset: 4
; Occupancy: 8
; WaveLimiterHint : 0
; COMPUTE_PGM_RSRC2:SCRATCH_EN: 0
; COMPUTE_PGM_RSRC2:USER_SGPR: 2
; COMPUTE_PGM_RSRC2:TRAP_HANDLER: 0
; COMPUTE_PGM_RSRC2:TGID_X_EN: 1
; COMPUTE_PGM_RSRC2:TGID_Y_EN: 0
; COMPUTE_PGM_RSRC2:TGID_Z_EN: 0
; COMPUTE_PGM_RSRC2:TIDIG_COMP_CNT: 0
; COMPUTE_PGM_RSRC3_GFX90A:ACCUM_OFFSET: 0
; COMPUTE_PGM_RSRC3_GFX90A:TG_SPLIT: 0
	.section	.text._ZN7rocprim17ROCPRIM_400000_NS6detail17trampoline_kernelINS0_14default_configENS1_38merge_sort_block_merge_config_selectorIiiEEZZNS1_27merge_sort_block_merge_implIS3_N6thrust23THRUST_200600_302600_NS6detail15normal_iteratorINS8_10device_ptrIiEEEESD_jNS1_19radix_merge_compareILb1ELb0EiNS0_19identity_decomposerEEEEE10hipError_tT0_T1_T2_jT3_P12ihipStream_tbPNSt15iterator_traitsISI_E10value_typeEPNSO_ISJ_E10value_typeEPSK_NS1_7vsmem_tEENKUlT_SI_SJ_SK_E_clIPiSD_S10_SD_EESH_SX_SI_SJ_SK_EUlSX_E_NS1_11comp_targetILNS1_3genE8ELNS1_11target_archE1030ELNS1_3gpuE2ELNS1_3repE0EEENS1_48merge_mergepath_partition_config_static_selectorELNS0_4arch9wavefront6targetE1EEEvSJ_,"axG",@progbits,_ZN7rocprim17ROCPRIM_400000_NS6detail17trampoline_kernelINS0_14default_configENS1_38merge_sort_block_merge_config_selectorIiiEEZZNS1_27merge_sort_block_merge_implIS3_N6thrust23THRUST_200600_302600_NS6detail15normal_iteratorINS8_10device_ptrIiEEEESD_jNS1_19radix_merge_compareILb1ELb0EiNS0_19identity_decomposerEEEEE10hipError_tT0_T1_T2_jT3_P12ihipStream_tbPNSt15iterator_traitsISI_E10value_typeEPNSO_ISJ_E10value_typeEPSK_NS1_7vsmem_tEENKUlT_SI_SJ_SK_E_clIPiSD_S10_SD_EESH_SX_SI_SJ_SK_EUlSX_E_NS1_11comp_targetILNS1_3genE8ELNS1_11target_archE1030ELNS1_3gpuE2ELNS1_3repE0EEENS1_48merge_mergepath_partition_config_static_selectorELNS0_4arch9wavefront6targetE1EEEvSJ_,comdat
	.protected	_ZN7rocprim17ROCPRIM_400000_NS6detail17trampoline_kernelINS0_14default_configENS1_38merge_sort_block_merge_config_selectorIiiEEZZNS1_27merge_sort_block_merge_implIS3_N6thrust23THRUST_200600_302600_NS6detail15normal_iteratorINS8_10device_ptrIiEEEESD_jNS1_19radix_merge_compareILb1ELb0EiNS0_19identity_decomposerEEEEE10hipError_tT0_T1_T2_jT3_P12ihipStream_tbPNSt15iterator_traitsISI_E10value_typeEPNSO_ISJ_E10value_typeEPSK_NS1_7vsmem_tEENKUlT_SI_SJ_SK_E_clIPiSD_S10_SD_EESH_SX_SI_SJ_SK_EUlSX_E_NS1_11comp_targetILNS1_3genE8ELNS1_11target_archE1030ELNS1_3gpuE2ELNS1_3repE0EEENS1_48merge_mergepath_partition_config_static_selectorELNS0_4arch9wavefront6targetE1EEEvSJ_ ; -- Begin function _ZN7rocprim17ROCPRIM_400000_NS6detail17trampoline_kernelINS0_14default_configENS1_38merge_sort_block_merge_config_selectorIiiEEZZNS1_27merge_sort_block_merge_implIS3_N6thrust23THRUST_200600_302600_NS6detail15normal_iteratorINS8_10device_ptrIiEEEESD_jNS1_19radix_merge_compareILb1ELb0EiNS0_19identity_decomposerEEEEE10hipError_tT0_T1_T2_jT3_P12ihipStream_tbPNSt15iterator_traitsISI_E10value_typeEPNSO_ISJ_E10value_typeEPSK_NS1_7vsmem_tEENKUlT_SI_SJ_SK_E_clIPiSD_S10_SD_EESH_SX_SI_SJ_SK_EUlSX_E_NS1_11comp_targetILNS1_3genE8ELNS1_11target_archE1030ELNS1_3gpuE2ELNS1_3repE0EEENS1_48merge_mergepath_partition_config_static_selectorELNS0_4arch9wavefront6targetE1EEEvSJ_
	.globl	_ZN7rocprim17ROCPRIM_400000_NS6detail17trampoline_kernelINS0_14default_configENS1_38merge_sort_block_merge_config_selectorIiiEEZZNS1_27merge_sort_block_merge_implIS3_N6thrust23THRUST_200600_302600_NS6detail15normal_iteratorINS8_10device_ptrIiEEEESD_jNS1_19radix_merge_compareILb1ELb0EiNS0_19identity_decomposerEEEEE10hipError_tT0_T1_T2_jT3_P12ihipStream_tbPNSt15iterator_traitsISI_E10value_typeEPNSO_ISJ_E10value_typeEPSK_NS1_7vsmem_tEENKUlT_SI_SJ_SK_E_clIPiSD_S10_SD_EESH_SX_SI_SJ_SK_EUlSX_E_NS1_11comp_targetILNS1_3genE8ELNS1_11target_archE1030ELNS1_3gpuE2ELNS1_3repE0EEENS1_48merge_mergepath_partition_config_static_selectorELNS0_4arch9wavefront6targetE1EEEvSJ_
	.p2align	8
	.type	_ZN7rocprim17ROCPRIM_400000_NS6detail17trampoline_kernelINS0_14default_configENS1_38merge_sort_block_merge_config_selectorIiiEEZZNS1_27merge_sort_block_merge_implIS3_N6thrust23THRUST_200600_302600_NS6detail15normal_iteratorINS8_10device_ptrIiEEEESD_jNS1_19radix_merge_compareILb1ELb0EiNS0_19identity_decomposerEEEEE10hipError_tT0_T1_T2_jT3_P12ihipStream_tbPNSt15iterator_traitsISI_E10value_typeEPNSO_ISJ_E10value_typeEPSK_NS1_7vsmem_tEENKUlT_SI_SJ_SK_E_clIPiSD_S10_SD_EESH_SX_SI_SJ_SK_EUlSX_E_NS1_11comp_targetILNS1_3genE8ELNS1_11target_archE1030ELNS1_3gpuE2ELNS1_3repE0EEENS1_48merge_mergepath_partition_config_static_selectorELNS0_4arch9wavefront6targetE1EEEvSJ_,@function
_ZN7rocprim17ROCPRIM_400000_NS6detail17trampoline_kernelINS0_14default_configENS1_38merge_sort_block_merge_config_selectorIiiEEZZNS1_27merge_sort_block_merge_implIS3_N6thrust23THRUST_200600_302600_NS6detail15normal_iteratorINS8_10device_ptrIiEEEESD_jNS1_19radix_merge_compareILb1ELb0EiNS0_19identity_decomposerEEEEE10hipError_tT0_T1_T2_jT3_P12ihipStream_tbPNSt15iterator_traitsISI_E10value_typeEPNSO_ISJ_E10value_typeEPSK_NS1_7vsmem_tEENKUlT_SI_SJ_SK_E_clIPiSD_S10_SD_EESH_SX_SI_SJ_SK_EUlSX_E_NS1_11comp_targetILNS1_3genE8ELNS1_11target_archE1030ELNS1_3gpuE2ELNS1_3repE0EEENS1_48merge_mergepath_partition_config_static_selectorELNS0_4arch9wavefront6targetE1EEEvSJ_: ; @_ZN7rocprim17ROCPRIM_400000_NS6detail17trampoline_kernelINS0_14default_configENS1_38merge_sort_block_merge_config_selectorIiiEEZZNS1_27merge_sort_block_merge_implIS3_N6thrust23THRUST_200600_302600_NS6detail15normal_iteratorINS8_10device_ptrIiEEEESD_jNS1_19radix_merge_compareILb1ELb0EiNS0_19identity_decomposerEEEEE10hipError_tT0_T1_T2_jT3_P12ihipStream_tbPNSt15iterator_traitsISI_E10value_typeEPNSO_ISJ_E10value_typeEPSK_NS1_7vsmem_tEENKUlT_SI_SJ_SK_E_clIPiSD_S10_SD_EESH_SX_SI_SJ_SK_EUlSX_E_NS1_11comp_targetILNS1_3genE8ELNS1_11target_archE1030ELNS1_3gpuE2ELNS1_3repE0EEENS1_48merge_mergepath_partition_config_static_selectorELNS0_4arch9wavefront6targetE1EEEvSJ_
; %bb.0:
	.section	.rodata,"a",@progbits
	.p2align	6, 0x0
	.amdhsa_kernel _ZN7rocprim17ROCPRIM_400000_NS6detail17trampoline_kernelINS0_14default_configENS1_38merge_sort_block_merge_config_selectorIiiEEZZNS1_27merge_sort_block_merge_implIS3_N6thrust23THRUST_200600_302600_NS6detail15normal_iteratorINS8_10device_ptrIiEEEESD_jNS1_19radix_merge_compareILb1ELb0EiNS0_19identity_decomposerEEEEE10hipError_tT0_T1_T2_jT3_P12ihipStream_tbPNSt15iterator_traitsISI_E10value_typeEPNSO_ISJ_E10value_typeEPSK_NS1_7vsmem_tEENKUlT_SI_SJ_SK_E_clIPiSD_S10_SD_EESH_SX_SI_SJ_SK_EUlSX_E_NS1_11comp_targetILNS1_3genE8ELNS1_11target_archE1030ELNS1_3gpuE2ELNS1_3repE0EEENS1_48merge_mergepath_partition_config_static_selectorELNS0_4arch9wavefront6targetE1EEEvSJ_
		.amdhsa_group_segment_fixed_size 0
		.amdhsa_private_segment_fixed_size 0
		.amdhsa_kernarg_size 40
		.amdhsa_user_sgpr_count 2
		.amdhsa_user_sgpr_dispatch_ptr 0
		.amdhsa_user_sgpr_queue_ptr 0
		.amdhsa_user_sgpr_kernarg_segment_ptr 1
		.amdhsa_user_sgpr_dispatch_id 0
		.amdhsa_user_sgpr_kernarg_preload_length 0
		.amdhsa_user_sgpr_kernarg_preload_offset 0
		.amdhsa_user_sgpr_private_segment_size 0
		.amdhsa_uses_dynamic_stack 0
		.amdhsa_enable_private_segment 0
		.amdhsa_system_sgpr_workgroup_id_x 1
		.amdhsa_system_sgpr_workgroup_id_y 0
		.amdhsa_system_sgpr_workgroup_id_z 0
		.amdhsa_system_sgpr_workgroup_info 0
		.amdhsa_system_vgpr_workitem_id 0
		.amdhsa_next_free_vgpr 1
		.amdhsa_next_free_sgpr 0
		.amdhsa_accum_offset 4
		.amdhsa_reserve_vcc 0
		.amdhsa_float_round_mode_32 0
		.amdhsa_float_round_mode_16_64 0
		.amdhsa_float_denorm_mode_32 3
		.amdhsa_float_denorm_mode_16_64 3
		.amdhsa_dx10_clamp 1
		.amdhsa_ieee_mode 1
		.amdhsa_fp16_overflow 0
		.amdhsa_tg_split 0
		.amdhsa_exception_fp_ieee_invalid_op 0
		.amdhsa_exception_fp_denorm_src 0
		.amdhsa_exception_fp_ieee_div_zero 0
		.amdhsa_exception_fp_ieee_overflow 0
		.amdhsa_exception_fp_ieee_underflow 0
		.amdhsa_exception_fp_ieee_inexact 0
		.amdhsa_exception_int_div_zero 0
	.end_amdhsa_kernel
	.section	.text._ZN7rocprim17ROCPRIM_400000_NS6detail17trampoline_kernelINS0_14default_configENS1_38merge_sort_block_merge_config_selectorIiiEEZZNS1_27merge_sort_block_merge_implIS3_N6thrust23THRUST_200600_302600_NS6detail15normal_iteratorINS8_10device_ptrIiEEEESD_jNS1_19radix_merge_compareILb1ELb0EiNS0_19identity_decomposerEEEEE10hipError_tT0_T1_T2_jT3_P12ihipStream_tbPNSt15iterator_traitsISI_E10value_typeEPNSO_ISJ_E10value_typeEPSK_NS1_7vsmem_tEENKUlT_SI_SJ_SK_E_clIPiSD_S10_SD_EESH_SX_SI_SJ_SK_EUlSX_E_NS1_11comp_targetILNS1_3genE8ELNS1_11target_archE1030ELNS1_3gpuE2ELNS1_3repE0EEENS1_48merge_mergepath_partition_config_static_selectorELNS0_4arch9wavefront6targetE1EEEvSJ_,"axG",@progbits,_ZN7rocprim17ROCPRIM_400000_NS6detail17trampoline_kernelINS0_14default_configENS1_38merge_sort_block_merge_config_selectorIiiEEZZNS1_27merge_sort_block_merge_implIS3_N6thrust23THRUST_200600_302600_NS6detail15normal_iteratorINS8_10device_ptrIiEEEESD_jNS1_19radix_merge_compareILb1ELb0EiNS0_19identity_decomposerEEEEE10hipError_tT0_T1_T2_jT3_P12ihipStream_tbPNSt15iterator_traitsISI_E10value_typeEPNSO_ISJ_E10value_typeEPSK_NS1_7vsmem_tEENKUlT_SI_SJ_SK_E_clIPiSD_S10_SD_EESH_SX_SI_SJ_SK_EUlSX_E_NS1_11comp_targetILNS1_3genE8ELNS1_11target_archE1030ELNS1_3gpuE2ELNS1_3repE0EEENS1_48merge_mergepath_partition_config_static_selectorELNS0_4arch9wavefront6targetE1EEEvSJ_,comdat
.Lfunc_end1730:
	.size	_ZN7rocprim17ROCPRIM_400000_NS6detail17trampoline_kernelINS0_14default_configENS1_38merge_sort_block_merge_config_selectorIiiEEZZNS1_27merge_sort_block_merge_implIS3_N6thrust23THRUST_200600_302600_NS6detail15normal_iteratorINS8_10device_ptrIiEEEESD_jNS1_19radix_merge_compareILb1ELb0EiNS0_19identity_decomposerEEEEE10hipError_tT0_T1_T2_jT3_P12ihipStream_tbPNSt15iterator_traitsISI_E10value_typeEPNSO_ISJ_E10value_typeEPSK_NS1_7vsmem_tEENKUlT_SI_SJ_SK_E_clIPiSD_S10_SD_EESH_SX_SI_SJ_SK_EUlSX_E_NS1_11comp_targetILNS1_3genE8ELNS1_11target_archE1030ELNS1_3gpuE2ELNS1_3repE0EEENS1_48merge_mergepath_partition_config_static_selectorELNS0_4arch9wavefront6targetE1EEEvSJ_, .Lfunc_end1730-_ZN7rocprim17ROCPRIM_400000_NS6detail17trampoline_kernelINS0_14default_configENS1_38merge_sort_block_merge_config_selectorIiiEEZZNS1_27merge_sort_block_merge_implIS3_N6thrust23THRUST_200600_302600_NS6detail15normal_iteratorINS8_10device_ptrIiEEEESD_jNS1_19radix_merge_compareILb1ELb0EiNS0_19identity_decomposerEEEEE10hipError_tT0_T1_T2_jT3_P12ihipStream_tbPNSt15iterator_traitsISI_E10value_typeEPNSO_ISJ_E10value_typeEPSK_NS1_7vsmem_tEENKUlT_SI_SJ_SK_E_clIPiSD_S10_SD_EESH_SX_SI_SJ_SK_EUlSX_E_NS1_11comp_targetILNS1_3genE8ELNS1_11target_archE1030ELNS1_3gpuE2ELNS1_3repE0EEENS1_48merge_mergepath_partition_config_static_selectorELNS0_4arch9wavefront6targetE1EEEvSJ_
                                        ; -- End function
	.set _ZN7rocprim17ROCPRIM_400000_NS6detail17trampoline_kernelINS0_14default_configENS1_38merge_sort_block_merge_config_selectorIiiEEZZNS1_27merge_sort_block_merge_implIS3_N6thrust23THRUST_200600_302600_NS6detail15normal_iteratorINS8_10device_ptrIiEEEESD_jNS1_19radix_merge_compareILb1ELb0EiNS0_19identity_decomposerEEEEE10hipError_tT0_T1_T2_jT3_P12ihipStream_tbPNSt15iterator_traitsISI_E10value_typeEPNSO_ISJ_E10value_typeEPSK_NS1_7vsmem_tEENKUlT_SI_SJ_SK_E_clIPiSD_S10_SD_EESH_SX_SI_SJ_SK_EUlSX_E_NS1_11comp_targetILNS1_3genE8ELNS1_11target_archE1030ELNS1_3gpuE2ELNS1_3repE0EEENS1_48merge_mergepath_partition_config_static_selectorELNS0_4arch9wavefront6targetE1EEEvSJ_.num_vgpr, 0
	.set _ZN7rocprim17ROCPRIM_400000_NS6detail17trampoline_kernelINS0_14default_configENS1_38merge_sort_block_merge_config_selectorIiiEEZZNS1_27merge_sort_block_merge_implIS3_N6thrust23THRUST_200600_302600_NS6detail15normal_iteratorINS8_10device_ptrIiEEEESD_jNS1_19radix_merge_compareILb1ELb0EiNS0_19identity_decomposerEEEEE10hipError_tT0_T1_T2_jT3_P12ihipStream_tbPNSt15iterator_traitsISI_E10value_typeEPNSO_ISJ_E10value_typeEPSK_NS1_7vsmem_tEENKUlT_SI_SJ_SK_E_clIPiSD_S10_SD_EESH_SX_SI_SJ_SK_EUlSX_E_NS1_11comp_targetILNS1_3genE8ELNS1_11target_archE1030ELNS1_3gpuE2ELNS1_3repE0EEENS1_48merge_mergepath_partition_config_static_selectorELNS0_4arch9wavefront6targetE1EEEvSJ_.num_agpr, 0
	.set _ZN7rocprim17ROCPRIM_400000_NS6detail17trampoline_kernelINS0_14default_configENS1_38merge_sort_block_merge_config_selectorIiiEEZZNS1_27merge_sort_block_merge_implIS3_N6thrust23THRUST_200600_302600_NS6detail15normal_iteratorINS8_10device_ptrIiEEEESD_jNS1_19radix_merge_compareILb1ELb0EiNS0_19identity_decomposerEEEEE10hipError_tT0_T1_T2_jT3_P12ihipStream_tbPNSt15iterator_traitsISI_E10value_typeEPNSO_ISJ_E10value_typeEPSK_NS1_7vsmem_tEENKUlT_SI_SJ_SK_E_clIPiSD_S10_SD_EESH_SX_SI_SJ_SK_EUlSX_E_NS1_11comp_targetILNS1_3genE8ELNS1_11target_archE1030ELNS1_3gpuE2ELNS1_3repE0EEENS1_48merge_mergepath_partition_config_static_selectorELNS0_4arch9wavefront6targetE1EEEvSJ_.numbered_sgpr, 0
	.set _ZN7rocprim17ROCPRIM_400000_NS6detail17trampoline_kernelINS0_14default_configENS1_38merge_sort_block_merge_config_selectorIiiEEZZNS1_27merge_sort_block_merge_implIS3_N6thrust23THRUST_200600_302600_NS6detail15normal_iteratorINS8_10device_ptrIiEEEESD_jNS1_19radix_merge_compareILb1ELb0EiNS0_19identity_decomposerEEEEE10hipError_tT0_T1_T2_jT3_P12ihipStream_tbPNSt15iterator_traitsISI_E10value_typeEPNSO_ISJ_E10value_typeEPSK_NS1_7vsmem_tEENKUlT_SI_SJ_SK_E_clIPiSD_S10_SD_EESH_SX_SI_SJ_SK_EUlSX_E_NS1_11comp_targetILNS1_3genE8ELNS1_11target_archE1030ELNS1_3gpuE2ELNS1_3repE0EEENS1_48merge_mergepath_partition_config_static_selectorELNS0_4arch9wavefront6targetE1EEEvSJ_.num_named_barrier, 0
	.set _ZN7rocprim17ROCPRIM_400000_NS6detail17trampoline_kernelINS0_14default_configENS1_38merge_sort_block_merge_config_selectorIiiEEZZNS1_27merge_sort_block_merge_implIS3_N6thrust23THRUST_200600_302600_NS6detail15normal_iteratorINS8_10device_ptrIiEEEESD_jNS1_19radix_merge_compareILb1ELb0EiNS0_19identity_decomposerEEEEE10hipError_tT0_T1_T2_jT3_P12ihipStream_tbPNSt15iterator_traitsISI_E10value_typeEPNSO_ISJ_E10value_typeEPSK_NS1_7vsmem_tEENKUlT_SI_SJ_SK_E_clIPiSD_S10_SD_EESH_SX_SI_SJ_SK_EUlSX_E_NS1_11comp_targetILNS1_3genE8ELNS1_11target_archE1030ELNS1_3gpuE2ELNS1_3repE0EEENS1_48merge_mergepath_partition_config_static_selectorELNS0_4arch9wavefront6targetE1EEEvSJ_.private_seg_size, 0
	.set _ZN7rocprim17ROCPRIM_400000_NS6detail17trampoline_kernelINS0_14default_configENS1_38merge_sort_block_merge_config_selectorIiiEEZZNS1_27merge_sort_block_merge_implIS3_N6thrust23THRUST_200600_302600_NS6detail15normal_iteratorINS8_10device_ptrIiEEEESD_jNS1_19radix_merge_compareILb1ELb0EiNS0_19identity_decomposerEEEEE10hipError_tT0_T1_T2_jT3_P12ihipStream_tbPNSt15iterator_traitsISI_E10value_typeEPNSO_ISJ_E10value_typeEPSK_NS1_7vsmem_tEENKUlT_SI_SJ_SK_E_clIPiSD_S10_SD_EESH_SX_SI_SJ_SK_EUlSX_E_NS1_11comp_targetILNS1_3genE8ELNS1_11target_archE1030ELNS1_3gpuE2ELNS1_3repE0EEENS1_48merge_mergepath_partition_config_static_selectorELNS0_4arch9wavefront6targetE1EEEvSJ_.uses_vcc, 0
	.set _ZN7rocprim17ROCPRIM_400000_NS6detail17trampoline_kernelINS0_14default_configENS1_38merge_sort_block_merge_config_selectorIiiEEZZNS1_27merge_sort_block_merge_implIS3_N6thrust23THRUST_200600_302600_NS6detail15normal_iteratorINS8_10device_ptrIiEEEESD_jNS1_19radix_merge_compareILb1ELb0EiNS0_19identity_decomposerEEEEE10hipError_tT0_T1_T2_jT3_P12ihipStream_tbPNSt15iterator_traitsISI_E10value_typeEPNSO_ISJ_E10value_typeEPSK_NS1_7vsmem_tEENKUlT_SI_SJ_SK_E_clIPiSD_S10_SD_EESH_SX_SI_SJ_SK_EUlSX_E_NS1_11comp_targetILNS1_3genE8ELNS1_11target_archE1030ELNS1_3gpuE2ELNS1_3repE0EEENS1_48merge_mergepath_partition_config_static_selectorELNS0_4arch9wavefront6targetE1EEEvSJ_.uses_flat_scratch, 0
	.set _ZN7rocprim17ROCPRIM_400000_NS6detail17trampoline_kernelINS0_14default_configENS1_38merge_sort_block_merge_config_selectorIiiEEZZNS1_27merge_sort_block_merge_implIS3_N6thrust23THRUST_200600_302600_NS6detail15normal_iteratorINS8_10device_ptrIiEEEESD_jNS1_19radix_merge_compareILb1ELb0EiNS0_19identity_decomposerEEEEE10hipError_tT0_T1_T2_jT3_P12ihipStream_tbPNSt15iterator_traitsISI_E10value_typeEPNSO_ISJ_E10value_typeEPSK_NS1_7vsmem_tEENKUlT_SI_SJ_SK_E_clIPiSD_S10_SD_EESH_SX_SI_SJ_SK_EUlSX_E_NS1_11comp_targetILNS1_3genE8ELNS1_11target_archE1030ELNS1_3gpuE2ELNS1_3repE0EEENS1_48merge_mergepath_partition_config_static_selectorELNS0_4arch9wavefront6targetE1EEEvSJ_.has_dyn_sized_stack, 0
	.set _ZN7rocprim17ROCPRIM_400000_NS6detail17trampoline_kernelINS0_14default_configENS1_38merge_sort_block_merge_config_selectorIiiEEZZNS1_27merge_sort_block_merge_implIS3_N6thrust23THRUST_200600_302600_NS6detail15normal_iteratorINS8_10device_ptrIiEEEESD_jNS1_19radix_merge_compareILb1ELb0EiNS0_19identity_decomposerEEEEE10hipError_tT0_T1_T2_jT3_P12ihipStream_tbPNSt15iterator_traitsISI_E10value_typeEPNSO_ISJ_E10value_typeEPSK_NS1_7vsmem_tEENKUlT_SI_SJ_SK_E_clIPiSD_S10_SD_EESH_SX_SI_SJ_SK_EUlSX_E_NS1_11comp_targetILNS1_3genE8ELNS1_11target_archE1030ELNS1_3gpuE2ELNS1_3repE0EEENS1_48merge_mergepath_partition_config_static_selectorELNS0_4arch9wavefront6targetE1EEEvSJ_.has_recursion, 0
	.set _ZN7rocprim17ROCPRIM_400000_NS6detail17trampoline_kernelINS0_14default_configENS1_38merge_sort_block_merge_config_selectorIiiEEZZNS1_27merge_sort_block_merge_implIS3_N6thrust23THRUST_200600_302600_NS6detail15normal_iteratorINS8_10device_ptrIiEEEESD_jNS1_19radix_merge_compareILb1ELb0EiNS0_19identity_decomposerEEEEE10hipError_tT0_T1_T2_jT3_P12ihipStream_tbPNSt15iterator_traitsISI_E10value_typeEPNSO_ISJ_E10value_typeEPSK_NS1_7vsmem_tEENKUlT_SI_SJ_SK_E_clIPiSD_S10_SD_EESH_SX_SI_SJ_SK_EUlSX_E_NS1_11comp_targetILNS1_3genE8ELNS1_11target_archE1030ELNS1_3gpuE2ELNS1_3repE0EEENS1_48merge_mergepath_partition_config_static_selectorELNS0_4arch9wavefront6targetE1EEEvSJ_.has_indirect_call, 0
	.section	.AMDGPU.csdata,"",@progbits
; Kernel info:
; codeLenInByte = 0
; TotalNumSgprs: 6
; NumVgprs: 0
; NumAgprs: 0
; TotalNumVgprs: 0
; ScratchSize: 0
; MemoryBound: 0
; FloatMode: 240
; IeeeMode: 1
; LDSByteSize: 0 bytes/workgroup (compile time only)
; SGPRBlocks: 0
; VGPRBlocks: 0
; NumSGPRsForWavesPerEU: 6
; NumVGPRsForWavesPerEU: 1
; AccumOffset: 4
; Occupancy: 8
; WaveLimiterHint : 0
; COMPUTE_PGM_RSRC2:SCRATCH_EN: 0
; COMPUTE_PGM_RSRC2:USER_SGPR: 2
; COMPUTE_PGM_RSRC2:TRAP_HANDLER: 0
; COMPUTE_PGM_RSRC2:TGID_X_EN: 1
; COMPUTE_PGM_RSRC2:TGID_Y_EN: 0
; COMPUTE_PGM_RSRC2:TGID_Z_EN: 0
; COMPUTE_PGM_RSRC2:TIDIG_COMP_CNT: 0
; COMPUTE_PGM_RSRC3_GFX90A:ACCUM_OFFSET: 0
; COMPUTE_PGM_RSRC3_GFX90A:TG_SPLIT: 0
	.section	.text._ZN7rocprim17ROCPRIM_400000_NS6detail17trampoline_kernelINS0_14default_configENS1_38merge_sort_block_merge_config_selectorIiiEEZZNS1_27merge_sort_block_merge_implIS3_N6thrust23THRUST_200600_302600_NS6detail15normal_iteratorINS8_10device_ptrIiEEEESD_jNS1_19radix_merge_compareILb1ELb0EiNS0_19identity_decomposerEEEEE10hipError_tT0_T1_T2_jT3_P12ihipStream_tbPNSt15iterator_traitsISI_E10value_typeEPNSO_ISJ_E10value_typeEPSK_NS1_7vsmem_tEENKUlT_SI_SJ_SK_E_clIPiSD_S10_SD_EESH_SX_SI_SJ_SK_EUlSX_E0_NS1_11comp_targetILNS1_3genE0ELNS1_11target_archE4294967295ELNS1_3gpuE0ELNS1_3repE0EEENS1_38merge_mergepath_config_static_selectorELNS0_4arch9wavefront6targetE1EEEvSJ_,"axG",@progbits,_ZN7rocprim17ROCPRIM_400000_NS6detail17trampoline_kernelINS0_14default_configENS1_38merge_sort_block_merge_config_selectorIiiEEZZNS1_27merge_sort_block_merge_implIS3_N6thrust23THRUST_200600_302600_NS6detail15normal_iteratorINS8_10device_ptrIiEEEESD_jNS1_19radix_merge_compareILb1ELb0EiNS0_19identity_decomposerEEEEE10hipError_tT0_T1_T2_jT3_P12ihipStream_tbPNSt15iterator_traitsISI_E10value_typeEPNSO_ISJ_E10value_typeEPSK_NS1_7vsmem_tEENKUlT_SI_SJ_SK_E_clIPiSD_S10_SD_EESH_SX_SI_SJ_SK_EUlSX_E0_NS1_11comp_targetILNS1_3genE0ELNS1_11target_archE4294967295ELNS1_3gpuE0ELNS1_3repE0EEENS1_38merge_mergepath_config_static_selectorELNS0_4arch9wavefront6targetE1EEEvSJ_,comdat
	.protected	_ZN7rocprim17ROCPRIM_400000_NS6detail17trampoline_kernelINS0_14default_configENS1_38merge_sort_block_merge_config_selectorIiiEEZZNS1_27merge_sort_block_merge_implIS3_N6thrust23THRUST_200600_302600_NS6detail15normal_iteratorINS8_10device_ptrIiEEEESD_jNS1_19radix_merge_compareILb1ELb0EiNS0_19identity_decomposerEEEEE10hipError_tT0_T1_T2_jT3_P12ihipStream_tbPNSt15iterator_traitsISI_E10value_typeEPNSO_ISJ_E10value_typeEPSK_NS1_7vsmem_tEENKUlT_SI_SJ_SK_E_clIPiSD_S10_SD_EESH_SX_SI_SJ_SK_EUlSX_E0_NS1_11comp_targetILNS1_3genE0ELNS1_11target_archE4294967295ELNS1_3gpuE0ELNS1_3repE0EEENS1_38merge_mergepath_config_static_selectorELNS0_4arch9wavefront6targetE1EEEvSJ_ ; -- Begin function _ZN7rocprim17ROCPRIM_400000_NS6detail17trampoline_kernelINS0_14default_configENS1_38merge_sort_block_merge_config_selectorIiiEEZZNS1_27merge_sort_block_merge_implIS3_N6thrust23THRUST_200600_302600_NS6detail15normal_iteratorINS8_10device_ptrIiEEEESD_jNS1_19radix_merge_compareILb1ELb0EiNS0_19identity_decomposerEEEEE10hipError_tT0_T1_T2_jT3_P12ihipStream_tbPNSt15iterator_traitsISI_E10value_typeEPNSO_ISJ_E10value_typeEPSK_NS1_7vsmem_tEENKUlT_SI_SJ_SK_E_clIPiSD_S10_SD_EESH_SX_SI_SJ_SK_EUlSX_E0_NS1_11comp_targetILNS1_3genE0ELNS1_11target_archE4294967295ELNS1_3gpuE0ELNS1_3repE0EEENS1_38merge_mergepath_config_static_selectorELNS0_4arch9wavefront6targetE1EEEvSJ_
	.globl	_ZN7rocprim17ROCPRIM_400000_NS6detail17trampoline_kernelINS0_14default_configENS1_38merge_sort_block_merge_config_selectorIiiEEZZNS1_27merge_sort_block_merge_implIS3_N6thrust23THRUST_200600_302600_NS6detail15normal_iteratorINS8_10device_ptrIiEEEESD_jNS1_19radix_merge_compareILb1ELb0EiNS0_19identity_decomposerEEEEE10hipError_tT0_T1_T2_jT3_P12ihipStream_tbPNSt15iterator_traitsISI_E10value_typeEPNSO_ISJ_E10value_typeEPSK_NS1_7vsmem_tEENKUlT_SI_SJ_SK_E_clIPiSD_S10_SD_EESH_SX_SI_SJ_SK_EUlSX_E0_NS1_11comp_targetILNS1_3genE0ELNS1_11target_archE4294967295ELNS1_3gpuE0ELNS1_3repE0EEENS1_38merge_mergepath_config_static_selectorELNS0_4arch9wavefront6targetE1EEEvSJ_
	.p2align	8
	.type	_ZN7rocprim17ROCPRIM_400000_NS6detail17trampoline_kernelINS0_14default_configENS1_38merge_sort_block_merge_config_selectorIiiEEZZNS1_27merge_sort_block_merge_implIS3_N6thrust23THRUST_200600_302600_NS6detail15normal_iteratorINS8_10device_ptrIiEEEESD_jNS1_19radix_merge_compareILb1ELb0EiNS0_19identity_decomposerEEEEE10hipError_tT0_T1_T2_jT3_P12ihipStream_tbPNSt15iterator_traitsISI_E10value_typeEPNSO_ISJ_E10value_typeEPSK_NS1_7vsmem_tEENKUlT_SI_SJ_SK_E_clIPiSD_S10_SD_EESH_SX_SI_SJ_SK_EUlSX_E0_NS1_11comp_targetILNS1_3genE0ELNS1_11target_archE4294967295ELNS1_3gpuE0ELNS1_3repE0EEENS1_38merge_mergepath_config_static_selectorELNS0_4arch9wavefront6targetE1EEEvSJ_,@function
_ZN7rocprim17ROCPRIM_400000_NS6detail17trampoline_kernelINS0_14default_configENS1_38merge_sort_block_merge_config_selectorIiiEEZZNS1_27merge_sort_block_merge_implIS3_N6thrust23THRUST_200600_302600_NS6detail15normal_iteratorINS8_10device_ptrIiEEEESD_jNS1_19radix_merge_compareILb1ELb0EiNS0_19identity_decomposerEEEEE10hipError_tT0_T1_T2_jT3_P12ihipStream_tbPNSt15iterator_traitsISI_E10value_typeEPNSO_ISJ_E10value_typeEPSK_NS1_7vsmem_tEENKUlT_SI_SJ_SK_E_clIPiSD_S10_SD_EESH_SX_SI_SJ_SK_EUlSX_E0_NS1_11comp_targetILNS1_3genE0ELNS1_11target_archE4294967295ELNS1_3gpuE0ELNS1_3repE0EEENS1_38merge_mergepath_config_static_selectorELNS0_4arch9wavefront6targetE1EEEvSJ_: ; @_ZN7rocprim17ROCPRIM_400000_NS6detail17trampoline_kernelINS0_14default_configENS1_38merge_sort_block_merge_config_selectorIiiEEZZNS1_27merge_sort_block_merge_implIS3_N6thrust23THRUST_200600_302600_NS6detail15normal_iteratorINS8_10device_ptrIiEEEESD_jNS1_19radix_merge_compareILb1ELb0EiNS0_19identity_decomposerEEEEE10hipError_tT0_T1_T2_jT3_P12ihipStream_tbPNSt15iterator_traitsISI_E10value_typeEPNSO_ISJ_E10value_typeEPSK_NS1_7vsmem_tEENKUlT_SI_SJ_SK_E_clIPiSD_S10_SD_EESH_SX_SI_SJ_SK_EUlSX_E0_NS1_11comp_targetILNS1_3genE0ELNS1_11target_archE4294967295ELNS1_3gpuE0ELNS1_3repE0EEENS1_38merge_mergepath_config_static_selectorELNS0_4arch9wavefront6targetE1EEEvSJ_
; %bb.0:
	s_load_dwordx2 s[28:29], s[0:1], 0x40
	s_load_dword s5, s[0:1], 0x30
	s_add_u32 s24, s0, 64
	s_addc_u32 s25, s1, 0
	s_waitcnt lgkmcnt(0)
	s_mul_i32 s4, s29, s4
	s_add_i32 s3, s4, s3
	s_mul_i32 s3, s3, s28
	s_add_i32 s26, s3, s2
	s_cmp_ge_u32 s26, s5
	s_cbranch_scc1 .LBB1731_46
; %bb.1:
	s_load_dwordx8 s[8:15], s[0:1], 0x10
	s_load_dwordx2 s[20:21], s[0:1], 0x8
	s_load_dwordx2 s[4:5], s[0:1], 0x38
	s_mov_b32 s27, 0
	s_mov_b32 s23, s27
	s_waitcnt lgkmcnt(0)
	s_lshr_b32 s29, s14, 10
	s_cmp_lg_u32 s26, s29
	s_cselect_b64 s[18:19], -1, 0
	s_lshl_b64 s[0:1], s[26:27], 2
	s_add_u32 s0, s4, s0
	s_addc_u32 s1, s5, s1
	s_load_dwordx2 s[4:5], s[0:1], 0x0
	s_lshr_b32 s0, s15, 9
	s_and_b32 s0, s0, 0x7ffffe
	s_sub_i32 s0, 0, s0
	s_and_b32 s1, s26, s0
	s_lshl_b32 s3, s1, 10
	s_lshl_b32 s16, s26, 10
	;; [unrolled: 1-line block ×3, first 2 shown]
	s_sub_i32 s6, s16, s3
	s_add_i32 s1, s1, s15
	s_add_i32 s6, s1, s6
	s_waitcnt lgkmcnt(0)
	s_sub_i32 s7, s6, s4
	s_sub_i32 s6, s6, s5
	;; [unrolled: 1-line block ×3, first 2 shown]
	s_min_u32 s22, s14, s7
	s_addk_i32 s6, 0x400
	s_or_b32 s0, s26, s0
	s_min_u32 s3, s14, s1
	s_add_i32 s1, s1, s15
	s_cmp_eq_u32 s0, -1
	s_cselect_b32 s0, s1, s6
	s_cselect_b32 s1, s3, s5
	s_mov_b32 s5, s27
	s_min_u32 s17, s0, s14
	s_sub_i32 s15, s1, s4
	s_lshl_b64 s[0:1], s[4:5], 2
	s_add_u32 s6, s20, s0
	s_addc_u32 s7, s21, s1
	s_lshl_b64 s[4:5], s[22:23], 2
	s_add_u32 s20, s20, s4
	s_addc_u32 s21, s21, s5
	s_cmp_lt_u32 s2, s28
	v_mov_b32_e32 v11, 0
	s_cselect_b32 s2, 12, 18
	global_load_dword v1, v11, s[24:25] offset:14
	s_add_u32 s2, s24, s2
	s_addc_u32 s3, s25, 0
	global_load_ushort v2, v11, s[2:3]
	s_cmp_eq_u32 s26, s29
	v_lshlrev_b32_e32 v10, 2, v0
	s_waitcnt vmcnt(1)
	v_lshrrev_b32_e32 v3, 16, v1
	v_and_b32_e32 v1, 0xffff, v1
	v_mul_lo_u32 v1, v1, v3
	s_waitcnt vmcnt(0)
	v_mul_lo_u32 v1, v1, v2
	v_add_u32_e32 v14, v1, v0
	v_add_u32_e32 v12, v14, v1
	s_cbranch_scc1 .LBB1731_3
; %bb.2:
	v_subrev_co_u32_e32 v4, vcc, s15, v0
	v_mov_b32_e32 v5, v11
	v_lshl_add_u64 v[2:3], s[6:7], 0, v[10:11]
	v_lshl_add_u64 v[4:5], v[4:5], 2, s[20:21]
	v_cndmask_b32_e32 v3, v5, v3, vcc
	v_cndmask_b32_e32 v2, v4, v2, vcc
	global_load_dword v2, v[2:3], off
	v_mov_b32_e32 v15, v11
	v_subrev_co_u32_e32 v6, vcc, s15, v14
	v_mov_b32_e32 v7, v11
	v_lshl_add_u64 v[4:5], v[14:15], 2, s[6:7]
	v_lshl_add_u64 v[6:7], v[6:7], 2, s[20:21]
	v_cndmask_b32_e32 v5, v7, v5, vcc
	v_cndmask_b32_e32 v4, v6, v4, vcc
	v_mov_b32_e32 v13, v11
	v_subrev_co_u32_e32 v6, vcc, s15, v12
	v_mov_b32_e32 v7, v11
	global_load_dword v3, v[4:5], off
	v_lshl_add_u64 v[4:5], v[12:13], 2, s[6:7]
	v_lshl_add_u64 v[6:7], v[6:7], 2, s[20:21]
	v_cndmask_b32_e32 v5, v7, v5, vcc
	v_cndmask_b32_e32 v4, v6, v4, vcc
	global_load_dword v4, v[4:5], off
	v_add_u32_e32 v6, v12, v1
	s_mov_b64 s[2:3], -1
	s_sub_i32 s17, s17, s22
	s_cbranch_execz .LBB1731_4
	s_branch .LBB1731_9
.LBB1731_3:
	s_mov_b64 s[2:3], 0
                                        ; implicit-def: $vgpr6
                                        ; implicit-def: $vgpr2_vgpr3_vgpr4_vgpr5
	s_sub_i32 s17, s17, s22
.LBB1731_4:
	s_add_i32 s22, s17, s15
	s_waitcnt vmcnt(2)
	v_mov_b32_e32 v2, 0
	v_cmp_gt_u32_e32 vcc, s22, v0
	s_waitcnt vmcnt(1)
	v_mov_b32_e32 v3, v2
	s_waitcnt vmcnt(0)
	v_mov_b32_e32 v4, v2
	v_mov_b32_e32 v5, v2
	s_and_saveexec_b64 s[2:3], vcc
	s_cbranch_execnz .LBB1731_47
; %bb.5:
	s_or_b64 exec, exec, s[2:3]
	v_cmp_gt_u32_e32 vcc, s22, v14
	s_and_saveexec_b64 s[2:3], vcc
	s_cbranch_execnz .LBB1731_48
.LBB1731_6:
	s_or_b64 exec, exec, s[2:3]
	v_cmp_gt_u32_e32 vcc, s22, v12
	s_and_saveexec_b64 s[2:3], vcc
	s_cbranch_execz .LBB1731_8
.LBB1731_7:
	v_mov_b32_e32 v13, 0
	v_subrev_co_u32_e32 v8, vcc, s15, v12
	v_mov_b32_e32 v9, v13
	v_lshl_add_u64 v[6:7], v[12:13], 2, s[6:7]
	v_lshl_add_u64 v[8:9], v[8:9], 2, s[20:21]
	v_cndmask_b32_e32 v7, v9, v7, vcc
	v_cndmask_b32_e32 v6, v8, v6, vcc
	global_load_dword v4, v[6:7], off
.LBB1731_8:
	s_or_b64 exec, exec, s[2:3]
	v_add_u32_e32 v6, v12, v1
	v_cmp_gt_u32_e64 s[2:3], s22, v6
.LBB1731_9:
	s_and_saveexec_b64 s[22:23], s[2:3]
	s_cbranch_execz .LBB1731_11
; %bb.10:
	v_mov_b32_e32 v7, 0
	v_lshl_add_u64 v[8:9], v[6:7], 2, s[6:7]
	v_subrev_co_u32_e32 v6, vcc, s15, v6
	v_lshl_add_u64 v[6:7], v[6:7], 2, s[20:21]
	s_nop 0
	v_cndmask_b32_e32 v7, v7, v9, vcc
	v_cndmask_b32_e32 v6, v6, v8, vcc
	global_load_dword v5, v[6:7], off
.LBB1731_11:
	s_or_b64 exec, exec, s[22:23]
	s_add_u32 s0, s10, s0
	s_addc_u32 s1, s11, s1
	s_add_u32 s2, s10, s4
	v_mov_b32_e32 v11, 0
	s_addc_u32 s3, s11, s5
	s_andn2_b64 vcc, exec, s[18:19]
	s_waitcnt vmcnt(0)
	ds_write2st64_b32 v10, v2, v3 offset1:4
	ds_write2st64_b32 v10, v4, v5 offset0:8 offset1:12
	s_cbranch_vccnz .LBB1731_13
; %bb.12:
	v_subrev_co_u32_e32 v8, vcc, s15, v0
	v_mov_b32_e32 v9, v11
	v_lshl_add_u64 v[6:7], s[0:1], 0, v[10:11]
	v_lshl_add_u64 v[8:9], v[8:9], 2, s[2:3]
	v_cndmask_b32_e32 v7, v9, v7, vcc
	v_cndmask_b32_e32 v6, v8, v6, vcc
	v_mov_b32_e32 v15, v11
	v_subrev_co_u32_e32 v16, vcc, s15, v14
	v_mov_b32_e32 v17, v11
	v_lshl_add_u64 v[8:9], v[14:15], 2, s[0:1]
	v_lshl_add_u64 v[16:17], v[16:17], 2, s[2:3]
	v_cndmask_b32_e32 v9, v17, v9, vcc
	v_cndmask_b32_e32 v8, v16, v8, vcc
	v_mov_b32_e32 v13, v11
	v_subrev_co_u32_e32 v16, vcc, s15, v12
	v_mov_b32_e32 v17, v11
	global_load_dword v6, v[6:7], off
	v_lshl_add_u64 v[16:17], v[16:17], 2, s[2:3]
	global_load_dword v7, v[8:9], off
	v_lshl_add_u64 v[8:9], v[12:13], 2, s[0:1]
	v_cndmask_b32_e32 v9, v17, v9, vcc
	v_cndmask_b32_e32 v8, v16, v8, vcc
	v_add_u32_e32 v16, v12, v1
	v_mov_b32_e32 v17, v11
	v_lshl_add_u64 v[18:19], v[16:17], 2, s[0:1]
	v_subrev_co_u32_e32 v16, vcc, s15, v16
	v_lshl_add_u64 v[16:17], v[16:17], 2, s[2:3]
	s_nop 0
	v_cndmask_b32_e32 v17, v17, v19, vcc
	v_cndmask_b32_e32 v16, v16, v18, vcc
	global_load_dword v8, v[8:9], off
	s_add_i32 s20, s17, s15
	global_load_dword v9, v[16:17], off
	s_cbranch_execz .LBB1731_14
	s_branch .LBB1731_21
.LBB1731_13:
                                        ; implicit-def: $vgpr6_vgpr7_vgpr8_vgpr9
                                        ; implicit-def: $sgpr20
.LBB1731_14:
	s_add_i32 s20, s17, s15
	s_waitcnt vmcnt(3)
	v_mov_b32_e32 v6, 0
	v_cmp_gt_u32_e32 vcc, s20, v0
	s_waitcnt vmcnt(2)
	v_mov_b32_e32 v7, v6
	s_waitcnt vmcnt(1)
	v_mov_b32_e32 v8, v6
	;; [unrolled: 2-line block ×3, first 2 shown]
	s_and_saveexec_b64 s[4:5], vcc
	s_cbranch_execnz .LBB1731_49
; %bb.15:
	s_or_b64 exec, exec, s[4:5]
	v_cmp_gt_u32_e32 vcc, s20, v14
	s_and_saveexec_b64 s[4:5], vcc
	s_cbranch_execnz .LBB1731_50
.LBB1731_16:
	s_or_b64 exec, exec, s[4:5]
	v_cmp_gt_u32_e32 vcc, s20, v12
	s_and_saveexec_b64 s[4:5], vcc
	s_cbranch_execz .LBB1731_18
.LBB1731_17:
	v_mov_b32_e32 v13, 0
	v_subrev_co_u32_e32 v16, vcc, s15, v12
	v_mov_b32_e32 v17, v13
	v_lshl_add_u64 v[14:15], v[12:13], 2, s[0:1]
	v_lshl_add_u64 v[16:17], v[16:17], 2, s[2:3]
	v_cndmask_b32_e32 v15, v17, v15, vcc
	v_cndmask_b32_e32 v14, v16, v14, vcc
	global_load_dword v8, v[14:15], off
.LBB1731_18:
	s_or_b64 exec, exec, s[4:5]
	v_add_u32_e32 v12, v12, v1
	v_cmp_gt_u32_e32 vcc, s20, v12
	s_and_saveexec_b64 s[4:5], vcc
	s_cbranch_execz .LBB1731_20
; %bb.19:
	v_mov_b32_e32 v13, 0
	v_lshl_add_u64 v[14:15], v[12:13], 2, s[0:1]
	v_subrev_co_u32_e32 v12, vcc, s15, v12
	v_lshl_add_u64 v[12:13], v[12:13], 2, s[2:3]
	s_nop 0
	v_cndmask_b32_e32 v13, v13, v15, vcc
	v_cndmask_b32_e32 v12, v12, v14, vcc
	global_load_dword v9, v[12:13], off
.LBB1731_20:
	s_or_b64 exec, exec, s[4:5]
.LBB1731_21:
	v_min_u32_e32 v11, s20, v10
	v_sub_u32_e64 v1, v11, s17 clamp
	v_min_u32_e32 v12, s15, v11
	v_cmp_lt_u32_e32 vcc, v1, v12
	s_waitcnt lgkmcnt(0)
	s_barrier
	s_and_saveexec_b64 s[0:1], vcc
	s_cbranch_execz .LBB1731_25
; %bb.22:
	v_lshlrev_b32_e32 v13, 2, v11
	v_lshl_add_u32 v13, s15, 2, v13
	s_mov_b64 s[2:3], 0
.LBB1731_23:                            ; =>This Inner Loop Header: Depth=1
	v_add_u32_e32 v14, v12, v1
	v_lshrrev_b32_e32 v14, 1, v14
	v_not_b32_e32 v15, v14
	v_lshlrev_b32_e32 v16, 2, v14
	v_lshl_add_u32 v15, v15, 2, v13
	ds_read_b32 v16, v16
	ds_read_b32 v15, v15
	v_add_u32_e32 v17, 1, v14
	s_waitcnt lgkmcnt(0)
	v_cmp_gt_i32_e32 vcc, v15, v16
	s_nop 1
	v_cndmask_b32_e32 v12, v12, v14, vcc
	v_cndmask_b32_e32 v1, v17, v1, vcc
	v_cmp_ge_u32_e32 vcc, v1, v12
	s_or_b64 s[2:3], vcc, s[2:3]
	s_andn2_b64 exec, exec, s[2:3]
	s_cbranch_execnz .LBB1731_23
; %bb.24:
	s_or_b64 exec, exec, s[2:3]
.LBB1731_25:
	s_or_b64 exec, exec, s[0:1]
	v_sub_u32_e32 v11, v11, v1
	v_add_u32_e32 v14, s15, v11
	v_cmp_ge_u32_e32 vcc, s15, v1
	v_cmp_ge_u32_e64 s[0:1], s20, v14
	s_or_b64 s[0:1], vcc, s[0:1]
	v_mov_b32_e32 v15, 0
	v_mov_b32_e32 v13, 0
	v_mov_b32_e32 v12, 0
	v_mov_b32_e32 v11, 0
	s_and_saveexec_b64 s[10:11], s[0:1]
	s_cbranch_execz .LBB1731_31
; %bb.26:
	v_cmp_gt_u32_e32 vcc, s15, v1
                                        ; implicit-def: $vgpr2
	s_and_saveexec_b64 s[0:1], vcc
; %bb.27:
	v_lshlrev_b32_e32 v2, 2, v1
	ds_read_b32 v2, v2
; %bb.28:
	s_or_b64 exec, exec, s[0:1]
	v_cmp_le_u32_e64 s[0:1], s20, v14
	v_cmp_gt_u32_e64 s[2:3], s20, v14
                                        ; implicit-def: $vgpr3
	s_and_saveexec_b64 s[4:5], s[2:3]
; %bb.29:
	v_lshlrev_b32_e32 v3, 2, v14
	ds_read_b32 v3, v3
; %bb.30:
	s_or_b64 exec, exec, s[4:5]
	s_waitcnt lgkmcnt(0)
	v_cmp_le_i32_e64 s[2:3], v3, v2
	s_and_b64 s[2:3], vcc, s[2:3]
	s_or_b64 vcc, s[0:1], s[2:3]
	v_mov_b32_e32 v4, s20
	v_mov_b32_e32 v5, s15
	v_cndmask_b32_e32 v11, v14, v1, vcc
	v_cndmask_b32_e32 v12, v4, v5, vcc
	v_add_u32_e32 v13, 1, v11
	v_add_u32_e32 v12, -1, v12
	v_min_u32_e32 v12, v13, v12
	v_lshlrev_b32_e32 v12, 2, v12
	ds_read_b32 v12, v12
	v_cndmask_b32_e32 v1, v1, v13, vcc
	v_cndmask_b32_e32 v14, v13, v14, vcc
	v_cmp_gt_u32_e64 s[2:3], s15, v1
	v_cmp_le_u32_e64 s[0:1], s20, v14
	s_waitcnt lgkmcnt(0)
	v_cndmask_b32_e32 v15, v12, v3, vcc
	v_cndmask_b32_e32 v16, v2, v12, vcc
	v_cmp_le_i32_e64 s[4:5], v15, v16
	s_and_b64 s[2:3], s[2:3], s[4:5]
	s_or_b64 s[0:1], s[0:1], s[2:3]
	v_cndmask_b32_e64 v12, v14, v1, s[0:1]
	v_cndmask_b32_e64 v13, v4, v5, s[0:1]
	v_add_u32_e32 v17, 1, v12
	v_add_u32_e32 v13, -1, v13
	v_min_u32_e32 v13, v17, v13
	v_lshlrev_b32_e32 v13, 2, v13
	ds_read_b32 v13, v13
	v_cndmask_b32_e64 v1, v1, v17, s[0:1]
	v_cndmask_b32_e64 v14, v17, v14, s[0:1]
	v_cmp_gt_u32_e64 s[4:5], s15, v1
	v_cmp_le_u32_e64 s[2:3], s20, v14
	s_waitcnt lgkmcnt(0)
	v_cndmask_b32_e64 v18, v13, v15, s[0:1]
	v_cndmask_b32_e64 v19, v16, v13, s[0:1]
	v_cmp_le_i32_e64 s[6:7], v18, v19
	s_and_b64 s[4:5], s[4:5], s[6:7]
	s_or_b64 s[2:3], s[2:3], s[4:5]
	v_cndmask_b32_e64 v13, v14, v1, s[2:3]
	v_cndmask_b32_e64 v4, v4, v5, s[2:3]
	v_add_u32_e32 v5, 1, v13
	v_add_u32_e32 v4, -1, v4
	v_min_u32_e32 v4, v5, v4
	v_lshlrev_b32_e32 v4, 2, v4
	ds_read_b32 v17, v4
	v_cndmask_b32_e32 v2, v3, v2, vcc
	v_cndmask_b32_e64 v3, v15, v16, s[0:1]
	v_cndmask_b32_e64 v1, v1, v5, s[2:3]
	;; [unrolled: 1-line block ×3, first 2 shown]
	s_waitcnt lgkmcnt(0)
	v_cndmask_b32_e64 v16, v17, v18, s[2:3]
	v_cndmask_b32_e64 v17, v19, v17, s[2:3]
	;; [unrolled: 1-line block ×3, first 2 shown]
	v_cmp_gt_u32_e64 s[0:1], s15, v1
	v_cmp_le_i32_e64 s[2:3], v16, v17
	v_cmp_le_u32_e32 vcc, s20, v14
	s_and_b64 s[0:1], s[0:1], s[2:3]
	s_or_b64 vcc, vcc, s[0:1]
	v_cndmask_b32_e32 v15, v14, v1, vcc
	v_cndmask_b32_e32 v5, v16, v17, vcc
.LBB1731_31:
	s_or_b64 exec, exec, s[10:11]
	s_barrier
	s_waitcnt vmcnt(0)
	ds_write2st64_b32 v10, v6, v7 offset1:4
	ds_write2st64_b32 v10, v8, v9 offset0:8 offset1:12
	v_lshlrev_b32_e32 v1, 2, v11
	v_lshrrev_b32_e32 v11, 3, v0
	v_lshlrev_b32_e32 v9, 2, v10
	v_lshlrev_b32_e32 v6, 2, v12
	v_lshlrev_b32_e32 v7, 2, v13
	v_lshlrev_b32_e32 v8, 2, v15
	v_lshl_add_u32 v9, v11, 2, v9
	s_waitcnt lgkmcnt(0)
	s_barrier
	ds_read_b32 v1, v1
	ds_read_b32 v6, v6
	;; [unrolled: 1-line block ×4, first 2 shown]
	s_waitcnt lgkmcnt(0)
	s_barrier
	s_barrier
	ds_write2_b32 v9, v2, v3 offset1:1
	ds_write2_b32 v9, v4, v5 offset0:2 offset1:3
	v_and_b32_e32 v2, 28, v11
	v_or_b32_e32 v16, 0x100, v0
	v_add_u32_e32 v4, v2, v10
	v_lshrrev_b32_e32 v2, 3, v16
	v_and_b32_e32 v2, 60, v2
	v_or_b32_e32 v15, 0x200, v0
	s_mov_b32 s17, 0
	v_add_u32_e32 v5, v2, v10
	v_lshrrev_b32_e32 v2, 3, v15
	s_lshl_b64 s[4:5], s[16:17], 2
	v_and_b32_e32 v2, 0x5c, v2
	v_or_b32_e32 v14, 0x300, v0
	s_add_u32 s0, s8, s4
	v_add_u32_e32 v12, v2, v10
	v_lshrrev_b32_e32 v2, 3, v14
	s_addc_u32 s1, s9, s5
	v_and_b32_e32 v2, 0x7c, v2
	v_mov_b32_e32 v11, 0
	v_add_u32_e32 v13, v2, v10
	v_lshl_add_u64 v[2:3], s[0:1], 0, v[10:11]
	s_and_b64 vcc, exec, s[18:19]
	s_waitcnt lgkmcnt(0)
	s_cbranch_vccz .LBB1731_33
; %bb.32:
	s_barrier
	ds_read_b32 v11, v4
	ds_read_b32 v17, v5 offset:1024
	ds_read_b32 v18, v12 offset:2048
	ds_read_b32 v19, v13 offset:3072
	s_add_u32 s0, s12, s4
	s_addc_u32 s1, s13, s5
	s_waitcnt lgkmcnt(3)
	global_store_dword v[2:3], v11, off
	s_waitcnt lgkmcnt(2)
	global_store_dword v[2:3], v17, off offset:1024
	s_waitcnt lgkmcnt(1)
	global_store_dword v[2:3], v18, off offset:2048
	;; [unrolled: 2-line block ×3, first 2 shown]
	s_barrier
	ds_write2_b32 v9, v1, v6 offset1:1
	ds_write2_b32 v9, v7, v8 offset0:2 offset1:3
	s_waitcnt lgkmcnt(0)
	s_barrier
	ds_read_b32 v11, v4
	ds_read_b32 v18, v5 offset:1024
	ds_read_b32 v19, v12 offset:2048
	;; [unrolled: 1-line block ×3, first 2 shown]
	s_waitcnt lgkmcnt(3)
	global_store_dword v10, v11, s[0:1]
	s_waitcnt lgkmcnt(2)
	global_store_dword v10, v18, s[0:1] offset:1024
	s_waitcnt lgkmcnt(1)
	global_store_dword v10, v19, s[0:1] offset:2048
	s_mov_b64 s[6:7], -1
	s_cbranch_execz .LBB1731_34
	s_branch .LBB1731_44
.LBB1731_33:
	s_mov_b64 s[6:7], 0
                                        ; implicit-def: $vgpr17
.LBB1731_34:
	s_barrier
	s_waitcnt lgkmcnt(0)
	ds_read_b32 v18, v5 offset:1024
	ds_read_b32 v17, v12 offset:2048
	ds_read_b32 v11, v13 offset:3072
	s_sub_i32 s8, s14, s16
	v_cmp_gt_u32_e32 vcc, s8, v0
	s_and_saveexec_b64 s[0:1], vcc
	s_cbranch_execnz .LBB1731_51
; %bb.35:
	s_or_b64 exec, exec, s[0:1]
	v_cmp_gt_u32_e64 s[0:1], s8, v16
	s_and_saveexec_b64 s[2:3], s[0:1]
	s_cbranch_execnz .LBB1731_52
.LBB1731_36:
	s_or_b64 exec, exec, s[2:3]
	v_cmp_gt_u32_e64 s[2:3], s8, v15
	s_and_saveexec_b64 s[6:7], s[2:3]
	s_cbranch_execnz .LBB1731_53
.LBB1731_37:
	s_or_b64 exec, exec, s[6:7]
	v_cmp_gt_u32_e64 s[6:7], s8, v14
	s_and_saveexec_b64 s[8:9], s[6:7]
	s_cbranch_execz .LBB1731_39
.LBB1731_38:
	s_waitcnt lgkmcnt(0)
	global_store_dword v[2:3], v11, off offset:3072
.LBB1731_39:
	s_or_b64 exec, exec, s[8:9]
	s_waitcnt lgkmcnt(0)
	s_barrier
	ds_write2_b32 v9, v1, v6 offset1:1
	ds_write2_b32 v9, v7, v8 offset0:2 offset1:3
	s_waitcnt lgkmcnt(0)
	s_barrier
	ds_read_b32 v3, v5 offset:1024
	ds_read_b32 v2, v12 offset:2048
	ds_read_b32 v17, v13 offset:3072
	s_add_u32 s8, s12, s4
	s_addc_u32 s9, s13, s5
	v_mov_b32_e32 v11, 0
	v_lshl_add_u64 v[0:1], s[8:9], 0, v[10:11]
	s_and_saveexec_b64 s[8:9], vcc
	s_cbranch_execnz .LBB1731_54
; %bb.40:
	s_or_b64 exec, exec, s[8:9]
	s_and_saveexec_b64 s[8:9], s[0:1]
	s_cbranch_execnz .LBB1731_55
.LBB1731_41:
	s_or_b64 exec, exec, s[8:9]
	s_and_saveexec_b64 s[0:1], s[2:3]
	s_cbranch_execz .LBB1731_43
.LBB1731_42:
	s_waitcnt lgkmcnt(1)
	global_store_dword v[0:1], v2, off offset:2048
.LBB1731_43:
	s_or_b64 exec, exec, s[0:1]
.LBB1731_44:
	s_and_saveexec_b64 s[0:1], s[6:7]
	s_cbranch_execz .LBB1731_46
; %bb.45:
	s_add_u32 s0, s12, s4
	s_addc_u32 s1, s13, s5
	s_waitcnt lgkmcnt(0)
	global_store_dword v10, v17, s[0:1] offset:3072
.LBB1731_46:
	s_endpgm
.LBB1731_47:
	v_mov_b32_e32 v11, v2
	v_subrev_co_u32_e32 v6, vcc, s15, v0
	v_mov_b32_e32 v7, v2
	v_lshl_add_u64 v[4:5], s[6:7], 0, v[10:11]
	v_lshl_add_u64 v[6:7], v[6:7], 2, s[20:21]
	v_cndmask_b32_e32 v5, v7, v5, vcc
	v_cndmask_b32_e32 v4, v6, v4, vcc
	global_load_dword v4, v[4:5], off
	v_mov_b32_e32 v5, v2
	v_mov_b32_e32 v6, v2
	;; [unrolled: 1-line block ×3, first 2 shown]
	s_waitcnt vmcnt(0)
	v_mov_b64_e32 v[2:3], v[4:5]
	v_mov_b64_e32 v[4:5], v[6:7]
	s_or_b64 exec, exec, s[2:3]
	v_cmp_gt_u32_e32 vcc, s22, v14
	s_and_saveexec_b64 s[2:3], vcc
	s_cbranch_execz .LBB1731_6
.LBB1731_48:
	v_mov_b32_e32 v15, 0
	v_subrev_co_u32_e32 v8, vcc, s15, v14
	v_mov_b32_e32 v9, v15
	v_lshl_add_u64 v[6:7], v[14:15], 2, s[6:7]
	v_lshl_add_u64 v[8:9], v[8:9], 2, s[20:21]
	v_cndmask_b32_e32 v7, v9, v7, vcc
	v_cndmask_b32_e32 v6, v8, v6, vcc
	global_load_dword v3, v[6:7], off
	s_or_b64 exec, exec, s[2:3]
	v_cmp_gt_u32_e32 vcc, s22, v12
	s_and_saveexec_b64 s[2:3], vcc
	s_cbranch_execnz .LBB1731_7
	s_branch .LBB1731_8
.LBB1731_49:
	v_mov_b32_e32 v11, v6
	v_subrev_co_u32_e32 v16, vcc, s15, v0
	v_mov_b32_e32 v17, v6
	v_lshl_add_u64 v[8:9], s[0:1], 0, v[10:11]
	v_lshl_add_u64 v[16:17], v[16:17], 2, s[2:3]
	v_cndmask_b32_e32 v9, v17, v9, vcc
	v_cndmask_b32_e32 v8, v16, v8, vcc
	global_load_dword v16, v[8:9], off
	v_mov_b32_e32 v17, v6
	v_mov_b32_e32 v18, v6
	;; [unrolled: 1-line block ×3, first 2 shown]
	s_waitcnt vmcnt(0)
	v_mov_b64_e32 v[6:7], v[16:17]
	v_mov_b64_e32 v[8:9], v[18:19]
	s_or_b64 exec, exec, s[4:5]
	v_cmp_gt_u32_e32 vcc, s20, v14
	s_and_saveexec_b64 s[4:5], vcc
	s_cbranch_execz .LBB1731_16
.LBB1731_50:
	v_mov_b32_e32 v15, 0
	v_lshl_add_u64 v[16:17], v[14:15], 2, s[0:1]
	v_subrev_co_u32_e32 v14, vcc, s15, v14
	v_lshl_add_u64 v[14:15], v[14:15], 2, s[2:3]
	s_nop 0
	v_cndmask_b32_e32 v15, v15, v17, vcc
	v_cndmask_b32_e32 v14, v14, v16, vcc
	global_load_dword v7, v[14:15], off
	s_or_b64 exec, exec, s[4:5]
	v_cmp_gt_u32_e32 vcc, s20, v12
	s_and_saveexec_b64 s[4:5], vcc
	s_cbranch_execnz .LBB1731_17
	s_branch .LBB1731_18
.LBB1731_51:
	ds_read_b32 v0, v4
	s_waitcnt lgkmcnt(0)
	global_store_dword v[2:3], v0, off
	s_or_b64 exec, exec, s[0:1]
	v_cmp_gt_u32_e64 s[0:1], s8, v16
	s_and_saveexec_b64 s[2:3], s[0:1]
	s_cbranch_execz .LBB1731_36
.LBB1731_52:
	s_waitcnt lgkmcnt(2)
	global_store_dword v[2:3], v18, off offset:1024
	s_or_b64 exec, exec, s[2:3]
	v_cmp_gt_u32_e64 s[2:3], s8, v15
	s_and_saveexec_b64 s[6:7], s[2:3]
	s_cbranch_execz .LBB1731_37
.LBB1731_53:
	s_waitcnt lgkmcnt(1)
	global_store_dword v[2:3], v17, off offset:2048
	s_or_b64 exec, exec, s[6:7]
	v_cmp_gt_u32_e64 s[6:7], s8, v14
	s_and_saveexec_b64 s[8:9], s[6:7]
	s_cbranch_execnz .LBB1731_38
	s_branch .LBB1731_39
.LBB1731_54:
	ds_read_b32 v4, v4
	s_waitcnt lgkmcnt(0)
	global_store_dword v[0:1], v4, off
	s_or_b64 exec, exec, s[8:9]
	s_and_saveexec_b64 s[8:9], s[0:1]
	s_cbranch_execz .LBB1731_41
.LBB1731_55:
	s_waitcnt lgkmcnt(2)
	global_store_dword v[0:1], v3, off offset:1024
	s_or_b64 exec, exec, s[8:9]
	s_and_saveexec_b64 s[0:1], s[2:3]
	s_cbranch_execnz .LBB1731_42
	s_branch .LBB1731_43
	.section	.rodata,"a",@progbits
	.p2align	6, 0x0
	.amdhsa_kernel _ZN7rocprim17ROCPRIM_400000_NS6detail17trampoline_kernelINS0_14default_configENS1_38merge_sort_block_merge_config_selectorIiiEEZZNS1_27merge_sort_block_merge_implIS3_N6thrust23THRUST_200600_302600_NS6detail15normal_iteratorINS8_10device_ptrIiEEEESD_jNS1_19radix_merge_compareILb1ELb0EiNS0_19identity_decomposerEEEEE10hipError_tT0_T1_T2_jT3_P12ihipStream_tbPNSt15iterator_traitsISI_E10value_typeEPNSO_ISJ_E10value_typeEPSK_NS1_7vsmem_tEENKUlT_SI_SJ_SK_E_clIPiSD_S10_SD_EESH_SX_SI_SJ_SK_EUlSX_E0_NS1_11comp_targetILNS1_3genE0ELNS1_11target_archE4294967295ELNS1_3gpuE0ELNS1_3repE0EEENS1_38merge_mergepath_config_static_selectorELNS0_4arch9wavefront6targetE1EEEvSJ_
		.amdhsa_group_segment_fixed_size 4224
		.amdhsa_private_segment_fixed_size 0
		.amdhsa_kernarg_size 320
		.amdhsa_user_sgpr_count 2
		.amdhsa_user_sgpr_dispatch_ptr 0
		.amdhsa_user_sgpr_queue_ptr 0
		.amdhsa_user_sgpr_kernarg_segment_ptr 1
		.amdhsa_user_sgpr_dispatch_id 0
		.amdhsa_user_sgpr_kernarg_preload_length 0
		.amdhsa_user_sgpr_kernarg_preload_offset 0
		.amdhsa_user_sgpr_private_segment_size 0
		.amdhsa_uses_dynamic_stack 0
		.amdhsa_enable_private_segment 0
		.amdhsa_system_sgpr_workgroup_id_x 1
		.amdhsa_system_sgpr_workgroup_id_y 1
		.amdhsa_system_sgpr_workgroup_id_z 1
		.amdhsa_system_sgpr_workgroup_info 0
		.amdhsa_system_vgpr_workitem_id 0
		.amdhsa_next_free_vgpr 20
		.amdhsa_next_free_sgpr 30
		.amdhsa_accum_offset 20
		.amdhsa_reserve_vcc 1
		.amdhsa_float_round_mode_32 0
		.amdhsa_float_round_mode_16_64 0
		.amdhsa_float_denorm_mode_32 3
		.amdhsa_float_denorm_mode_16_64 3
		.amdhsa_dx10_clamp 1
		.amdhsa_ieee_mode 1
		.amdhsa_fp16_overflow 0
		.amdhsa_tg_split 0
		.amdhsa_exception_fp_ieee_invalid_op 0
		.amdhsa_exception_fp_denorm_src 0
		.amdhsa_exception_fp_ieee_div_zero 0
		.amdhsa_exception_fp_ieee_overflow 0
		.amdhsa_exception_fp_ieee_underflow 0
		.amdhsa_exception_fp_ieee_inexact 0
		.amdhsa_exception_int_div_zero 0
	.end_amdhsa_kernel
	.section	.text._ZN7rocprim17ROCPRIM_400000_NS6detail17trampoline_kernelINS0_14default_configENS1_38merge_sort_block_merge_config_selectorIiiEEZZNS1_27merge_sort_block_merge_implIS3_N6thrust23THRUST_200600_302600_NS6detail15normal_iteratorINS8_10device_ptrIiEEEESD_jNS1_19radix_merge_compareILb1ELb0EiNS0_19identity_decomposerEEEEE10hipError_tT0_T1_T2_jT3_P12ihipStream_tbPNSt15iterator_traitsISI_E10value_typeEPNSO_ISJ_E10value_typeEPSK_NS1_7vsmem_tEENKUlT_SI_SJ_SK_E_clIPiSD_S10_SD_EESH_SX_SI_SJ_SK_EUlSX_E0_NS1_11comp_targetILNS1_3genE0ELNS1_11target_archE4294967295ELNS1_3gpuE0ELNS1_3repE0EEENS1_38merge_mergepath_config_static_selectorELNS0_4arch9wavefront6targetE1EEEvSJ_,"axG",@progbits,_ZN7rocprim17ROCPRIM_400000_NS6detail17trampoline_kernelINS0_14default_configENS1_38merge_sort_block_merge_config_selectorIiiEEZZNS1_27merge_sort_block_merge_implIS3_N6thrust23THRUST_200600_302600_NS6detail15normal_iteratorINS8_10device_ptrIiEEEESD_jNS1_19radix_merge_compareILb1ELb0EiNS0_19identity_decomposerEEEEE10hipError_tT0_T1_T2_jT3_P12ihipStream_tbPNSt15iterator_traitsISI_E10value_typeEPNSO_ISJ_E10value_typeEPSK_NS1_7vsmem_tEENKUlT_SI_SJ_SK_E_clIPiSD_S10_SD_EESH_SX_SI_SJ_SK_EUlSX_E0_NS1_11comp_targetILNS1_3genE0ELNS1_11target_archE4294967295ELNS1_3gpuE0ELNS1_3repE0EEENS1_38merge_mergepath_config_static_selectorELNS0_4arch9wavefront6targetE1EEEvSJ_,comdat
.Lfunc_end1731:
	.size	_ZN7rocprim17ROCPRIM_400000_NS6detail17trampoline_kernelINS0_14default_configENS1_38merge_sort_block_merge_config_selectorIiiEEZZNS1_27merge_sort_block_merge_implIS3_N6thrust23THRUST_200600_302600_NS6detail15normal_iteratorINS8_10device_ptrIiEEEESD_jNS1_19radix_merge_compareILb1ELb0EiNS0_19identity_decomposerEEEEE10hipError_tT0_T1_T2_jT3_P12ihipStream_tbPNSt15iterator_traitsISI_E10value_typeEPNSO_ISJ_E10value_typeEPSK_NS1_7vsmem_tEENKUlT_SI_SJ_SK_E_clIPiSD_S10_SD_EESH_SX_SI_SJ_SK_EUlSX_E0_NS1_11comp_targetILNS1_3genE0ELNS1_11target_archE4294967295ELNS1_3gpuE0ELNS1_3repE0EEENS1_38merge_mergepath_config_static_selectorELNS0_4arch9wavefront6targetE1EEEvSJ_, .Lfunc_end1731-_ZN7rocprim17ROCPRIM_400000_NS6detail17trampoline_kernelINS0_14default_configENS1_38merge_sort_block_merge_config_selectorIiiEEZZNS1_27merge_sort_block_merge_implIS3_N6thrust23THRUST_200600_302600_NS6detail15normal_iteratorINS8_10device_ptrIiEEEESD_jNS1_19radix_merge_compareILb1ELb0EiNS0_19identity_decomposerEEEEE10hipError_tT0_T1_T2_jT3_P12ihipStream_tbPNSt15iterator_traitsISI_E10value_typeEPNSO_ISJ_E10value_typeEPSK_NS1_7vsmem_tEENKUlT_SI_SJ_SK_E_clIPiSD_S10_SD_EESH_SX_SI_SJ_SK_EUlSX_E0_NS1_11comp_targetILNS1_3genE0ELNS1_11target_archE4294967295ELNS1_3gpuE0ELNS1_3repE0EEENS1_38merge_mergepath_config_static_selectorELNS0_4arch9wavefront6targetE1EEEvSJ_
                                        ; -- End function
	.set _ZN7rocprim17ROCPRIM_400000_NS6detail17trampoline_kernelINS0_14default_configENS1_38merge_sort_block_merge_config_selectorIiiEEZZNS1_27merge_sort_block_merge_implIS3_N6thrust23THRUST_200600_302600_NS6detail15normal_iteratorINS8_10device_ptrIiEEEESD_jNS1_19radix_merge_compareILb1ELb0EiNS0_19identity_decomposerEEEEE10hipError_tT0_T1_T2_jT3_P12ihipStream_tbPNSt15iterator_traitsISI_E10value_typeEPNSO_ISJ_E10value_typeEPSK_NS1_7vsmem_tEENKUlT_SI_SJ_SK_E_clIPiSD_S10_SD_EESH_SX_SI_SJ_SK_EUlSX_E0_NS1_11comp_targetILNS1_3genE0ELNS1_11target_archE4294967295ELNS1_3gpuE0ELNS1_3repE0EEENS1_38merge_mergepath_config_static_selectorELNS0_4arch9wavefront6targetE1EEEvSJ_.num_vgpr, 20
	.set _ZN7rocprim17ROCPRIM_400000_NS6detail17trampoline_kernelINS0_14default_configENS1_38merge_sort_block_merge_config_selectorIiiEEZZNS1_27merge_sort_block_merge_implIS3_N6thrust23THRUST_200600_302600_NS6detail15normal_iteratorINS8_10device_ptrIiEEEESD_jNS1_19radix_merge_compareILb1ELb0EiNS0_19identity_decomposerEEEEE10hipError_tT0_T1_T2_jT3_P12ihipStream_tbPNSt15iterator_traitsISI_E10value_typeEPNSO_ISJ_E10value_typeEPSK_NS1_7vsmem_tEENKUlT_SI_SJ_SK_E_clIPiSD_S10_SD_EESH_SX_SI_SJ_SK_EUlSX_E0_NS1_11comp_targetILNS1_3genE0ELNS1_11target_archE4294967295ELNS1_3gpuE0ELNS1_3repE0EEENS1_38merge_mergepath_config_static_selectorELNS0_4arch9wavefront6targetE1EEEvSJ_.num_agpr, 0
	.set _ZN7rocprim17ROCPRIM_400000_NS6detail17trampoline_kernelINS0_14default_configENS1_38merge_sort_block_merge_config_selectorIiiEEZZNS1_27merge_sort_block_merge_implIS3_N6thrust23THRUST_200600_302600_NS6detail15normal_iteratorINS8_10device_ptrIiEEEESD_jNS1_19radix_merge_compareILb1ELb0EiNS0_19identity_decomposerEEEEE10hipError_tT0_T1_T2_jT3_P12ihipStream_tbPNSt15iterator_traitsISI_E10value_typeEPNSO_ISJ_E10value_typeEPSK_NS1_7vsmem_tEENKUlT_SI_SJ_SK_E_clIPiSD_S10_SD_EESH_SX_SI_SJ_SK_EUlSX_E0_NS1_11comp_targetILNS1_3genE0ELNS1_11target_archE4294967295ELNS1_3gpuE0ELNS1_3repE0EEENS1_38merge_mergepath_config_static_selectorELNS0_4arch9wavefront6targetE1EEEvSJ_.numbered_sgpr, 30
	.set _ZN7rocprim17ROCPRIM_400000_NS6detail17trampoline_kernelINS0_14default_configENS1_38merge_sort_block_merge_config_selectorIiiEEZZNS1_27merge_sort_block_merge_implIS3_N6thrust23THRUST_200600_302600_NS6detail15normal_iteratorINS8_10device_ptrIiEEEESD_jNS1_19radix_merge_compareILb1ELb0EiNS0_19identity_decomposerEEEEE10hipError_tT0_T1_T2_jT3_P12ihipStream_tbPNSt15iterator_traitsISI_E10value_typeEPNSO_ISJ_E10value_typeEPSK_NS1_7vsmem_tEENKUlT_SI_SJ_SK_E_clIPiSD_S10_SD_EESH_SX_SI_SJ_SK_EUlSX_E0_NS1_11comp_targetILNS1_3genE0ELNS1_11target_archE4294967295ELNS1_3gpuE0ELNS1_3repE0EEENS1_38merge_mergepath_config_static_selectorELNS0_4arch9wavefront6targetE1EEEvSJ_.num_named_barrier, 0
	.set _ZN7rocprim17ROCPRIM_400000_NS6detail17trampoline_kernelINS0_14default_configENS1_38merge_sort_block_merge_config_selectorIiiEEZZNS1_27merge_sort_block_merge_implIS3_N6thrust23THRUST_200600_302600_NS6detail15normal_iteratorINS8_10device_ptrIiEEEESD_jNS1_19radix_merge_compareILb1ELb0EiNS0_19identity_decomposerEEEEE10hipError_tT0_T1_T2_jT3_P12ihipStream_tbPNSt15iterator_traitsISI_E10value_typeEPNSO_ISJ_E10value_typeEPSK_NS1_7vsmem_tEENKUlT_SI_SJ_SK_E_clIPiSD_S10_SD_EESH_SX_SI_SJ_SK_EUlSX_E0_NS1_11comp_targetILNS1_3genE0ELNS1_11target_archE4294967295ELNS1_3gpuE0ELNS1_3repE0EEENS1_38merge_mergepath_config_static_selectorELNS0_4arch9wavefront6targetE1EEEvSJ_.private_seg_size, 0
	.set _ZN7rocprim17ROCPRIM_400000_NS6detail17trampoline_kernelINS0_14default_configENS1_38merge_sort_block_merge_config_selectorIiiEEZZNS1_27merge_sort_block_merge_implIS3_N6thrust23THRUST_200600_302600_NS6detail15normal_iteratorINS8_10device_ptrIiEEEESD_jNS1_19radix_merge_compareILb1ELb0EiNS0_19identity_decomposerEEEEE10hipError_tT0_T1_T2_jT3_P12ihipStream_tbPNSt15iterator_traitsISI_E10value_typeEPNSO_ISJ_E10value_typeEPSK_NS1_7vsmem_tEENKUlT_SI_SJ_SK_E_clIPiSD_S10_SD_EESH_SX_SI_SJ_SK_EUlSX_E0_NS1_11comp_targetILNS1_3genE0ELNS1_11target_archE4294967295ELNS1_3gpuE0ELNS1_3repE0EEENS1_38merge_mergepath_config_static_selectorELNS0_4arch9wavefront6targetE1EEEvSJ_.uses_vcc, 1
	.set _ZN7rocprim17ROCPRIM_400000_NS6detail17trampoline_kernelINS0_14default_configENS1_38merge_sort_block_merge_config_selectorIiiEEZZNS1_27merge_sort_block_merge_implIS3_N6thrust23THRUST_200600_302600_NS6detail15normal_iteratorINS8_10device_ptrIiEEEESD_jNS1_19radix_merge_compareILb1ELb0EiNS0_19identity_decomposerEEEEE10hipError_tT0_T1_T2_jT3_P12ihipStream_tbPNSt15iterator_traitsISI_E10value_typeEPNSO_ISJ_E10value_typeEPSK_NS1_7vsmem_tEENKUlT_SI_SJ_SK_E_clIPiSD_S10_SD_EESH_SX_SI_SJ_SK_EUlSX_E0_NS1_11comp_targetILNS1_3genE0ELNS1_11target_archE4294967295ELNS1_3gpuE0ELNS1_3repE0EEENS1_38merge_mergepath_config_static_selectorELNS0_4arch9wavefront6targetE1EEEvSJ_.uses_flat_scratch, 0
	.set _ZN7rocprim17ROCPRIM_400000_NS6detail17trampoline_kernelINS0_14default_configENS1_38merge_sort_block_merge_config_selectorIiiEEZZNS1_27merge_sort_block_merge_implIS3_N6thrust23THRUST_200600_302600_NS6detail15normal_iteratorINS8_10device_ptrIiEEEESD_jNS1_19radix_merge_compareILb1ELb0EiNS0_19identity_decomposerEEEEE10hipError_tT0_T1_T2_jT3_P12ihipStream_tbPNSt15iterator_traitsISI_E10value_typeEPNSO_ISJ_E10value_typeEPSK_NS1_7vsmem_tEENKUlT_SI_SJ_SK_E_clIPiSD_S10_SD_EESH_SX_SI_SJ_SK_EUlSX_E0_NS1_11comp_targetILNS1_3genE0ELNS1_11target_archE4294967295ELNS1_3gpuE0ELNS1_3repE0EEENS1_38merge_mergepath_config_static_selectorELNS0_4arch9wavefront6targetE1EEEvSJ_.has_dyn_sized_stack, 0
	.set _ZN7rocprim17ROCPRIM_400000_NS6detail17trampoline_kernelINS0_14default_configENS1_38merge_sort_block_merge_config_selectorIiiEEZZNS1_27merge_sort_block_merge_implIS3_N6thrust23THRUST_200600_302600_NS6detail15normal_iteratorINS8_10device_ptrIiEEEESD_jNS1_19radix_merge_compareILb1ELb0EiNS0_19identity_decomposerEEEEE10hipError_tT0_T1_T2_jT3_P12ihipStream_tbPNSt15iterator_traitsISI_E10value_typeEPNSO_ISJ_E10value_typeEPSK_NS1_7vsmem_tEENKUlT_SI_SJ_SK_E_clIPiSD_S10_SD_EESH_SX_SI_SJ_SK_EUlSX_E0_NS1_11comp_targetILNS1_3genE0ELNS1_11target_archE4294967295ELNS1_3gpuE0ELNS1_3repE0EEENS1_38merge_mergepath_config_static_selectorELNS0_4arch9wavefront6targetE1EEEvSJ_.has_recursion, 0
	.set _ZN7rocprim17ROCPRIM_400000_NS6detail17trampoline_kernelINS0_14default_configENS1_38merge_sort_block_merge_config_selectorIiiEEZZNS1_27merge_sort_block_merge_implIS3_N6thrust23THRUST_200600_302600_NS6detail15normal_iteratorINS8_10device_ptrIiEEEESD_jNS1_19radix_merge_compareILb1ELb0EiNS0_19identity_decomposerEEEEE10hipError_tT0_T1_T2_jT3_P12ihipStream_tbPNSt15iterator_traitsISI_E10value_typeEPNSO_ISJ_E10value_typeEPSK_NS1_7vsmem_tEENKUlT_SI_SJ_SK_E_clIPiSD_S10_SD_EESH_SX_SI_SJ_SK_EUlSX_E0_NS1_11comp_targetILNS1_3genE0ELNS1_11target_archE4294967295ELNS1_3gpuE0ELNS1_3repE0EEENS1_38merge_mergepath_config_static_selectorELNS0_4arch9wavefront6targetE1EEEvSJ_.has_indirect_call, 0
	.section	.AMDGPU.csdata,"",@progbits
; Kernel info:
; codeLenInByte = 2908
; TotalNumSgprs: 36
; NumVgprs: 20
; NumAgprs: 0
; TotalNumVgprs: 20
; ScratchSize: 0
; MemoryBound: 0
; FloatMode: 240
; IeeeMode: 1
; LDSByteSize: 4224 bytes/workgroup (compile time only)
; SGPRBlocks: 4
; VGPRBlocks: 2
; NumSGPRsForWavesPerEU: 36
; NumVGPRsForWavesPerEU: 20
; AccumOffset: 20
; Occupancy: 8
; WaveLimiterHint : 1
; COMPUTE_PGM_RSRC2:SCRATCH_EN: 0
; COMPUTE_PGM_RSRC2:USER_SGPR: 2
; COMPUTE_PGM_RSRC2:TRAP_HANDLER: 0
; COMPUTE_PGM_RSRC2:TGID_X_EN: 1
; COMPUTE_PGM_RSRC2:TGID_Y_EN: 1
; COMPUTE_PGM_RSRC2:TGID_Z_EN: 1
; COMPUTE_PGM_RSRC2:TIDIG_COMP_CNT: 0
; COMPUTE_PGM_RSRC3_GFX90A:ACCUM_OFFSET: 4
; COMPUTE_PGM_RSRC3_GFX90A:TG_SPLIT: 0
	.section	.text._ZN7rocprim17ROCPRIM_400000_NS6detail17trampoline_kernelINS0_14default_configENS1_38merge_sort_block_merge_config_selectorIiiEEZZNS1_27merge_sort_block_merge_implIS3_N6thrust23THRUST_200600_302600_NS6detail15normal_iteratorINS8_10device_ptrIiEEEESD_jNS1_19radix_merge_compareILb1ELb0EiNS0_19identity_decomposerEEEEE10hipError_tT0_T1_T2_jT3_P12ihipStream_tbPNSt15iterator_traitsISI_E10value_typeEPNSO_ISJ_E10value_typeEPSK_NS1_7vsmem_tEENKUlT_SI_SJ_SK_E_clIPiSD_S10_SD_EESH_SX_SI_SJ_SK_EUlSX_E0_NS1_11comp_targetILNS1_3genE10ELNS1_11target_archE1201ELNS1_3gpuE5ELNS1_3repE0EEENS1_38merge_mergepath_config_static_selectorELNS0_4arch9wavefront6targetE1EEEvSJ_,"axG",@progbits,_ZN7rocprim17ROCPRIM_400000_NS6detail17trampoline_kernelINS0_14default_configENS1_38merge_sort_block_merge_config_selectorIiiEEZZNS1_27merge_sort_block_merge_implIS3_N6thrust23THRUST_200600_302600_NS6detail15normal_iteratorINS8_10device_ptrIiEEEESD_jNS1_19radix_merge_compareILb1ELb0EiNS0_19identity_decomposerEEEEE10hipError_tT0_T1_T2_jT3_P12ihipStream_tbPNSt15iterator_traitsISI_E10value_typeEPNSO_ISJ_E10value_typeEPSK_NS1_7vsmem_tEENKUlT_SI_SJ_SK_E_clIPiSD_S10_SD_EESH_SX_SI_SJ_SK_EUlSX_E0_NS1_11comp_targetILNS1_3genE10ELNS1_11target_archE1201ELNS1_3gpuE5ELNS1_3repE0EEENS1_38merge_mergepath_config_static_selectorELNS0_4arch9wavefront6targetE1EEEvSJ_,comdat
	.protected	_ZN7rocprim17ROCPRIM_400000_NS6detail17trampoline_kernelINS0_14default_configENS1_38merge_sort_block_merge_config_selectorIiiEEZZNS1_27merge_sort_block_merge_implIS3_N6thrust23THRUST_200600_302600_NS6detail15normal_iteratorINS8_10device_ptrIiEEEESD_jNS1_19radix_merge_compareILb1ELb0EiNS0_19identity_decomposerEEEEE10hipError_tT0_T1_T2_jT3_P12ihipStream_tbPNSt15iterator_traitsISI_E10value_typeEPNSO_ISJ_E10value_typeEPSK_NS1_7vsmem_tEENKUlT_SI_SJ_SK_E_clIPiSD_S10_SD_EESH_SX_SI_SJ_SK_EUlSX_E0_NS1_11comp_targetILNS1_3genE10ELNS1_11target_archE1201ELNS1_3gpuE5ELNS1_3repE0EEENS1_38merge_mergepath_config_static_selectorELNS0_4arch9wavefront6targetE1EEEvSJ_ ; -- Begin function _ZN7rocprim17ROCPRIM_400000_NS6detail17trampoline_kernelINS0_14default_configENS1_38merge_sort_block_merge_config_selectorIiiEEZZNS1_27merge_sort_block_merge_implIS3_N6thrust23THRUST_200600_302600_NS6detail15normal_iteratorINS8_10device_ptrIiEEEESD_jNS1_19radix_merge_compareILb1ELb0EiNS0_19identity_decomposerEEEEE10hipError_tT0_T1_T2_jT3_P12ihipStream_tbPNSt15iterator_traitsISI_E10value_typeEPNSO_ISJ_E10value_typeEPSK_NS1_7vsmem_tEENKUlT_SI_SJ_SK_E_clIPiSD_S10_SD_EESH_SX_SI_SJ_SK_EUlSX_E0_NS1_11comp_targetILNS1_3genE10ELNS1_11target_archE1201ELNS1_3gpuE5ELNS1_3repE0EEENS1_38merge_mergepath_config_static_selectorELNS0_4arch9wavefront6targetE1EEEvSJ_
	.globl	_ZN7rocprim17ROCPRIM_400000_NS6detail17trampoline_kernelINS0_14default_configENS1_38merge_sort_block_merge_config_selectorIiiEEZZNS1_27merge_sort_block_merge_implIS3_N6thrust23THRUST_200600_302600_NS6detail15normal_iteratorINS8_10device_ptrIiEEEESD_jNS1_19radix_merge_compareILb1ELb0EiNS0_19identity_decomposerEEEEE10hipError_tT0_T1_T2_jT3_P12ihipStream_tbPNSt15iterator_traitsISI_E10value_typeEPNSO_ISJ_E10value_typeEPSK_NS1_7vsmem_tEENKUlT_SI_SJ_SK_E_clIPiSD_S10_SD_EESH_SX_SI_SJ_SK_EUlSX_E0_NS1_11comp_targetILNS1_3genE10ELNS1_11target_archE1201ELNS1_3gpuE5ELNS1_3repE0EEENS1_38merge_mergepath_config_static_selectorELNS0_4arch9wavefront6targetE1EEEvSJ_
	.p2align	8
	.type	_ZN7rocprim17ROCPRIM_400000_NS6detail17trampoline_kernelINS0_14default_configENS1_38merge_sort_block_merge_config_selectorIiiEEZZNS1_27merge_sort_block_merge_implIS3_N6thrust23THRUST_200600_302600_NS6detail15normal_iteratorINS8_10device_ptrIiEEEESD_jNS1_19radix_merge_compareILb1ELb0EiNS0_19identity_decomposerEEEEE10hipError_tT0_T1_T2_jT3_P12ihipStream_tbPNSt15iterator_traitsISI_E10value_typeEPNSO_ISJ_E10value_typeEPSK_NS1_7vsmem_tEENKUlT_SI_SJ_SK_E_clIPiSD_S10_SD_EESH_SX_SI_SJ_SK_EUlSX_E0_NS1_11comp_targetILNS1_3genE10ELNS1_11target_archE1201ELNS1_3gpuE5ELNS1_3repE0EEENS1_38merge_mergepath_config_static_selectorELNS0_4arch9wavefront6targetE1EEEvSJ_,@function
_ZN7rocprim17ROCPRIM_400000_NS6detail17trampoline_kernelINS0_14default_configENS1_38merge_sort_block_merge_config_selectorIiiEEZZNS1_27merge_sort_block_merge_implIS3_N6thrust23THRUST_200600_302600_NS6detail15normal_iteratorINS8_10device_ptrIiEEEESD_jNS1_19radix_merge_compareILb1ELb0EiNS0_19identity_decomposerEEEEE10hipError_tT0_T1_T2_jT3_P12ihipStream_tbPNSt15iterator_traitsISI_E10value_typeEPNSO_ISJ_E10value_typeEPSK_NS1_7vsmem_tEENKUlT_SI_SJ_SK_E_clIPiSD_S10_SD_EESH_SX_SI_SJ_SK_EUlSX_E0_NS1_11comp_targetILNS1_3genE10ELNS1_11target_archE1201ELNS1_3gpuE5ELNS1_3repE0EEENS1_38merge_mergepath_config_static_selectorELNS0_4arch9wavefront6targetE1EEEvSJ_: ; @_ZN7rocprim17ROCPRIM_400000_NS6detail17trampoline_kernelINS0_14default_configENS1_38merge_sort_block_merge_config_selectorIiiEEZZNS1_27merge_sort_block_merge_implIS3_N6thrust23THRUST_200600_302600_NS6detail15normal_iteratorINS8_10device_ptrIiEEEESD_jNS1_19radix_merge_compareILb1ELb0EiNS0_19identity_decomposerEEEEE10hipError_tT0_T1_T2_jT3_P12ihipStream_tbPNSt15iterator_traitsISI_E10value_typeEPNSO_ISJ_E10value_typeEPSK_NS1_7vsmem_tEENKUlT_SI_SJ_SK_E_clIPiSD_S10_SD_EESH_SX_SI_SJ_SK_EUlSX_E0_NS1_11comp_targetILNS1_3genE10ELNS1_11target_archE1201ELNS1_3gpuE5ELNS1_3repE0EEENS1_38merge_mergepath_config_static_selectorELNS0_4arch9wavefront6targetE1EEEvSJ_
; %bb.0:
	.section	.rodata,"a",@progbits
	.p2align	6, 0x0
	.amdhsa_kernel _ZN7rocprim17ROCPRIM_400000_NS6detail17trampoline_kernelINS0_14default_configENS1_38merge_sort_block_merge_config_selectorIiiEEZZNS1_27merge_sort_block_merge_implIS3_N6thrust23THRUST_200600_302600_NS6detail15normal_iteratorINS8_10device_ptrIiEEEESD_jNS1_19radix_merge_compareILb1ELb0EiNS0_19identity_decomposerEEEEE10hipError_tT0_T1_T2_jT3_P12ihipStream_tbPNSt15iterator_traitsISI_E10value_typeEPNSO_ISJ_E10value_typeEPSK_NS1_7vsmem_tEENKUlT_SI_SJ_SK_E_clIPiSD_S10_SD_EESH_SX_SI_SJ_SK_EUlSX_E0_NS1_11comp_targetILNS1_3genE10ELNS1_11target_archE1201ELNS1_3gpuE5ELNS1_3repE0EEENS1_38merge_mergepath_config_static_selectorELNS0_4arch9wavefront6targetE1EEEvSJ_
		.amdhsa_group_segment_fixed_size 0
		.amdhsa_private_segment_fixed_size 0
		.amdhsa_kernarg_size 64
		.amdhsa_user_sgpr_count 2
		.amdhsa_user_sgpr_dispatch_ptr 0
		.amdhsa_user_sgpr_queue_ptr 0
		.amdhsa_user_sgpr_kernarg_segment_ptr 1
		.amdhsa_user_sgpr_dispatch_id 0
		.amdhsa_user_sgpr_kernarg_preload_length 0
		.amdhsa_user_sgpr_kernarg_preload_offset 0
		.amdhsa_user_sgpr_private_segment_size 0
		.amdhsa_uses_dynamic_stack 0
		.amdhsa_enable_private_segment 0
		.amdhsa_system_sgpr_workgroup_id_x 1
		.amdhsa_system_sgpr_workgroup_id_y 0
		.amdhsa_system_sgpr_workgroup_id_z 0
		.amdhsa_system_sgpr_workgroup_info 0
		.amdhsa_system_vgpr_workitem_id 0
		.amdhsa_next_free_vgpr 1
		.amdhsa_next_free_sgpr 0
		.amdhsa_accum_offset 4
		.amdhsa_reserve_vcc 0
		.amdhsa_float_round_mode_32 0
		.amdhsa_float_round_mode_16_64 0
		.amdhsa_float_denorm_mode_32 3
		.amdhsa_float_denorm_mode_16_64 3
		.amdhsa_dx10_clamp 1
		.amdhsa_ieee_mode 1
		.amdhsa_fp16_overflow 0
		.amdhsa_tg_split 0
		.amdhsa_exception_fp_ieee_invalid_op 0
		.amdhsa_exception_fp_denorm_src 0
		.amdhsa_exception_fp_ieee_div_zero 0
		.amdhsa_exception_fp_ieee_overflow 0
		.amdhsa_exception_fp_ieee_underflow 0
		.amdhsa_exception_fp_ieee_inexact 0
		.amdhsa_exception_int_div_zero 0
	.end_amdhsa_kernel
	.section	.text._ZN7rocprim17ROCPRIM_400000_NS6detail17trampoline_kernelINS0_14default_configENS1_38merge_sort_block_merge_config_selectorIiiEEZZNS1_27merge_sort_block_merge_implIS3_N6thrust23THRUST_200600_302600_NS6detail15normal_iteratorINS8_10device_ptrIiEEEESD_jNS1_19radix_merge_compareILb1ELb0EiNS0_19identity_decomposerEEEEE10hipError_tT0_T1_T2_jT3_P12ihipStream_tbPNSt15iterator_traitsISI_E10value_typeEPNSO_ISJ_E10value_typeEPSK_NS1_7vsmem_tEENKUlT_SI_SJ_SK_E_clIPiSD_S10_SD_EESH_SX_SI_SJ_SK_EUlSX_E0_NS1_11comp_targetILNS1_3genE10ELNS1_11target_archE1201ELNS1_3gpuE5ELNS1_3repE0EEENS1_38merge_mergepath_config_static_selectorELNS0_4arch9wavefront6targetE1EEEvSJ_,"axG",@progbits,_ZN7rocprim17ROCPRIM_400000_NS6detail17trampoline_kernelINS0_14default_configENS1_38merge_sort_block_merge_config_selectorIiiEEZZNS1_27merge_sort_block_merge_implIS3_N6thrust23THRUST_200600_302600_NS6detail15normal_iteratorINS8_10device_ptrIiEEEESD_jNS1_19radix_merge_compareILb1ELb0EiNS0_19identity_decomposerEEEEE10hipError_tT0_T1_T2_jT3_P12ihipStream_tbPNSt15iterator_traitsISI_E10value_typeEPNSO_ISJ_E10value_typeEPSK_NS1_7vsmem_tEENKUlT_SI_SJ_SK_E_clIPiSD_S10_SD_EESH_SX_SI_SJ_SK_EUlSX_E0_NS1_11comp_targetILNS1_3genE10ELNS1_11target_archE1201ELNS1_3gpuE5ELNS1_3repE0EEENS1_38merge_mergepath_config_static_selectorELNS0_4arch9wavefront6targetE1EEEvSJ_,comdat
.Lfunc_end1732:
	.size	_ZN7rocprim17ROCPRIM_400000_NS6detail17trampoline_kernelINS0_14default_configENS1_38merge_sort_block_merge_config_selectorIiiEEZZNS1_27merge_sort_block_merge_implIS3_N6thrust23THRUST_200600_302600_NS6detail15normal_iteratorINS8_10device_ptrIiEEEESD_jNS1_19radix_merge_compareILb1ELb0EiNS0_19identity_decomposerEEEEE10hipError_tT0_T1_T2_jT3_P12ihipStream_tbPNSt15iterator_traitsISI_E10value_typeEPNSO_ISJ_E10value_typeEPSK_NS1_7vsmem_tEENKUlT_SI_SJ_SK_E_clIPiSD_S10_SD_EESH_SX_SI_SJ_SK_EUlSX_E0_NS1_11comp_targetILNS1_3genE10ELNS1_11target_archE1201ELNS1_3gpuE5ELNS1_3repE0EEENS1_38merge_mergepath_config_static_selectorELNS0_4arch9wavefront6targetE1EEEvSJ_, .Lfunc_end1732-_ZN7rocprim17ROCPRIM_400000_NS6detail17trampoline_kernelINS0_14default_configENS1_38merge_sort_block_merge_config_selectorIiiEEZZNS1_27merge_sort_block_merge_implIS3_N6thrust23THRUST_200600_302600_NS6detail15normal_iteratorINS8_10device_ptrIiEEEESD_jNS1_19radix_merge_compareILb1ELb0EiNS0_19identity_decomposerEEEEE10hipError_tT0_T1_T2_jT3_P12ihipStream_tbPNSt15iterator_traitsISI_E10value_typeEPNSO_ISJ_E10value_typeEPSK_NS1_7vsmem_tEENKUlT_SI_SJ_SK_E_clIPiSD_S10_SD_EESH_SX_SI_SJ_SK_EUlSX_E0_NS1_11comp_targetILNS1_3genE10ELNS1_11target_archE1201ELNS1_3gpuE5ELNS1_3repE0EEENS1_38merge_mergepath_config_static_selectorELNS0_4arch9wavefront6targetE1EEEvSJ_
                                        ; -- End function
	.set _ZN7rocprim17ROCPRIM_400000_NS6detail17trampoline_kernelINS0_14default_configENS1_38merge_sort_block_merge_config_selectorIiiEEZZNS1_27merge_sort_block_merge_implIS3_N6thrust23THRUST_200600_302600_NS6detail15normal_iteratorINS8_10device_ptrIiEEEESD_jNS1_19radix_merge_compareILb1ELb0EiNS0_19identity_decomposerEEEEE10hipError_tT0_T1_T2_jT3_P12ihipStream_tbPNSt15iterator_traitsISI_E10value_typeEPNSO_ISJ_E10value_typeEPSK_NS1_7vsmem_tEENKUlT_SI_SJ_SK_E_clIPiSD_S10_SD_EESH_SX_SI_SJ_SK_EUlSX_E0_NS1_11comp_targetILNS1_3genE10ELNS1_11target_archE1201ELNS1_3gpuE5ELNS1_3repE0EEENS1_38merge_mergepath_config_static_selectorELNS0_4arch9wavefront6targetE1EEEvSJ_.num_vgpr, 0
	.set _ZN7rocprim17ROCPRIM_400000_NS6detail17trampoline_kernelINS0_14default_configENS1_38merge_sort_block_merge_config_selectorIiiEEZZNS1_27merge_sort_block_merge_implIS3_N6thrust23THRUST_200600_302600_NS6detail15normal_iteratorINS8_10device_ptrIiEEEESD_jNS1_19radix_merge_compareILb1ELb0EiNS0_19identity_decomposerEEEEE10hipError_tT0_T1_T2_jT3_P12ihipStream_tbPNSt15iterator_traitsISI_E10value_typeEPNSO_ISJ_E10value_typeEPSK_NS1_7vsmem_tEENKUlT_SI_SJ_SK_E_clIPiSD_S10_SD_EESH_SX_SI_SJ_SK_EUlSX_E0_NS1_11comp_targetILNS1_3genE10ELNS1_11target_archE1201ELNS1_3gpuE5ELNS1_3repE0EEENS1_38merge_mergepath_config_static_selectorELNS0_4arch9wavefront6targetE1EEEvSJ_.num_agpr, 0
	.set _ZN7rocprim17ROCPRIM_400000_NS6detail17trampoline_kernelINS0_14default_configENS1_38merge_sort_block_merge_config_selectorIiiEEZZNS1_27merge_sort_block_merge_implIS3_N6thrust23THRUST_200600_302600_NS6detail15normal_iteratorINS8_10device_ptrIiEEEESD_jNS1_19radix_merge_compareILb1ELb0EiNS0_19identity_decomposerEEEEE10hipError_tT0_T1_T2_jT3_P12ihipStream_tbPNSt15iterator_traitsISI_E10value_typeEPNSO_ISJ_E10value_typeEPSK_NS1_7vsmem_tEENKUlT_SI_SJ_SK_E_clIPiSD_S10_SD_EESH_SX_SI_SJ_SK_EUlSX_E0_NS1_11comp_targetILNS1_3genE10ELNS1_11target_archE1201ELNS1_3gpuE5ELNS1_3repE0EEENS1_38merge_mergepath_config_static_selectorELNS0_4arch9wavefront6targetE1EEEvSJ_.numbered_sgpr, 0
	.set _ZN7rocprim17ROCPRIM_400000_NS6detail17trampoline_kernelINS0_14default_configENS1_38merge_sort_block_merge_config_selectorIiiEEZZNS1_27merge_sort_block_merge_implIS3_N6thrust23THRUST_200600_302600_NS6detail15normal_iteratorINS8_10device_ptrIiEEEESD_jNS1_19radix_merge_compareILb1ELb0EiNS0_19identity_decomposerEEEEE10hipError_tT0_T1_T2_jT3_P12ihipStream_tbPNSt15iterator_traitsISI_E10value_typeEPNSO_ISJ_E10value_typeEPSK_NS1_7vsmem_tEENKUlT_SI_SJ_SK_E_clIPiSD_S10_SD_EESH_SX_SI_SJ_SK_EUlSX_E0_NS1_11comp_targetILNS1_3genE10ELNS1_11target_archE1201ELNS1_3gpuE5ELNS1_3repE0EEENS1_38merge_mergepath_config_static_selectorELNS0_4arch9wavefront6targetE1EEEvSJ_.num_named_barrier, 0
	.set _ZN7rocprim17ROCPRIM_400000_NS6detail17trampoline_kernelINS0_14default_configENS1_38merge_sort_block_merge_config_selectorIiiEEZZNS1_27merge_sort_block_merge_implIS3_N6thrust23THRUST_200600_302600_NS6detail15normal_iteratorINS8_10device_ptrIiEEEESD_jNS1_19radix_merge_compareILb1ELb0EiNS0_19identity_decomposerEEEEE10hipError_tT0_T1_T2_jT3_P12ihipStream_tbPNSt15iterator_traitsISI_E10value_typeEPNSO_ISJ_E10value_typeEPSK_NS1_7vsmem_tEENKUlT_SI_SJ_SK_E_clIPiSD_S10_SD_EESH_SX_SI_SJ_SK_EUlSX_E0_NS1_11comp_targetILNS1_3genE10ELNS1_11target_archE1201ELNS1_3gpuE5ELNS1_3repE0EEENS1_38merge_mergepath_config_static_selectorELNS0_4arch9wavefront6targetE1EEEvSJ_.private_seg_size, 0
	.set _ZN7rocprim17ROCPRIM_400000_NS6detail17trampoline_kernelINS0_14default_configENS1_38merge_sort_block_merge_config_selectorIiiEEZZNS1_27merge_sort_block_merge_implIS3_N6thrust23THRUST_200600_302600_NS6detail15normal_iteratorINS8_10device_ptrIiEEEESD_jNS1_19radix_merge_compareILb1ELb0EiNS0_19identity_decomposerEEEEE10hipError_tT0_T1_T2_jT3_P12ihipStream_tbPNSt15iterator_traitsISI_E10value_typeEPNSO_ISJ_E10value_typeEPSK_NS1_7vsmem_tEENKUlT_SI_SJ_SK_E_clIPiSD_S10_SD_EESH_SX_SI_SJ_SK_EUlSX_E0_NS1_11comp_targetILNS1_3genE10ELNS1_11target_archE1201ELNS1_3gpuE5ELNS1_3repE0EEENS1_38merge_mergepath_config_static_selectorELNS0_4arch9wavefront6targetE1EEEvSJ_.uses_vcc, 0
	.set _ZN7rocprim17ROCPRIM_400000_NS6detail17trampoline_kernelINS0_14default_configENS1_38merge_sort_block_merge_config_selectorIiiEEZZNS1_27merge_sort_block_merge_implIS3_N6thrust23THRUST_200600_302600_NS6detail15normal_iteratorINS8_10device_ptrIiEEEESD_jNS1_19radix_merge_compareILb1ELb0EiNS0_19identity_decomposerEEEEE10hipError_tT0_T1_T2_jT3_P12ihipStream_tbPNSt15iterator_traitsISI_E10value_typeEPNSO_ISJ_E10value_typeEPSK_NS1_7vsmem_tEENKUlT_SI_SJ_SK_E_clIPiSD_S10_SD_EESH_SX_SI_SJ_SK_EUlSX_E0_NS1_11comp_targetILNS1_3genE10ELNS1_11target_archE1201ELNS1_3gpuE5ELNS1_3repE0EEENS1_38merge_mergepath_config_static_selectorELNS0_4arch9wavefront6targetE1EEEvSJ_.uses_flat_scratch, 0
	.set _ZN7rocprim17ROCPRIM_400000_NS6detail17trampoline_kernelINS0_14default_configENS1_38merge_sort_block_merge_config_selectorIiiEEZZNS1_27merge_sort_block_merge_implIS3_N6thrust23THRUST_200600_302600_NS6detail15normal_iteratorINS8_10device_ptrIiEEEESD_jNS1_19radix_merge_compareILb1ELb0EiNS0_19identity_decomposerEEEEE10hipError_tT0_T1_T2_jT3_P12ihipStream_tbPNSt15iterator_traitsISI_E10value_typeEPNSO_ISJ_E10value_typeEPSK_NS1_7vsmem_tEENKUlT_SI_SJ_SK_E_clIPiSD_S10_SD_EESH_SX_SI_SJ_SK_EUlSX_E0_NS1_11comp_targetILNS1_3genE10ELNS1_11target_archE1201ELNS1_3gpuE5ELNS1_3repE0EEENS1_38merge_mergepath_config_static_selectorELNS0_4arch9wavefront6targetE1EEEvSJ_.has_dyn_sized_stack, 0
	.set _ZN7rocprim17ROCPRIM_400000_NS6detail17trampoline_kernelINS0_14default_configENS1_38merge_sort_block_merge_config_selectorIiiEEZZNS1_27merge_sort_block_merge_implIS3_N6thrust23THRUST_200600_302600_NS6detail15normal_iteratorINS8_10device_ptrIiEEEESD_jNS1_19radix_merge_compareILb1ELb0EiNS0_19identity_decomposerEEEEE10hipError_tT0_T1_T2_jT3_P12ihipStream_tbPNSt15iterator_traitsISI_E10value_typeEPNSO_ISJ_E10value_typeEPSK_NS1_7vsmem_tEENKUlT_SI_SJ_SK_E_clIPiSD_S10_SD_EESH_SX_SI_SJ_SK_EUlSX_E0_NS1_11comp_targetILNS1_3genE10ELNS1_11target_archE1201ELNS1_3gpuE5ELNS1_3repE0EEENS1_38merge_mergepath_config_static_selectorELNS0_4arch9wavefront6targetE1EEEvSJ_.has_recursion, 0
	.set _ZN7rocprim17ROCPRIM_400000_NS6detail17trampoline_kernelINS0_14default_configENS1_38merge_sort_block_merge_config_selectorIiiEEZZNS1_27merge_sort_block_merge_implIS3_N6thrust23THRUST_200600_302600_NS6detail15normal_iteratorINS8_10device_ptrIiEEEESD_jNS1_19radix_merge_compareILb1ELb0EiNS0_19identity_decomposerEEEEE10hipError_tT0_T1_T2_jT3_P12ihipStream_tbPNSt15iterator_traitsISI_E10value_typeEPNSO_ISJ_E10value_typeEPSK_NS1_7vsmem_tEENKUlT_SI_SJ_SK_E_clIPiSD_S10_SD_EESH_SX_SI_SJ_SK_EUlSX_E0_NS1_11comp_targetILNS1_3genE10ELNS1_11target_archE1201ELNS1_3gpuE5ELNS1_3repE0EEENS1_38merge_mergepath_config_static_selectorELNS0_4arch9wavefront6targetE1EEEvSJ_.has_indirect_call, 0
	.section	.AMDGPU.csdata,"",@progbits
; Kernel info:
; codeLenInByte = 0
; TotalNumSgprs: 6
; NumVgprs: 0
; NumAgprs: 0
; TotalNumVgprs: 0
; ScratchSize: 0
; MemoryBound: 0
; FloatMode: 240
; IeeeMode: 1
; LDSByteSize: 0 bytes/workgroup (compile time only)
; SGPRBlocks: 0
; VGPRBlocks: 0
; NumSGPRsForWavesPerEU: 6
; NumVGPRsForWavesPerEU: 1
; AccumOffset: 4
; Occupancy: 8
; WaveLimiterHint : 0
; COMPUTE_PGM_RSRC2:SCRATCH_EN: 0
; COMPUTE_PGM_RSRC2:USER_SGPR: 2
; COMPUTE_PGM_RSRC2:TRAP_HANDLER: 0
; COMPUTE_PGM_RSRC2:TGID_X_EN: 1
; COMPUTE_PGM_RSRC2:TGID_Y_EN: 0
; COMPUTE_PGM_RSRC2:TGID_Z_EN: 0
; COMPUTE_PGM_RSRC2:TIDIG_COMP_CNT: 0
; COMPUTE_PGM_RSRC3_GFX90A:ACCUM_OFFSET: 0
; COMPUTE_PGM_RSRC3_GFX90A:TG_SPLIT: 0
	.section	.text._ZN7rocprim17ROCPRIM_400000_NS6detail17trampoline_kernelINS0_14default_configENS1_38merge_sort_block_merge_config_selectorIiiEEZZNS1_27merge_sort_block_merge_implIS3_N6thrust23THRUST_200600_302600_NS6detail15normal_iteratorINS8_10device_ptrIiEEEESD_jNS1_19radix_merge_compareILb1ELb0EiNS0_19identity_decomposerEEEEE10hipError_tT0_T1_T2_jT3_P12ihipStream_tbPNSt15iterator_traitsISI_E10value_typeEPNSO_ISJ_E10value_typeEPSK_NS1_7vsmem_tEENKUlT_SI_SJ_SK_E_clIPiSD_S10_SD_EESH_SX_SI_SJ_SK_EUlSX_E0_NS1_11comp_targetILNS1_3genE5ELNS1_11target_archE942ELNS1_3gpuE9ELNS1_3repE0EEENS1_38merge_mergepath_config_static_selectorELNS0_4arch9wavefront6targetE1EEEvSJ_,"axG",@progbits,_ZN7rocprim17ROCPRIM_400000_NS6detail17trampoline_kernelINS0_14default_configENS1_38merge_sort_block_merge_config_selectorIiiEEZZNS1_27merge_sort_block_merge_implIS3_N6thrust23THRUST_200600_302600_NS6detail15normal_iteratorINS8_10device_ptrIiEEEESD_jNS1_19radix_merge_compareILb1ELb0EiNS0_19identity_decomposerEEEEE10hipError_tT0_T1_T2_jT3_P12ihipStream_tbPNSt15iterator_traitsISI_E10value_typeEPNSO_ISJ_E10value_typeEPSK_NS1_7vsmem_tEENKUlT_SI_SJ_SK_E_clIPiSD_S10_SD_EESH_SX_SI_SJ_SK_EUlSX_E0_NS1_11comp_targetILNS1_3genE5ELNS1_11target_archE942ELNS1_3gpuE9ELNS1_3repE0EEENS1_38merge_mergepath_config_static_selectorELNS0_4arch9wavefront6targetE1EEEvSJ_,comdat
	.protected	_ZN7rocprim17ROCPRIM_400000_NS6detail17trampoline_kernelINS0_14default_configENS1_38merge_sort_block_merge_config_selectorIiiEEZZNS1_27merge_sort_block_merge_implIS3_N6thrust23THRUST_200600_302600_NS6detail15normal_iteratorINS8_10device_ptrIiEEEESD_jNS1_19radix_merge_compareILb1ELb0EiNS0_19identity_decomposerEEEEE10hipError_tT0_T1_T2_jT3_P12ihipStream_tbPNSt15iterator_traitsISI_E10value_typeEPNSO_ISJ_E10value_typeEPSK_NS1_7vsmem_tEENKUlT_SI_SJ_SK_E_clIPiSD_S10_SD_EESH_SX_SI_SJ_SK_EUlSX_E0_NS1_11comp_targetILNS1_3genE5ELNS1_11target_archE942ELNS1_3gpuE9ELNS1_3repE0EEENS1_38merge_mergepath_config_static_selectorELNS0_4arch9wavefront6targetE1EEEvSJ_ ; -- Begin function _ZN7rocprim17ROCPRIM_400000_NS6detail17trampoline_kernelINS0_14default_configENS1_38merge_sort_block_merge_config_selectorIiiEEZZNS1_27merge_sort_block_merge_implIS3_N6thrust23THRUST_200600_302600_NS6detail15normal_iteratorINS8_10device_ptrIiEEEESD_jNS1_19radix_merge_compareILb1ELb0EiNS0_19identity_decomposerEEEEE10hipError_tT0_T1_T2_jT3_P12ihipStream_tbPNSt15iterator_traitsISI_E10value_typeEPNSO_ISJ_E10value_typeEPSK_NS1_7vsmem_tEENKUlT_SI_SJ_SK_E_clIPiSD_S10_SD_EESH_SX_SI_SJ_SK_EUlSX_E0_NS1_11comp_targetILNS1_3genE5ELNS1_11target_archE942ELNS1_3gpuE9ELNS1_3repE0EEENS1_38merge_mergepath_config_static_selectorELNS0_4arch9wavefront6targetE1EEEvSJ_
	.globl	_ZN7rocprim17ROCPRIM_400000_NS6detail17trampoline_kernelINS0_14default_configENS1_38merge_sort_block_merge_config_selectorIiiEEZZNS1_27merge_sort_block_merge_implIS3_N6thrust23THRUST_200600_302600_NS6detail15normal_iteratorINS8_10device_ptrIiEEEESD_jNS1_19radix_merge_compareILb1ELb0EiNS0_19identity_decomposerEEEEE10hipError_tT0_T1_T2_jT3_P12ihipStream_tbPNSt15iterator_traitsISI_E10value_typeEPNSO_ISJ_E10value_typeEPSK_NS1_7vsmem_tEENKUlT_SI_SJ_SK_E_clIPiSD_S10_SD_EESH_SX_SI_SJ_SK_EUlSX_E0_NS1_11comp_targetILNS1_3genE5ELNS1_11target_archE942ELNS1_3gpuE9ELNS1_3repE0EEENS1_38merge_mergepath_config_static_selectorELNS0_4arch9wavefront6targetE1EEEvSJ_
	.p2align	8
	.type	_ZN7rocprim17ROCPRIM_400000_NS6detail17trampoline_kernelINS0_14default_configENS1_38merge_sort_block_merge_config_selectorIiiEEZZNS1_27merge_sort_block_merge_implIS3_N6thrust23THRUST_200600_302600_NS6detail15normal_iteratorINS8_10device_ptrIiEEEESD_jNS1_19radix_merge_compareILb1ELb0EiNS0_19identity_decomposerEEEEE10hipError_tT0_T1_T2_jT3_P12ihipStream_tbPNSt15iterator_traitsISI_E10value_typeEPNSO_ISJ_E10value_typeEPSK_NS1_7vsmem_tEENKUlT_SI_SJ_SK_E_clIPiSD_S10_SD_EESH_SX_SI_SJ_SK_EUlSX_E0_NS1_11comp_targetILNS1_3genE5ELNS1_11target_archE942ELNS1_3gpuE9ELNS1_3repE0EEENS1_38merge_mergepath_config_static_selectorELNS0_4arch9wavefront6targetE1EEEvSJ_,@function
_ZN7rocprim17ROCPRIM_400000_NS6detail17trampoline_kernelINS0_14default_configENS1_38merge_sort_block_merge_config_selectorIiiEEZZNS1_27merge_sort_block_merge_implIS3_N6thrust23THRUST_200600_302600_NS6detail15normal_iteratorINS8_10device_ptrIiEEEESD_jNS1_19radix_merge_compareILb1ELb0EiNS0_19identity_decomposerEEEEE10hipError_tT0_T1_T2_jT3_P12ihipStream_tbPNSt15iterator_traitsISI_E10value_typeEPNSO_ISJ_E10value_typeEPSK_NS1_7vsmem_tEENKUlT_SI_SJ_SK_E_clIPiSD_S10_SD_EESH_SX_SI_SJ_SK_EUlSX_E0_NS1_11comp_targetILNS1_3genE5ELNS1_11target_archE942ELNS1_3gpuE9ELNS1_3repE0EEENS1_38merge_mergepath_config_static_selectorELNS0_4arch9wavefront6targetE1EEEvSJ_: ; @_ZN7rocprim17ROCPRIM_400000_NS6detail17trampoline_kernelINS0_14default_configENS1_38merge_sort_block_merge_config_selectorIiiEEZZNS1_27merge_sort_block_merge_implIS3_N6thrust23THRUST_200600_302600_NS6detail15normal_iteratorINS8_10device_ptrIiEEEESD_jNS1_19radix_merge_compareILb1ELb0EiNS0_19identity_decomposerEEEEE10hipError_tT0_T1_T2_jT3_P12ihipStream_tbPNSt15iterator_traitsISI_E10value_typeEPNSO_ISJ_E10value_typeEPSK_NS1_7vsmem_tEENKUlT_SI_SJ_SK_E_clIPiSD_S10_SD_EESH_SX_SI_SJ_SK_EUlSX_E0_NS1_11comp_targetILNS1_3genE5ELNS1_11target_archE942ELNS1_3gpuE9ELNS1_3repE0EEENS1_38merge_mergepath_config_static_selectorELNS0_4arch9wavefront6targetE1EEEvSJ_
; %bb.0:
	.section	.rodata,"a",@progbits
	.p2align	6, 0x0
	.amdhsa_kernel _ZN7rocprim17ROCPRIM_400000_NS6detail17trampoline_kernelINS0_14default_configENS1_38merge_sort_block_merge_config_selectorIiiEEZZNS1_27merge_sort_block_merge_implIS3_N6thrust23THRUST_200600_302600_NS6detail15normal_iteratorINS8_10device_ptrIiEEEESD_jNS1_19radix_merge_compareILb1ELb0EiNS0_19identity_decomposerEEEEE10hipError_tT0_T1_T2_jT3_P12ihipStream_tbPNSt15iterator_traitsISI_E10value_typeEPNSO_ISJ_E10value_typeEPSK_NS1_7vsmem_tEENKUlT_SI_SJ_SK_E_clIPiSD_S10_SD_EESH_SX_SI_SJ_SK_EUlSX_E0_NS1_11comp_targetILNS1_3genE5ELNS1_11target_archE942ELNS1_3gpuE9ELNS1_3repE0EEENS1_38merge_mergepath_config_static_selectorELNS0_4arch9wavefront6targetE1EEEvSJ_
		.amdhsa_group_segment_fixed_size 0
		.amdhsa_private_segment_fixed_size 0
		.amdhsa_kernarg_size 64
		.amdhsa_user_sgpr_count 2
		.amdhsa_user_sgpr_dispatch_ptr 0
		.amdhsa_user_sgpr_queue_ptr 0
		.amdhsa_user_sgpr_kernarg_segment_ptr 1
		.amdhsa_user_sgpr_dispatch_id 0
		.amdhsa_user_sgpr_kernarg_preload_length 0
		.amdhsa_user_sgpr_kernarg_preload_offset 0
		.amdhsa_user_sgpr_private_segment_size 0
		.amdhsa_uses_dynamic_stack 0
		.amdhsa_enable_private_segment 0
		.amdhsa_system_sgpr_workgroup_id_x 1
		.amdhsa_system_sgpr_workgroup_id_y 0
		.amdhsa_system_sgpr_workgroup_id_z 0
		.amdhsa_system_sgpr_workgroup_info 0
		.amdhsa_system_vgpr_workitem_id 0
		.amdhsa_next_free_vgpr 1
		.amdhsa_next_free_sgpr 0
		.amdhsa_accum_offset 4
		.amdhsa_reserve_vcc 0
		.amdhsa_float_round_mode_32 0
		.amdhsa_float_round_mode_16_64 0
		.amdhsa_float_denorm_mode_32 3
		.amdhsa_float_denorm_mode_16_64 3
		.amdhsa_dx10_clamp 1
		.amdhsa_ieee_mode 1
		.amdhsa_fp16_overflow 0
		.amdhsa_tg_split 0
		.amdhsa_exception_fp_ieee_invalid_op 0
		.amdhsa_exception_fp_denorm_src 0
		.amdhsa_exception_fp_ieee_div_zero 0
		.amdhsa_exception_fp_ieee_overflow 0
		.amdhsa_exception_fp_ieee_underflow 0
		.amdhsa_exception_fp_ieee_inexact 0
		.amdhsa_exception_int_div_zero 0
	.end_amdhsa_kernel
	.section	.text._ZN7rocprim17ROCPRIM_400000_NS6detail17trampoline_kernelINS0_14default_configENS1_38merge_sort_block_merge_config_selectorIiiEEZZNS1_27merge_sort_block_merge_implIS3_N6thrust23THRUST_200600_302600_NS6detail15normal_iteratorINS8_10device_ptrIiEEEESD_jNS1_19radix_merge_compareILb1ELb0EiNS0_19identity_decomposerEEEEE10hipError_tT0_T1_T2_jT3_P12ihipStream_tbPNSt15iterator_traitsISI_E10value_typeEPNSO_ISJ_E10value_typeEPSK_NS1_7vsmem_tEENKUlT_SI_SJ_SK_E_clIPiSD_S10_SD_EESH_SX_SI_SJ_SK_EUlSX_E0_NS1_11comp_targetILNS1_3genE5ELNS1_11target_archE942ELNS1_3gpuE9ELNS1_3repE0EEENS1_38merge_mergepath_config_static_selectorELNS0_4arch9wavefront6targetE1EEEvSJ_,"axG",@progbits,_ZN7rocprim17ROCPRIM_400000_NS6detail17trampoline_kernelINS0_14default_configENS1_38merge_sort_block_merge_config_selectorIiiEEZZNS1_27merge_sort_block_merge_implIS3_N6thrust23THRUST_200600_302600_NS6detail15normal_iteratorINS8_10device_ptrIiEEEESD_jNS1_19radix_merge_compareILb1ELb0EiNS0_19identity_decomposerEEEEE10hipError_tT0_T1_T2_jT3_P12ihipStream_tbPNSt15iterator_traitsISI_E10value_typeEPNSO_ISJ_E10value_typeEPSK_NS1_7vsmem_tEENKUlT_SI_SJ_SK_E_clIPiSD_S10_SD_EESH_SX_SI_SJ_SK_EUlSX_E0_NS1_11comp_targetILNS1_3genE5ELNS1_11target_archE942ELNS1_3gpuE9ELNS1_3repE0EEENS1_38merge_mergepath_config_static_selectorELNS0_4arch9wavefront6targetE1EEEvSJ_,comdat
.Lfunc_end1733:
	.size	_ZN7rocprim17ROCPRIM_400000_NS6detail17trampoline_kernelINS0_14default_configENS1_38merge_sort_block_merge_config_selectorIiiEEZZNS1_27merge_sort_block_merge_implIS3_N6thrust23THRUST_200600_302600_NS6detail15normal_iteratorINS8_10device_ptrIiEEEESD_jNS1_19radix_merge_compareILb1ELb0EiNS0_19identity_decomposerEEEEE10hipError_tT0_T1_T2_jT3_P12ihipStream_tbPNSt15iterator_traitsISI_E10value_typeEPNSO_ISJ_E10value_typeEPSK_NS1_7vsmem_tEENKUlT_SI_SJ_SK_E_clIPiSD_S10_SD_EESH_SX_SI_SJ_SK_EUlSX_E0_NS1_11comp_targetILNS1_3genE5ELNS1_11target_archE942ELNS1_3gpuE9ELNS1_3repE0EEENS1_38merge_mergepath_config_static_selectorELNS0_4arch9wavefront6targetE1EEEvSJ_, .Lfunc_end1733-_ZN7rocprim17ROCPRIM_400000_NS6detail17trampoline_kernelINS0_14default_configENS1_38merge_sort_block_merge_config_selectorIiiEEZZNS1_27merge_sort_block_merge_implIS3_N6thrust23THRUST_200600_302600_NS6detail15normal_iteratorINS8_10device_ptrIiEEEESD_jNS1_19radix_merge_compareILb1ELb0EiNS0_19identity_decomposerEEEEE10hipError_tT0_T1_T2_jT3_P12ihipStream_tbPNSt15iterator_traitsISI_E10value_typeEPNSO_ISJ_E10value_typeEPSK_NS1_7vsmem_tEENKUlT_SI_SJ_SK_E_clIPiSD_S10_SD_EESH_SX_SI_SJ_SK_EUlSX_E0_NS1_11comp_targetILNS1_3genE5ELNS1_11target_archE942ELNS1_3gpuE9ELNS1_3repE0EEENS1_38merge_mergepath_config_static_selectorELNS0_4arch9wavefront6targetE1EEEvSJ_
                                        ; -- End function
	.set _ZN7rocprim17ROCPRIM_400000_NS6detail17trampoline_kernelINS0_14default_configENS1_38merge_sort_block_merge_config_selectorIiiEEZZNS1_27merge_sort_block_merge_implIS3_N6thrust23THRUST_200600_302600_NS6detail15normal_iteratorINS8_10device_ptrIiEEEESD_jNS1_19radix_merge_compareILb1ELb0EiNS0_19identity_decomposerEEEEE10hipError_tT0_T1_T2_jT3_P12ihipStream_tbPNSt15iterator_traitsISI_E10value_typeEPNSO_ISJ_E10value_typeEPSK_NS1_7vsmem_tEENKUlT_SI_SJ_SK_E_clIPiSD_S10_SD_EESH_SX_SI_SJ_SK_EUlSX_E0_NS1_11comp_targetILNS1_3genE5ELNS1_11target_archE942ELNS1_3gpuE9ELNS1_3repE0EEENS1_38merge_mergepath_config_static_selectorELNS0_4arch9wavefront6targetE1EEEvSJ_.num_vgpr, 0
	.set _ZN7rocprim17ROCPRIM_400000_NS6detail17trampoline_kernelINS0_14default_configENS1_38merge_sort_block_merge_config_selectorIiiEEZZNS1_27merge_sort_block_merge_implIS3_N6thrust23THRUST_200600_302600_NS6detail15normal_iteratorINS8_10device_ptrIiEEEESD_jNS1_19radix_merge_compareILb1ELb0EiNS0_19identity_decomposerEEEEE10hipError_tT0_T1_T2_jT3_P12ihipStream_tbPNSt15iterator_traitsISI_E10value_typeEPNSO_ISJ_E10value_typeEPSK_NS1_7vsmem_tEENKUlT_SI_SJ_SK_E_clIPiSD_S10_SD_EESH_SX_SI_SJ_SK_EUlSX_E0_NS1_11comp_targetILNS1_3genE5ELNS1_11target_archE942ELNS1_3gpuE9ELNS1_3repE0EEENS1_38merge_mergepath_config_static_selectorELNS0_4arch9wavefront6targetE1EEEvSJ_.num_agpr, 0
	.set _ZN7rocprim17ROCPRIM_400000_NS6detail17trampoline_kernelINS0_14default_configENS1_38merge_sort_block_merge_config_selectorIiiEEZZNS1_27merge_sort_block_merge_implIS3_N6thrust23THRUST_200600_302600_NS6detail15normal_iteratorINS8_10device_ptrIiEEEESD_jNS1_19radix_merge_compareILb1ELb0EiNS0_19identity_decomposerEEEEE10hipError_tT0_T1_T2_jT3_P12ihipStream_tbPNSt15iterator_traitsISI_E10value_typeEPNSO_ISJ_E10value_typeEPSK_NS1_7vsmem_tEENKUlT_SI_SJ_SK_E_clIPiSD_S10_SD_EESH_SX_SI_SJ_SK_EUlSX_E0_NS1_11comp_targetILNS1_3genE5ELNS1_11target_archE942ELNS1_3gpuE9ELNS1_3repE0EEENS1_38merge_mergepath_config_static_selectorELNS0_4arch9wavefront6targetE1EEEvSJ_.numbered_sgpr, 0
	.set _ZN7rocprim17ROCPRIM_400000_NS6detail17trampoline_kernelINS0_14default_configENS1_38merge_sort_block_merge_config_selectorIiiEEZZNS1_27merge_sort_block_merge_implIS3_N6thrust23THRUST_200600_302600_NS6detail15normal_iteratorINS8_10device_ptrIiEEEESD_jNS1_19radix_merge_compareILb1ELb0EiNS0_19identity_decomposerEEEEE10hipError_tT0_T1_T2_jT3_P12ihipStream_tbPNSt15iterator_traitsISI_E10value_typeEPNSO_ISJ_E10value_typeEPSK_NS1_7vsmem_tEENKUlT_SI_SJ_SK_E_clIPiSD_S10_SD_EESH_SX_SI_SJ_SK_EUlSX_E0_NS1_11comp_targetILNS1_3genE5ELNS1_11target_archE942ELNS1_3gpuE9ELNS1_3repE0EEENS1_38merge_mergepath_config_static_selectorELNS0_4arch9wavefront6targetE1EEEvSJ_.num_named_barrier, 0
	.set _ZN7rocprim17ROCPRIM_400000_NS6detail17trampoline_kernelINS0_14default_configENS1_38merge_sort_block_merge_config_selectorIiiEEZZNS1_27merge_sort_block_merge_implIS3_N6thrust23THRUST_200600_302600_NS6detail15normal_iteratorINS8_10device_ptrIiEEEESD_jNS1_19radix_merge_compareILb1ELb0EiNS0_19identity_decomposerEEEEE10hipError_tT0_T1_T2_jT3_P12ihipStream_tbPNSt15iterator_traitsISI_E10value_typeEPNSO_ISJ_E10value_typeEPSK_NS1_7vsmem_tEENKUlT_SI_SJ_SK_E_clIPiSD_S10_SD_EESH_SX_SI_SJ_SK_EUlSX_E0_NS1_11comp_targetILNS1_3genE5ELNS1_11target_archE942ELNS1_3gpuE9ELNS1_3repE0EEENS1_38merge_mergepath_config_static_selectorELNS0_4arch9wavefront6targetE1EEEvSJ_.private_seg_size, 0
	.set _ZN7rocprim17ROCPRIM_400000_NS6detail17trampoline_kernelINS0_14default_configENS1_38merge_sort_block_merge_config_selectorIiiEEZZNS1_27merge_sort_block_merge_implIS3_N6thrust23THRUST_200600_302600_NS6detail15normal_iteratorINS8_10device_ptrIiEEEESD_jNS1_19radix_merge_compareILb1ELb0EiNS0_19identity_decomposerEEEEE10hipError_tT0_T1_T2_jT3_P12ihipStream_tbPNSt15iterator_traitsISI_E10value_typeEPNSO_ISJ_E10value_typeEPSK_NS1_7vsmem_tEENKUlT_SI_SJ_SK_E_clIPiSD_S10_SD_EESH_SX_SI_SJ_SK_EUlSX_E0_NS1_11comp_targetILNS1_3genE5ELNS1_11target_archE942ELNS1_3gpuE9ELNS1_3repE0EEENS1_38merge_mergepath_config_static_selectorELNS0_4arch9wavefront6targetE1EEEvSJ_.uses_vcc, 0
	.set _ZN7rocprim17ROCPRIM_400000_NS6detail17trampoline_kernelINS0_14default_configENS1_38merge_sort_block_merge_config_selectorIiiEEZZNS1_27merge_sort_block_merge_implIS3_N6thrust23THRUST_200600_302600_NS6detail15normal_iteratorINS8_10device_ptrIiEEEESD_jNS1_19radix_merge_compareILb1ELb0EiNS0_19identity_decomposerEEEEE10hipError_tT0_T1_T2_jT3_P12ihipStream_tbPNSt15iterator_traitsISI_E10value_typeEPNSO_ISJ_E10value_typeEPSK_NS1_7vsmem_tEENKUlT_SI_SJ_SK_E_clIPiSD_S10_SD_EESH_SX_SI_SJ_SK_EUlSX_E0_NS1_11comp_targetILNS1_3genE5ELNS1_11target_archE942ELNS1_3gpuE9ELNS1_3repE0EEENS1_38merge_mergepath_config_static_selectorELNS0_4arch9wavefront6targetE1EEEvSJ_.uses_flat_scratch, 0
	.set _ZN7rocprim17ROCPRIM_400000_NS6detail17trampoline_kernelINS0_14default_configENS1_38merge_sort_block_merge_config_selectorIiiEEZZNS1_27merge_sort_block_merge_implIS3_N6thrust23THRUST_200600_302600_NS6detail15normal_iteratorINS8_10device_ptrIiEEEESD_jNS1_19radix_merge_compareILb1ELb0EiNS0_19identity_decomposerEEEEE10hipError_tT0_T1_T2_jT3_P12ihipStream_tbPNSt15iterator_traitsISI_E10value_typeEPNSO_ISJ_E10value_typeEPSK_NS1_7vsmem_tEENKUlT_SI_SJ_SK_E_clIPiSD_S10_SD_EESH_SX_SI_SJ_SK_EUlSX_E0_NS1_11comp_targetILNS1_3genE5ELNS1_11target_archE942ELNS1_3gpuE9ELNS1_3repE0EEENS1_38merge_mergepath_config_static_selectorELNS0_4arch9wavefront6targetE1EEEvSJ_.has_dyn_sized_stack, 0
	.set _ZN7rocprim17ROCPRIM_400000_NS6detail17trampoline_kernelINS0_14default_configENS1_38merge_sort_block_merge_config_selectorIiiEEZZNS1_27merge_sort_block_merge_implIS3_N6thrust23THRUST_200600_302600_NS6detail15normal_iteratorINS8_10device_ptrIiEEEESD_jNS1_19radix_merge_compareILb1ELb0EiNS0_19identity_decomposerEEEEE10hipError_tT0_T1_T2_jT3_P12ihipStream_tbPNSt15iterator_traitsISI_E10value_typeEPNSO_ISJ_E10value_typeEPSK_NS1_7vsmem_tEENKUlT_SI_SJ_SK_E_clIPiSD_S10_SD_EESH_SX_SI_SJ_SK_EUlSX_E0_NS1_11comp_targetILNS1_3genE5ELNS1_11target_archE942ELNS1_3gpuE9ELNS1_3repE0EEENS1_38merge_mergepath_config_static_selectorELNS0_4arch9wavefront6targetE1EEEvSJ_.has_recursion, 0
	.set _ZN7rocprim17ROCPRIM_400000_NS6detail17trampoline_kernelINS0_14default_configENS1_38merge_sort_block_merge_config_selectorIiiEEZZNS1_27merge_sort_block_merge_implIS3_N6thrust23THRUST_200600_302600_NS6detail15normal_iteratorINS8_10device_ptrIiEEEESD_jNS1_19radix_merge_compareILb1ELb0EiNS0_19identity_decomposerEEEEE10hipError_tT0_T1_T2_jT3_P12ihipStream_tbPNSt15iterator_traitsISI_E10value_typeEPNSO_ISJ_E10value_typeEPSK_NS1_7vsmem_tEENKUlT_SI_SJ_SK_E_clIPiSD_S10_SD_EESH_SX_SI_SJ_SK_EUlSX_E0_NS1_11comp_targetILNS1_3genE5ELNS1_11target_archE942ELNS1_3gpuE9ELNS1_3repE0EEENS1_38merge_mergepath_config_static_selectorELNS0_4arch9wavefront6targetE1EEEvSJ_.has_indirect_call, 0
	.section	.AMDGPU.csdata,"",@progbits
; Kernel info:
; codeLenInByte = 0
; TotalNumSgprs: 6
; NumVgprs: 0
; NumAgprs: 0
; TotalNumVgprs: 0
; ScratchSize: 0
; MemoryBound: 0
; FloatMode: 240
; IeeeMode: 1
; LDSByteSize: 0 bytes/workgroup (compile time only)
; SGPRBlocks: 0
; VGPRBlocks: 0
; NumSGPRsForWavesPerEU: 6
; NumVGPRsForWavesPerEU: 1
; AccumOffset: 4
; Occupancy: 8
; WaveLimiterHint : 0
; COMPUTE_PGM_RSRC2:SCRATCH_EN: 0
; COMPUTE_PGM_RSRC2:USER_SGPR: 2
; COMPUTE_PGM_RSRC2:TRAP_HANDLER: 0
; COMPUTE_PGM_RSRC2:TGID_X_EN: 1
; COMPUTE_PGM_RSRC2:TGID_Y_EN: 0
; COMPUTE_PGM_RSRC2:TGID_Z_EN: 0
; COMPUTE_PGM_RSRC2:TIDIG_COMP_CNT: 0
; COMPUTE_PGM_RSRC3_GFX90A:ACCUM_OFFSET: 0
; COMPUTE_PGM_RSRC3_GFX90A:TG_SPLIT: 0
	.section	.text._ZN7rocprim17ROCPRIM_400000_NS6detail17trampoline_kernelINS0_14default_configENS1_38merge_sort_block_merge_config_selectorIiiEEZZNS1_27merge_sort_block_merge_implIS3_N6thrust23THRUST_200600_302600_NS6detail15normal_iteratorINS8_10device_ptrIiEEEESD_jNS1_19radix_merge_compareILb1ELb0EiNS0_19identity_decomposerEEEEE10hipError_tT0_T1_T2_jT3_P12ihipStream_tbPNSt15iterator_traitsISI_E10value_typeEPNSO_ISJ_E10value_typeEPSK_NS1_7vsmem_tEENKUlT_SI_SJ_SK_E_clIPiSD_S10_SD_EESH_SX_SI_SJ_SK_EUlSX_E0_NS1_11comp_targetILNS1_3genE4ELNS1_11target_archE910ELNS1_3gpuE8ELNS1_3repE0EEENS1_38merge_mergepath_config_static_selectorELNS0_4arch9wavefront6targetE1EEEvSJ_,"axG",@progbits,_ZN7rocprim17ROCPRIM_400000_NS6detail17trampoline_kernelINS0_14default_configENS1_38merge_sort_block_merge_config_selectorIiiEEZZNS1_27merge_sort_block_merge_implIS3_N6thrust23THRUST_200600_302600_NS6detail15normal_iteratorINS8_10device_ptrIiEEEESD_jNS1_19radix_merge_compareILb1ELb0EiNS0_19identity_decomposerEEEEE10hipError_tT0_T1_T2_jT3_P12ihipStream_tbPNSt15iterator_traitsISI_E10value_typeEPNSO_ISJ_E10value_typeEPSK_NS1_7vsmem_tEENKUlT_SI_SJ_SK_E_clIPiSD_S10_SD_EESH_SX_SI_SJ_SK_EUlSX_E0_NS1_11comp_targetILNS1_3genE4ELNS1_11target_archE910ELNS1_3gpuE8ELNS1_3repE0EEENS1_38merge_mergepath_config_static_selectorELNS0_4arch9wavefront6targetE1EEEvSJ_,comdat
	.protected	_ZN7rocprim17ROCPRIM_400000_NS6detail17trampoline_kernelINS0_14default_configENS1_38merge_sort_block_merge_config_selectorIiiEEZZNS1_27merge_sort_block_merge_implIS3_N6thrust23THRUST_200600_302600_NS6detail15normal_iteratorINS8_10device_ptrIiEEEESD_jNS1_19radix_merge_compareILb1ELb0EiNS0_19identity_decomposerEEEEE10hipError_tT0_T1_T2_jT3_P12ihipStream_tbPNSt15iterator_traitsISI_E10value_typeEPNSO_ISJ_E10value_typeEPSK_NS1_7vsmem_tEENKUlT_SI_SJ_SK_E_clIPiSD_S10_SD_EESH_SX_SI_SJ_SK_EUlSX_E0_NS1_11comp_targetILNS1_3genE4ELNS1_11target_archE910ELNS1_3gpuE8ELNS1_3repE0EEENS1_38merge_mergepath_config_static_selectorELNS0_4arch9wavefront6targetE1EEEvSJ_ ; -- Begin function _ZN7rocprim17ROCPRIM_400000_NS6detail17trampoline_kernelINS0_14default_configENS1_38merge_sort_block_merge_config_selectorIiiEEZZNS1_27merge_sort_block_merge_implIS3_N6thrust23THRUST_200600_302600_NS6detail15normal_iteratorINS8_10device_ptrIiEEEESD_jNS1_19radix_merge_compareILb1ELb0EiNS0_19identity_decomposerEEEEE10hipError_tT0_T1_T2_jT3_P12ihipStream_tbPNSt15iterator_traitsISI_E10value_typeEPNSO_ISJ_E10value_typeEPSK_NS1_7vsmem_tEENKUlT_SI_SJ_SK_E_clIPiSD_S10_SD_EESH_SX_SI_SJ_SK_EUlSX_E0_NS1_11comp_targetILNS1_3genE4ELNS1_11target_archE910ELNS1_3gpuE8ELNS1_3repE0EEENS1_38merge_mergepath_config_static_selectorELNS0_4arch9wavefront6targetE1EEEvSJ_
	.globl	_ZN7rocprim17ROCPRIM_400000_NS6detail17trampoline_kernelINS0_14default_configENS1_38merge_sort_block_merge_config_selectorIiiEEZZNS1_27merge_sort_block_merge_implIS3_N6thrust23THRUST_200600_302600_NS6detail15normal_iteratorINS8_10device_ptrIiEEEESD_jNS1_19radix_merge_compareILb1ELb0EiNS0_19identity_decomposerEEEEE10hipError_tT0_T1_T2_jT3_P12ihipStream_tbPNSt15iterator_traitsISI_E10value_typeEPNSO_ISJ_E10value_typeEPSK_NS1_7vsmem_tEENKUlT_SI_SJ_SK_E_clIPiSD_S10_SD_EESH_SX_SI_SJ_SK_EUlSX_E0_NS1_11comp_targetILNS1_3genE4ELNS1_11target_archE910ELNS1_3gpuE8ELNS1_3repE0EEENS1_38merge_mergepath_config_static_selectorELNS0_4arch9wavefront6targetE1EEEvSJ_
	.p2align	8
	.type	_ZN7rocprim17ROCPRIM_400000_NS6detail17trampoline_kernelINS0_14default_configENS1_38merge_sort_block_merge_config_selectorIiiEEZZNS1_27merge_sort_block_merge_implIS3_N6thrust23THRUST_200600_302600_NS6detail15normal_iteratorINS8_10device_ptrIiEEEESD_jNS1_19radix_merge_compareILb1ELb0EiNS0_19identity_decomposerEEEEE10hipError_tT0_T1_T2_jT3_P12ihipStream_tbPNSt15iterator_traitsISI_E10value_typeEPNSO_ISJ_E10value_typeEPSK_NS1_7vsmem_tEENKUlT_SI_SJ_SK_E_clIPiSD_S10_SD_EESH_SX_SI_SJ_SK_EUlSX_E0_NS1_11comp_targetILNS1_3genE4ELNS1_11target_archE910ELNS1_3gpuE8ELNS1_3repE0EEENS1_38merge_mergepath_config_static_selectorELNS0_4arch9wavefront6targetE1EEEvSJ_,@function
_ZN7rocprim17ROCPRIM_400000_NS6detail17trampoline_kernelINS0_14default_configENS1_38merge_sort_block_merge_config_selectorIiiEEZZNS1_27merge_sort_block_merge_implIS3_N6thrust23THRUST_200600_302600_NS6detail15normal_iteratorINS8_10device_ptrIiEEEESD_jNS1_19radix_merge_compareILb1ELb0EiNS0_19identity_decomposerEEEEE10hipError_tT0_T1_T2_jT3_P12ihipStream_tbPNSt15iterator_traitsISI_E10value_typeEPNSO_ISJ_E10value_typeEPSK_NS1_7vsmem_tEENKUlT_SI_SJ_SK_E_clIPiSD_S10_SD_EESH_SX_SI_SJ_SK_EUlSX_E0_NS1_11comp_targetILNS1_3genE4ELNS1_11target_archE910ELNS1_3gpuE8ELNS1_3repE0EEENS1_38merge_mergepath_config_static_selectorELNS0_4arch9wavefront6targetE1EEEvSJ_: ; @_ZN7rocprim17ROCPRIM_400000_NS6detail17trampoline_kernelINS0_14default_configENS1_38merge_sort_block_merge_config_selectorIiiEEZZNS1_27merge_sort_block_merge_implIS3_N6thrust23THRUST_200600_302600_NS6detail15normal_iteratorINS8_10device_ptrIiEEEESD_jNS1_19radix_merge_compareILb1ELb0EiNS0_19identity_decomposerEEEEE10hipError_tT0_T1_T2_jT3_P12ihipStream_tbPNSt15iterator_traitsISI_E10value_typeEPNSO_ISJ_E10value_typeEPSK_NS1_7vsmem_tEENKUlT_SI_SJ_SK_E_clIPiSD_S10_SD_EESH_SX_SI_SJ_SK_EUlSX_E0_NS1_11comp_targetILNS1_3genE4ELNS1_11target_archE910ELNS1_3gpuE8ELNS1_3repE0EEENS1_38merge_mergepath_config_static_selectorELNS0_4arch9wavefront6targetE1EEEvSJ_
; %bb.0:
	.section	.rodata,"a",@progbits
	.p2align	6, 0x0
	.amdhsa_kernel _ZN7rocprim17ROCPRIM_400000_NS6detail17trampoline_kernelINS0_14default_configENS1_38merge_sort_block_merge_config_selectorIiiEEZZNS1_27merge_sort_block_merge_implIS3_N6thrust23THRUST_200600_302600_NS6detail15normal_iteratorINS8_10device_ptrIiEEEESD_jNS1_19radix_merge_compareILb1ELb0EiNS0_19identity_decomposerEEEEE10hipError_tT0_T1_T2_jT3_P12ihipStream_tbPNSt15iterator_traitsISI_E10value_typeEPNSO_ISJ_E10value_typeEPSK_NS1_7vsmem_tEENKUlT_SI_SJ_SK_E_clIPiSD_S10_SD_EESH_SX_SI_SJ_SK_EUlSX_E0_NS1_11comp_targetILNS1_3genE4ELNS1_11target_archE910ELNS1_3gpuE8ELNS1_3repE0EEENS1_38merge_mergepath_config_static_selectorELNS0_4arch9wavefront6targetE1EEEvSJ_
		.amdhsa_group_segment_fixed_size 0
		.amdhsa_private_segment_fixed_size 0
		.amdhsa_kernarg_size 64
		.amdhsa_user_sgpr_count 2
		.amdhsa_user_sgpr_dispatch_ptr 0
		.amdhsa_user_sgpr_queue_ptr 0
		.amdhsa_user_sgpr_kernarg_segment_ptr 1
		.amdhsa_user_sgpr_dispatch_id 0
		.amdhsa_user_sgpr_kernarg_preload_length 0
		.amdhsa_user_sgpr_kernarg_preload_offset 0
		.amdhsa_user_sgpr_private_segment_size 0
		.amdhsa_uses_dynamic_stack 0
		.amdhsa_enable_private_segment 0
		.amdhsa_system_sgpr_workgroup_id_x 1
		.amdhsa_system_sgpr_workgroup_id_y 0
		.amdhsa_system_sgpr_workgroup_id_z 0
		.amdhsa_system_sgpr_workgroup_info 0
		.amdhsa_system_vgpr_workitem_id 0
		.amdhsa_next_free_vgpr 1
		.amdhsa_next_free_sgpr 0
		.amdhsa_accum_offset 4
		.amdhsa_reserve_vcc 0
		.amdhsa_float_round_mode_32 0
		.amdhsa_float_round_mode_16_64 0
		.amdhsa_float_denorm_mode_32 3
		.amdhsa_float_denorm_mode_16_64 3
		.amdhsa_dx10_clamp 1
		.amdhsa_ieee_mode 1
		.amdhsa_fp16_overflow 0
		.amdhsa_tg_split 0
		.amdhsa_exception_fp_ieee_invalid_op 0
		.amdhsa_exception_fp_denorm_src 0
		.amdhsa_exception_fp_ieee_div_zero 0
		.amdhsa_exception_fp_ieee_overflow 0
		.amdhsa_exception_fp_ieee_underflow 0
		.amdhsa_exception_fp_ieee_inexact 0
		.amdhsa_exception_int_div_zero 0
	.end_amdhsa_kernel
	.section	.text._ZN7rocprim17ROCPRIM_400000_NS6detail17trampoline_kernelINS0_14default_configENS1_38merge_sort_block_merge_config_selectorIiiEEZZNS1_27merge_sort_block_merge_implIS3_N6thrust23THRUST_200600_302600_NS6detail15normal_iteratorINS8_10device_ptrIiEEEESD_jNS1_19radix_merge_compareILb1ELb0EiNS0_19identity_decomposerEEEEE10hipError_tT0_T1_T2_jT3_P12ihipStream_tbPNSt15iterator_traitsISI_E10value_typeEPNSO_ISJ_E10value_typeEPSK_NS1_7vsmem_tEENKUlT_SI_SJ_SK_E_clIPiSD_S10_SD_EESH_SX_SI_SJ_SK_EUlSX_E0_NS1_11comp_targetILNS1_3genE4ELNS1_11target_archE910ELNS1_3gpuE8ELNS1_3repE0EEENS1_38merge_mergepath_config_static_selectorELNS0_4arch9wavefront6targetE1EEEvSJ_,"axG",@progbits,_ZN7rocprim17ROCPRIM_400000_NS6detail17trampoline_kernelINS0_14default_configENS1_38merge_sort_block_merge_config_selectorIiiEEZZNS1_27merge_sort_block_merge_implIS3_N6thrust23THRUST_200600_302600_NS6detail15normal_iteratorINS8_10device_ptrIiEEEESD_jNS1_19radix_merge_compareILb1ELb0EiNS0_19identity_decomposerEEEEE10hipError_tT0_T1_T2_jT3_P12ihipStream_tbPNSt15iterator_traitsISI_E10value_typeEPNSO_ISJ_E10value_typeEPSK_NS1_7vsmem_tEENKUlT_SI_SJ_SK_E_clIPiSD_S10_SD_EESH_SX_SI_SJ_SK_EUlSX_E0_NS1_11comp_targetILNS1_3genE4ELNS1_11target_archE910ELNS1_3gpuE8ELNS1_3repE0EEENS1_38merge_mergepath_config_static_selectorELNS0_4arch9wavefront6targetE1EEEvSJ_,comdat
.Lfunc_end1734:
	.size	_ZN7rocprim17ROCPRIM_400000_NS6detail17trampoline_kernelINS0_14default_configENS1_38merge_sort_block_merge_config_selectorIiiEEZZNS1_27merge_sort_block_merge_implIS3_N6thrust23THRUST_200600_302600_NS6detail15normal_iteratorINS8_10device_ptrIiEEEESD_jNS1_19radix_merge_compareILb1ELb0EiNS0_19identity_decomposerEEEEE10hipError_tT0_T1_T2_jT3_P12ihipStream_tbPNSt15iterator_traitsISI_E10value_typeEPNSO_ISJ_E10value_typeEPSK_NS1_7vsmem_tEENKUlT_SI_SJ_SK_E_clIPiSD_S10_SD_EESH_SX_SI_SJ_SK_EUlSX_E0_NS1_11comp_targetILNS1_3genE4ELNS1_11target_archE910ELNS1_3gpuE8ELNS1_3repE0EEENS1_38merge_mergepath_config_static_selectorELNS0_4arch9wavefront6targetE1EEEvSJ_, .Lfunc_end1734-_ZN7rocprim17ROCPRIM_400000_NS6detail17trampoline_kernelINS0_14default_configENS1_38merge_sort_block_merge_config_selectorIiiEEZZNS1_27merge_sort_block_merge_implIS3_N6thrust23THRUST_200600_302600_NS6detail15normal_iteratorINS8_10device_ptrIiEEEESD_jNS1_19radix_merge_compareILb1ELb0EiNS0_19identity_decomposerEEEEE10hipError_tT0_T1_T2_jT3_P12ihipStream_tbPNSt15iterator_traitsISI_E10value_typeEPNSO_ISJ_E10value_typeEPSK_NS1_7vsmem_tEENKUlT_SI_SJ_SK_E_clIPiSD_S10_SD_EESH_SX_SI_SJ_SK_EUlSX_E0_NS1_11comp_targetILNS1_3genE4ELNS1_11target_archE910ELNS1_3gpuE8ELNS1_3repE0EEENS1_38merge_mergepath_config_static_selectorELNS0_4arch9wavefront6targetE1EEEvSJ_
                                        ; -- End function
	.set _ZN7rocprim17ROCPRIM_400000_NS6detail17trampoline_kernelINS0_14default_configENS1_38merge_sort_block_merge_config_selectorIiiEEZZNS1_27merge_sort_block_merge_implIS3_N6thrust23THRUST_200600_302600_NS6detail15normal_iteratorINS8_10device_ptrIiEEEESD_jNS1_19radix_merge_compareILb1ELb0EiNS0_19identity_decomposerEEEEE10hipError_tT0_T1_T2_jT3_P12ihipStream_tbPNSt15iterator_traitsISI_E10value_typeEPNSO_ISJ_E10value_typeEPSK_NS1_7vsmem_tEENKUlT_SI_SJ_SK_E_clIPiSD_S10_SD_EESH_SX_SI_SJ_SK_EUlSX_E0_NS1_11comp_targetILNS1_3genE4ELNS1_11target_archE910ELNS1_3gpuE8ELNS1_3repE0EEENS1_38merge_mergepath_config_static_selectorELNS0_4arch9wavefront6targetE1EEEvSJ_.num_vgpr, 0
	.set _ZN7rocprim17ROCPRIM_400000_NS6detail17trampoline_kernelINS0_14default_configENS1_38merge_sort_block_merge_config_selectorIiiEEZZNS1_27merge_sort_block_merge_implIS3_N6thrust23THRUST_200600_302600_NS6detail15normal_iteratorINS8_10device_ptrIiEEEESD_jNS1_19radix_merge_compareILb1ELb0EiNS0_19identity_decomposerEEEEE10hipError_tT0_T1_T2_jT3_P12ihipStream_tbPNSt15iterator_traitsISI_E10value_typeEPNSO_ISJ_E10value_typeEPSK_NS1_7vsmem_tEENKUlT_SI_SJ_SK_E_clIPiSD_S10_SD_EESH_SX_SI_SJ_SK_EUlSX_E0_NS1_11comp_targetILNS1_3genE4ELNS1_11target_archE910ELNS1_3gpuE8ELNS1_3repE0EEENS1_38merge_mergepath_config_static_selectorELNS0_4arch9wavefront6targetE1EEEvSJ_.num_agpr, 0
	.set _ZN7rocprim17ROCPRIM_400000_NS6detail17trampoline_kernelINS0_14default_configENS1_38merge_sort_block_merge_config_selectorIiiEEZZNS1_27merge_sort_block_merge_implIS3_N6thrust23THRUST_200600_302600_NS6detail15normal_iteratorINS8_10device_ptrIiEEEESD_jNS1_19radix_merge_compareILb1ELb0EiNS0_19identity_decomposerEEEEE10hipError_tT0_T1_T2_jT3_P12ihipStream_tbPNSt15iterator_traitsISI_E10value_typeEPNSO_ISJ_E10value_typeEPSK_NS1_7vsmem_tEENKUlT_SI_SJ_SK_E_clIPiSD_S10_SD_EESH_SX_SI_SJ_SK_EUlSX_E0_NS1_11comp_targetILNS1_3genE4ELNS1_11target_archE910ELNS1_3gpuE8ELNS1_3repE0EEENS1_38merge_mergepath_config_static_selectorELNS0_4arch9wavefront6targetE1EEEvSJ_.numbered_sgpr, 0
	.set _ZN7rocprim17ROCPRIM_400000_NS6detail17trampoline_kernelINS0_14default_configENS1_38merge_sort_block_merge_config_selectorIiiEEZZNS1_27merge_sort_block_merge_implIS3_N6thrust23THRUST_200600_302600_NS6detail15normal_iteratorINS8_10device_ptrIiEEEESD_jNS1_19radix_merge_compareILb1ELb0EiNS0_19identity_decomposerEEEEE10hipError_tT0_T1_T2_jT3_P12ihipStream_tbPNSt15iterator_traitsISI_E10value_typeEPNSO_ISJ_E10value_typeEPSK_NS1_7vsmem_tEENKUlT_SI_SJ_SK_E_clIPiSD_S10_SD_EESH_SX_SI_SJ_SK_EUlSX_E0_NS1_11comp_targetILNS1_3genE4ELNS1_11target_archE910ELNS1_3gpuE8ELNS1_3repE0EEENS1_38merge_mergepath_config_static_selectorELNS0_4arch9wavefront6targetE1EEEvSJ_.num_named_barrier, 0
	.set _ZN7rocprim17ROCPRIM_400000_NS6detail17trampoline_kernelINS0_14default_configENS1_38merge_sort_block_merge_config_selectorIiiEEZZNS1_27merge_sort_block_merge_implIS3_N6thrust23THRUST_200600_302600_NS6detail15normal_iteratorINS8_10device_ptrIiEEEESD_jNS1_19radix_merge_compareILb1ELb0EiNS0_19identity_decomposerEEEEE10hipError_tT0_T1_T2_jT3_P12ihipStream_tbPNSt15iterator_traitsISI_E10value_typeEPNSO_ISJ_E10value_typeEPSK_NS1_7vsmem_tEENKUlT_SI_SJ_SK_E_clIPiSD_S10_SD_EESH_SX_SI_SJ_SK_EUlSX_E0_NS1_11comp_targetILNS1_3genE4ELNS1_11target_archE910ELNS1_3gpuE8ELNS1_3repE0EEENS1_38merge_mergepath_config_static_selectorELNS0_4arch9wavefront6targetE1EEEvSJ_.private_seg_size, 0
	.set _ZN7rocprim17ROCPRIM_400000_NS6detail17trampoline_kernelINS0_14default_configENS1_38merge_sort_block_merge_config_selectorIiiEEZZNS1_27merge_sort_block_merge_implIS3_N6thrust23THRUST_200600_302600_NS6detail15normal_iteratorINS8_10device_ptrIiEEEESD_jNS1_19radix_merge_compareILb1ELb0EiNS0_19identity_decomposerEEEEE10hipError_tT0_T1_T2_jT3_P12ihipStream_tbPNSt15iterator_traitsISI_E10value_typeEPNSO_ISJ_E10value_typeEPSK_NS1_7vsmem_tEENKUlT_SI_SJ_SK_E_clIPiSD_S10_SD_EESH_SX_SI_SJ_SK_EUlSX_E0_NS1_11comp_targetILNS1_3genE4ELNS1_11target_archE910ELNS1_3gpuE8ELNS1_3repE0EEENS1_38merge_mergepath_config_static_selectorELNS0_4arch9wavefront6targetE1EEEvSJ_.uses_vcc, 0
	.set _ZN7rocprim17ROCPRIM_400000_NS6detail17trampoline_kernelINS0_14default_configENS1_38merge_sort_block_merge_config_selectorIiiEEZZNS1_27merge_sort_block_merge_implIS3_N6thrust23THRUST_200600_302600_NS6detail15normal_iteratorINS8_10device_ptrIiEEEESD_jNS1_19radix_merge_compareILb1ELb0EiNS0_19identity_decomposerEEEEE10hipError_tT0_T1_T2_jT3_P12ihipStream_tbPNSt15iterator_traitsISI_E10value_typeEPNSO_ISJ_E10value_typeEPSK_NS1_7vsmem_tEENKUlT_SI_SJ_SK_E_clIPiSD_S10_SD_EESH_SX_SI_SJ_SK_EUlSX_E0_NS1_11comp_targetILNS1_3genE4ELNS1_11target_archE910ELNS1_3gpuE8ELNS1_3repE0EEENS1_38merge_mergepath_config_static_selectorELNS0_4arch9wavefront6targetE1EEEvSJ_.uses_flat_scratch, 0
	.set _ZN7rocprim17ROCPRIM_400000_NS6detail17trampoline_kernelINS0_14default_configENS1_38merge_sort_block_merge_config_selectorIiiEEZZNS1_27merge_sort_block_merge_implIS3_N6thrust23THRUST_200600_302600_NS6detail15normal_iteratorINS8_10device_ptrIiEEEESD_jNS1_19radix_merge_compareILb1ELb0EiNS0_19identity_decomposerEEEEE10hipError_tT0_T1_T2_jT3_P12ihipStream_tbPNSt15iterator_traitsISI_E10value_typeEPNSO_ISJ_E10value_typeEPSK_NS1_7vsmem_tEENKUlT_SI_SJ_SK_E_clIPiSD_S10_SD_EESH_SX_SI_SJ_SK_EUlSX_E0_NS1_11comp_targetILNS1_3genE4ELNS1_11target_archE910ELNS1_3gpuE8ELNS1_3repE0EEENS1_38merge_mergepath_config_static_selectorELNS0_4arch9wavefront6targetE1EEEvSJ_.has_dyn_sized_stack, 0
	.set _ZN7rocprim17ROCPRIM_400000_NS6detail17trampoline_kernelINS0_14default_configENS1_38merge_sort_block_merge_config_selectorIiiEEZZNS1_27merge_sort_block_merge_implIS3_N6thrust23THRUST_200600_302600_NS6detail15normal_iteratorINS8_10device_ptrIiEEEESD_jNS1_19radix_merge_compareILb1ELb0EiNS0_19identity_decomposerEEEEE10hipError_tT0_T1_T2_jT3_P12ihipStream_tbPNSt15iterator_traitsISI_E10value_typeEPNSO_ISJ_E10value_typeEPSK_NS1_7vsmem_tEENKUlT_SI_SJ_SK_E_clIPiSD_S10_SD_EESH_SX_SI_SJ_SK_EUlSX_E0_NS1_11comp_targetILNS1_3genE4ELNS1_11target_archE910ELNS1_3gpuE8ELNS1_3repE0EEENS1_38merge_mergepath_config_static_selectorELNS0_4arch9wavefront6targetE1EEEvSJ_.has_recursion, 0
	.set _ZN7rocprim17ROCPRIM_400000_NS6detail17trampoline_kernelINS0_14default_configENS1_38merge_sort_block_merge_config_selectorIiiEEZZNS1_27merge_sort_block_merge_implIS3_N6thrust23THRUST_200600_302600_NS6detail15normal_iteratorINS8_10device_ptrIiEEEESD_jNS1_19radix_merge_compareILb1ELb0EiNS0_19identity_decomposerEEEEE10hipError_tT0_T1_T2_jT3_P12ihipStream_tbPNSt15iterator_traitsISI_E10value_typeEPNSO_ISJ_E10value_typeEPSK_NS1_7vsmem_tEENKUlT_SI_SJ_SK_E_clIPiSD_S10_SD_EESH_SX_SI_SJ_SK_EUlSX_E0_NS1_11comp_targetILNS1_3genE4ELNS1_11target_archE910ELNS1_3gpuE8ELNS1_3repE0EEENS1_38merge_mergepath_config_static_selectorELNS0_4arch9wavefront6targetE1EEEvSJ_.has_indirect_call, 0
	.section	.AMDGPU.csdata,"",@progbits
; Kernel info:
; codeLenInByte = 0
; TotalNumSgprs: 6
; NumVgprs: 0
; NumAgprs: 0
; TotalNumVgprs: 0
; ScratchSize: 0
; MemoryBound: 0
; FloatMode: 240
; IeeeMode: 1
; LDSByteSize: 0 bytes/workgroup (compile time only)
; SGPRBlocks: 0
; VGPRBlocks: 0
; NumSGPRsForWavesPerEU: 6
; NumVGPRsForWavesPerEU: 1
; AccumOffset: 4
; Occupancy: 8
; WaveLimiterHint : 0
; COMPUTE_PGM_RSRC2:SCRATCH_EN: 0
; COMPUTE_PGM_RSRC2:USER_SGPR: 2
; COMPUTE_PGM_RSRC2:TRAP_HANDLER: 0
; COMPUTE_PGM_RSRC2:TGID_X_EN: 1
; COMPUTE_PGM_RSRC2:TGID_Y_EN: 0
; COMPUTE_PGM_RSRC2:TGID_Z_EN: 0
; COMPUTE_PGM_RSRC2:TIDIG_COMP_CNT: 0
; COMPUTE_PGM_RSRC3_GFX90A:ACCUM_OFFSET: 0
; COMPUTE_PGM_RSRC3_GFX90A:TG_SPLIT: 0
	.section	.text._ZN7rocprim17ROCPRIM_400000_NS6detail17trampoline_kernelINS0_14default_configENS1_38merge_sort_block_merge_config_selectorIiiEEZZNS1_27merge_sort_block_merge_implIS3_N6thrust23THRUST_200600_302600_NS6detail15normal_iteratorINS8_10device_ptrIiEEEESD_jNS1_19radix_merge_compareILb1ELb0EiNS0_19identity_decomposerEEEEE10hipError_tT0_T1_T2_jT3_P12ihipStream_tbPNSt15iterator_traitsISI_E10value_typeEPNSO_ISJ_E10value_typeEPSK_NS1_7vsmem_tEENKUlT_SI_SJ_SK_E_clIPiSD_S10_SD_EESH_SX_SI_SJ_SK_EUlSX_E0_NS1_11comp_targetILNS1_3genE3ELNS1_11target_archE908ELNS1_3gpuE7ELNS1_3repE0EEENS1_38merge_mergepath_config_static_selectorELNS0_4arch9wavefront6targetE1EEEvSJ_,"axG",@progbits,_ZN7rocprim17ROCPRIM_400000_NS6detail17trampoline_kernelINS0_14default_configENS1_38merge_sort_block_merge_config_selectorIiiEEZZNS1_27merge_sort_block_merge_implIS3_N6thrust23THRUST_200600_302600_NS6detail15normal_iteratorINS8_10device_ptrIiEEEESD_jNS1_19radix_merge_compareILb1ELb0EiNS0_19identity_decomposerEEEEE10hipError_tT0_T1_T2_jT3_P12ihipStream_tbPNSt15iterator_traitsISI_E10value_typeEPNSO_ISJ_E10value_typeEPSK_NS1_7vsmem_tEENKUlT_SI_SJ_SK_E_clIPiSD_S10_SD_EESH_SX_SI_SJ_SK_EUlSX_E0_NS1_11comp_targetILNS1_3genE3ELNS1_11target_archE908ELNS1_3gpuE7ELNS1_3repE0EEENS1_38merge_mergepath_config_static_selectorELNS0_4arch9wavefront6targetE1EEEvSJ_,comdat
	.protected	_ZN7rocprim17ROCPRIM_400000_NS6detail17trampoline_kernelINS0_14default_configENS1_38merge_sort_block_merge_config_selectorIiiEEZZNS1_27merge_sort_block_merge_implIS3_N6thrust23THRUST_200600_302600_NS6detail15normal_iteratorINS8_10device_ptrIiEEEESD_jNS1_19radix_merge_compareILb1ELb0EiNS0_19identity_decomposerEEEEE10hipError_tT0_T1_T2_jT3_P12ihipStream_tbPNSt15iterator_traitsISI_E10value_typeEPNSO_ISJ_E10value_typeEPSK_NS1_7vsmem_tEENKUlT_SI_SJ_SK_E_clIPiSD_S10_SD_EESH_SX_SI_SJ_SK_EUlSX_E0_NS1_11comp_targetILNS1_3genE3ELNS1_11target_archE908ELNS1_3gpuE7ELNS1_3repE0EEENS1_38merge_mergepath_config_static_selectorELNS0_4arch9wavefront6targetE1EEEvSJ_ ; -- Begin function _ZN7rocprim17ROCPRIM_400000_NS6detail17trampoline_kernelINS0_14default_configENS1_38merge_sort_block_merge_config_selectorIiiEEZZNS1_27merge_sort_block_merge_implIS3_N6thrust23THRUST_200600_302600_NS6detail15normal_iteratorINS8_10device_ptrIiEEEESD_jNS1_19radix_merge_compareILb1ELb0EiNS0_19identity_decomposerEEEEE10hipError_tT0_T1_T2_jT3_P12ihipStream_tbPNSt15iterator_traitsISI_E10value_typeEPNSO_ISJ_E10value_typeEPSK_NS1_7vsmem_tEENKUlT_SI_SJ_SK_E_clIPiSD_S10_SD_EESH_SX_SI_SJ_SK_EUlSX_E0_NS1_11comp_targetILNS1_3genE3ELNS1_11target_archE908ELNS1_3gpuE7ELNS1_3repE0EEENS1_38merge_mergepath_config_static_selectorELNS0_4arch9wavefront6targetE1EEEvSJ_
	.globl	_ZN7rocprim17ROCPRIM_400000_NS6detail17trampoline_kernelINS0_14default_configENS1_38merge_sort_block_merge_config_selectorIiiEEZZNS1_27merge_sort_block_merge_implIS3_N6thrust23THRUST_200600_302600_NS6detail15normal_iteratorINS8_10device_ptrIiEEEESD_jNS1_19radix_merge_compareILb1ELb0EiNS0_19identity_decomposerEEEEE10hipError_tT0_T1_T2_jT3_P12ihipStream_tbPNSt15iterator_traitsISI_E10value_typeEPNSO_ISJ_E10value_typeEPSK_NS1_7vsmem_tEENKUlT_SI_SJ_SK_E_clIPiSD_S10_SD_EESH_SX_SI_SJ_SK_EUlSX_E0_NS1_11comp_targetILNS1_3genE3ELNS1_11target_archE908ELNS1_3gpuE7ELNS1_3repE0EEENS1_38merge_mergepath_config_static_selectorELNS0_4arch9wavefront6targetE1EEEvSJ_
	.p2align	8
	.type	_ZN7rocprim17ROCPRIM_400000_NS6detail17trampoline_kernelINS0_14default_configENS1_38merge_sort_block_merge_config_selectorIiiEEZZNS1_27merge_sort_block_merge_implIS3_N6thrust23THRUST_200600_302600_NS6detail15normal_iteratorINS8_10device_ptrIiEEEESD_jNS1_19radix_merge_compareILb1ELb0EiNS0_19identity_decomposerEEEEE10hipError_tT0_T1_T2_jT3_P12ihipStream_tbPNSt15iterator_traitsISI_E10value_typeEPNSO_ISJ_E10value_typeEPSK_NS1_7vsmem_tEENKUlT_SI_SJ_SK_E_clIPiSD_S10_SD_EESH_SX_SI_SJ_SK_EUlSX_E0_NS1_11comp_targetILNS1_3genE3ELNS1_11target_archE908ELNS1_3gpuE7ELNS1_3repE0EEENS1_38merge_mergepath_config_static_selectorELNS0_4arch9wavefront6targetE1EEEvSJ_,@function
_ZN7rocprim17ROCPRIM_400000_NS6detail17trampoline_kernelINS0_14default_configENS1_38merge_sort_block_merge_config_selectorIiiEEZZNS1_27merge_sort_block_merge_implIS3_N6thrust23THRUST_200600_302600_NS6detail15normal_iteratorINS8_10device_ptrIiEEEESD_jNS1_19radix_merge_compareILb1ELb0EiNS0_19identity_decomposerEEEEE10hipError_tT0_T1_T2_jT3_P12ihipStream_tbPNSt15iterator_traitsISI_E10value_typeEPNSO_ISJ_E10value_typeEPSK_NS1_7vsmem_tEENKUlT_SI_SJ_SK_E_clIPiSD_S10_SD_EESH_SX_SI_SJ_SK_EUlSX_E0_NS1_11comp_targetILNS1_3genE3ELNS1_11target_archE908ELNS1_3gpuE7ELNS1_3repE0EEENS1_38merge_mergepath_config_static_selectorELNS0_4arch9wavefront6targetE1EEEvSJ_: ; @_ZN7rocprim17ROCPRIM_400000_NS6detail17trampoline_kernelINS0_14default_configENS1_38merge_sort_block_merge_config_selectorIiiEEZZNS1_27merge_sort_block_merge_implIS3_N6thrust23THRUST_200600_302600_NS6detail15normal_iteratorINS8_10device_ptrIiEEEESD_jNS1_19radix_merge_compareILb1ELb0EiNS0_19identity_decomposerEEEEE10hipError_tT0_T1_T2_jT3_P12ihipStream_tbPNSt15iterator_traitsISI_E10value_typeEPNSO_ISJ_E10value_typeEPSK_NS1_7vsmem_tEENKUlT_SI_SJ_SK_E_clIPiSD_S10_SD_EESH_SX_SI_SJ_SK_EUlSX_E0_NS1_11comp_targetILNS1_3genE3ELNS1_11target_archE908ELNS1_3gpuE7ELNS1_3repE0EEENS1_38merge_mergepath_config_static_selectorELNS0_4arch9wavefront6targetE1EEEvSJ_
; %bb.0:
	.section	.rodata,"a",@progbits
	.p2align	6, 0x0
	.amdhsa_kernel _ZN7rocprim17ROCPRIM_400000_NS6detail17trampoline_kernelINS0_14default_configENS1_38merge_sort_block_merge_config_selectorIiiEEZZNS1_27merge_sort_block_merge_implIS3_N6thrust23THRUST_200600_302600_NS6detail15normal_iteratorINS8_10device_ptrIiEEEESD_jNS1_19radix_merge_compareILb1ELb0EiNS0_19identity_decomposerEEEEE10hipError_tT0_T1_T2_jT3_P12ihipStream_tbPNSt15iterator_traitsISI_E10value_typeEPNSO_ISJ_E10value_typeEPSK_NS1_7vsmem_tEENKUlT_SI_SJ_SK_E_clIPiSD_S10_SD_EESH_SX_SI_SJ_SK_EUlSX_E0_NS1_11comp_targetILNS1_3genE3ELNS1_11target_archE908ELNS1_3gpuE7ELNS1_3repE0EEENS1_38merge_mergepath_config_static_selectorELNS0_4arch9wavefront6targetE1EEEvSJ_
		.amdhsa_group_segment_fixed_size 0
		.amdhsa_private_segment_fixed_size 0
		.amdhsa_kernarg_size 64
		.amdhsa_user_sgpr_count 2
		.amdhsa_user_sgpr_dispatch_ptr 0
		.amdhsa_user_sgpr_queue_ptr 0
		.amdhsa_user_sgpr_kernarg_segment_ptr 1
		.amdhsa_user_sgpr_dispatch_id 0
		.amdhsa_user_sgpr_kernarg_preload_length 0
		.amdhsa_user_sgpr_kernarg_preload_offset 0
		.amdhsa_user_sgpr_private_segment_size 0
		.amdhsa_uses_dynamic_stack 0
		.amdhsa_enable_private_segment 0
		.amdhsa_system_sgpr_workgroup_id_x 1
		.amdhsa_system_sgpr_workgroup_id_y 0
		.amdhsa_system_sgpr_workgroup_id_z 0
		.amdhsa_system_sgpr_workgroup_info 0
		.amdhsa_system_vgpr_workitem_id 0
		.amdhsa_next_free_vgpr 1
		.amdhsa_next_free_sgpr 0
		.amdhsa_accum_offset 4
		.amdhsa_reserve_vcc 0
		.amdhsa_float_round_mode_32 0
		.amdhsa_float_round_mode_16_64 0
		.amdhsa_float_denorm_mode_32 3
		.amdhsa_float_denorm_mode_16_64 3
		.amdhsa_dx10_clamp 1
		.amdhsa_ieee_mode 1
		.amdhsa_fp16_overflow 0
		.amdhsa_tg_split 0
		.amdhsa_exception_fp_ieee_invalid_op 0
		.amdhsa_exception_fp_denorm_src 0
		.amdhsa_exception_fp_ieee_div_zero 0
		.amdhsa_exception_fp_ieee_overflow 0
		.amdhsa_exception_fp_ieee_underflow 0
		.amdhsa_exception_fp_ieee_inexact 0
		.amdhsa_exception_int_div_zero 0
	.end_amdhsa_kernel
	.section	.text._ZN7rocprim17ROCPRIM_400000_NS6detail17trampoline_kernelINS0_14default_configENS1_38merge_sort_block_merge_config_selectorIiiEEZZNS1_27merge_sort_block_merge_implIS3_N6thrust23THRUST_200600_302600_NS6detail15normal_iteratorINS8_10device_ptrIiEEEESD_jNS1_19radix_merge_compareILb1ELb0EiNS0_19identity_decomposerEEEEE10hipError_tT0_T1_T2_jT3_P12ihipStream_tbPNSt15iterator_traitsISI_E10value_typeEPNSO_ISJ_E10value_typeEPSK_NS1_7vsmem_tEENKUlT_SI_SJ_SK_E_clIPiSD_S10_SD_EESH_SX_SI_SJ_SK_EUlSX_E0_NS1_11comp_targetILNS1_3genE3ELNS1_11target_archE908ELNS1_3gpuE7ELNS1_3repE0EEENS1_38merge_mergepath_config_static_selectorELNS0_4arch9wavefront6targetE1EEEvSJ_,"axG",@progbits,_ZN7rocprim17ROCPRIM_400000_NS6detail17trampoline_kernelINS0_14default_configENS1_38merge_sort_block_merge_config_selectorIiiEEZZNS1_27merge_sort_block_merge_implIS3_N6thrust23THRUST_200600_302600_NS6detail15normal_iteratorINS8_10device_ptrIiEEEESD_jNS1_19radix_merge_compareILb1ELb0EiNS0_19identity_decomposerEEEEE10hipError_tT0_T1_T2_jT3_P12ihipStream_tbPNSt15iterator_traitsISI_E10value_typeEPNSO_ISJ_E10value_typeEPSK_NS1_7vsmem_tEENKUlT_SI_SJ_SK_E_clIPiSD_S10_SD_EESH_SX_SI_SJ_SK_EUlSX_E0_NS1_11comp_targetILNS1_3genE3ELNS1_11target_archE908ELNS1_3gpuE7ELNS1_3repE0EEENS1_38merge_mergepath_config_static_selectorELNS0_4arch9wavefront6targetE1EEEvSJ_,comdat
.Lfunc_end1735:
	.size	_ZN7rocprim17ROCPRIM_400000_NS6detail17trampoline_kernelINS0_14default_configENS1_38merge_sort_block_merge_config_selectorIiiEEZZNS1_27merge_sort_block_merge_implIS3_N6thrust23THRUST_200600_302600_NS6detail15normal_iteratorINS8_10device_ptrIiEEEESD_jNS1_19radix_merge_compareILb1ELb0EiNS0_19identity_decomposerEEEEE10hipError_tT0_T1_T2_jT3_P12ihipStream_tbPNSt15iterator_traitsISI_E10value_typeEPNSO_ISJ_E10value_typeEPSK_NS1_7vsmem_tEENKUlT_SI_SJ_SK_E_clIPiSD_S10_SD_EESH_SX_SI_SJ_SK_EUlSX_E0_NS1_11comp_targetILNS1_3genE3ELNS1_11target_archE908ELNS1_3gpuE7ELNS1_3repE0EEENS1_38merge_mergepath_config_static_selectorELNS0_4arch9wavefront6targetE1EEEvSJ_, .Lfunc_end1735-_ZN7rocprim17ROCPRIM_400000_NS6detail17trampoline_kernelINS0_14default_configENS1_38merge_sort_block_merge_config_selectorIiiEEZZNS1_27merge_sort_block_merge_implIS3_N6thrust23THRUST_200600_302600_NS6detail15normal_iteratorINS8_10device_ptrIiEEEESD_jNS1_19radix_merge_compareILb1ELb0EiNS0_19identity_decomposerEEEEE10hipError_tT0_T1_T2_jT3_P12ihipStream_tbPNSt15iterator_traitsISI_E10value_typeEPNSO_ISJ_E10value_typeEPSK_NS1_7vsmem_tEENKUlT_SI_SJ_SK_E_clIPiSD_S10_SD_EESH_SX_SI_SJ_SK_EUlSX_E0_NS1_11comp_targetILNS1_3genE3ELNS1_11target_archE908ELNS1_3gpuE7ELNS1_3repE0EEENS1_38merge_mergepath_config_static_selectorELNS0_4arch9wavefront6targetE1EEEvSJ_
                                        ; -- End function
	.set _ZN7rocprim17ROCPRIM_400000_NS6detail17trampoline_kernelINS0_14default_configENS1_38merge_sort_block_merge_config_selectorIiiEEZZNS1_27merge_sort_block_merge_implIS3_N6thrust23THRUST_200600_302600_NS6detail15normal_iteratorINS8_10device_ptrIiEEEESD_jNS1_19radix_merge_compareILb1ELb0EiNS0_19identity_decomposerEEEEE10hipError_tT0_T1_T2_jT3_P12ihipStream_tbPNSt15iterator_traitsISI_E10value_typeEPNSO_ISJ_E10value_typeEPSK_NS1_7vsmem_tEENKUlT_SI_SJ_SK_E_clIPiSD_S10_SD_EESH_SX_SI_SJ_SK_EUlSX_E0_NS1_11comp_targetILNS1_3genE3ELNS1_11target_archE908ELNS1_3gpuE7ELNS1_3repE0EEENS1_38merge_mergepath_config_static_selectorELNS0_4arch9wavefront6targetE1EEEvSJ_.num_vgpr, 0
	.set _ZN7rocprim17ROCPRIM_400000_NS6detail17trampoline_kernelINS0_14default_configENS1_38merge_sort_block_merge_config_selectorIiiEEZZNS1_27merge_sort_block_merge_implIS3_N6thrust23THRUST_200600_302600_NS6detail15normal_iteratorINS8_10device_ptrIiEEEESD_jNS1_19radix_merge_compareILb1ELb0EiNS0_19identity_decomposerEEEEE10hipError_tT0_T1_T2_jT3_P12ihipStream_tbPNSt15iterator_traitsISI_E10value_typeEPNSO_ISJ_E10value_typeEPSK_NS1_7vsmem_tEENKUlT_SI_SJ_SK_E_clIPiSD_S10_SD_EESH_SX_SI_SJ_SK_EUlSX_E0_NS1_11comp_targetILNS1_3genE3ELNS1_11target_archE908ELNS1_3gpuE7ELNS1_3repE0EEENS1_38merge_mergepath_config_static_selectorELNS0_4arch9wavefront6targetE1EEEvSJ_.num_agpr, 0
	.set _ZN7rocprim17ROCPRIM_400000_NS6detail17trampoline_kernelINS0_14default_configENS1_38merge_sort_block_merge_config_selectorIiiEEZZNS1_27merge_sort_block_merge_implIS3_N6thrust23THRUST_200600_302600_NS6detail15normal_iteratorINS8_10device_ptrIiEEEESD_jNS1_19radix_merge_compareILb1ELb0EiNS0_19identity_decomposerEEEEE10hipError_tT0_T1_T2_jT3_P12ihipStream_tbPNSt15iterator_traitsISI_E10value_typeEPNSO_ISJ_E10value_typeEPSK_NS1_7vsmem_tEENKUlT_SI_SJ_SK_E_clIPiSD_S10_SD_EESH_SX_SI_SJ_SK_EUlSX_E0_NS1_11comp_targetILNS1_3genE3ELNS1_11target_archE908ELNS1_3gpuE7ELNS1_3repE0EEENS1_38merge_mergepath_config_static_selectorELNS0_4arch9wavefront6targetE1EEEvSJ_.numbered_sgpr, 0
	.set _ZN7rocprim17ROCPRIM_400000_NS6detail17trampoline_kernelINS0_14default_configENS1_38merge_sort_block_merge_config_selectorIiiEEZZNS1_27merge_sort_block_merge_implIS3_N6thrust23THRUST_200600_302600_NS6detail15normal_iteratorINS8_10device_ptrIiEEEESD_jNS1_19radix_merge_compareILb1ELb0EiNS0_19identity_decomposerEEEEE10hipError_tT0_T1_T2_jT3_P12ihipStream_tbPNSt15iterator_traitsISI_E10value_typeEPNSO_ISJ_E10value_typeEPSK_NS1_7vsmem_tEENKUlT_SI_SJ_SK_E_clIPiSD_S10_SD_EESH_SX_SI_SJ_SK_EUlSX_E0_NS1_11comp_targetILNS1_3genE3ELNS1_11target_archE908ELNS1_3gpuE7ELNS1_3repE0EEENS1_38merge_mergepath_config_static_selectorELNS0_4arch9wavefront6targetE1EEEvSJ_.num_named_barrier, 0
	.set _ZN7rocprim17ROCPRIM_400000_NS6detail17trampoline_kernelINS0_14default_configENS1_38merge_sort_block_merge_config_selectorIiiEEZZNS1_27merge_sort_block_merge_implIS3_N6thrust23THRUST_200600_302600_NS6detail15normal_iteratorINS8_10device_ptrIiEEEESD_jNS1_19radix_merge_compareILb1ELb0EiNS0_19identity_decomposerEEEEE10hipError_tT0_T1_T2_jT3_P12ihipStream_tbPNSt15iterator_traitsISI_E10value_typeEPNSO_ISJ_E10value_typeEPSK_NS1_7vsmem_tEENKUlT_SI_SJ_SK_E_clIPiSD_S10_SD_EESH_SX_SI_SJ_SK_EUlSX_E0_NS1_11comp_targetILNS1_3genE3ELNS1_11target_archE908ELNS1_3gpuE7ELNS1_3repE0EEENS1_38merge_mergepath_config_static_selectorELNS0_4arch9wavefront6targetE1EEEvSJ_.private_seg_size, 0
	.set _ZN7rocprim17ROCPRIM_400000_NS6detail17trampoline_kernelINS0_14default_configENS1_38merge_sort_block_merge_config_selectorIiiEEZZNS1_27merge_sort_block_merge_implIS3_N6thrust23THRUST_200600_302600_NS6detail15normal_iteratorINS8_10device_ptrIiEEEESD_jNS1_19radix_merge_compareILb1ELb0EiNS0_19identity_decomposerEEEEE10hipError_tT0_T1_T2_jT3_P12ihipStream_tbPNSt15iterator_traitsISI_E10value_typeEPNSO_ISJ_E10value_typeEPSK_NS1_7vsmem_tEENKUlT_SI_SJ_SK_E_clIPiSD_S10_SD_EESH_SX_SI_SJ_SK_EUlSX_E0_NS1_11comp_targetILNS1_3genE3ELNS1_11target_archE908ELNS1_3gpuE7ELNS1_3repE0EEENS1_38merge_mergepath_config_static_selectorELNS0_4arch9wavefront6targetE1EEEvSJ_.uses_vcc, 0
	.set _ZN7rocprim17ROCPRIM_400000_NS6detail17trampoline_kernelINS0_14default_configENS1_38merge_sort_block_merge_config_selectorIiiEEZZNS1_27merge_sort_block_merge_implIS3_N6thrust23THRUST_200600_302600_NS6detail15normal_iteratorINS8_10device_ptrIiEEEESD_jNS1_19radix_merge_compareILb1ELb0EiNS0_19identity_decomposerEEEEE10hipError_tT0_T1_T2_jT3_P12ihipStream_tbPNSt15iterator_traitsISI_E10value_typeEPNSO_ISJ_E10value_typeEPSK_NS1_7vsmem_tEENKUlT_SI_SJ_SK_E_clIPiSD_S10_SD_EESH_SX_SI_SJ_SK_EUlSX_E0_NS1_11comp_targetILNS1_3genE3ELNS1_11target_archE908ELNS1_3gpuE7ELNS1_3repE0EEENS1_38merge_mergepath_config_static_selectorELNS0_4arch9wavefront6targetE1EEEvSJ_.uses_flat_scratch, 0
	.set _ZN7rocprim17ROCPRIM_400000_NS6detail17trampoline_kernelINS0_14default_configENS1_38merge_sort_block_merge_config_selectorIiiEEZZNS1_27merge_sort_block_merge_implIS3_N6thrust23THRUST_200600_302600_NS6detail15normal_iteratorINS8_10device_ptrIiEEEESD_jNS1_19radix_merge_compareILb1ELb0EiNS0_19identity_decomposerEEEEE10hipError_tT0_T1_T2_jT3_P12ihipStream_tbPNSt15iterator_traitsISI_E10value_typeEPNSO_ISJ_E10value_typeEPSK_NS1_7vsmem_tEENKUlT_SI_SJ_SK_E_clIPiSD_S10_SD_EESH_SX_SI_SJ_SK_EUlSX_E0_NS1_11comp_targetILNS1_3genE3ELNS1_11target_archE908ELNS1_3gpuE7ELNS1_3repE0EEENS1_38merge_mergepath_config_static_selectorELNS0_4arch9wavefront6targetE1EEEvSJ_.has_dyn_sized_stack, 0
	.set _ZN7rocprim17ROCPRIM_400000_NS6detail17trampoline_kernelINS0_14default_configENS1_38merge_sort_block_merge_config_selectorIiiEEZZNS1_27merge_sort_block_merge_implIS3_N6thrust23THRUST_200600_302600_NS6detail15normal_iteratorINS8_10device_ptrIiEEEESD_jNS1_19radix_merge_compareILb1ELb0EiNS0_19identity_decomposerEEEEE10hipError_tT0_T1_T2_jT3_P12ihipStream_tbPNSt15iterator_traitsISI_E10value_typeEPNSO_ISJ_E10value_typeEPSK_NS1_7vsmem_tEENKUlT_SI_SJ_SK_E_clIPiSD_S10_SD_EESH_SX_SI_SJ_SK_EUlSX_E0_NS1_11comp_targetILNS1_3genE3ELNS1_11target_archE908ELNS1_3gpuE7ELNS1_3repE0EEENS1_38merge_mergepath_config_static_selectorELNS0_4arch9wavefront6targetE1EEEvSJ_.has_recursion, 0
	.set _ZN7rocprim17ROCPRIM_400000_NS6detail17trampoline_kernelINS0_14default_configENS1_38merge_sort_block_merge_config_selectorIiiEEZZNS1_27merge_sort_block_merge_implIS3_N6thrust23THRUST_200600_302600_NS6detail15normal_iteratorINS8_10device_ptrIiEEEESD_jNS1_19radix_merge_compareILb1ELb0EiNS0_19identity_decomposerEEEEE10hipError_tT0_T1_T2_jT3_P12ihipStream_tbPNSt15iterator_traitsISI_E10value_typeEPNSO_ISJ_E10value_typeEPSK_NS1_7vsmem_tEENKUlT_SI_SJ_SK_E_clIPiSD_S10_SD_EESH_SX_SI_SJ_SK_EUlSX_E0_NS1_11comp_targetILNS1_3genE3ELNS1_11target_archE908ELNS1_3gpuE7ELNS1_3repE0EEENS1_38merge_mergepath_config_static_selectorELNS0_4arch9wavefront6targetE1EEEvSJ_.has_indirect_call, 0
	.section	.AMDGPU.csdata,"",@progbits
; Kernel info:
; codeLenInByte = 0
; TotalNumSgprs: 6
; NumVgprs: 0
; NumAgprs: 0
; TotalNumVgprs: 0
; ScratchSize: 0
; MemoryBound: 0
; FloatMode: 240
; IeeeMode: 1
; LDSByteSize: 0 bytes/workgroup (compile time only)
; SGPRBlocks: 0
; VGPRBlocks: 0
; NumSGPRsForWavesPerEU: 6
; NumVGPRsForWavesPerEU: 1
; AccumOffset: 4
; Occupancy: 8
; WaveLimiterHint : 0
; COMPUTE_PGM_RSRC2:SCRATCH_EN: 0
; COMPUTE_PGM_RSRC2:USER_SGPR: 2
; COMPUTE_PGM_RSRC2:TRAP_HANDLER: 0
; COMPUTE_PGM_RSRC2:TGID_X_EN: 1
; COMPUTE_PGM_RSRC2:TGID_Y_EN: 0
; COMPUTE_PGM_RSRC2:TGID_Z_EN: 0
; COMPUTE_PGM_RSRC2:TIDIG_COMP_CNT: 0
; COMPUTE_PGM_RSRC3_GFX90A:ACCUM_OFFSET: 0
; COMPUTE_PGM_RSRC3_GFX90A:TG_SPLIT: 0
	.section	.text._ZN7rocprim17ROCPRIM_400000_NS6detail17trampoline_kernelINS0_14default_configENS1_38merge_sort_block_merge_config_selectorIiiEEZZNS1_27merge_sort_block_merge_implIS3_N6thrust23THRUST_200600_302600_NS6detail15normal_iteratorINS8_10device_ptrIiEEEESD_jNS1_19radix_merge_compareILb1ELb0EiNS0_19identity_decomposerEEEEE10hipError_tT0_T1_T2_jT3_P12ihipStream_tbPNSt15iterator_traitsISI_E10value_typeEPNSO_ISJ_E10value_typeEPSK_NS1_7vsmem_tEENKUlT_SI_SJ_SK_E_clIPiSD_S10_SD_EESH_SX_SI_SJ_SK_EUlSX_E0_NS1_11comp_targetILNS1_3genE2ELNS1_11target_archE906ELNS1_3gpuE6ELNS1_3repE0EEENS1_38merge_mergepath_config_static_selectorELNS0_4arch9wavefront6targetE1EEEvSJ_,"axG",@progbits,_ZN7rocprim17ROCPRIM_400000_NS6detail17trampoline_kernelINS0_14default_configENS1_38merge_sort_block_merge_config_selectorIiiEEZZNS1_27merge_sort_block_merge_implIS3_N6thrust23THRUST_200600_302600_NS6detail15normal_iteratorINS8_10device_ptrIiEEEESD_jNS1_19radix_merge_compareILb1ELb0EiNS0_19identity_decomposerEEEEE10hipError_tT0_T1_T2_jT3_P12ihipStream_tbPNSt15iterator_traitsISI_E10value_typeEPNSO_ISJ_E10value_typeEPSK_NS1_7vsmem_tEENKUlT_SI_SJ_SK_E_clIPiSD_S10_SD_EESH_SX_SI_SJ_SK_EUlSX_E0_NS1_11comp_targetILNS1_3genE2ELNS1_11target_archE906ELNS1_3gpuE6ELNS1_3repE0EEENS1_38merge_mergepath_config_static_selectorELNS0_4arch9wavefront6targetE1EEEvSJ_,comdat
	.protected	_ZN7rocprim17ROCPRIM_400000_NS6detail17trampoline_kernelINS0_14default_configENS1_38merge_sort_block_merge_config_selectorIiiEEZZNS1_27merge_sort_block_merge_implIS3_N6thrust23THRUST_200600_302600_NS6detail15normal_iteratorINS8_10device_ptrIiEEEESD_jNS1_19radix_merge_compareILb1ELb0EiNS0_19identity_decomposerEEEEE10hipError_tT0_T1_T2_jT3_P12ihipStream_tbPNSt15iterator_traitsISI_E10value_typeEPNSO_ISJ_E10value_typeEPSK_NS1_7vsmem_tEENKUlT_SI_SJ_SK_E_clIPiSD_S10_SD_EESH_SX_SI_SJ_SK_EUlSX_E0_NS1_11comp_targetILNS1_3genE2ELNS1_11target_archE906ELNS1_3gpuE6ELNS1_3repE0EEENS1_38merge_mergepath_config_static_selectorELNS0_4arch9wavefront6targetE1EEEvSJ_ ; -- Begin function _ZN7rocprim17ROCPRIM_400000_NS6detail17trampoline_kernelINS0_14default_configENS1_38merge_sort_block_merge_config_selectorIiiEEZZNS1_27merge_sort_block_merge_implIS3_N6thrust23THRUST_200600_302600_NS6detail15normal_iteratorINS8_10device_ptrIiEEEESD_jNS1_19radix_merge_compareILb1ELb0EiNS0_19identity_decomposerEEEEE10hipError_tT0_T1_T2_jT3_P12ihipStream_tbPNSt15iterator_traitsISI_E10value_typeEPNSO_ISJ_E10value_typeEPSK_NS1_7vsmem_tEENKUlT_SI_SJ_SK_E_clIPiSD_S10_SD_EESH_SX_SI_SJ_SK_EUlSX_E0_NS1_11comp_targetILNS1_3genE2ELNS1_11target_archE906ELNS1_3gpuE6ELNS1_3repE0EEENS1_38merge_mergepath_config_static_selectorELNS0_4arch9wavefront6targetE1EEEvSJ_
	.globl	_ZN7rocprim17ROCPRIM_400000_NS6detail17trampoline_kernelINS0_14default_configENS1_38merge_sort_block_merge_config_selectorIiiEEZZNS1_27merge_sort_block_merge_implIS3_N6thrust23THRUST_200600_302600_NS6detail15normal_iteratorINS8_10device_ptrIiEEEESD_jNS1_19radix_merge_compareILb1ELb0EiNS0_19identity_decomposerEEEEE10hipError_tT0_T1_T2_jT3_P12ihipStream_tbPNSt15iterator_traitsISI_E10value_typeEPNSO_ISJ_E10value_typeEPSK_NS1_7vsmem_tEENKUlT_SI_SJ_SK_E_clIPiSD_S10_SD_EESH_SX_SI_SJ_SK_EUlSX_E0_NS1_11comp_targetILNS1_3genE2ELNS1_11target_archE906ELNS1_3gpuE6ELNS1_3repE0EEENS1_38merge_mergepath_config_static_selectorELNS0_4arch9wavefront6targetE1EEEvSJ_
	.p2align	8
	.type	_ZN7rocprim17ROCPRIM_400000_NS6detail17trampoline_kernelINS0_14default_configENS1_38merge_sort_block_merge_config_selectorIiiEEZZNS1_27merge_sort_block_merge_implIS3_N6thrust23THRUST_200600_302600_NS6detail15normal_iteratorINS8_10device_ptrIiEEEESD_jNS1_19radix_merge_compareILb1ELb0EiNS0_19identity_decomposerEEEEE10hipError_tT0_T1_T2_jT3_P12ihipStream_tbPNSt15iterator_traitsISI_E10value_typeEPNSO_ISJ_E10value_typeEPSK_NS1_7vsmem_tEENKUlT_SI_SJ_SK_E_clIPiSD_S10_SD_EESH_SX_SI_SJ_SK_EUlSX_E0_NS1_11comp_targetILNS1_3genE2ELNS1_11target_archE906ELNS1_3gpuE6ELNS1_3repE0EEENS1_38merge_mergepath_config_static_selectorELNS0_4arch9wavefront6targetE1EEEvSJ_,@function
_ZN7rocprim17ROCPRIM_400000_NS6detail17trampoline_kernelINS0_14default_configENS1_38merge_sort_block_merge_config_selectorIiiEEZZNS1_27merge_sort_block_merge_implIS3_N6thrust23THRUST_200600_302600_NS6detail15normal_iteratorINS8_10device_ptrIiEEEESD_jNS1_19radix_merge_compareILb1ELb0EiNS0_19identity_decomposerEEEEE10hipError_tT0_T1_T2_jT3_P12ihipStream_tbPNSt15iterator_traitsISI_E10value_typeEPNSO_ISJ_E10value_typeEPSK_NS1_7vsmem_tEENKUlT_SI_SJ_SK_E_clIPiSD_S10_SD_EESH_SX_SI_SJ_SK_EUlSX_E0_NS1_11comp_targetILNS1_3genE2ELNS1_11target_archE906ELNS1_3gpuE6ELNS1_3repE0EEENS1_38merge_mergepath_config_static_selectorELNS0_4arch9wavefront6targetE1EEEvSJ_: ; @_ZN7rocprim17ROCPRIM_400000_NS6detail17trampoline_kernelINS0_14default_configENS1_38merge_sort_block_merge_config_selectorIiiEEZZNS1_27merge_sort_block_merge_implIS3_N6thrust23THRUST_200600_302600_NS6detail15normal_iteratorINS8_10device_ptrIiEEEESD_jNS1_19radix_merge_compareILb1ELb0EiNS0_19identity_decomposerEEEEE10hipError_tT0_T1_T2_jT3_P12ihipStream_tbPNSt15iterator_traitsISI_E10value_typeEPNSO_ISJ_E10value_typeEPSK_NS1_7vsmem_tEENKUlT_SI_SJ_SK_E_clIPiSD_S10_SD_EESH_SX_SI_SJ_SK_EUlSX_E0_NS1_11comp_targetILNS1_3genE2ELNS1_11target_archE906ELNS1_3gpuE6ELNS1_3repE0EEENS1_38merge_mergepath_config_static_selectorELNS0_4arch9wavefront6targetE1EEEvSJ_
; %bb.0:
	.section	.rodata,"a",@progbits
	.p2align	6, 0x0
	.amdhsa_kernel _ZN7rocprim17ROCPRIM_400000_NS6detail17trampoline_kernelINS0_14default_configENS1_38merge_sort_block_merge_config_selectorIiiEEZZNS1_27merge_sort_block_merge_implIS3_N6thrust23THRUST_200600_302600_NS6detail15normal_iteratorINS8_10device_ptrIiEEEESD_jNS1_19radix_merge_compareILb1ELb0EiNS0_19identity_decomposerEEEEE10hipError_tT0_T1_T2_jT3_P12ihipStream_tbPNSt15iterator_traitsISI_E10value_typeEPNSO_ISJ_E10value_typeEPSK_NS1_7vsmem_tEENKUlT_SI_SJ_SK_E_clIPiSD_S10_SD_EESH_SX_SI_SJ_SK_EUlSX_E0_NS1_11comp_targetILNS1_3genE2ELNS1_11target_archE906ELNS1_3gpuE6ELNS1_3repE0EEENS1_38merge_mergepath_config_static_selectorELNS0_4arch9wavefront6targetE1EEEvSJ_
		.amdhsa_group_segment_fixed_size 0
		.amdhsa_private_segment_fixed_size 0
		.amdhsa_kernarg_size 64
		.amdhsa_user_sgpr_count 2
		.amdhsa_user_sgpr_dispatch_ptr 0
		.amdhsa_user_sgpr_queue_ptr 0
		.amdhsa_user_sgpr_kernarg_segment_ptr 1
		.amdhsa_user_sgpr_dispatch_id 0
		.amdhsa_user_sgpr_kernarg_preload_length 0
		.amdhsa_user_sgpr_kernarg_preload_offset 0
		.amdhsa_user_sgpr_private_segment_size 0
		.amdhsa_uses_dynamic_stack 0
		.amdhsa_enable_private_segment 0
		.amdhsa_system_sgpr_workgroup_id_x 1
		.amdhsa_system_sgpr_workgroup_id_y 0
		.amdhsa_system_sgpr_workgroup_id_z 0
		.amdhsa_system_sgpr_workgroup_info 0
		.amdhsa_system_vgpr_workitem_id 0
		.amdhsa_next_free_vgpr 1
		.amdhsa_next_free_sgpr 0
		.amdhsa_accum_offset 4
		.amdhsa_reserve_vcc 0
		.amdhsa_float_round_mode_32 0
		.amdhsa_float_round_mode_16_64 0
		.amdhsa_float_denorm_mode_32 3
		.amdhsa_float_denorm_mode_16_64 3
		.amdhsa_dx10_clamp 1
		.amdhsa_ieee_mode 1
		.amdhsa_fp16_overflow 0
		.amdhsa_tg_split 0
		.amdhsa_exception_fp_ieee_invalid_op 0
		.amdhsa_exception_fp_denorm_src 0
		.amdhsa_exception_fp_ieee_div_zero 0
		.amdhsa_exception_fp_ieee_overflow 0
		.amdhsa_exception_fp_ieee_underflow 0
		.amdhsa_exception_fp_ieee_inexact 0
		.amdhsa_exception_int_div_zero 0
	.end_amdhsa_kernel
	.section	.text._ZN7rocprim17ROCPRIM_400000_NS6detail17trampoline_kernelINS0_14default_configENS1_38merge_sort_block_merge_config_selectorIiiEEZZNS1_27merge_sort_block_merge_implIS3_N6thrust23THRUST_200600_302600_NS6detail15normal_iteratorINS8_10device_ptrIiEEEESD_jNS1_19radix_merge_compareILb1ELb0EiNS0_19identity_decomposerEEEEE10hipError_tT0_T1_T2_jT3_P12ihipStream_tbPNSt15iterator_traitsISI_E10value_typeEPNSO_ISJ_E10value_typeEPSK_NS1_7vsmem_tEENKUlT_SI_SJ_SK_E_clIPiSD_S10_SD_EESH_SX_SI_SJ_SK_EUlSX_E0_NS1_11comp_targetILNS1_3genE2ELNS1_11target_archE906ELNS1_3gpuE6ELNS1_3repE0EEENS1_38merge_mergepath_config_static_selectorELNS0_4arch9wavefront6targetE1EEEvSJ_,"axG",@progbits,_ZN7rocprim17ROCPRIM_400000_NS6detail17trampoline_kernelINS0_14default_configENS1_38merge_sort_block_merge_config_selectorIiiEEZZNS1_27merge_sort_block_merge_implIS3_N6thrust23THRUST_200600_302600_NS6detail15normal_iteratorINS8_10device_ptrIiEEEESD_jNS1_19radix_merge_compareILb1ELb0EiNS0_19identity_decomposerEEEEE10hipError_tT0_T1_T2_jT3_P12ihipStream_tbPNSt15iterator_traitsISI_E10value_typeEPNSO_ISJ_E10value_typeEPSK_NS1_7vsmem_tEENKUlT_SI_SJ_SK_E_clIPiSD_S10_SD_EESH_SX_SI_SJ_SK_EUlSX_E0_NS1_11comp_targetILNS1_3genE2ELNS1_11target_archE906ELNS1_3gpuE6ELNS1_3repE0EEENS1_38merge_mergepath_config_static_selectorELNS0_4arch9wavefront6targetE1EEEvSJ_,comdat
.Lfunc_end1736:
	.size	_ZN7rocprim17ROCPRIM_400000_NS6detail17trampoline_kernelINS0_14default_configENS1_38merge_sort_block_merge_config_selectorIiiEEZZNS1_27merge_sort_block_merge_implIS3_N6thrust23THRUST_200600_302600_NS6detail15normal_iteratorINS8_10device_ptrIiEEEESD_jNS1_19radix_merge_compareILb1ELb0EiNS0_19identity_decomposerEEEEE10hipError_tT0_T1_T2_jT3_P12ihipStream_tbPNSt15iterator_traitsISI_E10value_typeEPNSO_ISJ_E10value_typeEPSK_NS1_7vsmem_tEENKUlT_SI_SJ_SK_E_clIPiSD_S10_SD_EESH_SX_SI_SJ_SK_EUlSX_E0_NS1_11comp_targetILNS1_3genE2ELNS1_11target_archE906ELNS1_3gpuE6ELNS1_3repE0EEENS1_38merge_mergepath_config_static_selectorELNS0_4arch9wavefront6targetE1EEEvSJ_, .Lfunc_end1736-_ZN7rocprim17ROCPRIM_400000_NS6detail17trampoline_kernelINS0_14default_configENS1_38merge_sort_block_merge_config_selectorIiiEEZZNS1_27merge_sort_block_merge_implIS3_N6thrust23THRUST_200600_302600_NS6detail15normal_iteratorINS8_10device_ptrIiEEEESD_jNS1_19radix_merge_compareILb1ELb0EiNS0_19identity_decomposerEEEEE10hipError_tT0_T1_T2_jT3_P12ihipStream_tbPNSt15iterator_traitsISI_E10value_typeEPNSO_ISJ_E10value_typeEPSK_NS1_7vsmem_tEENKUlT_SI_SJ_SK_E_clIPiSD_S10_SD_EESH_SX_SI_SJ_SK_EUlSX_E0_NS1_11comp_targetILNS1_3genE2ELNS1_11target_archE906ELNS1_3gpuE6ELNS1_3repE0EEENS1_38merge_mergepath_config_static_selectorELNS0_4arch9wavefront6targetE1EEEvSJ_
                                        ; -- End function
	.set _ZN7rocprim17ROCPRIM_400000_NS6detail17trampoline_kernelINS0_14default_configENS1_38merge_sort_block_merge_config_selectorIiiEEZZNS1_27merge_sort_block_merge_implIS3_N6thrust23THRUST_200600_302600_NS6detail15normal_iteratorINS8_10device_ptrIiEEEESD_jNS1_19radix_merge_compareILb1ELb0EiNS0_19identity_decomposerEEEEE10hipError_tT0_T1_T2_jT3_P12ihipStream_tbPNSt15iterator_traitsISI_E10value_typeEPNSO_ISJ_E10value_typeEPSK_NS1_7vsmem_tEENKUlT_SI_SJ_SK_E_clIPiSD_S10_SD_EESH_SX_SI_SJ_SK_EUlSX_E0_NS1_11comp_targetILNS1_3genE2ELNS1_11target_archE906ELNS1_3gpuE6ELNS1_3repE0EEENS1_38merge_mergepath_config_static_selectorELNS0_4arch9wavefront6targetE1EEEvSJ_.num_vgpr, 0
	.set _ZN7rocprim17ROCPRIM_400000_NS6detail17trampoline_kernelINS0_14default_configENS1_38merge_sort_block_merge_config_selectorIiiEEZZNS1_27merge_sort_block_merge_implIS3_N6thrust23THRUST_200600_302600_NS6detail15normal_iteratorINS8_10device_ptrIiEEEESD_jNS1_19radix_merge_compareILb1ELb0EiNS0_19identity_decomposerEEEEE10hipError_tT0_T1_T2_jT3_P12ihipStream_tbPNSt15iterator_traitsISI_E10value_typeEPNSO_ISJ_E10value_typeEPSK_NS1_7vsmem_tEENKUlT_SI_SJ_SK_E_clIPiSD_S10_SD_EESH_SX_SI_SJ_SK_EUlSX_E0_NS1_11comp_targetILNS1_3genE2ELNS1_11target_archE906ELNS1_3gpuE6ELNS1_3repE0EEENS1_38merge_mergepath_config_static_selectorELNS0_4arch9wavefront6targetE1EEEvSJ_.num_agpr, 0
	.set _ZN7rocprim17ROCPRIM_400000_NS6detail17trampoline_kernelINS0_14default_configENS1_38merge_sort_block_merge_config_selectorIiiEEZZNS1_27merge_sort_block_merge_implIS3_N6thrust23THRUST_200600_302600_NS6detail15normal_iteratorINS8_10device_ptrIiEEEESD_jNS1_19radix_merge_compareILb1ELb0EiNS0_19identity_decomposerEEEEE10hipError_tT0_T1_T2_jT3_P12ihipStream_tbPNSt15iterator_traitsISI_E10value_typeEPNSO_ISJ_E10value_typeEPSK_NS1_7vsmem_tEENKUlT_SI_SJ_SK_E_clIPiSD_S10_SD_EESH_SX_SI_SJ_SK_EUlSX_E0_NS1_11comp_targetILNS1_3genE2ELNS1_11target_archE906ELNS1_3gpuE6ELNS1_3repE0EEENS1_38merge_mergepath_config_static_selectorELNS0_4arch9wavefront6targetE1EEEvSJ_.numbered_sgpr, 0
	.set _ZN7rocprim17ROCPRIM_400000_NS6detail17trampoline_kernelINS0_14default_configENS1_38merge_sort_block_merge_config_selectorIiiEEZZNS1_27merge_sort_block_merge_implIS3_N6thrust23THRUST_200600_302600_NS6detail15normal_iteratorINS8_10device_ptrIiEEEESD_jNS1_19radix_merge_compareILb1ELb0EiNS0_19identity_decomposerEEEEE10hipError_tT0_T1_T2_jT3_P12ihipStream_tbPNSt15iterator_traitsISI_E10value_typeEPNSO_ISJ_E10value_typeEPSK_NS1_7vsmem_tEENKUlT_SI_SJ_SK_E_clIPiSD_S10_SD_EESH_SX_SI_SJ_SK_EUlSX_E0_NS1_11comp_targetILNS1_3genE2ELNS1_11target_archE906ELNS1_3gpuE6ELNS1_3repE0EEENS1_38merge_mergepath_config_static_selectorELNS0_4arch9wavefront6targetE1EEEvSJ_.num_named_barrier, 0
	.set _ZN7rocprim17ROCPRIM_400000_NS6detail17trampoline_kernelINS0_14default_configENS1_38merge_sort_block_merge_config_selectorIiiEEZZNS1_27merge_sort_block_merge_implIS3_N6thrust23THRUST_200600_302600_NS6detail15normal_iteratorINS8_10device_ptrIiEEEESD_jNS1_19radix_merge_compareILb1ELb0EiNS0_19identity_decomposerEEEEE10hipError_tT0_T1_T2_jT3_P12ihipStream_tbPNSt15iterator_traitsISI_E10value_typeEPNSO_ISJ_E10value_typeEPSK_NS1_7vsmem_tEENKUlT_SI_SJ_SK_E_clIPiSD_S10_SD_EESH_SX_SI_SJ_SK_EUlSX_E0_NS1_11comp_targetILNS1_3genE2ELNS1_11target_archE906ELNS1_3gpuE6ELNS1_3repE0EEENS1_38merge_mergepath_config_static_selectorELNS0_4arch9wavefront6targetE1EEEvSJ_.private_seg_size, 0
	.set _ZN7rocprim17ROCPRIM_400000_NS6detail17trampoline_kernelINS0_14default_configENS1_38merge_sort_block_merge_config_selectorIiiEEZZNS1_27merge_sort_block_merge_implIS3_N6thrust23THRUST_200600_302600_NS6detail15normal_iteratorINS8_10device_ptrIiEEEESD_jNS1_19radix_merge_compareILb1ELb0EiNS0_19identity_decomposerEEEEE10hipError_tT0_T1_T2_jT3_P12ihipStream_tbPNSt15iterator_traitsISI_E10value_typeEPNSO_ISJ_E10value_typeEPSK_NS1_7vsmem_tEENKUlT_SI_SJ_SK_E_clIPiSD_S10_SD_EESH_SX_SI_SJ_SK_EUlSX_E0_NS1_11comp_targetILNS1_3genE2ELNS1_11target_archE906ELNS1_3gpuE6ELNS1_3repE0EEENS1_38merge_mergepath_config_static_selectorELNS0_4arch9wavefront6targetE1EEEvSJ_.uses_vcc, 0
	.set _ZN7rocprim17ROCPRIM_400000_NS6detail17trampoline_kernelINS0_14default_configENS1_38merge_sort_block_merge_config_selectorIiiEEZZNS1_27merge_sort_block_merge_implIS3_N6thrust23THRUST_200600_302600_NS6detail15normal_iteratorINS8_10device_ptrIiEEEESD_jNS1_19radix_merge_compareILb1ELb0EiNS0_19identity_decomposerEEEEE10hipError_tT0_T1_T2_jT3_P12ihipStream_tbPNSt15iterator_traitsISI_E10value_typeEPNSO_ISJ_E10value_typeEPSK_NS1_7vsmem_tEENKUlT_SI_SJ_SK_E_clIPiSD_S10_SD_EESH_SX_SI_SJ_SK_EUlSX_E0_NS1_11comp_targetILNS1_3genE2ELNS1_11target_archE906ELNS1_3gpuE6ELNS1_3repE0EEENS1_38merge_mergepath_config_static_selectorELNS0_4arch9wavefront6targetE1EEEvSJ_.uses_flat_scratch, 0
	.set _ZN7rocprim17ROCPRIM_400000_NS6detail17trampoline_kernelINS0_14default_configENS1_38merge_sort_block_merge_config_selectorIiiEEZZNS1_27merge_sort_block_merge_implIS3_N6thrust23THRUST_200600_302600_NS6detail15normal_iteratorINS8_10device_ptrIiEEEESD_jNS1_19radix_merge_compareILb1ELb0EiNS0_19identity_decomposerEEEEE10hipError_tT0_T1_T2_jT3_P12ihipStream_tbPNSt15iterator_traitsISI_E10value_typeEPNSO_ISJ_E10value_typeEPSK_NS1_7vsmem_tEENKUlT_SI_SJ_SK_E_clIPiSD_S10_SD_EESH_SX_SI_SJ_SK_EUlSX_E0_NS1_11comp_targetILNS1_3genE2ELNS1_11target_archE906ELNS1_3gpuE6ELNS1_3repE0EEENS1_38merge_mergepath_config_static_selectorELNS0_4arch9wavefront6targetE1EEEvSJ_.has_dyn_sized_stack, 0
	.set _ZN7rocprim17ROCPRIM_400000_NS6detail17trampoline_kernelINS0_14default_configENS1_38merge_sort_block_merge_config_selectorIiiEEZZNS1_27merge_sort_block_merge_implIS3_N6thrust23THRUST_200600_302600_NS6detail15normal_iteratorINS8_10device_ptrIiEEEESD_jNS1_19radix_merge_compareILb1ELb0EiNS0_19identity_decomposerEEEEE10hipError_tT0_T1_T2_jT3_P12ihipStream_tbPNSt15iterator_traitsISI_E10value_typeEPNSO_ISJ_E10value_typeEPSK_NS1_7vsmem_tEENKUlT_SI_SJ_SK_E_clIPiSD_S10_SD_EESH_SX_SI_SJ_SK_EUlSX_E0_NS1_11comp_targetILNS1_3genE2ELNS1_11target_archE906ELNS1_3gpuE6ELNS1_3repE0EEENS1_38merge_mergepath_config_static_selectorELNS0_4arch9wavefront6targetE1EEEvSJ_.has_recursion, 0
	.set _ZN7rocprim17ROCPRIM_400000_NS6detail17trampoline_kernelINS0_14default_configENS1_38merge_sort_block_merge_config_selectorIiiEEZZNS1_27merge_sort_block_merge_implIS3_N6thrust23THRUST_200600_302600_NS6detail15normal_iteratorINS8_10device_ptrIiEEEESD_jNS1_19radix_merge_compareILb1ELb0EiNS0_19identity_decomposerEEEEE10hipError_tT0_T1_T2_jT3_P12ihipStream_tbPNSt15iterator_traitsISI_E10value_typeEPNSO_ISJ_E10value_typeEPSK_NS1_7vsmem_tEENKUlT_SI_SJ_SK_E_clIPiSD_S10_SD_EESH_SX_SI_SJ_SK_EUlSX_E0_NS1_11comp_targetILNS1_3genE2ELNS1_11target_archE906ELNS1_3gpuE6ELNS1_3repE0EEENS1_38merge_mergepath_config_static_selectorELNS0_4arch9wavefront6targetE1EEEvSJ_.has_indirect_call, 0
	.section	.AMDGPU.csdata,"",@progbits
; Kernel info:
; codeLenInByte = 0
; TotalNumSgprs: 6
; NumVgprs: 0
; NumAgprs: 0
; TotalNumVgprs: 0
; ScratchSize: 0
; MemoryBound: 0
; FloatMode: 240
; IeeeMode: 1
; LDSByteSize: 0 bytes/workgroup (compile time only)
; SGPRBlocks: 0
; VGPRBlocks: 0
; NumSGPRsForWavesPerEU: 6
; NumVGPRsForWavesPerEU: 1
; AccumOffset: 4
; Occupancy: 8
; WaveLimiterHint : 0
; COMPUTE_PGM_RSRC2:SCRATCH_EN: 0
; COMPUTE_PGM_RSRC2:USER_SGPR: 2
; COMPUTE_PGM_RSRC2:TRAP_HANDLER: 0
; COMPUTE_PGM_RSRC2:TGID_X_EN: 1
; COMPUTE_PGM_RSRC2:TGID_Y_EN: 0
; COMPUTE_PGM_RSRC2:TGID_Z_EN: 0
; COMPUTE_PGM_RSRC2:TIDIG_COMP_CNT: 0
; COMPUTE_PGM_RSRC3_GFX90A:ACCUM_OFFSET: 0
; COMPUTE_PGM_RSRC3_GFX90A:TG_SPLIT: 0
	.section	.text._ZN7rocprim17ROCPRIM_400000_NS6detail17trampoline_kernelINS0_14default_configENS1_38merge_sort_block_merge_config_selectorIiiEEZZNS1_27merge_sort_block_merge_implIS3_N6thrust23THRUST_200600_302600_NS6detail15normal_iteratorINS8_10device_ptrIiEEEESD_jNS1_19radix_merge_compareILb1ELb0EiNS0_19identity_decomposerEEEEE10hipError_tT0_T1_T2_jT3_P12ihipStream_tbPNSt15iterator_traitsISI_E10value_typeEPNSO_ISJ_E10value_typeEPSK_NS1_7vsmem_tEENKUlT_SI_SJ_SK_E_clIPiSD_S10_SD_EESH_SX_SI_SJ_SK_EUlSX_E0_NS1_11comp_targetILNS1_3genE9ELNS1_11target_archE1100ELNS1_3gpuE3ELNS1_3repE0EEENS1_38merge_mergepath_config_static_selectorELNS0_4arch9wavefront6targetE1EEEvSJ_,"axG",@progbits,_ZN7rocprim17ROCPRIM_400000_NS6detail17trampoline_kernelINS0_14default_configENS1_38merge_sort_block_merge_config_selectorIiiEEZZNS1_27merge_sort_block_merge_implIS3_N6thrust23THRUST_200600_302600_NS6detail15normal_iteratorINS8_10device_ptrIiEEEESD_jNS1_19radix_merge_compareILb1ELb0EiNS0_19identity_decomposerEEEEE10hipError_tT0_T1_T2_jT3_P12ihipStream_tbPNSt15iterator_traitsISI_E10value_typeEPNSO_ISJ_E10value_typeEPSK_NS1_7vsmem_tEENKUlT_SI_SJ_SK_E_clIPiSD_S10_SD_EESH_SX_SI_SJ_SK_EUlSX_E0_NS1_11comp_targetILNS1_3genE9ELNS1_11target_archE1100ELNS1_3gpuE3ELNS1_3repE0EEENS1_38merge_mergepath_config_static_selectorELNS0_4arch9wavefront6targetE1EEEvSJ_,comdat
	.protected	_ZN7rocprim17ROCPRIM_400000_NS6detail17trampoline_kernelINS0_14default_configENS1_38merge_sort_block_merge_config_selectorIiiEEZZNS1_27merge_sort_block_merge_implIS3_N6thrust23THRUST_200600_302600_NS6detail15normal_iteratorINS8_10device_ptrIiEEEESD_jNS1_19radix_merge_compareILb1ELb0EiNS0_19identity_decomposerEEEEE10hipError_tT0_T1_T2_jT3_P12ihipStream_tbPNSt15iterator_traitsISI_E10value_typeEPNSO_ISJ_E10value_typeEPSK_NS1_7vsmem_tEENKUlT_SI_SJ_SK_E_clIPiSD_S10_SD_EESH_SX_SI_SJ_SK_EUlSX_E0_NS1_11comp_targetILNS1_3genE9ELNS1_11target_archE1100ELNS1_3gpuE3ELNS1_3repE0EEENS1_38merge_mergepath_config_static_selectorELNS0_4arch9wavefront6targetE1EEEvSJ_ ; -- Begin function _ZN7rocprim17ROCPRIM_400000_NS6detail17trampoline_kernelINS0_14default_configENS1_38merge_sort_block_merge_config_selectorIiiEEZZNS1_27merge_sort_block_merge_implIS3_N6thrust23THRUST_200600_302600_NS6detail15normal_iteratorINS8_10device_ptrIiEEEESD_jNS1_19radix_merge_compareILb1ELb0EiNS0_19identity_decomposerEEEEE10hipError_tT0_T1_T2_jT3_P12ihipStream_tbPNSt15iterator_traitsISI_E10value_typeEPNSO_ISJ_E10value_typeEPSK_NS1_7vsmem_tEENKUlT_SI_SJ_SK_E_clIPiSD_S10_SD_EESH_SX_SI_SJ_SK_EUlSX_E0_NS1_11comp_targetILNS1_3genE9ELNS1_11target_archE1100ELNS1_3gpuE3ELNS1_3repE0EEENS1_38merge_mergepath_config_static_selectorELNS0_4arch9wavefront6targetE1EEEvSJ_
	.globl	_ZN7rocprim17ROCPRIM_400000_NS6detail17trampoline_kernelINS0_14default_configENS1_38merge_sort_block_merge_config_selectorIiiEEZZNS1_27merge_sort_block_merge_implIS3_N6thrust23THRUST_200600_302600_NS6detail15normal_iteratorINS8_10device_ptrIiEEEESD_jNS1_19radix_merge_compareILb1ELb0EiNS0_19identity_decomposerEEEEE10hipError_tT0_T1_T2_jT3_P12ihipStream_tbPNSt15iterator_traitsISI_E10value_typeEPNSO_ISJ_E10value_typeEPSK_NS1_7vsmem_tEENKUlT_SI_SJ_SK_E_clIPiSD_S10_SD_EESH_SX_SI_SJ_SK_EUlSX_E0_NS1_11comp_targetILNS1_3genE9ELNS1_11target_archE1100ELNS1_3gpuE3ELNS1_3repE0EEENS1_38merge_mergepath_config_static_selectorELNS0_4arch9wavefront6targetE1EEEvSJ_
	.p2align	8
	.type	_ZN7rocprim17ROCPRIM_400000_NS6detail17trampoline_kernelINS0_14default_configENS1_38merge_sort_block_merge_config_selectorIiiEEZZNS1_27merge_sort_block_merge_implIS3_N6thrust23THRUST_200600_302600_NS6detail15normal_iteratorINS8_10device_ptrIiEEEESD_jNS1_19radix_merge_compareILb1ELb0EiNS0_19identity_decomposerEEEEE10hipError_tT0_T1_T2_jT3_P12ihipStream_tbPNSt15iterator_traitsISI_E10value_typeEPNSO_ISJ_E10value_typeEPSK_NS1_7vsmem_tEENKUlT_SI_SJ_SK_E_clIPiSD_S10_SD_EESH_SX_SI_SJ_SK_EUlSX_E0_NS1_11comp_targetILNS1_3genE9ELNS1_11target_archE1100ELNS1_3gpuE3ELNS1_3repE0EEENS1_38merge_mergepath_config_static_selectorELNS0_4arch9wavefront6targetE1EEEvSJ_,@function
_ZN7rocprim17ROCPRIM_400000_NS6detail17trampoline_kernelINS0_14default_configENS1_38merge_sort_block_merge_config_selectorIiiEEZZNS1_27merge_sort_block_merge_implIS3_N6thrust23THRUST_200600_302600_NS6detail15normal_iteratorINS8_10device_ptrIiEEEESD_jNS1_19radix_merge_compareILb1ELb0EiNS0_19identity_decomposerEEEEE10hipError_tT0_T1_T2_jT3_P12ihipStream_tbPNSt15iterator_traitsISI_E10value_typeEPNSO_ISJ_E10value_typeEPSK_NS1_7vsmem_tEENKUlT_SI_SJ_SK_E_clIPiSD_S10_SD_EESH_SX_SI_SJ_SK_EUlSX_E0_NS1_11comp_targetILNS1_3genE9ELNS1_11target_archE1100ELNS1_3gpuE3ELNS1_3repE0EEENS1_38merge_mergepath_config_static_selectorELNS0_4arch9wavefront6targetE1EEEvSJ_: ; @_ZN7rocprim17ROCPRIM_400000_NS6detail17trampoline_kernelINS0_14default_configENS1_38merge_sort_block_merge_config_selectorIiiEEZZNS1_27merge_sort_block_merge_implIS3_N6thrust23THRUST_200600_302600_NS6detail15normal_iteratorINS8_10device_ptrIiEEEESD_jNS1_19radix_merge_compareILb1ELb0EiNS0_19identity_decomposerEEEEE10hipError_tT0_T1_T2_jT3_P12ihipStream_tbPNSt15iterator_traitsISI_E10value_typeEPNSO_ISJ_E10value_typeEPSK_NS1_7vsmem_tEENKUlT_SI_SJ_SK_E_clIPiSD_S10_SD_EESH_SX_SI_SJ_SK_EUlSX_E0_NS1_11comp_targetILNS1_3genE9ELNS1_11target_archE1100ELNS1_3gpuE3ELNS1_3repE0EEENS1_38merge_mergepath_config_static_selectorELNS0_4arch9wavefront6targetE1EEEvSJ_
; %bb.0:
	.section	.rodata,"a",@progbits
	.p2align	6, 0x0
	.amdhsa_kernel _ZN7rocprim17ROCPRIM_400000_NS6detail17trampoline_kernelINS0_14default_configENS1_38merge_sort_block_merge_config_selectorIiiEEZZNS1_27merge_sort_block_merge_implIS3_N6thrust23THRUST_200600_302600_NS6detail15normal_iteratorINS8_10device_ptrIiEEEESD_jNS1_19radix_merge_compareILb1ELb0EiNS0_19identity_decomposerEEEEE10hipError_tT0_T1_T2_jT3_P12ihipStream_tbPNSt15iterator_traitsISI_E10value_typeEPNSO_ISJ_E10value_typeEPSK_NS1_7vsmem_tEENKUlT_SI_SJ_SK_E_clIPiSD_S10_SD_EESH_SX_SI_SJ_SK_EUlSX_E0_NS1_11comp_targetILNS1_3genE9ELNS1_11target_archE1100ELNS1_3gpuE3ELNS1_3repE0EEENS1_38merge_mergepath_config_static_selectorELNS0_4arch9wavefront6targetE1EEEvSJ_
		.amdhsa_group_segment_fixed_size 0
		.amdhsa_private_segment_fixed_size 0
		.amdhsa_kernarg_size 64
		.amdhsa_user_sgpr_count 2
		.amdhsa_user_sgpr_dispatch_ptr 0
		.amdhsa_user_sgpr_queue_ptr 0
		.amdhsa_user_sgpr_kernarg_segment_ptr 1
		.amdhsa_user_sgpr_dispatch_id 0
		.amdhsa_user_sgpr_kernarg_preload_length 0
		.amdhsa_user_sgpr_kernarg_preload_offset 0
		.amdhsa_user_sgpr_private_segment_size 0
		.amdhsa_uses_dynamic_stack 0
		.amdhsa_enable_private_segment 0
		.amdhsa_system_sgpr_workgroup_id_x 1
		.amdhsa_system_sgpr_workgroup_id_y 0
		.amdhsa_system_sgpr_workgroup_id_z 0
		.amdhsa_system_sgpr_workgroup_info 0
		.amdhsa_system_vgpr_workitem_id 0
		.amdhsa_next_free_vgpr 1
		.amdhsa_next_free_sgpr 0
		.amdhsa_accum_offset 4
		.amdhsa_reserve_vcc 0
		.amdhsa_float_round_mode_32 0
		.amdhsa_float_round_mode_16_64 0
		.amdhsa_float_denorm_mode_32 3
		.amdhsa_float_denorm_mode_16_64 3
		.amdhsa_dx10_clamp 1
		.amdhsa_ieee_mode 1
		.amdhsa_fp16_overflow 0
		.amdhsa_tg_split 0
		.amdhsa_exception_fp_ieee_invalid_op 0
		.amdhsa_exception_fp_denorm_src 0
		.amdhsa_exception_fp_ieee_div_zero 0
		.amdhsa_exception_fp_ieee_overflow 0
		.amdhsa_exception_fp_ieee_underflow 0
		.amdhsa_exception_fp_ieee_inexact 0
		.amdhsa_exception_int_div_zero 0
	.end_amdhsa_kernel
	.section	.text._ZN7rocprim17ROCPRIM_400000_NS6detail17trampoline_kernelINS0_14default_configENS1_38merge_sort_block_merge_config_selectorIiiEEZZNS1_27merge_sort_block_merge_implIS3_N6thrust23THRUST_200600_302600_NS6detail15normal_iteratorINS8_10device_ptrIiEEEESD_jNS1_19radix_merge_compareILb1ELb0EiNS0_19identity_decomposerEEEEE10hipError_tT0_T1_T2_jT3_P12ihipStream_tbPNSt15iterator_traitsISI_E10value_typeEPNSO_ISJ_E10value_typeEPSK_NS1_7vsmem_tEENKUlT_SI_SJ_SK_E_clIPiSD_S10_SD_EESH_SX_SI_SJ_SK_EUlSX_E0_NS1_11comp_targetILNS1_3genE9ELNS1_11target_archE1100ELNS1_3gpuE3ELNS1_3repE0EEENS1_38merge_mergepath_config_static_selectorELNS0_4arch9wavefront6targetE1EEEvSJ_,"axG",@progbits,_ZN7rocprim17ROCPRIM_400000_NS6detail17trampoline_kernelINS0_14default_configENS1_38merge_sort_block_merge_config_selectorIiiEEZZNS1_27merge_sort_block_merge_implIS3_N6thrust23THRUST_200600_302600_NS6detail15normal_iteratorINS8_10device_ptrIiEEEESD_jNS1_19radix_merge_compareILb1ELb0EiNS0_19identity_decomposerEEEEE10hipError_tT0_T1_T2_jT3_P12ihipStream_tbPNSt15iterator_traitsISI_E10value_typeEPNSO_ISJ_E10value_typeEPSK_NS1_7vsmem_tEENKUlT_SI_SJ_SK_E_clIPiSD_S10_SD_EESH_SX_SI_SJ_SK_EUlSX_E0_NS1_11comp_targetILNS1_3genE9ELNS1_11target_archE1100ELNS1_3gpuE3ELNS1_3repE0EEENS1_38merge_mergepath_config_static_selectorELNS0_4arch9wavefront6targetE1EEEvSJ_,comdat
.Lfunc_end1737:
	.size	_ZN7rocprim17ROCPRIM_400000_NS6detail17trampoline_kernelINS0_14default_configENS1_38merge_sort_block_merge_config_selectorIiiEEZZNS1_27merge_sort_block_merge_implIS3_N6thrust23THRUST_200600_302600_NS6detail15normal_iteratorINS8_10device_ptrIiEEEESD_jNS1_19radix_merge_compareILb1ELb0EiNS0_19identity_decomposerEEEEE10hipError_tT0_T1_T2_jT3_P12ihipStream_tbPNSt15iterator_traitsISI_E10value_typeEPNSO_ISJ_E10value_typeEPSK_NS1_7vsmem_tEENKUlT_SI_SJ_SK_E_clIPiSD_S10_SD_EESH_SX_SI_SJ_SK_EUlSX_E0_NS1_11comp_targetILNS1_3genE9ELNS1_11target_archE1100ELNS1_3gpuE3ELNS1_3repE0EEENS1_38merge_mergepath_config_static_selectorELNS0_4arch9wavefront6targetE1EEEvSJ_, .Lfunc_end1737-_ZN7rocprim17ROCPRIM_400000_NS6detail17trampoline_kernelINS0_14default_configENS1_38merge_sort_block_merge_config_selectorIiiEEZZNS1_27merge_sort_block_merge_implIS3_N6thrust23THRUST_200600_302600_NS6detail15normal_iteratorINS8_10device_ptrIiEEEESD_jNS1_19radix_merge_compareILb1ELb0EiNS0_19identity_decomposerEEEEE10hipError_tT0_T1_T2_jT3_P12ihipStream_tbPNSt15iterator_traitsISI_E10value_typeEPNSO_ISJ_E10value_typeEPSK_NS1_7vsmem_tEENKUlT_SI_SJ_SK_E_clIPiSD_S10_SD_EESH_SX_SI_SJ_SK_EUlSX_E0_NS1_11comp_targetILNS1_3genE9ELNS1_11target_archE1100ELNS1_3gpuE3ELNS1_3repE0EEENS1_38merge_mergepath_config_static_selectorELNS0_4arch9wavefront6targetE1EEEvSJ_
                                        ; -- End function
	.set _ZN7rocprim17ROCPRIM_400000_NS6detail17trampoline_kernelINS0_14default_configENS1_38merge_sort_block_merge_config_selectorIiiEEZZNS1_27merge_sort_block_merge_implIS3_N6thrust23THRUST_200600_302600_NS6detail15normal_iteratorINS8_10device_ptrIiEEEESD_jNS1_19radix_merge_compareILb1ELb0EiNS0_19identity_decomposerEEEEE10hipError_tT0_T1_T2_jT3_P12ihipStream_tbPNSt15iterator_traitsISI_E10value_typeEPNSO_ISJ_E10value_typeEPSK_NS1_7vsmem_tEENKUlT_SI_SJ_SK_E_clIPiSD_S10_SD_EESH_SX_SI_SJ_SK_EUlSX_E0_NS1_11comp_targetILNS1_3genE9ELNS1_11target_archE1100ELNS1_3gpuE3ELNS1_3repE0EEENS1_38merge_mergepath_config_static_selectorELNS0_4arch9wavefront6targetE1EEEvSJ_.num_vgpr, 0
	.set _ZN7rocprim17ROCPRIM_400000_NS6detail17trampoline_kernelINS0_14default_configENS1_38merge_sort_block_merge_config_selectorIiiEEZZNS1_27merge_sort_block_merge_implIS3_N6thrust23THRUST_200600_302600_NS6detail15normal_iteratorINS8_10device_ptrIiEEEESD_jNS1_19radix_merge_compareILb1ELb0EiNS0_19identity_decomposerEEEEE10hipError_tT0_T1_T2_jT3_P12ihipStream_tbPNSt15iterator_traitsISI_E10value_typeEPNSO_ISJ_E10value_typeEPSK_NS1_7vsmem_tEENKUlT_SI_SJ_SK_E_clIPiSD_S10_SD_EESH_SX_SI_SJ_SK_EUlSX_E0_NS1_11comp_targetILNS1_3genE9ELNS1_11target_archE1100ELNS1_3gpuE3ELNS1_3repE0EEENS1_38merge_mergepath_config_static_selectorELNS0_4arch9wavefront6targetE1EEEvSJ_.num_agpr, 0
	.set _ZN7rocprim17ROCPRIM_400000_NS6detail17trampoline_kernelINS0_14default_configENS1_38merge_sort_block_merge_config_selectorIiiEEZZNS1_27merge_sort_block_merge_implIS3_N6thrust23THRUST_200600_302600_NS6detail15normal_iteratorINS8_10device_ptrIiEEEESD_jNS1_19radix_merge_compareILb1ELb0EiNS0_19identity_decomposerEEEEE10hipError_tT0_T1_T2_jT3_P12ihipStream_tbPNSt15iterator_traitsISI_E10value_typeEPNSO_ISJ_E10value_typeEPSK_NS1_7vsmem_tEENKUlT_SI_SJ_SK_E_clIPiSD_S10_SD_EESH_SX_SI_SJ_SK_EUlSX_E0_NS1_11comp_targetILNS1_3genE9ELNS1_11target_archE1100ELNS1_3gpuE3ELNS1_3repE0EEENS1_38merge_mergepath_config_static_selectorELNS0_4arch9wavefront6targetE1EEEvSJ_.numbered_sgpr, 0
	.set _ZN7rocprim17ROCPRIM_400000_NS6detail17trampoline_kernelINS0_14default_configENS1_38merge_sort_block_merge_config_selectorIiiEEZZNS1_27merge_sort_block_merge_implIS3_N6thrust23THRUST_200600_302600_NS6detail15normal_iteratorINS8_10device_ptrIiEEEESD_jNS1_19radix_merge_compareILb1ELb0EiNS0_19identity_decomposerEEEEE10hipError_tT0_T1_T2_jT3_P12ihipStream_tbPNSt15iterator_traitsISI_E10value_typeEPNSO_ISJ_E10value_typeEPSK_NS1_7vsmem_tEENKUlT_SI_SJ_SK_E_clIPiSD_S10_SD_EESH_SX_SI_SJ_SK_EUlSX_E0_NS1_11comp_targetILNS1_3genE9ELNS1_11target_archE1100ELNS1_3gpuE3ELNS1_3repE0EEENS1_38merge_mergepath_config_static_selectorELNS0_4arch9wavefront6targetE1EEEvSJ_.num_named_barrier, 0
	.set _ZN7rocprim17ROCPRIM_400000_NS6detail17trampoline_kernelINS0_14default_configENS1_38merge_sort_block_merge_config_selectorIiiEEZZNS1_27merge_sort_block_merge_implIS3_N6thrust23THRUST_200600_302600_NS6detail15normal_iteratorINS8_10device_ptrIiEEEESD_jNS1_19radix_merge_compareILb1ELb0EiNS0_19identity_decomposerEEEEE10hipError_tT0_T1_T2_jT3_P12ihipStream_tbPNSt15iterator_traitsISI_E10value_typeEPNSO_ISJ_E10value_typeEPSK_NS1_7vsmem_tEENKUlT_SI_SJ_SK_E_clIPiSD_S10_SD_EESH_SX_SI_SJ_SK_EUlSX_E0_NS1_11comp_targetILNS1_3genE9ELNS1_11target_archE1100ELNS1_3gpuE3ELNS1_3repE0EEENS1_38merge_mergepath_config_static_selectorELNS0_4arch9wavefront6targetE1EEEvSJ_.private_seg_size, 0
	.set _ZN7rocprim17ROCPRIM_400000_NS6detail17trampoline_kernelINS0_14default_configENS1_38merge_sort_block_merge_config_selectorIiiEEZZNS1_27merge_sort_block_merge_implIS3_N6thrust23THRUST_200600_302600_NS6detail15normal_iteratorINS8_10device_ptrIiEEEESD_jNS1_19radix_merge_compareILb1ELb0EiNS0_19identity_decomposerEEEEE10hipError_tT0_T1_T2_jT3_P12ihipStream_tbPNSt15iterator_traitsISI_E10value_typeEPNSO_ISJ_E10value_typeEPSK_NS1_7vsmem_tEENKUlT_SI_SJ_SK_E_clIPiSD_S10_SD_EESH_SX_SI_SJ_SK_EUlSX_E0_NS1_11comp_targetILNS1_3genE9ELNS1_11target_archE1100ELNS1_3gpuE3ELNS1_3repE0EEENS1_38merge_mergepath_config_static_selectorELNS0_4arch9wavefront6targetE1EEEvSJ_.uses_vcc, 0
	.set _ZN7rocprim17ROCPRIM_400000_NS6detail17trampoline_kernelINS0_14default_configENS1_38merge_sort_block_merge_config_selectorIiiEEZZNS1_27merge_sort_block_merge_implIS3_N6thrust23THRUST_200600_302600_NS6detail15normal_iteratorINS8_10device_ptrIiEEEESD_jNS1_19radix_merge_compareILb1ELb0EiNS0_19identity_decomposerEEEEE10hipError_tT0_T1_T2_jT3_P12ihipStream_tbPNSt15iterator_traitsISI_E10value_typeEPNSO_ISJ_E10value_typeEPSK_NS1_7vsmem_tEENKUlT_SI_SJ_SK_E_clIPiSD_S10_SD_EESH_SX_SI_SJ_SK_EUlSX_E0_NS1_11comp_targetILNS1_3genE9ELNS1_11target_archE1100ELNS1_3gpuE3ELNS1_3repE0EEENS1_38merge_mergepath_config_static_selectorELNS0_4arch9wavefront6targetE1EEEvSJ_.uses_flat_scratch, 0
	.set _ZN7rocprim17ROCPRIM_400000_NS6detail17trampoline_kernelINS0_14default_configENS1_38merge_sort_block_merge_config_selectorIiiEEZZNS1_27merge_sort_block_merge_implIS3_N6thrust23THRUST_200600_302600_NS6detail15normal_iteratorINS8_10device_ptrIiEEEESD_jNS1_19radix_merge_compareILb1ELb0EiNS0_19identity_decomposerEEEEE10hipError_tT0_T1_T2_jT3_P12ihipStream_tbPNSt15iterator_traitsISI_E10value_typeEPNSO_ISJ_E10value_typeEPSK_NS1_7vsmem_tEENKUlT_SI_SJ_SK_E_clIPiSD_S10_SD_EESH_SX_SI_SJ_SK_EUlSX_E0_NS1_11comp_targetILNS1_3genE9ELNS1_11target_archE1100ELNS1_3gpuE3ELNS1_3repE0EEENS1_38merge_mergepath_config_static_selectorELNS0_4arch9wavefront6targetE1EEEvSJ_.has_dyn_sized_stack, 0
	.set _ZN7rocprim17ROCPRIM_400000_NS6detail17trampoline_kernelINS0_14default_configENS1_38merge_sort_block_merge_config_selectorIiiEEZZNS1_27merge_sort_block_merge_implIS3_N6thrust23THRUST_200600_302600_NS6detail15normal_iteratorINS8_10device_ptrIiEEEESD_jNS1_19radix_merge_compareILb1ELb0EiNS0_19identity_decomposerEEEEE10hipError_tT0_T1_T2_jT3_P12ihipStream_tbPNSt15iterator_traitsISI_E10value_typeEPNSO_ISJ_E10value_typeEPSK_NS1_7vsmem_tEENKUlT_SI_SJ_SK_E_clIPiSD_S10_SD_EESH_SX_SI_SJ_SK_EUlSX_E0_NS1_11comp_targetILNS1_3genE9ELNS1_11target_archE1100ELNS1_3gpuE3ELNS1_3repE0EEENS1_38merge_mergepath_config_static_selectorELNS0_4arch9wavefront6targetE1EEEvSJ_.has_recursion, 0
	.set _ZN7rocprim17ROCPRIM_400000_NS6detail17trampoline_kernelINS0_14default_configENS1_38merge_sort_block_merge_config_selectorIiiEEZZNS1_27merge_sort_block_merge_implIS3_N6thrust23THRUST_200600_302600_NS6detail15normal_iteratorINS8_10device_ptrIiEEEESD_jNS1_19radix_merge_compareILb1ELb0EiNS0_19identity_decomposerEEEEE10hipError_tT0_T1_T2_jT3_P12ihipStream_tbPNSt15iterator_traitsISI_E10value_typeEPNSO_ISJ_E10value_typeEPSK_NS1_7vsmem_tEENKUlT_SI_SJ_SK_E_clIPiSD_S10_SD_EESH_SX_SI_SJ_SK_EUlSX_E0_NS1_11comp_targetILNS1_3genE9ELNS1_11target_archE1100ELNS1_3gpuE3ELNS1_3repE0EEENS1_38merge_mergepath_config_static_selectorELNS0_4arch9wavefront6targetE1EEEvSJ_.has_indirect_call, 0
	.section	.AMDGPU.csdata,"",@progbits
; Kernel info:
; codeLenInByte = 0
; TotalNumSgprs: 6
; NumVgprs: 0
; NumAgprs: 0
; TotalNumVgprs: 0
; ScratchSize: 0
; MemoryBound: 0
; FloatMode: 240
; IeeeMode: 1
; LDSByteSize: 0 bytes/workgroup (compile time only)
; SGPRBlocks: 0
; VGPRBlocks: 0
; NumSGPRsForWavesPerEU: 6
; NumVGPRsForWavesPerEU: 1
; AccumOffset: 4
; Occupancy: 8
; WaveLimiterHint : 0
; COMPUTE_PGM_RSRC2:SCRATCH_EN: 0
; COMPUTE_PGM_RSRC2:USER_SGPR: 2
; COMPUTE_PGM_RSRC2:TRAP_HANDLER: 0
; COMPUTE_PGM_RSRC2:TGID_X_EN: 1
; COMPUTE_PGM_RSRC2:TGID_Y_EN: 0
; COMPUTE_PGM_RSRC2:TGID_Z_EN: 0
; COMPUTE_PGM_RSRC2:TIDIG_COMP_CNT: 0
; COMPUTE_PGM_RSRC3_GFX90A:ACCUM_OFFSET: 0
; COMPUTE_PGM_RSRC3_GFX90A:TG_SPLIT: 0
	.section	.text._ZN7rocprim17ROCPRIM_400000_NS6detail17trampoline_kernelINS0_14default_configENS1_38merge_sort_block_merge_config_selectorIiiEEZZNS1_27merge_sort_block_merge_implIS3_N6thrust23THRUST_200600_302600_NS6detail15normal_iteratorINS8_10device_ptrIiEEEESD_jNS1_19radix_merge_compareILb1ELb0EiNS0_19identity_decomposerEEEEE10hipError_tT0_T1_T2_jT3_P12ihipStream_tbPNSt15iterator_traitsISI_E10value_typeEPNSO_ISJ_E10value_typeEPSK_NS1_7vsmem_tEENKUlT_SI_SJ_SK_E_clIPiSD_S10_SD_EESH_SX_SI_SJ_SK_EUlSX_E0_NS1_11comp_targetILNS1_3genE8ELNS1_11target_archE1030ELNS1_3gpuE2ELNS1_3repE0EEENS1_38merge_mergepath_config_static_selectorELNS0_4arch9wavefront6targetE1EEEvSJ_,"axG",@progbits,_ZN7rocprim17ROCPRIM_400000_NS6detail17trampoline_kernelINS0_14default_configENS1_38merge_sort_block_merge_config_selectorIiiEEZZNS1_27merge_sort_block_merge_implIS3_N6thrust23THRUST_200600_302600_NS6detail15normal_iteratorINS8_10device_ptrIiEEEESD_jNS1_19radix_merge_compareILb1ELb0EiNS0_19identity_decomposerEEEEE10hipError_tT0_T1_T2_jT3_P12ihipStream_tbPNSt15iterator_traitsISI_E10value_typeEPNSO_ISJ_E10value_typeEPSK_NS1_7vsmem_tEENKUlT_SI_SJ_SK_E_clIPiSD_S10_SD_EESH_SX_SI_SJ_SK_EUlSX_E0_NS1_11comp_targetILNS1_3genE8ELNS1_11target_archE1030ELNS1_3gpuE2ELNS1_3repE0EEENS1_38merge_mergepath_config_static_selectorELNS0_4arch9wavefront6targetE1EEEvSJ_,comdat
	.protected	_ZN7rocprim17ROCPRIM_400000_NS6detail17trampoline_kernelINS0_14default_configENS1_38merge_sort_block_merge_config_selectorIiiEEZZNS1_27merge_sort_block_merge_implIS3_N6thrust23THRUST_200600_302600_NS6detail15normal_iteratorINS8_10device_ptrIiEEEESD_jNS1_19radix_merge_compareILb1ELb0EiNS0_19identity_decomposerEEEEE10hipError_tT0_T1_T2_jT3_P12ihipStream_tbPNSt15iterator_traitsISI_E10value_typeEPNSO_ISJ_E10value_typeEPSK_NS1_7vsmem_tEENKUlT_SI_SJ_SK_E_clIPiSD_S10_SD_EESH_SX_SI_SJ_SK_EUlSX_E0_NS1_11comp_targetILNS1_3genE8ELNS1_11target_archE1030ELNS1_3gpuE2ELNS1_3repE0EEENS1_38merge_mergepath_config_static_selectorELNS0_4arch9wavefront6targetE1EEEvSJ_ ; -- Begin function _ZN7rocprim17ROCPRIM_400000_NS6detail17trampoline_kernelINS0_14default_configENS1_38merge_sort_block_merge_config_selectorIiiEEZZNS1_27merge_sort_block_merge_implIS3_N6thrust23THRUST_200600_302600_NS6detail15normal_iteratorINS8_10device_ptrIiEEEESD_jNS1_19radix_merge_compareILb1ELb0EiNS0_19identity_decomposerEEEEE10hipError_tT0_T1_T2_jT3_P12ihipStream_tbPNSt15iterator_traitsISI_E10value_typeEPNSO_ISJ_E10value_typeEPSK_NS1_7vsmem_tEENKUlT_SI_SJ_SK_E_clIPiSD_S10_SD_EESH_SX_SI_SJ_SK_EUlSX_E0_NS1_11comp_targetILNS1_3genE8ELNS1_11target_archE1030ELNS1_3gpuE2ELNS1_3repE0EEENS1_38merge_mergepath_config_static_selectorELNS0_4arch9wavefront6targetE1EEEvSJ_
	.globl	_ZN7rocprim17ROCPRIM_400000_NS6detail17trampoline_kernelINS0_14default_configENS1_38merge_sort_block_merge_config_selectorIiiEEZZNS1_27merge_sort_block_merge_implIS3_N6thrust23THRUST_200600_302600_NS6detail15normal_iteratorINS8_10device_ptrIiEEEESD_jNS1_19radix_merge_compareILb1ELb0EiNS0_19identity_decomposerEEEEE10hipError_tT0_T1_T2_jT3_P12ihipStream_tbPNSt15iterator_traitsISI_E10value_typeEPNSO_ISJ_E10value_typeEPSK_NS1_7vsmem_tEENKUlT_SI_SJ_SK_E_clIPiSD_S10_SD_EESH_SX_SI_SJ_SK_EUlSX_E0_NS1_11comp_targetILNS1_3genE8ELNS1_11target_archE1030ELNS1_3gpuE2ELNS1_3repE0EEENS1_38merge_mergepath_config_static_selectorELNS0_4arch9wavefront6targetE1EEEvSJ_
	.p2align	8
	.type	_ZN7rocprim17ROCPRIM_400000_NS6detail17trampoline_kernelINS0_14default_configENS1_38merge_sort_block_merge_config_selectorIiiEEZZNS1_27merge_sort_block_merge_implIS3_N6thrust23THRUST_200600_302600_NS6detail15normal_iteratorINS8_10device_ptrIiEEEESD_jNS1_19radix_merge_compareILb1ELb0EiNS0_19identity_decomposerEEEEE10hipError_tT0_T1_T2_jT3_P12ihipStream_tbPNSt15iterator_traitsISI_E10value_typeEPNSO_ISJ_E10value_typeEPSK_NS1_7vsmem_tEENKUlT_SI_SJ_SK_E_clIPiSD_S10_SD_EESH_SX_SI_SJ_SK_EUlSX_E0_NS1_11comp_targetILNS1_3genE8ELNS1_11target_archE1030ELNS1_3gpuE2ELNS1_3repE0EEENS1_38merge_mergepath_config_static_selectorELNS0_4arch9wavefront6targetE1EEEvSJ_,@function
_ZN7rocprim17ROCPRIM_400000_NS6detail17trampoline_kernelINS0_14default_configENS1_38merge_sort_block_merge_config_selectorIiiEEZZNS1_27merge_sort_block_merge_implIS3_N6thrust23THRUST_200600_302600_NS6detail15normal_iteratorINS8_10device_ptrIiEEEESD_jNS1_19radix_merge_compareILb1ELb0EiNS0_19identity_decomposerEEEEE10hipError_tT0_T1_T2_jT3_P12ihipStream_tbPNSt15iterator_traitsISI_E10value_typeEPNSO_ISJ_E10value_typeEPSK_NS1_7vsmem_tEENKUlT_SI_SJ_SK_E_clIPiSD_S10_SD_EESH_SX_SI_SJ_SK_EUlSX_E0_NS1_11comp_targetILNS1_3genE8ELNS1_11target_archE1030ELNS1_3gpuE2ELNS1_3repE0EEENS1_38merge_mergepath_config_static_selectorELNS0_4arch9wavefront6targetE1EEEvSJ_: ; @_ZN7rocprim17ROCPRIM_400000_NS6detail17trampoline_kernelINS0_14default_configENS1_38merge_sort_block_merge_config_selectorIiiEEZZNS1_27merge_sort_block_merge_implIS3_N6thrust23THRUST_200600_302600_NS6detail15normal_iteratorINS8_10device_ptrIiEEEESD_jNS1_19radix_merge_compareILb1ELb0EiNS0_19identity_decomposerEEEEE10hipError_tT0_T1_T2_jT3_P12ihipStream_tbPNSt15iterator_traitsISI_E10value_typeEPNSO_ISJ_E10value_typeEPSK_NS1_7vsmem_tEENKUlT_SI_SJ_SK_E_clIPiSD_S10_SD_EESH_SX_SI_SJ_SK_EUlSX_E0_NS1_11comp_targetILNS1_3genE8ELNS1_11target_archE1030ELNS1_3gpuE2ELNS1_3repE0EEENS1_38merge_mergepath_config_static_selectorELNS0_4arch9wavefront6targetE1EEEvSJ_
; %bb.0:
	.section	.rodata,"a",@progbits
	.p2align	6, 0x0
	.amdhsa_kernel _ZN7rocprim17ROCPRIM_400000_NS6detail17trampoline_kernelINS0_14default_configENS1_38merge_sort_block_merge_config_selectorIiiEEZZNS1_27merge_sort_block_merge_implIS3_N6thrust23THRUST_200600_302600_NS6detail15normal_iteratorINS8_10device_ptrIiEEEESD_jNS1_19radix_merge_compareILb1ELb0EiNS0_19identity_decomposerEEEEE10hipError_tT0_T1_T2_jT3_P12ihipStream_tbPNSt15iterator_traitsISI_E10value_typeEPNSO_ISJ_E10value_typeEPSK_NS1_7vsmem_tEENKUlT_SI_SJ_SK_E_clIPiSD_S10_SD_EESH_SX_SI_SJ_SK_EUlSX_E0_NS1_11comp_targetILNS1_3genE8ELNS1_11target_archE1030ELNS1_3gpuE2ELNS1_3repE0EEENS1_38merge_mergepath_config_static_selectorELNS0_4arch9wavefront6targetE1EEEvSJ_
		.amdhsa_group_segment_fixed_size 0
		.amdhsa_private_segment_fixed_size 0
		.amdhsa_kernarg_size 64
		.amdhsa_user_sgpr_count 2
		.amdhsa_user_sgpr_dispatch_ptr 0
		.amdhsa_user_sgpr_queue_ptr 0
		.amdhsa_user_sgpr_kernarg_segment_ptr 1
		.amdhsa_user_sgpr_dispatch_id 0
		.amdhsa_user_sgpr_kernarg_preload_length 0
		.amdhsa_user_sgpr_kernarg_preload_offset 0
		.amdhsa_user_sgpr_private_segment_size 0
		.amdhsa_uses_dynamic_stack 0
		.amdhsa_enable_private_segment 0
		.amdhsa_system_sgpr_workgroup_id_x 1
		.amdhsa_system_sgpr_workgroup_id_y 0
		.amdhsa_system_sgpr_workgroup_id_z 0
		.amdhsa_system_sgpr_workgroup_info 0
		.amdhsa_system_vgpr_workitem_id 0
		.amdhsa_next_free_vgpr 1
		.amdhsa_next_free_sgpr 0
		.amdhsa_accum_offset 4
		.amdhsa_reserve_vcc 0
		.amdhsa_float_round_mode_32 0
		.amdhsa_float_round_mode_16_64 0
		.amdhsa_float_denorm_mode_32 3
		.amdhsa_float_denorm_mode_16_64 3
		.amdhsa_dx10_clamp 1
		.amdhsa_ieee_mode 1
		.amdhsa_fp16_overflow 0
		.amdhsa_tg_split 0
		.amdhsa_exception_fp_ieee_invalid_op 0
		.amdhsa_exception_fp_denorm_src 0
		.amdhsa_exception_fp_ieee_div_zero 0
		.amdhsa_exception_fp_ieee_overflow 0
		.amdhsa_exception_fp_ieee_underflow 0
		.amdhsa_exception_fp_ieee_inexact 0
		.amdhsa_exception_int_div_zero 0
	.end_amdhsa_kernel
	.section	.text._ZN7rocprim17ROCPRIM_400000_NS6detail17trampoline_kernelINS0_14default_configENS1_38merge_sort_block_merge_config_selectorIiiEEZZNS1_27merge_sort_block_merge_implIS3_N6thrust23THRUST_200600_302600_NS6detail15normal_iteratorINS8_10device_ptrIiEEEESD_jNS1_19radix_merge_compareILb1ELb0EiNS0_19identity_decomposerEEEEE10hipError_tT0_T1_T2_jT3_P12ihipStream_tbPNSt15iterator_traitsISI_E10value_typeEPNSO_ISJ_E10value_typeEPSK_NS1_7vsmem_tEENKUlT_SI_SJ_SK_E_clIPiSD_S10_SD_EESH_SX_SI_SJ_SK_EUlSX_E0_NS1_11comp_targetILNS1_3genE8ELNS1_11target_archE1030ELNS1_3gpuE2ELNS1_3repE0EEENS1_38merge_mergepath_config_static_selectorELNS0_4arch9wavefront6targetE1EEEvSJ_,"axG",@progbits,_ZN7rocprim17ROCPRIM_400000_NS6detail17trampoline_kernelINS0_14default_configENS1_38merge_sort_block_merge_config_selectorIiiEEZZNS1_27merge_sort_block_merge_implIS3_N6thrust23THRUST_200600_302600_NS6detail15normal_iteratorINS8_10device_ptrIiEEEESD_jNS1_19radix_merge_compareILb1ELb0EiNS0_19identity_decomposerEEEEE10hipError_tT0_T1_T2_jT3_P12ihipStream_tbPNSt15iterator_traitsISI_E10value_typeEPNSO_ISJ_E10value_typeEPSK_NS1_7vsmem_tEENKUlT_SI_SJ_SK_E_clIPiSD_S10_SD_EESH_SX_SI_SJ_SK_EUlSX_E0_NS1_11comp_targetILNS1_3genE8ELNS1_11target_archE1030ELNS1_3gpuE2ELNS1_3repE0EEENS1_38merge_mergepath_config_static_selectorELNS0_4arch9wavefront6targetE1EEEvSJ_,comdat
.Lfunc_end1738:
	.size	_ZN7rocprim17ROCPRIM_400000_NS6detail17trampoline_kernelINS0_14default_configENS1_38merge_sort_block_merge_config_selectorIiiEEZZNS1_27merge_sort_block_merge_implIS3_N6thrust23THRUST_200600_302600_NS6detail15normal_iteratorINS8_10device_ptrIiEEEESD_jNS1_19radix_merge_compareILb1ELb0EiNS0_19identity_decomposerEEEEE10hipError_tT0_T1_T2_jT3_P12ihipStream_tbPNSt15iterator_traitsISI_E10value_typeEPNSO_ISJ_E10value_typeEPSK_NS1_7vsmem_tEENKUlT_SI_SJ_SK_E_clIPiSD_S10_SD_EESH_SX_SI_SJ_SK_EUlSX_E0_NS1_11comp_targetILNS1_3genE8ELNS1_11target_archE1030ELNS1_3gpuE2ELNS1_3repE0EEENS1_38merge_mergepath_config_static_selectorELNS0_4arch9wavefront6targetE1EEEvSJ_, .Lfunc_end1738-_ZN7rocprim17ROCPRIM_400000_NS6detail17trampoline_kernelINS0_14default_configENS1_38merge_sort_block_merge_config_selectorIiiEEZZNS1_27merge_sort_block_merge_implIS3_N6thrust23THRUST_200600_302600_NS6detail15normal_iteratorINS8_10device_ptrIiEEEESD_jNS1_19radix_merge_compareILb1ELb0EiNS0_19identity_decomposerEEEEE10hipError_tT0_T1_T2_jT3_P12ihipStream_tbPNSt15iterator_traitsISI_E10value_typeEPNSO_ISJ_E10value_typeEPSK_NS1_7vsmem_tEENKUlT_SI_SJ_SK_E_clIPiSD_S10_SD_EESH_SX_SI_SJ_SK_EUlSX_E0_NS1_11comp_targetILNS1_3genE8ELNS1_11target_archE1030ELNS1_3gpuE2ELNS1_3repE0EEENS1_38merge_mergepath_config_static_selectorELNS0_4arch9wavefront6targetE1EEEvSJ_
                                        ; -- End function
	.set _ZN7rocprim17ROCPRIM_400000_NS6detail17trampoline_kernelINS0_14default_configENS1_38merge_sort_block_merge_config_selectorIiiEEZZNS1_27merge_sort_block_merge_implIS3_N6thrust23THRUST_200600_302600_NS6detail15normal_iteratorINS8_10device_ptrIiEEEESD_jNS1_19radix_merge_compareILb1ELb0EiNS0_19identity_decomposerEEEEE10hipError_tT0_T1_T2_jT3_P12ihipStream_tbPNSt15iterator_traitsISI_E10value_typeEPNSO_ISJ_E10value_typeEPSK_NS1_7vsmem_tEENKUlT_SI_SJ_SK_E_clIPiSD_S10_SD_EESH_SX_SI_SJ_SK_EUlSX_E0_NS1_11comp_targetILNS1_3genE8ELNS1_11target_archE1030ELNS1_3gpuE2ELNS1_3repE0EEENS1_38merge_mergepath_config_static_selectorELNS0_4arch9wavefront6targetE1EEEvSJ_.num_vgpr, 0
	.set _ZN7rocprim17ROCPRIM_400000_NS6detail17trampoline_kernelINS0_14default_configENS1_38merge_sort_block_merge_config_selectorIiiEEZZNS1_27merge_sort_block_merge_implIS3_N6thrust23THRUST_200600_302600_NS6detail15normal_iteratorINS8_10device_ptrIiEEEESD_jNS1_19radix_merge_compareILb1ELb0EiNS0_19identity_decomposerEEEEE10hipError_tT0_T1_T2_jT3_P12ihipStream_tbPNSt15iterator_traitsISI_E10value_typeEPNSO_ISJ_E10value_typeEPSK_NS1_7vsmem_tEENKUlT_SI_SJ_SK_E_clIPiSD_S10_SD_EESH_SX_SI_SJ_SK_EUlSX_E0_NS1_11comp_targetILNS1_3genE8ELNS1_11target_archE1030ELNS1_3gpuE2ELNS1_3repE0EEENS1_38merge_mergepath_config_static_selectorELNS0_4arch9wavefront6targetE1EEEvSJ_.num_agpr, 0
	.set _ZN7rocprim17ROCPRIM_400000_NS6detail17trampoline_kernelINS0_14default_configENS1_38merge_sort_block_merge_config_selectorIiiEEZZNS1_27merge_sort_block_merge_implIS3_N6thrust23THRUST_200600_302600_NS6detail15normal_iteratorINS8_10device_ptrIiEEEESD_jNS1_19radix_merge_compareILb1ELb0EiNS0_19identity_decomposerEEEEE10hipError_tT0_T1_T2_jT3_P12ihipStream_tbPNSt15iterator_traitsISI_E10value_typeEPNSO_ISJ_E10value_typeEPSK_NS1_7vsmem_tEENKUlT_SI_SJ_SK_E_clIPiSD_S10_SD_EESH_SX_SI_SJ_SK_EUlSX_E0_NS1_11comp_targetILNS1_3genE8ELNS1_11target_archE1030ELNS1_3gpuE2ELNS1_3repE0EEENS1_38merge_mergepath_config_static_selectorELNS0_4arch9wavefront6targetE1EEEvSJ_.numbered_sgpr, 0
	.set _ZN7rocprim17ROCPRIM_400000_NS6detail17trampoline_kernelINS0_14default_configENS1_38merge_sort_block_merge_config_selectorIiiEEZZNS1_27merge_sort_block_merge_implIS3_N6thrust23THRUST_200600_302600_NS6detail15normal_iteratorINS8_10device_ptrIiEEEESD_jNS1_19radix_merge_compareILb1ELb0EiNS0_19identity_decomposerEEEEE10hipError_tT0_T1_T2_jT3_P12ihipStream_tbPNSt15iterator_traitsISI_E10value_typeEPNSO_ISJ_E10value_typeEPSK_NS1_7vsmem_tEENKUlT_SI_SJ_SK_E_clIPiSD_S10_SD_EESH_SX_SI_SJ_SK_EUlSX_E0_NS1_11comp_targetILNS1_3genE8ELNS1_11target_archE1030ELNS1_3gpuE2ELNS1_3repE0EEENS1_38merge_mergepath_config_static_selectorELNS0_4arch9wavefront6targetE1EEEvSJ_.num_named_barrier, 0
	.set _ZN7rocprim17ROCPRIM_400000_NS6detail17trampoline_kernelINS0_14default_configENS1_38merge_sort_block_merge_config_selectorIiiEEZZNS1_27merge_sort_block_merge_implIS3_N6thrust23THRUST_200600_302600_NS6detail15normal_iteratorINS8_10device_ptrIiEEEESD_jNS1_19radix_merge_compareILb1ELb0EiNS0_19identity_decomposerEEEEE10hipError_tT0_T1_T2_jT3_P12ihipStream_tbPNSt15iterator_traitsISI_E10value_typeEPNSO_ISJ_E10value_typeEPSK_NS1_7vsmem_tEENKUlT_SI_SJ_SK_E_clIPiSD_S10_SD_EESH_SX_SI_SJ_SK_EUlSX_E0_NS1_11comp_targetILNS1_3genE8ELNS1_11target_archE1030ELNS1_3gpuE2ELNS1_3repE0EEENS1_38merge_mergepath_config_static_selectorELNS0_4arch9wavefront6targetE1EEEvSJ_.private_seg_size, 0
	.set _ZN7rocprim17ROCPRIM_400000_NS6detail17trampoline_kernelINS0_14default_configENS1_38merge_sort_block_merge_config_selectorIiiEEZZNS1_27merge_sort_block_merge_implIS3_N6thrust23THRUST_200600_302600_NS6detail15normal_iteratorINS8_10device_ptrIiEEEESD_jNS1_19radix_merge_compareILb1ELb0EiNS0_19identity_decomposerEEEEE10hipError_tT0_T1_T2_jT3_P12ihipStream_tbPNSt15iterator_traitsISI_E10value_typeEPNSO_ISJ_E10value_typeEPSK_NS1_7vsmem_tEENKUlT_SI_SJ_SK_E_clIPiSD_S10_SD_EESH_SX_SI_SJ_SK_EUlSX_E0_NS1_11comp_targetILNS1_3genE8ELNS1_11target_archE1030ELNS1_3gpuE2ELNS1_3repE0EEENS1_38merge_mergepath_config_static_selectorELNS0_4arch9wavefront6targetE1EEEvSJ_.uses_vcc, 0
	.set _ZN7rocprim17ROCPRIM_400000_NS6detail17trampoline_kernelINS0_14default_configENS1_38merge_sort_block_merge_config_selectorIiiEEZZNS1_27merge_sort_block_merge_implIS3_N6thrust23THRUST_200600_302600_NS6detail15normal_iteratorINS8_10device_ptrIiEEEESD_jNS1_19radix_merge_compareILb1ELb0EiNS0_19identity_decomposerEEEEE10hipError_tT0_T1_T2_jT3_P12ihipStream_tbPNSt15iterator_traitsISI_E10value_typeEPNSO_ISJ_E10value_typeEPSK_NS1_7vsmem_tEENKUlT_SI_SJ_SK_E_clIPiSD_S10_SD_EESH_SX_SI_SJ_SK_EUlSX_E0_NS1_11comp_targetILNS1_3genE8ELNS1_11target_archE1030ELNS1_3gpuE2ELNS1_3repE0EEENS1_38merge_mergepath_config_static_selectorELNS0_4arch9wavefront6targetE1EEEvSJ_.uses_flat_scratch, 0
	.set _ZN7rocprim17ROCPRIM_400000_NS6detail17trampoline_kernelINS0_14default_configENS1_38merge_sort_block_merge_config_selectorIiiEEZZNS1_27merge_sort_block_merge_implIS3_N6thrust23THRUST_200600_302600_NS6detail15normal_iteratorINS8_10device_ptrIiEEEESD_jNS1_19radix_merge_compareILb1ELb0EiNS0_19identity_decomposerEEEEE10hipError_tT0_T1_T2_jT3_P12ihipStream_tbPNSt15iterator_traitsISI_E10value_typeEPNSO_ISJ_E10value_typeEPSK_NS1_7vsmem_tEENKUlT_SI_SJ_SK_E_clIPiSD_S10_SD_EESH_SX_SI_SJ_SK_EUlSX_E0_NS1_11comp_targetILNS1_3genE8ELNS1_11target_archE1030ELNS1_3gpuE2ELNS1_3repE0EEENS1_38merge_mergepath_config_static_selectorELNS0_4arch9wavefront6targetE1EEEvSJ_.has_dyn_sized_stack, 0
	.set _ZN7rocprim17ROCPRIM_400000_NS6detail17trampoline_kernelINS0_14default_configENS1_38merge_sort_block_merge_config_selectorIiiEEZZNS1_27merge_sort_block_merge_implIS3_N6thrust23THRUST_200600_302600_NS6detail15normal_iteratorINS8_10device_ptrIiEEEESD_jNS1_19radix_merge_compareILb1ELb0EiNS0_19identity_decomposerEEEEE10hipError_tT0_T1_T2_jT3_P12ihipStream_tbPNSt15iterator_traitsISI_E10value_typeEPNSO_ISJ_E10value_typeEPSK_NS1_7vsmem_tEENKUlT_SI_SJ_SK_E_clIPiSD_S10_SD_EESH_SX_SI_SJ_SK_EUlSX_E0_NS1_11comp_targetILNS1_3genE8ELNS1_11target_archE1030ELNS1_3gpuE2ELNS1_3repE0EEENS1_38merge_mergepath_config_static_selectorELNS0_4arch9wavefront6targetE1EEEvSJ_.has_recursion, 0
	.set _ZN7rocprim17ROCPRIM_400000_NS6detail17trampoline_kernelINS0_14default_configENS1_38merge_sort_block_merge_config_selectorIiiEEZZNS1_27merge_sort_block_merge_implIS3_N6thrust23THRUST_200600_302600_NS6detail15normal_iteratorINS8_10device_ptrIiEEEESD_jNS1_19radix_merge_compareILb1ELb0EiNS0_19identity_decomposerEEEEE10hipError_tT0_T1_T2_jT3_P12ihipStream_tbPNSt15iterator_traitsISI_E10value_typeEPNSO_ISJ_E10value_typeEPSK_NS1_7vsmem_tEENKUlT_SI_SJ_SK_E_clIPiSD_S10_SD_EESH_SX_SI_SJ_SK_EUlSX_E0_NS1_11comp_targetILNS1_3genE8ELNS1_11target_archE1030ELNS1_3gpuE2ELNS1_3repE0EEENS1_38merge_mergepath_config_static_selectorELNS0_4arch9wavefront6targetE1EEEvSJ_.has_indirect_call, 0
	.section	.AMDGPU.csdata,"",@progbits
; Kernel info:
; codeLenInByte = 0
; TotalNumSgprs: 6
; NumVgprs: 0
; NumAgprs: 0
; TotalNumVgprs: 0
; ScratchSize: 0
; MemoryBound: 0
; FloatMode: 240
; IeeeMode: 1
; LDSByteSize: 0 bytes/workgroup (compile time only)
; SGPRBlocks: 0
; VGPRBlocks: 0
; NumSGPRsForWavesPerEU: 6
; NumVGPRsForWavesPerEU: 1
; AccumOffset: 4
; Occupancy: 8
; WaveLimiterHint : 0
; COMPUTE_PGM_RSRC2:SCRATCH_EN: 0
; COMPUTE_PGM_RSRC2:USER_SGPR: 2
; COMPUTE_PGM_RSRC2:TRAP_HANDLER: 0
; COMPUTE_PGM_RSRC2:TGID_X_EN: 1
; COMPUTE_PGM_RSRC2:TGID_Y_EN: 0
; COMPUTE_PGM_RSRC2:TGID_Z_EN: 0
; COMPUTE_PGM_RSRC2:TIDIG_COMP_CNT: 0
; COMPUTE_PGM_RSRC3_GFX90A:ACCUM_OFFSET: 0
; COMPUTE_PGM_RSRC3_GFX90A:TG_SPLIT: 0
	.section	.text._ZN7rocprim17ROCPRIM_400000_NS6detail17trampoline_kernelINS0_14default_configENS1_38merge_sort_block_merge_config_selectorIiiEEZZNS1_27merge_sort_block_merge_implIS3_N6thrust23THRUST_200600_302600_NS6detail15normal_iteratorINS8_10device_ptrIiEEEESD_jNS1_19radix_merge_compareILb1ELb0EiNS0_19identity_decomposerEEEEE10hipError_tT0_T1_T2_jT3_P12ihipStream_tbPNSt15iterator_traitsISI_E10value_typeEPNSO_ISJ_E10value_typeEPSK_NS1_7vsmem_tEENKUlT_SI_SJ_SK_E_clIPiSD_S10_SD_EESH_SX_SI_SJ_SK_EUlSX_E1_NS1_11comp_targetILNS1_3genE0ELNS1_11target_archE4294967295ELNS1_3gpuE0ELNS1_3repE0EEENS1_36merge_oddeven_config_static_selectorELNS0_4arch9wavefront6targetE1EEEvSJ_,"axG",@progbits,_ZN7rocprim17ROCPRIM_400000_NS6detail17trampoline_kernelINS0_14default_configENS1_38merge_sort_block_merge_config_selectorIiiEEZZNS1_27merge_sort_block_merge_implIS3_N6thrust23THRUST_200600_302600_NS6detail15normal_iteratorINS8_10device_ptrIiEEEESD_jNS1_19radix_merge_compareILb1ELb0EiNS0_19identity_decomposerEEEEE10hipError_tT0_T1_T2_jT3_P12ihipStream_tbPNSt15iterator_traitsISI_E10value_typeEPNSO_ISJ_E10value_typeEPSK_NS1_7vsmem_tEENKUlT_SI_SJ_SK_E_clIPiSD_S10_SD_EESH_SX_SI_SJ_SK_EUlSX_E1_NS1_11comp_targetILNS1_3genE0ELNS1_11target_archE4294967295ELNS1_3gpuE0ELNS1_3repE0EEENS1_36merge_oddeven_config_static_selectorELNS0_4arch9wavefront6targetE1EEEvSJ_,comdat
	.protected	_ZN7rocprim17ROCPRIM_400000_NS6detail17trampoline_kernelINS0_14default_configENS1_38merge_sort_block_merge_config_selectorIiiEEZZNS1_27merge_sort_block_merge_implIS3_N6thrust23THRUST_200600_302600_NS6detail15normal_iteratorINS8_10device_ptrIiEEEESD_jNS1_19radix_merge_compareILb1ELb0EiNS0_19identity_decomposerEEEEE10hipError_tT0_T1_T2_jT3_P12ihipStream_tbPNSt15iterator_traitsISI_E10value_typeEPNSO_ISJ_E10value_typeEPSK_NS1_7vsmem_tEENKUlT_SI_SJ_SK_E_clIPiSD_S10_SD_EESH_SX_SI_SJ_SK_EUlSX_E1_NS1_11comp_targetILNS1_3genE0ELNS1_11target_archE4294967295ELNS1_3gpuE0ELNS1_3repE0EEENS1_36merge_oddeven_config_static_selectorELNS0_4arch9wavefront6targetE1EEEvSJ_ ; -- Begin function _ZN7rocprim17ROCPRIM_400000_NS6detail17trampoline_kernelINS0_14default_configENS1_38merge_sort_block_merge_config_selectorIiiEEZZNS1_27merge_sort_block_merge_implIS3_N6thrust23THRUST_200600_302600_NS6detail15normal_iteratorINS8_10device_ptrIiEEEESD_jNS1_19radix_merge_compareILb1ELb0EiNS0_19identity_decomposerEEEEE10hipError_tT0_T1_T2_jT3_P12ihipStream_tbPNSt15iterator_traitsISI_E10value_typeEPNSO_ISJ_E10value_typeEPSK_NS1_7vsmem_tEENKUlT_SI_SJ_SK_E_clIPiSD_S10_SD_EESH_SX_SI_SJ_SK_EUlSX_E1_NS1_11comp_targetILNS1_3genE0ELNS1_11target_archE4294967295ELNS1_3gpuE0ELNS1_3repE0EEENS1_36merge_oddeven_config_static_selectorELNS0_4arch9wavefront6targetE1EEEvSJ_
	.globl	_ZN7rocprim17ROCPRIM_400000_NS6detail17trampoline_kernelINS0_14default_configENS1_38merge_sort_block_merge_config_selectorIiiEEZZNS1_27merge_sort_block_merge_implIS3_N6thrust23THRUST_200600_302600_NS6detail15normal_iteratorINS8_10device_ptrIiEEEESD_jNS1_19radix_merge_compareILb1ELb0EiNS0_19identity_decomposerEEEEE10hipError_tT0_T1_T2_jT3_P12ihipStream_tbPNSt15iterator_traitsISI_E10value_typeEPNSO_ISJ_E10value_typeEPSK_NS1_7vsmem_tEENKUlT_SI_SJ_SK_E_clIPiSD_S10_SD_EESH_SX_SI_SJ_SK_EUlSX_E1_NS1_11comp_targetILNS1_3genE0ELNS1_11target_archE4294967295ELNS1_3gpuE0ELNS1_3repE0EEENS1_36merge_oddeven_config_static_selectorELNS0_4arch9wavefront6targetE1EEEvSJ_
	.p2align	8
	.type	_ZN7rocprim17ROCPRIM_400000_NS6detail17trampoline_kernelINS0_14default_configENS1_38merge_sort_block_merge_config_selectorIiiEEZZNS1_27merge_sort_block_merge_implIS3_N6thrust23THRUST_200600_302600_NS6detail15normal_iteratorINS8_10device_ptrIiEEEESD_jNS1_19radix_merge_compareILb1ELb0EiNS0_19identity_decomposerEEEEE10hipError_tT0_T1_T2_jT3_P12ihipStream_tbPNSt15iterator_traitsISI_E10value_typeEPNSO_ISJ_E10value_typeEPSK_NS1_7vsmem_tEENKUlT_SI_SJ_SK_E_clIPiSD_S10_SD_EESH_SX_SI_SJ_SK_EUlSX_E1_NS1_11comp_targetILNS1_3genE0ELNS1_11target_archE4294967295ELNS1_3gpuE0ELNS1_3repE0EEENS1_36merge_oddeven_config_static_selectorELNS0_4arch9wavefront6targetE1EEEvSJ_,@function
_ZN7rocprim17ROCPRIM_400000_NS6detail17trampoline_kernelINS0_14default_configENS1_38merge_sort_block_merge_config_selectorIiiEEZZNS1_27merge_sort_block_merge_implIS3_N6thrust23THRUST_200600_302600_NS6detail15normal_iteratorINS8_10device_ptrIiEEEESD_jNS1_19radix_merge_compareILb1ELb0EiNS0_19identity_decomposerEEEEE10hipError_tT0_T1_T2_jT3_P12ihipStream_tbPNSt15iterator_traitsISI_E10value_typeEPNSO_ISJ_E10value_typeEPSK_NS1_7vsmem_tEENKUlT_SI_SJ_SK_E_clIPiSD_S10_SD_EESH_SX_SI_SJ_SK_EUlSX_E1_NS1_11comp_targetILNS1_3genE0ELNS1_11target_archE4294967295ELNS1_3gpuE0ELNS1_3repE0EEENS1_36merge_oddeven_config_static_selectorELNS0_4arch9wavefront6targetE1EEEvSJ_: ; @_ZN7rocprim17ROCPRIM_400000_NS6detail17trampoline_kernelINS0_14default_configENS1_38merge_sort_block_merge_config_selectorIiiEEZZNS1_27merge_sort_block_merge_implIS3_N6thrust23THRUST_200600_302600_NS6detail15normal_iteratorINS8_10device_ptrIiEEEESD_jNS1_19radix_merge_compareILb1ELb0EiNS0_19identity_decomposerEEEEE10hipError_tT0_T1_T2_jT3_P12ihipStream_tbPNSt15iterator_traitsISI_E10value_typeEPNSO_ISJ_E10value_typeEPSK_NS1_7vsmem_tEENKUlT_SI_SJ_SK_E_clIPiSD_S10_SD_EESH_SX_SI_SJ_SK_EUlSX_E1_NS1_11comp_targetILNS1_3genE0ELNS1_11target_archE4294967295ELNS1_3gpuE0ELNS1_3repE0EEENS1_36merge_oddeven_config_static_selectorELNS0_4arch9wavefront6targetE1EEEvSJ_
; %bb.0:
	s_load_dword s18, s[0:1], 0x20
	s_waitcnt lgkmcnt(0)
	s_lshr_b32 s3, s18, 8
	s_cmp_eq_u32 s2, s3
	s_cselect_b64 s[6:7], -1, 0
	s_cmp_lg_u32 s2, s3
	s_cselect_b64 s[8:9], -1, 0
	s_lshl_b32 s16, s2, 8
	s_sub_i32 s3, s18, s16
	v_cmp_gt_u32_e64 s[4:5], s3, v0
	s_or_b64 s[8:9], s[8:9], s[4:5]
	s_and_saveexec_b64 s[10:11], s[8:9]
	s_cbranch_execz .LBB1739_24
; %bb.1:
	s_load_dwordx8 s[8:15], s[0:1], 0x0
	s_mov_b32 s17, 0
	s_lshl_b64 s[20:21], s[16:17], 2
	v_lshlrev_b32_e32 v1, 2, v0
	s_load_dword s17, s[0:1], 0x24
	s_waitcnt lgkmcnt(0)
	s_add_u32 s22, s8, s20
	s_addc_u32 s23, s9, s21
	s_add_u32 s12, s12, s20
	s_addc_u32 s13, s13, s21
	global_load_dword v2, v1, s[12:13]
	global_load_dword v3, v1, s[22:23]
	s_lshr_b32 s0, s17, 8
	s_sub_i32 s1, 0, s0
	s_and_b32 s1, s2, s1
	s_and_b32 s0, s1, s0
	s_lshl_b32 s19, s1, 8
	s_sub_i32 s12, 0, s17
	s_cmp_eq_u32 s0, 0
	s_cselect_b64 s[0:1], -1, 0
	s_and_b64 s[2:3], s[0:1], exec
	s_cselect_b32 s12, s17, s12
	s_add_i32 s12, s12, s19
	s_mov_b64 s[2:3], -1
	s_cmp_gt_u32 s18, s12
	v_add_u32_e32 v0, s16, v0
	s_cbranch_scc1 .LBB1739_9
; %bb.2:
	s_and_b64 vcc, exec, s[6:7]
	s_cbranch_vccz .LBB1739_6
; %bb.3:
	v_cmp_gt_u32_e32 vcc, s18, v0
	s_and_saveexec_b64 s[2:3], vcc
	s_cbranch_execz .LBB1739_5
; %bb.4:
	v_mov_b32_e32 v1, 0
	v_lshlrev_b64 v[4:5], 2, v[0:1]
	v_lshl_add_u64 v[6:7], s[10:11], 0, v[4:5]
	v_lshl_add_u64 v[4:5], s[14:15], 0, v[4:5]
	s_waitcnt vmcnt(0)
	global_store_dword v[6:7], v3, off
	global_store_dword v[4:5], v2, off
.LBB1739_5:
	s_or_b64 exec, exec, s[2:3]
	s_mov_b64 s[2:3], 0
.LBB1739_6:
	s_andn2_b64 vcc, exec, s[2:3]
	s_cbranch_vccnz .LBB1739_8
; %bb.7:
	v_mov_b32_e32 v1, 0
	v_lshlrev_b64 v[4:5], 2, v[0:1]
	v_lshl_add_u64 v[6:7], s[10:11], 0, v[4:5]
	v_lshl_add_u64 v[4:5], s[14:15], 0, v[4:5]
	s_waitcnt vmcnt(0)
	global_store_dword v[6:7], v3, off
	global_store_dword v[4:5], v2, off
.LBB1739_8:
	s_mov_b64 s[2:3], 0
.LBB1739_9:
	s_andn2_b64 vcc, exec, s[2:3]
	s_cbranch_vccnz .LBB1739_24
; %bb.10:
	s_min_u32 s13, s12, s18
	s_add_i32 s2, s13, s17
	s_min_u32 s16, s2, s18
	s_min_u32 s2, s19, s13
	s_add_i32 s19, s19, s13
	v_subrev_u32_e32 v0, s19, v0
	v_add_u32_e32 v4, s2, v0
	s_andn2_b64 vcc, exec, s[6:7]
	s_mov_b64 s[2:3], -1
	s_cbranch_vccnz .LBB1739_18
; %bb.11:
	s_and_saveexec_b64 s[2:3], s[4:5]
	s_cbranch_execz .LBB1739_17
; %bb.12:
	s_cmp_ge_u32 s12, s16
	v_mov_b32_e32 v5, s13
	s_cbranch_scc1 .LBB1739_16
; %bb.13:
	s_mov_b64 s[4:5], 0
	v_mov_b32_e32 v6, s16
	v_mov_b32_e32 v5, s13
	;; [unrolled: 1-line block ×3, first 2 shown]
.LBB1739_14:                            ; =>This Inner Loop Header: Depth=1
	v_add_u32_e32 v0, v5, v6
	v_lshrrev_b32_e32 v0, 1, v0
	v_lshl_add_u64 v[8:9], v[0:1], 2, s[8:9]
	global_load_dword v7, v[8:9], off
	v_add_u32_e32 v8, 1, v0
	s_waitcnt vmcnt(0)
	v_cmp_gt_i32_e32 vcc, v7, v3
	s_nop 1
	v_cndmask_b32_e64 v9, 0, 1, vcc
	v_cmp_le_i32_e32 vcc, v3, v7
	s_nop 1
	v_cndmask_b32_e64 v7, 0, 1, vcc
	v_cndmask_b32_e64 v7, v7, v9, s[0:1]
	v_and_b32_e32 v7, 1, v7
	v_cmp_eq_u32_e32 vcc, 1, v7
	s_nop 1
	v_cndmask_b32_e32 v6, v0, v6, vcc
	v_cndmask_b32_e32 v5, v5, v8, vcc
	v_cmp_ge_u32_e32 vcc, v5, v6
	s_or_b64 s[4:5], vcc, s[4:5]
	s_andn2_b64 exec, exec, s[4:5]
	s_cbranch_execnz .LBB1739_14
; %bb.15:
	s_or_b64 exec, exec, s[4:5]
.LBB1739_16:
	v_add_u32_e32 v0, v5, v4
	v_mov_b32_e32 v1, 0
	v_lshlrev_b64 v[0:1], 2, v[0:1]
	v_lshl_add_u64 v[6:7], s[10:11], 0, v[0:1]
	v_lshl_add_u64 v[0:1], s[14:15], 0, v[0:1]
	s_waitcnt vmcnt(0)
	global_store_dword v[6:7], v3, off
	global_store_dword v[0:1], v2, off
.LBB1739_17:
	s_or_b64 exec, exec, s[2:3]
	s_mov_b64 s[2:3], 0
.LBB1739_18:
	s_andn2_b64 vcc, exec, s[2:3]
	s_cbranch_vccnz .LBB1739_24
; %bb.19:
	s_cmp_ge_u32 s12, s16
	v_mov_b32_e32 v5, s13
	s_cbranch_scc1 .LBB1739_23
; %bb.20:
	s_mov_b64 s[2:3], 0
	v_mov_b32_e32 v6, s16
	v_mov_b32_e32 v5, s13
	;; [unrolled: 1-line block ×3, first 2 shown]
.LBB1739_21:                            ; =>This Inner Loop Header: Depth=1
	v_add_u32_e32 v0, v5, v6
	v_lshrrev_b32_e32 v0, 1, v0
	v_lshl_add_u64 v[8:9], v[0:1], 2, s[8:9]
	global_load_dword v7, v[8:9], off
	v_add_u32_e32 v8, 1, v0
	s_waitcnt vmcnt(0)
	v_cmp_gt_i32_e32 vcc, v7, v3
	s_nop 1
	v_cndmask_b32_e64 v9, 0, 1, vcc
	v_cmp_le_i32_e32 vcc, v3, v7
	s_nop 1
	v_cndmask_b32_e64 v7, 0, 1, vcc
	v_cndmask_b32_e64 v7, v7, v9, s[0:1]
	v_and_b32_e32 v7, 1, v7
	v_cmp_eq_u32_e32 vcc, 1, v7
	s_nop 1
	v_cndmask_b32_e32 v6, v0, v6, vcc
	v_cndmask_b32_e32 v5, v5, v8, vcc
	v_cmp_ge_u32_e32 vcc, v5, v6
	s_or_b64 s[2:3], vcc, s[2:3]
	s_andn2_b64 exec, exec, s[2:3]
	s_cbranch_execnz .LBB1739_21
; %bb.22:
	s_or_b64 exec, exec, s[2:3]
.LBB1739_23:
	v_add_u32_e32 v0, v5, v4
	v_mov_b32_e32 v1, 0
	v_lshlrev_b64 v[0:1], 2, v[0:1]
	v_lshl_add_u64 v[4:5], s[10:11], 0, v[0:1]
	v_lshl_add_u64 v[0:1], s[14:15], 0, v[0:1]
	s_waitcnt vmcnt(0)
	global_store_dword v[4:5], v3, off
	global_store_dword v[0:1], v2, off
.LBB1739_24:
	s_endpgm
	.section	.rodata,"a",@progbits
	.p2align	6, 0x0
	.amdhsa_kernel _ZN7rocprim17ROCPRIM_400000_NS6detail17trampoline_kernelINS0_14default_configENS1_38merge_sort_block_merge_config_selectorIiiEEZZNS1_27merge_sort_block_merge_implIS3_N6thrust23THRUST_200600_302600_NS6detail15normal_iteratorINS8_10device_ptrIiEEEESD_jNS1_19radix_merge_compareILb1ELb0EiNS0_19identity_decomposerEEEEE10hipError_tT0_T1_T2_jT3_P12ihipStream_tbPNSt15iterator_traitsISI_E10value_typeEPNSO_ISJ_E10value_typeEPSK_NS1_7vsmem_tEENKUlT_SI_SJ_SK_E_clIPiSD_S10_SD_EESH_SX_SI_SJ_SK_EUlSX_E1_NS1_11comp_targetILNS1_3genE0ELNS1_11target_archE4294967295ELNS1_3gpuE0ELNS1_3repE0EEENS1_36merge_oddeven_config_static_selectorELNS0_4arch9wavefront6targetE1EEEvSJ_
		.amdhsa_group_segment_fixed_size 0
		.amdhsa_private_segment_fixed_size 0
		.amdhsa_kernarg_size 48
		.amdhsa_user_sgpr_count 2
		.amdhsa_user_sgpr_dispatch_ptr 0
		.amdhsa_user_sgpr_queue_ptr 0
		.amdhsa_user_sgpr_kernarg_segment_ptr 1
		.amdhsa_user_sgpr_dispatch_id 0
		.amdhsa_user_sgpr_kernarg_preload_length 0
		.amdhsa_user_sgpr_kernarg_preload_offset 0
		.amdhsa_user_sgpr_private_segment_size 0
		.amdhsa_uses_dynamic_stack 0
		.amdhsa_enable_private_segment 0
		.amdhsa_system_sgpr_workgroup_id_x 1
		.amdhsa_system_sgpr_workgroup_id_y 0
		.amdhsa_system_sgpr_workgroup_id_z 0
		.amdhsa_system_sgpr_workgroup_info 0
		.amdhsa_system_vgpr_workitem_id 0
		.amdhsa_next_free_vgpr 10
		.amdhsa_next_free_sgpr 24
		.amdhsa_accum_offset 12
		.amdhsa_reserve_vcc 1
		.amdhsa_float_round_mode_32 0
		.amdhsa_float_round_mode_16_64 0
		.amdhsa_float_denorm_mode_32 3
		.amdhsa_float_denorm_mode_16_64 3
		.amdhsa_dx10_clamp 1
		.amdhsa_ieee_mode 1
		.amdhsa_fp16_overflow 0
		.amdhsa_tg_split 0
		.amdhsa_exception_fp_ieee_invalid_op 0
		.amdhsa_exception_fp_denorm_src 0
		.amdhsa_exception_fp_ieee_div_zero 0
		.amdhsa_exception_fp_ieee_overflow 0
		.amdhsa_exception_fp_ieee_underflow 0
		.amdhsa_exception_fp_ieee_inexact 0
		.amdhsa_exception_int_div_zero 0
	.end_amdhsa_kernel
	.section	.text._ZN7rocprim17ROCPRIM_400000_NS6detail17trampoline_kernelINS0_14default_configENS1_38merge_sort_block_merge_config_selectorIiiEEZZNS1_27merge_sort_block_merge_implIS3_N6thrust23THRUST_200600_302600_NS6detail15normal_iteratorINS8_10device_ptrIiEEEESD_jNS1_19radix_merge_compareILb1ELb0EiNS0_19identity_decomposerEEEEE10hipError_tT0_T1_T2_jT3_P12ihipStream_tbPNSt15iterator_traitsISI_E10value_typeEPNSO_ISJ_E10value_typeEPSK_NS1_7vsmem_tEENKUlT_SI_SJ_SK_E_clIPiSD_S10_SD_EESH_SX_SI_SJ_SK_EUlSX_E1_NS1_11comp_targetILNS1_3genE0ELNS1_11target_archE4294967295ELNS1_3gpuE0ELNS1_3repE0EEENS1_36merge_oddeven_config_static_selectorELNS0_4arch9wavefront6targetE1EEEvSJ_,"axG",@progbits,_ZN7rocprim17ROCPRIM_400000_NS6detail17trampoline_kernelINS0_14default_configENS1_38merge_sort_block_merge_config_selectorIiiEEZZNS1_27merge_sort_block_merge_implIS3_N6thrust23THRUST_200600_302600_NS6detail15normal_iteratorINS8_10device_ptrIiEEEESD_jNS1_19radix_merge_compareILb1ELb0EiNS0_19identity_decomposerEEEEE10hipError_tT0_T1_T2_jT3_P12ihipStream_tbPNSt15iterator_traitsISI_E10value_typeEPNSO_ISJ_E10value_typeEPSK_NS1_7vsmem_tEENKUlT_SI_SJ_SK_E_clIPiSD_S10_SD_EESH_SX_SI_SJ_SK_EUlSX_E1_NS1_11comp_targetILNS1_3genE0ELNS1_11target_archE4294967295ELNS1_3gpuE0ELNS1_3repE0EEENS1_36merge_oddeven_config_static_selectorELNS0_4arch9wavefront6targetE1EEEvSJ_,comdat
.Lfunc_end1739:
	.size	_ZN7rocprim17ROCPRIM_400000_NS6detail17trampoline_kernelINS0_14default_configENS1_38merge_sort_block_merge_config_selectorIiiEEZZNS1_27merge_sort_block_merge_implIS3_N6thrust23THRUST_200600_302600_NS6detail15normal_iteratorINS8_10device_ptrIiEEEESD_jNS1_19radix_merge_compareILb1ELb0EiNS0_19identity_decomposerEEEEE10hipError_tT0_T1_T2_jT3_P12ihipStream_tbPNSt15iterator_traitsISI_E10value_typeEPNSO_ISJ_E10value_typeEPSK_NS1_7vsmem_tEENKUlT_SI_SJ_SK_E_clIPiSD_S10_SD_EESH_SX_SI_SJ_SK_EUlSX_E1_NS1_11comp_targetILNS1_3genE0ELNS1_11target_archE4294967295ELNS1_3gpuE0ELNS1_3repE0EEENS1_36merge_oddeven_config_static_selectorELNS0_4arch9wavefront6targetE1EEEvSJ_, .Lfunc_end1739-_ZN7rocprim17ROCPRIM_400000_NS6detail17trampoline_kernelINS0_14default_configENS1_38merge_sort_block_merge_config_selectorIiiEEZZNS1_27merge_sort_block_merge_implIS3_N6thrust23THRUST_200600_302600_NS6detail15normal_iteratorINS8_10device_ptrIiEEEESD_jNS1_19radix_merge_compareILb1ELb0EiNS0_19identity_decomposerEEEEE10hipError_tT0_T1_T2_jT3_P12ihipStream_tbPNSt15iterator_traitsISI_E10value_typeEPNSO_ISJ_E10value_typeEPSK_NS1_7vsmem_tEENKUlT_SI_SJ_SK_E_clIPiSD_S10_SD_EESH_SX_SI_SJ_SK_EUlSX_E1_NS1_11comp_targetILNS1_3genE0ELNS1_11target_archE4294967295ELNS1_3gpuE0ELNS1_3repE0EEENS1_36merge_oddeven_config_static_selectorELNS0_4arch9wavefront6targetE1EEEvSJ_
                                        ; -- End function
	.set _ZN7rocprim17ROCPRIM_400000_NS6detail17trampoline_kernelINS0_14default_configENS1_38merge_sort_block_merge_config_selectorIiiEEZZNS1_27merge_sort_block_merge_implIS3_N6thrust23THRUST_200600_302600_NS6detail15normal_iteratorINS8_10device_ptrIiEEEESD_jNS1_19radix_merge_compareILb1ELb0EiNS0_19identity_decomposerEEEEE10hipError_tT0_T1_T2_jT3_P12ihipStream_tbPNSt15iterator_traitsISI_E10value_typeEPNSO_ISJ_E10value_typeEPSK_NS1_7vsmem_tEENKUlT_SI_SJ_SK_E_clIPiSD_S10_SD_EESH_SX_SI_SJ_SK_EUlSX_E1_NS1_11comp_targetILNS1_3genE0ELNS1_11target_archE4294967295ELNS1_3gpuE0ELNS1_3repE0EEENS1_36merge_oddeven_config_static_selectorELNS0_4arch9wavefront6targetE1EEEvSJ_.num_vgpr, 10
	.set _ZN7rocprim17ROCPRIM_400000_NS6detail17trampoline_kernelINS0_14default_configENS1_38merge_sort_block_merge_config_selectorIiiEEZZNS1_27merge_sort_block_merge_implIS3_N6thrust23THRUST_200600_302600_NS6detail15normal_iteratorINS8_10device_ptrIiEEEESD_jNS1_19radix_merge_compareILb1ELb0EiNS0_19identity_decomposerEEEEE10hipError_tT0_T1_T2_jT3_P12ihipStream_tbPNSt15iterator_traitsISI_E10value_typeEPNSO_ISJ_E10value_typeEPSK_NS1_7vsmem_tEENKUlT_SI_SJ_SK_E_clIPiSD_S10_SD_EESH_SX_SI_SJ_SK_EUlSX_E1_NS1_11comp_targetILNS1_3genE0ELNS1_11target_archE4294967295ELNS1_3gpuE0ELNS1_3repE0EEENS1_36merge_oddeven_config_static_selectorELNS0_4arch9wavefront6targetE1EEEvSJ_.num_agpr, 0
	.set _ZN7rocprim17ROCPRIM_400000_NS6detail17trampoline_kernelINS0_14default_configENS1_38merge_sort_block_merge_config_selectorIiiEEZZNS1_27merge_sort_block_merge_implIS3_N6thrust23THRUST_200600_302600_NS6detail15normal_iteratorINS8_10device_ptrIiEEEESD_jNS1_19radix_merge_compareILb1ELb0EiNS0_19identity_decomposerEEEEE10hipError_tT0_T1_T2_jT3_P12ihipStream_tbPNSt15iterator_traitsISI_E10value_typeEPNSO_ISJ_E10value_typeEPSK_NS1_7vsmem_tEENKUlT_SI_SJ_SK_E_clIPiSD_S10_SD_EESH_SX_SI_SJ_SK_EUlSX_E1_NS1_11comp_targetILNS1_3genE0ELNS1_11target_archE4294967295ELNS1_3gpuE0ELNS1_3repE0EEENS1_36merge_oddeven_config_static_selectorELNS0_4arch9wavefront6targetE1EEEvSJ_.numbered_sgpr, 24
	.set _ZN7rocprim17ROCPRIM_400000_NS6detail17trampoline_kernelINS0_14default_configENS1_38merge_sort_block_merge_config_selectorIiiEEZZNS1_27merge_sort_block_merge_implIS3_N6thrust23THRUST_200600_302600_NS6detail15normal_iteratorINS8_10device_ptrIiEEEESD_jNS1_19radix_merge_compareILb1ELb0EiNS0_19identity_decomposerEEEEE10hipError_tT0_T1_T2_jT3_P12ihipStream_tbPNSt15iterator_traitsISI_E10value_typeEPNSO_ISJ_E10value_typeEPSK_NS1_7vsmem_tEENKUlT_SI_SJ_SK_E_clIPiSD_S10_SD_EESH_SX_SI_SJ_SK_EUlSX_E1_NS1_11comp_targetILNS1_3genE0ELNS1_11target_archE4294967295ELNS1_3gpuE0ELNS1_3repE0EEENS1_36merge_oddeven_config_static_selectorELNS0_4arch9wavefront6targetE1EEEvSJ_.num_named_barrier, 0
	.set _ZN7rocprim17ROCPRIM_400000_NS6detail17trampoline_kernelINS0_14default_configENS1_38merge_sort_block_merge_config_selectorIiiEEZZNS1_27merge_sort_block_merge_implIS3_N6thrust23THRUST_200600_302600_NS6detail15normal_iteratorINS8_10device_ptrIiEEEESD_jNS1_19radix_merge_compareILb1ELb0EiNS0_19identity_decomposerEEEEE10hipError_tT0_T1_T2_jT3_P12ihipStream_tbPNSt15iterator_traitsISI_E10value_typeEPNSO_ISJ_E10value_typeEPSK_NS1_7vsmem_tEENKUlT_SI_SJ_SK_E_clIPiSD_S10_SD_EESH_SX_SI_SJ_SK_EUlSX_E1_NS1_11comp_targetILNS1_3genE0ELNS1_11target_archE4294967295ELNS1_3gpuE0ELNS1_3repE0EEENS1_36merge_oddeven_config_static_selectorELNS0_4arch9wavefront6targetE1EEEvSJ_.private_seg_size, 0
	.set _ZN7rocprim17ROCPRIM_400000_NS6detail17trampoline_kernelINS0_14default_configENS1_38merge_sort_block_merge_config_selectorIiiEEZZNS1_27merge_sort_block_merge_implIS3_N6thrust23THRUST_200600_302600_NS6detail15normal_iteratorINS8_10device_ptrIiEEEESD_jNS1_19radix_merge_compareILb1ELb0EiNS0_19identity_decomposerEEEEE10hipError_tT0_T1_T2_jT3_P12ihipStream_tbPNSt15iterator_traitsISI_E10value_typeEPNSO_ISJ_E10value_typeEPSK_NS1_7vsmem_tEENKUlT_SI_SJ_SK_E_clIPiSD_S10_SD_EESH_SX_SI_SJ_SK_EUlSX_E1_NS1_11comp_targetILNS1_3genE0ELNS1_11target_archE4294967295ELNS1_3gpuE0ELNS1_3repE0EEENS1_36merge_oddeven_config_static_selectorELNS0_4arch9wavefront6targetE1EEEvSJ_.uses_vcc, 1
	.set _ZN7rocprim17ROCPRIM_400000_NS6detail17trampoline_kernelINS0_14default_configENS1_38merge_sort_block_merge_config_selectorIiiEEZZNS1_27merge_sort_block_merge_implIS3_N6thrust23THRUST_200600_302600_NS6detail15normal_iteratorINS8_10device_ptrIiEEEESD_jNS1_19radix_merge_compareILb1ELb0EiNS0_19identity_decomposerEEEEE10hipError_tT0_T1_T2_jT3_P12ihipStream_tbPNSt15iterator_traitsISI_E10value_typeEPNSO_ISJ_E10value_typeEPSK_NS1_7vsmem_tEENKUlT_SI_SJ_SK_E_clIPiSD_S10_SD_EESH_SX_SI_SJ_SK_EUlSX_E1_NS1_11comp_targetILNS1_3genE0ELNS1_11target_archE4294967295ELNS1_3gpuE0ELNS1_3repE0EEENS1_36merge_oddeven_config_static_selectorELNS0_4arch9wavefront6targetE1EEEvSJ_.uses_flat_scratch, 0
	.set _ZN7rocprim17ROCPRIM_400000_NS6detail17trampoline_kernelINS0_14default_configENS1_38merge_sort_block_merge_config_selectorIiiEEZZNS1_27merge_sort_block_merge_implIS3_N6thrust23THRUST_200600_302600_NS6detail15normal_iteratorINS8_10device_ptrIiEEEESD_jNS1_19radix_merge_compareILb1ELb0EiNS0_19identity_decomposerEEEEE10hipError_tT0_T1_T2_jT3_P12ihipStream_tbPNSt15iterator_traitsISI_E10value_typeEPNSO_ISJ_E10value_typeEPSK_NS1_7vsmem_tEENKUlT_SI_SJ_SK_E_clIPiSD_S10_SD_EESH_SX_SI_SJ_SK_EUlSX_E1_NS1_11comp_targetILNS1_3genE0ELNS1_11target_archE4294967295ELNS1_3gpuE0ELNS1_3repE0EEENS1_36merge_oddeven_config_static_selectorELNS0_4arch9wavefront6targetE1EEEvSJ_.has_dyn_sized_stack, 0
	.set _ZN7rocprim17ROCPRIM_400000_NS6detail17trampoline_kernelINS0_14default_configENS1_38merge_sort_block_merge_config_selectorIiiEEZZNS1_27merge_sort_block_merge_implIS3_N6thrust23THRUST_200600_302600_NS6detail15normal_iteratorINS8_10device_ptrIiEEEESD_jNS1_19radix_merge_compareILb1ELb0EiNS0_19identity_decomposerEEEEE10hipError_tT0_T1_T2_jT3_P12ihipStream_tbPNSt15iterator_traitsISI_E10value_typeEPNSO_ISJ_E10value_typeEPSK_NS1_7vsmem_tEENKUlT_SI_SJ_SK_E_clIPiSD_S10_SD_EESH_SX_SI_SJ_SK_EUlSX_E1_NS1_11comp_targetILNS1_3genE0ELNS1_11target_archE4294967295ELNS1_3gpuE0ELNS1_3repE0EEENS1_36merge_oddeven_config_static_selectorELNS0_4arch9wavefront6targetE1EEEvSJ_.has_recursion, 0
	.set _ZN7rocprim17ROCPRIM_400000_NS6detail17trampoline_kernelINS0_14default_configENS1_38merge_sort_block_merge_config_selectorIiiEEZZNS1_27merge_sort_block_merge_implIS3_N6thrust23THRUST_200600_302600_NS6detail15normal_iteratorINS8_10device_ptrIiEEEESD_jNS1_19radix_merge_compareILb1ELb0EiNS0_19identity_decomposerEEEEE10hipError_tT0_T1_T2_jT3_P12ihipStream_tbPNSt15iterator_traitsISI_E10value_typeEPNSO_ISJ_E10value_typeEPSK_NS1_7vsmem_tEENKUlT_SI_SJ_SK_E_clIPiSD_S10_SD_EESH_SX_SI_SJ_SK_EUlSX_E1_NS1_11comp_targetILNS1_3genE0ELNS1_11target_archE4294967295ELNS1_3gpuE0ELNS1_3repE0EEENS1_36merge_oddeven_config_static_selectorELNS0_4arch9wavefront6targetE1EEEvSJ_.has_indirect_call, 0
	.section	.AMDGPU.csdata,"",@progbits
; Kernel info:
; codeLenInByte = 780
; TotalNumSgprs: 30
; NumVgprs: 10
; NumAgprs: 0
; TotalNumVgprs: 10
; ScratchSize: 0
; MemoryBound: 0
; FloatMode: 240
; IeeeMode: 1
; LDSByteSize: 0 bytes/workgroup (compile time only)
; SGPRBlocks: 3
; VGPRBlocks: 1
; NumSGPRsForWavesPerEU: 30
; NumVGPRsForWavesPerEU: 10
; AccumOffset: 12
; Occupancy: 8
; WaveLimiterHint : 0
; COMPUTE_PGM_RSRC2:SCRATCH_EN: 0
; COMPUTE_PGM_RSRC2:USER_SGPR: 2
; COMPUTE_PGM_RSRC2:TRAP_HANDLER: 0
; COMPUTE_PGM_RSRC2:TGID_X_EN: 1
; COMPUTE_PGM_RSRC2:TGID_Y_EN: 0
; COMPUTE_PGM_RSRC2:TGID_Z_EN: 0
; COMPUTE_PGM_RSRC2:TIDIG_COMP_CNT: 0
; COMPUTE_PGM_RSRC3_GFX90A:ACCUM_OFFSET: 2
; COMPUTE_PGM_RSRC3_GFX90A:TG_SPLIT: 0
	.section	.text._ZN7rocprim17ROCPRIM_400000_NS6detail17trampoline_kernelINS0_14default_configENS1_38merge_sort_block_merge_config_selectorIiiEEZZNS1_27merge_sort_block_merge_implIS3_N6thrust23THRUST_200600_302600_NS6detail15normal_iteratorINS8_10device_ptrIiEEEESD_jNS1_19radix_merge_compareILb1ELb0EiNS0_19identity_decomposerEEEEE10hipError_tT0_T1_T2_jT3_P12ihipStream_tbPNSt15iterator_traitsISI_E10value_typeEPNSO_ISJ_E10value_typeEPSK_NS1_7vsmem_tEENKUlT_SI_SJ_SK_E_clIPiSD_S10_SD_EESH_SX_SI_SJ_SK_EUlSX_E1_NS1_11comp_targetILNS1_3genE10ELNS1_11target_archE1201ELNS1_3gpuE5ELNS1_3repE0EEENS1_36merge_oddeven_config_static_selectorELNS0_4arch9wavefront6targetE1EEEvSJ_,"axG",@progbits,_ZN7rocprim17ROCPRIM_400000_NS6detail17trampoline_kernelINS0_14default_configENS1_38merge_sort_block_merge_config_selectorIiiEEZZNS1_27merge_sort_block_merge_implIS3_N6thrust23THRUST_200600_302600_NS6detail15normal_iteratorINS8_10device_ptrIiEEEESD_jNS1_19radix_merge_compareILb1ELb0EiNS0_19identity_decomposerEEEEE10hipError_tT0_T1_T2_jT3_P12ihipStream_tbPNSt15iterator_traitsISI_E10value_typeEPNSO_ISJ_E10value_typeEPSK_NS1_7vsmem_tEENKUlT_SI_SJ_SK_E_clIPiSD_S10_SD_EESH_SX_SI_SJ_SK_EUlSX_E1_NS1_11comp_targetILNS1_3genE10ELNS1_11target_archE1201ELNS1_3gpuE5ELNS1_3repE0EEENS1_36merge_oddeven_config_static_selectorELNS0_4arch9wavefront6targetE1EEEvSJ_,comdat
	.protected	_ZN7rocprim17ROCPRIM_400000_NS6detail17trampoline_kernelINS0_14default_configENS1_38merge_sort_block_merge_config_selectorIiiEEZZNS1_27merge_sort_block_merge_implIS3_N6thrust23THRUST_200600_302600_NS6detail15normal_iteratorINS8_10device_ptrIiEEEESD_jNS1_19radix_merge_compareILb1ELb0EiNS0_19identity_decomposerEEEEE10hipError_tT0_T1_T2_jT3_P12ihipStream_tbPNSt15iterator_traitsISI_E10value_typeEPNSO_ISJ_E10value_typeEPSK_NS1_7vsmem_tEENKUlT_SI_SJ_SK_E_clIPiSD_S10_SD_EESH_SX_SI_SJ_SK_EUlSX_E1_NS1_11comp_targetILNS1_3genE10ELNS1_11target_archE1201ELNS1_3gpuE5ELNS1_3repE0EEENS1_36merge_oddeven_config_static_selectorELNS0_4arch9wavefront6targetE1EEEvSJ_ ; -- Begin function _ZN7rocprim17ROCPRIM_400000_NS6detail17trampoline_kernelINS0_14default_configENS1_38merge_sort_block_merge_config_selectorIiiEEZZNS1_27merge_sort_block_merge_implIS3_N6thrust23THRUST_200600_302600_NS6detail15normal_iteratorINS8_10device_ptrIiEEEESD_jNS1_19radix_merge_compareILb1ELb0EiNS0_19identity_decomposerEEEEE10hipError_tT0_T1_T2_jT3_P12ihipStream_tbPNSt15iterator_traitsISI_E10value_typeEPNSO_ISJ_E10value_typeEPSK_NS1_7vsmem_tEENKUlT_SI_SJ_SK_E_clIPiSD_S10_SD_EESH_SX_SI_SJ_SK_EUlSX_E1_NS1_11comp_targetILNS1_3genE10ELNS1_11target_archE1201ELNS1_3gpuE5ELNS1_3repE0EEENS1_36merge_oddeven_config_static_selectorELNS0_4arch9wavefront6targetE1EEEvSJ_
	.globl	_ZN7rocprim17ROCPRIM_400000_NS6detail17trampoline_kernelINS0_14default_configENS1_38merge_sort_block_merge_config_selectorIiiEEZZNS1_27merge_sort_block_merge_implIS3_N6thrust23THRUST_200600_302600_NS6detail15normal_iteratorINS8_10device_ptrIiEEEESD_jNS1_19radix_merge_compareILb1ELb0EiNS0_19identity_decomposerEEEEE10hipError_tT0_T1_T2_jT3_P12ihipStream_tbPNSt15iterator_traitsISI_E10value_typeEPNSO_ISJ_E10value_typeEPSK_NS1_7vsmem_tEENKUlT_SI_SJ_SK_E_clIPiSD_S10_SD_EESH_SX_SI_SJ_SK_EUlSX_E1_NS1_11comp_targetILNS1_3genE10ELNS1_11target_archE1201ELNS1_3gpuE5ELNS1_3repE0EEENS1_36merge_oddeven_config_static_selectorELNS0_4arch9wavefront6targetE1EEEvSJ_
	.p2align	8
	.type	_ZN7rocprim17ROCPRIM_400000_NS6detail17trampoline_kernelINS0_14default_configENS1_38merge_sort_block_merge_config_selectorIiiEEZZNS1_27merge_sort_block_merge_implIS3_N6thrust23THRUST_200600_302600_NS6detail15normal_iteratorINS8_10device_ptrIiEEEESD_jNS1_19radix_merge_compareILb1ELb0EiNS0_19identity_decomposerEEEEE10hipError_tT0_T1_T2_jT3_P12ihipStream_tbPNSt15iterator_traitsISI_E10value_typeEPNSO_ISJ_E10value_typeEPSK_NS1_7vsmem_tEENKUlT_SI_SJ_SK_E_clIPiSD_S10_SD_EESH_SX_SI_SJ_SK_EUlSX_E1_NS1_11comp_targetILNS1_3genE10ELNS1_11target_archE1201ELNS1_3gpuE5ELNS1_3repE0EEENS1_36merge_oddeven_config_static_selectorELNS0_4arch9wavefront6targetE1EEEvSJ_,@function
_ZN7rocprim17ROCPRIM_400000_NS6detail17trampoline_kernelINS0_14default_configENS1_38merge_sort_block_merge_config_selectorIiiEEZZNS1_27merge_sort_block_merge_implIS3_N6thrust23THRUST_200600_302600_NS6detail15normal_iteratorINS8_10device_ptrIiEEEESD_jNS1_19radix_merge_compareILb1ELb0EiNS0_19identity_decomposerEEEEE10hipError_tT0_T1_T2_jT3_P12ihipStream_tbPNSt15iterator_traitsISI_E10value_typeEPNSO_ISJ_E10value_typeEPSK_NS1_7vsmem_tEENKUlT_SI_SJ_SK_E_clIPiSD_S10_SD_EESH_SX_SI_SJ_SK_EUlSX_E1_NS1_11comp_targetILNS1_3genE10ELNS1_11target_archE1201ELNS1_3gpuE5ELNS1_3repE0EEENS1_36merge_oddeven_config_static_selectorELNS0_4arch9wavefront6targetE1EEEvSJ_: ; @_ZN7rocprim17ROCPRIM_400000_NS6detail17trampoline_kernelINS0_14default_configENS1_38merge_sort_block_merge_config_selectorIiiEEZZNS1_27merge_sort_block_merge_implIS3_N6thrust23THRUST_200600_302600_NS6detail15normal_iteratorINS8_10device_ptrIiEEEESD_jNS1_19radix_merge_compareILb1ELb0EiNS0_19identity_decomposerEEEEE10hipError_tT0_T1_T2_jT3_P12ihipStream_tbPNSt15iterator_traitsISI_E10value_typeEPNSO_ISJ_E10value_typeEPSK_NS1_7vsmem_tEENKUlT_SI_SJ_SK_E_clIPiSD_S10_SD_EESH_SX_SI_SJ_SK_EUlSX_E1_NS1_11comp_targetILNS1_3genE10ELNS1_11target_archE1201ELNS1_3gpuE5ELNS1_3repE0EEENS1_36merge_oddeven_config_static_selectorELNS0_4arch9wavefront6targetE1EEEvSJ_
; %bb.0:
	.section	.rodata,"a",@progbits
	.p2align	6, 0x0
	.amdhsa_kernel _ZN7rocprim17ROCPRIM_400000_NS6detail17trampoline_kernelINS0_14default_configENS1_38merge_sort_block_merge_config_selectorIiiEEZZNS1_27merge_sort_block_merge_implIS3_N6thrust23THRUST_200600_302600_NS6detail15normal_iteratorINS8_10device_ptrIiEEEESD_jNS1_19radix_merge_compareILb1ELb0EiNS0_19identity_decomposerEEEEE10hipError_tT0_T1_T2_jT3_P12ihipStream_tbPNSt15iterator_traitsISI_E10value_typeEPNSO_ISJ_E10value_typeEPSK_NS1_7vsmem_tEENKUlT_SI_SJ_SK_E_clIPiSD_S10_SD_EESH_SX_SI_SJ_SK_EUlSX_E1_NS1_11comp_targetILNS1_3genE10ELNS1_11target_archE1201ELNS1_3gpuE5ELNS1_3repE0EEENS1_36merge_oddeven_config_static_selectorELNS0_4arch9wavefront6targetE1EEEvSJ_
		.amdhsa_group_segment_fixed_size 0
		.amdhsa_private_segment_fixed_size 0
		.amdhsa_kernarg_size 48
		.amdhsa_user_sgpr_count 2
		.amdhsa_user_sgpr_dispatch_ptr 0
		.amdhsa_user_sgpr_queue_ptr 0
		.amdhsa_user_sgpr_kernarg_segment_ptr 1
		.amdhsa_user_sgpr_dispatch_id 0
		.amdhsa_user_sgpr_kernarg_preload_length 0
		.amdhsa_user_sgpr_kernarg_preload_offset 0
		.amdhsa_user_sgpr_private_segment_size 0
		.amdhsa_uses_dynamic_stack 0
		.amdhsa_enable_private_segment 0
		.amdhsa_system_sgpr_workgroup_id_x 1
		.amdhsa_system_sgpr_workgroup_id_y 0
		.amdhsa_system_sgpr_workgroup_id_z 0
		.amdhsa_system_sgpr_workgroup_info 0
		.amdhsa_system_vgpr_workitem_id 0
		.amdhsa_next_free_vgpr 1
		.amdhsa_next_free_sgpr 0
		.amdhsa_accum_offset 4
		.amdhsa_reserve_vcc 0
		.amdhsa_float_round_mode_32 0
		.amdhsa_float_round_mode_16_64 0
		.amdhsa_float_denorm_mode_32 3
		.amdhsa_float_denorm_mode_16_64 3
		.amdhsa_dx10_clamp 1
		.amdhsa_ieee_mode 1
		.amdhsa_fp16_overflow 0
		.amdhsa_tg_split 0
		.amdhsa_exception_fp_ieee_invalid_op 0
		.amdhsa_exception_fp_denorm_src 0
		.amdhsa_exception_fp_ieee_div_zero 0
		.amdhsa_exception_fp_ieee_overflow 0
		.amdhsa_exception_fp_ieee_underflow 0
		.amdhsa_exception_fp_ieee_inexact 0
		.amdhsa_exception_int_div_zero 0
	.end_amdhsa_kernel
	.section	.text._ZN7rocprim17ROCPRIM_400000_NS6detail17trampoline_kernelINS0_14default_configENS1_38merge_sort_block_merge_config_selectorIiiEEZZNS1_27merge_sort_block_merge_implIS3_N6thrust23THRUST_200600_302600_NS6detail15normal_iteratorINS8_10device_ptrIiEEEESD_jNS1_19radix_merge_compareILb1ELb0EiNS0_19identity_decomposerEEEEE10hipError_tT0_T1_T2_jT3_P12ihipStream_tbPNSt15iterator_traitsISI_E10value_typeEPNSO_ISJ_E10value_typeEPSK_NS1_7vsmem_tEENKUlT_SI_SJ_SK_E_clIPiSD_S10_SD_EESH_SX_SI_SJ_SK_EUlSX_E1_NS1_11comp_targetILNS1_3genE10ELNS1_11target_archE1201ELNS1_3gpuE5ELNS1_3repE0EEENS1_36merge_oddeven_config_static_selectorELNS0_4arch9wavefront6targetE1EEEvSJ_,"axG",@progbits,_ZN7rocprim17ROCPRIM_400000_NS6detail17trampoline_kernelINS0_14default_configENS1_38merge_sort_block_merge_config_selectorIiiEEZZNS1_27merge_sort_block_merge_implIS3_N6thrust23THRUST_200600_302600_NS6detail15normal_iteratorINS8_10device_ptrIiEEEESD_jNS1_19radix_merge_compareILb1ELb0EiNS0_19identity_decomposerEEEEE10hipError_tT0_T1_T2_jT3_P12ihipStream_tbPNSt15iterator_traitsISI_E10value_typeEPNSO_ISJ_E10value_typeEPSK_NS1_7vsmem_tEENKUlT_SI_SJ_SK_E_clIPiSD_S10_SD_EESH_SX_SI_SJ_SK_EUlSX_E1_NS1_11comp_targetILNS1_3genE10ELNS1_11target_archE1201ELNS1_3gpuE5ELNS1_3repE0EEENS1_36merge_oddeven_config_static_selectorELNS0_4arch9wavefront6targetE1EEEvSJ_,comdat
.Lfunc_end1740:
	.size	_ZN7rocprim17ROCPRIM_400000_NS6detail17trampoline_kernelINS0_14default_configENS1_38merge_sort_block_merge_config_selectorIiiEEZZNS1_27merge_sort_block_merge_implIS3_N6thrust23THRUST_200600_302600_NS6detail15normal_iteratorINS8_10device_ptrIiEEEESD_jNS1_19radix_merge_compareILb1ELb0EiNS0_19identity_decomposerEEEEE10hipError_tT0_T1_T2_jT3_P12ihipStream_tbPNSt15iterator_traitsISI_E10value_typeEPNSO_ISJ_E10value_typeEPSK_NS1_7vsmem_tEENKUlT_SI_SJ_SK_E_clIPiSD_S10_SD_EESH_SX_SI_SJ_SK_EUlSX_E1_NS1_11comp_targetILNS1_3genE10ELNS1_11target_archE1201ELNS1_3gpuE5ELNS1_3repE0EEENS1_36merge_oddeven_config_static_selectorELNS0_4arch9wavefront6targetE1EEEvSJ_, .Lfunc_end1740-_ZN7rocprim17ROCPRIM_400000_NS6detail17trampoline_kernelINS0_14default_configENS1_38merge_sort_block_merge_config_selectorIiiEEZZNS1_27merge_sort_block_merge_implIS3_N6thrust23THRUST_200600_302600_NS6detail15normal_iteratorINS8_10device_ptrIiEEEESD_jNS1_19radix_merge_compareILb1ELb0EiNS0_19identity_decomposerEEEEE10hipError_tT0_T1_T2_jT3_P12ihipStream_tbPNSt15iterator_traitsISI_E10value_typeEPNSO_ISJ_E10value_typeEPSK_NS1_7vsmem_tEENKUlT_SI_SJ_SK_E_clIPiSD_S10_SD_EESH_SX_SI_SJ_SK_EUlSX_E1_NS1_11comp_targetILNS1_3genE10ELNS1_11target_archE1201ELNS1_3gpuE5ELNS1_3repE0EEENS1_36merge_oddeven_config_static_selectorELNS0_4arch9wavefront6targetE1EEEvSJ_
                                        ; -- End function
	.set _ZN7rocprim17ROCPRIM_400000_NS6detail17trampoline_kernelINS0_14default_configENS1_38merge_sort_block_merge_config_selectorIiiEEZZNS1_27merge_sort_block_merge_implIS3_N6thrust23THRUST_200600_302600_NS6detail15normal_iteratorINS8_10device_ptrIiEEEESD_jNS1_19radix_merge_compareILb1ELb0EiNS0_19identity_decomposerEEEEE10hipError_tT0_T1_T2_jT3_P12ihipStream_tbPNSt15iterator_traitsISI_E10value_typeEPNSO_ISJ_E10value_typeEPSK_NS1_7vsmem_tEENKUlT_SI_SJ_SK_E_clIPiSD_S10_SD_EESH_SX_SI_SJ_SK_EUlSX_E1_NS1_11comp_targetILNS1_3genE10ELNS1_11target_archE1201ELNS1_3gpuE5ELNS1_3repE0EEENS1_36merge_oddeven_config_static_selectorELNS0_4arch9wavefront6targetE1EEEvSJ_.num_vgpr, 0
	.set _ZN7rocprim17ROCPRIM_400000_NS6detail17trampoline_kernelINS0_14default_configENS1_38merge_sort_block_merge_config_selectorIiiEEZZNS1_27merge_sort_block_merge_implIS3_N6thrust23THRUST_200600_302600_NS6detail15normal_iteratorINS8_10device_ptrIiEEEESD_jNS1_19radix_merge_compareILb1ELb0EiNS0_19identity_decomposerEEEEE10hipError_tT0_T1_T2_jT3_P12ihipStream_tbPNSt15iterator_traitsISI_E10value_typeEPNSO_ISJ_E10value_typeEPSK_NS1_7vsmem_tEENKUlT_SI_SJ_SK_E_clIPiSD_S10_SD_EESH_SX_SI_SJ_SK_EUlSX_E1_NS1_11comp_targetILNS1_3genE10ELNS1_11target_archE1201ELNS1_3gpuE5ELNS1_3repE0EEENS1_36merge_oddeven_config_static_selectorELNS0_4arch9wavefront6targetE1EEEvSJ_.num_agpr, 0
	.set _ZN7rocprim17ROCPRIM_400000_NS6detail17trampoline_kernelINS0_14default_configENS1_38merge_sort_block_merge_config_selectorIiiEEZZNS1_27merge_sort_block_merge_implIS3_N6thrust23THRUST_200600_302600_NS6detail15normal_iteratorINS8_10device_ptrIiEEEESD_jNS1_19radix_merge_compareILb1ELb0EiNS0_19identity_decomposerEEEEE10hipError_tT0_T1_T2_jT3_P12ihipStream_tbPNSt15iterator_traitsISI_E10value_typeEPNSO_ISJ_E10value_typeEPSK_NS1_7vsmem_tEENKUlT_SI_SJ_SK_E_clIPiSD_S10_SD_EESH_SX_SI_SJ_SK_EUlSX_E1_NS1_11comp_targetILNS1_3genE10ELNS1_11target_archE1201ELNS1_3gpuE5ELNS1_3repE0EEENS1_36merge_oddeven_config_static_selectorELNS0_4arch9wavefront6targetE1EEEvSJ_.numbered_sgpr, 0
	.set _ZN7rocprim17ROCPRIM_400000_NS6detail17trampoline_kernelINS0_14default_configENS1_38merge_sort_block_merge_config_selectorIiiEEZZNS1_27merge_sort_block_merge_implIS3_N6thrust23THRUST_200600_302600_NS6detail15normal_iteratorINS8_10device_ptrIiEEEESD_jNS1_19radix_merge_compareILb1ELb0EiNS0_19identity_decomposerEEEEE10hipError_tT0_T1_T2_jT3_P12ihipStream_tbPNSt15iterator_traitsISI_E10value_typeEPNSO_ISJ_E10value_typeEPSK_NS1_7vsmem_tEENKUlT_SI_SJ_SK_E_clIPiSD_S10_SD_EESH_SX_SI_SJ_SK_EUlSX_E1_NS1_11comp_targetILNS1_3genE10ELNS1_11target_archE1201ELNS1_3gpuE5ELNS1_3repE0EEENS1_36merge_oddeven_config_static_selectorELNS0_4arch9wavefront6targetE1EEEvSJ_.num_named_barrier, 0
	.set _ZN7rocprim17ROCPRIM_400000_NS6detail17trampoline_kernelINS0_14default_configENS1_38merge_sort_block_merge_config_selectorIiiEEZZNS1_27merge_sort_block_merge_implIS3_N6thrust23THRUST_200600_302600_NS6detail15normal_iteratorINS8_10device_ptrIiEEEESD_jNS1_19radix_merge_compareILb1ELb0EiNS0_19identity_decomposerEEEEE10hipError_tT0_T1_T2_jT3_P12ihipStream_tbPNSt15iterator_traitsISI_E10value_typeEPNSO_ISJ_E10value_typeEPSK_NS1_7vsmem_tEENKUlT_SI_SJ_SK_E_clIPiSD_S10_SD_EESH_SX_SI_SJ_SK_EUlSX_E1_NS1_11comp_targetILNS1_3genE10ELNS1_11target_archE1201ELNS1_3gpuE5ELNS1_3repE0EEENS1_36merge_oddeven_config_static_selectorELNS0_4arch9wavefront6targetE1EEEvSJ_.private_seg_size, 0
	.set _ZN7rocprim17ROCPRIM_400000_NS6detail17trampoline_kernelINS0_14default_configENS1_38merge_sort_block_merge_config_selectorIiiEEZZNS1_27merge_sort_block_merge_implIS3_N6thrust23THRUST_200600_302600_NS6detail15normal_iteratorINS8_10device_ptrIiEEEESD_jNS1_19radix_merge_compareILb1ELb0EiNS0_19identity_decomposerEEEEE10hipError_tT0_T1_T2_jT3_P12ihipStream_tbPNSt15iterator_traitsISI_E10value_typeEPNSO_ISJ_E10value_typeEPSK_NS1_7vsmem_tEENKUlT_SI_SJ_SK_E_clIPiSD_S10_SD_EESH_SX_SI_SJ_SK_EUlSX_E1_NS1_11comp_targetILNS1_3genE10ELNS1_11target_archE1201ELNS1_3gpuE5ELNS1_3repE0EEENS1_36merge_oddeven_config_static_selectorELNS0_4arch9wavefront6targetE1EEEvSJ_.uses_vcc, 0
	.set _ZN7rocprim17ROCPRIM_400000_NS6detail17trampoline_kernelINS0_14default_configENS1_38merge_sort_block_merge_config_selectorIiiEEZZNS1_27merge_sort_block_merge_implIS3_N6thrust23THRUST_200600_302600_NS6detail15normal_iteratorINS8_10device_ptrIiEEEESD_jNS1_19radix_merge_compareILb1ELb0EiNS0_19identity_decomposerEEEEE10hipError_tT0_T1_T2_jT3_P12ihipStream_tbPNSt15iterator_traitsISI_E10value_typeEPNSO_ISJ_E10value_typeEPSK_NS1_7vsmem_tEENKUlT_SI_SJ_SK_E_clIPiSD_S10_SD_EESH_SX_SI_SJ_SK_EUlSX_E1_NS1_11comp_targetILNS1_3genE10ELNS1_11target_archE1201ELNS1_3gpuE5ELNS1_3repE0EEENS1_36merge_oddeven_config_static_selectorELNS0_4arch9wavefront6targetE1EEEvSJ_.uses_flat_scratch, 0
	.set _ZN7rocprim17ROCPRIM_400000_NS6detail17trampoline_kernelINS0_14default_configENS1_38merge_sort_block_merge_config_selectorIiiEEZZNS1_27merge_sort_block_merge_implIS3_N6thrust23THRUST_200600_302600_NS6detail15normal_iteratorINS8_10device_ptrIiEEEESD_jNS1_19radix_merge_compareILb1ELb0EiNS0_19identity_decomposerEEEEE10hipError_tT0_T1_T2_jT3_P12ihipStream_tbPNSt15iterator_traitsISI_E10value_typeEPNSO_ISJ_E10value_typeEPSK_NS1_7vsmem_tEENKUlT_SI_SJ_SK_E_clIPiSD_S10_SD_EESH_SX_SI_SJ_SK_EUlSX_E1_NS1_11comp_targetILNS1_3genE10ELNS1_11target_archE1201ELNS1_3gpuE5ELNS1_3repE0EEENS1_36merge_oddeven_config_static_selectorELNS0_4arch9wavefront6targetE1EEEvSJ_.has_dyn_sized_stack, 0
	.set _ZN7rocprim17ROCPRIM_400000_NS6detail17trampoline_kernelINS0_14default_configENS1_38merge_sort_block_merge_config_selectorIiiEEZZNS1_27merge_sort_block_merge_implIS3_N6thrust23THRUST_200600_302600_NS6detail15normal_iteratorINS8_10device_ptrIiEEEESD_jNS1_19radix_merge_compareILb1ELb0EiNS0_19identity_decomposerEEEEE10hipError_tT0_T1_T2_jT3_P12ihipStream_tbPNSt15iterator_traitsISI_E10value_typeEPNSO_ISJ_E10value_typeEPSK_NS1_7vsmem_tEENKUlT_SI_SJ_SK_E_clIPiSD_S10_SD_EESH_SX_SI_SJ_SK_EUlSX_E1_NS1_11comp_targetILNS1_3genE10ELNS1_11target_archE1201ELNS1_3gpuE5ELNS1_3repE0EEENS1_36merge_oddeven_config_static_selectorELNS0_4arch9wavefront6targetE1EEEvSJ_.has_recursion, 0
	.set _ZN7rocprim17ROCPRIM_400000_NS6detail17trampoline_kernelINS0_14default_configENS1_38merge_sort_block_merge_config_selectorIiiEEZZNS1_27merge_sort_block_merge_implIS3_N6thrust23THRUST_200600_302600_NS6detail15normal_iteratorINS8_10device_ptrIiEEEESD_jNS1_19radix_merge_compareILb1ELb0EiNS0_19identity_decomposerEEEEE10hipError_tT0_T1_T2_jT3_P12ihipStream_tbPNSt15iterator_traitsISI_E10value_typeEPNSO_ISJ_E10value_typeEPSK_NS1_7vsmem_tEENKUlT_SI_SJ_SK_E_clIPiSD_S10_SD_EESH_SX_SI_SJ_SK_EUlSX_E1_NS1_11comp_targetILNS1_3genE10ELNS1_11target_archE1201ELNS1_3gpuE5ELNS1_3repE0EEENS1_36merge_oddeven_config_static_selectorELNS0_4arch9wavefront6targetE1EEEvSJ_.has_indirect_call, 0
	.section	.AMDGPU.csdata,"",@progbits
; Kernel info:
; codeLenInByte = 0
; TotalNumSgprs: 6
; NumVgprs: 0
; NumAgprs: 0
; TotalNumVgprs: 0
; ScratchSize: 0
; MemoryBound: 0
; FloatMode: 240
; IeeeMode: 1
; LDSByteSize: 0 bytes/workgroup (compile time only)
; SGPRBlocks: 0
; VGPRBlocks: 0
; NumSGPRsForWavesPerEU: 6
; NumVGPRsForWavesPerEU: 1
; AccumOffset: 4
; Occupancy: 8
; WaveLimiterHint : 0
; COMPUTE_PGM_RSRC2:SCRATCH_EN: 0
; COMPUTE_PGM_RSRC2:USER_SGPR: 2
; COMPUTE_PGM_RSRC2:TRAP_HANDLER: 0
; COMPUTE_PGM_RSRC2:TGID_X_EN: 1
; COMPUTE_PGM_RSRC2:TGID_Y_EN: 0
; COMPUTE_PGM_RSRC2:TGID_Z_EN: 0
; COMPUTE_PGM_RSRC2:TIDIG_COMP_CNT: 0
; COMPUTE_PGM_RSRC3_GFX90A:ACCUM_OFFSET: 0
; COMPUTE_PGM_RSRC3_GFX90A:TG_SPLIT: 0
	.section	.text._ZN7rocprim17ROCPRIM_400000_NS6detail17trampoline_kernelINS0_14default_configENS1_38merge_sort_block_merge_config_selectorIiiEEZZNS1_27merge_sort_block_merge_implIS3_N6thrust23THRUST_200600_302600_NS6detail15normal_iteratorINS8_10device_ptrIiEEEESD_jNS1_19radix_merge_compareILb1ELb0EiNS0_19identity_decomposerEEEEE10hipError_tT0_T1_T2_jT3_P12ihipStream_tbPNSt15iterator_traitsISI_E10value_typeEPNSO_ISJ_E10value_typeEPSK_NS1_7vsmem_tEENKUlT_SI_SJ_SK_E_clIPiSD_S10_SD_EESH_SX_SI_SJ_SK_EUlSX_E1_NS1_11comp_targetILNS1_3genE5ELNS1_11target_archE942ELNS1_3gpuE9ELNS1_3repE0EEENS1_36merge_oddeven_config_static_selectorELNS0_4arch9wavefront6targetE1EEEvSJ_,"axG",@progbits,_ZN7rocprim17ROCPRIM_400000_NS6detail17trampoline_kernelINS0_14default_configENS1_38merge_sort_block_merge_config_selectorIiiEEZZNS1_27merge_sort_block_merge_implIS3_N6thrust23THRUST_200600_302600_NS6detail15normal_iteratorINS8_10device_ptrIiEEEESD_jNS1_19radix_merge_compareILb1ELb0EiNS0_19identity_decomposerEEEEE10hipError_tT0_T1_T2_jT3_P12ihipStream_tbPNSt15iterator_traitsISI_E10value_typeEPNSO_ISJ_E10value_typeEPSK_NS1_7vsmem_tEENKUlT_SI_SJ_SK_E_clIPiSD_S10_SD_EESH_SX_SI_SJ_SK_EUlSX_E1_NS1_11comp_targetILNS1_3genE5ELNS1_11target_archE942ELNS1_3gpuE9ELNS1_3repE0EEENS1_36merge_oddeven_config_static_selectorELNS0_4arch9wavefront6targetE1EEEvSJ_,comdat
	.protected	_ZN7rocprim17ROCPRIM_400000_NS6detail17trampoline_kernelINS0_14default_configENS1_38merge_sort_block_merge_config_selectorIiiEEZZNS1_27merge_sort_block_merge_implIS3_N6thrust23THRUST_200600_302600_NS6detail15normal_iteratorINS8_10device_ptrIiEEEESD_jNS1_19radix_merge_compareILb1ELb0EiNS0_19identity_decomposerEEEEE10hipError_tT0_T1_T2_jT3_P12ihipStream_tbPNSt15iterator_traitsISI_E10value_typeEPNSO_ISJ_E10value_typeEPSK_NS1_7vsmem_tEENKUlT_SI_SJ_SK_E_clIPiSD_S10_SD_EESH_SX_SI_SJ_SK_EUlSX_E1_NS1_11comp_targetILNS1_3genE5ELNS1_11target_archE942ELNS1_3gpuE9ELNS1_3repE0EEENS1_36merge_oddeven_config_static_selectorELNS0_4arch9wavefront6targetE1EEEvSJ_ ; -- Begin function _ZN7rocprim17ROCPRIM_400000_NS6detail17trampoline_kernelINS0_14default_configENS1_38merge_sort_block_merge_config_selectorIiiEEZZNS1_27merge_sort_block_merge_implIS3_N6thrust23THRUST_200600_302600_NS6detail15normal_iteratorINS8_10device_ptrIiEEEESD_jNS1_19radix_merge_compareILb1ELb0EiNS0_19identity_decomposerEEEEE10hipError_tT0_T1_T2_jT3_P12ihipStream_tbPNSt15iterator_traitsISI_E10value_typeEPNSO_ISJ_E10value_typeEPSK_NS1_7vsmem_tEENKUlT_SI_SJ_SK_E_clIPiSD_S10_SD_EESH_SX_SI_SJ_SK_EUlSX_E1_NS1_11comp_targetILNS1_3genE5ELNS1_11target_archE942ELNS1_3gpuE9ELNS1_3repE0EEENS1_36merge_oddeven_config_static_selectorELNS0_4arch9wavefront6targetE1EEEvSJ_
	.globl	_ZN7rocprim17ROCPRIM_400000_NS6detail17trampoline_kernelINS0_14default_configENS1_38merge_sort_block_merge_config_selectorIiiEEZZNS1_27merge_sort_block_merge_implIS3_N6thrust23THRUST_200600_302600_NS6detail15normal_iteratorINS8_10device_ptrIiEEEESD_jNS1_19radix_merge_compareILb1ELb0EiNS0_19identity_decomposerEEEEE10hipError_tT0_T1_T2_jT3_P12ihipStream_tbPNSt15iterator_traitsISI_E10value_typeEPNSO_ISJ_E10value_typeEPSK_NS1_7vsmem_tEENKUlT_SI_SJ_SK_E_clIPiSD_S10_SD_EESH_SX_SI_SJ_SK_EUlSX_E1_NS1_11comp_targetILNS1_3genE5ELNS1_11target_archE942ELNS1_3gpuE9ELNS1_3repE0EEENS1_36merge_oddeven_config_static_selectorELNS0_4arch9wavefront6targetE1EEEvSJ_
	.p2align	8
	.type	_ZN7rocprim17ROCPRIM_400000_NS6detail17trampoline_kernelINS0_14default_configENS1_38merge_sort_block_merge_config_selectorIiiEEZZNS1_27merge_sort_block_merge_implIS3_N6thrust23THRUST_200600_302600_NS6detail15normal_iteratorINS8_10device_ptrIiEEEESD_jNS1_19radix_merge_compareILb1ELb0EiNS0_19identity_decomposerEEEEE10hipError_tT0_T1_T2_jT3_P12ihipStream_tbPNSt15iterator_traitsISI_E10value_typeEPNSO_ISJ_E10value_typeEPSK_NS1_7vsmem_tEENKUlT_SI_SJ_SK_E_clIPiSD_S10_SD_EESH_SX_SI_SJ_SK_EUlSX_E1_NS1_11comp_targetILNS1_3genE5ELNS1_11target_archE942ELNS1_3gpuE9ELNS1_3repE0EEENS1_36merge_oddeven_config_static_selectorELNS0_4arch9wavefront6targetE1EEEvSJ_,@function
_ZN7rocprim17ROCPRIM_400000_NS6detail17trampoline_kernelINS0_14default_configENS1_38merge_sort_block_merge_config_selectorIiiEEZZNS1_27merge_sort_block_merge_implIS3_N6thrust23THRUST_200600_302600_NS6detail15normal_iteratorINS8_10device_ptrIiEEEESD_jNS1_19radix_merge_compareILb1ELb0EiNS0_19identity_decomposerEEEEE10hipError_tT0_T1_T2_jT3_P12ihipStream_tbPNSt15iterator_traitsISI_E10value_typeEPNSO_ISJ_E10value_typeEPSK_NS1_7vsmem_tEENKUlT_SI_SJ_SK_E_clIPiSD_S10_SD_EESH_SX_SI_SJ_SK_EUlSX_E1_NS1_11comp_targetILNS1_3genE5ELNS1_11target_archE942ELNS1_3gpuE9ELNS1_3repE0EEENS1_36merge_oddeven_config_static_selectorELNS0_4arch9wavefront6targetE1EEEvSJ_: ; @_ZN7rocprim17ROCPRIM_400000_NS6detail17trampoline_kernelINS0_14default_configENS1_38merge_sort_block_merge_config_selectorIiiEEZZNS1_27merge_sort_block_merge_implIS3_N6thrust23THRUST_200600_302600_NS6detail15normal_iteratorINS8_10device_ptrIiEEEESD_jNS1_19radix_merge_compareILb1ELb0EiNS0_19identity_decomposerEEEEE10hipError_tT0_T1_T2_jT3_P12ihipStream_tbPNSt15iterator_traitsISI_E10value_typeEPNSO_ISJ_E10value_typeEPSK_NS1_7vsmem_tEENKUlT_SI_SJ_SK_E_clIPiSD_S10_SD_EESH_SX_SI_SJ_SK_EUlSX_E1_NS1_11comp_targetILNS1_3genE5ELNS1_11target_archE942ELNS1_3gpuE9ELNS1_3repE0EEENS1_36merge_oddeven_config_static_selectorELNS0_4arch9wavefront6targetE1EEEvSJ_
; %bb.0:
	.section	.rodata,"a",@progbits
	.p2align	6, 0x0
	.amdhsa_kernel _ZN7rocprim17ROCPRIM_400000_NS6detail17trampoline_kernelINS0_14default_configENS1_38merge_sort_block_merge_config_selectorIiiEEZZNS1_27merge_sort_block_merge_implIS3_N6thrust23THRUST_200600_302600_NS6detail15normal_iteratorINS8_10device_ptrIiEEEESD_jNS1_19radix_merge_compareILb1ELb0EiNS0_19identity_decomposerEEEEE10hipError_tT0_T1_T2_jT3_P12ihipStream_tbPNSt15iterator_traitsISI_E10value_typeEPNSO_ISJ_E10value_typeEPSK_NS1_7vsmem_tEENKUlT_SI_SJ_SK_E_clIPiSD_S10_SD_EESH_SX_SI_SJ_SK_EUlSX_E1_NS1_11comp_targetILNS1_3genE5ELNS1_11target_archE942ELNS1_3gpuE9ELNS1_3repE0EEENS1_36merge_oddeven_config_static_selectorELNS0_4arch9wavefront6targetE1EEEvSJ_
		.amdhsa_group_segment_fixed_size 0
		.amdhsa_private_segment_fixed_size 0
		.amdhsa_kernarg_size 48
		.amdhsa_user_sgpr_count 2
		.amdhsa_user_sgpr_dispatch_ptr 0
		.amdhsa_user_sgpr_queue_ptr 0
		.amdhsa_user_sgpr_kernarg_segment_ptr 1
		.amdhsa_user_sgpr_dispatch_id 0
		.amdhsa_user_sgpr_kernarg_preload_length 0
		.amdhsa_user_sgpr_kernarg_preload_offset 0
		.amdhsa_user_sgpr_private_segment_size 0
		.amdhsa_uses_dynamic_stack 0
		.amdhsa_enable_private_segment 0
		.amdhsa_system_sgpr_workgroup_id_x 1
		.amdhsa_system_sgpr_workgroup_id_y 0
		.amdhsa_system_sgpr_workgroup_id_z 0
		.amdhsa_system_sgpr_workgroup_info 0
		.amdhsa_system_vgpr_workitem_id 0
		.amdhsa_next_free_vgpr 1
		.amdhsa_next_free_sgpr 0
		.amdhsa_accum_offset 4
		.amdhsa_reserve_vcc 0
		.amdhsa_float_round_mode_32 0
		.amdhsa_float_round_mode_16_64 0
		.amdhsa_float_denorm_mode_32 3
		.amdhsa_float_denorm_mode_16_64 3
		.amdhsa_dx10_clamp 1
		.amdhsa_ieee_mode 1
		.amdhsa_fp16_overflow 0
		.amdhsa_tg_split 0
		.amdhsa_exception_fp_ieee_invalid_op 0
		.amdhsa_exception_fp_denorm_src 0
		.amdhsa_exception_fp_ieee_div_zero 0
		.amdhsa_exception_fp_ieee_overflow 0
		.amdhsa_exception_fp_ieee_underflow 0
		.amdhsa_exception_fp_ieee_inexact 0
		.amdhsa_exception_int_div_zero 0
	.end_amdhsa_kernel
	.section	.text._ZN7rocprim17ROCPRIM_400000_NS6detail17trampoline_kernelINS0_14default_configENS1_38merge_sort_block_merge_config_selectorIiiEEZZNS1_27merge_sort_block_merge_implIS3_N6thrust23THRUST_200600_302600_NS6detail15normal_iteratorINS8_10device_ptrIiEEEESD_jNS1_19radix_merge_compareILb1ELb0EiNS0_19identity_decomposerEEEEE10hipError_tT0_T1_T2_jT3_P12ihipStream_tbPNSt15iterator_traitsISI_E10value_typeEPNSO_ISJ_E10value_typeEPSK_NS1_7vsmem_tEENKUlT_SI_SJ_SK_E_clIPiSD_S10_SD_EESH_SX_SI_SJ_SK_EUlSX_E1_NS1_11comp_targetILNS1_3genE5ELNS1_11target_archE942ELNS1_3gpuE9ELNS1_3repE0EEENS1_36merge_oddeven_config_static_selectorELNS0_4arch9wavefront6targetE1EEEvSJ_,"axG",@progbits,_ZN7rocprim17ROCPRIM_400000_NS6detail17trampoline_kernelINS0_14default_configENS1_38merge_sort_block_merge_config_selectorIiiEEZZNS1_27merge_sort_block_merge_implIS3_N6thrust23THRUST_200600_302600_NS6detail15normal_iteratorINS8_10device_ptrIiEEEESD_jNS1_19radix_merge_compareILb1ELb0EiNS0_19identity_decomposerEEEEE10hipError_tT0_T1_T2_jT3_P12ihipStream_tbPNSt15iterator_traitsISI_E10value_typeEPNSO_ISJ_E10value_typeEPSK_NS1_7vsmem_tEENKUlT_SI_SJ_SK_E_clIPiSD_S10_SD_EESH_SX_SI_SJ_SK_EUlSX_E1_NS1_11comp_targetILNS1_3genE5ELNS1_11target_archE942ELNS1_3gpuE9ELNS1_3repE0EEENS1_36merge_oddeven_config_static_selectorELNS0_4arch9wavefront6targetE1EEEvSJ_,comdat
.Lfunc_end1741:
	.size	_ZN7rocprim17ROCPRIM_400000_NS6detail17trampoline_kernelINS0_14default_configENS1_38merge_sort_block_merge_config_selectorIiiEEZZNS1_27merge_sort_block_merge_implIS3_N6thrust23THRUST_200600_302600_NS6detail15normal_iteratorINS8_10device_ptrIiEEEESD_jNS1_19radix_merge_compareILb1ELb0EiNS0_19identity_decomposerEEEEE10hipError_tT0_T1_T2_jT3_P12ihipStream_tbPNSt15iterator_traitsISI_E10value_typeEPNSO_ISJ_E10value_typeEPSK_NS1_7vsmem_tEENKUlT_SI_SJ_SK_E_clIPiSD_S10_SD_EESH_SX_SI_SJ_SK_EUlSX_E1_NS1_11comp_targetILNS1_3genE5ELNS1_11target_archE942ELNS1_3gpuE9ELNS1_3repE0EEENS1_36merge_oddeven_config_static_selectorELNS0_4arch9wavefront6targetE1EEEvSJ_, .Lfunc_end1741-_ZN7rocprim17ROCPRIM_400000_NS6detail17trampoline_kernelINS0_14default_configENS1_38merge_sort_block_merge_config_selectorIiiEEZZNS1_27merge_sort_block_merge_implIS3_N6thrust23THRUST_200600_302600_NS6detail15normal_iteratorINS8_10device_ptrIiEEEESD_jNS1_19radix_merge_compareILb1ELb0EiNS0_19identity_decomposerEEEEE10hipError_tT0_T1_T2_jT3_P12ihipStream_tbPNSt15iterator_traitsISI_E10value_typeEPNSO_ISJ_E10value_typeEPSK_NS1_7vsmem_tEENKUlT_SI_SJ_SK_E_clIPiSD_S10_SD_EESH_SX_SI_SJ_SK_EUlSX_E1_NS1_11comp_targetILNS1_3genE5ELNS1_11target_archE942ELNS1_3gpuE9ELNS1_3repE0EEENS1_36merge_oddeven_config_static_selectorELNS0_4arch9wavefront6targetE1EEEvSJ_
                                        ; -- End function
	.set _ZN7rocprim17ROCPRIM_400000_NS6detail17trampoline_kernelINS0_14default_configENS1_38merge_sort_block_merge_config_selectorIiiEEZZNS1_27merge_sort_block_merge_implIS3_N6thrust23THRUST_200600_302600_NS6detail15normal_iteratorINS8_10device_ptrIiEEEESD_jNS1_19radix_merge_compareILb1ELb0EiNS0_19identity_decomposerEEEEE10hipError_tT0_T1_T2_jT3_P12ihipStream_tbPNSt15iterator_traitsISI_E10value_typeEPNSO_ISJ_E10value_typeEPSK_NS1_7vsmem_tEENKUlT_SI_SJ_SK_E_clIPiSD_S10_SD_EESH_SX_SI_SJ_SK_EUlSX_E1_NS1_11comp_targetILNS1_3genE5ELNS1_11target_archE942ELNS1_3gpuE9ELNS1_3repE0EEENS1_36merge_oddeven_config_static_selectorELNS0_4arch9wavefront6targetE1EEEvSJ_.num_vgpr, 0
	.set _ZN7rocprim17ROCPRIM_400000_NS6detail17trampoline_kernelINS0_14default_configENS1_38merge_sort_block_merge_config_selectorIiiEEZZNS1_27merge_sort_block_merge_implIS3_N6thrust23THRUST_200600_302600_NS6detail15normal_iteratorINS8_10device_ptrIiEEEESD_jNS1_19radix_merge_compareILb1ELb0EiNS0_19identity_decomposerEEEEE10hipError_tT0_T1_T2_jT3_P12ihipStream_tbPNSt15iterator_traitsISI_E10value_typeEPNSO_ISJ_E10value_typeEPSK_NS1_7vsmem_tEENKUlT_SI_SJ_SK_E_clIPiSD_S10_SD_EESH_SX_SI_SJ_SK_EUlSX_E1_NS1_11comp_targetILNS1_3genE5ELNS1_11target_archE942ELNS1_3gpuE9ELNS1_3repE0EEENS1_36merge_oddeven_config_static_selectorELNS0_4arch9wavefront6targetE1EEEvSJ_.num_agpr, 0
	.set _ZN7rocprim17ROCPRIM_400000_NS6detail17trampoline_kernelINS0_14default_configENS1_38merge_sort_block_merge_config_selectorIiiEEZZNS1_27merge_sort_block_merge_implIS3_N6thrust23THRUST_200600_302600_NS6detail15normal_iteratorINS8_10device_ptrIiEEEESD_jNS1_19radix_merge_compareILb1ELb0EiNS0_19identity_decomposerEEEEE10hipError_tT0_T1_T2_jT3_P12ihipStream_tbPNSt15iterator_traitsISI_E10value_typeEPNSO_ISJ_E10value_typeEPSK_NS1_7vsmem_tEENKUlT_SI_SJ_SK_E_clIPiSD_S10_SD_EESH_SX_SI_SJ_SK_EUlSX_E1_NS1_11comp_targetILNS1_3genE5ELNS1_11target_archE942ELNS1_3gpuE9ELNS1_3repE0EEENS1_36merge_oddeven_config_static_selectorELNS0_4arch9wavefront6targetE1EEEvSJ_.numbered_sgpr, 0
	.set _ZN7rocprim17ROCPRIM_400000_NS6detail17trampoline_kernelINS0_14default_configENS1_38merge_sort_block_merge_config_selectorIiiEEZZNS1_27merge_sort_block_merge_implIS3_N6thrust23THRUST_200600_302600_NS6detail15normal_iteratorINS8_10device_ptrIiEEEESD_jNS1_19radix_merge_compareILb1ELb0EiNS0_19identity_decomposerEEEEE10hipError_tT0_T1_T2_jT3_P12ihipStream_tbPNSt15iterator_traitsISI_E10value_typeEPNSO_ISJ_E10value_typeEPSK_NS1_7vsmem_tEENKUlT_SI_SJ_SK_E_clIPiSD_S10_SD_EESH_SX_SI_SJ_SK_EUlSX_E1_NS1_11comp_targetILNS1_3genE5ELNS1_11target_archE942ELNS1_3gpuE9ELNS1_3repE0EEENS1_36merge_oddeven_config_static_selectorELNS0_4arch9wavefront6targetE1EEEvSJ_.num_named_barrier, 0
	.set _ZN7rocprim17ROCPRIM_400000_NS6detail17trampoline_kernelINS0_14default_configENS1_38merge_sort_block_merge_config_selectorIiiEEZZNS1_27merge_sort_block_merge_implIS3_N6thrust23THRUST_200600_302600_NS6detail15normal_iteratorINS8_10device_ptrIiEEEESD_jNS1_19radix_merge_compareILb1ELb0EiNS0_19identity_decomposerEEEEE10hipError_tT0_T1_T2_jT3_P12ihipStream_tbPNSt15iterator_traitsISI_E10value_typeEPNSO_ISJ_E10value_typeEPSK_NS1_7vsmem_tEENKUlT_SI_SJ_SK_E_clIPiSD_S10_SD_EESH_SX_SI_SJ_SK_EUlSX_E1_NS1_11comp_targetILNS1_3genE5ELNS1_11target_archE942ELNS1_3gpuE9ELNS1_3repE0EEENS1_36merge_oddeven_config_static_selectorELNS0_4arch9wavefront6targetE1EEEvSJ_.private_seg_size, 0
	.set _ZN7rocprim17ROCPRIM_400000_NS6detail17trampoline_kernelINS0_14default_configENS1_38merge_sort_block_merge_config_selectorIiiEEZZNS1_27merge_sort_block_merge_implIS3_N6thrust23THRUST_200600_302600_NS6detail15normal_iteratorINS8_10device_ptrIiEEEESD_jNS1_19radix_merge_compareILb1ELb0EiNS0_19identity_decomposerEEEEE10hipError_tT0_T1_T2_jT3_P12ihipStream_tbPNSt15iterator_traitsISI_E10value_typeEPNSO_ISJ_E10value_typeEPSK_NS1_7vsmem_tEENKUlT_SI_SJ_SK_E_clIPiSD_S10_SD_EESH_SX_SI_SJ_SK_EUlSX_E1_NS1_11comp_targetILNS1_3genE5ELNS1_11target_archE942ELNS1_3gpuE9ELNS1_3repE0EEENS1_36merge_oddeven_config_static_selectorELNS0_4arch9wavefront6targetE1EEEvSJ_.uses_vcc, 0
	.set _ZN7rocprim17ROCPRIM_400000_NS6detail17trampoline_kernelINS0_14default_configENS1_38merge_sort_block_merge_config_selectorIiiEEZZNS1_27merge_sort_block_merge_implIS3_N6thrust23THRUST_200600_302600_NS6detail15normal_iteratorINS8_10device_ptrIiEEEESD_jNS1_19radix_merge_compareILb1ELb0EiNS0_19identity_decomposerEEEEE10hipError_tT0_T1_T2_jT3_P12ihipStream_tbPNSt15iterator_traitsISI_E10value_typeEPNSO_ISJ_E10value_typeEPSK_NS1_7vsmem_tEENKUlT_SI_SJ_SK_E_clIPiSD_S10_SD_EESH_SX_SI_SJ_SK_EUlSX_E1_NS1_11comp_targetILNS1_3genE5ELNS1_11target_archE942ELNS1_3gpuE9ELNS1_3repE0EEENS1_36merge_oddeven_config_static_selectorELNS0_4arch9wavefront6targetE1EEEvSJ_.uses_flat_scratch, 0
	.set _ZN7rocprim17ROCPRIM_400000_NS6detail17trampoline_kernelINS0_14default_configENS1_38merge_sort_block_merge_config_selectorIiiEEZZNS1_27merge_sort_block_merge_implIS3_N6thrust23THRUST_200600_302600_NS6detail15normal_iteratorINS8_10device_ptrIiEEEESD_jNS1_19radix_merge_compareILb1ELb0EiNS0_19identity_decomposerEEEEE10hipError_tT0_T1_T2_jT3_P12ihipStream_tbPNSt15iterator_traitsISI_E10value_typeEPNSO_ISJ_E10value_typeEPSK_NS1_7vsmem_tEENKUlT_SI_SJ_SK_E_clIPiSD_S10_SD_EESH_SX_SI_SJ_SK_EUlSX_E1_NS1_11comp_targetILNS1_3genE5ELNS1_11target_archE942ELNS1_3gpuE9ELNS1_3repE0EEENS1_36merge_oddeven_config_static_selectorELNS0_4arch9wavefront6targetE1EEEvSJ_.has_dyn_sized_stack, 0
	.set _ZN7rocprim17ROCPRIM_400000_NS6detail17trampoline_kernelINS0_14default_configENS1_38merge_sort_block_merge_config_selectorIiiEEZZNS1_27merge_sort_block_merge_implIS3_N6thrust23THRUST_200600_302600_NS6detail15normal_iteratorINS8_10device_ptrIiEEEESD_jNS1_19radix_merge_compareILb1ELb0EiNS0_19identity_decomposerEEEEE10hipError_tT0_T1_T2_jT3_P12ihipStream_tbPNSt15iterator_traitsISI_E10value_typeEPNSO_ISJ_E10value_typeEPSK_NS1_7vsmem_tEENKUlT_SI_SJ_SK_E_clIPiSD_S10_SD_EESH_SX_SI_SJ_SK_EUlSX_E1_NS1_11comp_targetILNS1_3genE5ELNS1_11target_archE942ELNS1_3gpuE9ELNS1_3repE0EEENS1_36merge_oddeven_config_static_selectorELNS0_4arch9wavefront6targetE1EEEvSJ_.has_recursion, 0
	.set _ZN7rocprim17ROCPRIM_400000_NS6detail17trampoline_kernelINS0_14default_configENS1_38merge_sort_block_merge_config_selectorIiiEEZZNS1_27merge_sort_block_merge_implIS3_N6thrust23THRUST_200600_302600_NS6detail15normal_iteratorINS8_10device_ptrIiEEEESD_jNS1_19radix_merge_compareILb1ELb0EiNS0_19identity_decomposerEEEEE10hipError_tT0_T1_T2_jT3_P12ihipStream_tbPNSt15iterator_traitsISI_E10value_typeEPNSO_ISJ_E10value_typeEPSK_NS1_7vsmem_tEENKUlT_SI_SJ_SK_E_clIPiSD_S10_SD_EESH_SX_SI_SJ_SK_EUlSX_E1_NS1_11comp_targetILNS1_3genE5ELNS1_11target_archE942ELNS1_3gpuE9ELNS1_3repE0EEENS1_36merge_oddeven_config_static_selectorELNS0_4arch9wavefront6targetE1EEEvSJ_.has_indirect_call, 0
	.section	.AMDGPU.csdata,"",@progbits
; Kernel info:
; codeLenInByte = 0
; TotalNumSgprs: 6
; NumVgprs: 0
; NumAgprs: 0
; TotalNumVgprs: 0
; ScratchSize: 0
; MemoryBound: 0
; FloatMode: 240
; IeeeMode: 1
; LDSByteSize: 0 bytes/workgroup (compile time only)
; SGPRBlocks: 0
; VGPRBlocks: 0
; NumSGPRsForWavesPerEU: 6
; NumVGPRsForWavesPerEU: 1
; AccumOffset: 4
; Occupancy: 8
; WaveLimiterHint : 0
; COMPUTE_PGM_RSRC2:SCRATCH_EN: 0
; COMPUTE_PGM_RSRC2:USER_SGPR: 2
; COMPUTE_PGM_RSRC2:TRAP_HANDLER: 0
; COMPUTE_PGM_RSRC2:TGID_X_EN: 1
; COMPUTE_PGM_RSRC2:TGID_Y_EN: 0
; COMPUTE_PGM_RSRC2:TGID_Z_EN: 0
; COMPUTE_PGM_RSRC2:TIDIG_COMP_CNT: 0
; COMPUTE_PGM_RSRC3_GFX90A:ACCUM_OFFSET: 0
; COMPUTE_PGM_RSRC3_GFX90A:TG_SPLIT: 0
	.section	.text._ZN7rocprim17ROCPRIM_400000_NS6detail17trampoline_kernelINS0_14default_configENS1_38merge_sort_block_merge_config_selectorIiiEEZZNS1_27merge_sort_block_merge_implIS3_N6thrust23THRUST_200600_302600_NS6detail15normal_iteratorINS8_10device_ptrIiEEEESD_jNS1_19radix_merge_compareILb1ELb0EiNS0_19identity_decomposerEEEEE10hipError_tT0_T1_T2_jT3_P12ihipStream_tbPNSt15iterator_traitsISI_E10value_typeEPNSO_ISJ_E10value_typeEPSK_NS1_7vsmem_tEENKUlT_SI_SJ_SK_E_clIPiSD_S10_SD_EESH_SX_SI_SJ_SK_EUlSX_E1_NS1_11comp_targetILNS1_3genE4ELNS1_11target_archE910ELNS1_3gpuE8ELNS1_3repE0EEENS1_36merge_oddeven_config_static_selectorELNS0_4arch9wavefront6targetE1EEEvSJ_,"axG",@progbits,_ZN7rocprim17ROCPRIM_400000_NS6detail17trampoline_kernelINS0_14default_configENS1_38merge_sort_block_merge_config_selectorIiiEEZZNS1_27merge_sort_block_merge_implIS3_N6thrust23THRUST_200600_302600_NS6detail15normal_iteratorINS8_10device_ptrIiEEEESD_jNS1_19radix_merge_compareILb1ELb0EiNS0_19identity_decomposerEEEEE10hipError_tT0_T1_T2_jT3_P12ihipStream_tbPNSt15iterator_traitsISI_E10value_typeEPNSO_ISJ_E10value_typeEPSK_NS1_7vsmem_tEENKUlT_SI_SJ_SK_E_clIPiSD_S10_SD_EESH_SX_SI_SJ_SK_EUlSX_E1_NS1_11comp_targetILNS1_3genE4ELNS1_11target_archE910ELNS1_3gpuE8ELNS1_3repE0EEENS1_36merge_oddeven_config_static_selectorELNS0_4arch9wavefront6targetE1EEEvSJ_,comdat
	.protected	_ZN7rocprim17ROCPRIM_400000_NS6detail17trampoline_kernelINS0_14default_configENS1_38merge_sort_block_merge_config_selectorIiiEEZZNS1_27merge_sort_block_merge_implIS3_N6thrust23THRUST_200600_302600_NS6detail15normal_iteratorINS8_10device_ptrIiEEEESD_jNS1_19radix_merge_compareILb1ELb0EiNS0_19identity_decomposerEEEEE10hipError_tT0_T1_T2_jT3_P12ihipStream_tbPNSt15iterator_traitsISI_E10value_typeEPNSO_ISJ_E10value_typeEPSK_NS1_7vsmem_tEENKUlT_SI_SJ_SK_E_clIPiSD_S10_SD_EESH_SX_SI_SJ_SK_EUlSX_E1_NS1_11comp_targetILNS1_3genE4ELNS1_11target_archE910ELNS1_3gpuE8ELNS1_3repE0EEENS1_36merge_oddeven_config_static_selectorELNS0_4arch9wavefront6targetE1EEEvSJ_ ; -- Begin function _ZN7rocprim17ROCPRIM_400000_NS6detail17trampoline_kernelINS0_14default_configENS1_38merge_sort_block_merge_config_selectorIiiEEZZNS1_27merge_sort_block_merge_implIS3_N6thrust23THRUST_200600_302600_NS6detail15normal_iteratorINS8_10device_ptrIiEEEESD_jNS1_19radix_merge_compareILb1ELb0EiNS0_19identity_decomposerEEEEE10hipError_tT0_T1_T2_jT3_P12ihipStream_tbPNSt15iterator_traitsISI_E10value_typeEPNSO_ISJ_E10value_typeEPSK_NS1_7vsmem_tEENKUlT_SI_SJ_SK_E_clIPiSD_S10_SD_EESH_SX_SI_SJ_SK_EUlSX_E1_NS1_11comp_targetILNS1_3genE4ELNS1_11target_archE910ELNS1_3gpuE8ELNS1_3repE0EEENS1_36merge_oddeven_config_static_selectorELNS0_4arch9wavefront6targetE1EEEvSJ_
	.globl	_ZN7rocprim17ROCPRIM_400000_NS6detail17trampoline_kernelINS0_14default_configENS1_38merge_sort_block_merge_config_selectorIiiEEZZNS1_27merge_sort_block_merge_implIS3_N6thrust23THRUST_200600_302600_NS6detail15normal_iteratorINS8_10device_ptrIiEEEESD_jNS1_19radix_merge_compareILb1ELb0EiNS0_19identity_decomposerEEEEE10hipError_tT0_T1_T2_jT3_P12ihipStream_tbPNSt15iterator_traitsISI_E10value_typeEPNSO_ISJ_E10value_typeEPSK_NS1_7vsmem_tEENKUlT_SI_SJ_SK_E_clIPiSD_S10_SD_EESH_SX_SI_SJ_SK_EUlSX_E1_NS1_11comp_targetILNS1_3genE4ELNS1_11target_archE910ELNS1_3gpuE8ELNS1_3repE0EEENS1_36merge_oddeven_config_static_selectorELNS0_4arch9wavefront6targetE1EEEvSJ_
	.p2align	8
	.type	_ZN7rocprim17ROCPRIM_400000_NS6detail17trampoline_kernelINS0_14default_configENS1_38merge_sort_block_merge_config_selectorIiiEEZZNS1_27merge_sort_block_merge_implIS3_N6thrust23THRUST_200600_302600_NS6detail15normal_iteratorINS8_10device_ptrIiEEEESD_jNS1_19radix_merge_compareILb1ELb0EiNS0_19identity_decomposerEEEEE10hipError_tT0_T1_T2_jT3_P12ihipStream_tbPNSt15iterator_traitsISI_E10value_typeEPNSO_ISJ_E10value_typeEPSK_NS1_7vsmem_tEENKUlT_SI_SJ_SK_E_clIPiSD_S10_SD_EESH_SX_SI_SJ_SK_EUlSX_E1_NS1_11comp_targetILNS1_3genE4ELNS1_11target_archE910ELNS1_3gpuE8ELNS1_3repE0EEENS1_36merge_oddeven_config_static_selectorELNS0_4arch9wavefront6targetE1EEEvSJ_,@function
_ZN7rocprim17ROCPRIM_400000_NS6detail17trampoline_kernelINS0_14default_configENS1_38merge_sort_block_merge_config_selectorIiiEEZZNS1_27merge_sort_block_merge_implIS3_N6thrust23THRUST_200600_302600_NS6detail15normal_iteratorINS8_10device_ptrIiEEEESD_jNS1_19radix_merge_compareILb1ELb0EiNS0_19identity_decomposerEEEEE10hipError_tT0_T1_T2_jT3_P12ihipStream_tbPNSt15iterator_traitsISI_E10value_typeEPNSO_ISJ_E10value_typeEPSK_NS1_7vsmem_tEENKUlT_SI_SJ_SK_E_clIPiSD_S10_SD_EESH_SX_SI_SJ_SK_EUlSX_E1_NS1_11comp_targetILNS1_3genE4ELNS1_11target_archE910ELNS1_3gpuE8ELNS1_3repE0EEENS1_36merge_oddeven_config_static_selectorELNS0_4arch9wavefront6targetE1EEEvSJ_: ; @_ZN7rocprim17ROCPRIM_400000_NS6detail17trampoline_kernelINS0_14default_configENS1_38merge_sort_block_merge_config_selectorIiiEEZZNS1_27merge_sort_block_merge_implIS3_N6thrust23THRUST_200600_302600_NS6detail15normal_iteratorINS8_10device_ptrIiEEEESD_jNS1_19radix_merge_compareILb1ELb0EiNS0_19identity_decomposerEEEEE10hipError_tT0_T1_T2_jT3_P12ihipStream_tbPNSt15iterator_traitsISI_E10value_typeEPNSO_ISJ_E10value_typeEPSK_NS1_7vsmem_tEENKUlT_SI_SJ_SK_E_clIPiSD_S10_SD_EESH_SX_SI_SJ_SK_EUlSX_E1_NS1_11comp_targetILNS1_3genE4ELNS1_11target_archE910ELNS1_3gpuE8ELNS1_3repE0EEENS1_36merge_oddeven_config_static_selectorELNS0_4arch9wavefront6targetE1EEEvSJ_
; %bb.0:
	.section	.rodata,"a",@progbits
	.p2align	6, 0x0
	.amdhsa_kernel _ZN7rocprim17ROCPRIM_400000_NS6detail17trampoline_kernelINS0_14default_configENS1_38merge_sort_block_merge_config_selectorIiiEEZZNS1_27merge_sort_block_merge_implIS3_N6thrust23THRUST_200600_302600_NS6detail15normal_iteratorINS8_10device_ptrIiEEEESD_jNS1_19radix_merge_compareILb1ELb0EiNS0_19identity_decomposerEEEEE10hipError_tT0_T1_T2_jT3_P12ihipStream_tbPNSt15iterator_traitsISI_E10value_typeEPNSO_ISJ_E10value_typeEPSK_NS1_7vsmem_tEENKUlT_SI_SJ_SK_E_clIPiSD_S10_SD_EESH_SX_SI_SJ_SK_EUlSX_E1_NS1_11comp_targetILNS1_3genE4ELNS1_11target_archE910ELNS1_3gpuE8ELNS1_3repE0EEENS1_36merge_oddeven_config_static_selectorELNS0_4arch9wavefront6targetE1EEEvSJ_
		.amdhsa_group_segment_fixed_size 0
		.amdhsa_private_segment_fixed_size 0
		.amdhsa_kernarg_size 48
		.amdhsa_user_sgpr_count 2
		.amdhsa_user_sgpr_dispatch_ptr 0
		.amdhsa_user_sgpr_queue_ptr 0
		.amdhsa_user_sgpr_kernarg_segment_ptr 1
		.amdhsa_user_sgpr_dispatch_id 0
		.amdhsa_user_sgpr_kernarg_preload_length 0
		.amdhsa_user_sgpr_kernarg_preload_offset 0
		.amdhsa_user_sgpr_private_segment_size 0
		.amdhsa_uses_dynamic_stack 0
		.amdhsa_enable_private_segment 0
		.amdhsa_system_sgpr_workgroup_id_x 1
		.amdhsa_system_sgpr_workgroup_id_y 0
		.amdhsa_system_sgpr_workgroup_id_z 0
		.amdhsa_system_sgpr_workgroup_info 0
		.amdhsa_system_vgpr_workitem_id 0
		.amdhsa_next_free_vgpr 1
		.amdhsa_next_free_sgpr 0
		.amdhsa_accum_offset 4
		.amdhsa_reserve_vcc 0
		.amdhsa_float_round_mode_32 0
		.amdhsa_float_round_mode_16_64 0
		.amdhsa_float_denorm_mode_32 3
		.amdhsa_float_denorm_mode_16_64 3
		.amdhsa_dx10_clamp 1
		.amdhsa_ieee_mode 1
		.amdhsa_fp16_overflow 0
		.amdhsa_tg_split 0
		.amdhsa_exception_fp_ieee_invalid_op 0
		.amdhsa_exception_fp_denorm_src 0
		.amdhsa_exception_fp_ieee_div_zero 0
		.amdhsa_exception_fp_ieee_overflow 0
		.amdhsa_exception_fp_ieee_underflow 0
		.amdhsa_exception_fp_ieee_inexact 0
		.amdhsa_exception_int_div_zero 0
	.end_amdhsa_kernel
	.section	.text._ZN7rocprim17ROCPRIM_400000_NS6detail17trampoline_kernelINS0_14default_configENS1_38merge_sort_block_merge_config_selectorIiiEEZZNS1_27merge_sort_block_merge_implIS3_N6thrust23THRUST_200600_302600_NS6detail15normal_iteratorINS8_10device_ptrIiEEEESD_jNS1_19radix_merge_compareILb1ELb0EiNS0_19identity_decomposerEEEEE10hipError_tT0_T1_T2_jT3_P12ihipStream_tbPNSt15iterator_traitsISI_E10value_typeEPNSO_ISJ_E10value_typeEPSK_NS1_7vsmem_tEENKUlT_SI_SJ_SK_E_clIPiSD_S10_SD_EESH_SX_SI_SJ_SK_EUlSX_E1_NS1_11comp_targetILNS1_3genE4ELNS1_11target_archE910ELNS1_3gpuE8ELNS1_3repE0EEENS1_36merge_oddeven_config_static_selectorELNS0_4arch9wavefront6targetE1EEEvSJ_,"axG",@progbits,_ZN7rocprim17ROCPRIM_400000_NS6detail17trampoline_kernelINS0_14default_configENS1_38merge_sort_block_merge_config_selectorIiiEEZZNS1_27merge_sort_block_merge_implIS3_N6thrust23THRUST_200600_302600_NS6detail15normal_iteratorINS8_10device_ptrIiEEEESD_jNS1_19radix_merge_compareILb1ELb0EiNS0_19identity_decomposerEEEEE10hipError_tT0_T1_T2_jT3_P12ihipStream_tbPNSt15iterator_traitsISI_E10value_typeEPNSO_ISJ_E10value_typeEPSK_NS1_7vsmem_tEENKUlT_SI_SJ_SK_E_clIPiSD_S10_SD_EESH_SX_SI_SJ_SK_EUlSX_E1_NS1_11comp_targetILNS1_3genE4ELNS1_11target_archE910ELNS1_3gpuE8ELNS1_3repE0EEENS1_36merge_oddeven_config_static_selectorELNS0_4arch9wavefront6targetE1EEEvSJ_,comdat
.Lfunc_end1742:
	.size	_ZN7rocprim17ROCPRIM_400000_NS6detail17trampoline_kernelINS0_14default_configENS1_38merge_sort_block_merge_config_selectorIiiEEZZNS1_27merge_sort_block_merge_implIS3_N6thrust23THRUST_200600_302600_NS6detail15normal_iteratorINS8_10device_ptrIiEEEESD_jNS1_19radix_merge_compareILb1ELb0EiNS0_19identity_decomposerEEEEE10hipError_tT0_T1_T2_jT3_P12ihipStream_tbPNSt15iterator_traitsISI_E10value_typeEPNSO_ISJ_E10value_typeEPSK_NS1_7vsmem_tEENKUlT_SI_SJ_SK_E_clIPiSD_S10_SD_EESH_SX_SI_SJ_SK_EUlSX_E1_NS1_11comp_targetILNS1_3genE4ELNS1_11target_archE910ELNS1_3gpuE8ELNS1_3repE0EEENS1_36merge_oddeven_config_static_selectorELNS0_4arch9wavefront6targetE1EEEvSJ_, .Lfunc_end1742-_ZN7rocprim17ROCPRIM_400000_NS6detail17trampoline_kernelINS0_14default_configENS1_38merge_sort_block_merge_config_selectorIiiEEZZNS1_27merge_sort_block_merge_implIS3_N6thrust23THRUST_200600_302600_NS6detail15normal_iteratorINS8_10device_ptrIiEEEESD_jNS1_19radix_merge_compareILb1ELb0EiNS0_19identity_decomposerEEEEE10hipError_tT0_T1_T2_jT3_P12ihipStream_tbPNSt15iterator_traitsISI_E10value_typeEPNSO_ISJ_E10value_typeEPSK_NS1_7vsmem_tEENKUlT_SI_SJ_SK_E_clIPiSD_S10_SD_EESH_SX_SI_SJ_SK_EUlSX_E1_NS1_11comp_targetILNS1_3genE4ELNS1_11target_archE910ELNS1_3gpuE8ELNS1_3repE0EEENS1_36merge_oddeven_config_static_selectorELNS0_4arch9wavefront6targetE1EEEvSJ_
                                        ; -- End function
	.set _ZN7rocprim17ROCPRIM_400000_NS6detail17trampoline_kernelINS0_14default_configENS1_38merge_sort_block_merge_config_selectorIiiEEZZNS1_27merge_sort_block_merge_implIS3_N6thrust23THRUST_200600_302600_NS6detail15normal_iteratorINS8_10device_ptrIiEEEESD_jNS1_19radix_merge_compareILb1ELb0EiNS0_19identity_decomposerEEEEE10hipError_tT0_T1_T2_jT3_P12ihipStream_tbPNSt15iterator_traitsISI_E10value_typeEPNSO_ISJ_E10value_typeEPSK_NS1_7vsmem_tEENKUlT_SI_SJ_SK_E_clIPiSD_S10_SD_EESH_SX_SI_SJ_SK_EUlSX_E1_NS1_11comp_targetILNS1_3genE4ELNS1_11target_archE910ELNS1_3gpuE8ELNS1_3repE0EEENS1_36merge_oddeven_config_static_selectorELNS0_4arch9wavefront6targetE1EEEvSJ_.num_vgpr, 0
	.set _ZN7rocprim17ROCPRIM_400000_NS6detail17trampoline_kernelINS0_14default_configENS1_38merge_sort_block_merge_config_selectorIiiEEZZNS1_27merge_sort_block_merge_implIS3_N6thrust23THRUST_200600_302600_NS6detail15normal_iteratorINS8_10device_ptrIiEEEESD_jNS1_19radix_merge_compareILb1ELb0EiNS0_19identity_decomposerEEEEE10hipError_tT0_T1_T2_jT3_P12ihipStream_tbPNSt15iterator_traitsISI_E10value_typeEPNSO_ISJ_E10value_typeEPSK_NS1_7vsmem_tEENKUlT_SI_SJ_SK_E_clIPiSD_S10_SD_EESH_SX_SI_SJ_SK_EUlSX_E1_NS1_11comp_targetILNS1_3genE4ELNS1_11target_archE910ELNS1_3gpuE8ELNS1_3repE0EEENS1_36merge_oddeven_config_static_selectorELNS0_4arch9wavefront6targetE1EEEvSJ_.num_agpr, 0
	.set _ZN7rocprim17ROCPRIM_400000_NS6detail17trampoline_kernelINS0_14default_configENS1_38merge_sort_block_merge_config_selectorIiiEEZZNS1_27merge_sort_block_merge_implIS3_N6thrust23THRUST_200600_302600_NS6detail15normal_iteratorINS8_10device_ptrIiEEEESD_jNS1_19radix_merge_compareILb1ELb0EiNS0_19identity_decomposerEEEEE10hipError_tT0_T1_T2_jT3_P12ihipStream_tbPNSt15iterator_traitsISI_E10value_typeEPNSO_ISJ_E10value_typeEPSK_NS1_7vsmem_tEENKUlT_SI_SJ_SK_E_clIPiSD_S10_SD_EESH_SX_SI_SJ_SK_EUlSX_E1_NS1_11comp_targetILNS1_3genE4ELNS1_11target_archE910ELNS1_3gpuE8ELNS1_3repE0EEENS1_36merge_oddeven_config_static_selectorELNS0_4arch9wavefront6targetE1EEEvSJ_.numbered_sgpr, 0
	.set _ZN7rocprim17ROCPRIM_400000_NS6detail17trampoline_kernelINS0_14default_configENS1_38merge_sort_block_merge_config_selectorIiiEEZZNS1_27merge_sort_block_merge_implIS3_N6thrust23THRUST_200600_302600_NS6detail15normal_iteratorINS8_10device_ptrIiEEEESD_jNS1_19radix_merge_compareILb1ELb0EiNS0_19identity_decomposerEEEEE10hipError_tT0_T1_T2_jT3_P12ihipStream_tbPNSt15iterator_traitsISI_E10value_typeEPNSO_ISJ_E10value_typeEPSK_NS1_7vsmem_tEENKUlT_SI_SJ_SK_E_clIPiSD_S10_SD_EESH_SX_SI_SJ_SK_EUlSX_E1_NS1_11comp_targetILNS1_3genE4ELNS1_11target_archE910ELNS1_3gpuE8ELNS1_3repE0EEENS1_36merge_oddeven_config_static_selectorELNS0_4arch9wavefront6targetE1EEEvSJ_.num_named_barrier, 0
	.set _ZN7rocprim17ROCPRIM_400000_NS6detail17trampoline_kernelINS0_14default_configENS1_38merge_sort_block_merge_config_selectorIiiEEZZNS1_27merge_sort_block_merge_implIS3_N6thrust23THRUST_200600_302600_NS6detail15normal_iteratorINS8_10device_ptrIiEEEESD_jNS1_19radix_merge_compareILb1ELb0EiNS0_19identity_decomposerEEEEE10hipError_tT0_T1_T2_jT3_P12ihipStream_tbPNSt15iterator_traitsISI_E10value_typeEPNSO_ISJ_E10value_typeEPSK_NS1_7vsmem_tEENKUlT_SI_SJ_SK_E_clIPiSD_S10_SD_EESH_SX_SI_SJ_SK_EUlSX_E1_NS1_11comp_targetILNS1_3genE4ELNS1_11target_archE910ELNS1_3gpuE8ELNS1_3repE0EEENS1_36merge_oddeven_config_static_selectorELNS0_4arch9wavefront6targetE1EEEvSJ_.private_seg_size, 0
	.set _ZN7rocprim17ROCPRIM_400000_NS6detail17trampoline_kernelINS0_14default_configENS1_38merge_sort_block_merge_config_selectorIiiEEZZNS1_27merge_sort_block_merge_implIS3_N6thrust23THRUST_200600_302600_NS6detail15normal_iteratorINS8_10device_ptrIiEEEESD_jNS1_19radix_merge_compareILb1ELb0EiNS0_19identity_decomposerEEEEE10hipError_tT0_T1_T2_jT3_P12ihipStream_tbPNSt15iterator_traitsISI_E10value_typeEPNSO_ISJ_E10value_typeEPSK_NS1_7vsmem_tEENKUlT_SI_SJ_SK_E_clIPiSD_S10_SD_EESH_SX_SI_SJ_SK_EUlSX_E1_NS1_11comp_targetILNS1_3genE4ELNS1_11target_archE910ELNS1_3gpuE8ELNS1_3repE0EEENS1_36merge_oddeven_config_static_selectorELNS0_4arch9wavefront6targetE1EEEvSJ_.uses_vcc, 0
	.set _ZN7rocprim17ROCPRIM_400000_NS6detail17trampoline_kernelINS0_14default_configENS1_38merge_sort_block_merge_config_selectorIiiEEZZNS1_27merge_sort_block_merge_implIS3_N6thrust23THRUST_200600_302600_NS6detail15normal_iteratorINS8_10device_ptrIiEEEESD_jNS1_19radix_merge_compareILb1ELb0EiNS0_19identity_decomposerEEEEE10hipError_tT0_T1_T2_jT3_P12ihipStream_tbPNSt15iterator_traitsISI_E10value_typeEPNSO_ISJ_E10value_typeEPSK_NS1_7vsmem_tEENKUlT_SI_SJ_SK_E_clIPiSD_S10_SD_EESH_SX_SI_SJ_SK_EUlSX_E1_NS1_11comp_targetILNS1_3genE4ELNS1_11target_archE910ELNS1_3gpuE8ELNS1_3repE0EEENS1_36merge_oddeven_config_static_selectorELNS0_4arch9wavefront6targetE1EEEvSJ_.uses_flat_scratch, 0
	.set _ZN7rocprim17ROCPRIM_400000_NS6detail17trampoline_kernelINS0_14default_configENS1_38merge_sort_block_merge_config_selectorIiiEEZZNS1_27merge_sort_block_merge_implIS3_N6thrust23THRUST_200600_302600_NS6detail15normal_iteratorINS8_10device_ptrIiEEEESD_jNS1_19radix_merge_compareILb1ELb0EiNS0_19identity_decomposerEEEEE10hipError_tT0_T1_T2_jT3_P12ihipStream_tbPNSt15iterator_traitsISI_E10value_typeEPNSO_ISJ_E10value_typeEPSK_NS1_7vsmem_tEENKUlT_SI_SJ_SK_E_clIPiSD_S10_SD_EESH_SX_SI_SJ_SK_EUlSX_E1_NS1_11comp_targetILNS1_3genE4ELNS1_11target_archE910ELNS1_3gpuE8ELNS1_3repE0EEENS1_36merge_oddeven_config_static_selectorELNS0_4arch9wavefront6targetE1EEEvSJ_.has_dyn_sized_stack, 0
	.set _ZN7rocprim17ROCPRIM_400000_NS6detail17trampoline_kernelINS0_14default_configENS1_38merge_sort_block_merge_config_selectorIiiEEZZNS1_27merge_sort_block_merge_implIS3_N6thrust23THRUST_200600_302600_NS6detail15normal_iteratorINS8_10device_ptrIiEEEESD_jNS1_19radix_merge_compareILb1ELb0EiNS0_19identity_decomposerEEEEE10hipError_tT0_T1_T2_jT3_P12ihipStream_tbPNSt15iterator_traitsISI_E10value_typeEPNSO_ISJ_E10value_typeEPSK_NS1_7vsmem_tEENKUlT_SI_SJ_SK_E_clIPiSD_S10_SD_EESH_SX_SI_SJ_SK_EUlSX_E1_NS1_11comp_targetILNS1_3genE4ELNS1_11target_archE910ELNS1_3gpuE8ELNS1_3repE0EEENS1_36merge_oddeven_config_static_selectorELNS0_4arch9wavefront6targetE1EEEvSJ_.has_recursion, 0
	.set _ZN7rocprim17ROCPRIM_400000_NS6detail17trampoline_kernelINS0_14default_configENS1_38merge_sort_block_merge_config_selectorIiiEEZZNS1_27merge_sort_block_merge_implIS3_N6thrust23THRUST_200600_302600_NS6detail15normal_iteratorINS8_10device_ptrIiEEEESD_jNS1_19radix_merge_compareILb1ELb0EiNS0_19identity_decomposerEEEEE10hipError_tT0_T1_T2_jT3_P12ihipStream_tbPNSt15iterator_traitsISI_E10value_typeEPNSO_ISJ_E10value_typeEPSK_NS1_7vsmem_tEENKUlT_SI_SJ_SK_E_clIPiSD_S10_SD_EESH_SX_SI_SJ_SK_EUlSX_E1_NS1_11comp_targetILNS1_3genE4ELNS1_11target_archE910ELNS1_3gpuE8ELNS1_3repE0EEENS1_36merge_oddeven_config_static_selectorELNS0_4arch9wavefront6targetE1EEEvSJ_.has_indirect_call, 0
	.section	.AMDGPU.csdata,"",@progbits
; Kernel info:
; codeLenInByte = 0
; TotalNumSgprs: 6
; NumVgprs: 0
; NumAgprs: 0
; TotalNumVgprs: 0
; ScratchSize: 0
; MemoryBound: 0
; FloatMode: 240
; IeeeMode: 1
; LDSByteSize: 0 bytes/workgroup (compile time only)
; SGPRBlocks: 0
; VGPRBlocks: 0
; NumSGPRsForWavesPerEU: 6
; NumVGPRsForWavesPerEU: 1
; AccumOffset: 4
; Occupancy: 8
; WaveLimiterHint : 0
; COMPUTE_PGM_RSRC2:SCRATCH_EN: 0
; COMPUTE_PGM_RSRC2:USER_SGPR: 2
; COMPUTE_PGM_RSRC2:TRAP_HANDLER: 0
; COMPUTE_PGM_RSRC2:TGID_X_EN: 1
; COMPUTE_PGM_RSRC2:TGID_Y_EN: 0
; COMPUTE_PGM_RSRC2:TGID_Z_EN: 0
; COMPUTE_PGM_RSRC2:TIDIG_COMP_CNT: 0
; COMPUTE_PGM_RSRC3_GFX90A:ACCUM_OFFSET: 0
; COMPUTE_PGM_RSRC3_GFX90A:TG_SPLIT: 0
	.section	.text._ZN7rocprim17ROCPRIM_400000_NS6detail17trampoline_kernelINS0_14default_configENS1_38merge_sort_block_merge_config_selectorIiiEEZZNS1_27merge_sort_block_merge_implIS3_N6thrust23THRUST_200600_302600_NS6detail15normal_iteratorINS8_10device_ptrIiEEEESD_jNS1_19radix_merge_compareILb1ELb0EiNS0_19identity_decomposerEEEEE10hipError_tT0_T1_T2_jT3_P12ihipStream_tbPNSt15iterator_traitsISI_E10value_typeEPNSO_ISJ_E10value_typeEPSK_NS1_7vsmem_tEENKUlT_SI_SJ_SK_E_clIPiSD_S10_SD_EESH_SX_SI_SJ_SK_EUlSX_E1_NS1_11comp_targetILNS1_3genE3ELNS1_11target_archE908ELNS1_3gpuE7ELNS1_3repE0EEENS1_36merge_oddeven_config_static_selectorELNS0_4arch9wavefront6targetE1EEEvSJ_,"axG",@progbits,_ZN7rocprim17ROCPRIM_400000_NS6detail17trampoline_kernelINS0_14default_configENS1_38merge_sort_block_merge_config_selectorIiiEEZZNS1_27merge_sort_block_merge_implIS3_N6thrust23THRUST_200600_302600_NS6detail15normal_iteratorINS8_10device_ptrIiEEEESD_jNS1_19radix_merge_compareILb1ELb0EiNS0_19identity_decomposerEEEEE10hipError_tT0_T1_T2_jT3_P12ihipStream_tbPNSt15iterator_traitsISI_E10value_typeEPNSO_ISJ_E10value_typeEPSK_NS1_7vsmem_tEENKUlT_SI_SJ_SK_E_clIPiSD_S10_SD_EESH_SX_SI_SJ_SK_EUlSX_E1_NS1_11comp_targetILNS1_3genE3ELNS1_11target_archE908ELNS1_3gpuE7ELNS1_3repE0EEENS1_36merge_oddeven_config_static_selectorELNS0_4arch9wavefront6targetE1EEEvSJ_,comdat
	.protected	_ZN7rocprim17ROCPRIM_400000_NS6detail17trampoline_kernelINS0_14default_configENS1_38merge_sort_block_merge_config_selectorIiiEEZZNS1_27merge_sort_block_merge_implIS3_N6thrust23THRUST_200600_302600_NS6detail15normal_iteratorINS8_10device_ptrIiEEEESD_jNS1_19radix_merge_compareILb1ELb0EiNS0_19identity_decomposerEEEEE10hipError_tT0_T1_T2_jT3_P12ihipStream_tbPNSt15iterator_traitsISI_E10value_typeEPNSO_ISJ_E10value_typeEPSK_NS1_7vsmem_tEENKUlT_SI_SJ_SK_E_clIPiSD_S10_SD_EESH_SX_SI_SJ_SK_EUlSX_E1_NS1_11comp_targetILNS1_3genE3ELNS1_11target_archE908ELNS1_3gpuE7ELNS1_3repE0EEENS1_36merge_oddeven_config_static_selectorELNS0_4arch9wavefront6targetE1EEEvSJ_ ; -- Begin function _ZN7rocprim17ROCPRIM_400000_NS6detail17trampoline_kernelINS0_14default_configENS1_38merge_sort_block_merge_config_selectorIiiEEZZNS1_27merge_sort_block_merge_implIS3_N6thrust23THRUST_200600_302600_NS6detail15normal_iteratorINS8_10device_ptrIiEEEESD_jNS1_19radix_merge_compareILb1ELb0EiNS0_19identity_decomposerEEEEE10hipError_tT0_T1_T2_jT3_P12ihipStream_tbPNSt15iterator_traitsISI_E10value_typeEPNSO_ISJ_E10value_typeEPSK_NS1_7vsmem_tEENKUlT_SI_SJ_SK_E_clIPiSD_S10_SD_EESH_SX_SI_SJ_SK_EUlSX_E1_NS1_11comp_targetILNS1_3genE3ELNS1_11target_archE908ELNS1_3gpuE7ELNS1_3repE0EEENS1_36merge_oddeven_config_static_selectorELNS0_4arch9wavefront6targetE1EEEvSJ_
	.globl	_ZN7rocprim17ROCPRIM_400000_NS6detail17trampoline_kernelINS0_14default_configENS1_38merge_sort_block_merge_config_selectorIiiEEZZNS1_27merge_sort_block_merge_implIS3_N6thrust23THRUST_200600_302600_NS6detail15normal_iteratorINS8_10device_ptrIiEEEESD_jNS1_19radix_merge_compareILb1ELb0EiNS0_19identity_decomposerEEEEE10hipError_tT0_T1_T2_jT3_P12ihipStream_tbPNSt15iterator_traitsISI_E10value_typeEPNSO_ISJ_E10value_typeEPSK_NS1_7vsmem_tEENKUlT_SI_SJ_SK_E_clIPiSD_S10_SD_EESH_SX_SI_SJ_SK_EUlSX_E1_NS1_11comp_targetILNS1_3genE3ELNS1_11target_archE908ELNS1_3gpuE7ELNS1_3repE0EEENS1_36merge_oddeven_config_static_selectorELNS0_4arch9wavefront6targetE1EEEvSJ_
	.p2align	8
	.type	_ZN7rocprim17ROCPRIM_400000_NS6detail17trampoline_kernelINS0_14default_configENS1_38merge_sort_block_merge_config_selectorIiiEEZZNS1_27merge_sort_block_merge_implIS3_N6thrust23THRUST_200600_302600_NS6detail15normal_iteratorINS8_10device_ptrIiEEEESD_jNS1_19radix_merge_compareILb1ELb0EiNS0_19identity_decomposerEEEEE10hipError_tT0_T1_T2_jT3_P12ihipStream_tbPNSt15iterator_traitsISI_E10value_typeEPNSO_ISJ_E10value_typeEPSK_NS1_7vsmem_tEENKUlT_SI_SJ_SK_E_clIPiSD_S10_SD_EESH_SX_SI_SJ_SK_EUlSX_E1_NS1_11comp_targetILNS1_3genE3ELNS1_11target_archE908ELNS1_3gpuE7ELNS1_3repE0EEENS1_36merge_oddeven_config_static_selectorELNS0_4arch9wavefront6targetE1EEEvSJ_,@function
_ZN7rocprim17ROCPRIM_400000_NS6detail17trampoline_kernelINS0_14default_configENS1_38merge_sort_block_merge_config_selectorIiiEEZZNS1_27merge_sort_block_merge_implIS3_N6thrust23THRUST_200600_302600_NS6detail15normal_iteratorINS8_10device_ptrIiEEEESD_jNS1_19radix_merge_compareILb1ELb0EiNS0_19identity_decomposerEEEEE10hipError_tT0_T1_T2_jT3_P12ihipStream_tbPNSt15iterator_traitsISI_E10value_typeEPNSO_ISJ_E10value_typeEPSK_NS1_7vsmem_tEENKUlT_SI_SJ_SK_E_clIPiSD_S10_SD_EESH_SX_SI_SJ_SK_EUlSX_E1_NS1_11comp_targetILNS1_3genE3ELNS1_11target_archE908ELNS1_3gpuE7ELNS1_3repE0EEENS1_36merge_oddeven_config_static_selectorELNS0_4arch9wavefront6targetE1EEEvSJ_: ; @_ZN7rocprim17ROCPRIM_400000_NS6detail17trampoline_kernelINS0_14default_configENS1_38merge_sort_block_merge_config_selectorIiiEEZZNS1_27merge_sort_block_merge_implIS3_N6thrust23THRUST_200600_302600_NS6detail15normal_iteratorINS8_10device_ptrIiEEEESD_jNS1_19radix_merge_compareILb1ELb0EiNS0_19identity_decomposerEEEEE10hipError_tT0_T1_T2_jT3_P12ihipStream_tbPNSt15iterator_traitsISI_E10value_typeEPNSO_ISJ_E10value_typeEPSK_NS1_7vsmem_tEENKUlT_SI_SJ_SK_E_clIPiSD_S10_SD_EESH_SX_SI_SJ_SK_EUlSX_E1_NS1_11comp_targetILNS1_3genE3ELNS1_11target_archE908ELNS1_3gpuE7ELNS1_3repE0EEENS1_36merge_oddeven_config_static_selectorELNS0_4arch9wavefront6targetE1EEEvSJ_
; %bb.0:
	.section	.rodata,"a",@progbits
	.p2align	6, 0x0
	.amdhsa_kernel _ZN7rocprim17ROCPRIM_400000_NS6detail17trampoline_kernelINS0_14default_configENS1_38merge_sort_block_merge_config_selectorIiiEEZZNS1_27merge_sort_block_merge_implIS3_N6thrust23THRUST_200600_302600_NS6detail15normal_iteratorINS8_10device_ptrIiEEEESD_jNS1_19radix_merge_compareILb1ELb0EiNS0_19identity_decomposerEEEEE10hipError_tT0_T1_T2_jT3_P12ihipStream_tbPNSt15iterator_traitsISI_E10value_typeEPNSO_ISJ_E10value_typeEPSK_NS1_7vsmem_tEENKUlT_SI_SJ_SK_E_clIPiSD_S10_SD_EESH_SX_SI_SJ_SK_EUlSX_E1_NS1_11comp_targetILNS1_3genE3ELNS1_11target_archE908ELNS1_3gpuE7ELNS1_3repE0EEENS1_36merge_oddeven_config_static_selectorELNS0_4arch9wavefront6targetE1EEEvSJ_
		.amdhsa_group_segment_fixed_size 0
		.amdhsa_private_segment_fixed_size 0
		.amdhsa_kernarg_size 48
		.amdhsa_user_sgpr_count 2
		.amdhsa_user_sgpr_dispatch_ptr 0
		.amdhsa_user_sgpr_queue_ptr 0
		.amdhsa_user_sgpr_kernarg_segment_ptr 1
		.amdhsa_user_sgpr_dispatch_id 0
		.amdhsa_user_sgpr_kernarg_preload_length 0
		.amdhsa_user_sgpr_kernarg_preload_offset 0
		.amdhsa_user_sgpr_private_segment_size 0
		.amdhsa_uses_dynamic_stack 0
		.amdhsa_enable_private_segment 0
		.amdhsa_system_sgpr_workgroup_id_x 1
		.amdhsa_system_sgpr_workgroup_id_y 0
		.amdhsa_system_sgpr_workgroup_id_z 0
		.amdhsa_system_sgpr_workgroup_info 0
		.amdhsa_system_vgpr_workitem_id 0
		.amdhsa_next_free_vgpr 1
		.amdhsa_next_free_sgpr 0
		.amdhsa_accum_offset 4
		.amdhsa_reserve_vcc 0
		.amdhsa_float_round_mode_32 0
		.amdhsa_float_round_mode_16_64 0
		.amdhsa_float_denorm_mode_32 3
		.amdhsa_float_denorm_mode_16_64 3
		.amdhsa_dx10_clamp 1
		.amdhsa_ieee_mode 1
		.amdhsa_fp16_overflow 0
		.amdhsa_tg_split 0
		.amdhsa_exception_fp_ieee_invalid_op 0
		.amdhsa_exception_fp_denorm_src 0
		.amdhsa_exception_fp_ieee_div_zero 0
		.amdhsa_exception_fp_ieee_overflow 0
		.amdhsa_exception_fp_ieee_underflow 0
		.amdhsa_exception_fp_ieee_inexact 0
		.amdhsa_exception_int_div_zero 0
	.end_amdhsa_kernel
	.section	.text._ZN7rocprim17ROCPRIM_400000_NS6detail17trampoline_kernelINS0_14default_configENS1_38merge_sort_block_merge_config_selectorIiiEEZZNS1_27merge_sort_block_merge_implIS3_N6thrust23THRUST_200600_302600_NS6detail15normal_iteratorINS8_10device_ptrIiEEEESD_jNS1_19radix_merge_compareILb1ELb0EiNS0_19identity_decomposerEEEEE10hipError_tT0_T1_T2_jT3_P12ihipStream_tbPNSt15iterator_traitsISI_E10value_typeEPNSO_ISJ_E10value_typeEPSK_NS1_7vsmem_tEENKUlT_SI_SJ_SK_E_clIPiSD_S10_SD_EESH_SX_SI_SJ_SK_EUlSX_E1_NS1_11comp_targetILNS1_3genE3ELNS1_11target_archE908ELNS1_3gpuE7ELNS1_3repE0EEENS1_36merge_oddeven_config_static_selectorELNS0_4arch9wavefront6targetE1EEEvSJ_,"axG",@progbits,_ZN7rocprim17ROCPRIM_400000_NS6detail17trampoline_kernelINS0_14default_configENS1_38merge_sort_block_merge_config_selectorIiiEEZZNS1_27merge_sort_block_merge_implIS3_N6thrust23THRUST_200600_302600_NS6detail15normal_iteratorINS8_10device_ptrIiEEEESD_jNS1_19radix_merge_compareILb1ELb0EiNS0_19identity_decomposerEEEEE10hipError_tT0_T1_T2_jT3_P12ihipStream_tbPNSt15iterator_traitsISI_E10value_typeEPNSO_ISJ_E10value_typeEPSK_NS1_7vsmem_tEENKUlT_SI_SJ_SK_E_clIPiSD_S10_SD_EESH_SX_SI_SJ_SK_EUlSX_E1_NS1_11comp_targetILNS1_3genE3ELNS1_11target_archE908ELNS1_3gpuE7ELNS1_3repE0EEENS1_36merge_oddeven_config_static_selectorELNS0_4arch9wavefront6targetE1EEEvSJ_,comdat
.Lfunc_end1743:
	.size	_ZN7rocprim17ROCPRIM_400000_NS6detail17trampoline_kernelINS0_14default_configENS1_38merge_sort_block_merge_config_selectorIiiEEZZNS1_27merge_sort_block_merge_implIS3_N6thrust23THRUST_200600_302600_NS6detail15normal_iteratorINS8_10device_ptrIiEEEESD_jNS1_19radix_merge_compareILb1ELb0EiNS0_19identity_decomposerEEEEE10hipError_tT0_T1_T2_jT3_P12ihipStream_tbPNSt15iterator_traitsISI_E10value_typeEPNSO_ISJ_E10value_typeEPSK_NS1_7vsmem_tEENKUlT_SI_SJ_SK_E_clIPiSD_S10_SD_EESH_SX_SI_SJ_SK_EUlSX_E1_NS1_11comp_targetILNS1_3genE3ELNS1_11target_archE908ELNS1_3gpuE7ELNS1_3repE0EEENS1_36merge_oddeven_config_static_selectorELNS0_4arch9wavefront6targetE1EEEvSJ_, .Lfunc_end1743-_ZN7rocprim17ROCPRIM_400000_NS6detail17trampoline_kernelINS0_14default_configENS1_38merge_sort_block_merge_config_selectorIiiEEZZNS1_27merge_sort_block_merge_implIS3_N6thrust23THRUST_200600_302600_NS6detail15normal_iteratorINS8_10device_ptrIiEEEESD_jNS1_19radix_merge_compareILb1ELb0EiNS0_19identity_decomposerEEEEE10hipError_tT0_T1_T2_jT3_P12ihipStream_tbPNSt15iterator_traitsISI_E10value_typeEPNSO_ISJ_E10value_typeEPSK_NS1_7vsmem_tEENKUlT_SI_SJ_SK_E_clIPiSD_S10_SD_EESH_SX_SI_SJ_SK_EUlSX_E1_NS1_11comp_targetILNS1_3genE3ELNS1_11target_archE908ELNS1_3gpuE7ELNS1_3repE0EEENS1_36merge_oddeven_config_static_selectorELNS0_4arch9wavefront6targetE1EEEvSJ_
                                        ; -- End function
	.set _ZN7rocprim17ROCPRIM_400000_NS6detail17trampoline_kernelINS0_14default_configENS1_38merge_sort_block_merge_config_selectorIiiEEZZNS1_27merge_sort_block_merge_implIS3_N6thrust23THRUST_200600_302600_NS6detail15normal_iteratorINS8_10device_ptrIiEEEESD_jNS1_19radix_merge_compareILb1ELb0EiNS0_19identity_decomposerEEEEE10hipError_tT0_T1_T2_jT3_P12ihipStream_tbPNSt15iterator_traitsISI_E10value_typeEPNSO_ISJ_E10value_typeEPSK_NS1_7vsmem_tEENKUlT_SI_SJ_SK_E_clIPiSD_S10_SD_EESH_SX_SI_SJ_SK_EUlSX_E1_NS1_11comp_targetILNS1_3genE3ELNS1_11target_archE908ELNS1_3gpuE7ELNS1_3repE0EEENS1_36merge_oddeven_config_static_selectorELNS0_4arch9wavefront6targetE1EEEvSJ_.num_vgpr, 0
	.set _ZN7rocprim17ROCPRIM_400000_NS6detail17trampoline_kernelINS0_14default_configENS1_38merge_sort_block_merge_config_selectorIiiEEZZNS1_27merge_sort_block_merge_implIS3_N6thrust23THRUST_200600_302600_NS6detail15normal_iteratorINS8_10device_ptrIiEEEESD_jNS1_19radix_merge_compareILb1ELb0EiNS0_19identity_decomposerEEEEE10hipError_tT0_T1_T2_jT3_P12ihipStream_tbPNSt15iterator_traitsISI_E10value_typeEPNSO_ISJ_E10value_typeEPSK_NS1_7vsmem_tEENKUlT_SI_SJ_SK_E_clIPiSD_S10_SD_EESH_SX_SI_SJ_SK_EUlSX_E1_NS1_11comp_targetILNS1_3genE3ELNS1_11target_archE908ELNS1_3gpuE7ELNS1_3repE0EEENS1_36merge_oddeven_config_static_selectorELNS0_4arch9wavefront6targetE1EEEvSJ_.num_agpr, 0
	.set _ZN7rocprim17ROCPRIM_400000_NS6detail17trampoline_kernelINS0_14default_configENS1_38merge_sort_block_merge_config_selectorIiiEEZZNS1_27merge_sort_block_merge_implIS3_N6thrust23THRUST_200600_302600_NS6detail15normal_iteratorINS8_10device_ptrIiEEEESD_jNS1_19radix_merge_compareILb1ELb0EiNS0_19identity_decomposerEEEEE10hipError_tT0_T1_T2_jT3_P12ihipStream_tbPNSt15iterator_traitsISI_E10value_typeEPNSO_ISJ_E10value_typeEPSK_NS1_7vsmem_tEENKUlT_SI_SJ_SK_E_clIPiSD_S10_SD_EESH_SX_SI_SJ_SK_EUlSX_E1_NS1_11comp_targetILNS1_3genE3ELNS1_11target_archE908ELNS1_3gpuE7ELNS1_3repE0EEENS1_36merge_oddeven_config_static_selectorELNS0_4arch9wavefront6targetE1EEEvSJ_.numbered_sgpr, 0
	.set _ZN7rocprim17ROCPRIM_400000_NS6detail17trampoline_kernelINS0_14default_configENS1_38merge_sort_block_merge_config_selectorIiiEEZZNS1_27merge_sort_block_merge_implIS3_N6thrust23THRUST_200600_302600_NS6detail15normal_iteratorINS8_10device_ptrIiEEEESD_jNS1_19radix_merge_compareILb1ELb0EiNS0_19identity_decomposerEEEEE10hipError_tT0_T1_T2_jT3_P12ihipStream_tbPNSt15iterator_traitsISI_E10value_typeEPNSO_ISJ_E10value_typeEPSK_NS1_7vsmem_tEENKUlT_SI_SJ_SK_E_clIPiSD_S10_SD_EESH_SX_SI_SJ_SK_EUlSX_E1_NS1_11comp_targetILNS1_3genE3ELNS1_11target_archE908ELNS1_3gpuE7ELNS1_3repE0EEENS1_36merge_oddeven_config_static_selectorELNS0_4arch9wavefront6targetE1EEEvSJ_.num_named_barrier, 0
	.set _ZN7rocprim17ROCPRIM_400000_NS6detail17trampoline_kernelINS0_14default_configENS1_38merge_sort_block_merge_config_selectorIiiEEZZNS1_27merge_sort_block_merge_implIS3_N6thrust23THRUST_200600_302600_NS6detail15normal_iteratorINS8_10device_ptrIiEEEESD_jNS1_19radix_merge_compareILb1ELb0EiNS0_19identity_decomposerEEEEE10hipError_tT0_T1_T2_jT3_P12ihipStream_tbPNSt15iterator_traitsISI_E10value_typeEPNSO_ISJ_E10value_typeEPSK_NS1_7vsmem_tEENKUlT_SI_SJ_SK_E_clIPiSD_S10_SD_EESH_SX_SI_SJ_SK_EUlSX_E1_NS1_11comp_targetILNS1_3genE3ELNS1_11target_archE908ELNS1_3gpuE7ELNS1_3repE0EEENS1_36merge_oddeven_config_static_selectorELNS0_4arch9wavefront6targetE1EEEvSJ_.private_seg_size, 0
	.set _ZN7rocprim17ROCPRIM_400000_NS6detail17trampoline_kernelINS0_14default_configENS1_38merge_sort_block_merge_config_selectorIiiEEZZNS1_27merge_sort_block_merge_implIS3_N6thrust23THRUST_200600_302600_NS6detail15normal_iteratorINS8_10device_ptrIiEEEESD_jNS1_19radix_merge_compareILb1ELb0EiNS0_19identity_decomposerEEEEE10hipError_tT0_T1_T2_jT3_P12ihipStream_tbPNSt15iterator_traitsISI_E10value_typeEPNSO_ISJ_E10value_typeEPSK_NS1_7vsmem_tEENKUlT_SI_SJ_SK_E_clIPiSD_S10_SD_EESH_SX_SI_SJ_SK_EUlSX_E1_NS1_11comp_targetILNS1_3genE3ELNS1_11target_archE908ELNS1_3gpuE7ELNS1_3repE0EEENS1_36merge_oddeven_config_static_selectorELNS0_4arch9wavefront6targetE1EEEvSJ_.uses_vcc, 0
	.set _ZN7rocprim17ROCPRIM_400000_NS6detail17trampoline_kernelINS0_14default_configENS1_38merge_sort_block_merge_config_selectorIiiEEZZNS1_27merge_sort_block_merge_implIS3_N6thrust23THRUST_200600_302600_NS6detail15normal_iteratorINS8_10device_ptrIiEEEESD_jNS1_19radix_merge_compareILb1ELb0EiNS0_19identity_decomposerEEEEE10hipError_tT0_T1_T2_jT3_P12ihipStream_tbPNSt15iterator_traitsISI_E10value_typeEPNSO_ISJ_E10value_typeEPSK_NS1_7vsmem_tEENKUlT_SI_SJ_SK_E_clIPiSD_S10_SD_EESH_SX_SI_SJ_SK_EUlSX_E1_NS1_11comp_targetILNS1_3genE3ELNS1_11target_archE908ELNS1_3gpuE7ELNS1_3repE0EEENS1_36merge_oddeven_config_static_selectorELNS0_4arch9wavefront6targetE1EEEvSJ_.uses_flat_scratch, 0
	.set _ZN7rocprim17ROCPRIM_400000_NS6detail17trampoline_kernelINS0_14default_configENS1_38merge_sort_block_merge_config_selectorIiiEEZZNS1_27merge_sort_block_merge_implIS3_N6thrust23THRUST_200600_302600_NS6detail15normal_iteratorINS8_10device_ptrIiEEEESD_jNS1_19radix_merge_compareILb1ELb0EiNS0_19identity_decomposerEEEEE10hipError_tT0_T1_T2_jT3_P12ihipStream_tbPNSt15iterator_traitsISI_E10value_typeEPNSO_ISJ_E10value_typeEPSK_NS1_7vsmem_tEENKUlT_SI_SJ_SK_E_clIPiSD_S10_SD_EESH_SX_SI_SJ_SK_EUlSX_E1_NS1_11comp_targetILNS1_3genE3ELNS1_11target_archE908ELNS1_3gpuE7ELNS1_3repE0EEENS1_36merge_oddeven_config_static_selectorELNS0_4arch9wavefront6targetE1EEEvSJ_.has_dyn_sized_stack, 0
	.set _ZN7rocprim17ROCPRIM_400000_NS6detail17trampoline_kernelINS0_14default_configENS1_38merge_sort_block_merge_config_selectorIiiEEZZNS1_27merge_sort_block_merge_implIS3_N6thrust23THRUST_200600_302600_NS6detail15normal_iteratorINS8_10device_ptrIiEEEESD_jNS1_19radix_merge_compareILb1ELb0EiNS0_19identity_decomposerEEEEE10hipError_tT0_T1_T2_jT3_P12ihipStream_tbPNSt15iterator_traitsISI_E10value_typeEPNSO_ISJ_E10value_typeEPSK_NS1_7vsmem_tEENKUlT_SI_SJ_SK_E_clIPiSD_S10_SD_EESH_SX_SI_SJ_SK_EUlSX_E1_NS1_11comp_targetILNS1_3genE3ELNS1_11target_archE908ELNS1_3gpuE7ELNS1_3repE0EEENS1_36merge_oddeven_config_static_selectorELNS0_4arch9wavefront6targetE1EEEvSJ_.has_recursion, 0
	.set _ZN7rocprim17ROCPRIM_400000_NS6detail17trampoline_kernelINS0_14default_configENS1_38merge_sort_block_merge_config_selectorIiiEEZZNS1_27merge_sort_block_merge_implIS3_N6thrust23THRUST_200600_302600_NS6detail15normal_iteratorINS8_10device_ptrIiEEEESD_jNS1_19radix_merge_compareILb1ELb0EiNS0_19identity_decomposerEEEEE10hipError_tT0_T1_T2_jT3_P12ihipStream_tbPNSt15iterator_traitsISI_E10value_typeEPNSO_ISJ_E10value_typeEPSK_NS1_7vsmem_tEENKUlT_SI_SJ_SK_E_clIPiSD_S10_SD_EESH_SX_SI_SJ_SK_EUlSX_E1_NS1_11comp_targetILNS1_3genE3ELNS1_11target_archE908ELNS1_3gpuE7ELNS1_3repE0EEENS1_36merge_oddeven_config_static_selectorELNS0_4arch9wavefront6targetE1EEEvSJ_.has_indirect_call, 0
	.section	.AMDGPU.csdata,"",@progbits
; Kernel info:
; codeLenInByte = 0
; TotalNumSgprs: 6
; NumVgprs: 0
; NumAgprs: 0
; TotalNumVgprs: 0
; ScratchSize: 0
; MemoryBound: 0
; FloatMode: 240
; IeeeMode: 1
; LDSByteSize: 0 bytes/workgroup (compile time only)
; SGPRBlocks: 0
; VGPRBlocks: 0
; NumSGPRsForWavesPerEU: 6
; NumVGPRsForWavesPerEU: 1
; AccumOffset: 4
; Occupancy: 8
; WaveLimiterHint : 0
; COMPUTE_PGM_RSRC2:SCRATCH_EN: 0
; COMPUTE_PGM_RSRC2:USER_SGPR: 2
; COMPUTE_PGM_RSRC2:TRAP_HANDLER: 0
; COMPUTE_PGM_RSRC2:TGID_X_EN: 1
; COMPUTE_PGM_RSRC2:TGID_Y_EN: 0
; COMPUTE_PGM_RSRC2:TGID_Z_EN: 0
; COMPUTE_PGM_RSRC2:TIDIG_COMP_CNT: 0
; COMPUTE_PGM_RSRC3_GFX90A:ACCUM_OFFSET: 0
; COMPUTE_PGM_RSRC3_GFX90A:TG_SPLIT: 0
	.section	.text._ZN7rocprim17ROCPRIM_400000_NS6detail17trampoline_kernelINS0_14default_configENS1_38merge_sort_block_merge_config_selectorIiiEEZZNS1_27merge_sort_block_merge_implIS3_N6thrust23THRUST_200600_302600_NS6detail15normal_iteratorINS8_10device_ptrIiEEEESD_jNS1_19radix_merge_compareILb1ELb0EiNS0_19identity_decomposerEEEEE10hipError_tT0_T1_T2_jT3_P12ihipStream_tbPNSt15iterator_traitsISI_E10value_typeEPNSO_ISJ_E10value_typeEPSK_NS1_7vsmem_tEENKUlT_SI_SJ_SK_E_clIPiSD_S10_SD_EESH_SX_SI_SJ_SK_EUlSX_E1_NS1_11comp_targetILNS1_3genE2ELNS1_11target_archE906ELNS1_3gpuE6ELNS1_3repE0EEENS1_36merge_oddeven_config_static_selectorELNS0_4arch9wavefront6targetE1EEEvSJ_,"axG",@progbits,_ZN7rocprim17ROCPRIM_400000_NS6detail17trampoline_kernelINS0_14default_configENS1_38merge_sort_block_merge_config_selectorIiiEEZZNS1_27merge_sort_block_merge_implIS3_N6thrust23THRUST_200600_302600_NS6detail15normal_iteratorINS8_10device_ptrIiEEEESD_jNS1_19radix_merge_compareILb1ELb0EiNS0_19identity_decomposerEEEEE10hipError_tT0_T1_T2_jT3_P12ihipStream_tbPNSt15iterator_traitsISI_E10value_typeEPNSO_ISJ_E10value_typeEPSK_NS1_7vsmem_tEENKUlT_SI_SJ_SK_E_clIPiSD_S10_SD_EESH_SX_SI_SJ_SK_EUlSX_E1_NS1_11comp_targetILNS1_3genE2ELNS1_11target_archE906ELNS1_3gpuE6ELNS1_3repE0EEENS1_36merge_oddeven_config_static_selectorELNS0_4arch9wavefront6targetE1EEEvSJ_,comdat
	.protected	_ZN7rocprim17ROCPRIM_400000_NS6detail17trampoline_kernelINS0_14default_configENS1_38merge_sort_block_merge_config_selectorIiiEEZZNS1_27merge_sort_block_merge_implIS3_N6thrust23THRUST_200600_302600_NS6detail15normal_iteratorINS8_10device_ptrIiEEEESD_jNS1_19radix_merge_compareILb1ELb0EiNS0_19identity_decomposerEEEEE10hipError_tT0_T1_T2_jT3_P12ihipStream_tbPNSt15iterator_traitsISI_E10value_typeEPNSO_ISJ_E10value_typeEPSK_NS1_7vsmem_tEENKUlT_SI_SJ_SK_E_clIPiSD_S10_SD_EESH_SX_SI_SJ_SK_EUlSX_E1_NS1_11comp_targetILNS1_3genE2ELNS1_11target_archE906ELNS1_3gpuE6ELNS1_3repE0EEENS1_36merge_oddeven_config_static_selectorELNS0_4arch9wavefront6targetE1EEEvSJ_ ; -- Begin function _ZN7rocprim17ROCPRIM_400000_NS6detail17trampoline_kernelINS0_14default_configENS1_38merge_sort_block_merge_config_selectorIiiEEZZNS1_27merge_sort_block_merge_implIS3_N6thrust23THRUST_200600_302600_NS6detail15normal_iteratorINS8_10device_ptrIiEEEESD_jNS1_19radix_merge_compareILb1ELb0EiNS0_19identity_decomposerEEEEE10hipError_tT0_T1_T2_jT3_P12ihipStream_tbPNSt15iterator_traitsISI_E10value_typeEPNSO_ISJ_E10value_typeEPSK_NS1_7vsmem_tEENKUlT_SI_SJ_SK_E_clIPiSD_S10_SD_EESH_SX_SI_SJ_SK_EUlSX_E1_NS1_11comp_targetILNS1_3genE2ELNS1_11target_archE906ELNS1_3gpuE6ELNS1_3repE0EEENS1_36merge_oddeven_config_static_selectorELNS0_4arch9wavefront6targetE1EEEvSJ_
	.globl	_ZN7rocprim17ROCPRIM_400000_NS6detail17trampoline_kernelINS0_14default_configENS1_38merge_sort_block_merge_config_selectorIiiEEZZNS1_27merge_sort_block_merge_implIS3_N6thrust23THRUST_200600_302600_NS6detail15normal_iteratorINS8_10device_ptrIiEEEESD_jNS1_19radix_merge_compareILb1ELb0EiNS0_19identity_decomposerEEEEE10hipError_tT0_T1_T2_jT3_P12ihipStream_tbPNSt15iterator_traitsISI_E10value_typeEPNSO_ISJ_E10value_typeEPSK_NS1_7vsmem_tEENKUlT_SI_SJ_SK_E_clIPiSD_S10_SD_EESH_SX_SI_SJ_SK_EUlSX_E1_NS1_11comp_targetILNS1_3genE2ELNS1_11target_archE906ELNS1_3gpuE6ELNS1_3repE0EEENS1_36merge_oddeven_config_static_selectorELNS0_4arch9wavefront6targetE1EEEvSJ_
	.p2align	8
	.type	_ZN7rocprim17ROCPRIM_400000_NS6detail17trampoline_kernelINS0_14default_configENS1_38merge_sort_block_merge_config_selectorIiiEEZZNS1_27merge_sort_block_merge_implIS3_N6thrust23THRUST_200600_302600_NS6detail15normal_iteratorINS8_10device_ptrIiEEEESD_jNS1_19radix_merge_compareILb1ELb0EiNS0_19identity_decomposerEEEEE10hipError_tT0_T1_T2_jT3_P12ihipStream_tbPNSt15iterator_traitsISI_E10value_typeEPNSO_ISJ_E10value_typeEPSK_NS1_7vsmem_tEENKUlT_SI_SJ_SK_E_clIPiSD_S10_SD_EESH_SX_SI_SJ_SK_EUlSX_E1_NS1_11comp_targetILNS1_3genE2ELNS1_11target_archE906ELNS1_3gpuE6ELNS1_3repE0EEENS1_36merge_oddeven_config_static_selectorELNS0_4arch9wavefront6targetE1EEEvSJ_,@function
_ZN7rocprim17ROCPRIM_400000_NS6detail17trampoline_kernelINS0_14default_configENS1_38merge_sort_block_merge_config_selectorIiiEEZZNS1_27merge_sort_block_merge_implIS3_N6thrust23THRUST_200600_302600_NS6detail15normal_iteratorINS8_10device_ptrIiEEEESD_jNS1_19radix_merge_compareILb1ELb0EiNS0_19identity_decomposerEEEEE10hipError_tT0_T1_T2_jT3_P12ihipStream_tbPNSt15iterator_traitsISI_E10value_typeEPNSO_ISJ_E10value_typeEPSK_NS1_7vsmem_tEENKUlT_SI_SJ_SK_E_clIPiSD_S10_SD_EESH_SX_SI_SJ_SK_EUlSX_E1_NS1_11comp_targetILNS1_3genE2ELNS1_11target_archE906ELNS1_3gpuE6ELNS1_3repE0EEENS1_36merge_oddeven_config_static_selectorELNS0_4arch9wavefront6targetE1EEEvSJ_: ; @_ZN7rocprim17ROCPRIM_400000_NS6detail17trampoline_kernelINS0_14default_configENS1_38merge_sort_block_merge_config_selectorIiiEEZZNS1_27merge_sort_block_merge_implIS3_N6thrust23THRUST_200600_302600_NS6detail15normal_iteratorINS8_10device_ptrIiEEEESD_jNS1_19radix_merge_compareILb1ELb0EiNS0_19identity_decomposerEEEEE10hipError_tT0_T1_T2_jT3_P12ihipStream_tbPNSt15iterator_traitsISI_E10value_typeEPNSO_ISJ_E10value_typeEPSK_NS1_7vsmem_tEENKUlT_SI_SJ_SK_E_clIPiSD_S10_SD_EESH_SX_SI_SJ_SK_EUlSX_E1_NS1_11comp_targetILNS1_3genE2ELNS1_11target_archE906ELNS1_3gpuE6ELNS1_3repE0EEENS1_36merge_oddeven_config_static_selectorELNS0_4arch9wavefront6targetE1EEEvSJ_
; %bb.0:
	.section	.rodata,"a",@progbits
	.p2align	6, 0x0
	.amdhsa_kernel _ZN7rocprim17ROCPRIM_400000_NS6detail17trampoline_kernelINS0_14default_configENS1_38merge_sort_block_merge_config_selectorIiiEEZZNS1_27merge_sort_block_merge_implIS3_N6thrust23THRUST_200600_302600_NS6detail15normal_iteratorINS8_10device_ptrIiEEEESD_jNS1_19radix_merge_compareILb1ELb0EiNS0_19identity_decomposerEEEEE10hipError_tT0_T1_T2_jT3_P12ihipStream_tbPNSt15iterator_traitsISI_E10value_typeEPNSO_ISJ_E10value_typeEPSK_NS1_7vsmem_tEENKUlT_SI_SJ_SK_E_clIPiSD_S10_SD_EESH_SX_SI_SJ_SK_EUlSX_E1_NS1_11comp_targetILNS1_3genE2ELNS1_11target_archE906ELNS1_3gpuE6ELNS1_3repE0EEENS1_36merge_oddeven_config_static_selectorELNS0_4arch9wavefront6targetE1EEEvSJ_
		.amdhsa_group_segment_fixed_size 0
		.amdhsa_private_segment_fixed_size 0
		.amdhsa_kernarg_size 48
		.amdhsa_user_sgpr_count 2
		.amdhsa_user_sgpr_dispatch_ptr 0
		.amdhsa_user_sgpr_queue_ptr 0
		.amdhsa_user_sgpr_kernarg_segment_ptr 1
		.amdhsa_user_sgpr_dispatch_id 0
		.amdhsa_user_sgpr_kernarg_preload_length 0
		.amdhsa_user_sgpr_kernarg_preload_offset 0
		.amdhsa_user_sgpr_private_segment_size 0
		.amdhsa_uses_dynamic_stack 0
		.amdhsa_enable_private_segment 0
		.amdhsa_system_sgpr_workgroup_id_x 1
		.amdhsa_system_sgpr_workgroup_id_y 0
		.amdhsa_system_sgpr_workgroup_id_z 0
		.amdhsa_system_sgpr_workgroup_info 0
		.amdhsa_system_vgpr_workitem_id 0
		.amdhsa_next_free_vgpr 1
		.amdhsa_next_free_sgpr 0
		.amdhsa_accum_offset 4
		.amdhsa_reserve_vcc 0
		.amdhsa_float_round_mode_32 0
		.amdhsa_float_round_mode_16_64 0
		.amdhsa_float_denorm_mode_32 3
		.amdhsa_float_denorm_mode_16_64 3
		.amdhsa_dx10_clamp 1
		.amdhsa_ieee_mode 1
		.amdhsa_fp16_overflow 0
		.amdhsa_tg_split 0
		.amdhsa_exception_fp_ieee_invalid_op 0
		.amdhsa_exception_fp_denorm_src 0
		.amdhsa_exception_fp_ieee_div_zero 0
		.amdhsa_exception_fp_ieee_overflow 0
		.amdhsa_exception_fp_ieee_underflow 0
		.amdhsa_exception_fp_ieee_inexact 0
		.amdhsa_exception_int_div_zero 0
	.end_amdhsa_kernel
	.section	.text._ZN7rocprim17ROCPRIM_400000_NS6detail17trampoline_kernelINS0_14default_configENS1_38merge_sort_block_merge_config_selectorIiiEEZZNS1_27merge_sort_block_merge_implIS3_N6thrust23THRUST_200600_302600_NS6detail15normal_iteratorINS8_10device_ptrIiEEEESD_jNS1_19radix_merge_compareILb1ELb0EiNS0_19identity_decomposerEEEEE10hipError_tT0_T1_T2_jT3_P12ihipStream_tbPNSt15iterator_traitsISI_E10value_typeEPNSO_ISJ_E10value_typeEPSK_NS1_7vsmem_tEENKUlT_SI_SJ_SK_E_clIPiSD_S10_SD_EESH_SX_SI_SJ_SK_EUlSX_E1_NS1_11comp_targetILNS1_3genE2ELNS1_11target_archE906ELNS1_3gpuE6ELNS1_3repE0EEENS1_36merge_oddeven_config_static_selectorELNS0_4arch9wavefront6targetE1EEEvSJ_,"axG",@progbits,_ZN7rocprim17ROCPRIM_400000_NS6detail17trampoline_kernelINS0_14default_configENS1_38merge_sort_block_merge_config_selectorIiiEEZZNS1_27merge_sort_block_merge_implIS3_N6thrust23THRUST_200600_302600_NS6detail15normal_iteratorINS8_10device_ptrIiEEEESD_jNS1_19radix_merge_compareILb1ELb0EiNS0_19identity_decomposerEEEEE10hipError_tT0_T1_T2_jT3_P12ihipStream_tbPNSt15iterator_traitsISI_E10value_typeEPNSO_ISJ_E10value_typeEPSK_NS1_7vsmem_tEENKUlT_SI_SJ_SK_E_clIPiSD_S10_SD_EESH_SX_SI_SJ_SK_EUlSX_E1_NS1_11comp_targetILNS1_3genE2ELNS1_11target_archE906ELNS1_3gpuE6ELNS1_3repE0EEENS1_36merge_oddeven_config_static_selectorELNS0_4arch9wavefront6targetE1EEEvSJ_,comdat
.Lfunc_end1744:
	.size	_ZN7rocprim17ROCPRIM_400000_NS6detail17trampoline_kernelINS0_14default_configENS1_38merge_sort_block_merge_config_selectorIiiEEZZNS1_27merge_sort_block_merge_implIS3_N6thrust23THRUST_200600_302600_NS6detail15normal_iteratorINS8_10device_ptrIiEEEESD_jNS1_19radix_merge_compareILb1ELb0EiNS0_19identity_decomposerEEEEE10hipError_tT0_T1_T2_jT3_P12ihipStream_tbPNSt15iterator_traitsISI_E10value_typeEPNSO_ISJ_E10value_typeEPSK_NS1_7vsmem_tEENKUlT_SI_SJ_SK_E_clIPiSD_S10_SD_EESH_SX_SI_SJ_SK_EUlSX_E1_NS1_11comp_targetILNS1_3genE2ELNS1_11target_archE906ELNS1_3gpuE6ELNS1_3repE0EEENS1_36merge_oddeven_config_static_selectorELNS0_4arch9wavefront6targetE1EEEvSJ_, .Lfunc_end1744-_ZN7rocprim17ROCPRIM_400000_NS6detail17trampoline_kernelINS0_14default_configENS1_38merge_sort_block_merge_config_selectorIiiEEZZNS1_27merge_sort_block_merge_implIS3_N6thrust23THRUST_200600_302600_NS6detail15normal_iteratorINS8_10device_ptrIiEEEESD_jNS1_19radix_merge_compareILb1ELb0EiNS0_19identity_decomposerEEEEE10hipError_tT0_T1_T2_jT3_P12ihipStream_tbPNSt15iterator_traitsISI_E10value_typeEPNSO_ISJ_E10value_typeEPSK_NS1_7vsmem_tEENKUlT_SI_SJ_SK_E_clIPiSD_S10_SD_EESH_SX_SI_SJ_SK_EUlSX_E1_NS1_11comp_targetILNS1_3genE2ELNS1_11target_archE906ELNS1_3gpuE6ELNS1_3repE0EEENS1_36merge_oddeven_config_static_selectorELNS0_4arch9wavefront6targetE1EEEvSJ_
                                        ; -- End function
	.set _ZN7rocprim17ROCPRIM_400000_NS6detail17trampoline_kernelINS0_14default_configENS1_38merge_sort_block_merge_config_selectorIiiEEZZNS1_27merge_sort_block_merge_implIS3_N6thrust23THRUST_200600_302600_NS6detail15normal_iteratorINS8_10device_ptrIiEEEESD_jNS1_19radix_merge_compareILb1ELb0EiNS0_19identity_decomposerEEEEE10hipError_tT0_T1_T2_jT3_P12ihipStream_tbPNSt15iterator_traitsISI_E10value_typeEPNSO_ISJ_E10value_typeEPSK_NS1_7vsmem_tEENKUlT_SI_SJ_SK_E_clIPiSD_S10_SD_EESH_SX_SI_SJ_SK_EUlSX_E1_NS1_11comp_targetILNS1_3genE2ELNS1_11target_archE906ELNS1_3gpuE6ELNS1_3repE0EEENS1_36merge_oddeven_config_static_selectorELNS0_4arch9wavefront6targetE1EEEvSJ_.num_vgpr, 0
	.set _ZN7rocprim17ROCPRIM_400000_NS6detail17trampoline_kernelINS0_14default_configENS1_38merge_sort_block_merge_config_selectorIiiEEZZNS1_27merge_sort_block_merge_implIS3_N6thrust23THRUST_200600_302600_NS6detail15normal_iteratorINS8_10device_ptrIiEEEESD_jNS1_19radix_merge_compareILb1ELb0EiNS0_19identity_decomposerEEEEE10hipError_tT0_T1_T2_jT3_P12ihipStream_tbPNSt15iterator_traitsISI_E10value_typeEPNSO_ISJ_E10value_typeEPSK_NS1_7vsmem_tEENKUlT_SI_SJ_SK_E_clIPiSD_S10_SD_EESH_SX_SI_SJ_SK_EUlSX_E1_NS1_11comp_targetILNS1_3genE2ELNS1_11target_archE906ELNS1_3gpuE6ELNS1_3repE0EEENS1_36merge_oddeven_config_static_selectorELNS0_4arch9wavefront6targetE1EEEvSJ_.num_agpr, 0
	.set _ZN7rocprim17ROCPRIM_400000_NS6detail17trampoline_kernelINS0_14default_configENS1_38merge_sort_block_merge_config_selectorIiiEEZZNS1_27merge_sort_block_merge_implIS3_N6thrust23THRUST_200600_302600_NS6detail15normal_iteratorINS8_10device_ptrIiEEEESD_jNS1_19radix_merge_compareILb1ELb0EiNS0_19identity_decomposerEEEEE10hipError_tT0_T1_T2_jT3_P12ihipStream_tbPNSt15iterator_traitsISI_E10value_typeEPNSO_ISJ_E10value_typeEPSK_NS1_7vsmem_tEENKUlT_SI_SJ_SK_E_clIPiSD_S10_SD_EESH_SX_SI_SJ_SK_EUlSX_E1_NS1_11comp_targetILNS1_3genE2ELNS1_11target_archE906ELNS1_3gpuE6ELNS1_3repE0EEENS1_36merge_oddeven_config_static_selectorELNS0_4arch9wavefront6targetE1EEEvSJ_.numbered_sgpr, 0
	.set _ZN7rocprim17ROCPRIM_400000_NS6detail17trampoline_kernelINS0_14default_configENS1_38merge_sort_block_merge_config_selectorIiiEEZZNS1_27merge_sort_block_merge_implIS3_N6thrust23THRUST_200600_302600_NS6detail15normal_iteratorINS8_10device_ptrIiEEEESD_jNS1_19radix_merge_compareILb1ELb0EiNS0_19identity_decomposerEEEEE10hipError_tT0_T1_T2_jT3_P12ihipStream_tbPNSt15iterator_traitsISI_E10value_typeEPNSO_ISJ_E10value_typeEPSK_NS1_7vsmem_tEENKUlT_SI_SJ_SK_E_clIPiSD_S10_SD_EESH_SX_SI_SJ_SK_EUlSX_E1_NS1_11comp_targetILNS1_3genE2ELNS1_11target_archE906ELNS1_3gpuE6ELNS1_3repE0EEENS1_36merge_oddeven_config_static_selectorELNS0_4arch9wavefront6targetE1EEEvSJ_.num_named_barrier, 0
	.set _ZN7rocprim17ROCPRIM_400000_NS6detail17trampoline_kernelINS0_14default_configENS1_38merge_sort_block_merge_config_selectorIiiEEZZNS1_27merge_sort_block_merge_implIS3_N6thrust23THRUST_200600_302600_NS6detail15normal_iteratorINS8_10device_ptrIiEEEESD_jNS1_19radix_merge_compareILb1ELb0EiNS0_19identity_decomposerEEEEE10hipError_tT0_T1_T2_jT3_P12ihipStream_tbPNSt15iterator_traitsISI_E10value_typeEPNSO_ISJ_E10value_typeEPSK_NS1_7vsmem_tEENKUlT_SI_SJ_SK_E_clIPiSD_S10_SD_EESH_SX_SI_SJ_SK_EUlSX_E1_NS1_11comp_targetILNS1_3genE2ELNS1_11target_archE906ELNS1_3gpuE6ELNS1_3repE0EEENS1_36merge_oddeven_config_static_selectorELNS0_4arch9wavefront6targetE1EEEvSJ_.private_seg_size, 0
	.set _ZN7rocprim17ROCPRIM_400000_NS6detail17trampoline_kernelINS0_14default_configENS1_38merge_sort_block_merge_config_selectorIiiEEZZNS1_27merge_sort_block_merge_implIS3_N6thrust23THRUST_200600_302600_NS6detail15normal_iteratorINS8_10device_ptrIiEEEESD_jNS1_19radix_merge_compareILb1ELb0EiNS0_19identity_decomposerEEEEE10hipError_tT0_T1_T2_jT3_P12ihipStream_tbPNSt15iterator_traitsISI_E10value_typeEPNSO_ISJ_E10value_typeEPSK_NS1_7vsmem_tEENKUlT_SI_SJ_SK_E_clIPiSD_S10_SD_EESH_SX_SI_SJ_SK_EUlSX_E1_NS1_11comp_targetILNS1_3genE2ELNS1_11target_archE906ELNS1_3gpuE6ELNS1_3repE0EEENS1_36merge_oddeven_config_static_selectorELNS0_4arch9wavefront6targetE1EEEvSJ_.uses_vcc, 0
	.set _ZN7rocprim17ROCPRIM_400000_NS6detail17trampoline_kernelINS0_14default_configENS1_38merge_sort_block_merge_config_selectorIiiEEZZNS1_27merge_sort_block_merge_implIS3_N6thrust23THRUST_200600_302600_NS6detail15normal_iteratorINS8_10device_ptrIiEEEESD_jNS1_19radix_merge_compareILb1ELb0EiNS0_19identity_decomposerEEEEE10hipError_tT0_T1_T2_jT3_P12ihipStream_tbPNSt15iterator_traitsISI_E10value_typeEPNSO_ISJ_E10value_typeEPSK_NS1_7vsmem_tEENKUlT_SI_SJ_SK_E_clIPiSD_S10_SD_EESH_SX_SI_SJ_SK_EUlSX_E1_NS1_11comp_targetILNS1_3genE2ELNS1_11target_archE906ELNS1_3gpuE6ELNS1_3repE0EEENS1_36merge_oddeven_config_static_selectorELNS0_4arch9wavefront6targetE1EEEvSJ_.uses_flat_scratch, 0
	.set _ZN7rocprim17ROCPRIM_400000_NS6detail17trampoline_kernelINS0_14default_configENS1_38merge_sort_block_merge_config_selectorIiiEEZZNS1_27merge_sort_block_merge_implIS3_N6thrust23THRUST_200600_302600_NS6detail15normal_iteratorINS8_10device_ptrIiEEEESD_jNS1_19radix_merge_compareILb1ELb0EiNS0_19identity_decomposerEEEEE10hipError_tT0_T1_T2_jT3_P12ihipStream_tbPNSt15iterator_traitsISI_E10value_typeEPNSO_ISJ_E10value_typeEPSK_NS1_7vsmem_tEENKUlT_SI_SJ_SK_E_clIPiSD_S10_SD_EESH_SX_SI_SJ_SK_EUlSX_E1_NS1_11comp_targetILNS1_3genE2ELNS1_11target_archE906ELNS1_3gpuE6ELNS1_3repE0EEENS1_36merge_oddeven_config_static_selectorELNS0_4arch9wavefront6targetE1EEEvSJ_.has_dyn_sized_stack, 0
	.set _ZN7rocprim17ROCPRIM_400000_NS6detail17trampoline_kernelINS0_14default_configENS1_38merge_sort_block_merge_config_selectorIiiEEZZNS1_27merge_sort_block_merge_implIS3_N6thrust23THRUST_200600_302600_NS6detail15normal_iteratorINS8_10device_ptrIiEEEESD_jNS1_19radix_merge_compareILb1ELb0EiNS0_19identity_decomposerEEEEE10hipError_tT0_T1_T2_jT3_P12ihipStream_tbPNSt15iterator_traitsISI_E10value_typeEPNSO_ISJ_E10value_typeEPSK_NS1_7vsmem_tEENKUlT_SI_SJ_SK_E_clIPiSD_S10_SD_EESH_SX_SI_SJ_SK_EUlSX_E1_NS1_11comp_targetILNS1_3genE2ELNS1_11target_archE906ELNS1_3gpuE6ELNS1_3repE0EEENS1_36merge_oddeven_config_static_selectorELNS0_4arch9wavefront6targetE1EEEvSJ_.has_recursion, 0
	.set _ZN7rocprim17ROCPRIM_400000_NS6detail17trampoline_kernelINS0_14default_configENS1_38merge_sort_block_merge_config_selectorIiiEEZZNS1_27merge_sort_block_merge_implIS3_N6thrust23THRUST_200600_302600_NS6detail15normal_iteratorINS8_10device_ptrIiEEEESD_jNS1_19radix_merge_compareILb1ELb0EiNS0_19identity_decomposerEEEEE10hipError_tT0_T1_T2_jT3_P12ihipStream_tbPNSt15iterator_traitsISI_E10value_typeEPNSO_ISJ_E10value_typeEPSK_NS1_7vsmem_tEENKUlT_SI_SJ_SK_E_clIPiSD_S10_SD_EESH_SX_SI_SJ_SK_EUlSX_E1_NS1_11comp_targetILNS1_3genE2ELNS1_11target_archE906ELNS1_3gpuE6ELNS1_3repE0EEENS1_36merge_oddeven_config_static_selectorELNS0_4arch9wavefront6targetE1EEEvSJ_.has_indirect_call, 0
	.section	.AMDGPU.csdata,"",@progbits
; Kernel info:
; codeLenInByte = 0
; TotalNumSgprs: 6
; NumVgprs: 0
; NumAgprs: 0
; TotalNumVgprs: 0
; ScratchSize: 0
; MemoryBound: 0
; FloatMode: 240
; IeeeMode: 1
; LDSByteSize: 0 bytes/workgroup (compile time only)
; SGPRBlocks: 0
; VGPRBlocks: 0
; NumSGPRsForWavesPerEU: 6
; NumVGPRsForWavesPerEU: 1
; AccumOffset: 4
; Occupancy: 8
; WaveLimiterHint : 0
; COMPUTE_PGM_RSRC2:SCRATCH_EN: 0
; COMPUTE_PGM_RSRC2:USER_SGPR: 2
; COMPUTE_PGM_RSRC2:TRAP_HANDLER: 0
; COMPUTE_PGM_RSRC2:TGID_X_EN: 1
; COMPUTE_PGM_RSRC2:TGID_Y_EN: 0
; COMPUTE_PGM_RSRC2:TGID_Z_EN: 0
; COMPUTE_PGM_RSRC2:TIDIG_COMP_CNT: 0
; COMPUTE_PGM_RSRC3_GFX90A:ACCUM_OFFSET: 0
; COMPUTE_PGM_RSRC3_GFX90A:TG_SPLIT: 0
	.section	.text._ZN7rocprim17ROCPRIM_400000_NS6detail17trampoline_kernelINS0_14default_configENS1_38merge_sort_block_merge_config_selectorIiiEEZZNS1_27merge_sort_block_merge_implIS3_N6thrust23THRUST_200600_302600_NS6detail15normal_iteratorINS8_10device_ptrIiEEEESD_jNS1_19radix_merge_compareILb1ELb0EiNS0_19identity_decomposerEEEEE10hipError_tT0_T1_T2_jT3_P12ihipStream_tbPNSt15iterator_traitsISI_E10value_typeEPNSO_ISJ_E10value_typeEPSK_NS1_7vsmem_tEENKUlT_SI_SJ_SK_E_clIPiSD_S10_SD_EESH_SX_SI_SJ_SK_EUlSX_E1_NS1_11comp_targetILNS1_3genE9ELNS1_11target_archE1100ELNS1_3gpuE3ELNS1_3repE0EEENS1_36merge_oddeven_config_static_selectorELNS0_4arch9wavefront6targetE1EEEvSJ_,"axG",@progbits,_ZN7rocprim17ROCPRIM_400000_NS6detail17trampoline_kernelINS0_14default_configENS1_38merge_sort_block_merge_config_selectorIiiEEZZNS1_27merge_sort_block_merge_implIS3_N6thrust23THRUST_200600_302600_NS6detail15normal_iteratorINS8_10device_ptrIiEEEESD_jNS1_19radix_merge_compareILb1ELb0EiNS0_19identity_decomposerEEEEE10hipError_tT0_T1_T2_jT3_P12ihipStream_tbPNSt15iterator_traitsISI_E10value_typeEPNSO_ISJ_E10value_typeEPSK_NS1_7vsmem_tEENKUlT_SI_SJ_SK_E_clIPiSD_S10_SD_EESH_SX_SI_SJ_SK_EUlSX_E1_NS1_11comp_targetILNS1_3genE9ELNS1_11target_archE1100ELNS1_3gpuE3ELNS1_3repE0EEENS1_36merge_oddeven_config_static_selectorELNS0_4arch9wavefront6targetE1EEEvSJ_,comdat
	.protected	_ZN7rocprim17ROCPRIM_400000_NS6detail17trampoline_kernelINS0_14default_configENS1_38merge_sort_block_merge_config_selectorIiiEEZZNS1_27merge_sort_block_merge_implIS3_N6thrust23THRUST_200600_302600_NS6detail15normal_iteratorINS8_10device_ptrIiEEEESD_jNS1_19radix_merge_compareILb1ELb0EiNS0_19identity_decomposerEEEEE10hipError_tT0_T1_T2_jT3_P12ihipStream_tbPNSt15iterator_traitsISI_E10value_typeEPNSO_ISJ_E10value_typeEPSK_NS1_7vsmem_tEENKUlT_SI_SJ_SK_E_clIPiSD_S10_SD_EESH_SX_SI_SJ_SK_EUlSX_E1_NS1_11comp_targetILNS1_3genE9ELNS1_11target_archE1100ELNS1_3gpuE3ELNS1_3repE0EEENS1_36merge_oddeven_config_static_selectorELNS0_4arch9wavefront6targetE1EEEvSJ_ ; -- Begin function _ZN7rocprim17ROCPRIM_400000_NS6detail17trampoline_kernelINS0_14default_configENS1_38merge_sort_block_merge_config_selectorIiiEEZZNS1_27merge_sort_block_merge_implIS3_N6thrust23THRUST_200600_302600_NS6detail15normal_iteratorINS8_10device_ptrIiEEEESD_jNS1_19radix_merge_compareILb1ELb0EiNS0_19identity_decomposerEEEEE10hipError_tT0_T1_T2_jT3_P12ihipStream_tbPNSt15iterator_traitsISI_E10value_typeEPNSO_ISJ_E10value_typeEPSK_NS1_7vsmem_tEENKUlT_SI_SJ_SK_E_clIPiSD_S10_SD_EESH_SX_SI_SJ_SK_EUlSX_E1_NS1_11comp_targetILNS1_3genE9ELNS1_11target_archE1100ELNS1_3gpuE3ELNS1_3repE0EEENS1_36merge_oddeven_config_static_selectorELNS0_4arch9wavefront6targetE1EEEvSJ_
	.globl	_ZN7rocprim17ROCPRIM_400000_NS6detail17trampoline_kernelINS0_14default_configENS1_38merge_sort_block_merge_config_selectorIiiEEZZNS1_27merge_sort_block_merge_implIS3_N6thrust23THRUST_200600_302600_NS6detail15normal_iteratorINS8_10device_ptrIiEEEESD_jNS1_19radix_merge_compareILb1ELb0EiNS0_19identity_decomposerEEEEE10hipError_tT0_T1_T2_jT3_P12ihipStream_tbPNSt15iterator_traitsISI_E10value_typeEPNSO_ISJ_E10value_typeEPSK_NS1_7vsmem_tEENKUlT_SI_SJ_SK_E_clIPiSD_S10_SD_EESH_SX_SI_SJ_SK_EUlSX_E1_NS1_11comp_targetILNS1_3genE9ELNS1_11target_archE1100ELNS1_3gpuE3ELNS1_3repE0EEENS1_36merge_oddeven_config_static_selectorELNS0_4arch9wavefront6targetE1EEEvSJ_
	.p2align	8
	.type	_ZN7rocprim17ROCPRIM_400000_NS6detail17trampoline_kernelINS0_14default_configENS1_38merge_sort_block_merge_config_selectorIiiEEZZNS1_27merge_sort_block_merge_implIS3_N6thrust23THRUST_200600_302600_NS6detail15normal_iteratorINS8_10device_ptrIiEEEESD_jNS1_19radix_merge_compareILb1ELb0EiNS0_19identity_decomposerEEEEE10hipError_tT0_T1_T2_jT3_P12ihipStream_tbPNSt15iterator_traitsISI_E10value_typeEPNSO_ISJ_E10value_typeEPSK_NS1_7vsmem_tEENKUlT_SI_SJ_SK_E_clIPiSD_S10_SD_EESH_SX_SI_SJ_SK_EUlSX_E1_NS1_11comp_targetILNS1_3genE9ELNS1_11target_archE1100ELNS1_3gpuE3ELNS1_3repE0EEENS1_36merge_oddeven_config_static_selectorELNS0_4arch9wavefront6targetE1EEEvSJ_,@function
_ZN7rocprim17ROCPRIM_400000_NS6detail17trampoline_kernelINS0_14default_configENS1_38merge_sort_block_merge_config_selectorIiiEEZZNS1_27merge_sort_block_merge_implIS3_N6thrust23THRUST_200600_302600_NS6detail15normal_iteratorINS8_10device_ptrIiEEEESD_jNS1_19radix_merge_compareILb1ELb0EiNS0_19identity_decomposerEEEEE10hipError_tT0_T1_T2_jT3_P12ihipStream_tbPNSt15iterator_traitsISI_E10value_typeEPNSO_ISJ_E10value_typeEPSK_NS1_7vsmem_tEENKUlT_SI_SJ_SK_E_clIPiSD_S10_SD_EESH_SX_SI_SJ_SK_EUlSX_E1_NS1_11comp_targetILNS1_3genE9ELNS1_11target_archE1100ELNS1_3gpuE3ELNS1_3repE0EEENS1_36merge_oddeven_config_static_selectorELNS0_4arch9wavefront6targetE1EEEvSJ_: ; @_ZN7rocprim17ROCPRIM_400000_NS6detail17trampoline_kernelINS0_14default_configENS1_38merge_sort_block_merge_config_selectorIiiEEZZNS1_27merge_sort_block_merge_implIS3_N6thrust23THRUST_200600_302600_NS6detail15normal_iteratorINS8_10device_ptrIiEEEESD_jNS1_19radix_merge_compareILb1ELb0EiNS0_19identity_decomposerEEEEE10hipError_tT0_T1_T2_jT3_P12ihipStream_tbPNSt15iterator_traitsISI_E10value_typeEPNSO_ISJ_E10value_typeEPSK_NS1_7vsmem_tEENKUlT_SI_SJ_SK_E_clIPiSD_S10_SD_EESH_SX_SI_SJ_SK_EUlSX_E1_NS1_11comp_targetILNS1_3genE9ELNS1_11target_archE1100ELNS1_3gpuE3ELNS1_3repE0EEENS1_36merge_oddeven_config_static_selectorELNS0_4arch9wavefront6targetE1EEEvSJ_
; %bb.0:
	.section	.rodata,"a",@progbits
	.p2align	6, 0x0
	.amdhsa_kernel _ZN7rocprim17ROCPRIM_400000_NS6detail17trampoline_kernelINS0_14default_configENS1_38merge_sort_block_merge_config_selectorIiiEEZZNS1_27merge_sort_block_merge_implIS3_N6thrust23THRUST_200600_302600_NS6detail15normal_iteratorINS8_10device_ptrIiEEEESD_jNS1_19radix_merge_compareILb1ELb0EiNS0_19identity_decomposerEEEEE10hipError_tT0_T1_T2_jT3_P12ihipStream_tbPNSt15iterator_traitsISI_E10value_typeEPNSO_ISJ_E10value_typeEPSK_NS1_7vsmem_tEENKUlT_SI_SJ_SK_E_clIPiSD_S10_SD_EESH_SX_SI_SJ_SK_EUlSX_E1_NS1_11comp_targetILNS1_3genE9ELNS1_11target_archE1100ELNS1_3gpuE3ELNS1_3repE0EEENS1_36merge_oddeven_config_static_selectorELNS0_4arch9wavefront6targetE1EEEvSJ_
		.amdhsa_group_segment_fixed_size 0
		.amdhsa_private_segment_fixed_size 0
		.amdhsa_kernarg_size 48
		.amdhsa_user_sgpr_count 2
		.amdhsa_user_sgpr_dispatch_ptr 0
		.amdhsa_user_sgpr_queue_ptr 0
		.amdhsa_user_sgpr_kernarg_segment_ptr 1
		.amdhsa_user_sgpr_dispatch_id 0
		.amdhsa_user_sgpr_kernarg_preload_length 0
		.amdhsa_user_sgpr_kernarg_preload_offset 0
		.amdhsa_user_sgpr_private_segment_size 0
		.amdhsa_uses_dynamic_stack 0
		.amdhsa_enable_private_segment 0
		.amdhsa_system_sgpr_workgroup_id_x 1
		.amdhsa_system_sgpr_workgroup_id_y 0
		.amdhsa_system_sgpr_workgroup_id_z 0
		.amdhsa_system_sgpr_workgroup_info 0
		.amdhsa_system_vgpr_workitem_id 0
		.amdhsa_next_free_vgpr 1
		.amdhsa_next_free_sgpr 0
		.amdhsa_accum_offset 4
		.amdhsa_reserve_vcc 0
		.amdhsa_float_round_mode_32 0
		.amdhsa_float_round_mode_16_64 0
		.amdhsa_float_denorm_mode_32 3
		.amdhsa_float_denorm_mode_16_64 3
		.amdhsa_dx10_clamp 1
		.amdhsa_ieee_mode 1
		.amdhsa_fp16_overflow 0
		.amdhsa_tg_split 0
		.amdhsa_exception_fp_ieee_invalid_op 0
		.amdhsa_exception_fp_denorm_src 0
		.amdhsa_exception_fp_ieee_div_zero 0
		.amdhsa_exception_fp_ieee_overflow 0
		.amdhsa_exception_fp_ieee_underflow 0
		.amdhsa_exception_fp_ieee_inexact 0
		.amdhsa_exception_int_div_zero 0
	.end_amdhsa_kernel
	.section	.text._ZN7rocprim17ROCPRIM_400000_NS6detail17trampoline_kernelINS0_14default_configENS1_38merge_sort_block_merge_config_selectorIiiEEZZNS1_27merge_sort_block_merge_implIS3_N6thrust23THRUST_200600_302600_NS6detail15normal_iteratorINS8_10device_ptrIiEEEESD_jNS1_19radix_merge_compareILb1ELb0EiNS0_19identity_decomposerEEEEE10hipError_tT0_T1_T2_jT3_P12ihipStream_tbPNSt15iterator_traitsISI_E10value_typeEPNSO_ISJ_E10value_typeEPSK_NS1_7vsmem_tEENKUlT_SI_SJ_SK_E_clIPiSD_S10_SD_EESH_SX_SI_SJ_SK_EUlSX_E1_NS1_11comp_targetILNS1_3genE9ELNS1_11target_archE1100ELNS1_3gpuE3ELNS1_3repE0EEENS1_36merge_oddeven_config_static_selectorELNS0_4arch9wavefront6targetE1EEEvSJ_,"axG",@progbits,_ZN7rocprim17ROCPRIM_400000_NS6detail17trampoline_kernelINS0_14default_configENS1_38merge_sort_block_merge_config_selectorIiiEEZZNS1_27merge_sort_block_merge_implIS3_N6thrust23THRUST_200600_302600_NS6detail15normal_iteratorINS8_10device_ptrIiEEEESD_jNS1_19radix_merge_compareILb1ELb0EiNS0_19identity_decomposerEEEEE10hipError_tT0_T1_T2_jT3_P12ihipStream_tbPNSt15iterator_traitsISI_E10value_typeEPNSO_ISJ_E10value_typeEPSK_NS1_7vsmem_tEENKUlT_SI_SJ_SK_E_clIPiSD_S10_SD_EESH_SX_SI_SJ_SK_EUlSX_E1_NS1_11comp_targetILNS1_3genE9ELNS1_11target_archE1100ELNS1_3gpuE3ELNS1_3repE0EEENS1_36merge_oddeven_config_static_selectorELNS0_4arch9wavefront6targetE1EEEvSJ_,comdat
.Lfunc_end1745:
	.size	_ZN7rocprim17ROCPRIM_400000_NS6detail17trampoline_kernelINS0_14default_configENS1_38merge_sort_block_merge_config_selectorIiiEEZZNS1_27merge_sort_block_merge_implIS3_N6thrust23THRUST_200600_302600_NS6detail15normal_iteratorINS8_10device_ptrIiEEEESD_jNS1_19radix_merge_compareILb1ELb0EiNS0_19identity_decomposerEEEEE10hipError_tT0_T1_T2_jT3_P12ihipStream_tbPNSt15iterator_traitsISI_E10value_typeEPNSO_ISJ_E10value_typeEPSK_NS1_7vsmem_tEENKUlT_SI_SJ_SK_E_clIPiSD_S10_SD_EESH_SX_SI_SJ_SK_EUlSX_E1_NS1_11comp_targetILNS1_3genE9ELNS1_11target_archE1100ELNS1_3gpuE3ELNS1_3repE0EEENS1_36merge_oddeven_config_static_selectorELNS0_4arch9wavefront6targetE1EEEvSJ_, .Lfunc_end1745-_ZN7rocprim17ROCPRIM_400000_NS6detail17trampoline_kernelINS0_14default_configENS1_38merge_sort_block_merge_config_selectorIiiEEZZNS1_27merge_sort_block_merge_implIS3_N6thrust23THRUST_200600_302600_NS6detail15normal_iteratorINS8_10device_ptrIiEEEESD_jNS1_19radix_merge_compareILb1ELb0EiNS0_19identity_decomposerEEEEE10hipError_tT0_T1_T2_jT3_P12ihipStream_tbPNSt15iterator_traitsISI_E10value_typeEPNSO_ISJ_E10value_typeEPSK_NS1_7vsmem_tEENKUlT_SI_SJ_SK_E_clIPiSD_S10_SD_EESH_SX_SI_SJ_SK_EUlSX_E1_NS1_11comp_targetILNS1_3genE9ELNS1_11target_archE1100ELNS1_3gpuE3ELNS1_3repE0EEENS1_36merge_oddeven_config_static_selectorELNS0_4arch9wavefront6targetE1EEEvSJ_
                                        ; -- End function
	.set _ZN7rocprim17ROCPRIM_400000_NS6detail17trampoline_kernelINS0_14default_configENS1_38merge_sort_block_merge_config_selectorIiiEEZZNS1_27merge_sort_block_merge_implIS3_N6thrust23THRUST_200600_302600_NS6detail15normal_iteratorINS8_10device_ptrIiEEEESD_jNS1_19radix_merge_compareILb1ELb0EiNS0_19identity_decomposerEEEEE10hipError_tT0_T1_T2_jT3_P12ihipStream_tbPNSt15iterator_traitsISI_E10value_typeEPNSO_ISJ_E10value_typeEPSK_NS1_7vsmem_tEENKUlT_SI_SJ_SK_E_clIPiSD_S10_SD_EESH_SX_SI_SJ_SK_EUlSX_E1_NS1_11comp_targetILNS1_3genE9ELNS1_11target_archE1100ELNS1_3gpuE3ELNS1_3repE0EEENS1_36merge_oddeven_config_static_selectorELNS0_4arch9wavefront6targetE1EEEvSJ_.num_vgpr, 0
	.set _ZN7rocprim17ROCPRIM_400000_NS6detail17trampoline_kernelINS0_14default_configENS1_38merge_sort_block_merge_config_selectorIiiEEZZNS1_27merge_sort_block_merge_implIS3_N6thrust23THRUST_200600_302600_NS6detail15normal_iteratorINS8_10device_ptrIiEEEESD_jNS1_19radix_merge_compareILb1ELb0EiNS0_19identity_decomposerEEEEE10hipError_tT0_T1_T2_jT3_P12ihipStream_tbPNSt15iterator_traitsISI_E10value_typeEPNSO_ISJ_E10value_typeEPSK_NS1_7vsmem_tEENKUlT_SI_SJ_SK_E_clIPiSD_S10_SD_EESH_SX_SI_SJ_SK_EUlSX_E1_NS1_11comp_targetILNS1_3genE9ELNS1_11target_archE1100ELNS1_3gpuE3ELNS1_3repE0EEENS1_36merge_oddeven_config_static_selectorELNS0_4arch9wavefront6targetE1EEEvSJ_.num_agpr, 0
	.set _ZN7rocprim17ROCPRIM_400000_NS6detail17trampoline_kernelINS0_14default_configENS1_38merge_sort_block_merge_config_selectorIiiEEZZNS1_27merge_sort_block_merge_implIS3_N6thrust23THRUST_200600_302600_NS6detail15normal_iteratorINS8_10device_ptrIiEEEESD_jNS1_19radix_merge_compareILb1ELb0EiNS0_19identity_decomposerEEEEE10hipError_tT0_T1_T2_jT3_P12ihipStream_tbPNSt15iterator_traitsISI_E10value_typeEPNSO_ISJ_E10value_typeEPSK_NS1_7vsmem_tEENKUlT_SI_SJ_SK_E_clIPiSD_S10_SD_EESH_SX_SI_SJ_SK_EUlSX_E1_NS1_11comp_targetILNS1_3genE9ELNS1_11target_archE1100ELNS1_3gpuE3ELNS1_3repE0EEENS1_36merge_oddeven_config_static_selectorELNS0_4arch9wavefront6targetE1EEEvSJ_.numbered_sgpr, 0
	.set _ZN7rocprim17ROCPRIM_400000_NS6detail17trampoline_kernelINS0_14default_configENS1_38merge_sort_block_merge_config_selectorIiiEEZZNS1_27merge_sort_block_merge_implIS3_N6thrust23THRUST_200600_302600_NS6detail15normal_iteratorINS8_10device_ptrIiEEEESD_jNS1_19radix_merge_compareILb1ELb0EiNS0_19identity_decomposerEEEEE10hipError_tT0_T1_T2_jT3_P12ihipStream_tbPNSt15iterator_traitsISI_E10value_typeEPNSO_ISJ_E10value_typeEPSK_NS1_7vsmem_tEENKUlT_SI_SJ_SK_E_clIPiSD_S10_SD_EESH_SX_SI_SJ_SK_EUlSX_E1_NS1_11comp_targetILNS1_3genE9ELNS1_11target_archE1100ELNS1_3gpuE3ELNS1_3repE0EEENS1_36merge_oddeven_config_static_selectorELNS0_4arch9wavefront6targetE1EEEvSJ_.num_named_barrier, 0
	.set _ZN7rocprim17ROCPRIM_400000_NS6detail17trampoline_kernelINS0_14default_configENS1_38merge_sort_block_merge_config_selectorIiiEEZZNS1_27merge_sort_block_merge_implIS3_N6thrust23THRUST_200600_302600_NS6detail15normal_iteratorINS8_10device_ptrIiEEEESD_jNS1_19radix_merge_compareILb1ELb0EiNS0_19identity_decomposerEEEEE10hipError_tT0_T1_T2_jT3_P12ihipStream_tbPNSt15iterator_traitsISI_E10value_typeEPNSO_ISJ_E10value_typeEPSK_NS1_7vsmem_tEENKUlT_SI_SJ_SK_E_clIPiSD_S10_SD_EESH_SX_SI_SJ_SK_EUlSX_E1_NS1_11comp_targetILNS1_3genE9ELNS1_11target_archE1100ELNS1_3gpuE3ELNS1_3repE0EEENS1_36merge_oddeven_config_static_selectorELNS0_4arch9wavefront6targetE1EEEvSJ_.private_seg_size, 0
	.set _ZN7rocprim17ROCPRIM_400000_NS6detail17trampoline_kernelINS0_14default_configENS1_38merge_sort_block_merge_config_selectorIiiEEZZNS1_27merge_sort_block_merge_implIS3_N6thrust23THRUST_200600_302600_NS6detail15normal_iteratorINS8_10device_ptrIiEEEESD_jNS1_19radix_merge_compareILb1ELb0EiNS0_19identity_decomposerEEEEE10hipError_tT0_T1_T2_jT3_P12ihipStream_tbPNSt15iterator_traitsISI_E10value_typeEPNSO_ISJ_E10value_typeEPSK_NS1_7vsmem_tEENKUlT_SI_SJ_SK_E_clIPiSD_S10_SD_EESH_SX_SI_SJ_SK_EUlSX_E1_NS1_11comp_targetILNS1_3genE9ELNS1_11target_archE1100ELNS1_3gpuE3ELNS1_3repE0EEENS1_36merge_oddeven_config_static_selectorELNS0_4arch9wavefront6targetE1EEEvSJ_.uses_vcc, 0
	.set _ZN7rocprim17ROCPRIM_400000_NS6detail17trampoline_kernelINS0_14default_configENS1_38merge_sort_block_merge_config_selectorIiiEEZZNS1_27merge_sort_block_merge_implIS3_N6thrust23THRUST_200600_302600_NS6detail15normal_iteratorINS8_10device_ptrIiEEEESD_jNS1_19radix_merge_compareILb1ELb0EiNS0_19identity_decomposerEEEEE10hipError_tT0_T1_T2_jT3_P12ihipStream_tbPNSt15iterator_traitsISI_E10value_typeEPNSO_ISJ_E10value_typeEPSK_NS1_7vsmem_tEENKUlT_SI_SJ_SK_E_clIPiSD_S10_SD_EESH_SX_SI_SJ_SK_EUlSX_E1_NS1_11comp_targetILNS1_3genE9ELNS1_11target_archE1100ELNS1_3gpuE3ELNS1_3repE0EEENS1_36merge_oddeven_config_static_selectorELNS0_4arch9wavefront6targetE1EEEvSJ_.uses_flat_scratch, 0
	.set _ZN7rocprim17ROCPRIM_400000_NS6detail17trampoline_kernelINS0_14default_configENS1_38merge_sort_block_merge_config_selectorIiiEEZZNS1_27merge_sort_block_merge_implIS3_N6thrust23THRUST_200600_302600_NS6detail15normal_iteratorINS8_10device_ptrIiEEEESD_jNS1_19radix_merge_compareILb1ELb0EiNS0_19identity_decomposerEEEEE10hipError_tT0_T1_T2_jT3_P12ihipStream_tbPNSt15iterator_traitsISI_E10value_typeEPNSO_ISJ_E10value_typeEPSK_NS1_7vsmem_tEENKUlT_SI_SJ_SK_E_clIPiSD_S10_SD_EESH_SX_SI_SJ_SK_EUlSX_E1_NS1_11comp_targetILNS1_3genE9ELNS1_11target_archE1100ELNS1_3gpuE3ELNS1_3repE0EEENS1_36merge_oddeven_config_static_selectorELNS0_4arch9wavefront6targetE1EEEvSJ_.has_dyn_sized_stack, 0
	.set _ZN7rocprim17ROCPRIM_400000_NS6detail17trampoline_kernelINS0_14default_configENS1_38merge_sort_block_merge_config_selectorIiiEEZZNS1_27merge_sort_block_merge_implIS3_N6thrust23THRUST_200600_302600_NS6detail15normal_iteratorINS8_10device_ptrIiEEEESD_jNS1_19radix_merge_compareILb1ELb0EiNS0_19identity_decomposerEEEEE10hipError_tT0_T1_T2_jT3_P12ihipStream_tbPNSt15iterator_traitsISI_E10value_typeEPNSO_ISJ_E10value_typeEPSK_NS1_7vsmem_tEENKUlT_SI_SJ_SK_E_clIPiSD_S10_SD_EESH_SX_SI_SJ_SK_EUlSX_E1_NS1_11comp_targetILNS1_3genE9ELNS1_11target_archE1100ELNS1_3gpuE3ELNS1_3repE0EEENS1_36merge_oddeven_config_static_selectorELNS0_4arch9wavefront6targetE1EEEvSJ_.has_recursion, 0
	.set _ZN7rocprim17ROCPRIM_400000_NS6detail17trampoline_kernelINS0_14default_configENS1_38merge_sort_block_merge_config_selectorIiiEEZZNS1_27merge_sort_block_merge_implIS3_N6thrust23THRUST_200600_302600_NS6detail15normal_iteratorINS8_10device_ptrIiEEEESD_jNS1_19radix_merge_compareILb1ELb0EiNS0_19identity_decomposerEEEEE10hipError_tT0_T1_T2_jT3_P12ihipStream_tbPNSt15iterator_traitsISI_E10value_typeEPNSO_ISJ_E10value_typeEPSK_NS1_7vsmem_tEENKUlT_SI_SJ_SK_E_clIPiSD_S10_SD_EESH_SX_SI_SJ_SK_EUlSX_E1_NS1_11comp_targetILNS1_3genE9ELNS1_11target_archE1100ELNS1_3gpuE3ELNS1_3repE0EEENS1_36merge_oddeven_config_static_selectorELNS0_4arch9wavefront6targetE1EEEvSJ_.has_indirect_call, 0
	.section	.AMDGPU.csdata,"",@progbits
; Kernel info:
; codeLenInByte = 0
; TotalNumSgprs: 6
; NumVgprs: 0
; NumAgprs: 0
; TotalNumVgprs: 0
; ScratchSize: 0
; MemoryBound: 0
; FloatMode: 240
; IeeeMode: 1
; LDSByteSize: 0 bytes/workgroup (compile time only)
; SGPRBlocks: 0
; VGPRBlocks: 0
; NumSGPRsForWavesPerEU: 6
; NumVGPRsForWavesPerEU: 1
; AccumOffset: 4
; Occupancy: 8
; WaveLimiterHint : 0
; COMPUTE_PGM_RSRC2:SCRATCH_EN: 0
; COMPUTE_PGM_RSRC2:USER_SGPR: 2
; COMPUTE_PGM_RSRC2:TRAP_HANDLER: 0
; COMPUTE_PGM_RSRC2:TGID_X_EN: 1
; COMPUTE_PGM_RSRC2:TGID_Y_EN: 0
; COMPUTE_PGM_RSRC2:TGID_Z_EN: 0
; COMPUTE_PGM_RSRC2:TIDIG_COMP_CNT: 0
; COMPUTE_PGM_RSRC3_GFX90A:ACCUM_OFFSET: 0
; COMPUTE_PGM_RSRC3_GFX90A:TG_SPLIT: 0
	.section	.text._ZN7rocprim17ROCPRIM_400000_NS6detail17trampoline_kernelINS0_14default_configENS1_38merge_sort_block_merge_config_selectorIiiEEZZNS1_27merge_sort_block_merge_implIS3_N6thrust23THRUST_200600_302600_NS6detail15normal_iteratorINS8_10device_ptrIiEEEESD_jNS1_19radix_merge_compareILb1ELb0EiNS0_19identity_decomposerEEEEE10hipError_tT0_T1_T2_jT3_P12ihipStream_tbPNSt15iterator_traitsISI_E10value_typeEPNSO_ISJ_E10value_typeEPSK_NS1_7vsmem_tEENKUlT_SI_SJ_SK_E_clIPiSD_S10_SD_EESH_SX_SI_SJ_SK_EUlSX_E1_NS1_11comp_targetILNS1_3genE8ELNS1_11target_archE1030ELNS1_3gpuE2ELNS1_3repE0EEENS1_36merge_oddeven_config_static_selectorELNS0_4arch9wavefront6targetE1EEEvSJ_,"axG",@progbits,_ZN7rocprim17ROCPRIM_400000_NS6detail17trampoline_kernelINS0_14default_configENS1_38merge_sort_block_merge_config_selectorIiiEEZZNS1_27merge_sort_block_merge_implIS3_N6thrust23THRUST_200600_302600_NS6detail15normal_iteratorINS8_10device_ptrIiEEEESD_jNS1_19radix_merge_compareILb1ELb0EiNS0_19identity_decomposerEEEEE10hipError_tT0_T1_T2_jT3_P12ihipStream_tbPNSt15iterator_traitsISI_E10value_typeEPNSO_ISJ_E10value_typeEPSK_NS1_7vsmem_tEENKUlT_SI_SJ_SK_E_clIPiSD_S10_SD_EESH_SX_SI_SJ_SK_EUlSX_E1_NS1_11comp_targetILNS1_3genE8ELNS1_11target_archE1030ELNS1_3gpuE2ELNS1_3repE0EEENS1_36merge_oddeven_config_static_selectorELNS0_4arch9wavefront6targetE1EEEvSJ_,comdat
	.protected	_ZN7rocprim17ROCPRIM_400000_NS6detail17trampoline_kernelINS0_14default_configENS1_38merge_sort_block_merge_config_selectorIiiEEZZNS1_27merge_sort_block_merge_implIS3_N6thrust23THRUST_200600_302600_NS6detail15normal_iteratorINS8_10device_ptrIiEEEESD_jNS1_19radix_merge_compareILb1ELb0EiNS0_19identity_decomposerEEEEE10hipError_tT0_T1_T2_jT3_P12ihipStream_tbPNSt15iterator_traitsISI_E10value_typeEPNSO_ISJ_E10value_typeEPSK_NS1_7vsmem_tEENKUlT_SI_SJ_SK_E_clIPiSD_S10_SD_EESH_SX_SI_SJ_SK_EUlSX_E1_NS1_11comp_targetILNS1_3genE8ELNS1_11target_archE1030ELNS1_3gpuE2ELNS1_3repE0EEENS1_36merge_oddeven_config_static_selectorELNS0_4arch9wavefront6targetE1EEEvSJ_ ; -- Begin function _ZN7rocprim17ROCPRIM_400000_NS6detail17trampoline_kernelINS0_14default_configENS1_38merge_sort_block_merge_config_selectorIiiEEZZNS1_27merge_sort_block_merge_implIS3_N6thrust23THRUST_200600_302600_NS6detail15normal_iteratorINS8_10device_ptrIiEEEESD_jNS1_19radix_merge_compareILb1ELb0EiNS0_19identity_decomposerEEEEE10hipError_tT0_T1_T2_jT3_P12ihipStream_tbPNSt15iterator_traitsISI_E10value_typeEPNSO_ISJ_E10value_typeEPSK_NS1_7vsmem_tEENKUlT_SI_SJ_SK_E_clIPiSD_S10_SD_EESH_SX_SI_SJ_SK_EUlSX_E1_NS1_11comp_targetILNS1_3genE8ELNS1_11target_archE1030ELNS1_3gpuE2ELNS1_3repE0EEENS1_36merge_oddeven_config_static_selectorELNS0_4arch9wavefront6targetE1EEEvSJ_
	.globl	_ZN7rocprim17ROCPRIM_400000_NS6detail17trampoline_kernelINS0_14default_configENS1_38merge_sort_block_merge_config_selectorIiiEEZZNS1_27merge_sort_block_merge_implIS3_N6thrust23THRUST_200600_302600_NS6detail15normal_iteratorINS8_10device_ptrIiEEEESD_jNS1_19radix_merge_compareILb1ELb0EiNS0_19identity_decomposerEEEEE10hipError_tT0_T1_T2_jT3_P12ihipStream_tbPNSt15iterator_traitsISI_E10value_typeEPNSO_ISJ_E10value_typeEPSK_NS1_7vsmem_tEENKUlT_SI_SJ_SK_E_clIPiSD_S10_SD_EESH_SX_SI_SJ_SK_EUlSX_E1_NS1_11comp_targetILNS1_3genE8ELNS1_11target_archE1030ELNS1_3gpuE2ELNS1_3repE0EEENS1_36merge_oddeven_config_static_selectorELNS0_4arch9wavefront6targetE1EEEvSJ_
	.p2align	8
	.type	_ZN7rocprim17ROCPRIM_400000_NS6detail17trampoline_kernelINS0_14default_configENS1_38merge_sort_block_merge_config_selectorIiiEEZZNS1_27merge_sort_block_merge_implIS3_N6thrust23THRUST_200600_302600_NS6detail15normal_iteratorINS8_10device_ptrIiEEEESD_jNS1_19radix_merge_compareILb1ELb0EiNS0_19identity_decomposerEEEEE10hipError_tT0_T1_T2_jT3_P12ihipStream_tbPNSt15iterator_traitsISI_E10value_typeEPNSO_ISJ_E10value_typeEPSK_NS1_7vsmem_tEENKUlT_SI_SJ_SK_E_clIPiSD_S10_SD_EESH_SX_SI_SJ_SK_EUlSX_E1_NS1_11comp_targetILNS1_3genE8ELNS1_11target_archE1030ELNS1_3gpuE2ELNS1_3repE0EEENS1_36merge_oddeven_config_static_selectorELNS0_4arch9wavefront6targetE1EEEvSJ_,@function
_ZN7rocprim17ROCPRIM_400000_NS6detail17trampoline_kernelINS0_14default_configENS1_38merge_sort_block_merge_config_selectorIiiEEZZNS1_27merge_sort_block_merge_implIS3_N6thrust23THRUST_200600_302600_NS6detail15normal_iteratorINS8_10device_ptrIiEEEESD_jNS1_19radix_merge_compareILb1ELb0EiNS0_19identity_decomposerEEEEE10hipError_tT0_T1_T2_jT3_P12ihipStream_tbPNSt15iterator_traitsISI_E10value_typeEPNSO_ISJ_E10value_typeEPSK_NS1_7vsmem_tEENKUlT_SI_SJ_SK_E_clIPiSD_S10_SD_EESH_SX_SI_SJ_SK_EUlSX_E1_NS1_11comp_targetILNS1_3genE8ELNS1_11target_archE1030ELNS1_3gpuE2ELNS1_3repE0EEENS1_36merge_oddeven_config_static_selectorELNS0_4arch9wavefront6targetE1EEEvSJ_: ; @_ZN7rocprim17ROCPRIM_400000_NS6detail17trampoline_kernelINS0_14default_configENS1_38merge_sort_block_merge_config_selectorIiiEEZZNS1_27merge_sort_block_merge_implIS3_N6thrust23THRUST_200600_302600_NS6detail15normal_iteratorINS8_10device_ptrIiEEEESD_jNS1_19radix_merge_compareILb1ELb0EiNS0_19identity_decomposerEEEEE10hipError_tT0_T1_T2_jT3_P12ihipStream_tbPNSt15iterator_traitsISI_E10value_typeEPNSO_ISJ_E10value_typeEPSK_NS1_7vsmem_tEENKUlT_SI_SJ_SK_E_clIPiSD_S10_SD_EESH_SX_SI_SJ_SK_EUlSX_E1_NS1_11comp_targetILNS1_3genE8ELNS1_11target_archE1030ELNS1_3gpuE2ELNS1_3repE0EEENS1_36merge_oddeven_config_static_selectorELNS0_4arch9wavefront6targetE1EEEvSJ_
; %bb.0:
	.section	.rodata,"a",@progbits
	.p2align	6, 0x0
	.amdhsa_kernel _ZN7rocprim17ROCPRIM_400000_NS6detail17trampoline_kernelINS0_14default_configENS1_38merge_sort_block_merge_config_selectorIiiEEZZNS1_27merge_sort_block_merge_implIS3_N6thrust23THRUST_200600_302600_NS6detail15normal_iteratorINS8_10device_ptrIiEEEESD_jNS1_19radix_merge_compareILb1ELb0EiNS0_19identity_decomposerEEEEE10hipError_tT0_T1_T2_jT3_P12ihipStream_tbPNSt15iterator_traitsISI_E10value_typeEPNSO_ISJ_E10value_typeEPSK_NS1_7vsmem_tEENKUlT_SI_SJ_SK_E_clIPiSD_S10_SD_EESH_SX_SI_SJ_SK_EUlSX_E1_NS1_11comp_targetILNS1_3genE8ELNS1_11target_archE1030ELNS1_3gpuE2ELNS1_3repE0EEENS1_36merge_oddeven_config_static_selectorELNS0_4arch9wavefront6targetE1EEEvSJ_
		.amdhsa_group_segment_fixed_size 0
		.amdhsa_private_segment_fixed_size 0
		.amdhsa_kernarg_size 48
		.amdhsa_user_sgpr_count 2
		.amdhsa_user_sgpr_dispatch_ptr 0
		.amdhsa_user_sgpr_queue_ptr 0
		.amdhsa_user_sgpr_kernarg_segment_ptr 1
		.amdhsa_user_sgpr_dispatch_id 0
		.amdhsa_user_sgpr_kernarg_preload_length 0
		.amdhsa_user_sgpr_kernarg_preload_offset 0
		.amdhsa_user_sgpr_private_segment_size 0
		.amdhsa_uses_dynamic_stack 0
		.amdhsa_enable_private_segment 0
		.amdhsa_system_sgpr_workgroup_id_x 1
		.amdhsa_system_sgpr_workgroup_id_y 0
		.amdhsa_system_sgpr_workgroup_id_z 0
		.amdhsa_system_sgpr_workgroup_info 0
		.amdhsa_system_vgpr_workitem_id 0
		.amdhsa_next_free_vgpr 1
		.amdhsa_next_free_sgpr 0
		.amdhsa_accum_offset 4
		.amdhsa_reserve_vcc 0
		.amdhsa_float_round_mode_32 0
		.amdhsa_float_round_mode_16_64 0
		.amdhsa_float_denorm_mode_32 3
		.amdhsa_float_denorm_mode_16_64 3
		.amdhsa_dx10_clamp 1
		.amdhsa_ieee_mode 1
		.amdhsa_fp16_overflow 0
		.amdhsa_tg_split 0
		.amdhsa_exception_fp_ieee_invalid_op 0
		.amdhsa_exception_fp_denorm_src 0
		.amdhsa_exception_fp_ieee_div_zero 0
		.amdhsa_exception_fp_ieee_overflow 0
		.amdhsa_exception_fp_ieee_underflow 0
		.amdhsa_exception_fp_ieee_inexact 0
		.amdhsa_exception_int_div_zero 0
	.end_amdhsa_kernel
	.section	.text._ZN7rocprim17ROCPRIM_400000_NS6detail17trampoline_kernelINS0_14default_configENS1_38merge_sort_block_merge_config_selectorIiiEEZZNS1_27merge_sort_block_merge_implIS3_N6thrust23THRUST_200600_302600_NS6detail15normal_iteratorINS8_10device_ptrIiEEEESD_jNS1_19radix_merge_compareILb1ELb0EiNS0_19identity_decomposerEEEEE10hipError_tT0_T1_T2_jT3_P12ihipStream_tbPNSt15iterator_traitsISI_E10value_typeEPNSO_ISJ_E10value_typeEPSK_NS1_7vsmem_tEENKUlT_SI_SJ_SK_E_clIPiSD_S10_SD_EESH_SX_SI_SJ_SK_EUlSX_E1_NS1_11comp_targetILNS1_3genE8ELNS1_11target_archE1030ELNS1_3gpuE2ELNS1_3repE0EEENS1_36merge_oddeven_config_static_selectorELNS0_4arch9wavefront6targetE1EEEvSJ_,"axG",@progbits,_ZN7rocprim17ROCPRIM_400000_NS6detail17trampoline_kernelINS0_14default_configENS1_38merge_sort_block_merge_config_selectorIiiEEZZNS1_27merge_sort_block_merge_implIS3_N6thrust23THRUST_200600_302600_NS6detail15normal_iteratorINS8_10device_ptrIiEEEESD_jNS1_19radix_merge_compareILb1ELb0EiNS0_19identity_decomposerEEEEE10hipError_tT0_T1_T2_jT3_P12ihipStream_tbPNSt15iterator_traitsISI_E10value_typeEPNSO_ISJ_E10value_typeEPSK_NS1_7vsmem_tEENKUlT_SI_SJ_SK_E_clIPiSD_S10_SD_EESH_SX_SI_SJ_SK_EUlSX_E1_NS1_11comp_targetILNS1_3genE8ELNS1_11target_archE1030ELNS1_3gpuE2ELNS1_3repE0EEENS1_36merge_oddeven_config_static_selectorELNS0_4arch9wavefront6targetE1EEEvSJ_,comdat
.Lfunc_end1746:
	.size	_ZN7rocprim17ROCPRIM_400000_NS6detail17trampoline_kernelINS0_14default_configENS1_38merge_sort_block_merge_config_selectorIiiEEZZNS1_27merge_sort_block_merge_implIS3_N6thrust23THRUST_200600_302600_NS6detail15normal_iteratorINS8_10device_ptrIiEEEESD_jNS1_19radix_merge_compareILb1ELb0EiNS0_19identity_decomposerEEEEE10hipError_tT0_T1_T2_jT3_P12ihipStream_tbPNSt15iterator_traitsISI_E10value_typeEPNSO_ISJ_E10value_typeEPSK_NS1_7vsmem_tEENKUlT_SI_SJ_SK_E_clIPiSD_S10_SD_EESH_SX_SI_SJ_SK_EUlSX_E1_NS1_11comp_targetILNS1_3genE8ELNS1_11target_archE1030ELNS1_3gpuE2ELNS1_3repE0EEENS1_36merge_oddeven_config_static_selectorELNS0_4arch9wavefront6targetE1EEEvSJ_, .Lfunc_end1746-_ZN7rocprim17ROCPRIM_400000_NS6detail17trampoline_kernelINS0_14default_configENS1_38merge_sort_block_merge_config_selectorIiiEEZZNS1_27merge_sort_block_merge_implIS3_N6thrust23THRUST_200600_302600_NS6detail15normal_iteratorINS8_10device_ptrIiEEEESD_jNS1_19radix_merge_compareILb1ELb0EiNS0_19identity_decomposerEEEEE10hipError_tT0_T1_T2_jT3_P12ihipStream_tbPNSt15iterator_traitsISI_E10value_typeEPNSO_ISJ_E10value_typeEPSK_NS1_7vsmem_tEENKUlT_SI_SJ_SK_E_clIPiSD_S10_SD_EESH_SX_SI_SJ_SK_EUlSX_E1_NS1_11comp_targetILNS1_3genE8ELNS1_11target_archE1030ELNS1_3gpuE2ELNS1_3repE0EEENS1_36merge_oddeven_config_static_selectorELNS0_4arch9wavefront6targetE1EEEvSJ_
                                        ; -- End function
	.set _ZN7rocprim17ROCPRIM_400000_NS6detail17trampoline_kernelINS0_14default_configENS1_38merge_sort_block_merge_config_selectorIiiEEZZNS1_27merge_sort_block_merge_implIS3_N6thrust23THRUST_200600_302600_NS6detail15normal_iteratorINS8_10device_ptrIiEEEESD_jNS1_19radix_merge_compareILb1ELb0EiNS0_19identity_decomposerEEEEE10hipError_tT0_T1_T2_jT3_P12ihipStream_tbPNSt15iterator_traitsISI_E10value_typeEPNSO_ISJ_E10value_typeEPSK_NS1_7vsmem_tEENKUlT_SI_SJ_SK_E_clIPiSD_S10_SD_EESH_SX_SI_SJ_SK_EUlSX_E1_NS1_11comp_targetILNS1_3genE8ELNS1_11target_archE1030ELNS1_3gpuE2ELNS1_3repE0EEENS1_36merge_oddeven_config_static_selectorELNS0_4arch9wavefront6targetE1EEEvSJ_.num_vgpr, 0
	.set _ZN7rocprim17ROCPRIM_400000_NS6detail17trampoline_kernelINS0_14default_configENS1_38merge_sort_block_merge_config_selectorIiiEEZZNS1_27merge_sort_block_merge_implIS3_N6thrust23THRUST_200600_302600_NS6detail15normal_iteratorINS8_10device_ptrIiEEEESD_jNS1_19radix_merge_compareILb1ELb0EiNS0_19identity_decomposerEEEEE10hipError_tT0_T1_T2_jT3_P12ihipStream_tbPNSt15iterator_traitsISI_E10value_typeEPNSO_ISJ_E10value_typeEPSK_NS1_7vsmem_tEENKUlT_SI_SJ_SK_E_clIPiSD_S10_SD_EESH_SX_SI_SJ_SK_EUlSX_E1_NS1_11comp_targetILNS1_3genE8ELNS1_11target_archE1030ELNS1_3gpuE2ELNS1_3repE0EEENS1_36merge_oddeven_config_static_selectorELNS0_4arch9wavefront6targetE1EEEvSJ_.num_agpr, 0
	.set _ZN7rocprim17ROCPRIM_400000_NS6detail17trampoline_kernelINS0_14default_configENS1_38merge_sort_block_merge_config_selectorIiiEEZZNS1_27merge_sort_block_merge_implIS3_N6thrust23THRUST_200600_302600_NS6detail15normal_iteratorINS8_10device_ptrIiEEEESD_jNS1_19radix_merge_compareILb1ELb0EiNS0_19identity_decomposerEEEEE10hipError_tT0_T1_T2_jT3_P12ihipStream_tbPNSt15iterator_traitsISI_E10value_typeEPNSO_ISJ_E10value_typeEPSK_NS1_7vsmem_tEENKUlT_SI_SJ_SK_E_clIPiSD_S10_SD_EESH_SX_SI_SJ_SK_EUlSX_E1_NS1_11comp_targetILNS1_3genE8ELNS1_11target_archE1030ELNS1_3gpuE2ELNS1_3repE0EEENS1_36merge_oddeven_config_static_selectorELNS0_4arch9wavefront6targetE1EEEvSJ_.numbered_sgpr, 0
	.set _ZN7rocprim17ROCPRIM_400000_NS6detail17trampoline_kernelINS0_14default_configENS1_38merge_sort_block_merge_config_selectorIiiEEZZNS1_27merge_sort_block_merge_implIS3_N6thrust23THRUST_200600_302600_NS6detail15normal_iteratorINS8_10device_ptrIiEEEESD_jNS1_19radix_merge_compareILb1ELb0EiNS0_19identity_decomposerEEEEE10hipError_tT0_T1_T2_jT3_P12ihipStream_tbPNSt15iterator_traitsISI_E10value_typeEPNSO_ISJ_E10value_typeEPSK_NS1_7vsmem_tEENKUlT_SI_SJ_SK_E_clIPiSD_S10_SD_EESH_SX_SI_SJ_SK_EUlSX_E1_NS1_11comp_targetILNS1_3genE8ELNS1_11target_archE1030ELNS1_3gpuE2ELNS1_3repE0EEENS1_36merge_oddeven_config_static_selectorELNS0_4arch9wavefront6targetE1EEEvSJ_.num_named_barrier, 0
	.set _ZN7rocprim17ROCPRIM_400000_NS6detail17trampoline_kernelINS0_14default_configENS1_38merge_sort_block_merge_config_selectorIiiEEZZNS1_27merge_sort_block_merge_implIS3_N6thrust23THRUST_200600_302600_NS6detail15normal_iteratorINS8_10device_ptrIiEEEESD_jNS1_19radix_merge_compareILb1ELb0EiNS0_19identity_decomposerEEEEE10hipError_tT0_T1_T2_jT3_P12ihipStream_tbPNSt15iterator_traitsISI_E10value_typeEPNSO_ISJ_E10value_typeEPSK_NS1_7vsmem_tEENKUlT_SI_SJ_SK_E_clIPiSD_S10_SD_EESH_SX_SI_SJ_SK_EUlSX_E1_NS1_11comp_targetILNS1_3genE8ELNS1_11target_archE1030ELNS1_3gpuE2ELNS1_3repE0EEENS1_36merge_oddeven_config_static_selectorELNS0_4arch9wavefront6targetE1EEEvSJ_.private_seg_size, 0
	.set _ZN7rocprim17ROCPRIM_400000_NS6detail17trampoline_kernelINS0_14default_configENS1_38merge_sort_block_merge_config_selectorIiiEEZZNS1_27merge_sort_block_merge_implIS3_N6thrust23THRUST_200600_302600_NS6detail15normal_iteratorINS8_10device_ptrIiEEEESD_jNS1_19radix_merge_compareILb1ELb0EiNS0_19identity_decomposerEEEEE10hipError_tT0_T1_T2_jT3_P12ihipStream_tbPNSt15iterator_traitsISI_E10value_typeEPNSO_ISJ_E10value_typeEPSK_NS1_7vsmem_tEENKUlT_SI_SJ_SK_E_clIPiSD_S10_SD_EESH_SX_SI_SJ_SK_EUlSX_E1_NS1_11comp_targetILNS1_3genE8ELNS1_11target_archE1030ELNS1_3gpuE2ELNS1_3repE0EEENS1_36merge_oddeven_config_static_selectorELNS0_4arch9wavefront6targetE1EEEvSJ_.uses_vcc, 0
	.set _ZN7rocprim17ROCPRIM_400000_NS6detail17trampoline_kernelINS0_14default_configENS1_38merge_sort_block_merge_config_selectorIiiEEZZNS1_27merge_sort_block_merge_implIS3_N6thrust23THRUST_200600_302600_NS6detail15normal_iteratorINS8_10device_ptrIiEEEESD_jNS1_19radix_merge_compareILb1ELb0EiNS0_19identity_decomposerEEEEE10hipError_tT0_T1_T2_jT3_P12ihipStream_tbPNSt15iterator_traitsISI_E10value_typeEPNSO_ISJ_E10value_typeEPSK_NS1_7vsmem_tEENKUlT_SI_SJ_SK_E_clIPiSD_S10_SD_EESH_SX_SI_SJ_SK_EUlSX_E1_NS1_11comp_targetILNS1_3genE8ELNS1_11target_archE1030ELNS1_3gpuE2ELNS1_3repE0EEENS1_36merge_oddeven_config_static_selectorELNS0_4arch9wavefront6targetE1EEEvSJ_.uses_flat_scratch, 0
	.set _ZN7rocprim17ROCPRIM_400000_NS6detail17trampoline_kernelINS0_14default_configENS1_38merge_sort_block_merge_config_selectorIiiEEZZNS1_27merge_sort_block_merge_implIS3_N6thrust23THRUST_200600_302600_NS6detail15normal_iteratorINS8_10device_ptrIiEEEESD_jNS1_19radix_merge_compareILb1ELb0EiNS0_19identity_decomposerEEEEE10hipError_tT0_T1_T2_jT3_P12ihipStream_tbPNSt15iterator_traitsISI_E10value_typeEPNSO_ISJ_E10value_typeEPSK_NS1_7vsmem_tEENKUlT_SI_SJ_SK_E_clIPiSD_S10_SD_EESH_SX_SI_SJ_SK_EUlSX_E1_NS1_11comp_targetILNS1_3genE8ELNS1_11target_archE1030ELNS1_3gpuE2ELNS1_3repE0EEENS1_36merge_oddeven_config_static_selectorELNS0_4arch9wavefront6targetE1EEEvSJ_.has_dyn_sized_stack, 0
	.set _ZN7rocprim17ROCPRIM_400000_NS6detail17trampoline_kernelINS0_14default_configENS1_38merge_sort_block_merge_config_selectorIiiEEZZNS1_27merge_sort_block_merge_implIS3_N6thrust23THRUST_200600_302600_NS6detail15normal_iteratorINS8_10device_ptrIiEEEESD_jNS1_19radix_merge_compareILb1ELb0EiNS0_19identity_decomposerEEEEE10hipError_tT0_T1_T2_jT3_P12ihipStream_tbPNSt15iterator_traitsISI_E10value_typeEPNSO_ISJ_E10value_typeEPSK_NS1_7vsmem_tEENKUlT_SI_SJ_SK_E_clIPiSD_S10_SD_EESH_SX_SI_SJ_SK_EUlSX_E1_NS1_11comp_targetILNS1_3genE8ELNS1_11target_archE1030ELNS1_3gpuE2ELNS1_3repE0EEENS1_36merge_oddeven_config_static_selectorELNS0_4arch9wavefront6targetE1EEEvSJ_.has_recursion, 0
	.set _ZN7rocprim17ROCPRIM_400000_NS6detail17trampoline_kernelINS0_14default_configENS1_38merge_sort_block_merge_config_selectorIiiEEZZNS1_27merge_sort_block_merge_implIS3_N6thrust23THRUST_200600_302600_NS6detail15normal_iteratorINS8_10device_ptrIiEEEESD_jNS1_19radix_merge_compareILb1ELb0EiNS0_19identity_decomposerEEEEE10hipError_tT0_T1_T2_jT3_P12ihipStream_tbPNSt15iterator_traitsISI_E10value_typeEPNSO_ISJ_E10value_typeEPSK_NS1_7vsmem_tEENKUlT_SI_SJ_SK_E_clIPiSD_S10_SD_EESH_SX_SI_SJ_SK_EUlSX_E1_NS1_11comp_targetILNS1_3genE8ELNS1_11target_archE1030ELNS1_3gpuE2ELNS1_3repE0EEENS1_36merge_oddeven_config_static_selectorELNS0_4arch9wavefront6targetE1EEEvSJ_.has_indirect_call, 0
	.section	.AMDGPU.csdata,"",@progbits
; Kernel info:
; codeLenInByte = 0
; TotalNumSgprs: 6
; NumVgprs: 0
; NumAgprs: 0
; TotalNumVgprs: 0
; ScratchSize: 0
; MemoryBound: 0
; FloatMode: 240
; IeeeMode: 1
; LDSByteSize: 0 bytes/workgroup (compile time only)
; SGPRBlocks: 0
; VGPRBlocks: 0
; NumSGPRsForWavesPerEU: 6
; NumVGPRsForWavesPerEU: 1
; AccumOffset: 4
; Occupancy: 8
; WaveLimiterHint : 0
; COMPUTE_PGM_RSRC2:SCRATCH_EN: 0
; COMPUTE_PGM_RSRC2:USER_SGPR: 2
; COMPUTE_PGM_RSRC2:TRAP_HANDLER: 0
; COMPUTE_PGM_RSRC2:TGID_X_EN: 1
; COMPUTE_PGM_RSRC2:TGID_Y_EN: 0
; COMPUTE_PGM_RSRC2:TGID_Z_EN: 0
; COMPUTE_PGM_RSRC2:TIDIG_COMP_CNT: 0
; COMPUTE_PGM_RSRC3_GFX90A:ACCUM_OFFSET: 0
; COMPUTE_PGM_RSRC3_GFX90A:TG_SPLIT: 0
	.section	.text._ZN7rocprim17ROCPRIM_400000_NS6detail17trampoline_kernelINS0_14default_configENS1_38merge_sort_block_merge_config_selectorIiiEEZZNS1_27merge_sort_block_merge_implIS3_N6thrust23THRUST_200600_302600_NS6detail15normal_iteratorINS8_10device_ptrIiEEEESD_jNS1_19radix_merge_compareILb1ELb0EiNS0_19identity_decomposerEEEEE10hipError_tT0_T1_T2_jT3_P12ihipStream_tbPNSt15iterator_traitsISI_E10value_typeEPNSO_ISJ_E10value_typeEPSK_NS1_7vsmem_tEENKUlT_SI_SJ_SK_E_clISD_PiSD_S10_EESH_SX_SI_SJ_SK_EUlSX_E_NS1_11comp_targetILNS1_3genE0ELNS1_11target_archE4294967295ELNS1_3gpuE0ELNS1_3repE0EEENS1_48merge_mergepath_partition_config_static_selectorELNS0_4arch9wavefront6targetE1EEEvSJ_,"axG",@progbits,_ZN7rocprim17ROCPRIM_400000_NS6detail17trampoline_kernelINS0_14default_configENS1_38merge_sort_block_merge_config_selectorIiiEEZZNS1_27merge_sort_block_merge_implIS3_N6thrust23THRUST_200600_302600_NS6detail15normal_iteratorINS8_10device_ptrIiEEEESD_jNS1_19radix_merge_compareILb1ELb0EiNS0_19identity_decomposerEEEEE10hipError_tT0_T1_T2_jT3_P12ihipStream_tbPNSt15iterator_traitsISI_E10value_typeEPNSO_ISJ_E10value_typeEPSK_NS1_7vsmem_tEENKUlT_SI_SJ_SK_E_clISD_PiSD_S10_EESH_SX_SI_SJ_SK_EUlSX_E_NS1_11comp_targetILNS1_3genE0ELNS1_11target_archE4294967295ELNS1_3gpuE0ELNS1_3repE0EEENS1_48merge_mergepath_partition_config_static_selectorELNS0_4arch9wavefront6targetE1EEEvSJ_,comdat
	.protected	_ZN7rocprim17ROCPRIM_400000_NS6detail17trampoline_kernelINS0_14default_configENS1_38merge_sort_block_merge_config_selectorIiiEEZZNS1_27merge_sort_block_merge_implIS3_N6thrust23THRUST_200600_302600_NS6detail15normal_iteratorINS8_10device_ptrIiEEEESD_jNS1_19radix_merge_compareILb1ELb0EiNS0_19identity_decomposerEEEEE10hipError_tT0_T1_T2_jT3_P12ihipStream_tbPNSt15iterator_traitsISI_E10value_typeEPNSO_ISJ_E10value_typeEPSK_NS1_7vsmem_tEENKUlT_SI_SJ_SK_E_clISD_PiSD_S10_EESH_SX_SI_SJ_SK_EUlSX_E_NS1_11comp_targetILNS1_3genE0ELNS1_11target_archE4294967295ELNS1_3gpuE0ELNS1_3repE0EEENS1_48merge_mergepath_partition_config_static_selectorELNS0_4arch9wavefront6targetE1EEEvSJ_ ; -- Begin function _ZN7rocprim17ROCPRIM_400000_NS6detail17trampoline_kernelINS0_14default_configENS1_38merge_sort_block_merge_config_selectorIiiEEZZNS1_27merge_sort_block_merge_implIS3_N6thrust23THRUST_200600_302600_NS6detail15normal_iteratorINS8_10device_ptrIiEEEESD_jNS1_19radix_merge_compareILb1ELb0EiNS0_19identity_decomposerEEEEE10hipError_tT0_T1_T2_jT3_P12ihipStream_tbPNSt15iterator_traitsISI_E10value_typeEPNSO_ISJ_E10value_typeEPSK_NS1_7vsmem_tEENKUlT_SI_SJ_SK_E_clISD_PiSD_S10_EESH_SX_SI_SJ_SK_EUlSX_E_NS1_11comp_targetILNS1_3genE0ELNS1_11target_archE4294967295ELNS1_3gpuE0ELNS1_3repE0EEENS1_48merge_mergepath_partition_config_static_selectorELNS0_4arch9wavefront6targetE1EEEvSJ_
	.globl	_ZN7rocprim17ROCPRIM_400000_NS6detail17trampoline_kernelINS0_14default_configENS1_38merge_sort_block_merge_config_selectorIiiEEZZNS1_27merge_sort_block_merge_implIS3_N6thrust23THRUST_200600_302600_NS6detail15normal_iteratorINS8_10device_ptrIiEEEESD_jNS1_19radix_merge_compareILb1ELb0EiNS0_19identity_decomposerEEEEE10hipError_tT0_T1_T2_jT3_P12ihipStream_tbPNSt15iterator_traitsISI_E10value_typeEPNSO_ISJ_E10value_typeEPSK_NS1_7vsmem_tEENKUlT_SI_SJ_SK_E_clISD_PiSD_S10_EESH_SX_SI_SJ_SK_EUlSX_E_NS1_11comp_targetILNS1_3genE0ELNS1_11target_archE4294967295ELNS1_3gpuE0ELNS1_3repE0EEENS1_48merge_mergepath_partition_config_static_selectorELNS0_4arch9wavefront6targetE1EEEvSJ_
	.p2align	8
	.type	_ZN7rocprim17ROCPRIM_400000_NS6detail17trampoline_kernelINS0_14default_configENS1_38merge_sort_block_merge_config_selectorIiiEEZZNS1_27merge_sort_block_merge_implIS3_N6thrust23THRUST_200600_302600_NS6detail15normal_iteratorINS8_10device_ptrIiEEEESD_jNS1_19radix_merge_compareILb1ELb0EiNS0_19identity_decomposerEEEEE10hipError_tT0_T1_T2_jT3_P12ihipStream_tbPNSt15iterator_traitsISI_E10value_typeEPNSO_ISJ_E10value_typeEPSK_NS1_7vsmem_tEENKUlT_SI_SJ_SK_E_clISD_PiSD_S10_EESH_SX_SI_SJ_SK_EUlSX_E_NS1_11comp_targetILNS1_3genE0ELNS1_11target_archE4294967295ELNS1_3gpuE0ELNS1_3repE0EEENS1_48merge_mergepath_partition_config_static_selectorELNS0_4arch9wavefront6targetE1EEEvSJ_,@function
_ZN7rocprim17ROCPRIM_400000_NS6detail17trampoline_kernelINS0_14default_configENS1_38merge_sort_block_merge_config_selectorIiiEEZZNS1_27merge_sort_block_merge_implIS3_N6thrust23THRUST_200600_302600_NS6detail15normal_iteratorINS8_10device_ptrIiEEEESD_jNS1_19radix_merge_compareILb1ELb0EiNS0_19identity_decomposerEEEEE10hipError_tT0_T1_T2_jT3_P12ihipStream_tbPNSt15iterator_traitsISI_E10value_typeEPNSO_ISJ_E10value_typeEPSK_NS1_7vsmem_tEENKUlT_SI_SJ_SK_E_clISD_PiSD_S10_EESH_SX_SI_SJ_SK_EUlSX_E_NS1_11comp_targetILNS1_3genE0ELNS1_11target_archE4294967295ELNS1_3gpuE0ELNS1_3repE0EEENS1_48merge_mergepath_partition_config_static_selectorELNS0_4arch9wavefront6targetE1EEEvSJ_: ; @_ZN7rocprim17ROCPRIM_400000_NS6detail17trampoline_kernelINS0_14default_configENS1_38merge_sort_block_merge_config_selectorIiiEEZZNS1_27merge_sort_block_merge_implIS3_N6thrust23THRUST_200600_302600_NS6detail15normal_iteratorINS8_10device_ptrIiEEEESD_jNS1_19radix_merge_compareILb1ELb0EiNS0_19identity_decomposerEEEEE10hipError_tT0_T1_T2_jT3_P12ihipStream_tbPNSt15iterator_traitsISI_E10value_typeEPNSO_ISJ_E10value_typeEPSK_NS1_7vsmem_tEENKUlT_SI_SJ_SK_E_clISD_PiSD_S10_EESH_SX_SI_SJ_SK_EUlSX_E_NS1_11comp_targetILNS1_3genE0ELNS1_11target_archE4294967295ELNS1_3gpuE0ELNS1_3repE0EEENS1_48merge_mergepath_partition_config_static_selectorELNS0_4arch9wavefront6targetE1EEEvSJ_
; %bb.0:
	s_load_dword s3, s[0:1], 0x0
	v_lshl_or_b32 v0, s2, 7, v0
	s_waitcnt lgkmcnt(0)
	v_cmp_gt_u32_e32 vcc, s3, v0
	s_and_saveexec_b64 s[2:3], vcc
	s_cbranch_execz .LBB1747_6
; %bb.1:
	s_load_dwordx2 s[4:5], s[0:1], 0x4
	s_load_dwordx2 s[2:3], s[0:1], 0x20
	s_waitcnt lgkmcnt(0)
	s_lshr_b32 s6, s4, 9
	s_and_b32 s6, s6, 0x7ffffe
	s_add_i32 s7, s6, -1
	s_sub_i32 s6, 0, s6
	v_and_b32_e32 v1, s6, v0
	v_lshlrev_b32_e32 v1, 10, v1
	v_min_u32_e32 v2, s5, v1
	v_add_u32_e32 v1, s4, v1
	v_min_u32_e32 v4, s5, v1
	v_add_u32_e32 v1, s4, v4
	v_and_b32_e32 v3, s7, v0
	v_min_u32_e32 v1, s5, v1
	v_sub_u32_e32 v5, v1, v2
	v_lshlrev_b32_e32 v3, 10, v3
	v_min_u32_e32 v10, v5, v3
	v_sub_u32_e32 v3, v4, v2
	v_sub_u32_e32 v1, v1, v4
	v_sub_u32_e64 v1, v10, v1 clamp
	v_min_u32_e32 v11, v10, v3
	v_cmp_lt_u32_e32 vcc, v1, v11
	s_and_saveexec_b64 s[4:5], vcc
	s_cbranch_execz .LBB1747_5
; %bb.2:
	s_load_dwordx2 s[0:1], s[0:1], 0x10
	v_mov_b32_e32 v5, 0
	v_mov_b32_e32 v3, v5
	s_waitcnt lgkmcnt(0)
	v_lshl_add_u64 v[6:7], v[2:3], 2, s[0:1]
	v_lshl_add_u64 v[8:9], v[4:5], 2, s[0:1]
	s_mov_b64 s[0:1], 0
.LBB1747_3:                             ; =>This Inner Loop Header: Depth=1
	v_add_u32_e32 v3, v11, v1
	v_lshrrev_b32_e32 v4, 1, v3
	v_mov_b32_e32 v13, v5
	v_xad_u32 v12, v4, -1, v10
	v_lshl_add_u64 v[14:15], v[4:5], 2, v[6:7]
	v_lshl_add_u64 v[12:13], v[12:13], 2, v[8:9]
	flat_load_dword v3, v[14:15]
	flat_load_dword v16, v[12:13]
	v_add_u32_e32 v12, 1, v4
	s_waitcnt vmcnt(0) lgkmcnt(0)
	v_cmp_gt_i32_e32 vcc, v16, v3
	s_nop 1
	v_cndmask_b32_e32 v11, v11, v4, vcc
	v_cndmask_b32_e32 v1, v12, v1, vcc
	v_cmp_ge_u32_e32 vcc, v1, v11
	s_or_b64 s[0:1], vcc, s[0:1]
	s_andn2_b64 exec, exec, s[0:1]
	s_cbranch_execnz .LBB1747_3
; %bb.4:
	s_or_b64 exec, exec, s[0:1]
.LBB1747_5:
	s_or_b64 exec, exec, s[4:5]
	v_add_u32_e32 v2, v1, v2
	v_mov_b32_e32 v1, 0
	v_lshl_add_u64 v[0:1], v[0:1], 2, s[2:3]
	global_store_dword v[0:1], v2, off
.LBB1747_6:
	s_endpgm
	.section	.rodata,"a",@progbits
	.p2align	6, 0x0
	.amdhsa_kernel _ZN7rocprim17ROCPRIM_400000_NS6detail17trampoline_kernelINS0_14default_configENS1_38merge_sort_block_merge_config_selectorIiiEEZZNS1_27merge_sort_block_merge_implIS3_N6thrust23THRUST_200600_302600_NS6detail15normal_iteratorINS8_10device_ptrIiEEEESD_jNS1_19radix_merge_compareILb1ELb0EiNS0_19identity_decomposerEEEEE10hipError_tT0_T1_T2_jT3_P12ihipStream_tbPNSt15iterator_traitsISI_E10value_typeEPNSO_ISJ_E10value_typeEPSK_NS1_7vsmem_tEENKUlT_SI_SJ_SK_E_clISD_PiSD_S10_EESH_SX_SI_SJ_SK_EUlSX_E_NS1_11comp_targetILNS1_3genE0ELNS1_11target_archE4294967295ELNS1_3gpuE0ELNS1_3repE0EEENS1_48merge_mergepath_partition_config_static_selectorELNS0_4arch9wavefront6targetE1EEEvSJ_
		.amdhsa_group_segment_fixed_size 0
		.amdhsa_private_segment_fixed_size 0
		.amdhsa_kernarg_size 40
		.amdhsa_user_sgpr_count 2
		.amdhsa_user_sgpr_dispatch_ptr 0
		.amdhsa_user_sgpr_queue_ptr 0
		.amdhsa_user_sgpr_kernarg_segment_ptr 1
		.amdhsa_user_sgpr_dispatch_id 0
		.amdhsa_user_sgpr_kernarg_preload_length 0
		.amdhsa_user_sgpr_kernarg_preload_offset 0
		.amdhsa_user_sgpr_private_segment_size 0
		.amdhsa_uses_dynamic_stack 0
		.amdhsa_enable_private_segment 0
		.amdhsa_system_sgpr_workgroup_id_x 1
		.amdhsa_system_sgpr_workgroup_id_y 0
		.amdhsa_system_sgpr_workgroup_id_z 0
		.amdhsa_system_sgpr_workgroup_info 0
		.amdhsa_system_vgpr_workitem_id 0
		.amdhsa_next_free_vgpr 17
		.amdhsa_next_free_sgpr 8
		.amdhsa_accum_offset 20
		.amdhsa_reserve_vcc 1
		.amdhsa_float_round_mode_32 0
		.amdhsa_float_round_mode_16_64 0
		.amdhsa_float_denorm_mode_32 3
		.amdhsa_float_denorm_mode_16_64 3
		.amdhsa_dx10_clamp 1
		.amdhsa_ieee_mode 1
		.amdhsa_fp16_overflow 0
		.amdhsa_tg_split 0
		.amdhsa_exception_fp_ieee_invalid_op 0
		.amdhsa_exception_fp_denorm_src 0
		.amdhsa_exception_fp_ieee_div_zero 0
		.amdhsa_exception_fp_ieee_overflow 0
		.amdhsa_exception_fp_ieee_underflow 0
		.amdhsa_exception_fp_ieee_inexact 0
		.amdhsa_exception_int_div_zero 0
	.end_amdhsa_kernel
	.section	.text._ZN7rocprim17ROCPRIM_400000_NS6detail17trampoline_kernelINS0_14default_configENS1_38merge_sort_block_merge_config_selectorIiiEEZZNS1_27merge_sort_block_merge_implIS3_N6thrust23THRUST_200600_302600_NS6detail15normal_iteratorINS8_10device_ptrIiEEEESD_jNS1_19radix_merge_compareILb1ELb0EiNS0_19identity_decomposerEEEEE10hipError_tT0_T1_T2_jT3_P12ihipStream_tbPNSt15iterator_traitsISI_E10value_typeEPNSO_ISJ_E10value_typeEPSK_NS1_7vsmem_tEENKUlT_SI_SJ_SK_E_clISD_PiSD_S10_EESH_SX_SI_SJ_SK_EUlSX_E_NS1_11comp_targetILNS1_3genE0ELNS1_11target_archE4294967295ELNS1_3gpuE0ELNS1_3repE0EEENS1_48merge_mergepath_partition_config_static_selectorELNS0_4arch9wavefront6targetE1EEEvSJ_,"axG",@progbits,_ZN7rocprim17ROCPRIM_400000_NS6detail17trampoline_kernelINS0_14default_configENS1_38merge_sort_block_merge_config_selectorIiiEEZZNS1_27merge_sort_block_merge_implIS3_N6thrust23THRUST_200600_302600_NS6detail15normal_iteratorINS8_10device_ptrIiEEEESD_jNS1_19radix_merge_compareILb1ELb0EiNS0_19identity_decomposerEEEEE10hipError_tT0_T1_T2_jT3_P12ihipStream_tbPNSt15iterator_traitsISI_E10value_typeEPNSO_ISJ_E10value_typeEPSK_NS1_7vsmem_tEENKUlT_SI_SJ_SK_E_clISD_PiSD_S10_EESH_SX_SI_SJ_SK_EUlSX_E_NS1_11comp_targetILNS1_3genE0ELNS1_11target_archE4294967295ELNS1_3gpuE0ELNS1_3repE0EEENS1_48merge_mergepath_partition_config_static_selectorELNS0_4arch9wavefront6targetE1EEEvSJ_,comdat
.Lfunc_end1747:
	.size	_ZN7rocprim17ROCPRIM_400000_NS6detail17trampoline_kernelINS0_14default_configENS1_38merge_sort_block_merge_config_selectorIiiEEZZNS1_27merge_sort_block_merge_implIS3_N6thrust23THRUST_200600_302600_NS6detail15normal_iteratorINS8_10device_ptrIiEEEESD_jNS1_19radix_merge_compareILb1ELb0EiNS0_19identity_decomposerEEEEE10hipError_tT0_T1_T2_jT3_P12ihipStream_tbPNSt15iterator_traitsISI_E10value_typeEPNSO_ISJ_E10value_typeEPSK_NS1_7vsmem_tEENKUlT_SI_SJ_SK_E_clISD_PiSD_S10_EESH_SX_SI_SJ_SK_EUlSX_E_NS1_11comp_targetILNS1_3genE0ELNS1_11target_archE4294967295ELNS1_3gpuE0ELNS1_3repE0EEENS1_48merge_mergepath_partition_config_static_selectorELNS0_4arch9wavefront6targetE1EEEvSJ_, .Lfunc_end1747-_ZN7rocprim17ROCPRIM_400000_NS6detail17trampoline_kernelINS0_14default_configENS1_38merge_sort_block_merge_config_selectorIiiEEZZNS1_27merge_sort_block_merge_implIS3_N6thrust23THRUST_200600_302600_NS6detail15normal_iteratorINS8_10device_ptrIiEEEESD_jNS1_19radix_merge_compareILb1ELb0EiNS0_19identity_decomposerEEEEE10hipError_tT0_T1_T2_jT3_P12ihipStream_tbPNSt15iterator_traitsISI_E10value_typeEPNSO_ISJ_E10value_typeEPSK_NS1_7vsmem_tEENKUlT_SI_SJ_SK_E_clISD_PiSD_S10_EESH_SX_SI_SJ_SK_EUlSX_E_NS1_11comp_targetILNS1_3genE0ELNS1_11target_archE4294967295ELNS1_3gpuE0ELNS1_3repE0EEENS1_48merge_mergepath_partition_config_static_selectorELNS0_4arch9wavefront6targetE1EEEvSJ_
                                        ; -- End function
	.set _ZN7rocprim17ROCPRIM_400000_NS6detail17trampoline_kernelINS0_14default_configENS1_38merge_sort_block_merge_config_selectorIiiEEZZNS1_27merge_sort_block_merge_implIS3_N6thrust23THRUST_200600_302600_NS6detail15normal_iteratorINS8_10device_ptrIiEEEESD_jNS1_19radix_merge_compareILb1ELb0EiNS0_19identity_decomposerEEEEE10hipError_tT0_T1_T2_jT3_P12ihipStream_tbPNSt15iterator_traitsISI_E10value_typeEPNSO_ISJ_E10value_typeEPSK_NS1_7vsmem_tEENKUlT_SI_SJ_SK_E_clISD_PiSD_S10_EESH_SX_SI_SJ_SK_EUlSX_E_NS1_11comp_targetILNS1_3genE0ELNS1_11target_archE4294967295ELNS1_3gpuE0ELNS1_3repE0EEENS1_48merge_mergepath_partition_config_static_selectorELNS0_4arch9wavefront6targetE1EEEvSJ_.num_vgpr, 17
	.set _ZN7rocprim17ROCPRIM_400000_NS6detail17trampoline_kernelINS0_14default_configENS1_38merge_sort_block_merge_config_selectorIiiEEZZNS1_27merge_sort_block_merge_implIS3_N6thrust23THRUST_200600_302600_NS6detail15normal_iteratorINS8_10device_ptrIiEEEESD_jNS1_19radix_merge_compareILb1ELb0EiNS0_19identity_decomposerEEEEE10hipError_tT0_T1_T2_jT3_P12ihipStream_tbPNSt15iterator_traitsISI_E10value_typeEPNSO_ISJ_E10value_typeEPSK_NS1_7vsmem_tEENKUlT_SI_SJ_SK_E_clISD_PiSD_S10_EESH_SX_SI_SJ_SK_EUlSX_E_NS1_11comp_targetILNS1_3genE0ELNS1_11target_archE4294967295ELNS1_3gpuE0ELNS1_3repE0EEENS1_48merge_mergepath_partition_config_static_selectorELNS0_4arch9wavefront6targetE1EEEvSJ_.num_agpr, 0
	.set _ZN7rocprim17ROCPRIM_400000_NS6detail17trampoline_kernelINS0_14default_configENS1_38merge_sort_block_merge_config_selectorIiiEEZZNS1_27merge_sort_block_merge_implIS3_N6thrust23THRUST_200600_302600_NS6detail15normal_iteratorINS8_10device_ptrIiEEEESD_jNS1_19radix_merge_compareILb1ELb0EiNS0_19identity_decomposerEEEEE10hipError_tT0_T1_T2_jT3_P12ihipStream_tbPNSt15iterator_traitsISI_E10value_typeEPNSO_ISJ_E10value_typeEPSK_NS1_7vsmem_tEENKUlT_SI_SJ_SK_E_clISD_PiSD_S10_EESH_SX_SI_SJ_SK_EUlSX_E_NS1_11comp_targetILNS1_3genE0ELNS1_11target_archE4294967295ELNS1_3gpuE0ELNS1_3repE0EEENS1_48merge_mergepath_partition_config_static_selectorELNS0_4arch9wavefront6targetE1EEEvSJ_.numbered_sgpr, 8
	.set _ZN7rocprim17ROCPRIM_400000_NS6detail17trampoline_kernelINS0_14default_configENS1_38merge_sort_block_merge_config_selectorIiiEEZZNS1_27merge_sort_block_merge_implIS3_N6thrust23THRUST_200600_302600_NS6detail15normal_iteratorINS8_10device_ptrIiEEEESD_jNS1_19radix_merge_compareILb1ELb0EiNS0_19identity_decomposerEEEEE10hipError_tT0_T1_T2_jT3_P12ihipStream_tbPNSt15iterator_traitsISI_E10value_typeEPNSO_ISJ_E10value_typeEPSK_NS1_7vsmem_tEENKUlT_SI_SJ_SK_E_clISD_PiSD_S10_EESH_SX_SI_SJ_SK_EUlSX_E_NS1_11comp_targetILNS1_3genE0ELNS1_11target_archE4294967295ELNS1_3gpuE0ELNS1_3repE0EEENS1_48merge_mergepath_partition_config_static_selectorELNS0_4arch9wavefront6targetE1EEEvSJ_.num_named_barrier, 0
	.set _ZN7rocprim17ROCPRIM_400000_NS6detail17trampoline_kernelINS0_14default_configENS1_38merge_sort_block_merge_config_selectorIiiEEZZNS1_27merge_sort_block_merge_implIS3_N6thrust23THRUST_200600_302600_NS6detail15normal_iteratorINS8_10device_ptrIiEEEESD_jNS1_19radix_merge_compareILb1ELb0EiNS0_19identity_decomposerEEEEE10hipError_tT0_T1_T2_jT3_P12ihipStream_tbPNSt15iterator_traitsISI_E10value_typeEPNSO_ISJ_E10value_typeEPSK_NS1_7vsmem_tEENKUlT_SI_SJ_SK_E_clISD_PiSD_S10_EESH_SX_SI_SJ_SK_EUlSX_E_NS1_11comp_targetILNS1_3genE0ELNS1_11target_archE4294967295ELNS1_3gpuE0ELNS1_3repE0EEENS1_48merge_mergepath_partition_config_static_selectorELNS0_4arch9wavefront6targetE1EEEvSJ_.private_seg_size, 0
	.set _ZN7rocprim17ROCPRIM_400000_NS6detail17trampoline_kernelINS0_14default_configENS1_38merge_sort_block_merge_config_selectorIiiEEZZNS1_27merge_sort_block_merge_implIS3_N6thrust23THRUST_200600_302600_NS6detail15normal_iteratorINS8_10device_ptrIiEEEESD_jNS1_19radix_merge_compareILb1ELb0EiNS0_19identity_decomposerEEEEE10hipError_tT0_T1_T2_jT3_P12ihipStream_tbPNSt15iterator_traitsISI_E10value_typeEPNSO_ISJ_E10value_typeEPSK_NS1_7vsmem_tEENKUlT_SI_SJ_SK_E_clISD_PiSD_S10_EESH_SX_SI_SJ_SK_EUlSX_E_NS1_11comp_targetILNS1_3genE0ELNS1_11target_archE4294967295ELNS1_3gpuE0ELNS1_3repE0EEENS1_48merge_mergepath_partition_config_static_selectorELNS0_4arch9wavefront6targetE1EEEvSJ_.uses_vcc, 1
	.set _ZN7rocprim17ROCPRIM_400000_NS6detail17trampoline_kernelINS0_14default_configENS1_38merge_sort_block_merge_config_selectorIiiEEZZNS1_27merge_sort_block_merge_implIS3_N6thrust23THRUST_200600_302600_NS6detail15normal_iteratorINS8_10device_ptrIiEEEESD_jNS1_19radix_merge_compareILb1ELb0EiNS0_19identity_decomposerEEEEE10hipError_tT0_T1_T2_jT3_P12ihipStream_tbPNSt15iterator_traitsISI_E10value_typeEPNSO_ISJ_E10value_typeEPSK_NS1_7vsmem_tEENKUlT_SI_SJ_SK_E_clISD_PiSD_S10_EESH_SX_SI_SJ_SK_EUlSX_E_NS1_11comp_targetILNS1_3genE0ELNS1_11target_archE4294967295ELNS1_3gpuE0ELNS1_3repE0EEENS1_48merge_mergepath_partition_config_static_selectorELNS0_4arch9wavefront6targetE1EEEvSJ_.uses_flat_scratch, 0
	.set _ZN7rocprim17ROCPRIM_400000_NS6detail17trampoline_kernelINS0_14default_configENS1_38merge_sort_block_merge_config_selectorIiiEEZZNS1_27merge_sort_block_merge_implIS3_N6thrust23THRUST_200600_302600_NS6detail15normal_iteratorINS8_10device_ptrIiEEEESD_jNS1_19radix_merge_compareILb1ELb0EiNS0_19identity_decomposerEEEEE10hipError_tT0_T1_T2_jT3_P12ihipStream_tbPNSt15iterator_traitsISI_E10value_typeEPNSO_ISJ_E10value_typeEPSK_NS1_7vsmem_tEENKUlT_SI_SJ_SK_E_clISD_PiSD_S10_EESH_SX_SI_SJ_SK_EUlSX_E_NS1_11comp_targetILNS1_3genE0ELNS1_11target_archE4294967295ELNS1_3gpuE0ELNS1_3repE0EEENS1_48merge_mergepath_partition_config_static_selectorELNS0_4arch9wavefront6targetE1EEEvSJ_.has_dyn_sized_stack, 0
	.set _ZN7rocprim17ROCPRIM_400000_NS6detail17trampoline_kernelINS0_14default_configENS1_38merge_sort_block_merge_config_selectorIiiEEZZNS1_27merge_sort_block_merge_implIS3_N6thrust23THRUST_200600_302600_NS6detail15normal_iteratorINS8_10device_ptrIiEEEESD_jNS1_19radix_merge_compareILb1ELb0EiNS0_19identity_decomposerEEEEE10hipError_tT0_T1_T2_jT3_P12ihipStream_tbPNSt15iterator_traitsISI_E10value_typeEPNSO_ISJ_E10value_typeEPSK_NS1_7vsmem_tEENKUlT_SI_SJ_SK_E_clISD_PiSD_S10_EESH_SX_SI_SJ_SK_EUlSX_E_NS1_11comp_targetILNS1_3genE0ELNS1_11target_archE4294967295ELNS1_3gpuE0ELNS1_3repE0EEENS1_48merge_mergepath_partition_config_static_selectorELNS0_4arch9wavefront6targetE1EEEvSJ_.has_recursion, 0
	.set _ZN7rocprim17ROCPRIM_400000_NS6detail17trampoline_kernelINS0_14default_configENS1_38merge_sort_block_merge_config_selectorIiiEEZZNS1_27merge_sort_block_merge_implIS3_N6thrust23THRUST_200600_302600_NS6detail15normal_iteratorINS8_10device_ptrIiEEEESD_jNS1_19radix_merge_compareILb1ELb0EiNS0_19identity_decomposerEEEEE10hipError_tT0_T1_T2_jT3_P12ihipStream_tbPNSt15iterator_traitsISI_E10value_typeEPNSO_ISJ_E10value_typeEPSK_NS1_7vsmem_tEENKUlT_SI_SJ_SK_E_clISD_PiSD_S10_EESH_SX_SI_SJ_SK_EUlSX_E_NS1_11comp_targetILNS1_3genE0ELNS1_11target_archE4294967295ELNS1_3gpuE0ELNS1_3repE0EEENS1_48merge_mergepath_partition_config_static_selectorELNS0_4arch9wavefront6targetE1EEEvSJ_.has_indirect_call, 0
	.section	.AMDGPU.csdata,"",@progbits
; Kernel info:
; codeLenInByte = 316
; TotalNumSgprs: 14
; NumVgprs: 17
; NumAgprs: 0
; TotalNumVgprs: 17
; ScratchSize: 0
; MemoryBound: 0
; FloatMode: 240
; IeeeMode: 1
; LDSByteSize: 0 bytes/workgroup (compile time only)
; SGPRBlocks: 1
; VGPRBlocks: 2
; NumSGPRsForWavesPerEU: 14
; NumVGPRsForWavesPerEU: 17
; AccumOffset: 20
; Occupancy: 8
; WaveLimiterHint : 0
; COMPUTE_PGM_RSRC2:SCRATCH_EN: 0
; COMPUTE_PGM_RSRC2:USER_SGPR: 2
; COMPUTE_PGM_RSRC2:TRAP_HANDLER: 0
; COMPUTE_PGM_RSRC2:TGID_X_EN: 1
; COMPUTE_PGM_RSRC2:TGID_Y_EN: 0
; COMPUTE_PGM_RSRC2:TGID_Z_EN: 0
; COMPUTE_PGM_RSRC2:TIDIG_COMP_CNT: 0
; COMPUTE_PGM_RSRC3_GFX90A:ACCUM_OFFSET: 4
; COMPUTE_PGM_RSRC3_GFX90A:TG_SPLIT: 0
	.section	.text._ZN7rocprim17ROCPRIM_400000_NS6detail17trampoline_kernelINS0_14default_configENS1_38merge_sort_block_merge_config_selectorIiiEEZZNS1_27merge_sort_block_merge_implIS3_N6thrust23THRUST_200600_302600_NS6detail15normal_iteratorINS8_10device_ptrIiEEEESD_jNS1_19radix_merge_compareILb1ELb0EiNS0_19identity_decomposerEEEEE10hipError_tT0_T1_T2_jT3_P12ihipStream_tbPNSt15iterator_traitsISI_E10value_typeEPNSO_ISJ_E10value_typeEPSK_NS1_7vsmem_tEENKUlT_SI_SJ_SK_E_clISD_PiSD_S10_EESH_SX_SI_SJ_SK_EUlSX_E_NS1_11comp_targetILNS1_3genE10ELNS1_11target_archE1201ELNS1_3gpuE5ELNS1_3repE0EEENS1_48merge_mergepath_partition_config_static_selectorELNS0_4arch9wavefront6targetE1EEEvSJ_,"axG",@progbits,_ZN7rocprim17ROCPRIM_400000_NS6detail17trampoline_kernelINS0_14default_configENS1_38merge_sort_block_merge_config_selectorIiiEEZZNS1_27merge_sort_block_merge_implIS3_N6thrust23THRUST_200600_302600_NS6detail15normal_iteratorINS8_10device_ptrIiEEEESD_jNS1_19radix_merge_compareILb1ELb0EiNS0_19identity_decomposerEEEEE10hipError_tT0_T1_T2_jT3_P12ihipStream_tbPNSt15iterator_traitsISI_E10value_typeEPNSO_ISJ_E10value_typeEPSK_NS1_7vsmem_tEENKUlT_SI_SJ_SK_E_clISD_PiSD_S10_EESH_SX_SI_SJ_SK_EUlSX_E_NS1_11comp_targetILNS1_3genE10ELNS1_11target_archE1201ELNS1_3gpuE5ELNS1_3repE0EEENS1_48merge_mergepath_partition_config_static_selectorELNS0_4arch9wavefront6targetE1EEEvSJ_,comdat
	.protected	_ZN7rocprim17ROCPRIM_400000_NS6detail17trampoline_kernelINS0_14default_configENS1_38merge_sort_block_merge_config_selectorIiiEEZZNS1_27merge_sort_block_merge_implIS3_N6thrust23THRUST_200600_302600_NS6detail15normal_iteratorINS8_10device_ptrIiEEEESD_jNS1_19radix_merge_compareILb1ELb0EiNS0_19identity_decomposerEEEEE10hipError_tT0_T1_T2_jT3_P12ihipStream_tbPNSt15iterator_traitsISI_E10value_typeEPNSO_ISJ_E10value_typeEPSK_NS1_7vsmem_tEENKUlT_SI_SJ_SK_E_clISD_PiSD_S10_EESH_SX_SI_SJ_SK_EUlSX_E_NS1_11comp_targetILNS1_3genE10ELNS1_11target_archE1201ELNS1_3gpuE5ELNS1_3repE0EEENS1_48merge_mergepath_partition_config_static_selectorELNS0_4arch9wavefront6targetE1EEEvSJ_ ; -- Begin function _ZN7rocprim17ROCPRIM_400000_NS6detail17trampoline_kernelINS0_14default_configENS1_38merge_sort_block_merge_config_selectorIiiEEZZNS1_27merge_sort_block_merge_implIS3_N6thrust23THRUST_200600_302600_NS6detail15normal_iteratorINS8_10device_ptrIiEEEESD_jNS1_19radix_merge_compareILb1ELb0EiNS0_19identity_decomposerEEEEE10hipError_tT0_T1_T2_jT3_P12ihipStream_tbPNSt15iterator_traitsISI_E10value_typeEPNSO_ISJ_E10value_typeEPSK_NS1_7vsmem_tEENKUlT_SI_SJ_SK_E_clISD_PiSD_S10_EESH_SX_SI_SJ_SK_EUlSX_E_NS1_11comp_targetILNS1_3genE10ELNS1_11target_archE1201ELNS1_3gpuE5ELNS1_3repE0EEENS1_48merge_mergepath_partition_config_static_selectorELNS0_4arch9wavefront6targetE1EEEvSJ_
	.globl	_ZN7rocprim17ROCPRIM_400000_NS6detail17trampoline_kernelINS0_14default_configENS1_38merge_sort_block_merge_config_selectorIiiEEZZNS1_27merge_sort_block_merge_implIS3_N6thrust23THRUST_200600_302600_NS6detail15normal_iteratorINS8_10device_ptrIiEEEESD_jNS1_19radix_merge_compareILb1ELb0EiNS0_19identity_decomposerEEEEE10hipError_tT0_T1_T2_jT3_P12ihipStream_tbPNSt15iterator_traitsISI_E10value_typeEPNSO_ISJ_E10value_typeEPSK_NS1_7vsmem_tEENKUlT_SI_SJ_SK_E_clISD_PiSD_S10_EESH_SX_SI_SJ_SK_EUlSX_E_NS1_11comp_targetILNS1_3genE10ELNS1_11target_archE1201ELNS1_3gpuE5ELNS1_3repE0EEENS1_48merge_mergepath_partition_config_static_selectorELNS0_4arch9wavefront6targetE1EEEvSJ_
	.p2align	8
	.type	_ZN7rocprim17ROCPRIM_400000_NS6detail17trampoline_kernelINS0_14default_configENS1_38merge_sort_block_merge_config_selectorIiiEEZZNS1_27merge_sort_block_merge_implIS3_N6thrust23THRUST_200600_302600_NS6detail15normal_iteratorINS8_10device_ptrIiEEEESD_jNS1_19radix_merge_compareILb1ELb0EiNS0_19identity_decomposerEEEEE10hipError_tT0_T1_T2_jT3_P12ihipStream_tbPNSt15iterator_traitsISI_E10value_typeEPNSO_ISJ_E10value_typeEPSK_NS1_7vsmem_tEENKUlT_SI_SJ_SK_E_clISD_PiSD_S10_EESH_SX_SI_SJ_SK_EUlSX_E_NS1_11comp_targetILNS1_3genE10ELNS1_11target_archE1201ELNS1_3gpuE5ELNS1_3repE0EEENS1_48merge_mergepath_partition_config_static_selectorELNS0_4arch9wavefront6targetE1EEEvSJ_,@function
_ZN7rocprim17ROCPRIM_400000_NS6detail17trampoline_kernelINS0_14default_configENS1_38merge_sort_block_merge_config_selectorIiiEEZZNS1_27merge_sort_block_merge_implIS3_N6thrust23THRUST_200600_302600_NS6detail15normal_iteratorINS8_10device_ptrIiEEEESD_jNS1_19radix_merge_compareILb1ELb0EiNS0_19identity_decomposerEEEEE10hipError_tT0_T1_T2_jT3_P12ihipStream_tbPNSt15iterator_traitsISI_E10value_typeEPNSO_ISJ_E10value_typeEPSK_NS1_7vsmem_tEENKUlT_SI_SJ_SK_E_clISD_PiSD_S10_EESH_SX_SI_SJ_SK_EUlSX_E_NS1_11comp_targetILNS1_3genE10ELNS1_11target_archE1201ELNS1_3gpuE5ELNS1_3repE0EEENS1_48merge_mergepath_partition_config_static_selectorELNS0_4arch9wavefront6targetE1EEEvSJ_: ; @_ZN7rocprim17ROCPRIM_400000_NS6detail17trampoline_kernelINS0_14default_configENS1_38merge_sort_block_merge_config_selectorIiiEEZZNS1_27merge_sort_block_merge_implIS3_N6thrust23THRUST_200600_302600_NS6detail15normal_iteratorINS8_10device_ptrIiEEEESD_jNS1_19radix_merge_compareILb1ELb0EiNS0_19identity_decomposerEEEEE10hipError_tT0_T1_T2_jT3_P12ihipStream_tbPNSt15iterator_traitsISI_E10value_typeEPNSO_ISJ_E10value_typeEPSK_NS1_7vsmem_tEENKUlT_SI_SJ_SK_E_clISD_PiSD_S10_EESH_SX_SI_SJ_SK_EUlSX_E_NS1_11comp_targetILNS1_3genE10ELNS1_11target_archE1201ELNS1_3gpuE5ELNS1_3repE0EEENS1_48merge_mergepath_partition_config_static_selectorELNS0_4arch9wavefront6targetE1EEEvSJ_
; %bb.0:
	.section	.rodata,"a",@progbits
	.p2align	6, 0x0
	.amdhsa_kernel _ZN7rocprim17ROCPRIM_400000_NS6detail17trampoline_kernelINS0_14default_configENS1_38merge_sort_block_merge_config_selectorIiiEEZZNS1_27merge_sort_block_merge_implIS3_N6thrust23THRUST_200600_302600_NS6detail15normal_iteratorINS8_10device_ptrIiEEEESD_jNS1_19radix_merge_compareILb1ELb0EiNS0_19identity_decomposerEEEEE10hipError_tT0_T1_T2_jT3_P12ihipStream_tbPNSt15iterator_traitsISI_E10value_typeEPNSO_ISJ_E10value_typeEPSK_NS1_7vsmem_tEENKUlT_SI_SJ_SK_E_clISD_PiSD_S10_EESH_SX_SI_SJ_SK_EUlSX_E_NS1_11comp_targetILNS1_3genE10ELNS1_11target_archE1201ELNS1_3gpuE5ELNS1_3repE0EEENS1_48merge_mergepath_partition_config_static_selectorELNS0_4arch9wavefront6targetE1EEEvSJ_
		.amdhsa_group_segment_fixed_size 0
		.amdhsa_private_segment_fixed_size 0
		.amdhsa_kernarg_size 40
		.amdhsa_user_sgpr_count 2
		.amdhsa_user_sgpr_dispatch_ptr 0
		.amdhsa_user_sgpr_queue_ptr 0
		.amdhsa_user_sgpr_kernarg_segment_ptr 1
		.amdhsa_user_sgpr_dispatch_id 0
		.amdhsa_user_sgpr_kernarg_preload_length 0
		.amdhsa_user_sgpr_kernarg_preload_offset 0
		.amdhsa_user_sgpr_private_segment_size 0
		.amdhsa_uses_dynamic_stack 0
		.amdhsa_enable_private_segment 0
		.amdhsa_system_sgpr_workgroup_id_x 1
		.amdhsa_system_sgpr_workgroup_id_y 0
		.amdhsa_system_sgpr_workgroup_id_z 0
		.amdhsa_system_sgpr_workgroup_info 0
		.amdhsa_system_vgpr_workitem_id 0
		.amdhsa_next_free_vgpr 1
		.amdhsa_next_free_sgpr 0
		.amdhsa_accum_offset 4
		.amdhsa_reserve_vcc 0
		.amdhsa_float_round_mode_32 0
		.amdhsa_float_round_mode_16_64 0
		.amdhsa_float_denorm_mode_32 3
		.amdhsa_float_denorm_mode_16_64 3
		.amdhsa_dx10_clamp 1
		.amdhsa_ieee_mode 1
		.amdhsa_fp16_overflow 0
		.amdhsa_tg_split 0
		.amdhsa_exception_fp_ieee_invalid_op 0
		.amdhsa_exception_fp_denorm_src 0
		.amdhsa_exception_fp_ieee_div_zero 0
		.amdhsa_exception_fp_ieee_overflow 0
		.amdhsa_exception_fp_ieee_underflow 0
		.amdhsa_exception_fp_ieee_inexact 0
		.amdhsa_exception_int_div_zero 0
	.end_amdhsa_kernel
	.section	.text._ZN7rocprim17ROCPRIM_400000_NS6detail17trampoline_kernelINS0_14default_configENS1_38merge_sort_block_merge_config_selectorIiiEEZZNS1_27merge_sort_block_merge_implIS3_N6thrust23THRUST_200600_302600_NS6detail15normal_iteratorINS8_10device_ptrIiEEEESD_jNS1_19radix_merge_compareILb1ELb0EiNS0_19identity_decomposerEEEEE10hipError_tT0_T1_T2_jT3_P12ihipStream_tbPNSt15iterator_traitsISI_E10value_typeEPNSO_ISJ_E10value_typeEPSK_NS1_7vsmem_tEENKUlT_SI_SJ_SK_E_clISD_PiSD_S10_EESH_SX_SI_SJ_SK_EUlSX_E_NS1_11comp_targetILNS1_3genE10ELNS1_11target_archE1201ELNS1_3gpuE5ELNS1_3repE0EEENS1_48merge_mergepath_partition_config_static_selectorELNS0_4arch9wavefront6targetE1EEEvSJ_,"axG",@progbits,_ZN7rocprim17ROCPRIM_400000_NS6detail17trampoline_kernelINS0_14default_configENS1_38merge_sort_block_merge_config_selectorIiiEEZZNS1_27merge_sort_block_merge_implIS3_N6thrust23THRUST_200600_302600_NS6detail15normal_iteratorINS8_10device_ptrIiEEEESD_jNS1_19radix_merge_compareILb1ELb0EiNS0_19identity_decomposerEEEEE10hipError_tT0_T1_T2_jT3_P12ihipStream_tbPNSt15iterator_traitsISI_E10value_typeEPNSO_ISJ_E10value_typeEPSK_NS1_7vsmem_tEENKUlT_SI_SJ_SK_E_clISD_PiSD_S10_EESH_SX_SI_SJ_SK_EUlSX_E_NS1_11comp_targetILNS1_3genE10ELNS1_11target_archE1201ELNS1_3gpuE5ELNS1_3repE0EEENS1_48merge_mergepath_partition_config_static_selectorELNS0_4arch9wavefront6targetE1EEEvSJ_,comdat
.Lfunc_end1748:
	.size	_ZN7rocprim17ROCPRIM_400000_NS6detail17trampoline_kernelINS0_14default_configENS1_38merge_sort_block_merge_config_selectorIiiEEZZNS1_27merge_sort_block_merge_implIS3_N6thrust23THRUST_200600_302600_NS6detail15normal_iteratorINS8_10device_ptrIiEEEESD_jNS1_19radix_merge_compareILb1ELb0EiNS0_19identity_decomposerEEEEE10hipError_tT0_T1_T2_jT3_P12ihipStream_tbPNSt15iterator_traitsISI_E10value_typeEPNSO_ISJ_E10value_typeEPSK_NS1_7vsmem_tEENKUlT_SI_SJ_SK_E_clISD_PiSD_S10_EESH_SX_SI_SJ_SK_EUlSX_E_NS1_11comp_targetILNS1_3genE10ELNS1_11target_archE1201ELNS1_3gpuE5ELNS1_3repE0EEENS1_48merge_mergepath_partition_config_static_selectorELNS0_4arch9wavefront6targetE1EEEvSJ_, .Lfunc_end1748-_ZN7rocprim17ROCPRIM_400000_NS6detail17trampoline_kernelINS0_14default_configENS1_38merge_sort_block_merge_config_selectorIiiEEZZNS1_27merge_sort_block_merge_implIS3_N6thrust23THRUST_200600_302600_NS6detail15normal_iteratorINS8_10device_ptrIiEEEESD_jNS1_19radix_merge_compareILb1ELb0EiNS0_19identity_decomposerEEEEE10hipError_tT0_T1_T2_jT3_P12ihipStream_tbPNSt15iterator_traitsISI_E10value_typeEPNSO_ISJ_E10value_typeEPSK_NS1_7vsmem_tEENKUlT_SI_SJ_SK_E_clISD_PiSD_S10_EESH_SX_SI_SJ_SK_EUlSX_E_NS1_11comp_targetILNS1_3genE10ELNS1_11target_archE1201ELNS1_3gpuE5ELNS1_3repE0EEENS1_48merge_mergepath_partition_config_static_selectorELNS0_4arch9wavefront6targetE1EEEvSJ_
                                        ; -- End function
	.set _ZN7rocprim17ROCPRIM_400000_NS6detail17trampoline_kernelINS0_14default_configENS1_38merge_sort_block_merge_config_selectorIiiEEZZNS1_27merge_sort_block_merge_implIS3_N6thrust23THRUST_200600_302600_NS6detail15normal_iteratorINS8_10device_ptrIiEEEESD_jNS1_19radix_merge_compareILb1ELb0EiNS0_19identity_decomposerEEEEE10hipError_tT0_T1_T2_jT3_P12ihipStream_tbPNSt15iterator_traitsISI_E10value_typeEPNSO_ISJ_E10value_typeEPSK_NS1_7vsmem_tEENKUlT_SI_SJ_SK_E_clISD_PiSD_S10_EESH_SX_SI_SJ_SK_EUlSX_E_NS1_11comp_targetILNS1_3genE10ELNS1_11target_archE1201ELNS1_3gpuE5ELNS1_3repE0EEENS1_48merge_mergepath_partition_config_static_selectorELNS0_4arch9wavefront6targetE1EEEvSJ_.num_vgpr, 0
	.set _ZN7rocprim17ROCPRIM_400000_NS6detail17trampoline_kernelINS0_14default_configENS1_38merge_sort_block_merge_config_selectorIiiEEZZNS1_27merge_sort_block_merge_implIS3_N6thrust23THRUST_200600_302600_NS6detail15normal_iteratorINS8_10device_ptrIiEEEESD_jNS1_19radix_merge_compareILb1ELb0EiNS0_19identity_decomposerEEEEE10hipError_tT0_T1_T2_jT3_P12ihipStream_tbPNSt15iterator_traitsISI_E10value_typeEPNSO_ISJ_E10value_typeEPSK_NS1_7vsmem_tEENKUlT_SI_SJ_SK_E_clISD_PiSD_S10_EESH_SX_SI_SJ_SK_EUlSX_E_NS1_11comp_targetILNS1_3genE10ELNS1_11target_archE1201ELNS1_3gpuE5ELNS1_3repE0EEENS1_48merge_mergepath_partition_config_static_selectorELNS0_4arch9wavefront6targetE1EEEvSJ_.num_agpr, 0
	.set _ZN7rocprim17ROCPRIM_400000_NS6detail17trampoline_kernelINS0_14default_configENS1_38merge_sort_block_merge_config_selectorIiiEEZZNS1_27merge_sort_block_merge_implIS3_N6thrust23THRUST_200600_302600_NS6detail15normal_iteratorINS8_10device_ptrIiEEEESD_jNS1_19radix_merge_compareILb1ELb0EiNS0_19identity_decomposerEEEEE10hipError_tT0_T1_T2_jT3_P12ihipStream_tbPNSt15iterator_traitsISI_E10value_typeEPNSO_ISJ_E10value_typeEPSK_NS1_7vsmem_tEENKUlT_SI_SJ_SK_E_clISD_PiSD_S10_EESH_SX_SI_SJ_SK_EUlSX_E_NS1_11comp_targetILNS1_3genE10ELNS1_11target_archE1201ELNS1_3gpuE5ELNS1_3repE0EEENS1_48merge_mergepath_partition_config_static_selectorELNS0_4arch9wavefront6targetE1EEEvSJ_.numbered_sgpr, 0
	.set _ZN7rocprim17ROCPRIM_400000_NS6detail17trampoline_kernelINS0_14default_configENS1_38merge_sort_block_merge_config_selectorIiiEEZZNS1_27merge_sort_block_merge_implIS3_N6thrust23THRUST_200600_302600_NS6detail15normal_iteratorINS8_10device_ptrIiEEEESD_jNS1_19radix_merge_compareILb1ELb0EiNS0_19identity_decomposerEEEEE10hipError_tT0_T1_T2_jT3_P12ihipStream_tbPNSt15iterator_traitsISI_E10value_typeEPNSO_ISJ_E10value_typeEPSK_NS1_7vsmem_tEENKUlT_SI_SJ_SK_E_clISD_PiSD_S10_EESH_SX_SI_SJ_SK_EUlSX_E_NS1_11comp_targetILNS1_3genE10ELNS1_11target_archE1201ELNS1_3gpuE5ELNS1_3repE0EEENS1_48merge_mergepath_partition_config_static_selectorELNS0_4arch9wavefront6targetE1EEEvSJ_.num_named_barrier, 0
	.set _ZN7rocprim17ROCPRIM_400000_NS6detail17trampoline_kernelINS0_14default_configENS1_38merge_sort_block_merge_config_selectorIiiEEZZNS1_27merge_sort_block_merge_implIS3_N6thrust23THRUST_200600_302600_NS6detail15normal_iteratorINS8_10device_ptrIiEEEESD_jNS1_19radix_merge_compareILb1ELb0EiNS0_19identity_decomposerEEEEE10hipError_tT0_T1_T2_jT3_P12ihipStream_tbPNSt15iterator_traitsISI_E10value_typeEPNSO_ISJ_E10value_typeEPSK_NS1_7vsmem_tEENKUlT_SI_SJ_SK_E_clISD_PiSD_S10_EESH_SX_SI_SJ_SK_EUlSX_E_NS1_11comp_targetILNS1_3genE10ELNS1_11target_archE1201ELNS1_3gpuE5ELNS1_3repE0EEENS1_48merge_mergepath_partition_config_static_selectorELNS0_4arch9wavefront6targetE1EEEvSJ_.private_seg_size, 0
	.set _ZN7rocprim17ROCPRIM_400000_NS6detail17trampoline_kernelINS0_14default_configENS1_38merge_sort_block_merge_config_selectorIiiEEZZNS1_27merge_sort_block_merge_implIS3_N6thrust23THRUST_200600_302600_NS6detail15normal_iteratorINS8_10device_ptrIiEEEESD_jNS1_19radix_merge_compareILb1ELb0EiNS0_19identity_decomposerEEEEE10hipError_tT0_T1_T2_jT3_P12ihipStream_tbPNSt15iterator_traitsISI_E10value_typeEPNSO_ISJ_E10value_typeEPSK_NS1_7vsmem_tEENKUlT_SI_SJ_SK_E_clISD_PiSD_S10_EESH_SX_SI_SJ_SK_EUlSX_E_NS1_11comp_targetILNS1_3genE10ELNS1_11target_archE1201ELNS1_3gpuE5ELNS1_3repE0EEENS1_48merge_mergepath_partition_config_static_selectorELNS0_4arch9wavefront6targetE1EEEvSJ_.uses_vcc, 0
	.set _ZN7rocprim17ROCPRIM_400000_NS6detail17trampoline_kernelINS0_14default_configENS1_38merge_sort_block_merge_config_selectorIiiEEZZNS1_27merge_sort_block_merge_implIS3_N6thrust23THRUST_200600_302600_NS6detail15normal_iteratorINS8_10device_ptrIiEEEESD_jNS1_19radix_merge_compareILb1ELb0EiNS0_19identity_decomposerEEEEE10hipError_tT0_T1_T2_jT3_P12ihipStream_tbPNSt15iterator_traitsISI_E10value_typeEPNSO_ISJ_E10value_typeEPSK_NS1_7vsmem_tEENKUlT_SI_SJ_SK_E_clISD_PiSD_S10_EESH_SX_SI_SJ_SK_EUlSX_E_NS1_11comp_targetILNS1_3genE10ELNS1_11target_archE1201ELNS1_3gpuE5ELNS1_3repE0EEENS1_48merge_mergepath_partition_config_static_selectorELNS0_4arch9wavefront6targetE1EEEvSJ_.uses_flat_scratch, 0
	.set _ZN7rocprim17ROCPRIM_400000_NS6detail17trampoline_kernelINS0_14default_configENS1_38merge_sort_block_merge_config_selectorIiiEEZZNS1_27merge_sort_block_merge_implIS3_N6thrust23THRUST_200600_302600_NS6detail15normal_iteratorINS8_10device_ptrIiEEEESD_jNS1_19radix_merge_compareILb1ELb0EiNS0_19identity_decomposerEEEEE10hipError_tT0_T1_T2_jT3_P12ihipStream_tbPNSt15iterator_traitsISI_E10value_typeEPNSO_ISJ_E10value_typeEPSK_NS1_7vsmem_tEENKUlT_SI_SJ_SK_E_clISD_PiSD_S10_EESH_SX_SI_SJ_SK_EUlSX_E_NS1_11comp_targetILNS1_3genE10ELNS1_11target_archE1201ELNS1_3gpuE5ELNS1_3repE0EEENS1_48merge_mergepath_partition_config_static_selectorELNS0_4arch9wavefront6targetE1EEEvSJ_.has_dyn_sized_stack, 0
	.set _ZN7rocprim17ROCPRIM_400000_NS6detail17trampoline_kernelINS0_14default_configENS1_38merge_sort_block_merge_config_selectorIiiEEZZNS1_27merge_sort_block_merge_implIS3_N6thrust23THRUST_200600_302600_NS6detail15normal_iteratorINS8_10device_ptrIiEEEESD_jNS1_19radix_merge_compareILb1ELb0EiNS0_19identity_decomposerEEEEE10hipError_tT0_T1_T2_jT3_P12ihipStream_tbPNSt15iterator_traitsISI_E10value_typeEPNSO_ISJ_E10value_typeEPSK_NS1_7vsmem_tEENKUlT_SI_SJ_SK_E_clISD_PiSD_S10_EESH_SX_SI_SJ_SK_EUlSX_E_NS1_11comp_targetILNS1_3genE10ELNS1_11target_archE1201ELNS1_3gpuE5ELNS1_3repE0EEENS1_48merge_mergepath_partition_config_static_selectorELNS0_4arch9wavefront6targetE1EEEvSJ_.has_recursion, 0
	.set _ZN7rocprim17ROCPRIM_400000_NS6detail17trampoline_kernelINS0_14default_configENS1_38merge_sort_block_merge_config_selectorIiiEEZZNS1_27merge_sort_block_merge_implIS3_N6thrust23THRUST_200600_302600_NS6detail15normal_iteratorINS8_10device_ptrIiEEEESD_jNS1_19radix_merge_compareILb1ELb0EiNS0_19identity_decomposerEEEEE10hipError_tT0_T1_T2_jT3_P12ihipStream_tbPNSt15iterator_traitsISI_E10value_typeEPNSO_ISJ_E10value_typeEPSK_NS1_7vsmem_tEENKUlT_SI_SJ_SK_E_clISD_PiSD_S10_EESH_SX_SI_SJ_SK_EUlSX_E_NS1_11comp_targetILNS1_3genE10ELNS1_11target_archE1201ELNS1_3gpuE5ELNS1_3repE0EEENS1_48merge_mergepath_partition_config_static_selectorELNS0_4arch9wavefront6targetE1EEEvSJ_.has_indirect_call, 0
	.section	.AMDGPU.csdata,"",@progbits
; Kernel info:
; codeLenInByte = 0
; TotalNumSgprs: 6
; NumVgprs: 0
; NumAgprs: 0
; TotalNumVgprs: 0
; ScratchSize: 0
; MemoryBound: 0
; FloatMode: 240
; IeeeMode: 1
; LDSByteSize: 0 bytes/workgroup (compile time only)
; SGPRBlocks: 0
; VGPRBlocks: 0
; NumSGPRsForWavesPerEU: 6
; NumVGPRsForWavesPerEU: 1
; AccumOffset: 4
; Occupancy: 8
; WaveLimiterHint : 0
; COMPUTE_PGM_RSRC2:SCRATCH_EN: 0
; COMPUTE_PGM_RSRC2:USER_SGPR: 2
; COMPUTE_PGM_RSRC2:TRAP_HANDLER: 0
; COMPUTE_PGM_RSRC2:TGID_X_EN: 1
; COMPUTE_PGM_RSRC2:TGID_Y_EN: 0
; COMPUTE_PGM_RSRC2:TGID_Z_EN: 0
; COMPUTE_PGM_RSRC2:TIDIG_COMP_CNT: 0
; COMPUTE_PGM_RSRC3_GFX90A:ACCUM_OFFSET: 0
; COMPUTE_PGM_RSRC3_GFX90A:TG_SPLIT: 0
	.section	.text._ZN7rocprim17ROCPRIM_400000_NS6detail17trampoline_kernelINS0_14default_configENS1_38merge_sort_block_merge_config_selectorIiiEEZZNS1_27merge_sort_block_merge_implIS3_N6thrust23THRUST_200600_302600_NS6detail15normal_iteratorINS8_10device_ptrIiEEEESD_jNS1_19radix_merge_compareILb1ELb0EiNS0_19identity_decomposerEEEEE10hipError_tT0_T1_T2_jT3_P12ihipStream_tbPNSt15iterator_traitsISI_E10value_typeEPNSO_ISJ_E10value_typeEPSK_NS1_7vsmem_tEENKUlT_SI_SJ_SK_E_clISD_PiSD_S10_EESH_SX_SI_SJ_SK_EUlSX_E_NS1_11comp_targetILNS1_3genE5ELNS1_11target_archE942ELNS1_3gpuE9ELNS1_3repE0EEENS1_48merge_mergepath_partition_config_static_selectorELNS0_4arch9wavefront6targetE1EEEvSJ_,"axG",@progbits,_ZN7rocprim17ROCPRIM_400000_NS6detail17trampoline_kernelINS0_14default_configENS1_38merge_sort_block_merge_config_selectorIiiEEZZNS1_27merge_sort_block_merge_implIS3_N6thrust23THRUST_200600_302600_NS6detail15normal_iteratorINS8_10device_ptrIiEEEESD_jNS1_19radix_merge_compareILb1ELb0EiNS0_19identity_decomposerEEEEE10hipError_tT0_T1_T2_jT3_P12ihipStream_tbPNSt15iterator_traitsISI_E10value_typeEPNSO_ISJ_E10value_typeEPSK_NS1_7vsmem_tEENKUlT_SI_SJ_SK_E_clISD_PiSD_S10_EESH_SX_SI_SJ_SK_EUlSX_E_NS1_11comp_targetILNS1_3genE5ELNS1_11target_archE942ELNS1_3gpuE9ELNS1_3repE0EEENS1_48merge_mergepath_partition_config_static_selectorELNS0_4arch9wavefront6targetE1EEEvSJ_,comdat
	.protected	_ZN7rocprim17ROCPRIM_400000_NS6detail17trampoline_kernelINS0_14default_configENS1_38merge_sort_block_merge_config_selectorIiiEEZZNS1_27merge_sort_block_merge_implIS3_N6thrust23THRUST_200600_302600_NS6detail15normal_iteratorINS8_10device_ptrIiEEEESD_jNS1_19radix_merge_compareILb1ELb0EiNS0_19identity_decomposerEEEEE10hipError_tT0_T1_T2_jT3_P12ihipStream_tbPNSt15iterator_traitsISI_E10value_typeEPNSO_ISJ_E10value_typeEPSK_NS1_7vsmem_tEENKUlT_SI_SJ_SK_E_clISD_PiSD_S10_EESH_SX_SI_SJ_SK_EUlSX_E_NS1_11comp_targetILNS1_3genE5ELNS1_11target_archE942ELNS1_3gpuE9ELNS1_3repE0EEENS1_48merge_mergepath_partition_config_static_selectorELNS0_4arch9wavefront6targetE1EEEvSJ_ ; -- Begin function _ZN7rocprim17ROCPRIM_400000_NS6detail17trampoline_kernelINS0_14default_configENS1_38merge_sort_block_merge_config_selectorIiiEEZZNS1_27merge_sort_block_merge_implIS3_N6thrust23THRUST_200600_302600_NS6detail15normal_iteratorINS8_10device_ptrIiEEEESD_jNS1_19radix_merge_compareILb1ELb0EiNS0_19identity_decomposerEEEEE10hipError_tT0_T1_T2_jT3_P12ihipStream_tbPNSt15iterator_traitsISI_E10value_typeEPNSO_ISJ_E10value_typeEPSK_NS1_7vsmem_tEENKUlT_SI_SJ_SK_E_clISD_PiSD_S10_EESH_SX_SI_SJ_SK_EUlSX_E_NS1_11comp_targetILNS1_3genE5ELNS1_11target_archE942ELNS1_3gpuE9ELNS1_3repE0EEENS1_48merge_mergepath_partition_config_static_selectorELNS0_4arch9wavefront6targetE1EEEvSJ_
	.globl	_ZN7rocprim17ROCPRIM_400000_NS6detail17trampoline_kernelINS0_14default_configENS1_38merge_sort_block_merge_config_selectorIiiEEZZNS1_27merge_sort_block_merge_implIS3_N6thrust23THRUST_200600_302600_NS6detail15normal_iteratorINS8_10device_ptrIiEEEESD_jNS1_19radix_merge_compareILb1ELb0EiNS0_19identity_decomposerEEEEE10hipError_tT0_T1_T2_jT3_P12ihipStream_tbPNSt15iterator_traitsISI_E10value_typeEPNSO_ISJ_E10value_typeEPSK_NS1_7vsmem_tEENKUlT_SI_SJ_SK_E_clISD_PiSD_S10_EESH_SX_SI_SJ_SK_EUlSX_E_NS1_11comp_targetILNS1_3genE5ELNS1_11target_archE942ELNS1_3gpuE9ELNS1_3repE0EEENS1_48merge_mergepath_partition_config_static_selectorELNS0_4arch9wavefront6targetE1EEEvSJ_
	.p2align	8
	.type	_ZN7rocprim17ROCPRIM_400000_NS6detail17trampoline_kernelINS0_14default_configENS1_38merge_sort_block_merge_config_selectorIiiEEZZNS1_27merge_sort_block_merge_implIS3_N6thrust23THRUST_200600_302600_NS6detail15normal_iteratorINS8_10device_ptrIiEEEESD_jNS1_19radix_merge_compareILb1ELb0EiNS0_19identity_decomposerEEEEE10hipError_tT0_T1_T2_jT3_P12ihipStream_tbPNSt15iterator_traitsISI_E10value_typeEPNSO_ISJ_E10value_typeEPSK_NS1_7vsmem_tEENKUlT_SI_SJ_SK_E_clISD_PiSD_S10_EESH_SX_SI_SJ_SK_EUlSX_E_NS1_11comp_targetILNS1_3genE5ELNS1_11target_archE942ELNS1_3gpuE9ELNS1_3repE0EEENS1_48merge_mergepath_partition_config_static_selectorELNS0_4arch9wavefront6targetE1EEEvSJ_,@function
_ZN7rocprim17ROCPRIM_400000_NS6detail17trampoline_kernelINS0_14default_configENS1_38merge_sort_block_merge_config_selectorIiiEEZZNS1_27merge_sort_block_merge_implIS3_N6thrust23THRUST_200600_302600_NS6detail15normal_iteratorINS8_10device_ptrIiEEEESD_jNS1_19radix_merge_compareILb1ELb0EiNS0_19identity_decomposerEEEEE10hipError_tT0_T1_T2_jT3_P12ihipStream_tbPNSt15iterator_traitsISI_E10value_typeEPNSO_ISJ_E10value_typeEPSK_NS1_7vsmem_tEENKUlT_SI_SJ_SK_E_clISD_PiSD_S10_EESH_SX_SI_SJ_SK_EUlSX_E_NS1_11comp_targetILNS1_3genE5ELNS1_11target_archE942ELNS1_3gpuE9ELNS1_3repE0EEENS1_48merge_mergepath_partition_config_static_selectorELNS0_4arch9wavefront6targetE1EEEvSJ_: ; @_ZN7rocprim17ROCPRIM_400000_NS6detail17trampoline_kernelINS0_14default_configENS1_38merge_sort_block_merge_config_selectorIiiEEZZNS1_27merge_sort_block_merge_implIS3_N6thrust23THRUST_200600_302600_NS6detail15normal_iteratorINS8_10device_ptrIiEEEESD_jNS1_19radix_merge_compareILb1ELb0EiNS0_19identity_decomposerEEEEE10hipError_tT0_T1_T2_jT3_P12ihipStream_tbPNSt15iterator_traitsISI_E10value_typeEPNSO_ISJ_E10value_typeEPSK_NS1_7vsmem_tEENKUlT_SI_SJ_SK_E_clISD_PiSD_S10_EESH_SX_SI_SJ_SK_EUlSX_E_NS1_11comp_targetILNS1_3genE5ELNS1_11target_archE942ELNS1_3gpuE9ELNS1_3repE0EEENS1_48merge_mergepath_partition_config_static_selectorELNS0_4arch9wavefront6targetE1EEEvSJ_
; %bb.0:
	.section	.rodata,"a",@progbits
	.p2align	6, 0x0
	.amdhsa_kernel _ZN7rocprim17ROCPRIM_400000_NS6detail17trampoline_kernelINS0_14default_configENS1_38merge_sort_block_merge_config_selectorIiiEEZZNS1_27merge_sort_block_merge_implIS3_N6thrust23THRUST_200600_302600_NS6detail15normal_iteratorINS8_10device_ptrIiEEEESD_jNS1_19radix_merge_compareILb1ELb0EiNS0_19identity_decomposerEEEEE10hipError_tT0_T1_T2_jT3_P12ihipStream_tbPNSt15iterator_traitsISI_E10value_typeEPNSO_ISJ_E10value_typeEPSK_NS1_7vsmem_tEENKUlT_SI_SJ_SK_E_clISD_PiSD_S10_EESH_SX_SI_SJ_SK_EUlSX_E_NS1_11comp_targetILNS1_3genE5ELNS1_11target_archE942ELNS1_3gpuE9ELNS1_3repE0EEENS1_48merge_mergepath_partition_config_static_selectorELNS0_4arch9wavefront6targetE1EEEvSJ_
		.amdhsa_group_segment_fixed_size 0
		.amdhsa_private_segment_fixed_size 0
		.amdhsa_kernarg_size 40
		.amdhsa_user_sgpr_count 2
		.amdhsa_user_sgpr_dispatch_ptr 0
		.amdhsa_user_sgpr_queue_ptr 0
		.amdhsa_user_sgpr_kernarg_segment_ptr 1
		.amdhsa_user_sgpr_dispatch_id 0
		.amdhsa_user_sgpr_kernarg_preload_length 0
		.amdhsa_user_sgpr_kernarg_preload_offset 0
		.amdhsa_user_sgpr_private_segment_size 0
		.amdhsa_uses_dynamic_stack 0
		.amdhsa_enable_private_segment 0
		.amdhsa_system_sgpr_workgroup_id_x 1
		.amdhsa_system_sgpr_workgroup_id_y 0
		.amdhsa_system_sgpr_workgroup_id_z 0
		.amdhsa_system_sgpr_workgroup_info 0
		.amdhsa_system_vgpr_workitem_id 0
		.amdhsa_next_free_vgpr 1
		.amdhsa_next_free_sgpr 0
		.amdhsa_accum_offset 4
		.amdhsa_reserve_vcc 0
		.amdhsa_float_round_mode_32 0
		.amdhsa_float_round_mode_16_64 0
		.amdhsa_float_denorm_mode_32 3
		.amdhsa_float_denorm_mode_16_64 3
		.amdhsa_dx10_clamp 1
		.amdhsa_ieee_mode 1
		.amdhsa_fp16_overflow 0
		.amdhsa_tg_split 0
		.amdhsa_exception_fp_ieee_invalid_op 0
		.amdhsa_exception_fp_denorm_src 0
		.amdhsa_exception_fp_ieee_div_zero 0
		.amdhsa_exception_fp_ieee_overflow 0
		.amdhsa_exception_fp_ieee_underflow 0
		.amdhsa_exception_fp_ieee_inexact 0
		.amdhsa_exception_int_div_zero 0
	.end_amdhsa_kernel
	.section	.text._ZN7rocprim17ROCPRIM_400000_NS6detail17trampoline_kernelINS0_14default_configENS1_38merge_sort_block_merge_config_selectorIiiEEZZNS1_27merge_sort_block_merge_implIS3_N6thrust23THRUST_200600_302600_NS6detail15normal_iteratorINS8_10device_ptrIiEEEESD_jNS1_19radix_merge_compareILb1ELb0EiNS0_19identity_decomposerEEEEE10hipError_tT0_T1_T2_jT3_P12ihipStream_tbPNSt15iterator_traitsISI_E10value_typeEPNSO_ISJ_E10value_typeEPSK_NS1_7vsmem_tEENKUlT_SI_SJ_SK_E_clISD_PiSD_S10_EESH_SX_SI_SJ_SK_EUlSX_E_NS1_11comp_targetILNS1_3genE5ELNS1_11target_archE942ELNS1_3gpuE9ELNS1_3repE0EEENS1_48merge_mergepath_partition_config_static_selectorELNS0_4arch9wavefront6targetE1EEEvSJ_,"axG",@progbits,_ZN7rocprim17ROCPRIM_400000_NS6detail17trampoline_kernelINS0_14default_configENS1_38merge_sort_block_merge_config_selectorIiiEEZZNS1_27merge_sort_block_merge_implIS3_N6thrust23THRUST_200600_302600_NS6detail15normal_iteratorINS8_10device_ptrIiEEEESD_jNS1_19radix_merge_compareILb1ELb0EiNS0_19identity_decomposerEEEEE10hipError_tT0_T1_T2_jT3_P12ihipStream_tbPNSt15iterator_traitsISI_E10value_typeEPNSO_ISJ_E10value_typeEPSK_NS1_7vsmem_tEENKUlT_SI_SJ_SK_E_clISD_PiSD_S10_EESH_SX_SI_SJ_SK_EUlSX_E_NS1_11comp_targetILNS1_3genE5ELNS1_11target_archE942ELNS1_3gpuE9ELNS1_3repE0EEENS1_48merge_mergepath_partition_config_static_selectorELNS0_4arch9wavefront6targetE1EEEvSJ_,comdat
.Lfunc_end1749:
	.size	_ZN7rocprim17ROCPRIM_400000_NS6detail17trampoline_kernelINS0_14default_configENS1_38merge_sort_block_merge_config_selectorIiiEEZZNS1_27merge_sort_block_merge_implIS3_N6thrust23THRUST_200600_302600_NS6detail15normal_iteratorINS8_10device_ptrIiEEEESD_jNS1_19radix_merge_compareILb1ELb0EiNS0_19identity_decomposerEEEEE10hipError_tT0_T1_T2_jT3_P12ihipStream_tbPNSt15iterator_traitsISI_E10value_typeEPNSO_ISJ_E10value_typeEPSK_NS1_7vsmem_tEENKUlT_SI_SJ_SK_E_clISD_PiSD_S10_EESH_SX_SI_SJ_SK_EUlSX_E_NS1_11comp_targetILNS1_3genE5ELNS1_11target_archE942ELNS1_3gpuE9ELNS1_3repE0EEENS1_48merge_mergepath_partition_config_static_selectorELNS0_4arch9wavefront6targetE1EEEvSJ_, .Lfunc_end1749-_ZN7rocprim17ROCPRIM_400000_NS6detail17trampoline_kernelINS0_14default_configENS1_38merge_sort_block_merge_config_selectorIiiEEZZNS1_27merge_sort_block_merge_implIS3_N6thrust23THRUST_200600_302600_NS6detail15normal_iteratorINS8_10device_ptrIiEEEESD_jNS1_19radix_merge_compareILb1ELb0EiNS0_19identity_decomposerEEEEE10hipError_tT0_T1_T2_jT3_P12ihipStream_tbPNSt15iterator_traitsISI_E10value_typeEPNSO_ISJ_E10value_typeEPSK_NS1_7vsmem_tEENKUlT_SI_SJ_SK_E_clISD_PiSD_S10_EESH_SX_SI_SJ_SK_EUlSX_E_NS1_11comp_targetILNS1_3genE5ELNS1_11target_archE942ELNS1_3gpuE9ELNS1_3repE0EEENS1_48merge_mergepath_partition_config_static_selectorELNS0_4arch9wavefront6targetE1EEEvSJ_
                                        ; -- End function
	.set _ZN7rocprim17ROCPRIM_400000_NS6detail17trampoline_kernelINS0_14default_configENS1_38merge_sort_block_merge_config_selectorIiiEEZZNS1_27merge_sort_block_merge_implIS3_N6thrust23THRUST_200600_302600_NS6detail15normal_iteratorINS8_10device_ptrIiEEEESD_jNS1_19radix_merge_compareILb1ELb0EiNS0_19identity_decomposerEEEEE10hipError_tT0_T1_T2_jT3_P12ihipStream_tbPNSt15iterator_traitsISI_E10value_typeEPNSO_ISJ_E10value_typeEPSK_NS1_7vsmem_tEENKUlT_SI_SJ_SK_E_clISD_PiSD_S10_EESH_SX_SI_SJ_SK_EUlSX_E_NS1_11comp_targetILNS1_3genE5ELNS1_11target_archE942ELNS1_3gpuE9ELNS1_3repE0EEENS1_48merge_mergepath_partition_config_static_selectorELNS0_4arch9wavefront6targetE1EEEvSJ_.num_vgpr, 0
	.set _ZN7rocprim17ROCPRIM_400000_NS6detail17trampoline_kernelINS0_14default_configENS1_38merge_sort_block_merge_config_selectorIiiEEZZNS1_27merge_sort_block_merge_implIS3_N6thrust23THRUST_200600_302600_NS6detail15normal_iteratorINS8_10device_ptrIiEEEESD_jNS1_19radix_merge_compareILb1ELb0EiNS0_19identity_decomposerEEEEE10hipError_tT0_T1_T2_jT3_P12ihipStream_tbPNSt15iterator_traitsISI_E10value_typeEPNSO_ISJ_E10value_typeEPSK_NS1_7vsmem_tEENKUlT_SI_SJ_SK_E_clISD_PiSD_S10_EESH_SX_SI_SJ_SK_EUlSX_E_NS1_11comp_targetILNS1_3genE5ELNS1_11target_archE942ELNS1_3gpuE9ELNS1_3repE0EEENS1_48merge_mergepath_partition_config_static_selectorELNS0_4arch9wavefront6targetE1EEEvSJ_.num_agpr, 0
	.set _ZN7rocprim17ROCPRIM_400000_NS6detail17trampoline_kernelINS0_14default_configENS1_38merge_sort_block_merge_config_selectorIiiEEZZNS1_27merge_sort_block_merge_implIS3_N6thrust23THRUST_200600_302600_NS6detail15normal_iteratorINS8_10device_ptrIiEEEESD_jNS1_19radix_merge_compareILb1ELb0EiNS0_19identity_decomposerEEEEE10hipError_tT0_T1_T2_jT3_P12ihipStream_tbPNSt15iterator_traitsISI_E10value_typeEPNSO_ISJ_E10value_typeEPSK_NS1_7vsmem_tEENKUlT_SI_SJ_SK_E_clISD_PiSD_S10_EESH_SX_SI_SJ_SK_EUlSX_E_NS1_11comp_targetILNS1_3genE5ELNS1_11target_archE942ELNS1_3gpuE9ELNS1_3repE0EEENS1_48merge_mergepath_partition_config_static_selectorELNS0_4arch9wavefront6targetE1EEEvSJ_.numbered_sgpr, 0
	.set _ZN7rocprim17ROCPRIM_400000_NS6detail17trampoline_kernelINS0_14default_configENS1_38merge_sort_block_merge_config_selectorIiiEEZZNS1_27merge_sort_block_merge_implIS3_N6thrust23THRUST_200600_302600_NS6detail15normal_iteratorINS8_10device_ptrIiEEEESD_jNS1_19radix_merge_compareILb1ELb0EiNS0_19identity_decomposerEEEEE10hipError_tT0_T1_T2_jT3_P12ihipStream_tbPNSt15iterator_traitsISI_E10value_typeEPNSO_ISJ_E10value_typeEPSK_NS1_7vsmem_tEENKUlT_SI_SJ_SK_E_clISD_PiSD_S10_EESH_SX_SI_SJ_SK_EUlSX_E_NS1_11comp_targetILNS1_3genE5ELNS1_11target_archE942ELNS1_3gpuE9ELNS1_3repE0EEENS1_48merge_mergepath_partition_config_static_selectorELNS0_4arch9wavefront6targetE1EEEvSJ_.num_named_barrier, 0
	.set _ZN7rocprim17ROCPRIM_400000_NS6detail17trampoline_kernelINS0_14default_configENS1_38merge_sort_block_merge_config_selectorIiiEEZZNS1_27merge_sort_block_merge_implIS3_N6thrust23THRUST_200600_302600_NS6detail15normal_iteratorINS8_10device_ptrIiEEEESD_jNS1_19radix_merge_compareILb1ELb0EiNS0_19identity_decomposerEEEEE10hipError_tT0_T1_T2_jT3_P12ihipStream_tbPNSt15iterator_traitsISI_E10value_typeEPNSO_ISJ_E10value_typeEPSK_NS1_7vsmem_tEENKUlT_SI_SJ_SK_E_clISD_PiSD_S10_EESH_SX_SI_SJ_SK_EUlSX_E_NS1_11comp_targetILNS1_3genE5ELNS1_11target_archE942ELNS1_3gpuE9ELNS1_3repE0EEENS1_48merge_mergepath_partition_config_static_selectorELNS0_4arch9wavefront6targetE1EEEvSJ_.private_seg_size, 0
	.set _ZN7rocprim17ROCPRIM_400000_NS6detail17trampoline_kernelINS0_14default_configENS1_38merge_sort_block_merge_config_selectorIiiEEZZNS1_27merge_sort_block_merge_implIS3_N6thrust23THRUST_200600_302600_NS6detail15normal_iteratorINS8_10device_ptrIiEEEESD_jNS1_19radix_merge_compareILb1ELb0EiNS0_19identity_decomposerEEEEE10hipError_tT0_T1_T2_jT3_P12ihipStream_tbPNSt15iterator_traitsISI_E10value_typeEPNSO_ISJ_E10value_typeEPSK_NS1_7vsmem_tEENKUlT_SI_SJ_SK_E_clISD_PiSD_S10_EESH_SX_SI_SJ_SK_EUlSX_E_NS1_11comp_targetILNS1_3genE5ELNS1_11target_archE942ELNS1_3gpuE9ELNS1_3repE0EEENS1_48merge_mergepath_partition_config_static_selectorELNS0_4arch9wavefront6targetE1EEEvSJ_.uses_vcc, 0
	.set _ZN7rocprim17ROCPRIM_400000_NS6detail17trampoline_kernelINS0_14default_configENS1_38merge_sort_block_merge_config_selectorIiiEEZZNS1_27merge_sort_block_merge_implIS3_N6thrust23THRUST_200600_302600_NS6detail15normal_iteratorINS8_10device_ptrIiEEEESD_jNS1_19radix_merge_compareILb1ELb0EiNS0_19identity_decomposerEEEEE10hipError_tT0_T1_T2_jT3_P12ihipStream_tbPNSt15iterator_traitsISI_E10value_typeEPNSO_ISJ_E10value_typeEPSK_NS1_7vsmem_tEENKUlT_SI_SJ_SK_E_clISD_PiSD_S10_EESH_SX_SI_SJ_SK_EUlSX_E_NS1_11comp_targetILNS1_3genE5ELNS1_11target_archE942ELNS1_3gpuE9ELNS1_3repE0EEENS1_48merge_mergepath_partition_config_static_selectorELNS0_4arch9wavefront6targetE1EEEvSJ_.uses_flat_scratch, 0
	.set _ZN7rocprim17ROCPRIM_400000_NS6detail17trampoline_kernelINS0_14default_configENS1_38merge_sort_block_merge_config_selectorIiiEEZZNS1_27merge_sort_block_merge_implIS3_N6thrust23THRUST_200600_302600_NS6detail15normal_iteratorINS8_10device_ptrIiEEEESD_jNS1_19radix_merge_compareILb1ELb0EiNS0_19identity_decomposerEEEEE10hipError_tT0_T1_T2_jT3_P12ihipStream_tbPNSt15iterator_traitsISI_E10value_typeEPNSO_ISJ_E10value_typeEPSK_NS1_7vsmem_tEENKUlT_SI_SJ_SK_E_clISD_PiSD_S10_EESH_SX_SI_SJ_SK_EUlSX_E_NS1_11comp_targetILNS1_3genE5ELNS1_11target_archE942ELNS1_3gpuE9ELNS1_3repE0EEENS1_48merge_mergepath_partition_config_static_selectorELNS0_4arch9wavefront6targetE1EEEvSJ_.has_dyn_sized_stack, 0
	.set _ZN7rocprim17ROCPRIM_400000_NS6detail17trampoline_kernelINS0_14default_configENS1_38merge_sort_block_merge_config_selectorIiiEEZZNS1_27merge_sort_block_merge_implIS3_N6thrust23THRUST_200600_302600_NS6detail15normal_iteratorINS8_10device_ptrIiEEEESD_jNS1_19radix_merge_compareILb1ELb0EiNS0_19identity_decomposerEEEEE10hipError_tT0_T1_T2_jT3_P12ihipStream_tbPNSt15iterator_traitsISI_E10value_typeEPNSO_ISJ_E10value_typeEPSK_NS1_7vsmem_tEENKUlT_SI_SJ_SK_E_clISD_PiSD_S10_EESH_SX_SI_SJ_SK_EUlSX_E_NS1_11comp_targetILNS1_3genE5ELNS1_11target_archE942ELNS1_3gpuE9ELNS1_3repE0EEENS1_48merge_mergepath_partition_config_static_selectorELNS0_4arch9wavefront6targetE1EEEvSJ_.has_recursion, 0
	.set _ZN7rocprim17ROCPRIM_400000_NS6detail17trampoline_kernelINS0_14default_configENS1_38merge_sort_block_merge_config_selectorIiiEEZZNS1_27merge_sort_block_merge_implIS3_N6thrust23THRUST_200600_302600_NS6detail15normal_iteratorINS8_10device_ptrIiEEEESD_jNS1_19radix_merge_compareILb1ELb0EiNS0_19identity_decomposerEEEEE10hipError_tT0_T1_T2_jT3_P12ihipStream_tbPNSt15iterator_traitsISI_E10value_typeEPNSO_ISJ_E10value_typeEPSK_NS1_7vsmem_tEENKUlT_SI_SJ_SK_E_clISD_PiSD_S10_EESH_SX_SI_SJ_SK_EUlSX_E_NS1_11comp_targetILNS1_3genE5ELNS1_11target_archE942ELNS1_3gpuE9ELNS1_3repE0EEENS1_48merge_mergepath_partition_config_static_selectorELNS0_4arch9wavefront6targetE1EEEvSJ_.has_indirect_call, 0
	.section	.AMDGPU.csdata,"",@progbits
; Kernel info:
; codeLenInByte = 0
; TotalNumSgprs: 6
; NumVgprs: 0
; NumAgprs: 0
; TotalNumVgprs: 0
; ScratchSize: 0
; MemoryBound: 0
; FloatMode: 240
; IeeeMode: 1
; LDSByteSize: 0 bytes/workgroup (compile time only)
; SGPRBlocks: 0
; VGPRBlocks: 0
; NumSGPRsForWavesPerEU: 6
; NumVGPRsForWavesPerEU: 1
; AccumOffset: 4
; Occupancy: 8
; WaveLimiterHint : 0
; COMPUTE_PGM_RSRC2:SCRATCH_EN: 0
; COMPUTE_PGM_RSRC2:USER_SGPR: 2
; COMPUTE_PGM_RSRC2:TRAP_HANDLER: 0
; COMPUTE_PGM_RSRC2:TGID_X_EN: 1
; COMPUTE_PGM_RSRC2:TGID_Y_EN: 0
; COMPUTE_PGM_RSRC2:TGID_Z_EN: 0
; COMPUTE_PGM_RSRC2:TIDIG_COMP_CNT: 0
; COMPUTE_PGM_RSRC3_GFX90A:ACCUM_OFFSET: 0
; COMPUTE_PGM_RSRC3_GFX90A:TG_SPLIT: 0
	.section	.text._ZN7rocprim17ROCPRIM_400000_NS6detail17trampoline_kernelINS0_14default_configENS1_38merge_sort_block_merge_config_selectorIiiEEZZNS1_27merge_sort_block_merge_implIS3_N6thrust23THRUST_200600_302600_NS6detail15normal_iteratorINS8_10device_ptrIiEEEESD_jNS1_19radix_merge_compareILb1ELb0EiNS0_19identity_decomposerEEEEE10hipError_tT0_T1_T2_jT3_P12ihipStream_tbPNSt15iterator_traitsISI_E10value_typeEPNSO_ISJ_E10value_typeEPSK_NS1_7vsmem_tEENKUlT_SI_SJ_SK_E_clISD_PiSD_S10_EESH_SX_SI_SJ_SK_EUlSX_E_NS1_11comp_targetILNS1_3genE4ELNS1_11target_archE910ELNS1_3gpuE8ELNS1_3repE0EEENS1_48merge_mergepath_partition_config_static_selectorELNS0_4arch9wavefront6targetE1EEEvSJ_,"axG",@progbits,_ZN7rocprim17ROCPRIM_400000_NS6detail17trampoline_kernelINS0_14default_configENS1_38merge_sort_block_merge_config_selectorIiiEEZZNS1_27merge_sort_block_merge_implIS3_N6thrust23THRUST_200600_302600_NS6detail15normal_iteratorINS8_10device_ptrIiEEEESD_jNS1_19radix_merge_compareILb1ELb0EiNS0_19identity_decomposerEEEEE10hipError_tT0_T1_T2_jT3_P12ihipStream_tbPNSt15iterator_traitsISI_E10value_typeEPNSO_ISJ_E10value_typeEPSK_NS1_7vsmem_tEENKUlT_SI_SJ_SK_E_clISD_PiSD_S10_EESH_SX_SI_SJ_SK_EUlSX_E_NS1_11comp_targetILNS1_3genE4ELNS1_11target_archE910ELNS1_3gpuE8ELNS1_3repE0EEENS1_48merge_mergepath_partition_config_static_selectorELNS0_4arch9wavefront6targetE1EEEvSJ_,comdat
	.protected	_ZN7rocprim17ROCPRIM_400000_NS6detail17trampoline_kernelINS0_14default_configENS1_38merge_sort_block_merge_config_selectorIiiEEZZNS1_27merge_sort_block_merge_implIS3_N6thrust23THRUST_200600_302600_NS6detail15normal_iteratorINS8_10device_ptrIiEEEESD_jNS1_19radix_merge_compareILb1ELb0EiNS0_19identity_decomposerEEEEE10hipError_tT0_T1_T2_jT3_P12ihipStream_tbPNSt15iterator_traitsISI_E10value_typeEPNSO_ISJ_E10value_typeEPSK_NS1_7vsmem_tEENKUlT_SI_SJ_SK_E_clISD_PiSD_S10_EESH_SX_SI_SJ_SK_EUlSX_E_NS1_11comp_targetILNS1_3genE4ELNS1_11target_archE910ELNS1_3gpuE8ELNS1_3repE0EEENS1_48merge_mergepath_partition_config_static_selectorELNS0_4arch9wavefront6targetE1EEEvSJ_ ; -- Begin function _ZN7rocprim17ROCPRIM_400000_NS6detail17trampoline_kernelINS0_14default_configENS1_38merge_sort_block_merge_config_selectorIiiEEZZNS1_27merge_sort_block_merge_implIS3_N6thrust23THRUST_200600_302600_NS6detail15normal_iteratorINS8_10device_ptrIiEEEESD_jNS1_19radix_merge_compareILb1ELb0EiNS0_19identity_decomposerEEEEE10hipError_tT0_T1_T2_jT3_P12ihipStream_tbPNSt15iterator_traitsISI_E10value_typeEPNSO_ISJ_E10value_typeEPSK_NS1_7vsmem_tEENKUlT_SI_SJ_SK_E_clISD_PiSD_S10_EESH_SX_SI_SJ_SK_EUlSX_E_NS1_11comp_targetILNS1_3genE4ELNS1_11target_archE910ELNS1_3gpuE8ELNS1_3repE0EEENS1_48merge_mergepath_partition_config_static_selectorELNS0_4arch9wavefront6targetE1EEEvSJ_
	.globl	_ZN7rocprim17ROCPRIM_400000_NS6detail17trampoline_kernelINS0_14default_configENS1_38merge_sort_block_merge_config_selectorIiiEEZZNS1_27merge_sort_block_merge_implIS3_N6thrust23THRUST_200600_302600_NS6detail15normal_iteratorINS8_10device_ptrIiEEEESD_jNS1_19radix_merge_compareILb1ELb0EiNS0_19identity_decomposerEEEEE10hipError_tT0_T1_T2_jT3_P12ihipStream_tbPNSt15iterator_traitsISI_E10value_typeEPNSO_ISJ_E10value_typeEPSK_NS1_7vsmem_tEENKUlT_SI_SJ_SK_E_clISD_PiSD_S10_EESH_SX_SI_SJ_SK_EUlSX_E_NS1_11comp_targetILNS1_3genE4ELNS1_11target_archE910ELNS1_3gpuE8ELNS1_3repE0EEENS1_48merge_mergepath_partition_config_static_selectorELNS0_4arch9wavefront6targetE1EEEvSJ_
	.p2align	8
	.type	_ZN7rocprim17ROCPRIM_400000_NS6detail17trampoline_kernelINS0_14default_configENS1_38merge_sort_block_merge_config_selectorIiiEEZZNS1_27merge_sort_block_merge_implIS3_N6thrust23THRUST_200600_302600_NS6detail15normal_iteratorINS8_10device_ptrIiEEEESD_jNS1_19radix_merge_compareILb1ELb0EiNS0_19identity_decomposerEEEEE10hipError_tT0_T1_T2_jT3_P12ihipStream_tbPNSt15iterator_traitsISI_E10value_typeEPNSO_ISJ_E10value_typeEPSK_NS1_7vsmem_tEENKUlT_SI_SJ_SK_E_clISD_PiSD_S10_EESH_SX_SI_SJ_SK_EUlSX_E_NS1_11comp_targetILNS1_3genE4ELNS1_11target_archE910ELNS1_3gpuE8ELNS1_3repE0EEENS1_48merge_mergepath_partition_config_static_selectorELNS0_4arch9wavefront6targetE1EEEvSJ_,@function
_ZN7rocprim17ROCPRIM_400000_NS6detail17trampoline_kernelINS0_14default_configENS1_38merge_sort_block_merge_config_selectorIiiEEZZNS1_27merge_sort_block_merge_implIS3_N6thrust23THRUST_200600_302600_NS6detail15normal_iteratorINS8_10device_ptrIiEEEESD_jNS1_19radix_merge_compareILb1ELb0EiNS0_19identity_decomposerEEEEE10hipError_tT0_T1_T2_jT3_P12ihipStream_tbPNSt15iterator_traitsISI_E10value_typeEPNSO_ISJ_E10value_typeEPSK_NS1_7vsmem_tEENKUlT_SI_SJ_SK_E_clISD_PiSD_S10_EESH_SX_SI_SJ_SK_EUlSX_E_NS1_11comp_targetILNS1_3genE4ELNS1_11target_archE910ELNS1_3gpuE8ELNS1_3repE0EEENS1_48merge_mergepath_partition_config_static_selectorELNS0_4arch9wavefront6targetE1EEEvSJ_: ; @_ZN7rocprim17ROCPRIM_400000_NS6detail17trampoline_kernelINS0_14default_configENS1_38merge_sort_block_merge_config_selectorIiiEEZZNS1_27merge_sort_block_merge_implIS3_N6thrust23THRUST_200600_302600_NS6detail15normal_iteratorINS8_10device_ptrIiEEEESD_jNS1_19radix_merge_compareILb1ELb0EiNS0_19identity_decomposerEEEEE10hipError_tT0_T1_T2_jT3_P12ihipStream_tbPNSt15iterator_traitsISI_E10value_typeEPNSO_ISJ_E10value_typeEPSK_NS1_7vsmem_tEENKUlT_SI_SJ_SK_E_clISD_PiSD_S10_EESH_SX_SI_SJ_SK_EUlSX_E_NS1_11comp_targetILNS1_3genE4ELNS1_11target_archE910ELNS1_3gpuE8ELNS1_3repE0EEENS1_48merge_mergepath_partition_config_static_selectorELNS0_4arch9wavefront6targetE1EEEvSJ_
; %bb.0:
	.section	.rodata,"a",@progbits
	.p2align	6, 0x0
	.amdhsa_kernel _ZN7rocprim17ROCPRIM_400000_NS6detail17trampoline_kernelINS0_14default_configENS1_38merge_sort_block_merge_config_selectorIiiEEZZNS1_27merge_sort_block_merge_implIS3_N6thrust23THRUST_200600_302600_NS6detail15normal_iteratorINS8_10device_ptrIiEEEESD_jNS1_19radix_merge_compareILb1ELb0EiNS0_19identity_decomposerEEEEE10hipError_tT0_T1_T2_jT3_P12ihipStream_tbPNSt15iterator_traitsISI_E10value_typeEPNSO_ISJ_E10value_typeEPSK_NS1_7vsmem_tEENKUlT_SI_SJ_SK_E_clISD_PiSD_S10_EESH_SX_SI_SJ_SK_EUlSX_E_NS1_11comp_targetILNS1_3genE4ELNS1_11target_archE910ELNS1_3gpuE8ELNS1_3repE0EEENS1_48merge_mergepath_partition_config_static_selectorELNS0_4arch9wavefront6targetE1EEEvSJ_
		.amdhsa_group_segment_fixed_size 0
		.amdhsa_private_segment_fixed_size 0
		.amdhsa_kernarg_size 40
		.amdhsa_user_sgpr_count 2
		.amdhsa_user_sgpr_dispatch_ptr 0
		.amdhsa_user_sgpr_queue_ptr 0
		.amdhsa_user_sgpr_kernarg_segment_ptr 1
		.amdhsa_user_sgpr_dispatch_id 0
		.amdhsa_user_sgpr_kernarg_preload_length 0
		.amdhsa_user_sgpr_kernarg_preload_offset 0
		.amdhsa_user_sgpr_private_segment_size 0
		.amdhsa_uses_dynamic_stack 0
		.amdhsa_enable_private_segment 0
		.amdhsa_system_sgpr_workgroup_id_x 1
		.amdhsa_system_sgpr_workgroup_id_y 0
		.amdhsa_system_sgpr_workgroup_id_z 0
		.amdhsa_system_sgpr_workgroup_info 0
		.amdhsa_system_vgpr_workitem_id 0
		.amdhsa_next_free_vgpr 1
		.amdhsa_next_free_sgpr 0
		.amdhsa_accum_offset 4
		.amdhsa_reserve_vcc 0
		.amdhsa_float_round_mode_32 0
		.amdhsa_float_round_mode_16_64 0
		.amdhsa_float_denorm_mode_32 3
		.amdhsa_float_denorm_mode_16_64 3
		.amdhsa_dx10_clamp 1
		.amdhsa_ieee_mode 1
		.amdhsa_fp16_overflow 0
		.amdhsa_tg_split 0
		.amdhsa_exception_fp_ieee_invalid_op 0
		.amdhsa_exception_fp_denorm_src 0
		.amdhsa_exception_fp_ieee_div_zero 0
		.amdhsa_exception_fp_ieee_overflow 0
		.amdhsa_exception_fp_ieee_underflow 0
		.amdhsa_exception_fp_ieee_inexact 0
		.amdhsa_exception_int_div_zero 0
	.end_amdhsa_kernel
	.section	.text._ZN7rocprim17ROCPRIM_400000_NS6detail17trampoline_kernelINS0_14default_configENS1_38merge_sort_block_merge_config_selectorIiiEEZZNS1_27merge_sort_block_merge_implIS3_N6thrust23THRUST_200600_302600_NS6detail15normal_iteratorINS8_10device_ptrIiEEEESD_jNS1_19radix_merge_compareILb1ELb0EiNS0_19identity_decomposerEEEEE10hipError_tT0_T1_T2_jT3_P12ihipStream_tbPNSt15iterator_traitsISI_E10value_typeEPNSO_ISJ_E10value_typeEPSK_NS1_7vsmem_tEENKUlT_SI_SJ_SK_E_clISD_PiSD_S10_EESH_SX_SI_SJ_SK_EUlSX_E_NS1_11comp_targetILNS1_3genE4ELNS1_11target_archE910ELNS1_3gpuE8ELNS1_3repE0EEENS1_48merge_mergepath_partition_config_static_selectorELNS0_4arch9wavefront6targetE1EEEvSJ_,"axG",@progbits,_ZN7rocprim17ROCPRIM_400000_NS6detail17trampoline_kernelINS0_14default_configENS1_38merge_sort_block_merge_config_selectorIiiEEZZNS1_27merge_sort_block_merge_implIS3_N6thrust23THRUST_200600_302600_NS6detail15normal_iteratorINS8_10device_ptrIiEEEESD_jNS1_19radix_merge_compareILb1ELb0EiNS0_19identity_decomposerEEEEE10hipError_tT0_T1_T2_jT3_P12ihipStream_tbPNSt15iterator_traitsISI_E10value_typeEPNSO_ISJ_E10value_typeEPSK_NS1_7vsmem_tEENKUlT_SI_SJ_SK_E_clISD_PiSD_S10_EESH_SX_SI_SJ_SK_EUlSX_E_NS1_11comp_targetILNS1_3genE4ELNS1_11target_archE910ELNS1_3gpuE8ELNS1_3repE0EEENS1_48merge_mergepath_partition_config_static_selectorELNS0_4arch9wavefront6targetE1EEEvSJ_,comdat
.Lfunc_end1750:
	.size	_ZN7rocprim17ROCPRIM_400000_NS6detail17trampoline_kernelINS0_14default_configENS1_38merge_sort_block_merge_config_selectorIiiEEZZNS1_27merge_sort_block_merge_implIS3_N6thrust23THRUST_200600_302600_NS6detail15normal_iteratorINS8_10device_ptrIiEEEESD_jNS1_19radix_merge_compareILb1ELb0EiNS0_19identity_decomposerEEEEE10hipError_tT0_T1_T2_jT3_P12ihipStream_tbPNSt15iterator_traitsISI_E10value_typeEPNSO_ISJ_E10value_typeEPSK_NS1_7vsmem_tEENKUlT_SI_SJ_SK_E_clISD_PiSD_S10_EESH_SX_SI_SJ_SK_EUlSX_E_NS1_11comp_targetILNS1_3genE4ELNS1_11target_archE910ELNS1_3gpuE8ELNS1_3repE0EEENS1_48merge_mergepath_partition_config_static_selectorELNS0_4arch9wavefront6targetE1EEEvSJ_, .Lfunc_end1750-_ZN7rocprim17ROCPRIM_400000_NS6detail17trampoline_kernelINS0_14default_configENS1_38merge_sort_block_merge_config_selectorIiiEEZZNS1_27merge_sort_block_merge_implIS3_N6thrust23THRUST_200600_302600_NS6detail15normal_iteratorINS8_10device_ptrIiEEEESD_jNS1_19radix_merge_compareILb1ELb0EiNS0_19identity_decomposerEEEEE10hipError_tT0_T1_T2_jT3_P12ihipStream_tbPNSt15iterator_traitsISI_E10value_typeEPNSO_ISJ_E10value_typeEPSK_NS1_7vsmem_tEENKUlT_SI_SJ_SK_E_clISD_PiSD_S10_EESH_SX_SI_SJ_SK_EUlSX_E_NS1_11comp_targetILNS1_3genE4ELNS1_11target_archE910ELNS1_3gpuE8ELNS1_3repE0EEENS1_48merge_mergepath_partition_config_static_selectorELNS0_4arch9wavefront6targetE1EEEvSJ_
                                        ; -- End function
	.set _ZN7rocprim17ROCPRIM_400000_NS6detail17trampoline_kernelINS0_14default_configENS1_38merge_sort_block_merge_config_selectorIiiEEZZNS1_27merge_sort_block_merge_implIS3_N6thrust23THRUST_200600_302600_NS6detail15normal_iteratorINS8_10device_ptrIiEEEESD_jNS1_19radix_merge_compareILb1ELb0EiNS0_19identity_decomposerEEEEE10hipError_tT0_T1_T2_jT3_P12ihipStream_tbPNSt15iterator_traitsISI_E10value_typeEPNSO_ISJ_E10value_typeEPSK_NS1_7vsmem_tEENKUlT_SI_SJ_SK_E_clISD_PiSD_S10_EESH_SX_SI_SJ_SK_EUlSX_E_NS1_11comp_targetILNS1_3genE4ELNS1_11target_archE910ELNS1_3gpuE8ELNS1_3repE0EEENS1_48merge_mergepath_partition_config_static_selectorELNS0_4arch9wavefront6targetE1EEEvSJ_.num_vgpr, 0
	.set _ZN7rocprim17ROCPRIM_400000_NS6detail17trampoline_kernelINS0_14default_configENS1_38merge_sort_block_merge_config_selectorIiiEEZZNS1_27merge_sort_block_merge_implIS3_N6thrust23THRUST_200600_302600_NS6detail15normal_iteratorINS8_10device_ptrIiEEEESD_jNS1_19radix_merge_compareILb1ELb0EiNS0_19identity_decomposerEEEEE10hipError_tT0_T1_T2_jT3_P12ihipStream_tbPNSt15iterator_traitsISI_E10value_typeEPNSO_ISJ_E10value_typeEPSK_NS1_7vsmem_tEENKUlT_SI_SJ_SK_E_clISD_PiSD_S10_EESH_SX_SI_SJ_SK_EUlSX_E_NS1_11comp_targetILNS1_3genE4ELNS1_11target_archE910ELNS1_3gpuE8ELNS1_3repE0EEENS1_48merge_mergepath_partition_config_static_selectorELNS0_4arch9wavefront6targetE1EEEvSJ_.num_agpr, 0
	.set _ZN7rocprim17ROCPRIM_400000_NS6detail17trampoline_kernelINS0_14default_configENS1_38merge_sort_block_merge_config_selectorIiiEEZZNS1_27merge_sort_block_merge_implIS3_N6thrust23THRUST_200600_302600_NS6detail15normal_iteratorINS8_10device_ptrIiEEEESD_jNS1_19radix_merge_compareILb1ELb0EiNS0_19identity_decomposerEEEEE10hipError_tT0_T1_T2_jT3_P12ihipStream_tbPNSt15iterator_traitsISI_E10value_typeEPNSO_ISJ_E10value_typeEPSK_NS1_7vsmem_tEENKUlT_SI_SJ_SK_E_clISD_PiSD_S10_EESH_SX_SI_SJ_SK_EUlSX_E_NS1_11comp_targetILNS1_3genE4ELNS1_11target_archE910ELNS1_3gpuE8ELNS1_3repE0EEENS1_48merge_mergepath_partition_config_static_selectorELNS0_4arch9wavefront6targetE1EEEvSJ_.numbered_sgpr, 0
	.set _ZN7rocprim17ROCPRIM_400000_NS6detail17trampoline_kernelINS0_14default_configENS1_38merge_sort_block_merge_config_selectorIiiEEZZNS1_27merge_sort_block_merge_implIS3_N6thrust23THRUST_200600_302600_NS6detail15normal_iteratorINS8_10device_ptrIiEEEESD_jNS1_19radix_merge_compareILb1ELb0EiNS0_19identity_decomposerEEEEE10hipError_tT0_T1_T2_jT3_P12ihipStream_tbPNSt15iterator_traitsISI_E10value_typeEPNSO_ISJ_E10value_typeEPSK_NS1_7vsmem_tEENKUlT_SI_SJ_SK_E_clISD_PiSD_S10_EESH_SX_SI_SJ_SK_EUlSX_E_NS1_11comp_targetILNS1_3genE4ELNS1_11target_archE910ELNS1_3gpuE8ELNS1_3repE0EEENS1_48merge_mergepath_partition_config_static_selectorELNS0_4arch9wavefront6targetE1EEEvSJ_.num_named_barrier, 0
	.set _ZN7rocprim17ROCPRIM_400000_NS6detail17trampoline_kernelINS0_14default_configENS1_38merge_sort_block_merge_config_selectorIiiEEZZNS1_27merge_sort_block_merge_implIS3_N6thrust23THRUST_200600_302600_NS6detail15normal_iteratorINS8_10device_ptrIiEEEESD_jNS1_19radix_merge_compareILb1ELb0EiNS0_19identity_decomposerEEEEE10hipError_tT0_T1_T2_jT3_P12ihipStream_tbPNSt15iterator_traitsISI_E10value_typeEPNSO_ISJ_E10value_typeEPSK_NS1_7vsmem_tEENKUlT_SI_SJ_SK_E_clISD_PiSD_S10_EESH_SX_SI_SJ_SK_EUlSX_E_NS1_11comp_targetILNS1_3genE4ELNS1_11target_archE910ELNS1_3gpuE8ELNS1_3repE0EEENS1_48merge_mergepath_partition_config_static_selectorELNS0_4arch9wavefront6targetE1EEEvSJ_.private_seg_size, 0
	.set _ZN7rocprim17ROCPRIM_400000_NS6detail17trampoline_kernelINS0_14default_configENS1_38merge_sort_block_merge_config_selectorIiiEEZZNS1_27merge_sort_block_merge_implIS3_N6thrust23THRUST_200600_302600_NS6detail15normal_iteratorINS8_10device_ptrIiEEEESD_jNS1_19radix_merge_compareILb1ELb0EiNS0_19identity_decomposerEEEEE10hipError_tT0_T1_T2_jT3_P12ihipStream_tbPNSt15iterator_traitsISI_E10value_typeEPNSO_ISJ_E10value_typeEPSK_NS1_7vsmem_tEENKUlT_SI_SJ_SK_E_clISD_PiSD_S10_EESH_SX_SI_SJ_SK_EUlSX_E_NS1_11comp_targetILNS1_3genE4ELNS1_11target_archE910ELNS1_3gpuE8ELNS1_3repE0EEENS1_48merge_mergepath_partition_config_static_selectorELNS0_4arch9wavefront6targetE1EEEvSJ_.uses_vcc, 0
	.set _ZN7rocprim17ROCPRIM_400000_NS6detail17trampoline_kernelINS0_14default_configENS1_38merge_sort_block_merge_config_selectorIiiEEZZNS1_27merge_sort_block_merge_implIS3_N6thrust23THRUST_200600_302600_NS6detail15normal_iteratorINS8_10device_ptrIiEEEESD_jNS1_19radix_merge_compareILb1ELb0EiNS0_19identity_decomposerEEEEE10hipError_tT0_T1_T2_jT3_P12ihipStream_tbPNSt15iterator_traitsISI_E10value_typeEPNSO_ISJ_E10value_typeEPSK_NS1_7vsmem_tEENKUlT_SI_SJ_SK_E_clISD_PiSD_S10_EESH_SX_SI_SJ_SK_EUlSX_E_NS1_11comp_targetILNS1_3genE4ELNS1_11target_archE910ELNS1_3gpuE8ELNS1_3repE0EEENS1_48merge_mergepath_partition_config_static_selectorELNS0_4arch9wavefront6targetE1EEEvSJ_.uses_flat_scratch, 0
	.set _ZN7rocprim17ROCPRIM_400000_NS6detail17trampoline_kernelINS0_14default_configENS1_38merge_sort_block_merge_config_selectorIiiEEZZNS1_27merge_sort_block_merge_implIS3_N6thrust23THRUST_200600_302600_NS6detail15normal_iteratorINS8_10device_ptrIiEEEESD_jNS1_19radix_merge_compareILb1ELb0EiNS0_19identity_decomposerEEEEE10hipError_tT0_T1_T2_jT3_P12ihipStream_tbPNSt15iterator_traitsISI_E10value_typeEPNSO_ISJ_E10value_typeEPSK_NS1_7vsmem_tEENKUlT_SI_SJ_SK_E_clISD_PiSD_S10_EESH_SX_SI_SJ_SK_EUlSX_E_NS1_11comp_targetILNS1_3genE4ELNS1_11target_archE910ELNS1_3gpuE8ELNS1_3repE0EEENS1_48merge_mergepath_partition_config_static_selectorELNS0_4arch9wavefront6targetE1EEEvSJ_.has_dyn_sized_stack, 0
	.set _ZN7rocprim17ROCPRIM_400000_NS6detail17trampoline_kernelINS0_14default_configENS1_38merge_sort_block_merge_config_selectorIiiEEZZNS1_27merge_sort_block_merge_implIS3_N6thrust23THRUST_200600_302600_NS6detail15normal_iteratorINS8_10device_ptrIiEEEESD_jNS1_19radix_merge_compareILb1ELb0EiNS0_19identity_decomposerEEEEE10hipError_tT0_T1_T2_jT3_P12ihipStream_tbPNSt15iterator_traitsISI_E10value_typeEPNSO_ISJ_E10value_typeEPSK_NS1_7vsmem_tEENKUlT_SI_SJ_SK_E_clISD_PiSD_S10_EESH_SX_SI_SJ_SK_EUlSX_E_NS1_11comp_targetILNS1_3genE4ELNS1_11target_archE910ELNS1_3gpuE8ELNS1_3repE0EEENS1_48merge_mergepath_partition_config_static_selectorELNS0_4arch9wavefront6targetE1EEEvSJ_.has_recursion, 0
	.set _ZN7rocprim17ROCPRIM_400000_NS6detail17trampoline_kernelINS0_14default_configENS1_38merge_sort_block_merge_config_selectorIiiEEZZNS1_27merge_sort_block_merge_implIS3_N6thrust23THRUST_200600_302600_NS6detail15normal_iteratorINS8_10device_ptrIiEEEESD_jNS1_19radix_merge_compareILb1ELb0EiNS0_19identity_decomposerEEEEE10hipError_tT0_T1_T2_jT3_P12ihipStream_tbPNSt15iterator_traitsISI_E10value_typeEPNSO_ISJ_E10value_typeEPSK_NS1_7vsmem_tEENKUlT_SI_SJ_SK_E_clISD_PiSD_S10_EESH_SX_SI_SJ_SK_EUlSX_E_NS1_11comp_targetILNS1_3genE4ELNS1_11target_archE910ELNS1_3gpuE8ELNS1_3repE0EEENS1_48merge_mergepath_partition_config_static_selectorELNS0_4arch9wavefront6targetE1EEEvSJ_.has_indirect_call, 0
	.section	.AMDGPU.csdata,"",@progbits
; Kernel info:
; codeLenInByte = 0
; TotalNumSgprs: 6
; NumVgprs: 0
; NumAgprs: 0
; TotalNumVgprs: 0
; ScratchSize: 0
; MemoryBound: 0
; FloatMode: 240
; IeeeMode: 1
; LDSByteSize: 0 bytes/workgroup (compile time only)
; SGPRBlocks: 0
; VGPRBlocks: 0
; NumSGPRsForWavesPerEU: 6
; NumVGPRsForWavesPerEU: 1
; AccumOffset: 4
; Occupancy: 8
; WaveLimiterHint : 0
; COMPUTE_PGM_RSRC2:SCRATCH_EN: 0
; COMPUTE_PGM_RSRC2:USER_SGPR: 2
; COMPUTE_PGM_RSRC2:TRAP_HANDLER: 0
; COMPUTE_PGM_RSRC2:TGID_X_EN: 1
; COMPUTE_PGM_RSRC2:TGID_Y_EN: 0
; COMPUTE_PGM_RSRC2:TGID_Z_EN: 0
; COMPUTE_PGM_RSRC2:TIDIG_COMP_CNT: 0
; COMPUTE_PGM_RSRC3_GFX90A:ACCUM_OFFSET: 0
; COMPUTE_PGM_RSRC3_GFX90A:TG_SPLIT: 0
	.section	.text._ZN7rocprim17ROCPRIM_400000_NS6detail17trampoline_kernelINS0_14default_configENS1_38merge_sort_block_merge_config_selectorIiiEEZZNS1_27merge_sort_block_merge_implIS3_N6thrust23THRUST_200600_302600_NS6detail15normal_iteratorINS8_10device_ptrIiEEEESD_jNS1_19radix_merge_compareILb1ELb0EiNS0_19identity_decomposerEEEEE10hipError_tT0_T1_T2_jT3_P12ihipStream_tbPNSt15iterator_traitsISI_E10value_typeEPNSO_ISJ_E10value_typeEPSK_NS1_7vsmem_tEENKUlT_SI_SJ_SK_E_clISD_PiSD_S10_EESH_SX_SI_SJ_SK_EUlSX_E_NS1_11comp_targetILNS1_3genE3ELNS1_11target_archE908ELNS1_3gpuE7ELNS1_3repE0EEENS1_48merge_mergepath_partition_config_static_selectorELNS0_4arch9wavefront6targetE1EEEvSJ_,"axG",@progbits,_ZN7rocprim17ROCPRIM_400000_NS6detail17trampoline_kernelINS0_14default_configENS1_38merge_sort_block_merge_config_selectorIiiEEZZNS1_27merge_sort_block_merge_implIS3_N6thrust23THRUST_200600_302600_NS6detail15normal_iteratorINS8_10device_ptrIiEEEESD_jNS1_19radix_merge_compareILb1ELb0EiNS0_19identity_decomposerEEEEE10hipError_tT0_T1_T2_jT3_P12ihipStream_tbPNSt15iterator_traitsISI_E10value_typeEPNSO_ISJ_E10value_typeEPSK_NS1_7vsmem_tEENKUlT_SI_SJ_SK_E_clISD_PiSD_S10_EESH_SX_SI_SJ_SK_EUlSX_E_NS1_11comp_targetILNS1_3genE3ELNS1_11target_archE908ELNS1_3gpuE7ELNS1_3repE0EEENS1_48merge_mergepath_partition_config_static_selectorELNS0_4arch9wavefront6targetE1EEEvSJ_,comdat
	.protected	_ZN7rocprim17ROCPRIM_400000_NS6detail17trampoline_kernelINS0_14default_configENS1_38merge_sort_block_merge_config_selectorIiiEEZZNS1_27merge_sort_block_merge_implIS3_N6thrust23THRUST_200600_302600_NS6detail15normal_iteratorINS8_10device_ptrIiEEEESD_jNS1_19radix_merge_compareILb1ELb0EiNS0_19identity_decomposerEEEEE10hipError_tT0_T1_T2_jT3_P12ihipStream_tbPNSt15iterator_traitsISI_E10value_typeEPNSO_ISJ_E10value_typeEPSK_NS1_7vsmem_tEENKUlT_SI_SJ_SK_E_clISD_PiSD_S10_EESH_SX_SI_SJ_SK_EUlSX_E_NS1_11comp_targetILNS1_3genE3ELNS1_11target_archE908ELNS1_3gpuE7ELNS1_3repE0EEENS1_48merge_mergepath_partition_config_static_selectorELNS0_4arch9wavefront6targetE1EEEvSJ_ ; -- Begin function _ZN7rocprim17ROCPRIM_400000_NS6detail17trampoline_kernelINS0_14default_configENS1_38merge_sort_block_merge_config_selectorIiiEEZZNS1_27merge_sort_block_merge_implIS3_N6thrust23THRUST_200600_302600_NS6detail15normal_iteratorINS8_10device_ptrIiEEEESD_jNS1_19radix_merge_compareILb1ELb0EiNS0_19identity_decomposerEEEEE10hipError_tT0_T1_T2_jT3_P12ihipStream_tbPNSt15iterator_traitsISI_E10value_typeEPNSO_ISJ_E10value_typeEPSK_NS1_7vsmem_tEENKUlT_SI_SJ_SK_E_clISD_PiSD_S10_EESH_SX_SI_SJ_SK_EUlSX_E_NS1_11comp_targetILNS1_3genE3ELNS1_11target_archE908ELNS1_3gpuE7ELNS1_3repE0EEENS1_48merge_mergepath_partition_config_static_selectorELNS0_4arch9wavefront6targetE1EEEvSJ_
	.globl	_ZN7rocprim17ROCPRIM_400000_NS6detail17trampoline_kernelINS0_14default_configENS1_38merge_sort_block_merge_config_selectorIiiEEZZNS1_27merge_sort_block_merge_implIS3_N6thrust23THRUST_200600_302600_NS6detail15normal_iteratorINS8_10device_ptrIiEEEESD_jNS1_19radix_merge_compareILb1ELb0EiNS0_19identity_decomposerEEEEE10hipError_tT0_T1_T2_jT3_P12ihipStream_tbPNSt15iterator_traitsISI_E10value_typeEPNSO_ISJ_E10value_typeEPSK_NS1_7vsmem_tEENKUlT_SI_SJ_SK_E_clISD_PiSD_S10_EESH_SX_SI_SJ_SK_EUlSX_E_NS1_11comp_targetILNS1_3genE3ELNS1_11target_archE908ELNS1_3gpuE7ELNS1_3repE0EEENS1_48merge_mergepath_partition_config_static_selectorELNS0_4arch9wavefront6targetE1EEEvSJ_
	.p2align	8
	.type	_ZN7rocprim17ROCPRIM_400000_NS6detail17trampoline_kernelINS0_14default_configENS1_38merge_sort_block_merge_config_selectorIiiEEZZNS1_27merge_sort_block_merge_implIS3_N6thrust23THRUST_200600_302600_NS6detail15normal_iteratorINS8_10device_ptrIiEEEESD_jNS1_19radix_merge_compareILb1ELb0EiNS0_19identity_decomposerEEEEE10hipError_tT0_T1_T2_jT3_P12ihipStream_tbPNSt15iterator_traitsISI_E10value_typeEPNSO_ISJ_E10value_typeEPSK_NS1_7vsmem_tEENKUlT_SI_SJ_SK_E_clISD_PiSD_S10_EESH_SX_SI_SJ_SK_EUlSX_E_NS1_11comp_targetILNS1_3genE3ELNS1_11target_archE908ELNS1_3gpuE7ELNS1_3repE0EEENS1_48merge_mergepath_partition_config_static_selectorELNS0_4arch9wavefront6targetE1EEEvSJ_,@function
_ZN7rocprim17ROCPRIM_400000_NS6detail17trampoline_kernelINS0_14default_configENS1_38merge_sort_block_merge_config_selectorIiiEEZZNS1_27merge_sort_block_merge_implIS3_N6thrust23THRUST_200600_302600_NS6detail15normal_iteratorINS8_10device_ptrIiEEEESD_jNS1_19radix_merge_compareILb1ELb0EiNS0_19identity_decomposerEEEEE10hipError_tT0_T1_T2_jT3_P12ihipStream_tbPNSt15iterator_traitsISI_E10value_typeEPNSO_ISJ_E10value_typeEPSK_NS1_7vsmem_tEENKUlT_SI_SJ_SK_E_clISD_PiSD_S10_EESH_SX_SI_SJ_SK_EUlSX_E_NS1_11comp_targetILNS1_3genE3ELNS1_11target_archE908ELNS1_3gpuE7ELNS1_3repE0EEENS1_48merge_mergepath_partition_config_static_selectorELNS0_4arch9wavefront6targetE1EEEvSJ_: ; @_ZN7rocprim17ROCPRIM_400000_NS6detail17trampoline_kernelINS0_14default_configENS1_38merge_sort_block_merge_config_selectorIiiEEZZNS1_27merge_sort_block_merge_implIS3_N6thrust23THRUST_200600_302600_NS6detail15normal_iteratorINS8_10device_ptrIiEEEESD_jNS1_19radix_merge_compareILb1ELb0EiNS0_19identity_decomposerEEEEE10hipError_tT0_T1_T2_jT3_P12ihipStream_tbPNSt15iterator_traitsISI_E10value_typeEPNSO_ISJ_E10value_typeEPSK_NS1_7vsmem_tEENKUlT_SI_SJ_SK_E_clISD_PiSD_S10_EESH_SX_SI_SJ_SK_EUlSX_E_NS1_11comp_targetILNS1_3genE3ELNS1_11target_archE908ELNS1_3gpuE7ELNS1_3repE0EEENS1_48merge_mergepath_partition_config_static_selectorELNS0_4arch9wavefront6targetE1EEEvSJ_
; %bb.0:
	.section	.rodata,"a",@progbits
	.p2align	6, 0x0
	.amdhsa_kernel _ZN7rocprim17ROCPRIM_400000_NS6detail17trampoline_kernelINS0_14default_configENS1_38merge_sort_block_merge_config_selectorIiiEEZZNS1_27merge_sort_block_merge_implIS3_N6thrust23THRUST_200600_302600_NS6detail15normal_iteratorINS8_10device_ptrIiEEEESD_jNS1_19radix_merge_compareILb1ELb0EiNS0_19identity_decomposerEEEEE10hipError_tT0_T1_T2_jT3_P12ihipStream_tbPNSt15iterator_traitsISI_E10value_typeEPNSO_ISJ_E10value_typeEPSK_NS1_7vsmem_tEENKUlT_SI_SJ_SK_E_clISD_PiSD_S10_EESH_SX_SI_SJ_SK_EUlSX_E_NS1_11comp_targetILNS1_3genE3ELNS1_11target_archE908ELNS1_3gpuE7ELNS1_3repE0EEENS1_48merge_mergepath_partition_config_static_selectorELNS0_4arch9wavefront6targetE1EEEvSJ_
		.amdhsa_group_segment_fixed_size 0
		.amdhsa_private_segment_fixed_size 0
		.amdhsa_kernarg_size 40
		.amdhsa_user_sgpr_count 2
		.amdhsa_user_sgpr_dispatch_ptr 0
		.amdhsa_user_sgpr_queue_ptr 0
		.amdhsa_user_sgpr_kernarg_segment_ptr 1
		.amdhsa_user_sgpr_dispatch_id 0
		.amdhsa_user_sgpr_kernarg_preload_length 0
		.amdhsa_user_sgpr_kernarg_preload_offset 0
		.amdhsa_user_sgpr_private_segment_size 0
		.amdhsa_uses_dynamic_stack 0
		.amdhsa_enable_private_segment 0
		.amdhsa_system_sgpr_workgroup_id_x 1
		.amdhsa_system_sgpr_workgroup_id_y 0
		.amdhsa_system_sgpr_workgroup_id_z 0
		.amdhsa_system_sgpr_workgroup_info 0
		.amdhsa_system_vgpr_workitem_id 0
		.amdhsa_next_free_vgpr 1
		.amdhsa_next_free_sgpr 0
		.amdhsa_accum_offset 4
		.amdhsa_reserve_vcc 0
		.amdhsa_float_round_mode_32 0
		.amdhsa_float_round_mode_16_64 0
		.amdhsa_float_denorm_mode_32 3
		.amdhsa_float_denorm_mode_16_64 3
		.amdhsa_dx10_clamp 1
		.amdhsa_ieee_mode 1
		.amdhsa_fp16_overflow 0
		.amdhsa_tg_split 0
		.amdhsa_exception_fp_ieee_invalid_op 0
		.amdhsa_exception_fp_denorm_src 0
		.amdhsa_exception_fp_ieee_div_zero 0
		.amdhsa_exception_fp_ieee_overflow 0
		.amdhsa_exception_fp_ieee_underflow 0
		.amdhsa_exception_fp_ieee_inexact 0
		.amdhsa_exception_int_div_zero 0
	.end_amdhsa_kernel
	.section	.text._ZN7rocprim17ROCPRIM_400000_NS6detail17trampoline_kernelINS0_14default_configENS1_38merge_sort_block_merge_config_selectorIiiEEZZNS1_27merge_sort_block_merge_implIS3_N6thrust23THRUST_200600_302600_NS6detail15normal_iteratorINS8_10device_ptrIiEEEESD_jNS1_19radix_merge_compareILb1ELb0EiNS0_19identity_decomposerEEEEE10hipError_tT0_T1_T2_jT3_P12ihipStream_tbPNSt15iterator_traitsISI_E10value_typeEPNSO_ISJ_E10value_typeEPSK_NS1_7vsmem_tEENKUlT_SI_SJ_SK_E_clISD_PiSD_S10_EESH_SX_SI_SJ_SK_EUlSX_E_NS1_11comp_targetILNS1_3genE3ELNS1_11target_archE908ELNS1_3gpuE7ELNS1_3repE0EEENS1_48merge_mergepath_partition_config_static_selectorELNS0_4arch9wavefront6targetE1EEEvSJ_,"axG",@progbits,_ZN7rocprim17ROCPRIM_400000_NS6detail17trampoline_kernelINS0_14default_configENS1_38merge_sort_block_merge_config_selectorIiiEEZZNS1_27merge_sort_block_merge_implIS3_N6thrust23THRUST_200600_302600_NS6detail15normal_iteratorINS8_10device_ptrIiEEEESD_jNS1_19radix_merge_compareILb1ELb0EiNS0_19identity_decomposerEEEEE10hipError_tT0_T1_T2_jT3_P12ihipStream_tbPNSt15iterator_traitsISI_E10value_typeEPNSO_ISJ_E10value_typeEPSK_NS1_7vsmem_tEENKUlT_SI_SJ_SK_E_clISD_PiSD_S10_EESH_SX_SI_SJ_SK_EUlSX_E_NS1_11comp_targetILNS1_3genE3ELNS1_11target_archE908ELNS1_3gpuE7ELNS1_3repE0EEENS1_48merge_mergepath_partition_config_static_selectorELNS0_4arch9wavefront6targetE1EEEvSJ_,comdat
.Lfunc_end1751:
	.size	_ZN7rocprim17ROCPRIM_400000_NS6detail17trampoline_kernelINS0_14default_configENS1_38merge_sort_block_merge_config_selectorIiiEEZZNS1_27merge_sort_block_merge_implIS3_N6thrust23THRUST_200600_302600_NS6detail15normal_iteratorINS8_10device_ptrIiEEEESD_jNS1_19radix_merge_compareILb1ELb0EiNS0_19identity_decomposerEEEEE10hipError_tT0_T1_T2_jT3_P12ihipStream_tbPNSt15iterator_traitsISI_E10value_typeEPNSO_ISJ_E10value_typeEPSK_NS1_7vsmem_tEENKUlT_SI_SJ_SK_E_clISD_PiSD_S10_EESH_SX_SI_SJ_SK_EUlSX_E_NS1_11comp_targetILNS1_3genE3ELNS1_11target_archE908ELNS1_3gpuE7ELNS1_3repE0EEENS1_48merge_mergepath_partition_config_static_selectorELNS0_4arch9wavefront6targetE1EEEvSJ_, .Lfunc_end1751-_ZN7rocprim17ROCPRIM_400000_NS6detail17trampoline_kernelINS0_14default_configENS1_38merge_sort_block_merge_config_selectorIiiEEZZNS1_27merge_sort_block_merge_implIS3_N6thrust23THRUST_200600_302600_NS6detail15normal_iteratorINS8_10device_ptrIiEEEESD_jNS1_19radix_merge_compareILb1ELb0EiNS0_19identity_decomposerEEEEE10hipError_tT0_T1_T2_jT3_P12ihipStream_tbPNSt15iterator_traitsISI_E10value_typeEPNSO_ISJ_E10value_typeEPSK_NS1_7vsmem_tEENKUlT_SI_SJ_SK_E_clISD_PiSD_S10_EESH_SX_SI_SJ_SK_EUlSX_E_NS1_11comp_targetILNS1_3genE3ELNS1_11target_archE908ELNS1_3gpuE7ELNS1_3repE0EEENS1_48merge_mergepath_partition_config_static_selectorELNS0_4arch9wavefront6targetE1EEEvSJ_
                                        ; -- End function
	.set _ZN7rocprim17ROCPRIM_400000_NS6detail17trampoline_kernelINS0_14default_configENS1_38merge_sort_block_merge_config_selectorIiiEEZZNS1_27merge_sort_block_merge_implIS3_N6thrust23THRUST_200600_302600_NS6detail15normal_iteratorINS8_10device_ptrIiEEEESD_jNS1_19radix_merge_compareILb1ELb0EiNS0_19identity_decomposerEEEEE10hipError_tT0_T1_T2_jT3_P12ihipStream_tbPNSt15iterator_traitsISI_E10value_typeEPNSO_ISJ_E10value_typeEPSK_NS1_7vsmem_tEENKUlT_SI_SJ_SK_E_clISD_PiSD_S10_EESH_SX_SI_SJ_SK_EUlSX_E_NS1_11comp_targetILNS1_3genE3ELNS1_11target_archE908ELNS1_3gpuE7ELNS1_3repE0EEENS1_48merge_mergepath_partition_config_static_selectorELNS0_4arch9wavefront6targetE1EEEvSJ_.num_vgpr, 0
	.set _ZN7rocprim17ROCPRIM_400000_NS6detail17trampoline_kernelINS0_14default_configENS1_38merge_sort_block_merge_config_selectorIiiEEZZNS1_27merge_sort_block_merge_implIS3_N6thrust23THRUST_200600_302600_NS6detail15normal_iteratorINS8_10device_ptrIiEEEESD_jNS1_19radix_merge_compareILb1ELb0EiNS0_19identity_decomposerEEEEE10hipError_tT0_T1_T2_jT3_P12ihipStream_tbPNSt15iterator_traitsISI_E10value_typeEPNSO_ISJ_E10value_typeEPSK_NS1_7vsmem_tEENKUlT_SI_SJ_SK_E_clISD_PiSD_S10_EESH_SX_SI_SJ_SK_EUlSX_E_NS1_11comp_targetILNS1_3genE3ELNS1_11target_archE908ELNS1_3gpuE7ELNS1_3repE0EEENS1_48merge_mergepath_partition_config_static_selectorELNS0_4arch9wavefront6targetE1EEEvSJ_.num_agpr, 0
	.set _ZN7rocprim17ROCPRIM_400000_NS6detail17trampoline_kernelINS0_14default_configENS1_38merge_sort_block_merge_config_selectorIiiEEZZNS1_27merge_sort_block_merge_implIS3_N6thrust23THRUST_200600_302600_NS6detail15normal_iteratorINS8_10device_ptrIiEEEESD_jNS1_19radix_merge_compareILb1ELb0EiNS0_19identity_decomposerEEEEE10hipError_tT0_T1_T2_jT3_P12ihipStream_tbPNSt15iterator_traitsISI_E10value_typeEPNSO_ISJ_E10value_typeEPSK_NS1_7vsmem_tEENKUlT_SI_SJ_SK_E_clISD_PiSD_S10_EESH_SX_SI_SJ_SK_EUlSX_E_NS1_11comp_targetILNS1_3genE3ELNS1_11target_archE908ELNS1_3gpuE7ELNS1_3repE0EEENS1_48merge_mergepath_partition_config_static_selectorELNS0_4arch9wavefront6targetE1EEEvSJ_.numbered_sgpr, 0
	.set _ZN7rocprim17ROCPRIM_400000_NS6detail17trampoline_kernelINS0_14default_configENS1_38merge_sort_block_merge_config_selectorIiiEEZZNS1_27merge_sort_block_merge_implIS3_N6thrust23THRUST_200600_302600_NS6detail15normal_iteratorINS8_10device_ptrIiEEEESD_jNS1_19radix_merge_compareILb1ELb0EiNS0_19identity_decomposerEEEEE10hipError_tT0_T1_T2_jT3_P12ihipStream_tbPNSt15iterator_traitsISI_E10value_typeEPNSO_ISJ_E10value_typeEPSK_NS1_7vsmem_tEENKUlT_SI_SJ_SK_E_clISD_PiSD_S10_EESH_SX_SI_SJ_SK_EUlSX_E_NS1_11comp_targetILNS1_3genE3ELNS1_11target_archE908ELNS1_3gpuE7ELNS1_3repE0EEENS1_48merge_mergepath_partition_config_static_selectorELNS0_4arch9wavefront6targetE1EEEvSJ_.num_named_barrier, 0
	.set _ZN7rocprim17ROCPRIM_400000_NS6detail17trampoline_kernelINS0_14default_configENS1_38merge_sort_block_merge_config_selectorIiiEEZZNS1_27merge_sort_block_merge_implIS3_N6thrust23THRUST_200600_302600_NS6detail15normal_iteratorINS8_10device_ptrIiEEEESD_jNS1_19radix_merge_compareILb1ELb0EiNS0_19identity_decomposerEEEEE10hipError_tT0_T1_T2_jT3_P12ihipStream_tbPNSt15iterator_traitsISI_E10value_typeEPNSO_ISJ_E10value_typeEPSK_NS1_7vsmem_tEENKUlT_SI_SJ_SK_E_clISD_PiSD_S10_EESH_SX_SI_SJ_SK_EUlSX_E_NS1_11comp_targetILNS1_3genE3ELNS1_11target_archE908ELNS1_3gpuE7ELNS1_3repE0EEENS1_48merge_mergepath_partition_config_static_selectorELNS0_4arch9wavefront6targetE1EEEvSJ_.private_seg_size, 0
	.set _ZN7rocprim17ROCPRIM_400000_NS6detail17trampoline_kernelINS0_14default_configENS1_38merge_sort_block_merge_config_selectorIiiEEZZNS1_27merge_sort_block_merge_implIS3_N6thrust23THRUST_200600_302600_NS6detail15normal_iteratorINS8_10device_ptrIiEEEESD_jNS1_19radix_merge_compareILb1ELb0EiNS0_19identity_decomposerEEEEE10hipError_tT0_T1_T2_jT3_P12ihipStream_tbPNSt15iterator_traitsISI_E10value_typeEPNSO_ISJ_E10value_typeEPSK_NS1_7vsmem_tEENKUlT_SI_SJ_SK_E_clISD_PiSD_S10_EESH_SX_SI_SJ_SK_EUlSX_E_NS1_11comp_targetILNS1_3genE3ELNS1_11target_archE908ELNS1_3gpuE7ELNS1_3repE0EEENS1_48merge_mergepath_partition_config_static_selectorELNS0_4arch9wavefront6targetE1EEEvSJ_.uses_vcc, 0
	.set _ZN7rocprim17ROCPRIM_400000_NS6detail17trampoline_kernelINS0_14default_configENS1_38merge_sort_block_merge_config_selectorIiiEEZZNS1_27merge_sort_block_merge_implIS3_N6thrust23THRUST_200600_302600_NS6detail15normal_iteratorINS8_10device_ptrIiEEEESD_jNS1_19radix_merge_compareILb1ELb0EiNS0_19identity_decomposerEEEEE10hipError_tT0_T1_T2_jT3_P12ihipStream_tbPNSt15iterator_traitsISI_E10value_typeEPNSO_ISJ_E10value_typeEPSK_NS1_7vsmem_tEENKUlT_SI_SJ_SK_E_clISD_PiSD_S10_EESH_SX_SI_SJ_SK_EUlSX_E_NS1_11comp_targetILNS1_3genE3ELNS1_11target_archE908ELNS1_3gpuE7ELNS1_3repE0EEENS1_48merge_mergepath_partition_config_static_selectorELNS0_4arch9wavefront6targetE1EEEvSJ_.uses_flat_scratch, 0
	.set _ZN7rocprim17ROCPRIM_400000_NS6detail17trampoline_kernelINS0_14default_configENS1_38merge_sort_block_merge_config_selectorIiiEEZZNS1_27merge_sort_block_merge_implIS3_N6thrust23THRUST_200600_302600_NS6detail15normal_iteratorINS8_10device_ptrIiEEEESD_jNS1_19radix_merge_compareILb1ELb0EiNS0_19identity_decomposerEEEEE10hipError_tT0_T1_T2_jT3_P12ihipStream_tbPNSt15iterator_traitsISI_E10value_typeEPNSO_ISJ_E10value_typeEPSK_NS1_7vsmem_tEENKUlT_SI_SJ_SK_E_clISD_PiSD_S10_EESH_SX_SI_SJ_SK_EUlSX_E_NS1_11comp_targetILNS1_3genE3ELNS1_11target_archE908ELNS1_3gpuE7ELNS1_3repE0EEENS1_48merge_mergepath_partition_config_static_selectorELNS0_4arch9wavefront6targetE1EEEvSJ_.has_dyn_sized_stack, 0
	.set _ZN7rocprim17ROCPRIM_400000_NS6detail17trampoline_kernelINS0_14default_configENS1_38merge_sort_block_merge_config_selectorIiiEEZZNS1_27merge_sort_block_merge_implIS3_N6thrust23THRUST_200600_302600_NS6detail15normal_iteratorINS8_10device_ptrIiEEEESD_jNS1_19radix_merge_compareILb1ELb0EiNS0_19identity_decomposerEEEEE10hipError_tT0_T1_T2_jT3_P12ihipStream_tbPNSt15iterator_traitsISI_E10value_typeEPNSO_ISJ_E10value_typeEPSK_NS1_7vsmem_tEENKUlT_SI_SJ_SK_E_clISD_PiSD_S10_EESH_SX_SI_SJ_SK_EUlSX_E_NS1_11comp_targetILNS1_3genE3ELNS1_11target_archE908ELNS1_3gpuE7ELNS1_3repE0EEENS1_48merge_mergepath_partition_config_static_selectorELNS0_4arch9wavefront6targetE1EEEvSJ_.has_recursion, 0
	.set _ZN7rocprim17ROCPRIM_400000_NS6detail17trampoline_kernelINS0_14default_configENS1_38merge_sort_block_merge_config_selectorIiiEEZZNS1_27merge_sort_block_merge_implIS3_N6thrust23THRUST_200600_302600_NS6detail15normal_iteratorINS8_10device_ptrIiEEEESD_jNS1_19radix_merge_compareILb1ELb0EiNS0_19identity_decomposerEEEEE10hipError_tT0_T1_T2_jT3_P12ihipStream_tbPNSt15iterator_traitsISI_E10value_typeEPNSO_ISJ_E10value_typeEPSK_NS1_7vsmem_tEENKUlT_SI_SJ_SK_E_clISD_PiSD_S10_EESH_SX_SI_SJ_SK_EUlSX_E_NS1_11comp_targetILNS1_3genE3ELNS1_11target_archE908ELNS1_3gpuE7ELNS1_3repE0EEENS1_48merge_mergepath_partition_config_static_selectorELNS0_4arch9wavefront6targetE1EEEvSJ_.has_indirect_call, 0
	.section	.AMDGPU.csdata,"",@progbits
; Kernel info:
; codeLenInByte = 0
; TotalNumSgprs: 6
; NumVgprs: 0
; NumAgprs: 0
; TotalNumVgprs: 0
; ScratchSize: 0
; MemoryBound: 0
; FloatMode: 240
; IeeeMode: 1
; LDSByteSize: 0 bytes/workgroup (compile time only)
; SGPRBlocks: 0
; VGPRBlocks: 0
; NumSGPRsForWavesPerEU: 6
; NumVGPRsForWavesPerEU: 1
; AccumOffset: 4
; Occupancy: 8
; WaveLimiterHint : 0
; COMPUTE_PGM_RSRC2:SCRATCH_EN: 0
; COMPUTE_PGM_RSRC2:USER_SGPR: 2
; COMPUTE_PGM_RSRC2:TRAP_HANDLER: 0
; COMPUTE_PGM_RSRC2:TGID_X_EN: 1
; COMPUTE_PGM_RSRC2:TGID_Y_EN: 0
; COMPUTE_PGM_RSRC2:TGID_Z_EN: 0
; COMPUTE_PGM_RSRC2:TIDIG_COMP_CNT: 0
; COMPUTE_PGM_RSRC3_GFX90A:ACCUM_OFFSET: 0
; COMPUTE_PGM_RSRC3_GFX90A:TG_SPLIT: 0
	.section	.text._ZN7rocprim17ROCPRIM_400000_NS6detail17trampoline_kernelINS0_14default_configENS1_38merge_sort_block_merge_config_selectorIiiEEZZNS1_27merge_sort_block_merge_implIS3_N6thrust23THRUST_200600_302600_NS6detail15normal_iteratorINS8_10device_ptrIiEEEESD_jNS1_19radix_merge_compareILb1ELb0EiNS0_19identity_decomposerEEEEE10hipError_tT0_T1_T2_jT3_P12ihipStream_tbPNSt15iterator_traitsISI_E10value_typeEPNSO_ISJ_E10value_typeEPSK_NS1_7vsmem_tEENKUlT_SI_SJ_SK_E_clISD_PiSD_S10_EESH_SX_SI_SJ_SK_EUlSX_E_NS1_11comp_targetILNS1_3genE2ELNS1_11target_archE906ELNS1_3gpuE6ELNS1_3repE0EEENS1_48merge_mergepath_partition_config_static_selectorELNS0_4arch9wavefront6targetE1EEEvSJ_,"axG",@progbits,_ZN7rocprim17ROCPRIM_400000_NS6detail17trampoline_kernelINS0_14default_configENS1_38merge_sort_block_merge_config_selectorIiiEEZZNS1_27merge_sort_block_merge_implIS3_N6thrust23THRUST_200600_302600_NS6detail15normal_iteratorINS8_10device_ptrIiEEEESD_jNS1_19radix_merge_compareILb1ELb0EiNS0_19identity_decomposerEEEEE10hipError_tT0_T1_T2_jT3_P12ihipStream_tbPNSt15iterator_traitsISI_E10value_typeEPNSO_ISJ_E10value_typeEPSK_NS1_7vsmem_tEENKUlT_SI_SJ_SK_E_clISD_PiSD_S10_EESH_SX_SI_SJ_SK_EUlSX_E_NS1_11comp_targetILNS1_3genE2ELNS1_11target_archE906ELNS1_3gpuE6ELNS1_3repE0EEENS1_48merge_mergepath_partition_config_static_selectorELNS0_4arch9wavefront6targetE1EEEvSJ_,comdat
	.protected	_ZN7rocprim17ROCPRIM_400000_NS6detail17trampoline_kernelINS0_14default_configENS1_38merge_sort_block_merge_config_selectorIiiEEZZNS1_27merge_sort_block_merge_implIS3_N6thrust23THRUST_200600_302600_NS6detail15normal_iteratorINS8_10device_ptrIiEEEESD_jNS1_19radix_merge_compareILb1ELb0EiNS0_19identity_decomposerEEEEE10hipError_tT0_T1_T2_jT3_P12ihipStream_tbPNSt15iterator_traitsISI_E10value_typeEPNSO_ISJ_E10value_typeEPSK_NS1_7vsmem_tEENKUlT_SI_SJ_SK_E_clISD_PiSD_S10_EESH_SX_SI_SJ_SK_EUlSX_E_NS1_11comp_targetILNS1_3genE2ELNS1_11target_archE906ELNS1_3gpuE6ELNS1_3repE0EEENS1_48merge_mergepath_partition_config_static_selectorELNS0_4arch9wavefront6targetE1EEEvSJ_ ; -- Begin function _ZN7rocprim17ROCPRIM_400000_NS6detail17trampoline_kernelINS0_14default_configENS1_38merge_sort_block_merge_config_selectorIiiEEZZNS1_27merge_sort_block_merge_implIS3_N6thrust23THRUST_200600_302600_NS6detail15normal_iteratorINS8_10device_ptrIiEEEESD_jNS1_19radix_merge_compareILb1ELb0EiNS0_19identity_decomposerEEEEE10hipError_tT0_T1_T2_jT3_P12ihipStream_tbPNSt15iterator_traitsISI_E10value_typeEPNSO_ISJ_E10value_typeEPSK_NS1_7vsmem_tEENKUlT_SI_SJ_SK_E_clISD_PiSD_S10_EESH_SX_SI_SJ_SK_EUlSX_E_NS1_11comp_targetILNS1_3genE2ELNS1_11target_archE906ELNS1_3gpuE6ELNS1_3repE0EEENS1_48merge_mergepath_partition_config_static_selectorELNS0_4arch9wavefront6targetE1EEEvSJ_
	.globl	_ZN7rocprim17ROCPRIM_400000_NS6detail17trampoline_kernelINS0_14default_configENS1_38merge_sort_block_merge_config_selectorIiiEEZZNS1_27merge_sort_block_merge_implIS3_N6thrust23THRUST_200600_302600_NS6detail15normal_iteratorINS8_10device_ptrIiEEEESD_jNS1_19radix_merge_compareILb1ELb0EiNS0_19identity_decomposerEEEEE10hipError_tT0_T1_T2_jT3_P12ihipStream_tbPNSt15iterator_traitsISI_E10value_typeEPNSO_ISJ_E10value_typeEPSK_NS1_7vsmem_tEENKUlT_SI_SJ_SK_E_clISD_PiSD_S10_EESH_SX_SI_SJ_SK_EUlSX_E_NS1_11comp_targetILNS1_3genE2ELNS1_11target_archE906ELNS1_3gpuE6ELNS1_3repE0EEENS1_48merge_mergepath_partition_config_static_selectorELNS0_4arch9wavefront6targetE1EEEvSJ_
	.p2align	8
	.type	_ZN7rocprim17ROCPRIM_400000_NS6detail17trampoline_kernelINS0_14default_configENS1_38merge_sort_block_merge_config_selectorIiiEEZZNS1_27merge_sort_block_merge_implIS3_N6thrust23THRUST_200600_302600_NS6detail15normal_iteratorINS8_10device_ptrIiEEEESD_jNS1_19radix_merge_compareILb1ELb0EiNS0_19identity_decomposerEEEEE10hipError_tT0_T1_T2_jT3_P12ihipStream_tbPNSt15iterator_traitsISI_E10value_typeEPNSO_ISJ_E10value_typeEPSK_NS1_7vsmem_tEENKUlT_SI_SJ_SK_E_clISD_PiSD_S10_EESH_SX_SI_SJ_SK_EUlSX_E_NS1_11comp_targetILNS1_3genE2ELNS1_11target_archE906ELNS1_3gpuE6ELNS1_3repE0EEENS1_48merge_mergepath_partition_config_static_selectorELNS0_4arch9wavefront6targetE1EEEvSJ_,@function
_ZN7rocprim17ROCPRIM_400000_NS6detail17trampoline_kernelINS0_14default_configENS1_38merge_sort_block_merge_config_selectorIiiEEZZNS1_27merge_sort_block_merge_implIS3_N6thrust23THRUST_200600_302600_NS6detail15normal_iteratorINS8_10device_ptrIiEEEESD_jNS1_19radix_merge_compareILb1ELb0EiNS0_19identity_decomposerEEEEE10hipError_tT0_T1_T2_jT3_P12ihipStream_tbPNSt15iterator_traitsISI_E10value_typeEPNSO_ISJ_E10value_typeEPSK_NS1_7vsmem_tEENKUlT_SI_SJ_SK_E_clISD_PiSD_S10_EESH_SX_SI_SJ_SK_EUlSX_E_NS1_11comp_targetILNS1_3genE2ELNS1_11target_archE906ELNS1_3gpuE6ELNS1_3repE0EEENS1_48merge_mergepath_partition_config_static_selectorELNS0_4arch9wavefront6targetE1EEEvSJ_: ; @_ZN7rocprim17ROCPRIM_400000_NS6detail17trampoline_kernelINS0_14default_configENS1_38merge_sort_block_merge_config_selectorIiiEEZZNS1_27merge_sort_block_merge_implIS3_N6thrust23THRUST_200600_302600_NS6detail15normal_iteratorINS8_10device_ptrIiEEEESD_jNS1_19radix_merge_compareILb1ELb0EiNS0_19identity_decomposerEEEEE10hipError_tT0_T1_T2_jT3_P12ihipStream_tbPNSt15iterator_traitsISI_E10value_typeEPNSO_ISJ_E10value_typeEPSK_NS1_7vsmem_tEENKUlT_SI_SJ_SK_E_clISD_PiSD_S10_EESH_SX_SI_SJ_SK_EUlSX_E_NS1_11comp_targetILNS1_3genE2ELNS1_11target_archE906ELNS1_3gpuE6ELNS1_3repE0EEENS1_48merge_mergepath_partition_config_static_selectorELNS0_4arch9wavefront6targetE1EEEvSJ_
; %bb.0:
	.section	.rodata,"a",@progbits
	.p2align	6, 0x0
	.amdhsa_kernel _ZN7rocprim17ROCPRIM_400000_NS6detail17trampoline_kernelINS0_14default_configENS1_38merge_sort_block_merge_config_selectorIiiEEZZNS1_27merge_sort_block_merge_implIS3_N6thrust23THRUST_200600_302600_NS6detail15normal_iteratorINS8_10device_ptrIiEEEESD_jNS1_19radix_merge_compareILb1ELb0EiNS0_19identity_decomposerEEEEE10hipError_tT0_T1_T2_jT3_P12ihipStream_tbPNSt15iterator_traitsISI_E10value_typeEPNSO_ISJ_E10value_typeEPSK_NS1_7vsmem_tEENKUlT_SI_SJ_SK_E_clISD_PiSD_S10_EESH_SX_SI_SJ_SK_EUlSX_E_NS1_11comp_targetILNS1_3genE2ELNS1_11target_archE906ELNS1_3gpuE6ELNS1_3repE0EEENS1_48merge_mergepath_partition_config_static_selectorELNS0_4arch9wavefront6targetE1EEEvSJ_
		.amdhsa_group_segment_fixed_size 0
		.amdhsa_private_segment_fixed_size 0
		.amdhsa_kernarg_size 40
		.amdhsa_user_sgpr_count 2
		.amdhsa_user_sgpr_dispatch_ptr 0
		.amdhsa_user_sgpr_queue_ptr 0
		.amdhsa_user_sgpr_kernarg_segment_ptr 1
		.amdhsa_user_sgpr_dispatch_id 0
		.amdhsa_user_sgpr_kernarg_preload_length 0
		.amdhsa_user_sgpr_kernarg_preload_offset 0
		.amdhsa_user_sgpr_private_segment_size 0
		.amdhsa_uses_dynamic_stack 0
		.amdhsa_enable_private_segment 0
		.amdhsa_system_sgpr_workgroup_id_x 1
		.amdhsa_system_sgpr_workgroup_id_y 0
		.amdhsa_system_sgpr_workgroup_id_z 0
		.amdhsa_system_sgpr_workgroup_info 0
		.amdhsa_system_vgpr_workitem_id 0
		.amdhsa_next_free_vgpr 1
		.amdhsa_next_free_sgpr 0
		.amdhsa_accum_offset 4
		.amdhsa_reserve_vcc 0
		.amdhsa_float_round_mode_32 0
		.amdhsa_float_round_mode_16_64 0
		.amdhsa_float_denorm_mode_32 3
		.amdhsa_float_denorm_mode_16_64 3
		.amdhsa_dx10_clamp 1
		.amdhsa_ieee_mode 1
		.amdhsa_fp16_overflow 0
		.amdhsa_tg_split 0
		.amdhsa_exception_fp_ieee_invalid_op 0
		.amdhsa_exception_fp_denorm_src 0
		.amdhsa_exception_fp_ieee_div_zero 0
		.amdhsa_exception_fp_ieee_overflow 0
		.amdhsa_exception_fp_ieee_underflow 0
		.amdhsa_exception_fp_ieee_inexact 0
		.amdhsa_exception_int_div_zero 0
	.end_amdhsa_kernel
	.section	.text._ZN7rocprim17ROCPRIM_400000_NS6detail17trampoline_kernelINS0_14default_configENS1_38merge_sort_block_merge_config_selectorIiiEEZZNS1_27merge_sort_block_merge_implIS3_N6thrust23THRUST_200600_302600_NS6detail15normal_iteratorINS8_10device_ptrIiEEEESD_jNS1_19radix_merge_compareILb1ELb0EiNS0_19identity_decomposerEEEEE10hipError_tT0_T1_T2_jT3_P12ihipStream_tbPNSt15iterator_traitsISI_E10value_typeEPNSO_ISJ_E10value_typeEPSK_NS1_7vsmem_tEENKUlT_SI_SJ_SK_E_clISD_PiSD_S10_EESH_SX_SI_SJ_SK_EUlSX_E_NS1_11comp_targetILNS1_3genE2ELNS1_11target_archE906ELNS1_3gpuE6ELNS1_3repE0EEENS1_48merge_mergepath_partition_config_static_selectorELNS0_4arch9wavefront6targetE1EEEvSJ_,"axG",@progbits,_ZN7rocprim17ROCPRIM_400000_NS6detail17trampoline_kernelINS0_14default_configENS1_38merge_sort_block_merge_config_selectorIiiEEZZNS1_27merge_sort_block_merge_implIS3_N6thrust23THRUST_200600_302600_NS6detail15normal_iteratorINS8_10device_ptrIiEEEESD_jNS1_19radix_merge_compareILb1ELb0EiNS0_19identity_decomposerEEEEE10hipError_tT0_T1_T2_jT3_P12ihipStream_tbPNSt15iterator_traitsISI_E10value_typeEPNSO_ISJ_E10value_typeEPSK_NS1_7vsmem_tEENKUlT_SI_SJ_SK_E_clISD_PiSD_S10_EESH_SX_SI_SJ_SK_EUlSX_E_NS1_11comp_targetILNS1_3genE2ELNS1_11target_archE906ELNS1_3gpuE6ELNS1_3repE0EEENS1_48merge_mergepath_partition_config_static_selectorELNS0_4arch9wavefront6targetE1EEEvSJ_,comdat
.Lfunc_end1752:
	.size	_ZN7rocprim17ROCPRIM_400000_NS6detail17trampoline_kernelINS0_14default_configENS1_38merge_sort_block_merge_config_selectorIiiEEZZNS1_27merge_sort_block_merge_implIS3_N6thrust23THRUST_200600_302600_NS6detail15normal_iteratorINS8_10device_ptrIiEEEESD_jNS1_19radix_merge_compareILb1ELb0EiNS0_19identity_decomposerEEEEE10hipError_tT0_T1_T2_jT3_P12ihipStream_tbPNSt15iterator_traitsISI_E10value_typeEPNSO_ISJ_E10value_typeEPSK_NS1_7vsmem_tEENKUlT_SI_SJ_SK_E_clISD_PiSD_S10_EESH_SX_SI_SJ_SK_EUlSX_E_NS1_11comp_targetILNS1_3genE2ELNS1_11target_archE906ELNS1_3gpuE6ELNS1_3repE0EEENS1_48merge_mergepath_partition_config_static_selectorELNS0_4arch9wavefront6targetE1EEEvSJ_, .Lfunc_end1752-_ZN7rocprim17ROCPRIM_400000_NS6detail17trampoline_kernelINS0_14default_configENS1_38merge_sort_block_merge_config_selectorIiiEEZZNS1_27merge_sort_block_merge_implIS3_N6thrust23THRUST_200600_302600_NS6detail15normal_iteratorINS8_10device_ptrIiEEEESD_jNS1_19radix_merge_compareILb1ELb0EiNS0_19identity_decomposerEEEEE10hipError_tT0_T1_T2_jT3_P12ihipStream_tbPNSt15iterator_traitsISI_E10value_typeEPNSO_ISJ_E10value_typeEPSK_NS1_7vsmem_tEENKUlT_SI_SJ_SK_E_clISD_PiSD_S10_EESH_SX_SI_SJ_SK_EUlSX_E_NS1_11comp_targetILNS1_3genE2ELNS1_11target_archE906ELNS1_3gpuE6ELNS1_3repE0EEENS1_48merge_mergepath_partition_config_static_selectorELNS0_4arch9wavefront6targetE1EEEvSJ_
                                        ; -- End function
	.set _ZN7rocprim17ROCPRIM_400000_NS6detail17trampoline_kernelINS0_14default_configENS1_38merge_sort_block_merge_config_selectorIiiEEZZNS1_27merge_sort_block_merge_implIS3_N6thrust23THRUST_200600_302600_NS6detail15normal_iteratorINS8_10device_ptrIiEEEESD_jNS1_19radix_merge_compareILb1ELb0EiNS0_19identity_decomposerEEEEE10hipError_tT0_T1_T2_jT3_P12ihipStream_tbPNSt15iterator_traitsISI_E10value_typeEPNSO_ISJ_E10value_typeEPSK_NS1_7vsmem_tEENKUlT_SI_SJ_SK_E_clISD_PiSD_S10_EESH_SX_SI_SJ_SK_EUlSX_E_NS1_11comp_targetILNS1_3genE2ELNS1_11target_archE906ELNS1_3gpuE6ELNS1_3repE0EEENS1_48merge_mergepath_partition_config_static_selectorELNS0_4arch9wavefront6targetE1EEEvSJ_.num_vgpr, 0
	.set _ZN7rocprim17ROCPRIM_400000_NS6detail17trampoline_kernelINS0_14default_configENS1_38merge_sort_block_merge_config_selectorIiiEEZZNS1_27merge_sort_block_merge_implIS3_N6thrust23THRUST_200600_302600_NS6detail15normal_iteratorINS8_10device_ptrIiEEEESD_jNS1_19radix_merge_compareILb1ELb0EiNS0_19identity_decomposerEEEEE10hipError_tT0_T1_T2_jT3_P12ihipStream_tbPNSt15iterator_traitsISI_E10value_typeEPNSO_ISJ_E10value_typeEPSK_NS1_7vsmem_tEENKUlT_SI_SJ_SK_E_clISD_PiSD_S10_EESH_SX_SI_SJ_SK_EUlSX_E_NS1_11comp_targetILNS1_3genE2ELNS1_11target_archE906ELNS1_3gpuE6ELNS1_3repE0EEENS1_48merge_mergepath_partition_config_static_selectorELNS0_4arch9wavefront6targetE1EEEvSJ_.num_agpr, 0
	.set _ZN7rocprim17ROCPRIM_400000_NS6detail17trampoline_kernelINS0_14default_configENS1_38merge_sort_block_merge_config_selectorIiiEEZZNS1_27merge_sort_block_merge_implIS3_N6thrust23THRUST_200600_302600_NS6detail15normal_iteratorINS8_10device_ptrIiEEEESD_jNS1_19radix_merge_compareILb1ELb0EiNS0_19identity_decomposerEEEEE10hipError_tT0_T1_T2_jT3_P12ihipStream_tbPNSt15iterator_traitsISI_E10value_typeEPNSO_ISJ_E10value_typeEPSK_NS1_7vsmem_tEENKUlT_SI_SJ_SK_E_clISD_PiSD_S10_EESH_SX_SI_SJ_SK_EUlSX_E_NS1_11comp_targetILNS1_3genE2ELNS1_11target_archE906ELNS1_3gpuE6ELNS1_3repE0EEENS1_48merge_mergepath_partition_config_static_selectorELNS0_4arch9wavefront6targetE1EEEvSJ_.numbered_sgpr, 0
	.set _ZN7rocprim17ROCPRIM_400000_NS6detail17trampoline_kernelINS0_14default_configENS1_38merge_sort_block_merge_config_selectorIiiEEZZNS1_27merge_sort_block_merge_implIS3_N6thrust23THRUST_200600_302600_NS6detail15normal_iteratorINS8_10device_ptrIiEEEESD_jNS1_19radix_merge_compareILb1ELb0EiNS0_19identity_decomposerEEEEE10hipError_tT0_T1_T2_jT3_P12ihipStream_tbPNSt15iterator_traitsISI_E10value_typeEPNSO_ISJ_E10value_typeEPSK_NS1_7vsmem_tEENKUlT_SI_SJ_SK_E_clISD_PiSD_S10_EESH_SX_SI_SJ_SK_EUlSX_E_NS1_11comp_targetILNS1_3genE2ELNS1_11target_archE906ELNS1_3gpuE6ELNS1_3repE0EEENS1_48merge_mergepath_partition_config_static_selectorELNS0_4arch9wavefront6targetE1EEEvSJ_.num_named_barrier, 0
	.set _ZN7rocprim17ROCPRIM_400000_NS6detail17trampoline_kernelINS0_14default_configENS1_38merge_sort_block_merge_config_selectorIiiEEZZNS1_27merge_sort_block_merge_implIS3_N6thrust23THRUST_200600_302600_NS6detail15normal_iteratorINS8_10device_ptrIiEEEESD_jNS1_19radix_merge_compareILb1ELb0EiNS0_19identity_decomposerEEEEE10hipError_tT0_T1_T2_jT3_P12ihipStream_tbPNSt15iterator_traitsISI_E10value_typeEPNSO_ISJ_E10value_typeEPSK_NS1_7vsmem_tEENKUlT_SI_SJ_SK_E_clISD_PiSD_S10_EESH_SX_SI_SJ_SK_EUlSX_E_NS1_11comp_targetILNS1_3genE2ELNS1_11target_archE906ELNS1_3gpuE6ELNS1_3repE0EEENS1_48merge_mergepath_partition_config_static_selectorELNS0_4arch9wavefront6targetE1EEEvSJ_.private_seg_size, 0
	.set _ZN7rocprim17ROCPRIM_400000_NS6detail17trampoline_kernelINS0_14default_configENS1_38merge_sort_block_merge_config_selectorIiiEEZZNS1_27merge_sort_block_merge_implIS3_N6thrust23THRUST_200600_302600_NS6detail15normal_iteratorINS8_10device_ptrIiEEEESD_jNS1_19radix_merge_compareILb1ELb0EiNS0_19identity_decomposerEEEEE10hipError_tT0_T1_T2_jT3_P12ihipStream_tbPNSt15iterator_traitsISI_E10value_typeEPNSO_ISJ_E10value_typeEPSK_NS1_7vsmem_tEENKUlT_SI_SJ_SK_E_clISD_PiSD_S10_EESH_SX_SI_SJ_SK_EUlSX_E_NS1_11comp_targetILNS1_3genE2ELNS1_11target_archE906ELNS1_3gpuE6ELNS1_3repE0EEENS1_48merge_mergepath_partition_config_static_selectorELNS0_4arch9wavefront6targetE1EEEvSJ_.uses_vcc, 0
	.set _ZN7rocprim17ROCPRIM_400000_NS6detail17trampoline_kernelINS0_14default_configENS1_38merge_sort_block_merge_config_selectorIiiEEZZNS1_27merge_sort_block_merge_implIS3_N6thrust23THRUST_200600_302600_NS6detail15normal_iteratorINS8_10device_ptrIiEEEESD_jNS1_19radix_merge_compareILb1ELb0EiNS0_19identity_decomposerEEEEE10hipError_tT0_T1_T2_jT3_P12ihipStream_tbPNSt15iterator_traitsISI_E10value_typeEPNSO_ISJ_E10value_typeEPSK_NS1_7vsmem_tEENKUlT_SI_SJ_SK_E_clISD_PiSD_S10_EESH_SX_SI_SJ_SK_EUlSX_E_NS1_11comp_targetILNS1_3genE2ELNS1_11target_archE906ELNS1_3gpuE6ELNS1_3repE0EEENS1_48merge_mergepath_partition_config_static_selectorELNS0_4arch9wavefront6targetE1EEEvSJ_.uses_flat_scratch, 0
	.set _ZN7rocprim17ROCPRIM_400000_NS6detail17trampoline_kernelINS0_14default_configENS1_38merge_sort_block_merge_config_selectorIiiEEZZNS1_27merge_sort_block_merge_implIS3_N6thrust23THRUST_200600_302600_NS6detail15normal_iteratorINS8_10device_ptrIiEEEESD_jNS1_19radix_merge_compareILb1ELb0EiNS0_19identity_decomposerEEEEE10hipError_tT0_T1_T2_jT3_P12ihipStream_tbPNSt15iterator_traitsISI_E10value_typeEPNSO_ISJ_E10value_typeEPSK_NS1_7vsmem_tEENKUlT_SI_SJ_SK_E_clISD_PiSD_S10_EESH_SX_SI_SJ_SK_EUlSX_E_NS1_11comp_targetILNS1_3genE2ELNS1_11target_archE906ELNS1_3gpuE6ELNS1_3repE0EEENS1_48merge_mergepath_partition_config_static_selectorELNS0_4arch9wavefront6targetE1EEEvSJ_.has_dyn_sized_stack, 0
	.set _ZN7rocprim17ROCPRIM_400000_NS6detail17trampoline_kernelINS0_14default_configENS1_38merge_sort_block_merge_config_selectorIiiEEZZNS1_27merge_sort_block_merge_implIS3_N6thrust23THRUST_200600_302600_NS6detail15normal_iteratorINS8_10device_ptrIiEEEESD_jNS1_19radix_merge_compareILb1ELb0EiNS0_19identity_decomposerEEEEE10hipError_tT0_T1_T2_jT3_P12ihipStream_tbPNSt15iterator_traitsISI_E10value_typeEPNSO_ISJ_E10value_typeEPSK_NS1_7vsmem_tEENKUlT_SI_SJ_SK_E_clISD_PiSD_S10_EESH_SX_SI_SJ_SK_EUlSX_E_NS1_11comp_targetILNS1_3genE2ELNS1_11target_archE906ELNS1_3gpuE6ELNS1_3repE0EEENS1_48merge_mergepath_partition_config_static_selectorELNS0_4arch9wavefront6targetE1EEEvSJ_.has_recursion, 0
	.set _ZN7rocprim17ROCPRIM_400000_NS6detail17trampoline_kernelINS0_14default_configENS1_38merge_sort_block_merge_config_selectorIiiEEZZNS1_27merge_sort_block_merge_implIS3_N6thrust23THRUST_200600_302600_NS6detail15normal_iteratorINS8_10device_ptrIiEEEESD_jNS1_19radix_merge_compareILb1ELb0EiNS0_19identity_decomposerEEEEE10hipError_tT0_T1_T2_jT3_P12ihipStream_tbPNSt15iterator_traitsISI_E10value_typeEPNSO_ISJ_E10value_typeEPSK_NS1_7vsmem_tEENKUlT_SI_SJ_SK_E_clISD_PiSD_S10_EESH_SX_SI_SJ_SK_EUlSX_E_NS1_11comp_targetILNS1_3genE2ELNS1_11target_archE906ELNS1_3gpuE6ELNS1_3repE0EEENS1_48merge_mergepath_partition_config_static_selectorELNS0_4arch9wavefront6targetE1EEEvSJ_.has_indirect_call, 0
	.section	.AMDGPU.csdata,"",@progbits
; Kernel info:
; codeLenInByte = 0
; TotalNumSgprs: 6
; NumVgprs: 0
; NumAgprs: 0
; TotalNumVgprs: 0
; ScratchSize: 0
; MemoryBound: 0
; FloatMode: 240
; IeeeMode: 1
; LDSByteSize: 0 bytes/workgroup (compile time only)
; SGPRBlocks: 0
; VGPRBlocks: 0
; NumSGPRsForWavesPerEU: 6
; NumVGPRsForWavesPerEU: 1
; AccumOffset: 4
; Occupancy: 8
; WaveLimiterHint : 0
; COMPUTE_PGM_RSRC2:SCRATCH_EN: 0
; COMPUTE_PGM_RSRC2:USER_SGPR: 2
; COMPUTE_PGM_RSRC2:TRAP_HANDLER: 0
; COMPUTE_PGM_RSRC2:TGID_X_EN: 1
; COMPUTE_PGM_RSRC2:TGID_Y_EN: 0
; COMPUTE_PGM_RSRC2:TGID_Z_EN: 0
; COMPUTE_PGM_RSRC2:TIDIG_COMP_CNT: 0
; COMPUTE_PGM_RSRC3_GFX90A:ACCUM_OFFSET: 0
; COMPUTE_PGM_RSRC3_GFX90A:TG_SPLIT: 0
	.section	.text._ZN7rocprim17ROCPRIM_400000_NS6detail17trampoline_kernelINS0_14default_configENS1_38merge_sort_block_merge_config_selectorIiiEEZZNS1_27merge_sort_block_merge_implIS3_N6thrust23THRUST_200600_302600_NS6detail15normal_iteratorINS8_10device_ptrIiEEEESD_jNS1_19radix_merge_compareILb1ELb0EiNS0_19identity_decomposerEEEEE10hipError_tT0_T1_T2_jT3_P12ihipStream_tbPNSt15iterator_traitsISI_E10value_typeEPNSO_ISJ_E10value_typeEPSK_NS1_7vsmem_tEENKUlT_SI_SJ_SK_E_clISD_PiSD_S10_EESH_SX_SI_SJ_SK_EUlSX_E_NS1_11comp_targetILNS1_3genE9ELNS1_11target_archE1100ELNS1_3gpuE3ELNS1_3repE0EEENS1_48merge_mergepath_partition_config_static_selectorELNS0_4arch9wavefront6targetE1EEEvSJ_,"axG",@progbits,_ZN7rocprim17ROCPRIM_400000_NS6detail17trampoline_kernelINS0_14default_configENS1_38merge_sort_block_merge_config_selectorIiiEEZZNS1_27merge_sort_block_merge_implIS3_N6thrust23THRUST_200600_302600_NS6detail15normal_iteratorINS8_10device_ptrIiEEEESD_jNS1_19radix_merge_compareILb1ELb0EiNS0_19identity_decomposerEEEEE10hipError_tT0_T1_T2_jT3_P12ihipStream_tbPNSt15iterator_traitsISI_E10value_typeEPNSO_ISJ_E10value_typeEPSK_NS1_7vsmem_tEENKUlT_SI_SJ_SK_E_clISD_PiSD_S10_EESH_SX_SI_SJ_SK_EUlSX_E_NS1_11comp_targetILNS1_3genE9ELNS1_11target_archE1100ELNS1_3gpuE3ELNS1_3repE0EEENS1_48merge_mergepath_partition_config_static_selectorELNS0_4arch9wavefront6targetE1EEEvSJ_,comdat
	.protected	_ZN7rocprim17ROCPRIM_400000_NS6detail17trampoline_kernelINS0_14default_configENS1_38merge_sort_block_merge_config_selectorIiiEEZZNS1_27merge_sort_block_merge_implIS3_N6thrust23THRUST_200600_302600_NS6detail15normal_iteratorINS8_10device_ptrIiEEEESD_jNS1_19radix_merge_compareILb1ELb0EiNS0_19identity_decomposerEEEEE10hipError_tT0_T1_T2_jT3_P12ihipStream_tbPNSt15iterator_traitsISI_E10value_typeEPNSO_ISJ_E10value_typeEPSK_NS1_7vsmem_tEENKUlT_SI_SJ_SK_E_clISD_PiSD_S10_EESH_SX_SI_SJ_SK_EUlSX_E_NS1_11comp_targetILNS1_3genE9ELNS1_11target_archE1100ELNS1_3gpuE3ELNS1_3repE0EEENS1_48merge_mergepath_partition_config_static_selectorELNS0_4arch9wavefront6targetE1EEEvSJ_ ; -- Begin function _ZN7rocprim17ROCPRIM_400000_NS6detail17trampoline_kernelINS0_14default_configENS1_38merge_sort_block_merge_config_selectorIiiEEZZNS1_27merge_sort_block_merge_implIS3_N6thrust23THRUST_200600_302600_NS6detail15normal_iteratorINS8_10device_ptrIiEEEESD_jNS1_19radix_merge_compareILb1ELb0EiNS0_19identity_decomposerEEEEE10hipError_tT0_T1_T2_jT3_P12ihipStream_tbPNSt15iterator_traitsISI_E10value_typeEPNSO_ISJ_E10value_typeEPSK_NS1_7vsmem_tEENKUlT_SI_SJ_SK_E_clISD_PiSD_S10_EESH_SX_SI_SJ_SK_EUlSX_E_NS1_11comp_targetILNS1_3genE9ELNS1_11target_archE1100ELNS1_3gpuE3ELNS1_3repE0EEENS1_48merge_mergepath_partition_config_static_selectorELNS0_4arch9wavefront6targetE1EEEvSJ_
	.globl	_ZN7rocprim17ROCPRIM_400000_NS6detail17trampoline_kernelINS0_14default_configENS1_38merge_sort_block_merge_config_selectorIiiEEZZNS1_27merge_sort_block_merge_implIS3_N6thrust23THRUST_200600_302600_NS6detail15normal_iteratorINS8_10device_ptrIiEEEESD_jNS1_19radix_merge_compareILb1ELb0EiNS0_19identity_decomposerEEEEE10hipError_tT0_T1_T2_jT3_P12ihipStream_tbPNSt15iterator_traitsISI_E10value_typeEPNSO_ISJ_E10value_typeEPSK_NS1_7vsmem_tEENKUlT_SI_SJ_SK_E_clISD_PiSD_S10_EESH_SX_SI_SJ_SK_EUlSX_E_NS1_11comp_targetILNS1_3genE9ELNS1_11target_archE1100ELNS1_3gpuE3ELNS1_3repE0EEENS1_48merge_mergepath_partition_config_static_selectorELNS0_4arch9wavefront6targetE1EEEvSJ_
	.p2align	8
	.type	_ZN7rocprim17ROCPRIM_400000_NS6detail17trampoline_kernelINS0_14default_configENS1_38merge_sort_block_merge_config_selectorIiiEEZZNS1_27merge_sort_block_merge_implIS3_N6thrust23THRUST_200600_302600_NS6detail15normal_iteratorINS8_10device_ptrIiEEEESD_jNS1_19radix_merge_compareILb1ELb0EiNS0_19identity_decomposerEEEEE10hipError_tT0_T1_T2_jT3_P12ihipStream_tbPNSt15iterator_traitsISI_E10value_typeEPNSO_ISJ_E10value_typeEPSK_NS1_7vsmem_tEENKUlT_SI_SJ_SK_E_clISD_PiSD_S10_EESH_SX_SI_SJ_SK_EUlSX_E_NS1_11comp_targetILNS1_3genE9ELNS1_11target_archE1100ELNS1_3gpuE3ELNS1_3repE0EEENS1_48merge_mergepath_partition_config_static_selectorELNS0_4arch9wavefront6targetE1EEEvSJ_,@function
_ZN7rocprim17ROCPRIM_400000_NS6detail17trampoline_kernelINS0_14default_configENS1_38merge_sort_block_merge_config_selectorIiiEEZZNS1_27merge_sort_block_merge_implIS3_N6thrust23THRUST_200600_302600_NS6detail15normal_iteratorINS8_10device_ptrIiEEEESD_jNS1_19radix_merge_compareILb1ELb0EiNS0_19identity_decomposerEEEEE10hipError_tT0_T1_T2_jT3_P12ihipStream_tbPNSt15iterator_traitsISI_E10value_typeEPNSO_ISJ_E10value_typeEPSK_NS1_7vsmem_tEENKUlT_SI_SJ_SK_E_clISD_PiSD_S10_EESH_SX_SI_SJ_SK_EUlSX_E_NS1_11comp_targetILNS1_3genE9ELNS1_11target_archE1100ELNS1_3gpuE3ELNS1_3repE0EEENS1_48merge_mergepath_partition_config_static_selectorELNS0_4arch9wavefront6targetE1EEEvSJ_: ; @_ZN7rocprim17ROCPRIM_400000_NS6detail17trampoline_kernelINS0_14default_configENS1_38merge_sort_block_merge_config_selectorIiiEEZZNS1_27merge_sort_block_merge_implIS3_N6thrust23THRUST_200600_302600_NS6detail15normal_iteratorINS8_10device_ptrIiEEEESD_jNS1_19radix_merge_compareILb1ELb0EiNS0_19identity_decomposerEEEEE10hipError_tT0_T1_T2_jT3_P12ihipStream_tbPNSt15iterator_traitsISI_E10value_typeEPNSO_ISJ_E10value_typeEPSK_NS1_7vsmem_tEENKUlT_SI_SJ_SK_E_clISD_PiSD_S10_EESH_SX_SI_SJ_SK_EUlSX_E_NS1_11comp_targetILNS1_3genE9ELNS1_11target_archE1100ELNS1_3gpuE3ELNS1_3repE0EEENS1_48merge_mergepath_partition_config_static_selectorELNS0_4arch9wavefront6targetE1EEEvSJ_
; %bb.0:
	.section	.rodata,"a",@progbits
	.p2align	6, 0x0
	.amdhsa_kernel _ZN7rocprim17ROCPRIM_400000_NS6detail17trampoline_kernelINS0_14default_configENS1_38merge_sort_block_merge_config_selectorIiiEEZZNS1_27merge_sort_block_merge_implIS3_N6thrust23THRUST_200600_302600_NS6detail15normal_iteratorINS8_10device_ptrIiEEEESD_jNS1_19radix_merge_compareILb1ELb0EiNS0_19identity_decomposerEEEEE10hipError_tT0_T1_T2_jT3_P12ihipStream_tbPNSt15iterator_traitsISI_E10value_typeEPNSO_ISJ_E10value_typeEPSK_NS1_7vsmem_tEENKUlT_SI_SJ_SK_E_clISD_PiSD_S10_EESH_SX_SI_SJ_SK_EUlSX_E_NS1_11comp_targetILNS1_3genE9ELNS1_11target_archE1100ELNS1_3gpuE3ELNS1_3repE0EEENS1_48merge_mergepath_partition_config_static_selectorELNS0_4arch9wavefront6targetE1EEEvSJ_
		.amdhsa_group_segment_fixed_size 0
		.amdhsa_private_segment_fixed_size 0
		.amdhsa_kernarg_size 40
		.amdhsa_user_sgpr_count 2
		.amdhsa_user_sgpr_dispatch_ptr 0
		.amdhsa_user_sgpr_queue_ptr 0
		.amdhsa_user_sgpr_kernarg_segment_ptr 1
		.amdhsa_user_sgpr_dispatch_id 0
		.amdhsa_user_sgpr_kernarg_preload_length 0
		.amdhsa_user_sgpr_kernarg_preload_offset 0
		.amdhsa_user_sgpr_private_segment_size 0
		.amdhsa_uses_dynamic_stack 0
		.amdhsa_enable_private_segment 0
		.amdhsa_system_sgpr_workgroup_id_x 1
		.amdhsa_system_sgpr_workgroup_id_y 0
		.amdhsa_system_sgpr_workgroup_id_z 0
		.amdhsa_system_sgpr_workgroup_info 0
		.amdhsa_system_vgpr_workitem_id 0
		.amdhsa_next_free_vgpr 1
		.amdhsa_next_free_sgpr 0
		.amdhsa_accum_offset 4
		.amdhsa_reserve_vcc 0
		.amdhsa_float_round_mode_32 0
		.amdhsa_float_round_mode_16_64 0
		.amdhsa_float_denorm_mode_32 3
		.amdhsa_float_denorm_mode_16_64 3
		.amdhsa_dx10_clamp 1
		.amdhsa_ieee_mode 1
		.amdhsa_fp16_overflow 0
		.amdhsa_tg_split 0
		.amdhsa_exception_fp_ieee_invalid_op 0
		.amdhsa_exception_fp_denorm_src 0
		.amdhsa_exception_fp_ieee_div_zero 0
		.amdhsa_exception_fp_ieee_overflow 0
		.amdhsa_exception_fp_ieee_underflow 0
		.amdhsa_exception_fp_ieee_inexact 0
		.amdhsa_exception_int_div_zero 0
	.end_amdhsa_kernel
	.section	.text._ZN7rocprim17ROCPRIM_400000_NS6detail17trampoline_kernelINS0_14default_configENS1_38merge_sort_block_merge_config_selectorIiiEEZZNS1_27merge_sort_block_merge_implIS3_N6thrust23THRUST_200600_302600_NS6detail15normal_iteratorINS8_10device_ptrIiEEEESD_jNS1_19radix_merge_compareILb1ELb0EiNS0_19identity_decomposerEEEEE10hipError_tT0_T1_T2_jT3_P12ihipStream_tbPNSt15iterator_traitsISI_E10value_typeEPNSO_ISJ_E10value_typeEPSK_NS1_7vsmem_tEENKUlT_SI_SJ_SK_E_clISD_PiSD_S10_EESH_SX_SI_SJ_SK_EUlSX_E_NS1_11comp_targetILNS1_3genE9ELNS1_11target_archE1100ELNS1_3gpuE3ELNS1_3repE0EEENS1_48merge_mergepath_partition_config_static_selectorELNS0_4arch9wavefront6targetE1EEEvSJ_,"axG",@progbits,_ZN7rocprim17ROCPRIM_400000_NS6detail17trampoline_kernelINS0_14default_configENS1_38merge_sort_block_merge_config_selectorIiiEEZZNS1_27merge_sort_block_merge_implIS3_N6thrust23THRUST_200600_302600_NS6detail15normal_iteratorINS8_10device_ptrIiEEEESD_jNS1_19radix_merge_compareILb1ELb0EiNS0_19identity_decomposerEEEEE10hipError_tT0_T1_T2_jT3_P12ihipStream_tbPNSt15iterator_traitsISI_E10value_typeEPNSO_ISJ_E10value_typeEPSK_NS1_7vsmem_tEENKUlT_SI_SJ_SK_E_clISD_PiSD_S10_EESH_SX_SI_SJ_SK_EUlSX_E_NS1_11comp_targetILNS1_3genE9ELNS1_11target_archE1100ELNS1_3gpuE3ELNS1_3repE0EEENS1_48merge_mergepath_partition_config_static_selectorELNS0_4arch9wavefront6targetE1EEEvSJ_,comdat
.Lfunc_end1753:
	.size	_ZN7rocprim17ROCPRIM_400000_NS6detail17trampoline_kernelINS0_14default_configENS1_38merge_sort_block_merge_config_selectorIiiEEZZNS1_27merge_sort_block_merge_implIS3_N6thrust23THRUST_200600_302600_NS6detail15normal_iteratorINS8_10device_ptrIiEEEESD_jNS1_19radix_merge_compareILb1ELb0EiNS0_19identity_decomposerEEEEE10hipError_tT0_T1_T2_jT3_P12ihipStream_tbPNSt15iterator_traitsISI_E10value_typeEPNSO_ISJ_E10value_typeEPSK_NS1_7vsmem_tEENKUlT_SI_SJ_SK_E_clISD_PiSD_S10_EESH_SX_SI_SJ_SK_EUlSX_E_NS1_11comp_targetILNS1_3genE9ELNS1_11target_archE1100ELNS1_3gpuE3ELNS1_3repE0EEENS1_48merge_mergepath_partition_config_static_selectorELNS0_4arch9wavefront6targetE1EEEvSJ_, .Lfunc_end1753-_ZN7rocprim17ROCPRIM_400000_NS6detail17trampoline_kernelINS0_14default_configENS1_38merge_sort_block_merge_config_selectorIiiEEZZNS1_27merge_sort_block_merge_implIS3_N6thrust23THRUST_200600_302600_NS6detail15normal_iteratorINS8_10device_ptrIiEEEESD_jNS1_19radix_merge_compareILb1ELb0EiNS0_19identity_decomposerEEEEE10hipError_tT0_T1_T2_jT3_P12ihipStream_tbPNSt15iterator_traitsISI_E10value_typeEPNSO_ISJ_E10value_typeEPSK_NS1_7vsmem_tEENKUlT_SI_SJ_SK_E_clISD_PiSD_S10_EESH_SX_SI_SJ_SK_EUlSX_E_NS1_11comp_targetILNS1_3genE9ELNS1_11target_archE1100ELNS1_3gpuE3ELNS1_3repE0EEENS1_48merge_mergepath_partition_config_static_selectorELNS0_4arch9wavefront6targetE1EEEvSJ_
                                        ; -- End function
	.set _ZN7rocprim17ROCPRIM_400000_NS6detail17trampoline_kernelINS0_14default_configENS1_38merge_sort_block_merge_config_selectorIiiEEZZNS1_27merge_sort_block_merge_implIS3_N6thrust23THRUST_200600_302600_NS6detail15normal_iteratorINS8_10device_ptrIiEEEESD_jNS1_19radix_merge_compareILb1ELb0EiNS0_19identity_decomposerEEEEE10hipError_tT0_T1_T2_jT3_P12ihipStream_tbPNSt15iterator_traitsISI_E10value_typeEPNSO_ISJ_E10value_typeEPSK_NS1_7vsmem_tEENKUlT_SI_SJ_SK_E_clISD_PiSD_S10_EESH_SX_SI_SJ_SK_EUlSX_E_NS1_11comp_targetILNS1_3genE9ELNS1_11target_archE1100ELNS1_3gpuE3ELNS1_3repE0EEENS1_48merge_mergepath_partition_config_static_selectorELNS0_4arch9wavefront6targetE1EEEvSJ_.num_vgpr, 0
	.set _ZN7rocprim17ROCPRIM_400000_NS6detail17trampoline_kernelINS0_14default_configENS1_38merge_sort_block_merge_config_selectorIiiEEZZNS1_27merge_sort_block_merge_implIS3_N6thrust23THRUST_200600_302600_NS6detail15normal_iteratorINS8_10device_ptrIiEEEESD_jNS1_19radix_merge_compareILb1ELb0EiNS0_19identity_decomposerEEEEE10hipError_tT0_T1_T2_jT3_P12ihipStream_tbPNSt15iterator_traitsISI_E10value_typeEPNSO_ISJ_E10value_typeEPSK_NS1_7vsmem_tEENKUlT_SI_SJ_SK_E_clISD_PiSD_S10_EESH_SX_SI_SJ_SK_EUlSX_E_NS1_11comp_targetILNS1_3genE9ELNS1_11target_archE1100ELNS1_3gpuE3ELNS1_3repE0EEENS1_48merge_mergepath_partition_config_static_selectorELNS0_4arch9wavefront6targetE1EEEvSJ_.num_agpr, 0
	.set _ZN7rocprim17ROCPRIM_400000_NS6detail17trampoline_kernelINS0_14default_configENS1_38merge_sort_block_merge_config_selectorIiiEEZZNS1_27merge_sort_block_merge_implIS3_N6thrust23THRUST_200600_302600_NS6detail15normal_iteratorINS8_10device_ptrIiEEEESD_jNS1_19radix_merge_compareILb1ELb0EiNS0_19identity_decomposerEEEEE10hipError_tT0_T1_T2_jT3_P12ihipStream_tbPNSt15iterator_traitsISI_E10value_typeEPNSO_ISJ_E10value_typeEPSK_NS1_7vsmem_tEENKUlT_SI_SJ_SK_E_clISD_PiSD_S10_EESH_SX_SI_SJ_SK_EUlSX_E_NS1_11comp_targetILNS1_3genE9ELNS1_11target_archE1100ELNS1_3gpuE3ELNS1_3repE0EEENS1_48merge_mergepath_partition_config_static_selectorELNS0_4arch9wavefront6targetE1EEEvSJ_.numbered_sgpr, 0
	.set _ZN7rocprim17ROCPRIM_400000_NS6detail17trampoline_kernelINS0_14default_configENS1_38merge_sort_block_merge_config_selectorIiiEEZZNS1_27merge_sort_block_merge_implIS3_N6thrust23THRUST_200600_302600_NS6detail15normal_iteratorINS8_10device_ptrIiEEEESD_jNS1_19radix_merge_compareILb1ELb0EiNS0_19identity_decomposerEEEEE10hipError_tT0_T1_T2_jT3_P12ihipStream_tbPNSt15iterator_traitsISI_E10value_typeEPNSO_ISJ_E10value_typeEPSK_NS1_7vsmem_tEENKUlT_SI_SJ_SK_E_clISD_PiSD_S10_EESH_SX_SI_SJ_SK_EUlSX_E_NS1_11comp_targetILNS1_3genE9ELNS1_11target_archE1100ELNS1_3gpuE3ELNS1_3repE0EEENS1_48merge_mergepath_partition_config_static_selectorELNS0_4arch9wavefront6targetE1EEEvSJ_.num_named_barrier, 0
	.set _ZN7rocprim17ROCPRIM_400000_NS6detail17trampoline_kernelINS0_14default_configENS1_38merge_sort_block_merge_config_selectorIiiEEZZNS1_27merge_sort_block_merge_implIS3_N6thrust23THRUST_200600_302600_NS6detail15normal_iteratorINS8_10device_ptrIiEEEESD_jNS1_19radix_merge_compareILb1ELb0EiNS0_19identity_decomposerEEEEE10hipError_tT0_T1_T2_jT3_P12ihipStream_tbPNSt15iterator_traitsISI_E10value_typeEPNSO_ISJ_E10value_typeEPSK_NS1_7vsmem_tEENKUlT_SI_SJ_SK_E_clISD_PiSD_S10_EESH_SX_SI_SJ_SK_EUlSX_E_NS1_11comp_targetILNS1_3genE9ELNS1_11target_archE1100ELNS1_3gpuE3ELNS1_3repE0EEENS1_48merge_mergepath_partition_config_static_selectorELNS0_4arch9wavefront6targetE1EEEvSJ_.private_seg_size, 0
	.set _ZN7rocprim17ROCPRIM_400000_NS6detail17trampoline_kernelINS0_14default_configENS1_38merge_sort_block_merge_config_selectorIiiEEZZNS1_27merge_sort_block_merge_implIS3_N6thrust23THRUST_200600_302600_NS6detail15normal_iteratorINS8_10device_ptrIiEEEESD_jNS1_19radix_merge_compareILb1ELb0EiNS0_19identity_decomposerEEEEE10hipError_tT0_T1_T2_jT3_P12ihipStream_tbPNSt15iterator_traitsISI_E10value_typeEPNSO_ISJ_E10value_typeEPSK_NS1_7vsmem_tEENKUlT_SI_SJ_SK_E_clISD_PiSD_S10_EESH_SX_SI_SJ_SK_EUlSX_E_NS1_11comp_targetILNS1_3genE9ELNS1_11target_archE1100ELNS1_3gpuE3ELNS1_3repE0EEENS1_48merge_mergepath_partition_config_static_selectorELNS0_4arch9wavefront6targetE1EEEvSJ_.uses_vcc, 0
	.set _ZN7rocprim17ROCPRIM_400000_NS6detail17trampoline_kernelINS0_14default_configENS1_38merge_sort_block_merge_config_selectorIiiEEZZNS1_27merge_sort_block_merge_implIS3_N6thrust23THRUST_200600_302600_NS6detail15normal_iteratorINS8_10device_ptrIiEEEESD_jNS1_19radix_merge_compareILb1ELb0EiNS0_19identity_decomposerEEEEE10hipError_tT0_T1_T2_jT3_P12ihipStream_tbPNSt15iterator_traitsISI_E10value_typeEPNSO_ISJ_E10value_typeEPSK_NS1_7vsmem_tEENKUlT_SI_SJ_SK_E_clISD_PiSD_S10_EESH_SX_SI_SJ_SK_EUlSX_E_NS1_11comp_targetILNS1_3genE9ELNS1_11target_archE1100ELNS1_3gpuE3ELNS1_3repE0EEENS1_48merge_mergepath_partition_config_static_selectorELNS0_4arch9wavefront6targetE1EEEvSJ_.uses_flat_scratch, 0
	.set _ZN7rocprim17ROCPRIM_400000_NS6detail17trampoline_kernelINS0_14default_configENS1_38merge_sort_block_merge_config_selectorIiiEEZZNS1_27merge_sort_block_merge_implIS3_N6thrust23THRUST_200600_302600_NS6detail15normal_iteratorINS8_10device_ptrIiEEEESD_jNS1_19radix_merge_compareILb1ELb0EiNS0_19identity_decomposerEEEEE10hipError_tT0_T1_T2_jT3_P12ihipStream_tbPNSt15iterator_traitsISI_E10value_typeEPNSO_ISJ_E10value_typeEPSK_NS1_7vsmem_tEENKUlT_SI_SJ_SK_E_clISD_PiSD_S10_EESH_SX_SI_SJ_SK_EUlSX_E_NS1_11comp_targetILNS1_3genE9ELNS1_11target_archE1100ELNS1_3gpuE3ELNS1_3repE0EEENS1_48merge_mergepath_partition_config_static_selectorELNS0_4arch9wavefront6targetE1EEEvSJ_.has_dyn_sized_stack, 0
	.set _ZN7rocprim17ROCPRIM_400000_NS6detail17trampoline_kernelINS0_14default_configENS1_38merge_sort_block_merge_config_selectorIiiEEZZNS1_27merge_sort_block_merge_implIS3_N6thrust23THRUST_200600_302600_NS6detail15normal_iteratorINS8_10device_ptrIiEEEESD_jNS1_19radix_merge_compareILb1ELb0EiNS0_19identity_decomposerEEEEE10hipError_tT0_T1_T2_jT3_P12ihipStream_tbPNSt15iterator_traitsISI_E10value_typeEPNSO_ISJ_E10value_typeEPSK_NS1_7vsmem_tEENKUlT_SI_SJ_SK_E_clISD_PiSD_S10_EESH_SX_SI_SJ_SK_EUlSX_E_NS1_11comp_targetILNS1_3genE9ELNS1_11target_archE1100ELNS1_3gpuE3ELNS1_3repE0EEENS1_48merge_mergepath_partition_config_static_selectorELNS0_4arch9wavefront6targetE1EEEvSJ_.has_recursion, 0
	.set _ZN7rocprim17ROCPRIM_400000_NS6detail17trampoline_kernelINS0_14default_configENS1_38merge_sort_block_merge_config_selectorIiiEEZZNS1_27merge_sort_block_merge_implIS3_N6thrust23THRUST_200600_302600_NS6detail15normal_iteratorINS8_10device_ptrIiEEEESD_jNS1_19radix_merge_compareILb1ELb0EiNS0_19identity_decomposerEEEEE10hipError_tT0_T1_T2_jT3_P12ihipStream_tbPNSt15iterator_traitsISI_E10value_typeEPNSO_ISJ_E10value_typeEPSK_NS1_7vsmem_tEENKUlT_SI_SJ_SK_E_clISD_PiSD_S10_EESH_SX_SI_SJ_SK_EUlSX_E_NS1_11comp_targetILNS1_3genE9ELNS1_11target_archE1100ELNS1_3gpuE3ELNS1_3repE0EEENS1_48merge_mergepath_partition_config_static_selectorELNS0_4arch9wavefront6targetE1EEEvSJ_.has_indirect_call, 0
	.section	.AMDGPU.csdata,"",@progbits
; Kernel info:
; codeLenInByte = 0
; TotalNumSgprs: 6
; NumVgprs: 0
; NumAgprs: 0
; TotalNumVgprs: 0
; ScratchSize: 0
; MemoryBound: 0
; FloatMode: 240
; IeeeMode: 1
; LDSByteSize: 0 bytes/workgroup (compile time only)
; SGPRBlocks: 0
; VGPRBlocks: 0
; NumSGPRsForWavesPerEU: 6
; NumVGPRsForWavesPerEU: 1
; AccumOffset: 4
; Occupancy: 8
; WaveLimiterHint : 0
; COMPUTE_PGM_RSRC2:SCRATCH_EN: 0
; COMPUTE_PGM_RSRC2:USER_SGPR: 2
; COMPUTE_PGM_RSRC2:TRAP_HANDLER: 0
; COMPUTE_PGM_RSRC2:TGID_X_EN: 1
; COMPUTE_PGM_RSRC2:TGID_Y_EN: 0
; COMPUTE_PGM_RSRC2:TGID_Z_EN: 0
; COMPUTE_PGM_RSRC2:TIDIG_COMP_CNT: 0
; COMPUTE_PGM_RSRC3_GFX90A:ACCUM_OFFSET: 0
; COMPUTE_PGM_RSRC3_GFX90A:TG_SPLIT: 0
	.section	.text._ZN7rocprim17ROCPRIM_400000_NS6detail17trampoline_kernelINS0_14default_configENS1_38merge_sort_block_merge_config_selectorIiiEEZZNS1_27merge_sort_block_merge_implIS3_N6thrust23THRUST_200600_302600_NS6detail15normal_iteratorINS8_10device_ptrIiEEEESD_jNS1_19radix_merge_compareILb1ELb0EiNS0_19identity_decomposerEEEEE10hipError_tT0_T1_T2_jT3_P12ihipStream_tbPNSt15iterator_traitsISI_E10value_typeEPNSO_ISJ_E10value_typeEPSK_NS1_7vsmem_tEENKUlT_SI_SJ_SK_E_clISD_PiSD_S10_EESH_SX_SI_SJ_SK_EUlSX_E_NS1_11comp_targetILNS1_3genE8ELNS1_11target_archE1030ELNS1_3gpuE2ELNS1_3repE0EEENS1_48merge_mergepath_partition_config_static_selectorELNS0_4arch9wavefront6targetE1EEEvSJ_,"axG",@progbits,_ZN7rocprim17ROCPRIM_400000_NS6detail17trampoline_kernelINS0_14default_configENS1_38merge_sort_block_merge_config_selectorIiiEEZZNS1_27merge_sort_block_merge_implIS3_N6thrust23THRUST_200600_302600_NS6detail15normal_iteratorINS8_10device_ptrIiEEEESD_jNS1_19radix_merge_compareILb1ELb0EiNS0_19identity_decomposerEEEEE10hipError_tT0_T1_T2_jT3_P12ihipStream_tbPNSt15iterator_traitsISI_E10value_typeEPNSO_ISJ_E10value_typeEPSK_NS1_7vsmem_tEENKUlT_SI_SJ_SK_E_clISD_PiSD_S10_EESH_SX_SI_SJ_SK_EUlSX_E_NS1_11comp_targetILNS1_3genE8ELNS1_11target_archE1030ELNS1_3gpuE2ELNS1_3repE0EEENS1_48merge_mergepath_partition_config_static_selectorELNS0_4arch9wavefront6targetE1EEEvSJ_,comdat
	.protected	_ZN7rocprim17ROCPRIM_400000_NS6detail17trampoline_kernelINS0_14default_configENS1_38merge_sort_block_merge_config_selectorIiiEEZZNS1_27merge_sort_block_merge_implIS3_N6thrust23THRUST_200600_302600_NS6detail15normal_iteratorINS8_10device_ptrIiEEEESD_jNS1_19radix_merge_compareILb1ELb0EiNS0_19identity_decomposerEEEEE10hipError_tT0_T1_T2_jT3_P12ihipStream_tbPNSt15iterator_traitsISI_E10value_typeEPNSO_ISJ_E10value_typeEPSK_NS1_7vsmem_tEENKUlT_SI_SJ_SK_E_clISD_PiSD_S10_EESH_SX_SI_SJ_SK_EUlSX_E_NS1_11comp_targetILNS1_3genE8ELNS1_11target_archE1030ELNS1_3gpuE2ELNS1_3repE0EEENS1_48merge_mergepath_partition_config_static_selectorELNS0_4arch9wavefront6targetE1EEEvSJ_ ; -- Begin function _ZN7rocprim17ROCPRIM_400000_NS6detail17trampoline_kernelINS0_14default_configENS1_38merge_sort_block_merge_config_selectorIiiEEZZNS1_27merge_sort_block_merge_implIS3_N6thrust23THRUST_200600_302600_NS6detail15normal_iteratorINS8_10device_ptrIiEEEESD_jNS1_19radix_merge_compareILb1ELb0EiNS0_19identity_decomposerEEEEE10hipError_tT0_T1_T2_jT3_P12ihipStream_tbPNSt15iterator_traitsISI_E10value_typeEPNSO_ISJ_E10value_typeEPSK_NS1_7vsmem_tEENKUlT_SI_SJ_SK_E_clISD_PiSD_S10_EESH_SX_SI_SJ_SK_EUlSX_E_NS1_11comp_targetILNS1_3genE8ELNS1_11target_archE1030ELNS1_3gpuE2ELNS1_3repE0EEENS1_48merge_mergepath_partition_config_static_selectorELNS0_4arch9wavefront6targetE1EEEvSJ_
	.globl	_ZN7rocprim17ROCPRIM_400000_NS6detail17trampoline_kernelINS0_14default_configENS1_38merge_sort_block_merge_config_selectorIiiEEZZNS1_27merge_sort_block_merge_implIS3_N6thrust23THRUST_200600_302600_NS6detail15normal_iteratorINS8_10device_ptrIiEEEESD_jNS1_19radix_merge_compareILb1ELb0EiNS0_19identity_decomposerEEEEE10hipError_tT0_T1_T2_jT3_P12ihipStream_tbPNSt15iterator_traitsISI_E10value_typeEPNSO_ISJ_E10value_typeEPSK_NS1_7vsmem_tEENKUlT_SI_SJ_SK_E_clISD_PiSD_S10_EESH_SX_SI_SJ_SK_EUlSX_E_NS1_11comp_targetILNS1_3genE8ELNS1_11target_archE1030ELNS1_3gpuE2ELNS1_3repE0EEENS1_48merge_mergepath_partition_config_static_selectorELNS0_4arch9wavefront6targetE1EEEvSJ_
	.p2align	8
	.type	_ZN7rocprim17ROCPRIM_400000_NS6detail17trampoline_kernelINS0_14default_configENS1_38merge_sort_block_merge_config_selectorIiiEEZZNS1_27merge_sort_block_merge_implIS3_N6thrust23THRUST_200600_302600_NS6detail15normal_iteratorINS8_10device_ptrIiEEEESD_jNS1_19radix_merge_compareILb1ELb0EiNS0_19identity_decomposerEEEEE10hipError_tT0_T1_T2_jT3_P12ihipStream_tbPNSt15iterator_traitsISI_E10value_typeEPNSO_ISJ_E10value_typeEPSK_NS1_7vsmem_tEENKUlT_SI_SJ_SK_E_clISD_PiSD_S10_EESH_SX_SI_SJ_SK_EUlSX_E_NS1_11comp_targetILNS1_3genE8ELNS1_11target_archE1030ELNS1_3gpuE2ELNS1_3repE0EEENS1_48merge_mergepath_partition_config_static_selectorELNS0_4arch9wavefront6targetE1EEEvSJ_,@function
_ZN7rocprim17ROCPRIM_400000_NS6detail17trampoline_kernelINS0_14default_configENS1_38merge_sort_block_merge_config_selectorIiiEEZZNS1_27merge_sort_block_merge_implIS3_N6thrust23THRUST_200600_302600_NS6detail15normal_iteratorINS8_10device_ptrIiEEEESD_jNS1_19radix_merge_compareILb1ELb0EiNS0_19identity_decomposerEEEEE10hipError_tT0_T1_T2_jT3_P12ihipStream_tbPNSt15iterator_traitsISI_E10value_typeEPNSO_ISJ_E10value_typeEPSK_NS1_7vsmem_tEENKUlT_SI_SJ_SK_E_clISD_PiSD_S10_EESH_SX_SI_SJ_SK_EUlSX_E_NS1_11comp_targetILNS1_3genE8ELNS1_11target_archE1030ELNS1_3gpuE2ELNS1_3repE0EEENS1_48merge_mergepath_partition_config_static_selectorELNS0_4arch9wavefront6targetE1EEEvSJ_: ; @_ZN7rocprim17ROCPRIM_400000_NS6detail17trampoline_kernelINS0_14default_configENS1_38merge_sort_block_merge_config_selectorIiiEEZZNS1_27merge_sort_block_merge_implIS3_N6thrust23THRUST_200600_302600_NS6detail15normal_iteratorINS8_10device_ptrIiEEEESD_jNS1_19radix_merge_compareILb1ELb0EiNS0_19identity_decomposerEEEEE10hipError_tT0_T1_T2_jT3_P12ihipStream_tbPNSt15iterator_traitsISI_E10value_typeEPNSO_ISJ_E10value_typeEPSK_NS1_7vsmem_tEENKUlT_SI_SJ_SK_E_clISD_PiSD_S10_EESH_SX_SI_SJ_SK_EUlSX_E_NS1_11comp_targetILNS1_3genE8ELNS1_11target_archE1030ELNS1_3gpuE2ELNS1_3repE0EEENS1_48merge_mergepath_partition_config_static_selectorELNS0_4arch9wavefront6targetE1EEEvSJ_
; %bb.0:
	.section	.rodata,"a",@progbits
	.p2align	6, 0x0
	.amdhsa_kernel _ZN7rocprim17ROCPRIM_400000_NS6detail17trampoline_kernelINS0_14default_configENS1_38merge_sort_block_merge_config_selectorIiiEEZZNS1_27merge_sort_block_merge_implIS3_N6thrust23THRUST_200600_302600_NS6detail15normal_iteratorINS8_10device_ptrIiEEEESD_jNS1_19radix_merge_compareILb1ELb0EiNS0_19identity_decomposerEEEEE10hipError_tT0_T1_T2_jT3_P12ihipStream_tbPNSt15iterator_traitsISI_E10value_typeEPNSO_ISJ_E10value_typeEPSK_NS1_7vsmem_tEENKUlT_SI_SJ_SK_E_clISD_PiSD_S10_EESH_SX_SI_SJ_SK_EUlSX_E_NS1_11comp_targetILNS1_3genE8ELNS1_11target_archE1030ELNS1_3gpuE2ELNS1_3repE0EEENS1_48merge_mergepath_partition_config_static_selectorELNS0_4arch9wavefront6targetE1EEEvSJ_
		.amdhsa_group_segment_fixed_size 0
		.amdhsa_private_segment_fixed_size 0
		.amdhsa_kernarg_size 40
		.amdhsa_user_sgpr_count 2
		.amdhsa_user_sgpr_dispatch_ptr 0
		.amdhsa_user_sgpr_queue_ptr 0
		.amdhsa_user_sgpr_kernarg_segment_ptr 1
		.amdhsa_user_sgpr_dispatch_id 0
		.amdhsa_user_sgpr_kernarg_preload_length 0
		.amdhsa_user_sgpr_kernarg_preload_offset 0
		.amdhsa_user_sgpr_private_segment_size 0
		.amdhsa_uses_dynamic_stack 0
		.amdhsa_enable_private_segment 0
		.amdhsa_system_sgpr_workgroup_id_x 1
		.amdhsa_system_sgpr_workgroup_id_y 0
		.amdhsa_system_sgpr_workgroup_id_z 0
		.amdhsa_system_sgpr_workgroup_info 0
		.amdhsa_system_vgpr_workitem_id 0
		.amdhsa_next_free_vgpr 1
		.amdhsa_next_free_sgpr 0
		.amdhsa_accum_offset 4
		.amdhsa_reserve_vcc 0
		.amdhsa_float_round_mode_32 0
		.amdhsa_float_round_mode_16_64 0
		.amdhsa_float_denorm_mode_32 3
		.amdhsa_float_denorm_mode_16_64 3
		.amdhsa_dx10_clamp 1
		.amdhsa_ieee_mode 1
		.amdhsa_fp16_overflow 0
		.amdhsa_tg_split 0
		.amdhsa_exception_fp_ieee_invalid_op 0
		.amdhsa_exception_fp_denorm_src 0
		.amdhsa_exception_fp_ieee_div_zero 0
		.amdhsa_exception_fp_ieee_overflow 0
		.amdhsa_exception_fp_ieee_underflow 0
		.amdhsa_exception_fp_ieee_inexact 0
		.amdhsa_exception_int_div_zero 0
	.end_amdhsa_kernel
	.section	.text._ZN7rocprim17ROCPRIM_400000_NS6detail17trampoline_kernelINS0_14default_configENS1_38merge_sort_block_merge_config_selectorIiiEEZZNS1_27merge_sort_block_merge_implIS3_N6thrust23THRUST_200600_302600_NS6detail15normal_iteratorINS8_10device_ptrIiEEEESD_jNS1_19radix_merge_compareILb1ELb0EiNS0_19identity_decomposerEEEEE10hipError_tT0_T1_T2_jT3_P12ihipStream_tbPNSt15iterator_traitsISI_E10value_typeEPNSO_ISJ_E10value_typeEPSK_NS1_7vsmem_tEENKUlT_SI_SJ_SK_E_clISD_PiSD_S10_EESH_SX_SI_SJ_SK_EUlSX_E_NS1_11comp_targetILNS1_3genE8ELNS1_11target_archE1030ELNS1_3gpuE2ELNS1_3repE0EEENS1_48merge_mergepath_partition_config_static_selectorELNS0_4arch9wavefront6targetE1EEEvSJ_,"axG",@progbits,_ZN7rocprim17ROCPRIM_400000_NS6detail17trampoline_kernelINS0_14default_configENS1_38merge_sort_block_merge_config_selectorIiiEEZZNS1_27merge_sort_block_merge_implIS3_N6thrust23THRUST_200600_302600_NS6detail15normal_iteratorINS8_10device_ptrIiEEEESD_jNS1_19radix_merge_compareILb1ELb0EiNS0_19identity_decomposerEEEEE10hipError_tT0_T1_T2_jT3_P12ihipStream_tbPNSt15iterator_traitsISI_E10value_typeEPNSO_ISJ_E10value_typeEPSK_NS1_7vsmem_tEENKUlT_SI_SJ_SK_E_clISD_PiSD_S10_EESH_SX_SI_SJ_SK_EUlSX_E_NS1_11comp_targetILNS1_3genE8ELNS1_11target_archE1030ELNS1_3gpuE2ELNS1_3repE0EEENS1_48merge_mergepath_partition_config_static_selectorELNS0_4arch9wavefront6targetE1EEEvSJ_,comdat
.Lfunc_end1754:
	.size	_ZN7rocprim17ROCPRIM_400000_NS6detail17trampoline_kernelINS0_14default_configENS1_38merge_sort_block_merge_config_selectorIiiEEZZNS1_27merge_sort_block_merge_implIS3_N6thrust23THRUST_200600_302600_NS6detail15normal_iteratorINS8_10device_ptrIiEEEESD_jNS1_19radix_merge_compareILb1ELb0EiNS0_19identity_decomposerEEEEE10hipError_tT0_T1_T2_jT3_P12ihipStream_tbPNSt15iterator_traitsISI_E10value_typeEPNSO_ISJ_E10value_typeEPSK_NS1_7vsmem_tEENKUlT_SI_SJ_SK_E_clISD_PiSD_S10_EESH_SX_SI_SJ_SK_EUlSX_E_NS1_11comp_targetILNS1_3genE8ELNS1_11target_archE1030ELNS1_3gpuE2ELNS1_3repE0EEENS1_48merge_mergepath_partition_config_static_selectorELNS0_4arch9wavefront6targetE1EEEvSJ_, .Lfunc_end1754-_ZN7rocprim17ROCPRIM_400000_NS6detail17trampoline_kernelINS0_14default_configENS1_38merge_sort_block_merge_config_selectorIiiEEZZNS1_27merge_sort_block_merge_implIS3_N6thrust23THRUST_200600_302600_NS6detail15normal_iteratorINS8_10device_ptrIiEEEESD_jNS1_19radix_merge_compareILb1ELb0EiNS0_19identity_decomposerEEEEE10hipError_tT0_T1_T2_jT3_P12ihipStream_tbPNSt15iterator_traitsISI_E10value_typeEPNSO_ISJ_E10value_typeEPSK_NS1_7vsmem_tEENKUlT_SI_SJ_SK_E_clISD_PiSD_S10_EESH_SX_SI_SJ_SK_EUlSX_E_NS1_11comp_targetILNS1_3genE8ELNS1_11target_archE1030ELNS1_3gpuE2ELNS1_3repE0EEENS1_48merge_mergepath_partition_config_static_selectorELNS0_4arch9wavefront6targetE1EEEvSJ_
                                        ; -- End function
	.set _ZN7rocprim17ROCPRIM_400000_NS6detail17trampoline_kernelINS0_14default_configENS1_38merge_sort_block_merge_config_selectorIiiEEZZNS1_27merge_sort_block_merge_implIS3_N6thrust23THRUST_200600_302600_NS6detail15normal_iteratorINS8_10device_ptrIiEEEESD_jNS1_19radix_merge_compareILb1ELb0EiNS0_19identity_decomposerEEEEE10hipError_tT0_T1_T2_jT3_P12ihipStream_tbPNSt15iterator_traitsISI_E10value_typeEPNSO_ISJ_E10value_typeEPSK_NS1_7vsmem_tEENKUlT_SI_SJ_SK_E_clISD_PiSD_S10_EESH_SX_SI_SJ_SK_EUlSX_E_NS1_11comp_targetILNS1_3genE8ELNS1_11target_archE1030ELNS1_3gpuE2ELNS1_3repE0EEENS1_48merge_mergepath_partition_config_static_selectorELNS0_4arch9wavefront6targetE1EEEvSJ_.num_vgpr, 0
	.set _ZN7rocprim17ROCPRIM_400000_NS6detail17trampoline_kernelINS0_14default_configENS1_38merge_sort_block_merge_config_selectorIiiEEZZNS1_27merge_sort_block_merge_implIS3_N6thrust23THRUST_200600_302600_NS6detail15normal_iteratorINS8_10device_ptrIiEEEESD_jNS1_19radix_merge_compareILb1ELb0EiNS0_19identity_decomposerEEEEE10hipError_tT0_T1_T2_jT3_P12ihipStream_tbPNSt15iterator_traitsISI_E10value_typeEPNSO_ISJ_E10value_typeEPSK_NS1_7vsmem_tEENKUlT_SI_SJ_SK_E_clISD_PiSD_S10_EESH_SX_SI_SJ_SK_EUlSX_E_NS1_11comp_targetILNS1_3genE8ELNS1_11target_archE1030ELNS1_3gpuE2ELNS1_3repE0EEENS1_48merge_mergepath_partition_config_static_selectorELNS0_4arch9wavefront6targetE1EEEvSJ_.num_agpr, 0
	.set _ZN7rocprim17ROCPRIM_400000_NS6detail17trampoline_kernelINS0_14default_configENS1_38merge_sort_block_merge_config_selectorIiiEEZZNS1_27merge_sort_block_merge_implIS3_N6thrust23THRUST_200600_302600_NS6detail15normal_iteratorINS8_10device_ptrIiEEEESD_jNS1_19radix_merge_compareILb1ELb0EiNS0_19identity_decomposerEEEEE10hipError_tT0_T1_T2_jT3_P12ihipStream_tbPNSt15iterator_traitsISI_E10value_typeEPNSO_ISJ_E10value_typeEPSK_NS1_7vsmem_tEENKUlT_SI_SJ_SK_E_clISD_PiSD_S10_EESH_SX_SI_SJ_SK_EUlSX_E_NS1_11comp_targetILNS1_3genE8ELNS1_11target_archE1030ELNS1_3gpuE2ELNS1_3repE0EEENS1_48merge_mergepath_partition_config_static_selectorELNS0_4arch9wavefront6targetE1EEEvSJ_.numbered_sgpr, 0
	.set _ZN7rocprim17ROCPRIM_400000_NS6detail17trampoline_kernelINS0_14default_configENS1_38merge_sort_block_merge_config_selectorIiiEEZZNS1_27merge_sort_block_merge_implIS3_N6thrust23THRUST_200600_302600_NS6detail15normal_iteratorINS8_10device_ptrIiEEEESD_jNS1_19radix_merge_compareILb1ELb0EiNS0_19identity_decomposerEEEEE10hipError_tT0_T1_T2_jT3_P12ihipStream_tbPNSt15iterator_traitsISI_E10value_typeEPNSO_ISJ_E10value_typeEPSK_NS1_7vsmem_tEENKUlT_SI_SJ_SK_E_clISD_PiSD_S10_EESH_SX_SI_SJ_SK_EUlSX_E_NS1_11comp_targetILNS1_3genE8ELNS1_11target_archE1030ELNS1_3gpuE2ELNS1_3repE0EEENS1_48merge_mergepath_partition_config_static_selectorELNS0_4arch9wavefront6targetE1EEEvSJ_.num_named_barrier, 0
	.set _ZN7rocprim17ROCPRIM_400000_NS6detail17trampoline_kernelINS0_14default_configENS1_38merge_sort_block_merge_config_selectorIiiEEZZNS1_27merge_sort_block_merge_implIS3_N6thrust23THRUST_200600_302600_NS6detail15normal_iteratorINS8_10device_ptrIiEEEESD_jNS1_19radix_merge_compareILb1ELb0EiNS0_19identity_decomposerEEEEE10hipError_tT0_T1_T2_jT3_P12ihipStream_tbPNSt15iterator_traitsISI_E10value_typeEPNSO_ISJ_E10value_typeEPSK_NS1_7vsmem_tEENKUlT_SI_SJ_SK_E_clISD_PiSD_S10_EESH_SX_SI_SJ_SK_EUlSX_E_NS1_11comp_targetILNS1_3genE8ELNS1_11target_archE1030ELNS1_3gpuE2ELNS1_3repE0EEENS1_48merge_mergepath_partition_config_static_selectorELNS0_4arch9wavefront6targetE1EEEvSJ_.private_seg_size, 0
	.set _ZN7rocprim17ROCPRIM_400000_NS6detail17trampoline_kernelINS0_14default_configENS1_38merge_sort_block_merge_config_selectorIiiEEZZNS1_27merge_sort_block_merge_implIS3_N6thrust23THRUST_200600_302600_NS6detail15normal_iteratorINS8_10device_ptrIiEEEESD_jNS1_19radix_merge_compareILb1ELb0EiNS0_19identity_decomposerEEEEE10hipError_tT0_T1_T2_jT3_P12ihipStream_tbPNSt15iterator_traitsISI_E10value_typeEPNSO_ISJ_E10value_typeEPSK_NS1_7vsmem_tEENKUlT_SI_SJ_SK_E_clISD_PiSD_S10_EESH_SX_SI_SJ_SK_EUlSX_E_NS1_11comp_targetILNS1_3genE8ELNS1_11target_archE1030ELNS1_3gpuE2ELNS1_3repE0EEENS1_48merge_mergepath_partition_config_static_selectorELNS0_4arch9wavefront6targetE1EEEvSJ_.uses_vcc, 0
	.set _ZN7rocprim17ROCPRIM_400000_NS6detail17trampoline_kernelINS0_14default_configENS1_38merge_sort_block_merge_config_selectorIiiEEZZNS1_27merge_sort_block_merge_implIS3_N6thrust23THRUST_200600_302600_NS6detail15normal_iteratorINS8_10device_ptrIiEEEESD_jNS1_19radix_merge_compareILb1ELb0EiNS0_19identity_decomposerEEEEE10hipError_tT0_T1_T2_jT3_P12ihipStream_tbPNSt15iterator_traitsISI_E10value_typeEPNSO_ISJ_E10value_typeEPSK_NS1_7vsmem_tEENKUlT_SI_SJ_SK_E_clISD_PiSD_S10_EESH_SX_SI_SJ_SK_EUlSX_E_NS1_11comp_targetILNS1_3genE8ELNS1_11target_archE1030ELNS1_3gpuE2ELNS1_3repE0EEENS1_48merge_mergepath_partition_config_static_selectorELNS0_4arch9wavefront6targetE1EEEvSJ_.uses_flat_scratch, 0
	.set _ZN7rocprim17ROCPRIM_400000_NS6detail17trampoline_kernelINS0_14default_configENS1_38merge_sort_block_merge_config_selectorIiiEEZZNS1_27merge_sort_block_merge_implIS3_N6thrust23THRUST_200600_302600_NS6detail15normal_iteratorINS8_10device_ptrIiEEEESD_jNS1_19radix_merge_compareILb1ELb0EiNS0_19identity_decomposerEEEEE10hipError_tT0_T1_T2_jT3_P12ihipStream_tbPNSt15iterator_traitsISI_E10value_typeEPNSO_ISJ_E10value_typeEPSK_NS1_7vsmem_tEENKUlT_SI_SJ_SK_E_clISD_PiSD_S10_EESH_SX_SI_SJ_SK_EUlSX_E_NS1_11comp_targetILNS1_3genE8ELNS1_11target_archE1030ELNS1_3gpuE2ELNS1_3repE0EEENS1_48merge_mergepath_partition_config_static_selectorELNS0_4arch9wavefront6targetE1EEEvSJ_.has_dyn_sized_stack, 0
	.set _ZN7rocprim17ROCPRIM_400000_NS6detail17trampoline_kernelINS0_14default_configENS1_38merge_sort_block_merge_config_selectorIiiEEZZNS1_27merge_sort_block_merge_implIS3_N6thrust23THRUST_200600_302600_NS6detail15normal_iteratorINS8_10device_ptrIiEEEESD_jNS1_19radix_merge_compareILb1ELb0EiNS0_19identity_decomposerEEEEE10hipError_tT0_T1_T2_jT3_P12ihipStream_tbPNSt15iterator_traitsISI_E10value_typeEPNSO_ISJ_E10value_typeEPSK_NS1_7vsmem_tEENKUlT_SI_SJ_SK_E_clISD_PiSD_S10_EESH_SX_SI_SJ_SK_EUlSX_E_NS1_11comp_targetILNS1_3genE8ELNS1_11target_archE1030ELNS1_3gpuE2ELNS1_3repE0EEENS1_48merge_mergepath_partition_config_static_selectorELNS0_4arch9wavefront6targetE1EEEvSJ_.has_recursion, 0
	.set _ZN7rocprim17ROCPRIM_400000_NS6detail17trampoline_kernelINS0_14default_configENS1_38merge_sort_block_merge_config_selectorIiiEEZZNS1_27merge_sort_block_merge_implIS3_N6thrust23THRUST_200600_302600_NS6detail15normal_iteratorINS8_10device_ptrIiEEEESD_jNS1_19radix_merge_compareILb1ELb0EiNS0_19identity_decomposerEEEEE10hipError_tT0_T1_T2_jT3_P12ihipStream_tbPNSt15iterator_traitsISI_E10value_typeEPNSO_ISJ_E10value_typeEPSK_NS1_7vsmem_tEENKUlT_SI_SJ_SK_E_clISD_PiSD_S10_EESH_SX_SI_SJ_SK_EUlSX_E_NS1_11comp_targetILNS1_3genE8ELNS1_11target_archE1030ELNS1_3gpuE2ELNS1_3repE0EEENS1_48merge_mergepath_partition_config_static_selectorELNS0_4arch9wavefront6targetE1EEEvSJ_.has_indirect_call, 0
	.section	.AMDGPU.csdata,"",@progbits
; Kernel info:
; codeLenInByte = 0
; TotalNumSgprs: 6
; NumVgprs: 0
; NumAgprs: 0
; TotalNumVgprs: 0
; ScratchSize: 0
; MemoryBound: 0
; FloatMode: 240
; IeeeMode: 1
; LDSByteSize: 0 bytes/workgroup (compile time only)
; SGPRBlocks: 0
; VGPRBlocks: 0
; NumSGPRsForWavesPerEU: 6
; NumVGPRsForWavesPerEU: 1
; AccumOffset: 4
; Occupancy: 8
; WaveLimiterHint : 0
; COMPUTE_PGM_RSRC2:SCRATCH_EN: 0
; COMPUTE_PGM_RSRC2:USER_SGPR: 2
; COMPUTE_PGM_RSRC2:TRAP_HANDLER: 0
; COMPUTE_PGM_RSRC2:TGID_X_EN: 1
; COMPUTE_PGM_RSRC2:TGID_Y_EN: 0
; COMPUTE_PGM_RSRC2:TGID_Z_EN: 0
; COMPUTE_PGM_RSRC2:TIDIG_COMP_CNT: 0
; COMPUTE_PGM_RSRC3_GFX90A:ACCUM_OFFSET: 0
; COMPUTE_PGM_RSRC3_GFX90A:TG_SPLIT: 0
	.section	.text._ZN7rocprim17ROCPRIM_400000_NS6detail17trampoline_kernelINS0_14default_configENS1_38merge_sort_block_merge_config_selectorIiiEEZZNS1_27merge_sort_block_merge_implIS3_N6thrust23THRUST_200600_302600_NS6detail15normal_iteratorINS8_10device_ptrIiEEEESD_jNS1_19radix_merge_compareILb1ELb0EiNS0_19identity_decomposerEEEEE10hipError_tT0_T1_T2_jT3_P12ihipStream_tbPNSt15iterator_traitsISI_E10value_typeEPNSO_ISJ_E10value_typeEPSK_NS1_7vsmem_tEENKUlT_SI_SJ_SK_E_clISD_PiSD_S10_EESH_SX_SI_SJ_SK_EUlSX_E0_NS1_11comp_targetILNS1_3genE0ELNS1_11target_archE4294967295ELNS1_3gpuE0ELNS1_3repE0EEENS1_38merge_mergepath_config_static_selectorELNS0_4arch9wavefront6targetE1EEEvSJ_,"axG",@progbits,_ZN7rocprim17ROCPRIM_400000_NS6detail17trampoline_kernelINS0_14default_configENS1_38merge_sort_block_merge_config_selectorIiiEEZZNS1_27merge_sort_block_merge_implIS3_N6thrust23THRUST_200600_302600_NS6detail15normal_iteratorINS8_10device_ptrIiEEEESD_jNS1_19radix_merge_compareILb1ELb0EiNS0_19identity_decomposerEEEEE10hipError_tT0_T1_T2_jT3_P12ihipStream_tbPNSt15iterator_traitsISI_E10value_typeEPNSO_ISJ_E10value_typeEPSK_NS1_7vsmem_tEENKUlT_SI_SJ_SK_E_clISD_PiSD_S10_EESH_SX_SI_SJ_SK_EUlSX_E0_NS1_11comp_targetILNS1_3genE0ELNS1_11target_archE4294967295ELNS1_3gpuE0ELNS1_3repE0EEENS1_38merge_mergepath_config_static_selectorELNS0_4arch9wavefront6targetE1EEEvSJ_,comdat
	.protected	_ZN7rocprim17ROCPRIM_400000_NS6detail17trampoline_kernelINS0_14default_configENS1_38merge_sort_block_merge_config_selectorIiiEEZZNS1_27merge_sort_block_merge_implIS3_N6thrust23THRUST_200600_302600_NS6detail15normal_iteratorINS8_10device_ptrIiEEEESD_jNS1_19radix_merge_compareILb1ELb0EiNS0_19identity_decomposerEEEEE10hipError_tT0_T1_T2_jT3_P12ihipStream_tbPNSt15iterator_traitsISI_E10value_typeEPNSO_ISJ_E10value_typeEPSK_NS1_7vsmem_tEENKUlT_SI_SJ_SK_E_clISD_PiSD_S10_EESH_SX_SI_SJ_SK_EUlSX_E0_NS1_11comp_targetILNS1_3genE0ELNS1_11target_archE4294967295ELNS1_3gpuE0ELNS1_3repE0EEENS1_38merge_mergepath_config_static_selectorELNS0_4arch9wavefront6targetE1EEEvSJ_ ; -- Begin function _ZN7rocprim17ROCPRIM_400000_NS6detail17trampoline_kernelINS0_14default_configENS1_38merge_sort_block_merge_config_selectorIiiEEZZNS1_27merge_sort_block_merge_implIS3_N6thrust23THRUST_200600_302600_NS6detail15normal_iteratorINS8_10device_ptrIiEEEESD_jNS1_19radix_merge_compareILb1ELb0EiNS0_19identity_decomposerEEEEE10hipError_tT0_T1_T2_jT3_P12ihipStream_tbPNSt15iterator_traitsISI_E10value_typeEPNSO_ISJ_E10value_typeEPSK_NS1_7vsmem_tEENKUlT_SI_SJ_SK_E_clISD_PiSD_S10_EESH_SX_SI_SJ_SK_EUlSX_E0_NS1_11comp_targetILNS1_3genE0ELNS1_11target_archE4294967295ELNS1_3gpuE0ELNS1_3repE0EEENS1_38merge_mergepath_config_static_selectorELNS0_4arch9wavefront6targetE1EEEvSJ_
	.globl	_ZN7rocprim17ROCPRIM_400000_NS6detail17trampoline_kernelINS0_14default_configENS1_38merge_sort_block_merge_config_selectorIiiEEZZNS1_27merge_sort_block_merge_implIS3_N6thrust23THRUST_200600_302600_NS6detail15normal_iteratorINS8_10device_ptrIiEEEESD_jNS1_19radix_merge_compareILb1ELb0EiNS0_19identity_decomposerEEEEE10hipError_tT0_T1_T2_jT3_P12ihipStream_tbPNSt15iterator_traitsISI_E10value_typeEPNSO_ISJ_E10value_typeEPSK_NS1_7vsmem_tEENKUlT_SI_SJ_SK_E_clISD_PiSD_S10_EESH_SX_SI_SJ_SK_EUlSX_E0_NS1_11comp_targetILNS1_3genE0ELNS1_11target_archE4294967295ELNS1_3gpuE0ELNS1_3repE0EEENS1_38merge_mergepath_config_static_selectorELNS0_4arch9wavefront6targetE1EEEvSJ_
	.p2align	8
	.type	_ZN7rocprim17ROCPRIM_400000_NS6detail17trampoline_kernelINS0_14default_configENS1_38merge_sort_block_merge_config_selectorIiiEEZZNS1_27merge_sort_block_merge_implIS3_N6thrust23THRUST_200600_302600_NS6detail15normal_iteratorINS8_10device_ptrIiEEEESD_jNS1_19radix_merge_compareILb1ELb0EiNS0_19identity_decomposerEEEEE10hipError_tT0_T1_T2_jT3_P12ihipStream_tbPNSt15iterator_traitsISI_E10value_typeEPNSO_ISJ_E10value_typeEPSK_NS1_7vsmem_tEENKUlT_SI_SJ_SK_E_clISD_PiSD_S10_EESH_SX_SI_SJ_SK_EUlSX_E0_NS1_11comp_targetILNS1_3genE0ELNS1_11target_archE4294967295ELNS1_3gpuE0ELNS1_3repE0EEENS1_38merge_mergepath_config_static_selectorELNS0_4arch9wavefront6targetE1EEEvSJ_,@function
_ZN7rocprim17ROCPRIM_400000_NS6detail17trampoline_kernelINS0_14default_configENS1_38merge_sort_block_merge_config_selectorIiiEEZZNS1_27merge_sort_block_merge_implIS3_N6thrust23THRUST_200600_302600_NS6detail15normal_iteratorINS8_10device_ptrIiEEEESD_jNS1_19radix_merge_compareILb1ELb0EiNS0_19identity_decomposerEEEEE10hipError_tT0_T1_T2_jT3_P12ihipStream_tbPNSt15iterator_traitsISI_E10value_typeEPNSO_ISJ_E10value_typeEPSK_NS1_7vsmem_tEENKUlT_SI_SJ_SK_E_clISD_PiSD_S10_EESH_SX_SI_SJ_SK_EUlSX_E0_NS1_11comp_targetILNS1_3genE0ELNS1_11target_archE4294967295ELNS1_3gpuE0ELNS1_3repE0EEENS1_38merge_mergepath_config_static_selectorELNS0_4arch9wavefront6targetE1EEEvSJ_: ; @_ZN7rocprim17ROCPRIM_400000_NS6detail17trampoline_kernelINS0_14default_configENS1_38merge_sort_block_merge_config_selectorIiiEEZZNS1_27merge_sort_block_merge_implIS3_N6thrust23THRUST_200600_302600_NS6detail15normal_iteratorINS8_10device_ptrIiEEEESD_jNS1_19radix_merge_compareILb1ELb0EiNS0_19identity_decomposerEEEEE10hipError_tT0_T1_T2_jT3_P12ihipStream_tbPNSt15iterator_traitsISI_E10value_typeEPNSO_ISJ_E10value_typeEPSK_NS1_7vsmem_tEENKUlT_SI_SJ_SK_E_clISD_PiSD_S10_EESH_SX_SI_SJ_SK_EUlSX_E0_NS1_11comp_targetILNS1_3genE0ELNS1_11target_archE4294967295ELNS1_3gpuE0ELNS1_3repE0EEENS1_38merge_mergepath_config_static_selectorELNS0_4arch9wavefront6targetE1EEEvSJ_
; %bb.0:
	s_load_dwordx2 s[28:29], s[0:1], 0x40
	s_load_dword s5, s[0:1], 0x30
	s_add_u32 s24, s0, 64
	s_addc_u32 s25, s1, 0
	s_waitcnt lgkmcnt(0)
	s_mul_i32 s4, s29, s4
	s_add_i32 s3, s4, s3
	s_mul_i32 s3, s3, s28
	s_add_i32 s26, s3, s2
	s_cmp_ge_u32 s26, s5
	s_cbranch_scc1 .LBB1755_46
; %bb.1:
	s_load_dwordx8 s[8:15], s[0:1], 0x10
	s_load_dwordx2 s[20:21], s[0:1], 0x8
	s_load_dwordx2 s[4:5], s[0:1], 0x38
	s_mov_b32 s27, 0
	s_mov_b32 s23, s27
	s_waitcnt lgkmcnt(0)
	s_lshr_b32 s29, s14, 10
	s_cmp_lg_u32 s26, s29
	s_cselect_b64 s[18:19], -1, 0
	s_lshl_b64 s[0:1], s[26:27], 2
	s_add_u32 s0, s4, s0
	s_addc_u32 s1, s5, s1
	s_load_dwordx2 s[4:5], s[0:1], 0x0
	s_lshr_b32 s0, s15, 9
	s_and_b32 s0, s0, 0x7ffffe
	s_sub_i32 s0, 0, s0
	s_and_b32 s1, s26, s0
	s_lshl_b32 s3, s1, 10
	s_lshl_b32 s16, s26, 10
	s_lshl_b32 s1, s1, 11
	s_sub_i32 s6, s16, s3
	s_add_i32 s1, s1, s15
	s_add_i32 s6, s1, s6
	s_waitcnt lgkmcnt(0)
	s_sub_i32 s7, s6, s4
	s_sub_i32 s6, s6, s5
	;; [unrolled: 1-line block ×3, first 2 shown]
	s_min_u32 s22, s14, s7
	s_addk_i32 s6, 0x400
	s_or_b32 s0, s26, s0
	s_min_u32 s3, s14, s1
	s_add_i32 s1, s1, s15
	s_cmp_eq_u32 s0, -1
	s_cselect_b32 s0, s1, s6
	s_cselect_b32 s1, s3, s5
	s_mov_b32 s5, s27
	s_min_u32 s17, s0, s14
	s_sub_i32 s15, s1, s4
	s_lshl_b64 s[0:1], s[4:5], 2
	s_add_u32 s6, s20, s0
	s_addc_u32 s7, s21, s1
	s_lshl_b64 s[4:5], s[22:23], 2
	s_add_u32 s20, s20, s4
	s_addc_u32 s21, s21, s5
	s_cmp_lt_u32 s2, s28
	v_mov_b32_e32 v5, 0
	s_cselect_b32 s2, 12, 18
	global_load_dword v1, v5, s[24:25] offset:14
	s_add_u32 s2, s24, s2
	s_addc_u32 s3, s25, 0
	global_load_ushort v2, v5, s[2:3]
	s_cmp_eq_u32 s26, s29
	v_lshlrev_b32_e32 v10, 2, v0
	s_waitcnt vmcnt(1)
	v_lshrrev_b32_e32 v3, 16, v1
	v_and_b32_e32 v1, 0xffff, v1
	v_mul_lo_u32 v1, v1, v3
	s_waitcnt vmcnt(0)
	v_mul_lo_u32 v1, v1, v2
	v_add_u32_e32 v14, v1, v0
	v_add_u32_e32 v12, v14, v1
	s_cbranch_scc1 .LBB1755_3
; %bb.2:
	v_mov_b32_e32 v11, v5
	v_subrev_co_u32_e32 v4, vcc, s15, v0
	v_lshl_add_u64 v[2:3], s[6:7], 0, v[10:11]
	v_lshl_add_u64 v[6:7], v[4:5], 2, s[20:21]
	v_cndmask_b32_e32 v3, v7, v3, vcc
	v_cndmask_b32_e32 v2, v6, v2, vcc
	v_mov_b32_e32 v15, v5
	v_subrev_co_u32_e32 v4, vcc, s15, v14
	v_lshl_add_u64 v[6:7], v[14:15], 2, s[6:7]
	v_lshl_add_u64 v[8:9], v[4:5], 2, s[20:21]
	v_cndmask_b32_e32 v7, v9, v7, vcc
	v_cndmask_b32_e32 v6, v8, v6, vcc
	v_mov_b32_e32 v13, v5
	v_subrev_co_u32_e32 v4, vcc, s15, v12
	global_load_dword v2, v[2:3], off
	v_lshl_add_u64 v[8:9], v[4:5], 2, s[20:21]
	global_load_dword v3, v[6:7], off
	v_lshl_add_u64 v[6:7], v[12:13], 2, s[6:7]
	v_cndmask_b32_e32 v7, v9, v7, vcc
	v_cndmask_b32_e32 v6, v8, v6, vcc
	global_load_dword v4, v[6:7], off
	v_add_u32_e32 v6, v12, v1
	s_mov_b64 s[2:3], -1
	s_sub_i32 s17, s17, s22
	s_cbranch_execz .LBB1755_4
	s_branch .LBB1755_9
.LBB1755_3:
	s_mov_b64 s[2:3], 0
                                        ; implicit-def: $vgpr6
                                        ; implicit-def: $vgpr2_vgpr3_vgpr4_vgpr5
	s_sub_i32 s17, s17, s22
.LBB1755_4:
	s_add_i32 s22, s17, s15
	s_waitcnt vmcnt(2)
	v_mov_b32_e32 v2, 0
	v_cmp_gt_u32_e32 vcc, s22, v0
	s_waitcnt vmcnt(1)
	v_mov_b32_e32 v3, v2
	s_waitcnt vmcnt(0)
	v_mov_b32_e32 v4, v2
	v_mov_b32_e32 v5, v2
	s_and_saveexec_b64 s[2:3], vcc
	s_cbranch_execnz .LBB1755_47
; %bb.5:
	s_or_b64 exec, exec, s[2:3]
	v_cmp_gt_u32_e32 vcc, s22, v14
	s_and_saveexec_b64 s[2:3], vcc
	s_cbranch_execnz .LBB1755_48
.LBB1755_6:
	s_or_b64 exec, exec, s[2:3]
	v_cmp_gt_u32_e32 vcc, s22, v12
	s_and_saveexec_b64 s[2:3], vcc
	s_cbranch_execz .LBB1755_8
.LBB1755_7:
	v_mov_b32_e32 v13, 0
	v_subrev_co_u32_e32 v8, vcc, s15, v12
	v_mov_b32_e32 v9, v13
	v_lshl_add_u64 v[6:7], v[12:13], 2, s[6:7]
	v_lshl_add_u64 v[8:9], v[8:9], 2, s[20:21]
	v_cndmask_b32_e32 v7, v9, v7, vcc
	v_cndmask_b32_e32 v6, v8, v6, vcc
	global_load_dword v4, v[6:7], off
.LBB1755_8:
	s_or_b64 exec, exec, s[2:3]
	v_add_u32_e32 v6, v12, v1
	v_cmp_gt_u32_e64 s[2:3], s22, v6
.LBB1755_9:
	s_and_saveexec_b64 s[22:23], s[2:3]
	s_cbranch_execz .LBB1755_11
; %bb.10:
	v_mov_b32_e32 v9, 0
	v_mov_b32_e32 v7, v9
	v_subrev_co_u32_e32 v8, vcc, s15, v6
	v_lshl_add_u64 v[16:17], v[6:7], 2, s[6:7]
	v_lshl_add_u64 v[6:7], v[8:9], 2, s[20:21]
	v_cndmask_b32_e32 v7, v7, v17, vcc
	v_cndmask_b32_e32 v6, v6, v16, vcc
	global_load_dword v5, v[6:7], off
.LBB1755_11:
	s_or_b64 exec, exec, s[22:23]
	s_add_u32 s0, s10, s0
	s_addc_u32 s1, s11, s1
	s_add_u32 s2, s10, s4
	v_mov_b32_e32 v9, 0
	s_addc_u32 s3, s11, s5
	s_andn2_b64 vcc, exec, s[18:19]
	s_waitcnt vmcnt(0)
	ds_write2st64_b32 v10, v2, v3 offset1:4
	ds_write2st64_b32 v10, v4, v5 offset0:8 offset1:12
	s_cbranch_vccnz .LBB1755_13
; %bb.12:
	v_mov_b32_e32 v11, v9
	v_subrev_co_u32_e32 v8, vcc, s15, v0
	v_lshl_add_u64 v[6:7], s[0:1], 0, v[10:11]
	v_lshl_add_u64 v[16:17], v[8:9], 2, s[2:3]
	v_cndmask_b32_e32 v7, v17, v7, vcc
	v_cndmask_b32_e32 v6, v16, v6, vcc
	v_mov_b32_e32 v15, v9
	v_subrev_co_u32_e32 v8, vcc, s15, v14
	v_lshl_add_u64 v[16:17], v[14:15], 2, s[0:1]
	v_lshl_add_u64 v[18:19], v[8:9], 2, s[2:3]
	v_cndmask_b32_e32 v17, v19, v17, vcc
	v_cndmask_b32_e32 v16, v18, v16, vcc
	v_mov_b32_e32 v13, v9
	v_subrev_co_u32_e32 v8, vcc, s15, v12
	global_load_dword v6, v[6:7], off
	v_lshl_add_u64 v[18:19], v[8:9], 2, s[2:3]
	global_load_dword v7, v[16:17], off
	v_lshl_add_u64 v[16:17], v[12:13], 2, s[0:1]
	v_cndmask_b32_e32 v17, v19, v17, vcc
	v_cndmask_b32_e32 v16, v18, v16, vcc
	global_load_dword v8, v[16:17], off
	s_add_i32 s10, s17, s15
	v_add_u32_e32 v16, v12, v1
	s_mov_b64 s[4:5], -1
	v_mov_b32_e32 v11, s10
	s_cbranch_execz .LBB1755_14
	s_branch .LBB1755_19
.LBB1755_13:
	s_mov_b64 s[4:5], 0
                                        ; implicit-def: $vgpr16
                                        ; implicit-def: $vgpr6_vgpr7_vgpr8_vgpr9
                                        ; implicit-def: $vgpr11
.LBB1755_14:
	s_add_i32 s6, s17, s15
	s_waitcnt vmcnt(2)
	v_mov_b32_e32 v6, 0
	v_cmp_gt_u32_e32 vcc, s6, v0
	s_waitcnt vmcnt(1)
	v_mov_b32_e32 v7, v6
	s_waitcnt vmcnt(0)
	v_mov_b32_e32 v8, v6
	v_mov_b32_e32 v9, v6
	s_and_saveexec_b64 s[4:5], vcc
	s_cbranch_execnz .LBB1755_49
; %bb.15:
	s_or_b64 exec, exec, s[4:5]
	v_cmp_gt_u32_e32 vcc, s6, v14
	s_and_saveexec_b64 s[4:5], vcc
	s_cbranch_execnz .LBB1755_50
.LBB1755_16:
	s_or_b64 exec, exec, s[4:5]
	v_cmp_gt_u32_e32 vcc, s6, v12
	s_and_saveexec_b64 s[4:5], vcc
	s_cbranch_execz .LBB1755_18
.LBB1755_17:
	v_mov_b32_e32 v13, 0
	v_subrev_co_u32_e32 v16, vcc, s15, v12
	v_mov_b32_e32 v17, v13
	v_lshl_add_u64 v[14:15], v[12:13], 2, s[0:1]
	v_lshl_add_u64 v[16:17], v[16:17], 2, s[2:3]
	v_cndmask_b32_e32 v15, v17, v15, vcc
	v_cndmask_b32_e32 v14, v16, v14, vcc
	global_load_dword v8, v[14:15], off
.LBB1755_18:
	s_or_b64 exec, exec, s[4:5]
	v_add_u32_e32 v16, v12, v1
	v_cmp_gt_u32_e64 s[4:5], s6, v16
	v_mov_b32_e32 v11, s6
.LBB1755_19:
	s_and_saveexec_b64 s[6:7], s[4:5]
	s_cbranch_execz .LBB1755_21
; %bb.20:
	v_mov_b32_e32 v13, 0
	v_mov_b32_e32 v17, v13
	v_subrev_co_u32_e32 v12, vcc, s15, v16
	v_lshl_add_u64 v[14:15], v[16:17], 2, s[0:1]
	v_lshl_add_u64 v[12:13], v[12:13], 2, s[2:3]
	v_cndmask_b32_e32 v13, v13, v15, vcc
	v_cndmask_b32_e32 v12, v12, v14, vcc
	global_load_dword v9, v[12:13], off
.LBB1755_21:
	s_or_b64 exec, exec, s[6:7]
	v_min_u32_e32 v12, v11, v10
	v_sub_u32_e64 v1, v12, s17 clamp
	v_min_u32_e32 v13, s15, v12
	v_cmp_lt_u32_e32 vcc, v1, v13
	s_waitcnt lgkmcnt(0)
	s_barrier
	s_and_saveexec_b64 s[0:1], vcc
	s_cbranch_execz .LBB1755_25
; %bb.22:
	v_lshlrev_b32_e32 v14, 2, v12
	v_lshl_add_u32 v14, s15, 2, v14
	s_mov_b64 s[2:3], 0
.LBB1755_23:                            ; =>This Inner Loop Header: Depth=1
	v_add_u32_e32 v15, v13, v1
	v_lshrrev_b32_e32 v15, 1, v15
	v_not_b32_e32 v16, v15
	v_lshlrev_b32_e32 v17, 2, v15
	v_lshl_add_u32 v16, v16, 2, v14
	ds_read_b32 v17, v17
	ds_read_b32 v16, v16
	v_add_u32_e32 v18, 1, v15
	s_waitcnt lgkmcnt(0)
	v_cmp_gt_i32_e32 vcc, v16, v17
	s_nop 1
	v_cndmask_b32_e32 v13, v13, v15, vcc
	v_cndmask_b32_e32 v1, v18, v1, vcc
	v_cmp_ge_u32_e32 vcc, v1, v13
	s_or_b64 s[2:3], vcc, s[2:3]
	s_andn2_b64 exec, exec, s[2:3]
	s_cbranch_execnz .LBB1755_23
; %bb.24:
	s_or_b64 exec, exec, s[2:3]
.LBB1755_25:
	s_or_b64 exec, exec, s[0:1]
	v_sub_u32_e32 v12, v12, v1
	v_add_u32_e32 v15, s15, v12
	v_cmp_ge_u32_e32 vcc, s15, v1
	v_cmp_le_u32_e64 s[0:1], v15, v11
	s_or_b64 s[0:1], vcc, s[0:1]
	v_mov_b32_e32 v16, 0
	v_mov_b32_e32 v14, 0
	;; [unrolled: 1-line block ×4, first 2 shown]
	s_and_saveexec_b64 s[10:11], s[0:1]
	s_cbranch_execz .LBB1755_31
; %bb.26:
	v_cmp_gt_u32_e32 vcc, s15, v1
                                        ; implicit-def: $vgpr2
	s_and_saveexec_b64 s[0:1], vcc
; %bb.27:
	v_lshlrev_b32_e32 v2, 2, v1
	ds_read_b32 v2, v2
; %bb.28:
	s_or_b64 exec, exec, s[0:1]
	v_cmp_ge_u32_e64 s[0:1], v15, v11
	v_cmp_lt_u32_e64 s[2:3], v15, v11
                                        ; implicit-def: $vgpr3
	s_and_saveexec_b64 s[4:5], s[2:3]
; %bb.29:
	v_lshlrev_b32_e32 v3, 2, v15
	ds_read_b32 v3, v3
; %bb.30:
	s_or_b64 exec, exec, s[4:5]
	s_waitcnt lgkmcnt(0)
	v_cmp_le_i32_e64 s[2:3], v3, v2
	s_and_b64 s[2:3], vcc, s[2:3]
	s_or_b64 vcc, s[0:1], s[2:3]
	v_mov_b32_e32 v4, s15
	v_cndmask_b32_e32 v12, v15, v1, vcc
	v_cndmask_b32_e32 v5, v11, v4, vcc
	v_add_u32_e32 v13, 1, v12
	v_add_u32_e32 v5, -1, v5
	v_min_u32_e32 v5, v13, v5
	v_lshlrev_b32_e32 v5, 2, v5
	ds_read_b32 v5, v5
	v_cndmask_b32_e32 v1, v1, v13, vcc
	v_cndmask_b32_e32 v14, v13, v15, vcc
	v_cmp_gt_u32_e64 s[2:3], s15, v1
	v_cmp_ge_u32_e64 s[0:1], v14, v11
	s_waitcnt lgkmcnt(0)
	v_cndmask_b32_e32 v16, v5, v3, vcc
	v_cndmask_b32_e32 v5, v2, v5, vcc
	v_cmp_le_i32_e64 s[4:5], v16, v5
	s_and_b64 s[2:3], s[2:3], s[4:5]
	s_or_b64 s[0:1], s[0:1], s[2:3]
	v_cndmask_b32_e64 v13, v14, v1, s[0:1]
	v_cndmask_b32_e64 v15, v11, v4, s[0:1]
	v_add_u32_e32 v17, 1, v13
	v_add_u32_e32 v15, -1, v15
	v_min_u32_e32 v15, v17, v15
	v_lshlrev_b32_e32 v15, 2, v15
	ds_read_b32 v15, v15
	v_cndmask_b32_e64 v1, v1, v17, s[0:1]
	v_cndmask_b32_e64 v19, v17, v14, s[0:1]
	v_cmp_gt_u32_e64 s[4:5], s15, v1
	v_cmp_ge_u32_e64 s[2:3], v19, v11
	s_waitcnt lgkmcnt(0)
	v_cndmask_b32_e64 v18, v15, v16, s[0:1]
	v_cndmask_b32_e64 v15, v5, v15, s[0:1]
	v_cmp_le_i32_e64 s[6:7], v18, v15
	s_and_b64 s[4:5], s[4:5], s[6:7]
	s_or_b64 s[2:3], s[2:3], s[4:5]
	v_cndmask_b32_e64 v14, v19, v1, s[2:3]
	v_cndmask_b32_e64 v4, v11, v4, s[2:3]
	v_add_u32_e32 v17, 1, v14
	v_add_u32_e32 v4, -1, v4
	v_min_u32_e32 v4, v17, v4
	v_lshlrev_b32_e32 v4, 2, v4
	ds_read_b32 v20, v4
	v_cndmask_b32_e32 v2, v3, v2, vcc
	v_cndmask_b32_e64 v3, v16, v5, s[0:1]
	v_cndmask_b32_e64 v4, v18, v15, s[2:3]
	;; [unrolled: 1-line block ×3, first 2 shown]
	s_waitcnt lgkmcnt(0)
	v_cndmask_b32_e64 v5, v20, v18, s[2:3]
	v_cndmask_b32_e64 v15, v15, v20, s[2:3]
	;; [unrolled: 1-line block ×3, first 2 shown]
	v_cmp_gt_u32_e64 s[0:1], s15, v1
	v_cmp_le_i32_e64 s[2:3], v5, v15
	v_cmp_ge_u32_e32 vcc, v16, v11
	s_and_b64 s[0:1], s[0:1], s[2:3]
	s_or_b64 vcc, vcc, s[0:1]
	v_cndmask_b32_e32 v16, v16, v1, vcc
	v_cndmask_b32_e32 v5, v5, v15, vcc
.LBB1755_31:
	s_or_b64 exec, exec, s[10:11]
	s_barrier
	s_waitcnt vmcnt(0)
	ds_write2st64_b32 v10, v6, v7 offset1:4
	ds_write2st64_b32 v10, v8, v9 offset0:8 offset1:12
	v_lshrrev_b32_e32 v11, 3, v0
	v_lshlrev_b32_e32 v9, 2, v10
	v_lshlrev_b32_e32 v1, 2, v12
	;; [unrolled: 1-line block ×5, first 2 shown]
	v_lshl_add_u32 v9, v11, 2, v9
	s_waitcnt lgkmcnt(0)
	s_barrier
	ds_read_b32 v1, v1
	ds_read_b32 v6, v6
	;; [unrolled: 1-line block ×4, first 2 shown]
	s_waitcnt lgkmcnt(0)
	s_barrier
	s_barrier
	ds_write2_b32 v9, v2, v3 offset1:1
	ds_write2_b32 v9, v4, v5 offset0:2 offset1:3
	v_and_b32_e32 v2, 28, v11
	v_or_b32_e32 v16, 0x100, v0
	v_add_u32_e32 v4, v2, v10
	v_lshrrev_b32_e32 v2, 3, v16
	v_and_b32_e32 v2, 60, v2
	v_or_b32_e32 v15, 0x200, v0
	s_mov_b32 s17, 0
	v_add_u32_e32 v5, v2, v10
	v_lshrrev_b32_e32 v2, 3, v15
	s_lshl_b64 s[4:5], s[16:17], 2
	v_and_b32_e32 v2, 0x5c, v2
	v_or_b32_e32 v14, 0x300, v0
	s_add_u32 s0, s8, s4
	v_add_u32_e32 v12, v2, v10
	v_lshrrev_b32_e32 v2, 3, v14
	s_addc_u32 s1, s9, s5
	v_and_b32_e32 v2, 0x7c, v2
	v_mov_b32_e32 v11, 0
	v_add_u32_e32 v13, v2, v10
	v_lshl_add_u64 v[2:3], s[0:1], 0, v[10:11]
	s_and_b64 vcc, exec, s[18:19]
	s_waitcnt lgkmcnt(0)
	s_cbranch_vccz .LBB1755_33
; %bb.32:
	s_barrier
	ds_read_b32 v11, v4
	ds_read_b32 v17, v5 offset:1024
	ds_read_b32 v18, v12 offset:2048
	;; [unrolled: 1-line block ×3, first 2 shown]
	s_add_u32 s0, s12, s4
	s_addc_u32 s1, s13, s5
	s_waitcnt lgkmcnt(3)
	global_store_dword v[2:3], v11, off
	s_waitcnt lgkmcnt(2)
	global_store_dword v[2:3], v17, off offset:1024
	s_waitcnt lgkmcnt(1)
	global_store_dword v[2:3], v18, off offset:2048
	;; [unrolled: 2-line block ×3, first 2 shown]
	s_barrier
	ds_write2_b32 v9, v1, v6 offset1:1
	ds_write2_b32 v9, v7, v8 offset0:2 offset1:3
	s_waitcnt lgkmcnt(0)
	s_barrier
	ds_read_b32 v11, v4
	ds_read_b32 v18, v5 offset:1024
	ds_read_b32 v19, v12 offset:2048
	;; [unrolled: 1-line block ×3, first 2 shown]
	s_waitcnt lgkmcnt(3)
	global_store_dword v10, v11, s[0:1]
	s_waitcnt lgkmcnt(2)
	global_store_dword v10, v18, s[0:1] offset:1024
	s_waitcnt lgkmcnt(1)
	global_store_dword v10, v19, s[0:1] offset:2048
	s_mov_b64 s[6:7], -1
	s_cbranch_execz .LBB1755_34
	s_branch .LBB1755_44
.LBB1755_33:
	s_mov_b64 s[6:7], 0
                                        ; implicit-def: $vgpr17
.LBB1755_34:
	s_barrier
	s_waitcnt lgkmcnt(0)
	ds_read_b32 v18, v5 offset:1024
	ds_read_b32 v17, v12 offset:2048
	;; [unrolled: 1-line block ×3, first 2 shown]
	s_sub_i32 s8, s14, s16
	v_cmp_gt_u32_e32 vcc, s8, v0
	s_and_saveexec_b64 s[0:1], vcc
	s_cbranch_execnz .LBB1755_51
; %bb.35:
	s_or_b64 exec, exec, s[0:1]
	v_cmp_gt_u32_e64 s[0:1], s8, v16
	s_and_saveexec_b64 s[2:3], s[0:1]
	s_cbranch_execnz .LBB1755_52
.LBB1755_36:
	s_or_b64 exec, exec, s[2:3]
	v_cmp_gt_u32_e64 s[2:3], s8, v15
	s_and_saveexec_b64 s[6:7], s[2:3]
	s_cbranch_execnz .LBB1755_53
.LBB1755_37:
	s_or_b64 exec, exec, s[6:7]
	v_cmp_gt_u32_e64 s[6:7], s8, v14
	s_and_saveexec_b64 s[8:9], s[6:7]
	s_cbranch_execz .LBB1755_39
.LBB1755_38:
	s_waitcnt lgkmcnt(0)
	global_store_dword v[2:3], v11, off offset:3072
.LBB1755_39:
	s_or_b64 exec, exec, s[8:9]
	s_waitcnt lgkmcnt(0)
	s_barrier
	ds_write2_b32 v9, v1, v6 offset1:1
	ds_write2_b32 v9, v7, v8 offset0:2 offset1:3
	s_waitcnt lgkmcnt(0)
	s_barrier
	ds_read_b32 v3, v5 offset:1024
	ds_read_b32 v2, v12 offset:2048
	;; [unrolled: 1-line block ×3, first 2 shown]
	s_add_u32 s8, s12, s4
	s_addc_u32 s9, s13, s5
	v_mov_b32_e32 v11, 0
	v_lshl_add_u64 v[0:1], s[8:9], 0, v[10:11]
	s_and_saveexec_b64 s[8:9], vcc
	s_cbranch_execnz .LBB1755_54
; %bb.40:
	s_or_b64 exec, exec, s[8:9]
	s_and_saveexec_b64 s[8:9], s[0:1]
	s_cbranch_execnz .LBB1755_55
.LBB1755_41:
	s_or_b64 exec, exec, s[8:9]
	s_and_saveexec_b64 s[0:1], s[2:3]
	s_cbranch_execz .LBB1755_43
.LBB1755_42:
	s_waitcnt lgkmcnt(1)
	global_store_dword v[0:1], v2, off offset:2048
.LBB1755_43:
	s_or_b64 exec, exec, s[0:1]
.LBB1755_44:
	s_and_saveexec_b64 s[0:1], s[6:7]
	s_cbranch_execz .LBB1755_46
; %bb.45:
	s_add_u32 s0, s12, s4
	s_addc_u32 s1, s13, s5
	s_waitcnt lgkmcnt(0)
	global_store_dword v10, v17, s[0:1] offset:3072
.LBB1755_46:
	s_endpgm
.LBB1755_47:
	v_mov_b32_e32 v11, v2
	v_subrev_co_u32_e32 v6, vcc, s15, v0
	v_mov_b32_e32 v7, v2
	v_lshl_add_u64 v[4:5], s[6:7], 0, v[10:11]
	v_lshl_add_u64 v[6:7], v[6:7], 2, s[20:21]
	v_cndmask_b32_e32 v5, v7, v5, vcc
	v_cndmask_b32_e32 v4, v6, v4, vcc
	global_load_dword v4, v[4:5], off
	v_mov_b32_e32 v5, v2
	v_mov_b32_e32 v6, v2
	;; [unrolled: 1-line block ×3, first 2 shown]
	s_waitcnt vmcnt(0)
	v_mov_b64_e32 v[2:3], v[4:5]
	v_mov_b64_e32 v[4:5], v[6:7]
	s_or_b64 exec, exec, s[2:3]
	v_cmp_gt_u32_e32 vcc, s22, v14
	s_and_saveexec_b64 s[2:3], vcc
	s_cbranch_execz .LBB1755_6
.LBB1755_48:
	v_mov_b32_e32 v15, 0
	v_subrev_co_u32_e32 v8, vcc, s15, v14
	v_mov_b32_e32 v9, v15
	v_lshl_add_u64 v[6:7], v[14:15], 2, s[6:7]
	v_lshl_add_u64 v[8:9], v[8:9], 2, s[20:21]
	v_cndmask_b32_e32 v7, v9, v7, vcc
	v_cndmask_b32_e32 v6, v8, v6, vcc
	global_load_dword v3, v[6:7], off
	s_or_b64 exec, exec, s[2:3]
	v_cmp_gt_u32_e32 vcc, s22, v12
	s_and_saveexec_b64 s[2:3], vcc
	s_cbranch_execnz .LBB1755_7
	s_branch .LBB1755_8
.LBB1755_49:
	v_mov_b32_e32 v11, v6
	v_subrev_co_u32_e32 v16, vcc, s15, v0
	v_mov_b32_e32 v17, v6
	v_lshl_add_u64 v[8:9], s[0:1], 0, v[10:11]
	v_lshl_add_u64 v[16:17], v[16:17], 2, s[2:3]
	v_cndmask_b32_e32 v9, v17, v9, vcc
	v_cndmask_b32_e32 v8, v16, v8, vcc
	global_load_dword v16, v[8:9], off
	v_mov_b32_e32 v17, v6
	v_mov_b32_e32 v18, v6
	;; [unrolled: 1-line block ×3, first 2 shown]
	s_waitcnt vmcnt(0)
	v_mov_b64_e32 v[6:7], v[16:17]
	v_mov_b64_e32 v[8:9], v[18:19]
	s_or_b64 exec, exec, s[4:5]
	v_cmp_gt_u32_e32 vcc, s6, v14
	s_and_saveexec_b64 s[4:5], vcc
	s_cbranch_execz .LBB1755_16
.LBB1755_50:
	v_mov_b32_e32 v15, 0
	v_lshl_add_u64 v[16:17], v[14:15], 2, s[0:1]
	v_subrev_co_u32_e32 v14, vcc, s15, v14
	v_lshl_add_u64 v[14:15], v[14:15], 2, s[2:3]
	s_nop 0
	v_cndmask_b32_e32 v15, v15, v17, vcc
	v_cndmask_b32_e32 v14, v14, v16, vcc
	global_load_dword v7, v[14:15], off
	s_or_b64 exec, exec, s[4:5]
	v_cmp_gt_u32_e32 vcc, s6, v12
	s_and_saveexec_b64 s[4:5], vcc
	s_cbranch_execnz .LBB1755_17
	s_branch .LBB1755_18
.LBB1755_51:
	ds_read_b32 v0, v4
	s_waitcnt lgkmcnt(0)
	global_store_dword v[2:3], v0, off
	s_or_b64 exec, exec, s[0:1]
	v_cmp_gt_u32_e64 s[0:1], s8, v16
	s_and_saveexec_b64 s[2:3], s[0:1]
	s_cbranch_execz .LBB1755_36
.LBB1755_52:
	s_waitcnt lgkmcnt(2)
	global_store_dword v[2:3], v18, off offset:1024
	s_or_b64 exec, exec, s[2:3]
	v_cmp_gt_u32_e64 s[2:3], s8, v15
	s_and_saveexec_b64 s[6:7], s[2:3]
	s_cbranch_execz .LBB1755_37
.LBB1755_53:
	s_waitcnt lgkmcnt(1)
	global_store_dword v[2:3], v17, off offset:2048
	s_or_b64 exec, exec, s[6:7]
	v_cmp_gt_u32_e64 s[6:7], s8, v14
	s_and_saveexec_b64 s[8:9], s[6:7]
	s_cbranch_execnz .LBB1755_38
	s_branch .LBB1755_39
.LBB1755_54:
	ds_read_b32 v4, v4
	s_waitcnt lgkmcnt(0)
	global_store_dword v[0:1], v4, off
	s_or_b64 exec, exec, s[8:9]
	s_and_saveexec_b64 s[8:9], s[0:1]
	s_cbranch_execz .LBB1755_41
.LBB1755_55:
	s_waitcnt lgkmcnt(2)
	global_store_dword v[0:1], v3, off offset:1024
	s_or_b64 exec, exec, s[8:9]
	s_and_saveexec_b64 s[0:1], s[2:3]
	s_cbranch_execnz .LBB1755_42
	s_branch .LBB1755_43
	.section	.rodata,"a",@progbits
	.p2align	6, 0x0
	.amdhsa_kernel _ZN7rocprim17ROCPRIM_400000_NS6detail17trampoline_kernelINS0_14default_configENS1_38merge_sort_block_merge_config_selectorIiiEEZZNS1_27merge_sort_block_merge_implIS3_N6thrust23THRUST_200600_302600_NS6detail15normal_iteratorINS8_10device_ptrIiEEEESD_jNS1_19radix_merge_compareILb1ELb0EiNS0_19identity_decomposerEEEEE10hipError_tT0_T1_T2_jT3_P12ihipStream_tbPNSt15iterator_traitsISI_E10value_typeEPNSO_ISJ_E10value_typeEPSK_NS1_7vsmem_tEENKUlT_SI_SJ_SK_E_clISD_PiSD_S10_EESH_SX_SI_SJ_SK_EUlSX_E0_NS1_11comp_targetILNS1_3genE0ELNS1_11target_archE4294967295ELNS1_3gpuE0ELNS1_3repE0EEENS1_38merge_mergepath_config_static_selectorELNS0_4arch9wavefront6targetE1EEEvSJ_
		.amdhsa_group_segment_fixed_size 4224
		.amdhsa_private_segment_fixed_size 0
		.amdhsa_kernarg_size 320
		.amdhsa_user_sgpr_count 2
		.amdhsa_user_sgpr_dispatch_ptr 0
		.amdhsa_user_sgpr_queue_ptr 0
		.amdhsa_user_sgpr_kernarg_segment_ptr 1
		.amdhsa_user_sgpr_dispatch_id 0
		.amdhsa_user_sgpr_kernarg_preload_length 0
		.amdhsa_user_sgpr_kernarg_preload_offset 0
		.amdhsa_user_sgpr_private_segment_size 0
		.amdhsa_uses_dynamic_stack 0
		.amdhsa_enable_private_segment 0
		.amdhsa_system_sgpr_workgroup_id_x 1
		.amdhsa_system_sgpr_workgroup_id_y 1
		.amdhsa_system_sgpr_workgroup_id_z 1
		.amdhsa_system_sgpr_workgroup_info 0
		.amdhsa_system_vgpr_workitem_id 0
		.amdhsa_next_free_vgpr 21
		.amdhsa_next_free_sgpr 30
		.amdhsa_accum_offset 24
		.amdhsa_reserve_vcc 1
		.amdhsa_float_round_mode_32 0
		.amdhsa_float_round_mode_16_64 0
		.amdhsa_float_denorm_mode_32 3
		.amdhsa_float_denorm_mode_16_64 3
		.amdhsa_dx10_clamp 1
		.amdhsa_ieee_mode 1
		.amdhsa_fp16_overflow 0
		.amdhsa_tg_split 0
		.amdhsa_exception_fp_ieee_invalid_op 0
		.amdhsa_exception_fp_denorm_src 0
		.amdhsa_exception_fp_ieee_div_zero 0
		.amdhsa_exception_fp_ieee_overflow 0
		.amdhsa_exception_fp_ieee_underflow 0
		.amdhsa_exception_fp_ieee_inexact 0
		.amdhsa_exception_int_div_zero 0
	.end_amdhsa_kernel
	.section	.text._ZN7rocprim17ROCPRIM_400000_NS6detail17trampoline_kernelINS0_14default_configENS1_38merge_sort_block_merge_config_selectorIiiEEZZNS1_27merge_sort_block_merge_implIS3_N6thrust23THRUST_200600_302600_NS6detail15normal_iteratorINS8_10device_ptrIiEEEESD_jNS1_19radix_merge_compareILb1ELb0EiNS0_19identity_decomposerEEEEE10hipError_tT0_T1_T2_jT3_P12ihipStream_tbPNSt15iterator_traitsISI_E10value_typeEPNSO_ISJ_E10value_typeEPSK_NS1_7vsmem_tEENKUlT_SI_SJ_SK_E_clISD_PiSD_S10_EESH_SX_SI_SJ_SK_EUlSX_E0_NS1_11comp_targetILNS1_3genE0ELNS1_11target_archE4294967295ELNS1_3gpuE0ELNS1_3repE0EEENS1_38merge_mergepath_config_static_selectorELNS0_4arch9wavefront6targetE1EEEvSJ_,"axG",@progbits,_ZN7rocprim17ROCPRIM_400000_NS6detail17trampoline_kernelINS0_14default_configENS1_38merge_sort_block_merge_config_selectorIiiEEZZNS1_27merge_sort_block_merge_implIS3_N6thrust23THRUST_200600_302600_NS6detail15normal_iteratorINS8_10device_ptrIiEEEESD_jNS1_19radix_merge_compareILb1ELb0EiNS0_19identity_decomposerEEEEE10hipError_tT0_T1_T2_jT3_P12ihipStream_tbPNSt15iterator_traitsISI_E10value_typeEPNSO_ISJ_E10value_typeEPSK_NS1_7vsmem_tEENKUlT_SI_SJ_SK_E_clISD_PiSD_S10_EESH_SX_SI_SJ_SK_EUlSX_E0_NS1_11comp_targetILNS1_3genE0ELNS1_11target_archE4294967295ELNS1_3gpuE0ELNS1_3repE0EEENS1_38merge_mergepath_config_static_selectorELNS0_4arch9wavefront6targetE1EEEvSJ_,comdat
.Lfunc_end1755:
	.size	_ZN7rocprim17ROCPRIM_400000_NS6detail17trampoline_kernelINS0_14default_configENS1_38merge_sort_block_merge_config_selectorIiiEEZZNS1_27merge_sort_block_merge_implIS3_N6thrust23THRUST_200600_302600_NS6detail15normal_iteratorINS8_10device_ptrIiEEEESD_jNS1_19radix_merge_compareILb1ELb0EiNS0_19identity_decomposerEEEEE10hipError_tT0_T1_T2_jT3_P12ihipStream_tbPNSt15iterator_traitsISI_E10value_typeEPNSO_ISJ_E10value_typeEPSK_NS1_7vsmem_tEENKUlT_SI_SJ_SK_E_clISD_PiSD_S10_EESH_SX_SI_SJ_SK_EUlSX_E0_NS1_11comp_targetILNS1_3genE0ELNS1_11target_archE4294967295ELNS1_3gpuE0ELNS1_3repE0EEENS1_38merge_mergepath_config_static_selectorELNS0_4arch9wavefront6targetE1EEEvSJ_, .Lfunc_end1755-_ZN7rocprim17ROCPRIM_400000_NS6detail17trampoline_kernelINS0_14default_configENS1_38merge_sort_block_merge_config_selectorIiiEEZZNS1_27merge_sort_block_merge_implIS3_N6thrust23THRUST_200600_302600_NS6detail15normal_iteratorINS8_10device_ptrIiEEEESD_jNS1_19radix_merge_compareILb1ELb0EiNS0_19identity_decomposerEEEEE10hipError_tT0_T1_T2_jT3_P12ihipStream_tbPNSt15iterator_traitsISI_E10value_typeEPNSO_ISJ_E10value_typeEPSK_NS1_7vsmem_tEENKUlT_SI_SJ_SK_E_clISD_PiSD_S10_EESH_SX_SI_SJ_SK_EUlSX_E0_NS1_11comp_targetILNS1_3genE0ELNS1_11target_archE4294967295ELNS1_3gpuE0ELNS1_3repE0EEENS1_38merge_mergepath_config_static_selectorELNS0_4arch9wavefront6targetE1EEEvSJ_
                                        ; -- End function
	.set _ZN7rocprim17ROCPRIM_400000_NS6detail17trampoline_kernelINS0_14default_configENS1_38merge_sort_block_merge_config_selectorIiiEEZZNS1_27merge_sort_block_merge_implIS3_N6thrust23THRUST_200600_302600_NS6detail15normal_iteratorINS8_10device_ptrIiEEEESD_jNS1_19radix_merge_compareILb1ELb0EiNS0_19identity_decomposerEEEEE10hipError_tT0_T1_T2_jT3_P12ihipStream_tbPNSt15iterator_traitsISI_E10value_typeEPNSO_ISJ_E10value_typeEPSK_NS1_7vsmem_tEENKUlT_SI_SJ_SK_E_clISD_PiSD_S10_EESH_SX_SI_SJ_SK_EUlSX_E0_NS1_11comp_targetILNS1_3genE0ELNS1_11target_archE4294967295ELNS1_3gpuE0ELNS1_3repE0EEENS1_38merge_mergepath_config_static_selectorELNS0_4arch9wavefront6targetE1EEEvSJ_.num_vgpr, 21
	.set _ZN7rocprim17ROCPRIM_400000_NS6detail17trampoline_kernelINS0_14default_configENS1_38merge_sort_block_merge_config_selectorIiiEEZZNS1_27merge_sort_block_merge_implIS3_N6thrust23THRUST_200600_302600_NS6detail15normal_iteratorINS8_10device_ptrIiEEEESD_jNS1_19radix_merge_compareILb1ELb0EiNS0_19identity_decomposerEEEEE10hipError_tT0_T1_T2_jT3_P12ihipStream_tbPNSt15iterator_traitsISI_E10value_typeEPNSO_ISJ_E10value_typeEPSK_NS1_7vsmem_tEENKUlT_SI_SJ_SK_E_clISD_PiSD_S10_EESH_SX_SI_SJ_SK_EUlSX_E0_NS1_11comp_targetILNS1_3genE0ELNS1_11target_archE4294967295ELNS1_3gpuE0ELNS1_3repE0EEENS1_38merge_mergepath_config_static_selectorELNS0_4arch9wavefront6targetE1EEEvSJ_.num_agpr, 0
	.set _ZN7rocprim17ROCPRIM_400000_NS6detail17trampoline_kernelINS0_14default_configENS1_38merge_sort_block_merge_config_selectorIiiEEZZNS1_27merge_sort_block_merge_implIS3_N6thrust23THRUST_200600_302600_NS6detail15normal_iteratorINS8_10device_ptrIiEEEESD_jNS1_19radix_merge_compareILb1ELb0EiNS0_19identity_decomposerEEEEE10hipError_tT0_T1_T2_jT3_P12ihipStream_tbPNSt15iterator_traitsISI_E10value_typeEPNSO_ISJ_E10value_typeEPSK_NS1_7vsmem_tEENKUlT_SI_SJ_SK_E_clISD_PiSD_S10_EESH_SX_SI_SJ_SK_EUlSX_E0_NS1_11comp_targetILNS1_3genE0ELNS1_11target_archE4294967295ELNS1_3gpuE0ELNS1_3repE0EEENS1_38merge_mergepath_config_static_selectorELNS0_4arch9wavefront6targetE1EEEvSJ_.numbered_sgpr, 30
	.set _ZN7rocprim17ROCPRIM_400000_NS6detail17trampoline_kernelINS0_14default_configENS1_38merge_sort_block_merge_config_selectorIiiEEZZNS1_27merge_sort_block_merge_implIS3_N6thrust23THRUST_200600_302600_NS6detail15normal_iteratorINS8_10device_ptrIiEEEESD_jNS1_19radix_merge_compareILb1ELb0EiNS0_19identity_decomposerEEEEE10hipError_tT0_T1_T2_jT3_P12ihipStream_tbPNSt15iterator_traitsISI_E10value_typeEPNSO_ISJ_E10value_typeEPSK_NS1_7vsmem_tEENKUlT_SI_SJ_SK_E_clISD_PiSD_S10_EESH_SX_SI_SJ_SK_EUlSX_E0_NS1_11comp_targetILNS1_3genE0ELNS1_11target_archE4294967295ELNS1_3gpuE0ELNS1_3repE0EEENS1_38merge_mergepath_config_static_selectorELNS0_4arch9wavefront6targetE1EEEvSJ_.num_named_barrier, 0
	.set _ZN7rocprim17ROCPRIM_400000_NS6detail17trampoline_kernelINS0_14default_configENS1_38merge_sort_block_merge_config_selectorIiiEEZZNS1_27merge_sort_block_merge_implIS3_N6thrust23THRUST_200600_302600_NS6detail15normal_iteratorINS8_10device_ptrIiEEEESD_jNS1_19radix_merge_compareILb1ELb0EiNS0_19identity_decomposerEEEEE10hipError_tT0_T1_T2_jT3_P12ihipStream_tbPNSt15iterator_traitsISI_E10value_typeEPNSO_ISJ_E10value_typeEPSK_NS1_7vsmem_tEENKUlT_SI_SJ_SK_E_clISD_PiSD_S10_EESH_SX_SI_SJ_SK_EUlSX_E0_NS1_11comp_targetILNS1_3genE0ELNS1_11target_archE4294967295ELNS1_3gpuE0ELNS1_3repE0EEENS1_38merge_mergepath_config_static_selectorELNS0_4arch9wavefront6targetE1EEEvSJ_.private_seg_size, 0
	.set _ZN7rocprim17ROCPRIM_400000_NS6detail17trampoline_kernelINS0_14default_configENS1_38merge_sort_block_merge_config_selectorIiiEEZZNS1_27merge_sort_block_merge_implIS3_N6thrust23THRUST_200600_302600_NS6detail15normal_iteratorINS8_10device_ptrIiEEEESD_jNS1_19radix_merge_compareILb1ELb0EiNS0_19identity_decomposerEEEEE10hipError_tT0_T1_T2_jT3_P12ihipStream_tbPNSt15iterator_traitsISI_E10value_typeEPNSO_ISJ_E10value_typeEPSK_NS1_7vsmem_tEENKUlT_SI_SJ_SK_E_clISD_PiSD_S10_EESH_SX_SI_SJ_SK_EUlSX_E0_NS1_11comp_targetILNS1_3genE0ELNS1_11target_archE4294967295ELNS1_3gpuE0ELNS1_3repE0EEENS1_38merge_mergepath_config_static_selectorELNS0_4arch9wavefront6targetE1EEEvSJ_.uses_vcc, 1
	.set _ZN7rocprim17ROCPRIM_400000_NS6detail17trampoline_kernelINS0_14default_configENS1_38merge_sort_block_merge_config_selectorIiiEEZZNS1_27merge_sort_block_merge_implIS3_N6thrust23THRUST_200600_302600_NS6detail15normal_iteratorINS8_10device_ptrIiEEEESD_jNS1_19radix_merge_compareILb1ELb0EiNS0_19identity_decomposerEEEEE10hipError_tT0_T1_T2_jT3_P12ihipStream_tbPNSt15iterator_traitsISI_E10value_typeEPNSO_ISJ_E10value_typeEPSK_NS1_7vsmem_tEENKUlT_SI_SJ_SK_E_clISD_PiSD_S10_EESH_SX_SI_SJ_SK_EUlSX_E0_NS1_11comp_targetILNS1_3genE0ELNS1_11target_archE4294967295ELNS1_3gpuE0ELNS1_3repE0EEENS1_38merge_mergepath_config_static_selectorELNS0_4arch9wavefront6targetE1EEEvSJ_.uses_flat_scratch, 0
	.set _ZN7rocprim17ROCPRIM_400000_NS6detail17trampoline_kernelINS0_14default_configENS1_38merge_sort_block_merge_config_selectorIiiEEZZNS1_27merge_sort_block_merge_implIS3_N6thrust23THRUST_200600_302600_NS6detail15normal_iteratorINS8_10device_ptrIiEEEESD_jNS1_19radix_merge_compareILb1ELb0EiNS0_19identity_decomposerEEEEE10hipError_tT0_T1_T2_jT3_P12ihipStream_tbPNSt15iterator_traitsISI_E10value_typeEPNSO_ISJ_E10value_typeEPSK_NS1_7vsmem_tEENKUlT_SI_SJ_SK_E_clISD_PiSD_S10_EESH_SX_SI_SJ_SK_EUlSX_E0_NS1_11comp_targetILNS1_3genE0ELNS1_11target_archE4294967295ELNS1_3gpuE0ELNS1_3repE0EEENS1_38merge_mergepath_config_static_selectorELNS0_4arch9wavefront6targetE1EEEvSJ_.has_dyn_sized_stack, 0
	.set _ZN7rocprim17ROCPRIM_400000_NS6detail17trampoline_kernelINS0_14default_configENS1_38merge_sort_block_merge_config_selectorIiiEEZZNS1_27merge_sort_block_merge_implIS3_N6thrust23THRUST_200600_302600_NS6detail15normal_iteratorINS8_10device_ptrIiEEEESD_jNS1_19radix_merge_compareILb1ELb0EiNS0_19identity_decomposerEEEEE10hipError_tT0_T1_T2_jT3_P12ihipStream_tbPNSt15iterator_traitsISI_E10value_typeEPNSO_ISJ_E10value_typeEPSK_NS1_7vsmem_tEENKUlT_SI_SJ_SK_E_clISD_PiSD_S10_EESH_SX_SI_SJ_SK_EUlSX_E0_NS1_11comp_targetILNS1_3genE0ELNS1_11target_archE4294967295ELNS1_3gpuE0ELNS1_3repE0EEENS1_38merge_mergepath_config_static_selectorELNS0_4arch9wavefront6targetE1EEEvSJ_.has_recursion, 0
	.set _ZN7rocprim17ROCPRIM_400000_NS6detail17trampoline_kernelINS0_14default_configENS1_38merge_sort_block_merge_config_selectorIiiEEZZNS1_27merge_sort_block_merge_implIS3_N6thrust23THRUST_200600_302600_NS6detail15normal_iteratorINS8_10device_ptrIiEEEESD_jNS1_19radix_merge_compareILb1ELb0EiNS0_19identity_decomposerEEEEE10hipError_tT0_T1_T2_jT3_P12ihipStream_tbPNSt15iterator_traitsISI_E10value_typeEPNSO_ISJ_E10value_typeEPSK_NS1_7vsmem_tEENKUlT_SI_SJ_SK_E_clISD_PiSD_S10_EESH_SX_SI_SJ_SK_EUlSX_E0_NS1_11comp_targetILNS1_3genE0ELNS1_11target_archE4294967295ELNS1_3gpuE0ELNS1_3repE0EEENS1_38merge_mergepath_config_static_selectorELNS0_4arch9wavefront6targetE1EEEvSJ_.has_indirect_call, 0
	.section	.AMDGPU.csdata,"",@progbits
; Kernel info:
; codeLenInByte = 2860
; TotalNumSgprs: 36
; NumVgprs: 21
; NumAgprs: 0
; TotalNumVgprs: 21
; ScratchSize: 0
; MemoryBound: 0
; FloatMode: 240
; IeeeMode: 1
; LDSByteSize: 4224 bytes/workgroup (compile time only)
; SGPRBlocks: 4
; VGPRBlocks: 2
; NumSGPRsForWavesPerEU: 36
; NumVGPRsForWavesPerEU: 21
; AccumOffset: 24
; Occupancy: 8
; WaveLimiterHint : 1
; COMPUTE_PGM_RSRC2:SCRATCH_EN: 0
; COMPUTE_PGM_RSRC2:USER_SGPR: 2
; COMPUTE_PGM_RSRC2:TRAP_HANDLER: 0
; COMPUTE_PGM_RSRC2:TGID_X_EN: 1
; COMPUTE_PGM_RSRC2:TGID_Y_EN: 1
; COMPUTE_PGM_RSRC2:TGID_Z_EN: 1
; COMPUTE_PGM_RSRC2:TIDIG_COMP_CNT: 0
; COMPUTE_PGM_RSRC3_GFX90A:ACCUM_OFFSET: 5
; COMPUTE_PGM_RSRC3_GFX90A:TG_SPLIT: 0
	.section	.text._ZN7rocprim17ROCPRIM_400000_NS6detail17trampoline_kernelINS0_14default_configENS1_38merge_sort_block_merge_config_selectorIiiEEZZNS1_27merge_sort_block_merge_implIS3_N6thrust23THRUST_200600_302600_NS6detail15normal_iteratorINS8_10device_ptrIiEEEESD_jNS1_19radix_merge_compareILb1ELb0EiNS0_19identity_decomposerEEEEE10hipError_tT0_T1_T2_jT3_P12ihipStream_tbPNSt15iterator_traitsISI_E10value_typeEPNSO_ISJ_E10value_typeEPSK_NS1_7vsmem_tEENKUlT_SI_SJ_SK_E_clISD_PiSD_S10_EESH_SX_SI_SJ_SK_EUlSX_E0_NS1_11comp_targetILNS1_3genE10ELNS1_11target_archE1201ELNS1_3gpuE5ELNS1_3repE0EEENS1_38merge_mergepath_config_static_selectorELNS0_4arch9wavefront6targetE1EEEvSJ_,"axG",@progbits,_ZN7rocprim17ROCPRIM_400000_NS6detail17trampoline_kernelINS0_14default_configENS1_38merge_sort_block_merge_config_selectorIiiEEZZNS1_27merge_sort_block_merge_implIS3_N6thrust23THRUST_200600_302600_NS6detail15normal_iteratorINS8_10device_ptrIiEEEESD_jNS1_19radix_merge_compareILb1ELb0EiNS0_19identity_decomposerEEEEE10hipError_tT0_T1_T2_jT3_P12ihipStream_tbPNSt15iterator_traitsISI_E10value_typeEPNSO_ISJ_E10value_typeEPSK_NS1_7vsmem_tEENKUlT_SI_SJ_SK_E_clISD_PiSD_S10_EESH_SX_SI_SJ_SK_EUlSX_E0_NS1_11comp_targetILNS1_3genE10ELNS1_11target_archE1201ELNS1_3gpuE5ELNS1_3repE0EEENS1_38merge_mergepath_config_static_selectorELNS0_4arch9wavefront6targetE1EEEvSJ_,comdat
	.protected	_ZN7rocprim17ROCPRIM_400000_NS6detail17trampoline_kernelINS0_14default_configENS1_38merge_sort_block_merge_config_selectorIiiEEZZNS1_27merge_sort_block_merge_implIS3_N6thrust23THRUST_200600_302600_NS6detail15normal_iteratorINS8_10device_ptrIiEEEESD_jNS1_19radix_merge_compareILb1ELb0EiNS0_19identity_decomposerEEEEE10hipError_tT0_T1_T2_jT3_P12ihipStream_tbPNSt15iterator_traitsISI_E10value_typeEPNSO_ISJ_E10value_typeEPSK_NS1_7vsmem_tEENKUlT_SI_SJ_SK_E_clISD_PiSD_S10_EESH_SX_SI_SJ_SK_EUlSX_E0_NS1_11comp_targetILNS1_3genE10ELNS1_11target_archE1201ELNS1_3gpuE5ELNS1_3repE0EEENS1_38merge_mergepath_config_static_selectorELNS0_4arch9wavefront6targetE1EEEvSJ_ ; -- Begin function _ZN7rocprim17ROCPRIM_400000_NS6detail17trampoline_kernelINS0_14default_configENS1_38merge_sort_block_merge_config_selectorIiiEEZZNS1_27merge_sort_block_merge_implIS3_N6thrust23THRUST_200600_302600_NS6detail15normal_iteratorINS8_10device_ptrIiEEEESD_jNS1_19radix_merge_compareILb1ELb0EiNS0_19identity_decomposerEEEEE10hipError_tT0_T1_T2_jT3_P12ihipStream_tbPNSt15iterator_traitsISI_E10value_typeEPNSO_ISJ_E10value_typeEPSK_NS1_7vsmem_tEENKUlT_SI_SJ_SK_E_clISD_PiSD_S10_EESH_SX_SI_SJ_SK_EUlSX_E0_NS1_11comp_targetILNS1_3genE10ELNS1_11target_archE1201ELNS1_3gpuE5ELNS1_3repE0EEENS1_38merge_mergepath_config_static_selectorELNS0_4arch9wavefront6targetE1EEEvSJ_
	.globl	_ZN7rocprim17ROCPRIM_400000_NS6detail17trampoline_kernelINS0_14default_configENS1_38merge_sort_block_merge_config_selectorIiiEEZZNS1_27merge_sort_block_merge_implIS3_N6thrust23THRUST_200600_302600_NS6detail15normal_iteratorINS8_10device_ptrIiEEEESD_jNS1_19radix_merge_compareILb1ELb0EiNS0_19identity_decomposerEEEEE10hipError_tT0_T1_T2_jT3_P12ihipStream_tbPNSt15iterator_traitsISI_E10value_typeEPNSO_ISJ_E10value_typeEPSK_NS1_7vsmem_tEENKUlT_SI_SJ_SK_E_clISD_PiSD_S10_EESH_SX_SI_SJ_SK_EUlSX_E0_NS1_11comp_targetILNS1_3genE10ELNS1_11target_archE1201ELNS1_3gpuE5ELNS1_3repE0EEENS1_38merge_mergepath_config_static_selectorELNS0_4arch9wavefront6targetE1EEEvSJ_
	.p2align	8
	.type	_ZN7rocprim17ROCPRIM_400000_NS6detail17trampoline_kernelINS0_14default_configENS1_38merge_sort_block_merge_config_selectorIiiEEZZNS1_27merge_sort_block_merge_implIS3_N6thrust23THRUST_200600_302600_NS6detail15normal_iteratorINS8_10device_ptrIiEEEESD_jNS1_19radix_merge_compareILb1ELb0EiNS0_19identity_decomposerEEEEE10hipError_tT0_T1_T2_jT3_P12ihipStream_tbPNSt15iterator_traitsISI_E10value_typeEPNSO_ISJ_E10value_typeEPSK_NS1_7vsmem_tEENKUlT_SI_SJ_SK_E_clISD_PiSD_S10_EESH_SX_SI_SJ_SK_EUlSX_E0_NS1_11comp_targetILNS1_3genE10ELNS1_11target_archE1201ELNS1_3gpuE5ELNS1_3repE0EEENS1_38merge_mergepath_config_static_selectorELNS0_4arch9wavefront6targetE1EEEvSJ_,@function
_ZN7rocprim17ROCPRIM_400000_NS6detail17trampoline_kernelINS0_14default_configENS1_38merge_sort_block_merge_config_selectorIiiEEZZNS1_27merge_sort_block_merge_implIS3_N6thrust23THRUST_200600_302600_NS6detail15normal_iteratorINS8_10device_ptrIiEEEESD_jNS1_19radix_merge_compareILb1ELb0EiNS0_19identity_decomposerEEEEE10hipError_tT0_T1_T2_jT3_P12ihipStream_tbPNSt15iterator_traitsISI_E10value_typeEPNSO_ISJ_E10value_typeEPSK_NS1_7vsmem_tEENKUlT_SI_SJ_SK_E_clISD_PiSD_S10_EESH_SX_SI_SJ_SK_EUlSX_E0_NS1_11comp_targetILNS1_3genE10ELNS1_11target_archE1201ELNS1_3gpuE5ELNS1_3repE0EEENS1_38merge_mergepath_config_static_selectorELNS0_4arch9wavefront6targetE1EEEvSJ_: ; @_ZN7rocprim17ROCPRIM_400000_NS6detail17trampoline_kernelINS0_14default_configENS1_38merge_sort_block_merge_config_selectorIiiEEZZNS1_27merge_sort_block_merge_implIS3_N6thrust23THRUST_200600_302600_NS6detail15normal_iteratorINS8_10device_ptrIiEEEESD_jNS1_19radix_merge_compareILb1ELb0EiNS0_19identity_decomposerEEEEE10hipError_tT0_T1_T2_jT3_P12ihipStream_tbPNSt15iterator_traitsISI_E10value_typeEPNSO_ISJ_E10value_typeEPSK_NS1_7vsmem_tEENKUlT_SI_SJ_SK_E_clISD_PiSD_S10_EESH_SX_SI_SJ_SK_EUlSX_E0_NS1_11comp_targetILNS1_3genE10ELNS1_11target_archE1201ELNS1_3gpuE5ELNS1_3repE0EEENS1_38merge_mergepath_config_static_selectorELNS0_4arch9wavefront6targetE1EEEvSJ_
; %bb.0:
	.section	.rodata,"a",@progbits
	.p2align	6, 0x0
	.amdhsa_kernel _ZN7rocprim17ROCPRIM_400000_NS6detail17trampoline_kernelINS0_14default_configENS1_38merge_sort_block_merge_config_selectorIiiEEZZNS1_27merge_sort_block_merge_implIS3_N6thrust23THRUST_200600_302600_NS6detail15normal_iteratorINS8_10device_ptrIiEEEESD_jNS1_19radix_merge_compareILb1ELb0EiNS0_19identity_decomposerEEEEE10hipError_tT0_T1_T2_jT3_P12ihipStream_tbPNSt15iterator_traitsISI_E10value_typeEPNSO_ISJ_E10value_typeEPSK_NS1_7vsmem_tEENKUlT_SI_SJ_SK_E_clISD_PiSD_S10_EESH_SX_SI_SJ_SK_EUlSX_E0_NS1_11comp_targetILNS1_3genE10ELNS1_11target_archE1201ELNS1_3gpuE5ELNS1_3repE0EEENS1_38merge_mergepath_config_static_selectorELNS0_4arch9wavefront6targetE1EEEvSJ_
		.amdhsa_group_segment_fixed_size 0
		.amdhsa_private_segment_fixed_size 0
		.amdhsa_kernarg_size 64
		.amdhsa_user_sgpr_count 2
		.amdhsa_user_sgpr_dispatch_ptr 0
		.amdhsa_user_sgpr_queue_ptr 0
		.amdhsa_user_sgpr_kernarg_segment_ptr 1
		.amdhsa_user_sgpr_dispatch_id 0
		.amdhsa_user_sgpr_kernarg_preload_length 0
		.amdhsa_user_sgpr_kernarg_preload_offset 0
		.amdhsa_user_sgpr_private_segment_size 0
		.amdhsa_uses_dynamic_stack 0
		.amdhsa_enable_private_segment 0
		.amdhsa_system_sgpr_workgroup_id_x 1
		.amdhsa_system_sgpr_workgroup_id_y 0
		.amdhsa_system_sgpr_workgroup_id_z 0
		.amdhsa_system_sgpr_workgroup_info 0
		.amdhsa_system_vgpr_workitem_id 0
		.amdhsa_next_free_vgpr 1
		.amdhsa_next_free_sgpr 0
		.amdhsa_accum_offset 4
		.amdhsa_reserve_vcc 0
		.amdhsa_float_round_mode_32 0
		.amdhsa_float_round_mode_16_64 0
		.amdhsa_float_denorm_mode_32 3
		.amdhsa_float_denorm_mode_16_64 3
		.amdhsa_dx10_clamp 1
		.amdhsa_ieee_mode 1
		.amdhsa_fp16_overflow 0
		.amdhsa_tg_split 0
		.amdhsa_exception_fp_ieee_invalid_op 0
		.amdhsa_exception_fp_denorm_src 0
		.amdhsa_exception_fp_ieee_div_zero 0
		.amdhsa_exception_fp_ieee_overflow 0
		.amdhsa_exception_fp_ieee_underflow 0
		.amdhsa_exception_fp_ieee_inexact 0
		.amdhsa_exception_int_div_zero 0
	.end_amdhsa_kernel
	.section	.text._ZN7rocprim17ROCPRIM_400000_NS6detail17trampoline_kernelINS0_14default_configENS1_38merge_sort_block_merge_config_selectorIiiEEZZNS1_27merge_sort_block_merge_implIS3_N6thrust23THRUST_200600_302600_NS6detail15normal_iteratorINS8_10device_ptrIiEEEESD_jNS1_19radix_merge_compareILb1ELb0EiNS0_19identity_decomposerEEEEE10hipError_tT0_T1_T2_jT3_P12ihipStream_tbPNSt15iterator_traitsISI_E10value_typeEPNSO_ISJ_E10value_typeEPSK_NS1_7vsmem_tEENKUlT_SI_SJ_SK_E_clISD_PiSD_S10_EESH_SX_SI_SJ_SK_EUlSX_E0_NS1_11comp_targetILNS1_3genE10ELNS1_11target_archE1201ELNS1_3gpuE5ELNS1_3repE0EEENS1_38merge_mergepath_config_static_selectorELNS0_4arch9wavefront6targetE1EEEvSJ_,"axG",@progbits,_ZN7rocprim17ROCPRIM_400000_NS6detail17trampoline_kernelINS0_14default_configENS1_38merge_sort_block_merge_config_selectorIiiEEZZNS1_27merge_sort_block_merge_implIS3_N6thrust23THRUST_200600_302600_NS6detail15normal_iteratorINS8_10device_ptrIiEEEESD_jNS1_19radix_merge_compareILb1ELb0EiNS0_19identity_decomposerEEEEE10hipError_tT0_T1_T2_jT3_P12ihipStream_tbPNSt15iterator_traitsISI_E10value_typeEPNSO_ISJ_E10value_typeEPSK_NS1_7vsmem_tEENKUlT_SI_SJ_SK_E_clISD_PiSD_S10_EESH_SX_SI_SJ_SK_EUlSX_E0_NS1_11comp_targetILNS1_3genE10ELNS1_11target_archE1201ELNS1_3gpuE5ELNS1_3repE0EEENS1_38merge_mergepath_config_static_selectorELNS0_4arch9wavefront6targetE1EEEvSJ_,comdat
.Lfunc_end1756:
	.size	_ZN7rocprim17ROCPRIM_400000_NS6detail17trampoline_kernelINS0_14default_configENS1_38merge_sort_block_merge_config_selectorIiiEEZZNS1_27merge_sort_block_merge_implIS3_N6thrust23THRUST_200600_302600_NS6detail15normal_iteratorINS8_10device_ptrIiEEEESD_jNS1_19radix_merge_compareILb1ELb0EiNS0_19identity_decomposerEEEEE10hipError_tT0_T1_T2_jT3_P12ihipStream_tbPNSt15iterator_traitsISI_E10value_typeEPNSO_ISJ_E10value_typeEPSK_NS1_7vsmem_tEENKUlT_SI_SJ_SK_E_clISD_PiSD_S10_EESH_SX_SI_SJ_SK_EUlSX_E0_NS1_11comp_targetILNS1_3genE10ELNS1_11target_archE1201ELNS1_3gpuE5ELNS1_3repE0EEENS1_38merge_mergepath_config_static_selectorELNS0_4arch9wavefront6targetE1EEEvSJ_, .Lfunc_end1756-_ZN7rocprim17ROCPRIM_400000_NS6detail17trampoline_kernelINS0_14default_configENS1_38merge_sort_block_merge_config_selectorIiiEEZZNS1_27merge_sort_block_merge_implIS3_N6thrust23THRUST_200600_302600_NS6detail15normal_iteratorINS8_10device_ptrIiEEEESD_jNS1_19radix_merge_compareILb1ELb0EiNS0_19identity_decomposerEEEEE10hipError_tT0_T1_T2_jT3_P12ihipStream_tbPNSt15iterator_traitsISI_E10value_typeEPNSO_ISJ_E10value_typeEPSK_NS1_7vsmem_tEENKUlT_SI_SJ_SK_E_clISD_PiSD_S10_EESH_SX_SI_SJ_SK_EUlSX_E0_NS1_11comp_targetILNS1_3genE10ELNS1_11target_archE1201ELNS1_3gpuE5ELNS1_3repE0EEENS1_38merge_mergepath_config_static_selectorELNS0_4arch9wavefront6targetE1EEEvSJ_
                                        ; -- End function
	.set _ZN7rocprim17ROCPRIM_400000_NS6detail17trampoline_kernelINS0_14default_configENS1_38merge_sort_block_merge_config_selectorIiiEEZZNS1_27merge_sort_block_merge_implIS3_N6thrust23THRUST_200600_302600_NS6detail15normal_iteratorINS8_10device_ptrIiEEEESD_jNS1_19radix_merge_compareILb1ELb0EiNS0_19identity_decomposerEEEEE10hipError_tT0_T1_T2_jT3_P12ihipStream_tbPNSt15iterator_traitsISI_E10value_typeEPNSO_ISJ_E10value_typeEPSK_NS1_7vsmem_tEENKUlT_SI_SJ_SK_E_clISD_PiSD_S10_EESH_SX_SI_SJ_SK_EUlSX_E0_NS1_11comp_targetILNS1_3genE10ELNS1_11target_archE1201ELNS1_3gpuE5ELNS1_3repE0EEENS1_38merge_mergepath_config_static_selectorELNS0_4arch9wavefront6targetE1EEEvSJ_.num_vgpr, 0
	.set _ZN7rocprim17ROCPRIM_400000_NS6detail17trampoline_kernelINS0_14default_configENS1_38merge_sort_block_merge_config_selectorIiiEEZZNS1_27merge_sort_block_merge_implIS3_N6thrust23THRUST_200600_302600_NS6detail15normal_iteratorINS8_10device_ptrIiEEEESD_jNS1_19radix_merge_compareILb1ELb0EiNS0_19identity_decomposerEEEEE10hipError_tT0_T1_T2_jT3_P12ihipStream_tbPNSt15iterator_traitsISI_E10value_typeEPNSO_ISJ_E10value_typeEPSK_NS1_7vsmem_tEENKUlT_SI_SJ_SK_E_clISD_PiSD_S10_EESH_SX_SI_SJ_SK_EUlSX_E0_NS1_11comp_targetILNS1_3genE10ELNS1_11target_archE1201ELNS1_3gpuE5ELNS1_3repE0EEENS1_38merge_mergepath_config_static_selectorELNS0_4arch9wavefront6targetE1EEEvSJ_.num_agpr, 0
	.set _ZN7rocprim17ROCPRIM_400000_NS6detail17trampoline_kernelINS0_14default_configENS1_38merge_sort_block_merge_config_selectorIiiEEZZNS1_27merge_sort_block_merge_implIS3_N6thrust23THRUST_200600_302600_NS6detail15normal_iteratorINS8_10device_ptrIiEEEESD_jNS1_19radix_merge_compareILb1ELb0EiNS0_19identity_decomposerEEEEE10hipError_tT0_T1_T2_jT3_P12ihipStream_tbPNSt15iterator_traitsISI_E10value_typeEPNSO_ISJ_E10value_typeEPSK_NS1_7vsmem_tEENKUlT_SI_SJ_SK_E_clISD_PiSD_S10_EESH_SX_SI_SJ_SK_EUlSX_E0_NS1_11comp_targetILNS1_3genE10ELNS1_11target_archE1201ELNS1_3gpuE5ELNS1_3repE0EEENS1_38merge_mergepath_config_static_selectorELNS0_4arch9wavefront6targetE1EEEvSJ_.numbered_sgpr, 0
	.set _ZN7rocprim17ROCPRIM_400000_NS6detail17trampoline_kernelINS0_14default_configENS1_38merge_sort_block_merge_config_selectorIiiEEZZNS1_27merge_sort_block_merge_implIS3_N6thrust23THRUST_200600_302600_NS6detail15normal_iteratorINS8_10device_ptrIiEEEESD_jNS1_19radix_merge_compareILb1ELb0EiNS0_19identity_decomposerEEEEE10hipError_tT0_T1_T2_jT3_P12ihipStream_tbPNSt15iterator_traitsISI_E10value_typeEPNSO_ISJ_E10value_typeEPSK_NS1_7vsmem_tEENKUlT_SI_SJ_SK_E_clISD_PiSD_S10_EESH_SX_SI_SJ_SK_EUlSX_E0_NS1_11comp_targetILNS1_3genE10ELNS1_11target_archE1201ELNS1_3gpuE5ELNS1_3repE0EEENS1_38merge_mergepath_config_static_selectorELNS0_4arch9wavefront6targetE1EEEvSJ_.num_named_barrier, 0
	.set _ZN7rocprim17ROCPRIM_400000_NS6detail17trampoline_kernelINS0_14default_configENS1_38merge_sort_block_merge_config_selectorIiiEEZZNS1_27merge_sort_block_merge_implIS3_N6thrust23THRUST_200600_302600_NS6detail15normal_iteratorINS8_10device_ptrIiEEEESD_jNS1_19radix_merge_compareILb1ELb0EiNS0_19identity_decomposerEEEEE10hipError_tT0_T1_T2_jT3_P12ihipStream_tbPNSt15iterator_traitsISI_E10value_typeEPNSO_ISJ_E10value_typeEPSK_NS1_7vsmem_tEENKUlT_SI_SJ_SK_E_clISD_PiSD_S10_EESH_SX_SI_SJ_SK_EUlSX_E0_NS1_11comp_targetILNS1_3genE10ELNS1_11target_archE1201ELNS1_3gpuE5ELNS1_3repE0EEENS1_38merge_mergepath_config_static_selectorELNS0_4arch9wavefront6targetE1EEEvSJ_.private_seg_size, 0
	.set _ZN7rocprim17ROCPRIM_400000_NS6detail17trampoline_kernelINS0_14default_configENS1_38merge_sort_block_merge_config_selectorIiiEEZZNS1_27merge_sort_block_merge_implIS3_N6thrust23THRUST_200600_302600_NS6detail15normal_iteratorINS8_10device_ptrIiEEEESD_jNS1_19radix_merge_compareILb1ELb0EiNS0_19identity_decomposerEEEEE10hipError_tT0_T1_T2_jT3_P12ihipStream_tbPNSt15iterator_traitsISI_E10value_typeEPNSO_ISJ_E10value_typeEPSK_NS1_7vsmem_tEENKUlT_SI_SJ_SK_E_clISD_PiSD_S10_EESH_SX_SI_SJ_SK_EUlSX_E0_NS1_11comp_targetILNS1_3genE10ELNS1_11target_archE1201ELNS1_3gpuE5ELNS1_3repE0EEENS1_38merge_mergepath_config_static_selectorELNS0_4arch9wavefront6targetE1EEEvSJ_.uses_vcc, 0
	.set _ZN7rocprim17ROCPRIM_400000_NS6detail17trampoline_kernelINS0_14default_configENS1_38merge_sort_block_merge_config_selectorIiiEEZZNS1_27merge_sort_block_merge_implIS3_N6thrust23THRUST_200600_302600_NS6detail15normal_iteratorINS8_10device_ptrIiEEEESD_jNS1_19radix_merge_compareILb1ELb0EiNS0_19identity_decomposerEEEEE10hipError_tT0_T1_T2_jT3_P12ihipStream_tbPNSt15iterator_traitsISI_E10value_typeEPNSO_ISJ_E10value_typeEPSK_NS1_7vsmem_tEENKUlT_SI_SJ_SK_E_clISD_PiSD_S10_EESH_SX_SI_SJ_SK_EUlSX_E0_NS1_11comp_targetILNS1_3genE10ELNS1_11target_archE1201ELNS1_3gpuE5ELNS1_3repE0EEENS1_38merge_mergepath_config_static_selectorELNS0_4arch9wavefront6targetE1EEEvSJ_.uses_flat_scratch, 0
	.set _ZN7rocprim17ROCPRIM_400000_NS6detail17trampoline_kernelINS0_14default_configENS1_38merge_sort_block_merge_config_selectorIiiEEZZNS1_27merge_sort_block_merge_implIS3_N6thrust23THRUST_200600_302600_NS6detail15normal_iteratorINS8_10device_ptrIiEEEESD_jNS1_19radix_merge_compareILb1ELb0EiNS0_19identity_decomposerEEEEE10hipError_tT0_T1_T2_jT3_P12ihipStream_tbPNSt15iterator_traitsISI_E10value_typeEPNSO_ISJ_E10value_typeEPSK_NS1_7vsmem_tEENKUlT_SI_SJ_SK_E_clISD_PiSD_S10_EESH_SX_SI_SJ_SK_EUlSX_E0_NS1_11comp_targetILNS1_3genE10ELNS1_11target_archE1201ELNS1_3gpuE5ELNS1_3repE0EEENS1_38merge_mergepath_config_static_selectorELNS0_4arch9wavefront6targetE1EEEvSJ_.has_dyn_sized_stack, 0
	.set _ZN7rocprim17ROCPRIM_400000_NS6detail17trampoline_kernelINS0_14default_configENS1_38merge_sort_block_merge_config_selectorIiiEEZZNS1_27merge_sort_block_merge_implIS3_N6thrust23THRUST_200600_302600_NS6detail15normal_iteratorINS8_10device_ptrIiEEEESD_jNS1_19radix_merge_compareILb1ELb0EiNS0_19identity_decomposerEEEEE10hipError_tT0_T1_T2_jT3_P12ihipStream_tbPNSt15iterator_traitsISI_E10value_typeEPNSO_ISJ_E10value_typeEPSK_NS1_7vsmem_tEENKUlT_SI_SJ_SK_E_clISD_PiSD_S10_EESH_SX_SI_SJ_SK_EUlSX_E0_NS1_11comp_targetILNS1_3genE10ELNS1_11target_archE1201ELNS1_3gpuE5ELNS1_3repE0EEENS1_38merge_mergepath_config_static_selectorELNS0_4arch9wavefront6targetE1EEEvSJ_.has_recursion, 0
	.set _ZN7rocprim17ROCPRIM_400000_NS6detail17trampoline_kernelINS0_14default_configENS1_38merge_sort_block_merge_config_selectorIiiEEZZNS1_27merge_sort_block_merge_implIS3_N6thrust23THRUST_200600_302600_NS6detail15normal_iteratorINS8_10device_ptrIiEEEESD_jNS1_19radix_merge_compareILb1ELb0EiNS0_19identity_decomposerEEEEE10hipError_tT0_T1_T2_jT3_P12ihipStream_tbPNSt15iterator_traitsISI_E10value_typeEPNSO_ISJ_E10value_typeEPSK_NS1_7vsmem_tEENKUlT_SI_SJ_SK_E_clISD_PiSD_S10_EESH_SX_SI_SJ_SK_EUlSX_E0_NS1_11comp_targetILNS1_3genE10ELNS1_11target_archE1201ELNS1_3gpuE5ELNS1_3repE0EEENS1_38merge_mergepath_config_static_selectorELNS0_4arch9wavefront6targetE1EEEvSJ_.has_indirect_call, 0
	.section	.AMDGPU.csdata,"",@progbits
; Kernel info:
; codeLenInByte = 0
; TotalNumSgprs: 6
; NumVgprs: 0
; NumAgprs: 0
; TotalNumVgprs: 0
; ScratchSize: 0
; MemoryBound: 0
; FloatMode: 240
; IeeeMode: 1
; LDSByteSize: 0 bytes/workgroup (compile time only)
; SGPRBlocks: 0
; VGPRBlocks: 0
; NumSGPRsForWavesPerEU: 6
; NumVGPRsForWavesPerEU: 1
; AccumOffset: 4
; Occupancy: 8
; WaveLimiterHint : 0
; COMPUTE_PGM_RSRC2:SCRATCH_EN: 0
; COMPUTE_PGM_RSRC2:USER_SGPR: 2
; COMPUTE_PGM_RSRC2:TRAP_HANDLER: 0
; COMPUTE_PGM_RSRC2:TGID_X_EN: 1
; COMPUTE_PGM_RSRC2:TGID_Y_EN: 0
; COMPUTE_PGM_RSRC2:TGID_Z_EN: 0
; COMPUTE_PGM_RSRC2:TIDIG_COMP_CNT: 0
; COMPUTE_PGM_RSRC3_GFX90A:ACCUM_OFFSET: 0
; COMPUTE_PGM_RSRC3_GFX90A:TG_SPLIT: 0
	.section	.text._ZN7rocprim17ROCPRIM_400000_NS6detail17trampoline_kernelINS0_14default_configENS1_38merge_sort_block_merge_config_selectorIiiEEZZNS1_27merge_sort_block_merge_implIS3_N6thrust23THRUST_200600_302600_NS6detail15normal_iteratorINS8_10device_ptrIiEEEESD_jNS1_19radix_merge_compareILb1ELb0EiNS0_19identity_decomposerEEEEE10hipError_tT0_T1_T2_jT3_P12ihipStream_tbPNSt15iterator_traitsISI_E10value_typeEPNSO_ISJ_E10value_typeEPSK_NS1_7vsmem_tEENKUlT_SI_SJ_SK_E_clISD_PiSD_S10_EESH_SX_SI_SJ_SK_EUlSX_E0_NS1_11comp_targetILNS1_3genE5ELNS1_11target_archE942ELNS1_3gpuE9ELNS1_3repE0EEENS1_38merge_mergepath_config_static_selectorELNS0_4arch9wavefront6targetE1EEEvSJ_,"axG",@progbits,_ZN7rocprim17ROCPRIM_400000_NS6detail17trampoline_kernelINS0_14default_configENS1_38merge_sort_block_merge_config_selectorIiiEEZZNS1_27merge_sort_block_merge_implIS3_N6thrust23THRUST_200600_302600_NS6detail15normal_iteratorINS8_10device_ptrIiEEEESD_jNS1_19radix_merge_compareILb1ELb0EiNS0_19identity_decomposerEEEEE10hipError_tT0_T1_T2_jT3_P12ihipStream_tbPNSt15iterator_traitsISI_E10value_typeEPNSO_ISJ_E10value_typeEPSK_NS1_7vsmem_tEENKUlT_SI_SJ_SK_E_clISD_PiSD_S10_EESH_SX_SI_SJ_SK_EUlSX_E0_NS1_11comp_targetILNS1_3genE5ELNS1_11target_archE942ELNS1_3gpuE9ELNS1_3repE0EEENS1_38merge_mergepath_config_static_selectorELNS0_4arch9wavefront6targetE1EEEvSJ_,comdat
	.protected	_ZN7rocprim17ROCPRIM_400000_NS6detail17trampoline_kernelINS0_14default_configENS1_38merge_sort_block_merge_config_selectorIiiEEZZNS1_27merge_sort_block_merge_implIS3_N6thrust23THRUST_200600_302600_NS6detail15normal_iteratorINS8_10device_ptrIiEEEESD_jNS1_19radix_merge_compareILb1ELb0EiNS0_19identity_decomposerEEEEE10hipError_tT0_T1_T2_jT3_P12ihipStream_tbPNSt15iterator_traitsISI_E10value_typeEPNSO_ISJ_E10value_typeEPSK_NS1_7vsmem_tEENKUlT_SI_SJ_SK_E_clISD_PiSD_S10_EESH_SX_SI_SJ_SK_EUlSX_E0_NS1_11comp_targetILNS1_3genE5ELNS1_11target_archE942ELNS1_3gpuE9ELNS1_3repE0EEENS1_38merge_mergepath_config_static_selectorELNS0_4arch9wavefront6targetE1EEEvSJ_ ; -- Begin function _ZN7rocprim17ROCPRIM_400000_NS6detail17trampoline_kernelINS0_14default_configENS1_38merge_sort_block_merge_config_selectorIiiEEZZNS1_27merge_sort_block_merge_implIS3_N6thrust23THRUST_200600_302600_NS6detail15normal_iteratorINS8_10device_ptrIiEEEESD_jNS1_19radix_merge_compareILb1ELb0EiNS0_19identity_decomposerEEEEE10hipError_tT0_T1_T2_jT3_P12ihipStream_tbPNSt15iterator_traitsISI_E10value_typeEPNSO_ISJ_E10value_typeEPSK_NS1_7vsmem_tEENKUlT_SI_SJ_SK_E_clISD_PiSD_S10_EESH_SX_SI_SJ_SK_EUlSX_E0_NS1_11comp_targetILNS1_3genE5ELNS1_11target_archE942ELNS1_3gpuE9ELNS1_3repE0EEENS1_38merge_mergepath_config_static_selectorELNS0_4arch9wavefront6targetE1EEEvSJ_
	.globl	_ZN7rocprim17ROCPRIM_400000_NS6detail17trampoline_kernelINS0_14default_configENS1_38merge_sort_block_merge_config_selectorIiiEEZZNS1_27merge_sort_block_merge_implIS3_N6thrust23THRUST_200600_302600_NS6detail15normal_iteratorINS8_10device_ptrIiEEEESD_jNS1_19radix_merge_compareILb1ELb0EiNS0_19identity_decomposerEEEEE10hipError_tT0_T1_T2_jT3_P12ihipStream_tbPNSt15iterator_traitsISI_E10value_typeEPNSO_ISJ_E10value_typeEPSK_NS1_7vsmem_tEENKUlT_SI_SJ_SK_E_clISD_PiSD_S10_EESH_SX_SI_SJ_SK_EUlSX_E0_NS1_11comp_targetILNS1_3genE5ELNS1_11target_archE942ELNS1_3gpuE9ELNS1_3repE0EEENS1_38merge_mergepath_config_static_selectorELNS0_4arch9wavefront6targetE1EEEvSJ_
	.p2align	8
	.type	_ZN7rocprim17ROCPRIM_400000_NS6detail17trampoline_kernelINS0_14default_configENS1_38merge_sort_block_merge_config_selectorIiiEEZZNS1_27merge_sort_block_merge_implIS3_N6thrust23THRUST_200600_302600_NS6detail15normal_iteratorINS8_10device_ptrIiEEEESD_jNS1_19radix_merge_compareILb1ELb0EiNS0_19identity_decomposerEEEEE10hipError_tT0_T1_T2_jT3_P12ihipStream_tbPNSt15iterator_traitsISI_E10value_typeEPNSO_ISJ_E10value_typeEPSK_NS1_7vsmem_tEENKUlT_SI_SJ_SK_E_clISD_PiSD_S10_EESH_SX_SI_SJ_SK_EUlSX_E0_NS1_11comp_targetILNS1_3genE5ELNS1_11target_archE942ELNS1_3gpuE9ELNS1_3repE0EEENS1_38merge_mergepath_config_static_selectorELNS0_4arch9wavefront6targetE1EEEvSJ_,@function
_ZN7rocprim17ROCPRIM_400000_NS6detail17trampoline_kernelINS0_14default_configENS1_38merge_sort_block_merge_config_selectorIiiEEZZNS1_27merge_sort_block_merge_implIS3_N6thrust23THRUST_200600_302600_NS6detail15normal_iteratorINS8_10device_ptrIiEEEESD_jNS1_19radix_merge_compareILb1ELb0EiNS0_19identity_decomposerEEEEE10hipError_tT0_T1_T2_jT3_P12ihipStream_tbPNSt15iterator_traitsISI_E10value_typeEPNSO_ISJ_E10value_typeEPSK_NS1_7vsmem_tEENKUlT_SI_SJ_SK_E_clISD_PiSD_S10_EESH_SX_SI_SJ_SK_EUlSX_E0_NS1_11comp_targetILNS1_3genE5ELNS1_11target_archE942ELNS1_3gpuE9ELNS1_3repE0EEENS1_38merge_mergepath_config_static_selectorELNS0_4arch9wavefront6targetE1EEEvSJ_: ; @_ZN7rocprim17ROCPRIM_400000_NS6detail17trampoline_kernelINS0_14default_configENS1_38merge_sort_block_merge_config_selectorIiiEEZZNS1_27merge_sort_block_merge_implIS3_N6thrust23THRUST_200600_302600_NS6detail15normal_iteratorINS8_10device_ptrIiEEEESD_jNS1_19radix_merge_compareILb1ELb0EiNS0_19identity_decomposerEEEEE10hipError_tT0_T1_T2_jT3_P12ihipStream_tbPNSt15iterator_traitsISI_E10value_typeEPNSO_ISJ_E10value_typeEPSK_NS1_7vsmem_tEENKUlT_SI_SJ_SK_E_clISD_PiSD_S10_EESH_SX_SI_SJ_SK_EUlSX_E0_NS1_11comp_targetILNS1_3genE5ELNS1_11target_archE942ELNS1_3gpuE9ELNS1_3repE0EEENS1_38merge_mergepath_config_static_selectorELNS0_4arch9wavefront6targetE1EEEvSJ_
; %bb.0:
	.section	.rodata,"a",@progbits
	.p2align	6, 0x0
	.amdhsa_kernel _ZN7rocprim17ROCPRIM_400000_NS6detail17trampoline_kernelINS0_14default_configENS1_38merge_sort_block_merge_config_selectorIiiEEZZNS1_27merge_sort_block_merge_implIS3_N6thrust23THRUST_200600_302600_NS6detail15normal_iteratorINS8_10device_ptrIiEEEESD_jNS1_19radix_merge_compareILb1ELb0EiNS0_19identity_decomposerEEEEE10hipError_tT0_T1_T2_jT3_P12ihipStream_tbPNSt15iterator_traitsISI_E10value_typeEPNSO_ISJ_E10value_typeEPSK_NS1_7vsmem_tEENKUlT_SI_SJ_SK_E_clISD_PiSD_S10_EESH_SX_SI_SJ_SK_EUlSX_E0_NS1_11comp_targetILNS1_3genE5ELNS1_11target_archE942ELNS1_3gpuE9ELNS1_3repE0EEENS1_38merge_mergepath_config_static_selectorELNS0_4arch9wavefront6targetE1EEEvSJ_
		.amdhsa_group_segment_fixed_size 0
		.amdhsa_private_segment_fixed_size 0
		.amdhsa_kernarg_size 64
		.amdhsa_user_sgpr_count 2
		.amdhsa_user_sgpr_dispatch_ptr 0
		.amdhsa_user_sgpr_queue_ptr 0
		.amdhsa_user_sgpr_kernarg_segment_ptr 1
		.amdhsa_user_sgpr_dispatch_id 0
		.amdhsa_user_sgpr_kernarg_preload_length 0
		.amdhsa_user_sgpr_kernarg_preload_offset 0
		.amdhsa_user_sgpr_private_segment_size 0
		.amdhsa_uses_dynamic_stack 0
		.amdhsa_enable_private_segment 0
		.amdhsa_system_sgpr_workgroup_id_x 1
		.amdhsa_system_sgpr_workgroup_id_y 0
		.amdhsa_system_sgpr_workgroup_id_z 0
		.amdhsa_system_sgpr_workgroup_info 0
		.amdhsa_system_vgpr_workitem_id 0
		.amdhsa_next_free_vgpr 1
		.amdhsa_next_free_sgpr 0
		.amdhsa_accum_offset 4
		.amdhsa_reserve_vcc 0
		.amdhsa_float_round_mode_32 0
		.amdhsa_float_round_mode_16_64 0
		.amdhsa_float_denorm_mode_32 3
		.amdhsa_float_denorm_mode_16_64 3
		.amdhsa_dx10_clamp 1
		.amdhsa_ieee_mode 1
		.amdhsa_fp16_overflow 0
		.amdhsa_tg_split 0
		.amdhsa_exception_fp_ieee_invalid_op 0
		.amdhsa_exception_fp_denorm_src 0
		.amdhsa_exception_fp_ieee_div_zero 0
		.amdhsa_exception_fp_ieee_overflow 0
		.amdhsa_exception_fp_ieee_underflow 0
		.amdhsa_exception_fp_ieee_inexact 0
		.amdhsa_exception_int_div_zero 0
	.end_amdhsa_kernel
	.section	.text._ZN7rocprim17ROCPRIM_400000_NS6detail17trampoline_kernelINS0_14default_configENS1_38merge_sort_block_merge_config_selectorIiiEEZZNS1_27merge_sort_block_merge_implIS3_N6thrust23THRUST_200600_302600_NS6detail15normal_iteratorINS8_10device_ptrIiEEEESD_jNS1_19radix_merge_compareILb1ELb0EiNS0_19identity_decomposerEEEEE10hipError_tT0_T1_T2_jT3_P12ihipStream_tbPNSt15iterator_traitsISI_E10value_typeEPNSO_ISJ_E10value_typeEPSK_NS1_7vsmem_tEENKUlT_SI_SJ_SK_E_clISD_PiSD_S10_EESH_SX_SI_SJ_SK_EUlSX_E0_NS1_11comp_targetILNS1_3genE5ELNS1_11target_archE942ELNS1_3gpuE9ELNS1_3repE0EEENS1_38merge_mergepath_config_static_selectorELNS0_4arch9wavefront6targetE1EEEvSJ_,"axG",@progbits,_ZN7rocprim17ROCPRIM_400000_NS6detail17trampoline_kernelINS0_14default_configENS1_38merge_sort_block_merge_config_selectorIiiEEZZNS1_27merge_sort_block_merge_implIS3_N6thrust23THRUST_200600_302600_NS6detail15normal_iteratorINS8_10device_ptrIiEEEESD_jNS1_19radix_merge_compareILb1ELb0EiNS0_19identity_decomposerEEEEE10hipError_tT0_T1_T2_jT3_P12ihipStream_tbPNSt15iterator_traitsISI_E10value_typeEPNSO_ISJ_E10value_typeEPSK_NS1_7vsmem_tEENKUlT_SI_SJ_SK_E_clISD_PiSD_S10_EESH_SX_SI_SJ_SK_EUlSX_E0_NS1_11comp_targetILNS1_3genE5ELNS1_11target_archE942ELNS1_3gpuE9ELNS1_3repE0EEENS1_38merge_mergepath_config_static_selectorELNS0_4arch9wavefront6targetE1EEEvSJ_,comdat
.Lfunc_end1757:
	.size	_ZN7rocprim17ROCPRIM_400000_NS6detail17trampoline_kernelINS0_14default_configENS1_38merge_sort_block_merge_config_selectorIiiEEZZNS1_27merge_sort_block_merge_implIS3_N6thrust23THRUST_200600_302600_NS6detail15normal_iteratorINS8_10device_ptrIiEEEESD_jNS1_19radix_merge_compareILb1ELb0EiNS0_19identity_decomposerEEEEE10hipError_tT0_T1_T2_jT3_P12ihipStream_tbPNSt15iterator_traitsISI_E10value_typeEPNSO_ISJ_E10value_typeEPSK_NS1_7vsmem_tEENKUlT_SI_SJ_SK_E_clISD_PiSD_S10_EESH_SX_SI_SJ_SK_EUlSX_E0_NS1_11comp_targetILNS1_3genE5ELNS1_11target_archE942ELNS1_3gpuE9ELNS1_3repE0EEENS1_38merge_mergepath_config_static_selectorELNS0_4arch9wavefront6targetE1EEEvSJ_, .Lfunc_end1757-_ZN7rocprim17ROCPRIM_400000_NS6detail17trampoline_kernelINS0_14default_configENS1_38merge_sort_block_merge_config_selectorIiiEEZZNS1_27merge_sort_block_merge_implIS3_N6thrust23THRUST_200600_302600_NS6detail15normal_iteratorINS8_10device_ptrIiEEEESD_jNS1_19radix_merge_compareILb1ELb0EiNS0_19identity_decomposerEEEEE10hipError_tT0_T1_T2_jT3_P12ihipStream_tbPNSt15iterator_traitsISI_E10value_typeEPNSO_ISJ_E10value_typeEPSK_NS1_7vsmem_tEENKUlT_SI_SJ_SK_E_clISD_PiSD_S10_EESH_SX_SI_SJ_SK_EUlSX_E0_NS1_11comp_targetILNS1_3genE5ELNS1_11target_archE942ELNS1_3gpuE9ELNS1_3repE0EEENS1_38merge_mergepath_config_static_selectorELNS0_4arch9wavefront6targetE1EEEvSJ_
                                        ; -- End function
	.set _ZN7rocprim17ROCPRIM_400000_NS6detail17trampoline_kernelINS0_14default_configENS1_38merge_sort_block_merge_config_selectorIiiEEZZNS1_27merge_sort_block_merge_implIS3_N6thrust23THRUST_200600_302600_NS6detail15normal_iteratorINS8_10device_ptrIiEEEESD_jNS1_19radix_merge_compareILb1ELb0EiNS0_19identity_decomposerEEEEE10hipError_tT0_T1_T2_jT3_P12ihipStream_tbPNSt15iterator_traitsISI_E10value_typeEPNSO_ISJ_E10value_typeEPSK_NS1_7vsmem_tEENKUlT_SI_SJ_SK_E_clISD_PiSD_S10_EESH_SX_SI_SJ_SK_EUlSX_E0_NS1_11comp_targetILNS1_3genE5ELNS1_11target_archE942ELNS1_3gpuE9ELNS1_3repE0EEENS1_38merge_mergepath_config_static_selectorELNS0_4arch9wavefront6targetE1EEEvSJ_.num_vgpr, 0
	.set _ZN7rocprim17ROCPRIM_400000_NS6detail17trampoline_kernelINS0_14default_configENS1_38merge_sort_block_merge_config_selectorIiiEEZZNS1_27merge_sort_block_merge_implIS3_N6thrust23THRUST_200600_302600_NS6detail15normal_iteratorINS8_10device_ptrIiEEEESD_jNS1_19radix_merge_compareILb1ELb0EiNS0_19identity_decomposerEEEEE10hipError_tT0_T1_T2_jT3_P12ihipStream_tbPNSt15iterator_traitsISI_E10value_typeEPNSO_ISJ_E10value_typeEPSK_NS1_7vsmem_tEENKUlT_SI_SJ_SK_E_clISD_PiSD_S10_EESH_SX_SI_SJ_SK_EUlSX_E0_NS1_11comp_targetILNS1_3genE5ELNS1_11target_archE942ELNS1_3gpuE9ELNS1_3repE0EEENS1_38merge_mergepath_config_static_selectorELNS0_4arch9wavefront6targetE1EEEvSJ_.num_agpr, 0
	.set _ZN7rocprim17ROCPRIM_400000_NS6detail17trampoline_kernelINS0_14default_configENS1_38merge_sort_block_merge_config_selectorIiiEEZZNS1_27merge_sort_block_merge_implIS3_N6thrust23THRUST_200600_302600_NS6detail15normal_iteratorINS8_10device_ptrIiEEEESD_jNS1_19radix_merge_compareILb1ELb0EiNS0_19identity_decomposerEEEEE10hipError_tT0_T1_T2_jT3_P12ihipStream_tbPNSt15iterator_traitsISI_E10value_typeEPNSO_ISJ_E10value_typeEPSK_NS1_7vsmem_tEENKUlT_SI_SJ_SK_E_clISD_PiSD_S10_EESH_SX_SI_SJ_SK_EUlSX_E0_NS1_11comp_targetILNS1_3genE5ELNS1_11target_archE942ELNS1_3gpuE9ELNS1_3repE0EEENS1_38merge_mergepath_config_static_selectorELNS0_4arch9wavefront6targetE1EEEvSJ_.numbered_sgpr, 0
	.set _ZN7rocprim17ROCPRIM_400000_NS6detail17trampoline_kernelINS0_14default_configENS1_38merge_sort_block_merge_config_selectorIiiEEZZNS1_27merge_sort_block_merge_implIS3_N6thrust23THRUST_200600_302600_NS6detail15normal_iteratorINS8_10device_ptrIiEEEESD_jNS1_19radix_merge_compareILb1ELb0EiNS0_19identity_decomposerEEEEE10hipError_tT0_T1_T2_jT3_P12ihipStream_tbPNSt15iterator_traitsISI_E10value_typeEPNSO_ISJ_E10value_typeEPSK_NS1_7vsmem_tEENKUlT_SI_SJ_SK_E_clISD_PiSD_S10_EESH_SX_SI_SJ_SK_EUlSX_E0_NS1_11comp_targetILNS1_3genE5ELNS1_11target_archE942ELNS1_3gpuE9ELNS1_3repE0EEENS1_38merge_mergepath_config_static_selectorELNS0_4arch9wavefront6targetE1EEEvSJ_.num_named_barrier, 0
	.set _ZN7rocprim17ROCPRIM_400000_NS6detail17trampoline_kernelINS0_14default_configENS1_38merge_sort_block_merge_config_selectorIiiEEZZNS1_27merge_sort_block_merge_implIS3_N6thrust23THRUST_200600_302600_NS6detail15normal_iteratorINS8_10device_ptrIiEEEESD_jNS1_19radix_merge_compareILb1ELb0EiNS0_19identity_decomposerEEEEE10hipError_tT0_T1_T2_jT3_P12ihipStream_tbPNSt15iterator_traitsISI_E10value_typeEPNSO_ISJ_E10value_typeEPSK_NS1_7vsmem_tEENKUlT_SI_SJ_SK_E_clISD_PiSD_S10_EESH_SX_SI_SJ_SK_EUlSX_E0_NS1_11comp_targetILNS1_3genE5ELNS1_11target_archE942ELNS1_3gpuE9ELNS1_3repE0EEENS1_38merge_mergepath_config_static_selectorELNS0_4arch9wavefront6targetE1EEEvSJ_.private_seg_size, 0
	.set _ZN7rocprim17ROCPRIM_400000_NS6detail17trampoline_kernelINS0_14default_configENS1_38merge_sort_block_merge_config_selectorIiiEEZZNS1_27merge_sort_block_merge_implIS3_N6thrust23THRUST_200600_302600_NS6detail15normal_iteratorINS8_10device_ptrIiEEEESD_jNS1_19radix_merge_compareILb1ELb0EiNS0_19identity_decomposerEEEEE10hipError_tT0_T1_T2_jT3_P12ihipStream_tbPNSt15iterator_traitsISI_E10value_typeEPNSO_ISJ_E10value_typeEPSK_NS1_7vsmem_tEENKUlT_SI_SJ_SK_E_clISD_PiSD_S10_EESH_SX_SI_SJ_SK_EUlSX_E0_NS1_11comp_targetILNS1_3genE5ELNS1_11target_archE942ELNS1_3gpuE9ELNS1_3repE0EEENS1_38merge_mergepath_config_static_selectorELNS0_4arch9wavefront6targetE1EEEvSJ_.uses_vcc, 0
	.set _ZN7rocprim17ROCPRIM_400000_NS6detail17trampoline_kernelINS0_14default_configENS1_38merge_sort_block_merge_config_selectorIiiEEZZNS1_27merge_sort_block_merge_implIS3_N6thrust23THRUST_200600_302600_NS6detail15normal_iteratorINS8_10device_ptrIiEEEESD_jNS1_19radix_merge_compareILb1ELb0EiNS0_19identity_decomposerEEEEE10hipError_tT0_T1_T2_jT3_P12ihipStream_tbPNSt15iterator_traitsISI_E10value_typeEPNSO_ISJ_E10value_typeEPSK_NS1_7vsmem_tEENKUlT_SI_SJ_SK_E_clISD_PiSD_S10_EESH_SX_SI_SJ_SK_EUlSX_E0_NS1_11comp_targetILNS1_3genE5ELNS1_11target_archE942ELNS1_3gpuE9ELNS1_3repE0EEENS1_38merge_mergepath_config_static_selectorELNS0_4arch9wavefront6targetE1EEEvSJ_.uses_flat_scratch, 0
	.set _ZN7rocprim17ROCPRIM_400000_NS6detail17trampoline_kernelINS0_14default_configENS1_38merge_sort_block_merge_config_selectorIiiEEZZNS1_27merge_sort_block_merge_implIS3_N6thrust23THRUST_200600_302600_NS6detail15normal_iteratorINS8_10device_ptrIiEEEESD_jNS1_19radix_merge_compareILb1ELb0EiNS0_19identity_decomposerEEEEE10hipError_tT0_T1_T2_jT3_P12ihipStream_tbPNSt15iterator_traitsISI_E10value_typeEPNSO_ISJ_E10value_typeEPSK_NS1_7vsmem_tEENKUlT_SI_SJ_SK_E_clISD_PiSD_S10_EESH_SX_SI_SJ_SK_EUlSX_E0_NS1_11comp_targetILNS1_3genE5ELNS1_11target_archE942ELNS1_3gpuE9ELNS1_3repE0EEENS1_38merge_mergepath_config_static_selectorELNS0_4arch9wavefront6targetE1EEEvSJ_.has_dyn_sized_stack, 0
	.set _ZN7rocprim17ROCPRIM_400000_NS6detail17trampoline_kernelINS0_14default_configENS1_38merge_sort_block_merge_config_selectorIiiEEZZNS1_27merge_sort_block_merge_implIS3_N6thrust23THRUST_200600_302600_NS6detail15normal_iteratorINS8_10device_ptrIiEEEESD_jNS1_19radix_merge_compareILb1ELb0EiNS0_19identity_decomposerEEEEE10hipError_tT0_T1_T2_jT3_P12ihipStream_tbPNSt15iterator_traitsISI_E10value_typeEPNSO_ISJ_E10value_typeEPSK_NS1_7vsmem_tEENKUlT_SI_SJ_SK_E_clISD_PiSD_S10_EESH_SX_SI_SJ_SK_EUlSX_E0_NS1_11comp_targetILNS1_3genE5ELNS1_11target_archE942ELNS1_3gpuE9ELNS1_3repE0EEENS1_38merge_mergepath_config_static_selectorELNS0_4arch9wavefront6targetE1EEEvSJ_.has_recursion, 0
	.set _ZN7rocprim17ROCPRIM_400000_NS6detail17trampoline_kernelINS0_14default_configENS1_38merge_sort_block_merge_config_selectorIiiEEZZNS1_27merge_sort_block_merge_implIS3_N6thrust23THRUST_200600_302600_NS6detail15normal_iteratorINS8_10device_ptrIiEEEESD_jNS1_19radix_merge_compareILb1ELb0EiNS0_19identity_decomposerEEEEE10hipError_tT0_T1_T2_jT3_P12ihipStream_tbPNSt15iterator_traitsISI_E10value_typeEPNSO_ISJ_E10value_typeEPSK_NS1_7vsmem_tEENKUlT_SI_SJ_SK_E_clISD_PiSD_S10_EESH_SX_SI_SJ_SK_EUlSX_E0_NS1_11comp_targetILNS1_3genE5ELNS1_11target_archE942ELNS1_3gpuE9ELNS1_3repE0EEENS1_38merge_mergepath_config_static_selectorELNS0_4arch9wavefront6targetE1EEEvSJ_.has_indirect_call, 0
	.section	.AMDGPU.csdata,"",@progbits
; Kernel info:
; codeLenInByte = 0
; TotalNumSgprs: 6
; NumVgprs: 0
; NumAgprs: 0
; TotalNumVgprs: 0
; ScratchSize: 0
; MemoryBound: 0
; FloatMode: 240
; IeeeMode: 1
; LDSByteSize: 0 bytes/workgroup (compile time only)
; SGPRBlocks: 0
; VGPRBlocks: 0
; NumSGPRsForWavesPerEU: 6
; NumVGPRsForWavesPerEU: 1
; AccumOffset: 4
; Occupancy: 8
; WaveLimiterHint : 0
; COMPUTE_PGM_RSRC2:SCRATCH_EN: 0
; COMPUTE_PGM_RSRC2:USER_SGPR: 2
; COMPUTE_PGM_RSRC2:TRAP_HANDLER: 0
; COMPUTE_PGM_RSRC2:TGID_X_EN: 1
; COMPUTE_PGM_RSRC2:TGID_Y_EN: 0
; COMPUTE_PGM_RSRC2:TGID_Z_EN: 0
; COMPUTE_PGM_RSRC2:TIDIG_COMP_CNT: 0
; COMPUTE_PGM_RSRC3_GFX90A:ACCUM_OFFSET: 0
; COMPUTE_PGM_RSRC3_GFX90A:TG_SPLIT: 0
	.section	.text._ZN7rocprim17ROCPRIM_400000_NS6detail17trampoline_kernelINS0_14default_configENS1_38merge_sort_block_merge_config_selectorIiiEEZZNS1_27merge_sort_block_merge_implIS3_N6thrust23THRUST_200600_302600_NS6detail15normal_iteratorINS8_10device_ptrIiEEEESD_jNS1_19radix_merge_compareILb1ELb0EiNS0_19identity_decomposerEEEEE10hipError_tT0_T1_T2_jT3_P12ihipStream_tbPNSt15iterator_traitsISI_E10value_typeEPNSO_ISJ_E10value_typeEPSK_NS1_7vsmem_tEENKUlT_SI_SJ_SK_E_clISD_PiSD_S10_EESH_SX_SI_SJ_SK_EUlSX_E0_NS1_11comp_targetILNS1_3genE4ELNS1_11target_archE910ELNS1_3gpuE8ELNS1_3repE0EEENS1_38merge_mergepath_config_static_selectorELNS0_4arch9wavefront6targetE1EEEvSJ_,"axG",@progbits,_ZN7rocprim17ROCPRIM_400000_NS6detail17trampoline_kernelINS0_14default_configENS1_38merge_sort_block_merge_config_selectorIiiEEZZNS1_27merge_sort_block_merge_implIS3_N6thrust23THRUST_200600_302600_NS6detail15normal_iteratorINS8_10device_ptrIiEEEESD_jNS1_19radix_merge_compareILb1ELb0EiNS0_19identity_decomposerEEEEE10hipError_tT0_T1_T2_jT3_P12ihipStream_tbPNSt15iterator_traitsISI_E10value_typeEPNSO_ISJ_E10value_typeEPSK_NS1_7vsmem_tEENKUlT_SI_SJ_SK_E_clISD_PiSD_S10_EESH_SX_SI_SJ_SK_EUlSX_E0_NS1_11comp_targetILNS1_3genE4ELNS1_11target_archE910ELNS1_3gpuE8ELNS1_3repE0EEENS1_38merge_mergepath_config_static_selectorELNS0_4arch9wavefront6targetE1EEEvSJ_,comdat
	.protected	_ZN7rocprim17ROCPRIM_400000_NS6detail17trampoline_kernelINS0_14default_configENS1_38merge_sort_block_merge_config_selectorIiiEEZZNS1_27merge_sort_block_merge_implIS3_N6thrust23THRUST_200600_302600_NS6detail15normal_iteratorINS8_10device_ptrIiEEEESD_jNS1_19radix_merge_compareILb1ELb0EiNS0_19identity_decomposerEEEEE10hipError_tT0_T1_T2_jT3_P12ihipStream_tbPNSt15iterator_traitsISI_E10value_typeEPNSO_ISJ_E10value_typeEPSK_NS1_7vsmem_tEENKUlT_SI_SJ_SK_E_clISD_PiSD_S10_EESH_SX_SI_SJ_SK_EUlSX_E0_NS1_11comp_targetILNS1_3genE4ELNS1_11target_archE910ELNS1_3gpuE8ELNS1_3repE0EEENS1_38merge_mergepath_config_static_selectorELNS0_4arch9wavefront6targetE1EEEvSJ_ ; -- Begin function _ZN7rocprim17ROCPRIM_400000_NS6detail17trampoline_kernelINS0_14default_configENS1_38merge_sort_block_merge_config_selectorIiiEEZZNS1_27merge_sort_block_merge_implIS3_N6thrust23THRUST_200600_302600_NS6detail15normal_iteratorINS8_10device_ptrIiEEEESD_jNS1_19radix_merge_compareILb1ELb0EiNS0_19identity_decomposerEEEEE10hipError_tT0_T1_T2_jT3_P12ihipStream_tbPNSt15iterator_traitsISI_E10value_typeEPNSO_ISJ_E10value_typeEPSK_NS1_7vsmem_tEENKUlT_SI_SJ_SK_E_clISD_PiSD_S10_EESH_SX_SI_SJ_SK_EUlSX_E0_NS1_11comp_targetILNS1_3genE4ELNS1_11target_archE910ELNS1_3gpuE8ELNS1_3repE0EEENS1_38merge_mergepath_config_static_selectorELNS0_4arch9wavefront6targetE1EEEvSJ_
	.globl	_ZN7rocprim17ROCPRIM_400000_NS6detail17trampoline_kernelINS0_14default_configENS1_38merge_sort_block_merge_config_selectorIiiEEZZNS1_27merge_sort_block_merge_implIS3_N6thrust23THRUST_200600_302600_NS6detail15normal_iteratorINS8_10device_ptrIiEEEESD_jNS1_19radix_merge_compareILb1ELb0EiNS0_19identity_decomposerEEEEE10hipError_tT0_T1_T2_jT3_P12ihipStream_tbPNSt15iterator_traitsISI_E10value_typeEPNSO_ISJ_E10value_typeEPSK_NS1_7vsmem_tEENKUlT_SI_SJ_SK_E_clISD_PiSD_S10_EESH_SX_SI_SJ_SK_EUlSX_E0_NS1_11comp_targetILNS1_3genE4ELNS1_11target_archE910ELNS1_3gpuE8ELNS1_3repE0EEENS1_38merge_mergepath_config_static_selectorELNS0_4arch9wavefront6targetE1EEEvSJ_
	.p2align	8
	.type	_ZN7rocprim17ROCPRIM_400000_NS6detail17trampoline_kernelINS0_14default_configENS1_38merge_sort_block_merge_config_selectorIiiEEZZNS1_27merge_sort_block_merge_implIS3_N6thrust23THRUST_200600_302600_NS6detail15normal_iteratorINS8_10device_ptrIiEEEESD_jNS1_19radix_merge_compareILb1ELb0EiNS0_19identity_decomposerEEEEE10hipError_tT0_T1_T2_jT3_P12ihipStream_tbPNSt15iterator_traitsISI_E10value_typeEPNSO_ISJ_E10value_typeEPSK_NS1_7vsmem_tEENKUlT_SI_SJ_SK_E_clISD_PiSD_S10_EESH_SX_SI_SJ_SK_EUlSX_E0_NS1_11comp_targetILNS1_3genE4ELNS1_11target_archE910ELNS1_3gpuE8ELNS1_3repE0EEENS1_38merge_mergepath_config_static_selectorELNS0_4arch9wavefront6targetE1EEEvSJ_,@function
_ZN7rocprim17ROCPRIM_400000_NS6detail17trampoline_kernelINS0_14default_configENS1_38merge_sort_block_merge_config_selectorIiiEEZZNS1_27merge_sort_block_merge_implIS3_N6thrust23THRUST_200600_302600_NS6detail15normal_iteratorINS8_10device_ptrIiEEEESD_jNS1_19radix_merge_compareILb1ELb0EiNS0_19identity_decomposerEEEEE10hipError_tT0_T1_T2_jT3_P12ihipStream_tbPNSt15iterator_traitsISI_E10value_typeEPNSO_ISJ_E10value_typeEPSK_NS1_7vsmem_tEENKUlT_SI_SJ_SK_E_clISD_PiSD_S10_EESH_SX_SI_SJ_SK_EUlSX_E0_NS1_11comp_targetILNS1_3genE4ELNS1_11target_archE910ELNS1_3gpuE8ELNS1_3repE0EEENS1_38merge_mergepath_config_static_selectorELNS0_4arch9wavefront6targetE1EEEvSJ_: ; @_ZN7rocprim17ROCPRIM_400000_NS6detail17trampoline_kernelINS0_14default_configENS1_38merge_sort_block_merge_config_selectorIiiEEZZNS1_27merge_sort_block_merge_implIS3_N6thrust23THRUST_200600_302600_NS6detail15normal_iteratorINS8_10device_ptrIiEEEESD_jNS1_19radix_merge_compareILb1ELb0EiNS0_19identity_decomposerEEEEE10hipError_tT0_T1_T2_jT3_P12ihipStream_tbPNSt15iterator_traitsISI_E10value_typeEPNSO_ISJ_E10value_typeEPSK_NS1_7vsmem_tEENKUlT_SI_SJ_SK_E_clISD_PiSD_S10_EESH_SX_SI_SJ_SK_EUlSX_E0_NS1_11comp_targetILNS1_3genE4ELNS1_11target_archE910ELNS1_3gpuE8ELNS1_3repE0EEENS1_38merge_mergepath_config_static_selectorELNS0_4arch9wavefront6targetE1EEEvSJ_
; %bb.0:
	.section	.rodata,"a",@progbits
	.p2align	6, 0x0
	.amdhsa_kernel _ZN7rocprim17ROCPRIM_400000_NS6detail17trampoline_kernelINS0_14default_configENS1_38merge_sort_block_merge_config_selectorIiiEEZZNS1_27merge_sort_block_merge_implIS3_N6thrust23THRUST_200600_302600_NS6detail15normal_iteratorINS8_10device_ptrIiEEEESD_jNS1_19radix_merge_compareILb1ELb0EiNS0_19identity_decomposerEEEEE10hipError_tT0_T1_T2_jT3_P12ihipStream_tbPNSt15iterator_traitsISI_E10value_typeEPNSO_ISJ_E10value_typeEPSK_NS1_7vsmem_tEENKUlT_SI_SJ_SK_E_clISD_PiSD_S10_EESH_SX_SI_SJ_SK_EUlSX_E0_NS1_11comp_targetILNS1_3genE4ELNS1_11target_archE910ELNS1_3gpuE8ELNS1_3repE0EEENS1_38merge_mergepath_config_static_selectorELNS0_4arch9wavefront6targetE1EEEvSJ_
		.amdhsa_group_segment_fixed_size 0
		.amdhsa_private_segment_fixed_size 0
		.amdhsa_kernarg_size 64
		.amdhsa_user_sgpr_count 2
		.amdhsa_user_sgpr_dispatch_ptr 0
		.amdhsa_user_sgpr_queue_ptr 0
		.amdhsa_user_sgpr_kernarg_segment_ptr 1
		.amdhsa_user_sgpr_dispatch_id 0
		.amdhsa_user_sgpr_kernarg_preload_length 0
		.amdhsa_user_sgpr_kernarg_preload_offset 0
		.amdhsa_user_sgpr_private_segment_size 0
		.amdhsa_uses_dynamic_stack 0
		.amdhsa_enable_private_segment 0
		.amdhsa_system_sgpr_workgroup_id_x 1
		.amdhsa_system_sgpr_workgroup_id_y 0
		.amdhsa_system_sgpr_workgroup_id_z 0
		.amdhsa_system_sgpr_workgroup_info 0
		.amdhsa_system_vgpr_workitem_id 0
		.amdhsa_next_free_vgpr 1
		.amdhsa_next_free_sgpr 0
		.amdhsa_accum_offset 4
		.amdhsa_reserve_vcc 0
		.amdhsa_float_round_mode_32 0
		.amdhsa_float_round_mode_16_64 0
		.amdhsa_float_denorm_mode_32 3
		.amdhsa_float_denorm_mode_16_64 3
		.amdhsa_dx10_clamp 1
		.amdhsa_ieee_mode 1
		.amdhsa_fp16_overflow 0
		.amdhsa_tg_split 0
		.amdhsa_exception_fp_ieee_invalid_op 0
		.amdhsa_exception_fp_denorm_src 0
		.amdhsa_exception_fp_ieee_div_zero 0
		.amdhsa_exception_fp_ieee_overflow 0
		.amdhsa_exception_fp_ieee_underflow 0
		.amdhsa_exception_fp_ieee_inexact 0
		.amdhsa_exception_int_div_zero 0
	.end_amdhsa_kernel
	.section	.text._ZN7rocprim17ROCPRIM_400000_NS6detail17trampoline_kernelINS0_14default_configENS1_38merge_sort_block_merge_config_selectorIiiEEZZNS1_27merge_sort_block_merge_implIS3_N6thrust23THRUST_200600_302600_NS6detail15normal_iteratorINS8_10device_ptrIiEEEESD_jNS1_19radix_merge_compareILb1ELb0EiNS0_19identity_decomposerEEEEE10hipError_tT0_T1_T2_jT3_P12ihipStream_tbPNSt15iterator_traitsISI_E10value_typeEPNSO_ISJ_E10value_typeEPSK_NS1_7vsmem_tEENKUlT_SI_SJ_SK_E_clISD_PiSD_S10_EESH_SX_SI_SJ_SK_EUlSX_E0_NS1_11comp_targetILNS1_3genE4ELNS1_11target_archE910ELNS1_3gpuE8ELNS1_3repE0EEENS1_38merge_mergepath_config_static_selectorELNS0_4arch9wavefront6targetE1EEEvSJ_,"axG",@progbits,_ZN7rocprim17ROCPRIM_400000_NS6detail17trampoline_kernelINS0_14default_configENS1_38merge_sort_block_merge_config_selectorIiiEEZZNS1_27merge_sort_block_merge_implIS3_N6thrust23THRUST_200600_302600_NS6detail15normal_iteratorINS8_10device_ptrIiEEEESD_jNS1_19radix_merge_compareILb1ELb0EiNS0_19identity_decomposerEEEEE10hipError_tT0_T1_T2_jT3_P12ihipStream_tbPNSt15iterator_traitsISI_E10value_typeEPNSO_ISJ_E10value_typeEPSK_NS1_7vsmem_tEENKUlT_SI_SJ_SK_E_clISD_PiSD_S10_EESH_SX_SI_SJ_SK_EUlSX_E0_NS1_11comp_targetILNS1_3genE4ELNS1_11target_archE910ELNS1_3gpuE8ELNS1_3repE0EEENS1_38merge_mergepath_config_static_selectorELNS0_4arch9wavefront6targetE1EEEvSJ_,comdat
.Lfunc_end1758:
	.size	_ZN7rocprim17ROCPRIM_400000_NS6detail17trampoline_kernelINS0_14default_configENS1_38merge_sort_block_merge_config_selectorIiiEEZZNS1_27merge_sort_block_merge_implIS3_N6thrust23THRUST_200600_302600_NS6detail15normal_iteratorINS8_10device_ptrIiEEEESD_jNS1_19radix_merge_compareILb1ELb0EiNS0_19identity_decomposerEEEEE10hipError_tT0_T1_T2_jT3_P12ihipStream_tbPNSt15iterator_traitsISI_E10value_typeEPNSO_ISJ_E10value_typeEPSK_NS1_7vsmem_tEENKUlT_SI_SJ_SK_E_clISD_PiSD_S10_EESH_SX_SI_SJ_SK_EUlSX_E0_NS1_11comp_targetILNS1_3genE4ELNS1_11target_archE910ELNS1_3gpuE8ELNS1_3repE0EEENS1_38merge_mergepath_config_static_selectorELNS0_4arch9wavefront6targetE1EEEvSJ_, .Lfunc_end1758-_ZN7rocprim17ROCPRIM_400000_NS6detail17trampoline_kernelINS0_14default_configENS1_38merge_sort_block_merge_config_selectorIiiEEZZNS1_27merge_sort_block_merge_implIS3_N6thrust23THRUST_200600_302600_NS6detail15normal_iteratorINS8_10device_ptrIiEEEESD_jNS1_19radix_merge_compareILb1ELb0EiNS0_19identity_decomposerEEEEE10hipError_tT0_T1_T2_jT3_P12ihipStream_tbPNSt15iterator_traitsISI_E10value_typeEPNSO_ISJ_E10value_typeEPSK_NS1_7vsmem_tEENKUlT_SI_SJ_SK_E_clISD_PiSD_S10_EESH_SX_SI_SJ_SK_EUlSX_E0_NS1_11comp_targetILNS1_3genE4ELNS1_11target_archE910ELNS1_3gpuE8ELNS1_3repE0EEENS1_38merge_mergepath_config_static_selectorELNS0_4arch9wavefront6targetE1EEEvSJ_
                                        ; -- End function
	.set _ZN7rocprim17ROCPRIM_400000_NS6detail17trampoline_kernelINS0_14default_configENS1_38merge_sort_block_merge_config_selectorIiiEEZZNS1_27merge_sort_block_merge_implIS3_N6thrust23THRUST_200600_302600_NS6detail15normal_iteratorINS8_10device_ptrIiEEEESD_jNS1_19radix_merge_compareILb1ELb0EiNS0_19identity_decomposerEEEEE10hipError_tT0_T1_T2_jT3_P12ihipStream_tbPNSt15iterator_traitsISI_E10value_typeEPNSO_ISJ_E10value_typeEPSK_NS1_7vsmem_tEENKUlT_SI_SJ_SK_E_clISD_PiSD_S10_EESH_SX_SI_SJ_SK_EUlSX_E0_NS1_11comp_targetILNS1_3genE4ELNS1_11target_archE910ELNS1_3gpuE8ELNS1_3repE0EEENS1_38merge_mergepath_config_static_selectorELNS0_4arch9wavefront6targetE1EEEvSJ_.num_vgpr, 0
	.set _ZN7rocprim17ROCPRIM_400000_NS6detail17trampoline_kernelINS0_14default_configENS1_38merge_sort_block_merge_config_selectorIiiEEZZNS1_27merge_sort_block_merge_implIS3_N6thrust23THRUST_200600_302600_NS6detail15normal_iteratorINS8_10device_ptrIiEEEESD_jNS1_19radix_merge_compareILb1ELb0EiNS0_19identity_decomposerEEEEE10hipError_tT0_T1_T2_jT3_P12ihipStream_tbPNSt15iterator_traitsISI_E10value_typeEPNSO_ISJ_E10value_typeEPSK_NS1_7vsmem_tEENKUlT_SI_SJ_SK_E_clISD_PiSD_S10_EESH_SX_SI_SJ_SK_EUlSX_E0_NS1_11comp_targetILNS1_3genE4ELNS1_11target_archE910ELNS1_3gpuE8ELNS1_3repE0EEENS1_38merge_mergepath_config_static_selectorELNS0_4arch9wavefront6targetE1EEEvSJ_.num_agpr, 0
	.set _ZN7rocprim17ROCPRIM_400000_NS6detail17trampoline_kernelINS0_14default_configENS1_38merge_sort_block_merge_config_selectorIiiEEZZNS1_27merge_sort_block_merge_implIS3_N6thrust23THRUST_200600_302600_NS6detail15normal_iteratorINS8_10device_ptrIiEEEESD_jNS1_19radix_merge_compareILb1ELb0EiNS0_19identity_decomposerEEEEE10hipError_tT0_T1_T2_jT3_P12ihipStream_tbPNSt15iterator_traitsISI_E10value_typeEPNSO_ISJ_E10value_typeEPSK_NS1_7vsmem_tEENKUlT_SI_SJ_SK_E_clISD_PiSD_S10_EESH_SX_SI_SJ_SK_EUlSX_E0_NS1_11comp_targetILNS1_3genE4ELNS1_11target_archE910ELNS1_3gpuE8ELNS1_3repE0EEENS1_38merge_mergepath_config_static_selectorELNS0_4arch9wavefront6targetE1EEEvSJ_.numbered_sgpr, 0
	.set _ZN7rocprim17ROCPRIM_400000_NS6detail17trampoline_kernelINS0_14default_configENS1_38merge_sort_block_merge_config_selectorIiiEEZZNS1_27merge_sort_block_merge_implIS3_N6thrust23THRUST_200600_302600_NS6detail15normal_iteratorINS8_10device_ptrIiEEEESD_jNS1_19radix_merge_compareILb1ELb0EiNS0_19identity_decomposerEEEEE10hipError_tT0_T1_T2_jT3_P12ihipStream_tbPNSt15iterator_traitsISI_E10value_typeEPNSO_ISJ_E10value_typeEPSK_NS1_7vsmem_tEENKUlT_SI_SJ_SK_E_clISD_PiSD_S10_EESH_SX_SI_SJ_SK_EUlSX_E0_NS1_11comp_targetILNS1_3genE4ELNS1_11target_archE910ELNS1_3gpuE8ELNS1_3repE0EEENS1_38merge_mergepath_config_static_selectorELNS0_4arch9wavefront6targetE1EEEvSJ_.num_named_barrier, 0
	.set _ZN7rocprim17ROCPRIM_400000_NS6detail17trampoline_kernelINS0_14default_configENS1_38merge_sort_block_merge_config_selectorIiiEEZZNS1_27merge_sort_block_merge_implIS3_N6thrust23THRUST_200600_302600_NS6detail15normal_iteratorINS8_10device_ptrIiEEEESD_jNS1_19radix_merge_compareILb1ELb0EiNS0_19identity_decomposerEEEEE10hipError_tT0_T1_T2_jT3_P12ihipStream_tbPNSt15iterator_traitsISI_E10value_typeEPNSO_ISJ_E10value_typeEPSK_NS1_7vsmem_tEENKUlT_SI_SJ_SK_E_clISD_PiSD_S10_EESH_SX_SI_SJ_SK_EUlSX_E0_NS1_11comp_targetILNS1_3genE4ELNS1_11target_archE910ELNS1_3gpuE8ELNS1_3repE0EEENS1_38merge_mergepath_config_static_selectorELNS0_4arch9wavefront6targetE1EEEvSJ_.private_seg_size, 0
	.set _ZN7rocprim17ROCPRIM_400000_NS6detail17trampoline_kernelINS0_14default_configENS1_38merge_sort_block_merge_config_selectorIiiEEZZNS1_27merge_sort_block_merge_implIS3_N6thrust23THRUST_200600_302600_NS6detail15normal_iteratorINS8_10device_ptrIiEEEESD_jNS1_19radix_merge_compareILb1ELb0EiNS0_19identity_decomposerEEEEE10hipError_tT0_T1_T2_jT3_P12ihipStream_tbPNSt15iterator_traitsISI_E10value_typeEPNSO_ISJ_E10value_typeEPSK_NS1_7vsmem_tEENKUlT_SI_SJ_SK_E_clISD_PiSD_S10_EESH_SX_SI_SJ_SK_EUlSX_E0_NS1_11comp_targetILNS1_3genE4ELNS1_11target_archE910ELNS1_3gpuE8ELNS1_3repE0EEENS1_38merge_mergepath_config_static_selectorELNS0_4arch9wavefront6targetE1EEEvSJ_.uses_vcc, 0
	.set _ZN7rocprim17ROCPRIM_400000_NS6detail17trampoline_kernelINS0_14default_configENS1_38merge_sort_block_merge_config_selectorIiiEEZZNS1_27merge_sort_block_merge_implIS3_N6thrust23THRUST_200600_302600_NS6detail15normal_iteratorINS8_10device_ptrIiEEEESD_jNS1_19radix_merge_compareILb1ELb0EiNS0_19identity_decomposerEEEEE10hipError_tT0_T1_T2_jT3_P12ihipStream_tbPNSt15iterator_traitsISI_E10value_typeEPNSO_ISJ_E10value_typeEPSK_NS1_7vsmem_tEENKUlT_SI_SJ_SK_E_clISD_PiSD_S10_EESH_SX_SI_SJ_SK_EUlSX_E0_NS1_11comp_targetILNS1_3genE4ELNS1_11target_archE910ELNS1_3gpuE8ELNS1_3repE0EEENS1_38merge_mergepath_config_static_selectorELNS0_4arch9wavefront6targetE1EEEvSJ_.uses_flat_scratch, 0
	.set _ZN7rocprim17ROCPRIM_400000_NS6detail17trampoline_kernelINS0_14default_configENS1_38merge_sort_block_merge_config_selectorIiiEEZZNS1_27merge_sort_block_merge_implIS3_N6thrust23THRUST_200600_302600_NS6detail15normal_iteratorINS8_10device_ptrIiEEEESD_jNS1_19radix_merge_compareILb1ELb0EiNS0_19identity_decomposerEEEEE10hipError_tT0_T1_T2_jT3_P12ihipStream_tbPNSt15iterator_traitsISI_E10value_typeEPNSO_ISJ_E10value_typeEPSK_NS1_7vsmem_tEENKUlT_SI_SJ_SK_E_clISD_PiSD_S10_EESH_SX_SI_SJ_SK_EUlSX_E0_NS1_11comp_targetILNS1_3genE4ELNS1_11target_archE910ELNS1_3gpuE8ELNS1_3repE0EEENS1_38merge_mergepath_config_static_selectorELNS0_4arch9wavefront6targetE1EEEvSJ_.has_dyn_sized_stack, 0
	.set _ZN7rocprim17ROCPRIM_400000_NS6detail17trampoline_kernelINS0_14default_configENS1_38merge_sort_block_merge_config_selectorIiiEEZZNS1_27merge_sort_block_merge_implIS3_N6thrust23THRUST_200600_302600_NS6detail15normal_iteratorINS8_10device_ptrIiEEEESD_jNS1_19radix_merge_compareILb1ELb0EiNS0_19identity_decomposerEEEEE10hipError_tT0_T1_T2_jT3_P12ihipStream_tbPNSt15iterator_traitsISI_E10value_typeEPNSO_ISJ_E10value_typeEPSK_NS1_7vsmem_tEENKUlT_SI_SJ_SK_E_clISD_PiSD_S10_EESH_SX_SI_SJ_SK_EUlSX_E0_NS1_11comp_targetILNS1_3genE4ELNS1_11target_archE910ELNS1_3gpuE8ELNS1_3repE0EEENS1_38merge_mergepath_config_static_selectorELNS0_4arch9wavefront6targetE1EEEvSJ_.has_recursion, 0
	.set _ZN7rocprim17ROCPRIM_400000_NS6detail17trampoline_kernelINS0_14default_configENS1_38merge_sort_block_merge_config_selectorIiiEEZZNS1_27merge_sort_block_merge_implIS3_N6thrust23THRUST_200600_302600_NS6detail15normal_iteratorINS8_10device_ptrIiEEEESD_jNS1_19radix_merge_compareILb1ELb0EiNS0_19identity_decomposerEEEEE10hipError_tT0_T1_T2_jT3_P12ihipStream_tbPNSt15iterator_traitsISI_E10value_typeEPNSO_ISJ_E10value_typeEPSK_NS1_7vsmem_tEENKUlT_SI_SJ_SK_E_clISD_PiSD_S10_EESH_SX_SI_SJ_SK_EUlSX_E0_NS1_11comp_targetILNS1_3genE4ELNS1_11target_archE910ELNS1_3gpuE8ELNS1_3repE0EEENS1_38merge_mergepath_config_static_selectorELNS0_4arch9wavefront6targetE1EEEvSJ_.has_indirect_call, 0
	.section	.AMDGPU.csdata,"",@progbits
; Kernel info:
; codeLenInByte = 0
; TotalNumSgprs: 6
; NumVgprs: 0
; NumAgprs: 0
; TotalNumVgprs: 0
; ScratchSize: 0
; MemoryBound: 0
; FloatMode: 240
; IeeeMode: 1
; LDSByteSize: 0 bytes/workgroup (compile time only)
; SGPRBlocks: 0
; VGPRBlocks: 0
; NumSGPRsForWavesPerEU: 6
; NumVGPRsForWavesPerEU: 1
; AccumOffset: 4
; Occupancy: 8
; WaveLimiterHint : 0
; COMPUTE_PGM_RSRC2:SCRATCH_EN: 0
; COMPUTE_PGM_RSRC2:USER_SGPR: 2
; COMPUTE_PGM_RSRC2:TRAP_HANDLER: 0
; COMPUTE_PGM_RSRC2:TGID_X_EN: 1
; COMPUTE_PGM_RSRC2:TGID_Y_EN: 0
; COMPUTE_PGM_RSRC2:TGID_Z_EN: 0
; COMPUTE_PGM_RSRC2:TIDIG_COMP_CNT: 0
; COMPUTE_PGM_RSRC3_GFX90A:ACCUM_OFFSET: 0
; COMPUTE_PGM_RSRC3_GFX90A:TG_SPLIT: 0
	.section	.text._ZN7rocprim17ROCPRIM_400000_NS6detail17trampoline_kernelINS0_14default_configENS1_38merge_sort_block_merge_config_selectorIiiEEZZNS1_27merge_sort_block_merge_implIS3_N6thrust23THRUST_200600_302600_NS6detail15normal_iteratorINS8_10device_ptrIiEEEESD_jNS1_19radix_merge_compareILb1ELb0EiNS0_19identity_decomposerEEEEE10hipError_tT0_T1_T2_jT3_P12ihipStream_tbPNSt15iterator_traitsISI_E10value_typeEPNSO_ISJ_E10value_typeEPSK_NS1_7vsmem_tEENKUlT_SI_SJ_SK_E_clISD_PiSD_S10_EESH_SX_SI_SJ_SK_EUlSX_E0_NS1_11comp_targetILNS1_3genE3ELNS1_11target_archE908ELNS1_3gpuE7ELNS1_3repE0EEENS1_38merge_mergepath_config_static_selectorELNS0_4arch9wavefront6targetE1EEEvSJ_,"axG",@progbits,_ZN7rocprim17ROCPRIM_400000_NS6detail17trampoline_kernelINS0_14default_configENS1_38merge_sort_block_merge_config_selectorIiiEEZZNS1_27merge_sort_block_merge_implIS3_N6thrust23THRUST_200600_302600_NS6detail15normal_iteratorINS8_10device_ptrIiEEEESD_jNS1_19radix_merge_compareILb1ELb0EiNS0_19identity_decomposerEEEEE10hipError_tT0_T1_T2_jT3_P12ihipStream_tbPNSt15iterator_traitsISI_E10value_typeEPNSO_ISJ_E10value_typeEPSK_NS1_7vsmem_tEENKUlT_SI_SJ_SK_E_clISD_PiSD_S10_EESH_SX_SI_SJ_SK_EUlSX_E0_NS1_11comp_targetILNS1_3genE3ELNS1_11target_archE908ELNS1_3gpuE7ELNS1_3repE0EEENS1_38merge_mergepath_config_static_selectorELNS0_4arch9wavefront6targetE1EEEvSJ_,comdat
	.protected	_ZN7rocprim17ROCPRIM_400000_NS6detail17trampoline_kernelINS0_14default_configENS1_38merge_sort_block_merge_config_selectorIiiEEZZNS1_27merge_sort_block_merge_implIS3_N6thrust23THRUST_200600_302600_NS6detail15normal_iteratorINS8_10device_ptrIiEEEESD_jNS1_19radix_merge_compareILb1ELb0EiNS0_19identity_decomposerEEEEE10hipError_tT0_T1_T2_jT3_P12ihipStream_tbPNSt15iterator_traitsISI_E10value_typeEPNSO_ISJ_E10value_typeEPSK_NS1_7vsmem_tEENKUlT_SI_SJ_SK_E_clISD_PiSD_S10_EESH_SX_SI_SJ_SK_EUlSX_E0_NS1_11comp_targetILNS1_3genE3ELNS1_11target_archE908ELNS1_3gpuE7ELNS1_3repE0EEENS1_38merge_mergepath_config_static_selectorELNS0_4arch9wavefront6targetE1EEEvSJ_ ; -- Begin function _ZN7rocprim17ROCPRIM_400000_NS6detail17trampoline_kernelINS0_14default_configENS1_38merge_sort_block_merge_config_selectorIiiEEZZNS1_27merge_sort_block_merge_implIS3_N6thrust23THRUST_200600_302600_NS6detail15normal_iteratorINS8_10device_ptrIiEEEESD_jNS1_19radix_merge_compareILb1ELb0EiNS0_19identity_decomposerEEEEE10hipError_tT0_T1_T2_jT3_P12ihipStream_tbPNSt15iterator_traitsISI_E10value_typeEPNSO_ISJ_E10value_typeEPSK_NS1_7vsmem_tEENKUlT_SI_SJ_SK_E_clISD_PiSD_S10_EESH_SX_SI_SJ_SK_EUlSX_E0_NS1_11comp_targetILNS1_3genE3ELNS1_11target_archE908ELNS1_3gpuE7ELNS1_3repE0EEENS1_38merge_mergepath_config_static_selectorELNS0_4arch9wavefront6targetE1EEEvSJ_
	.globl	_ZN7rocprim17ROCPRIM_400000_NS6detail17trampoline_kernelINS0_14default_configENS1_38merge_sort_block_merge_config_selectorIiiEEZZNS1_27merge_sort_block_merge_implIS3_N6thrust23THRUST_200600_302600_NS6detail15normal_iteratorINS8_10device_ptrIiEEEESD_jNS1_19radix_merge_compareILb1ELb0EiNS0_19identity_decomposerEEEEE10hipError_tT0_T1_T2_jT3_P12ihipStream_tbPNSt15iterator_traitsISI_E10value_typeEPNSO_ISJ_E10value_typeEPSK_NS1_7vsmem_tEENKUlT_SI_SJ_SK_E_clISD_PiSD_S10_EESH_SX_SI_SJ_SK_EUlSX_E0_NS1_11comp_targetILNS1_3genE3ELNS1_11target_archE908ELNS1_3gpuE7ELNS1_3repE0EEENS1_38merge_mergepath_config_static_selectorELNS0_4arch9wavefront6targetE1EEEvSJ_
	.p2align	8
	.type	_ZN7rocprim17ROCPRIM_400000_NS6detail17trampoline_kernelINS0_14default_configENS1_38merge_sort_block_merge_config_selectorIiiEEZZNS1_27merge_sort_block_merge_implIS3_N6thrust23THRUST_200600_302600_NS6detail15normal_iteratorINS8_10device_ptrIiEEEESD_jNS1_19radix_merge_compareILb1ELb0EiNS0_19identity_decomposerEEEEE10hipError_tT0_T1_T2_jT3_P12ihipStream_tbPNSt15iterator_traitsISI_E10value_typeEPNSO_ISJ_E10value_typeEPSK_NS1_7vsmem_tEENKUlT_SI_SJ_SK_E_clISD_PiSD_S10_EESH_SX_SI_SJ_SK_EUlSX_E0_NS1_11comp_targetILNS1_3genE3ELNS1_11target_archE908ELNS1_3gpuE7ELNS1_3repE0EEENS1_38merge_mergepath_config_static_selectorELNS0_4arch9wavefront6targetE1EEEvSJ_,@function
_ZN7rocprim17ROCPRIM_400000_NS6detail17trampoline_kernelINS0_14default_configENS1_38merge_sort_block_merge_config_selectorIiiEEZZNS1_27merge_sort_block_merge_implIS3_N6thrust23THRUST_200600_302600_NS6detail15normal_iteratorINS8_10device_ptrIiEEEESD_jNS1_19radix_merge_compareILb1ELb0EiNS0_19identity_decomposerEEEEE10hipError_tT0_T1_T2_jT3_P12ihipStream_tbPNSt15iterator_traitsISI_E10value_typeEPNSO_ISJ_E10value_typeEPSK_NS1_7vsmem_tEENKUlT_SI_SJ_SK_E_clISD_PiSD_S10_EESH_SX_SI_SJ_SK_EUlSX_E0_NS1_11comp_targetILNS1_3genE3ELNS1_11target_archE908ELNS1_3gpuE7ELNS1_3repE0EEENS1_38merge_mergepath_config_static_selectorELNS0_4arch9wavefront6targetE1EEEvSJ_: ; @_ZN7rocprim17ROCPRIM_400000_NS6detail17trampoline_kernelINS0_14default_configENS1_38merge_sort_block_merge_config_selectorIiiEEZZNS1_27merge_sort_block_merge_implIS3_N6thrust23THRUST_200600_302600_NS6detail15normal_iteratorINS8_10device_ptrIiEEEESD_jNS1_19radix_merge_compareILb1ELb0EiNS0_19identity_decomposerEEEEE10hipError_tT0_T1_T2_jT3_P12ihipStream_tbPNSt15iterator_traitsISI_E10value_typeEPNSO_ISJ_E10value_typeEPSK_NS1_7vsmem_tEENKUlT_SI_SJ_SK_E_clISD_PiSD_S10_EESH_SX_SI_SJ_SK_EUlSX_E0_NS1_11comp_targetILNS1_3genE3ELNS1_11target_archE908ELNS1_3gpuE7ELNS1_3repE0EEENS1_38merge_mergepath_config_static_selectorELNS0_4arch9wavefront6targetE1EEEvSJ_
; %bb.0:
	.section	.rodata,"a",@progbits
	.p2align	6, 0x0
	.amdhsa_kernel _ZN7rocprim17ROCPRIM_400000_NS6detail17trampoline_kernelINS0_14default_configENS1_38merge_sort_block_merge_config_selectorIiiEEZZNS1_27merge_sort_block_merge_implIS3_N6thrust23THRUST_200600_302600_NS6detail15normal_iteratorINS8_10device_ptrIiEEEESD_jNS1_19radix_merge_compareILb1ELb0EiNS0_19identity_decomposerEEEEE10hipError_tT0_T1_T2_jT3_P12ihipStream_tbPNSt15iterator_traitsISI_E10value_typeEPNSO_ISJ_E10value_typeEPSK_NS1_7vsmem_tEENKUlT_SI_SJ_SK_E_clISD_PiSD_S10_EESH_SX_SI_SJ_SK_EUlSX_E0_NS1_11comp_targetILNS1_3genE3ELNS1_11target_archE908ELNS1_3gpuE7ELNS1_3repE0EEENS1_38merge_mergepath_config_static_selectorELNS0_4arch9wavefront6targetE1EEEvSJ_
		.amdhsa_group_segment_fixed_size 0
		.amdhsa_private_segment_fixed_size 0
		.amdhsa_kernarg_size 64
		.amdhsa_user_sgpr_count 2
		.amdhsa_user_sgpr_dispatch_ptr 0
		.amdhsa_user_sgpr_queue_ptr 0
		.amdhsa_user_sgpr_kernarg_segment_ptr 1
		.amdhsa_user_sgpr_dispatch_id 0
		.amdhsa_user_sgpr_kernarg_preload_length 0
		.amdhsa_user_sgpr_kernarg_preload_offset 0
		.amdhsa_user_sgpr_private_segment_size 0
		.amdhsa_uses_dynamic_stack 0
		.amdhsa_enable_private_segment 0
		.amdhsa_system_sgpr_workgroup_id_x 1
		.amdhsa_system_sgpr_workgroup_id_y 0
		.amdhsa_system_sgpr_workgroup_id_z 0
		.amdhsa_system_sgpr_workgroup_info 0
		.amdhsa_system_vgpr_workitem_id 0
		.amdhsa_next_free_vgpr 1
		.amdhsa_next_free_sgpr 0
		.amdhsa_accum_offset 4
		.amdhsa_reserve_vcc 0
		.amdhsa_float_round_mode_32 0
		.amdhsa_float_round_mode_16_64 0
		.amdhsa_float_denorm_mode_32 3
		.amdhsa_float_denorm_mode_16_64 3
		.amdhsa_dx10_clamp 1
		.amdhsa_ieee_mode 1
		.amdhsa_fp16_overflow 0
		.amdhsa_tg_split 0
		.amdhsa_exception_fp_ieee_invalid_op 0
		.amdhsa_exception_fp_denorm_src 0
		.amdhsa_exception_fp_ieee_div_zero 0
		.amdhsa_exception_fp_ieee_overflow 0
		.amdhsa_exception_fp_ieee_underflow 0
		.amdhsa_exception_fp_ieee_inexact 0
		.amdhsa_exception_int_div_zero 0
	.end_amdhsa_kernel
	.section	.text._ZN7rocprim17ROCPRIM_400000_NS6detail17trampoline_kernelINS0_14default_configENS1_38merge_sort_block_merge_config_selectorIiiEEZZNS1_27merge_sort_block_merge_implIS3_N6thrust23THRUST_200600_302600_NS6detail15normal_iteratorINS8_10device_ptrIiEEEESD_jNS1_19radix_merge_compareILb1ELb0EiNS0_19identity_decomposerEEEEE10hipError_tT0_T1_T2_jT3_P12ihipStream_tbPNSt15iterator_traitsISI_E10value_typeEPNSO_ISJ_E10value_typeEPSK_NS1_7vsmem_tEENKUlT_SI_SJ_SK_E_clISD_PiSD_S10_EESH_SX_SI_SJ_SK_EUlSX_E0_NS1_11comp_targetILNS1_3genE3ELNS1_11target_archE908ELNS1_3gpuE7ELNS1_3repE0EEENS1_38merge_mergepath_config_static_selectorELNS0_4arch9wavefront6targetE1EEEvSJ_,"axG",@progbits,_ZN7rocprim17ROCPRIM_400000_NS6detail17trampoline_kernelINS0_14default_configENS1_38merge_sort_block_merge_config_selectorIiiEEZZNS1_27merge_sort_block_merge_implIS3_N6thrust23THRUST_200600_302600_NS6detail15normal_iteratorINS8_10device_ptrIiEEEESD_jNS1_19radix_merge_compareILb1ELb0EiNS0_19identity_decomposerEEEEE10hipError_tT0_T1_T2_jT3_P12ihipStream_tbPNSt15iterator_traitsISI_E10value_typeEPNSO_ISJ_E10value_typeEPSK_NS1_7vsmem_tEENKUlT_SI_SJ_SK_E_clISD_PiSD_S10_EESH_SX_SI_SJ_SK_EUlSX_E0_NS1_11comp_targetILNS1_3genE3ELNS1_11target_archE908ELNS1_3gpuE7ELNS1_3repE0EEENS1_38merge_mergepath_config_static_selectorELNS0_4arch9wavefront6targetE1EEEvSJ_,comdat
.Lfunc_end1759:
	.size	_ZN7rocprim17ROCPRIM_400000_NS6detail17trampoline_kernelINS0_14default_configENS1_38merge_sort_block_merge_config_selectorIiiEEZZNS1_27merge_sort_block_merge_implIS3_N6thrust23THRUST_200600_302600_NS6detail15normal_iteratorINS8_10device_ptrIiEEEESD_jNS1_19radix_merge_compareILb1ELb0EiNS0_19identity_decomposerEEEEE10hipError_tT0_T1_T2_jT3_P12ihipStream_tbPNSt15iterator_traitsISI_E10value_typeEPNSO_ISJ_E10value_typeEPSK_NS1_7vsmem_tEENKUlT_SI_SJ_SK_E_clISD_PiSD_S10_EESH_SX_SI_SJ_SK_EUlSX_E0_NS1_11comp_targetILNS1_3genE3ELNS1_11target_archE908ELNS1_3gpuE7ELNS1_3repE0EEENS1_38merge_mergepath_config_static_selectorELNS0_4arch9wavefront6targetE1EEEvSJ_, .Lfunc_end1759-_ZN7rocprim17ROCPRIM_400000_NS6detail17trampoline_kernelINS0_14default_configENS1_38merge_sort_block_merge_config_selectorIiiEEZZNS1_27merge_sort_block_merge_implIS3_N6thrust23THRUST_200600_302600_NS6detail15normal_iteratorINS8_10device_ptrIiEEEESD_jNS1_19radix_merge_compareILb1ELb0EiNS0_19identity_decomposerEEEEE10hipError_tT0_T1_T2_jT3_P12ihipStream_tbPNSt15iterator_traitsISI_E10value_typeEPNSO_ISJ_E10value_typeEPSK_NS1_7vsmem_tEENKUlT_SI_SJ_SK_E_clISD_PiSD_S10_EESH_SX_SI_SJ_SK_EUlSX_E0_NS1_11comp_targetILNS1_3genE3ELNS1_11target_archE908ELNS1_3gpuE7ELNS1_3repE0EEENS1_38merge_mergepath_config_static_selectorELNS0_4arch9wavefront6targetE1EEEvSJ_
                                        ; -- End function
	.set _ZN7rocprim17ROCPRIM_400000_NS6detail17trampoline_kernelINS0_14default_configENS1_38merge_sort_block_merge_config_selectorIiiEEZZNS1_27merge_sort_block_merge_implIS3_N6thrust23THRUST_200600_302600_NS6detail15normal_iteratorINS8_10device_ptrIiEEEESD_jNS1_19radix_merge_compareILb1ELb0EiNS0_19identity_decomposerEEEEE10hipError_tT0_T1_T2_jT3_P12ihipStream_tbPNSt15iterator_traitsISI_E10value_typeEPNSO_ISJ_E10value_typeEPSK_NS1_7vsmem_tEENKUlT_SI_SJ_SK_E_clISD_PiSD_S10_EESH_SX_SI_SJ_SK_EUlSX_E0_NS1_11comp_targetILNS1_3genE3ELNS1_11target_archE908ELNS1_3gpuE7ELNS1_3repE0EEENS1_38merge_mergepath_config_static_selectorELNS0_4arch9wavefront6targetE1EEEvSJ_.num_vgpr, 0
	.set _ZN7rocprim17ROCPRIM_400000_NS6detail17trampoline_kernelINS0_14default_configENS1_38merge_sort_block_merge_config_selectorIiiEEZZNS1_27merge_sort_block_merge_implIS3_N6thrust23THRUST_200600_302600_NS6detail15normal_iteratorINS8_10device_ptrIiEEEESD_jNS1_19radix_merge_compareILb1ELb0EiNS0_19identity_decomposerEEEEE10hipError_tT0_T1_T2_jT3_P12ihipStream_tbPNSt15iterator_traitsISI_E10value_typeEPNSO_ISJ_E10value_typeEPSK_NS1_7vsmem_tEENKUlT_SI_SJ_SK_E_clISD_PiSD_S10_EESH_SX_SI_SJ_SK_EUlSX_E0_NS1_11comp_targetILNS1_3genE3ELNS1_11target_archE908ELNS1_3gpuE7ELNS1_3repE0EEENS1_38merge_mergepath_config_static_selectorELNS0_4arch9wavefront6targetE1EEEvSJ_.num_agpr, 0
	.set _ZN7rocprim17ROCPRIM_400000_NS6detail17trampoline_kernelINS0_14default_configENS1_38merge_sort_block_merge_config_selectorIiiEEZZNS1_27merge_sort_block_merge_implIS3_N6thrust23THRUST_200600_302600_NS6detail15normal_iteratorINS8_10device_ptrIiEEEESD_jNS1_19radix_merge_compareILb1ELb0EiNS0_19identity_decomposerEEEEE10hipError_tT0_T1_T2_jT3_P12ihipStream_tbPNSt15iterator_traitsISI_E10value_typeEPNSO_ISJ_E10value_typeEPSK_NS1_7vsmem_tEENKUlT_SI_SJ_SK_E_clISD_PiSD_S10_EESH_SX_SI_SJ_SK_EUlSX_E0_NS1_11comp_targetILNS1_3genE3ELNS1_11target_archE908ELNS1_3gpuE7ELNS1_3repE0EEENS1_38merge_mergepath_config_static_selectorELNS0_4arch9wavefront6targetE1EEEvSJ_.numbered_sgpr, 0
	.set _ZN7rocprim17ROCPRIM_400000_NS6detail17trampoline_kernelINS0_14default_configENS1_38merge_sort_block_merge_config_selectorIiiEEZZNS1_27merge_sort_block_merge_implIS3_N6thrust23THRUST_200600_302600_NS6detail15normal_iteratorINS8_10device_ptrIiEEEESD_jNS1_19radix_merge_compareILb1ELb0EiNS0_19identity_decomposerEEEEE10hipError_tT0_T1_T2_jT3_P12ihipStream_tbPNSt15iterator_traitsISI_E10value_typeEPNSO_ISJ_E10value_typeEPSK_NS1_7vsmem_tEENKUlT_SI_SJ_SK_E_clISD_PiSD_S10_EESH_SX_SI_SJ_SK_EUlSX_E0_NS1_11comp_targetILNS1_3genE3ELNS1_11target_archE908ELNS1_3gpuE7ELNS1_3repE0EEENS1_38merge_mergepath_config_static_selectorELNS0_4arch9wavefront6targetE1EEEvSJ_.num_named_barrier, 0
	.set _ZN7rocprim17ROCPRIM_400000_NS6detail17trampoline_kernelINS0_14default_configENS1_38merge_sort_block_merge_config_selectorIiiEEZZNS1_27merge_sort_block_merge_implIS3_N6thrust23THRUST_200600_302600_NS6detail15normal_iteratorINS8_10device_ptrIiEEEESD_jNS1_19radix_merge_compareILb1ELb0EiNS0_19identity_decomposerEEEEE10hipError_tT0_T1_T2_jT3_P12ihipStream_tbPNSt15iterator_traitsISI_E10value_typeEPNSO_ISJ_E10value_typeEPSK_NS1_7vsmem_tEENKUlT_SI_SJ_SK_E_clISD_PiSD_S10_EESH_SX_SI_SJ_SK_EUlSX_E0_NS1_11comp_targetILNS1_3genE3ELNS1_11target_archE908ELNS1_3gpuE7ELNS1_3repE0EEENS1_38merge_mergepath_config_static_selectorELNS0_4arch9wavefront6targetE1EEEvSJ_.private_seg_size, 0
	.set _ZN7rocprim17ROCPRIM_400000_NS6detail17trampoline_kernelINS0_14default_configENS1_38merge_sort_block_merge_config_selectorIiiEEZZNS1_27merge_sort_block_merge_implIS3_N6thrust23THRUST_200600_302600_NS6detail15normal_iteratorINS8_10device_ptrIiEEEESD_jNS1_19radix_merge_compareILb1ELb0EiNS0_19identity_decomposerEEEEE10hipError_tT0_T1_T2_jT3_P12ihipStream_tbPNSt15iterator_traitsISI_E10value_typeEPNSO_ISJ_E10value_typeEPSK_NS1_7vsmem_tEENKUlT_SI_SJ_SK_E_clISD_PiSD_S10_EESH_SX_SI_SJ_SK_EUlSX_E0_NS1_11comp_targetILNS1_3genE3ELNS1_11target_archE908ELNS1_3gpuE7ELNS1_3repE0EEENS1_38merge_mergepath_config_static_selectorELNS0_4arch9wavefront6targetE1EEEvSJ_.uses_vcc, 0
	.set _ZN7rocprim17ROCPRIM_400000_NS6detail17trampoline_kernelINS0_14default_configENS1_38merge_sort_block_merge_config_selectorIiiEEZZNS1_27merge_sort_block_merge_implIS3_N6thrust23THRUST_200600_302600_NS6detail15normal_iteratorINS8_10device_ptrIiEEEESD_jNS1_19radix_merge_compareILb1ELb0EiNS0_19identity_decomposerEEEEE10hipError_tT0_T1_T2_jT3_P12ihipStream_tbPNSt15iterator_traitsISI_E10value_typeEPNSO_ISJ_E10value_typeEPSK_NS1_7vsmem_tEENKUlT_SI_SJ_SK_E_clISD_PiSD_S10_EESH_SX_SI_SJ_SK_EUlSX_E0_NS1_11comp_targetILNS1_3genE3ELNS1_11target_archE908ELNS1_3gpuE7ELNS1_3repE0EEENS1_38merge_mergepath_config_static_selectorELNS0_4arch9wavefront6targetE1EEEvSJ_.uses_flat_scratch, 0
	.set _ZN7rocprim17ROCPRIM_400000_NS6detail17trampoline_kernelINS0_14default_configENS1_38merge_sort_block_merge_config_selectorIiiEEZZNS1_27merge_sort_block_merge_implIS3_N6thrust23THRUST_200600_302600_NS6detail15normal_iteratorINS8_10device_ptrIiEEEESD_jNS1_19radix_merge_compareILb1ELb0EiNS0_19identity_decomposerEEEEE10hipError_tT0_T1_T2_jT3_P12ihipStream_tbPNSt15iterator_traitsISI_E10value_typeEPNSO_ISJ_E10value_typeEPSK_NS1_7vsmem_tEENKUlT_SI_SJ_SK_E_clISD_PiSD_S10_EESH_SX_SI_SJ_SK_EUlSX_E0_NS1_11comp_targetILNS1_3genE3ELNS1_11target_archE908ELNS1_3gpuE7ELNS1_3repE0EEENS1_38merge_mergepath_config_static_selectorELNS0_4arch9wavefront6targetE1EEEvSJ_.has_dyn_sized_stack, 0
	.set _ZN7rocprim17ROCPRIM_400000_NS6detail17trampoline_kernelINS0_14default_configENS1_38merge_sort_block_merge_config_selectorIiiEEZZNS1_27merge_sort_block_merge_implIS3_N6thrust23THRUST_200600_302600_NS6detail15normal_iteratorINS8_10device_ptrIiEEEESD_jNS1_19radix_merge_compareILb1ELb0EiNS0_19identity_decomposerEEEEE10hipError_tT0_T1_T2_jT3_P12ihipStream_tbPNSt15iterator_traitsISI_E10value_typeEPNSO_ISJ_E10value_typeEPSK_NS1_7vsmem_tEENKUlT_SI_SJ_SK_E_clISD_PiSD_S10_EESH_SX_SI_SJ_SK_EUlSX_E0_NS1_11comp_targetILNS1_3genE3ELNS1_11target_archE908ELNS1_3gpuE7ELNS1_3repE0EEENS1_38merge_mergepath_config_static_selectorELNS0_4arch9wavefront6targetE1EEEvSJ_.has_recursion, 0
	.set _ZN7rocprim17ROCPRIM_400000_NS6detail17trampoline_kernelINS0_14default_configENS1_38merge_sort_block_merge_config_selectorIiiEEZZNS1_27merge_sort_block_merge_implIS3_N6thrust23THRUST_200600_302600_NS6detail15normal_iteratorINS8_10device_ptrIiEEEESD_jNS1_19radix_merge_compareILb1ELb0EiNS0_19identity_decomposerEEEEE10hipError_tT0_T1_T2_jT3_P12ihipStream_tbPNSt15iterator_traitsISI_E10value_typeEPNSO_ISJ_E10value_typeEPSK_NS1_7vsmem_tEENKUlT_SI_SJ_SK_E_clISD_PiSD_S10_EESH_SX_SI_SJ_SK_EUlSX_E0_NS1_11comp_targetILNS1_3genE3ELNS1_11target_archE908ELNS1_3gpuE7ELNS1_3repE0EEENS1_38merge_mergepath_config_static_selectorELNS0_4arch9wavefront6targetE1EEEvSJ_.has_indirect_call, 0
	.section	.AMDGPU.csdata,"",@progbits
; Kernel info:
; codeLenInByte = 0
; TotalNumSgprs: 6
; NumVgprs: 0
; NumAgprs: 0
; TotalNumVgprs: 0
; ScratchSize: 0
; MemoryBound: 0
; FloatMode: 240
; IeeeMode: 1
; LDSByteSize: 0 bytes/workgroup (compile time only)
; SGPRBlocks: 0
; VGPRBlocks: 0
; NumSGPRsForWavesPerEU: 6
; NumVGPRsForWavesPerEU: 1
; AccumOffset: 4
; Occupancy: 8
; WaveLimiterHint : 0
; COMPUTE_PGM_RSRC2:SCRATCH_EN: 0
; COMPUTE_PGM_RSRC2:USER_SGPR: 2
; COMPUTE_PGM_RSRC2:TRAP_HANDLER: 0
; COMPUTE_PGM_RSRC2:TGID_X_EN: 1
; COMPUTE_PGM_RSRC2:TGID_Y_EN: 0
; COMPUTE_PGM_RSRC2:TGID_Z_EN: 0
; COMPUTE_PGM_RSRC2:TIDIG_COMP_CNT: 0
; COMPUTE_PGM_RSRC3_GFX90A:ACCUM_OFFSET: 0
; COMPUTE_PGM_RSRC3_GFX90A:TG_SPLIT: 0
	.section	.text._ZN7rocprim17ROCPRIM_400000_NS6detail17trampoline_kernelINS0_14default_configENS1_38merge_sort_block_merge_config_selectorIiiEEZZNS1_27merge_sort_block_merge_implIS3_N6thrust23THRUST_200600_302600_NS6detail15normal_iteratorINS8_10device_ptrIiEEEESD_jNS1_19radix_merge_compareILb1ELb0EiNS0_19identity_decomposerEEEEE10hipError_tT0_T1_T2_jT3_P12ihipStream_tbPNSt15iterator_traitsISI_E10value_typeEPNSO_ISJ_E10value_typeEPSK_NS1_7vsmem_tEENKUlT_SI_SJ_SK_E_clISD_PiSD_S10_EESH_SX_SI_SJ_SK_EUlSX_E0_NS1_11comp_targetILNS1_3genE2ELNS1_11target_archE906ELNS1_3gpuE6ELNS1_3repE0EEENS1_38merge_mergepath_config_static_selectorELNS0_4arch9wavefront6targetE1EEEvSJ_,"axG",@progbits,_ZN7rocprim17ROCPRIM_400000_NS6detail17trampoline_kernelINS0_14default_configENS1_38merge_sort_block_merge_config_selectorIiiEEZZNS1_27merge_sort_block_merge_implIS3_N6thrust23THRUST_200600_302600_NS6detail15normal_iteratorINS8_10device_ptrIiEEEESD_jNS1_19radix_merge_compareILb1ELb0EiNS0_19identity_decomposerEEEEE10hipError_tT0_T1_T2_jT3_P12ihipStream_tbPNSt15iterator_traitsISI_E10value_typeEPNSO_ISJ_E10value_typeEPSK_NS1_7vsmem_tEENKUlT_SI_SJ_SK_E_clISD_PiSD_S10_EESH_SX_SI_SJ_SK_EUlSX_E0_NS1_11comp_targetILNS1_3genE2ELNS1_11target_archE906ELNS1_3gpuE6ELNS1_3repE0EEENS1_38merge_mergepath_config_static_selectorELNS0_4arch9wavefront6targetE1EEEvSJ_,comdat
	.protected	_ZN7rocprim17ROCPRIM_400000_NS6detail17trampoline_kernelINS0_14default_configENS1_38merge_sort_block_merge_config_selectorIiiEEZZNS1_27merge_sort_block_merge_implIS3_N6thrust23THRUST_200600_302600_NS6detail15normal_iteratorINS8_10device_ptrIiEEEESD_jNS1_19radix_merge_compareILb1ELb0EiNS0_19identity_decomposerEEEEE10hipError_tT0_T1_T2_jT3_P12ihipStream_tbPNSt15iterator_traitsISI_E10value_typeEPNSO_ISJ_E10value_typeEPSK_NS1_7vsmem_tEENKUlT_SI_SJ_SK_E_clISD_PiSD_S10_EESH_SX_SI_SJ_SK_EUlSX_E0_NS1_11comp_targetILNS1_3genE2ELNS1_11target_archE906ELNS1_3gpuE6ELNS1_3repE0EEENS1_38merge_mergepath_config_static_selectorELNS0_4arch9wavefront6targetE1EEEvSJ_ ; -- Begin function _ZN7rocprim17ROCPRIM_400000_NS6detail17trampoline_kernelINS0_14default_configENS1_38merge_sort_block_merge_config_selectorIiiEEZZNS1_27merge_sort_block_merge_implIS3_N6thrust23THRUST_200600_302600_NS6detail15normal_iteratorINS8_10device_ptrIiEEEESD_jNS1_19radix_merge_compareILb1ELb0EiNS0_19identity_decomposerEEEEE10hipError_tT0_T1_T2_jT3_P12ihipStream_tbPNSt15iterator_traitsISI_E10value_typeEPNSO_ISJ_E10value_typeEPSK_NS1_7vsmem_tEENKUlT_SI_SJ_SK_E_clISD_PiSD_S10_EESH_SX_SI_SJ_SK_EUlSX_E0_NS1_11comp_targetILNS1_3genE2ELNS1_11target_archE906ELNS1_3gpuE6ELNS1_3repE0EEENS1_38merge_mergepath_config_static_selectorELNS0_4arch9wavefront6targetE1EEEvSJ_
	.globl	_ZN7rocprim17ROCPRIM_400000_NS6detail17trampoline_kernelINS0_14default_configENS1_38merge_sort_block_merge_config_selectorIiiEEZZNS1_27merge_sort_block_merge_implIS3_N6thrust23THRUST_200600_302600_NS6detail15normal_iteratorINS8_10device_ptrIiEEEESD_jNS1_19radix_merge_compareILb1ELb0EiNS0_19identity_decomposerEEEEE10hipError_tT0_T1_T2_jT3_P12ihipStream_tbPNSt15iterator_traitsISI_E10value_typeEPNSO_ISJ_E10value_typeEPSK_NS1_7vsmem_tEENKUlT_SI_SJ_SK_E_clISD_PiSD_S10_EESH_SX_SI_SJ_SK_EUlSX_E0_NS1_11comp_targetILNS1_3genE2ELNS1_11target_archE906ELNS1_3gpuE6ELNS1_3repE0EEENS1_38merge_mergepath_config_static_selectorELNS0_4arch9wavefront6targetE1EEEvSJ_
	.p2align	8
	.type	_ZN7rocprim17ROCPRIM_400000_NS6detail17trampoline_kernelINS0_14default_configENS1_38merge_sort_block_merge_config_selectorIiiEEZZNS1_27merge_sort_block_merge_implIS3_N6thrust23THRUST_200600_302600_NS6detail15normal_iteratorINS8_10device_ptrIiEEEESD_jNS1_19radix_merge_compareILb1ELb0EiNS0_19identity_decomposerEEEEE10hipError_tT0_T1_T2_jT3_P12ihipStream_tbPNSt15iterator_traitsISI_E10value_typeEPNSO_ISJ_E10value_typeEPSK_NS1_7vsmem_tEENKUlT_SI_SJ_SK_E_clISD_PiSD_S10_EESH_SX_SI_SJ_SK_EUlSX_E0_NS1_11comp_targetILNS1_3genE2ELNS1_11target_archE906ELNS1_3gpuE6ELNS1_3repE0EEENS1_38merge_mergepath_config_static_selectorELNS0_4arch9wavefront6targetE1EEEvSJ_,@function
_ZN7rocprim17ROCPRIM_400000_NS6detail17trampoline_kernelINS0_14default_configENS1_38merge_sort_block_merge_config_selectorIiiEEZZNS1_27merge_sort_block_merge_implIS3_N6thrust23THRUST_200600_302600_NS6detail15normal_iteratorINS8_10device_ptrIiEEEESD_jNS1_19radix_merge_compareILb1ELb0EiNS0_19identity_decomposerEEEEE10hipError_tT0_T1_T2_jT3_P12ihipStream_tbPNSt15iterator_traitsISI_E10value_typeEPNSO_ISJ_E10value_typeEPSK_NS1_7vsmem_tEENKUlT_SI_SJ_SK_E_clISD_PiSD_S10_EESH_SX_SI_SJ_SK_EUlSX_E0_NS1_11comp_targetILNS1_3genE2ELNS1_11target_archE906ELNS1_3gpuE6ELNS1_3repE0EEENS1_38merge_mergepath_config_static_selectorELNS0_4arch9wavefront6targetE1EEEvSJ_: ; @_ZN7rocprim17ROCPRIM_400000_NS6detail17trampoline_kernelINS0_14default_configENS1_38merge_sort_block_merge_config_selectorIiiEEZZNS1_27merge_sort_block_merge_implIS3_N6thrust23THRUST_200600_302600_NS6detail15normal_iteratorINS8_10device_ptrIiEEEESD_jNS1_19radix_merge_compareILb1ELb0EiNS0_19identity_decomposerEEEEE10hipError_tT0_T1_T2_jT3_P12ihipStream_tbPNSt15iterator_traitsISI_E10value_typeEPNSO_ISJ_E10value_typeEPSK_NS1_7vsmem_tEENKUlT_SI_SJ_SK_E_clISD_PiSD_S10_EESH_SX_SI_SJ_SK_EUlSX_E0_NS1_11comp_targetILNS1_3genE2ELNS1_11target_archE906ELNS1_3gpuE6ELNS1_3repE0EEENS1_38merge_mergepath_config_static_selectorELNS0_4arch9wavefront6targetE1EEEvSJ_
; %bb.0:
	.section	.rodata,"a",@progbits
	.p2align	6, 0x0
	.amdhsa_kernel _ZN7rocprim17ROCPRIM_400000_NS6detail17trampoline_kernelINS0_14default_configENS1_38merge_sort_block_merge_config_selectorIiiEEZZNS1_27merge_sort_block_merge_implIS3_N6thrust23THRUST_200600_302600_NS6detail15normal_iteratorINS8_10device_ptrIiEEEESD_jNS1_19radix_merge_compareILb1ELb0EiNS0_19identity_decomposerEEEEE10hipError_tT0_T1_T2_jT3_P12ihipStream_tbPNSt15iterator_traitsISI_E10value_typeEPNSO_ISJ_E10value_typeEPSK_NS1_7vsmem_tEENKUlT_SI_SJ_SK_E_clISD_PiSD_S10_EESH_SX_SI_SJ_SK_EUlSX_E0_NS1_11comp_targetILNS1_3genE2ELNS1_11target_archE906ELNS1_3gpuE6ELNS1_3repE0EEENS1_38merge_mergepath_config_static_selectorELNS0_4arch9wavefront6targetE1EEEvSJ_
		.amdhsa_group_segment_fixed_size 0
		.amdhsa_private_segment_fixed_size 0
		.amdhsa_kernarg_size 64
		.amdhsa_user_sgpr_count 2
		.amdhsa_user_sgpr_dispatch_ptr 0
		.amdhsa_user_sgpr_queue_ptr 0
		.amdhsa_user_sgpr_kernarg_segment_ptr 1
		.amdhsa_user_sgpr_dispatch_id 0
		.amdhsa_user_sgpr_kernarg_preload_length 0
		.amdhsa_user_sgpr_kernarg_preload_offset 0
		.amdhsa_user_sgpr_private_segment_size 0
		.amdhsa_uses_dynamic_stack 0
		.amdhsa_enable_private_segment 0
		.amdhsa_system_sgpr_workgroup_id_x 1
		.amdhsa_system_sgpr_workgroup_id_y 0
		.amdhsa_system_sgpr_workgroup_id_z 0
		.amdhsa_system_sgpr_workgroup_info 0
		.amdhsa_system_vgpr_workitem_id 0
		.amdhsa_next_free_vgpr 1
		.amdhsa_next_free_sgpr 0
		.amdhsa_accum_offset 4
		.amdhsa_reserve_vcc 0
		.amdhsa_float_round_mode_32 0
		.amdhsa_float_round_mode_16_64 0
		.amdhsa_float_denorm_mode_32 3
		.amdhsa_float_denorm_mode_16_64 3
		.amdhsa_dx10_clamp 1
		.amdhsa_ieee_mode 1
		.amdhsa_fp16_overflow 0
		.amdhsa_tg_split 0
		.amdhsa_exception_fp_ieee_invalid_op 0
		.amdhsa_exception_fp_denorm_src 0
		.amdhsa_exception_fp_ieee_div_zero 0
		.amdhsa_exception_fp_ieee_overflow 0
		.amdhsa_exception_fp_ieee_underflow 0
		.amdhsa_exception_fp_ieee_inexact 0
		.amdhsa_exception_int_div_zero 0
	.end_amdhsa_kernel
	.section	.text._ZN7rocprim17ROCPRIM_400000_NS6detail17trampoline_kernelINS0_14default_configENS1_38merge_sort_block_merge_config_selectorIiiEEZZNS1_27merge_sort_block_merge_implIS3_N6thrust23THRUST_200600_302600_NS6detail15normal_iteratorINS8_10device_ptrIiEEEESD_jNS1_19radix_merge_compareILb1ELb0EiNS0_19identity_decomposerEEEEE10hipError_tT0_T1_T2_jT3_P12ihipStream_tbPNSt15iterator_traitsISI_E10value_typeEPNSO_ISJ_E10value_typeEPSK_NS1_7vsmem_tEENKUlT_SI_SJ_SK_E_clISD_PiSD_S10_EESH_SX_SI_SJ_SK_EUlSX_E0_NS1_11comp_targetILNS1_3genE2ELNS1_11target_archE906ELNS1_3gpuE6ELNS1_3repE0EEENS1_38merge_mergepath_config_static_selectorELNS0_4arch9wavefront6targetE1EEEvSJ_,"axG",@progbits,_ZN7rocprim17ROCPRIM_400000_NS6detail17trampoline_kernelINS0_14default_configENS1_38merge_sort_block_merge_config_selectorIiiEEZZNS1_27merge_sort_block_merge_implIS3_N6thrust23THRUST_200600_302600_NS6detail15normal_iteratorINS8_10device_ptrIiEEEESD_jNS1_19radix_merge_compareILb1ELb0EiNS0_19identity_decomposerEEEEE10hipError_tT0_T1_T2_jT3_P12ihipStream_tbPNSt15iterator_traitsISI_E10value_typeEPNSO_ISJ_E10value_typeEPSK_NS1_7vsmem_tEENKUlT_SI_SJ_SK_E_clISD_PiSD_S10_EESH_SX_SI_SJ_SK_EUlSX_E0_NS1_11comp_targetILNS1_3genE2ELNS1_11target_archE906ELNS1_3gpuE6ELNS1_3repE0EEENS1_38merge_mergepath_config_static_selectorELNS0_4arch9wavefront6targetE1EEEvSJ_,comdat
.Lfunc_end1760:
	.size	_ZN7rocprim17ROCPRIM_400000_NS6detail17trampoline_kernelINS0_14default_configENS1_38merge_sort_block_merge_config_selectorIiiEEZZNS1_27merge_sort_block_merge_implIS3_N6thrust23THRUST_200600_302600_NS6detail15normal_iteratorINS8_10device_ptrIiEEEESD_jNS1_19radix_merge_compareILb1ELb0EiNS0_19identity_decomposerEEEEE10hipError_tT0_T1_T2_jT3_P12ihipStream_tbPNSt15iterator_traitsISI_E10value_typeEPNSO_ISJ_E10value_typeEPSK_NS1_7vsmem_tEENKUlT_SI_SJ_SK_E_clISD_PiSD_S10_EESH_SX_SI_SJ_SK_EUlSX_E0_NS1_11comp_targetILNS1_3genE2ELNS1_11target_archE906ELNS1_3gpuE6ELNS1_3repE0EEENS1_38merge_mergepath_config_static_selectorELNS0_4arch9wavefront6targetE1EEEvSJ_, .Lfunc_end1760-_ZN7rocprim17ROCPRIM_400000_NS6detail17trampoline_kernelINS0_14default_configENS1_38merge_sort_block_merge_config_selectorIiiEEZZNS1_27merge_sort_block_merge_implIS3_N6thrust23THRUST_200600_302600_NS6detail15normal_iteratorINS8_10device_ptrIiEEEESD_jNS1_19radix_merge_compareILb1ELb0EiNS0_19identity_decomposerEEEEE10hipError_tT0_T1_T2_jT3_P12ihipStream_tbPNSt15iterator_traitsISI_E10value_typeEPNSO_ISJ_E10value_typeEPSK_NS1_7vsmem_tEENKUlT_SI_SJ_SK_E_clISD_PiSD_S10_EESH_SX_SI_SJ_SK_EUlSX_E0_NS1_11comp_targetILNS1_3genE2ELNS1_11target_archE906ELNS1_3gpuE6ELNS1_3repE0EEENS1_38merge_mergepath_config_static_selectorELNS0_4arch9wavefront6targetE1EEEvSJ_
                                        ; -- End function
	.set _ZN7rocprim17ROCPRIM_400000_NS6detail17trampoline_kernelINS0_14default_configENS1_38merge_sort_block_merge_config_selectorIiiEEZZNS1_27merge_sort_block_merge_implIS3_N6thrust23THRUST_200600_302600_NS6detail15normal_iteratorINS8_10device_ptrIiEEEESD_jNS1_19radix_merge_compareILb1ELb0EiNS0_19identity_decomposerEEEEE10hipError_tT0_T1_T2_jT3_P12ihipStream_tbPNSt15iterator_traitsISI_E10value_typeEPNSO_ISJ_E10value_typeEPSK_NS1_7vsmem_tEENKUlT_SI_SJ_SK_E_clISD_PiSD_S10_EESH_SX_SI_SJ_SK_EUlSX_E0_NS1_11comp_targetILNS1_3genE2ELNS1_11target_archE906ELNS1_3gpuE6ELNS1_3repE0EEENS1_38merge_mergepath_config_static_selectorELNS0_4arch9wavefront6targetE1EEEvSJ_.num_vgpr, 0
	.set _ZN7rocprim17ROCPRIM_400000_NS6detail17trampoline_kernelINS0_14default_configENS1_38merge_sort_block_merge_config_selectorIiiEEZZNS1_27merge_sort_block_merge_implIS3_N6thrust23THRUST_200600_302600_NS6detail15normal_iteratorINS8_10device_ptrIiEEEESD_jNS1_19radix_merge_compareILb1ELb0EiNS0_19identity_decomposerEEEEE10hipError_tT0_T1_T2_jT3_P12ihipStream_tbPNSt15iterator_traitsISI_E10value_typeEPNSO_ISJ_E10value_typeEPSK_NS1_7vsmem_tEENKUlT_SI_SJ_SK_E_clISD_PiSD_S10_EESH_SX_SI_SJ_SK_EUlSX_E0_NS1_11comp_targetILNS1_3genE2ELNS1_11target_archE906ELNS1_3gpuE6ELNS1_3repE0EEENS1_38merge_mergepath_config_static_selectorELNS0_4arch9wavefront6targetE1EEEvSJ_.num_agpr, 0
	.set _ZN7rocprim17ROCPRIM_400000_NS6detail17trampoline_kernelINS0_14default_configENS1_38merge_sort_block_merge_config_selectorIiiEEZZNS1_27merge_sort_block_merge_implIS3_N6thrust23THRUST_200600_302600_NS6detail15normal_iteratorINS8_10device_ptrIiEEEESD_jNS1_19radix_merge_compareILb1ELb0EiNS0_19identity_decomposerEEEEE10hipError_tT0_T1_T2_jT3_P12ihipStream_tbPNSt15iterator_traitsISI_E10value_typeEPNSO_ISJ_E10value_typeEPSK_NS1_7vsmem_tEENKUlT_SI_SJ_SK_E_clISD_PiSD_S10_EESH_SX_SI_SJ_SK_EUlSX_E0_NS1_11comp_targetILNS1_3genE2ELNS1_11target_archE906ELNS1_3gpuE6ELNS1_3repE0EEENS1_38merge_mergepath_config_static_selectorELNS0_4arch9wavefront6targetE1EEEvSJ_.numbered_sgpr, 0
	.set _ZN7rocprim17ROCPRIM_400000_NS6detail17trampoline_kernelINS0_14default_configENS1_38merge_sort_block_merge_config_selectorIiiEEZZNS1_27merge_sort_block_merge_implIS3_N6thrust23THRUST_200600_302600_NS6detail15normal_iteratorINS8_10device_ptrIiEEEESD_jNS1_19radix_merge_compareILb1ELb0EiNS0_19identity_decomposerEEEEE10hipError_tT0_T1_T2_jT3_P12ihipStream_tbPNSt15iterator_traitsISI_E10value_typeEPNSO_ISJ_E10value_typeEPSK_NS1_7vsmem_tEENKUlT_SI_SJ_SK_E_clISD_PiSD_S10_EESH_SX_SI_SJ_SK_EUlSX_E0_NS1_11comp_targetILNS1_3genE2ELNS1_11target_archE906ELNS1_3gpuE6ELNS1_3repE0EEENS1_38merge_mergepath_config_static_selectorELNS0_4arch9wavefront6targetE1EEEvSJ_.num_named_barrier, 0
	.set _ZN7rocprim17ROCPRIM_400000_NS6detail17trampoline_kernelINS0_14default_configENS1_38merge_sort_block_merge_config_selectorIiiEEZZNS1_27merge_sort_block_merge_implIS3_N6thrust23THRUST_200600_302600_NS6detail15normal_iteratorINS8_10device_ptrIiEEEESD_jNS1_19radix_merge_compareILb1ELb0EiNS0_19identity_decomposerEEEEE10hipError_tT0_T1_T2_jT3_P12ihipStream_tbPNSt15iterator_traitsISI_E10value_typeEPNSO_ISJ_E10value_typeEPSK_NS1_7vsmem_tEENKUlT_SI_SJ_SK_E_clISD_PiSD_S10_EESH_SX_SI_SJ_SK_EUlSX_E0_NS1_11comp_targetILNS1_3genE2ELNS1_11target_archE906ELNS1_3gpuE6ELNS1_3repE0EEENS1_38merge_mergepath_config_static_selectorELNS0_4arch9wavefront6targetE1EEEvSJ_.private_seg_size, 0
	.set _ZN7rocprim17ROCPRIM_400000_NS6detail17trampoline_kernelINS0_14default_configENS1_38merge_sort_block_merge_config_selectorIiiEEZZNS1_27merge_sort_block_merge_implIS3_N6thrust23THRUST_200600_302600_NS6detail15normal_iteratorINS8_10device_ptrIiEEEESD_jNS1_19radix_merge_compareILb1ELb0EiNS0_19identity_decomposerEEEEE10hipError_tT0_T1_T2_jT3_P12ihipStream_tbPNSt15iterator_traitsISI_E10value_typeEPNSO_ISJ_E10value_typeEPSK_NS1_7vsmem_tEENKUlT_SI_SJ_SK_E_clISD_PiSD_S10_EESH_SX_SI_SJ_SK_EUlSX_E0_NS1_11comp_targetILNS1_3genE2ELNS1_11target_archE906ELNS1_3gpuE6ELNS1_3repE0EEENS1_38merge_mergepath_config_static_selectorELNS0_4arch9wavefront6targetE1EEEvSJ_.uses_vcc, 0
	.set _ZN7rocprim17ROCPRIM_400000_NS6detail17trampoline_kernelINS0_14default_configENS1_38merge_sort_block_merge_config_selectorIiiEEZZNS1_27merge_sort_block_merge_implIS3_N6thrust23THRUST_200600_302600_NS6detail15normal_iteratorINS8_10device_ptrIiEEEESD_jNS1_19radix_merge_compareILb1ELb0EiNS0_19identity_decomposerEEEEE10hipError_tT0_T1_T2_jT3_P12ihipStream_tbPNSt15iterator_traitsISI_E10value_typeEPNSO_ISJ_E10value_typeEPSK_NS1_7vsmem_tEENKUlT_SI_SJ_SK_E_clISD_PiSD_S10_EESH_SX_SI_SJ_SK_EUlSX_E0_NS1_11comp_targetILNS1_3genE2ELNS1_11target_archE906ELNS1_3gpuE6ELNS1_3repE0EEENS1_38merge_mergepath_config_static_selectorELNS0_4arch9wavefront6targetE1EEEvSJ_.uses_flat_scratch, 0
	.set _ZN7rocprim17ROCPRIM_400000_NS6detail17trampoline_kernelINS0_14default_configENS1_38merge_sort_block_merge_config_selectorIiiEEZZNS1_27merge_sort_block_merge_implIS3_N6thrust23THRUST_200600_302600_NS6detail15normal_iteratorINS8_10device_ptrIiEEEESD_jNS1_19radix_merge_compareILb1ELb0EiNS0_19identity_decomposerEEEEE10hipError_tT0_T1_T2_jT3_P12ihipStream_tbPNSt15iterator_traitsISI_E10value_typeEPNSO_ISJ_E10value_typeEPSK_NS1_7vsmem_tEENKUlT_SI_SJ_SK_E_clISD_PiSD_S10_EESH_SX_SI_SJ_SK_EUlSX_E0_NS1_11comp_targetILNS1_3genE2ELNS1_11target_archE906ELNS1_3gpuE6ELNS1_3repE0EEENS1_38merge_mergepath_config_static_selectorELNS0_4arch9wavefront6targetE1EEEvSJ_.has_dyn_sized_stack, 0
	.set _ZN7rocprim17ROCPRIM_400000_NS6detail17trampoline_kernelINS0_14default_configENS1_38merge_sort_block_merge_config_selectorIiiEEZZNS1_27merge_sort_block_merge_implIS3_N6thrust23THRUST_200600_302600_NS6detail15normal_iteratorINS8_10device_ptrIiEEEESD_jNS1_19radix_merge_compareILb1ELb0EiNS0_19identity_decomposerEEEEE10hipError_tT0_T1_T2_jT3_P12ihipStream_tbPNSt15iterator_traitsISI_E10value_typeEPNSO_ISJ_E10value_typeEPSK_NS1_7vsmem_tEENKUlT_SI_SJ_SK_E_clISD_PiSD_S10_EESH_SX_SI_SJ_SK_EUlSX_E0_NS1_11comp_targetILNS1_3genE2ELNS1_11target_archE906ELNS1_3gpuE6ELNS1_3repE0EEENS1_38merge_mergepath_config_static_selectorELNS0_4arch9wavefront6targetE1EEEvSJ_.has_recursion, 0
	.set _ZN7rocprim17ROCPRIM_400000_NS6detail17trampoline_kernelINS0_14default_configENS1_38merge_sort_block_merge_config_selectorIiiEEZZNS1_27merge_sort_block_merge_implIS3_N6thrust23THRUST_200600_302600_NS6detail15normal_iteratorINS8_10device_ptrIiEEEESD_jNS1_19radix_merge_compareILb1ELb0EiNS0_19identity_decomposerEEEEE10hipError_tT0_T1_T2_jT3_P12ihipStream_tbPNSt15iterator_traitsISI_E10value_typeEPNSO_ISJ_E10value_typeEPSK_NS1_7vsmem_tEENKUlT_SI_SJ_SK_E_clISD_PiSD_S10_EESH_SX_SI_SJ_SK_EUlSX_E0_NS1_11comp_targetILNS1_3genE2ELNS1_11target_archE906ELNS1_3gpuE6ELNS1_3repE0EEENS1_38merge_mergepath_config_static_selectorELNS0_4arch9wavefront6targetE1EEEvSJ_.has_indirect_call, 0
	.section	.AMDGPU.csdata,"",@progbits
; Kernel info:
; codeLenInByte = 0
; TotalNumSgprs: 6
; NumVgprs: 0
; NumAgprs: 0
; TotalNumVgprs: 0
; ScratchSize: 0
; MemoryBound: 0
; FloatMode: 240
; IeeeMode: 1
; LDSByteSize: 0 bytes/workgroup (compile time only)
; SGPRBlocks: 0
; VGPRBlocks: 0
; NumSGPRsForWavesPerEU: 6
; NumVGPRsForWavesPerEU: 1
; AccumOffset: 4
; Occupancy: 8
; WaveLimiterHint : 0
; COMPUTE_PGM_RSRC2:SCRATCH_EN: 0
; COMPUTE_PGM_RSRC2:USER_SGPR: 2
; COMPUTE_PGM_RSRC2:TRAP_HANDLER: 0
; COMPUTE_PGM_RSRC2:TGID_X_EN: 1
; COMPUTE_PGM_RSRC2:TGID_Y_EN: 0
; COMPUTE_PGM_RSRC2:TGID_Z_EN: 0
; COMPUTE_PGM_RSRC2:TIDIG_COMP_CNT: 0
; COMPUTE_PGM_RSRC3_GFX90A:ACCUM_OFFSET: 0
; COMPUTE_PGM_RSRC3_GFX90A:TG_SPLIT: 0
	.section	.text._ZN7rocprim17ROCPRIM_400000_NS6detail17trampoline_kernelINS0_14default_configENS1_38merge_sort_block_merge_config_selectorIiiEEZZNS1_27merge_sort_block_merge_implIS3_N6thrust23THRUST_200600_302600_NS6detail15normal_iteratorINS8_10device_ptrIiEEEESD_jNS1_19radix_merge_compareILb1ELb0EiNS0_19identity_decomposerEEEEE10hipError_tT0_T1_T2_jT3_P12ihipStream_tbPNSt15iterator_traitsISI_E10value_typeEPNSO_ISJ_E10value_typeEPSK_NS1_7vsmem_tEENKUlT_SI_SJ_SK_E_clISD_PiSD_S10_EESH_SX_SI_SJ_SK_EUlSX_E0_NS1_11comp_targetILNS1_3genE9ELNS1_11target_archE1100ELNS1_3gpuE3ELNS1_3repE0EEENS1_38merge_mergepath_config_static_selectorELNS0_4arch9wavefront6targetE1EEEvSJ_,"axG",@progbits,_ZN7rocprim17ROCPRIM_400000_NS6detail17trampoline_kernelINS0_14default_configENS1_38merge_sort_block_merge_config_selectorIiiEEZZNS1_27merge_sort_block_merge_implIS3_N6thrust23THRUST_200600_302600_NS6detail15normal_iteratorINS8_10device_ptrIiEEEESD_jNS1_19radix_merge_compareILb1ELb0EiNS0_19identity_decomposerEEEEE10hipError_tT0_T1_T2_jT3_P12ihipStream_tbPNSt15iterator_traitsISI_E10value_typeEPNSO_ISJ_E10value_typeEPSK_NS1_7vsmem_tEENKUlT_SI_SJ_SK_E_clISD_PiSD_S10_EESH_SX_SI_SJ_SK_EUlSX_E0_NS1_11comp_targetILNS1_3genE9ELNS1_11target_archE1100ELNS1_3gpuE3ELNS1_3repE0EEENS1_38merge_mergepath_config_static_selectorELNS0_4arch9wavefront6targetE1EEEvSJ_,comdat
	.protected	_ZN7rocprim17ROCPRIM_400000_NS6detail17trampoline_kernelINS0_14default_configENS1_38merge_sort_block_merge_config_selectorIiiEEZZNS1_27merge_sort_block_merge_implIS3_N6thrust23THRUST_200600_302600_NS6detail15normal_iteratorINS8_10device_ptrIiEEEESD_jNS1_19radix_merge_compareILb1ELb0EiNS0_19identity_decomposerEEEEE10hipError_tT0_T1_T2_jT3_P12ihipStream_tbPNSt15iterator_traitsISI_E10value_typeEPNSO_ISJ_E10value_typeEPSK_NS1_7vsmem_tEENKUlT_SI_SJ_SK_E_clISD_PiSD_S10_EESH_SX_SI_SJ_SK_EUlSX_E0_NS1_11comp_targetILNS1_3genE9ELNS1_11target_archE1100ELNS1_3gpuE3ELNS1_3repE0EEENS1_38merge_mergepath_config_static_selectorELNS0_4arch9wavefront6targetE1EEEvSJ_ ; -- Begin function _ZN7rocprim17ROCPRIM_400000_NS6detail17trampoline_kernelINS0_14default_configENS1_38merge_sort_block_merge_config_selectorIiiEEZZNS1_27merge_sort_block_merge_implIS3_N6thrust23THRUST_200600_302600_NS6detail15normal_iteratorINS8_10device_ptrIiEEEESD_jNS1_19radix_merge_compareILb1ELb0EiNS0_19identity_decomposerEEEEE10hipError_tT0_T1_T2_jT3_P12ihipStream_tbPNSt15iterator_traitsISI_E10value_typeEPNSO_ISJ_E10value_typeEPSK_NS1_7vsmem_tEENKUlT_SI_SJ_SK_E_clISD_PiSD_S10_EESH_SX_SI_SJ_SK_EUlSX_E0_NS1_11comp_targetILNS1_3genE9ELNS1_11target_archE1100ELNS1_3gpuE3ELNS1_3repE0EEENS1_38merge_mergepath_config_static_selectorELNS0_4arch9wavefront6targetE1EEEvSJ_
	.globl	_ZN7rocprim17ROCPRIM_400000_NS6detail17trampoline_kernelINS0_14default_configENS1_38merge_sort_block_merge_config_selectorIiiEEZZNS1_27merge_sort_block_merge_implIS3_N6thrust23THRUST_200600_302600_NS6detail15normal_iteratorINS8_10device_ptrIiEEEESD_jNS1_19radix_merge_compareILb1ELb0EiNS0_19identity_decomposerEEEEE10hipError_tT0_T1_T2_jT3_P12ihipStream_tbPNSt15iterator_traitsISI_E10value_typeEPNSO_ISJ_E10value_typeEPSK_NS1_7vsmem_tEENKUlT_SI_SJ_SK_E_clISD_PiSD_S10_EESH_SX_SI_SJ_SK_EUlSX_E0_NS1_11comp_targetILNS1_3genE9ELNS1_11target_archE1100ELNS1_3gpuE3ELNS1_3repE0EEENS1_38merge_mergepath_config_static_selectorELNS0_4arch9wavefront6targetE1EEEvSJ_
	.p2align	8
	.type	_ZN7rocprim17ROCPRIM_400000_NS6detail17trampoline_kernelINS0_14default_configENS1_38merge_sort_block_merge_config_selectorIiiEEZZNS1_27merge_sort_block_merge_implIS3_N6thrust23THRUST_200600_302600_NS6detail15normal_iteratorINS8_10device_ptrIiEEEESD_jNS1_19radix_merge_compareILb1ELb0EiNS0_19identity_decomposerEEEEE10hipError_tT0_T1_T2_jT3_P12ihipStream_tbPNSt15iterator_traitsISI_E10value_typeEPNSO_ISJ_E10value_typeEPSK_NS1_7vsmem_tEENKUlT_SI_SJ_SK_E_clISD_PiSD_S10_EESH_SX_SI_SJ_SK_EUlSX_E0_NS1_11comp_targetILNS1_3genE9ELNS1_11target_archE1100ELNS1_3gpuE3ELNS1_3repE0EEENS1_38merge_mergepath_config_static_selectorELNS0_4arch9wavefront6targetE1EEEvSJ_,@function
_ZN7rocprim17ROCPRIM_400000_NS6detail17trampoline_kernelINS0_14default_configENS1_38merge_sort_block_merge_config_selectorIiiEEZZNS1_27merge_sort_block_merge_implIS3_N6thrust23THRUST_200600_302600_NS6detail15normal_iteratorINS8_10device_ptrIiEEEESD_jNS1_19radix_merge_compareILb1ELb0EiNS0_19identity_decomposerEEEEE10hipError_tT0_T1_T2_jT3_P12ihipStream_tbPNSt15iterator_traitsISI_E10value_typeEPNSO_ISJ_E10value_typeEPSK_NS1_7vsmem_tEENKUlT_SI_SJ_SK_E_clISD_PiSD_S10_EESH_SX_SI_SJ_SK_EUlSX_E0_NS1_11comp_targetILNS1_3genE9ELNS1_11target_archE1100ELNS1_3gpuE3ELNS1_3repE0EEENS1_38merge_mergepath_config_static_selectorELNS0_4arch9wavefront6targetE1EEEvSJ_: ; @_ZN7rocprim17ROCPRIM_400000_NS6detail17trampoline_kernelINS0_14default_configENS1_38merge_sort_block_merge_config_selectorIiiEEZZNS1_27merge_sort_block_merge_implIS3_N6thrust23THRUST_200600_302600_NS6detail15normal_iteratorINS8_10device_ptrIiEEEESD_jNS1_19radix_merge_compareILb1ELb0EiNS0_19identity_decomposerEEEEE10hipError_tT0_T1_T2_jT3_P12ihipStream_tbPNSt15iterator_traitsISI_E10value_typeEPNSO_ISJ_E10value_typeEPSK_NS1_7vsmem_tEENKUlT_SI_SJ_SK_E_clISD_PiSD_S10_EESH_SX_SI_SJ_SK_EUlSX_E0_NS1_11comp_targetILNS1_3genE9ELNS1_11target_archE1100ELNS1_3gpuE3ELNS1_3repE0EEENS1_38merge_mergepath_config_static_selectorELNS0_4arch9wavefront6targetE1EEEvSJ_
; %bb.0:
	.section	.rodata,"a",@progbits
	.p2align	6, 0x0
	.amdhsa_kernel _ZN7rocprim17ROCPRIM_400000_NS6detail17trampoline_kernelINS0_14default_configENS1_38merge_sort_block_merge_config_selectorIiiEEZZNS1_27merge_sort_block_merge_implIS3_N6thrust23THRUST_200600_302600_NS6detail15normal_iteratorINS8_10device_ptrIiEEEESD_jNS1_19radix_merge_compareILb1ELb0EiNS0_19identity_decomposerEEEEE10hipError_tT0_T1_T2_jT3_P12ihipStream_tbPNSt15iterator_traitsISI_E10value_typeEPNSO_ISJ_E10value_typeEPSK_NS1_7vsmem_tEENKUlT_SI_SJ_SK_E_clISD_PiSD_S10_EESH_SX_SI_SJ_SK_EUlSX_E0_NS1_11comp_targetILNS1_3genE9ELNS1_11target_archE1100ELNS1_3gpuE3ELNS1_3repE0EEENS1_38merge_mergepath_config_static_selectorELNS0_4arch9wavefront6targetE1EEEvSJ_
		.amdhsa_group_segment_fixed_size 0
		.amdhsa_private_segment_fixed_size 0
		.amdhsa_kernarg_size 64
		.amdhsa_user_sgpr_count 2
		.amdhsa_user_sgpr_dispatch_ptr 0
		.amdhsa_user_sgpr_queue_ptr 0
		.amdhsa_user_sgpr_kernarg_segment_ptr 1
		.amdhsa_user_sgpr_dispatch_id 0
		.amdhsa_user_sgpr_kernarg_preload_length 0
		.amdhsa_user_sgpr_kernarg_preload_offset 0
		.amdhsa_user_sgpr_private_segment_size 0
		.amdhsa_uses_dynamic_stack 0
		.amdhsa_enable_private_segment 0
		.amdhsa_system_sgpr_workgroup_id_x 1
		.amdhsa_system_sgpr_workgroup_id_y 0
		.amdhsa_system_sgpr_workgroup_id_z 0
		.amdhsa_system_sgpr_workgroup_info 0
		.amdhsa_system_vgpr_workitem_id 0
		.amdhsa_next_free_vgpr 1
		.amdhsa_next_free_sgpr 0
		.amdhsa_accum_offset 4
		.amdhsa_reserve_vcc 0
		.amdhsa_float_round_mode_32 0
		.amdhsa_float_round_mode_16_64 0
		.amdhsa_float_denorm_mode_32 3
		.amdhsa_float_denorm_mode_16_64 3
		.amdhsa_dx10_clamp 1
		.amdhsa_ieee_mode 1
		.amdhsa_fp16_overflow 0
		.amdhsa_tg_split 0
		.amdhsa_exception_fp_ieee_invalid_op 0
		.amdhsa_exception_fp_denorm_src 0
		.amdhsa_exception_fp_ieee_div_zero 0
		.amdhsa_exception_fp_ieee_overflow 0
		.amdhsa_exception_fp_ieee_underflow 0
		.amdhsa_exception_fp_ieee_inexact 0
		.amdhsa_exception_int_div_zero 0
	.end_amdhsa_kernel
	.section	.text._ZN7rocprim17ROCPRIM_400000_NS6detail17trampoline_kernelINS0_14default_configENS1_38merge_sort_block_merge_config_selectorIiiEEZZNS1_27merge_sort_block_merge_implIS3_N6thrust23THRUST_200600_302600_NS6detail15normal_iteratorINS8_10device_ptrIiEEEESD_jNS1_19radix_merge_compareILb1ELb0EiNS0_19identity_decomposerEEEEE10hipError_tT0_T1_T2_jT3_P12ihipStream_tbPNSt15iterator_traitsISI_E10value_typeEPNSO_ISJ_E10value_typeEPSK_NS1_7vsmem_tEENKUlT_SI_SJ_SK_E_clISD_PiSD_S10_EESH_SX_SI_SJ_SK_EUlSX_E0_NS1_11comp_targetILNS1_3genE9ELNS1_11target_archE1100ELNS1_3gpuE3ELNS1_3repE0EEENS1_38merge_mergepath_config_static_selectorELNS0_4arch9wavefront6targetE1EEEvSJ_,"axG",@progbits,_ZN7rocprim17ROCPRIM_400000_NS6detail17trampoline_kernelINS0_14default_configENS1_38merge_sort_block_merge_config_selectorIiiEEZZNS1_27merge_sort_block_merge_implIS3_N6thrust23THRUST_200600_302600_NS6detail15normal_iteratorINS8_10device_ptrIiEEEESD_jNS1_19radix_merge_compareILb1ELb0EiNS0_19identity_decomposerEEEEE10hipError_tT0_T1_T2_jT3_P12ihipStream_tbPNSt15iterator_traitsISI_E10value_typeEPNSO_ISJ_E10value_typeEPSK_NS1_7vsmem_tEENKUlT_SI_SJ_SK_E_clISD_PiSD_S10_EESH_SX_SI_SJ_SK_EUlSX_E0_NS1_11comp_targetILNS1_3genE9ELNS1_11target_archE1100ELNS1_3gpuE3ELNS1_3repE0EEENS1_38merge_mergepath_config_static_selectorELNS0_4arch9wavefront6targetE1EEEvSJ_,comdat
.Lfunc_end1761:
	.size	_ZN7rocprim17ROCPRIM_400000_NS6detail17trampoline_kernelINS0_14default_configENS1_38merge_sort_block_merge_config_selectorIiiEEZZNS1_27merge_sort_block_merge_implIS3_N6thrust23THRUST_200600_302600_NS6detail15normal_iteratorINS8_10device_ptrIiEEEESD_jNS1_19radix_merge_compareILb1ELb0EiNS0_19identity_decomposerEEEEE10hipError_tT0_T1_T2_jT3_P12ihipStream_tbPNSt15iterator_traitsISI_E10value_typeEPNSO_ISJ_E10value_typeEPSK_NS1_7vsmem_tEENKUlT_SI_SJ_SK_E_clISD_PiSD_S10_EESH_SX_SI_SJ_SK_EUlSX_E0_NS1_11comp_targetILNS1_3genE9ELNS1_11target_archE1100ELNS1_3gpuE3ELNS1_3repE0EEENS1_38merge_mergepath_config_static_selectorELNS0_4arch9wavefront6targetE1EEEvSJ_, .Lfunc_end1761-_ZN7rocprim17ROCPRIM_400000_NS6detail17trampoline_kernelINS0_14default_configENS1_38merge_sort_block_merge_config_selectorIiiEEZZNS1_27merge_sort_block_merge_implIS3_N6thrust23THRUST_200600_302600_NS6detail15normal_iteratorINS8_10device_ptrIiEEEESD_jNS1_19radix_merge_compareILb1ELb0EiNS0_19identity_decomposerEEEEE10hipError_tT0_T1_T2_jT3_P12ihipStream_tbPNSt15iterator_traitsISI_E10value_typeEPNSO_ISJ_E10value_typeEPSK_NS1_7vsmem_tEENKUlT_SI_SJ_SK_E_clISD_PiSD_S10_EESH_SX_SI_SJ_SK_EUlSX_E0_NS1_11comp_targetILNS1_3genE9ELNS1_11target_archE1100ELNS1_3gpuE3ELNS1_3repE0EEENS1_38merge_mergepath_config_static_selectorELNS0_4arch9wavefront6targetE1EEEvSJ_
                                        ; -- End function
	.set _ZN7rocprim17ROCPRIM_400000_NS6detail17trampoline_kernelINS0_14default_configENS1_38merge_sort_block_merge_config_selectorIiiEEZZNS1_27merge_sort_block_merge_implIS3_N6thrust23THRUST_200600_302600_NS6detail15normal_iteratorINS8_10device_ptrIiEEEESD_jNS1_19radix_merge_compareILb1ELb0EiNS0_19identity_decomposerEEEEE10hipError_tT0_T1_T2_jT3_P12ihipStream_tbPNSt15iterator_traitsISI_E10value_typeEPNSO_ISJ_E10value_typeEPSK_NS1_7vsmem_tEENKUlT_SI_SJ_SK_E_clISD_PiSD_S10_EESH_SX_SI_SJ_SK_EUlSX_E0_NS1_11comp_targetILNS1_3genE9ELNS1_11target_archE1100ELNS1_3gpuE3ELNS1_3repE0EEENS1_38merge_mergepath_config_static_selectorELNS0_4arch9wavefront6targetE1EEEvSJ_.num_vgpr, 0
	.set _ZN7rocprim17ROCPRIM_400000_NS6detail17trampoline_kernelINS0_14default_configENS1_38merge_sort_block_merge_config_selectorIiiEEZZNS1_27merge_sort_block_merge_implIS3_N6thrust23THRUST_200600_302600_NS6detail15normal_iteratorINS8_10device_ptrIiEEEESD_jNS1_19radix_merge_compareILb1ELb0EiNS0_19identity_decomposerEEEEE10hipError_tT0_T1_T2_jT3_P12ihipStream_tbPNSt15iterator_traitsISI_E10value_typeEPNSO_ISJ_E10value_typeEPSK_NS1_7vsmem_tEENKUlT_SI_SJ_SK_E_clISD_PiSD_S10_EESH_SX_SI_SJ_SK_EUlSX_E0_NS1_11comp_targetILNS1_3genE9ELNS1_11target_archE1100ELNS1_3gpuE3ELNS1_3repE0EEENS1_38merge_mergepath_config_static_selectorELNS0_4arch9wavefront6targetE1EEEvSJ_.num_agpr, 0
	.set _ZN7rocprim17ROCPRIM_400000_NS6detail17trampoline_kernelINS0_14default_configENS1_38merge_sort_block_merge_config_selectorIiiEEZZNS1_27merge_sort_block_merge_implIS3_N6thrust23THRUST_200600_302600_NS6detail15normal_iteratorINS8_10device_ptrIiEEEESD_jNS1_19radix_merge_compareILb1ELb0EiNS0_19identity_decomposerEEEEE10hipError_tT0_T1_T2_jT3_P12ihipStream_tbPNSt15iterator_traitsISI_E10value_typeEPNSO_ISJ_E10value_typeEPSK_NS1_7vsmem_tEENKUlT_SI_SJ_SK_E_clISD_PiSD_S10_EESH_SX_SI_SJ_SK_EUlSX_E0_NS1_11comp_targetILNS1_3genE9ELNS1_11target_archE1100ELNS1_3gpuE3ELNS1_3repE0EEENS1_38merge_mergepath_config_static_selectorELNS0_4arch9wavefront6targetE1EEEvSJ_.numbered_sgpr, 0
	.set _ZN7rocprim17ROCPRIM_400000_NS6detail17trampoline_kernelINS0_14default_configENS1_38merge_sort_block_merge_config_selectorIiiEEZZNS1_27merge_sort_block_merge_implIS3_N6thrust23THRUST_200600_302600_NS6detail15normal_iteratorINS8_10device_ptrIiEEEESD_jNS1_19radix_merge_compareILb1ELb0EiNS0_19identity_decomposerEEEEE10hipError_tT0_T1_T2_jT3_P12ihipStream_tbPNSt15iterator_traitsISI_E10value_typeEPNSO_ISJ_E10value_typeEPSK_NS1_7vsmem_tEENKUlT_SI_SJ_SK_E_clISD_PiSD_S10_EESH_SX_SI_SJ_SK_EUlSX_E0_NS1_11comp_targetILNS1_3genE9ELNS1_11target_archE1100ELNS1_3gpuE3ELNS1_3repE0EEENS1_38merge_mergepath_config_static_selectorELNS0_4arch9wavefront6targetE1EEEvSJ_.num_named_barrier, 0
	.set _ZN7rocprim17ROCPRIM_400000_NS6detail17trampoline_kernelINS0_14default_configENS1_38merge_sort_block_merge_config_selectorIiiEEZZNS1_27merge_sort_block_merge_implIS3_N6thrust23THRUST_200600_302600_NS6detail15normal_iteratorINS8_10device_ptrIiEEEESD_jNS1_19radix_merge_compareILb1ELb0EiNS0_19identity_decomposerEEEEE10hipError_tT0_T1_T2_jT3_P12ihipStream_tbPNSt15iterator_traitsISI_E10value_typeEPNSO_ISJ_E10value_typeEPSK_NS1_7vsmem_tEENKUlT_SI_SJ_SK_E_clISD_PiSD_S10_EESH_SX_SI_SJ_SK_EUlSX_E0_NS1_11comp_targetILNS1_3genE9ELNS1_11target_archE1100ELNS1_3gpuE3ELNS1_3repE0EEENS1_38merge_mergepath_config_static_selectorELNS0_4arch9wavefront6targetE1EEEvSJ_.private_seg_size, 0
	.set _ZN7rocprim17ROCPRIM_400000_NS6detail17trampoline_kernelINS0_14default_configENS1_38merge_sort_block_merge_config_selectorIiiEEZZNS1_27merge_sort_block_merge_implIS3_N6thrust23THRUST_200600_302600_NS6detail15normal_iteratorINS8_10device_ptrIiEEEESD_jNS1_19radix_merge_compareILb1ELb0EiNS0_19identity_decomposerEEEEE10hipError_tT0_T1_T2_jT3_P12ihipStream_tbPNSt15iterator_traitsISI_E10value_typeEPNSO_ISJ_E10value_typeEPSK_NS1_7vsmem_tEENKUlT_SI_SJ_SK_E_clISD_PiSD_S10_EESH_SX_SI_SJ_SK_EUlSX_E0_NS1_11comp_targetILNS1_3genE9ELNS1_11target_archE1100ELNS1_3gpuE3ELNS1_3repE0EEENS1_38merge_mergepath_config_static_selectorELNS0_4arch9wavefront6targetE1EEEvSJ_.uses_vcc, 0
	.set _ZN7rocprim17ROCPRIM_400000_NS6detail17trampoline_kernelINS0_14default_configENS1_38merge_sort_block_merge_config_selectorIiiEEZZNS1_27merge_sort_block_merge_implIS3_N6thrust23THRUST_200600_302600_NS6detail15normal_iteratorINS8_10device_ptrIiEEEESD_jNS1_19radix_merge_compareILb1ELb0EiNS0_19identity_decomposerEEEEE10hipError_tT0_T1_T2_jT3_P12ihipStream_tbPNSt15iterator_traitsISI_E10value_typeEPNSO_ISJ_E10value_typeEPSK_NS1_7vsmem_tEENKUlT_SI_SJ_SK_E_clISD_PiSD_S10_EESH_SX_SI_SJ_SK_EUlSX_E0_NS1_11comp_targetILNS1_3genE9ELNS1_11target_archE1100ELNS1_3gpuE3ELNS1_3repE0EEENS1_38merge_mergepath_config_static_selectorELNS0_4arch9wavefront6targetE1EEEvSJ_.uses_flat_scratch, 0
	.set _ZN7rocprim17ROCPRIM_400000_NS6detail17trampoline_kernelINS0_14default_configENS1_38merge_sort_block_merge_config_selectorIiiEEZZNS1_27merge_sort_block_merge_implIS3_N6thrust23THRUST_200600_302600_NS6detail15normal_iteratorINS8_10device_ptrIiEEEESD_jNS1_19radix_merge_compareILb1ELb0EiNS0_19identity_decomposerEEEEE10hipError_tT0_T1_T2_jT3_P12ihipStream_tbPNSt15iterator_traitsISI_E10value_typeEPNSO_ISJ_E10value_typeEPSK_NS1_7vsmem_tEENKUlT_SI_SJ_SK_E_clISD_PiSD_S10_EESH_SX_SI_SJ_SK_EUlSX_E0_NS1_11comp_targetILNS1_3genE9ELNS1_11target_archE1100ELNS1_3gpuE3ELNS1_3repE0EEENS1_38merge_mergepath_config_static_selectorELNS0_4arch9wavefront6targetE1EEEvSJ_.has_dyn_sized_stack, 0
	.set _ZN7rocprim17ROCPRIM_400000_NS6detail17trampoline_kernelINS0_14default_configENS1_38merge_sort_block_merge_config_selectorIiiEEZZNS1_27merge_sort_block_merge_implIS3_N6thrust23THRUST_200600_302600_NS6detail15normal_iteratorINS8_10device_ptrIiEEEESD_jNS1_19radix_merge_compareILb1ELb0EiNS0_19identity_decomposerEEEEE10hipError_tT0_T1_T2_jT3_P12ihipStream_tbPNSt15iterator_traitsISI_E10value_typeEPNSO_ISJ_E10value_typeEPSK_NS1_7vsmem_tEENKUlT_SI_SJ_SK_E_clISD_PiSD_S10_EESH_SX_SI_SJ_SK_EUlSX_E0_NS1_11comp_targetILNS1_3genE9ELNS1_11target_archE1100ELNS1_3gpuE3ELNS1_3repE0EEENS1_38merge_mergepath_config_static_selectorELNS0_4arch9wavefront6targetE1EEEvSJ_.has_recursion, 0
	.set _ZN7rocprim17ROCPRIM_400000_NS6detail17trampoline_kernelINS0_14default_configENS1_38merge_sort_block_merge_config_selectorIiiEEZZNS1_27merge_sort_block_merge_implIS3_N6thrust23THRUST_200600_302600_NS6detail15normal_iteratorINS8_10device_ptrIiEEEESD_jNS1_19radix_merge_compareILb1ELb0EiNS0_19identity_decomposerEEEEE10hipError_tT0_T1_T2_jT3_P12ihipStream_tbPNSt15iterator_traitsISI_E10value_typeEPNSO_ISJ_E10value_typeEPSK_NS1_7vsmem_tEENKUlT_SI_SJ_SK_E_clISD_PiSD_S10_EESH_SX_SI_SJ_SK_EUlSX_E0_NS1_11comp_targetILNS1_3genE9ELNS1_11target_archE1100ELNS1_3gpuE3ELNS1_3repE0EEENS1_38merge_mergepath_config_static_selectorELNS0_4arch9wavefront6targetE1EEEvSJ_.has_indirect_call, 0
	.section	.AMDGPU.csdata,"",@progbits
; Kernel info:
; codeLenInByte = 0
; TotalNumSgprs: 6
; NumVgprs: 0
; NumAgprs: 0
; TotalNumVgprs: 0
; ScratchSize: 0
; MemoryBound: 0
; FloatMode: 240
; IeeeMode: 1
; LDSByteSize: 0 bytes/workgroup (compile time only)
; SGPRBlocks: 0
; VGPRBlocks: 0
; NumSGPRsForWavesPerEU: 6
; NumVGPRsForWavesPerEU: 1
; AccumOffset: 4
; Occupancy: 8
; WaveLimiterHint : 0
; COMPUTE_PGM_RSRC2:SCRATCH_EN: 0
; COMPUTE_PGM_RSRC2:USER_SGPR: 2
; COMPUTE_PGM_RSRC2:TRAP_HANDLER: 0
; COMPUTE_PGM_RSRC2:TGID_X_EN: 1
; COMPUTE_PGM_RSRC2:TGID_Y_EN: 0
; COMPUTE_PGM_RSRC2:TGID_Z_EN: 0
; COMPUTE_PGM_RSRC2:TIDIG_COMP_CNT: 0
; COMPUTE_PGM_RSRC3_GFX90A:ACCUM_OFFSET: 0
; COMPUTE_PGM_RSRC3_GFX90A:TG_SPLIT: 0
	.section	.text._ZN7rocprim17ROCPRIM_400000_NS6detail17trampoline_kernelINS0_14default_configENS1_38merge_sort_block_merge_config_selectorIiiEEZZNS1_27merge_sort_block_merge_implIS3_N6thrust23THRUST_200600_302600_NS6detail15normal_iteratorINS8_10device_ptrIiEEEESD_jNS1_19radix_merge_compareILb1ELb0EiNS0_19identity_decomposerEEEEE10hipError_tT0_T1_T2_jT3_P12ihipStream_tbPNSt15iterator_traitsISI_E10value_typeEPNSO_ISJ_E10value_typeEPSK_NS1_7vsmem_tEENKUlT_SI_SJ_SK_E_clISD_PiSD_S10_EESH_SX_SI_SJ_SK_EUlSX_E0_NS1_11comp_targetILNS1_3genE8ELNS1_11target_archE1030ELNS1_3gpuE2ELNS1_3repE0EEENS1_38merge_mergepath_config_static_selectorELNS0_4arch9wavefront6targetE1EEEvSJ_,"axG",@progbits,_ZN7rocprim17ROCPRIM_400000_NS6detail17trampoline_kernelINS0_14default_configENS1_38merge_sort_block_merge_config_selectorIiiEEZZNS1_27merge_sort_block_merge_implIS3_N6thrust23THRUST_200600_302600_NS6detail15normal_iteratorINS8_10device_ptrIiEEEESD_jNS1_19radix_merge_compareILb1ELb0EiNS0_19identity_decomposerEEEEE10hipError_tT0_T1_T2_jT3_P12ihipStream_tbPNSt15iterator_traitsISI_E10value_typeEPNSO_ISJ_E10value_typeEPSK_NS1_7vsmem_tEENKUlT_SI_SJ_SK_E_clISD_PiSD_S10_EESH_SX_SI_SJ_SK_EUlSX_E0_NS1_11comp_targetILNS1_3genE8ELNS1_11target_archE1030ELNS1_3gpuE2ELNS1_3repE0EEENS1_38merge_mergepath_config_static_selectorELNS0_4arch9wavefront6targetE1EEEvSJ_,comdat
	.protected	_ZN7rocprim17ROCPRIM_400000_NS6detail17trampoline_kernelINS0_14default_configENS1_38merge_sort_block_merge_config_selectorIiiEEZZNS1_27merge_sort_block_merge_implIS3_N6thrust23THRUST_200600_302600_NS6detail15normal_iteratorINS8_10device_ptrIiEEEESD_jNS1_19radix_merge_compareILb1ELb0EiNS0_19identity_decomposerEEEEE10hipError_tT0_T1_T2_jT3_P12ihipStream_tbPNSt15iterator_traitsISI_E10value_typeEPNSO_ISJ_E10value_typeEPSK_NS1_7vsmem_tEENKUlT_SI_SJ_SK_E_clISD_PiSD_S10_EESH_SX_SI_SJ_SK_EUlSX_E0_NS1_11comp_targetILNS1_3genE8ELNS1_11target_archE1030ELNS1_3gpuE2ELNS1_3repE0EEENS1_38merge_mergepath_config_static_selectorELNS0_4arch9wavefront6targetE1EEEvSJ_ ; -- Begin function _ZN7rocprim17ROCPRIM_400000_NS6detail17trampoline_kernelINS0_14default_configENS1_38merge_sort_block_merge_config_selectorIiiEEZZNS1_27merge_sort_block_merge_implIS3_N6thrust23THRUST_200600_302600_NS6detail15normal_iteratorINS8_10device_ptrIiEEEESD_jNS1_19radix_merge_compareILb1ELb0EiNS0_19identity_decomposerEEEEE10hipError_tT0_T1_T2_jT3_P12ihipStream_tbPNSt15iterator_traitsISI_E10value_typeEPNSO_ISJ_E10value_typeEPSK_NS1_7vsmem_tEENKUlT_SI_SJ_SK_E_clISD_PiSD_S10_EESH_SX_SI_SJ_SK_EUlSX_E0_NS1_11comp_targetILNS1_3genE8ELNS1_11target_archE1030ELNS1_3gpuE2ELNS1_3repE0EEENS1_38merge_mergepath_config_static_selectorELNS0_4arch9wavefront6targetE1EEEvSJ_
	.globl	_ZN7rocprim17ROCPRIM_400000_NS6detail17trampoline_kernelINS0_14default_configENS1_38merge_sort_block_merge_config_selectorIiiEEZZNS1_27merge_sort_block_merge_implIS3_N6thrust23THRUST_200600_302600_NS6detail15normal_iteratorINS8_10device_ptrIiEEEESD_jNS1_19radix_merge_compareILb1ELb0EiNS0_19identity_decomposerEEEEE10hipError_tT0_T1_T2_jT3_P12ihipStream_tbPNSt15iterator_traitsISI_E10value_typeEPNSO_ISJ_E10value_typeEPSK_NS1_7vsmem_tEENKUlT_SI_SJ_SK_E_clISD_PiSD_S10_EESH_SX_SI_SJ_SK_EUlSX_E0_NS1_11comp_targetILNS1_3genE8ELNS1_11target_archE1030ELNS1_3gpuE2ELNS1_3repE0EEENS1_38merge_mergepath_config_static_selectorELNS0_4arch9wavefront6targetE1EEEvSJ_
	.p2align	8
	.type	_ZN7rocprim17ROCPRIM_400000_NS6detail17trampoline_kernelINS0_14default_configENS1_38merge_sort_block_merge_config_selectorIiiEEZZNS1_27merge_sort_block_merge_implIS3_N6thrust23THRUST_200600_302600_NS6detail15normal_iteratorINS8_10device_ptrIiEEEESD_jNS1_19radix_merge_compareILb1ELb0EiNS0_19identity_decomposerEEEEE10hipError_tT0_T1_T2_jT3_P12ihipStream_tbPNSt15iterator_traitsISI_E10value_typeEPNSO_ISJ_E10value_typeEPSK_NS1_7vsmem_tEENKUlT_SI_SJ_SK_E_clISD_PiSD_S10_EESH_SX_SI_SJ_SK_EUlSX_E0_NS1_11comp_targetILNS1_3genE8ELNS1_11target_archE1030ELNS1_3gpuE2ELNS1_3repE0EEENS1_38merge_mergepath_config_static_selectorELNS0_4arch9wavefront6targetE1EEEvSJ_,@function
_ZN7rocprim17ROCPRIM_400000_NS6detail17trampoline_kernelINS0_14default_configENS1_38merge_sort_block_merge_config_selectorIiiEEZZNS1_27merge_sort_block_merge_implIS3_N6thrust23THRUST_200600_302600_NS6detail15normal_iteratorINS8_10device_ptrIiEEEESD_jNS1_19radix_merge_compareILb1ELb0EiNS0_19identity_decomposerEEEEE10hipError_tT0_T1_T2_jT3_P12ihipStream_tbPNSt15iterator_traitsISI_E10value_typeEPNSO_ISJ_E10value_typeEPSK_NS1_7vsmem_tEENKUlT_SI_SJ_SK_E_clISD_PiSD_S10_EESH_SX_SI_SJ_SK_EUlSX_E0_NS1_11comp_targetILNS1_3genE8ELNS1_11target_archE1030ELNS1_3gpuE2ELNS1_3repE0EEENS1_38merge_mergepath_config_static_selectorELNS0_4arch9wavefront6targetE1EEEvSJ_: ; @_ZN7rocprim17ROCPRIM_400000_NS6detail17trampoline_kernelINS0_14default_configENS1_38merge_sort_block_merge_config_selectorIiiEEZZNS1_27merge_sort_block_merge_implIS3_N6thrust23THRUST_200600_302600_NS6detail15normal_iteratorINS8_10device_ptrIiEEEESD_jNS1_19radix_merge_compareILb1ELb0EiNS0_19identity_decomposerEEEEE10hipError_tT0_T1_T2_jT3_P12ihipStream_tbPNSt15iterator_traitsISI_E10value_typeEPNSO_ISJ_E10value_typeEPSK_NS1_7vsmem_tEENKUlT_SI_SJ_SK_E_clISD_PiSD_S10_EESH_SX_SI_SJ_SK_EUlSX_E0_NS1_11comp_targetILNS1_3genE8ELNS1_11target_archE1030ELNS1_3gpuE2ELNS1_3repE0EEENS1_38merge_mergepath_config_static_selectorELNS0_4arch9wavefront6targetE1EEEvSJ_
; %bb.0:
	.section	.rodata,"a",@progbits
	.p2align	6, 0x0
	.amdhsa_kernel _ZN7rocprim17ROCPRIM_400000_NS6detail17trampoline_kernelINS0_14default_configENS1_38merge_sort_block_merge_config_selectorIiiEEZZNS1_27merge_sort_block_merge_implIS3_N6thrust23THRUST_200600_302600_NS6detail15normal_iteratorINS8_10device_ptrIiEEEESD_jNS1_19radix_merge_compareILb1ELb0EiNS0_19identity_decomposerEEEEE10hipError_tT0_T1_T2_jT3_P12ihipStream_tbPNSt15iterator_traitsISI_E10value_typeEPNSO_ISJ_E10value_typeEPSK_NS1_7vsmem_tEENKUlT_SI_SJ_SK_E_clISD_PiSD_S10_EESH_SX_SI_SJ_SK_EUlSX_E0_NS1_11comp_targetILNS1_3genE8ELNS1_11target_archE1030ELNS1_3gpuE2ELNS1_3repE0EEENS1_38merge_mergepath_config_static_selectorELNS0_4arch9wavefront6targetE1EEEvSJ_
		.amdhsa_group_segment_fixed_size 0
		.amdhsa_private_segment_fixed_size 0
		.amdhsa_kernarg_size 64
		.amdhsa_user_sgpr_count 2
		.amdhsa_user_sgpr_dispatch_ptr 0
		.amdhsa_user_sgpr_queue_ptr 0
		.amdhsa_user_sgpr_kernarg_segment_ptr 1
		.amdhsa_user_sgpr_dispatch_id 0
		.amdhsa_user_sgpr_kernarg_preload_length 0
		.amdhsa_user_sgpr_kernarg_preload_offset 0
		.amdhsa_user_sgpr_private_segment_size 0
		.amdhsa_uses_dynamic_stack 0
		.amdhsa_enable_private_segment 0
		.amdhsa_system_sgpr_workgroup_id_x 1
		.amdhsa_system_sgpr_workgroup_id_y 0
		.amdhsa_system_sgpr_workgroup_id_z 0
		.amdhsa_system_sgpr_workgroup_info 0
		.amdhsa_system_vgpr_workitem_id 0
		.amdhsa_next_free_vgpr 1
		.amdhsa_next_free_sgpr 0
		.amdhsa_accum_offset 4
		.amdhsa_reserve_vcc 0
		.amdhsa_float_round_mode_32 0
		.amdhsa_float_round_mode_16_64 0
		.amdhsa_float_denorm_mode_32 3
		.amdhsa_float_denorm_mode_16_64 3
		.amdhsa_dx10_clamp 1
		.amdhsa_ieee_mode 1
		.amdhsa_fp16_overflow 0
		.amdhsa_tg_split 0
		.amdhsa_exception_fp_ieee_invalid_op 0
		.amdhsa_exception_fp_denorm_src 0
		.amdhsa_exception_fp_ieee_div_zero 0
		.amdhsa_exception_fp_ieee_overflow 0
		.amdhsa_exception_fp_ieee_underflow 0
		.amdhsa_exception_fp_ieee_inexact 0
		.amdhsa_exception_int_div_zero 0
	.end_amdhsa_kernel
	.section	.text._ZN7rocprim17ROCPRIM_400000_NS6detail17trampoline_kernelINS0_14default_configENS1_38merge_sort_block_merge_config_selectorIiiEEZZNS1_27merge_sort_block_merge_implIS3_N6thrust23THRUST_200600_302600_NS6detail15normal_iteratorINS8_10device_ptrIiEEEESD_jNS1_19radix_merge_compareILb1ELb0EiNS0_19identity_decomposerEEEEE10hipError_tT0_T1_T2_jT3_P12ihipStream_tbPNSt15iterator_traitsISI_E10value_typeEPNSO_ISJ_E10value_typeEPSK_NS1_7vsmem_tEENKUlT_SI_SJ_SK_E_clISD_PiSD_S10_EESH_SX_SI_SJ_SK_EUlSX_E0_NS1_11comp_targetILNS1_3genE8ELNS1_11target_archE1030ELNS1_3gpuE2ELNS1_3repE0EEENS1_38merge_mergepath_config_static_selectorELNS0_4arch9wavefront6targetE1EEEvSJ_,"axG",@progbits,_ZN7rocprim17ROCPRIM_400000_NS6detail17trampoline_kernelINS0_14default_configENS1_38merge_sort_block_merge_config_selectorIiiEEZZNS1_27merge_sort_block_merge_implIS3_N6thrust23THRUST_200600_302600_NS6detail15normal_iteratorINS8_10device_ptrIiEEEESD_jNS1_19radix_merge_compareILb1ELb0EiNS0_19identity_decomposerEEEEE10hipError_tT0_T1_T2_jT3_P12ihipStream_tbPNSt15iterator_traitsISI_E10value_typeEPNSO_ISJ_E10value_typeEPSK_NS1_7vsmem_tEENKUlT_SI_SJ_SK_E_clISD_PiSD_S10_EESH_SX_SI_SJ_SK_EUlSX_E0_NS1_11comp_targetILNS1_3genE8ELNS1_11target_archE1030ELNS1_3gpuE2ELNS1_3repE0EEENS1_38merge_mergepath_config_static_selectorELNS0_4arch9wavefront6targetE1EEEvSJ_,comdat
.Lfunc_end1762:
	.size	_ZN7rocprim17ROCPRIM_400000_NS6detail17trampoline_kernelINS0_14default_configENS1_38merge_sort_block_merge_config_selectorIiiEEZZNS1_27merge_sort_block_merge_implIS3_N6thrust23THRUST_200600_302600_NS6detail15normal_iteratorINS8_10device_ptrIiEEEESD_jNS1_19radix_merge_compareILb1ELb0EiNS0_19identity_decomposerEEEEE10hipError_tT0_T1_T2_jT3_P12ihipStream_tbPNSt15iterator_traitsISI_E10value_typeEPNSO_ISJ_E10value_typeEPSK_NS1_7vsmem_tEENKUlT_SI_SJ_SK_E_clISD_PiSD_S10_EESH_SX_SI_SJ_SK_EUlSX_E0_NS1_11comp_targetILNS1_3genE8ELNS1_11target_archE1030ELNS1_3gpuE2ELNS1_3repE0EEENS1_38merge_mergepath_config_static_selectorELNS0_4arch9wavefront6targetE1EEEvSJ_, .Lfunc_end1762-_ZN7rocprim17ROCPRIM_400000_NS6detail17trampoline_kernelINS0_14default_configENS1_38merge_sort_block_merge_config_selectorIiiEEZZNS1_27merge_sort_block_merge_implIS3_N6thrust23THRUST_200600_302600_NS6detail15normal_iteratorINS8_10device_ptrIiEEEESD_jNS1_19radix_merge_compareILb1ELb0EiNS0_19identity_decomposerEEEEE10hipError_tT0_T1_T2_jT3_P12ihipStream_tbPNSt15iterator_traitsISI_E10value_typeEPNSO_ISJ_E10value_typeEPSK_NS1_7vsmem_tEENKUlT_SI_SJ_SK_E_clISD_PiSD_S10_EESH_SX_SI_SJ_SK_EUlSX_E0_NS1_11comp_targetILNS1_3genE8ELNS1_11target_archE1030ELNS1_3gpuE2ELNS1_3repE0EEENS1_38merge_mergepath_config_static_selectorELNS0_4arch9wavefront6targetE1EEEvSJ_
                                        ; -- End function
	.set _ZN7rocprim17ROCPRIM_400000_NS6detail17trampoline_kernelINS0_14default_configENS1_38merge_sort_block_merge_config_selectorIiiEEZZNS1_27merge_sort_block_merge_implIS3_N6thrust23THRUST_200600_302600_NS6detail15normal_iteratorINS8_10device_ptrIiEEEESD_jNS1_19radix_merge_compareILb1ELb0EiNS0_19identity_decomposerEEEEE10hipError_tT0_T1_T2_jT3_P12ihipStream_tbPNSt15iterator_traitsISI_E10value_typeEPNSO_ISJ_E10value_typeEPSK_NS1_7vsmem_tEENKUlT_SI_SJ_SK_E_clISD_PiSD_S10_EESH_SX_SI_SJ_SK_EUlSX_E0_NS1_11comp_targetILNS1_3genE8ELNS1_11target_archE1030ELNS1_3gpuE2ELNS1_3repE0EEENS1_38merge_mergepath_config_static_selectorELNS0_4arch9wavefront6targetE1EEEvSJ_.num_vgpr, 0
	.set _ZN7rocprim17ROCPRIM_400000_NS6detail17trampoline_kernelINS0_14default_configENS1_38merge_sort_block_merge_config_selectorIiiEEZZNS1_27merge_sort_block_merge_implIS3_N6thrust23THRUST_200600_302600_NS6detail15normal_iteratorINS8_10device_ptrIiEEEESD_jNS1_19radix_merge_compareILb1ELb0EiNS0_19identity_decomposerEEEEE10hipError_tT0_T1_T2_jT3_P12ihipStream_tbPNSt15iterator_traitsISI_E10value_typeEPNSO_ISJ_E10value_typeEPSK_NS1_7vsmem_tEENKUlT_SI_SJ_SK_E_clISD_PiSD_S10_EESH_SX_SI_SJ_SK_EUlSX_E0_NS1_11comp_targetILNS1_3genE8ELNS1_11target_archE1030ELNS1_3gpuE2ELNS1_3repE0EEENS1_38merge_mergepath_config_static_selectorELNS0_4arch9wavefront6targetE1EEEvSJ_.num_agpr, 0
	.set _ZN7rocprim17ROCPRIM_400000_NS6detail17trampoline_kernelINS0_14default_configENS1_38merge_sort_block_merge_config_selectorIiiEEZZNS1_27merge_sort_block_merge_implIS3_N6thrust23THRUST_200600_302600_NS6detail15normal_iteratorINS8_10device_ptrIiEEEESD_jNS1_19radix_merge_compareILb1ELb0EiNS0_19identity_decomposerEEEEE10hipError_tT0_T1_T2_jT3_P12ihipStream_tbPNSt15iterator_traitsISI_E10value_typeEPNSO_ISJ_E10value_typeEPSK_NS1_7vsmem_tEENKUlT_SI_SJ_SK_E_clISD_PiSD_S10_EESH_SX_SI_SJ_SK_EUlSX_E0_NS1_11comp_targetILNS1_3genE8ELNS1_11target_archE1030ELNS1_3gpuE2ELNS1_3repE0EEENS1_38merge_mergepath_config_static_selectorELNS0_4arch9wavefront6targetE1EEEvSJ_.numbered_sgpr, 0
	.set _ZN7rocprim17ROCPRIM_400000_NS6detail17trampoline_kernelINS0_14default_configENS1_38merge_sort_block_merge_config_selectorIiiEEZZNS1_27merge_sort_block_merge_implIS3_N6thrust23THRUST_200600_302600_NS6detail15normal_iteratorINS8_10device_ptrIiEEEESD_jNS1_19radix_merge_compareILb1ELb0EiNS0_19identity_decomposerEEEEE10hipError_tT0_T1_T2_jT3_P12ihipStream_tbPNSt15iterator_traitsISI_E10value_typeEPNSO_ISJ_E10value_typeEPSK_NS1_7vsmem_tEENKUlT_SI_SJ_SK_E_clISD_PiSD_S10_EESH_SX_SI_SJ_SK_EUlSX_E0_NS1_11comp_targetILNS1_3genE8ELNS1_11target_archE1030ELNS1_3gpuE2ELNS1_3repE0EEENS1_38merge_mergepath_config_static_selectorELNS0_4arch9wavefront6targetE1EEEvSJ_.num_named_barrier, 0
	.set _ZN7rocprim17ROCPRIM_400000_NS6detail17trampoline_kernelINS0_14default_configENS1_38merge_sort_block_merge_config_selectorIiiEEZZNS1_27merge_sort_block_merge_implIS3_N6thrust23THRUST_200600_302600_NS6detail15normal_iteratorINS8_10device_ptrIiEEEESD_jNS1_19radix_merge_compareILb1ELb0EiNS0_19identity_decomposerEEEEE10hipError_tT0_T1_T2_jT3_P12ihipStream_tbPNSt15iterator_traitsISI_E10value_typeEPNSO_ISJ_E10value_typeEPSK_NS1_7vsmem_tEENKUlT_SI_SJ_SK_E_clISD_PiSD_S10_EESH_SX_SI_SJ_SK_EUlSX_E0_NS1_11comp_targetILNS1_3genE8ELNS1_11target_archE1030ELNS1_3gpuE2ELNS1_3repE0EEENS1_38merge_mergepath_config_static_selectorELNS0_4arch9wavefront6targetE1EEEvSJ_.private_seg_size, 0
	.set _ZN7rocprim17ROCPRIM_400000_NS6detail17trampoline_kernelINS0_14default_configENS1_38merge_sort_block_merge_config_selectorIiiEEZZNS1_27merge_sort_block_merge_implIS3_N6thrust23THRUST_200600_302600_NS6detail15normal_iteratorINS8_10device_ptrIiEEEESD_jNS1_19radix_merge_compareILb1ELb0EiNS0_19identity_decomposerEEEEE10hipError_tT0_T1_T2_jT3_P12ihipStream_tbPNSt15iterator_traitsISI_E10value_typeEPNSO_ISJ_E10value_typeEPSK_NS1_7vsmem_tEENKUlT_SI_SJ_SK_E_clISD_PiSD_S10_EESH_SX_SI_SJ_SK_EUlSX_E0_NS1_11comp_targetILNS1_3genE8ELNS1_11target_archE1030ELNS1_3gpuE2ELNS1_3repE0EEENS1_38merge_mergepath_config_static_selectorELNS0_4arch9wavefront6targetE1EEEvSJ_.uses_vcc, 0
	.set _ZN7rocprim17ROCPRIM_400000_NS6detail17trampoline_kernelINS0_14default_configENS1_38merge_sort_block_merge_config_selectorIiiEEZZNS1_27merge_sort_block_merge_implIS3_N6thrust23THRUST_200600_302600_NS6detail15normal_iteratorINS8_10device_ptrIiEEEESD_jNS1_19radix_merge_compareILb1ELb0EiNS0_19identity_decomposerEEEEE10hipError_tT0_T1_T2_jT3_P12ihipStream_tbPNSt15iterator_traitsISI_E10value_typeEPNSO_ISJ_E10value_typeEPSK_NS1_7vsmem_tEENKUlT_SI_SJ_SK_E_clISD_PiSD_S10_EESH_SX_SI_SJ_SK_EUlSX_E0_NS1_11comp_targetILNS1_3genE8ELNS1_11target_archE1030ELNS1_3gpuE2ELNS1_3repE0EEENS1_38merge_mergepath_config_static_selectorELNS0_4arch9wavefront6targetE1EEEvSJ_.uses_flat_scratch, 0
	.set _ZN7rocprim17ROCPRIM_400000_NS6detail17trampoline_kernelINS0_14default_configENS1_38merge_sort_block_merge_config_selectorIiiEEZZNS1_27merge_sort_block_merge_implIS3_N6thrust23THRUST_200600_302600_NS6detail15normal_iteratorINS8_10device_ptrIiEEEESD_jNS1_19radix_merge_compareILb1ELb0EiNS0_19identity_decomposerEEEEE10hipError_tT0_T1_T2_jT3_P12ihipStream_tbPNSt15iterator_traitsISI_E10value_typeEPNSO_ISJ_E10value_typeEPSK_NS1_7vsmem_tEENKUlT_SI_SJ_SK_E_clISD_PiSD_S10_EESH_SX_SI_SJ_SK_EUlSX_E0_NS1_11comp_targetILNS1_3genE8ELNS1_11target_archE1030ELNS1_3gpuE2ELNS1_3repE0EEENS1_38merge_mergepath_config_static_selectorELNS0_4arch9wavefront6targetE1EEEvSJ_.has_dyn_sized_stack, 0
	.set _ZN7rocprim17ROCPRIM_400000_NS6detail17trampoline_kernelINS0_14default_configENS1_38merge_sort_block_merge_config_selectorIiiEEZZNS1_27merge_sort_block_merge_implIS3_N6thrust23THRUST_200600_302600_NS6detail15normal_iteratorINS8_10device_ptrIiEEEESD_jNS1_19radix_merge_compareILb1ELb0EiNS0_19identity_decomposerEEEEE10hipError_tT0_T1_T2_jT3_P12ihipStream_tbPNSt15iterator_traitsISI_E10value_typeEPNSO_ISJ_E10value_typeEPSK_NS1_7vsmem_tEENKUlT_SI_SJ_SK_E_clISD_PiSD_S10_EESH_SX_SI_SJ_SK_EUlSX_E0_NS1_11comp_targetILNS1_3genE8ELNS1_11target_archE1030ELNS1_3gpuE2ELNS1_3repE0EEENS1_38merge_mergepath_config_static_selectorELNS0_4arch9wavefront6targetE1EEEvSJ_.has_recursion, 0
	.set _ZN7rocprim17ROCPRIM_400000_NS6detail17trampoline_kernelINS0_14default_configENS1_38merge_sort_block_merge_config_selectorIiiEEZZNS1_27merge_sort_block_merge_implIS3_N6thrust23THRUST_200600_302600_NS6detail15normal_iteratorINS8_10device_ptrIiEEEESD_jNS1_19radix_merge_compareILb1ELb0EiNS0_19identity_decomposerEEEEE10hipError_tT0_T1_T2_jT3_P12ihipStream_tbPNSt15iterator_traitsISI_E10value_typeEPNSO_ISJ_E10value_typeEPSK_NS1_7vsmem_tEENKUlT_SI_SJ_SK_E_clISD_PiSD_S10_EESH_SX_SI_SJ_SK_EUlSX_E0_NS1_11comp_targetILNS1_3genE8ELNS1_11target_archE1030ELNS1_3gpuE2ELNS1_3repE0EEENS1_38merge_mergepath_config_static_selectorELNS0_4arch9wavefront6targetE1EEEvSJ_.has_indirect_call, 0
	.section	.AMDGPU.csdata,"",@progbits
; Kernel info:
; codeLenInByte = 0
; TotalNumSgprs: 6
; NumVgprs: 0
; NumAgprs: 0
; TotalNumVgprs: 0
; ScratchSize: 0
; MemoryBound: 0
; FloatMode: 240
; IeeeMode: 1
; LDSByteSize: 0 bytes/workgroup (compile time only)
; SGPRBlocks: 0
; VGPRBlocks: 0
; NumSGPRsForWavesPerEU: 6
; NumVGPRsForWavesPerEU: 1
; AccumOffset: 4
; Occupancy: 8
; WaveLimiterHint : 0
; COMPUTE_PGM_RSRC2:SCRATCH_EN: 0
; COMPUTE_PGM_RSRC2:USER_SGPR: 2
; COMPUTE_PGM_RSRC2:TRAP_HANDLER: 0
; COMPUTE_PGM_RSRC2:TGID_X_EN: 1
; COMPUTE_PGM_RSRC2:TGID_Y_EN: 0
; COMPUTE_PGM_RSRC2:TGID_Z_EN: 0
; COMPUTE_PGM_RSRC2:TIDIG_COMP_CNT: 0
; COMPUTE_PGM_RSRC3_GFX90A:ACCUM_OFFSET: 0
; COMPUTE_PGM_RSRC3_GFX90A:TG_SPLIT: 0
	.section	.text._ZN7rocprim17ROCPRIM_400000_NS6detail17trampoline_kernelINS0_14default_configENS1_38merge_sort_block_merge_config_selectorIiiEEZZNS1_27merge_sort_block_merge_implIS3_N6thrust23THRUST_200600_302600_NS6detail15normal_iteratorINS8_10device_ptrIiEEEESD_jNS1_19radix_merge_compareILb1ELb0EiNS0_19identity_decomposerEEEEE10hipError_tT0_T1_T2_jT3_P12ihipStream_tbPNSt15iterator_traitsISI_E10value_typeEPNSO_ISJ_E10value_typeEPSK_NS1_7vsmem_tEENKUlT_SI_SJ_SK_E_clISD_PiSD_S10_EESH_SX_SI_SJ_SK_EUlSX_E1_NS1_11comp_targetILNS1_3genE0ELNS1_11target_archE4294967295ELNS1_3gpuE0ELNS1_3repE0EEENS1_36merge_oddeven_config_static_selectorELNS0_4arch9wavefront6targetE1EEEvSJ_,"axG",@progbits,_ZN7rocprim17ROCPRIM_400000_NS6detail17trampoline_kernelINS0_14default_configENS1_38merge_sort_block_merge_config_selectorIiiEEZZNS1_27merge_sort_block_merge_implIS3_N6thrust23THRUST_200600_302600_NS6detail15normal_iteratorINS8_10device_ptrIiEEEESD_jNS1_19radix_merge_compareILb1ELb0EiNS0_19identity_decomposerEEEEE10hipError_tT0_T1_T2_jT3_P12ihipStream_tbPNSt15iterator_traitsISI_E10value_typeEPNSO_ISJ_E10value_typeEPSK_NS1_7vsmem_tEENKUlT_SI_SJ_SK_E_clISD_PiSD_S10_EESH_SX_SI_SJ_SK_EUlSX_E1_NS1_11comp_targetILNS1_3genE0ELNS1_11target_archE4294967295ELNS1_3gpuE0ELNS1_3repE0EEENS1_36merge_oddeven_config_static_selectorELNS0_4arch9wavefront6targetE1EEEvSJ_,comdat
	.protected	_ZN7rocprim17ROCPRIM_400000_NS6detail17trampoline_kernelINS0_14default_configENS1_38merge_sort_block_merge_config_selectorIiiEEZZNS1_27merge_sort_block_merge_implIS3_N6thrust23THRUST_200600_302600_NS6detail15normal_iteratorINS8_10device_ptrIiEEEESD_jNS1_19radix_merge_compareILb1ELb0EiNS0_19identity_decomposerEEEEE10hipError_tT0_T1_T2_jT3_P12ihipStream_tbPNSt15iterator_traitsISI_E10value_typeEPNSO_ISJ_E10value_typeEPSK_NS1_7vsmem_tEENKUlT_SI_SJ_SK_E_clISD_PiSD_S10_EESH_SX_SI_SJ_SK_EUlSX_E1_NS1_11comp_targetILNS1_3genE0ELNS1_11target_archE4294967295ELNS1_3gpuE0ELNS1_3repE0EEENS1_36merge_oddeven_config_static_selectorELNS0_4arch9wavefront6targetE1EEEvSJ_ ; -- Begin function _ZN7rocprim17ROCPRIM_400000_NS6detail17trampoline_kernelINS0_14default_configENS1_38merge_sort_block_merge_config_selectorIiiEEZZNS1_27merge_sort_block_merge_implIS3_N6thrust23THRUST_200600_302600_NS6detail15normal_iteratorINS8_10device_ptrIiEEEESD_jNS1_19radix_merge_compareILb1ELb0EiNS0_19identity_decomposerEEEEE10hipError_tT0_T1_T2_jT3_P12ihipStream_tbPNSt15iterator_traitsISI_E10value_typeEPNSO_ISJ_E10value_typeEPSK_NS1_7vsmem_tEENKUlT_SI_SJ_SK_E_clISD_PiSD_S10_EESH_SX_SI_SJ_SK_EUlSX_E1_NS1_11comp_targetILNS1_3genE0ELNS1_11target_archE4294967295ELNS1_3gpuE0ELNS1_3repE0EEENS1_36merge_oddeven_config_static_selectorELNS0_4arch9wavefront6targetE1EEEvSJ_
	.globl	_ZN7rocprim17ROCPRIM_400000_NS6detail17trampoline_kernelINS0_14default_configENS1_38merge_sort_block_merge_config_selectorIiiEEZZNS1_27merge_sort_block_merge_implIS3_N6thrust23THRUST_200600_302600_NS6detail15normal_iteratorINS8_10device_ptrIiEEEESD_jNS1_19radix_merge_compareILb1ELb0EiNS0_19identity_decomposerEEEEE10hipError_tT0_T1_T2_jT3_P12ihipStream_tbPNSt15iterator_traitsISI_E10value_typeEPNSO_ISJ_E10value_typeEPSK_NS1_7vsmem_tEENKUlT_SI_SJ_SK_E_clISD_PiSD_S10_EESH_SX_SI_SJ_SK_EUlSX_E1_NS1_11comp_targetILNS1_3genE0ELNS1_11target_archE4294967295ELNS1_3gpuE0ELNS1_3repE0EEENS1_36merge_oddeven_config_static_selectorELNS0_4arch9wavefront6targetE1EEEvSJ_
	.p2align	8
	.type	_ZN7rocprim17ROCPRIM_400000_NS6detail17trampoline_kernelINS0_14default_configENS1_38merge_sort_block_merge_config_selectorIiiEEZZNS1_27merge_sort_block_merge_implIS3_N6thrust23THRUST_200600_302600_NS6detail15normal_iteratorINS8_10device_ptrIiEEEESD_jNS1_19radix_merge_compareILb1ELb0EiNS0_19identity_decomposerEEEEE10hipError_tT0_T1_T2_jT3_P12ihipStream_tbPNSt15iterator_traitsISI_E10value_typeEPNSO_ISJ_E10value_typeEPSK_NS1_7vsmem_tEENKUlT_SI_SJ_SK_E_clISD_PiSD_S10_EESH_SX_SI_SJ_SK_EUlSX_E1_NS1_11comp_targetILNS1_3genE0ELNS1_11target_archE4294967295ELNS1_3gpuE0ELNS1_3repE0EEENS1_36merge_oddeven_config_static_selectorELNS0_4arch9wavefront6targetE1EEEvSJ_,@function
_ZN7rocprim17ROCPRIM_400000_NS6detail17trampoline_kernelINS0_14default_configENS1_38merge_sort_block_merge_config_selectorIiiEEZZNS1_27merge_sort_block_merge_implIS3_N6thrust23THRUST_200600_302600_NS6detail15normal_iteratorINS8_10device_ptrIiEEEESD_jNS1_19radix_merge_compareILb1ELb0EiNS0_19identity_decomposerEEEEE10hipError_tT0_T1_T2_jT3_P12ihipStream_tbPNSt15iterator_traitsISI_E10value_typeEPNSO_ISJ_E10value_typeEPSK_NS1_7vsmem_tEENKUlT_SI_SJ_SK_E_clISD_PiSD_S10_EESH_SX_SI_SJ_SK_EUlSX_E1_NS1_11comp_targetILNS1_3genE0ELNS1_11target_archE4294967295ELNS1_3gpuE0ELNS1_3repE0EEENS1_36merge_oddeven_config_static_selectorELNS0_4arch9wavefront6targetE1EEEvSJ_: ; @_ZN7rocprim17ROCPRIM_400000_NS6detail17trampoline_kernelINS0_14default_configENS1_38merge_sort_block_merge_config_selectorIiiEEZZNS1_27merge_sort_block_merge_implIS3_N6thrust23THRUST_200600_302600_NS6detail15normal_iteratorINS8_10device_ptrIiEEEESD_jNS1_19radix_merge_compareILb1ELb0EiNS0_19identity_decomposerEEEEE10hipError_tT0_T1_T2_jT3_P12ihipStream_tbPNSt15iterator_traitsISI_E10value_typeEPNSO_ISJ_E10value_typeEPSK_NS1_7vsmem_tEENKUlT_SI_SJ_SK_E_clISD_PiSD_S10_EESH_SX_SI_SJ_SK_EUlSX_E1_NS1_11comp_targetILNS1_3genE0ELNS1_11target_archE4294967295ELNS1_3gpuE0ELNS1_3repE0EEENS1_36merge_oddeven_config_static_selectorELNS0_4arch9wavefront6targetE1EEEvSJ_
; %bb.0:
	s_load_dword s18, s[0:1], 0x20
	s_waitcnt lgkmcnt(0)
	s_lshr_b32 s3, s18, 8
	s_cmp_eq_u32 s2, s3
	s_cselect_b64 s[6:7], -1, 0
	s_cmp_lg_u32 s2, s3
	s_cselect_b64 s[8:9], -1, 0
	s_lshl_b32 s16, s2, 8
	s_sub_i32 s3, s18, s16
	v_cmp_gt_u32_e64 s[4:5], s3, v0
	s_or_b64 s[8:9], s[8:9], s[4:5]
	s_and_saveexec_b64 s[10:11], s[8:9]
	s_cbranch_execz .LBB1763_24
; %bb.1:
	s_load_dwordx8 s[8:15], s[0:1], 0x0
	s_mov_b32 s17, 0
	s_lshl_b64 s[20:21], s[16:17], 2
	v_lshlrev_b32_e32 v1, 2, v0
	s_load_dword s17, s[0:1], 0x24
	s_waitcnt lgkmcnt(0)
	s_add_u32 s22, s8, s20
	s_addc_u32 s23, s9, s21
	s_add_u32 s12, s12, s20
	s_addc_u32 s13, s13, s21
	global_load_dword v2, v1, s[12:13]
	global_load_dword v3, v1, s[22:23]
	s_lshr_b32 s0, s17, 8
	s_sub_i32 s1, 0, s0
	s_and_b32 s1, s2, s1
	s_and_b32 s0, s1, s0
	s_lshl_b32 s19, s1, 8
	s_sub_i32 s12, 0, s17
	s_cmp_eq_u32 s0, 0
	s_cselect_b64 s[0:1], -1, 0
	s_and_b64 s[2:3], s[0:1], exec
	s_cselect_b32 s12, s17, s12
	s_add_i32 s12, s12, s19
	s_mov_b64 s[2:3], -1
	s_cmp_gt_u32 s18, s12
	v_add_u32_e32 v0, s16, v0
	s_cbranch_scc1 .LBB1763_9
; %bb.2:
	s_and_b64 vcc, exec, s[6:7]
	s_cbranch_vccz .LBB1763_6
; %bb.3:
	v_cmp_gt_u32_e32 vcc, s18, v0
	s_and_saveexec_b64 s[2:3], vcc
	s_cbranch_execz .LBB1763_5
; %bb.4:
	v_mov_b32_e32 v1, 0
	v_lshlrev_b64 v[4:5], 2, v[0:1]
	v_lshl_add_u64 v[6:7], s[10:11], 0, v[4:5]
	v_lshl_add_u64 v[4:5], s[14:15], 0, v[4:5]
	s_waitcnt vmcnt(0)
	global_store_dword v[6:7], v3, off
	global_store_dword v[4:5], v2, off
.LBB1763_5:
	s_or_b64 exec, exec, s[2:3]
	s_mov_b64 s[2:3], 0
.LBB1763_6:
	s_andn2_b64 vcc, exec, s[2:3]
	s_cbranch_vccnz .LBB1763_8
; %bb.7:
	v_mov_b32_e32 v1, 0
	v_lshlrev_b64 v[4:5], 2, v[0:1]
	v_lshl_add_u64 v[6:7], s[10:11], 0, v[4:5]
	v_lshl_add_u64 v[4:5], s[14:15], 0, v[4:5]
	s_waitcnt vmcnt(0)
	global_store_dword v[6:7], v3, off
	global_store_dword v[4:5], v2, off
.LBB1763_8:
	s_mov_b64 s[2:3], 0
.LBB1763_9:
	s_andn2_b64 vcc, exec, s[2:3]
	s_cbranch_vccnz .LBB1763_24
; %bb.10:
	s_min_u32 s13, s12, s18
	s_add_i32 s2, s13, s17
	s_min_u32 s16, s2, s18
	s_min_u32 s2, s19, s13
	s_add_i32 s19, s19, s13
	v_subrev_u32_e32 v0, s19, v0
	v_add_u32_e32 v4, s2, v0
	s_andn2_b64 vcc, exec, s[6:7]
	s_mov_b64 s[2:3], -1
	s_cbranch_vccnz .LBB1763_18
; %bb.11:
	s_and_saveexec_b64 s[2:3], s[4:5]
	s_cbranch_execz .LBB1763_17
; %bb.12:
	s_cmp_ge_u32 s12, s16
	v_mov_b32_e32 v5, s13
	s_cbranch_scc1 .LBB1763_16
; %bb.13:
	s_mov_b64 s[4:5], 0
	v_mov_b32_e32 v6, s16
	v_mov_b32_e32 v5, s13
	;; [unrolled: 1-line block ×3, first 2 shown]
.LBB1763_14:                            ; =>This Inner Loop Header: Depth=1
	v_add_u32_e32 v0, v5, v6
	v_lshrrev_b32_e32 v0, 1, v0
	v_lshl_add_u64 v[8:9], v[0:1], 2, s[8:9]
	global_load_dword v7, v[8:9], off
	v_add_u32_e32 v8, 1, v0
	s_waitcnt vmcnt(0)
	v_cmp_gt_i32_e32 vcc, v7, v3
	s_nop 1
	v_cndmask_b32_e64 v9, 0, 1, vcc
	v_cmp_le_i32_e32 vcc, v3, v7
	s_nop 1
	v_cndmask_b32_e64 v7, 0, 1, vcc
	v_cndmask_b32_e64 v7, v7, v9, s[0:1]
	v_and_b32_e32 v7, 1, v7
	v_cmp_eq_u32_e32 vcc, 1, v7
	s_nop 1
	v_cndmask_b32_e32 v6, v0, v6, vcc
	v_cndmask_b32_e32 v5, v5, v8, vcc
	v_cmp_ge_u32_e32 vcc, v5, v6
	s_or_b64 s[4:5], vcc, s[4:5]
	s_andn2_b64 exec, exec, s[4:5]
	s_cbranch_execnz .LBB1763_14
; %bb.15:
	s_or_b64 exec, exec, s[4:5]
.LBB1763_16:
	v_add_u32_e32 v0, v5, v4
	v_mov_b32_e32 v1, 0
	v_lshlrev_b64 v[0:1], 2, v[0:1]
	v_lshl_add_u64 v[6:7], s[10:11], 0, v[0:1]
	v_lshl_add_u64 v[0:1], s[14:15], 0, v[0:1]
	s_waitcnt vmcnt(0)
	global_store_dword v[6:7], v3, off
	global_store_dword v[0:1], v2, off
.LBB1763_17:
	s_or_b64 exec, exec, s[2:3]
	s_mov_b64 s[2:3], 0
.LBB1763_18:
	s_andn2_b64 vcc, exec, s[2:3]
	s_cbranch_vccnz .LBB1763_24
; %bb.19:
	s_cmp_ge_u32 s12, s16
	v_mov_b32_e32 v5, s13
	s_cbranch_scc1 .LBB1763_23
; %bb.20:
	s_mov_b64 s[2:3], 0
	v_mov_b32_e32 v6, s16
	v_mov_b32_e32 v5, s13
	;; [unrolled: 1-line block ×3, first 2 shown]
.LBB1763_21:                            ; =>This Inner Loop Header: Depth=1
	v_add_u32_e32 v0, v5, v6
	v_lshrrev_b32_e32 v0, 1, v0
	v_lshl_add_u64 v[8:9], v[0:1], 2, s[8:9]
	global_load_dword v7, v[8:9], off
	v_add_u32_e32 v8, 1, v0
	s_waitcnt vmcnt(0)
	v_cmp_gt_i32_e32 vcc, v7, v3
	s_nop 1
	v_cndmask_b32_e64 v9, 0, 1, vcc
	v_cmp_le_i32_e32 vcc, v3, v7
	s_nop 1
	v_cndmask_b32_e64 v7, 0, 1, vcc
	v_cndmask_b32_e64 v7, v7, v9, s[0:1]
	v_and_b32_e32 v7, 1, v7
	v_cmp_eq_u32_e32 vcc, 1, v7
	s_nop 1
	v_cndmask_b32_e32 v6, v0, v6, vcc
	v_cndmask_b32_e32 v5, v5, v8, vcc
	v_cmp_ge_u32_e32 vcc, v5, v6
	s_or_b64 s[2:3], vcc, s[2:3]
	s_andn2_b64 exec, exec, s[2:3]
	s_cbranch_execnz .LBB1763_21
; %bb.22:
	s_or_b64 exec, exec, s[2:3]
.LBB1763_23:
	v_add_u32_e32 v0, v5, v4
	v_mov_b32_e32 v1, 0
	v_lshlrev_b64 v[0:1], 2, v[0:1]
	v_lshl_add_u64 v[4:5], s[10:11], 0, v[0:1]
	v_lshl_add_u64 v[0:1], s[14:15], 0, v[0:1]
	s_waitcnt vmcnt(0)
	global_store_dword v[4:5], v3, off
	global_store_dword v[0:1], v2, off
.LBB1763_24:
	s_endpgm
	.section	.rodata,"a",@progbits
	.p2align	6, 0x0
	.amdhsa_kernel _ZN7rocprim17ROCPRIM_400000_NS6detail17trampoline_kernelINS0_14default_configENS1_38merge_sort_block_merge_config_selectorIiiEEZZNS1_27merge_sort_block_merge_implIS3_N6thrust23THRUST_200600_302600_NS6detail15normal_iteratorINS8_10device_ptrIiEEEESD_jNS1_19radix_merge_compareILb1ELb0EiNS0_19identity_decomposerEEEEE10hipError_tT0_T1_T2_jT3_P12ihipStream_tbPNSt15iterator_traitsISI_E10value_typeEPNSO_ISJ_E10value_typeEPSK_NS1_7vsmem_tEENKUlT_SI_SJ_SK_E_clISD_PiSD_S10_EESH_SX_SI_SJ_SK_EUlSX_E1_NS1_11comp_targetILNS1_3genE0ELNS1_11target_archE4294967295ELNS1_3gpuE0ELNS1_3repE0EEENS1_36merge_oddeven_config_static_selectorELNS0_4arch9wavefront6targetE1EEEvSJ_
		.amdhsa_group_segment_fixed_size 0
		.amdhsa_private_segment_fixed_size 0
		.amdhsa_kernarg_size 48
		.amdhsa_user_sgpr_count 2
		.amdhsa_user_sgpr_dispatch_ptr 0
		.amdhsa_user_sgpr_queue_ptr 0
		.amdhsa_user_sgpr_kernarg_segment_ptr 1
		.amdhsa_user_sgpr_dispatch_id 0
		.amdhsa_user_sgpr_kernarg_preload_length 0
		.amdhsa_user_sgpr_kernarg_preload_offset 0
		.amdhsa_user_sgpr_private_segment_size 0
		.amdhsa_uses_dynamic_stack 0
		.amdhsa_enable_private_segment 0
		.amdhsa_system_sgpr_workgroup_id_x 1
		.amdhsa_system_sgpr_workgroup_id_y 0
		.amdhsa_system_sgpr_workgroup_id_z 0
		.amdhsa_system_sgpr_workgroup_info 0
		.amdhsa_system_vgpr_workitem_id 0
		.amdhsa_next_free_vgpr 10
		.amdhsa_next_free_sgpr 24
		.amdhsa_accum_offset 12
		.amdhsa_reserve_vcc 1
		.amdhsa_float_round_mode_32 0
		.amdhsa_float_round_mode_16_64 0
		.amdhsa_float_denorm_mode_32 3
		.amdhsa_float_denorm_mode_16_64 3
		.amdhsa_dx10_clamp 1
		.amdhsa_ieee_mode 1
		.amdhsa_fp16_overflow 0
		.amdhsa_tg_split 0
		.amdhsa_exception_fp_ieee_invalid_op 0
		.amdhsa_exception_fp_denorm_src 0
		.amdhsa_exception_fp_ieee_div_zero 0
		.amdhsa_exception_fp_ieee_overflow 0
		.amdhsa_exception_fp_ieee_underflow 0
		.amdhsa_exception_fp_ieee_inexact 0
		.amdhsa_exception_int_div_zero 0
	.end_amdhsa_kernel
	.section	.text._ZN7rocprim17ROCPRIM_400000_NS6detail17trampoline_kernelINS0_14default_configENS1_38merge_sort_block_merge_config_selectorIiiEEZZNS1_27merge_sort_block_merge_implIS3_N6thrust23THRUST_200600_302600_NS6detail15normal_iteratorINS8_10device_ptrIiEEEESD_jNS1_19radix_merge_compareILb1ELb0EiNS0_19identity_decomposerEEEEE10hipError_tT0_T1_T2_jT3_P12ihipStream_tbPNSt15iterator_traitsISI_E10value_typeEPNSO_ISJ_E10value_typeEPSK_NS1_7vsmem_tEENKUlT_SI_SJ_SK_E_clISD_PiSD_S10_EESH_SX_SI_SJ_SK_EUlSX_E1_NS1_11comp_targetILNS1_3genE0ELNS1_11target_archE4294967295ELNS1_3gpuE0ELNS1_3repE0EEENS1_36merge_oddeven_config_static_selectorELNS0_4arch9wavefront6targetE1EEEvSJ_,"axG",@progbits,_ZN7rocprim17ROCPRIM_400000_NS6detail17trampoline_kernelINS0_14default_configENS1_38merge_sort_block_merge_config_selectorIiiEEZZNS1_27merge_sort_block_merge_implIS3_N6thrust23THRUST_200600_302600_NS6detail15normal_iteratorINS8_10device_ptrIiEEEESD_jNS1_19radix_merge_compareILb1ELb0EiNS0_19identity_decomposerEEEEE10hipError_tT0_T1_T2_jT3_P12ihipStream_tbPNSt15iterator_traitsISI_E10value_typeEPNSO_ISJ_E10value_typeEPSK_NS1_7vsmem_tEENKUlT_SI_SJ_SK_E_clISD_PiSD_S10_EESH_SX_SI_SJ_SK_EUlSX_E1_NS1_11comp_targetILNS1_3genE0ELNS1_11target_archE4294967295ELNS1_3gpuE0ELNS1_3repE0EEENS1_36merge_oddeven_config_static_selectorELNS0_4arch9wavefront6targetE1EEEvSJ_,comdat
.Lfunc_end1763:
	.size	_ZN7rocprim17ROCPRIM_400000_NS6detail17trampoline_kernelINS0_14default_configENS1_38merge_sort_block_merge_config_selectorIiiEEZZNS1_27merge_sort_block_merge_implIS3_N6thrust23THRUST_200600_302600_NS6detail15normal_iteratorINS8_10device_ptrIiEEEESD_jNS1_19radix_merge_compareILb1ELb0EiNS0_19identity_decomposerEEEEE10hipError_tT0_T1_T2_jT3_P12ihipStream_tbPNSt15iterator_traitsISI_E10value_typeEPNSO_ISJ_E10value_typeEPSK_NS1_7vsmem_tEENKUlT_SI_SJ_SK_E_clISD_PiSD_S10_EESH_SX_SI_SJ_SK_EUlSX_E1_NS1_11comp_targetILNS1_3genE0ELNS1_11target_archE4294967295ELNS1_3gpuE0ELNS1_3repE0EEENS1_36merge_oddeven_config_static_selectorELNS0_4arch9wavefront6targetE1EEEvSJ_, .Lfunc_end1763-_ZN7rocprim17ROCPRIM_400000_NS6detail17trampoline_kernelINS0_14default_configENS1_38merge_sort_block_merge_config_selectorIiiEEZZNS1_27merge_sort_block_merge_implIS3_N6thrust23THRUST_200600_302600_NS6detail15normal_iteratorINS8_10device_ptrIiEEEESD_jNS1_19radix_merge_compareILb1ELb0EiNS0_19identity_decomposerEEEEE10hipError_tT0_T1_T2_jT3_P12ihipStream_tbPNSt15iterator_traitsISI_E10value_typeEPNSO_ISJ_E10value_typeEPSK_NS1_7vsmem_tEENKUlT_SI_SJ_SK_E_clISD_PiSD_S10_EESH_SX_SI_SJ_SK_EUlSX_E1_NS1_11comp_targetILNS1_3genE0ELNS1_11target_archE4294967295ELNS1_3gpuE0ELNS1_3repE0EEENS1_36merge_oddeven_config_static_selectorELNS0_4arch9wavefront6targetE1EEEvSJ_
                                        ; -- End function
	.set _ZN7rocprim17ROCPRIM_400000_NS6detail17trampoline_kernelINS0_14default_configENS1_38merge_sort_block_merge_config_selectorIiiEEZZNS1_27merge_sort_block_merge_implIS3_N6thrust23THRUST_200600_302600_NS6detail15normal_iteratorINS8_10device_ptrIiEEEESD_jNS1_19radix_merge_compareILb1ELb0EiNS0_19identity_decomposerEEEEE10hipError_tT0_T1_T2_jT3_P12ihipStream_tbPNSt15iterator_traitsISI_E10value_typeEPNSO_ISJ_E10value_typeEPSK_NS1_7vsmem_tEENKUlT_SI_SJ_SK_E_clISD_PiSD_S10_EESH_SX_SI_SJ_SK_EUlSX_E1_NS1_11comp_targetILNS1_3genE0ELNS1_11target_archE4294967295ELNS1_3gpuE0ELNS1_3repE0EEENS1_36merge_oddeven_config_static_selectorELNS0_4arch9wavefront6targetE1EEEvSJ_.num_vgpr, 10
	.set _ZN7rocprim17ROCPRIM_400000_NS6detail17trampoline_kernelINS0_14default_configENS1_38merge_sort_block_merge_config_selectorIiiEEZZNS1_27merge_sort_block_merge_implIS3_N6thrust23THRUST_200600_302600_NS6detail15normal_iteratorINS8_10device_ptrIiEEEESD_jNS1_19radix_merge_compareILb1ELb0EiNS0_19identity_decomposerEEEEE10hipError_tT0_T1_T2_jT3_P12ihipStream_tbPNSt15iterator_traitsISI_E10value_typeEPNSO_ISJ_E10value_typeEPSK_NS1_7vsmem_tEENKUlT_SI_SJ_SK_E_clISD_PiSD_S10_EESH_SX_SI_SJ_SK_EUlSX_E1_NS1_11comp_targetILNS1_3genE0ELNS1_11target_archE4294967295ELNS1_3gpuE0ELNS1_3repE0EEENS1_36merge_oddeven_config_static_selectorELNS0_4arch9wavefront6targetE1EEEvSJ_.num_agpr, 0
	.set _ZN7rocprim17ROCPRIM_400000_NS6detail17trampoline_kernelINS0_14default_configENS1_38merge_sort_block_merge_config_selectorIiiEEZZNS1_27merge_sort_block_merge_implIS3_N6thrust23THRUST_200600_302600_NS6detail15normal_iteratorINS8_10device_ptrIiEEEESD_jNS1_19radix_merge_compareILb1ELb0EiNS0_19identity_decomposerEEEEE10hipError_tT0_T1_T2_jT3_P12ihipStream_tbPNSt15iterator_traitsISI_E10value_typeEPNSO_ISJ_E10value_typeEPSK_NS1_7vsmem_tEENKUlT_SI_SJ_SK_E_clISD_PiSD_S10_EESH_SX_SI_SJ_SK_EUlSX_E1_NS1_11comp_targetILNS1_3genE0ELNS1_11target_archE4294967295ELNS1_3gpuE0ELNS1_3repE0EEENS1_36merge_oddeven_config_static_selectorELNS0_4arch9wavefront6targetE1EEEvSJ_.numbered_sgpr, 24
	.set _ZN7rocprim17ROCPRIM_400000_NS6detail17trampoline_kernelINS0_14default_configENS1_38merge_sort_block_merge_config_selectorIiiEEZZNS1_27merge_sort_block_merge_implIS3_N6thrust23THRUST_200600_302600_NS6detail15normal_iteratorINS8_10device_ptrIiEEEESD_jNS1_19radix_merge_compareILb1ELb0EiNS0_19identity_decomposerEEEEE10hipError_tT0_T1_T2_jT3_P12ihipStream_tbPNSt15iterator_traitsISI_E10value_typeEPNSO_ISJ_E10value_typeEPSK_NS1_7vsmem_tEENKUlT_SI_SJ_SK_E_clISD_PiSD_S10_EESH_SX_SI_SJ_SK_EUlSX_E1_NS1_11comp_targetILNS1_3genE0ELNS1_11target_archE4294967295ELNS1_3gpuE0ELNS1_3repE0EEENS1_36merge_oddeven_config_static_selectorELNS0_4arch9wavefront6targetE1EEEvSJ_.num_named_barrier, 0
	.set _ZN7rocprim17ROCPRIM_400000_NS6detail17trampoline_kernelINS0_14default_configENS1_38merge_sort_block_merge_config_selectorIiiEEZZNS1_27merge_sort_block_merge_implIS3_N6thrust23THRUST_200600_302600_NS6detail15normal_iteratorINS8_10device_ptrIiEEEESD_jNS1_19radix_merge_compareILb1ELb0EiNS0_19identity_decomposerEEEEE10hipError_tT0_T1_T2_jT3_P12ihipStream_tbPNSt15iterator_traitsISI_E10value_typeEPNSO_ISJ_E10value_typeEPSK_NS1_7vsmem_tEENKUlT_SI_SJ_SK_E_clISD_PiSD_S10_EESH_SX_SI_SJ_SK_EUlSX_E1_NS1_11comp_targetILNS1_3genE0ELNS1_11target_archE4294967295ELNS1_3gpuE0ELNS1_3repE0EEENS1_36merge_oddeven_config_static_selectorELNS0_4arch9wavefront6targetE1EEEvSJ_.private_seg_size, 0
	.set _ZN7rocprim17ROCPRIM_400000_NS6detail17trampoline_kernelINS0_14default_configENS1_38merge_sort_block_merge_config_selectorIiiEEZZNS1_27merge_sort_block_merge_implIS3_N6thrust23THRUST_200600_302600_NS6detail15normal_iteratorINS8_10device_ptrIiEEEESD_jNS1_19radix_merge_compareILb1ELb0EiNS0_19identity_decomposerEEEEE10hipError_tT0_T1_T2_jT3_P12ihipStream_tbPNSt15iterator_traitsISI_E10value_typeEPNSO_ISJ_E10value_typeEPSK_NS1_7vsmem_tEENKUlT_SI_SJ_SK_E_clISD_PiSD_S10_EESH_SX_SI_SJ_SK_EUlSX_E1_NS1_11comp_targetILNS1_3genE0ELNS1_11target_archE4294967295ELNS1_3gpuE0ELNS1_3repE0EEENS1_36merge_oddeven_config_static_selectorELNS0_4arch9wavefront6targetE1EEEvSJ_.uses_vcc, 1
	.set _ZN7rocprim17ROCPRIM_400000_NS6detail17trampoline_kernelINS0_14default_configENS1_38merge_sort_block_merge_config_selectorIiiEEZZNS1_27merge_sort_block_merge_implIS3_N6thrust23THRUST_200600_302600_NS6detail15normal_iteratorINS8_10device_ptrIiEEEESD_jNS1_19radix_merge_compareILb1ELb0EiNS0_19identity_decomposerEEEEE10hipError_tT0_T1_T2_jT3_P12ihipStream_tbPNSt15iterator_traitsISI_E10value_typeEPNSO_ISJ_E10value_typeEPSK_NS1_7vsmem_tEENKUlT_SI_SJ_SK_E_clISD_PiSD_S10_EESH_SX_SI_SJ_SK_EUlSX_E1_NS1_11comp_targetILNS1_3genE0ELNS1_11target_archE4294967295ELNS1_3gpuE0ELNS1_3repE0EEENS1_36merge_oddeven_config_static_selectorELNS0_4arch9wavefront6targetE1EEEvSJ_.uses_flat_scratch, 0
	.set _ZN7rocprim17ROCPRIM_400000_NS6detail17trampoline_kernelINS0_14default_configENS1_38merge_sort_block_merge_config_selectorIiiEEZZNS1_27merge_sort_block_merge_implIS3_N6thrust23THRUST_200600_302600_NS6detail15normal_iteratorINS8_10device_ptrIiEEEESD_jNS1_19radix_merge_compareILb1ELb0EiNS0_19identity_decomposerEEEEE10hipError_tT0_T1_T2_jT3_P12ihipStream_tbPNSt15iterator_traitsISI_E10value_typeEPNSO_ISJ_E10value_typeEPSK_NS1_7vsmem_tEENKUlT_SI_SJ_SK_E_clISD_PiSD_S10_EESH_SX_SI_SJ_SK_EUlSX_E1_NS1_11comp_targetILNS1_3genE0ELNS1_11target_archE4294967295ELNS1_3gpuE0ELNS1_3repE0EEENS1_36merge_oddeven_config_static_selectorELNS0_4arch9wavefront6targetE1EEEvSJ_.has_dyn_sized_stack, 0
	.set _ZN7rocprim17ROCPRIM_400000_NS6detail17trampoline_kernelINS0_14default_configENS1_38merge_sort_block_merge_config_selectorIiiEEZZNS1_27merge_sort_block_merge_implIS3_N6thrust23THRUST_200600_302600_NS6detail15normal_iteratorINS8_10device_ptrIiEEEESD_jNS1_19radix_merge_compareILb1ELb0EiNS0_19identity_decomposerEEEEE10hipError_tT0_T1_T2_jT3_P12ihipStream_tbPNSt15iterator_traitsISI_E10value_typeEPNSO_ISJ_E10value_typeEPSK_NS1_7vsmem_tEENKUlT_SI_SJ_SK_E_clISD_PiSD_S10_EESH_SX_SI_SJ_SK_EUlSX_E1_NS1_11comp_targetILNS1_3genE0ELNS1_11target_archE4294967295ELNS1_3gpuE0ELNS1_3repE0EEENS1_36merge_oddeven_config_static_selectorELNS0_4arch9wavefront6targetE1EEEvSJ_.has_recursion, 0
	.set _ZN7rocprim17ROCPRIM_400000_NS6detail17trampoline_kernelINS0_14default_configENS1_38merge_sort_block_merge_config_selectorIiiEEZZNS1_27merge_sort_block_merge_implIS3_N6thrust23THRUST_200600_302600_NS6detail15normal_iteratorINS8_10device_ptrIiEEEESD_jNS1_19radix_merge_compareILb1ELb0EiNS0_19identity_decomposerEEEEE10hipError_tT0_T1_T2_jT3_P12ihipStream_tbPNSt15iterator_traitsISI_E10value_typeEPNSO_ISJ_E10value_typeEPSK_NS1_7vsmem_tEENKUlT_SI_SJ_SK_E_clISD_PiSD_S10_EESH_SX_SI_SJ_SK_EUlSX_E1_NS1_11comp_targetILNS1_3genE0ELNS1_11target_archE4294967295ELNS1_3gpuE0ELNS1_3repE0EEENS1_36merge_oddeven_config_static_selectorELNS0_4arch9wavefront6targetE1EEEvSJ_.has_indirect_call, 0
	.section	.AMDGPU.csdata,"",@progbits
; Kernel info:
; codeLenInByte = 780
; TotalNumSgprs: 30
; NumVgprs: 10
; NumAgprs: 0
; TotalNumVgprs: 10
; ScratchSize: 0
; MemoryBound: 0
; FloatMode: 240
; IeeeMode: 1
; LDSByteSize: 0 bytes/workgroup (compile time only)
; SGPRBlocks: 3
; VGPRBlocks: 1
; NumSGPRsForWavesPerEU: 30
; NumVGPRsForWavesPerEU: 10
; AccumOffset: 12
; Occupancy: 8
; WaveLimiterHint : 0
; COMPUTE_PGM_RSRC2:SCRATCH_EN: 0
; COMPUTE_PGM_RSRC2:USER_SGPR: 2
; COMPUTE_PGM_RSRC2:TRAP_HANDLER: 0
; COMPUTE_PGM_RSRC2:TGID_X_EN: 1
; COMPUTE_PGM_RSRC2:TGID_Y_EN: 0
; COMPUTE_PGM_RSRC2:TGID_Z_EN: 0
; COMPUTE_PGM_RSRC2:TIDIG_COMP_CNT: 0
; COMPUTE_PGM_RSRC3_GFX90A:ACCUM_OFFSET: 2
; COMPUTE_PGM_RSRC3_GFX90A:TG_SPLIT: 0
	.section	.text._ZN7rocprim17ROCPRIM_400000_NS6detail17trampoline_kernelINS0_14default_configENS1_38merge_sort_block_merge_config_selectorIiiEEZZNS1_27merge_sort_block_merge_implIS3_N6thrust23THRUST_200600_302600_NS6detail15normal_iteratorINS8_10device_ptrIiEEEESD_jNS1_19radix_merge_compareILb1ELb0EiNS0_19identity_decomposerEEEEE10hipError_tT0_T1_T2_jT3_P12ihipStream_tbPNSt15iterator_traitsISI_E10value_typeEPNSO_ISJ_E10value_typeEPSK_NS1_7vsmem_tEENKUlT_SI_SJ_SK_E_clISD_PiSD_S10_EESH_SX_SI_SJ_SK_EUlSX_E1_NS1_11comp_targetILNS1_3genE10ELNS1_11target_archE1201ELNS1_3gpuE5ELNS1_3repE0EEENS1_36merge_oddeven_config_static_selectorELNS0_4arch9wavefront6targetE1EEEvSJ_,"axG",@progbits,_ZN7rocprim17ROCPRIM_400000_NS6detail17trampoline_kernelINS0_14default_configENS1_38merge_sort_block_merge_config_selectorIiiEEZZNS1_27merge_sort_block_merge_implIS3_N6thrust23THRUST_200600_302600_NS6detail15normal_iteratorINS8_10device_ptrIiEEEESD_jNS1_19radix_merge_compareILb1ELb0EiNS0_19identity_decomposerEEEEE10hipError_tT0_T1_T2_jT3_P12ihipStream_tbPNSt15iterator_traitsISI_E10value_typeEPNSO_ISJ_E10value_typeEPSK_NS1_7vsmem_tEENKUlT_SI_SJ_SK_E_clISD_PiSD_S10_EESH_SX_SI_SJ_SK_EUlSX_E1_NS1_11comp_targetILNS1_3genE10ELNS1_11target_archE1201ELNS1_3gpuE5ELNS1_3repE0EEENS1_36merge_oddeven_config_static_selectorELNS0_4arch9wavefront6targetE1EEEvSJ_,comdat
	.protected	_ZN7rocprim17ROCPRIM_400000_NS6detail17trampoline_kernelINS0_14default_configENS1_38merge_sort_block_merge_config_selectorIiiEEZZNS1_27merge_sort_block_merge_implIS3_N6thrust23THRUST_200600_302600_NS6detail15normal_iteratorINS8_10device_ptrIiEEEESD_jNS1_19radix_merge_compareILb1ELb0EiNS0_19identity_decomposerEEEEE10hipError_tT0_T1_T2_jT3_P12ihipStream_tbPNSt15iterator_traitsISI_E10value_typeEPNSO_ISJ_E10value_typeEPSK_NS1_7vsmem_tEENKUlT_SI_SJ_SK_E_clISD_PiSD_S10_EESH_SX_SI_SJ_SK_EUlSX_E1_NS1_11comp_targetILNS1_3genE10ELNS1_11target_archE1201ELNS1_3gpuE5ELNS1_3repE0EEENS1_36merge_oddeven_config_static_selectorELNS0_4arch9wavefront6targetE1EEEvSJ_ ; -- Begin function _ZN7rocprim17ROCPRIM_400000_NS6detail17trampoline_kernelINS0_14default_configENS1_38merge_sort_block_merge_config_selectorIiiEEZZNS1_27merge_sort_block_merge_implIS3_N6thrust23THRUST_200600_302600_NS6detail15normal_iteratorINS8_10device_ptrIiEEEESD_jNS1_19radix_merge_compareILb1ELb0EiNS0_19identity_decomposerEEEEE10hipError_tT0_T1_T2_jT3_P12ihipStream_tbPNSt15iterator_traitsISI_E10value_typeEPNSO_ISJ_E10value_typeEPSK_NS1_7vsmem_tEENKUlT_SI_SJ_SK_E_clISD_PiSD_S10_EESH_SX_SI_SJ_SK_EUlSX_E1_NS1_11comp_targetILNS1_3genE10ELNS1_11target_archE1201ELNS1_3gpuE5ELNS1_3repE0EEENS1_36merge_oddeven_config_static_selectorELNS0_4arch9wavefront6targetE1EEEvSJ_
	.globl	_ZN7rocprim17ROCPRIM_400000_NS6detail17trampoline_kernelINS0_14default_configENS1_38merge_sort_block_merge_config_selectorIiiEEZZNS1_27merge_sort_block_merge_implIS3_N6thrust23THRUST_200600_302600_NS6detail15normal_iteratorINS8_10device_ptrIiEEEESD_jNS1_19radix_merge_compareILb1ELb0EiNS0_19identity_decomposerEEEEE10hipError_tT0_T1_T2_jT3_P12ihipStream_tbPNSt15iterator_traitsISI_E10value_typeEPNSO_ISJ_E10value_typeEPSK_NS1_7vsmem_tEENKUlT_SI_SJ_SK_E_clISD_PiSD_S10_EESH_SX_SI_SJ_SK_EUlSX_E1_NS1_11comp_targetILNS1_3genE10ELNS1_11target_archE1201ELNS1_3gpuE5ELNS1_3repE0EEENS1_36merge_oddeven_config_static_selectorELNS0_4arch9wavefront6targetE1EEEvSJ_
	.p2align	8
	.type	_ZN7rocprim17ROCPRIM_400000_NS6detail17trampoline_kernelINS0_14default_configENS1_38merge_sort_block_merge_config_selectorIiiEEZZNS1_27merge_sort_block_merge_implIS3_N6thrust23THRUST_200600_302600_NS6detail15normal_iteratorINS8_10device_ptrIiEEEESD_jNS1_19radix_merge_compareILb1ELb0EiNS0_19identity_decomposerEEEEE10hipError_tT0_T1_T2_jT3_P12ihipStream_tbPNSt15iterator_traitsISI_E10value_typeEPNSO_ISJ_E10value_typeEPSK_NS1_7vsmem_tEENKUlT_SI_SJ_SK_E_clISD_PiSD_S10_EESH_SX_SI_SJ_SK_EUlSX_E1_NS1_11comp_targetILNS1_3genE10ELNS1_11target_archE1201ELNS1_3gpuE5ELNS1_3repE0EEENS1_36merge_oddeven_config_static_selectorELNS0_4arch9wavefront6targetE1EEEvSJ_,@function
_ZN7rocprim17ROCPRIM_400000_NS6detail17trampoline_kernelINS0_14default_configENS1_38merge_sort_block_merge_config_selectorIiiEEZZNS1_27merge_sort_block_merge_implIS3_N6thrust23THRUST_200600_302600_NS6detail15normal_iteratorINS8_10device_ptrIiEEEESD_jNS1_19radix_merge_compareILb1ELb0EiNS0_19identity_decomposerEEEEE10hipError_tT0_T1_T2_jT3_P12ihipStream_tbPNSt15iterator_traitsISI_E10value_typeEPNSO_ISJ_E10value_typeEPSK_NS1_7vsmem_tEENKUlT_SI_SJ_SK_E_clISD_PiSD_S10_EESH_SX_SI_SJ_SK_EUlSX_E1_NS1_11comp_targetILNS1_3genE10ELNS1_11target_archE1201ELNS1_3gpuE5ELNS1_3repE0EEENS1_36merge_oddeven_config_static_selectorELNS0_4arch9wavefront6targetE1EEEvSJ_: ; @_ZN7rocprim17ROCPRIM_400000_NS6detail17trampoline_kernelINS0_14default_configENS1_38merge_sort_block_merge_config_selectorIiiEEZZNS1_27merge_sort_block_merge_implIS3_N6thrust23THRUST_200600_302600_NS6detail15normal_iteratorINS8_10device_ptrIiEEEESD_jNS1_19radix_merge_compareILb1ELb0EiNS0_19identity_decomposerEEEEE10hipError_tT0_T1_T2_jT3_P12ihipStream_tbPNSt15iterator_traitsISI_E10value_typeEPNSO_ISJ_E10value_typeEPSK_NS1_7vsmem_tEENKUlT_SI_SJ_SK_E_clISD_PiSD_S10_EESH_SX_SI_SJ_SK_EUlSX_E1_NS1_11comp_targetILNS1_3genE10ELNS1_11target_archE1201ELNS1_3gpuE5ELNS1_3repE0EEENS1_36merge_oddeven_config_static_selectorELNS0_4arch9wavefront6targetE1EEEvSJ_
; %bb.0:
	.section	.rodata,"a",@progbits
	.p2align	6, 0x0
	.amdhsa_kernel _ZN7rocprim17ROCPRIM_400000_NS6detail17trampoline_kernelINS0_14default_configENS1_38merge_sort_block_merge_config_selectorIiiEEZZNS1_27merge_sort_block_merge_implIS3_N6thrust23THRUST_200600_302600_NS6detail15normal_iteratorINS8_10device_ptrIiEEEESD_jNS1_19radix_merge_compareILb1ELb0EiNS0_19identity_decomposerEEEEE10hipError_tT0_T1_T2_jT3_P12ihipStream_tbPNSt15iterator_traitsISI_E10value_typeEPNSO_ISJ_E10value_typeEPSK_NS1_7vsmem_tEENKUlT_SI_SJ_SK_E_clISD_PiSD_S10_EESH_SX_SI_SJ_SK_EUlSX_E1_NS1_11comp_targetILNS1_3genE10ELNS1_11target_archE1201ELNS1_3gpuE5ELNS1_3repE0EEENS1_36merge_oddeven_config_static_selectorELNS0_4arch9wavefront6targetE1EEEvSJ_
		.amdhsa_group_segment_fixed_size 0
		.amdhsa_private_segment_fixed_size 0
		.amdhsa_kernarg_size 48
		.amdhsa_user_sgpr_count 2
		.amdhsa_user_sgpr_dispatch_ptr 0
		.amdhsa_user_sgpr_queue_ptr 0
		.amdhsa_user_sgpr_kernarg_segment_ptr 1
		.amdhsa_user_sgpr_dispatch_id 0
		.amdhsa_user_sgpr_kernarg_preload_length 0
		.amdhsa_user_sgpr_kernarg_preload_offset 0
		.amdhsa_user_sgpr_private_segment_size 0
		.amdhsa_uses_dynamic_stack 0
		.amdhsa_enable_private_segment 0
		.amdhsa_system_sgpr_workgroup_id_x 1
		.amdhsa_system_sgpr_workgroup_id_y 0
		.amdhsa_system_sgpr_workgroup_id_z 0
		.amdhsa_system_sgpr_workgroup_info 0
		.amdhsa_system_vgpr_workitem_id 0
		.amdhsa_next_free_vgpr 1
		.amdhsa_next_free_sgpr 0
		.amdhsa_accum_offset 4
		.amdhsa_reserve_vcc 0
		.amdhsa_float_round_mode_32 0
		.amdhsa_float_round_mode_16_64 0
		.amdhsa_float_denorm_mode_32 3
		.amdhsa_float_denorm_mode_16_64 3
		.amdhsa_dx10_clamp 1
		.amdhsa_ieee_mode 1
		.amdhsa_fp16_overflow 0
		.amdhsa_tg_split 0
		.amdhsa_exception_fp_ieee_invalid_op 0
		.amdhsa_exception_fp_denorm_src 0
		.amdhsa_exception_fp_ieee_div_zero 0
		.amdhsa_exception_fp_ieee_overflow 0
		.amdhsa_exception_fp_ieee_underflow 0
		.amdhsa_exception_fp_ieee_inexact 0
		.amdhsa_exception_int_div_zero 0
	.end_amdhsa_kernel
	.section	.text._ZN7rocprim17ROCPRIM_400000_NS6detail17trampoline_kernelINS0_14default_configENS1_38merge_sort_block_merge_config_selectorIiiEEZZNS1_27merge_sort_block_merge_implIS3_N6thrust23THRUST_200600_302600_NS6detail15normal_iteratorINS8_10device_ptrIiEEEESD_jNS1_19radix_merge_compareILb1ELb0EiNS0_19identity_decomposerEEEEE10hipError_tT0_T1_T2_jT3_P12ihipStream_tbPNSt15iterator_traitsISI_E10value_typeEPNSO_ISJ_E10value_typeEPSK_NS1_7vsmem_tEENKUlT_SI_SJ_SK_E_clISD_PiSD_S10_EESH_SX_SI_SJ_SK_EUlSX_E1_NS1_11comp_targetILNS1_3genE10ELNS1_11target_archE1201ELNS1_3gpuE5ELNS1_3repE0EEENS1_36merge_oddeven_config_static_selectorELNS0_4arch9wavefront6targetE1EEEvSJ_,"axG",@progbits,_ZN7rocprim17ROCPRIM_400000_NS6detail17trampoline_kernelINS0_14default_configENS1_38merge_sort_block_merge_config_selectorIiiEEZZNS1_27merge_sort_block_merge_implIS3_N6thrust23THRUST_200600_302600_NS6detail15normal_iteratorINS8_10device_ptrIiEEEESD_jNS1_19radix_merge_compareILb1ELb0EiNS0_19identity_decomposerEEEEE10hipError_tT0_T1_T2_jT3_P12ihipStream_tbPNSt15iterator_traitsISI_E10value_typeEPNSO_ISJ_E10value_typeEPSK_NS1_7vsmem_tEENKUlT_SI_SJ_SK_E_clISD_PiSD_S10_EESH_SX_SI_SJ_SK_EUlSX_E1_NS1_11comp_targetILNS1_3genE10ELNS1_11target_archE1201ELNS1_3gpuE5ELNS1_3repE0EEENS1_36merge_oddeven_config_static_selectorELNS0_4arch9wavefront6targetE1EEEvSJ_,comdat
.Lfunc_end1764:
	.size	_ZN7rocprim17ROCPRIM_400000_NS6detail17trampoline_kernelINS0_14default_configENS1_38merge_sort_block_merge_config_selectorIiiEEZZNS1_27merge_sort_block_merge_implIS3_N6thrust23THRUST_200600_302600_NS6detail15normal_iteratorINS8_10device_ptrIiEEEESD_jNS1_19radix_merge_compareILb1ELb0EiNS0_19identity_decomposerEEEEE10hipError_tT0_T1_T2_jT3_P12ihipStream_tbPNSt15iterator_traitsISI_E10value_typeEPNSO_ISJ_E10value_typeEPSK_NS1_7vsmem_tEENKUlT_SI_SJ_SK_E_clISD_PiSD_S10_EESH_SX_SI_SJ_SK_EUlSX_E1_NS1_11comp_targetILNS1_3genE10ELNS1_11target_archE1201ELNS1_3gpuE5ELNS1_3repE0EEENS1_36merge_oddeven_config_static_selectorELNS0_4arch9wavefront6targetE1EEEvSJ_, .Lfunc_end1764-_ZN7rocprim17ROCPRIM_400000_NS6detail17trampoline_kernelINS0_14default_configENS1_38merge_sort_block_merge_config_selectorIiiEEZZNS1_27merge_sort_block_merge_implIS3_N6thrust23THRUST_200600_302600_NS6detail15normal_iteratorINS8_10device_ptrIiEEEESD_jNS1_19radix_merge_compareILb1ELb0EiNS0_19identity_decomposerEEEEE10hipError_tT0_T1_T2_jT3_P12ihipStream_tbPNSt15iterator_traitsISI_E10value_typeEPNSO_ISJ_E10value_typeEPSK_NS1_7vsmem_tEENKUlT_SI_SJ_SK_E_clISD_PiSD_S10_EESH_SX_SI_SJ_SK_EUlSX_E1_NS1_11comp_targetILNS1_3genE10ELNS1_11target_archE1201ELNS1_3gpuE5ELNS1_3repE0EEENS1_36merge_oddeven_config_static_selectorELNS0_4arch9wavefront6targetE1EEEvSJ_
                                        ; -- End function
	.set _ZN7rocprim17ROCPRIM_400000_NS6detail17trampoline_kernelINS0_14default_configENS1_38merge_sort_block_merge_config_selectorIiiEEZZNS1_27merge_sort_block_merge_implIS3_N6thrust23THRUST_200600_302600_NS6detail15normal_iteratorINS8_10device_ptrIiEEEESD_jNS1_19radix_merge_compareILb1ELb0EiNS0_19identity_decomposerEEEEE10hipError_tT0_T1_T2_jT3_P12ihipStream_tbPNSt15iterator_traitsISI_E10value_typeEPNSO_ISJ_E10value_typeEPSK_NS1_7vsmem_tEENKUlT_SI_SJ_SK_E_clISD_PiSD_S10_EESH_SX_SI_SJ_SK_EUlSX_E1_NS1_11comp_targetILNS1_3genE10ELNS1_11target_archE1201ELNS1_3gpuE5ELNS1_3repE0EEENS1_36merge_oddeven_config_static_selectorELNS0_4arch9wavefront6targetE1EEEvSJ_.num_vgpr, 0
	.set _ZN7rocprim17ROCPRIM_400000_NS6detail17trampoline_kernelINS0_14default_configENS1_38merge_sort_block_merge_config_selectorIiiEEZZNS1_27merge_sort_block_merge_implIS3_N6thrust23THRUST_200600_302600_NS6detail15normal_iteratorINS8_10device_ptrIiEEEESD_jNS1_19radix_merge_compareILb1ELb0EiNS0_19identity_decomposerEEEEE10hipError_tT0_T1_T2_jT3_P12ihipStream_tbPNSt15iterator_traitsISI_E10value_typeEPNSO_ISJ_E10value_typeEPSK_NS1_7vsmem_tEENKUlT_SI_SJ_SK_E_clISD_PiSD_S10_EESH_SX_SI_SJ_SK_EUlSX_E1_NS1_11comp_targetILNS1_3genE10ELNS1_11target_archE1201ELNS1_3gpuE5ELNS1_3repE0EEENS1_36merge_oddeven_config_static_selectorELNS0_4arch9wavefront6targetE1EEEvSJ_.num_agpr, 0
	.set _ZN7rocprim17ROCPRIM_400000_NS6detail17trampoline_kernelINS0_14default_configENS1_38merge_sort_block_merge_config_selectorIiiEEZZNS1_27merge_sort_block_merge_implIS3_N6thrust23THRUST_200600_302600_NS6detail15normal_iteratorINS8_10device_ptrIiEEEESD_jNS1_19radix_merge_compareILb1ELb0EiNS0_19identity_decomposerEEEEE10hipError_tT0_T1_T2_jT3_P12ihipStream_tbPNSt15iterator_traitsISI_E10value_typeEPNSO_ISJ_E10value_typeEPSK_NS1_7vsmem_tEENKUlT_SI_SJ_SK_E_clISD_PiSD_S10_EESH_SX_SI_SJ_SK_EUlSX_E1_NS1_11comp_targetILNS1_3genE10ELNS1_11target_archE1201ELNS1_3gpuE5ELNS1_3repE0EEENS1_36merge_oddeven_config_static_selectorELNS0_4arch9wavefront6targetE1EEEvSJ_.numbered_sgpr, 0
	.set _ZN7rocprim17ROCPRIM_400000_NS6detail17trampoline_kernelINS0_14default_configENS1_38merge_sort_block_merge_config_selectorIiiEEZZNS1_27merge_sort_block_merge_implIS3_N6thrust23THRUST_200600_302600_NS6detail15normal_iteratorINS8_10device_ptrIiEEEESD_jNS1_19radix_merge_compareILb1ELb0EiNS0_19identity_decomposerEEEEE10hipError_tT0_T1_T2_jT3_P12ihipStream_tbPNSt15iterator_traitsISI_E10value_typeEPNSO_ISJ_E10value_typeEPSK_NS1_7vsmem_tEENKUlT_SI_SJ_SK_E_clISD_PiSD_S10_EESH_SX_SI_SJ_SK_EUlSX_E1_NS1_11comp_targetILNS1_3genE10ELNS1_11target_archE1201ELNS1_3gpuE5ELNS1_3repE0EEENS1_36merge_oddeven_config_static_selectorELNS0_4arch9wavefront6targetE1EEEvSJ_.num_named_barrier, 0
	.set _ZN7rocprim17ROCPRIM_400000_NS6detail17trampoline_kernelINS0_14default_configENS1_38merge_sort_block_merge_config_selectorIiiEEZZNS1_27merge_sort_block_merge_implIS3_N6thrust23THRUST_200600_302600_NS6detail15normal_iteratorINS8_10device_ptrIiEEEESD_jNS1_19radix_merge_compareILb1ELb0EiNS0_19identity_decomposerEEEEE10hipError_tT0_T1_T2_jT3_P12ihipStream_tbPNSt15iterator_traitsISI_E10value_typeEPNSO_ISJ_E10value_typeEPSK_NS1_7vsmem_tEENKUlT_SI_SJ_SK_E_clISD_PiSD_S10_EESH_SX_SI_SJ_SK_EUlSX_E1_NS1_11comp_targetILNS1_3genE10ELNS1_11target_archE1201ELNS1_3gpuE5ELNS1_3repE0EEENS1_36merge_oddeven_config_static_selectorELNS0_4arch9wavefront6targetE1EEEvSJ_.private_seg_size, 0
	.set _ZN7rocprim17ROCPRIM_400000_NS6detail17trampoline_kernelINS0_14default_configENS1_38merge_sort_block_merge_config_selectorIiiEEZZNS1_27merge_sort_block_merge_implIS3_N6thrust23THRUST_200600_302600_NS6detail15normal_iteratorINS8_10device_ptrIiEEEESD_jNS1_19radix_merge_compareILb1ELb0EiNS0_19identity_decomposerEEEEE10hipError_tT0_T1_T2_jT3_P12ihipStream_tbPNSt15iterator_traitsISI_E10value_typeEPNSO_ISJ_E10value_typeEPSK_NS1_7vsmem_tEENKUlT_SI_SJ_SK_E_clISD_PiSD_S10_EESH_SX_SI_SJ_SK_EUlSX_E1_NS1_11comp_targetILNS1_3genE10ELNS1_11target_archE1201ELNS1_3gpuE5ELNS1_3repE0EEENS1_36merge_oddeven_config_static_selectorELNS0_4arch9wavefront6targetE1EEEvSJ_.uses_vcc, 0
	.set _ZN7rocprim17ROCPRIM_400000_NS6detail17trampoline_kernelINS0_14default_configENS1_38merge_sort_block_merge_config_selectorIiiEEZZNS1_27merge_sort_block_merge_implIS3_N6thrust23THRUST_200600_302600_NS6detail15normal_iteratorINS8_10device_ptrIiEEEESD_jNS1_19radix_merge_compareILb1ELb0EiNS0_19identity_decomposerEEEEE10hipError_tT0_T1_T2_jT3_P12ihipStream_tbPNSt15iterator_traitsISI_E10value_typeEPNSO_ISJ_E10value_typeEPSK_NS1_7vsmem_tEENKUlT_SI_SJ_SK_E_clISD_PiSD_S10_EESH_SX_SI_SJ_SK_EUlSX_E1_NS1_11comp_targetILNS1_3genE10ELNS1_11target_archE1201ELNS1_3gpuE5ELNS1_3repE0EEENS1_36merge_oddeven_config_static_selectorELNS0_4arch9wavefront6targetE1EEEvSJ_.uses_flat_scratch, 0
	.set _ZN7rocprim17ROCPRIM_400000_NS6detail17trampoline_kernelINS0_14default_configENS1_38merge_sort_block_merge_config_selectorIiiEEZZNS1_27merge_sort_block_merge_implIS3_N6thrust23THRUST_200600_302600_NS6detail15normal_iteratorINS8_10device_ptrIiEEEESD_jNS1_19radix_merge_compareILb1ELb0EiNS0_19identity_decomposerEEEEE10hipError_tT0_T1_T2_jT3_P12ihipStream_tbPNSt15iterator_traitsISI_E10value_typeEPNSO_ISJ_E10value_typeEPSK_NS1_7vsmem_tEENKUlT_SI_SJ_SK_E_clISD_PiSD_S10_EESH_SX_SI_SJ_SK_EUlSX_E1_NS1_11comp_targetILNS1_3genE10ELNS1_11target_archE1201ELNS1_3gpuE5ELNS1_3repE0EEENS1_36merge_oddeven_config_static_selectorELNS0_4arch9wavefront6targetE1EEEvSJ_.has_dyn_sized_stack, 0
	.set _ZN7rocprim17ROCPRIM_400000_NS6detail17trampoline_kernelINS0_14default_configENS1_38merge_sort_block_merge_config_selectorIiiEEZZNS1_27merge_sort_block_merge_implIS3_N6thrust23THRUST_200600_302600_NS6detail15normal_iteratorINS8_10device_ptrIiEEEESD_jNS1_19radix_merge_compareILb1ELb0EiNS0_19identity_decomposerEEEEE10hipError_tT0_T1_T2_jT3_P12ihipStream_tbPNSt15iterator_traitsISI_E10value_typeEPNSO_ISJ_E10value_typeEPSK_NS1_7vsmem_tEENKUlT_SI_SJ_SK_E_clISD_PiSD_S10_EESH_SX_SI_SJ_SK_EUlSX_E1_NS1_11comp_targetILNS1_3genE10ELNS1_11target_archE1201ELNS1_3gpuE5ELNS1_3repE0EEENS1_36merge_oddeven_config_static_selectorELNS0_4arch9wavefront6targetE1EEEvSJ_.has_recursion, 0
	.set _ZN7rocprim17ROCPRIM_400000_NS6detail17trampoline_kernelINS0_14default_configENS1_38merge_sort_block_merge_config_selectorIiiEEZZNS1_27merge_sort_block_merge_implIS3_N6thrust23THRUST_200600_302600_NS6detail15normal_iteratorINS8_10device_ptrIiEEEESD_jNS1_19radix_merge_compareILb1ELb0EiNS0_19identity_decomposerEEEEE10hipError_tT0_T1_T2_jT3_P12ihipStream_tbPNSt15iterator_traitsISI_E10value_typeEPNSO_ISJ_E10value_typeEPSK_NS1_7vsmem_tEENKUlT_SI_SJ_SK_E_clISD_PiSD_S10_EESH_SX_SI_SJ_SK_EUlSX_E1_NS1_11comp_targetILNS1_3genE10ELNS1_11target_archE1201ELNS1_3gpuE5ELNS1_3repE0EEENS1_36merge_oddeven_config_static_selectorELNS0_4arch9wavefront6targetE1EEEvSJ_.has_indirect_call, 0
	.section	.AMDGPU.csdata,"",@progbits
; Kernel info:
; codeLenInByte = 0
; TotalNumSgprs: 6
; NumVgprs: 0
; NumAgprs: 0
; TotalNumVgprs: 0
; ScratchSize: 0
; MemoryBound: 0
; FloatMode: 240
; IeeeMode: 1
; LDSByteSize: 0 bytes/workgroup (compile time only)
; SGPRBlocks: 0
; VGPRBlocks: 0
; NumSGPRsForWavesPerEU: 6
; NumVGPRsForWavesPerEU: 1
; AccumOffset: 4
; Occupancy: 8
; WaveLimiterHint : 0
; COMPUTE_PGM_RSRC2:SCRATCH_EN: 0
; COMPUTE_PGM_RSRC2:USER_SGPR: 2
; COMPUTE_PGM_RSRC2:TRAP_HANDLER: 0
; COMPUTE_PGM_RSRC2:TGID_X_EN: 1
; COMPUTE_PGM_RSRC2:TGID_Y_EN: 0
; COMPUTE_PGM_RSRC2:TGID_Z_EN: 0
; COMPUTE_PGM_RSRC2:TIDIG_COMP_CNT: 0
; COMPUTE_PGM_RSRC3_GFX90A:ACCUM_OFFSET: 0
; COMPUTE_PGM_RSRC3_GFX90A:TG_SPLIT: 0
	.section	.text._ZN7rocprim17ROCPRIM_400000_NS6detail17trampoline_kernelINS0_14default_configENS1_38merge_sort_block_merge_config_selectorIiiEEZZNS1_27merge_sort_block_merge_implIS3_N6thrust23THRUST_200600_302600_NS6detail15normal_iteratorINS8_10device_ptrIiEEEESD_jNS1_19radix_merge_compareILb1ELb0EiNS0_19identity_decomposerEEEEE10hipError_tT0_T1_T2_jT3_P12ihipStream_tbPNSt15iterator_traitsISI_E10value_typeEPNSO_ISJ_E10value_typeEPSK_NS1_7vsmem_tEENKUlT_SI_SJ_SK_E_clISD_PiSD_S10_EESH_SX_SI_SJ_SK_EUlSX_E1_NS1_11comp_targetILNS1_3genE5ELNS1_11target_archE942ELNS1_3gpuE9ELNS1_3repE0EEENS1_36merge_oddeven_config_static_selectorELNS0_4arch9wavefront6targetE1EEEvSJ_,"axG",@progbits,_ZN7rocprim17ROCPRIM_400000_NS6detail17trampoline_kernelINS0_14default_configENS1_38merge_sort_block_merge_config_selectorIiiEEZZNS1_27merge_sort_block_merge_implIS3_N6thrust23THRUST_200600_302600_NS6detail15normal_iteratorINS8_10device_ptrIiEEEESD_jNS1_19radix_merge_compareILb1ELb0EiNS0_19identity_decomposerEEEEE10hipError_tT0_T1_T2_jT3_P12ihipStream_tbPNSt15iterator_traitsISI_E10value_typeEPNSO_ISJ_E10value_typeEPSK_NS1_7vsmem_tEENKUlT_SI_SJ_SK_E_clISD_PiSD_S10_EESH_SX_SI_SJ_SK_EUlSX_E1_NS1_11comp_targetILNS1_3genE5ELNS1_11target_archE942ELNS1_3gpuE9ELNS1_3repE0EEENS1_36merge_oddeven_config_static_selectorELNS0_4arch9wavefront6targetE1EEEvSJ_,comdat
	.protected	_ZN7rocprim17ROCPRIM_400000_NS6detail17trampoline_kernelINS0_14default_configENS1_38merge_sort_block_merge_config_selectorIiiEEZZNS1_27merge_sort_block_merge_implIS3_N6thrust23THRUST_200600_302600_NS6detail15normal_iteratorINS8_10device_ptrIiEEEESD_jNS1_19radix_merge_compareILb1ELb0EiNS0_19identity_decomposerEEEEE10hipError_tT0_T1_T2_jT3_P12ihipStream_tbPNSt15iterator_traitsISI_E10value_typeEPNSO_ISJ_E10value_typeEPSK_NS1_7vsmem_tEENKUlT_SI_SJ_SK_E_clISD_PiSD_S10_EESH_SX_SI_SJ_SK_EUlSX_E1_NS1_11comp_targetILNS1_3genE5ELNS1_11target_archE942ELNS1_3gpuE9ELNS1_3repE0EEENS1_36merge_oddeven_config_static_selectorELNS0_4arch9wavefront6targetE1EEEvSJ_ ; -- Begin function _ZN7rocprim17ROCPRIM_400000_NS6detail17trampoline_kernelINS0_14default_configENS1_38merge_sort_block_merge_config_selectorIiiEEZZNS1_27merge_sort_block_merge_implIS3_N6thrust23THRUST_200600_302600_NS6detail15normal_iteratorINS8_10device_ptrIiEEEESD_jNS1_19radix_merge_compareILb1ELb0EiNS0_19identity_decomposerEEEEE10hipError_tT0_T1_T2_jT3_P12ihipStream_tbPNSt15iterator_traitsISI_E10value_typeEPNSO_ISJ_E10value_typeEPSK_NS1_7vsmem_tEENKUlT_SI_SJ_SK_E_clISD_PiSD_S10_EESH_SX_SI_SJ_SK_EUlSX_E1_NS1_11comp_targetILNS1_3genE5ELNS1_11target_archE942ELNS1_3gpuE9ELNS1_3repE0EEENS1_36merge_oddeven_config_static_selectorELNS0_4arch9wavefront6targetE1EEEvSJ_
	.globl	_ZN7rocprim17ROCPRIM_400000_NS6detail17trampoline_kernelINS0_14default_configENS1_38merge_sort_block_merge_config_selectorIiiEEZZNS1_27merge_sort_block_merge_implIS3_N6thrust23THRUST_200600_302600_NS6detail15normal_iteratorINS8_10device_ptrIiEEEESD_jNS1_19radix_merge_compareILb1ELb0EiNS0_19identity_decomposerEEEEE10hipError_tT0_T1_T2_jT3_P12ihipStream_tbPNSt15iterator_traitsISI_E10value_typeEPNSO_ISJ_E10value_typeEPSK_NS1_7vsmem_tEENKUlT_SI_SJ_SK_E_clISD_PiSD_S10_EESH_SX_SI_SJ_SK_EUlSX_E1_NS1_11comp_targetILNS1_3genE5ELNS1_11target_archE942ELNS1_3gpuE9ELNS1_3repE0EEENS1_36merge_oddeven_config_static_selectorELNS0_4arch9wavefront6targetE1EEEvSJ_
	.p2align	8
	.type	_ZN7rocprim17ROCPRIM_400000_NS6detail17trampoline_kernelINS0_14default_configENS1_38merge_sort_block_merge_config_selectorIiiEEZZNS1_27merge_sort_block_merge_implIS3_N6thrust23THRUST_200600_302600_NS6detail15normal_iteratorINS8_10device_ptrIiEEEESD_jNS1_19radix_merge_compareILb1ELb0EiNS0_19identity_decomposerEEEEE10hipError_tT0_T1_T2_jT3_P12ihipStream_tbPNSt15iterator_traitsISI_E10value_typeEPNSO_ISJ_E10value_typeEPSK_NS1_7vsmem_tEENKUlT_SI_SJ_SK_E_clISD_PiSD_S10_EESH_SX_SI_SJ_SK_EUlSX_E1_NS1_11comp_targetILNS1_3genE5ELNS1_11target_archE942ELNS1_3gpuE9ELNS1_3repE0EEENS1_36merge_oddeven_config_static_selectorELNS0_4arch9wavefront6targetE1EEEvSJ_,@function
_ZN7rocprim17ROCPRIM_400000_NS6detail17trampoline_kernelINS0_14default_configENS1_38merge_sort_block_merge_config_selectorIiiEEZZNS1_27merge_sort_block_merge_implIS3_N6thrust23THRUST_200600_302600_NS6detail15normal_iteratorINS8_10device_ptrIiEEEESD_jNS1_19radix_merge_compareILb1ELb0EiNS0_19identity_decomposerEEEEE10hipError_tT0_T1_T2_jT3_P12ihipStream_tbPNSt15iterator_traitsISI_E10value_typeEPNSO_ISJ_E10value_typeEPSK_NS1_7vsmem_tEENKUlT_SI_SJ_SK_E_clISD_PiSD_S10_EESH_SX_SI_SJ_SK_EUlSX_E1_NS1_11comp_targetILNS1_3genE5ELNS1_11target_archE942ELNS1_3gpuE9ELNS1_3repE0EEENS1_36merge_oddeven_config_static_selectorELNS0_4arch9wavefront6targetE1EEEvSJ_: ; @_ZN7rocprim17ROCPRIM_400000_NS6detail17trampoline_kernelINS0_14default_configENS1_38merge_sort_block_merge_config_selectorIiiEEZZNS1_27merge_sort_block_merge_implIS3_N6thrust23THRUST_200600_302600_NS6detail15normal_iteratorINS8_10device_ptrIiEEEESD_jNS1_19radix_merge_compareILb1ELb0EiNS0_19identity_decomposerEEEEE10hipError_tT0_T1_T2_jT3_P12ihipStream_tbPNSt15iterator_traitsISI_E10value_typeEPNSO_ISJ_E10value_typeEPSK_NS1_7vsmem_tEENKUlT_SI_SJ_SK_E_clISD_PiSD_S10_EESH_SX_SI_SJ_SK_EUlSX_E1_NS1_11comp_targetILNS1_3genE5ELNS1_11target_archE942ELNS1_3gpuE9ELNS1_3repE0EEENS1_36merge_oddeven_config_static_selectorELNS0_4arch9wavefront6targetE1EEEvSJ_
; %bb.0:
	.section	.rodata,"a",@progbits
	.p2align	6, 0x0
	.amdhsa_kernel _ZN7rocprim17ROCPRIM_400000_NS6detail17trampoline_kernelINS0_14default_configENS1_38merge_sort_block_merge_config_selectorIiiEEZZNS1_27merge_sort_block_merge_implIS3_N6thrust23THRUST_200600_302600_NS6detail15normal_iteratorINS8_10device_ptrIiEEEESD_jNS1_19radix_merge_compareILb1ELb0EiNS0_19identity_decomposerEEEEE10hipError_tT0_T1_T2_jT3_P12ihipStream_tbPNSt15iterator_traitsISI_E10value_typeEPNSO_ISJ_E10value_typeEPSK_NS1_7vsmem_tEENKUlT_SI_SJ_SK_E_clISD_PiSD_S10_EESH_SX_SI_SJ_SK_EUlSX_E1_NS1_11comp_targetILNS1_3genE5ELNS1_11target_archE942ELNS1_3gpuE9ELNS1_3repE0EEENS1_36merge_oddeven_config_static_selectorELNS0_4arch9wavefront6targetE1EEEvSJ_
		.amdhsa_group_segment_fixed_size 0
		.amdhsa_private_segment_fixed_size 0
		.amdhsa_kernarg_size 48
		.amdhsa_user_sgpr_count 2
		.amdhsa_user_sgpr_dispatch_ptr 0
		.amdhsa_user_sgpr_queue_ptr 0
		.amdhsa_user_sgpr_kernarg_segment_ptr 1
		.amdhsa_user_sgpr_dispatch_id 0
		.amdhsa_user_sgpr_kernarg_preload_length 0
		.amdhsa_user_sgpr_kernarg_preload_offset 0
		.amdhsa_user_sgpr_private_segment_size 0
		.amdhsa_uses_dynamic_stack 0
		.amdhsa_enable_private_segment 0
		.amdhsa_system_sgpr_workgroup_id_x 1
		.amdhsa_system_sgpr_workgroup_id_y 0
		.amdhsa_system_sgpr_workgroup_id_z 0
		.amdhsa_system_sgpr_workgroup_info 0
		.amdhsa_system_vgpr_workitem_id 0
		.amdhsa_next_free_vgpr 1
		.amdhsa_next_free_sgpr 0
		.amdhsa_accum_offset 4
		.amdhsa_reserve_vcc 0
		.amdhsa_float_round_mode_32 0
		.amdhsa_float_round_mode_16_64 0
		.amdhsa_float_denorm_mode_32 3
		.amdhsa_float_denorm_mode_16_64 3
		.amdhsa_dx10_clamp 1
		.amdhsa_ieee_mode 1
		.amdhsa_fp16_overflow 0
		.amdhsa_tg_split 0
		.amdhsa_exception_fp_ieee_invalid_op 0
		.amdhsa_exception_fp_denorm_src 0
		.amdhsa_exception_fp_ieee_div_zero 0
		.amdhsa_exception_fp_ieee_overflow 0
		.amdhsa_exception_fp_ieee_underflow 0
		.amdhsa_exception_fp_ieee_inexact 0
		.amdhsa_exception_int_div_zero 0
	.end_amdhsa_kernel
	.section	.text._ZN7rocprim17ROCPRIM_400000_NS6detail17trampoline_kernelINS0_14default_configENS1_38merge_sort_block_merge_config_selectorIiiEEZZNS1_27merge_sort_block_merge_implIS3_N6thrust23THRUST_200600_302600_NS6detail15normal_iteratorINS8_10device_ptrIiEEEESD_jNS1_19radix_merge_compareILb1ELb0EiNS0_19identity_decomposerEEEEE10hipError_tT0_T1_T2_jT3_P12ihipStream_tbPNSt15iterator_traitsISI_E10value_typeEPNSO_ISJ_E10value_typeEPSK_NS1_7vsmem_tEENKUlT_SI_SJ_SK_E_clISD_PiSD_S10_EESH_SX_SI_SJ_SK_EUlSX_E1_NS1_11comp_targetILNS1_3genE5ELNS1_11target_archE942ELNS1_3gpuE9ELNS1_3repE0EEENS1_36merge_oddeven_config_static_selectorELNS0_4arch9wavefront6targetE1EEEvSJ_,"axG",@progbits,_ZN7rocprim17ROCPRIM_400000_NS6detail17trampoline_kernelINS0_14default_configENS1_38merge_sort_block_merge_config_selectorIiiEEZZNS1_27merge_sort_block_merge_implIS3_N6thrust23THRUST_200600_302600_NS6detail15normal_iteratorINS8_10device_ptrIiEEEESD_jNS1_19radix_merge_compareILb1ELb0EiNS0_19identity_decomposerEEEEE10hipError_tT0_T1_T2_jT3_P12ihipStream_tbPNSt15iterator_traitsISI_E10value_typeEPNSO_ISJ_E10value_typeEPSK_NS1_7vsmem_tEENKUlT_SI_SJ_SK_E_clISD_PiSD_S10_EESH_SX_SI_SJ_SK_EUlSX_E1_NS1_11comp_targetILNS1_3genE5ELNS1_11target_archE942ELNS1_3gpuE9ELNS1_3repE0EEENS1_36merge_oddeven_config_static_selectorELNS0_4arch9wavefront6targetE1EEEvSJ_,comdat
.Lfunc_end1765:
	.size	_ZN7rocprim17ROCPRIM_400000_NS6detail17trampoline_kernelINS0_14default_configENS1_38merge_sort_block_merge_config_selectorIiiEEZZNS1_27merge_sort_block_merge_implIS3_N6thrust23THRUST_200600_302600_NS6detail15normal_iteratorINS8_10device_ptrIiEEEESD_jNS1_19radix_merge_compareILb1ELb0EiNS0_19identity_decomposerEEEEE10hipError_tT0_T1_T2_jT3_P12ihipStream_tbPNSt15iterator_traitsISI_E10value_typeEPNSO_ISJ_E10value_typeEPSK_NS1_7vsmem_tEENKUlT_SI_SJ_SK_E_clISD_PiSD_S10_EESH_SX_SI_SJ_SK_EUlSX_E1_NS1_11comp_targetILNS1_3genE5ELNS1_11target_archE942ELNS1_3gpuE9ELNS1_3repE0EEENS1_36merge_oddeven_config_static_selectorELNS0_4arch9wavefront6targetE1EEEvSJ_, .Lfunc_end1765-_ZN7rocprim17ROCPRIM_400000_NS6detail17trampoline_kernelINS0_14default_configENS1_38merge_sort_block_merge_config_selectorIiiEEZZNS1_27merge_sort_block_merge_implIS3_N6thrust23THRUST_200600_302600_NS6detail15normal_iteratorINS8_10device_ptrIiEEEESD_jNS1_19radix_merge_compareILb1ELb0EiNS0_19identity_decomposerEEEEE10hipError_tT0_T1_T2_jT3_P12ihipStream_tbPNSt15iterator_traitsISI_E10value_typeEPNSO_ISJ_E10value_typeEPSK_NS1_7vsmem_tEENKUlT_SI_SJ_SK_E_clISD_PiSD_S10_EESH_SX_SI_SJ_SK_EUlSX_E1_NS1_11comp_targetILNS1_3genE5ELNS1_11target_archE942ELNS1_3gpuE9ELNS1_3repE0EEENS1_36merge_oddeven_config_static_selectorELNS0_4arch9wavefront6targetE1EEEvSJ_
                                        ; -- End function
	.set _ZN7rocprim17ROCPRIM_400000_NS6detail17trampoline_kernelINS0_14default_configENS1_38merge_sort_block_merge_config_selectorIiiEEZZNS1_27merge_sort_block_merge_implIS3_N6thrust23THRUST_200600_302600_NS6detail15normal_iteratorINS8_10device_ptrIiEEEESD_jNS1_19radix_merge_compareILb1ELb0EiNS0_19identity_decomposerEEEEE10hipError_tT0_T1_T2_jT3_P12ihipStream_tbPNSt15iterator_traitsISI_E10value_typeEPNSO_ISJ_E10value_typeEPSK_NS1_7vsmem_tEENKUlT_SI_SJ_SK_E_clISD_PiSD_S10_EESH_SX_SI_SJ_SK_EUlSX_E1_NS1_11comp_targetILNS1_3genE5ELNS1_11target_archE942ELNS1_3gpuE9ELNS1_3repE0EEENS1_36merge_oddeven_config_static_selectorELNS0_4arch9wavefront6targetE1EEEvSJ_.num_vgpr, 0
	.set _ZN7rocprim17ROCPRIM_400000_NS6detail17trampoline_kernelINS0_14default_configENS1_38merge_sort_block_merge_config_selectorIiiEEZZNS1_27merge_sort_block_merge_implIS3_N6thrust23THRUST_200600_302600_NS6detail15normal_iteratorINS8_10device_ptrIiEEEESD_jNS1_19radix_merge_compareILb1ELb0EiNS0_19identity_decomposerEEEEE10hipError_tT0_T1_T2_jT3_P12ihipStream_tbPNSt15iterator_traitsISI_E10value_typeEPNSO_ISJ_E10value_typeEPSK_NS1_7vsmem_tEENKUlT_SI_SJ_SK_E_clISD_PiSD_S10_EESH_SX_SI_SJ_SK_EUlSX_E1_NS1_11comp_targetILNS1_3genE5ELNS1_11target_archE942ELNS1_3gpuE9ELNS1_3repE0EEENS1_36merge_oddeven_config_static_selectorELNS0_4arch9wavefront6targetE1EEEvSJ_.num_agpr, 0
	.set _ZN7rocprim17ROCPRIM_400000_NS6detail17trampoline_kernelINS0_14default_configENS1_38merge_sort_block_merge_config_selectorIiiEEZZNS1_27merge_sort_block_merge_implIS3_N6thrust23THRUST_200600_302600_NS6detail15normal_iteratorINS8_10device_ptrIiEEEESD_jNS1_19radix_merge_compareILb1ELb0EiNS0_19identity_decomposerEEEEE10hipError_tT0_T1_T2_jT3_P12ihipStream_tbPNSt15iterator_traitsISI_E10value_typeEPNSO_ISJ_E10value_typeEPSK_NS1_7vsmem_tEENKUlT_SI_SJ_SK_E_clISD_PiSD_S10_EESH_SX_SI_SJ_SK_EUlSX_E1_NS1_11comp_targetILNS1_3genE5ELNS1_11target_archE942ELNS1_3gpuE9ELNS1_3repE0EEENS1_36merge_oddeven_config_static_selectorELNS0_4arch9wavefront6targetE1EEEvSJ_.numbered_sgpr, 0
	.set _ZN7rocprim17ROCPRIM_400000_NS6detail17trampoline_kernelINS0_14default_configENS1_38merge_sort_block_merge_config_selectorIiiEEZZNS1_27merge_sort_block_merge_implIS3_N6thrust23THRUST_200600_302600_NS6detail15normal_iteratorINS8_10device_ptrIiEEEESD_jNS1_19radix_merge_compareILb1ELb0EiNS0_19identity_decomposerEEEEE10hipError_tT0_T1_T2_jT3_P12ihipStream_tbPNSt15iterator_traitsISI_E10value_typeEPNSO_ISJ_E10value_typeEPSK_NS1_7vsmem_tEENKUlT_SI_SJ_SK_E_clISD_PiSD_S10_EESH_SX_SI_SJ_SK_EUlSX_E1_NS1_11comp_targetILNS1_3genE5ELNS1_11target_archE942ELNS1_3gpuE9ELNS1_3repE0EEENS1_36merge_oddeven_config_static_selectorELNS0_4arch9wavefront6targetE1EEEvSJ_.num_named_barrier, 0
	.set _ZN7rocprim17ROCPRIM_400000_NS6detail17trampoline_kernelINS0_14default_configENS1_38merge_sort_block_merge_config_selectorIiiEEZZNS1_27merge_sort_block_merge_implIS3_N6thrust23THRUST_200600_302600_NS6detail15normal_iteratorINS8_10device_ptrIiEEEESD_jNS1_19radix_merge_compareILb1ELb0EiNS0_19identity_decomposerEEEEE10hipError_tT0_T1_T2_jT3_P12ihipStream_tbPNSt15iterator_traitsISI_E10value_typeEPNSO_ISJ_E10value_typeEPSK_NS1_7vsmem_tEENKUlT_SI_SJ_SK_E_clISD_PiSD_S10_EESH_SX_SI_SJ_SK_EUlSX_E1_NS1_11comp_targetILNS1_3genE5ELNS1_11target_archE942ELNS1_3gpuE9ELNS1_3repE0EEENS1_36merge_oddeven_config_static_selectorELNS0_4arch9wavefront6targetE1EEEvSJ_.private_seg_size, 0
	.set _ZN7rocprim17ROCPRIM_400000_NS6detail17trampoline_kernelINS0_14default_configENS1_38merge_sort_block_merge_config_selectorIiiEEZZNS1_27merge_sort_block_merge_implIS3_N6thrust23THRUST_200600_302600_NS6detail15normal_iteratorINS8_10device_ptrIiEEEESD_jNS1_19radix_merge_compareILb1ELb0EiNS0_19identity_decomposerEEEEE10hipError_tT0_T1_T2_jT3_P12ihipStream_tbPNSt15iterator_traitsISI_E10value_typeEPNSO_ISJ_E10value_typeEPSK_NS1_7vsmem_tEENKUlT_SI_SJ_SK_E_clISD_PiSD_S10_EESH_SX_SI_SJ_SK_EUlSX_E1_NS1_11comp_targetILNS1_3genE5ELNS1_11target_archE942ELNS1_3gpuE9ELNS1_3repE0EEENS1_36merge_oddeven_config_static_selectorELNS0_4arch9wavefront6targetE1EEEvSJ_.uses_vcc, 0
	.set _ZN7rocprim17ROCPRIM_400000_NS6detail17trampoline_kernelINS0_14default_configENS1_38merge_sort_block_merge_config_selectorIiiEEZZNS1_27merge_sort_block_merge_implIS3_N6thrust23THRUST_200600_302600_NS6detail15normal_iteratorINS8_10device_ptrIiEEEESD_jNS1_19radix_merge_compareILb1ELb0EiNS0_19identity_decomposerEEEEE10hipError_tT0_T1_T2_jT3_P12ihipStream_tbPNSt15iterator_traitsISI_E10value_typeEPNSO_ISJ_E10value_typeEPSK_NS1_7vsmem_tEENKUlT_SI_SJ_SK_E_clISD_PiSD_S10_EESH_SX_SI_SJ_SK_EUlSX_E1_NS1_11comp_targetILNS1_3genE5ELNS1_11target_archE942ELNS1_3gpuE9ELNS1_3repE0EEENS1_36merge_oddeven_config_static_selectorELNS0_4arch9wavefront6targetE1EEEvSJ_.uses_flat_scratch, 0
	.set _ZN7rocprim17ROCPRIM_400000_NS6detail17trampoline_kernelINS0_14default_configENS1_38merge_sort_block_merge_config_selectorIiiEEZZNS1_27merge_sort_block_merge_implIS3_N6thrust23THRUST_200600_302600_NS6detail15normal_iteratorINS8_10device_ptrIiEEEESD_jNS1_19radix_merge_compareILb1ELb0EiNS0_19identity_decomposerEEEEE10hipError_tT0_T1_T2_jT3_P12ihipStream_tbPNSt15iterator_traitsISI_E10value_typeEPNSO_ISJ_E10value_typeEPSK_NS1_7vsmem_tEENKUlT_SI_SJ_SK_E_clISD_PiSD_S10_EESH_SX_SI_SJ_SK_EUlSX_E1_NS1_11comp_targetILNS1_3genE5ELNS1_11target_archE942ELNS1_3gpuE9ELNS1_3repE0EEENS1_36merge_oddeven_config_static_selectorELNS0_4arch9wavefront6targetE1EEEvSJ_.has_dyn_sized_stack, 0
	.set _ZN7rocprim17ROCPRIM_400000_NS6detail17trampoline_kernelINS0_14default_configENS1_38merge_sort_block_merge_config_selectorIiiEEZZNS1_27merge_sort_block_merge_implIS3_N6thrust23THRUST_200600_302600_NS6detail15normal_iteratorINS8_10device_ptrIiEEEESD_jNS1_19radix_merge_compareILb1ELb0EiNS0_19identity_decomposerEEEEE10hipError_tT0_T1_T2_jT3_P12ihipStream_tbPNSt15iterator_traitsISI_E10value_typeEPNSO_ISJ_E10value_typeEPSK_NS1_7vsmem_tEENKUlT_SI_SJ_SK_E_clISD_PiSD_S10_EESH_SX_SI_SJ_SK_EUlSX_E1_NS1_11comp_targetILNS1_3genE5ELNS1_11target_archE942ELNS1_3gpuE9ELNS1_3repE0EEENS1_36merge_oddeven_config_static_selectorELNS0_4arch9wavefront6targetE1EEEvSJ_.has_recursion, 0
	.set _ZN7rocprim17ROCPRIM_400000_NS6detail17trampoline_kernelINS0_14default_configENS1_38merge_sort_block_merge_config_selectorIiiEEZZNS1_27merge_sort_block_merge_implIS3_N6thrust23THRUST_200600_302600_NS6detail15normal_iteratorINS8_10device_ptrIiEEEESD_jNS1_19radix_merge_compareILb1ELb0EiNS0_19identity_decomposerEEEEE10hipError_tT0_T1_T2_jT3_P12ihipStream_tbPNSt15iterator_traitsISI_E10value_typeEPNSO_ISJ_E10value_typeEPSK_NS1_7vsmem_tEENKUlT_SI_SJ_SK_E_clISD_PiSD_S10_EESH_SX_SI_SJ_SK_EUlSX_E1_NS1_11comp_targetILNS1_3genE5ELNS1_11target_archE942ELNS1_3gpuE9ELNS1_3repE0EEENS1_36merge_oddeven_config_static_selectorELNS0_4arch9wavefront6targetE1EEEvSJ_.has_indirect_call, 0
	.section	.AMDGPU.csdata,"",@progbits
; Kernel info:
; codeLenInByte = 0
; TotalNumSgprs: 6
; NumVgprs: 0
; NumAgprs: 0
; TotalNumVgprs: 0
; ScratchSize: 0
; MemoryBound: 0
; FloatMode: 240
; IeeeMode: 1
; LDSByteSize: 0 bytes/workgroup (compile time only)
; SGPRBlocks: 0
; VGPRBlocks: 0
; NumSGPRsForWavesPerEU: 6
; NumVGPRsForWavesPerEU: 1
; AccumOffset: 4
; Occupancy: 8
; WaveLimiterHint : 0
; COMPUTE_PGM_RSRC2:SCRATCH_EN: 0
; COMPUTE_PGM_RSRC2:USER_SGPR: 2
; COMPUTE_PGM_RSRC2:TRAP_HANDLER: 0
; COMPUTE_PGM_RSRC2:TGID_X_EN: 1
; COMPUTE_PGM_RSRC2:TGID_Y_EN: 0
; COMPUTE_PGM_RSRC2:TGID_Z_EN: 0
; COMPUTE_PGM_RSRC2:TIDIG_COMP_CNT: 0
; COMPUTE_PGM_RSRC3_GFX90A:ACCUM_OFFSET: 0
; COMPUTE_PGM_RSRC3_GFX90A:TG_SPLIT: 0
	.section	.text._ZN7rocprim17ROCPRIM_400000_NS6detail17trampoline_kernelINS0_14default_configENS1_38merge_sort_block_merge_config_selectorIiiEEZZNS1_27merge_sort_block_merge_implIS3_N6thrust23THRUST_200600_302600_NS6detail15normal_iteratorINS8_10device_ptrIiEEEESD_jNS1_19radix_merge_compareILb1ELb0EiNS0_19identity_decomposerEEEEE10hipError_tT0_T1_T2_jT3_P12ihipStream_tbPNSt15iterator_traitsISI_E10value_typeEPNSO_ISJ_E10value_typeEPSK_NS1_7vsmem_tEENKUlT_SI_SJ_SK_E_clISD_PiSD_S10_EESH_SX_SI_SJ_SK_EUlSX_E1_NS1_11comp_targetILNS1_3genE4ELNS1_11target_archE910ELNS1_3gpuE8ELNS1_3repE0EEENS1_36merge_oddeven_config_static_selectorELNS0_4arch9wavefront6targetE1EEEvSJ_,"axG",@progbits,_ZN7rocprim17ROCPRIM_400000_NS6detail17trampoline_kernelINS0_14default_configENS1_38merge_sort_block_merge_config_selectorIiiEEZZNS1_27merge_sort_block_merge_implIS3_N6thrust23THRUST_200600_302600_NS6detail15normal_iteratorINS8_10device_ptrIiEEEESD_jNS1_19radix_merge_compareILb1ELb0EiNS0_19identity_decomposerEEEEE10hipError_tT0_T1_T2_jT3_P12ihipStream_tbPNSt15iterator_traitsISI_E10value_typeEPNSO_ISJ_E10value_typeEPSK_NS1_7vsmem_tEENKUlT_SI_SJ_SK_E_clISD_PiSD_S10_EESH_SX_SI_SJ_SK_EUlSX_E1_NS1_11comp_targetILNS1_3genE4ELNS1_11target_archE910ELNS1_3gpuE8ELNS1_3repE0EEENS1_36merge_oddeven_config_static_selectorELNS0_4arch9wavefront6targetE1EEEvSJ_,comdat
	.protected	_ZN7rocprim17ROCPRIM_400000_NS6detail17trampoline_kernelINS0_14default_configENS1_38merge_sort_block_merge_config_selectorIiiEEZZNS1_27merge_sort_block_merge_implIS3_N6thrust23THRUST_200600_302600_NS6detail15normal_iteratorINS8_10device_ptrIiEEEESD_jNS1_19radix_merge_compareILb1ELb0EiNS0_19identity_decomposerEEEEE10hipError_tT0_T1_T2_jT3_P12ihipStream_tbPNSt15iterator_traitsISI_E10value_typeEPNSO_ISJ_E10value_typeEPSK_NS1_7vsmem_tEENKUlT_SI_SJ_SK_E_clISD_PiSD_S10_EESH_SX_SI_SJ_SK_EUlSX_E1_NS1_11comp_targetILNS1_3genE4ELNS1_11target_archE910ELNS1_3gpuE8ELNS1_3repE0EEENS1_36merge_oddeven_config_static_selectorELNS0_4arch9wavefront6targetE1EEEvSJ_ ; -- Begin function _ZN7rocprim17ROCPRIM_400000_NS6detail17trampoline_kernelINS0_14default_configENS1_38merge_sort_block_merge_config_selectorIiiEEZZNS1_27merge_sort_block_merge_implIS3_N6thrust23THRUST_200600_302600_NS6detail15normal_iteratorINS8_10device_ptrIiEEEESD_jNS1_19radix_merge_compareILb1ELb0EiNS0_19identity_decomposerEEEEE10hipError_tT0_T1_T2_jT3_P12ihipStream_tbPNSt15iterator_traitsISI_E10value_typeEPNSO_ISJ_E10value_typeEPSK_NS1_7vsmem_tEENKUlT_SI_SJ_SK_E_clISD_PiSD_S10_EESH_SX_SI_SJ_SK_EUlSX_E1_NS1_11comp_targetILNS1_3genE4ELNS1_11target_archE910ELNS1_3gpuE8ELNS1_3repE0EEENS1_36merge_oddeven_config_static_selectorELNS0_4arch9wavefront6targetE1EEEvSJ_
	.globl	_ZN7rocprim17ROCPRIM_400000_NS6detail17trampoline_kernelINS0_14default_configENS1_38merge_sort_block_merge_config_selectorIiiEEZZNS1_27merge_sort_block_merge_implIS3_N6thrust23THRUST_200600_302600_NS6detail15normal_iteratorINS8_10device_ptrIiEEEESD_jNS1_19radix_merge_compareILb1ELb0EiNS0_19identity_decomposerEEEEE10hipError_tT0_T1_T2_jT3_P12ihipStream_tbPNSt15iterator_traitsISI_E10value_typeEPNSO_ISJ_E10value_typeEPSK_NS1_7vsmem_tEENKUlT_SI_SJ_SK_E_clISD_PiSD_S10_EESH_SX_SI_SJ_SK_EUlSX_E1_NS1_11comp_targetILNS1_3genE4ELNS1_11target_archE910ELNS1_3gpuE8ELNS1_3repE0EEENS1_36merge_oddeven_config_static_selectorELNS0_4arch9wavefront6targetE1EEEvSJ_
	.p2align	8
	.type	_ZN7rocprim17ROCPRIM_400000_NS6detail17trampoline_kernelINS0_14default_configENS1_38merge_sort_block_merge_config_selectorIiiEEZZNS1_27merge_sort_block_merge_implIS3_N6thrust23THRUST_200600_302600_NS6detail15normal_iteratorINS8_10device_ptrIiEEEESD_jNS1_19radix_merge_compareILb1ELb0EiNS0_19identity_decomposerEEEEE10hipError_tT0_T1_T2_jT3_P12ihipStream_tbPNSt15iterator_traitsISI_E10value_typeEPNSO_ISJ_E10value_typeEPSK_NS1_7vsmem_tEENKUlT_SI_SJ_SK_E_clISD_PiSD_S10_EESH_SX_SI_SJ_SK_EUlSX_E1_NS1_11comp_targetILNS1_3genE4ELNS1_11target_archE910ELNS1_3gpuE8ELNS1_3repE0EEENS1_36merge_oddeven_config_static_selectorELNS0_4arch9wavefront6targetE1EEEvSJ_,@function
_ZN7rocprim17ROCPRIM_400000_NS6detail17trampoline_kernelINS0_14default_configENS1_38merge_sort_block_merge_config_selectorIiiEEZZNS1_27merge_sort_block_merge_implIS3_N6thrust23THRUST_200600_302600_NS6detail15normal_iteratorINS8_10device_ptrIiEEEESD_jNS1_19radix_merge_compareILb1ELb0EiNS0_19identity_decomposerEEEEE10hipError_tT0_T1_T2_jT3_P12ihipStream_tbPNSt15iterator_traitsISI_E10value_typeEPNSO_ISJ_E10value_typeEPSK_NS1_7vsmem_tEENKUlT_SI_SJ_SK_E_clISD_PiSD_S10_EESH_SX_SI_SJ_SK_EUlSX_E1_NS1_11comp_targetILNS1_3genE4ELNS1_11target_archE910ELNS1_3gpuE8ELNS1_3repE0EEENS1_36merge_oddeven_config_static_selectorELNS0_4arch9wavefront6targetE1EEEvSJ_: ; @_ZN7rocprim17ROCPRIM_400000_NS6detail17trampoline_kernelINS0_14default_configENS1_38merge_sort_block_merge_config_selectorIiiEEZZNS1_27merge_sort_block_merge_implIS3_N6thrust23THRUST_200600_302600_NS6detail15normal_iteratorINS8_10device_ptrIiEEEESD_jNS1_19radix_merge_compareILb1ELb0EiNS0_19identity_decomposerEEEEE10hipError_tT0_T1_T2_jT3_P12ihipStream_tbPNSt15iterator_traitsISI_E10value_typeEPNSO_ISJ_E10value_typeEPSK_NS1_7vsmem_tEENKUlT_SI_SJ_SK_E_clISD_PiSD_S10_EESH_SX_SI_SJ_SK_EUlSX_E1_NS1_11comp_targetILNS1_3genE4ELNS1_11target_archE910ELNS1_3gpuE8ELNS1_3repE0EEENS1_36merge_oddeven_config_static_selectorELNS0_4arch9wavefront6targetE1EEEvSJ_
; %bb.0:
	.section	.rodata,"a",@progbits
	.p2align	6, 0x0
	.amdhsa_kernel _ZN7rocprim17ROCPRIM_400000_NS6detail17trampoline_kernelINS0_14default_configENS1_38merge_sort_block_merge_config_selectorIiiEEZZNS1_27merge_sort_block_merge_implIS3_N6thrust23THRUST_200600_302600_NS6detail15normal_iteratorINS8_10device_ptrIiEEEESD_jNS1_19radix_merge_compareILb1ELb0EiNS0_19identity_decomposerEEEEE10hipError_tT0_T1_T2_jT3_P12ihipStream_tbPNSt15iterator_traitsISI_E10value_typeEPNSO_ISJ_E10value_typeEPSK_NS1_7vsmem_tEENKUlT_SI_SJ_SK_E_clISD_PiSD_S10_EESH_SX_SI_SJ_SK_EUlSX_E1_NS1_11comp_targetILNS1_3genE4ELNS1_11target_archE910ELNS1_3gpuE8ELNS1_3repE0EEENS1_36merge_oddeven_config_static_selectorELNS0_4arch9wavefront6targetE1EEEvSJ_
		.amdhsa_group_segment_fixed_size 0
		.amdhsa_private_segment_fixed_size 0
		.amdhsa_kernarg_size 48
		.amdhsa_user_sgpr_count 2
		.amdhsa_user_sgpr_dispatch_ptr 0
		.amdhsa_user_sgpr_queue_ptr 0
		.amdhsa_user_sgpr_kernarg_segment_ptr 1
		.amdhsa_user_sgpr_dispatch_id 0
		.amdhsa_user_sgpr_kernarg_preload_length 0
		.amdhsa_user_sgpr_kernarg_preload_offset 0
		.amdhsa_user_sgpr_private_segment_size 0
		.amdhsa_uses_dynamic_stack 0
		.amdhsa_enable_private_segment 0
		.amdhsa_system_sgpr_workgroup_id_x 1
		.amdhsa_system_sgpr_workgroup_id_y 0
		.amdhsa_system_sgpr_workgroup_id_z 0
		.amdhsa_system_sgpr_workgroup_info 0
		.amdhsa_system_vgpr_workitem_id 0
		.amdhsa_next_free_vgpr 1
		.amdhsa_next_free_sgpr 0
		.amdhsa_accum_offset 4
		.amdhsa_reserve_vcc 0
		.amdhsa_float_round_mode_32 0
		.amdhsa_float_round_mode_16_64 0
		.amdhsa_float_denorm_mode_32 3
		.amdhsa_float_denorm_mode_16_64 3
		.amdhsa_dx10_clamp 1
		.amdhsa_ieee_mode 1
		.amdhsa_fp16_overflow 0
		.amdhsa_tg_split 0
		.amdhsa_exception_fp_ieee_invalid_op 0
		.amdhsa_exception_fp_denorm_src 0
		.amdhsa_exception_fp_ieee_div_zero 0
		.amdhsa_exception_fp_ieee_overflow 0
		.amdhsa_exception_fp_ieee_underflow 0
		.amdhsa_exception_fp_ieee_inexact 0
		.amdhsa_exception_int_div_zero 0
	.end_amdhsa_kernel
	.section	.text._ZN7rocprim17ROCPRIM_400000_NS6detail17trampoline_kernelINS0_14default_configENS1_38merge_sort_block_merge_config_selectorIiiEEZZNS1_27merge_sort_block_merge_implIS3_N6thrust23THRUST_200600_302600_NS6detail15normal_iteratorINS8_10device_ptrIiEEEESD_jNS1_19radix_merge_compareILb1ELb0EiNS0_19identity_decomposerEEEEE10hipError_tT0_T1_T2_jT3_P12ihipStream_tbPNSt15iterator_traitsISI_E10value_typeEPNSO_ISJ_E10value_typeEPSK_NS1_7vsmem_tEENKUlT_SI_SJ_SK_E_clISD_PiSD_S10_EESH_SX_SI_SJ_SK_EUlSX_E1_NS1_11comp_targetILNS1_3genE4ELNS1_11target_archE910ELNS1_3gpuE8ELNS1_3repE0EEENS1_36merge_oddeven_config_static_selectorELNS0_4arch9wavefront6targetE1EEEvSJ_,"axG",@progbits,_ZN7rocprim17ROCPRIM_400000_NS6detail17trampoline_kernelINS0_14default_configENS1_38merge_sort_block_merge_config_selectorIiiEEZZNS1_27merge_sort_block_merge_implIS3_N6thrust23THRUST_200600_302600_NS6detail15normal_iteratorINS8_10device_ptrIiEEEESD_jNS1_19radix_merge_compareILb1ELb0EiNS0_19identity_decomposerEEEEE10hipError_tT0_T1_T2_jT3_P12ihipStream_tbPNSt15iterator_traitsISI_E10value_typeEPNSO_ISJ_E10value_typeEPSK_NS1_7vsmem_tEENKUlT_SI_SJ_SK_E_clISD_PiSD_S10_EESH_SX_SI_SJ_SK_EUlSX_E1_NS1_11comp_targetILNS1_3genE4ELNS1_11target_archE910ELNS1_3gpuE8ELNS1_3repE0EEENS1_36merge_oddeven_config_static_selectorELNS0_4arch9wavefront6targetE1EEEvSJ_,comdat
.Lfunc_end1766:
	.size	_ZN7rocprim17ROCPRIM_400000_NS6detail17trampoline_kernelINS0_14default_configENS1_38merge_sort_block_merge_config_selectorIiiEEZZNS1_27merge_sort_block_merge_implIS3_N6thrust23THRUST_200600_302600_NS6detail15normal_iteratorINS8_10device_ptrIiEEEESD_jNS1_19radix_merge_compareILb1ELb0EiNS0_19identity_decomposerEEEEE10hipError_tT0_T1_T2_jT3_P12ihipStream_tbPNSt15iterator_traitsISI_E10value_typeEPNSO_ISJ_E10value_typeEPSK_NS1_7vsmem_tEENKUlT_SI_SJ_SK_E_clISD_PiSD_S10_EESH_SX_SI_SJ_SK_EUlSX_E1_NS1_11comp_targetILNS1_3genE4ELNS1_11target_archE910ELNS1_3gpuE8ELNS1_3repE0EEENS1_36merge_oddeven_config_static_selectorELNS0_4arch9wavefront6targetE1EEEvSJ_, .Lfunc_end1766-_ZN7rocprim17ROCPRIM_400000_NS6detail17trampoline_kernelINS0_14default_configENS1_38merge_sort_block_merge_config_selectorIiiEEZZNS1_27merge_sort_block_merge_implIS3_N6thrust23THRUST_200600_302600_NS6detail15normal_iteratorINS8_10device_ptrIiEEEESD_jNS1_19radix_merge_compareILb1ELb0EiNS0_19identity_decomposerEEEEE10hipError_tT0_T1_T2_jT3_P12ihipStream_tbPNSt15iterator_traitsISI_E10value_typeEPNSO_ISJ_E10value_typeEPSK_NS1_7vsmem_tEENKUlT_SI_SJ_SK_E_clISD_PiSD_S10_EESH_SX_SI_SJ_SK_EUlSX_E1_NS1_11comp_targetILNS1_3genE4ELNS1_11target_archE910ELNS1_3gpuE8ELNS1_3repE0EEENS1_36merge_oddeven_config_static_selectorELNS0_4arch9wavefront6targetE1EEEvSJ_
                                        ; -- End function
	.set _ZN7rocprim17ROCPRIM_400000_NS6detail17trampoline_kernelINS0_14default_configENS1_38merge_sort_block_merge_config_selectorIiiEEZZNS1_27merge_sort_block_merge_implIS3_N6thrust23THRUST_200600_302600_NS6detail15normal_iteratorINS8_10device_ptrIiEEEESD_jNS1_19radix_merge_compareILb1ELb0EiNS0_19identity_decomposerEEEEE10hipError_tT0_T1_T2_jT3_P12ihipStream_tbPNSt15iterator_traitsISI_E10value_typeEPNSO_ISJ_E10value_typeEPSK_NS1_7vsmem_tEENKUlT_SI_SJ_SK_E_clISD_PiSD_S10_EESH_SX_SI_SJ_SK_EUlSX_E1_NS1_11comp_targetILNS1_3genE4ELNS1_11target_archE910ELNS1_3gpuE8ELNS1_3repE0EEENS1_36merge_oddeven_config_static_selectorELNS0_4arch9wavefront6targetE1EEEvSJ_.num_vgpr, 0
	.set _ZN7rocprim17ROCPRIM_400000_NS6detail17trampoline_kernelINS0_14default_configENS1_38merge_sort_block_merge_config_selectorIiiEEZZNS1_27merge_sort_block_merge_implIS3_N6thrust23THRUST_200600_302600_NS6detail15normal_iteratorINS8_10device_ptrIiEEEESD_jNS1_19radix_merge_compareILb1ELb0EiNS0_19identity_decomposerEEEEE10hipError_tT0_T1_T2_jT3_P12ihipStream_tbPNSt15iterator_traitsISI_E10value_typeEPNSO_ISJ_E10value_typeEPSK_NS1_7vsmem_tEENKUlT_SI_SJ_SK_E_clISD_PiSD_S10_EESH_SX_SI_SJ_SK_EUlSX_E1_NS1_11comp_targetILNS1_3genE4ELNS1_11target_archE910ELNS1_3gpuE8ELNS1_3repE0EEENS1_36merge_oddeven_config_static_selectorELNS0_4arch9wavefront6targetE1EEEvSJ_.num_agpr, 0
	.set _ZN7rocprim17ROCPRIM_400000_NS6detail17trampoline_kernelINS0_14default_configENS1_38merge_sort_block_merge_config_selectorIiiEEZZNS1_27merge_sort_block_merge_implIS3_N6thrust23THRUST_200600_302600_NS6detail15normal_iteratorINS8_10device_ptrIiEEEESD_jNS1_19radix_merge_compareILb1ELb0EiNS0_19identity_decomposerEEEEE10hipError_tT0_T1_T2_jT3_P12ihipStream_tbPNSt15iterator_traitsISI_E10value_typeEPNSO_ISJ_E10value_typeEPSK_NS1_7vsmem_tEENKUlT_SI_SJ_SK_E_clISD_PiSD_S10_EESH_SX_SI_SJ_SK_EUlSX_E1_NS1_11comp_targetILNS1_3genE4ELNS1_11target_archE910ELNS1_3gpuE8ELNS1_3repE0EEENS1_36merge_oddeven_config_static_selectorELNS0_4arch9wavefront6targetE1EEEvSJ_.numbered_sgpr, 0
	.set _ZN7rocprim17ROCPRIM_400000_NS6detail17trampoline_kernelINS0_14default_configENS1_38merge_sort_block_merge_config_selectorIiiEEZZNS1_27merge_sort_block_merge_implIS3_N6thrust23THRUST_200600_302600_NS6detail15normal_iteratorINS8_10device_ptrIiEEEESD_jNS1_19radix_merge_compareILb1ELb0EiNS0_19identity_decomposerEEEEE10hipError_tT0_T1_T2_jT3_P12ihipStream_tbPNSt15iterator_traitsISI_E10value_typeEPNSO_ISJ_E10value_typeEPSK_NS1_7vsmem_tEENKUlT_SI_SJ_SK_E_clISD_PiSD_S10_EESH_SX_SI_SJ_SK_EUlSX_E1_NS1_11comp_targetILNS1_3genE4ELNS1_11target_archE910ELNS1_3gpuE8ELNS1_3repE0EEENS1_36merge_oddeven_config_static_selectorELNS0_4arch9wavefront6targetE1EEEvSJ_.num_named_barrier, 0
	.set _ZN7rocprim17ROCPRIM_400000_NS6detail17trampoline_kernelINS0_14default_configENS1_38merge_sort_block_merge_config_selectorIiiEEZZNS1_27merge_sort_block_merge_implIS3_N6thrust23THRUST_200600_302600_NS6detail15normal_iteratorINS8_10device_ptrIiEEEESD_jNS1_19radix_merge_compareILb1ELb0EiNS0_19identity_decomposerEEEEE10hipError_tT0_T1_T2_jT3_P12ihipStream_tbPNSt15iterator_traitsISI_E10value_typeEPNSO_ISJ_E10value_typeEPSK_NS1_7vsmem_tEENKUlT_SI_SJ_SK_E_clISD_PiSD_S10_EESH_SX_SI_SJ_SK_EUlSX_E1_NS1_11comp_targetILNS1_3genE4ELNS1_11target_archE910ELNS1_3gpuE8ELNS1_3repE0EEENS1_36merge_oddeven_config_static_selectorELNS0_4arch9wavefront6targetE1EEEvSJ_.private_seg_size, 0
	.set _ZN7rocprim17ROCPRIM_400000_NS6detail17trampoline_kernelINS0_14default_configENS1_38merge_sort_block_merge_config_selectorIiiEEZZNS1_27merge_sort_block_merge_implIS3_N6thrust23THRUST_200600_302600_NS6detail15normal_iteratorINS8_10device_ptrIiEEEESD_jNS1_19radix_merge_compareILb1ELb0EiNS0_19identity_decomposerEEEEE10hipError_tT0_T1_T2_jT3_P12ihipStream_tbPNSt15iterator_traitsISI_E10value_typeEPNSO_ISJ_E10value_typeEPSK_NS1_7vsmem_tEENKUlT_SI_SJ_SK_E_clISD_PiSD_S10_EESH_SX_SI_SJ_SK_EUlSX_E1_NS1_11comp_targetILNS1_3genE4ELNS1_11target_archE910ELNS1_3gpuE8ELNS1_3repE0EEENS1_36merge_oddeven_config_static_selectorELNS0_4arch9wavefront6targetE1EEEvSJ_.uses_vcc, 0
	.set _ZN7rocprim17ROCPRIM_400000_NS6detail17trampoline_kernelINS0_14default_configENS1_38merge_sort_block_merge_config_selectorIiiEEZZNS1_27merge_sort_block_merge_implIS3_N6thrust23THRUST_200600_302600_NS6detail15normal_iteratorINS8_10device_ptrIiEEEESD_jNS1_19radix_merge_compareILb1ELb0EiNS0_19identity_decomposerEEEEE10hipError_tT0_T1_T2_jT3_P12ihipStream_tbPNSt15iterator_traitsISI_E10value_typeEPNSO_ISJ_E10value_typeEPSK_NS1_7vsmem_tEENKUlT_SI_SJ_SK_E_clISD_PiSD_S10_EESH_SX_SI_SJ_SK_EUlSX_E1_NS1_11comp_targetILNS1_3genE4ELNS1_11target_archE910ELNS1_3gpuE8ELNS1_3repE0EEENS1_36merge_oddeven_config_static_selectorELNS0_4arch9wavefront6targetE1EEEvSJ_.uses_flat_scratch, 0
	.set _ZN7rocprim17ROCPRIM_400000_NS6detail17trampoline_kernelINS0_14default_configENS1_38merge_sort_block_merge_config_selectorIiiEEZZNS1_27merge_sort_block_merge_implIS3_N6thrust23THRUST_200600_302600_NS6detail15normal_iteratorINS8_10device_ptrIiEEEESD_jNS1_19radix_merge_compareILb1ELb0EiNS0_19identity_decomposerEEEEE10hipError_tT0_T1_T2_jT3_P12ihipStream_tbPNSt15iterator_traitsISI_E10value_typeEPNSO_ISJ_E10value_typeEPSK_NS1_7vsmem_tEENKUlT_SI_SJ_SK_E_clISD_PiSD_S10_EESH_SX_SI_SJ_SK_EUlSX_E1_NS1_11comp_targetILNS1_3genE4ELNS1_11target_archE910ELNS1_3gpuE8ELNS1_3repE0EEENS1_36merge_oddeven_config_static_selectorELNS0_4arch9wavefront6targetE1EEEvSJ_.has_dyn_sized_stack, 0
	.set _ZN7rocprim17ROCPRIM_400000_NS6detail17trampoline_kernelINS0_14default_configENS1_38merge_sort_block_merge_config_selectorIiiEEZZNS1_27merge_sort_block_merge_implIS3_N6thrust23THRUST_200600_302600_NS6detail15normal_iteratorINS8_10device_ptrIiEEEESD_jNS1_19radix_merge_compareILb1ELb0EiNS0_19identity_decomposerEEEEE10hipError_tT0_T1_T2_jT3_P12ihipStream_tbPNSt15iterator_traitsISI_E10value_typeEPNSO_ISJ_E10value_typeEPSK_NS1_7vsmem_tEENKUlT_SI_SJ_SK_E_clISD_PiSD_S10_EESH_SX_SI_SJ_SK_EUlSX_E1_NS1_11comp_targetILNS1_3genE4ELNS1_11target_archE910ELNS1_3gpuE8ELNS1_3repE0EEENS1_36merge_oddeven_config_static_selectorELNS0_4arch9wavefront6targetE1EEEvSJ_.has_recursion, 0
	.set _ZN7rocprim17ROCPRIM_400000_NS6detail17trampoline_kernelINS0_14default_configENS1_38merge_sort_block_merge_config_selectorIiiEEZZNS1_27merge_sort_block_merge_implIS3_N6thrust23THRUST_200600_302600_NS6detail15normal_iteratorINS8_10device_ptrIiEEEESD_jNS1_19radix_merge_compareILb1ELb0EiNS0_19identity_decomposerEEEEE10hipError_tT0_T1_T2_jT3_P12ihipStream_tbPNSt15iterator_traitsISI_E10value_typeEPNSO_ISJ_E10value_typeEPSK_NS1_7vsmem_tEENKUlT_SI_SJ_SK_E_clISD_PiSD_S10_EESH_SX_SI_SJ_SK_EUlSX_E1_NS1_11comp_targetILNS1_3genE4ELNS1_11target_archE910ELNS1_3gpuE8ELNS1_3repE0EEENS1_36merge_oddeven_config_static_selectorELNS0_4arch9wavefront6targetE1EEEvSJ_.has_indirect_call, 0
	.section	.AMDGPU.csdata,"",@progbits
; Kernel info:
; codeLenInByte = 0
; TotalNumSgprs: 6
; NumVgprs: 0
; NumAgprs: 0
; TotalNumVgprs: 0
; ScratchSize: 0
; MemoryBound: 0
; FloatMode: 240
; IeeeMode: 1
; LDSByteSize: 0 bytes/workgroup (compile time only)
; SGPRBlocks: 0
; VGPRBlocks: 0
; NumSGPRsForWavesPerEU: 6
; NumVGPRsForWavesPerEU: 1
; AccumOffset: 4
; Occupancy: 8
; WaveLimiterHint : 0
; COMPUTE_PGM_RSRC2:SCRATCH_EN: 0
; COMPUTE_PGM_RSRC2:USER_SGPR: 2
; COMPUTE_PGM_RSRC2:TRAP_HANDLER: 0
; COMPUTE_PGM_RSRC2:TGID_X_EN: 1
; COMPUTE_PGM_RSRC2:TGID_Y_EN: 0
; COMPUTE_PGM_RSRC2:TGID_Z_EN: 0
; COMPUTE_PGM_RSRC2:TIDIG_COMP_CNT: 0
; COMPUTE_PGM_RSRC3_GFX90A:ACCUM_OFFSET: 0
; COMPUTE_PGM_RSRC3_GFX90A:TG_SPLIT: 0
	.section	.text._ZN7rocprim17ROCPRIM_400000_NS6detail17trampoline_kernelINS0_14default_configENS1_38merge_sort_block_merge_config_selectorIiiEEZZNS1_27merge_sort_block_merge_implIS3_N6thrust23THRUST_200600_302600_NS6detail15normal_iteratorINS8_10device_ptrIiEEEESD_jNS1_19radix_merge_compareILb1ELb0EiNS0_19identity_decomposerEEEEE10hipError_tT0_T1_T2_jT3_P12ihipStream_tbPNSt15iterator_traitsISI_E10value_typeEPNSO_ISJ_E10value_typeEPSK_NS1_7vsmem_tEENKUlT_SI_SJ_SK_E_clISD_PiSD_S10_EESH_SX_SI_SJ_SK_EUlSX_E1_NS1_11comp_targetILNS1_3genE3ELNS1_11target_archE908ELNS1_3gpuE7ELNS1_3repE0EEENS1_36merge_oddeven_config_static_selectorELNS0_4arch9wavefront6targetE1EEEvSJ_,"axG",@progbits,_ZN7rocprim17ROCPRIM_400000_NS6detail17trampoline_kernelINS0_14default_configENS1_38merge_sort_block_merge_config_selectorIiiEEZZNS1_27merge_sort_block_merge_implIS3_N6thrust23THRUST_200600_302600_NS6detail15normal_iteratorINS8_10device_ptrIiEEEESD_jNS1_19radix_merge_compareILb1ELb0EiNS0_19identity_decomposerEEEEE10hipError_tT0_T1_T2_jT3_P12ihipStream_tbPNSt15iterator_traitsISI_E10value_typeEPNSO_ISJ_E10value_typeEPSK_NS1_7vsmem_tEENKUlT_SI_SJ_SK_E_clISD_PiSD_S10_EESH_SX_SI_SJ_SK_EUlSX_E1_NS1_11comp_targetILNS1_3genE3ELNS1_11target_archE908ELNS1_3gpuE7ELNS1_3repE0EEENS1_36merge_oddeven_config_static_selectorELNS0_4arch9wavefront6targetE1EEEvSJ_,comdat
	.protected	_ZN7rocprim17ROCPRIM_400000_NS6detail17trampoline_kernelINS0_14default_configENS1_38merge_sort_block_merge_config_selectorIiiEEZZNS1_27merge_sort_block_merge_implIS3_N6thrust23THRUST_200600_302600_NS6detail15normal_iteratorINS8_10device_ptrIiEEEESD_jNS1_19radix_merge_compareILb1ELb0EiNS0_19identity_decomposerEEEEE10hipError_tT0_T1_T2_jT3_P12ihipStream_tbPNSt15iterator_traitsISI_E10value_typeEPNSO_ISJ_E10value_typeEPSK_NS1_7vsmem_tEENKUlT_SI_SJ_SK_E_clISD_PiSD_S10_EESH_SX_SI_SJ_SK_EUlSX_E1_NS1_11comp_targetILNS1_3genE3ELNS1_11target_archE908ELNS1_3gpuE7ELNS1_3repE0EEENS1_36merge_oddeven_config_static_selectorELNS0_4arch9wavefront6targetE1EEEvSJ_ ; -- Begin function _ZN7rocprim17ROCPRIM_400000_NS6detail17trampoline_kernelINS0_14default_configENS1_38merge_sort_block_merge_config_selectorIiiEEZZNS1_27merge_sort_block_merge_implIS3_N6thrust23THRUST_200600_302600_NS6detail15normal_iteratorINS8_10device_ptrIiEEEESD_jNS1_19radix_merge_compareILb1ELb0EiNS0_19identity_decomposerEEEEE10hipError_tT0_T1_T2_jT3_P12ihipStream_tbPNSt15iterator_traitsISI_E10value_typeEPNSO_ISJ_E10value_typeEPSK_NS1_7vsmem_tEENKUlT_SI_SJ_SK_E_clISD_PiSD_S10_EESH_SX_SI_SJ_SK_EUlSX_E1_NS1_11comp_targetILNS1_3genE3ELNS1_11target_archE908ELNS1_3gpuE7ELNS1_3repE0EEENS1_36merge_oddeven_config_static_selectorELNS0_4arch9wavefront6targetE1EEEvSJ_
	.globl	_ZN7rocprim17ROCPRIM_400000_NS6detail17trampoline_kernelINS0_14default_configENS1_38merge_sort_block_merge_config_selectorIiiEEZZNS1_27merge_sort_block_merge_implIS3_N6thrust23THRUST_200600_302600_NS6detail15normal_iteratorINS8_10device_ptrIiEEEESD_jNS1_19radix_merge_compareILb1ELb0EiNS0_19identity_decomposerEEEEE10hipError_tT0_T1_T2_jT3_P12ihipStream_tbPNSt15iterator_traitsISI_E10value_typeEPNSO_ISJ_E10value_typeEPSK_NS1_7vsmem_tEENKUlT_SI_SJ_SK_E_clISD_PiSD_S10_EESH_SX_SI_SJ_SK_EUlSX_E1_NS1_11comp_targetILNS1_3genE3ELNS1_11target_archE908ELNS1_3gpuE7ELNS1_3repE0EEENS1_36merge_oddeven_config_static_selectorELNS0_4arch9wavefront6targetE1EEEvSJ_
	.p2align	8
	.type	_ZN7rocprim17ROCPRIM_400000_NS6detail17trampoline_kernelINS0_14default_configENS1_38merge_sort_block_merge_config_selectorIiiEEZZNS1_27merge_sort_block_merge_implIS3_N6thrust23THRUST_200600_302600_NS6detail15normal_iteratorINS8_10device_ptrIiEEEESD_jNS1_19radix_merge_compareILb1ELb0EiNS0_19identity_decomposerEEEEE10hipError_tT0_T1_T2_jT3_P12ihipStream_tbPNSt15iterator_traitsISI_E10value_typeEPNSO_ISJ_E10value_typeEPSK_NS1_7vsmem_tEENKUlT_SI_SJ_SK_E_clISD_PiSD_S10_EESH_SX_SI_SJ_SK_EUlSX_E1_NS1_11comp_targetILNS1_3genE3ELNS1_11target_archE908ELNS1_3gpuE7ELNS1_3repE0EEENS1_36merge_oddeven_config_static_selectorELNS0_4arch9wavefront6targetE1EEEvSJ_,@function
_ZN7rocprim17ROCPRIM_400000_NS6detail17trampoline_kernelINS0_14default_configENS1_38merge_sort_block_merge_config_selectorIiiEEZZNS1_27merge_sort_block_merge_implIS3_N6thrust23THRUST_200600_302600_NS6detail15normal_iteratorINS8_10device_ptrIiEEEESD_jNS1_19radix_merge_compareILb1ELb0EiNS0_19identity_decomposerEEEEE10hipError_tT0_T1_T2_jT3_P12ihipStream_tbPNSt15iterator_traitsISI_E10value_typeEPNSO_ISJ_E10value_typeEPSK_NS1_7vsmem_tEENKUlT_SI_SJ_SK_E_clISD_PiSD_S10_EESH_SX_SI_SJ_SK_EUlSX_E1_NS1_11comp_targetILNS1_3genE3ELNS1_11target_archE908ELNS1_3gpuE7ELNS1_3repE0EEENS1_36merge_oddeven_config_static_selectorELNS0_4arch9wavefront6targetE1EEEvSJ_: ; @_ZN7rocprim17ROCPRIM_400000_NS6detail17trampoline_kernelINS0_14default_configENS1_38merge_sort_block_merge_config_selectorIiiEEZZNS1_27merge_sort_block_merge_implIS3_N6thrust23THRUST_200600_302600_NS6detail15normal_iteratorINS8_10device_ptrIiEEEESD_jNS1_19radix_merge_compareILb1ELb0EiNS0_19identity_decomposerEEEEE10hipError_tT0_T1_T2_jT3_P12ihipStream_tbPNSt15iterator_traitsISI_E10value_typeEPNSO_ISJ_E10value_typeEPSK_NS1_7vsmem_tEENKUlT_SI_SJ_SK_E_clISD_PiSD_S10_EESH_SX_SI_SJ_SK_EUlSX_E1_NS1_11comp_targetILNS1_3genE3ELNS1_11target_archE908ELNS1_3gpuE7ELNS1_3repE0EEENS1_36merge_oddeven_config_static_selectorELNS0_4arch9wavefront6targetE1EEEvSJ_
; %bb.0:
	.section	.rodata,"a",@progbits
	.p2align	6, 0x0
	.amdhsa_kernel _ZN7rocprim17ROCPRIM_400000_NS6detail17trampoline_kernelINS0_14default_configENS1_38merge_sort_block_merge_config_selectorIiiEEZZNS1_27merge_sort_block_merge_implIS3_N6thrust23THRUST_200600_302600_NS6detail15normal_iteratorINS8_10device_ptrIiEEEESD_jNS1_19radix_merge_compareILb1ELb0EiNS0_19identity_decomposerEEEEE10hipError_tT0_T1_T2_jT3_P12ihipStream_tbPNSt15iterator_traitsISI_E10value_typeEPNSO_ISJ_E10value_typeEPSK_NS1_7vsmem_tEENKUlT_SI_SJ_SK_E_clISD_PiSD_S10_EESH_SX_SI_SJ_SK_EUlSX_E1_NS1_11comp_targetILNS1_3genE3ELNS1_11target_archE908ELNS1_3gpuE7ELNS1_3repE0EEENS1_36merge_oddeven_config_static_selectorELNS0_4arch9wavefront6targetE1EEEvSJ_
		.amdhsa_group_segment_fixed_size 0
		.amdhsa_private_segment_fixed_size 0
		.amdhsa_kernarg_size 48
		.amdhsa_user_sgpr_count 2
		.amdhsa_user_sgpr_dispatch_ptr 0
		.amdhsa_user_sgpr_queue_ptr 0
		.amdhsa_user_sgpr_kernarg_segment_ptr 1
		.amdhsa_user_sgpr_dispatch_id 0
		.amdhsa_user_sgpr_kernarg_preload_length 0
		.amdhsa_user_sgpr_kernarg_preload_offset 0
		.amdhsa_user_sgpr_private_segment_size 0
		.amdhsa_uses_dynamic_stack 0
		.amdhsa_enable_private_segment 0
		.amdhsa_system_sgpr_workgroup_id_x 1
		.amdhsa_system_sgpr_workgroup_id_y 0
		.amdhsa_system_sgpr_workgroup_id_z 0
		.amdhsa_system_sgpr_workgroup_info 0
		.amdhsa_system_vgpr_workitem_id 0
		.amdhsa_next_free_vgpr 1
		.amdhsa_next_free_sgpr 0
		.amdhsa_accum_offset 4
		.amdhsa_reserve_vcc 0
		.amdhsa_float_round_mode_32 0
		.amdhsa_float_round_mode_16_64 0
		.amdhsa_float_denorm_mode_32 3
		.amdhsa_float_denorm_mode_16_64 3
		.amdhsa_dx10_clamp 1
		.amdhsa_ieee_mode 1
		.amdhsa_fp16_overflow 0
		.amdhsa_tg_split 0
		.amdhsa_exception_fp_ieee_invalid_op 0
		.amdhsa_exception_fp_denorm_src 0
		.amdhsa_exception_fp_ieee_div_zero 0
		.amdhsa_exception_fp_ieee_overflow 0
		.amdhsa_exception_fp_ieee_underflow 0
		.amdhsa_exception_fp_ieee_inexact 0
		.amdhsa_exception_int_div_zero 0
	.end_amdhsa_kernel
	.section	.text._ZN7rocprim17ROCPRIM_400000_NS6detail17trampoline_kernelINS0_14default_configENS1_38merge_sort_block_merge_config_selectorIiiEEZZNS1_27merge_sort_block_merge_implIS3_N6thrust23THRUST_200600_302600_NS6detail15normal_iteratorINS8_10device_ptrIiEEEESD_jNS1_19radix_merge_compareILb1ELb0EiNS0_19identity_decomposerEEEEE10hipError_tT0_T1_T2_jT3_P12ihipStream_tbPNSt15iterator_traitsISI_E10value_typeEPNSO_ISJ_E10value_typeEPSK_NS1_7vsmem_tEENKUlT_SI_SJ_SK_E_clISD_PiSD_S10_EESH_SX_SI_SJ_SK_EUlSX_E1_NS1_11comp_targetILNS1_3genE3ELNS1_11target_archE908ELNS1_3gpuE7ELNS1_3repE0EEENS1_36merge_oddeven_config_static_selectorELNS0_4arch9wavefront6targetE1EEEvSJ_,"axG",@progbits,_ZN7rocprim17ROCPRIM_400000_NS6detail17trampoline_kernelINS0_14default_configENS1_38merge_sort_block_merge_config_selectorIiiEEZZNS1_27merge_sort_block_merge_implIS3_N6thrust23THRUST_200600_302600_NS6detail15normal_iteratorINS8_10device_ptrIiEEEESD_jNS1_19radix_merge_compareILb1ELb0EiNS0_19identity_decomposerEEEEE10hipError_tT0_T1_T2_jT3_P12ihipStream_tbPNSt15iterator_traitsISI_E10value_typeEPNSO_ISJ_E10value_typeEPSK_NS1_7vsmem_tEENKUlT_SI_SJ_SK_E_clISD_PiSD_S10_EESH_SX_SI_SJ_SK_EUlSX_E1_NS1_11comp_targetILNS1_3genE3ELNS1_11target_archE908ELNS1_3gpuE7ELNS1_3repE0EEENS1_36merge_oddeven_config_static_selectorELNS0_4arch9wavefront6targetE1EEEvSJ_,comdat
.Lfunc_end1767:
	.size	_ZN7rocprim17ROCPRIM_400000_NS6detail17trampoline_kernelINS0_14default_configENS1_38merge_sort_block_merge_config_selectorIiiEEZZNS1_27merge_sort_block_merge_implIS3_N6thrust23THRUST_200600_302600_NS6detail15normal_iteratorINS8_10device_ptrIiEEEESD_jNS1_19radix_merge_compareILb1ELb0EiNS0_19identity_decomposerEEEEE10hipError_tT0_T1_T2_jT3_P12ihipStream_tbPNSt15iterator_traitsISI_E10value_typeEPNSO_ISJ_E10value_typeEPSK_NS1_7vsmem_tEENKUlT_SI_SJ_SK_E_clISD_PiSD_S10_EESH_SX_SI_SJ_SK_EUlSX_E1_NS1_11comp_targetILNS1_3genE3ELNS1_11target_archE908ELNS1_3gpuE7ELNS1_3repE0EEENS1_36merge_oddeven_config_static_selectorELNS0_4arch9wavefront6targetE1EEEvSJ_, .Lfunc_end1767-_ZN7rocprim17ROCPRIM_400000_NS6detail17trampoline_kernelINS0_14default_configENS1_38merge_sort_block_merge_config_selectorIiiEEZZNS1_27merge_sort_block_merge_implIS3_N6thrust23THRUST_200600_302600_NS6detail15normal_iteratorINS8_10device_ptrIiEEEESD_jNS1_19radix_merge_compareILb1ELb0EiNS0_19identity_decomposerEEEEE10hipError_tT0_T1_T2_jT3_P12ihipStream_tbPNSt15iterator_traitsISI_E10value_typeEPNSO_ISJ_E10value_typeEPSK_NS1_7vsmem_tEENKUlT_SI_SJ_SK_E_clISD_PiSD_S10_EESH_SX_SI_SJ_SK_EUlSX_E1_NS1_11comp_targetILNS1_3genE3ELNS1_11target_archE908ELNS1_3gpuE7ELNS1_3repE0EEENS1_36merge_oddeven_config_static_selectorELNS0_4arch9wavefront6targetE1EEEvSJ_
                                        ; -- End function
	.set _ZN7rocprim17ROCPRIM_400000_NS6detail17trampoline_kernelINS0_14default_configENS1_38merge_sort_block_merge_config_selectorIiiEEZZNS1_27merge_sort_block_merge_implIS3_N6thrust23THRUST_200600_302600_NS6detail15normal_iteratorINS8_10device_ptrIiEEEESD_jNS1_19radix_merge_compareILb1ELb0EiNS0_19identity_decomposerEEEEE10hipError_tT0_T1_T2_jT3_P12ihipStream_tbPNSt15iterator_traitsISI_E10value_typeEPNSO_ISJ_E10value_typeEPSK_NS1_7vsmem_tEENKUlT_SI_SJ_SK_E_clISD_PiSD_S10_EESH_SX_SI_SJ_SK_EUlSX_E1_NS1_11comp_targetILNS1_3genE3ELNS1_11target_archE908ELNS1_3gpuE7ELNS1_3repE0EEENS1_36merge_oddeven_config_static_selectorELNS0_4arch9wavefront6targetE1EEEvSJ_.num_vgpr, 0
	.set _ZN7rocprim17ROCPRIM_400000_NS6detail17trampoline_kernelINS0_14default_configENS1_38merge_sort_block_merge_config_selectorIiiEEZZNS1_27merge_sort_block_merge_implIS3_N6thrust23THRUST_200600_302600_NS6detail15normal_iteratorINS8_10device_ptrIiEEEESD_jNS1_19radix_merge_compareILb1ELb0EiNS0_19identity_decomposerEEEEE10hipError_tT0_T1_T2_jT3_P12ihipStream_tbPNSt15iterator_traitsISI_E10value_typeEPNSO_ISJ_E10value_typeEPSK_NS1_7vsmem_tEENKUlT_SI_SJ_SK_E_clISD_PiSD_S10_EESH_SX_SI_SJ_SK_EUlSX_E1_NS1_11comp_targetILNS1_3genE3ELNS1_11target_archE908ELNS1_3gpuE7ELNS1_3repE0EEENS1_36merge_oddeven_config_static_selectorELNS0_4arch9wavefront6targetE1EEEvSJ_.num_agpr, 0
	.set _ZN7rocprim17ROCPRIM_400000_NS6detail17trampoline_kernelINS0_14default_configENS1_38merge_sort_block_merge_config_selectorIiiEEZZNS1_27merge_sort_block_merge_implIS3_N6thrust23THRUST_200600_302600_NS6detail15normal_iteratorINS8_10device_ptrIiEEEESD_jNS1_19radix_merge_compareILb1ELb0EiNS0_19identity_decomposerEEEEE10hipError_tT0_T1_T2_jT3_P12ihipStream_tbPNSt15iterator_traitsISI_E10value_typeEPNSO_ISJ_E10value_typeEPSK_NS1_7vsmem_tEENKUlT_SI_SJ_SK_E_clISD_PiSD_S10_EESH_SX_SI_SJ_SK_EUlSX_E1_NS1_11comp_targetILNS1_3genE3ELNS1_11target_archE908ELNS1_3gpuE7ELNS1_3repE0EEENS1_36merge_oddeven_config_static_selectorELNS0_4arch9wavefront6targetE1EEEvSJ_.numbered_sgpr, 0
	.set _ZN7rocprim17ROCPRIM_400000_NS6detail17trampoline_kernelINS0_14default_configENS1_38merge_sort_block_merge_config_selectorIiiEEZZNS1_27merge_sort_block_merge_implIS3_N6thrust23THRUST_200600_302600_NS6detail15normal_iteratorINS8_10device_ptrIiEEEESD_jNS1_19radix_merge_compareILb1ELb0EiNS0_19identity_decomposerEEEEE10hipError_tT0_T1_T2_jT3_P12ihipStream_tbPNSt15iterator_traitsISI_E10value_typeEPNSO_ISJ_E10value_typeEPSK_NS1_7vsmem_tEENKUlT_SI_SJ_SK_E_clISD_PiSD_S10_EESH_SX_SI_SJ_SK_EUlSX_E1_NS1_11comp_targetILNS1_3genE3ELNS1_11target_archE908ELNS1_3gpuE7ELNS1_3repE0EEENS1_36merge_oddeven_config_static_selectorELNS0_4arch9wavefront6targetE1EEEvSJ_.num_named_barrier, 0
	.set _ZN7rocprim17ROCPRIM_400000_NS6detail17trampoline_kernelINS0_14default_configENS1_38merge_sort_block_merge_config_selectorIiiEEZZNS1_27merge_sort_block_merge_implIS3_N6thrust23THRUST_200600_302600_NS6detail15normal_iteratorINS8_10device_ptrIiEEEESD_jNS1_19radix_merge_compareILb1ELb0EiNS0_19identity_decomposerEEEEE10hipError_tT0_T1_T2_jT3_P12ihipStream_tbPNSt15iterator_traitsISI_E10value_typeEPNSO_ISJ_E10value_typeEPSK_NS1_7vsmem_tEENKUlT_SI_SJ_SK_E_clISD_PiSD_S10_EESH_SX_SI_SJ_SK_EUlSX_E1_NS1_11comp_targetILNS1_3genE3ELNS1_11target_archE908ELNS1_3gpuE7ELNS1_3repE0EEENS1_36merge_oddeven_config_static_selectorELNS0_4arch9wavefront6targetE1EEEvSJ_.private_seg_size, 0
	.set _ZN7rocprim17ROCPRIM_400000_NS6detail17trampoline_kernelINS0_14default_configENS1_38merge_sort_block_merge_config_selectorIiiEEZZNS1_27merge_sort_block_merge_implIS3_N6thrust23THRUST_200600_302600_NS6detail15normal_iteratorINS8_10device_ptrIiEEEESD_jNS1_19radix_merge_compareILb1ELb0EiNS0_19identity_decomposerEEEEE10hipError_tT0_T1_T2_jT3_P12ihipStream_tbPNSt15iterator_traitsISI_E10value_typeEPNSO_ISJ_E10value_typeEPSK_NS1_7vsmem_tEENKUlT_SI_SJ_SK_E_clISD_PiSD_S10_EESH_SX_SI_SJ_SK_EUlSX_E1_NS1_11comp_targetILNS1_3genE3ELNS1_11target_archE908ELNS1_3gpuE7ELNS1_3repE0EEENS1_36merge_oddeven_config_static_selectorELNS0_4arch9wavefront6targetE1EEEvSJ_.uses_vcc, 0
	.set _ZN7rocprim17ROCPRIM_400000_NS6detail17trampoline_kernelINS0_14default_configENS1_38merge_sort_block_merge_config_selectorIiiEEZZNS1_27merge_sort_block_merge_implIS3_N6thrust23THRUST_200600_302600_NS6detail15normal_iteratorINS8_10device_ptrIiEEEESD_jNS1_19radix_merge_compareILb1ELb0EiNS0_19identity_decomposerEEEEE10hipError_tT0_T1_T2_jT3_P12ihipStream_tbPNSt15iterator_traitsISI_E10value_typeEPNSO_ISJ_E10value_typeEPSK_NS1_7vsmem_tEENKUlT_SI_SJ_SK_E_clISD_PiSD_S10_EESH_SX_SI_SJ_SK_EUlSX_E1_NS1_11comp_targetILNS1_3genE3ELNS1_11target_archE908ELNS1_3gpuE7ELNS1_3repE0EEENS1_36merge_oddeven_config_static_selectorELNS0_4arch9wavefront6targetE1EEEvSJ_.uses_flat_scratch, 0
	.set _ZN7rocprim17ROCPRIM_400000_NS6detail17trampoline_kernelINS0_14default_configENS1_38merge_sort_block_merge_config_selectorIiiEEZZNS1_27merge_sort_block_merge_implIS3_N6thrust23THRUST_200600_302600_NS6detail15normal_iteratorINS8_10device_ptrIiEEEESD_jNS1_19radix_merge_compareILb1ELb0EiNS0_19identity_decomposerEEEEE10hipError_tT0_T1_T2_jT3_P12ihipStream_tbPNSt15iterator_traitsISI_E10value_typeEPNSO_ISJ_E10value_typeEPSK_NS1_7vsmem_tEENKUlT_SI_SJ_SK_E_clISD_PiSD_S10_EESH_SX_SI_SJ_SK_EUlSX_E1_NS1_11comp_targetILNS1_3genE3ELNS1_11target_archE908ELNS1_3gpuE7ELNS1_3repE0EEENS1_36merge_oddeven_config_static_selectorELNS0_4arch9wavefront6targetE1EEEvSJ_.has_dyn_sized_stack, 0
	.set _ZN7rocprim17ROCPRIM_400000_NS6detail17trampoline_kernelINS0_14default_configENS1_38merge_sort_block_merge_config_selectorIiiEEZZNS1_27merge_sort_block_merge_implIS3_N6thrust23THRUST_200600_302600_NS6detail15normal_iteratorINS8_10device_ptrIiEEEESD_jNS1_19radix_merge_compareILb1ELb0EiNS0_19identity_decomposerEEEEE10hipError_tT0_T1_T2_jT3_P12ihipStream_tbPNSt15iterator_traitsISI_E10value_typeEPNSO_ISJ_E10value_typeEPSK_NS1_7vsmem_tEENKUlT_SI_SJ_SK_E_clISD_PiSD_S10_EESH_SX_SI_SJ_SK_EUlSX_E1_NS1_11comp_targetILNS1_3genE3ELNS1_11target_archE908ELNS1_3gpuE7ELNS1_3repE0EEENS1_36merge_oddeven_config_static_selectorELNS0_4arch9wavefront6targetE1EEEvSJ_.has_recursion, 0
	.set _ZN7rocprim17ROCPRIM_400000_NS6detail17trampoline_kernelINS0_14default_configENS1_38merge_sort_block_merge_config_selectorIiiEEZZNS1_27merge_sort_block_merge_implIS3_N6thrust23THRUST_200600_302600_NS6detail15normal_iteratorINS8_10device_ptrIiEEEESD_jNS1_19radix_merge_compareILb1ELb0EiNS0_19identity_decomposerEEEEE10hipError_tT0_T1_T2_jT3_P12ihipStream_tbPNSt15iterator_traitsISI_E10value_typeEPNSO_ISJ_E10value_typeEPSK_NS1_7vsmem_tEENKUlT_SI_SJ_SK_E_clISD_PiSD_S10_EESH_SX_SI_SJ_SK_EUlSX_E1_NS1_11comp_targetILNS1_3genE3ELNS1_11target_archE908ELNS1_3gpuE7ELNS1_3repE0EEENS1_36merge_oddeven_config_static_selectorELNS0_4arch9wavefront6targetE1EEEvSJ_.has_indirect_call, 0
	.section	.AMDGPU.csdata,"",@progbits
; Kernel info:
; codeLenInByte = 0
; TotalNumSgprs: 6
; NumVgprs: 0
; NumAgprs: 0
; TotalNumVgprs: 0
; ScratchSize: 0
; MemoryBound: 0
; FloatMode: 240
; IeeeMode: 1
; LDSByteSize: 0 bytes/workgroup (compile time only)
; SGPRBlocks: 0
; VGPRBlocks: 0
; NumSGPRsForWavesPerEU: 6
; NumVGPRsForWavesPerEU: 1
; AccumOffset: 4
; Occupancy: 8
; WaveLimiterHint : 0
; COMPUTE_PGM_RSRC2:SCRATCH_EN: 0
; COMPUTE_PGM_RSRC2:USER_SGPR: 2
; COMPUTE_PGM_RSRC2:TRAP_HANDLER: 0
; COMPUTE_PGM_RSRC2:TGID_X_EN: 1
; COMPUTE_PGM_RSRC2:TGID_Y_EN: 0
; COMPUTE_PGM_RSRC2:TGID_Z_EN: 0
; COMPUTE_PGM_RSRC2:TIDIG_COMP_CNT: 0
; COMPUTE_PGM_RSRC3_GFX90A:ACCUM_OFFSET: 0
; COMPUTE_PGM_RSRC3_GFX90A:TG_SPLIT: 0
	.section	.text._ZN7rocprim17ROCPRIM_400000_NS6detail17trampoline_kernelINS0_14default_configENS1_38merge_sort_block_merge_config_selectorIiiEEZZNS1_27merge_sort_block_merge_implIS3_N6thrust23THRUST_200600_302600_NS6detail15normal_iteratorINS8_10device_ptrIiEEEESD_jNS1_19radix_merge_compareILb1ELb0EiNS0_19identity_decomposerEEEEE10hipError_tT0_T1_T2_jT3_P12ihipStream_tbPNSt15iterator_traitsISI_E10value_typeEPNSO_ISJ_E10value_typeEPSK_NS1_7vsmem_tEENKUlT_SI_SJ_SK_E_clISD_PiSD_S10_EESH_SX_SI_SJ_SK_EUlSX_E1_NS1_11comp_targetILNS1_3genE2ELNS1_11target_archE906ELNS1_3gpuE6ELNS1_3repE0EEENS1_36merge_oddeven_config_static_selectorELNS0_4arch9wavefront6targetE1EEEvSJ_,"axG",@progbits,_ZN7rocprim17ROCPRIM_400000_NS6detail17trampoline_kernelINS0_14default_configENS1_38merge_sort_block_merge_config_selectorIiiEEZZNS1_27merge_sort_block_merge_implIS3_N6thrust23THRUST_200600_302600_NS6detail15normal_iteratorINS8_10device_ptrIiEEEESD_jNS1_19radix_merge_compareILb1ELb0EiNS0_19identity_decomposerEEEEE10hipError_tT0_T1_T2_jT3_P12ihipStream_tbPNSt15iterator_traitsISI_E10value_typeEPNSO_ISJ_E10value_typeEPSK_NS1_7vsmem_tEENKUlT_SI_SJ_SK_E_clISD_PiSD_S10_EESH_SX_SI_SJ_SK_EUlSX_E1_NS1_11comp_targetILNS1_3genE2ELNS1_11target_archE906ELNS1_3gpuE6ELNS1_3repE0EEENS1_36merge_oddeven_config_static_selectorELNS0_4arch9wavefront6targetE1EEEvSJ_,comdat
	.protected	_ZN7rocprim17ROCPRIM_400000_NS6detail17trampoline_kernelINS0_14default_configENS1_38merge_sort_block_merge_config_selectorIiiEEZZNS1_27merge_sort_block_merge_implIS3_N6thrust23THRUST_200600_302600_NS6detail15normal_iteratorINS8_10device_ptrIiEEEESD_jNS1_19radix_merge_compareILb1ELb0EiNS0_19identity_decomposerEEEEE10hipError_tT0_T1_T2_jT3_P12ihipStream_tbPNSt15iterator_traitsISI_E10value_typeEPNSO_ISJ_E10value_typeEPSK_NS1_7vsmem_tEENKUlT_SI_SJ_SK_E_clISD_PiSD_S10_EESH_SX_SI_SJ_SK_EUlSX_E1_NS1_11comp_targetILNS1_3genE2ELNS1_11target_archE906ELNS1_3gpuE6ELNS1_3repE0EEENS1_36merge_oddeven_config_static_selectorELNS0_4arch9wavefront6targetE1EEEvSJ_ ; -- Begin function _ZN7rocprim17ROCPRIM_400000_NS6detail17trampoline_kernelINS0_14default_configENS1_38merge_sort_block_merge_config_selectorIiiEEZZNS1_27merge_sort_block_merge_implIS3_N6thrust23THRUST_200600_302600_NS6detail15normal_iteratorINS8_10device_ptrIiEEEESD_jNS1_19radix_merge_compareILb1ELb0EiNS0_19identity_decomposerEEEEE10hipError_tT0_T1_T2_jT3_P12ihipStream_tbPNSt15iterator_traitsISI_E10value_typeEPNSO_ISJ_E10value_typeEPSK_NS1_7vsmem_tEENKUlT_SI_SJ_SK_E_clISD_PiSD_S10_EESH_SX_SI_SJ_SK_EUlSX_E1_NS1_11comp_targetILNS1_3genE2ELNS1_11target_archE906ELNS1_3gpuE6ELNS1_3repE0EEENS1_36merge_oddeven_config_static_selectorELNS0_4arch9wavefront6targetE1EEEvSJ_
	.globl	_ZN7rocprim17ROCPRIM_400000_NS6detail17trampoline_kernelINS0_14default_configENS1_38merge_sort_block_merge_config_selectorIiiEEZZNS1_27merge_sort_block_merge_implIS3_N6thrust23THRUST_200600_302600_NS6detail15normal_iteratorINS8_10device_ptrIiEEEESD_jNS1_19radix_merge_compareILb1ELb0EiNS0_19identity_decomposerEEEEE10hipError_tT0_T1_T2_jT3_P12ihipStream_tbPNSt15iterator_traitsISI_E10value_typeEPNSO_ISJ_E10value_typeEPSK_NS1_7vsmem_tEENKUlT_SI_SJ_SK_E_clISD_PiSD_S10_EESH_SX_SI_SJ_SK_EUlSX_E1_NS1_11comp_targetILNS1_3genE2ELNS1_11target_archE906ELNS1_3gpuE6ELNS1_3repE0EEENS1_36merge_oddeven_config_static_selectorELNS0_4arch9wavefront6targetE1EEEvSJ_
	.p2align	8
	.type	_ZN7rocprim17ROCPRIM_400000_NS6detail17trampoline_kernelINS0_14default_configENS1_38merge_sort_block_merge_config_selectorIiiEEZZNS1_27merge_sort_block_merge_implIS3_N6thrust23THRUST_200600_302600_NS6detail15normal_iteratorINS8_10device_ptrIiEEEESD_jNS1_19radix_merge_compareILb1ELb0EiNS0_19identity_decomposerEEEEE10hipError_tT0_T1_T2_jT3_P12ihipStream_tbPNSt15iterator_traitsISI_E10value_typeEPNSO_ISJ_E10value_typeEPSK_NS1_7vsmem_tEENKUlT_SI_SJ_SK_E_clISD_PiSD_S10_EESH_SX_SI_SJ_SK_EUlSX_E1_NS1_11comp_targetILNS1_3genE2ELNS1_11target_archE906ELNS1_3gpuE6ELNS1_3repE0EEENS1_36merge_oddeven_config_static_selectorELNS0_4arch9wavefront6targetE1EEEvSJ_,@function
_ZN7rocprim17ROCPRIM_400000_NS6detail17trampoline_kernelINS0_14default_configENS1_38merge_sort_block_merge_config_selectorIiiEEZZNS1_27merge_sort_block_merge_implIS3_N6thrust23THRUST_200600_302600_NS6detail15normal_iteratorINS8_10device_ptrIiEEEESD_jNS1_19radix_merge_compareILb1ELb0EiNS0_19identity_decomposerEEEEE10hipError_tT0_T1_T2_jT3_P12ihipStream_tbPNSt15iterator_traitsISI_E10value_typeEPNSO_ISJ_E10value_typeEPSK_NS1_7vsmem_tEENKUlT_SI_SJ_SK_E_clISD_PiSD_S10_EESH_SX_SI_SJ_SK_EUlSX_E1_NS1_11comp_targetILNS1_3genE2ELNS1_11target_archE906ELNS1_3gpuE6ELNS1_3repE0EEENS1_36merge_oddeven_config_static_selectorELNS0_4arch9wavefront6targetE1EEEvSJ_: ; @_ZN7rocprim17ROCPRIM_400000_NS6detail17trampoline_kernelINS0_14default_configENS1_38merge_sort_block_merge_config_selectorIiiEEZZNS1_27merge_sort_block_merge_implIS3_N6thrust23THRUST_200600_302600_NS6detail15normal_iteratorINS8_10device_ptrIiEEEESD_jNS1_19radix_merge_compareILb1ELb0EiNS0_19identity_decomposerEEEEE10hipError_tT0_T1_T2_jT3_P12ihipStream_tbPNSt15iterator_traitsISI_E10value_typeEPNSO_ISJ_E10value_typeEPSK_NS1_7vsmem_tEENKUlT_SI_SJ_SK_E_clISD_PiSD_S10_EESH_SX_SI_SJ_SK_EUlSX_E1_NS1_11comp_targetILNS1_3genE2ELNS1_11target_archE906ELNS1_3gpuE6ELNS1_3repE0EEENS1_36merge_oddeven_config_static_selectorELNS0_4arch9wavefront6targetE1EEEvSJ_
; %bb.0:
	.section	.rodata,"a",@progbits
	.p2align	6, 0x0
	.amdhsa_kernel _ZN7rocprim17ROCPRIM_400000_NS6detail17trampoline_kernelINS0_14default_configENS1_38merge_sort_block_merge_config_selectorIiiEEZZNS1_27merge_sort_block_merge_implIS3_N6thrust23THRUST_200600_302600_NS6detail15normal_iteratorINS8_10device_ptrIiEEEESD_jNS1_19radix_merge_compareILb1ELb0EiNS0_19identity_decomposerEEEEE10hipError_tT0_T1_T2_jT3_P12ihipStream_tbPNSt15iterator_traitsISI_E10value_typeEPNSO_ISJ_E10value_typeEPSK_NS1_7vsmem_tEENKUlT_SI_SJ_SK_E_clISD_PiSD_S10_EESH_SX_SI_SJ_SK_EUlSX_E1_NS1_11comp_targetILNS1_3genE2ELNS1_11target_archE906ELNS1_3gpuE6ELNS1_3repE0EEENS1_36merge_oddeven_config_static_selectorELNS0_4arch9wavefront6targetE1EEEvSJ_
		.amdhsa_group_segment_fixed_size 0
		.amdhsa_private_segment_fixed_size 0
		.amdhsa_kernarg_size 48
		.amdhsa_user_sgpr_count 2
		.amdhsa_user_sgpr_dispatch_ptr 0
		.amdhsa_user_sgpr_queue_ptr 0
		.amdhsa_user_sgpr_kernarg_segment_ptr 1
		.amdhsa_user_sgpr_dispatch_id 0
		.amdhsa_user_sgpr_kernarg_preload_length 0
		.amdhsa_user_sgpr_kernarg_preload_offset 0
		.amdhsa_user_sgpr_private_segment_size 0
		.amdhsa_uses_dynamic_stack 0
		.amdhsa_enable_private_segment 0
		.amdhsa_system_sgpr_workgroup_id_x 1
		.amdhsa_system_sgpr_workgroup_id_y 0
		.amdhsa_system_sgpr_workgroup_id_z 0
		.amdhsa_system_sgpr_workgroup_info 0
		.amdhsa_system_vgpr_workitem_id 0
		.amdhsa_next_free_vgpr 1
		.amdhsa_next_free_sgpr 0
		.amdhsa_accum_offset 4
		.amdhsa_reserve_vcc 0
		.amdhsa_float_round_mode_32 0
		.amdhsa_float_round_mode_16_64 0
		.amdhsa_float_denorm_mode_32 3
		.amdhsa_float_denorm_mode_16_64 3
		.amdhsa_dx10_clamp 1
		.amdhsa_ieee_mode 1
		.amdhsa_fp16_overflow 0
		.amdhsa_tg_split 0
		.amdhsa_exception_fp_ieee_invalid_op 0
		.amdhsa_exception_fp_denorm_src 0
		.amdhsa_exception_fp_ieee_div_zero 0
		.amdhsa_exception_fp_ieee_overflow 0
		.amdhsa_exception_fp_ieee_underflow 0
		.amdhsa_exception_fp_ieee_inexact 0
		.amdhsa_exception_int_div_zero 0
	.end_amdhsa_kernel
	.section	.text._ZN7rocprim17ROCPRIM_400000_NS6detail17trampoline_kernelINS0_14default_configENS1_38merge_sort_block_merge_config_selectorIiiEEZZNS1_27merge_sort_block_merge_implIS3_N6thrust23THRUST_200600_302600_NS6detail15normal_iteratorINS8_10device_ptrIiEEEESD_jNS1_19radix_merge_compareILb1ELb0EiNS0_19identity_decomposerEEEEE10hipError_tT0_T1_T2_jT3_P12ihipStream_tbPNSt15iterator_traitsISI_E10value_typeEPNSO_ISJ_E10value_typeEPSK_NS1_7vsmem_tEENKUlT_SI_SJ_SK_E_clISD_PiSD_S10_EESH_SX_SI_SJ_SK_EUlSX_E1_NS1_11comp_targetILNS1_3genE2ELNS1_11target_archE906ELNS1_3gpuE6ELNS1_3repE0EEENS1_36merge_oddeven_config_static_selectorELNS0_4arch9wavefront6targetE1EEEvSJ_,"axG",@progbits,_ZN7rocprim17ROCPRIM_400000_NS6detail17trampoline_kernelINS0_14default_configENS1_38merge_sort_block_merge_config_selectorIiiEEZZNS1_27merge_sort_block_merge_implIS3_N6thrust23THRUST_200600_302600_NS6detail15normal_iteratorINS8_10device_ptrIiEEEESD_jNS1_19radix_merge_compareILb1ELb0EiNS0_19identity_decomposerEEEEE10hipError_tT0_T1_T2_jT3_P12ihipStream_tbPNSt15iterator_traitsISI_E10value_typeEPNSO_ISJ_E10value_typeEPSK_NS1_7vsmem_tEENKUlT_SI_SJ_SK_E_clISD_PiSD_S10_EESH_SX_SI_SJ_SK_EUlSX_E1_NS1_11comp_targetILNS1_3genE2ELNS1_11target_archE906ELNS1_3gpuE6ELNS1_3repE0EEENS1_36merge_oddeven_config_static_selectorELNS0_4arch9wavefront6targetE1EEEvSJ_,comdat
.Lfunc_end1768:
	.size	_ZN7rocprim17ROCPRIM_400000_NS6detail17trampoline_kernelINS0_14default_configENS1_38merge_sort_block_merge_config_selectorIiiEEZZNS1_27merge_sort_block_merge_implIS3_N6thrust23THRUST_200600_302600_NS6detail15normal_iteratorINS8_10device_ptrIiEEEESD_jNS1_19radix_merge_compareILb1ELb0EiNS0_19identity_decomposerEEEEE10hipError_tT0_T1_T2_jT3_P12ihipStream_tbPNSt15iterator_traitsISI_E10value_typeEPNSO_ISJ_E10value_typeEPSK_NS1_7vsmem_tEENKUlT_SI_SJ_SK_E_clISD_PiSD_S10_EESH_SX_SI_SJ_SK_EUlSX_E1_NS1_11comp_targetILNS1_3genE2ELNS1_11target_archE906ELNS1_3gpuE6ELNS1_3repE0EEENS1_36merge_oddeven_config_static_selectorELNS0_4arch9wavefront6targetE1EEEvSJ_, .Lfunc_end1768-_ZN7rocprim17ROCPRIM_400000_NS6detail17trampoline_kernelINS0_14default_configENS1_38merge_sort_block_merge_config_selectorIiiEEZZNS1_27merge_sort_block_merge_implIS3_N6thrust23THRUST_200600_302600_NS6detail15normal_iteratorINS8_10device_ptrIiEEEESD_jNS1_19radix_merge_compareILb1ELb0EiNS0_19identity_decomposerEEEEE10hipError_tT0_T1_T2_jT3_P12ihipStream_tbPNSt15iterator_traitsISI_E10value_typeEPNSO_ISJ_E10value_typeEPSK_NS1_7vsmem_tEENKUlT_SI_SJ_SK_E_clISD_PiSD_S10_EESH_SX_SI_SJ_SK_EUlSX_E1_NS1_11comp_targetILNS1_3genE2ELNS1_11target_archE906ELNS1_3gpuE6ELNS1_3repE0EEENS1_36merge_oddeven_config_static_selectorELNS0_4arch9wavefront6targetE1EEEvSJ_
                                        ; -- End function
	.set _ZN7rocprim17ROCPRIM_400000_NS6detail17trampoline_kernelINS0_14default_configENS1_38merge_sort_block_merge_config_selectorIiiEEZZNS1_27merge_sort_block_merge_implIS3_N6thrust23THRUST_200600_302600_NS6detail15normal_iteratorINS8_10device_ptrIiEEEESD_jNS1_19radix_merge_compareILb1ELb0EiNS0_19identity_decomposerEEEEE10hipError_tT0_T1_T2_jT3_P12ihipStream_tbPNSt15iterator_traitsISI_E10value_typeEPNSO_ISJ_E10value_typeEPSK_NS1_7vsmem_tEENKUlT_SI_SJ_SK_E_clISD_PiSD_S10_EESH_SX_SI_SJ_SK_EUlSX_E1_NS1_11comp_targetILNS1_3genE2ELNS1_11target_archE906ELNS1_3gpuE6ELNS1_3repE0EEENS1_36merge_oddeven_config_static_selectorELNS0_4arch9wavefront6targetE1EEEvSJ_.num_vgpr, 0
	.set _ZN7rocprim17ROCPRIM_400000_NS6detail17trampoline_kernelINS0_14default_configENS1_38merge_sort_block_merge_config_selectorIiiEEZZNS1_27merge_sort_block_merge_implIS3_N6thrust23THRUST_200600_302600_NS6detail15normal_iteratorINS8_10device_ptrIiEEEESD_jNS1_19radix_merge_compareILb1ELb0EiNS0_19identity_decomposerEEEEE10hipError_tT0_T1_T2_jT3_P12ihipStream_tbPNSt15iterator_traitsISI_E10value_typeEPNSO_ISJ_E10value_typeEPSK_NS1_7vsmem_tEENKUlT_SI_SJ_SK_E_clISD_PiSD_S10_EESH_SX_SI_SJ_SK_EUlSX_E1_NS1_11comp_targetILNS1_3genE2ELNS1_11target_archE906ELNS1_3gpuE6ELNS1_3repE0EEENS1_36merge_oddeven_config_static_selectorELNS0_4arch9wavefront6targetE1EEEvSJ_.num_agpr, 0
	.set _ZN7rocprim17ROCPRIM_400000_NS6detail17trampoline_kernelINS0_14default_configENS1_38merge_sort_block_merge_config_selectorIiiEEZZNS1_27merge_sort_block_merge_implIS3_N6thrust23THRUST_200600_302600_NS6detail15normal_iteratorINS8_10device_ptrIiEEEESD_jNS1_19radix_merge_compareILb1ELb0EiNS0_19identity_decomposerEEEEE10hipError_tT0_T1_T2_jT3_P12ihipStream_tbPNSt15iterator_traitsISI_E10value_typeEPNSO_ISJ_E10value_typeEPSK_NS1_7vsmem_tEENKUlT_SI_SJ_SK_E_clISD_PiSD_S10_EESH_SX_SI_SJ_SK_EUlSX_E1_NS1_11comp_targetILNS1_3genE2ELNS1_11target_archE906ELNS1_3gpuE6ELNS1_3repE0EEENS1_36merge_oddeven_config_static_selectorELNS0_4arch9wavefront6targetE1EEEvSJ_.numbered_sgpr, 0
	.set _ZN7rocprim17ROCPRIM_400000_NS6detail17trampoline_kernelINS0_14default_configENS1_38merge_sort_block_merge_config_selectorIiiEEZZNS1_27merge_sort_block_merge_implIS3_N6thrust23THRUST_200600_302600_NS6detail15normal_iteratorINS8_10device_ptrIiEEEESD_jNS1_19radix_merge_compareILb1ELb0EiNS0_19identity_decomposerEEEEE10hipError_tT0_T1_T2_jT3_P12ihipStream_tbPNSt15iterator_traitsISI_E10value_typeEPNSO_ISJ_E10value_typeEPSK_NS1_7vsmem_tEENKUlT_SI_SJ_SK_E_clISD_PiSD_S10_EESH_SX_SI_SJ_SK_EUlSX_E1_NS1_11comp_targetILNS1_3genE2ELNS1_11target_archE906ELNS1_3gpuE6ELNS1_3repE0EEENS1_36merge_oddeven_config_static_selectorELNS0_4arch9wavefront6targetE1EEEvSJ_.num_named_barrier, 0
	.set _ZN7rocprim17ROCPRIM_400000_NS6detail17trampoline_kernelINS0_14default_configENS1_38merge_sort_block_merge_config_selectorIiiEEZZNS1_27merge_sort_block_merge_implIS3_N6thrust23THRUST_200600_302600_NS6detail15normal_iteratorINS8_10device_ptrIiEEEESD_jNS1_19radix_merge_compareILb1ELb0EiNS0_19identity_decomposerEEEEE10hipError_tT0_T1_T2_jT3_P12ihipStream_tbPNSt15iterator_traitsISI_E10value_typeEPNSO_ISJ_E10value_typeEPSK_NS1_7vsmem_tEENKUlT_SI_SJ_SK_E_clISD_PiSD_S10_EESH_SX_SI_SJ_SK_EUlSX_E1_NS1_11comp_targetILNS1_3genE2ELNS1_11target_archE906ELNS1_3gpuE6ELNS1_3repE0EEENS1_36merge_oddeven_config_static_selectorELNS0_4arch9wavefront6targetE1EEEvSJ_.private_seg_size, 0
	.set _ZN7rocprim17ROCPRIM_400000_NS6detail17trampoline_kernelINS0_14default_configENS1_38merge_sort_block_merge_config_selectorIiiEEZZNS1_27merge_sort_block_merge_implIS3_N6thrust23THRUST_200600_302600_NS6detail15normal_iteratorINS8_10device_ptrIiEEEESD_jNS1_19radix_merge_compareILb1ELb0EiNS0_19identity_decomposerEEEEE10hipError_tT0_T1_T2_jT3_P12ihipStream_tbPNSt15iterator_traitsISI_E10value_typeEPNSO_ISJ_E10value_typeEPSK_NS1_7vsmem_tEENKUlT_SI_SJ_SK_E_clISD_PiSD_S10_EESH_SX_SI_SJ_SK_EUlSX_E1_NS1_11comp_targetILNS1_3genE2ELNS1_11target_archE906ELNS1_3gpuE6ELNS1_3repE0EEENS1_36merge_oddeven_config_static_selectorELNS0_4arch9wavefront6targetE1EEEvSJ_.uses_vcc, 0
	.set _ZN7rocprim17ROCPRIM_400000_NS6detail17trampoline_kernelINS0_14default_configENS1_38merge_sort_block_merge_config_selectorIiiEEZZNS1_27merge_sort_block_merge_implIS3_N6thrust23THRUST_200600_302600_NS6detail15normal_iteratorINS8_10device_ptrIiEEEESD_jNS1_19radix_merge_compareILb1ELb0EiNS0_19identity_decomposerEEEEE10hipError_tT0_T1_T2_jT3_P12ihipStream_tbPNSt15iterator_traitsISI_E10value_typeEPNSO_ISJ_E10value_typeEPSK_NS1_7vsmem_tEENKUlT_SI_SJ_SK_E_clISD_PiSD_S10_EESH_SX_SI_SJ_SK_EUlSX_E1_NS1_11comp_targetILNS1_3genE2ELNS1_11target_archE906ELNS1_3gpuE6ELNS1_3repE0EEENS1_36merge_oddeven_config_static_selectorELNS0_4arch9wavefront6targetE1EEEvSJ_.uses_flat_scratch, 0
	.set _ZN7rocprim17ROCPRIM_400000_NS6detail17trampoline_kernelINS0_14default_configENS1_38merge_sort_block_merge_config_selectorIiiEEZZNS1_27merge_sort_block_merge_implIS3_N6thrust23THRUST_200600_302600_NS6detail15normal_iteratorINS8_10device_ptrIiEEEESD_jNS1_19radix_merge_compareILb1ELb0EiNS0_19identity_decomposerEEEEE10hipError_tT0_T1_T2_jT3_P12ihipStream_tbPNSt15iterator_traitsISI_E10value_typeEPNSO_ISJ_E10value_typeEPSK_NS1_7vsmem_tEENKUlT_SI_SJ_SK_E_clISD_PiSD_S10_EESH_SX_SI_SJ_SK_EUlSX_E1_NS1_11comp_targetILNS1_3genE2ELNS1_11target_archE906ELNS1_3gpuE6ELNS1_3repE0EEENS1_36merge_oddeven_config_static_selectorELNS0_4arch9wavefront6targetE1EEEvSJ_.has_dyn_sized_stack, 0
	.set _ZN7rocprim17ROCPRIM_400000_NS6detail17trampoline_kernelINS0_14default_configENS1_38merge_sort_block_merge_config_selectorIiiEEZZNS1_27merge_sort_block_merge_implIS3_N6thrust23THRUST_200600_302600_NS6detail15normal_iteratorINS8_10device_ptrIiEEEESD_jNS1_19radix_merge_compareILb1ELb0EiNS0_19identity_decomposerEEEEE10hipError_tT0_T1_T2_jT3_P12ihipStream_tbPNSt15iterator_traitsISI_E10value_typeEPNSO_ISJ_E10value_typeEPSK_NS1_7vsmem_tEENKUlT_SI_SJ_SK_E_clISD_PiSD_S10_EESH_SX_SI_SJ_SK_EUlSX_E1_NS1_11comp_targetILNS1_3genE2ELNS1_11target_archE906ELNS1_3gpuE6ELNS1_3repE0EEENS1_36merge_oddeven_config_static_selectorELNS0_4arch9wavefront6targetE1EEEvSJ_.has_recursion, 0
	.set _ZN7rocprim17ROCPRIM_400000_NS6detail17trampoline_kernelINS0_14default_configENS1_38merge_sort_block_merge_config_selectorIiiEEZZNS1_27merge_sort_block_merge_implIS3_N6thrust23THRUST_200600_302600_NS6detail15normal_iteratorINS8_10device_ptrIiEEEESD_jNS1_19radix_merge_compareILb1ELb0EiNS0_19identity_decomposerEEEEE10hipError_tT0_T1_T2_jT3_P12ihipStream_tbPNSt15iterator_traitsISI_E10value_typeEPNSO_ISJ_E10value_typeEPSK_NS1_7vsmem_tEENKUlT_SI_SJ_SK_E_clISD_PiSD_S10_EESH_SX_SI_SJ_SK_EUlSX_E1_NS1_11comp_targetILNS1_3genE2ELNS1_11target_archE906ELNS1_3gpuE6ELNS1_3repE0EEENS1_36merge_oddeven_config_static_selectorELNS0_4arch9wavefront6targetE1EEEvSJ_.has_indirect_call, 0
	.section	.AMDGPU.csdata,"",@progbits
; Kernel info:
; codeLenInByte = 0
; TotalNumSgprs: 6
; NumVgprs: 0
; NumAgprs: 0
; TotalNumVgprs: 0
; ScratchSize: 0
; MemoryBound: 0
; FloatMode: 240
; IeeeMode: 1
; LDSByteSize: 0 bytes/workgroup (compile time only)
; SGPRBlocks: 0
; VGPRBlocks: 0
; NumSGPRsForWavesPerEU: 6
; NumVGPRsForWavesPerEU: 1
; AccumOffset: 4
; Occupancy: 8
; WaveLimiterHint : 0
; COMPUTE_PGM_RSRC2:SCRATCH_EN: 0
; COMPUTE_PGM_RSRC2:USER_SGPR: 2
; COMPUTE_PGM_RSRC2:TRAP_HANDLER: 0
; COMPUTE_PGM_RSRC2:TGID_X_EN: 1
; COMPUTE_PGM_RSRC2:TGID_Y_EN: 0
; COMPUTE_PGM_RSRC2:TGID_Z_EN: 0
; COMPUTE_PGM_RSRC2:TIDIG_COMP_CNT: 0
; COMPUTE_PGM_RSRC3_GFX90A:ACCUM_OFFSET: 0
; COMPUTE_PGM_RSRC3_GFX90A:TG_SPLIT: 0
	.section	.text._ZN7rocprim17ROCPRIM_400000_NS6detail17trampoline_kernelINS0_14default_configENS1_38merge_sort_block_merge_config_selectorIiiEEZZNS1_27merge_sort_block_merge_implIS3_N6thrust23THRUST_200600_302600_NS6detail15normal_iteratorINS8_10device_ptrIiEEEESD_jNS1_19radix_merge_compareILb1ELb0EiNS0_19identity_decomposerEEEEE10hipError_tT0_T1_T2_jT3_P12ihipStream_tbPNSt15iterator_traitsISI_E10value_typeEPNSO_ISJ_E10value_typeEPSK_NS1_7vsmem_tEENKUlT_SI_SJ_SK_E_clISD_PiSD_S10_EESH_SX_SI_SJ_SK_EUlSX_E1_NS1_11comp_targetILNS1_3genE9ELNS1_11target_archE1100ELNS1_3gpuE3ELNS1_3repE0EEENS1_36merge_oddeven_config_static_selectorELNS0_4arch9wavefront6targetE1EEEvSJ_,"axG",@progbits,_ZN7rocprim17ROCPRIM_400000_NS6detail17trampoline_kernelINS0_14default_configENS1_38merge_sort_block_merge_config_selectorIiiEEZZNS1_27merge_sort_block_merge_implIS3_N6thrust23THRUST_200600_302600_NS6detail15normal_iteratorINS8_10device_ptrIiEEEESD_jNS1_19radix_merge_compareILb1ELb0EiNS0_19identity_decomposerEEEEE10hipError_tT0_T1_T2_jT3_P12ihipStream_tbPNSt15iterator_traitsISI_E10value_typeEPNSO_ISJ_E10value_typeEPSK_NS1_7vsmem_tEENKUlT_SI_SJ_SK_E_clISD_PiSD_S10_EESH_SX_SI_SJ_SK_EUlSX_E1_NS1_11comp_targetILNS1_3genE9ELNS1_11target_archE1100ELNS1_3gpuE3ELNS1_3repE0EEENS1_36merge_oddeven_config_static_selectorELNS0_4arch9wavefront6targetE1EEEvSJ_,comdat
	.protected	_ZN7rocprim17ROCPRIM_400000_NS6detail17trampoline_kernelINS0_14default_configENS1_38merge_sort_block_merge_config_selectorIiiEEZZNS1_27merge_sort_block_merge_implIS3_N6thrust23THRUST_200600_302600_NS6detail15normal_iteratorINS8_10device_ptrIiEEEESD_jNS1_19radix_merge_compareILb1ELb0EiNS0_19identity_decomposerEEEEE10hipError_tT0_T1_T2_jT3_P12ihipStream_tbPNSt15iterator_traitsISI_E10value_typeEPNSO_ISJ_E10value_typeEPSK_NS1_7vsmem_tEENKUlT_SI_SJ_SK_E_clISD_PiSD_S10_EESH_SX_SI_SJ_SK_EUlSX_E1_NS1_11comp_targetILNS1_3genE9ELNS1_11target_archE1100ELNS1_3gpuE3ELNS1_3repE0EEENS1_36merge_oddeven_config_static_selectorELNS0_4arch9wavefront6targetE1EEEvSJ_ ; -- Begin function _ZN7rocprim17ROCPRIM_400000_NS6detail17trampoline_kernelINS0_14default_configENS1_38merge_sort_block_merge_config_selectorIiiEEZZNS1_27merge_sort_block_merge_implIS3_N6thrust23THRUST_200600_302600_NS6detail15normal_iteratorINS8_10device_ptrIiEEEESD_jNS1_19radix_merge_compareILb1ELb0EiNS0_19identity_decomposerEEEEE10hipError_tT0_T1_T2_jT3_P12ihipStream_tbPNSt15iterator_traitsISI_E10value_typeEPNSO_ISJ_E10value_typeEPSK_NS1_7vsmem_tEENKUlT_SI_SJ_SK_E_clISD_PiSD_S10_EESH_SX_SI_SJ_SK_EUlSX_E1_NS1_11comp_targetILNS1_3genE9ELNS1_11target_archE1100ELNS1_3gpuE3ELNS1_3repE0EEENS1_36merge_oddeven_config_static_selectorELNS0_4arch9wavefront6targetE1EEEvSJ_
	.globl	_ZN7rocprim17ROCPRIM_400000_NS6detail17trampoline_kernelINS0_14default_configENS1_38merge_sort_block_merge_config_selectorIiiEEZZNS1_27merge_sort_block_merge_implIS3_N6thrust23THRUST_200600_302600_NS6detail15normal_iteratorINS8_10device_ptrIiEEEESD_jNS1_19radix_merge_compareILb1ELb0EiNS0_19identity_decomposerEEEEE10hipError_tT0_T1_T2_jT3_P12ihipStream_tbPNSt15iterator_traitsISI_E10value_typeEPNSO_ISJ_E10value_typeEPSK_NS1_7vsmem_tEENKUlT_SI_SJ_SK_E_clISD_PiSD_S10_EESH_SX_SI_SJ_SK_EUlSX_E1_NS1_11comp_targetILNS1_3genE9ELNS1_11target_archE1100ELNS1_3gpuE3ELNS1_3repE0EEENS1_36merge_oddeven_config_static_selectorELNS0_4arch9wavefront6targetE1EEEvSJ_
	.p2align	8
	.type	_ZN7rocprim17ROCPRIM_400000_NS6detail17trampoline_kernelINS0_14default_configENS1_38merge_sort_block_merge_config_selectorIiiEEZZNS1_27merge_sort_block_merge_implIS3_N6thrust23THRUST_200600_302600_NS6detail15normal_iteratorINS8_10device_ptrIiEEEESD_jNS1_19radix_merge_compareILb1ELb0EiNS0_19identity_decomposerEEEEE10hipError_tT0_T1_T2_jT3_P12ihipStream_tbPNSt15iterator_traitsISI_E10value_typeEPNSO_ISJ_E10value_typeEPSK_NS1_7vsmem_tEENKUlT_SI_SJ_SK_E_clISD_PiSD_S10_EESH_SX_SI_SJ_SK_EUlSX_E1_NS1_11comp_targetILNS1_3genE9ELNS1_11target_archE1100ELNS1_3gpuE3ELNS1_3repE0EEENS1_36merge_oddeven_config_static_selectorELNS0_4arch9wavefront6targetE1EEEvSJ_,@function
_ZN7rocprim17ROCPRIM_400000_NS6detail17trampoline_kernelINS0_14default_configENS1_38merge_sort_block_merge_config_selectorIiiEEZZNS1_27merge_sort_block_merge_implIS3_N6thrust23THRUST_200600_302600_NS6detail15normal_iteratorINS8_10device_ptrIiEEEESD_jNS1_19radix_merge_compareILb1ELb0EiNS0_19identity_decomposerEEEEE10hipError_tT0_T1_T2_jT3_P12ihipStream_tbPNSt15iterator_traitsISI_E10value_typeEPNSO_ISJ_E10value_typeEPSK_NS1_7vsmem_tEENKUlT_SI_SJ_SK_E_clISD_PiSD_S10_EESH_SX_SI_SJ_SK_EUlSX_E1_NS1_11comp_targetILNS1_3genE9ELNS1_11target_archE1100ELNS1_3gpuE3ELNS1_3repE0EEENS1_36merge_oddeven_config_static_selectorELNS0_4arch9wavefront6targetE1EEEvSJ_: ; @_ZN7rocprim17ROCPRIM_400000_NS6detail17trampoline_kernelINS0_14default_configENS1_38merge_sort_block_merge_config_selectorIiiEEZZNS1_27merge_sort_block_merge_implIS3_N6thrust23THRUST_200600_302600_NS6detail15normal_iteratorINS8_10device_ptrIiEEEESD_jNS1_19radix_merge_compareILb1ELb0EiNS0_19identity_decomposerEEEEE10hipError_tT0_T1_T2_jT3_P12ihipStream_tbPNSt15iterator_traitsISI_E10value_typeEPNSO_ISJ_E10value_typeEPSK_NS1_7vsmem_tEENKUlT_SI_SJ_SK_E_clISD_PiSD_S10_EESH_SX_SI_SJ_SK_EUlSX_E1_NS1_11comp_targetILNS1_3genE9ELNS1_11target_archE1100ELNS1_3gpuE3ELNS1_3repE0EEENS1_36merge_oddeven_config_static_selectorELNS0_4arch9wavefront6targetE1EEEvSJ_
; %bb.0:
	.section	.rodata,"a",@progbits
	.p2align	6, 0x0
	.amdhsa_kernel _ZN7rocprim17ROCPRIM_400000_NS6detail17trampoline_kernelINS0_14default_configENS1_38merge_sort_block_merge_config_selectorIiiEEZZNS1_27merge_sort_block_merge_implIS3_N6thrust23THRUST_200600_302600_NS6detail15normal_iteratorINS8_10device_ptrIiEEEESD_jNS1_19radix_merge_compareILb1ELb0EiNS0_19identity_decomposerEEEEE10hipError_tT0_T1_T2_jT3_P12ihipStream_tbPNSt15iterator_traitsISI_E10value_typeEPNSO_ISJ_E10value_typeEPSK_NS1_7vsmem_tEENKUlT_SI_SJ_SK_E_clISD_PiSD_S10_EESH_SX_SI_SJ_SK_EUlSX_E1_NS1_11comp_targetILNS1_3genE9ELNS1_11target_archE1100ELNS1_3gpuE3ELNS1_3repE0EEENS1_36merge_oddeven_config_static_selectorELNS0_4arch9wavefront6targetE1EEEvSJ_
		.amdhsa_group_segment_fixed_size 0
		.amdhsa_private_segment_fixed_size 0
		.amdhsa_kernarg_size 48
		.amdhsa_user_sgpr_count 2
		.amdhsa_user_sgpr_dispatch_ptr 0
		.amdhsa_user_sgpr_queue_ptr 0
		.amdhsa_user_sgpr_kernarg_segment_ptr 1
		.amdhsa_user_sgpr_dispatch_id 0
		.amdhsa_user_sgpr_kernarg_preload_length 0
		.amdhsa_user_sgpr_kernarg_preload_offset 0
		.amdhsa_user_sgpr_private_segment_size 0
		.amdhsa_uses_dynamic_stack 0
		.amdhsa_enable_private_segment 0
		.amdhsa_system_sgpr_workgroup_id_x 1
		.amdhsa_system_sgpr_workgroup_id_y 0
		.amdhsa_system_sgpr_workgroup_id_z 0
		.amdhsa_system_sgpr_workgroup_info 0
		.amdhsa_system_vgpr_workitem_id 0
		.amdhsa_next_free_vgpr 1
		.amdhsa_next_free_sgpr 0
		.amdhsa_accum_offset 4
		.amdhsa_reserve_vcc 0
		.amdhsa_float_round_mode_32 0
		.amdhsa_float_round_mode_16_64 0
		.amdhsa_float_denorm_mode_32 3
		.amdhsa_float_denorm_mode_16_64 3
		.amdhsa_dx10_clamp 1
		.amdhsa_ieee_mode 1
		.amdhsa_fp16_overflow 0
		.amdhsa_tg_split 0
		.amdhsa_exception_fp_ieee_invalid_op 0
		.amdhsa_exception_fp_denorm_src 0
		.amdhsa_exception_fp_ieee_div_zero 0
		.amdhsa_exception_fp_ieee_overflow 0
		.amdhsa_exception_fp_ieee_underflow 0
		.amdhsa_exception_fp_ieee_inexact 0
		.amdhsa_exception_int_div_zero 0
	.end_amdhsa_kernel
	.section	.text._ZN7rocprim17ROCPRIM_400000_NS6detail17trampoline_kernelINS0_14default_configENS1_38merge_sort_block_merge_config_selectorIiiEEZZNS1_27merge_sort_block_merge_implIS3_N6thrust23THRUST_200600_302600_NS6detail15normal_iteratorINS8_10device_ptrIiEEEESD_jNS1_19radix_merge_compareILb1ELb0EiNS0_19identity_decomposerEEEEE10hipError_tT0_T1_T2_jT3_P12ihipStream_tbPNSt15iterator_traitsISI_E10value_typeEPNSO_ISJ_E10value_typeEPSK_NS1_7vsmem_tEENKUlT_SI_SJ_SK_E_clISD_PiSD_S10_EESH_SX_SI_SJ_SK_EUlSX_E1_NS1_11comp_targetILNS1_3genE9ELNS1_11target_archE1100ELNS1_3gpuE3ELNS1_3repE0EEENS1_36merge_oddeven_config_static_selectorELNS0_4arch9wavefront6targetE1EEEvSJ_,"axG",@progbits,_ZN7rocprim17ROCPRIM_400000_NS6detail17trampoline_kernelINS0_14default_configENS1_38merge_sort_block_merge_config_selectorIiiEEZZNS1_27merge_sort_block_merge_implIS3_N6thrust23THRUST_200600_302600_NS6detail15normal_iteratorINS8_10device_ptrIiEEEESD_jNS1_19radix_merge_compareILb1ELb0EiNS0_19identity_decomposerEEEEE10hipError_tT0_T1_T2_jT3_P12ihipStream_tbPNSt15iterator_traitsISI_E10value_typeEPNSO_ISJ_E10value_typeEPSK_NS1_7vsmem_tEENKUlT_SI_SJ_SK_E_clISD_PiSD_S10_EESH_SX_SI_SJ_SK_EUlSX_E1_NS1_11comp_targetILNS1_3genE9ELNS1_11target_archE1100ELNS1_3gpuE3ELNS1_3repE0EEENS1_36merge_oddeven_config_static_selectorELNS0_4arch9wavefront6targetE1EEEvSJ_,comdat
.Lfunc_end1769:
	.size	_ZN7rocprim17ROCPRIM_400000_NS6detail17trampoline_kernelINS0_14default_configENS1_38merge_sort_block_merge_config_selectorIiiEEZZNS1_27merge_sort_block_merge_implIS3_N6thrust23THRUST_200600_302600_NS6detail15normal_iteratorINS8_10device_ptrIiEEEESD_jNS1_19radix_merge_compareILb1ELb0EiNS0_19identity_decomposerEEEEE10hipError_tT0_T1_T2_jT3_P12ihipStream_tbPNSt15iterator_traitsISI_E10value_typeEPNSO_ISJ_E10value_typeEPSK_NS1_7vsmem_tEENKUlT_SI_SJ_SK_E_clISD_PiSD_S10_EESH_SX_SI_SJ_SK_EUlSX_E1_NS1_11comp_targetILNS1_3genE9ELNS1_11target_archE1100ELNS1_3gpuE3ELNS1_3repE0EEENS1_36merge_oddeven_config_static_selectorELNS0_4arch9wavefront6targetE1EEEvSJ_, .Lfunc_end1769-_ZN7rocprim17ROCPRIM_400000_NS6detail17trampoline_kernelINS0_14default_configENS1_38merge_sort_block_merge_config_selectorIiiEEZZNS1_27merge_sort_block_merge_implIS3_N6thrust23THRUST_200600_302600_NS6detail15normal_iteratorINS8_10device_ptrIiEEEESD_jNS1_19radix_merge_compareILb1ELb0EiNS0_19identity_decomposerEEEEE10hipError_tT0_T1_T2_jT3_P12ihipStream_tbPNSt15iterator_traitsISI_E10value_typeEPNSO_ISJ_E10value_typeEPSK_NS1_7vsmem_tEENKUlT_SI_SJ_SK_E_clISD_PiSD_S10_EESH_SX_SI_SJ_SK_EUlSX_E1_NS1_11comp_targetILNS1_3genE9ELNS1_11target_archE1100ELNS1_3gpuE3ELNS1_3repE0EEENS1_36merge_oddeven_config_static_selectorELNS0_4arch9wavefront6targetE1EEEvSJ_
                                        ; -- End function
	.set _ZN7rocprim17ROCPRIM_400000_NS6detail17trampoline_kernelINS0_14default_configENS1_38merge_sort_block_merge_config_selectorIiiEEZZNS1_27merge_sort_block_merge_implIS3_N6thrust23THRUST_200600_302600_NS6detail15normal_iteratorINS8_10device_ptrIiEEEESD_jNS1_19radix_merge_compareILb1ELb0EiNS0_19identity_decomposerEEEEE10hipError_tT0_T1_T2_jT3_P12ihipStream_tbPNSt15iterator_traitsISI_E10value_typeEPNSO_ISJ_E10value_typeEPSK_NS1_7vsmem_tEENKUlT_SI_SJ_SK_E_clISD_PiSD_S10_EESH_SX_SI_SJ_SK_EUlSX_E1_NS1_11comp_targetILNS1_3genE9ELNS1_11target_archE1100ELNS1_3gpuE3ELNS1_3repE0EEENS1_36merge_oddeven_config_static_selectorELNS0_4arch9wavefront6targetE1EEEvSJ_.num_vgpr, 0
	.set _ZN7rocprim17ROCPRIM_400000_NS6detail17trampoline_kernelINS0_14default_configENS1_38merge_sort_block_merge_config_selectorIiiEEZZNS1_27merge_sort_block_merge_implIS3_N6thrust23THRUST_200600_302600_NS6detail15normal_iteratorINS8_10device_ptrIiEEEESD_jNS1_19radix_merge_compareILb1ELb0EiNS0_19identity_decomposerEEEEE10hipError_tT0_T1_T2_jT3_P12ihipStream_tbPNSt15iterator_traitsISI_E10value_typeEPNSO_ISJ_E10value_typeEPSK_NS1_7vsmem_tEENKUlT_SI_SJ_SK_E_clISD_PiSD_S10_EESH_SX_SI_SJ_SK_EUlSX_E1_NS1_11comp_targetILNS1_3genE9ELNS1_11target_archE1100ELNS1_3gpuE3ELNS1_3repE0EEENS1_36merge_oddeven_config_static_selectorELNS0_4arch9wavefront6targetE1EEEvSJ_.num_agpr, 0
	.set _ZN7rocprim17ROCPRIM_400000_NS6detail17trampoline_kernelINS0_14default_configENS1_38merge_sort_block_merge_config_selectorIiiEEZZNS1_27merge_sort_block_merge_implIS3_N6thrust23THRUST_200600_302600_NS6detail15normal_iteratorINS8_10device_ptrIiEEEESD_jNS1_19radix_merge_compareILb1ELb0EiNS0_19identity_decomposerEEEEE10hipError_tT0_T1_T2_jT3_P12ihipStream_tbPNSt15iterator_traitsISI_E10value_typeEPNSO_ISJ_E10value_typeEPSK_NS1_7vsmem_tEENKUlT_SI_SJ_SK_E_clISD_PiSD_S10_EESH_SX_SI_SJ_SK_EUlSX_E1_NS1_11comp_targetILNS1_3genE9ELNS1_11target_archE1100ELNS1_3gpuE3ELNS1_3repE0EEENS1_36merge_oddeven_config_static_selectorELNS0_4arch9wavefront6targetE1EEEvSJ_.numbered_sgpr, 0
	.set _ZN7rocprim17ROCPRIM_400000_NS6detail17trampoline_kernelINS0_14default_configENS1_38merge_sort_block_merge_config_selectorIiiEEZZNS1_27merge_sort_block_merge_implIS3_N6thrust23THRUST_200600_302600_NS6detail15normal_iteratorINS8_10device_ptrIiEEEESD_jNS1_19radix_merge_compareILb1ELb0EiNS0_19identity_decomposerEEEEE10hipError_tT0_T1_T2_jT3_P12ihipStream_tbPNSt15iterator_traitsISI_E10value_typeEPNSO_ISJ_E10value_typeEPSK_NS1_7vsmem_tEENKUlT_SI_SJ_SK_E_clISD_PiSD_S10_EESH_SX_SI_SJ_SK_EUlSX_E1_NS1_11comp_targetILNS1_3genE9ELNS1_11target_archE1100ELNS1_3gpuE3ELNS1_3repE0EEENS1_36merge_oddeven_config_static_selectorELNS0_4arch9wavefront6targetE1EEEvSJ_.num_named_barrier, 0
	.set _ZN7rocprim17ROCPRIM_400000_NS6detail17trampoline_kernelINS0_14default_configENS1_38merge_sort_block_merge_config_selectorIiiEEZZNS1_27merge_sort_block_merge_implIS3_N6thrust23THRUST_200600_302600_NS6detail15normal_iteratorINS8_10device_ptrIiEEEESD_jNS1_19radix_merge_compareILb1ELb0EiNS0_19identity_decomposerEEEEE10hipError_tT0_T1_T2_jT3_P12ihipStream_tbPNSt15iterator_traitsISI_E10value_typeEPNSO_ISJ_E10value_typeEPSK_NS1_7vsmem_tEENKUlT_SI_SJ_SK_E_clISD_PiSD_S10_EESH_SX_SI_SJ_SK_EUlSX_E1_NS1_11comp_targetILNS1_3genE9ELNS1_11target_archE1100ELNS1_3gpuE3ELNS1_3repE0EEENS1_36merge_oddeven_config_static_selectorELNS0_4arch9wavefront6targetE1EEEvSJ_.private_seg_size, 0
	.set _ZN7rocprim17ROCPRIM_400000_NS6detail17trampoline_kernelINS0_14default_configENS1_38merge_sort_block_merge_config_selectorIiiEEZZNS1_27merge_sort_block_merge_implIS3_N6thrust23THRUST_200600_302600_NS6detail15normal_iteratorINS8_10device_ptrIiEEEESD_jNS1_19radix_merge_compareILb1ELb0EiNS0_19identity_decomposerEEEEE10hipError_tT0_T1_T2_jT3_P12ihipStream_tbPNSt15iterator_traitsISI_E10value_typeEPNSO_ISJ_E10value_typeEPSK_NS1_7vsmem_tEENKUlT_SI_SJ_SK_E_clISD_PiSD_S10_EESH_SX_SI_SJ_SK_EUlSX_E1_NS1_11comp_targetILNS1_3genE9ELNS1_11target_archE1100ELNS1_3gpuE3ELNS1_3repE0EEENS1_36merge_oddeven_config_static_selectorELNS0_4arch9wavefront6targetE1EEEvSJ_.uses_vcc, 0
	.set _ZN7rocprim17ROCPRIM_400000_NS6detail17trampoline_kernelINS0_14default_configENS1_38merge_sort_block_merge_config_selectorIiiEEZZNS1_27merge_sort_block_merge_implIS3_N6thrust23THRUST_200600_302600_NS6detail15normal_iteratorINS8_10device_ptrIiEEEESD_jNS1_19radix_merge_compareILb1ELb0EiNS0_19identity_decomposerEEEEE10hipError_tT0_T1_T2_jT3_P12ihipStream_tbPNSt15iterator_traitsISI_E10value_typeEPNSO_ISJ_E10value_typeEPSK_NS1_7vsmem_tEENKUlT_SI_SJ_SK_E_clISD_PiSD_S10_EESH_SX_SI_SJ_SK_EUlSX_E1_NS1_11comp_targetILNS1_3genE9ELNS1_11target_archE1100ELNS1_3gpuE3ELNS1_3repE0EEENS1_36merge_oddeven_config_static_selectorELNS0_4arch9wavefront6targetE1EEEvSJ_.uses_flat_scratch, 0
	.set _ZN7rocprim17ROCPRIM_400000_NS6detail17trampoline_kernelINS0_14default_configENS1_38merge_sort_block_merge_config_selectorIiiEEZZNS1_27merge_sort_block_merge_implIS3_N6thrust23THRUST_200600_302600_NS6detail15normal_iteratorINS8_10device_ptrIiEEEESD_jNS1_19radix_merge_compareILb1ELb0EiNS0_19identity_decomposerEEEEE10hipError_tT0_T1_T2_jT3_P12ihipStream_tbPNSt15iterator_traitsISI_E10value_typeEPNSO_ISJ_E10value_typeEPSK_NS1_7vsmem_tEENKUlT_SI_SJ_SK_E_clISD_PiSD_S10_EESH_SX_SI_SJ_SK_EUlSX_E1_NS1_11comp_targetILNS1_3genE9ELNS1_11target_archE1100ELNS1_3gpuE3ELNS1_3repE0EEENS1_36merge_oddeven_config_static_selectorELNS0_4arch9wavefront6targetE1EEEvSJ_.has_dyn_sized_stack, 0
	.set _ZN7rocprim17ROCPRIM_400000_NS6detail17trampoline_kernelINS0_14default_configENS1_38merge_sort_block_merge_config_selectorIiiEEZZNS1_27merge_sort_block_merge_implIS3_N6thrust23THRUST_200600_302600_NS6detail15normal_iteratorINS8_10device_ptrIiEEEESD_jNS1_19radix_merge_compareILb1ELb0EiNS0_19identity_decomposerEEEEE10hipError_tT0_T1_T2_jT3_P12ihipStream_tbPNSt15iterator_traitsISI_E10value_typeEPNSO_ISJ_E10value_typeEPSK_NS1_7vsmem_tEENKUlT_SI_SJ_SK_E_clISD_PiSD_S10_EESH_SX_SI_SJ_SK_EUlSX_E1_NS1_11comp_targetILNS1_3genE9ELNS1_11target_archE1100ELNS1_3gpuE3ELNS1_3repE0EEENS1_36merge_oddeven_config_static_selectorELNS0_4arch9wavefront6targetE1EEEvSJ_.has_recursion, 0
	.set _ZN7rocprim17ROCPRIM_400000_NS6detail17trampoline_kernelINS0_14default_configENS1_38merge_sort_block_merge_config_selectorIiiEEZZNS1_27merge_sort_block_merge_implIS3_N6thrust23THRUST_200600_302600_NS6detail15normal_iteratorINS8_10device_ptrIiEEEESD_jNS1_19radix_merge_compareILb1ELb0EiNS0_19identity_decomposerEEEEE10hipError_tT0_T1_T2_jT3_P12ihipStream_tbPNSt15iterator_traitsISI_E10value_typeEPNSO_ISJ_E10value_typeEPSK_NS1_7vsmem_tEENKUlT_SI_SJ_SK_E_clISD_PiSD_S10_EESH_SX_SI_SJ_SK_EUlSX_E1_NS1_11comp_targetILNS1_3genE9ELNS1_11target_archE1100ELNS1_3gpuE3ELNS1_3repE0EEENS1_36merge_oddeven_config_static_selectorELNS0_4arch9wavefront6targetE1EEEvSJ_.has_indirect_call, 0
	.section	.AMDGPU.csdata,"",@progbits
; Kernel info:
; codeLenInByte = 0
; TotalNumSgprs: 6
; NumVgprs: 0
; NumAgprs: 0
; TotalNumVgprs: 0
; ScratchSize: 0
; MemoryBound: 0
; FloatMode: 240
; IeeeMode: 1
; LDSByteSize: 0 bytes/workgroup (compile time only)
; SGPRBlocks: 0
; VGPRBlocks: 0
; NumSGPRsForWavesPerEU: 6
; NumVGPRsForWavesPerEU: 1
; AccumOffset: 4
; Occupancy: 8
; WaveLimiterHint : 0
; COMPUTE_PGM_RSRC2:SCRATCH_EN: 0
; COMPUTE_PGM_RSRC2:USER_SGPR: 2
; COMPUTE_PGM_RSRC2:TRAP_HANDLER: 0
; COMPUTE_PGM_RSRC2:TGID_X_EN: 1
; COMPUTE_PGM_RSRC2:TGID_Y_EN: 0
; COMPUTE_PGM_RSRC2:TGID_Z_EN: 0
; COMPUTE_PGM_RSRC2:TIDIG_COMP_CNT: 0
; COMPUTE_PGM_RSRC3_GFX90A:ACCUM_OFFSET: 0
; COMPUTE_PGM_RSRC3_GFX90A:TG_SPLIT: 0
	.section	.text._ZN7rocprim17ROCPRIM_400000_NS6detail17trampoline_kernelINS0_14default_configENS1_38merge_sort_block_merge_config_selectorIiiEEZZNS1_27merge_sort_block_merge_implIS3_N6thrust23THRUST_200600_302600_NS6detail15normal_iteratorINS8_10device_ptrIiEEEESD_jNS1_19radix_merge_compareILb1ELb0EiNS0_19identity_decomposerEEEEE10hipError_tT0_T1_T2_jT3_P12ihipStream_tbPNSt15iterator_traitsISI_E10value_typeEPNSO_ISJ_E10value_typeEPSK_NS1_7vsmem_tEENKUlT_SI_SJ_SK_E_clISD_PiSD_S10_EESH_SX_SI_SJ_SK_EUlSX_E1_NS1_11comp_targetILNS1_3genE8ELNS1_11target_archE1030ELNS1_3gpuE2ELNS1_3repE0EEENS1_36merge_oddeven_config_static_selectorELNS0_4arch9wavefront6targetE1EEEvSJ_,"axG",@progbits,_ZN7rocprim17ROCPRIM_400000_NS6detail17trampoline_kernelINS0_14default_configENS1_38merge_sort_block_merge_config_selectorIiiEEZZNS1_27merge_sort_block_merge_implIS3_N6thrust23THRUST_200600_302600_NS6detail15normal_iteratorINS8_10device_ptrIiEEEESD_jNS1_19radix_merge_compareILb1ELb0EiNS0_19identity_decomposerEEEEE10hipError_tT0_T1_T2_jT3_P12ihipStream_tbPNSt15iterator_traitsISI_E10value_typeEPNSO_ISJ_E10value_typeEPSK_NS1_7vsmem_tEENKUlT_SI_SJ_SK_E_clISD_PiSD_S10_EESH_SX_SI_SJ_SK_EUlSX_E1_NS1_11comp_targetILNS1_3genE8ELNS1_11target_archE1030ELNS1_3gpuE2ELNS1_3repE0EEENS1_36merge_oddeven_config_static_selectorELNS0_4arch9wavefront6targetE1EEEvSJ_,comdat
	.protected	_ZN7rocprim17ROCPRIM_400000_NS6detail17trampoline_kernelINS0_14default_configENS1_38merge_sort_block_merge_config_selectorIiiEEZZNS1_27merge_sort_block_merge_implIS3_N6thrust23THRUST_200600_302600_NS6detail15normal_iteratorINS8_10device_ptrIiEEEESD_jNS1_19radix_merge_compareILb1ELb0EiNS0_19identity_decomposerEEEEE10hipError_tT0_T1_T2_jT3_P12ihipStream_tbPNSt15iterator_traitsISI_E10value_typeEPNSO_ISJ_E10value_typeEPSK_NS1_7vsmem_tEENKUlT_SI_SJ_SK_E_clISD_PiSD_S10_EESH_SX_SI_SJ_SK_EUlSX_E1_NS1_11comp_targetILNS1_3genE8ELNS1_11target_archE1030ELNS1_3gpuE2ELNS1_3repE0EEENS1_36merge_oddeven_config_static_selectorELNS0_4arch9wavefront6targetE1EEEvSJ_ ; -- Begin function _ZN7rocprim17ROCPRIM_400000_NS6detail17trampoline_kernelINS0_14default_configENS1_38merge_sort_block_merge_config_selectorIiiEEZZNS1_27merge_sort_block_merge_implIS3_N6thrust23THRUST_200600_302600_NS6detail15normal_iteratorINS8_10device_ptrIiEEEESD_jNS1_19radix_merge_compareILb1ELb0EiNS0_19identity_decomposerEEEEE10hipError_tT0_T1_T2_jT3_P12ihipStream_tbPNSt15iterator_traitsISI_E10value_typeEPNSO_ISJ_E10value_typeEPSK_NS1_7vsmem_tEENKUlT_SI_SJ_SK_E_clISD_PiSD_S10_EESH_SX_SI_SJ_SK_EUlSX_E1_NS1_11comp_targetILNS1_3genE8ELNS1_11target_archE1030ELNS1_3gpuE2ELNS1_3repE0EEENS1_36merge_oddeven_config_static_selectorELNS0_4arch9wavefront6targetE1EEEvSJ_
	.globl	_ZN7rocprim17ROCPRIM_400000_NS6detail17trampoline_kernelINS0_14default_configENS1_38merge_sort_block_merge_config_selectorIiiEEZZNS1_27merge_sort_block_merge_implIS3_N6thrust23THRUST_200600_302600_NS6detail15normal_iteratorINS8_10device_ptrIiEEEESD_jNS1_19radix_merge_compareILb1ELb0EiNS0_19identity_decomposerEEEEE10hipError_tT0_T1_T2_jT3_P12ihipStream_tbPNSt15iterator_traitsISI_E10value_typeEPNSO_ISJ_E10value_typeEPSK_NS1_7vsmem_tEENKUlT_SI_SJ_SK_E_clISD_PiSD_S10_EESH_SX_SI_SJ_SK_EUlSX_E1_NS1_11comp_targetILNS1_3genE8ELNS1_11target_archE1030ELNS1_3gpuE2ELNS1_3repE0EEENS1_36merge_oddeven_config_static_selectorELNS0_4arch9wavefront6targetE1EEEvSJ_
	.p2align	8
	.type	_ZN7rocprim17ROCPRIM_400000_NS6detail17trampoline_kernelINS0_14default_configENS1_38merge_sort_block_merge_config_selectorIiiEEZZNS1_27merge_sort_block_merge_implIS3_N6thrust23THRUST_200600_302600_NS6detail15normal_iteratorINS8_10device_ptrIiEEEESD_jNS1_19radix_merge_compareILb1ELb0EiNS0_19identity_decomposerEEEEE10hipError_tT0_T1_T2_jT3_P12ihipStream_tbPNSt15iterator_traitsISI_E10value_typeEPNSO_ISJ_E10value_typeEPSK_NS1_7vsmem_tEENKUlT_SI_SJ_SK_E_clISD_PiSD_S10_EESH_SX_SI_SJ_SK_EUlSX_E1_NS1_11comp_targetILNS1_3genE8ELNS1_11target_archE1030ELNS1_3gpuE2ELNS1_3repE0EEENS1_36merge_oddeven_config_static_selectorELNS0_4arch9wavefront6targetE1EEEvSJ_,@function
_ZN7rocprim17ROCPRIM_400000_NS6detail17trampoline_kernelINS0_14default_configENS1_38merge_sort_block_merge_config_selectorIiiEEZZNS1_27merge_sort_block_merge_implIS3_N6thrust23THRUST_200600_302600_NS6detail15normal_iteratorINS8_10device_ptrIiEEEESD_jNS1_19radix_merge_compareILb1ELb0EiNS0_19identity_decomposerEEEEE10hipError_tT0_T1_T2_jT3_P12ihipStream_tbPNSt15iterator_traitsISI_E10value_typeEPNSO_ISJ_E10value_typeEPSK_NS1_7vsmem_tEENKUlT_SI_SJ_SK_E_clISD_PiSD_S10_EESH_SX_SI_SJ_SK_EUlSX_E1_NS1_11comp_targetILNS1_3genE8ELNS1_11target_archE1030ELNS1_3gpuE2ELNS1_3repE0EEENS1_36merge_oddeven_config_static_selectorELNS0_4arch9wavefront6targetE1EEEvSJ_: ; @_ZN7rocprim17ROCPRIM_400000_NS6detail17trampoline_kernelINS0_14default_configENS1_38merge_sort_block_merge_config_selectorIiiEEZZNS1_27merge_sort_block_merge_implIS3_N6thrust23THRUST_200600_302600_NS6detail15normal_iteratorINS8_10device_ptrIiEEEESD_jNS1_19radix_merge_compareILb1ELb0EiNS0_19identity_decomposerEEEEE10hipError_tT0_T1_T2_jT3_P12ihipStream_tbPNSt15iterator_traitsISI_E10value_typeEPNSO_ISJ_E10value_typeEPSK_NS1_7vsmem_tEENKUlT_SI_SJ_SK_E_clISD_PiSD_S10_EESH_SX_SI_SJ_SK_EUlSX_E1_NS1_11comp_targetILNS1_3genE8ELNS1_11target_archE1030ELNS1_3gpuE2ELNS1_3repE0EEENS1_36merge_oddeven_config_static_selectorELNS0_4arch9wavefront6targetE1EEEvSJ_
; %bb.0:
	.section	.rodata,"a",@progbits
	.p2align	6, 0x0
	.amdhsa_kernel _ZN7rocprim17ROCPRIM_400000_NS6detail17trampoline_kernelINS0_14default_configENS1_38merge_sort_block_merge_config_selectorIiiEEZZNS1_27merge_sort_block_merge_implIS3_N6thrust23THRUST_200600_302600_NS6detail15normal_iteratorINS8_10device_ptrIiEEEESD_jNS1_19radix_merge_compareILb1ELb0EiNS0_19identity_decomposerEEEEE10hipError_tT0_T1_T2_jT3_P12ihipStream_tbPNSt15iterator_traitsISI_E10value_typeEPNSO_ISJ_E10value_typeEPSK_NS1_7vsmem_tEENKUlT_SI_SJ_SK_E_clISD_PiSD_S10_EESH_SX_SI_SJ_SK_EUlSX_E1_NS1_11comp_targetILNS1_3genE8ELNS1_11target_archE1030ELNS1_3gpuE2ELNS1_3repE0EEENS1_36merge_oddeven_config_static_selectorELNS0_4arch9wavefront6targetE1EEEvSJ_
		.amdhsa_group_segment_fixed_size 0
		.amdhsa_private_segment_fixed_size 0
		.amdhsa_kernarg_size 48
		.amdhsa_user_sgpr_count 2
		.amdhsa_user_sgpr_dispatch_ptr 0
		.amdhsa_user_sgpr_queue_ptr 0
		.amdhsa_user_sgpr_kernarg_segment_ptr 1
		.amdhsa_user_sgpr_dispatch_id 0
		.amdhsa_user_sgpr_kernarg_preload_length 0
		.amdhsa_user_sgpr_kernarg_preload_offset 0
		.amdhsa_user_sgpr_private_segment_size 0
		.amdhsa_uses_dynamic_stack 0
		.amdhsa_enable_private_segment 0
		.amdhsa_system_sgpr_workgroup_id_x 1
		.amdhsa_system_sgpr_workgroup_id_y 0
		.amdhsa_system_sgpr_workgroup_id_z 0
		.amdhsa_system_sgpr_workgroup_info 0
		.amdhsa_system_vgpr_workitem_id 0
		.amdhsa_next_free_vgpr 1
		.amdhsa_next_free_sgpr 0
		.amdhsa_accum_offset 4
		.amdhsa_reserve_vcc 0
		.amdhsa_float_round_mode_32 0
		.amdhsa_float_round_mode_16_64 0
		.amdhsa_float_denorm_mode_32 3
		.amdhsa_float_denorm_mode_16_64 3
		.amdhsa_dx10_clamp 1
		.amdhsa_ieee_mode 1
		.amdhsa_fp16_overflow 0
		.amdhsa_tg_split 0
		.amdhsa_exception_fp_ieee_invalid_op 0
		.amdhsa_exception_fp_denorm_src 0
		.amdhsa_exception_fp_ieee_div_zero 0
		.amdhsa_exception_fp_ieee_overflow 0
		.amdhsa_exception_fp_ieee_underflow 0
		.amdhsa_exception_fp_ieee_inexact 0
		.amdhsa_exception_int_div_zero 0
	.end_amdhsa_kernel
	.section	.text._ZN7rocprim17ROCPRIM_400000_NS6detail17trampoline_kernelINS0_14default_configENS1_38merge_sort_block_merge_config_selectorIiiEEZZNS1_27merge_sort_block_merge_implIS3_N6thrust23THRUST_200600_302600_NS6detail15normal_iteratorINS8_10device_ptrIiEEEESD_jNS1_19radix_merge_compareILb1ELb0EiNS0_19identity_decomposerEEEEE10hipError_tT0_T1_T2_jT3_P12ihipStream_tbPNSt15iterator_traitsISI_E10value_typeEPNSO_ISJ_E10value_typeEPSK_NS1_7vsmem_tEENKUlT_SI_SJ_SK_E_clISD_PiSD_S10_EESH_SX_SI_SJ_SK_EUlSX_E1_NS1_11comp_targetILNS1_3genE8ELNS1_11target_archE1030ELNS1_3gpuE2ELNS1_3repE0EEENS1_36merge_oddeven_config_static_selectorELNS0_4arch9wavefront6targetE1EEEvSJ_,"axG",@progbits,_ZN7rocprim17ROCPRIM_400000_NS6detail17trampoline_kernelINS0_14default_configENS1_38merge_sort_block_merge_config_selectorIiiEEZZNS1_27merge_sort_block_merge_implIS3_N6thrust23THRUST_200600_302600_NS6detail15normal_iteratorINS8_10device_ptrIiEEEESD_jNS1_19radix_merge_compareILb1ELb0EiNS0_19identity_decomposerEEEEE10hipError_tT0_T1_T2_jT3_P12ihipStream_tbPNSt15iterator_traitsISI_E10value_typeEPNSO_ISJ_E10value_typeEPSK_NS1_7vsmem_tEENKUlT_SI_SJ_SK_E_clISD_PiSD_S10_EESH_SX_SI_SJ_SK_EUlSX_E1_NS1_11comp_targetILNS1_3genE8ELNS1_11target_archE1030ELNS1_3gpuE2ELNS1_3repE0EEENS1_36merge_oddeven_config_static_selectorELNS0_4arch9wavefront6targetE1EEEvSJ_,comdat
.Lfunc_end1770:
	.size	_ZN7rocprim17ROCPRIM_400000_NS6detail17trampoline_kernelINS0_14default_configENS1_38merge_sort_block_merge_config_selectorIiiEEZZNS1_27merge_sort_block_merge_implIS3_N6thrust23THRUST_200600_302600_NS6detail15normal_iteratorINS8_10device_ptrIiEEEESD_jNS1_19radix_merge_compareILb1ELb0EiNS0_19identity_decomposerEEEEE10hipError_tT0_T1_T2_jT3_P12ihipStream_tbPNSt15iterator_traitsISI_E10value_typeEPNSO_ISJ_E10value_typeEPSK_NS1_7vsmem_tEENKUlT_SI_SJ_SK_E_clISD_PiSD_S10_EESH_SX_SI_SJ_SK_EUlSX_E1_NS1_11comp_targetILNS1_3genE8ELNS1_11target_archE1030ELNS1_3gpuE2ELNS1_3repE0EEENS1_36merge_oddeven_config_static_selectorELNS0_4arch9wavefront6targetE1EEEvSJ_, .Lfunc_end1770-_ZN7rocprim17ROCPRIM_400000_NS6detail17trampoline_kernelINS0_14default_configENS1_38merge_sort_block_merge_config_selectorIiiEEZZNS1_27merge_sort_block_merge_implIS3_N6thrust23THRUST_200600_302600_NS6detail15normal_iteratorINS8_10device_ptrIiEEEESD_jNS1_19radix_merge_compareILb1ELb0EiNS0_19identity_decomposerEEEEE10hipError_tT0_T1_T2_jT3_P12ihipStream_tbPNSt15iterator_traitsISI_E10value_typeEPNSO_ISJ_E10value_typeEPSK_NS1_7vsmem_tEENKUlT_SI_SJ_SK_E_clISD_PiSD_S10_EESH_SX_SI_SJ_SK_EUlSX_E1_NS1_11comp_targetILNS1_3genE8ELNS1_11target_archE1030ELNS1_3gpuE2ELNS1_3repE0EEENS1_36merge_oddeven_config_static_selectorELNS0_4arch9wavefront6targetE1EEEvSJ_
                                        ; -- End function
	.set _ZN7rocprim17ROCPRIM_400000_NS6detail17trampoline_kernelINS0_14default_configENS1_38merge_sort_block_merge_config_selectorIiiEEZZNS1_27merge_sort_block_merge_implIS3_N6thrust23THRUST_200600_302600_NS6detail15normal_iteratorINS8_10device_ptrIiEEEESD_jNS1_19radix_merge_compareILb1ELb0EiNS0_19identity_decomposerEEEEE10hipError_tT0_T1_T2_jT3_P12ihipStream_tbPNSt15iterator_traitsISI_E10value_typeEPNSO_ISJ_E10value_typeEPSK_NS1_7vsmem_tEENKUlT_SI_SJ_SK_E_clISD_PiSD_S10_EESH_SX_SI_SJ_SK_EUlSX_E1_NS1_11comp_targetILNS1_3genE8ELNS1_11target_archE1030ELNS1_3gpuE2ELNS1_3repE0EEENS1_36merge_oddeven_config_static_selectorELNS0_4arch9wavefront6targetE1EEEvSJ_.num_vgpr, 0
	.set _ZN7rocprim17ROCPRIM_400000_NS6detail17trampoline_kernelINS0_14default_configENS1_38merge_sort_block_merge_config_selectorIiiEEZZNS1_27merge_sort_block_merge_implIS3_N6thrust23THRUST_200600_302600_NS6detail15normal_iteratorINS8_10device_ptrIiEEEESD_jNS1_19radix_merge_compareILb1ELb0EiNS0_19identity_decomposerEEEEE10hipError_tT0_T1_T2_jT3_P12ihipStream_tbPNSt15iterator_traitsISI_E10value_typeEPNSO_ISJ_E10value_typeEPSK_NS1_7vsmem_tEENKUlT_SI_SJ_SK_E_clISD_PiSD_S10_EESH_SX_SI_SJ_SK_EUlSX_E1_NS1_11comp_targetILNS1_3genE8ELNS1_11target_archE1030ELNS1_3gpuE2ELNS1_3repE0EEENS1_36merge_oddeven_config_static_selectorELNS0_4arch9wavefront6targetE1EEEvSJ_.num_agpr, 0
	.set _ZN7rocprim17ROCPRIM_400000_NS6detail17trampoline_kernelINS0_14default_configENS1_38merge_sort_block_merge_config_selectorIiiEEZZNS1_27merge_sort_block_merge_implIS3_N6thrust23THRUST_200600_302600_NS6detail15normal_iteratorINS8_10device_ptrIiEEEESD_jNS1_19radix_merge_compareILb1ELb0EiNS0_19identity_decomposerEEEEE10hipError_tT0_T1_T2_jT3_P12ihipStream_tbPNSt15iterator_traitsISI_E10value_typeEPNSO_ISJ_E10value_typeEPSK_NS1_7vsmem_tEENKUlT_SI_SJ_SK_E_clISD_PiSD_S10_EESH_SX_SI_SJ_SK_EUlSX_E1_NS1_11comp_targetILNS1_3genE8ELNS1_11target_archE1030ELNS1_3gpuE2ELNS1_3repE0EEENS1_36merge_oddeven_config_static_selectorELNS0_4arch9wavefront6targetE1EEEvSJ_.numbered_sgpr, 0
	.set _ZN7rocprim17ROCPRIM_400000_NS6detail17trampoline_kernelINS0_14default_configENS1_38merge_sort_block_merge_config_selectorIiiEEZZNS1_27merge_sort_block_merge_implIS3_N6thrust23THRUST_200600_302600_NS6detail15normal_iteratorINS8_10device_ptrIiEEEESD_jNS1_19radix_merge_compareILb1ELb0EiNS0_19identity_decomposerEEEEE10hipError_tT0_T1_T2_jT3_P12ihipStream_tbPNSt15iterator_traitsISI_E10value_typeEPNSO_ISJ_E10value_typeEPSK_NS1_7vsmem_tEENKUlT_SI_SJ_SK_E_clISD_PiSD_S10_EESH_SX_SI_SJ_SK_EUlSX_E1_NS1_11comp_targetILNS1_3genE8ELNS1_11target_archE1030ELNS1_3gpuE2ELNS1_3repE0EEENS1_36merge_oddeven_config_static_selectorELNS0_4arch9wavefront6targetE1EEEvSJ_.num_named_barrier, 0
	.set _ZN7rocprim17ROCPRIM_400000_NS6detail17trampoline_kernelINS0_14default_configENS1_38merge_sort_block_merge_config_selectorIiiEEZZNS1_27merge_sort_block_merge_implIS3_N6thrust23THRUST_200600_302600_NS6detail15normal_iteratorINS8_10device_ptrIiEEEESD_jNS1_19radix_merge_compareILb1ELb0EiNS0_19identity_decomposerEEEEE10hipError_tT0_T1_T2_jT3_P12ihipStream_tbPNSt15iterator_traitsISI_E10value_typeEPNSO_ISJ_E10value_typeEPSK_NS1_7vsmem_tEENKUlT_SI_SJ_SK_E_clISD_PiSD_S10_EESH_SX_SI_SJ_SK_EUlSX_E1_NS1_11comp_targetILNS1_3genE8ELNS1_11target_archE1030ELNS1_3gpuE2ELNS1_3repE0EEENS1_36merge_oddeven_config_static_selectorELNS0_4arch9wavefront6targetE1EEEvSJ_.private_seg_size, 0
	.set _ZN7rocprim17ROCPRIM_400000_NS6detail17trampoline_kernelINS0_14default_configENS1_38merge_sort_block_merge_config_selectorIiiEEZZNS1_27merge_sort_block_merge_implIS3_N6thrust23THRUST_200600_302600_NS6detail15normal_iteratorINS8_10device_ptrIiEEEESD_jNS1_19radix_merge_compareILb1ELb0EiNS0_19identity_decomposerEEEEE10hipError_tT0_T1_T2_jT3_P12ihipStream_tbPNSt15iterator_traitsISI_E10value_typeEPNSO_ISJ_E10value_typeEPSK_NS1_7vsmem_tEENKUlT_SI_SJ_SK_E_clISD_PiSD_S10_EESH_SX_SI_SJ_SK_EUlSX_E1_NS1_11comp_targetILNS1_3genE8ELNS1_11target_archE1030ELNS1_3gpuE2ELNS1_3repE0EEENS1_36merge_oddeven_config_static_selectorELNS0_4arch9wavefront6targetE1EEEvSJ_.uses_vcc, 0
	.set _ZN7rocprim17ROCPRIM_400000_NS6detail17trampoline_kernelINS0_14default_configENS1_38merge_sort_block_merge_config_selectorIiiEEZZNS1_27merge_sort_block_merge_implIS3_N6thrust23THRUST_200600_302600_NS6detail15normal_iteratorINS8_10device_ptrIiEEEESD_jNS1_19radix_merge_compareILb1ELb0EiNS0_19identity_decomposerEEEEE10hipError_tT0_T1_T2_jT3_P12ihipStream_tbPNSt15iterator_traitsISI_E10value_typeEPNSO_ISJ_E10value_typeEPSK_NS1_7vsmem_tEENKUlT_SI_SJ_SK_E_clISD_PiSD_S10_EESH_SX_SI_SJ_SK_EUlSX_E1_NS1_11comp_targetILNS1_3genE8ELNS1_11target_archE1030ELNS1_3gpuE2ELNS1_3repE0EEENS1_36merge_oddeven_config_static_selectorELNS0_4arch9wavefront6targetE1EEEvSJ_.uses_flat_scratch, 0
	.set _ZN7rocprim17ROCPRIM_400000_NS6detail17trampoline_kernelINS0_14default_configENS1_38merge_sort_block_merge_config_selectorIiiEEZZNS1_27merge_sort_block_merge_implIS3_N6thrust23THRUST_200600_302600_NS6detail15normal_iteratorINS8_10device_ptrIiEEEESD_jNS1_19radix_merge_compareILb1ELb0EiNS0_19identity_decomposerEEEEE10hipError_tT0_T1_T2_jT3_P12ihipStream_tbPNSt15iterator_traitsISI_E10value_typeEPNSO_ISJ_E10value_typeEPSK_NS1_7vsmem_tEENKUlT_SI_SJ_SK_E_clISD_PiSD_S10_EESH_SX_SI_SJ_SK_EUlSX_E1_NS1_11comp_targetILNS1_3genE8ELNS1_11target_archE1030ELNS1_3gpuE2ELNS1_3repE0EEENS1_36merge_oddeven_config_static_selectorELNS0_4arch9wavefront6targetE1EEEvSJ_.has_dyn_sized_stack, 0
	.set _ZN7rocprim17ROCPRIM_400000_NS6detail17trampoline_kernelINS0_14default_configENS1_38merge_sort_block_merge_config_selectorIiiEEZZNS1_27merge_sort_block_merge_implIS3_N6thrust23THRUST_200600_302600_NS6detail15normal_iteratorINS8_10device_ptrIiEEEESD_jNS1_19radix_merge_compareILb1ELb0EiNS0_19identity_decomposerEEEEE10hipError_tT0_T1_T2_jT3_P12ihipStream_tbPNSt15iterator_traitsISI_E10value_typeEPNSO_ISJ_E10value_typeEPSK_NS1_7vsmem_tEENKUlT_SI_SJ_SK_E_clISD_PiSD_S10_EESH_SX_SI_SJ_SK_EUlSX_E1_NS1_11comp_targetILNS1_3genE8ELNS1_11target_archE1030ELNS1_3gpuE2ELNS1_3repE0EEENS1_36merge_oddeven_config_static_selectorELNS0_4arch9wavefront6targetE1EEEvSJ_.has_recursion, 0
	.set _ZN7rocprim17ROCPRIM_400000_NS6detail17trampoline_kernelINS0_14default_configENS1_38merge_sort_block_merge_config_selectorIiiEEZZNS1_27merge_sort_block_merge_implIS3_N6thrust23THRUST_200600_302600_NS6detail15normal_iteratorINS8_10device_ptrIiEEEESD_jNS1_19radix_merge_compareILb1ELb0EiNS0_19identity_decomposerEEEEE10hipError_tT0_T1_T2_jT3_P12ihipStream_tbPNSt15iterator_traitsISI_E10value_typeEPNSO_ISJ_E10value_typeEPSK_NS1_7vsmem_tEENKUlT_SI_SJ_SK_E_clISD_PiSD_S10_EESH_SX_SI_SJ_SK_EUlSX_E1_NS1_11comp_targetILNS1_3genE8ELNS1_11target_archE1030ELNS1_3gpuE2ELNS1_3repE0EEENS1_36merge_oddeven_config_static_selectorELNS0_4arch9wavefront6targetE1EEEvSJ_.has_indirect_call, 0
	.section	.AMDGPU.csdata,"",@progbits
; Kernel info:
; codeLenInByte = 0
; TotalNumSgprs: 6
; NumVgprs: 0
; NumAgprs: 0
; TotalNumVgprs: 0
; ScratchSize: 0
; MemoryBound: 0
; FloatMode: 240
; IeeeMode: 1
; LDSByteSize: 0 bytes/workgroup (compile time only)
; SGPRBlocks: 0
; VGPRBlocks: 0
; NumSGPRsForWavesPerEU: 6
; NumVGPRsForWavesPerEU: 1
; AccumOffset: 4
; Occupancy: 8
; WaveLimiterHint : 0
; COMPUTE_PGM_RSRC2:SCRATCH_EN: 0
; COMPUTE_PGM_RSRC2:USER_SGPR: 2
; COMPUTE_PGM_RSRC2:TRAP_HANDLER: 0
; COMPUTE_PGM_RSRC2:TGID_X_EN: 1
; COMPUTE_PGM_RSRC2:TGID_Y_EN: 0
; COMPUTE_PGM_RSRC2:TGID_Z_EN: 0
; COMPUTE_PGM_RSRC2:TIDIG_COMP_CNT: 0
; COMPUTE_PGM_RSRC3_GFX90A:ACCUM_OFFSET: 0
; COMPUTE_PGM_RSRC3_GFX90A:TG_SPLIT: 0
	.section	.text._ZN7rocprim17ROCPRIM_400000_NS6detail17trampoline_kernelINS0_14default_configENS1_38merge_sort_block_merge_config_selectorIiiEEZZNS1_27merge_sort_block_merge_implIS3_N6thrust23THRUST_200600_302600_NS6detail15normal_iteratorINS8_10device_ptrIiEEEESD_jNS1_19radix_merge_compareILb1ELb1EiNS0_19identity_decomposerEEEEE10hipError_tT0_T1_T2_jT3_P12ihipStream_tbPNSt15iterator_traitsISI_E10value_typeEPNSO_ISJ_E10value_typeEPSK_NS1_7vsmem_tEENKUlT_SI_SJ_SK_E_clIPiSD_S10_SD_EESH_SX_SI_SJ_SK_EUlSX_E_NS1_11comp_targetILNS1_3genE0ELNS1_11target_archE4294967295ELNS1_3gpuE0ELNS1_3repE0EEENS1_48merge_mergepath_partition_config_static_selectorELNS0_4arch9wavefront6targetE1EEEvSJ_,"axG",@progbits,_ZN7rocprim17ROCPRIM_400000_NS6detail17trampoline_kernelINS0_14default_configENS1_38merge_sort_block_merge_config_selectorIiiEEZZNS1_27merge_sort_block_merge_implIS3_N6thrust23THRUST_200600_302600_NS6detail15normal_iteratorINS8_10device_ptrIiEEEESD_jNS1_19radix_merge_compareILb1ELb1EiNS0_19identity_decomposerEEEEE10hipError_tT0_T1_T2_jT3_P12ihipStream_tbPNSt15iterator_traitsISI_E10value_typeEPNSO_ISJ_E10value_typeEPSK_NS1_7vsmem_tEENKUlT_SI_SJ_SK_E_clIPiSD_S10_SD_EESH_SX_SI_SJ_SK_EUlSX_E_NS1_11comp_targetILNS1_3genE0ELNS1_11target_archE4294967295ELNS1_3gpuE0ELNS1_3repE0EEENS1_48merge_mergepath_partition_config_static_selectorELNS0_4arch9wavefront6targetE1EEEvSJ_,comdat
	.protected	_ZN7rocprim17ROCPRIM_400000_NS6detail17trampoline_kernelINS0_14default_configENS1_38merge_sort_block_merge_config_selectorIiiEEZZNS1_27merge_sort_block_merge_implIS3_N6thrust23THRUST_200600_302600_NS6detail15normal_iteratorINS8_10device_ptrIiEEEESD_jNS1_19radix_merge_compareILb1ELb1EiNS0_19identity_decomposerEEEEE10hipError_tT0_T1_T2_jT3_P12ihipStream_tbPNSt15iterator_traitsISI_E10value_typeEPNSO_ISJ_E10value_typeEPSK_NS1_7vsmem_tEENKUlT_SI_SJ_SK_E_clIPiSD_S10_SD_EESH_SX_SI_SJ_SK_EUlSX_E_NS1_11comp_targetILNS1_3genE0ELNS1_11target_archE4294967295ELNS1_3gpuE0ELNS1_3repE0EEENS1_48merge_mergepath_partition_config_static_selectorELNS0_4arch9wavefront6targetE1EEEvSJ_ ; -- Begin function _ZN7rocprim17ROCPRIM_400000_NS6detail17trampoline_kernelINS0_14default_configENS1_38merge_sort_block_merge_config_selectorIiiEEZZNS1_27merge_sort_block_merge_implIS3_N6thrust23THRUST_200600_302600_NS6detail15normal_iteratorINS8_10device_ptrIiEEEESD_jNS1_19radix_merge_compareILb1ELb1EiNS0_19identity_decomposerEEEEE10hipError_tT0_T1_T2_jT3_P12ihipStream_tbPNSt15iterator_traitsISI_E10value_typeEPNSO_ISJ_E10value_typeEPSK_NS1_7vsmem_tEENKUlT_SI_SJ_SK_E_clIPiSD_S10_SD_EESH_SX_SI_SJ_SK_EUlSX_E_NS1_11comp_targetILNS1_3genE0ELNS1_11target_archE4294967295ELNS1_3gpuE0ELNS1_3repE0EEENS1_48merge_mergepath_partition_config_static_selectorELNS0_4arch9wavefront6targetE1EEEvSJ_
	.globl	_ZN7rocprim17ROCPRIM_400000_NS6detail17trampoline_kernelINS0_14default_configENS1_38merge_sort_block_merge_config_selectorIiiEEZZNS1_27merge_sort_block_merge_implIS3_N6thrust23THRUST_200600_302600_NS6detail15normal_iteratorINS8_10device_ptrIiEEEESD_jNS1_19radix_merge_compareILb1ELb1EiNS0_19identity_decomposerEEEEE10hipError_tT0_T1_T2_jT3_P12ihipStream_tbPNSt15iterator_traitsISI_E10value_typeEPNSO_ISJ_E10value_typeEPSK_NS1_7vsmem_tEENKUlT_SI_SJ_SK_E_clIPiSD_S10_SD_EESH_SX_SI_SJ_SK_EUlSX_E_NS1_11comp_targetILNS1_3genE0ELNS1_11target_archE4294967295ELNS1_3gpuE0ELNS1_3repE0EEENS1_48merge_mergepath_partition_config_static_selectorELNS0_4arch9wavefront6targetE1EEEvSJ_
	.p2align	8
	.type	_ZN7rocprim17ROCPRIM_400000_NS6detail17trampoline_kernelINS0_14default_configENS1_38merge_sort_block_merge_config_selectorIiiEEZZNS1_27merge_sort_block_merge_implIS3_N6thrust23THRUST_200600_302600_NS6detail15normal_iteratorINS8_10device_ptrIiEEEESD_jNS1_19radix_merge_compareILb1ELb1EiNS0_19identity_decomposerEEEEE10hipError_tT0_T1_T2_jT3_P12ihipStream_tbPNSt15iterator_traitsISI_E10value_typeEPNSO_ISJ_E10value_typeEPSK_NS1_7vsmem_tEENKUlT_SI_SJ_SK_E_clIPiSD_S10_SD_EESH_SX_SI_SJ_SK_EUlSX_E_NS1_11comp_targetILNS1_3genE0ELNS1_11target_archE4294967295ELNS1_3gpuE0ELNS1_3repE0EEENS1_48merge_mergepath_partition_config_static_selectorELNS0_4arch9wavefront6targetE1EEEvSJ_,@function
_ZN7rocprim17ROCPRIM_400000_NS6detail17trampoline_kernelINS0_14default_configENS1_38merge_sort_block_merge_config_selectorIiiEEZZNS1_27merge_sort_block_merge_implIS3_N6thrust23THRUST_200600_302600_NS6detail15normal_iteratorINS8_10device_ptrIiEEEESD_jNS1_19radix_merge_compareILb1ELb1EiNS0_19identity_decomposerEEEEE10hipError_tT0_T1_T2_jT3_P12ihipStream_tbPNSt15iterator_traitsISI_E10value_typeEPNSO_ISJ_E10value_typeEPSK_NS1_7vsmem_tEENKUlT_SI_SJ_SK_E_clIPiSD_S10_SD_EESH_SX_SI_SJ_SK_EUlSX_E_NS1_11comp_targetILNS1_3genE0ELNS1_11target_archE4294967295ELNS1_3gpuE0ELNS1_3repE0EEENS1_48merge_mergepath_partition_config_static_selectorELNS0_4arch9wavefront6targetE1EEEvSJ_: ; @_ZN7rocprim17ROCPRIM_400000_NS6detail17trampoline_kernelINS0_14default_configENS1_38merge_sort_block_merge_config_selectorIiiEEZZNS1_27merge_sort_block_merge_implIS3_N6thrust23THRUST_200600_302600_NS6detail15normal_iteratorINS8_10device_ptrIiEEEESD_jNS1_19radix_merge_compareILb1ELb1EiNS0_19identity_decomposerEEEEE10hipError_tT0_T1_T2_jT3_P12ihipStream_tbPNSt15iterator_traitsISI_E10value_typeEPNSO_ISJ_E10value_typeEPSK_NS1_7vsmem_tEENKUlT_SI_SJ_SK_E_clIPiSD_S10_SD_EESH_SX_SI_SJ_SK_EUlSX_E_NS1_11comp_targetILNS1_3genE0ELNS1_11target_archE4294967295ELNS1_3gpuE0ELNS1_3repE0EEENS1_48merge_mergepath_partition_config_static_selectorELNS0_4arch9wavefront6targetE1EEEvSJ_
; %bb.0:
	s_load_dword s3, s[0:1], 0x0
	v_lshl_or_b32 v0, s2, 7, v0
	s_waitcnt lgkmcnt(0)
	v_cmp_gt_u32_e32 vcc, s3, v0
	s_and_saveexec_b64 s[2:3], vcc
	s_cbranch_execz .LBB1771_6
; %bb.1:
	s_load_dwordx2 s[4:5], s[0:1], 0x4
	s_load_dwordx2 s[2:3], s[0:1], 0x20
	s_waitcnt lgkmcnt(0)
	s_lshr_b32 s6, s4, 9
	s_and_b32 s6, s6, 0x7ffffe
	s_add_i32 s7, s6, -1
	s_sub_i32 s6, 0, s6
	v_and_b32_e32 v1, s6, v0
	v_lshlrev_b32_e32 v1, 10, v1
	v_min_u32_e32 v2, s5, v1
	v_add_u32_e32 v1, s4, v1
	v_min_u32_e32 v4, s5, v1
	v_add_u32_e32 v1, s4, v4
	v_and_b32_e32 v3, s7, v0
	v_min_u32_e32 v1, s5, v1
	v_sub_u32_e32 v5, v1, v2
	v_lshlrev_b32_e32 v3, 10, v3
	v_min_u32_e32 v10, v5, v3
	v_sub_u32_e32 v3, v4, v2
	v_sub_u32_e32 v1, v1, v4
	v_sub_u32_e64 v1, v10, v1 clamp
	v_min_u32_e32 v11, v10, v3
	v_cmp_lt_u32_e32 vcc, v1, v11
	s_and_saveexec_b64 s[4:5], vcc
	s_cbranch_execz .LBB1771_5
; %bb.2:
	s_load_dwordx2 s[8:9], s[0:1], 0x10
	s_load_dword s6, s[0:1], 0x18
	v_mov_b32_e32 v5, 0
	v_mov_b32_e32 v3, v5
	s_mov_b64 s[0:1], 0
	s_waitcnt lgkmcnt(0)
	v_lshl_add_u64 v[6:7], v[2:3], 2, s[8:9]
	v_lshl_add_u64 v[8:9], v[4:5], 2, s[8:9]
.LBB1771_3:                             ; =>This Inner Loop Header: Depth=1
	v_add_u32_e32 v3, v11, v1
	v_lshrrev_b32_e32 v4, 1, v3
	v_mov_b32_e32 v13, v5
	v_xad_u32 v12, v4, -1, v10
	v_lshl_add_u64 v[14:15], v[4:5], 2, v[6:7]
	v_lshl_add_u64 v[12:13], v[12:13], 2, v[8:9]
	global_load_dword v3, v[14:15], off
	global_load_dword v16, v[12:13], off
	v_add_u32_e32 v12, 1, v4
	s_waitcnt vmcnt(1)
	v_and_b32_e32 v3, s6, v3
	s_waitcnt vmcnt(0)
	v_and_b32_e32 v13, s6, v16
	v_cmp_gt_i32_e32 vcc, v13, v3
	s_nop 1
	v_cndmask_b32_e32 v11, v11, v4, vcc
	v_cndmask_b32_e32 v1, v12, v1, vcc
	v_cmp_ge_u32_e32 vcc, v1, v11
	s_or_b64 s[0:1], vcc, s[0:1]
	s_andn2_b64 exec, exec, s[0:1]
	s_cbranch_execnz .LBB1771_3
; %bb.4:
	s_or_b64 exec, exec, s[0:1]
.LBB1771_5:
	s_or_b64 exec, exec, s[4:5]
	v_add_u32_e32 v2, v1, v2
	v_mov_b32_e32 v1, 0
	v_lshl_add_u64 v[0:1], v[0:1], 2, s[2:3]
	global_store_dword v[0:1], v2, off
.LBB1771_6:
	s_endpgm
	.section	.rodata,"a",@progbits
	.p2align	6, 0x0
	.amdhsa_kernel _ZN7rocprim17ROCPRIM_400000_NS6detail17trampoline_kernelINS0_14default_configENS1_38merge_sort_block_merge_config_selectorIiiEEZZNS1_27merge_sort_block_merge_implIS3_N6thrust23THRUST_200600_302600_NS6detail15normal_iteratorINS8_10device_ptrIiEEEESD_jNS1_19radix_merge_compareILb1ELb1EiNS0_19identity_decomposerEEEEE10hipError_tT0_T1_T2_jT3_P12ihipStream_tbPNSt15iterator_traitsISI_E10value_typeEPNSO_ISJ_E10value_typeEPSK_NS1_7vsmem_tEENKUlT_SI_SJ_SK_E_clIPiSD_S10_SD_EESH_SX_SI_SJ_SK_EUlSX_E_NS1_11comp_targetILNS1_3genE0ELNS1_11target_archE4294967295ELNS1_3gpuE0ELNS1_3repE0EEENS1_48merge_mergepath_partition_config_static_selectorELNS0_4arch9wavefront6targetE1EEEvSJ_
		.amdhsa_group_segment_fixed_size 0
		.amdhsa_private_segment_fixed_size 0
		.amdhsa_kernarg_size 40
		.amdhsa_user_sgpr_count 2
		.amdhsa_user_sgpr_dispatch_ptr 0
		.amdhsa_user_sgpr_queue_ptr 0
		.amdhsa_user_sgpr_kernarg_segment_ptr 1
		.amdhsa_user_sgpr_dispatch_id 0
		.amdhsa_user_sgpr_kernarg_preload_length 0
		.amdhsa_user_sgpr_kernarg_preload_offset 0
		.amdhsa_user_sgpr_private_segment_size 0
		.amdhsa_uses_dynamic_stack 0
		.amdhsa_enable_private_segment 0
		.amdhsa_system_sgpr_workgroup_id_x 1
		.amdhsa_system_sgpr_workgroup_id_y 0
		.amdhsa_system_sgpr_workgroup_id_z 0
		.amdhsa_system_sgpr_workgroup_info 0
		.amdhsa_system_vgpr_workitem_id 0
		.amdhsa_next_free_vgpr 17
		.amdhsa_next_free_sgpr 10
		.amdhsa_accum_offset 20
		.amdhsa_reserve_vcc 1
		.amdhsa_float_round_mode_32 0
		.amdhsa_float_round_mode_16_64 0
		.amdhsa_float_denorm_mode_32 3
		.amdhsa_float_denorm_mode_16_64 3
		.amdhsa_dx10_clamp 1
		.amdhsa_ieee_mode 1
		.amdhsa_fp16_overflow 0
		.amdhsa_tg_split 0
		.amdhsa_exception_fp_ieee_invalid_op 0
		.amdhsa_exception_fp_denorm_src 0
		.amdhsa_exception_fp_ieee_div_zero 0
		.amdhsa_exception_fp_ieee_overflow 0
		.amdhsa_exception_fp_ieee_underflow 0
		.amdhsa_exception_fp_ieee_inexact 0
		.amdhsa_exception_int_div_zero 0
	.end_amdhsa_kernel
	.section	.text._ZN7rocprim17ROCPRIM_400000_NS6detail17trampoline_kernelINS0_14default_configENS1_38merge_sort_block_merge_config_selectorIiiEEZZNS1_27merge_sort_block_merge_implIS3_N6thrust23THRUST_200600_302600_NS6detail15normal_iteratorINS8_10device_ptrIiEEEESD_jNS1_19radix_merge_compareILb1ELb1EiNS0_19identity_decomposerEEEEE10hipError_tT0_T1_T2_jT3_P12ihipStream_tbPNSt15iterator_traitsISI_E10value_typeEPNSO_ISJ_E10value_typeEPSK_NS1_7vsmem_tEENKUlT_SI_SJ_SK_E_clIPiSD_S10_SD_EESH_SX_SI_SJ_SK_EUlSX_E_NS1_11comp_targetILNS1_3genE0ELNS1_11target_archE4294967295ELNS1_3gpuE0ELNS1_3repE0EEENS1_48merge_mergepath_partition_config_static_selectorELNS0_4arch9wavefront6targetE1EEEvSJ_,"axG",@progbits,_ZN7rocprim17ROCPRIM_400000_NS6detail17trampoline_kernelINS0_14default_configENS1_38merge_sort_block_merge_config_selectorIiiEEZZNS1_27merge_sort_block_merge_implIS3_N6thrust23THRUST_200600_302600_NS6detail15normal_iteratorINS8_10device_ptrIiEEEESD_jNS1_19radix_merge_compareILb1ELb1EiNS0_19identity_decomposerEEEEE10hipError_tT0_T1_T2_jT3_P12ihipStream_tbPNSt15iterator_traitsISI_E10value_typeEPNSO_ISJ_E10value_typeEPSK_NS1_7vsmem_tEENKUlT_SI_SJ_SK_E_clIPiSD_S10_SD_EESH_SX_SI_SJ_SK_EUlSX_E_NS1_11comp_targetILNS1_3genE0ELNS1_11target_archE4294967295ELNS1_3gpuE0ELNS1_3repE0EEENS1_48merge_mergepath_partition_config_static_selectorELNS0_4arch9wavefront6targetE1EEEvSJ_,comdat
.Lfunc_end1771:
	.size	_ZN7rocprim17ROCPRIM_400000_NS6detail17trampoline_kernelINS0_14default_configENS1_38merge_sort_block_merge_config_selectorIiiEEZZNS1_27merge_sort_block_merge_implIS3_N6thrust23THRUST_200600_302600_NS6detail15normal_iteratorINS8_10device_ptrIiEEEESD_jNS1_19radix_merge_compareILb1ELb1EiNS0_19identity_decomposerEEEEE10hipError_tT0_T1_T2_jT3_P12ihipStream_tbPNSt15iterator_traitsISI_E10value_typeEPNSO_ISJ_E10value_typeEPSK_NS1_7vsmem_tEENKUlT_SI_SJ_SK_E_clIPiSD_S10_SD_EESH_SX_SI_SJ_SK_EUlSX_E_NS1_11comp_targetILNS1_3genE0ELNS1_11target_archE4294967295ELNS1_3gpuE0ELNS1_3repE0EEENS1_48merge_mergepath_partition_config_static_selectorELNS0_4arch9wavefront6targetE1EEEvSJ_, .Lfunc_end1771-_ZN7rocprim17ROCPRIM_400000_NS6detail17trampoline_kernelINS0_14default_configENS1_38merge_sort_block_merge_config_selectorIiiEEZZNS1_27merge_sort_block_merge_implIS3_N6thrust23THRUST_200600_302600_NS6detail15normal_iteratorINS8_10device_ptrIiEEEESD_jNS1_19radix_merge_compareILb1ELb1EiNS0_19identity_decomposerEEEEE10hipError_tT0_T1_T2_jT3_P12ihipStream_tbPNSt15iterator_traitsISI_E10value_typeEPNSO_ISJ_E10value_typeEPSK_NS1_7vsmem_tEENKUlT_SI_SJ_SK_E_clIPiSD_S10_SD_EESH_SX_SI_SJ_SK_EUlSX_E_NS1_11comp_targetILNS1_3genE0ELNS1_11target_archE4294967295ELNS1_3gpuE0ELNS1_3repE0EEENS1_48merge_mergepath_partition_config_static_selectorELNS0_4arch9wavefront6targetE1EEEvSJ_
                                        ; -- End function
	.set _ZN7rocprim17ROCPRIM_400000_NS6detail17trampoline_kernelINS0_14default_configENS1_38merge_sort_block_merge_config_selectorIiiEEZZNS1_27merge_sort_block_merge_implIS3_N6thrust23THRUST_200600_302600_NS6detail15normal_iteratorINS8_10device_ptrIiEEEESD_jNS1_19radix_merge_compareILb1ELb1EiNS0_19identity_decomposerEEEEE10hipError_tT0_T1_T2_jT3_P12ihipStream_tbPNSt15iterator_traitsISI_E10value_typeEPNSO_ISJ_E10value_typeEPSK_NS1_7vsmem_tEENKUlT_SI_SJ_SK_E_clIPiSD_S10_SD_EESH_SX_SI_SJ_SK_EUlSX_E_NS1_11comp_targetILNS1_3genE0ELNS1_11target_archE4294967295ELNS1_3gpuE0ELNS1_3repE0EEENS1_48merge_mergepath_partition_config_static_selectorELNS0_4arch9wavefront6targetE1EEEvSJ_.num_vgpr, 17
	.set _ZN7rocprim17ROCPRIM_400000_NS6detail17trampoline_kernelINS0_14default_configENS1_38merge_sort_block_merge_config_selectorIiiEEZZNS1_27merge_sort_block_merge_implIS3_N6thrust23THRUST_200600_302600_NS6detail15normal_iteratorINS8_10device_ptrIiEEEESD_jNS1_19radix_merge_compareILb1ELb1EiNS0_19identity_decomposerEEEEE10hipError_tT0_T1_T2_jT3_P12ihipStream_tbPNSt15iterator_traitsISI_E10value_typeEPNSO_ISJ_E10value_typeEPSK_NS1_7vsmem_tEENKUlT_SI_SJ_SK_E_clIPiSD_S10_SD_EESH_SX_SI_SJ_SK_EUlSX_E_NS1_11comp_targetILNS1_3genE0ELNS1_11target_archE4294967295ELNS1_3gpuE0ELNS1_3repE0EEENS1_48merge_mergepath_partition_config_static_selectorELNS0_4arch9wavefront6targetE1EEEvSJ_.num_agpr, 0
	.set _ZN7rocprim17ROCPRIM_400000_NS6detail17trampoline_kernelINS0_14default_configENS1_38merge_sort_block_merge_config_selectorIiiEEZZNS1_27merge_sort_block_merge_implIS3_N6thrust23THRUST_200600_302600_NS6detail15normal_iteratorINS8_10device_ptrIiEEEESD_jNS1_19radix_merge_compareILb1ELb1EiNS0_19identity_decomposerEEEEE10hipError_tT0_T1_T2_jT3_P12ihipStream_tbPNSt15iterator_traitsISI_E10value_typeEPNSO_ISJ_E10value_typeEPSK_NS1_7vsmem_tEENKUlT_SI_SJ_SK_E_clIPiSD_S10_SD_EESH_SX_SI_SJ_SK_EUlSX_E_NS1_11comp_targetILNS1_3genE0ELNS1_11target_archE4294967295ELNS1_3gpuE0ELNS1_3repE0EEENS1_48merge_mergepath_partition_config_static_selectorELNS0_4arch9wavefront6targetE1EEEvSJ_.numbered_sgpr, 10
	.set _ZN7rocprim17ROCPRIM_400000_NS6detail17trampoline_kernelINS0_14default_configENS1_38merge_sort_block_merge_config_selectorIiiEEZZNS1_27merge_sort_block_merge_implIS3_N6thrust23THRUST_200600_302600_NS6detail15normal_iteratorINS8_10device_ptrIiEEEESD_jNS1_19radix_merge_compareILb1ELb1EiNS0_19identity_decomposerEEEEE10hipError_tT0_T1_T2_jT3_P12ihipStream_tbPNSt15iterator_traitsISI_E10value_typeEPNSO_ISJ_E10value_typeEPSK_NS1_7vsmem_tEENKUlT_SI_SJ_SK_E_clIPiSD_S10_SD_EESH_SX_SI_SJ_SK_EUlSX_E_NS1_11comp_targetILNS1_3genE0ELNS1_11target_archE4294967295ELNS1_3gpuE0ELNS1_3repE0EEENS1_48merge_mergepath_partition_config_static_selectorELNS0_4arch9wavefront6targetE1EEEvSJ_.num_named_barrier, 0
	.set _ZN7rocprim17ROCPRIM_400000_NS6detail17trampoline_kernelINS0_14default_configENS1_38merge_sort_block_merge_config_selectorIiiEEZZNS1_27merge_sort_block_merge_implIS3_N6thrust23THRUST_200600_302600_NS6detail15normal_iteratorINS8_10device_ptrIiEEEESD_jNS1_19radix_merge_compareILb1ELb1EiNS0_19identity_decomposerEEEEE10hipError_tT0_T1_T2_jT3_P12ihipStream_tbPNSt15iterator_traitsISI_E10value_typeEPNSO_ISJ_E10value_typeEPSK_NS1_7vsmem_tEENKUlT_SI_SJ_SK_E_clIPiSD_S10_SD_EESH_SX_SI_SJ_SK_EUlSX_E_NS1_11comp_targetILNS1_3genE0ELNS1_11target_archE4294967295ELNS1_3gpuE0ELNS1_3repE0EEENS1_48merge_mergepath_partition_config_static_selectorELNS0_4arch9wavefront6targetE1EEEvSJ_.private_seg_size, 0
	.set _ZN7rocprim17ROCPRIM_400000_NS6detail17trampoline_kernelINS0_14default_configENS1_38merge_sort_block_merge_config_selectorIiiEEZZNS1_27merge_sort_block_merge_implIS3_N6thrust23THRUST_200600_302600_NS6detail15normal_iteratorINS8_10device_ptrIiEEEESD_jNS1_19radix_merge_compareILb1ELb1EiNS0_19identity_decomposerEEEEE10hipError_tT0_T1_T2_jT3_P12ihipStream_tbPNSt15iterator_traitsISI_E10value_typeEPNSO_ISJ_E10value_typeEPSK_NS1_7vsmem_tEENKUlT_SI_SJ_SK_E_clIPiSD_S10_SD_EESH_SX_SI_SJ_SK_EUlSX_E_NS1_11comp_targetILNS1_3genE0ELNS1_11target_archE4294967295ELNS1_3gpuE0ELNS1_3repE0EEENS1_48merge_mergepath_partition_config_static_selectorELNS0_4arch9wavefront6targetE1EEEvSJ_.uses_vcc, 1
	.set _ZN7rocprim17ROCPRIM_400000_NS6detail17trampoline_kernelINS0_14default_configENS1_38merge_sort_block_merge_config_selectorIiiEEZZNS1_27merge_sort_block_merge_implIS3_N6thrust23THRUST_200600_302600_NS6detail15normal_iteratorINS8_10device_ptrIiEEEESD_jNS1_19radix_merge_compareILb1ELb1EiNS0_19identity_decomposerEEEEE10hipError_tT0_T1_T2_jT3_P12ihipStream_tbPNSt15iterator_traitsISI_E10value_typeEPNSO_ISJ_E10value_typeEPSK_NS1_7vsmem_tEENKUlT_SI_SJ_SK_E_clIPiSD_S10_SD_EESH_SX_SI_SJ_SK_EUlSX_E_NS1_11comp_targetILNS1_3genE0ELNS1_11target_archE4294967295ELNS1_3gpuE0ELNS1_3repE0EEENS1_48merge_mergepath_partition_config_static_selectorELNS0_4arch9wavefront6targetE1EEEvSJ_.uses_flat_scratch, 0
	.set _ZN7rocprim17ROCPRIM_400000_NS6detail17trampoline_kernelINS0_14default_configENS1_38merge_sort_block_merge_config_selectorIiiEEZZNS1_27merge_sort_block_merge_implIS3_N6thrust23THRUST_200600_302600_NS6detail15normal_iteratorINS8_10device_ptrIiEEEESD_jNS1_19radix_merge_compareILb1ELb1EiNS0_19identity_decomposerEEEEE10hipError_tT0_T1_T2_jT3_P12ihipStream_tbPNSt15iterator_traitsISI_E10value_typeEPNSO_ISJ_E10value_typeEPSK_NS1_7vsmem_tEENKUlT_SI_SJ_SK_E_clIPiSD_S10_SD_EESH_SX_SI_SJ_SK_EUlSX_E_NS1_11comp_targetILNS1_3genE0ELNS1_11target_archE4294967295ELNS1_3gpuE0ELNS1_3repE0EEENS1_48merge_mergepath_partition_config_static_selectorELNS0_4arch9wavefront6targetE1EEEvSJ_.has_dyn_sized_stack, 0
	.set _ZN7rocprim17ROCPRIM_400000_NS6detail17trampoline_kernelINS0_14default_configENS1_38merge_sort_block_merge_config_selectorIiiEEZZNS1_27merge_sort_block_merge_implIS3_N6thrust23THRUST_200600_302600_NS6detail15normal_iteratorINS8_10device_ptrIiEEEESD_jNS1_19radix_merge_compareILb1ELb1EiNS0_19identity_decomposerEEEEE10hipError_tT0_T1_T2_jT3_P12ihipStream_tbPNSt15iterator_traitsISI_E10value_typeEPNSO_ISJ_E10value_typeEPSK_NS1_7vsmem_tEENKUlT_SI_SJ_SK_E_clIPiSD_S10_SD_EESH_SX_SI_SJ_SK_EUlSX_E_NS1_11comp_targetILNS1_3genE0ELNS1_11target_archE4294967295ELNS1_3gpuE0ELNS1_3repE0EEENS1_48merge_mergepath_partition_config_static_selectorELNS0_4arch9wavefront6targetE1EEEvSJ_.has_recursion, 0
	.set _ZN7rocprim17ROCPRIM_400000_NS6detail17trampoline_kernelINS0_14default_configENS1_38merge_sort_block_merge_config_selectorIiiEEZZNS1_27merge_sort_block_merge_implIS3_N6thrust23THRUST_200600_302600_NS6detail15normal_iteratorINS8_10device_ptrIiEEEESD_jNS1_19radix_merge_compareILb1ELb1EiNS0_19identity_decomposerEEEEE10hipError_tT0_T1_T2_jT3_P12ihipStream_tbPNSt15iterator_traitsISI_E10value_typeEPNSO_ISJ_E10value_typeEPSK_NS1_7vsmem_tEENKUlT_SI_SJ_SK_E_clIPiSD_S10_SD_EESH_SX_SI_SJ_SK_EUlSX_E_NS1_11comp_targetILNS1_3genE0ELNS1_11target_archE4294967295ELNS1_3gpuE0ELNS1_3repE0EEENS1_48merge_mergepath_partition_config_static_selectorELNS0_4arch9wavefront6targetE1EEEvSJ_.has_indirect_call, 0
	.section	.AMDGPU.csdata,"",@progbits
; Kernel info:
; codeLenInByte = 336
; TotalNumSgprs: 16
; NumVgprs: 17
; NumAgprs: 0
; TotalNumVgprs: 17
; ScratchSize: 0
; MemoryBound: 0
; FloatMode: 240
; IeeeMode: 1
; LDSByteSize: 0 bytes/workgroup (compile time only)
; SGPRBlocks: 1
; VGPRBlocks: 2
; NumSGPRsForWavesPerEU: 16
; NumVGPRsForWavesPerEU: 17
; AccumOffset: 20
; Occupancy: 8
; WaveLimiterHint : 0
; COMPUTE_PGM_RSRC2:SCRATCH_EN: 0
; COMPUTE_PGM_RSRC2:USER_SGPR: 2
; COMPUTE_PGM_RSRC2:TRAP_HANDLER: 0
; COMPUTE_PGM_RSRC2:TGID_X_EN: 1
; COMPUTE_PGM_RSRC2:TGID_Y_EN: 0
; COMPUTE_PGM_RSRC2:TGID_Z_EN: 0
; COMPUTE_PGM_RSRC2:TIDIG_COMP_CNT: 0
; COMPUTE_PGM_RSRC3_GFX90A:ACCUM_OFFSET: 4
; COMPUTE_PGM_RSRC3_GFX90A:TG_SPLIT: 0
	.section	.text._ZN7rocprim17ROCPRIM_400000_NS6detail17trampoline_kernelINS0_14default_configENS1_38merge_sort_block_merge_config_selectorIiiEEZZNS1_27merge_sort_block_merge_implIS3_N6thrust23THRUST_200600_302600_NS6detail15normal_iteratorINS8_10device_ptrIiEEEESD_jNS1_19radix_merge_compareILb1ELb1EiNS0_19identity_decomposerEEEEE10hipError_tT0_T1_T2_jT3_P12ihipStream_tbPNSt15iterator_traitsISI_E10value_typeEPNSO_ISJ_E10value_typeEPSK_NS1_7vsmem_tEENKUlT_SI_SJ_SK_E_clIPiSD_S10_SD_EESH_SX_SI_SJ_SK_EUlSX_E_NS1_11comp_targetILNS1_3genE10ELNS1_11target_archE1201ELNS1_3gpuE5ELNS1_3repE0EEENS1_48merge_mergepath_partition_config_static_selectorELNS0_4arch9wavefront6targetE1EEEvSJ_,"axG",@progbits,_ZN7rocprim17ROCPRIM_400000_NS6detail17trampoline_kernelINS0_14default_configENS1_38merge_sort_block_merge_config_selectorIiiEEZZNS1_27merge_sort_block_merge_implIS3_N6thrust23THRUST_200600_302600_NS6detail15normal_iteratorINS8_10device_ptrIiEEEESD_jNS1_19radix_merge_compareILb1ELb1EiNS0_19identity_decomposerEEEEE10hipError_tT0_T1_T2_jT3_P12ihipStream_tbPNSt15iterator_traitsISI_E10value_typeEPNSO_ISJ_E10value_typeEPSK_NS1_7vsmem_tEENKUlT_SI_SJ_SK_E_clIPiSD_S10_SD_EESH_SX_SI_SJ_SK_EUlSX_E_NS1_11comp_targetILNS1_3genE10ELNS1_11target_archE1201ELNS1_3gpuE5ELNS1_3repE0EEENS1_48merge_mergepath_partition_config_static_selectorELNS0_4arch9wavefront6targetE1EEEvSJ_,comdat
	.protected	_ZN7rocprim17ROCPRIM_400000_NS6detail17trampoline_kernelINS0_14default_configENS1_38merge_sort_block_merge_config_selectorIiiEEZZNS1_27merge_sort_block_merge_implIS3_N6thrust23THRUST_200600_302600_NS6detail15normal_iteratorINS8_10device_ptrIiEEEESD_jNS1_19radix_merge_compareILb1ELb1EiNS0_19identity_decomposerEEEEE10hipError_tT0_T1_T2_jT3_P12ihipStream_tbPNSt15iterator_traitsISI_E10value_typeEPNSO_ISJ_E10value_typeEPSK_NS1_7vsmem_tEENKUlT_SI_SJ_SK_E_clIPiSD_S10_SD_EESH_SX_SI_SJ_SK_EUlSX_E_NS1_11comp_targetILNS1_3genE10ELNS1_11target_archE1201ELNS1_3gpuE5ELNS1_3repE0EEENS1_48merge_mergepath_partition_config_static_selectorELNS0_4arch9wavefront6targetE1EEEvSJ_ ; -- Begin function _ZN7rocprim17ROCPRIM_400000_NS6detail17trampoline_kernelINS0_14default_configENS1_38merge_sort_block_merge_config_selectorIiiEEZZNS1_27merge_sort_block_merge_implIS3_N6thrust23THRUST_200600_302600_NS6detail15normal_iteratorINS8_10device_ptrIiEEEESD_jNS1_19radix_merge_compareILb1ELb1EiNS0_19identity_decomposerEEEEE10hipError_tT0_T1_T2_jT3_P12ihipStream_tbPNSt15iterator_traitsISI_E10value_typeEPNSO_ISJ_E10value_typeEPSK_NS1_7vsmem_tEENKUlT_SI_SJ_SK_E_clIPiSD_S10_SD_EESH_SX_SI_SJ_SK_EUlSX_E_NS1_11comp_targetILNS1_3genE10ELNS1_11target_archE1201ELNS1_3gpuE5ELNS1_3repE0EEENS1_48merge_mergepath_partition_config_static_selectorELNS0_4arch9wavefront6targetE1EEEvSJ_
	.globl	_ZN7rocprim17ROCPRIM_400000_NS6detail17trampoline_kernelINS0_14default_configENS1_38merge_sort_block_merge_config_selectorIiiEEZZNS1_27merge_sort_block_merge_implIS3_N6thrust23THRUST_200600_302600_NS6detail15normal_iteratorINS8_10device_ptrIiEEEESD_jNS1_19radix_merge_compareILb1ELb1EiNS0_19identity_decomposerEEEEE10hipError_tT0_T1_T2_jT3_P12ihipStream_tbPNSt15iterator_traitsISI_E10value_typeEPNSO_ISJ_E10value_typeEPSK_NS1_7vsmem_tEENKUlT_SI_SJ_SK_E_clIPiSD_S10_SD_EESH_SX_SI_SJ_SK_EUlSX_E_NS1_11comp_targetILNS1_3genE10ELNS1_11target_archE1201ELNS1_3gpuE5ELNS1_3repE0EEENS1_48merge_mergepath_partition_config_static_selectorELNS0_4arch9wavefront6targetE1EEEvSJ_
	.p2align	8
	.type	_ZN7rocprim17ROCPRIM_400000_NS6detail17trampoline_kernelINS0_14default_configENS1_38merge_sort_block_merge_config_selectorIiiEEZZNS1_27merge_sort_block_merge_implIS3_N6thrust23THRUST_200600_302600_NS6detail15normal_iteratorINS8_10device_ptrIiEEEESD_jNS1_19radix_merge_compareILb1ELb1EiNS0_19identity_decomposerEEEEE10hipError_tT0_T1_T2_jT3_P12ihipStream_tbPNSt15iterator_traitsISI_E10value_typeEPNSO_ISJ_E10value_typeEPSK_NS1_7vsmem_tEENKUlT_SI_SJ_SK_E_clIPiSD_S10_SD_EESH_SX_SI_SJ_SK_EUlSX_E_NS1_11comp_targetILNS1_3genE10ELNS1_11target_archE1201ELNS1_3gpuE5ELNS1_3repE0EEENS1_48merge_mergepath_partition_config_static_selectorELNS0_4arch9wavefront6targetE1EEEvSJ_,@function
_ZN7rocprim17ROCPRIM_400000_NS6detail17trampoline_kernelINS0_14default_configENS1_38merge_sort_block_merge_config_selectorIiiEEZZNS1_27merge_sort_block_merge_implIS3_N6thrust23THRUST_200600_302600_NS6detail15normal_iteratorINS8_10device_ptrIiEEEESD_jNS1_19radix_merge_compareILb1ELb1EiNS0_19identity_decomposerEEEEE10hipError_tT0_T1_T2_jT3_P12ihipStream_tbPNSt15iterator_traitsISI_E10value_typeEPNSO_ISJ_E10value_typeEPSK_NS1_7vsmem_tEENKUlT_SI_SJ_SK_E_clIPiSD_S10_SD_EESH_SX_SI_SJ_SK_EUlSX_E_NS1_11comp_targetILNS1_3genE10ELNS1_11target_archE1201ELNS1_3gpuE5ELNS1_3repE0EEENS1_48merge_mergepath_partition_config_static_selectorELNS0_4arch9wavefront6targetE1EEEvSJ_: ; @_ZN7rocprim17ROCPRIM_400000_NS6detail17trampoline_kernelINS0_14default_configENS1_38merge_sort_block_merge_config_selectorIiiEEZZNS1_27merge_sort_block_merge_implIS3_N6thrust23THRUST_200600_302600_NS6detail15normal_iteratorINS8_10device_ptrIiEEEESD_jNS1_19radix_merge_compareILb1ELb1EiNS0_19identity_decomposerEEEEE10hipError_tT0_T1_T2_jT3_P12ihipStream_tbPNSt15iterator_traitsISI_E10value_typeEPNSO_ISJ_E10value_typeEPSK_NS1_7vsmem_tEENKUlT_SI_SJ_SK_E_clIPiSD_S10_SD_EESH_SX_SI_SJ_SK_EUlSX_E_NS1_11comp_targetILNS1_3genE10ELNS1_11target_archE1201ELNS1_3gpuE5ELNS1_3repE0EEENS1_48merge_mergepath_partition_config_static_selectorELNS0_4arch9wavefront6targetE1EEEvSJ_
; %bb.0:
	.section	.rodata,"a",@progbits
	.p2align	6, 0x0
	.amdhsa_kernel _ZN7rocprim17ROCPRIM_400000_NS6detail17trampoline_kernelINS0_14default_configENS1_38merge_sort_block_merge_config_selectorIiiEEZZNS1_27merge_sort_block_merge_implIS3_N6thrust23THRUST_200600_302600_NS6detail15normal_iteratorINS8_10device_ptrIiEEEESD_jNS1_19radix_merge_compareILb1ELb1EiNS0_19identity_decomposerEEEEE10hipError_tT0_T1_T2_jT3_P12ihipStream_tbPNSt15iterator_traitsISI_E10value_typeEPNSO_ISJ_E10value_typeEPSK_NS1_7vsmem_tEENKUlT_SI_SJ_SK_E_clIPiSD_S10_SD_EESH_SX_SI_SJ_SK_EUlSX_E_NS1_11comp_targetILNS1_3genE10ELNS1_11target_archE1201ELNS1_3gpuE5ELNS1_3repE0EEENS1_48merge_mergepath_partition_config_static_selectorELNS0_4arch9wavefront6targetE1EEEvSJ_
		.amdhsa_group_segment_fixed_size 0
		.amdhsa_private_segment_fixed_size 0
		.amdhsa_kernarg_size 40
		.amdhsa_user_sgpr_count 2
		.amdhsa_user_sgpr_dispatch_ptr 0
		.amdhsa_user_sgpr_queue_ptr 0
		.amdhsa_user_sgpr_kernarg_segment_ptr 1
		.amdhsa_user_sgpr_dispatch_id 0
		.amdhsa_user_sgpr_kernarg_preload_length 0
		.amdhsa_user_sgpr_kernarg_preload_offset 0
		.amdhsa_user_sgpr_private_segment_size 0
		.amdhsa_uses_dynamic_stack 0
		.amdhsa_enable_private_segment 0
		.amdhsa_system_sgpr_workgroup_id_x 1
		.amdhsa_system_sgpr_workgroup_id_y 0
		.amdhsa_system_sgpr_workgroup_id_z 0
		.amdhsa_system_sgpr_workgroup_info 0
		.amdhsa_system_vgpr_workitem_id 0
		.amdhsa_next_free_vgpr 1
		.amdhsa_next_free_sgpr 0
		.amdhsa_accum_offset 4
		.amdhsa_reserve_vcc 0
		.amdhsa_float_round_mode_32 0
		.amdhsa_float_round_mode_16_64 0
		.amdhsa_float_denorm_mode_32 3
		.amdhsa_float_denorm_mode_16_64 3
		.amdhsa_dx10_clamp 1
		.amdhsa_ieee_mode 1
		.amdhsa_fp16_overflow 0
		.amdhsa_tg_split 0
		.amdhsa_exception_fp_ieee_invalid_op 0
		.amdhsa_exception_fp_denorm_src 0
		.amdhsa_exception_fp_ieee_div_zero 0
		.amdhsa_exception_fp_ieee_overflow 0
		.amdhsa_exception_fp_ieee_underflow 0
		.amdhsa_exception_fp_ieee_inexact 0
		.amdhsa_exception_int_div_zero 0
	.end_amdhsa_kernel
	.section	.text._ZN7rocprim17ROCPRIM_400000_NS6detail17trampoline_kernelINS0_14default_configENS1_38merge_sort_block_merge_config_selectorIiiEEZZNS1_27merge_sort_block_merge_implIS3_N6thrust23THRUST_200600_302600_NS6detail15normal_iteratorINS8_10device_ptrIiEEEESD_jNS1_19radix_merge_compareILb1ELb1EiNS0_19identity_decomposerEEEEE10hipError_tT0_T1_T2_jT3_P12ihipStream_tbPNSt15iterator_traitsISI_E10value_typeEPNSO_ISJ_E10value_typeEPSK_NS1_7vsmem_tEENKUlT_SI_SJ_SK_E_clIPiSD_S10_SD_EESH_SX_SI_SJ_SK_EUlSX_E_NS1_11comp_targetILNS1_3genE10ELNS1_11target_archE1201ELNS1_3gpuE5ELNS1_3repE0EEENS1_48merge_mergepath_partition_config_static_selectorELNS0_4arch9wavefront6targetE1EEEvSJ_,"axG",@progbits,_ZN7rocprim17ROCPRIM_400000_NS6detail17trampoline_kernelINS0_14default_configENS1_38merge_sort_block_merge_config_selectorIiiEEZZNS1_27merge_sort_block_merge_implIS3_N6thrust23THRUST_200600_302600_NS6detail15normal_iteratorINS8_10device_ptrIiEEEESD_jNS1_19radix_merge_compareILb1ELb1EiNS0_19identity_decomposerEEEEE10hipError_tT0_T1_T2_jT3_P12ihipStream_tbPNSt15iterator_traitsISI_E10value_typeEPNSO_ISJ_E10value_typeEPSK_NS1_7vsmem_tEENKUlT_SI_SJ_SK_E_clIPiSD_S10_SD_EESH_SX_SI_SJ_SK_EUlSX_E_NS1_11comp_targetILNS1_3genE10ELNS1_11target_archE1201ELNS1_3gpuE5ELNS1_3repE0EEENS1_48merge_mergepath_partition_config_static_selectorELNS0_4arch9wavefront6targetE1EEEvSJ_,comdat
.Lfunc_end1772:
	.size	_ZN7rocprim17ROCPRIM_400000_NS6detail17trampoline_kernelINS0_14default_configENS1_38merge_sort_block_merge_config_selectorIiiEEZZNS1_27merge_sort_block_merge_implIS3_N6thrust23THRUST_200600_302600_NS6detail15normal_iteratorINS8_10device_ptrIiEEEESD_jNS1_19radix_merge_compareILb1ELb1EiNS0_19identity_decomposerEEEEE10hipError_tT0_T1_T2_jT3_P12ihipStream_tbPNSt15iterator_traitsISI_E10value_typeEPNSO_ISJ_E10value_typeEPSK_NS1_7vsmem_tEENKUlT_SI_SJ_SK_E_clIPiSD_S10_SD_EESH_SX_SI_SJ_SK_EUlSX_E_NS1_11comp_targetILNS1_3genE10ELNS1_11target_archE1201ELNS1_3gpuE5ELNS1_3repE0EEENS1_48merge_mergepath_partition_config_static_selectorELNS0_4arch9wavefront6targetE1EEEvSJ_, .Lfunc_end1772-_ZN7rocprim17ROCPRIM_400000_NS6detail17trampoline_kernelINS0_14default_configENS1_38merge_sort_block_merge_config_selectorIiiEEZZNS1_27merge_sort_block_merge_implIS3_N6thrust23THRUST_200600_302600_NS6detail15normal_iteratorINS8_10device_ptrIiEEEESD_jNS1_19radix_merge_compareILb1ELb1EiNS0_19identity_decomposerEEEEE10hipError_tT0_T1_T2_jT3_P12ihipStream_tbPNSt15iterator_traitsISI_E10value_typeEPNSO_ISJ_E10value_typeEPSK_NS1_7vsmem_tEENKUlT_SI_SJ_SK_E_clIPiSD_S10_SD_EESH_SX_SI_SJ_SK_EUlSX_E_NS1_11comp_targetILNS1_3genE10ELNS1_11target_archE1201ELNS1_3gpuE5ELNS1_3repE0EEENS1_48merge_mergepath_partition_config_static_selectorELNS0_4arch9wavefront6targetE1EEEvSJ_
                                        ; -- End function
	.set _ZN7rocprim17ROCPRIM_400000_NS6detail17trampoline_kernelINS0_14default_configENS1_38merge_sort_block_merge_config_selectorIiiEEZZNS1_27merge_sort_block_merge_implIS3_N6thrust23THRUST_200600_302600_NS6detail15normal_iteratorINS8_10device_ptrIiEEEESD_jNS1_19radix_merge_compareILb1ELb1EiNS0_19identity_decomposerEEEEE10hipError_tT0_T1_T2_jT3_P12ihipStream_tbPNSt15iterator_traitsISI_E10value_typeEPNSO_ISJ_E10value_typeEPSK_NS1_7vsmem_tEENKUlT_SI_SJ_SK_E_clIPiSD_S10_SD_EESH_SX_SI_SJ_SK_EUlSX_E_NS1_11comp_targetILNS1_3genE10ELNS1_11target_archE1201ELNS1_3gpuE5ELNS1_3repE0EEENS1_48merge_mergepath_partition_config_static_selectorELNS0_4arch9wavefront6targetE1EEEvSJ_.num_vgpr, 0
	.set _ZN7rocprim17ROCPRIM_400000_NS6detail17trampoline_kernelINS0_14default_configENS1_38merge_sort_block_merge_config_selectorIiiEEZZNS1_27merge_sort_block_merge_implIS3_N6thrust23THRUST_200600_302600_NS6detail15normal_iteratorINS8_10device_ptrIiEEEESD_jNS1_19radix_merge_compareILb1ELb1EiNS0_19identity_decomposerEEEEE10hipError_tT0_T1_T2_jT3_P12ihipStream_tbPNSt15iterator_traitsISI_E10value_typeEPNSO_ISJ_E10value_typeEPSK_NS1_7vsmem_tEENKUlT_SI_SJ_SK_E_clIPiSD_S10_SD_EESH_SX_SI_SJ_SK_EUlSX_E_NS1_11comp_targetILNS1_3genE10ELNS1_11target_archE1201ELNS1_3gpuE5ELNS1_3repE0EEENS1_48merge_mergepath_partition_config_static_selectorELNS0_4arch9wavefront6targetE1EEEvSJ_.num_agpr, 0
	.set _ZN7rocprim17ROCPRIM_400000_NS6detail17trampoline_kernelINS0_14default_configENS1_38merge_sort_block_merge_config_selectorIiiEEZZNS1_27merge_sort_block_merge_implIS3_N6thrust23THRUST_200600_302600_NS6detail15normal_iteratorINS8_10device_ptrIiEEEESD_jNS1_19radix_merge_compareILb1ELb1EiNS0_19identity_decomposerEEEEE10hipError_tT0_T1_T2_jT3_P12ihipStream_tbPNSt15iterator_traitsISI_E10value_typeEPNSO_ISJ_E10value_typeEPSK_NS1_7vsmem_tEENKUlT_SI_SJ_SK_E_clIPiSD_S10_SD_EESH_SX_SI_SJ_SK_EUlSX_E_NS1_11comp_targetILNS1_3genE10ELNS1_11target_archE1201ELNS1_3gpuE5ELNS1_3repE0EEENS1_48merge_mergepath_partition_config_static_selectorELNS0_4arch9wavefront6targetE1EEEvSJ_.numbered_sgpr, 0
	.set _ZN7rocprim17ROCPRIM_400000_NS6detail17trampoline_kernelINS0_14default_configENS1_38merge_sort_block_merge_config_selectorIiiEEZZNS1_27merge_sort_block_merge_implIS3_N6thrust23THRUST_200600_302600_NS6detail15normal_iteratorINS8_10device_ptrIiEEEESD_jNS1_19radix_merge_compareILb1ELb1EiNS0_19identity_decomposerEEEEE10hipError_tT0_T1_T2_jT3_P12ihipStream_tbPNSt15iterator_traitsISI_E10value_typeEPNSO_ISJ_E10value_typeEPSK_NS1_7vsmem_tEENKUlT_SI_SJ_SK_E_clIPiSD_S10_SD_EESH_SX_SI_SJ_SK_EUlSX_E_NS1_11comp_targetILNS1_3genE10ELNS1_11target_archE1201ELNS1_3gpuE5ELNS1_3repE0EEENS1_48merge_mergepath_partition_config_static_selectorELNS0_4arch9wavefront6targetE1EEEvSJ_.num_named_barrier, 0
	.set _ZN7rocprim17ROCPRIM_400000_NS6detail17trampoline_kernelINS0_14default_configENS1_38merge_sort_block_merge_config_selectorIiiEEZZNS1_27merge_sort_block_merge_implIS3_N6thrust23THRUST_200600_302600_NS6detail15normal_iteratorINS8_10device_ptrIiEEEESD_jNS1_19radix_merge_compareILb1ELb1EiNS0_19identity_decomposerEEEEE10hipError_tT0_T1_T2_jT3_P12ihipStream_tbPNSt15iterator_traitsISI_E10value_typeEPNSO_ISJ_E10value_typeEPSK_NS1_7vsmem_tEENKUlT_SI_SJ_SK_E_clIPiSD_S10_SD_EESH_SX_SI_SJ_SK_EUlSX_E_NS1_11comp_targetILNS1_3genE10ELNS1_11target_archE1201ELNS1_3gpuE5ELNS1_3repE0EEENS1_48merge_mergepath_partition_config_static_selectorELNS0_4arch9wavefront6targetE1EEEvSJ_.private_seg_size, 0
	.set _ZN7rocprim17ROCPRIM_400000_NS6detail17trampoline_kernelINS0_14default_configENS1_38merge_sort_block_merge_config_selectorIiiEEZZNS1_27merge_sort_block_merge_implIS3_N6thrust23THRUST_200600_302600_NS6detail15normal_iteratorINS8_10device_ptrIiEEEESD_jNS1_19radix_merge_compareILb1ELb1EiNS0_19identity_decomposerEEEEE10hipError_tT0_T1_T2_jT3_P12ihipStream_tbPNSt15iterator_traitsISI_E10value_typeEPNSO_ISJ_E10value_typeEPSK_NS1_7vsmem_tEENKUlT_SI_SJ_SK_E_clIPiSD_S10_SD_EESH_SX_SI_SJ_SK_EUlSX_E_NS1_11comp_targetILNS1_3genE10ELNS1_11target_archE1201ELNS1_3gpuE5ELNS1_3repE0EEENS1_48merge_mergepath_partition_config_static_selectorELNS0_4arch9wavefront6targetE1EEEvSJ_.uses_vcc, 0
	.set _ZN7rocprim17ROCPRIM_400000_NS6detail17trampoline_kernelINS0_14default_configENS1_38merge_sort_block_merge_config_selectorIiiEEZZNS1_27merge_sort_block_merge_implIS3_N6thrust23THRUST_200600_302600_NS6detail15normal_iteratorINS8_10device_ptrIiEEEESD_jNS1_19radix_merge_compareILb1ELb1EiNS0_19identity_decomposerEEEEE10hipError_tT0_T1_T2_jT3_P12ihipStream_tbPNSt15iterator_traitsISI_E10value_typeEPNSO_ISJ_E10value_typeEPSK_NS1_7vsmem_tEENKUlT_SI_SJ_SK_E_clIPiSD_S10_SD_EESH_SX_SI_SJ_SK_EUlSX_E_NS1_11comp_targetILNS1_3genE10ELNS1_11target_archE1201ELNS1_3gpuE5ELNS1_3repE0EEENS1_48merge_mergepath_partition_config_static_selectorELNS0_4arch9wavefront6targetE1EEEvSJ_.uses_flat_scratch, 0
	.set _ZN7rocprim17ROCPRIM_400000_NS6detail17trampoline_kernelINS0_14default_configENS1_38merge_sort_block_merge_config_selectorIiiEEZZNS1_27merge_sort_block_merge_implIS3_N6thrust23THRUST_200600_302600_NS6detail15normal_iteratorINS8_10device_ptrIiEEEESD_jNS1_19radix_merge_compareILb1ELb1EiNS0_19identity_decomposerEEEEE10hipError_tT0_T1_T2_jT3_P12ihipStream_tbPNSt15iterator_traitsISI_E10value_typeEPNSO_ISJ_E10value_typeEPSK_NS1_7vsmem_tEENKUlT_SI_SJ_SK_E_clIPiSD_S10_SD_EESH_SX_SI_SJ_SK_EUlSX_E_NS1_11comp_targetILNS1_3genE10ELNS1_11target_archE1201ELNS1_3gpuE5ELNS1_3repE0EEENS1_48merge_mergepath_partition_config_static_selectorELNS0_4arch9wavefront6targetE1EEEvSJ_.has_dyn_sized_stack, 0
	.set _ZN7rocprim17ROCPRIM_400000_NS6detail17trampoline_kernelINS0_14default_configENS1_38merge_sort_block_merge_config_selectorIiiEEZZNS1_27merge_sort_block_merge_implIS3_N6thrust23THRUST_200600_302600_NS6detail15normal_iteratorINS8_10device_ptrIiEEEESD_jNS1_19radix_merge_compareILb1ELb1EiNS0_19identity_decomposerEEEEE10hipError_tT0_T1_T2_jT3_P12ihipStream_tbPNSt15iterator_traitsISI_E10value_typeEPNSO_ISJ_E10value_typeEPSK_NS1_7vsmem_tEENKUlT_SI_SJ_SK_E_clIPiSD_S10_SD_EESH_SX_SI_SJ_SK_EUlSX_E_NS1_11comp_targetILNS1_3genE10ELNS1_11target_archE1201ELNS1_3gpuE5ELNS1_3repE0EEENS1_48merge_mergepath_partition_config_static_selectorELNS0_4arch9wavefront6targetE1EEEvSJ_.has_recursion, 0
	.set _ZN7rocprim17ROCPRIM_400000_NS6detail17trampoline_kernelINS0_14default_configENS1_38merge_sort_block_merge_config_selectorIiiEEZZNS1_27merge_sort_block_merge_implIS3_N6thrust23THRUST_200600_302600_NS6detail15normal_iteratorINS8_10device_ptrIiEEEESD_jNS1_19radix_merge_compareILb1ELb1EiNS0_19identity_decomposerEEEEE10hipError_tT0_T1_T2_jT3_P12ihipStream_tbPNSt15iterator_traitsISI_E10value_typeEPNSO_ISJ_E10value_typeEPSK_NS1_7vsmem_tEENKUlT_SI_SJ_SK_E_clIPiSD_S10_SD_EESH_SX_SI_SJ_SK_EUlSX_E_NS1_11comp_targetILNS1_3genE10ELNS1_11target_archE1201ELNS1_3gpuE5ELNS1_3repE0EEENS1_48merge_mergepath_partition_config_static_selectorELNS0_4arch9wavefront6targetE1EEEvSJ_.has_indirect_call, 0
	.section	.AMDGPU.csdata,"",@progbits
; Kernel info:
; codeLenInByte = 0
; TotalNumSgprs: 6
; NumVgprs: 0
; NumAgprs: 0
; TotalNumVgprs: 0
; ScratchSize: 0
; MemoryBound: 0
; FloatMode: 240
; IeeeMode: 1
; LDSByteSize: 0 bytes/workgroup (compile time only)
; SGPRBlocks: 0
; VGPRBlocks: 0
; NumSGPRsForWavesPerEU: 6
; NumVGPRsForWavesPerEU: 1
; AccumOffset: 4
; Occupancy: 8
; WaveLimiterHint : 0
; COMPUTE_PGM_RSRC2:SCRATCH_EN: 0
; COMPUTE_PGM_RSRC2:USER_SGPR: 2
; COMPUTE_PGM_RSRC2:TRAP_HANDLER: 0
; COMPUTE_PGM_RSRC2:TGID_X_EN: 1
; COMPUTE_PGM_RSRC2:TGID_Y_EN: 0
; COMPUTE_PGM_RSRC2:TGID_Z_EN: 0
; COMPUTE_PGM_RSRC2:TIDIG_COMP_CNT: 0
; COMPUTE_PGM_RSRC3_GFX90A:ACCUM_OFFSET: 0
; COMPUTE_PGM_RSRC3_GFX90A:TG_SPLIT: 0
	.section	.text._ZN7rocprim17ROCPRIM_400000_NS6detail17trampoline_kernelINS0_14default_configENS1_38merge_sort_block_merge_config_selectorIiiEEZZNS1_27merge_sort_block_merge_implIS3_N6thrust23THRUST_200600_302600_NS6detail15normal_iteratorINS8_10device_ptrIiEEEESD_jNS1_19radix_merge_compareILb1ELb1EiNS0_19identity_decomposerEEEEE10hipError_tT0_T1_T2_jT3_P12ihipStream_tbPNSt15iterator_traitsISI_E10value_typeEPNSO_ISJ_E10value_typeEPSK_NS1_7vsmem_tEENKUlT_SI_SJ_SK_E_clIPiSD_S10_SD_EESH_SX_SI_SJ_SK_EUlSX_E_NS1_11comp_targetILNS1_3genE5ELNS1_11target_archE942ELNS1_3gpuE9ELNS1_3repE0EEENS1_48merge_mergepath_partition_config_static_selectorELNS0_4arch9wavefront6targetE1EEEvSJ_,"axG",@progbits,_ZN7rocprim17ROCPRIM_400000_NS6detail17trampoline_kernelINS0_14default_configENS1_38merge_sort_block_merge_config_selectorIiiEEZZNS1_27merge_sort_block_merge_implIS3_N6thrust23THRUST_200600_302600_NS6detail15normal_iteratorINS8_10device_ptrIiEEEESD_jNS1_19radix_merge_compareILb1ELb1EiNS0_19identity_decomposerEEEEE10hipError_tT0_T1_T2_jT3_P12ihipStream_tbPNSt15iterator_traitsISI_E10value_typeEPNSO_ISJ_E10value_typeEPSK_NS1_7vsmem_tEENKUlT_SI_SJ_SK_E_clIPiSD_S10_SD_EESH_SX_SI_SJ_SK_EUlSX_E_NS1_11comp_targetILNS1_3genE5ELNS1_11target_archE942ELNS1_3gpuE9ELNS1_3repE0EEENS1_48merge_mergepath_partition_config_static_selectorELNS0_4arch9wavefront6targetE1EEEvSJ_,comdat
	.protected	_ZN7rocprim17ROCPRIM_400000_NS6detail17trampoline_kernelINS0_14default_configENS1_38merge_sort_block_merge_config_selectorIiiEEZZNS1_27merge_sort_block_merge_implIS3_N6thrust23THRUST_200600_302600_NS6detail15normal_iteratorINS8_10device_ptrIiEEEESD_jNS1_19radix_merge_compareILb1ELb1EiNS0_19identity_decomposerEEEEE10hipError_tT0_T1_T2_jT3_P12ihipStream_tbPNSt15iterator_traitsISI_E10value_typeEPNSO_ISJ_E10value_typeEPSK_NS1_7vsmem_tEENKUlT_SI_SJ_SK_E_clIPiSD_S10_SD_EESH_SX_SI_SJ_SK_EUlSX_E_NS1_11comp_targetILNS1_3genE5ELNS1_11target_archE942ELNS1_3gpuE9ELNS1_3repE0EEENS1_48merge_mergepath_partition_config_static_selectorELNS0_4arch9wavefront6targetE1EEEvSJ_ ; -- Begin function _ZN7rocprim17ROCPRIM_400000_NS6detail17trampoline_kernelINS0_14default_configENS1_38merge_sort_block_merge_config_selectorIiiEEZZNS1_27merge_sort_block_merge_implIS3_N6thrust23THRUST_200600_302600_NS6detail15normal_iteratorINS8_10device_ptrIiEEEESD_jNS1_19radix_merge_compareILb1ELb1EiNS0_19identity_decomposerEEEEE10hipError_tT0_T1_T2_jT3_P12ihipStream_tbPNSt15iterator_traitsISI_E10value_typeEPNSO_ISJ_E10value_typeEPSK_NS1_7vsmem_tEENKUlT_SI_SJ_SK_E_clIPiSD_S10_SD_EESH_SX_SI_SJ_SK_EUlSX_E_NS1_11comp_targetILNS1_3genE5ELNS1_11target_archE942ELNS1_3gpuE9ELNS1_3repE0EEENS1_48merge_mergepath_partition_config_static_selectorELNS0_4arch9wavefront6targetE1EEEvSJ_
	.globl	_ZN7rocprim17ROCPRIM_400000_NS6detail17trampoline_kernelINS0_14default_configENS1_38merge_sort_block_merge_config_selectorIiiEEZZNS1_27merge_sort_block_merge_implIS3_N6thrust23THRUST_200600_302600_NS6detail15normal_iteratorINS8_10device_ptrIiEEEESD_jNS1_19radix_merge_compareILb1ELb1EiNS0_19identity_decomposerEEEEE10hipError_tT0_T1_T2_jT3_P12ihipStream_tbPNSt15iterator_traitsISI_E10value_typeEPNSO_ISJ_E10value_typeEPSK_NS1_7vsmem_tEENKUlT_SI_SJ_SK_E_clIPiSD_S10_SD_EESH_SX_SI_SJ_SK_EUlSX_E_NS1_11comp_targetILNS1_3genE5ELNS1_11target_archE942ELNS1_3gpuE9ELNS1_3repE0EEENS1_48merge_mergepath_partition_config_static_selectorELNS0_4arch9wavefront6targetE1EEEvSJ_
	.p2align	8
	.type	_ZN7rocprim17ROCPRIM_400000_NS6detail17trampoline_kernelINS0_14default_configENS1_38merge_sort_block_merge_config_selectorIiiEEZZNS1_27merge_sort_block_merge_implIS3_N6thrust23THRUST_200600_302600_NS6detail15normal_iteratorINS8_10device_ptrIiEEEESD_jNS1_19radix_merge_compareILb1ELb1EiNS0_19identity_decomposerEEEEE10hipError_tT0_T1_T2_jT3_P12ihipStream_tbPNSt15iterator_traitsISI_E10value_typeEPNSO_ISJ_E10value_typeEPSK_NS1_7vsmem_tEENKUlT_SI_SJ_SK_E_clIPiSD_S10_SD_EESH_SX_SI_SJ_SK_EUlSX_E_NS1_11comp_targetILNS1_3genE5ELNS1_11target_archE942ELNS1_3gpuE9ELNS1_3repE0EEENS1_48merge_mergepath_partition_config_static_selectorELNS0_4arch9wavefront6targetE1EEEvSJ_,@function
_ZN7rocprim17ROCPRIM_400000_NS6detail17trampoline_kernelINS0_14default_configENS1_38merge_sort_block_merge_config_selectorIiiEEZZNS1_27merge_sort_block_merge_implIS3_N6thrust23THRUST_200600_302600_NS6detail15normal_iteratorINS8_10device_ptrIiEEEESD_jNS1_19radix_merge_compareILb1ELb1EiNS0_19identity_decomposerEEEEE10hipError_tT0_T1_T2_jT3_P12ihipStream_tbPNSt15iterator_traitsISI_E10value_typeEPNSO_ISJ_E10value_typeEPSK_NS1_7vsmem_tEENKUlT_SI_SJ_SK_E_clIPiSD_S10_SD_EESH_SX_SI_SJ_SK_EUlSX_E_NS1_11comp_targetILNS1_3genE5ELNS1_11target_archE942ELNS1_3gpuE9ELNS1_3repE0EEENS1_48merge_mergepath_partition_config_static_selectorELNS0_4arch9wavefront6targetE1EEEvSJ_: ; @_ZN7rocprim17ROCPRIM_400000_NS6detail17trampoline_kernelINS0_14default_configENS1_38merge_sort_block_merge_config_selectorIiiEEZZNS1_27merge_sort_block_merge_implIS3_N6thrust23THRUST_200600_302600_NS6detail15normal_iteratorINS8_10device_ptrIiEEEESD_jNS1_19radix_merge_compareILb1ELb1EiNS0_19identity_decomposerEEEEE10hipError_tT0_T1_T2_jT3_P12ihipStream_tbPNSt15iterator_traitsISI_E10value_typeEPNSO_ISJ_E10value_typeEPSK_NS1_7vsmem_tEENKUlT_SI_SJ_SK_E_clIPiSD_S10_SD_EESH_SX_SI_SJ_SK_EUlSX_E_NS1_11comp_targetILNS1_3genE5ELNS1_11target_archE942ELNS1_3gpuE9ELNS1_3repE0EEENS1_48merge_mergepath_partition_config_static_selectorELNS0_4arch9wavefront6targetE1EEEvSJ_
; %bb.0:
	.section	.rodata,"a",@progbits
	.p2align	6, 0x0
	.amdhsa_kernel _ZN7rocprim17ROCPRIM_400000_NS6detail17trampoline_kernelINS0_14default_configENS1_38merge_sort_block_merge_config_selectorIiiEEZZNS1_27merge_sort_block_merge_implIS3_N6thrust23THRUST_200600_302600_NS6detail15normal_iteratorINS8_10device_ptrIiEEEESD_jNS1_19radix_merge_compareILb1ELb1EiNS0_19identity_decomposerEEEEE10hipError_tT0_T1_T2_jT3_P12ihipStream_tbPNSt15iterator_traitsISI_E10value_typeEPNSO_ISJ_E10value_typeEPSK_NS1_7vsmem_tEENKUlT_SI_SJ_SK_E_clIPiSD_S10_SD_EESH_SX_SI_SJ_SK_EUlSX_E_NS1_11comp_targetILNS1_3genE5ELNS1_11target_archE942ELNS1_3gpuE9ELNS1_3repE0EEENS1_48merge_mergepath_partition_config_static_selectorELNS0_4arch9wavefront6targetE1EEEvSJ_
		.amdhsa_group_segment_fixed_size 0
		.amdhsa_private_segment_fixed_size 0
		.amdhsa_kernarg_size 40
		.amdhsa_user_sgpr_count 2
		.amdhsa_user_sgpr_dispatch_ptr 0
		.amdhsa_user_sgpr_queue_ptr 0
		.amdhsa_user_sgpr_kernarg_segment_ptr 1
		.amdhsa_user_sgpr_dispatch_id 0
		.amdhsa_user_sgpr_kernarg_preload_length 0
		.amdhsa_user_sgpr_kernarg_preload_offset 0
		.amdhsa_user_sgpr_private_segment_size 0
		.amdhsa_uses_dynamic_stack 0
		.amdhsa_enable_private_segment 0
		.amdhsa_system_sgpr_workgroup_id_x 1
		.amdhsa_system_sgpr_workgroup_id_y 0
		.amdhsa_system_sgpr_workgroup_id_z 0
		.amdhsa_system_sgpr_workgroup_info 0
		.amdhsa_system_vgpr_workitem_id 0
		.amdhsa_next_free_vgpr 1
		.amdhsa_next_free_sgpr 0
		.amdhsa_accum_offset 4
		.amdhsa_reserve_vcc 0
		.amdhsa_float_round_mode_32 0
		.amdhsa_float_round_mode_16_64 0
		.amdhsa_float_denorm_mode_32 3
		.amdhsa_float_denorm_mode_16_64 3
		.amdhsa_dx10_clamp 1
		.amdhsa_ieee_mode 1
		.amdhsa_fp16_overflow 0
		.amdhsa_tg_split 0
		.amdhsa_exception_fp_ieee_invalid_op 0
		.amdhsa_exception_fp_denorm_src 0
		.amdhsa_exception_fp_ieee_div_zero 0
		.amdhsa_exception_fp_ieee_overflow 0
		.amdhsa_exception_fp_ieee_underflow 0
		.amdhsa_exception_fp_ieee_inexact 0
		.amdhsa_exception_int_div_zero 0
	.end_amdhsa_kernel
	.section	.text._ZN7rocprim17ROCPRIM_400000_NS6detail17trampoline_kernelINS0_14default_configENS1_38merge_sort_block_merge_config_selectorIiiEEZZNS1_27merge_sort_block_merge_implIS3_N6thrust23THRUST_200600_302600_NS6detail15normal_iteratorINS8_10device_ptrIiEEEESD_jNS1_19radix_merge_compareILb1ELb1EiNS0_19identity_decomposerEEEEE10hipError_tT0_T1_T2_jT3_P12ihipStream_tbPNSt15iterator_traitsISI_E10value_typeEPNSO_ISJ_E10value_typeEPSK_NS1_7vsmem_tEENKUlT_SI_SJ_SK_E_clIPiSD_S10_SD_EESH_SX_SI_SJ_SK_EUlSX_E_NS1_11comp_targetILNS1_3genE5ELNS1_11target_archE942ELNS1_3gpuE9ELNS1_3repE0EEENS1_48merge_mergepath_partition_config_static_selectorELNS0_4arch9wavefront6targetE1EEEvSJ_,"axG",@progbits,_ZN7rocprim17ROCPRIM_400000_NS6detail17trampoline_kernelINS0_14default_configENS1_38merge_sort_block_merge_config_selectorIiiEEZZNS1_27merge_sort_block_merge_implIS3_N6thrust23THRUST_200600_302600_NS6detail15normal_iteratorINS8_10device_ptrIiEEEESD_jNS1_19radix_merge_compareILb1ELb1EiNS0_19identity_decomposerEEEEE10hipError_tT0_T1_T2_jT3_P12ihipStream_tbPNSt15iterator_traitsISI_E10value_typeEPNSO_ISJ_E10value_typeEPSK_NS1_7vsmem_tEENKUlT_SI_SJ_SK_E_clIPiSD_S10_SD_EESH_SX_SI_SJ_SK_EUlSX_E_NS1_11comp_targetILNS1_3genE5ELNS1_11target_archE942ELNS1_3gpuE9ELNS1_3repE0EEENS1_48merge_mergepath_partition_config_static_selectorELNS0_4arch9wavefront6targetE1EEEvSJ_,comdat
.Lfunc_end1773:
	.size	_ZN7rocprim17ROCPRIM_400000_NS6detail17trampoline_kernelINS0_14default_configENS1_38merge_sort_block_merge_config_selectorIiiEEZZNS1_27merge_sort_block_merge_implIS3_N6thrust23THRUST_200600_302600_NS6detail15normal_iteratorINS8_10device_ptrIiEEEESD_jNS1_19radix_merge_compareILb1ELb1EiNS0_19identity_decomposerEEEEE10hipError_tT0_T1_T2_jT3_P12ihipStream_tbPNSt15iterator_traitsISI_E10value_typeEPNSO_ISJ_E10value_typeEPSK_NS1_7vsmem_tEENKUlT_SI_SJ_SK_E_clIPiSD_S10_SD_EESH_SX_SI_SJ_SK_EUlSX_E_NS1_11comp_targetILNS1_3genE5ELNS1_11target_archE942ELNS1_3gpuE9ELNS1_3repE0EEENS1_48merge_mergepath_partition_config_static_selectorELNS0_4arch9wavefront6targetE1EEEvSJ_, .Lfunc_end1773-_ZN7rocprim17ROCPRIM_400000_NS6detail17trampoline_kernelINS0_14default_configENS1_38merge_sort_block_merge_config_selectorIiiEEZZNS1_27merge_sort_block_merge_implIS3_N6thrust23THRUST_200600_302600_NS6detail15normal_iteratorINS8_10device_ptrIiEEEESD_jNS1_19radix_merge_compareILb1ELb1EiNS0_19identity_decomposerEEEEE10hipError_tT0_T1_T2_jT3_P12ihipStream_tbPNSt15iterator_traitsISI_E10value_typeEPNSO_ISJ_E10value_typeEPSK_NS1_7vsmem_tEENKUlT_SI_SJ_SK_E_clIPiSD_S10_SD_EESH_SX_SI_SJ_SK_EUlSX_E_NS1_11comp_targetILNS1_3genE5ELNS1_11target_archE942ELNS1_3gpuE9ELNS1_3repE0EEENS1_48merge_mergepath_partition_config_static_selectorELNS0_4arch9wavefront6targetE1EEEvSJ_
                                        ; -- End function
	.set _ZN7rocprim17ROCPRIM_400000_NS6detail17trampoline_kernelINS0_14default_configENS1_38merge_sort_block_merge_config_selectorIiiEEZZNS1_27merge_sort_block_merge_implIS3_N6thrust23THRUST_200600_302600_NS6detail15normal_iteratorINS8_10device_ptrIiEEEESD_jNS1_19radix_merge_compareILb1ELb1EiNS0_19identity_decomposerEEEEE10hipError_tT0_T1_T2_jT3_P12ihipStream_tbPNSt15iterator_traitsISI_E10value_typeEPNSO_ISJ_E10value_typeEPSK_NS1_7vsmem_tEENKUlT_SI_SJ_SK_E_clIPiSD_S10_SD_EESH_SX_SI_SJ_SK_EUlSX_E_NS1_11comp_targetILNS1_3genE5ELNS1_11target_archE942ELNS1_3gpuE9ELNS1_3repE0EEENS1_48merge_mergepath_partition_config_static_selectorELNS0_4arch9wavefront6targetE1EEEvSJ_.num_vgpr, 0
	.set _ZN7rocprim17ROCPRIM_400000_NS6detail17trampoline_kernelINS0_14default_configENS1_38merge_sort_block_merge_config_selectorIiiEEZZNS1_27merge_sort_block_merge_implIS3_N6thrust23THRUST_200600_302600_NS6detail15normal_iteratorINS8_10device_ptrIiEEEESD_jNS1_19radix_merge_compareILb1ELb1EiNS0_19identity_decomposerEEEEE10hipError_tT0_T1_T2_jT3_P12ihipStream_tbPNSt15iterator_traitsISI_E10value_typeEPNSO_ISJ_E10value_typeEPSK_NS1_7vsmem_tEENKUlT_SI_SJ_SK_E_clIPiSD_S10_SD_EESH_SX_SI_SJ_SK_EUlSX_E_NS1_11comp_targetILNS1_3genE5ELNS1_11target_archE942ELNS1_3gpuE9ELNS1_3repE0EEENS1_48merge_mergepath_partition_config_static_selectorELNS0_4arch9wavefront6targetE1EEEvSJ_.num_agpr, 0
	.set _ZN7rocprim17ROCPRIM_400000_NS6detail17trampoline_kernelINS0_14default_configENS1_38merge_sort_block_merge_config_selectorIiiEEZZNS1_27merge_sort_block_merge_implIS3_N6thrust23THRUST_200600_302600_NS6detail15normal_iteratorINS8_10device_ptrIiEEEESD_jNS1_19radix_merge_compareILb1ELb1EiNS0_19identity_decomposerEEEEE10hipError_tT0_T1_T2_jT3_P12ihipStream_tbPNSt15iterator_traitsISI_E10value_typeEPNSO_ISJ_E10value_typeEPSK_NS1_7vsmem_tEENKUlT_SI_SJ_SK_E_clIPiSD_S10_SD_EESH_SX_SI_SJ_SK_EUlSX_E_NS1_11comp_targetILNS1_3genE5ELNS1_11target_archE942ELNS1_3gpuE9ELNS1_3repE0EEENS1_48merge_mergepath_partition_config_static_selectorELNS0_4arch9wavefront6targetE1EEEvSJ_.numbered_sgpr, 0
	.set _ZN7rocprim17ROCPRIM_400000_NS6detail17trampoline_kernelINS0_14default_configENS1_38merge_sort_block_merge_config_selectorIiiEEZZNS1_27merge_sort_block_merge_implIS3_N6thrust23THRUST_200600_302600_NS6detail15normal_iteratorINS8_10device_ptrIiEEEESD_jNS1_19radix_merge_compareILb1ELb1EiNS0_19identity_decomposerEEEEE10hipError_tT0_T1_T2_jT3_P12ihipStream_tbPNSt15iterator_traitsISI_E10value_typeEPNSO_ISJ_E10value_typeEPSK_NS1_7vsmem_tEENKUlT_SI_SJ_SK_E_clIPiSD_S10_SD_EESH_SX_SI_SJ_SK_EUlSX_E_NS1_11comp_targetILNS1_3genE5ELNS1_11target_archE942ELNS1_3gpuE9ELNS1_3repE0EEENS1_48merge_mergepath_partition_config_static_selectorELNS0_4arch9wavefront6targetE1EEEvSJ_.num_named_barrier, 0
	.set _ZN7rocprim17ROCPRIM_400000_NS6detail17trampoline_kernelINS0_14default_configENS1_38merge_sort_block_merge_config_selectorIiiEEZZNS1_27merge_sort_block_merge_implIS3_N6thrust23THRUST_200600_302600_NS6detail15normal_iteratorINS8_10device_ptrIiEEEESD_jNS1_19radix_merge_compareILb1ELb1EiNS0_19identity_decomposerEEEEE10hipError_tT0_T1_T2_jT3_P12ihipStream_tbPNSt15iterator_traitsISI_E10value_typeEPNSO_ISJ_E10value_typeEPSK_NS1_7vsmem_tEENKUlT_SI_SJ_SK_E_clIPiSD_S10_SD_EESH_SX_SI_SJ_SK_EUlSX_E_NS1_11comp_targetILNS1_3genE5ELNS1_11target_archE942ELNS1_3gpuE9ELNS1_3repE0EEENS1_48merge_mergepath_partition_config_static_selectorELNS0_4arch9wavefront6targetE1EEEvSJ_.private_seg_size, 0
	.set _ZN7rocprim17ROCPRIM_400000_NS6detail17trampoline_kernelINS0_14default_configENS1_38merge_sort_block_merge_config_selectorIiiEEZZNS1_27merge_sort_block_merge_implIS3_N6thrust23THRUST_200600_302600_NS6detail15normal_iteratorINS8_10device_ptrIiEEEESD_jNS1_19radix_merge_compareILb1ELb1EiNS0_19identity_decomposerEEEEE10hipError_tT0_T1_T2_jT3_P12ihipStream_tbPNSt15iterator_traitsISI_E10value_typeEPNSO_ISJ_E10value_typeEPSK_NS1_7vsmem_tEENKUlT_SI_SJ_SK_E_clIPiSD_S10_SD_EESH_SX_SI_SJ_SK_EUlSX_E_NS1_11comp_targetILNS1_3genE5ELNS1_11target_archE942ELNS1_3gpuE9ELNS1_3repE0EEENS1_48merge_mergepath_partition_config_static_selectorELNS0_4arch9wavefront6targetE1EEEvSJ_.uses_vcc, 0
	.set _ZN7rocprim17ROCPRIM_400000_NS6detail17trampoline_kernelINS0_14default_configENS1_38merge_sort_block_merge_config_selectorIiiEEZZNS1_27merge_sort_block_merge_implIS3_N6thrust23THRUST_200600_302600_NS6detail15normal_iteratorINS8_10device_ptrIiEEEESD_jNS1_19radix_merge_compareILb1ELb1EiNS0_19identity_decomposerEEEEE10hipError_tT0_T1_T2_jT3_P12ihipStream_tbPNSt15iterator_traitsISI_E10value_typeEPNSO_ISJ_E10value_typeEPSK_NS1_7vsmem_tEENKUlT_SI_SJ_SK_E_clIPiSD_S10_SD_EESH_SX_SI_SJ_SK_EUlSX_E_NS1_11comp_targetILNS1_3genE5ELNS1_11target_archE942ELNS1_3gpuE9ELNS1_3repE0EEENS1_48merge_mergepath_partition_config_static_selectorELNS0_4arch9wavefront6targetE1EEEvSJ_.uses_flat_scratch, 0
	.set _ZN7rocprim17ROCPRIM_400000_NS6detail17trampoline_kernelINS0_14default_configENS1_38merge_sort_block_merge_config_selectorIiiEEZZNS1_27merge_sort_block_merge_implIS3_N6thrust23THRUST_200600_302600_NS6detail15normal_iteratorINS8_10device_ptrIiEEEESD_jNS1_19radix_merge_compareILb1ELb1EiNS0_19identity_decomposerEEEEE10hipError_tT0_T1_T2_jT3_P12ihipStream_tbPNSt15iterator_traitsISI_E10value_typeEPNSO_ISJ_E10value_typeEPSK_NS1_7vsmem_tEENKUlT_SI_SJ_SK_E_clIPiSD_S10_SD_EESH_SX_SI_SJ_SK_EUlSX_E_NS1_11comp_targetILNS1_3genE5ELNS1_11target_archE942ELNS1_3gpuE9ELNS1_3repE0EEENS1_48merge_mergepath_partition_config_static_selectorELNS0_4arch9wavefront6targetE1EEEvSJ_.has_dyn_sized_stack, 0
	.set _ZN7rocprim17ROCPRIM_400000_NS6detail17trampoline_kernelINS0_14default_configENS1_38merge_sort_block_merge_config_selectorIiiEEZZNS1_27merge_sort_block_merge_implIS3_N6thrust23THRUST_200600_302600_NS6detail15normal_iteratorINS8_10device_ptrIiEEEESD_jNS1_19radix_merge_compareILb1ELb1EiNS0_19identity_decomposerEEEEE10hipError_tT0_T1_T2_jT3_P12ihipStream_tbPNSt15iterator_traitsISI_E10value_typeEPNSO_ISJ_E10value_typeEPSK_NS1_7vsmem_tEENKUlT_SI_SJ_SK_E_clIPiSD_S10_SD_EESH_SX_SI_SJ_SK_EUlSX_E_NS1_11comp_targetILNS1_3genE5ELNS1_11target_archE942ELNS1_3gpuE9ELNS1_3repE0EEENS1_48merge_mergepath_partition_config_static_selectorELNS0_4arch9wavefront6targetE1EEEvSJ_.has_recursion, 0
	.set _ZN7rocprim17ROCPRIM_400000_NS6detail17trampoline_kernelINS0_14default_configENS1_38merge_sort_block_merge_config_selectorIiiEEZZNS1_27merge_sort_block_merge_implIS3_N6thrust23THRUST_200600_302600_NS6detail15normal_iteratorINS8_10device_ptrIiEEEESD_jNS1_19radix_merge_compareILb1ELb1EiNS0_19identity_decomposerEEEEE10hipError_tT0_T1_T2_jT3_P12ihipStream_tbPNSt15iterator_traitsISI_E10value_typeEPNSO_ISJ_E10value_typeEPSK_NS1_7vsmem_tEENKUlT_SI_SJ_SK_E_clIPiSD_S10_SD_EESH_SX_SI_SJ_SK_EUlSX_E_NS1_11comp_targetILNS1_3genE5ELNS1_11target_archE942ELNS1_3gpuE9ELNS1_3repE0EEENS1_48merge_mergepath_partition_config_static_selectorELNS0_4arch9wavefront6targetE1EEEvSJ_.has_indirect_call, 0
	.section	.AMDGPU.csdata,"",@progbits
; Kernel info:
; codeLenInByte = 0
; TotalNumSgprs: 6
; NumVgprs: 0
; NumAgprs: 0
; TotalNumVgprs: 0
; ScratchSize: 0
; MemoryBound: 0
; FloatMode: 240
; IeeeMode: 1
; LDSByteSize: 0 bytes/workgroup (compile time only)
; SGPRBlocks: 0
; VGPRBlocks: 0
; NumSGPRsForWavesPerEU: 6
; NumVGPRsForWavesPerEU: 1
; AccumOffset: 4
; Occupancy: 8
; WaveLimiterHint : 0
; COMPUTE_PGM_RSRC2:SCRATCH_EN: 0
; COMPUTE_PGM_RSRC2:USER_SGPR: 2
; COMPUTE_PGM_RSRC2:TRAP_HANDLER: 0
; COMPUTE_PGM_RSRC2:TGID_X_EN: 1
; COMPUTE_PGM_RSRC2:TGID_Y_EN: 0
; COMPUTE_PGM_RSRC2:TGID_Z_EN: 0
; COMPUTE_PGM_RSRC2:TIDIG_COMP_CNT: 0
; COMPUTE_PGM_RSRC3_GFX90A:ACCUM_OFFSET: 0
; COMPUTE_PGM_RSRC3_GFX90A:TG_SPLIT: 0
	.section	.text._ZN7rocprim17ROCPRIM_400000_NS6detail17trampoline_kernelINS0_14default_configENS1_38merge_sort_block_merge_config_selectorIiiEEZZNS1_27merge_sort_block_merge_implIS3_N6thrust23THRUST_200600_302600_NS6detail15normal_iteratorINS8_10device_ptrIiEEEESD_jNS1_19radix_merge_compareILb1ELb1EiNS0_19identity_decomposerEEEEE10hipError_tT0_T1_T2_jT3_P12ihipStream_tbPNSt15iterator_traitsISI_E10value_typeEPNSO_ISJ_E10value_typeEPSK_NS1_7vsmem_tEENKUlT_SI_SJ_SK_E_clIPiSD_S10_SD_EESH_SX_SI_SJ_SK_EUlSX_E_NS1_11comp_targetILNS1_3genE4ELNS1_11target_archE910ELNS1_3gpuE8ELNS1_3repE0EEENS1_48merge_mergepath_partition_config_static_selectorELNS0_4arch9wavefront6targetE1EEEvSJ_,"axG",@progbits,_ZN7rocprim17ROCPRIM_400000_NS6detail17trampoline_kernelINS0_14default_configENS1_38merge_sort_block_merge_config_selectorIiiEEZZNS1_27merge_sort_block_merge_implIS3_N6thrust23THRUST_200600_302600_NS6detail15normal_iteratorINS8_10device_ptrIiEEEESD_jNS1_19radix_merge_compareILb1ELb1EiNS0_19identity_decomposerEEEEE10hipError_tT0_T1_T2_jT3_P12ihipStream_tbPNSt15iterator_traitsISI_E10value_typeEPNSO_ISJ_E10value_typeEPSK_NS1_7vsmem_tEENKUlT_SI_SJ_SK_E_clIPiSD_S10_SD_EESH_SX_SI_SJ_SK_EUlSX_E_NS1_11comp_targetILNS1_3genE4ELNS1_11target_archE910ELNS1_3gpuE8ELNS1_3repE0EEENS1_48merge_mergepath_partition_config_static_selectorELNS0_4arch9wavefront6targetE1EEEvSJ_,comdat
	.protected	_ZN7rocprim17ROCPRIM_400000_NS6detail17trampoline_kernelINS0_14default_configENS1_38merge_sort_block_merge_config_selectorIiiEEZZNS1_27merge_sort_block_merge_implIS3_N6thrust23THRUST_200600_302600_NS6detail15normal_iteratorINS8_10device_ptrIiEEEESD_jNS1_19radix_merge_compareILb1ELb1EiNS0_19identity_decomposerEEEEE10hipError_tT0_T1_T2_jT3_P12ihipStream_tbPNSt15iterator_traitsISI_E10value_typeEPNSO_ISJ_E10value_typeEPSK_NS1_7vsmem_tEENKUlT_SI_SJ_SK_E_clIPiSD_S10_SD_EESH_SX_SI_SJ_SK_EUlSX_E_NS1_11comp_targetILNS1_3genE4ELNS1_11target_archE910ELNS1_3gpuE8ELNS1_3repE0EEENS1_48merge_mergepath_partition_config_static_selectorELNS0_4arch9wavefront6targetE1EEEvSJ_ ; -- Begin function _ZN7rocprim17ROCPRIM_400000_NS6detail17trampoline_kernelINS0_14default_configENS1_38merge_sort_block_merge_config_selectorIiiEEZZNS1_27merge_sort_block_merge_implIS3_N6thrust23THRUST_200600_302600_NS6detail15normal_iteratorINS8_10device_ptrIiEEEESD_jNS1_19radix_merge_compareILb1ELb1EiNS0_19identity_decomposerEEEEE10hipError_tT0_T1_T2_jT3_P12ihipStream_tbPNSt15iterator_traitsISI_E10value_typeEPNSO_ISJ_E10value_typeEPSK_NS1_7vsmem_tEENKUlT_SI_SJ_SK_E_clIPiSD_S10_SD_EESH_SX_SI_SJ_SK_EUlSX_E_NS1_11comp_targetILNS1_3genE4ELNS1_11target_archE910ELNS1_3gpuE8ELNS1_3repE0EEENS1_48merge_mergepath_partition_config_static_selectorELNS0_4arch9wavefront6targetE1EEEvSJ_
	.globl	_ZN7rocprim17ROCPRIM_400000_NS6detail17trampoline_kernelINS0_14default_configENS1_38merge_sort_block_merge_config_selectorIiiEEZZNS1_27merge_sort_block_merge_implIS3_N6thrust23THRUST_200600_302600_NS6detail15normal_iteratorINS8_10device_ptrIiEEEESD_jNS1_19radix_merge_compareILb1ELb1EiNS0_19identity_decomposerEEEEE10hipError_tT0_T1_T2_jT3_P12ihipStream_tbPNSt15iterator_traitsISI_E10value_typeEPNSO_ISJ_E10value_typeEPSK_NS1_7vsmem_tEENKUlT_SI_SJ_SK_E_clIPiSD_S10_SD_EESH_SX_SI_SJ_SK_EUlSX_E_NS1_11comp_targetILNS1_3genE4ELNS1_11target_archE910ELNS1_3gpuE8ELNS1_3repE0EEENS1_48merge_mergepath_partition_config_static_selectorELNS0_4arch9wavefront6targetE1EEEvSJ_
	.p2align	8
	.type	_ZN7rocprim17ROCPRIM_400000_NS6detail17trampoline_kernelINS0_14default_configENS1_38merge_sort_block_merge_config_selectorIiiEEZZNS1_27merge_sort_block_merge_implIS3_N6thrust23THRUST_200600_302600_NS6detail15normal_iteratorINS8_10device_ptrIiEEEESD_jNS1_19radix_merge_compareILb1ELb1EiNS0_19identity_decomposerEEEEE10hipError_tT0_T1_T2_jT3_P12ihipStream_tbPNSt15iterator_traitsISI_E10value_typeEPNSO_ISJ_E10value_typeEPSK_NS1_7vsmem_tEENKUlT_SI_SJ_SK_E_clIPiSD_S10_SD_EESH_SX_SI_SJ_SK_EUlSX_E_NS1_11comp_targetILNS1_3genE4ELNS1_11target_archE910ELNS1_3gpuE8ELNS1_3repE0EEENS1_48merge_mergepath_partition_config_static_selectorELNS0_4arch9wavefront6targetE1EEEvSJ_,@function
_ZN7rocprim17ROCPRIM_400000_NS6detail17trampoline_kernelINS0_14default_configENS1_38merge_sort_block_merge_config_selectorIiiEEZZNS1_27merge_sort_block_merge_implIS3_N6thrust23THRUST_200600_302600_NS6detail15normal_iteratorINS8_10device_ptrIiEEEESD_jNS1_19radix_merge_compareILb1ELb1EiNS0_19identity_decomposerEEEEE10hipError_tT0_T1_T2_jT3_P12ihipStream_tbPNSt15iterator_traitsISI_E10value_typeEPNSO_ISJ_E10value_typeEPSK_NS1_7vsmem_tEENKUlT_SI_SJ_SK_E_clIPiSD_S10_SD_EESH_SX_SI_SJ_SK_EUlSX_E_NS1_11comp_targetILNS1_3genE4ELNS1_11target_archE910ELNS1_3gpuE8ELNS1_3repE0EEENS1_48merge_mergepath_partition_config_static_selectorELNS0_4arch9wavefront6targetE1EEEvSJ_: ; @_ZN7rocprim17ROCPRIM_400000_NS6detail17trampoline_kernelINS0_14default_configENS1_38merge_sort_block_merge_config_selectorIiiEEZZNS1_27merge_sort_block_merge_implIS3_N6thrust23THRUST_200600_302600_NS6detail15normal_iteratorINS8_10device_ptrIiEEEESD_jNS1_19radix_merge_compareILb1ELb1EiNS0_19identity_decomposerEEEEE10hipError_tT0_T1_T2_jT3_P12ihipStream_tbPNSt15iterator_traitsISI_E10value_typeEPNSO_ISJ_E10value_typeEPSK_NS1_7vsmem_tEENKUlT_SI_SJ_SK_E_clIPiSD_S10_SD_EESH_SX_SI_SJ_SK_EUlSX_E_NS1_11comp_targetILNS1_3genE4ELNS1_11target_archE910ELNS1_3gpuE8ELNS1_3repE0EEENS1_48merge_mergepath_partition_config_static_selectorELNS0_4arch9wavefront6targetE1EEEvSJ_
; %bb.0:
	.section	.rodata,"a",@progbits
	.p2align	6, 0x0
	.amdhsa_kernel _ZN7rocprim17ROCPRIM_400000_NS6detail17trampoline_kernelINS0_14default_configENS1_38merge_sort_block_merge_config_selectorIiiEEZZNS1_27merge_sort_block_merge_implIS3_N6thrust23THRUST_200600_302600_NS6detail15normal_iteratorINS8_10device_ptrIiEEEESD_jNS1_19radix_merge_compareILb1ELb1EiNS0_19identity_decomposerEEEEE10hipError_tT0_T1_T2_jT3_P12ihipStream_tbPNSt15iterator_traitsISI_E10value_typeEPNSO_ISJ_E10value_typeEPSK_NS1_7vsmem_tEENKUlT_SI_SJ_SK_E_clIPiSD_S10_SD_EESH_SX_SI_SJ_SK_EUlSX_E_NS1_11comp_targetILNS1_3genE4ELNS1_11target_archE910ELNS1_3gpuE8ELNS1_3repE0EEENS1_48merge_mergepath_partition_config_static_selectorELNS0_4arch9wavefront6targetE1EEEvSJ_
		.amdhsa_group_segment_fixed_size 0
		.amdhsa_private_segment_fixed_size 0
		.amdhsa_kernarg_size 40
		.amdhsa_user_sgpr_count 2
		.amdhsa_user_sgpr_dispatch_ptr 0
		.amdhsa_user_sgpr_queue_ptr 0
		.amdhsa_user_sgpr_kernarg_segment_ptr 1
		.amdhsa_user_sgpr_dispatch_id 0
		.amdhsa_user_sgpr_kernarg_preload_length 0
		.amdhsa_user_sgpr_kernarg_preload_offset 0
		.amdhsa_user_sgpr_private_segment_size 0
		.amdhsa_uses_dynamic_stack 0
		.amdhsa_enable_private_segment 0
		.amdhsa_system_sgpr_workgroup_id_x 1
		.amdhsa_system_sgpr_workgroup_id_y 0
		.amdhsa_system_sgpr_workgroup_id_z 0
		.amdhsa_system_sgpr_workgroup_info 0
		.amdhsa_system_vgpr_workitem_id 0
		.amdhsa_next_free_vgpr 1
		.amdhsa_next_free_sgpr 0
		.amdhsa_accum_offset 4
		.amdhsa_reserve_vcc 0
		.amdhsa_float_round_mode_32 0
		.amdhsa_float_round_mode_16_64 0
		.amdhsa_float_denorm_mode_32 3
		.amdhsa_float_denorm_mode_16_64 3
		.amdhsa_dx10_clamp 1
		.amdhsa_ieee_mode 1
		.amdhsa_fp16_overflow 0
		.amdhsa_tg_split 0
		.amdhsa_exception_fp_ieee_invalid_op 0
		.amdhsa_exception_fp_denorm_src 0
		.amdhsa_exception_fp_ieee_div_zero 0
		.amdhsa_exception_fp_ieee_overflow 0
		.amdhsa_exception_fp_ieee_underflow 0
		.amdhsa_exception_fp_ieee_inexact 0
		.amdhsa_exception_int_div_zero 0
	.end_amdhsa_kernel
	.section	.text._ZN7rocprim17ROCPRIM_400000_NS6detail17trampoline_kernelINS0_14default_configENS1_38merge_sort_block_merge_config_selectorIiiEEZZNS1_27merge_sort_block_merge_implIS3_N6thrust23THRUST_200600_302600_NS6detail15normal_iteratorINS8_10device_ptrIiEEEESD_jNS1_19radix_merge_compareILb1ELb1EiNS0_19identity_decomposerEEEEE10hipError_tT0_T1_T2_jT3_P12ihipStream_tbPNSt15iterator_traitsISI_E10value_typeEPNSO_ISJ_E10value_typeEPSK_NS1_7vsmem_tEENKUlT_SI_SJ_SK_E_clIPiSD_S10_SD_EESH_SX_SI_SJ_SK_EUlSX_E_NS1_11comp_targetILNS1_3genE4ELNS1_11target_archE910ELNS1_3gpuE8ELNS1_3repE0EEENS1_48merge_mergepath_partition_config_static_selectorELNS0_4arch9wavefront6targetE1EEEvSJ_,"axG",@progbits,_ZN7rocprim17ROCPRIM_400000_NS6detail17trampoline_kernelINS0_14default_configENS1_38merge_sort_block_merge_config_selectorIiiEEZZNS1_27merge_sort_block_merge_implIS3_N6thrust23THRUST_200600_302600_NS6detail15normal_iteratorINS8_10device_ptrIiEEEESD_jNS1_19radix_merge_compareILb1ELb1EiNS0_19identity_decomposerEEEEE10hipError_tT0_T1_T2_jT3_P12ihipStream_tbPNSt15iterator_traitsISI_E10value_typeEPNSO_ISJ_E10value_typeEPSK_NS1_7vsmem_tEENKUlT_SI_SJ_SK_E_clIPiSD_S10_SD_EESH_SX_SI_SJ_SK_EUlSX_E_NS1_11comp_targetILNS1_3genE4ELNS1_11target_archE910ELNS1_3gpuE8ELNS1_3repE0EEENS1_48merge_mergepath_partition_config_static_selectorELNS0_4arch9wavefront6targetE1EEEvSJ_,comdat
.Lfunc_end1774:
	.size	_ZN7rocprim17ROCPRIM_400000_NS6detail17trampoline_kernelINS0_14default_configENS1_38merge_sort_block_merge_config_selectorIiiEEZZNS1_27merge_sort_block_merge_implIS3_N6thrust23THRUST_200600_302600_NS6detail15normal_iteratorINS8_10device_ptrIiEEEESD_jNS1_19radix_merge_compareILb1ELb1EiNS0_19identity_decomposerEEEEE10hipError_tT0_T1_T2_jT3_P12ihipStream_tbPNSt15iterator_traitsISI_E10value_typeEPNSO_ISJ_E10value_typeEPSK_NS1_7vsmem_tEENKUlT_SI_SJ_SK_E_clIPiSD_S10_SD_EESH_SX_SI_SJ_SK_EUlSX_E_NS1_11comp_targetILNS1_3genE4ELNS1_11target_archE910ELNS1_3gpuE8ELNS1_3repE0EEENS1_48merge_mergepath_partition_config_static_selectorELNS0_4arch9wavefront6targetE1EEEvSJ_, .Lfunc_end1774-_ZN7rocprim17ROCPRIM_400000_NS6detail17trampoline_kernelINS0_14default_configENS1_38merge_sort_block_merge_config_selectorIiiEEZZNS1_27merge_sort_block_merge_implIS3_N6thrust23THRUST_200600_302600_NS6detail15normal_iteratorINS8_10device_ptrIiEEEESD_jNS1_19radix_merge_compareILb1ELb1EiNS0_19identity_decomposerEEEEE10hipError_tT0_T1_T2_jT3_P12ihipStream_tbPNSt15iterator_traitsISI_E10value_typeEPNSO_ISJ_E10value_typeEPSK_NS1_7vsmem_tEENKUlT_SI_SJ_SK_E_clIPiSD_S10_SD_EESH_SX_SI_SJ_SK_EUlSX_E_NS1_11comp_targetILNS1_3genE4ELNS1_11target_archE910ELNS1_3gpuE8ELNS1_3repE0EEENS1_48merge_mergepath_partition_config_static_selectorELNS0_4arch9wavefront6targetE1EEEvSJ_
                                        ; -- End function
	.set _ZN7rocprim17ROCPRIM_400000_NS6detail17trampoline_kernelINS0_14default_configENS1_38merge_sort_block_merge_config_selectorIiiEEZZNS1_27merge_sort_block_merge_implIS3_N6thrust23THRUST_200600_302600_NS6detail15normal_iteratorINS8_10device_ptrIiEEEESD_jNS1_19radix_merge_compareILb1ELb1EiNS0_19identity_decomposerEEEEE10hipError_tT0_T1_T2_jT3_P12ihipStream_tbPNSt15iterator_traitsISI_E10value_typeEPNSO_ISJ_E10value_typeEPSK_NS1_7vsmem_tEENKUlT_SI_SJ_SK_E_clIPiSD_S10_SD_EESH_SX_SI_SJ_SK_EUlSX_E_NS1_11comp_targetILNS1_3genE4ELNS1_11target_archE910ELNS1_3gpuE8ELNS1_3repE0EEENS1_48merge_mergepath_partition_config_static_selectorELNS0_4arch9wavefront6targetE1EEEvSJ_.num_vgpr, 0
	.set _ZN7rocprim17ROCPRIM_400000_NS6detail17trampoline_kernelINS0_14default_configENS1_38merge_sort_block_merge_config_selectorIiiEEZZNS1_27merge_sort_block_merge_implIS3_N6thrust23THRUST_200600_302600_NS6detail15normal_iteratorINS8_10device_ptrIiEEEESD_jNS1_19radix_merge_compareILb1ELb1EiNS0_19identity_decomposerEEEEE10hipError_tT0_T1_T2_jT3_P12ihipStream_tbPNSt15iterator_traitsISI_E10value_typeEPNSO_ISJ_E10value_typeEPSK_NS1_7vsmem_tEENKUlT_SI_SJ_SK_E_clIPiSD_S10_SD_EESH_SX_SI_SJ_SK_EUlSX_E_NS1_11comp_targetILNS1_3genE4ELNS1_11target_archE910ELNS1_3gpuE8ELNS1_3repE0EEENS1_48merge_mergepath_partition_config_static_selectorELNS0_4arch9wavefront6targetE1EEEvSJ_.num_agpr, 0
	.set _ZN7rocprim17ROCPRIM_400000_NS6detail17trampoline_kernelINS0_14default_configENS1_38merge_sort_block_merge_config_selectorIiiEEZZNS1_27merge_sort_block_merge_implIS3_N6thrust23THRUST_200600_302600_NS6detail15normal_iteratorINS8_10device_ptrIiEEEESD_jNS1_19radix_merge_compareILb1ELb1EiNS0_19identity_decomposerEEEEE10hipError_tT0_T1_T2_jT3_P12ihipStream_tbPNSt15iterator_traitsISI_E10value_typeEPNSO_ISJ_E10value_typeEPSK_NS1_7vsmem_tEENKUlT_SI_SJ_SK_E_clIPiSD_S10_SD_EESH_SX_SI_SJ_SK_EUlSX_E_NS1_11comp_targetILNS1_3genE4ELNS1_11target_archE910ELNS1_3gpuE8ELNS1_3repE0EEENS1_48merge_mergepath_partition_config_static_selectorELNS0_4arch9wavefront6targetE1EEEvSJ_.numbered_sgpr, 0
	.set _ZN7rocprim17ROCPRIM_400000_NS6detail17trampoline_kernelINS0_14default_configENS1_38merge_sort_block_merge_config_selectorIiiEEZZNS1_27merge_sort_block_merge_implIS3_N6thrust23THRUST_200600_302600_NS6detail15normal_iteratorINS8_10device_ptrIiEEEESD_jNS1_19radix_merge_compareILb1ELb1EiNS0_19identity_decomposerEEEEE10hipError_tT0_T1_T2_jT3_P12ihipStream_tbPNSt15iterator_traitsISI_E10value_typeEPNSO_ISJ_E10value_typeEPSK_NS1_7vsmem_tEENKUlT_SI_SJ_SK_E_clIPiSD_S10_SD_EESH_SX_SI_SJ_SK_EUlSX_E_NS1_11comp_targetILNS1_3genE4ELNS1_11target_archE910ELNS1_3gpuE8ELNS1_3repE0EEENS1_48merge_mergepath_partition_config_static_selectorELNS0_4arch9wavefront6targetE1EEEvSJ_.num_named_barrier, 0
	.set _ZN7rocprim17ROCPRIM_400000_NS6detail17trampoline_kernelINS0_14default_configENS1_38merge_sort_block_merge_config_selectorIiiEEZZNS1_27merge_sort_block_merge_implIS3_N6thrust23THRUST_200600_302600_NS6detail15normal_iteratorINS8_10device_ptrIiEEEESD_jNS1_19radix_merge_compareILb1ELb1EiNS0_19identity_decomposerEEEEE10hipError_tT0_T1_T2_jT3_P12ihipStream_tbPNSt15iterator_traitsISI_E10value_typeEPNSO_ISJ_E10value_typeEPSK_NS1_7vsmem_tEENKUlT_SI_SJ_SK_E_clIPiSD_S10_SD_EESH_SX_SI_SJ_SK_EUlSX_E_NS1_11comp_targetILNS1_3genE4ELNS1_11target_archE910ELNS1_3gpuE8ELNS1_3repE0EEENS1_48merge_mergepath_partition_config_static_selectorELNS0_4arch9wavefront6targetE1EEEvSJ_.private_seg_size, 0
	.set _ZN7rocprim17ROCPRIM_400000_NS6detail17trampoline_kernelINS0_14default_configENS1_38merge_sort_block_merge_config_selectorIiiEEZZNS1_27merge_sort_block_merge_implIS3_N6thrust23THRUST_200600_302600_NS6detail15normal_iteratorINS8_10device_ptrIiEEEESD_jNS1_19radix_merge_compareILb1ELb1EiNS0_19identity_decomposerEEEEE10hipError_tT0_T1_T2_jT3_P12ihipStream_tbPNSt15iterator_traitsISI_E10value_typeEPNSO_ISJ_E10value_typeEPSK_NS1_7vsmem_tEENKUlT_SI_SJ_SK_E_clIPiSD_S10_SD_EESH_SX_SI_SJ_SK_EUlSX_E_NS1_11comp_targetILNS1_3genE4ELNS1_11target_archE910ELNS1_3gpuE8ELNS1_3repE0EEENS1_48merge_mergepath_partition_config_static_selectorELNS0_4arch9wavefront6targetE1EEEvSJ_.uses_vcc, 0
	.set _ZN7rocprim17ROCPRIM_400000_NS6detail17trampoline_kernelINS0_14default_configENS1_38merge_sort_block_merge_config_selectorIiiEEZZNS1_27merge_sort_block_merge_implIS3_N6thrust23THRUST_200600_302600_NS6detail15normal_iteratorINS8_10device_ptrIiEEEESD_jNS1_19radix_merge_compareILb1ELb1EiNS0_19identity_decomposerEEEEE10hipError_tT0_T1_T2_jT3_P12ihipStream_tbPNSt15iterator_traitsISI_E10value_typeEPNSO_ISJ_E10value_typeEPSK_NS1_7vsmem_tEENKUlT_SI_SJ_SK_E_clIPiSD_S10_SD_EESH_SX_SI_SJ_SK_EUlSX_E_NS1_11comp_targetILNS1_3genE4ELNS1_11target_archE910ELNS1_3gpuE8ELNS1_3repE0EEENS1_48merge_mergepath_partition_config_static_selectorELNS0_4arch9wavefront6targetE1EEEvSJ_.uses_flat_scratch, 0
	.set _ZN7rocprim17ROCPRIM_400000_NS6detail17trampoline_kernelINS0_14default_configENS1_38merge_sort_block_merge_config_selectorIiiEEZZNS1_27merge_sort_block_merge_implIS3_N6thrust23THRUST_200600_302600_NS6detail15normal_iteratorINS8_10device_ptrIiEEEESD_jNS1_19radix_merge_compareILb1ELb1EiNS0_19identity_decomposerEEEEE10hipError_tT0_T1_T2_jT3_P12ihipStream_tbPNSt15iterator_traitsISI_E10value_typeEPNSO_ISJ_E10value_typeEPSK_NS1_7vsmem_tEENKUlT_SI_SJ_SK_E_clIPiSD_S10_SD_EESH_SX_SI_SJ_SK_EUlSX_E_NS1_11comp_targetILNS1_3genE4ELNS1_11target_archE910ELNS1_3gpuE8ELNS1_3repE0EEENS1_48merge_mergepath_partition_config_static_selectorELNS0_4arch9wavefront6targetE1EEEvSJ_.has_dyn_sized_stack, 0
	.set _ZN7rocprim17ROCPRIM_400000_NS6detail17trampoline_kernelINS0_14default_configENS1_38merge_sort_block_merge_config_selectorIiiEEZZNS1_27merge_sort_block_merge_implIS3_N6thrust23THRUST_200600_302600_NS6detail15normal_iteratorINS8_10device_ptrIiEEEESD_jNS1_19radix_merge_compareILb1ELb1EiNS0_19identity_decomposerEEEEE10hipError_tT0_T1_T2_jT3_P12ihipStream_tbPNSt15iterator_traitsISI_E10value_typeEPNSO_ISJ_E10value_typeEPSK_NS1_7vsmem_tEENKUlT_SI_SJ_SK_E_clIPiSD_S10_SD_EESH_SX_SI_SJ_SK_EUlSX_E_NS1_11comp_targetILNS1_3genE4ELNS1_11target_archE910ELNS1_3gpuE8ELNS1_3repE0EEENS1_48merge_mergepath_partition_config_static_selectorELNS0_4arch9wavefront6targetE1EEEvSJ_.has_recursion, 0
	.set _ZN7rocprim17ROCPRIM_400000_NS6detail17trampoline_kernelINS0_14default_configENS1_38merge_sort_block_merge_config_selectorIiiEEZZNS1_27merge_sort_block_merge_implIS3_N6thrust23THRUST_200600_302600_NS6detail15normal_iteratorINS8_10device_ptrIiEEEESD_jNS1_19radix_merge_compareILb1ELb1EiNS0_19identity_decomposerEEEEE10hipError_tT0_T1_T2_jT3_P12ihipStream_tbPNSt15iterator_traitsISI_E10value_typeEPNSO_ISJ_E10value_typeEPSK_NS1_7vsmem_tEENKUlT_SI_SJ_SK_E_clIPiSD_S10_SD_EESH_SX_SI_SJ_SK_EUlSX_E_NS1_11comp_targetILNS1_3genE4ELNS1_11target_archE910ELNS1_3gpuE8ELNS1_3repE0EEENS1_48merge_mergepath_partition_config_static_selectorELNS0_4arch9wavefront6targetE1EEEvSJ_.has_indirect_call, 0
	.section	.AMDGPU.csdata,"",@progbits
; Kernel info:
; codeLenInByte = 0
; TotalNumSgprs: 6
; NumVgprs: 0
; NumAgprs: 0
; TotalNumVgprs: 0
; ScratchSize: 0
; MemoryBound: 0
; FloatMode: 240
; IeeeMode: 1
; LDSByteSize: 0 bytes/workgroup (compile time only)
; SGPRBlocks: 0
; VGPRBlocks: 0
; NumSGPRsForWavesPerEU: 6
; NumVGPRsForWavesPerEU: 1
; AccumOffset: 4
; Occupancy: 8
; WaveLimiterHint : 0
; COMPUTE_PGM_RSRC2:SCRATCH_EN: 0
; COMPUTE_PGM_RSRC2:USER_SGPR: 2
; COMPUTE_PGM_RSRC2:TRAP_HANDLER: 0
; COMPUTE_PGM_RSRC2:TGID_X_EN: 1
; COMPUTE_PGM_RSRC2:TGID_Y_EN: 0
; COMPUTE_PGM_RSRC2:TGID_Z_EN: 0
; COMPUTE_PGM_RSRC2:TIDIG_COMP_CNT: 0
; COMPUTE_PGM_RSRC3_GFX90A:ACCUM_OFFSET: 0
; COMPUTE_PGM_RSRC3_GFX90A:TG_SPLIT: 0
	.section	.text._ZN7rocprim17ROCPRIM_400000_NS6detail17trampoline_kernelINS0_14default_configENS1_38merge_sort_block_merge_config_selectorIiiEEZZNS1_27merge_sort_block_merge_implIS3_N6thrust23THRUST_200600_302600_NS6detail15normal_iteratorINS8_10device_ptrIiEEEESD_jNS1_19radix_merge_compareILb1ELb1EiNS0_19identity_decomposerEEEEE10hipError_tT0_T1_T2_jT3_P12ihipStream_tbPNSt15iterator_traitsISI_E10value_typeEPNSO_ISJ_E10value_typeEPSK_NS1_7vsmem_tEENKUlT_SI_SJ_SK_E_clIPiSD_S10_SD_EESH_SX_SI_SJ_SK_EUlSX_E_NS1_11comp_targetILNS1_3genE3ELNS1_11target_archE908ELNS1_3gpuE7ELNS1_3repE0EEENS1_48merge_mergepath_partition_config_static_selectorELNS0_4arch9wavefront6targetE1EEEvSJ_,"axG",@progbits,_ZN7rocprim17ROCPRIM_400000_NS6detail17trampoline_kernelINS0_14default_configENS1_38merge_sort_block_merge_config_selectorIiiEEZZNS1_27merge_sort_block_merge_implIS3_N6thrust23THRUST_200600_302600_NS6detail15normal_iteratorINS8_10device_ptrIiEEEESD_jNS1_19radix_merge_compareILb1ELb1EiNS0_19identity_decomposerEEEEE10hipError_tT0_T1_T2_jT3_P12ihipStream_tbPNSt15iterator_traitsISI_E10value_typeEPNSO_ISJ_E10value_typeEPSK_NS1_7vsmem_tEENKUlT_SI_SJ_SK_E_clIPiSD_S10_SD_EESH_SX_SI_SJ_SK_EUlSX_E_NS1_11comp_targetILNS1_3genE3ELNS1_11target_archE908ELNS1_3gpuE7ELNS1_3repE0EEENS1_48merge_mergepath_partition_config_static_selectorELNS0_4arch9wavefront6targetE1EEEvSJ_,comdat
	.protected	_ZN7rocprim17ROCPRIM_400000_NS6detail17trampoline_kernelINS0_14default_configENS1_38merge_sort_block_merge_config_selectorIiiEEZZNS1_27merge_sort_block_merge_implIS3_N6thrust23THRUST_200600_302600_NS6detail15normal_iteratorINS8_10device_ptrIiEEEESD_jNS1_19radix_merge_compareILb1ELb1EiNS0_19identity_decomposerEEEEE10hipError_tT0_T1_T2_jT3_P12ihipStream_tbPNSt15iterator_traitsISI_E10value_typeEPNSO_ISJ_E10value_typeEPSK_NS1_7vsmem_tEENKUlT_SI_SJ_SK_E_clIPiSD_S10_SD_EESH_SX_SI_SJ_SK_EUlSX_E_NS1_11comp_targetILNS1_3genE3ELNS1_11target_archE908ELNS1_3gpuE7ELNS1_3repE0EEENS1_48merge_mergepath_partition_config_static_selectorELNS0_4arch9wavefront6targetE1EEEvSJ_ ; -- Begin function _ZN7rocprim17ROCPRIM_400000_NS6detail17trampoline_kernelINS0_14default_configENS1_38merge_sort_block_merge_config_selectorIiiEEZZNS1_27merge_sort_block_merge_implIS3_N6thrust23THRUST_200600_302600_NS6detail15normal_iteratorINS8_10device_ptrIiEEEESD_jNS1_19radix_merge_compareILb1ELb1EiNS0_19identity_decomposerEEEEE10hipError_tT0_T1_T2_jT3_P12ihipStream_tbPNSt15iterator_traitsISI_E10value_typeEPNSO_ISJ_E10value_typeEPSK_NS1_7vsmem_tEENKUlT_SI_SJ_SK_E_clIPiSD_S10_SD_EESH_SX_SI_SJ_SK_EUlSX_E_NS1_11comp_targetILNS1_3genE3ELNS1_11target_archE908ELNS1_3gpuE7ELNS1_3repE0EEENS1_48merge_mergepath_partition_config_static_selectorELNS0_4arch9wavefront6targetE1EEEvSJ_
	.globl	_ZN7rocprim17ROCPRIM_400000_NS6detail17trampoline_kernelINS0_14default_configENS1_38merge_sort_block_merge_config_selectorIiiEEZZNS1_27merge_sort_block_merge_implIS3_N6thrust23THRUST_200600_302600_NS6detail15normal_iteratorINS8_10device_ptrIiEEEESD_jNS1_19radix_merge_compareILb1ELb1EiNS0_19identity_decomposerEEEEE10hipError_tT0_T1_T2_jT3_P12ihipStream_tbPNSt15iterator_traitsISI_E10value_typeEPNSO_ISJ_E10value_typeEPSK_NS1_7vsmem_tEENKUlT_SI_SJ_SK_E_clIPiSD_S10_SD_EESH_SX_SI_SJ_SK_EUlSX_E_NS1_11comp_targetILNS1_3genE3ELNS1_11target_archE908ELNS1_3gpuE7ELNS1_3repE0EEENS1_48merge_mergepath_partition_config_static_selectorELNS0_4arch9wavefront6targetE1EEEvSJ_
	.p2align	8
	.type	_ZN7rocprim17ROCPRIM_400000_NS6detail17trampoline_kernelINS0_14default_configENS1_38merge_sort_block_merge_config_selectorIiiEEZZNS1_27merge_sort_block_merge_implIS3_N6thrust23THRUST_200600_302600_NS6detail15normal_iteratorINS8_10device_ptrIiEEEESD_jNS1_19radix_merge_compareILb1ELb1EiNS0_19identity_decomposerEEEEE10hipError_tT0_T1_T2_jT3_P12ihipStream_tbPNSt15iterator_traitsISI_E10value_typeEPNSO_ISJ_E10value_typeEPSK_NS1_7vsmem_tEENKUlT_SI_SJ_SK_E_clIPiSD_S10_SD_EESH_SX_SI_SJ_SK_EUlSX_E_NS1_11comp_targetILNS1_3genE3ELNS1_11target_archE908ELNS1_3gpuE7ELNS1_3repE0EEENS1_48merge_mergepath_partition_config_static_selectorELNS0_4arch9wavefront6targetE1EEEvSJ_,@function
_ZN7rocprim17ROCPRIM_400000_NS6detail17trampoline_kernelINS0_14default_configENS1_38merge_sort_block_merge_config_selectorIiiEEZZNS1_27merge_sort_block_merge_implIS3_N6thrust23THRUST_200600_302600_NS6detail15normal_iteratorINS8_10device_ptrIiEEEESD_jNS1_19radix_merge_compareILb1ELb1EiNS0_19identity_decomposerEEEEE10hipError_tT0_T1_T2_jT3_P12ihipStream_tbPNSt15iterator_traitsISI_E10value_typeEPNSO_ISJ_E10value_typeEPSK_NS1_7vsmem_tEENKUlT_SI_SJ_SK_E_clIPiSD_S10_SD_EESH_SX_SI_SJ_SK_EUlSX_E_NS1_11comp_targetILNS1_3genE3ELNS1_11target_archE908ELNS1_3gpuE7ELNS1_3repE0EEENS1_48merge_mergepath_partition_config_static_selectorELNS0_4arch9wavefront6targetE1EEEvSJ_: ; @_ZN7rocprim17ROCPRIM_400000_NS6detail17trampoline_kernelINS0_14default_configENS1_38merge_sort_block_merge_config_selectorIiiEEZZNS1_27merge_sort_block_merge_implIS3_N6thrust23THRUST_200600_302600_NS6detail15normal_iteratorINS8_10device_ptrIiEEEESD_jNS1_19radix_merge_compareILb1ELb1EiNS0_19identity_decomposerEEEEE10hipError_tT0_T1_T2_jT3_P12ihipStream_tbPNSt15iterator_traitsISI_E10value_typeEPNSO_ISJ_E10value_typeEPSK_NS1_7vsmem_tEENKUlT_SI_SJ_SK_E_clIPiSD_S10_SD_EESH_SX_SI_SJ_SK_EUlSX_E_NS1_11comp_targetILNS1_3genE3ELNS1_11target_archE908ELNS1_3gpuE7ELNS1_3repE0EEENS1_48merge_mergepath_partition_config_static_selectorELNS0_4arch9wavefront6targetE1EEEvSJ_
; %bb.0:
	.section	.rodata,"a",@progbits
	.p2align	6, 0x0
	.amdhsa_kernel _ZN7rocprim17ROCPRIM_400000_NS6detail17trampoline_kernelINS0_14default_configENS1_38merge_sort_block_merge_config_selectorIiiEEZZNS1_27merge_sort_block_merge_implIS3_N6thrust23THRUST_200600_302600_NS6detail15normal_iteratorINS8_10device_ptrIiEEEESD_jNS1_19radix_merge_compareILb1ELb1EiNS0_19identity_decomposerEEEEE10hipError_tT0_T1_T2_jT3_P12ihipStream_tbPNSt15iterator_traitsISI_E10value_typeEPNSO_ISJ_E10value_typeEPSK_NS1_7vsmem_tEENKUlT_SI_SJ_SK_E_clIPiSD_S10_SD_EESH_SX_SI_SJ_SK_EUlSX_E_NS1_11comp_targetILNS1_3genE3ELNS1_11target_archE908ELNS1_3gpuE7ELNS1_3repE0EEENS1_48merge_mergepath_partition_config_static_selectorELNS0_4arch9wavefront6targetE1EEEvSJ_
		.amdhsa_group_segment_fixed_size 0
		.amdhsa_private_segment_fixed_size 0
		.amdhsa_kernarg_size 40
		.amdhsa_user_sgpr_count 2
		.amdhsa_user_sgpr_dispatch_ptr 0
		.amdhsa_user_sgpr_queue_ptr 0
		.amdhsa_user_sgpr_kernarg_segment_ptr 1
		.amdhsa_user_sgpr_dispatch_id 0
		.amdhsa_user_sgpr_kernarg_preload_length 0
		.amdhsa_user_sgpr_kernarg_preload_offset 0
		.amdhsa_user_sgpr_private_segment_size 0
		.amdhsa_uses_dynamic_stack 0
		.amdhsa_enable_private_segment 0
		.amdhsa_system_sgpr_workgroup_id_x 1
		.amdhsa_system_sgpr_workgroup_id_y 0
		.amdhsa_system_sgpr_workgroup_id_z 0
		.amdhsa_system_sgpr_workgroup_info 0
		.amdhsa_system_vgpr_workitem_id 0
		.amdhsa_next_free_vgpr 1
		.amdhsa_next_free_sgpr 0
		.amdhsa_accum_offset 4
		.amdhsa_reserve_vcc 0
		.amdhsa_float_round_mode_32 0
		.amdhsa_float_round_mode_16_64 0
		.amdhsa_float_denorm_mode_32 3
		.amdhsa_float_denorm_mode_16_64 3
		.amdhsa_dx10_clamp 1
		.amdhsa_ieee_mode 1
		.amdhsa_fp16_overflow 0
		.amdhsa_tg_split 0
		.amdhsa_exception_fp_ieee_invalid_op 0
		.amdhsa_exception_fp_denorm_src 0
		.amdhsa_exception_fp_ieee_div_zero 0
		.amdhsa_exception_fp_ieee_overflow 0
		.amdhsa_exception_fp_ieee_underflow 0
		.amdhsa_exception_fp_ieee_inexact 0
		.amdhsa_exception_int_div_zero 0
	.end_amdhsa_kernel
	.section	.text._ZN7rocprim17ROCPRIM_400000_NS6detail17trampoline_kernelINS0_14default_configENS1_38merge_sort_block_merge_config_selectorIiiEEZZNS1_27merge_sort_block_merge_implIS3_N6thrust23THRUST_200600_302600_NS6detail15normal_iteratorINS8_10device_ptrIiEEEESD_jNS1_19radix_merge_compareILb1ELb1EiNS0_19identity_decomposerEEEEE10hipError_tT0_T1_T2_jT3_P12ihipStream_tbPNSt15iterator_traitsISI_E10value_typeEPNSO_ISJ_E10value_typeEPSK_NS1_7vsmem_tEENKUlT_SI_SJ_SK_E_clIPiSD_S10_SD_EESH_SX_SI_SJ_SK_EUlSX_E_NS1_11comp_targetILNS1_3genE3ELNS1_11target_archE908ELNS1_3gpuE7ELNS1_3repE0EEENS1_48merge_mergepath_partition_config_static_selectorELNS0_4arch9wavefront6targetE1EEEvSJ_,"axG",@progbits,_ZN7rocprim17ROCPRIM_400000_NS6detail17trampoline_kernelINS0_14default_configENS1_38merge_sort_block_merge_config_selectorIiiEEZZNS1_27merge_sort_block_merge_implIS3_N6thrust23THRUST_200600_302600_NS6detail15normal_iteratorINS8_10device_ptrIiEEEESD_jNS1_19radix_merge_compareILb1ELb1EiNS0_19identity_decomposerEEEEE10hipError_tT0_T1_T2_jT3_P12ihipStream_tbPNSt15iterator_traitsISI_E10value_typeEPNSO_ISJ_E10value_typeEPSK_NS1_7vsmem_tEENKUlT_SI_SJ_SK_E_clIPiSD_S10_SD_EESH_SX_SI_SJ_SK_EUlSX_E_NS1_11comp_targetILNS1_3genE3ELNS1_11target_archE908ELNS1_3gpuE7ELNS1_3repE0EEENS1_48merge_mergepath_partition_config_static_selectorELNS0_4arch9wavefront6targetE1EEEvSJ_,comdat
.Lfunc_end1775:
	.size	_ZN7rocprim17ROCPRIM_400000_NS6detail17trampoline_kernelINS0_14default_configENS1_38merge_sort_block_merge_config_selectorIiiEEZZNS1_27merge_sort_block_merge_implIS3_N6thrust23THRUST_200600_302600_NS6detail15normal_iteratorINS8_10device_ptrIiEEEESD_jNS1_19radix_merge_compareILb1ELb1EiNS0_19identity_decomposerEEEEE10hipError_tT0_T1_T2_jT3_P12ihipStream_tbPNSt15iterator_traitsISI_E10value_typeEPNSO_ISJ_E10value_typeEPSK_NS1_7vsmem_tEENKUlT_SI_SJ_SK_E_clIPiSD_S10_SD_EESH_SX_SI_SJ_SK_EUlSX_E_NS1_11comp_targetILNS1_3genE3ELNS1_11target_archE908ELNS1_3gpuE7ELNS1_3repE0EEENS1_48merge_mergepath_partition_config_static_selectorELNS0_4arch9wavefront6targetE1EEEvSJ_, .Lfunc_end1775-_ZN7rocprim17ROCPRIM_400000_NS6detail17trampoline_kernelINS0_14default_configENS1_38merge_sort_block_merge_config_selectorIiiEEZZNS1_27merge_sort_block_merge_implIS3_N6thrust23THRUST_200600_302600_NS6detail15normal_iteratorINS8_10device_ptrIiEEEESD_jNS1_19radix_merge_compareILb1ELb1EiNS0_19identity_decomposerEEEEE10hipError_tT0_T1_T2_jT3_P12ihipStream_tbPNSt15iterator_traitsISI_E10value_typeEPNSO_ISJ_E10value_typeEPSK_NS1_7vsmem_tEENKUlT_SI_SJ_SK_E_clIPiSD_S10_SD_EESH_SX_SI_SJ_SK_EUlSX_E_NS1_11comp_targetILNS1_3genE3ELNS1_11target_archE908ELNS1_3gpuE7ELNS1_3repE0EEENS1_48merge_mergepath_partition_config_static_selectorELNS0_4arch9wavefront6targetE1EEEvSJ_
                                        ; -- End function
	.set _ZN7rocprim17ROCPRIM_400000_NS6detail17trampoline_kernelINS0_14default_configENS1_38merge_sort_block_merge_config_selectorIiiEEZZNS1_27merge_sort_block_merge_implIS3_N6thrust23THRUST_200600_302600_NS6detail15normal_iteratorINS8_10device_ptrIiEEEESD_jNS1_19radix_merge_compareILb1ELb1EiNS0_19identity_decomposerEEEEE10hipError_tT0_T1_T2_jT3_P12ihipStream_tbPNSt15iterator_traitsISI_E10value_typeEPNSO_ISJ_E10value_typeEPSK_NS1_7vsmem_tEENKUlT_SI_SJ_SK_E_clIPiSD_S10_SD_EESH_SX_SI_SJ_SK_EUlSX_E_NS1_11comp_targetILNS1_3genE3ELNS1_11target_archE908ELNS1_3gpuE7ELNS1_3repE0EEENS1_48merge_mergepath_partition_config_static_selectorELNS0_4arch9wavefront6targetE1EEEvSJ_.num_vgpr, 0
	.set _ZN7rocprim17ROCPRIM_400000_NS6detail17trampoline_kernelINS0_14default_configENS1_38merge_sort_block_merge_config_selectorIiiEEZZNS1_27merge_sort_block_merge_implIS3_N6thrust23THRUST_200600_302600_NS6detail15normal_iteratorINS8_10device_ptrIiEEEESD_jNS1_19radix_merge_compareILb1ELb1EiNS0_19identity_decomposerEEEEE10hipError_tT0_T1_T2_jT3_P12ihipStream_tbPNSt15iterator_traitsISI_E10value_typeEPNSO_ISJ_E10value_typeEPSK_NS1_7vsmem_tEENKUlT_SI_SJ_SK_E_clIPiSD_S10_SD_EESH_SX_SI_SJ_SK_EUlSX_E_NS1_11comp_targetILNS1_3genE3ELNS1_11target_archE908ELNS1_3gpuE7ELNS1_3repE0EEENS1_48merge_mergepath_partition_config_static_selectorELNS0_4arch9wavefront6targetE1EEEvSJ_.num_agpr, 0
	.set _ZN7rocprim17ROCPRIM_400000_NS6detail17trampoline_kernelINS0_14default_configENS1_38merge_sort_block_merge_config_selectorIiiEEZZNS1_27merge_sort_block_merge_implIS3_N6thrust23THRUST_200600_302600_NS6detail15normal_iteratorINS8_10device_ptrIiEEEESD_jNS1_19radix_merge_compareILb1ELb1EiNS0_19identity_decomposerEEEEE10hipError_tT0_T1_T2_jT3_P12ihipStream_tbPNSt15iterator_traitsISI_E10value_typeEPNSO_ISJ_E10value_typeEPSK_NS1_7vsmem_tEENKUlT_SI_SJ_SK_E_clIPiSD_S10_SD_EESH_SX_SI_SJ_SK_EUlSX_E_NS1_11comp_targetILNS1_3genE3ELNS1_11target_archE908ELNS1_3gpuE7ELNS1_3repE0EEENS1_48merge_mergepath_partition_config_static_selectorELNS0_4arch9wavefront6targetE1EEEvSJ_.numbered_sgpr, 0
	.set _ZN7rocprim17ROCPRIM_400000_NS6detail17trampoline_kernelINS0_14default_configENS1_38merge_sort_block_merge_config_selectorIiiEEZZNS1_27merge_sort_block_merge_implIS3_N6thrust23THRUST_200600_302600_NS6detail15normal_iteratorINS8_10device_ptrIiEEEESD_jNS1_19radix_merge_compareILb1ELb1EiNS0_19identity_decomposerEEEEE10hipError_tT0_T1_T2_jT3_P12ihipStream_tbPNSt15iterator_traitsISI_E10value_typeEPNSO_ISJ_E10value_typeEPSK_NS1_7vsmem_tEENKUlT_SI_SJ_SK_E_clIPiSD_S10_SD_EESH_SX_SI_SJ_SK_EUlSX_E_NS1_11comp_targetILNS1_3genE3ELNS1_11target_archE908ELNS1_3gpuE7ELNS1_3repE0EEENS1_48merge_mergepath_partition_config_static_selectorELNS0_4arch9wavefront6targetE1EEEvSJ_.num_named_barrier, 0
	.set _ZN7rocprim17ROCPRIM_400000_NS6detail17trampoline_kernelINS0_14default_configENS1_38merge_sort_block_merge_config_selectorIiiEEZZNS1_27merge_sort_block_merge_implIS3_N6thrust23THRUST_200600_302600_NS6detail15normal_iteratorINS8_10device_ptrIiEEEESD_jNS1_19radix_merge_compareILb1ELb1EiNS0_19identity_decomposerEEEEE10hipError_tT0_T1_T2_jT3_P12ihipStream_tbPNSt15iterator_traitsISI_E10value_typeEPNSO_ISJ_E10value_typeEPSK_NS1_7vsmem_tEENKUlT_SI_SJ_SK_E_clIPiSD_S10_SD_EESH_SX_SI_SJ_SK_EUlSX_E_NS1_11comp_targetILNS1_3genE3ELNS1_11target_archE908ELNS1_3gpuE7ELNS1_3repE0EEENS1_48merge_mergepath_partition_config_static_selectorELNS0_4arch9wavefront6targetE1EEEvSJ_.private_seg_size, 0
	.set _ZN7rocprim17ROCPRIM_400000_NS6detail17trampoline_kernelINS0_14default_configENS1_38merge_sort_block_merge_config_selectorIiiEEZZNS1_27merge_sort_block_merge_implIS3_N6thrust23THRUST_200600_302600_NS6detail15normal_iteratorINS8_10device_ptrIiEEEESD_jNS1_19radix_merge_compareILb1ELb1EiNS0_19identity_decomposerEEEEE10hipError_tT0_T1_T2_jT3_P12ihipStream_tbPNSt15iterator_traitsISI_E10value_typeEPNSO_ISJ_E10value_typeEPSK_NS1_7vsmem_tEENKUlT_SI_SJ_SK_E_clIPiSD_S10_SD_EESH_SX_SI_SJ_SK_EUlSX_E_NS1_11comp_targetILNS1_3genE3ELNS1_11target_archE908ELNS1_3gpuE7ELNS1_3repE0EEENS1_48merge_mergepath_partition_config_static_selectorELNS0_4arch9wavefront6targetE1EEEvSJ_.uses_vcc, 0
	.set _ZN7rocprim17ROCPRIM_400000_NS6detail17trampoline_kernelINS0_14default_configENS1_38merge_sort_block_merge_config_selectorIiiEEZZNS1_27merge_sort_block_merge_implIS3_N6thrust23THRUST_200600_302600_NS6detail15normal_iteratorINS8_10device_ptrIiEEEESD_jNS1_19radix_merge_compareILb1ELb1EiNS0_19identity_decomposerEEEEE10hipError_tT0_T1_T2_jT3_P12ihipStream_tbPNSt15iterator_traitsISI_E10value_typeEPNSO_ISJ_E10value_typeEPSK_NS1_7vsmem_tEENKUlT_SI_SJ_SK_E_clIPiSD_S10_SD_EESH_SX_SI_SJ_SK_EUlSX_E_NS1_11comp_targetILNS1_3genE3ELNS1_11target_archE908ELNS1_3gpuE7ELNS1_3repE0EEENS1_48merge_mergepath_partition_config_static_selectorELNS0_4arch9wavefront6targetE1EEEvSJ_.uses_flat_scratch, 0
	.set _ZN7rocprim17ROCPRIM_400000_NS6detail17trampoline_kernelINS0_14default_configENS1_38merge_sort_block_merge_config_selectorIiiEEZZNS1_27merge_sort_block_merge_implIS3_N6thrust23THRUST_200600_302600_NS6detail15normal_iteratorINS8_10device_ptrIiEEEESD_jNS1_19radix_merge_compareILb1ELb1EiNS0_19identity_decomposerEEEEE10hipError_tT0_T1_T2_jT3_P12ihipStream_tbPNSt15iterator_traitsISI_E10value_typeEPNSO_ISJ_E10value_typeEPSK_NS1_7vsmem_tEENKUlT_SI_SJ_SK_E_clIPiSD_S10_SD_EESH_SX_SI_SJ_SK_EUlSX_E_NS1_11comp_targetILNS1_3genE3ELNS1_11target_archE908ELNS1_3gpuE7ELNS1_3repE0EEENS1_48merge_mergepath_partition_config_static_selectorELNS0_4arch9wavefront6targetE1EEEvSJ_.has_dyn_sized_stack, 0
	.set _ZN7rocprim17ROCPRIM_400000_NS6detail17trampoline_kernelINS0_14default_configENS1_38merge_sort_block_merge_config_selectorIiiEEZZNS1_27merge_sort_block_merge_implIS3_N6thrust23THRUST_200600_302600_NS6detail15normal_iteratorINS8_10device_ptrIiEEEESD_jNS1_19radix_merge_compareILb1ELb1EiNS0_19identity_decomposerEEEEE10hipError_tT0_T1_T2_jT3_P12ihipStream_tbPNSt15iterator_traitsISI_E10value_typeEPNSO_ISJ_E10value_typeEPSK_NS1_7vsmem_tEENKUlT_SI_SJ_SK_E_clIPiSD_S10_SD_EESH_SX_SI_SJ_SK_EUlSX_E_NS1_11comp_targetILNS1_3genE3ELNS1_11target_archE908ELNS1_3gpuE7ELNS1_3repE0EEENS1_48merge_mergepath_partition_config_static_selectorELNS0_4arch9wavefront6targetE1EEEvSJ_.has_recursion, 0
	.set _ZN7rocprim17ROCPRIM_400000_NS6detail17trampoline_kernelINS0_14default_configENS1_38merge_sort_block_merge_config_selectorIiiEEZZNS1_27merge_sort_block_merge_implIS3_N6thrust23THRUST_200600_302600_NS6detail15normal_iteratorINS8_10device_ptrIiEEEESD_jNS1_19radix_merge_compareILb1ELb1EiNS0_19identity_decomposerEEEEE10hipError_tT0_T1_T2_jT3_P12ihipStream_tbPNSt15iterator_traitsISI_E10value_typeEPNSO_ISJ_E10value_typeEPSK_NS1_7vsmem_tEENKUlT_SI_SJ_SK_E_clIPiSD_S10_SD_EESH_SX_SI_SJ_SK_EUlSX_E_NS1_11comp_targetILNS1_3genE3ELNS1_11target_archE908ELNS1_3gpuE7ELNS1_3repE0EEENS1_48merge_mergepath_partition_config_static_selectorELNS0_4arch9wavefront6targetE1EEEvSJ_.has_indirect_call, 0
	.section	.AMDGPU.csdata,"",@progbits
; Kernel info:
; codeLenInByte = 0
; TotalNumSgprs: 6
; NumVgprs: 0
; NumAgprs: 0
; TotalNumVgprs: 0
; ScratchSize: 0
; MemoryBound: 0
; FloatMode: 240
; IeeeMode: 1
; LDSByteSize: 0 bytes/workgroup (compile time only)
; SGPRBlocks: 0
; VGPRBlocks: 0
; NumSGPRsForWavesPerEU: 6
; NumVGPRsForWavesPerEU: 1
; AccumOffset: 4
; Occupancy: 8
; WaveLimiterHint : 0
; COMPUTE_PGM_RSRC2:SCRATCH_EN: 0
; COMPUTE_PGM_RSRC2:USER_SGPR: 2
; COMPUTE_PGM_RSRC2:TRAP_HANDLER: 0
; COMPUTE_PGM_RSRC2:TGID_X_EN: 1
; COMPUTE_PGM_RSRC2:TGID_Y_EN: 0
; COMPUTE_PGM_RSRC2:TGID_Z_EN: 0
; COMPUTE_PGM_RSRC2:TIDIG_COMP_CNT: 0
; COMPUTE_PGM_RSRC3_GFX90A:ACCUM_OFFSET: 0
; COMPUTE_PGM_RSRC3_GFX90A:TG_SPLIT: 0
	.section	.text._ZN7rocprim17ROCPRIM_400000_NS6detail17trampoline_kernelINS0_14default_configENS1_38merge_sort_block_merge_config_selectorIiiEEZZNS1_27merge_sort_block_merge_implIS3_N6thrust23THRUST_200600_302600_NS6detail15normal_iteratorINS8_10device_ptrIiEEEESD_jNS1_19radix_merge_compareILb1ELb1EiNS0_19identity_decomposerEEEEE10hipError_tT0_T1_T2_jT3_P12ihipStream_tbPNSt15iterator_traitsISI_E10value_typeEPNSO_ISJ_E10value_typeEPSK_NS1_7vsmem_tEENKUlT_SI_SJ_SK_E_clIPiSD_S10_SD_EESH_SX_SI_SJ_SK_EUlSX_E_NS1_11comp_targetILNS1_3genE2ELNS1_11target_archE906ELNS1_3gpuE6ELNS1_3repE0EEENS1_48merge_mergepath_partition_config_static_selectorELNS0_4arch9wavefront6targetE1EEEvSJ_,"axG",@progbits,_ZN7rocprim17ROCPRIM_400000_NS6detail17trampoline_kernelINS0_14default_configENS1_38merge_sort_block_merge_config_selectorIiiEEZZNS1_27merge_sort_block_merge_implIS3_N6thrust23THRUST_200600_302600_NS6detail15normal_iteratorINS8_10device_ptrIiEEEESD_jNS1_19radix_merge_compareILb1ELb1EiNS0_19identity_decomposerEEEEE10hipError_tT0_T1_T2_jT3_P12ihipStream_tbPNSt15iterator_traitsISI_E10value_typeEPNSO_ISJ_E10value_typeEPSK_NS1_7vsmem_tEENKUlT_SI_SJ_SK_E_clIPiSD_S10_SD_EESH_SX_SI_SJ_SK_EUlSX_E_NS1_11comp_targetILNS1_3genE2ELNS1_11target_archE906ELNS1_3gpuE6ELNS1_3repE0EEENS1_48merge_mergepath_partition_config_static_selectorELNS0_4arch9wavefront6targetE1EEEvSJ_,comdat
	.protected	_ZN7rocprim17ROCPRIM_400000_NS6detail17trampoline_kernelINS0_14default_configENS1_38merge_sort_block_merge_config_selectorIiiEEZZNS1_27merge_sort_block_merge_implIS3_N6thrust23THRUST_200600_302600_NS6detail15normal_iteratorINS8_10device_ptrIiEEEESD_jNS1_19radix_merge_compareILb1ELb1EiNS0_19identity_decomposerEEEEE10hipError_tT0_T1_T2_jT3_P12ihipStream_tbPNSt15iterator_traitsISI_E10value_typeEPNSO_ISJ_E10value_typeEPSK_NS1_7vsmem_tEENKUlT_SI_SJ_SK_E_clIPiSD_S10_SD_EESH_SX_SI_SJ_SK_EUlSX_E_NS1_11comp_targetILNS1_3genE2ELNS1_11target_archE906ELNS1_3gpuE6ELNS1_3repE0EEENS1_48merge_mergepath_partition_config_static_selectorELNS0_4arch9wavefront6targetE1EEEvSJ_ ; -- Begin function _ZN7rocprim17ROCPRIM_400000_NS6detail17trampoline_kernelINS0_14default_configENS1_38merge_sort_block_merge_config_selectorIiiEEZZNS1_27merge_sort_block_merge_implIS3_N6thrust23THRUST_200600_302600_NS6detail15normal_iteratorINS8_10device_ptrIiEEEESD_jNS1_19radix_merge_compareILb1ELb1EiNS0_19identity_decomposerEEEEE10hipError_tT0_T1_T2_jT3_P12ihipStream_tbPNSt15iterator_traitsISI_E10value_typeEPNSO_ISJ_E10value_typeEPSK_NS1_7vsmem_tEENKUlT_SI_SJ_SK_E_clIPiSD_S10_SD_EESH_SX_SI_SJ_SK_EUlSX_E_NS1_11comp_targetILNS1_3genE2ELNS1_11target_archE906ELNS1_3gpuE6ELNS1_3repE0EEENS1_48merge_mergepath_partition_config_static_selectorELNS0_4arch9wavefront6targetE1EEEvSJ_
	.globl	_ZN7rocprim17ROCPRIM_400000_NS6detail17trampoline_kernelINS0_14default_configENS1_38merge_sort_block_merge_config_selectorIiiEEZZNS1_27merge_sort_block_merge_implIS3_N6thrust23THRUST_200600_302600_NS6detail15normal_iteratorINS8_10device_ptrIiEEEESD_jNS1_19radix_merge_compareILb1ELb1EiNS0_19identity_decomposerEEEEE10hipError_tT0_T1_T2_jT3_P12ihipStream_tbPNSt15iterator_traitsISI_E10value_typeEPNSO_ISJ_E10value_typeEPSK_NS1_7vsmem_tEENKUlT_SI_SJ_SK_E_clIPiSD_S10_SD_EESH_SX_SI_SJ_SK_EUlSX_E_NS1_11comp_targetILNS1_3genE2ELNS1_11target_archE906ELNS1_3gpuE6ELNS1_3repE0EEENS1_48merge_mergepath_partition_config_static_selectorELNS0_4arch9wavefront6targetE1EEEvSJ_
	.p2align	8
	.type	_ZN7rocprim17ROCPRIM_400000_NS6detail17trampoline_kernelINS0_14default_configENS1_38merge_sort_block_merge_config_selectorIiiEEZZNS1_27merge_sort_block_merge_implIS3_N6thrust23THRUST_200600_302600_NS6detail15normal_iteratorINS8_10device_ptrIiEEEESD_jNS1_19radix_merge_compareILb1ELb1EiNS0_19identity_decomposerEEEEE10hipError_tT0_T1_T2_jT3_P12ihipStream_tbPNSt15iterator_traitsISI_E10value_typeEPNSO_ISJ_E10value_typeEPSK_NS1_7vsmem_tEENKUlT_SI_SJ_SK_E_clIPiSD_S10_SD_EESH_SX_SI_SJ_SK_EUlSX_E_NS1_11comp_targetILNS1_3genE2ELNS1_11target_archE906ELNS1_3gpuE6ELNS1_3repE0EEENS1_48merge_mergepath_partition_config_static_selectorELNS0_4arch9wavefront6targetE1EEEvSJ_,@function
_ZN7rocprim17ROCPRIM_400000_NS6detail17trampoline_kernelINS0_14default_configENS1_38merge_sort_block_merge_config_selectorIiiEEZZNS1_27merge_sort_block_merge_implIS3_N6thrust23THRUST_200600_302600_NS6detail15normal_iteratorINS8_10device_ptrIiEEEESD_jNS1_19radix_merge_compareILb1ELb1EiNS0_19identity_decomposerEEEEE10hipError_tT0_T1_T2_jT3_P12ihipStream_tbPNSt15iterator_traitsISI_E10value_typeEPNSO_ISJ_E10value_typeEPSK_NS1_7vsmem_tEENKUlT_SI_SJ_SK_E_clIPiSD_S10_SD_EESH_SX_SI_SJ_SK_EUlSX_E_NS1_11comp_targetILNS1_3genE2ELNS1_11target_archE906ELNS1_3gpuE6ELNS1_3repE0EEENS1_48merge_mergepath_partition_config_static_selectorELNS0_4arch9wavefront6targetE1EEEvSJ_: ; @_ZN7rocprim17ROCPRIM_400000_NS6detail17trampoline_kernelINS0_14default_configENS1_38merge_sort_block_merge_config_selectorIiiEEZZNS1_27merge_sort_block_merge_implIS3_N6thrust23THRUST_200600_302600_NS6detail15normal_iteratorINS8_10device_ptrIiEEEESD_jNS1_19radix_merge_compareILb1ELb1EiNS0_19identity_decomposerEEEEE10hipError_tT0_T1_T2_jT3_P12ihipStream_tbPNSt15iterator_traitsISI_E10value_typeEPNSO_ISJ_E10value_typeEPSK_NS1_7vsmem_tEENKUlT_SI_SJ_SK_E_clIPiSD_S10_SD_EESH_SX_SI_SJ_SK_EUlSX_E_NS1_11comp_targetILNS1_3genE2ELNS1_11target_archE906ELNS1_3gpuE6ELNS1_3repE0EEENS1_48merge_mergepath_partition_config_static_selectorELNS0_4arch9wavefront6targetE1EEEvSJ_
; %bb.0:
	.section	.rodata,"a",@progbits
	.p2align	6, 0x0
	.amdhsa_kernel _ZN7rocprim17ROCPRIM_400000_NS6detail17trampoline_kernelINS0_14default_configENS1_38merge_sort_block_merge_config_selectorIiiEEZZNS1_27merge_sort_block_merge_implIS3_N6thrust23THRUST_200600_302600_NS6detail15normal_iteratorINS8_10device_ptrIiEEEESD_jNS1_19radix_merge_compareILb1ELb1EiNS0_19identity_decomposerEEEEE10hipError_tT0_T1_T2_jT3_P12ihipStream_tbPNSt15iterator_traitsISI_E10value_typeEPNSO_ISJ_E10value_typeEPSK_NS1_7vsmem_tEENKUlT_SI_SJ_SK_E_clIPiSD_S10_SD_EESH_SX_SI_SJ_SK_EUlSX_E_NS1_11comp_targetILNS1_3genE2ELNS1_11target_archE906ELNS1_3gpuE6ELNS1_3repE0EEENS1_48merge_mergepath_partition_config_static_selectorELNS0_4arch9wavefront6targetE1EEEvSJ_
		.amdhsa_group_segment_fixed_size 0
		.amdhsa_private_segment_fixed_size 0
		.amdhsa_kernarg_size 40
		.amdhsa_user_sgpr_count 2
		.amdhsa_user_sgpr_dispatch_ptr 0
		.amdhsa_user_sgpr_queue_ptr 0
		.amdhsa_user_sgpr_kernarg_segment_ptr 1
		.amdhsa_user_sgpr_dispatch_id 0
		.amdhsa_user_sgpr_kernarg_preload_length 0
		.amdhsa_user_sgpr_kernarg_preload_offset 0
		.amdhsa_user_sgpr_private_segment_size 0
		.amdhsa_uses_dynamic_stack 0
		.amdhsa_enable_private_segment 0
		.amdhsa_system_sgpr_workgroup_id_x 1
		.amdhsa_system_sgpr_workgroup_id_y 0
		.amdhsa_system_sgpr_workgroup_id_z 0
		.amdhsa_system_sgpr_workgroup_info 0
		.amdhsa_system_vgpr_workitem_id 0
		.amdhsa_next_free_vgpr 1
		.amdhsa_next_free_sgpr 0
		.amdhsa_accum_offset 4
		.amdhsa_reserve_vcc 0
		.amdhsa_float_round_mode_32 0
		.amdhsa_float_round_mode_16_64 0
		.amdhsa_float_denorm_mode_32 3
		.amdhsa_float_denorm_mode_16_64 3
		.amdhsa_dx10_clamp 1
		.amdhsa_ieee_mode 1
		.amdhsa_fp16_overflow 0
		.amdhsa_tg_split 0
		.amdhsa_exception_fp_ieee_invalid_op 0
		.amdhsa_exception_fp_denorm_src 0
		.amdhsa_exception_fp_ieee_div_zero 0
		.amdhsa_exception_fp_ieee_overflow 0
		.amdhsa_exception_fp_ieee_underflow 0
		.amdhsa_exception_fp_ieee_inexact 0
		.amdhsa_exception_int_div_zero 0
	.end_amdhsa_kernel
	.section	.text._ZN7rocprim17ROCPRIM_400000_NS6detail17trampoline_kernelINS0_14default_configENS1_38merge_sort_block_merge_config_selectorIiiEEZZNS1_27merge_sort_block_merge_implIS3_N6thrust23THRUST_200600_302600_NS6detail15normal_iteratorINS8_10device_ptrIiEEEESD_jNS1_19radix_merge_compareILb1ELb1EiNS0_19identity_decomposerEEEEE10hipError_tT0_T1_T2_jT3_P12ihipStream_tbPNSt15iterator_traitsISI_E10value_typeEPNSO_ISJ_E10value_typeEPSK_NS1_7vsmem_tEENKUlT_SI_SJ_SK_E_clIPiSD_S10_SD_EESH_SX_SI_SJ_SK_EUlSX_E_NS1_11comp_targetILNS1_3genE2ELNS1_11target_archE906ELNS1_3gpuE6ELNS1_3repE0EEENS1_48merge_mergepath_partition_config_static_selectorELNS0_4arch9wavefront6targetE1EEEvSJ_,"axG",@progbits,_ZN7rocprim17ROCPRIM_400000_NS6detail17trampoline_kernelINS0_14default_configENS1_38merge_sort_block_merge_config_selectorIiiEEZZNS1_27merge_sort_block_merge_implIS3_N6thrust23THRUST_200600_302600_NS6detail15normal_iteratorINS8_10device_ptrIiEEEESD_jNS1_19radix_merge_compareILb1ELb1EiNS0_19identity_decomposerEEEEE10hipError_tT0_T1_T2_jT3_P12ihipStream_tbPNSt15iterator_traitsISI_E10value_typeEPNSO_ISJ_E10value_typeEPSK_NS1_7vsmem_tEENKUlT_SI_SJ_SK_E_clIPiSD_S10_SD_EESH_SX_SI_SJ_SK_EUlSX_E_NS1_11comp_targetILNS1_3genE2ELNS1_11target_archE906ELNS1_3gpuE6ELNS1_3repE0EEENS1_48merge_mergepath_partition_config_static_selectorELNS0_4arch9wavefront6targetE1EEEvSJ_,comdat
.Lfunc_end1776:
	.size	_ZN7rocprim17ROCPRIM_400000_NS6detail17trampoline_kernelINS0_14default_configENS1_38merge_sort_block_merge_config_selectorIiiEEZZNS1_27merge_sort_block_merge_implIS3_N6thrust23THRUST_200600_302600_NS6detail15normal_iteratorINS8_10device_ptrIiEEEESD_jNS1_19radix_merge_compareILb1ELb1EiNS0_19identity_decomposerEEEEE10hipError_tT0_T1_T2_jT3_P12ihipStream_tbPNSt15iterator_traitsISI_E10value_typeEPNSO_ISJ_E10value_typeEPSK_NS1_7vsmem_tEENKUlT_SI_SJ_SK_E_clIPiSD_S10_SD_EESH_SX_SI_SJ_SK_EUlSX_E_NS1_11comp_targetILNS1_3genE2ELNS1_11target_archE906ELNS1_3gpuE6ELNS1_3repE0EEENS1_48merge_mergepath_partition_config_static_selectorELNS0_4arch9wavefront6targetE1EEEvSJ_, .Lfunc_end1776-_ZN7rocprim17ROCPRIM_400000_NS6detail17trampoline_kernelINS0_14default_configENS1_38merge_sort_block_merge_config_selectorIiiEEZZNS1_27merge_sort_block_merge_implIS3_N6thrust23THRUST_200600_302600_NS6detail15normal_iteratorINS8_10device_ptrIiEEEESD_jNS1_19radix_merge_compareILb1ELb1EiNS0_19identity_decomposerEEEEE10hipError_tT0_T1_T2_jT3_P12ihipStream_tbPNSt15iterator_traitsISI_E10value_typeEPNSO_ISJ_E10value_typeEPSK_NS1_7vsmem_tEENKUlT_SI_SJ_SK_E_clIPiSD_S10_SD_EESH_SX_SI_SJ_SK_EUlSX_E_NS1_11comp_targetILNS1_3genE2ELNS1_11target_archE906ELNS1_3gpuE6ELNS1_3repE0EEENS1_48merge_mergepath_partition_config_static_selectorELNS0_4arch9wavefront6targetE1EEEvSJ_
                                        ; -- End function
	.set _ZN7rocprim17ROCPRIM_400000_NS6detail17trampoline_kernelINS0_14default_configENS1_38merge_sort_block_merge_config_selectorIiiEEZZNS1_27merge_sort_block_merge_implIS3_N6thrust23THRUST_200600_302600_NS6detail15normal_iteratorINS8_10device_ptrIiEEEESD_jNS1_19radix_merge_compareILb1ELb1EiNS0_19identity_decomposerEEEEE10hipError_tT0_T1_T2_jT3_P12ihipStream_tbPNSt15iterator_traitsISI_E10value_typeEPNSO_ISJ_E10value_typeEPSK_NS1_7vsmem_tEENKUlT_SI_SJ_SK_E_clIPiSD_S10_SD_EESH_SX_SI_SJ_SK_EUlSX_E_NS1_11comp_targetILNS1_3genE2ELNS1_11target_archE906ELNS1_3gpuE6ELNS1_3repE0EEENS1_48merge_mergepath_partition_config_static_selectorELNS0_4arch9wavefront6targetE1EEEvSJ_.num_vgpr, 0
	.set _ZN7rocprim17ROCPRIM_400000_NS6detail17trampoline_kernelINS0_14default_configENS1_38merge_sort_block_merge_config_selectorIiiEEZZNS1_27merge_sort_block_merge_implIS3_N6thrust23THRUST_200600_302600_NS6detail15normal_iteratorINS8_10device_ptrIiEEEESD_jNS1_19radix_merge_compareILb1ELb1EiNS0_19identity_decomposerEEEEE10hipError_tT0_T1_T2_jT3_P12ihipStream_tbPNSt15iterator_traitsISI_E10value_typeEPNSO_ISJ_E10value_typeEPSK_NS1_7vsmem_tEENKUlT_SI_SJ_SK_E_clIPiSD_S10_SD_EESH_SX_SI_SJ_SK_EUlSX_E_NS1_11comp_targetILNS1_3genE2ELNS1_11target_archE906ELNS1_3gpuE6ELNS1_3repE0EEENS1_48merge_mergepath_partition_config_static_selectorELNS0_4arch9wavefront6targetE1EEEvSJ_.num_agpr, 0
	.set _ZN7rocprim17ROCPRIM_400000_NS6detail17trampoline_kernelINS0_14default_configENS1_38merge_sort_block_merge_config_selectorIiiEEZZNS1_27merge_sort_block_merge_implIS3_N6thrust23THRUST_200600_302600_NS6detail15normal_iteratorINS8_10device_ptrIiEEEESD_jNS1_19radix_merge_compareILb1ELb1EiNS0_19identity_decomposerEEEEE10hipError_tT0_T1_T2_jT3_P12ihipStream_tbPNSt15iterator_traitsISI_E10value_typeEPNSO_ISJ_E10value_typeEPSK_NS1_7vsmem_tEENKUlT_SI_SJ_SK_E_clIPiSD_S10_SD_EESH_SX_SI_SJ_SK_EUlSX_E_NS1_11comp_targetILNS1_3genE2ELNS1_11target_archE906ELNS1_3gpuE6ELNS1_3repE0EEENS1_48merge_mergepath_partition_config_static_selectorELNS0_4arch9wavefront6targetE1EEEvSJ_.numbered_sgpr, 0
	.set _ZN7rocprim17ROCPRIM_400000_NS6detail17trampoline_kernelINS0_14default_configENS1_38merge_sort_block_merge_config_selectorIiiEEZZNS1_27merge_sort_block_merge_implIS3_N6thrust23THRUST_200600_302600_NS6detail15normal_iteratorINS8_10device_ptrIiEEEESD_jNS1_19radix_merge_compareILb1ELb1EiNS0_19identity_decomposerEEEEE10hipError_tT0_T1_T2_jT3_P12ihipStream_tbPNSt15iterator_traitsISI_E10value_typeEPNSO_ISJ_E10value_typeEPSK_NS1_7vsmem_tEENKUlT_SI_SJ_SK_E_clIPiSD_S10_SD_EESH_SX_SI_SJ_SK_EUlSX_E_NS1_11comp_targetILNS1_3genE2ELNS1_11target_archE906ELNS1_3gpuE6ELNS1_3repE0EEENS1_48merge_mergepath_partition_config_static_selectorELNS0_4arch9wavefront6targetE1EEEvSJ_.num_named_barrier, 0
	.set _ZN7rocprim17ROCPRIM_400000_NS6detail17trampoline_kernelINS0_14default_configENS1_38merge_sort_block_merge_config_selectorIiiEEZZNS1_27merge_sort_block_merge_implIS3_N6thrust23THRUST_200600_302600_NS6detail15normal_iteratorINS8_10device_ptrIiEEEESD_jNS1_19radix_merge_compareILb1ELb1EiNS0_19identity_decomposerEEEEE10hipError_tT0_T1_T2_jT3_P12ihipStream_tbPNSt15iterator_traitsISI_E10value_typeEPNSO_ISJ_E10value_typeEPSK_NS1_7vsmem_tEENKUlT_SI_SJ_SK_E_clIPiSD_S10_SD_EESH_SX_SI_SJ_SK_EUlSX_E_NS1_11comp_targetILNS1_3genE2ELNS1_11target_archE906ELNS1_3gpuE6ELNS1_3repE0EEENS1_48merge_mergepath_partition_config_static_selectorELNS0_4arch9wavefront6targetE1EEEvSJ_.private_seg_size, 0
	.set _ZN7rocprim17ROCPRIM_400000_NS6detail17trampoline_kernelINS0_14default_configENS1_38merge_sort_block_merge_config_selectorIiiEEZZNS1_27merge_sort_block_merge_implIS3_N6thrust23THRUST_200600_302600_NS6detail15normal_iteratorINS8_10device_ptrIiEEEESD_jNS1_19radix_merge_compareILb1ELb1EiNS0_19identity_decomposerEEEEE10hipError_tT0_T1_T2_jT3_P12ihipStream_tbPNSt15iterator_traitsISI_E10value_typeEPNSO_ISJ_E10value_typeEPSK_NS1_7vsmem_tEENKUlT_SI_SJ_SK_E_clIPiSD_S10_SD_EESH_SX_SI_SJ_SK_EUlSX_E_NS1_11comp_targetILNS1_3genE2ELNS1_11target_archE906ELNS1_3gpuE6ELNS1_3repE0EEENS1_48merge_mergepath_partition_config_static_selectorELNS0_4arch9wavefront6targetE1EEEvSJ_.uses_vcc, 0
	.set _ZN7rocprim17ROCPRIM_400000_NS6detail17trampoline_kernelINS0_14default_configENS1_38merge_sort_block_merge_config_selectorIiiEEZZNS1_27merge_sort_block_merge_implIS3_N6thrust23THRUST_200600_302600_NS6detail15normal_iteratorINS8_10device_ptrIiEEEESD_jNS1_19radix_merge_compareILb1ELb1EiNS0_19identity_decomposerEEEEE10hipError_tT0_T1_T2_jT3_P12ihipStream_tbPNSt15iterator_traitsISI_E10value_typeEPNSO_ISJ_E10value_typeEPSK_NS1_7vsmem_tEENKUlT_SI_SJ_SK_E_clIPiSD_S10_SD_EESH_SX_SI_SJ_SK_EUlSX_E_NS1_11comp_targetILNS1_3genE2ELNS1_11target_archE906ELNS1_3gpuE6ELNS1_3repE0EEENS1_48merge_mergepath_partition_config_static_selectorELNS0_4arch9wavefront6targetE1EEEvSJ_.uses_flat_scratch, 0
	.set _ZN7rocprim17ROCPRIM_400000_NS6detail17trampoline_kernelINS0_14default_configENS1_38merge_sort_block_merge_config_selectorIiiEEZZNS1_27merge_sort_block_merge_implIS3_N6thrust23THRUST_200600_302600_NS6detail15normal_iteratorINS8_10device_ptrIiEEEESD_jNS1_19radix_merge_compareILb1ELb1EiNS0_19identity_decomposerEEEEE10hipError_tT0_T1_T2_jT3_P12ihipStream_tbPNSt15iterator_traitsISI_E10value_typeEPNSO_ISJ_E10value_typeEPSK_NS1_7vsmem_tEENKUlT_SI_SJ_SK_E_clIPiSD_S10_SD_EESH_SX_SI_SJ_SK_EUlSX_E_NS1_11comp_targetILNS1_3genE2ELNS1_11target_archE906ELNS1_3gpuE6ELNS1_3repE0EEENS1_48merge_mergepath_partition_config_static_selectorELNS0_4arch9wavefront6targetE1EEEvSJ_.has_dyn_sized_stack, 0
	.set _ZN7rocprim17ROCPRIM_400000_NS6detail17trampoline_kernelINS0_14default_configENS1_38merge_sort_block_merge_config_selectorIiiEEZZNS1_27merge_sort_block_merge_implIS3_N6thrust23THRUST_200600_302600_NS6detail15normal_iteratorINS8_10device_ptrIiEEEESD_jNS1_19radix_merge_compareILb1ELb1EiNS0_19identity_decomposerEEEEE10hipError_tT0_T1_T2_jT3_P12ihipStream_tbPNSt15iterator_traitsISI_E10value_typeEPNSO_ISJ_E10value_typeEPSK_NS1_7vsmem_tEENKUlT_SI_SJ_SK_E_clIPiSD_S10_SD_EESH_SX_SI_SJ_SK_EUlSX_E_NS1_11comp_targetILNS1_3genE2ELNS1_11target_archE906ELNS1_3gpuE6ELNS1_3repE0EEENS1_48merge_mergepath_partition_config_static_selectorELNS0_4arch9wavefront6targetE1EEEvSJ_.has_recursion, 0
	.set _ZN7rocprim17ROCPRIM_400000_NS6detail17trampoline_kernelINS0_14default_configENS1_38merge_sort_block_merge_config_selectorIiiEEZZNS1_27merge_sort_block_merge_implIS3_N6thrust23THRUST_200600_302600_NS6detail15normal_iteratorINS8_10device_ptrIiEEEESD_jNS1_19radix_merge_compareILb1ELb1EiNS0_19identity_decomposerEEEEE10hipError_tT0_T1_T2_jT3_P12ihipStream_tbPNSt15iterator_traitsISI_E10value_typeEPNSO_ISJ_E10value_typeEPSK_NS1_7vsmem_tEENKUlT_SI_SJ_SK_E_clIPiSD_S10_SD_EESH_SX_SI_SJ_SK_EUlSX_E_NS1_11comp_targetILNS1_3genE2ELNS1_11target_archE906ELNS1_3gpuE6ELNS1_3repE0EEENS1_48merge_mergepath_partition_config_static_selectorELNS0_4arch9wavefront6targetE1EEEvSJ_.has_indirect_call, 0
	.section	.AMDGPU.csdata,"",@progbits
; Kernel info:
; codeLenInByte = 0
; TotalNumSgprs: 6
; NumVgprs: 0
; NumAgprs: 0
; TotalNumVgprs: 0
; ScratchSize: 0
; MemoryBound: 0
; FloatMode: 240
; IeeeMode: 1
; LDSByteSize: 0 bytes/workgroup (compile time only)
; SGPRBlocks: 0
; VGPRBlocks: 0
; NumSGPRsForWavesPerEU: 6
; NumVGPRsForWavesPerEU: 1
; AccumOffset: 4
; Occupancy: 8
; WaveLimiterHint : 0
; COMPUTE_PGM_RSRC2:SCRATCH_EN: 0
; COMPUTE_PGM_RSRC2:USER_SGPR: 2
; COMPUTE_PGM_RSRC2:TRAP_HANDLER: 0
; COMPUTE_PGM_RSRC2:TGID_X_EN: 1
; COMPUTE_PGM_RSRC2:TGID_Y_EN: 0
; COMPUTE_PGM_RSRC2:TGID_Z_EN: 0
; COMPUTE_PGM_RSRC2:TIDIG_COMP_CNT: 0
; COMPUTE_PGM_RSRC3_GFX90A:ACCUM_OFFSET: 0
; COMPUTE_PGM_RSRC3_GFX90A:TG_SPLIT: 0
	.section	.text._ZN7rocprim17ROCPRIM_400000_NS6detail17trampoline_kernelINS0_14default_configENS1_38merge_sort_block_merge_config_selectorIiiEEZZNS1_27merge_sort_block_merge_implIS3_N6thrust23THRUST_200600_302600_NS6detail15normal_iteratorINS8_10device_ptrIiEEEESD_jNS1_19radix_merge_compareILb1ELb1EiNS0_19identity_decomposerEEEEE10hipError_tT0_T1_T2_jT3_P12ihipStream_tbPNSt15iterator_traitsISI_E10value_typeEPNSO_ISJ_E10value_typeEPSK_NS1_7vsmem_tEENKUlT_SI_SJ_SK_E_clIPiSD_S10_SD_EESH_SX_SI_SJ_SK_EUlSX_E_NS1_11comp_targetILNS1_3genE9ELNS1_11target_archE1100ELNS1_3gpuE3ELNS1_3repE0EEENS1_48merge_mergepath_partition_config_static_selectorELNS0_4arch9wavefront6targetE1EEEvSJ_,"axG",@progbits,_ZN7rocprim17ROCPRIM_400000_NS6detail17trampoline_kernelINS0_14default_configENS1_38merge_sort_block_merge_config_selectorIiiEEZZNS1_27merge_sort_block_merge_implIS3_N6thrust23THRUST_200600_302600_NS6detail15normal_iteratorINS8_10device_ptrIiEEEESD_jNS1_19radix_merge_compareILb1ELb1EiNS0_19identity_decomposerEEEEE10hipError_tT0_T1_T2_jT3_P12ihipStream_tbPNSt15iterator_traitsISI_E10value_typeEPNSO_ISJ_E10value_typeEPSK_NS1_7vsmem_tEENKUlT_SI_SJ_SK_E_clIPiSD_S10_SD_EESH_SX_SI_SJ_SK_EUlSX_E_NS1_11comp_targetILNS1_3genE9ELNS1_11target_archE1100ELNS1_3gpuE3ELNS1_3repE0EEENS1_48merge_mergepath_partition_config_static_selectorELNS0_4arch9wavefront6targetE1EEEvSJ_,comdat
	.protected	_ZN7rocprim17ROCPRIM_400000_NS6detail17trampoline_kernelINS0_14default_configENS1_38merge_sort_block_merge_config_selectorIiiEEZZNS1_27merge_sort_block_merge_implIS3_N6thrust23THRUST_200600_302600_NS6detail15normal_iteratorINS8_10device_ptrIiEEEESD_jNS1_19radix_merge_compareILb1ELb1EiNS0_19identity_decomposerEEEEE10hipError_tT0_T1_T2_jT3_P12ihipStream_tbPNSt15iterator_traitsISI_E10value_typeEPNSO_ISJ_E10value_typeEPSK_NS1_7vsmem_tEENKUlT_SI_SJ_SK_E_clIPiSD_S10_SD_EESH_SX_SI_SJ_SK_EUlSX_E_NS1_11comp_targetILNS1_3genE9ELNS1_11target_archE1100ELNS1_3gpuE3ELNS1_3repE0EEENS1_48merge_mergepath_partition_config_static_selectorELNS0_4arch9wavefront6targetE1EEEvSJ_ ; -- Begin function _ZN7rocprim17ROCPRIM_400000_NS6detail17trampoline_kernelINS0_14default_configENS1_38merge_sort_block_merge_config_selectorIiiEEZZNS1_27merge_sort_block_merge_implIS3_N6thrust23THRUST_200600_302600_NS6detail15normal_iteratorINS8_10device_ptrIiEEEESD_jNS1_19radix_merge_compareILb1ELb1EiNS0_19identity_decomposerEEEEE10hipError_tT0_T1_T2_jT3_P12ihipStream_tbPNSt15iterator_traitsISI_E10value_typeEPNSO_ISJ_E10value_typeEPSK_NS1_7vsmem_tEENKUlT_SI_SJ_SK_E_clIPiSD_S10_SD_EESH_SX_SI_SJ_SK_EUlSX_E_NS1_11comp_targetILNS1_3genE9ELNS1_11target_archE1100ELNS1_3gpuE3ELNS1_3repE0EEENS1_48merge_mergepath_partition_config_static_selectorELNS0_4arch9wavefront6targetE1EEEvSJ_
	.globl	_ZN7rocprim17ROCPRIM_400000_NS6detail17trampoline_kernelINS0_14default_configENS1_38merge_sort_block_merge_config_selectorIiiEEZZNS1_27merge_sort_block_merge_implIS3_N6thrust23THRUST_200600_302600_NS6detail15normal_iteratorINS8_10device_ptrIiEEEESD_jNS1_19radix_merge_compareILb1ELb1EiNS0_19identity_decomposerEEEEE10hipError_tT0_T1_T2_jT3_P12ihipStream_tbPNSt15iterator_traitsISI_E10value_typeEPNSO_ISJ_E10value_typeEPSK_NS1_7vsmem_tEENKUlT_SI_SJ_SK_E_clIPiSD_S10_SD_EESH_SX_SI_SJ_SK_EUlSX_E_NS1_11comp_targetILNS1_3genE9ELNS1_11target_archE1100ELNS1_3gpuE3ELNS1_3repE0EEENS1_48merge_mergepath_partition_config_static_selectorELNS0_4arch9wavefront6targetE1EEEvSJ_
	.p2align	8
	.type	_ZN7rocprim17ROCPRIM_400000_NS6detail17trampoline_kernelINS0_14default_configENS1_38merge_sort_block_merge_config_selectorIiiEEZZNS1_27merge_sort_block_merge_implIS3_N6thrust23THRUST_200600_302600_NS6detail15normal_iteratorINS8_10device_ptrIiEEEESD_jNS1_19radix_merge_compareILb1ELb1EiNS0_19identity_decomposerEEEEE10hipError_tT0_T1_T2_jT3_P12ihipStream_tbPNSt15iterator_traitsISI_E10value_typeEPNSO_ISJ_E10value_typeEPSK_NS1_7vsmem_tEENKUlT_SI_SJ_SK_E_clIPiSD_S10_SD_EESH_SX_SI_SJ_SK_EUlSX_E_NS1_11comp_targetILNS1_3genE9ELNS1_11target_archE1100ELNS1_3gpuE3ELNS1_3repE0EEENS1_48merge_mergepath_partition_config_static_selectorELNS0_4arch9wavefront6targetE1EEEvSJ_,@function
_ZN7rocprim17ROCPRIM_400000_NS6detail17trampoline_kernelINS0_14default_configENS1_38merge_sort_block_merge_config_selectorIiiEEZZNS1_27merge_sort_block_merge_implIS3_N6thrust23THRUST_200600_302600_NS6detail15normal_iteratorINS8_10device_ptrIiEEEESD_jNS1_19radix_merge_compareILb1ELb1EiNS0_19identity_decomposerEEEEE10hipError_tT0_T1_T2_jT3_P12ihipStream_tbPNSt15iterator_traitsISI_E10value_typeEPNSO_ISJ_E10value_typeEPSK_NS1_7vsmem_tEENKUlT_SI_SJ_SK_E_clIPiSD_S10_SD_EESH_SX_SI_SJ_SK_EUlSX_E_NS1_11comp_targetILNS1_3genE9ELNS1_11target_archE1100ELNS1_3gpuE3ELNS1_3repE0EEENS1_48merge_mergepath_partition_config_static_selectorELNS0_4arch9wavefront6targetE1EEEvSJ_: ; @_ZN7rocprim17ROCPRIM_400000_NS6detail17trampoline_kernelINS0_14default_configENS1_38merge_sort_block_merge_config_selectorIiiEEZZNS1_27merge_sort_block_merge_implIS3_N6thrust23THRUST_200600_302600_NS6detail15normal_iteratorINS8_10device_ptrIiEEEESD_jNS1_19radix_merge_compareILb1ELb1EiNS0_19identity_decomposerEEEEE10hipError_tT0_T1_T2_jT3_P12ihipStream_tbPNSt15iterator_traitsISI_E10value_typeEPNSO_ISJ_E10value_typeEPSK_NS1_7vsmem_tEENKUlT_SI_SJ_SK_E_clIPiSD_S10_SD_EESH_SX_SI_SJ_SK_EUlSX_E_NS1_11comp_targetILNS1_3genE9ELNS1_11target_archE1100ELNS1_3gpuE3ELNS1_3repE0EEENS1_48merge_mergepath_partition_config_static_selectorELNS0_4arch9wavefront6targetE1EEEvSJ_
; %bb.0:
	.section	.rodata,"a",@progbits
	.p2align	6, 0x0
	.amdhsa_kernel _ZN7rocprim17ROCPRIM_400000_NS6detail17trampoline_kernelINS0_14default_configENS1_38merge_sort_block_merge_config_selectorIiiEEZZNS1_27merge_sort_block_merge_implIS3_N6thrust23THRUST_200600_302600_NS6detail15normal_iteratorINS8_10device_ptrIiEEEESD_jNS1_19radix_merge_compareILb1ELb1EiNS0_19identity_decomposerEEEEE10hipError_tT0_T1_T2_jT3_P12ihipStream_tbPNSt15iterator_traitsISI_E10value_typeEPNSO_ISJ_E10value_typeEPSK_NS1_7vsmem_tEENKUlT_SI_SJ_SK_E_clIPiSD_S10_SD_EESH_SX_SI_SJ_SK_EUlSX_E_NS1_11comp_targetILNS1_3genE9ELNS1_11target_archE1100ELNS1_3gpuE3ELNS1_3repE0EEENS1_48merge_mergepath_partition_config_static_selectorELNS0_4arch9wavefront6targetE1EEEvSJ_
		.amdhsa_group_segment_fixed_size 0
		.amdhsa_private_segment_fixed_size 0
		.amdhsa_kernarg_size 40
		.amdhsa_user_sgpr_count 2
		.amdhsa_user_sgpr_dispatch_ptr 0
		.amdhsa_user_sgpr_queue_ptr 0
		.amdhsa_user_sgpr_kernarg_segment_ptr 1
		.amdhsa_user_sgpr_dispatch_id 0
		.amdhsa_user_sgpr_kernarg_preload_length 0
		.amdhsa_user_sgpr_kernarg_preload_offset 0
		.amdhsa_user_sgpr_private_segment_size 0
		.amdhsa_uses_dynamic_stack 0
		.amdhsa_enable_private_segment 0
		.amdhsa_system_sgpr_workgroup_id_x 1
		.amdhsa_system_sgpr_workgroup_id_y 0
		.amdhsa_system_sgpr_workgroup_id_z 0
		.amdhsa_system_sgpr_workgroup_info 0
		.amdhsa_system_vgpr_workitem_id 0
		.amdhsa_next_free_vgpr 1
		.amdhsa_next_free_sgpr 0
		.amdhsa_accum_offset 4
		.amdhsa_reserve_vcc 0
		.amdhsa_float_round_mode_32 0
		.amdhsa_float_round_mode_16_64 0
		.amdhsa_float_denorm_mode_32 3
		.amdhsa_float_denorm_mode_16_64 3
		.amdhsa_dx10_clamp 1
		.amdhsa_ieee_mode 1
		.amdhsa_fp16_overflow 0
		.amdhsa_tg_split 0
		.amdhsa_exception_fp_ieee_invalid_op 0
		.amdhsa_exception_fp_denorm_src 0
		.amdhsa_exception_fp_ieee_div_zero 0
		.amdhsa_exception_fp_ieee_overflow 0
		.amdhsa_exception_fp_ieee_underflow 0
		.amdhsa_exception_fp_ieee_inexact 0
		.amdhsa_exception_int_div_zero 0
	.end_amdhsa_kernel
	.section	.text._ZN7rocprim17ROCPRIM_400000_NS6detail17trampoline_kernelINS0_14default_configENS1_38merge_sort_block_merge_config_selectorIiiEEZZNS1_27merge_sort_block_merge_implIS3_N6thrust23THRUST_200600_302600_NS6detail15normal_iteratorINS8_10device_ptrIiEEEESD_jNS1_19radix_merge_compareILb1ELb1EiNS0_19identity_decomposerEEEEE10hipError_tT0_T1_T2_jT3_P12ihipStream_tbPNSt15iterator_traitsISI_E10value_typeEPNSO_ISJ_E10value_typeEPSK_NS1_7vsmem_tEENKUlT_SI_SJ_SK_E_clIPiSD_S10_SD_EESH_SX_SI_SJ_SK_EUlSX_E_NS1_11comp_targetILNS1_3genE9ELNS1_11target_archE1100ELNS1_3gpuE3ELNS1_3repE0EEENS1_48merge_mergepath_partition_config_static_selectorELNS0_4arch9wavefront6targetE1EEEvSJ_,"axG",@progbits,_ZN7rocprim17ROCPRIM_400000_NS6detail17trampoline_kernelINS0_14default_configENS1_38merge_sort_block_merge_config_selectorIiiEEZZNS1_27merge_sort_block_merge_implIS3_N6thrust23THRUST_200600_302600_NS6detail15normal_iteratorINS8_10device_ptrIiEEEESD_jNS1_19radix_merge_compareILb1ELb1EiNS0_19identity_decomposerEEEEE10hipError_tT0_T1_T2_jT3_P12ihipStream_tbPNSt15iterator_traitsISI_E10value_typeEPNSO_ISJ_E10value_typeEPSK_NS1_7vsmem_tEENKUlT_SI_SJ_SK_E_clIPiSD_S10_SD_EESH_SX_SI_SJ_SK_EUlSX_E_NS1_11comp_targetILNS1_3genE9ELNS1_11target_archE1100ELNS1_3gpuE3ELNS1_3repE0EEENS1_48merge_mergepath_partition_config_static_selectorELNS0_4arch9wavefront6targetE1EEEvSJ_,comdat
.Lfunc_end1777:
	.size	_ZN7rocprim17ROCPRIM_400000_NS6detail17trampoline_kernelINS0_14default_configENS1_38merge_sort_block_merge_config_selectorIiiEEZZNS1_27merge_sort_block_merge_implIS3_N6thrust23THRUST_200600_302600_NS6detail15normal_iteratorINS8_10device_ptrIiEEEESD_jNS1_19radix_merge_compareILb1ELb1EiNS0_19identity_decomposerEEEEE10hipError_tT0_T1_T2_jT3_P12ihipStream_tbPNSt15iterator_traitsISI_E10value_typeEPNSO_ISJ_E10value_typeEPSK_NS1_7vsmem_tEENKUlT_SI_SJ_SK_E_clIPiSD_S10_SD_EESH_SX_SI_SJ_SK_EUlSX_E_NS1_11comp_targetILNS1_3genE9ELNS1_11target_archE1100ELNS1_3gpuE3ELNS1_3repE0EEENS1_48merge_mergepath_partition_config_static_selectorELNS0_4arch9wavefront6targetE1EEEvSJ_, .Lfunc_end1777-_ZN7rocprim17ROCPRIM_400000_NS6detail17trampoline_kernelINS0_14default_configENS1_38merge_sort_block_merge_config_selectorIiiEEZZNS1_27merge_sort_block_merge_implIS3_N6thrust23THRUST_200600_302600_NS6detail15normal_iteratorINS8_10device_ptrIiEEEESD_jNS1_19radix_merge_compareILb1ELb1EiNS0_19identity_decomposerEEEEE10hipError_tT0_T1_T2_jT3_P12ihipStream_tbPNSt15iterator_traitsISI_E10value_typeEPNSO_ISJ_E10value_typeEPSK_NS1_7vsmem_tEENKUlT_SI_SJ_SK_E_clIPiSD_S10_SD_EESH_SX_SI_SJ_SK_EUlSX_E_NS1_11comp_targetILNS1_3genE9ELNS1_11target_archE1100ELNS1_3gpuE3ELNS1_3repE0EEENS1_48merge_mergepath_partition_config_static_selectorELNS0_4arch9wavefront6targetE1EEEvSJ_
                                        ; -- End function
	.set _ZN7rocprim17ROCPRIM_400000_NS6detail17trampoline_kernelINS0_14default_configENS1_38merge_sort_block_merge_config_selectorIiiEEZZNS1_27merge_sort_block_merge_implIS3_N6thrust23THRUST_200600_302600_NS6detail15normal_iteratorINS8_10device_ptrIiEEEESD_jNS1_19radix_merge_compareILb1ELb1EiNS0_19identity_decomposerEEEEE10hipError_tT0_T1_T2_jT3_P12ihipStream_tbPNSt15iterator_traitsISI_E10value_typeEPNSO_ISJ_E10value_typeEPSK_NS1_7vsmem_tEENKUlT_SI_SJ_SK_E_clIPiSD_S10_SD_EESH_SX_SI_SJ_SK_EUlSX_E_NS1_11comp_targetILNS1_3genE9ELNS1_11target_archE1100ELNS1_3gpuE3ELNS1_3repE0EEENS1_48merge_mergepath_partition_config_static_selectorELNS0_4arch9wavefront6targetE1EEEvSJ_.num_vgpr, 0
	.set _ZN7rocprim17ROCPRIM_400000_NS6detail17trampoline_kernelINS0_14default_configENS1_38merge_sort_block_merge_config_selectorIiiEEZZNS1_27merge_sort_block_merge_implIS3_N6thrust23THRUST_200600_302600_NS6detail15normal_iteratorINS8_10device_ptrIiEEEESD_jNS1_19radix_merge_compareILb1ELb1EiNS0_19identity_decomposerEEEEE10hipError_tT0_T1_T2_jT3_P12ihipStream_tbPNSt15iterator_traitsISI_E10value_typeEPNSO_ISJ_E10value_typeEPSK_NS1_7vsmem_tEENKUlT_SI_SJ_SK_E_clIPiSD_S10_SD_EESH_SX_SI_SJ_SK_EUlSX_E_NS1_11comp_targetILNS1_3genE9ELNS1_11target_archE1100ELNS1_3gpuE3ELNS1_3repE0EEENS1_48merge_mergepath_partition_config_static_selectorELNS0_4arch9wavefront6targetE1EEEvSJ_.num_agpr, 0
	.set _ZN7rocprim17ROCPRIM_400000_NS6detail17trampoline_kernelINS0_14default_configENS1_38merge_sort_block_merge_config_selectorIiiEEZZNS1_27merge_sort_block_merge_implIS3_N6thrust23THRUST_200600_302600_NS6detail15normal_iteratorINS8_10device_ptrIiEEEESD_jNS1_19radix_merge_compareILb1ELb1EiNS0_19identity_decomposerEEEEE10hipError_tT0_T1_T2_jT3_P12ihipStream_tbPNSt15iterator_traitsISI_E10value_typeEPNSO_ISJ_E10value_typeEPSK_NS1_7vsmem_tEENKUlT_SI_SJ_SK_E_clIPiSD_S10_SD_EESH_SX_SI_SJ_SK_EUlSX_E_NS1_11comp_targetILNS1_3genE9ELNS1_11target_archE1100ELNS1_3gpuE3ELNS1_3repE0EEENS1_48merge_mergepath_partition_config_static_selectorELNS0_4arch9wavefront6targetE1EEEvSJ_.numbered_sgpr, 0
	.set _ZN7rocprim17ROCPRIM_400000_NS6detail17trampoline_kernelINS0_14default_configENS1_38merge_sort_block_merge_config_selectorIiiEEZZNS1_27merge_sort_block_merge_implIS3_N6thrust23THRUST_200600_302600_NS6detail15normal_iteratorINS8_10device_ptrIiEEEESD_jNS1_19radix_merge_compareILb1ELb1EiNS0_19identity_decomposerEEEEE10hipError_tT0_T1_T2_jT3_P12ihipStream_tbPNSt15iterator_traitsISI_E10value_typeEPNSO_ISJ_E10value_typeEPSK_NS1_7vsmem_tEENKUlT_SI_SJ_SK_E_clIPiSD_S10_SD_EESH_SX_SI_SJ_SK_EUlSX_E_NS1_11comp_targetILNS1_3genE9ELNS1_11target_archE1100ELNS1_3gpuE3ELNS1_3repE0EEENS1_48merge_mergepath_partition_config_static_selectorELNS0_4arch9wavefront6targetE1EEEvSJ_.num_named_barrier, 0
	.set _ZN7rocprim17ROCPRIM_400000_NS6detail17trampoline_kernelINS0_14default_configENS1_38merge_sort_block_merge_config_selectorIiiEEZZNS1_27merge_sort_block_merge_implIS3_N6thrust23THRUST_200600_302600_NS6detail15normal_iteratorINS8_10device_ptrIiEEEESD_jNS1_19radix_merge_compareILb1ELb1EiNS0_19identity_decomposerEEEEE10hipError_tT0_T1_T2_jT3_P12ihipStream_tbPNSt15iterator_traitsISI_E10value_typeEPNSO_ISJ_E10value_typeEPSK_NS1_7vsmem_tEENKUlT_SI_SJ_SK_E_clIPiSD_S10_SD_EESH_SX_SI_SJ_SK_EUlSX_E_NS1_11comp_targetILNS1_3genE9ELNS1_11target_archE1100ELNS1_3gpuE3ELNS1_3repE0EEENS1_48merge_mergepath_partition_config_static_selectorELNS0_4arch9wavefront6targetE1EEEvSJ_.private_seg_size, 0
	.set _ZN7rocprim17ROCPRIM_400000_NS6detail17trampoline_kernelINS0_14default_configENS1_38merge_sort_block_merge_config_selectorIiiEEZZNS1_27merge_sort_block_merge_implIS3_N6thrust23THRUST_200600_302600_NS6detail15normal_iteratorINS8_10device_ptrIiEEEESD_jNS1_19radix_merge_compareILb1ELb1EiNS0_19identity_decomposerEEEEE10hipError_tT0_T1_T2_jT3_P12ihipStream_tbPNSt15iterator_traitsISI_E10value_typeEPNSO_ISJ_E10value_typeEPSK_NS1_7vsmem_tEENKUlT_SI_SJ_SK_E_clIPiSD_S10_SD_EESH_SX_SI_SJ_SK_EUlSX_E_NS1_11comp_targetILNS1_3genE9ELNS1_11target_archE1100ELNS1_3gpuE3ELNS1_3repE0EEENS1_48merge_mergepath_partition_config_static_selectorELNS0_4arch9wavefront6targetE1EEEvSJ_.uses_vcc, 0
	.set _ZN7rocprim17ROCPRIM_400000_NS6detail17trampoline_kernelINS0_14default_configENS1_38merge_sort_block_merge_config_selectorIiiEEZZNS1_27merge_sort_block_merge_implIS3_N6thrust23THRUST_200600_302600_NS6detail15normal_iteratorINS8_10device_ptrIiEEEESD_jNS1_19radix_merge_compareILb1ELb1EiNS0_19identity_decomposerEEEEE10hipError_tT0_T1_T2_jT3_P12ihipStream_tbPNSt15iterator_traitsISI_E10value_typeEPNSO_ISJ_E10value_typeEPSK_NS1_7vsmem_tEENKUlT_SI_SJ_SK_E_clIPiSD_S10_SD_EESH_SX_SI_SJ_SK_EUlSX_E_NS1_11comp_targetILNS1_3genE9ELNS1_11target_archE1100ELNS1_3gpuE3ELNS1_3repE0EEENS1_48merge_mergepath_partition_config_static_selectorELNS0_4arch9wavefront6targetE1EEEvSJ_.uses_flat_scratch, 0
	.set _ZN7rocprim17ROCPRIM_400000_NS6detail17trampoline_kernelINS0_14default_configENS1_38merge_sort_block_merge_config_selectorIiiEEZZNS1_27merge_sort_block_merge_implIS3_N6thrust23THRUST_200600_302600_NS6detail15normal_iteratorINS8_10device_ptrIiEEEESD_jNS1_19radix_merge_compareILb1ELb1EiNS0_19identity_decomposerEEEEE10hipError_tT0_T1_T2_jT3_P12ihipStream_tbPNSt15iterator_traitsISI_E10value_typeEPNSO_ISJ_E10value_typeEPSK_NS1_7vsmem_tEENKUlT_SI_SJ_SK_E_clIPiSD_S10_SD_EESH_SX_SI_SJ_SK_EUlSX_E_NS1_11comp_targetILNS1_3genE9ELNS1_11target_archE1100ELNS1_3gpuE3ELNS1_3repE0EEENS1_48merge_mergepath_partition_config_static_selectorELNS0_4arch9wavefront6targetE1EEEvSJ_.has_dyn_sized_stack, 0
	.set _ZN7rocprim17ROCPRIM_400000_NS6detail17trampoline_kernelINS0_14default_configENS1_38merge_sort_block_merge_config_selectorIiiEEZZNS1_27merge_sort_block_merge_implIS3_N6thrust23THRUST_200600_302600_NS6detail15normal_iteratorINS8_10device_ptrIiEEEESD_jNS1_19radix_merge_compareILb1ELb1EiNS0_19identity_decomposerEEEEE10hipError_tT0_T1_T2_jT3_P12ihipStream_tbPNSt15iterator_traitsISI_E10value_typeEPNSO_ISJ_E10value_typeEPSK_NS1_7vsmem_tEENKUlT_SI_SJ_SK_E_clIPiSD_S10_SD_EESH_SX_SI_SJ_SK_EUlSX_E_NS1_11comp_targetILNS1_3genE9ELNS1_11target_archE1100ELNS1_3gpuE3ELNS1_3repE0EEENS1_48merge_mergepath_partition_config_static_selectorELNS0_4arch9wavefront6targetE1EEEvSJ_.has_recursion, 0
	.set _ZN7rocprim17ROCPRIM_400000_NS6detail17trampoline_kernelINS0_14default_configENS1_38merge_sort_block_merge_config_selectorIiiEEZZNS1_27merge_sort_block_merge_implIS3_N6thrust23THRUST_200600_302600_NS6detail15normal_iteratorINS8_10device_ptrIiEEEESD_jNS1_19radix_merge_compareILb1ELb1EiNS0_19identity_decomposerEEEEE10hipError_tT0_T1_T2_jT3_P12ihipStream_tbPNSt15iterator_traitsISI_E10value_typeEPNSO_ISJ_E10value_typeEPSK_NS1_7vsmem_tEENKUlT_SI_SJ_SK_E_clIPiSD_S10_SD_EESH_SX_SI_SJ_SK_EUlSX_E_NS1_11comp_targetILNS1_3genE9ELNS1_11target_archE1100ELNS1_3gpuE3ELNS1_3repE0EEENS1_48merge_mergepath_partition_config_static_selectorELNS0_4arch9wavefront6targetE1EEEvSJ_.has_indirect_call, 0
	.section	.AMDGPU.csdata,"",@progbits
; Kernel info:
; codeLenInByte = 0
; TotalNumSgprs: 6
; NumVgprs: 0
; NumAgprs: 0
; TotalNumVgprs: 0
; ScratchSize: 0
; MemoryBound: 0
; FloatMode: 240
; IeeeMode: 1
; LDSByteSize: 0 bytes/workgroup (compile time only)
; SGPRBlocks: 0
; VGPRBlocks: 0
; NumSGPRsForWavesPerEU: 6
; NumVGPRsForWavesPerEU: 1
; AccumOffset: 4
; Occupancy: 8
; WaveLimiterHint : 0
; COMPUTE_PGM_RSRC2:SCRATCH_EN: 0
; COMPUTE_PGM_RSRC2:USER_SGPR: 2
; COMPUTE_PGM_RSRC2:TRAP_HANDLER: 0
; COMPUTE_PGM_RSRC2:TGID_X_EN: 1
; COMPUTE_PGM_RSRC2:TGID_Y_EN: 0
; COMPUTE_PGM_RSRC2:TGID_Z_EN: 0
; COMPUTE_PGM_RSRC2:TIDIG_COMP_CNT: 0
; COMPUTE_PGM_RSRC3_GFX90A:ACCUM_OFFSET: 0
; COMPUTE_PGM_RSRC3_GFX90A:TG_SPLIT: 0
	.section	.text._ZN7rocprim17ROCPRIM_400000_NS6detail17trampoline_kernelINS0_14default_configENS1_38merge_sort_block_merge_config_selectorIiiEEZZNS1_27merge_sort_block_merge_implIS3_N6thrust23THRUST_200600_302600_NS6detail15normal_iteratorINS8_10device_ptrIiEEEESD_jNS1_19radix_merge_compareILb1ELb1EiNS0_19identity_decomposerEEEEE10hipError_tT0_T1_T2_jT3_P12ihipStream_tbPNSt15iterator_traitsISI_E10value_typeEPNSO_ISJ_E10value_typeEPSK_NS1_7vsmem_tEENKUlT_SI_SJ_SK_E_clIPiSD_S10_SD_EESH_SX_SI_SJ_SK_EUlSX_E_NS1_11comp_targetILNS1_3genE8ELNS1_11target_archE1030ELNS1_3gpuE2ELNS1_3repE0EEENS1_48merge_mergepath_partition_config_static_selectorELNS0_4arch9wavefront6targetE1EEEvSJ_,"axG",@progbits,_ZN7rocprim17ROCPRIM_400000_NS6detail17trampoline_kernelINS0_14default_configENS1_38merge_sort_block_merge_config_selectorIiiEEZZNS1_27merge_sort_block_merge_implIS3_N6thrust23THRUST_200600_302600_NS6detail15normal_iteratorINS8_10device_ptrIiEEEESD_jNS1_19radix_merge_compareILb1ELb1EiNS0_19identity_decomposerEEEEE10hipError_tT0_T1_T2_jT3_P12ihipStream_tbPNSt15iterator_traitsISI_E10value_typeEPNSO_ISJ_E10value_typeEPSK_NS1_7vsmem_tEENKUlT_SI_SJ_SK_E_clIPiSD_S10_SD_EESH_SX_SI_SJ_SK_EUlSX_E_NS1_11comp_targetILNS1_3genE8ELNS1_11target_archE1030ELNS1_3gpuE2ELNS1_3repE0EEENS1_48merge_mergepath_partition_config_static_selectorELNS0_4arch9wavefront6targetE1EEEvSJ_,comdat
	.protected	_ZN7rocprim17ROCPRIM_400000_NS6detail17trampoline_kernelINS0_14default_configENS1_38merge_sort_block_merge_config_selectorIiiEEZZNS1_27merge_sort_block_merge_implIS3_N6thrust23THRUST_200600_302600_NS6detail15normal_iteratorINS8_10device_ptrIiEEEESD_jNS1_19radix_merge_compareILb1ELb1EiNS0_19identity_decomposerEEEEE10hipError_tT0_T1_T2_jT3_P12ihipStream_tbPNSt15iterator_traitsISI_E10value_typeEPNSO_ISJ_E10value_typeEPSK_NS1_7vsmem_tEENKUlT_SI_SJ_SK_E_clIPiSD_S10_SD_EESH_SX_SI_SJ_SK_EUlSX_E_NS1_11comp_targetILNS1_3genE8ELNS1_11target_archE1030ELNS1_3gpuE2ELNS1_3repE0EEENS1_48merge_mergepath_partition_config_static_selectorELNS0_4arch9wavefront6targetE1EEEvSJ_ ; -- Begin function _ZN7rocprim17ROCPRIM_400000_NS6detail17trampoline_kernelINS0_14default_configENS1_38merge_sort_block_merge_config_selectorIiiEEZZNS1_27merge_sort_block_merge_implIS3_N6thrust23THRUST_200600_302600_NS6detail15normal_iteratorINS8_10device_ptrIiEEEESD_jNS1_19radix_merge_compareILb1ELb1EiNS0_19identity_decomposerEEEEE10hipError_tT0_T1_T2_jT3_P12ihipStream_tbPNSt15iterator_traitsISI_E10value_typeEPNSO_ISJ_E10value_typeEPSK_NS1_7vsmem_tEENKUlT_SI_SJ_SK_E_clIPiSD_S10_SD_EESH_SX_SI_SJ_SK_EUlSX_E_NS1_11comp_targetILNS1_3genE8ELNS1_11target_archE1030ELNS1_3gpuE2ELNS1_3repE0EEENS1_48merge_mergepath_partition_config_static_selectorELNS0_4arch9wavefront6targetE1EEEvSJ_
	.globl	_ZN7rocprim17ROCPRIM_400000_NS6detail17trampoline_kernelINS0_14default_configENS1_38merge_sort_block_merge_config_selectorIiiEEZZNS1_27merge_sort_block_merge_implIS3_N6thrust23THRUST_200600_302600_NS6detail15normal_iteratorINS8_10device_ptrIiEEEESD_jNS1_19radix_merge_compareILb1ELb1EiNS0_19identity_decomposerEEEEE10hipError_tT0_T1_T2_jT3_P12ihipStream_tbPNSt15iterator_traitsISI_E10value_typeEPNSO_ISJ_E10value_typeEPSK_NS1_7vsmem_tEENKUlT_SI_SJ_SK_E_clIPiSD_S10_SD_EESH_SX_SI_SJ_SK_EUlSX_E_NS1_11comp_targetILNS1_3genE8ELNS1_11target_archE1030ELNS1_3gpuE2ELNS1_3repE0EEENS1_48merge_mergepath_partition_config_static_selectorELNS0_4arch9wavefront6targetE1EEEvSJ_
	.p2align	8
	.type	_ZN7rocprim17ROCPRIM_400000_NS6detail17trampoline_kernelINS0_14default_configENS1_38merge_sort_block_merge_config_selectorIiiEEZZNS1_27merge_sort_block_merge_implIS3_N6thrust23THRUST_200600_302600_NS6detail15normal_iteratorINS8_10device_ptrIiEEEESD_jNS1_19radix_merge_compareILb1ELb1EiNS0_19identity_decomposerEEEEE10hipError_tT0_T1_T2_jT3_P12ihipStream_tbPNSt15iterator_traitsISI_E10value_typeEPNSO_ISJ_E10value_typeEPSK_NS1_7vsmem_tEENKUlT_SI_SJ_SK_E_clIPiSD_S10_SD_EESH_SX_SI_SJ_SK_EUlSX_E_NS1_11comp_targetILNS1_3genE8ELNS1_11target_archE1030ELNS1_3gpuE2ELNS1_3repE0EEENS1_48merge_mergepath_partition_config_static_selectorELNS0_4arch9wavefront6targetE1EEEvSJ_,@function
_ZN7rocprim17ROCPRIM_400000_NS6detail17trampoline_kernelINS0_14default_configENS1_38merge_sort_block_merge_config_selectorIiiEEZZNS1_27merge_sort_block_merge_implIS3_N6thrust23THRUST_200600_302600_NS6detail15normal_iteratorINS8_10device_ptrIiEEEESD_jNS1_19radix_merge_compareILb1ELb1EiNS0_19identity_decomposerEEEEE10hipError_tT0_T1_T2_jT3_P12ihipStream_tbPNSt15iterator_traitsISI_E10value_typeEPNSO_ISJ_E10value_typeEPSK_NS1_7vsmem_tEENKUlT_SI_SJ_SK_E_clIPiSD_S10_SD_EESH_SX_SI_SJ_SK_EUlSX_E_NS1_11comp_targetILNS1_3genE8ELNS1_11target_archE1030ELNS1_3gpuE2ELNS1_3repE0EEENS1_48merge_mergepath_partition_config_static_selectorELNS0_4arch9wavefront6targetE1EEEvSJ_: ; @_ZN7rocprim17ROCPRIM_400000_NS6detail17trampoline_kernelINS0_14default_configENS1_38merge_sort_block_merge_config_selectorIiiEEZZNS1_27merge_sort_block_merge_implIS3_N6thrust23THRUST_200600_302600_NS6detail15normal_iteratorINS8_10device_ptrIiEEEESD_jNS1_19radix_merge_compareILb1ELb1EiNS0_19identity_decomposerEEEEE10hipError_tT0_T1_T2_jT3_P12ihipStream_tbPNSt15iterator_traitsISI_E10value_typeEPNSO_ISJ_E10value_typeEPSK_NS1_7vsmem_tEENKUlT_SI_SJ_SK_E_clIPiSD_S10_SD_EESH_SX_SI_SJ_SK_EUlSX_E_NS1_11comp_targetILNS1_3genE8ELNS1_11target_archE1030ELNS1_3gpuE2ELNS1_3repE0EEENS1_48merge_mergepath_partition_config_static_selectorELNS0_4arch9wavefront6targetE1EEEvSJ_
; %bb.0:
	.section	.rodata,"a",@progbits
	.p2align	6, 0x0
	.amdhsa_kernel _ZN7rocprim17ROCPRIM_400000_NS6detail17trampoline_kernelINS0_14default_configENS1_38merge_sort_block_merge_config_selectorIiiEEZZNS1_27merge_sort_block_merge_implIS3_N6thrust23THRUST_200600_302600_NS6detail15normal_iteratorINS8_10device_ptrIiEEEESD_jNS1_19radix_merge_compareILb1ELb1EiNS0_19identity_decomposerEEEEE10hipError_tT0_T1_T2_jT3_P12ihipStream_tbPNSt15iterator_traitsISI_E10value_typeEPNSO_ISJ_E10value_typeEPSK_NS1_7vsmem_tEENKUlT_SI_SJ_SK_E_clIPiSD_S10_SD_EESH_SX_SI_SJ_SK_EUlSX_E_NS1_11comp_targetILNS1_3genE8ELNS1_11target_archE1030ELNS1_3gpuE2ELNS1_3repE0EEENS1_48merge_mergepath_partition_config_static_selectorELNS0_4arch9wavefront6targetE1EEEvSJ_
		.amdhsa_group_segment_fixed_size 0
		.amdhsa_private_segment_fixed_size 0
		.amdhsa_kernarg_size 40
		.amdhsa_user_sgpr_count 2
		.amdhsa_user_sgpr_dispatch_ptr 0
		.amdhsa_user_sgpr_queue_ptr 0
		.amdhsa_user_sgpr_kernarg_segment_ptr 1
		.amdhsa_user_sgpr_dispatch_id 0
		.amdhsa_user_sgpr_kernarg_preload_length 0
		.amdhsa_user_sgpr_kernarg_preload_offset 0
		.amdhsa_user_sgpr_private_segment_size 0
		.amdhsa_uses_dynamic_stack 0
		.amdhsa_enable_private_segment 0
		.amdhsa_system_sgpr_workgroup_id_x 1
		.amdhsa_system_sgpr_workgroup_id_y 0
		.amdhsa_system_sgpr_workgroup_id_z 0
		.amdhsa_system_sgpr_workgroup_info 0
		.amdhsa_system_vgpr_workitem_id 0
		.amdhsa_next_free_vgpr 1
		.amdhsa_next_free_sgpr 0
		.amdhsa_accum_offset 4
		.amdhsa_reserve_vcc 0
		.amdhsa_float_round_mode_32 0
		.amdhsa_float_round_mode_16_64 0
		.amdhsa_float_denorm_mode_32 3
		.amdhsa_float_denorm_mode_16_64 3
		.amdhsa_dx10_clamp 1
		.amdhsa_ieee_mode 1
		.amdhsa_fp16_overflow 0
		.amdhsa_tg_split 0
		.amdhsa_exception_fp_ieee_invalid_op 0
		.amdhsa_exception_fp_denorm_src 0
		.amdhsa_exception_fp_ieee_div_zero 0
		.amdhsa_exception_fp_ieee_overflow 0
		.amdhsa_exception_fp_ieee_underflow 0
		.amdhsa_exception_fp_ieee_inexact 0
		.amdhsa_exception_int_div_zero 0
	.end_amdhsa_kernel
	.section	.text._ZN7rocprim17ROCPRIM_400000_NS6detail17trampoline_kernelINS0_14default_configENS1_38merge_sort_block_merge_config_selectorIiiEEZZNS1_27merge_sort_block_merge_implIS3_N6thrust23THRUST_200600_302600_NS6detail15normal_iteratorINS8_10device_ptrIiEEEESD_jNS1_19radix_merge_compareILb1ELb1EiNS0_19identity_decomposerEEEEE10hipError_tT0_T1_T2_jT3_P12ihipStream_tbPNSt15iterator_traitsISI_E10value_typeEPNSO_ISJ_E10value_typeEPSK_NS1_7vsmem_tEENKUlT_SI_SJ_SK_E_clIPiSD_S10_SD_EESH_SX_SI_SJ_SK_EUlSX_E_NS1_11comp_targetILNS1_3genE8ELNS1_11target_archE1030ELNS1_3gpuE2ELNS1_3repE0EEENS1_48merge_mergepath_partition_config_static_selectorELNS0_4arch9wavefront6targetE1EEEvSJ_,"axG",@progbits,_ZN7rocprim17ROCPRIM_400000_NS6detail17trampoline_kernelINS0_14default_configENS1_38merge_sort_block_merge_config_selectorIiiEEZZNS1_27merge_sort_block_merge_implIS3_N6thrust23THRUST_200600_302600_NS6detail15normal_iteratorINS8_10device_ptrIiEEEESD_jNS1_19radix_merge_compareILb1ELb1EiNS0_19identity_decomposerEEEEE10hipError_tT0_T1_T2_jT3_P12ihipStream_tbPNSt15iterator_traitsISI_E10value_typeEPNSO_ISJ_E10value_typeEPSK_NS1_7vsmem_tEENKUlT_SI_SJ_SK_E_clIPiSD_S10_SD_EESH_SX_SI_SJ_SK_EUlSX_E_NS1_11comp_targetILNS1_3genE8ELNS1_11target_archE1030ELNS1_3gpuE2ELNS1_3repE0EEENS1_48merge_mergepath_partition_config_static_selectorELNS0_4arch9wavefront6targetE1EEEvSJ_,comdat
.Lfunc_end1778:
	.size	_ZN7rocprim17ROCPRIM_400000_NS6detail17trampoline_kernelINS0_14default_configENS1_38merge_sort_block_merge_config_selectorIiiEEZZNS1_27merge_sort_block_merge_implIS3_N6thrust23THRUST_200600_302600_NS6detail15normal_iteratorINS8_10device_ptrIiEEEESD_jNS1_19radix_merge_compareILb1ELb1EiNS0_19identity_decomposerEEEEE10hipError_tT0_T1_T2_jT3_P12ihipStream_tbPNSt15iterator_traitsISI_E10value_typeEPNSO_ISJ_E10value_typeEPSK_NS1_7vsmem_tEENKUlT_SI_SJ_SK_E_clIPiSD_S10_SD_EESH_SX_SI_SJ_SK_EUlSX_E_NS1_11comp_targetILNS1_3genE8ELNS1_11target_archE1030ELNS1_3gpuE2ELNS1_3repE0EEENS1_48merge_mergepath_partition_config_static_selectorELNS0_4arch9wavefront6targetE1EEEvSJ_, .Lfunc_end1778-_ZN7rocprim17ROCPRIM_400000_NS6detail17trampoline_kernelINS0_14default_configENS1_38merge_sort_block_merge_config_selectorIiiEEZZNS1_27merge_sort_block_merge_implIS3_N6thrust23THRUST_200600_302600_NS6detail15normal_iteratorINS8_10device_ptrIiEEEESD_jNS1_19radix_merge_compareILb1ELb1EiNS0_19identity_decomposerEEEEE10hipError_tT0_T1_T2_jT3_P12ihipStream_tbPNSt15iterator_traitsISI_E10value_typeEPNSO_ISJ_E10value_typeEPSK_NS1_7vsmem_tEENKUlT_SI_SJ_SK_E_clIPiSD_S10_SD_EESH_SX_SI_SJ_SK_EUlSX_E_NS1_11comp_targetILNS1_3genE8ELNS1_11target_archE1030ELNS1_3gpuE2ELNS1_3repE0EEENS1_48merge_mergepath_partition_config_static_selectorELNS0_4arch9wavefront6targetE1EEEvSJ_
                                        ; -- End function
	.set _ZN7rocprim17ROCPRIM_400000_NS6detail17trampoline_kernelINS0_14default_configENS1_38merge_sort_block_merge_config_selectorIiiEEZZNS1_27merge_sort_block_merge_implIS3_N6thrust23THRUST_200600_302600_NS6detail15normal_iteratorINS8_10device_ptrIiEEEESD_jNS1_19radix_merge_compareILb1ELb1EiNS0_19identity_decomposerEEEEE10hipError_tT0_T1_T2_jT3_P12ihipStream_tbPNSt15iterator_traitsISI_E10value_typeEPNSO_ISJ_E10value_typeEPSK_NS1_7vsmem_tEENKUlT_SI_SJ_SK_E_clIPiSD_S10_SD_EESH_SX_SI_SJ_SK_EUlSX_E_NS1_11comp_targetILNS1_3genE8ELNS1_11target_archE1030ELNS1_3gpuE2ELNS1_3repE0EEENS1_48merge_mergepath_partition_config_static_selectorELNS0_4arch9wavefront6targetE1EEEvSJ_.num_vgpr, 0
	.set _ZN7rocprim17ROCPRIM_400000_NS6detail17trampoline_kernelINS0_14default_configENS1_38merge_sort_block_merge_config_selectorIiiEEZZNS1_27merge_sort_block_merge_implIS3_N6thrust23THRUST_200600_302600_NS6detail15normal_iteratorINS8_10device_ptrIiEEEESD_jNS1_19radix_merge_compareILb1ELb1EiNS0_19identity_decomposerEEEEE10hipError_tT0_T1_T2_jT3_P12ihipStream_tbPNSt15iterator_traitsISI_E10value_typeEPNSO_ISJ_E10value_typeEPSK_NS1_7vsmem_tEENKUlT_SI_SJ_SK_E_clIPiSD_S10_SD_EESH_SX_SI_SJ_SK_EUlSX_E_NS1_11comp_targetILNS1_3genE8ELNS1_11target_archE1030ELNS1_3gpuE2ELNS1_3repE0EEENS1_48merge_mergepath_partition_config_static_selectorELNS0_4arch9wavefront6targetE1EEEvSJ_.num_agpr, 0
	.set _ZN7rocprim17ROCPRIM_400000_NS6detail17trampoline_kernelINS0_14default_configENS1_38merge_sort_block_merge_config_selectorIiiEEZZNS1_27merge_sort_block_merge_implIS3_N6thrust23THRUST_200600_302600_NS6detail15normal_iteratorINS8_10device_ptrIiEEEESD_jNS1_19radix_merge_compareILb1ELb1EiNS0_19identity_decomposerEEEEE10hipError_tT0_T1_T2_jT3_P12ihipStream_tbPNSt15iterator_traitsISI_E10value_typeEPNSO_ISJ_E10value_typeEPSK_NS1_7vsmem_tEENKUlT_SI_SJ_SK_E_clIPiSD_S10_SD_EESH_SX_SI_SJ_SK_EUlSX_E_NS1_11comp_targetILNS1_3genE8ELNS1_11target_archE1030ELNS1_3gpuE2ELNS1_3repE0EEENS1_48merge_mergepath_partition_config_static_selectorELNS0_4arch9wavefront6targetE1EEEvSJ_.numbered_sgpr, 0
	.set _ZN7rocprim17ROCPRIM_400000_NS6detail17trampoline_kernelINS0_14default_configENS1_38merge_sort_block_merge_config_selectorIiiEEZZNS1_27merge_sort_block_merge_implIS3_N6thrust23THRUST_200600_302600_NS6detail15normal_iteratorINS8_10device_ptrIiEEEESD_jNS1_19radix_merge_compareILb1ELb1EiNS0_19identity_decomposerEEEEE10hipError_tT0_T1_T2_jT3_P12ihipStream_tbPNSt15iterator_traitsISI_E10value_typeEPNSO_ISJ_E10value_typeEPSK_NS1_7vsmem_tEENKUlT_SI_SJ_SK_E_clIPiSD_S10_SD_EESH_SX_SI_SJ_SK_EUlSX_E_NS1_11comp_targetILNS1_3genE8ELNS1_11target_archE1030ELNS1_3gpuE2ELNS1_3repE0EEENS1_48merge_mergepath_partition_config_static_selectorELNS0_4arch9wavefront6targetE1EEEvSJ_.num_named_barrier, 0
	.set _ZN7rocprim17ROCPRIM_400000_NS6detail17trampoline_kernelINS0_14default_configENS1_38merge_sort_block_merge_config_selectorIiiEEZZNS1_27merge_sort_block_merge_implIS3_N6thrust23THRUST_200600_302600_NS6detail15normal_iteratorINS8_10device_ptrIiEEEESD_jNS1_19radix_merge_compareILb1ELb1EiNS0_19identity_decomposerEEEEE10hipError_tT0_T1_T2_jT3_P12ihipStream_tbPNSt15iterator_traitsISI_E10value_typeEPNSO_ISJ_E10value_typeEPSK_NS1_7vsmem_tEENKUlT_SI_SJ_SK_E_clIPiSD_S10_SD_EESH_SX_SI_SJ_SK_EUlSX_E_NS1_11comp_targetILNS1_3genE8ELNS1_11target_archE1030ELNS1_3gpuE2ELNS1_3repE0EEENS1_48merge_mergepath_partition_config_static_selectorELNS0_4arch9wavefront6targetE1EEEvSJ_.private_seg_size, 0
	.set _ZN7rocprim17ROCPRIM_400000_NS6detail17trampoline_kernelINS0_14default_configENS1_38merge_sort_block_merge_config_selectorIiiEEZZNS1_27merge_sort_block_merge_implIS3_N6thrust23THRUST_200600_302600_NS6detail15normal_iteratorINS8_10device_ptrIiEEEESD_jNS1_19radix_merge_compareILb1ELb1EiNS0_19identity_decomposerEEEEE10hipError_tT0_T1_T2_jT3_P12ihipStream_tbPNSt15iterator_traitsISI_E10value_typeEPNSO_ISJ_E10value_typeEPSK_NS1_7vsmem_tEENKUlT_SI_SJ_SK_E_clIPiSD_S10_SD_EESH_SX_SI_SJ_SK_EUlSX_E_NS1_11comp_targetILNS1_3genE8ELNS1_11target_archE1030ELNS1_3gpuE2ELNS1_3repE0EEENS1_48merge_mergepath_partition_config_static_selectorELNS0_4arch9wavefront6targetE1EEEvSJ_.uses_vcc, 0
	.set _ZN7rocprim17ROCPRIM_400000_NS6detail17trampoline_kernelINS0_14default_configENS1_38merge_sort_block_merge_config_selectorIiiEEZZNS1_27merge_sort_block_merge_implIS3_N6thrust23THRUST_200600_302600_NS6detail15normal_iteratorINS8_10device_ptrIiEEEESD_jNS1_19radix_merge_compareILb1ELb1EiNS0_19identity_decomposerEEEEE10hipError_tT0_T1_T2_jT3_P12ihipStream_tbPNSt15iterator_traitsISI_E10value_typeEPNSO_ISJ_E10value_typeEPSK_NS1_7vsmem_tEENKUlT_SI_SJ_SK_E_clIPiSD_S10_SD_EESH_SX_SI_SJ_SK_EUlSX_E_NS1_11comp_targetILNS1_3genE8ELNS1_11target_archE1030ELNS1_3gpuE2ELNS1_3repE0EEENS1_48merge_mergepath_partition_config_static_selectorELNS0_4arch9wavefront6targetE1EEEvSJ_.uses_flat_scratch, 0
	.set _ZN7rocprim17ROCPRIM_400000_NS6detail17trampoline_kernelINS0_14default_configENS1_38merge_sort_block_merge_config_selectorIiiEEZZNS1_27merge_sort_block_merge_implIS3_N6thrust23THRUST_200600_302600_NS6detail15normal_iteratorINS8_10device_ptrIiEEEESD_jNS1_19radix_merge_compareILb1ELb1EiNS0_19identity_decomposerEEEEE10hipError_tT0_T1_T2_jT3_P12ihipStream_tbPNSt15iterator_traitsISI_E10value_typeEPNSO_ISJ_E10value_typeEPSK_NS1_7vsmem_tEENKUlT_SI_SJ_SK_E_clIPiSD_S10_SD_EESH_SX_SI_SJ_SK_EUlSX_E_NS1_11comp_targetILNS1_3genE8ELNS1_11target_archE1030ELNS1_3gpuE2ELNS1_3repE0EEENS1_48merge_mergepath_partition_config_static_selectorELNS0_4arch9wavefront6targetE1EEEvSJ_.has_dyn_sized_stack, 0
	.set _ZN7rocprim17ROCPRIM_400000_NS6detail17trampoline_kernelINS0_14default_configENS1_38merge_sort_block_merge_config_selectorIiiEEZZNS1_27merge_sort_block_merge_implIS3_N6thrust23THRUST_200600_302600_NS6detail15normal_iteratorINS8_10device_ptrIiEEEESD_jNS1_19radix_merge_compareILb1ELb1EiNS0_19identity_decomposerEEEEE10hipError_tT0_T1_T2_jT3_P12ihipStream_tbPNSt15iterator_traitsISI_E10value_typeEPNSO_ISJ_E10value_typeEPSK_NS1_7vsmem_tEENKUlT_SI_SJ_SK_E_clIPiSD_S10_SD_EESH_SX_SI_SJ_SK_EUlSX_E_NS1_11comp_targetILNS1_3genE8ELNS1_11target_archE1030ELNS1_3gpuE2ELNS1_3repE0EEENS1_48merge_mergepath_partition_config_static_selectorELNS0_4arch9wavefront6targetE1EEEvSJ_.has_recursion, 0
	.set _ZN7rocprim17ROCPRIM_400000_NS6detail17trampoline_kernelINS0_14default_configENS1_38merge_sort_block_merge_config_selectorIiiEEZZNS1_27merge_sort_block_merge_implIS3_N6thrust23THRUST_200600_302600_NS6detail15normal_iteratorINS8_10device_ptrIiEEEESD_jNS1_19radix_merge_compareILb1ELb1EiNS0_19identity_decomposerEEEEE10hipError_tT0_T1_T2_jT3_P12ihipStream_tbPNSt15iterator_traitsISI_E10value_typeEPNSO_ISJ_E10value_typeEPSK_NS1_7vsmem_tEENKUlT_SI_SJ_SK_E_clIPiSD_S10_SD_EESH_SX_SI_SJ_SK_EUlSX_E_NS1_11comp_targetILNS1_3genE8ELNS1_11target_archE1030ELNS1_3gpuE2ELNS1_3repE0EEENS1_48merge_mergepath_partition_config_static_selectorELNS0_4arch9wavefront6targetE1EEEvSJ_.has_indirect_call, 0
	.section	.AMDGPU.csdata,"",@progbits
; Kernel info:
; codeLenInByte = 0
; TotalNumSgprs: 6
; NumVgprs: 0
; NumAgprs: 0
; TotalNumVgprs: 0
; ScratchSize: 0
; MemoryBound: 0
; FloatMode: 240
; IeeeMode: 1
; LDSByteSize: 0 bytes/workgroup (compile time only)
; SGPRBlocks: 0
; VGPRBlocks: 0
; NumSGPRsForWavesPerEU: 6
; NumVGPRsForWavesPerEU: 1
; AccumOffset: 4
; Occupancy: 8
; WaveLimiterHint : 0
; COMPUTE_PGM_RSRC2:SCRATCH_EN: 0
; COMPUTE_PGM_RSRC2:USER_SGPR: 2
; COMPUTE_PGM_RSRC2:TRAP_HANDLER: 0
; COMPUTE_PGM_RSRC2:TGID_X_EN: 1
; COMPUTE_PGM_RSRC2:TGID_Y_EN: 0
; COMPUTE_PGM_RSRC2:TGID_Z_EN: 0
; COMPUTE_PGM_RSRC2:TIDIG_COMP_CNT: 0
; COMPUTE_PGM_RSRC3_GFX90A:ACCUM_OFFSET: 0
; COMPUTE_PGM_RSRC3_GFX90A:TG_SPLIT: 0
	.section	.text._ZN7rocprim17ROCPRIM_400000_NS6detail17trampoline_kernelINS0_14default_configENS1_38merge_sort_block_merge_config_selectorIiiEEZZNS1_27merge_sort_block_merge_implIS3_N6thrust23THRUST_200600_302600_NS6detail15normal_iteratorINS8_10device_ptrIiEEEESD_jNS1_19radix_merge_compareILb1ELb1EiNS0_19identity_decomposerEEEEE10hipError_tT0_T1_T2_jT3_P12ihipStream_tbPNSt15iterator_traitsISI_E10value_typeEPNSO_ISJ_E10value_typeEPSK_NS1_7vsmem_tEENKUlT_SI_SJ_SK_E_clIPiSD_S10_SD_EESH_SX_SI_SJ_SK_EUlSX_E0_NS1_11comp_targetILNS1_3genE0ELNS1_11target_archE4294967295ELNS1_3gpuE0ELNS1_3repE0EEENS1_38merge_mergepath_config_static_selectorELNS0_4arch9wavefront6targetE1EEEvSJ_,"axG",@progbits,_ZN7rocprim17ROCPRIM_400000_NS6detail17trampoline_kernelINS0_14default_configENS1_38merge_sort_block_merge_config_selectorIiiEEZZNS1_27merge_sort_block_merge_implIS3_N6thrust23THRUST_200600_302600_NS6detail15normal_iteratorINS8_10device_ptrIiEEEESD_jNS1_19radix_merge_compareILb1ELb1EiNS0_19identity_decomposerEEEEE10hipError_tT0_T1_T2_jT3_P12ihipStream_tbPNSt15iterator_traitsISI_E10value_typeEPNSO_ISJ_E10value_typeEPSK_NS1_7vsmem_tEENKUlT_SI_SJ_SK_E_clIPiSD_S10_SD_EESH_SX_SI_SJ_SK_EUlSX_E0_NS1_11comp_targetILNS1_3genE0ELNS1_11target_archE4294967295ELNS1_3gpuE0ELNS1_3repE0EEENS1_38merge_mergepath_config_static_selectorELNS0_4arch9wavefront6targetE1EEEvSJ_,comdat
	.protected	_ZN7rocprim17ROCPRIM_400000_NS6detail17trampoline_kernelINS0_14default_configENS1_38merge_sort_block_merge_config_selectorIiiEEZZNS1_27merge_sort_block_merge_implIS3_N6thrust23THRUST_200600_302600_NS6detail15normal_iteratorINS8_10device_ptrIiEEEESD_jNS1_19radix_merge_compareILb1ELb1EiNS0_19identity_decomposerEEEEE10hipError_tT0_T1_T2_jT3_P12ihipStream_tbPNSt15iterator_traitsISI_E10value_typeEPNSO_ISJ_E10value_typeEPSK_NS1_7vsmem_tEENKUlT_SI_SJ_SK_E_clIPiSD_S10_SD_EESH_SX_SI_SJ_SK_EUlSX_E0_NS1_11comp_targetILNS1_3genE0ELNS1_11target_archE4294967295ELNS1_3gpuE0ELNS1_3repE0EEENS1_38merge_mergepath_config_static_selectorELNS0_4arch9wavefront6targetE1EEEvSJ_ ; -- Begin function _ZN7rocprim17ROCPRIM_400000_NS6detail17trampoline_kernelINS0_14default_configENS1_38merge_sort_block_merge_config_selectorIiiEEZZNS1_27merge_sort_block_merge_implIS3_N6thrust23THRUST_200600_302600_NS6detail15normal_iteratorINS8_10device_ptrIiEEEESD_jNS1_19radix_merge_compareILb1ELb1EiNS0_19identity_decomposerEEEEE10hipError_tT0_T1_T2_jT3_P12ihipStream_tbPNSt15iterator_traitsISI_E10value_typeEPNSO_ISJ_E10value_typeEPSK_NS1_7vsmem_tEENKUlT_SI_SJ_SK_E_clIPiSD_S10_SD_EESH_SX_SI_SJ_SK_EUlSX_E0_NS1_11comp_targetILNS1_3genE0ELNS1_11target_archE4294967295ELNS1_3gpuE0ELNS1_3repE0EEENS1_38merge_mergepath_config_static_selectorELNS0_4arch9wavefront6targetE1EEEvSJ_
	.globl	_ZN7rocprim17ROCPRIM_400000_NS6detail17trampoline_kernelINS0_14default_configENS1_38merge_sort_block_merge_config_selectorIiiEEZZNS1_27merge_sort_block_merge_implIS3_N6thrust23THRUST_200600_302600_NS6detail15normal_iteratorINS8_10device_ptrIiEEEESD_jNS1_19radix_merge_compareILb1ELb1EiNS0_19identity_decomposerEEEEE10hipError_tT0_T1_T2_jT3_P12ihipStream_tbPNSt15iterator_traitsISI_E10value_typeEPNSO_ISJ_E10value_typeEPSK_NS1_7vsmem_tEENKUlT_SI_SJ_SK_E_clIPiSD_S10_SD_EESH_SX_SI_SJ_SK_EUlSX_E0_NS1_11comp_targetILNS1_3genE0ELNS1_11target_archE4294967295ELNS1_3gpuE0ELNS1_3repE0EEENS1_38merge_mergepath_config_static_selectorELNS0_4arch9wavefront6targetE1EEEvSJ_
	.p2align	8
	.type	_ZN7rocprim17ROCPRIM_400000_NS6detail17trampoline_kernelINS0_14default_configENS1_38merge_sort_block_merge_config_selectorIiiEEZZNS1_27merge_sort_block_merge_implIS3_N6thrust23THRUST_200600_302600_NS6detail15normal_iteratorINS8_10device_ptrIiEEEESD_jNS1_19radix_merge_compareILb1ELb1EiNS0_19identity_decomposerEEEEE10hipError_tT0_T1_T2_jT3_P12ihipStream_tbPNSt15iterator_traitsISI_E10value_typeEPNSO_ISJ_E10value_typeEPSK_NS1_7vsmem_tEENKUlT_SI_SJ_SK_E_clIPiSD_S10_SD_EESH_SX_SI_SJ_SK_EUlSX_E0_NS1_11comp_targetILNS1_3genE0ELNS1_11target_archE4294967295ELNS1_3gpuE0ELNS1_3repE0EEENS1_38merge_mergepath_config_static_selectorELNS0_4arch9wavefront6targetE1EEEvSJ_,@function
_ZN7rocprim17ROCPRIM_400000_NS6detail17trampoline_kernelINS0_14default_configENS1_38merge_sort_block_merge_config_selectorIiiEEZZNS1_27merge_sort_block_merge_implIS3_N6thrust23THRUST_200600_302600_NS6detail15normal_iteratorINS8_10device_ptrIiEEEESD_jNS1_19radix_merge_compareILb1ELb1EiNS0_19identity_decomposerEEEEE10hipError_tT0_T1_T2_jT3_P12ihipStream_tbPNSt15iterator_traitsISI_E10value_typeEPNSO_ISJ_E10value_typeEPSK_NS1_7vsmem_tEENKUlT_SI_SJ_SK_E_clIPiSD_S10_SD_EESH_SX_SI_SJ_SK_EUlSX_E0_NS1_11comp_targetILNS1_3genE0ELNS1_11target_archE4294967295ELNS1_3gpuE0ELNS1_3repE0EEENS1_38merge_mergepath_config_static_selectorELNS0_4arch9wavefront6targetE1EEEvSJ_: ; @_ZN7rocprim17ROCPRIM_400000_NS6detail17trampoline_kernelINS0_14default_configENS1_38merge_sort_block_merge_config_selectorIiiEEZZNS1_27merge_sort_block_merge_implIS3_N6thrust23THRUST_200600_302600_NS6detail15normal_iteratorINS8_10device_ptrIiEEEESD_jNS1_19radix_merge_compareILb1ELb1EiNS0_19identity_decomposerEEEEE10hipError_tT0_T1_T2_jT3_P12ihipStream_tbPNSt15iterator_traitsISI_E10value_typeEPNSO_ISJ_E10value_typeEPSK_NS1_7vsmem_tEENKUlT_SI_SJ_SK_E_clIPiSD_S10_SD_EESH_SX_SI_SJ_SK_EUlSX_E0_NS1_11comp_targetILNS1_3genE0ELNS1_11target_archE4294967295ELNS1_3gpuE0ELNS1_3repE0EEENS1_38merge_mergepath_config_static_selectorELNS0_4arch9wavefront6targetE1EEEvSJ_
; %bb.0:
	s_load_dwordx2 s[28:29], s[0:1], 0x40
	s_load_dwordx2 s[16:17], s[0:1], 0x30
	s_add_u32 s24, s0, 64
	s_addc_u32 s25, s1, 0
	s_waitcnt lgkmcnt(0)
	s_mul_i32 s4, s29, s4
	s_add_i32 s3, s4, s3
	s_mul_i32 s3, s3, s28
	s_add_i32 s26, s3, s2
	s_cmp_ge_u32 s26, s16
	s_cbranch_scc1 .LBB1779_46
; %bb.1:
	s_load_dwordx8 s[8:15], s[0:1], 0x10
	s_load_dwordx2 s[20:21], s[0:1], 0x8
	s_load_dwordx2 s[4:5], s[0:1], 0x38
	s_mov_b32 s27, 0
	s_mov_b32 s23, s27
	s_waitcnt lgkmcnt(0)
	s_lshr_b32 s30, s14, 10
	s_cmp_lg_u32 s26, s30
	s_cselect_b64 s[18:19], -1, 0
	s_lshl_b64 s[0:1], s[26:27], 2
	s_add_u32 s0, s4, s0
	s_addc_u32 s1, s5, s1
	s_load_dwordx2 s[4:5], s[0:1], 0x0
	s_lshr_b32 s0, s15, 9
	s_and_b32 s0, s0, 0x7ffffe
	s_sub_i32 s0, 0, s0
	s_and_b32 s1, s26, s0
	s_lshl_b32 s3, s1, 10
	s_lshl_b32 s16, s26, 10
	;; [unrolled: 1-line block ×3, first 2 shown]
	s_sub_i32 s6, s16, s3
	s_add_i32 s1, s1, s15
	s_add_i32 s6, s1, s6
	s_waitcnt lgkmcnt(0)
	s_sub_i32 s7, s6, s4
	s_sub_i32 s6, s6, s5
	;; [unrolled: 1-line block ×3, first 2 shown]
	s_min_u32 s22, s14, s7
	s_addk_i32 s6, 0x400
	s_or_b32 s0, s26, s0
	s_min_u32 s3, s14, s1
	s_add_i32 s1, s1, s15
	s_cmp_eq_u32 s0, -1
	s_cselect_b32 s0, s1, s6
	s_cselect_b32 s1, s3, s5
	s_mov_b32 s5, s27
	s_min_u32 s29, s0, s14
	s_sub_i32 s15, s1, s4
	s_lshl_b64 s[0:1], s[4:5], 2
	s_add_u32 s6, s20, s0
	s_addc_u32 s7, s21, s1
	s_lshl_b64 s[4:5], s[22:23], 2
	s_add_u32 s20, s20, s4
	s_addc_u32 s21, s21, s5
	s_cmp_lt_u32 s2, s28
	v_mov_b32_e32 v11, 0
	s_cselect_b32 s2, 12, 18
	global_load_dword v1, v11, s[24:25] offset:14
	s_add_u32 s2, s24, s2
	s_addc_u32 s3, s25, 0
	global_load_ushort v2, v11, s[2:3]
	s_cmp_eq_u32 s26, s30
	v_lshlrev_b32_e32 v10, 2, v0
	s_waitcnt vmcnt(1)
	v_lshrrev_b32_e32 v3, 16, v1
	v_and_b32_e32 v1, 0xffff, v1
	v_mul_lo_u32 v1, v1, v3
	s_waitcnt vmcnt(0)
	v_mul_lo_u32 v1, v1, v2
	v_add_u32_e32 v14, v1, v0
	v_add_u32_e32 v12, v14, v1
	s_cbranch_scc1 .LBB1779_3
; %bb.2:
	v_subrev_co_u32_e32 v4, vcc, s15, v0
	v_mov_b32_e32 v5, v11
	v_lshl_add_u64 v[2:3], s[6:7], 0, v[10:11]
	v_lshl_add_u64 v[4:5], v[4:5], 2, s[20:21]
	v_cndmask_b32_e32 v3, v5, v3, vcc
	v_cndmask_b32_e32 v2, v4, v2, vcc
	global_load_dword v2, v[2:3], off
	v_mov_b32_e32 v15, v11
	v_subrev_co_u32_e32 v6, vcc, s15, v14
	v_mov_b32_e32 v7, v11
	v_lshl_add_u64 v[4:5], v[14:15], 2, s[6:7]
	v_lshl_add_u64 v[6:7], v[6:7], 2, s[20:21]
	v_cndmask_b32_e32 v5, v7, v5, vcc
	v_cndmask_b32_e32 v4, v6, v4, vcc
	v_mov_b32_e32 v13, v11
	v_subrev_co_u32_e32 v6, vcc, s15, v12
	v_mov_b32_e32 v7, v11
	global_load_dword v3, v[4:5], off
	v_lshl_add_u64 v[4:5], v[12:13], 2, s[6:7]
	v_lshl_add_u64 v[6:7], v[6:7], 2, s[20:21]
	v_cndmask_b32_e32 v5, v7, v5, vcc
	v_cndmask_b32_e32 v4, v6, v4, vcc
	global_load_dword v4, v[4:5], off
	v_add_u32_e32 v6, v12, v1
	s_mov_b64 s[2:3], -1
	s_sub_i32 s24, s29, s22
	s_cbranch_execz .LBB1779_4
	s_branch .LBB1779_9
.LBB1779_3:
	s_mov_b64 s[2:3], 0
                                        ; implicit-def: $vgpr6
                                        ; implicit-def: $vgpr2_vgpr3_vgpr4_vgpr5
	s_sub_i32 s24, s29, s22
.LBB1779_4:
	s_add_i32 s22, s24, s15
	s_waitcnt vmcnt(2)
	v_mov_b32_e32 v2, 0
	v_cmp_gt_u32_e32 vcc, s22, v0
	s_waitcnt vmcnt(1)
	v_mov_b32_e32 v3, v2
	s_waitcnt vmcnt(0)
	v_mov_b32_e32 v4, v2
	v_mov_b32_e32 v5, v2
	s_and_saveexec_b64 s[2:3], vcc
	s_cbranch_execnz .LBB1779_47
; %bb.5:
	s_or_b64 exec, exec, s[2:3]
	v_cmp_gt_u32_e32 vcc, s22, v14
	s_and_saveexec_b64 s[2:3], vcc
	s_cbranch_execnz .LBB1779_48
.LBB1779_6:
	s_or_b64 exec, exec, s[2:3]
	v_cmp_gt_u32_e32 vcc, s22, v12
	s_and_saveexec_b64 s[2:3], vcc
	s_cbranch_execz .LBB1779_8
.LBB1779_7:
	v_mov_b32_e32 v13, 0
	v_subrev_co_u32_e32 v8, vcc, s15, v12
	v_mov_b32_e32 v9, v13
	v_lshl_add_u64 v[6:7], v[12:13], 2, s[6:7]
	v_lshl_add_u64 v[8:9], v[8:9], 2, s[20:21]
	v_cndmask_b32_e32 v7, v9, v7, vcc
	v_cndmask_b32_e32 v6, v8, v6, vcc
	global_load_dword v4, v[6:7], off
.LBB1779_8:
	s_or_b64 exec, exec, s[2:3]
	v_add_u32_e32 v6, v12, v1
	v_cmp_gt_u32_e64 s[2:3], s22, v6
.LBB1779_9:
	s_and_saveexec_b64 s[22:23], s[2:3]
	s_cbranch_execz .LBB1779_11
; %bb.10:
	v_mov_b32_e32 v7, 0
	v_lshl_add_u64 v[8:9], v[6:7], 2, s[6:7]
	v_subrev_co_u32_e32 v6, vcc, s15, v6
	v_lshl_add_u64 v[6:7], v[6:7], 2, s[20:21]
	s_nop 0
	v_cndmask_b32_e32 v7, v7, v9, vcc
	v_cndmask_b32_e32 v6, v6, v8, vcc
	global_load_dword v5, v[6:7], off
.LBB1779_11:
	s_or_b64 exec, exec, s[22:23]
	s_add_u32 s0, s10, s0
	s_addc_u32 s1, s11, s1
	s_add_u32 s2, s10, s4
	v_mov_b32_e32 v11, 0
	s_addc_u32 s3, s11, s5
	s_andn2_b64 vcc, exec, s[18:19]
	s_waitcnt vmcnt(0)
	ds_write2st64_b32 v10, v2, v3 offset1:4
	ds_write2st64_b32 v10, v4, v5 offset0:8 offset1:12
	s_cbranch_vccnz .LBB1779_13
; %bb.12:
	v_subrev_co_u32_e32 v8, vcc, s15, v0
	v_mov_b32_e32 v9, v11
	v_lshl_add_u64 v[6:7], s[0:1], 0, v[10:11]
	v_lshl_add_u64 v[8:9], v[8:9], 2, s[2:3]
	v_cndmask_b32_e32 v7, v9, v7, vcc
	v_cndmask_b32_e32 v6, v8, v6, vcc
	v_mov_b32_e32 v15, v11
	v_subrev_co_u32_e32 v16, vcc, s15, v14
	v_mov_b32_e32 v17, v11
	v_lshl_add_u64 v[8:9], v[14:15], 2, s[0:1]
	v_lshl_add_u64 v[16:17], v[16:17], 2, s[2:3]
	v_cndmask_b32_e32 v9, v17, v9, vcc
	v_cndmask_b32_e32 v8, v16, v8, vcc
	v_mov_b32_e32 v13, v11
	v_subrev_co_u32_e32 v16, vcc, s15, v12
	v_mov_b32_e32 v17, v11
	global_load_dword v6, v[6:7], off
	v_lshl_add_u64 v[16:17], v[16:17], 2, s[2:3]
	global_load_dword v7, v[8:9], off
	v_lshl_add_u64 v[8:9], v[12:13], 2, s[0:1]
	v_cndmask_b32_e32 v9, v17, v9, vcc
	v_cndmask_b32_e32 v8, v16, v8, vcc
	v_add_u32_e32 v16, v12, v1
	v_mov_b32_e32 v17, v11
	v_lshl_add_u64 v[18:19], v[16:17], 2, s[0:1]
	v_subrev_co_u32_e32 v16, vcc, s15, v16
	v_lshl_add_u64 v[16:17], v[16:17], 2, s[2:3]
	s_nop 0
	v_cndmask_b32_e32 v17, v17, v19, vcc
	v_cndmask_b32_e32 v16, v16, v18, vcc
	global_load_dword v8, v[8:9], off
	s_add_i32 s20, s24, s15
	global_load_dword v9, v[16:17], off
	s_cbranch_execz .LBB1779_14
	s_branch .LBB1779_21
.LBB1779_13:
                                        ; implicit-def: $vgpr6_vgpr7_vgpr8_vgpr9
                                        ; implicit-def: $sgpr20
.LBB1779_14:
	s_add_i32 s20, s24, s15
	s_waitcnt vmcnt(3)
	v_mov_b32_e32 v6, 0
	v_cmp_gt_u32_e32 vcc, s20, v0
	s_waitcnt vmcnt(2)
	v_mov_b32_e32 v7, v6
	s_waitcnt vmcnt(1)
	v_mov_b32_e32 v8, v6
	;; [unrolled: 2-line block ×3, first 2 shown]
	s_and_saveexec_b64 s[4:5], vcc
	s_cbranch_execnz .LBB1779_49
; %bb.15:
	s_or_b64 exec, exec, s[4:5]
	v_cmp_gt_u32_e32 vcc, s20, v14
	s_and_saveexec_b64 s[4:5], vcc
	s_cbranch_execnz .LBB1779_50
.LBB1779_16:
	s_or_b64 exec, exec, s[4:5]
	v_cmp_gt_u32_e32 vcc, s20, v12
	s_and_saveexec_b64 s[4:5], vcc
	s_cbranch_execz .LBB1779_18
.LBB1779_17:
	v_mov_b32_e32 v13, 0
	v_subrev_co_u32_e32 v16, vcc, s15, v12
	v_mov_b32_e32 v17, v13
	v_lshl_add_u64 v[14:15], v[12:13], 2, s[0:1]
	v_lshl_add_u64 v[16:17], v[16:17], 2, s[2:3]
	v_cndmask_b32_e32 v15, v17, v15, vcc
	v_cndmask_b32_e32 v14, v16, v14, vcc
	global_load_dword v8, v[14:15], off
.LBB1779_18:
	s_or_b64 exec, exec, s[4:5]
	v_add_u32_e32 v12, v12, v1
	v_cmp_gt_u32_e32 vcc, s20, v12
	s_and_saveexec_b64 s[4:5], vcc
	s_cbranch_execz .LBB1779_20
; %bb.19:
	v_mov_b32_e32 v13, 0
	v_lshl_add_u64 v[14:15], v[12:13], 2, s[0:1]
	v_subrev_co_u32_e32 v12, vcc, s15, v12
	v_lshl_add_u64 v[12:13], v[12:13], 2, s[2:3]
	s_nop 0
	v_cndmask_b32_e32 v13, v13, v15, vcc
	v_cndmask_b32_e32 v12, v12, v14, vcc
	global_load_dword v9, v[12:13], off
.LBB1779_20:
	s_or_b64 exec, exec, s[4:5]
.LBB1779_21:
	v_min_u32_e32 v11, s20, v10
	v_sub_u32_e64 v1, v11, s24 clamp
	v_min_u32_e32 v12, s15, v11
	v_cmp_lt_u32_e32 vcc, v1, v12
	s_waitcnt lgkmcnt(0)
	s_barrier
	s_and_saveexec_b64 s[0:1], vcc
	s_cbranch_execz .LBB1779_25
; %bb.22:
	v_lshlrev_b32_e32 v13, 2, v11
	v_lshl_add_u32 v13, s15, 2, v13
	s_mov_b64 s[2:3], 0
.LBB1779_23:                            ; =>This Inner Loop Header: Depth=1
	v_add_u32_e32 v14, v12, v1
	v_lshrrev_b32_e32 v14, 1, v14
	v_not_b32_e32 v15, v14
	v_lshlrev_b32_e32 v16, 2, v14
	v_lshl_add_u32 v15, v15, 2, v13
	ds_read_b32 v16, v16
	ds_read_b32 v15, v15
	v_add_u32_e32 v17, 1, v14
	s_waitcnt lgkmcnt(1)
	v_and_b32_e32 v16, s17, v16
	s_waitcnt lgkmcnt(0)
	v_and_b32_e32 v15, s17, v15
	v_cmp_gt_i32_e32 vcc, v15, v16
	s_nop 1
	v_cndmask_b32_e32 v12, v12, v14, vcc
	v_cndmask_b32_e32 v1, v17, v1, vcc
	v_cmp_ge_u32_e32 vcc, v1, v12
	s_or_b64 s[2:3], vcc, s[2:3]
	s_andn2_b64 exec, exec, s[2:3]
	s_cbranch_execnz .LBB1779_23
; %bb.24:
	s_or_b64 exec, exec, s[2:3]
.LBB1779_25:
	s_or_b64 exec, exec, s[0:1]
	v_sub_u32_e32 v11, v11, v1
	v_add_u32_e32 v14, s15, v11
	v_cmp_ge_u32_e32 vcc, s15, v1
	v_cmp_ge_u32_e64 s[0:1], s20, v14
	s_or_b64 s[0:1], vcc, s[0:1]
	v_mov_b32_e32 v15, 0
	v_mov_b32_e32 v13, 0
	;; [unrolled: 1-line block ×4, first 2 shown]
	s_and_saveexec_b64 s[10:11], s[0:1]
	s_cbranch_execz .LBB1779_31
; %bb.26:
	v_cmp_gt_u32_e32 vcc, s15, v1
                                        ; implicit-def: $vgpr2
	s_and_saveexec_b64 s[0:1], vcc
; %bb.27:
	v_lshlrev_b32_e32 v2, 2, v1
	ds_read_b32 v2, v2
; %bb.28:
	s_or_b64 exec, exec, s[0:1]
	v_cmp_le_u32_e64 s[0:1], s20, v14
	v_cmp_gt_u32_e64 s[2:3], s20, v14
                                        ; implicit-def: $vgpr3
	s_and_saveexec_b64 s[4:5], s[2:3]
; %bb.29:
	v_lshlrev_b32_e32 v3, 2, v14
	ds_read_b32 v3, v3
; %bb.30:
	s_or_b64 exec, exec, s[4:5]
	s_waitcnt lgkmcnt(0)
	v_and_b32_e32 v4, s17, v3
	v_and_b32_e32 v5, s17, v2
	v_cmp_le_i32_e64 s[2:3], v4, v5
	s_and_b64 s[2:3], vcc, s[2:3]
	s_or_b64 vcc, s[0:1], s[2:3]
	v_mov_b32_e32 v4, s20
	v_mov_b32_e32 v5, s15
	v_cndmask_b32_e32 v11, v14, v1, vcc
	v_cndmask_b32_e32 v12, v4, v5, vcc
	v_add_u32_e32 v13, 1, v11
	v_add_u32_e32 v12, -1, v12
	v_min_u32_e32 v12, v13, v12
	v_lshlrev_b32_e32 v12, 2, v12
	ds_read_b32 v12, v12
	v_cndmask_b32_e32 v14, v13, v14, vcc
	v_cndmask_b32_e32 v1, v1, v13, vcc
	v_cmp_gt_u32_e64 s[2:3], s15, v1
	v_cmp_le_u32_e64 s[0:1], s20, v14
	s_waitcnt lgkmcnt(0)
	v_cndmask_b32_e32 v15, v12, v3, vcc
	v_cndmask_b32_e32 v16, v2, v12, vcc
	v_and_b32_e32 v12, s17, v15
	v_and_b32_e32 v13, s17, v16
	v_cmp_le_i32_e64 s[4:5], v12, v13
	s_and_b64 s[2:3], s[2:3], s[4:5]
	s_or_b64 s[0:1], s[0:1], s[2:3]
	v_cndmask_b32_e64 v12, v14, v1, s[0:1]
	v_cndmask_b32_e64 v13, v4, v5, s[0:1]
	v_add_u32_e32 v17, 1, v12
	v_add_u32_e32 v13, -1, v13
	v_min_u32_e32 v13, v17, v13
	v_lshlrev_b32_e32 v13, 2, v13
	ds_read_b32 v13, v13
	v_cndmask_b32_e64 v14, v17, v14, s[0:1]
	v_cndmask_b32_e64 v1, v1, v17, s[0:1]
	v_cmp_gt_u32_e64 s[4:5], s15, v1
	v_cmp_le_u32_e64 s[2:3], s20, v14
	s_waitcnt lgkmcnt(0)
	v_cndmask_b32_e64 v18, v13, v15, s[0:1]
	v_cndmask_b32_e64 v19, v16, v13, s[0:1]
	v_and_b32_e32 v13, s17, v18
	v_and_b32_e32 v17, s17, v19
	v_cmp_le_i32_e64 s[6:7], v13, v17
	s_and_b64 s[4:5], s[4:5], s[6:7]
	s_or_b64 s[2:3], s[2:3], s[4:5]
	v_cndmask_b32_e64 v13, v14, v1, s[2:3]
	v_cndmask_b32_e64 v4, v4, v5, s[2:3]
	v_add_u32_e32 v5, 1, v13
	v_add_u32_e32 v4, -1, v4
	v_min_u32_e32 v4, v5, v4
	v_lshlrev_b32_e32 v4, 2, v4
	ds_read_b32 v17, v4
	v_cndmask_b32_e32 v2, v3, v2, vcc
	v_cndmask_b32_e64 v3, v15, v16, s[0:1]
	v_cndmask_b32_e64 v14, v5, v14, s[2:3]
	;; [unrolled: 1-line block ×3, first 2 shown]
	s_waitcnt lgkmcnt(0)
	v_cndmask_b32_e64 v16, v17, v18, s[2:3]
	v_cndmask_b32_e64 v17, v19, v17, s[2:3]
	v_and_b32_e32 v5, s17, v16
	v_and_b32_e32 v15, s17, v17
	v_cndmask_b32_e64 v4, v18, v19, s[2:3]
	v_cmp_gt_u32_e64 s[0:1], s15, v1
	v_cmp_le_i32_e64 s[2:3], v5, v15
	v_cmp_le_u32_e32 vcc, s20, v14
	s_and_b64 s[0:1], s[0:1], s[2:3]
	s_or_b64 vcc, vcc, s[0:1]
	v_cndmask_b32_e32 v15, v14, v1, vcc
	v_cndmask_b32_e32 v5, v16, v17, vcc
.LBB1779_31:
	s_or_b64 exec, exec, s[10:11]
	s_barrier
	s_waitcnt vmcnt(0)
	ds_write2st64_b32 v10, v6, v7 offset1:4
	ds_write2st64_b32 v10, v8, v9 offset0:8 offset1:12
	v_lshlrev_b32_e32 v1, 2, v11
	v_lshrrev_b32_e32 v11, 3, v0
	v_lshlrev_b32_e32 v9, 2, v10
	v_lshlrev_b32_e32 v6, 2, v12
	v_lshlrev_b32_e32 v7, 2, v13
	v_lshlrev_b32_e32 v8, 2, v15
	v_lshl_add_u32 v9, v11, 2, v9
	s_waitcnt lgkmcnt(0)
	s_barrier
	ds_read_b32 v1, v1
	ds_read_b32 v6, v6
	;; [unrolled: 1-line block ×4, first 2 shown]
	s_waitcnt lgkmcnt(0)
	s_barrier
	s_barrier
	ds_write2_b32 v9, v2, v3 offset1:1
	ds_write2_b32 v9, v4, v5 offset0:2 offset1:3
	v_and_b32_e32 v2, 28, v11
	v_or_b32_e32 v16, 0x100, v0
	v_add_u32_e32 v4, v2, v10
	v_lshrrev_b32_e32 v2, 3, v16
	v_and_b32_e32 v2, 60, v2
	v_or_b32_e32 v15, 0x200, v0
	s_mov_b32 s17, 0
	v_add_u32_e32 v5, v2, v10
	v_lshrrev_b32_e32 v2, 3, v15
	s_lshl_b64 s[4:5], s[16:17], 2
	v_and_b32_e32 v2, 0x5c, v2
	v_or_b32_e32 v14, 0x300, v0
	s_add_u32 s0, s8, s4
	v_add_u32_e32 v12, v2, v10
	v_lshrrev_b32_e32 v2, 3, v14
	s_addc_u32 s1, s9, s5
	v_and_b32_e32 v2, 0x7c, v2
	v_mov_b32_e32 v11, 0
	v_add_u32_e32 v13, v2, v10
	v_lshl_add_u64 v[2:3], s[0:1], 0, v[10:11]
	s_and_b64 vcc, exec, s[18:19]
	s_waitcnt lgkmcnt(0)
	s_cbranch_vccz .LBB1779_33
; %bb.32:
	s_barrier
	ds_read_b32 v11, v4
	ds_read_b32 v17, v5 offset:1024
	ds_read_b32 v18, v12 offset:2048
	;; [unrolled: 1-line block ×3, first 2 shown]
	s_add_u32 s0, s12, s4
	s_addc_u32 s1, s13, s5
	s_waitcnt lgkmcnt(3)
	global_store_dword v[2:3], v11, off
	s_waitcnt lgkmcnt(2)
	global_store_dword v[2:3], v17, off offset:1024
	s_waitcnt lgkmcnt(1)
	global_store_dword v[2:3], v18, off offset:2048
	;; [unrolled: 2-line block ×3, first 2 shown]
	s_barrier
	ds_write2_b32 v9, v1, v6 offset1:1
	ds_write2_b32 v9, v7, v8 offset0:2 offset1:3
	s_waitcnt lgkmcnt(0)
	s_barrier
	ds_read_b32 v11, v4
	ds_read_b32 v18, v5 offset:1024
	ds_read_b32 v19, v12 offset:2048
	;; [unrolled: 1-line block ×3, first 2 shown]
	s_waitcnt lgkmcnt(3)
	global_store_dword v10, v11, s[0:1]
	s_waitcnt lgkmcnt(2)
	global_store_dword v10, v18, s[0:1] offset:1024
	s_waitcnt lgkmcnt(1)
	global_store_dword v10, v19, s[0:1] offset:2048
	s_mov_b64 s[6:7], -1
	s_cbranch_execz .LBB1779_34
	s_branch .LBB1779_44
.LBB1779_33:
	s_mov_b64 s[6:7], 0
                                        ; implicit-def: $vgpr17
.LBB1779_34:
	s_barrier
	s_waitcnt lgkmcnt(0)
	ds_read_b32 v18, v5 offset:1024
	ds_read_b32 v17, v12 offset:2048
	;; [unrolled: 1-line block ×3, first 2 shown]
	s_sub_i32 s8, s14, s16
	v_cmp_gt_u32_e32 vcc, s8, v0
	s_and_saveexec_b64 s[0:1], vcc
	s_cbranch_execnz .LBB1779_51
; %bb.35:
	s_or_b64 exec, exec, s[0:1]
	v_cmp_gt_u32_e64 s[0:1], s8, v16
	s_and_saveexec_b64 s[2:3], s[0:1]
	s_cbranch_execnz .LBB1779_52
.LBB1779_36:
	s_or_b64 exec, exec, s[2:3]
	v_cmp_gt_u32_e64 s[2:3], s8, v15
	s_and_saveexec_b64 s[6:7], s[2:3]
	s_cbranch_execnz .LBB1779_53
.LBB1779_37:
	s_or_b64 exec, exec, s[6:7]
	v_cmp_gt_u32_e64 s[6:7], s8, v14
	s_and_saveexec_b64 s[8:9], s[6:7]
	s_cbranch_execz .LBB1779_39
.LBB1779_38:
	s_waitcnt lgkmcnt(0)
	global_store_dword v[2:3], v11, off offset:3072
.LBB1779_39:
	s_or_b64 exec, exec, s[8:9]
	s_waitcnt lgkmcnt(0)
	s_barrier
	ds_write2_b32 v9, v1, v6 offset1:1
	ds_write2_b32 v9, v7, v8 offset0:2 offset1:3
	s_waitcnt lgkmcnt(0)
	s_barrier
	ds_read_b32 v3, v5 offset:1024
	ds_read_b32 v2, v12 offset:2048
	;; [unrolled: 1-line block ×3, first 2 shown]
	s_add_u32 s8, s12, s4
	s_addc_u32 s9, s13, s5
	v_mov_b32_e32 v11, 0
	v_lshl_add_u64 v[0:1], s[8:9], 0, v[10:11]
	s_and_saveexec_b64 s[8:9], vcc
	s_cbranch_execnz .LBB1779_54
; %bb.40:
	s_or_b64 exec, exec, s[8:9]
	s_and_saveexec_b64 s[8:9], s[0:1]
	s_cbranch_execnz .LBB1779_55
.LBB1779_41:
	s_or_b64 exec, exec, s[8:9]
	s_and_saveexec_b64 s[0:1], s[2:3]
	s_cbranch_execz .LBB1779_43
.LBB1779_42:
	s_waitcnt lgkmcnt(1)
	global_store_dword v[0:1], v2, off offset:2048
.LBB1779_43:
	s_or_b64 exec, exec, s[0:1]
.LBB1779_44:
	s_and_saveexec_b64 s[0:1], s[6:7]
	s_cbranch_execz .LBB1779_46
; %bb.45:
	s_add_u32 s0, s12, s4
	s_addc_u32 s1, s13, s5
	s_waitcnt lgkmcnt(0)
	global_store_dword v10, v17, s[0:1] offset:3072
.LBB1779_46:
	s_endpgm
.LBB1779_47:
	v_mov_b32_e32 v11, v2
	v_subrev_co_u32_e32 v6, vcc, s15, v0
	v_mov_b32_e32 v7, v2
	v_lshl_add_u64 v[4:5], s[6:7], 0, v[10:11]
	v_lshl_add_u64 v[6:7], v[6:7], 2, s[20:21]
	v_cndmask_b32_e32 v5, v7, v5, vcc
	v_cndmask_b32_e32 v4, v6, v4, vcc
	global_load_dword v4, v[4:5], off
	v_mov_b32_e32 v5, v2
	v_mov_b32_e32 v6, v2
	;; [unrolled: 1-line block ×3, first 2 shown]
	s_waitcnt vmcnt(0)
	v_mov_b64_e32 v[2:3], v[4:5]
	v_mov_b64_e32 v[4:5], v[6:7]
	s_or_b64 exec, exec, s[2:3]
	v_cmp_gt_u32_e32 vcc, s22, v14
	s_and_saveexec_b64 s[2:3], vcc
	s_cbranch_execz .LBB1779_6
.LBB1779_48:
	v_mov_b32_e32 v15, 0
	v_subrev_co_u32_e32 v8, vcc, s15, v14
	v_mov_b32_e32 v9, v15
	v_lshl_add_u64 v[6:7], v[14:15], 2, s[6:7]
	v_lshl_add_u64 v[8:9], v[8:9], 2, s[20:21]
	v_cndmask_b32_e32 v7, v9, v7, vcc
	v_cndmask_b32_e32 v6, v8, v6, vcc
	global_load_dword v3, v[6:7], off
	s_or_b64 exec, exec, s[2:3]
	v_cmp_gt_u32_e32 vcc, s22, v12
	s_and_saveexec_b64 s[2:3], vcc
	s_cbranch_execnz .LBB1779_7
	s_branch .LBB1779_8
.LBB1779_49:
	v_mov_b32_e32 v11, v6
	v_subrev_co_u32_e32 v16, vcc, s15, v0
	v_mov_b32_e32 v17, v6
	v_lshl_add_u64 v[8:9], s[0:1], 0, v[10:11]
	v_lshl_add_u64 v[16:17], v[16:17], 2, s[2:3]
	v_cndmask_b32_e32 v9, v17, v9, vcc
	v_cndmask_b32_e32 v8, v16, v8, vcc
	global_load_dword v16, v[8:9], off
	v_mov_b32_e32 v17, v6
	v_mov_b32_e32 v18, v6
	;; [unrolled: 1-line block ×3, first 2 shown]
	s_waitcnt vmcnt(0)
	v_mov_b64_e32 v[6:7], v[16:17]
	v_mov_b64_e32 v[8:9], v[18:19]
	s_or_b64 exec, exec, s[4:5]
	v_cmp_gt_u32_e32 vcc, s20, v14
	s_and_saveexec_b64 s[4:5], vcc
	s_cbranch_execz .LBB1779_16
.LBB1779_50:
	v_mov_b32_e32 v15, 0
	v_lshl_add_u64 v[16:17], v[14:15], 2, s[0:1]
	v_subrev_co_u32_e32 v14, vcc, s15, v14
	v_lshl_add_u64 v[14:15], v[14:15], 2, s[2:3]
	s_nop 0
	v_cndmask_b32_e32 v15, v15, v17, vcc
	v_cndmask_b32_e32 v14, v14, v16, vcc
	global_load_dword v7, v[14:15], off
	s_or_b64 exec, exec, s[4:5]
	v_cmp_gt_u32_e32 vcc, s20, v12
	s_and_saveexec_b64 s[4:5], vcc
	s_cbranch_execnz .LBB1779_17
	s_branch .LBB1779_18
.LBB1779_51:
	ds_read_b32 v0, v4
	s_waitcnt lgkmcnt(0)
	global_store_dword v[2:3], v0, off
	s_or_b64 exec, exec, s[0:1]
	v_cmp_gt_u32_e64 s[0:1], s8, v16
	s_and_saveexec_b64 s[2:3], s[0:1]
	s_cbranch_execz .LBB1779_36
.LBB1779_52:
	s_waitcnt lgkmcnt(2)
	global_store_dword v[2:3], v18, off offset:1024
	s_or_b64 exec, exec, s[2:3]
	v_cmp_gt_u32_e64 s[2:3], s8, v15
	s_and_saveexec_b64 s[6:7], s[2:3]
	s_cbranch_execz .LBB1779_37
.LBB1779_53:
	s_waitcnt lgkmcnt(1)
	global_store_dword v[2:3], v17, off offset:2048
	s_or_b64 exec, exec, s[6:7]
	v_cmp_gt_u32_e64 s[6:7], s8, v14
	s_and_saveexec_b64 s[8:9], s[6:7]
	s_cbranch_execnz .LBB1779_38
	s_branch .LBB1779_39
.LBB1779_54:
	ds_read_b32 v4, v4
	s_waitcnt lgkmcnt(0)
	global_store_dword v[0:1], v4, off
	s_or_b64 exec, exec, s[8:9]
	s_and_saveexec_b64 s[8:9], s[0:1]
	s_cbranch_execz .LBB1779_41
.LBB1779_55:
	s_waitcnt lgkmcnt(2)
	global_store_dword v[0:1], v3, off offset:1024
	s_or_b64 exec, exec, s[8:9]
	s_and_saveexec_b64 s[0:1], s[2:3]
	s_cbranch_execnz .LBB1779_42
	s_branch .LBB1779_43
	.section	.rodata,"a",@progbits
	.p2align	6, 0x0
	.amdhsa_kernel _ZN7rocprim17ROCPRIM_400000_NS6detail17trampoline_kernelINS0_14default_configENS1_38merge_sort_block_merge_config_selectorIiiEEZZNS1_27merge_sort_block_merge_implIS3_N6thrust23THRUST_200600_302600_NS6detail15normal_iteratorINS8_10device_ptrIiEEEESD_jNS1_19radix_merge_compareILb1ELb1EiNS0_19identity_decomposerEEEEE10hipError_tT0_T1_T2_jT3_P12ihipStream_tbPNSt15iterator_traitsISI_E10value_typeEPNSO_ISJ_E10value_typeEPSK_NS1_7vsmem_tEENKUlT_SI_SJ_SK_E_clIPiSD_S10_SD_EESH_SX_SI_SJ_SK_EUlSX_E0_NS1_11comp_targetILNS1_3genE0ELNS1_11target_archE4294967295ELNS1_3gpuE0ELNS1_3repE0EEENS1_38merge_mergepath_config_static_selectorELNS0_4arch9wavefront6targetE1EEEvSJ_
		.amdhsa_group_segment_fixed_size 4224
		.amdhsa_private_segment_fixed_size 0
		.amdhsa_kernarg_size 320
		.amdhsa_user_sgpr_count 2
		.amdhsa_user_sgpr_dispatch_ptr 0
		.amdhsa_user_sgpr_queue_ptr 0
		.amdhsa_user_sgpr_kernarg_segment_ptr 1
		.amdhsa_user_sgpr_dispatch_id 0
		.amdhsa_user_sgpr_kernarg_preload_length 0
		.amdhsa_user_sgpr_kernarg_preload_offset 0
		.amdhsa_user_sgpr_private_segment_size 0
		.amdhsa_uses_dynamic_stack 0
		.amdhsa_enable_private_segment 0
		.amdhsa_system_sgpr_workgroup_id_x 1
		.amdhsa_system_sgpr_workgroup_id_y 1
		.amdhsa_system_sgpr_workgroup_id_z 1
		.amdhsa_system_sgpr_workgroup_info 0
		.amdhsa_system_vgpr_workitem_id 0
		.amdhsa_next_free_vgpr 20
		.amdhsa_next_free_sgpr 31
		.amdhsa_accum_offset 20
		.amdhsa_reserve_vcc 1
		.amdhsa_float_round_mode_32 0
		.amdhsa_float_round_mode_16_64 0
		.amdhsa_float_denorm_mode_32 3
		.amdhsa_float_denorm_mode_16_64 3
		.amdhsa_dx10_clamp 1
		.amdhsa_ieee_mode 1
		.amdhsa_fp16_overflow 0
		.amdhsa_tg_split 0
		.amdhsa_exception_fp_ieee_invalid_op 0
		.amdhsa_exception_fp_denorm_src 0
		.amdhsa_exception_fp_ieee_div_zero 0
		.amdhsa_exception_fp_ieee_overflow 0
		.amdhsa_exception_fp_ieee_underflow 0
		.amdhsa_exception_fp_ieee_inexact 0
		.amdhsa_exception_int_div_zero 0
	.end_amdhsa_kernel
	.section	.text._ZN7rocprim17ROCPRIM_400000_NS6detail17trampoline_kernelINS0_14default_configENS1_38merge_sort_block_merge_config_selectorIiiEEZZNS1_27merge_sort_block_merge_implIS3_N6thrust23THRUST_200600_302600_NS6detail15normal_iteratorINS8_10device_ptrIiEEEESD_jNS1_19radix_merge_compareILb1ELb1EiNS0_19identity_decomposerEEEEE10hipError_tT0_T1_T2_jT3_P12ihipStream_tbPNSt15iterator_traitsISI_E10value_typeEPNSO_ISJ_E10value_typeEPSK_NS1_7vsmem_tEENKUlT_SI_SJ_SK_E_clIPiSD_S10_SD_EESH_SX_SI_SJ_SK_EUlSX_E0_NS1_11comp_targetILNS1_3genE0ELNS1_11target_archE4294967295ELNS1_3gpuE0ELNS1_3repE0EEENS1_38merge_mergepath_config_static_selectorELNS0_4arch9wavefront6targetE1EEEvSJ_,"axG",@progbits,_ZN7rocprim17ROCPRIM_400000_NS6detail17trampoline_kernelINS0_14default_configENS1_38merge_sort_block_merge_config_selectorIiiEEZZNS1_27merge_sort_block_merge_implIS3_N6thrust23THRUST_200600_302600_NS6detail15normal_iteratorINS8_10device_ptrIiEEEESD_jNS1_19radix_merge_compareILb1ELb1EiNS0_19identity_decomposerEEEEE10hipError_tT0_T1_T2_jT3_P12ihipStream_tbPNSt15iterator_traitsISI_E10value_typeEPNSO_ISJ_E10value_typeEPSK_NS1_7vsmem_tEENKUlT_SI_SJ_SK_E_clIPiSD_S10_SD_EESH_SX_SI_SJ_SK_EUlSX_E0_NS1_11comp_targetILNS1_3genE0ELNS1_11target_archE4294967295ELNS1_3gpuE0ELNS1_3repE0EEENS1_38merge_mergepath_config_static_selectorELNS0_4arch9wavefront6targetE1EEEvSJ_,comdat
.Lfunc_end1779:
	.size	_ZN7rocprim17ROCPRIM_400000_NS6detail17trampoline_kernelINS0_14default_configENS1_38merge_sort_block_merge_config_selectorIiiEEZZNS1_27merge_sort_block_merge_implIS3_N6thrust23THRUST_200600_302600_NS6detail15normal_iteratorINS8_10device_ptrIiEEEESD_jNS1_19radix_merge_compareILb1ELb1EiNS0_19identity_decomposerEEEEE10hipError_tT0_T1_T2_jT3_P12ihipStream_tbPNSt15iterator_traitsISI_E10value_typeEPNSO_ISJ_E10value_typeEPSK_NS1_7vsmem_tEENKUlT_SI_SJ_SK_E_clIPiSD_S10_SD_EESH_SX_SI_SJ_SK_EUlSX_E0_NS1_11comp_targetILNS1_3genE0ELNS1_11target_archE4294967295ELNS1_3gpuE0ELNS1_3repE0EEENS1_38merge_mergepath_config_static_selectorELNS0_4arch9wavefront6targetE1EEEvSJ_, .Lfunc_end1779-_ZN7rocprim17ROCPRIM_400000_NS6detail17trampoline_kernelINS0_14default_configENS1_38merge_sort_block_merge_config_selectorIiiEEZZNS1_27merge_sort_block_merge_implIS3_N6thrust23THRUST_200600_302600_NS6detail15normal_iteratorINS8_10device_ptrIiEEEESD_jNS1_19radix_merge_compareILb1ELb1EiNS0_19identity_decomposerEEEEE10hipError_tT0_T1_T2_jT3_P12ihipStream_tbPNSt15iterator_traitsISI_E10value_typeEPNSO_ISJ_E10value_typeEPSK_NS1_7vsmem_tEENKUlT_SI_SJ_SK_E_clIPiSD_S10_SD_EESH_SX_SI_SJ_SK_EUlSX_E0_NS1_11comp_targetILNS1_3genE0ELNS1_11target_archE4294967295ELNS1_3gpuE0ELNS1_3repE0EEENS1_38merge_mergepath_config_static_selectorELNS0_4arch9wavefront6targetE1EEEvSJ_
                                        ; -- End function
	.set _ZN7rocprim17ROCPRIM_400000_NS6detail17trampoline_kernelINS0_14default_configENS1_38merge_sort_block_merge_config_selectorIiiEEZZNS1_27merge_sort_block_merge_implIS3_N6thrust23THRUST_200600_302600_NS6detail15normal_iteratorINS8_10device_ptrIiEEEESD_jNS1_19radix_merge_compareILb1ELb1EiNS0_19identity_decomposerEEEEE10hipError_tT0_T1_T2_jT3_P12ihipStream_tbPNSt15iterator_traitsISI_E10value_typeEPNSO_ISJ_E10value_typeEPSK_NS1_7vsmem_tEENKUlT_SI_SJ_SK_E_clIPiSD_S10_SD_EESH_SX_SI_SJ_SK_EUlSX_E0_NS1_11comp_targetILNS1_3genE0ELNS1_11target_archE4294967295ELNS1_3gpuE0ELNS1_3repE0EEENS1_38merge_mergepath_config_static_selectorELNS0_4arch9wavefront6targetE1EEEvSJ_.num_vgpr, 20
	.set _ZN7rocprim17ROCPRIM_400000_NS6detail17trampoline_kernelINS0_14default_configENS1_38merge_sort_block_merge_config_selectorIiiEEZZNS1_27merge_sort_block_merge_implIS3_N6thrust23THRUST_200600_302600_NS6detail15normal_iteratorINS8_10device_ptrIiEEEESD_jNS1_19radix_merge_compareILb1ELb1EiNS0_19identity_decomposerEEEEE10hipError_tT0_T1_T2_jT3_P12ihipStream_tbPNSt15iterator_traitsISI_E10value_typeEPNSO_ISJ_E10value_typeEPSK_NS1_7vsmem_tEENKUlT_SI_SJ_SK_E_clIPiSD_S10_SD_EESH_SX_SI_SJ_SK_EUlSX_E0_NS1_11comp_targetILNS1_3genE0ELNS1_11target_archE4294967295ELNS1_3gpuE0ELNS1_3repE0EEENS1_38merge_mergepath_config_static_selectorELNS0_4arch9wavefront6targetE1EEEvSJ_.num_agpr, 0
	.set _ZN7rocprim17ROCPRIM_400000_NS6detail17trampoline_kernelINS0_14default_configENS1_38merge_sort_block_merge_config_selectorIiiEEZZNS1_27merge_sort_block_merge_implIS3_N6thrust23THRUST_200600_302600_NS6detail15normal_iteratorINS8_10device_ptrIiEEEESD_jNS1_19radix_merge_compareILb1ELb1EiNS0_19identity_decomposerEEEEE10hipError_tT0_T1_T2_jT3_P12ihipStream_tbPNSt15iterator_traitsISI_E10value_typeEPNSO_ISJ_E10value_typeEPSK_NS1_7vsmem_tEENKUlT_SI_SJ_SK_E_clIPiSD_S10_SD_EESH_SX_SI_SJ_SK_EUlSX_E0_NS1_11comp_targetILNS1_3genE0ELNS1_11target_archE4294967295ELNS1_3gpuE0ELNS1_3repE0EEENS1_38merge_mergepath_config_static_selectorELNS0_4arch9wavefront6targetE1EEEvSJ_.numbered_sgpr, 31
	.set _ZN7rocprim17ROCPRIM_400000_NS6detail17trampoline_kernelINS0_14default_configENS1_38merge_sort_block_merge_config_selectorIiiEEZZNS1_27merge_sort_block_merge_implIS3_N6thrust23THRUST_200600_302600_NS6detail15normal_iteratorINS8_10device_ptrIiEEEESD_jNS1_19radix_merge_compareILb1ELb1EiNS0_19identity_decomposerEEEEE10hipError_tT0_T1_T2_jT3_P12ihipStream_tbPNSt15iterator_traitsISI_E10value_typeEPNSO_ISJ_E10value_typeEPSK_NS1_7vsmem_tEENKUlT_SI_SJ_SK_E_clIPiSD_S10_SD_EESH_SX_SI_SJ_SK_EUlSX_E0_NS1_11comp_targetILNS1_3genE0ELNS1_11target_archE4294967295ELNS1_3gpuE0ELNS1_3repE0EEENS1_38merge_mergepath_config_static_selectorELNS0_4arch9wavefront6targetE1EEEvSJ_.num_named_barrier, 0
	.set _ZN7rocprim17ROCPRIM_400000_NS6detail17trampoline_kernelINS0_14default_configENS1_38merge_sort_block_merge_config_selectorIiiEEZZNS1_27merge_sort_block_merge_implIS3_N6thrust23THRUST_200600_302600_NS6detail15normal_iteratorINS8_10device_ptrIiEEEESD_jNS1_19radix_merge_compareILb1ELb1EiNS0_19identity_decomposerEEEEE10hipError_tT0_T1_T2_jT3_P12ihipStream_tbPNSt15iterator_traitsISI_E10value_typeEPNSO_ISJ_E10value_typeEPSK_NS1_7vsmem_tEENKUlT_SI_SJ_SK_E_clIPiSD_S10_SD_EESH_SX_SI_SJ_SK_EUlSX_E0_NS1_11comp_targetILNS1_3genE0ELNS1_11target_archE4294967295ELNS1_3gpuE0ELNS1_3repE0EEENS1_38merge_mergepath_config_static_selectorELNS0_4arch9wavefront6targetE1EEEvSJ_.private_seg_size, 0
	.set _ZN7rocprim17ROCPRIM_400000_NS6detail17trampoline_kernelINS0_14default_configENS1_38merge_sort_block_merge_config_selectorIiiEEZZNS1_27merge_sort_block_merge_implIS3_N6thrust23THRUST_200600_302600_NS6detail15normal_iteratorINS8_10device_ptrIiEEEESD_jNS1_19radix_merge_compareILb1ELb1EiNS0_19identity_decomposerEEEEE10hipError_tT0_T1_T2_jT3_P12ihipStream_tbPNSt15iterator_traitsISI_E10value_typeEPNSO_ISJ_E10value_typeEPSK_NS1_7vsmem_tEENKUlT_SI_SJ_SK_E_clIPiSD_S10_SD_EESH_SX_SI_SJ_SK_EUlSX_E0_NS1_11comp_targetILNS1_3genE0ELNS1_11target_archE4294967295ELNS1_3gpuE0ELNS1_3repE0EEENS1_38merge_mergepath_config_static_selectorELNS0_4arch9wavefront6targetE1EEEvSJ_.uses_vcc, 1
	.set _ZN7rocprim17ROCPRIM_400000_NS6detail17trampoline_kernelINS0_14default_configENS1_38merge_sort_block_merge_config_selectorIiiEEZZNS1_27merge_sort_block_merge_implIS3_N6thrust23THRUST_200600_302600_NS6detail15normal_iteratorINS8_10device_ptrIiEEEESD_jNS1_19radix_merge_compareILb1ELb1EiNS0_19identity_decomposerEEEEE10hipError_tT0_T1_T2_jT3_P12ihipStream_tbPNSt15iterator_traitsISI_E10value_typeEPNSO_ISJ_E10value_typeEPSK_NS1_7vsmem_tEENKUlT_SI_SJ_SK_E_clIPiSD_S10_SD_EESH_SX_SI_SJ_SK_EUlSX_E0_NS1_11comp_targetILNS1_3genE0ELNS1_11target_archE4294967295ELNS1_3gpuE0ELNS1_3repE0EEENS1_38merge_mergepath_config_static_selectorELNS0_4arch9wavefront6targetE1EEEvSJ_.uses_flat_scratch, 0
	.set _ZN7rocprim17ROCPRIM_400000_NS6detail17trampoline_kernelINS0_14default_configENS1_38merge_sort_block_merge_config_selectorIiiEEZZNS1_27merge_sort_block_merge_implIS3_N6thrust23THRUST_200600_302600_NS6detail15normal_iteratorINS8_10device_ptrIiEEEESD_jNS1_19radix_merge_compareILb1ELb1EiNS0_19identity_decomposerEEEEE10hipError_tT0_T1_T2_jT3_P12ihipStream_tbPNSt15iterator_traitsISI_E10value_typeEPNSO_ISJ_E10value_typeEPSK_NS1_7vsmem_tEENKUlT_SI_SJ_SK_E_clIPiSD_S10_SD_EESH_SX_SI_SJ_SK_EUlSX_E0_NS1_11comp_targetILNS1_3genE0ELNS1_11target_archE4294967295ELNS1_3gpuE0ELNS1_3repE0EEENS1_38merge_mergepath_config_static_selectorELNS0_4arch9wavefront6targetE1EEEvSJ_.has_dyn_sized_stack, 0
	.set _ZN7rocprim17ROCPRIM_400000_NS6detail17trampoline_kernelINS0_14default_configENS1_38merge_sort_block_merge_config_selectorIiiEEZZNS1_27merge_sort_block_merge_implIS3_N6thrust23THRUST_200600_302600_NS6detail15normal_iteratorINS8_10device_ptrIiEEEESD_jNS1_19radix_merge_compareILb1ELb1EiNS0_19identity_decomposerEEEEE10hipError_tT0_T1_T2_jT3_P12ihipStream_tbPNSt15iterator_traitsISI_E10value_typeEPNSO_ISJ_E10value_typeEPSK_NS1_7vsmem_tEENKUlT_SI_SJ_SK_E_clIPiSD_S10_SD_EESH_SX_SI_SJ_SK_EUlSX_E0_NS1_11comp_targetILNS1_3genE0ELNS1_11target_archE4294967295ELNS1_3gpuE0ELNS1_3repE0EEENS1_38merge_mergepath_config_static_selectorELNS0_4arch9wavefront6targetE1EEEvSJ_.has_recursion, 0
	.set _ZN7rocprim17ROCPRIM_400000_NS6detail17trampoline_kernelINS0_14default_configENS1_38merge_sort_block_merge_config_selectorIiiEEZZNS1_27merge_sort_block_merge_implIS3_N6thrust23THRUST_200600_302600_NS6detail15normal_iteratorINS8_10device_ptrIiEEEESD_jNS1_19radix_merge_compareILb1ELb1EiNS0_19identity_decomposerEEEEE10hipError_tT0_T1_T2_jT3_P12ihipStream_tbPNSt15iterator_traitsISI_E10value_typeEPNSO_ISJ_E10value_typeEPSK_NS1_7vsmem_tEENKUlT_SI_SJ_SK_E_clIPiSD_S10_SD_EESH_SX_SI_SJ_SK_EUlSX_E0_NS1_11comp_targetILNS1_3genE0ELNS1_11target_archE4294967295ELNS1_3gpuE0ELNS1_3repE0EEENS1_38merge_mergepath_config_static_selectorELNS0_4arch9wavefront6targetE1EEEvSJ_.has_indirect_call, 0
	.section	.AMDGPU.csdata,"",@progbits
; Kernel info:
; codeLenInByte = 2952
; TotalNumSgprs: 37
; NumVgprs: 20
; NumAgprs: 0
; TotalNumVgprs: 20
; ScratchSize: 0
; MemoryBound: 0
; FloatMode: 240
; IeeeMode: 1
; LDSByteSize: 4224 bytes/workgroup (compile time only)
; SGPRBlocks: 4
; VGPRBlocks: 2
; NumSGPRsForWavesPerEU: 37
; NumVGPRsForWavesPerEU: 20
; AccumOffset: 20
; Occupancy: 8
; WaveLimiterHint : 1
; COMPUTE_PGM_RSRC2:SCRATCH_EN: 0
; COMPUTE_PGM_RSRC2:USER_SGPR: 2
; COMPUTE_PGM_RSRC2:TRAP_HANDLER: 0
; COMPUTE_PGM_RSRC2:TGID_X_EN: 1
; COMPUTE_PGM_RSRC2:TGID_Y_EN: 1
; COMPUTE_PGM_RSRC2:TGID_Z_EN: 1
; COMPUTE_PGM_RSRC2:TIDIG_COMP_CNT: 0
; COMPUTE_PGM_RSRC3_GFX90A:ACCUM_OFFSET: 4
; COMPUTE_PGM_RSRC3_GFX90A:TG_SPLIT: 0
	.section	.text._ZN7rocprim17ROCPRIM_400000_NS6detail17trampoline_kernelINS0_14default_configENS1_38merge_sort_block_merge_config_selectorIiiEEZZNS1_27merge_sort_block_merge_implIS3_N6thrust23THRUST_200600_302600_NS6detail15normal_iteratorINS8_10device_ptrIiEEEESD_jNS1_19radix_merge_compareILb1ELb1EiNS0_19identity_decomposerEEEEE10hipError_tT0_T1_T2_jT3_P12ihipStream_tbPNSt15iterator_traitsISI_E10value_typeEPNSO_ISJ_E10value_typeEPSK_NS1_7vsmem_tEENKUlT_SI_SJ_SK_E_clIPiSD_S10_SD_EESH_SX_SI_SJ_SK_EUlSX_E0_NS1_11comp_targetILNS1_3genE10ELNS1_11target_archE1201ELNS1_3gpuE5ELNS1_3repE0EEENS1_38merge_mergepath_config_static_selectorELNS0_4arch9wavefront6targetE1EEEvSJ_,"axG",@progbits,_ZN7rocprim17ROCPRIM_400000_NS6detail17trampoline_kernelINS0_14default_configENS1_38merge_sort_block_merge_config_selectorIiiEEZZNS1_27merge_sort_block_merge_implIS3_N6thrust23THRUST_200600_302600_NS6detail15normal_iteratorINS8_10device_ptrIiEEEESD_jNS1_19radix_merge_compareILb1ELb1EiNS0_19identity_decomposerEEEEE10hipError_tT0_T1_T2_jT3_P12ihipStream_tbPNSt15iterator_traitsISI_E10value_typeEPNSO_ISJ_E10value_typeEPSK_NS1_7vsmem_tEENKUlT_SI_SJ_SK_E_clIPiSD_S10_SD_EESH_SX_SI_SJ_SK_EUlSX_E0_NS1_11comp_targetILNS1_3genE10ELNS1_11target_archE1201ELNS1_3gpuE5ELNS1_3repE0EEENS1_38merge_mergepath_config_static_selectorELNS0_4arch9wavefront6targetE1EEEvSJ_,comdat
	.protected	_ZN7rocprim17ROCPRIM_400000_NS6detail17trampoline_kernelINS0_14default_configENS1_38merge_sort_block_merge_config_selectorIiiEEZZNS1_27merge_sort_block_merge_implIS3_N6thrust23THRUST_200600_302600_NS6detail15normal_iteratorINS8_10device_ptrIiEEEESD_jNS1_19radix_merge_compareILb1ELb1EiNS0_19identity_decomposerEEEEE10hipError_tT0_T1_T2_jT3_P12ihipStream_tbPNSt15iterator_traitsISI_E10value_typeEPNSO_ISJ_E10value_typeEPSK_NS1_7vsmem_tEENKUlT_SI_SJ_SK_E_clIPiSD_S10_SD_EESH_SX_SI_SJ_SK_EUlSX_E0_NS1_11comp_targetILNS1_3genE10ELNS1_11target_archE1201ELNS1_3gpuE5ELNS1_3repE0EEENS1_38merge_mergepath_config_static_selectorELNS0_4arch9wavefront6targetE1EEEvSJ_ ; -- Begin function _ZN7rocprim17ROCPRIM_400000_NS6detail17trampoline_kernelINS0_14default_configENS1_38merge_sort_block_merge_config_selectorIiiEEZZNS1_27merge_sort_block_merge_implIS3_N6thrust23THRUST_200600_302600_NS6detail15normal_iteratorINS8_10device_ptrIiEEEESD_jNS1_19radix_merge_compareILb1ELb1EiNS0_19identity_decomposerEEEEE10hipError_tT0_T1_T2_jT3_P12ihipStream_tbPNSt15iterator_traitsISI_E10value_typeEPNSO_ISJ_E10value_typeEPSK_NS1_7vsmem_tEENKUlT_SI_SJ_SK_E_clIPiSD_S10_SD_EESH_SX_SI_SJ_SK_EUlSX_E0_NS1_11comp_targetILNS1_3genE10ELNS1_11target_archE1201ELNS1_3gpuE5ELNS1_3repE0EEENS1_38merge_mergepath_config_static_selectorELNS0_4arch9wavefront6targetE1EEEvSJ_
	.globl	_ZN7rocprim17ROCPRIM_400000_NS6detail17trampoline_kernelINS0_14default_configENS1_38merge_sort_block_merge_config_selectorIiiEEZZNS1_27merge_sort_block_merge_implIS3_N6thrust23THRUST_200600_302600_NS6detail15normal_iteratorINS8_10device_ptrIiEEEESD_jNS1_19radix_merge_compareILb1ELb1EiNS0_19identity_decomposerEEEEE10hipError_tT0_T1_T2_jT3_P12ihipStream_tbPNSt15iterator_traitsISI_E10value_typeEPNSO_ISJ_E10value_typeEPSK_NS1_7vsmem_tEENKUlT_SI_SJ_SK_E_clIPiSD_S10_SD_EESH_SX_SI_SJ_SK_EUlSX_E0_NS1_11comp_targetILNS1_3genE10ELNS1_11target_archE1201ELNS1_3gpuE5ELNS1_3repE0EEENS1_38merge_mergepath_config_static_selectorELNS0_4arch9wavefront6targetE1EEEvSJ_
	.p2align	8
	.type	_ZN7rocprim17ROCPRIM_400000_NS6detail17trampoline_kernelINS0_14default_configENS1_38merge_sort_block_merge_config_selectorIiiEEZZNS1_27merge_sort_block_merge_implIS3_N6thrust23THRUST_200600_302600_NS6detail15normal_iteratorINS8_10device_ptrIiEEEESD_jNS1_19radix_merge_compareILb1ELb1EiNS0_19identity_decomposerEEEEE10hipError_tT0_T1_T2_jT3_P12ihipStream_tbPNSt15iterator_traitsISI_E10value_typeEPNSO_ISJ_E10value_typeEPSK_NS1_7vsmem_tEENKUlT_SI_SJ_SK_E_clIPiSD_S10_SD_EESH_SX_SI_SJ_SK_EUlSX_E0_NS1_11comp_targetILNS1_3genE10ELNS1_11target_archE1201ELNS1_3gpuE5ELNS1_3repE0EEENS1_38merge_mergepath_config_static_selectorELNS0_4arch9wavefront6targetE1EEEvSJ_,@function
_ZN7rocprim17ROCPRIM_400000_NS6detail17trampoline_kernelINS0_14default_configENS1_38merge_sort_block_merge_config_selectorIiiEEZZNS1_27merge_sort_block_merge_implIS3_N6thrust23THRUST_200600_302600_NS6detail15normal_iteratorINS8_10device_ptrIiEEEESD_jNS1_19radix_merge_compareILb1ELb1EiNS0_19identity_decomposerEEEEE10hipError_tT0_T1_T2_jT3_P12ihipStream_tbPNSt15iterator_traitsISI_E10value_typeEPNSO_ISJ_E10value_typeEPSK_NS1_7vsmem_tEENKUlT_SI_SJ_SK_E_clIPiSD_S10_SD_EESH_SX_SI_SJ_SK_EUlSX_E0_NS1_11comp_targetILNS1_3genE10ELNS1_11target_archE1201ELNS1_3gpuE5ELNS1_3repE0EEENS1_38merge_mergepath_config_static_selectorELNS0_4arch9wavefront6targetE1EEEvSJ_: ; @_ZN7rocprim17ROCPRIM_400000_NS6detail17trampoline_kernelINS0_14default_configENS1_38merge_sort_block_merge_config_selectorIiiEEZZNS1_27merge_sort_block_merge_implIS3_N6thrust23THRUST_200600_302600_NS6detail15normal_iteratorINS8_10device_ptrIiEEEESD_jNS1_19radix_merge_compareILb1ELb1EiNS0_19identity_decomposerEEEEE10hipError_tT0_T1_T2_jT3_P12ihipStream_tbPNSt15iterator_traitsISI_E10value_typeEPNSO_ISJ_E10value_typeEPSK_NS1_7vsmem_tEENKUlT_SI_SJ_SK_E_clIPiSD_S10_SD_EESH_SX_SI_SJ_SK_EUlSX_E0_NS1_11comp_targetILNS1_3genE10ELNS1_11target_archE1201ELNS1_3gpuE5ELNS1_3repE0EEENS1_38merge_mergepath_config_static_selectorELNS0_4arch9wavefront6targetE1EEEvSJ_
; %bb.0:
	.section	.rodata,"a",@progbits
	.p2align	6, 0x0
	.amdhsa_kernel _ZN7rocprim17ROCPRIM_400000_NS6detail17trampoline_kernelINS0_14default_configENS1_38merge_sort_block_merge_config_selectorIiiEEZZNS1_27merge_sort_block_merge_implIS3_N6thrust23THRUST_200600_302600_NS6detail15normal_iteratorINS8_10device_ptrIiEEEESD_jNS1_19radix_merge_compareILb1ELb1EiNS0_19identity_decomposerEEEEE10hipError_tT0_T1_T2_jT3_P12ihipStream_tbPNSt15iterator_traitsISI_E10value_typeEPNSO_ISJ_E10value_typeEPSK_NS1_7vsmem_tEENKUlT_SI_SJ_SK_E_clIPiSD_S10_SD_EESH_SX_SI_SJ_SK_EUlSX_E0_NS1_11comp_targetILNS1_3genE10ELNS1_11target_archE1201ELNS1_3gpuE5ELNS1_3repE0EEENS1_38merge_mergepath_config_static_selectorELNS0_4arch9wavefront6targetE1EEEvSJ_
		.amdhsa_group_segment_fixed_size 0
		.amdhsa_private_segment_fixed_size 0
		.amdhsa_kernarg_size 64
		.amdhsa_user_sgpr_count 2
		.amdhsa_user_sgpr_dispatch_ptr 0
		.amdhsa_user_sgpr_queue_ptr 0
		.amdhsa_user_sgpr_kernarg_segment_ptr 1
		.amdhsa_user_sgpr_dispatch_id 0
		.amdhsa_user_sgpr_kernarg_preload_length 0
		.amdhsa_user_sgpr_kernarg_preload_offset 0
		.amdhsa_user_sgpr_private_segment_size 0
		.amdhsa_uses_dynamic_stack 0
		.amdhsa_enable_private_segment 0
		.amdhsa_system_sgpr_workgroup_id_x 1
		.amdhsa_system_sgpr_workgroup_id_y 0
		.amdhsa_system_sgpr_workgroup_id_z 0
		.amdhsa_system_sgpr_workgroup_info 0
		.amdhsa_system_vgpr_workitem_id 0
		.amdhsa_next_free_vgpr 1
		.amdhsa_next_free_sgpr 0
		.amdhsa_accum_offset 4
		.amdhsa_reserve_vcc 0
		.amdhsa_float_round_mode_32 0
		.amdhsa_float_round_mode_16_64 0
		.amdhsa_float_denorm_mode_32 3
		.amdhsa_float_denorm_mode_16_64 3
		.amdhsa_dx10_clamp 1
		.amdhsa_ieee_mode 1
		.amdhsa_fp16_overflow 0
		.amdhsa_tg_split 0
		.amdhsa_exception_fp_ieee_invalid_op 0
		.amdhsa_exception_fp_denorm_src 0
		.amdhsa_exception_fp_ieee_div_zero 0
		.amdhsa_exception_fp_ieee_overflow 0
		.amdhsa_exception_fp_ieee_underflow 0
		.amdhsa_exception_fp_ieee_inexact 0
		.amdhsa_exception_int_div_zero 0
	.end_amdhsa_kernel
	.section	.text._ZN7rocprim17ROCPRIM_400000_NS6detail17trampoline_kernelINS0_14default_configENS1_38merge_sort_block_merge_config_selectorIiiEEZZNS1_27merge_sort_block_merge_implIS3_N6thrust23THRUST_200600_302600_NS6detail15normal_iteratorINS8_10device_ptrIiEEEESD_jNS1_19radix_merge_compareILb1ELb1EiNS0_19identity_decomposerEEEEE10hipError_tT0_T1_T2_jT3_P12ihipStream_tbPNSt15iterator_traitsISI_E10value_typeEPNSO_ISJ_E10value_typeEPSK_NS1_7vsmem_tEENKUlT_SI_SJ_SK_E_clIPiSD_S10_SD_EESH_SX_SI_SJ_SK_EUlSX_E0_NS1_11comp_targetILNS1_3genE10ELNS1_11target_archE1201ELNS1_3gpuE5ELNS1_3repE0EEENS1_38merge_mergepath_config_static_selectorELNS0_4arch9wavefront6targetE1EEEvSJ_,"axG",@progbits,_ZN7rocprim17ROCPRIM_400000_NS6detail17trampoline_kernelINS0_14default_configENS1_38merge_sort_block_merge_config_selectorIiiEEZZNS1_27merge_sort_block_merge_implIS3_N6thrust23THRUST_200600_302600_NS6detail15normal_iteratorINS8_10device_ptrIiEEEESD_jNS1_19radix_merge_compareILb1ELb1EiNS0_19identity_decomposerEEEEE10hipError_tT0_T1_T2_jT3_P12ihipStream_tbPNSt15iterator_traitsISI_E10value_typeEPNSO_ISJ_E10value_typeEPSK_NS1_7vsmem_tEENKUlT_SI_SJ_SK_E_clIPiSD_S10_SD_EESH_SX_SI_SJ_SK_EUlSX_E0_NS1_11comp_targetILNS1_3genE10ELNS1_11target_archE1201ELNS1_3gpuE5ELNS1_3repE0EEENS1_38merge_mergepath_config_static_selectorELNS0_4arch9wavefront6targetE1EEEvSJ_,comdat
.Lfunc_end1780:
	.size	_ZN7rocprim17ROCPRIM_400000_NS6detail17trampoline_kernelINS0_14default_configENS1_38merge_sort_block_merge_config_selectorIiiEEZZNS1_27merge_sort_block_merge_implIS3_N6thrust23THRUST_200600_302600_NS6detail15normal_iteratorINS8_10device_ptrIiEEEESD_jNS1_19radix_merge_compareILb1ELb1EiNS0_19identity_decomposerEEEEE10hipError_tT0_T1_T2_jT3_P12ihipStream_tbPNSt15iterator_traitsISI_E10value_typeEPNSO_ISJ_E10value_typeEPSK_NS1_7vsmem_tEENKUlT_SI_SJ_SK_E_clIPiSD_S10_SD_EESH_SX_SI_SJ_SK_EUlSX_E0_NS1_11comp_targetILNS1_3genE10ELNS1_11target_archE1201ELNS1_3gpuE5ELNS1_3repE0EEENS1_38merge_mergepath_config_static_selectorELNS0_4arch9wavefront6targetE1EEEvSJ_, .Lfunc_end1780-_ZN7rocprim17ROCPRIM_400000_NS6detail17trampoline_kernelINS0_14default_configENS1_38merge_sort_block_merge_config_selectorIiiEEZZNS1_27merge_sort_block_merge_implIS3_N6thrust23THRUST_200600_302600_NS6detail15normal_iteratorINS8_10device_ptrIiEEEESD_jNS1_19radix_merge_compareILb1ELb1EiNS0_19identity_decomposerEEEEE10hipError_tT0_T1_T2_jT3_P12ihipStream_tbPNSt15iterator_traitsISI_E10value_typeEPNSO_ISJ_E10value_typeEPSK_NS1_7vsmem_tEENKUlT_SI_SJ_SK_E_clIPiSD_S10_SD_EESH_SX_SI_SJ_SK_EUlSX_E0_NS1_11comp_targetILNS1_3genE10ELNS1_11target_archE1201ELNS1_3gpuE5ELNS1_3repE0EEENS1_38merge_mergepath_config_static_selectorELNS0_4arch9wavefront6targetE1EEEvSJ_
                                        ; -- End function
	.set _ZN7rocprim17ROCPRIM_400000_NS6detail17trampoline_kernelINS0_14default_configENS1_38merge_sort_block_merge_config_selectorIiiEEZZNS1_27merge_sort_block_merge_implIS3_N6thrust23THRUST_200600_302600_NS6detail15normal_iteratorINS8_10device_ptrIiEEEESD_jNS1_19radix_merge_compareILb1ELb1EiNS0_19identity_decomposerEEEEE10hipError_tT0_T1_T2_jT3_P12ihipStream_tbPNSt15iterator_traitsISI_E10value_typeEPNSO_ISJ_E10value_typeEPSK_NS1_7vsmem_tEENKUlT_SI_SJ_SK_E_clIPiSD_S10_SD_EESH_SX_SI_SJ_SK_EUlSX_E0_NS1_11comp_targetILNS1_3genE10ELNS1_11target_archE1201ELNS1_3gpuE5ELNS1_3repE0EEENS1_38merge_mergepath_config_static_selectorELNS0_4arch9wavefront6targetE1EEEvSJ_.num_vgpr, 0
	.set _ZN7rocprim17ROCPRIM_400000_NS6detail17trampoline_kernelINS0_14default_configENS1_38merge_sort_block_merge_config_selectorIiiEEZZNS1_27merge_sort_block_merge_implIS3_N6thrust23THRUST_200600_302600_NS6detail15normal_iteratorINS8_10device_ptrIiEEEESD_jNS1_19radix_merge_compareILb1ELb1EiNS0_19identity_decomposerEEEEE10hipError_tT0_T1_T2_jT3_P12ihipStream_tbPNSt15iterator_traitsISI_E10value_typeEPNSO_ISJ_E10value_typeEPSK_NS1_7vsmem_tEENKUlT_SI_SJ_SK_E_clIPiSD_S10_SD_EESH_SX_SI_SJ_SK_EUlSX_E0_NS1_11comp_targetILNS1_3genE10ELNS1_11target_archE1201ELNS1_3gpuE5ELNS1_3repE0EEENS1_38merge_mergepath_config_static_selectorELNS0_4arch9wavefront6targetE1EEEvSJ_.num_agpr, 0
	.set _ZN7rocprim17ROCPRIM_400000_NS6detail17trampoline_kernelINS0_14default_configENS1_38merge_sort_block_merge_config_selectorIiiEEZZNS1_27merge_sort_block_merge_implIS3_N6thrust23THRUST_200600_302600_NS6detail15normal_iteratorINS8_10device_ptrIiEEEESD_jNS1_19radix_merge_compareILb1ELb1EiNS0_19identity_decomposerEEEEE10hipError_tT0_T1_T2_jT3_P12ihipStream_tbPNSt15iterator_traitsISI_E10value_typeEPNSO_ISJ_E10value_typeEPSK_NS1_7vsmem_tEENKUlT_SI_SJ_SK_E_clIPiSD_S10_SD_EESH_SX_SI_SJ_SK_EUlSX_E0_NS1_11comp_targetILNS1_3genE10ELNS1_11target_archE1201ELNS1_3gpuE5ELNS1_3repE0EEENS1_38merge_mergepath_config_static_selectorELNS0_4arch9wavefront6targetE1EEEvSJ_.numbered_sgpr, 0
	.set _ZN7rocprim17ROCPRIM_400000_NS6detail17trampoline_kernelINS0_14default_configENS1_38merge_sort_block_merge_config_selectorIiiEEZZNS1_27merge_sort_block_merge_implIS3_N6thrust23THRUST_200600_302600_NS6detail15normal_iteratorINS8_10device_ptrIiEEEESD_jNS1_19radix_merge_compareILb1ELb1EiNS0_19identity_decomposerEEEEE10hipError_tT0_T1_T2_jT3_P12ihipStream_tbPNSt15iterator_traitsISI_E10value_typeEPNSO_ISJ_E10value_typeEPSK_NS1_7vsmem_tEENKUlT_SI_SJ_SK_E_clIPiSD_S10_SD_EESH_SX_SI_SJ_SK_EUlSX_E0_NS1_11comp_targetILNS1_3genE10ELNS1_11target_archE1201ELNS1_3gpuE5ELNS1_3repE0EEENS1_38merge_mergepath_config_static_selectorELNS0_4arch9wavefront6targetE1EEEvSJ_.num_named_barrier, 0
	.set _ZN7rocprim17ROCPRIM_400000_NS6detail17trampoline_kernelINS0_14default_configENS1_38merge_sort_block_merge_config_selectorIiiEEZZNS1_27merge_sort_block_merge_implIS3_N6thrust23THRUST_200600_302600_NS6detail15normal_iteratorINS8_10device_ptrIiEEEESD_jNS1_19radix_merge_compareILb1ELb1EiNS0_19identity_decomposerEEEEE10hipError_tT0_T1_T2_jT3_P12ihipStream_tbPNSt15iterator_traitsISI_E10value_typeEPNSO_ISJ_E10value_typeEPSK_NS1_7vsmem_tEENKUlT_SI_SJ_SK_E_clIPiSD_S10_SD_EESH_SX_SI_SJ_SK_EUlSX_E0_NS1_11comp_targetILNS1_3genE10ELNS1_11target_archE1201ELNS1_3gpuE5ELNS1_3repE0EEENS1_38merge_mergepath_config_static_selectorELNS0_4arch9wavefront6targetE1EEEvSJ_.private_seg_size, 0
	.set _ZN7rocprim17ROCPRIM_400000_NS6detail17trampoline_kernelINS0_14default_configENS1_38merge_sort_block_merge_config_selectorIiiEEZZNS1_27merge_sort_block_merge_implIS3_N6thrust23THRUST_200600_302600_NS6detail15normal_iteratorINS8_10device_ptrIiEEEESD_jNS1_19radix_merge_compareILb1ELb1EiNS0_19identity_decomposerEEEEE10hipError_tT0_T1_T2_jT3_P12ihipStream_tbPNSt15iterator_traitsISI_E10value_typeEPNSO_ISJ_E10value_typeEPSK_NS1_7vsmem_tEENKUlT_SI_SJ_SK_E_clIPiSD_S10_SD_EESH_SX_SI_SJ_SK_EUlSX_E0_NS1_11comp_targetILNS1_3genE10ELNS1_11target_archE1201ELNS1_3gpuE5ELNS1_3repE0EEENS1_38merge_mergepath_config_static_selectorELNS0_4arch9wavefront6targetE1EEEvSJ_.uses_vcc, 0
	.set _ZN7rocprim17ROCPRIM_400000_NS6detail17trampoline_kernelINS0_14default_configENS1_38merge_sort_block_merge_config_selectorIiiEEZZNS1_27merge_sort_block_merge_implIS3_N6thrust23THRUST_200600_302600_NS6detail15normal_iteratorINS8_10device_ptrIiEEEESD_jNS1_19radix_merge_compareILb1ELb1EiNS0_19identity_decomposerEEEEE10hipError_tT0_T1_T2_jT3_P12ihipStream_tbPNSt15iterator_traitsISI_E10value_typeEPNSO_ISJ_E10value_typeEPSK_NS1_7vsmem_tEENKUlT_SI_SJ_SK_E_clIPiSD_S10_SD_EESH_SX_SI_SJ_SK_EUlSX_E0_NS1_11comp_targetILNS1_3genE10ELNS1_11target_archE1201ELNS1_3gpuE5ELNS1_3repE0EEENS1_38merge_mergepath_config_static_selectorELNS0_4arch9wavefront6targetE1EEEvSJ_.uses_flat_scratch, 0
	.set _ZN7rocprim17ROCPRIM_400000_NS6detail17trampoline_kernelINS0_14default_configENS1_38merge_sort_block_merge_config_selectorIiiEEZZNS1_27merge_sort_block_merge_implIS3_N6thrust23THRUST_200600_302600_NS6detail15normal_iteratorINS8_10device_ptrIiEEEESD_jNS1_19radix_merge_compareILb1ELb1EiNS0_19identity_decomposerEEEEE10hipError_tT0_T1_T2_jT3_P12ihipStream_tbPNSt15iterator_traitsISI_E10value_typeEPNSO_ISJ_E10value_typeEPSK_NS1_7vsmem_tEENKUlT_SI_SJ_SK_E_clIPiSD_S10_SD_EESH_SX_SI_SJ_SK_EUlSX_E0_NS1_11comp_targetILNS1_3genE10ELNS1_11target_archE1201ELNS1_3gpuE5ELNS1_3repE0EEENS1_38merge_mergepath_config_static_selectorELNS0_4arch9wavefront6targetE1EEEvSJ_.has_dyn_sized_stack, 0
	.set _ZN7rocprim17ROCPRIM_400000_NS6detail17trampoline_kernelINS0_14default_configENS1_38merge_sort_block_merge_config_selectorIiiEEZZNS1_27merge_sort_block_merge_implIS3_N6thrust23THRUST_200600_302600_NS6detail15normal_iteratorINS8_10device_ptrIiEEEESD_jNS1_19radix_merge_compareILb1ELb1EiNS0_19identity_decomposerEEEEE10hipError_tT0_T1_T2_jT3_P12ihipStream_tbPNSt15iterator_traitsISI_E10value_typeEPNSO_ISJ_E10value_typeEPSK_NS1_7vsmem_tEENKUlT_SI_SJ_SK_E_clIPiSD_S10_SD_EESH_SX_SI_SJ_SK_EUlSX_E0_NS1_11comp_targetILNS1_3genE10ELNS1_11target_archE1201ELNS1_3gpuE5ELNS1_3repE0EEENS1_38merge_mergepath_config_static_selectorELNS0_4arch9wavefront6targetE1EEEvSJ_.has_recursion, 0
	.set _ZN7rocprim17ROCPRIM_400000_NS6detail17trampoline_kernelINS0_14default_configENS1_38merge_sort_block_merge_config_selectorIiiEEZZNS1_27merge_sort_block_merge_implIS3_N6thrust23THRUST_200600_302600_NS6detail15normal_iteratorINS8_10device_ptrIiEEEESD_jNS1_19radix_merge_compareILb1ELb1EiNS0_19identity_decomposerEEEEE10hipError_tT0_T1_T2_jT3_P12ihipStream_tbPNSt15iterator_traitsISI_E10value_typeEPNSO_ISJ_E10value_typeEPSK_NS1_7vsmem_tEENKUlT_SI_SJ_SK_E_clIPiSD_S10_SD_EESH_SX_SI_SJ_SK_EUlSX_E0_NS1_11comp_targetILNS1_3genE10ELNS1_11target_archE1201ELNS1_3gpuE5ELNS1_3repE0EEENS1_38merge_mergepath_config_static_selectorELNS0_4arch9wavefront6targetE1EEEvSJ_.has_indirect_call, 0
	.section	.AMDGPU.csdata,"",@progbits
; Kernel info:
; codeLenInByte = 0
; TotalNumSgprs: 6
; NumVgprs: 0
; NumAgprs: 0
; TotalNumVgprs: 0
; ScratchSize: 0
; MemoryBound: 0
; FloatMode: 240
; IeeeMode: 1
; LDSByteSize: 0 bytes/workgroup (compile time only)
; SGPRBlocks: 0
; VGPRBlocks: 0
; NumSGPRsForWavesPerEU: 6
; NumVGPRsForWavesPerEU: 1
; AccumOffset: 4
; Occupancy: 8
; WaveLimiterHint : 0
; COMPUTE_PGM_RSRC2:SCRATCH_EN: 0
; COMPUTE_PGM_RSRC2:USER_SGPR: 2
; COMPUTE_PGM_RSRC2:TRAP_HANDLER: 0
; COMPUTE_PGM_RSRC2:TGID_X_EN: 1
; COMPUTE_PGM_RSRC2:TGID_Y_EN: 0
; COMPUTE_PGM_RSRC2:TGID_Z_EN: 0
; COMPUTE_PGM_RSRC2:TIDIG_COMP_CNT: 0
; COMPUTE_PGM_RSRC3_GFX90A:ACCUM_OFFSET: 0
; COMPUTE_PGM_RSRC3_GFX90A:TG_SPLIT: 0
	.section	.text._ZN7rocprim17ROCPRIM_400000_NS6detail17trampoline_kernelINS0_14default_configENS1_38merge_sort_block_merge_config_selectorIiiEEZZNS1_27merge_sort_block_merge_implIS3_N6thrust23THRUST_200600_302600_NS6detail15normal_iteratorINS8_10device_ptrIiEEEESD_jNS1_19radix_merge_compareILb1ELb1EiNS0_19identity_decomposerEEEEE10hipError_tT0_T1_T2_jT3_P12ihipStream_tbPNSt15iterator_traitsISI_E10value_typeEPNSO_ISJ_E10value_typeEPSK_NS1_7vsmem_tEENKUlT_SI_SJ_SK_E_clIPiSD_S10_SD_EESH_SX_SI_SJ_SK_EUlSX_E0_NS1_11comp_targetILNS1_3genE5ELNS1_11target_archE942ELNS1_3gpuE9ELNS1_3repE0EEENS1_38merge_mergepath_config_static_selectorELNS0_4arch9wavefront6targetE1EEEvSJ_,"axG",@progbits,_ZN7rocprim17ROCPRIM_400000_NS6detail17trampoline_kernelINS0_14default_configENS1_38merge_sort_block_merge_config_selectorIiiEEZZNS1_27merge_sort_block_merge_implIS3_N6thrust23THRUST_200600_302600_NS6detail15normal_iteratorINS8_10device_ptrIiEEEESD_jNS1_19radix_merge_compareILb1ELb1EiNS0_19identity_decomposerEEEEE10hipError_tT0_T1_T2_jT3_P12ihipStream_tbPNSt15iterator_traitsISI_E10value_typeEPNSO_ISJ_E10value_typeEPSK_NS1_7vsmem_tEENKUlT_SI_SJ_SK_E_clIPiSD_S10_SD_EESH_SX_SI_SJ_SK_EUlSX_E0_NS1_11comp_targetILNS1_3genE5ELNS1_11target_archE942ELNS1_3gpuE9ELNS1_3repE0EEENS1_38merge_mergepath_config_static_selectorELNS0_4arch9wavefront6targetE1EEEvSJ_,comdat
	.protected	_ZN7rocprim17ROCPRIM_400000_NS6detail17trampoline_kernelINS0_14default_configENS1_38merge_sort_block_merge_config_selectorIiiEEZZNS1_27merge_sort_block_merge_implIS3_N6thrust23THRUST_200600_302600_NS6detail15normal_iteratorINS8_10device_ptrIiEEEESD_jNS1_19radix_merge_compareILb1ELb1EiNS0_19identity_decomposerEEEEE10hipError_tT0_T1_T2_jT3_P12ihipStream_tbPNSt15iterator_traitsISI_E10value_typeEPNSO_ISJ_E10value_typeEPSK_NS1_7vsmem_tEENKUlT_SI_SJ_SK_E_clIPiSD_S10_SD_EESH_SX_SI_SJ_SK_EUlSX_E0_NS1_11comp_targetILNS1_3genE5ELNS1_11target_archE942ELNS1_3gpuE9ELNS1_3repE0EEENS1_38merge_mergepath_config_static_selectorELNS0_4arch9wavefront6targetE1EEEvSJ_ ; -- Begin function _ZN7rocprim17ROCPRIM_400000_NS6detail17trampoline_kernelINS0_14default_configENS1_38merge_sort_block_merge_config_selectorIiiEEZZNS1_27merge_sort_block_merge_implIS3_N6thrust23THRUST_200600_302600_NS6detail15normal_iteratorINS8_10device_ptrIiEEEESD_jNS1_19radix_merge_compareILb1ELb1EiNS0_19identity_decomposerEEEEE10hipError_tT0_T1_T2_jT3_P12ihipStream_tbPNSt15iterator_traitsISI_E10value_typeEPNSO_ISJ_E10value_typeEPSK_NS1_7vsmem_tEENKUlT_SI_SJ_SK_E_clIPiSD_S10_SD_EESH_SX_SI_SJ_SK_EUlSX_E0_NS1_11comp_targetILNS1_3genE5ELNS1_11target_archE942ELNS1_3gpuE9ELNS1_3repE0EEENS1_38merge_mergepath_config_static_selectorELNS0_4arch9wavefront6targetE1EEEvSJ_
	.globl	_ZN7rocprim17ROCPRIM_400000_NS6detail17trampoline_kernelINS0_14default_configENS1_38merge_sort_block_merge_config_selectorIiiEEZZNS1_27merge_sort_block_merge_implIS3_N6thrust23THRUST_200600_302600_NS6detail15normal_iteratorINS8_10device_ptrIiEEEESD_jNS1_19radix_merge_compareILb1ELb1EiNS0_19identity_decomposerEEEEE10hipError_tT0_T1_T2_jT3_P12ihipStream_tbPNSt15iterator_traitsISI_E10value_typeEPNSO_ISJ_E10value_typeEPSK_NS1_7vsmem_tEENKUlT_SI_SJ_SK_E_clIPiSD_S10_SD_EESH_SX_SI_SJ_SK_EUlSX_E0_NS1_11comp_targetILNS1_3genE5ELNS1_11target_archE942ELNS1_3gpuE9ELNS1_3repE0EEENS1_38merge_mergepath_config_static_selectorELNS0_4arch9wavefront6targetE1EEEvSJ_
	.p2align	8
	.type	_ZN7rocprim17ROCPRIM_400000_NS6detail17trampoline_kernelINS0_14default_configENS1_38merge_sort_block_merge_config_selectorIiiEEZZNS1_27merge_sort_block_merge_implIS3_N6thrust23THRUST_200600_302600_NS6detail15normal_iteratorINS8_10device_ptrIiEEEESD_jNS1_19radix_merge_compareILb1ELb1EiNS0_19identity_decomposerEEEEE10hipError_tT0_T1_T2_jT3_P12ihipStream_tbPNSt15iterator_traitsISI_E10value_typeEPNSO_ISJ_E10value_typeEPSK_NS1_7vsmem_tEENKUlT_SI_SJ_SK_E_clIPiSD_S10_SD_EESH_SX_SI_SJ_SK_EUlSX_E0_NS1_11comp_targetILNS1_3genE5ELNS1_11target_archE942ELNS1_3gpuE9ELNS1_3repE0EEENS1_38merge_mergepath_config_static_selectorELNS0_4arch9wavefront6targetE1EEEvSJ_,@function
_ZN7rocprim17ROCPRIM_400000_NS6detail17trampoline_kernelINS0_14default_configENS1_38merge_sort_block_merge_config_selectorIiiEEZZNS1_27merge_sort_block_merge_implIS3_N6thrust23THRUST_200600_302600_NS6detail15normal_iteratorINS8_10device_ptrIiEEEESD_jNS1_19radix_merge_compareILb1ELb1EiNS0_19identity_decomposerEEEEE10hipError_tT0_T1_T2_jT3_P12ihipStream_tbPNSt15iterator_traitsISI_E10value_typeEPNSO_ISJ_E10value_typeEPSK_NS1_7vsmem_tEENKUlT_SI_SJ_SK_E_clIPiSD_S10_SD_EESH_SX_SI_SJ_SK_EUlSX_E0_NS1_11comp_targetILNS1_3genE5ELNS1_11target_archE942ELNS1_3gpuE9ELNS1_3repE0EEENS1_38merge_mergepath_config_static_selectorELNS0_4arch9wavefront6targetE1EEEvSJ_: ; @_ZN7rocprim17ROCPRIM_400000_NS6detail17trampoline_kernelINS0_14default_configENS1_38merge_sort_block_merge_config_selectorIiiEEZZNS1_27merge_sort_block_merge_implIS3_N6thrust23THRUST_200600_302600_NS6detail15normal_iteratorINS8_10device_ptrIiEEEESD_jNS1_19radix_merge_compareILb1ELb1EiNS0_19identity_decomposerEEEEE10hipError_tT0_T1_T2_jT3_P12ihipStream_tbPNSt15iterator_traitsISI_E10value_typeEPNSO_ISJ_E10value_typeEPSK_NS1_7vsmem_tEENKUlT_SI_SJ_SK_E_clIPiSD_S10_SD_EESH_SX_SI_SJ_SK_EUlSX_E0_NS1_11comp_targetILNS1_3genE5ELNS1_11target_archE942ELNS1_3gpuE9ELNS1_3repE0EEENS1_38merge_mergepath_config_static_selectorELNS0_4arch9wavefront6targetE1EEEvSJ_
; %bb.0:
	.section	.rodata,"a",@progbits
	.p2align	6, 0x0
	.amdhsa_kernel _ZN7rocprim17ROCPRIM_400000_NS6detail17trampoline_kernelINS0_14default_configENS1_38merge_sort_block_merge_config_selectorIiiEEZZNS1_27merge_sort_block_merge_implIS3_N6thrust23THRUST_200600_302600_NS6detail15normal_iteratorINS8_10device_ptrIiEEEESD_jNS1_19radix_merge_compareILb1ELb1EiNS0_19identity_decomposerEEEEE10hipError_tT0_T1_T2_jT3_P12ihipStream_tbPNSt15iterator_traitsISI_E10value_typeEPNSO_ISJ_E10value_typeEPSK_NS1_7vsmem_tEENKUlT_SI_SJ_SK_E_clIPiSD_S10_SD_EESH_SX_SI_SJ_SK_EUlSX_E0_NS1_11comp_targetILNS1_3genE5ELNS1_11target_archE942ELNS1_3gpuE9ELNS1_3repE0EEENS1_38merge_mergepath_config_static_selectorELNS0_4arch9wavefront6targetE1EEEvSJ_
		.amdhsa_group_segment_fixed_size 0
		.amdhsa_private_segment_fixed_size 0
		.amdhsa_kernarg_size 64
		.amdhsa_user_sgpr_count 2
		.amdhsa_user_sgpr_dispatch_ptr 0
		.amdhsa_user_sgpr_queue_ptr 0
		.amdhsa_user_sgpr_kernarg_segment_ptr 1
		.amdhsa_user_sgpr_dispatch_id 0
		.amdhsa_user_sgpr_kernarg_preload_length 0
		.amdhsa_user_sgpr_kernarg_preload_offset 0
		.amdhsa_user_sgpr_private_segment_size 0
		.amdhsa_uses_dynamic_stack 0
		.amdhsa_enable_private_segment 0
		.amdhsa_system_sgpr_workgroup_id_x 1
		.amdhsa_system_sgpr_workgroup_id_y 0
		.amdhsa_system_sgpr_workgroup_id_z 0
		.amdhsa_system_sgpr_workgroup_info 0
		.amdhsa_system_vgpr_workitem_id 0
		.amdhsa_next_free_vgpr 1
		.amdhsa_next_free_sgpr 0
		.amdhsa_accum_offset 4
		.amdhsa_reserve_vcc 0
		.amdhsa_float_round_mode_32 0
		.amdhsa_float_round_mode_16_64 0
		.amdhsa_float_denorm_mode_32 3
		.amdhsa_float_denorm_mode_16_64 3
		.amdhsa_dx10_clamp 1
		.amdhsa_ieee_mode 1
		.amdhsa_fp16_overflow 0
		.amdhsa_tg_split 0
		.amdhsa_exception_fp_ieee_invalid_op 0
		.amdhsa_exception_fp_denorm_src 0
		.amdhsa_exception_fp_ieee_div_zero 0
		.amdhsa_exception_fp_ieee_overflow 0
		.amdhsa_exception_fp_ieee_underflow 0
		.amdhsa_exception_fp_ieee_inexact 0
		.amdhsa_exception_int_div_zero 0
	.end_amdhsa_kernel
	.section	.text._ZN7rocprim17ROCPRIM_400000_NS6detail17trampoline_kernelINS0_14default_configENS1_38merge_sort_block_merge_config_selectorIiiEEZZNS1_27merge_sort_block_merge_implIS3_N6thrust23THRUST_200600_302600_NS6detail15normal_iteratorINS8_10device_ptrIiEEEESD_jNS1_19radix_merge_compareILb1ELb1EiNS0_19identity_decomposerEEEEE10hipError_tT0_T1_T2_jT3_P12ihipStream_tbPNSt15iterator_traitsISI_E10value_typeEPNSO_ISJ_E10value_typeEPSK_NS1_7vsmem_tEENKUlT_SI_SJ_SK_E_clIPiSD_S10_SD_EESH_SX_SI_SJ_SK_EUlSX_E0_NS1_11comp_targetILNS1_3genE5ELNS1_11target_archE942ELNS1_3gpuE9ELNS1_3repE0EEENS1_38merge_mergepath_config_static_selectorELNS0_4arch9wavefront6targetE1EEEvSJ_,"axG",@progbits,_ZN7rocprim17ROCPRIM_400000_NS6detail17trampoline_kernelINS0_14default_configENS1_38merge_sort_block_merge_config_selectorIiiEEZZNS1_27merge_sort_block_merge_implIS3_N6thrust23THRUST_200600_302600_NS6detail15normal_iteratorINS8_10device_ptrIiEEEESD_jNS1_19radix_merge_compareILb1ELb1EiNS0_19identity_decomposerEEEEE10hipError_tT0_T1_T2_jT3_P12ihipStream_tbPNSt15iterator_traitsISI_E10value_typeEPNSO_ISJ_E10value_typeEPSK_NS1_7vsmem_tEENKUlT_SI_SJ_SK_E_clIPiSD_S10_SD_EESH_SX_SI_SJ_SK_EUlSX_E0_NS1_11comp_targetILNS1_3genE5ELNS1_11target_archE942ELNS1_3gpuE9ELNS1_3repE0EEENS1_38merge_mergepath_config_static_selectorELNS0_4arch9wavefront6targetE1EEEvSJ_,comdat
.Lfunc_end1781:
	.size	_ZN7rocprim17ROCPRIM_400000_NS6detail17trampoline_kernelINS0_14default_configENS1_38merge_sort_block_merge_config_selectorIiiEEZZNS1_27merge_sort_block_merge_implIS3_N6thrust23THRUST_200600_302600_NS6detail15normal_iteratorINS8_10device_ptrIiEEEESD_jNS1_19radix_merge_compareILb1ELb1EiNS0_19identity_decomposerEEEEE10hipError_tT0_T1_T2_jT3_P12ihipStream_tbPNSt15iterator_traitsISI_E10value_typeEPNSO_ISJ_E10value_typeEPSK_NS1_7vsmem_tEENKUlT_SI_SJ_SK_E_clIPiSD_S10_SD_EESH_SX_SI_SJ_SK_EUlSX_E0_NS1_11comp_targetILNS1_3genE5ELNS1_11target_archE942ELNS1_3gpuE9ELNS1_3repE0EEENS1_38merge_mergepath_config_static_selectorELNS0_4arch9wavefront6targetE1EEEvSJ_, .Lfunc_end1781-_ZN7rocprim17ROCPRIM_400000_NS6detail17trampoline_kernelINS0_14default_configENS1_38merge_sort_block_merge_config_selectorIiiEEZZNS1_27merge_sort_block_merge_implIS3_N6thrust23THRUST_200600_302600_NS6detail15normal_iteratorINS8_10device_ptrIiEEEESD_jNS1_19radix_merge_compareILb1ELb1EiNS0_19identity_decomposerEEEEE10hipError_tT0_T1_T2_jT3_P12ihipStream_tbPNSt15iterator_traitsISI_E10value_typeEPNSO_ISJ_E10value_typeEPSK_NS1_7vsmem_tEENKUlT_SI_SJ_SK_E_clIPiSD_S10_SD_EESH_SX_SI_SJ_SK_EUlSX_E0_NS1_11comp_targetILNS1_3genE5ELNS1_11target_archE942ELNS1_3gpuE9ELNS1_3repE0EEENS1_38merge_mergepath_config_static_selectorELNS0_4arch9wavefront6targetE1EEEvSJ_
                                        ; -- End function
	.set _ZN7rocprim17ROCPRIM_400000_NS6detail17trampoline_kernelINS0_14default_configENS1_38merge_sort_block_merge_config_selectorIiiEEZZNS1_27merge_sort_block_merge_implIS3_N6thrust23THRUST_200600_302600_NS6detail15normal_iteratorINS8_10device_ptrIiEEEESD_jNS1_19radix_merge_compareILb1ELb1EiNS0_19identity_decomposerEEEEE10hipError_tT0_T1_T2_jT3_P12ihipStream_tbPNSt15iterator_traitsISI_E10value_typeEPNSO_ISJ_E10value_typeEPSK_NS1_7vsmem_tEENKUlT_SI_SJ_SK_E_clIPiSD_S10_SD_EESH_SX_SI_SJ_SK_EUlSX_E0_NS1_11comp_targetILNS1_3genE5ELNS1_11target_archE942ELNS1_3gpuE9ELNS1_3repE0EEENS1_38merge_mergepath_config_static_selectorELNS0_4arch9wavefront6targetE1EEEvSJ_.num_vgpr, 0
	.set _ZN7rocprim17ROCPRIM_400000_NS6detail17trampoline_kernelINS0_14default_configENS1_38merge_sort_block_merge_config_selectorIiiEEZZNS1_27merge_sort_block_merge_implIS3_N6thrust23THRUST_200600_302600_NS6detail15normal_iteratorINS8_10device_ptrIiEEEESD_jNS1_19radix_merge_compareILb1ELb1EiNS0_19identity_decomposerEEEEE10hipError_tT0_T1_T2_jT3_P12ihipStream_tbPNSt15iterator_traitsISI_E10value_typeEPNSO_ISJ_E10value_typeEPSK_NS1_7vsmem_tEENKUlT_SI_SJ_SK_E_clIPiSD_S10_SD_EESH_SX_SI_SJ_SK_EUlSX_E0_NS1_11comp_targetILNS1_3genE5ELNS1_11target_archE942ELNS1_3gpuE9ELNS1_3repE0EEENS1_38merge_mergepath_config_static_selectorELNS0_4arch9wavefront6targetE1EEEvSJ_.num_agpr, 0
	.set _ZN7rocprim17ROCPRIM_400000_NS6detail17trampoline_kernelINS0_14default_configENS1_38merge_sort_block_merge_config_selectorIiiEEZZNS1_27merge_sort_block_merge_implIS3_N6thrust23THRUST_200600_302600_NS6detail15normal_iteratorINS8_10device_ptrIiEEEESD_jNS1_19radix_merge_compareILb1ELb1EiNS0_19identity_decomposerEEEEE10hipError_tT0_T1_T2_jT3_P12ihipStream_tbPNSt15iterator_traitsISI_E10value_typeEPNSO_ISJ_E10value_typeEPSK_NS1_7vsmem_tEENKUlT_SI_SJ_SK_E_clIPiSD_S10_SD_EESH_SX_SI_SJ_SK_EUlSX_E0_NS1_11comp_targetILNS1_3genE5ELNS1_11target_archE942ELNS1_3gpuE9ELNS1_3repE0EEENS1_38merge_mergepath_config_static_selectorELNS0_4arch9wavefront6targetE1EEEvSJ_.numbered_sgpr, 0
	.set _ZN7rocprim17ROCPRIM_400000_NS6detail17trampoline_kernelINS0_14default_configENS1_38merge_sort_block_merge_config_selectorIiiEEZZNS1_27merge_sort_block_merge_implIS3_N6thrust23THRUST_200600_302600_NS6detail15normal_iteratorINS8_10device_ptrIiEEEESD_jNS1_19radix_merge_compareILb1ELb1EiNS0_19identity_decomposerEEEEE10hipError_tT0_T1_T2_jT3_P12ihipStream_tbPNSt15iterator_traitsISI_E10value_typeEPNSO_ISJ_E10value_typeEPSK_NS1_7vsmem_tEENKUlT_SI_SJ_SK_E_clIPiSD_S10_SD_EESH_SX_SI_SJ_SK_EUlSX_E0_NS1_11comp_targetILNS1_3genE5ELNS1_11target_archE942ELNS1_3gpuE9ELNS1_3repE0EEENS1_38merge_mergepath_config_static_selectorELNS0_4arch9wavefront6targetE1EEEvSJ_.num_named_barrier, 0
	.set _ZN7rocprim17ROCPRIM_400000_NS6detail17trampoline_kernelINS0_14default_configENS1_38merge_sort_block_merge_config_selectorIiiEEZZNS1_27merge_sort_block_merge_implIS3_N6thrust23THRUST_200600_302600_NS6detail15normal_iteratorINS8_10device_ptrIiEEEESD_jNS1_19radix_merge_compareILb1ELb1EiNS0_19identity_decomposerEEEEE10hipError_tT0_T1_T2_jT3_P12ihipStream_tbPNSt15iterator_traitsISI_E10value_typeEPNSO_ISJ_E10value_typeEPSK_NS1_7vsmem_tEENKUlT_SI_SJ_SK_E_clIPiSD_S10_SD_EESH_SX_SI_SJ_SK_EUlSX_E0_NS1_11comp_targetILNS1_3genE5ELNS1_11target_archE942ELNS1_3gpuE9ELNS1_3repE0EEENS1_38merge_mergepath_config_static_selectorELNS0_4arch9wavefront6targetE1EEEvSJ_.private_seg_size, 0
	.set _ZN7rocprim17ROCPRIM_400000_NS6detail17trampoline_kernelINS0_14default_configENS1_38merge_sort_block_merge_config_selectorIiiEEZZNS1_27merge_sort_block_merge_implIS3_N6thrust23THRUST_200600_302600_NS6detail15normal_iteratorINS8_10device_ptrIiEEEESD_jNS1_19radix_merge_compareILb1ELb1EiNS0_19identity_decomposerEEEEE10hipError_tT0_T1_T2_jT3_P12ihipStream_tbPNSt15iterator_traitsISI_E10value_typeEPNSO_ISJ_E10value_typeEPSK_NS1_7vsmem_tEENKUlT_SI_SJ_SK_E_clIPiSD_S10_SD_EESH_SX_SI_SJ_SK_EUlSX_E0_NS1_11comp_targetILNS1_3genE5ELNS1_11target_archE942ELNS1_3gpuE9ELNS1_3repE0EEENS1_38merge_mergepath_config_static_selectorELNS0_4arch9wavefront6targetE1EEEvSJ_.uses_vcc, 0
	.set _ZN7rocprim17ROCPRIM_400000_NS6detail17trampoline_kernelINS0_14default_configENS1_38merge_sort_block_merge_config_selectorIiiEEZZNS1_27merge_sort_block_merge_implIS3_N6thrust23THRUST_200600_302600_NS6detail15normal_iteratorINS8_10device_ptrIiEEEESD_jNS1_19radix_merge_compareILb1ELb1EiNS0_19identity_decomposerEEEEE10hipError_tT0_T1_T2_jT3_P12ihipStream_tbPNSt15iterator_traitsISI_E10value_typeEPNSO_ISJ_E10value_typeEPSK_NS1_7vsmem_tEENKUlT_SI_SJ_SK_E_clIPiSD_S10_SD_EESH_SX_SI_SJ_SK_EUlSX_E0_NS1_11comp_targetILNS1_3genE5ELNS1_11target_archE942ELNS1_3gpuE9ELNS1_3repE0EEENS1_38merge_mergepath_config_static_selectorELNS0_4arch9wavefront6targetE1EEEvSJ_.uses_flat_scratch, 0
	.set _ZN7rocprim17ROCPRIM_400000_NS6detail17trampoline_kernelINS0_14default_configENS1_38merge_sort_block_merge_config_selectorIiiEEZZNS1_27merge_sort_block_merge_implIS3_N6thrust23THRUST_200600_302600_NS6detail15normal_iteratorINS8_10device_ptrIiEEEESD_jNS1_19radix_merge_compareILb1ELb1EiNS0_19identity_decomposerEEEEE10hipError_tT0_T1_T2_jT3_P12ihipStream_tbPNSt15iterator_traitsISI_E10value_typeEPNSO_ISJ_E10value_typeEPSK_NS1_7vsmem_tEENKUlT_SI_SJ_SK_E_clIPiSD_S10_SD_EESH_SX_SI_SJ_SK_EUlSX_E0_NS1_11comp_targetILNS1_3genE5ELNS1_11target_archE942ELNS1_3gpuE9ELNS1_3repE0EEENS1_38merge_mergepath_config_static_selectorELNS0_4arch9wavefront6targetE1EEEvSJ_.has_dyn_sized_stack, 0
	.set _ZN7rocprim17ROCPRIM_400000_NS6detail17trampoline_kernelINS0_14default_configENS1_38merge_sort_block_merge_config_selectorIiiEEZZNS1_27merge_sort_block_merge_implIS3_N6thrust23THRUST_200600_302600_NS6detail15normal_iteratorINS8_10device_ptrIiEEEESD_jNS1_19radix_merge_compareILb1ELb1EiNS0_19identity_decomposerEEEEE10hipError_tT0_T1_T2_jT3_P12ihipStream_tbPNSt15iterator_traitsISI_E10value_typeEPNSO_ISJ_E10value_typeEPSK_NS1_7vsmem_tEENKUlT_SI_SJ_SK_E_clIPiSD_S10_SD_EESH_SX_SI_SJ_SK_EUlSX_E0_NS1_11comp_targetILNS1_3genE5ELNS1_11target_archE942ELNS1_3gpuE9ELNS1_3repE0EEENS1_38merge_mergepath_config_static_selectorELNS0_4arch9wavefront6targetE1EEEvSJ_.has_recursion, 0
	.set _ZN7rocprim17ROCPRIM_400000_NS6detail17trampoline_kernelINS0_14default_configENS1_38merge_sort_block_merge_config_selectorIiiEEZZNS1_27merge_sort_block_merge_implIS3_N6thrust23THRUST_200600_302600_NS6detail15normal_iteratorINS8_10device_ptrIiEEEESD_jNS1_19radix_merge_compareILb1ELb1EiNS0_19identity_decomposerEEEEE10hipError_tT0_T1_T2_jT3_P12ihipStream_tbPNSt15iterator_traitsISI_E10value_typeEPNSO_ISJ_E10value_typeEPSK_NS1_7vsmem_tEENKUlT_SI_SJ_SK_E_clIPiSD_S10_SD_EESH_SX_SI_SJ_SK_EUlSX_E0_NS1_11comp_targetILNS1_3genE5ELNS1_11target_archE942ELNS1_3gpuE9ELNS1_3repE0EEENS1_38merge_mergepath_config_static_selectorELNS0_4arch9wavefront6targetE1EEEvSJ_.has_indirect_call, 0
	.section	.AMDGPU.csdata,"",@progbits
; Kernel info:
; codeLenInByte = 0
; TotalNumSgprs: 6
; NumVgprs: 0
; NumAgprs: 0
; TotalNumVgprs: 0
; ScratchSize: 0
; MemoryBound: 0
; FloatMode: 240
; IeeeMode: 1
; LDSByteSize: 0 bytes/workgroup (compile time only)
; SGPRBlocks: 0
; VGPRBlocks: 0
; NumSGPRsForWavesPerEU: 6
; NumVGPRsForWavesPerEU: 1
; AccumOffset: 4
; Occupancy: 8
; WaveLimiterHint : 0
; COMPUTE_PGM_RSRC2:SCRATCH_EN: 0
; COMPUTE_PGM_RSRC2:USER_SGPR: 2
; COMPUTE_PGM_RSRC2:TRAP_HANDLER: 0
; COMPUTE_PGM_RSRC2:TGID_X_EN: 1
; COMPUTE_PGM_RSRC2:TGID_Y_EN: 0
; COMPUTE_PGM_RSRC2:TGID_Z_EN: 0
; COMPUTE_PGM_RSRC2:TIDIG_COMP_CNT: 0
; COMPUTE_PGM_RSRC3_GFX90A:ACCUM_OFFSET: 0
; COMPUTE_PGM_RSRC3_GFX90A:TG_SPLIT: 0
	.section	.text._ZN7rocprim17ROCPRIM_400000_NS6detail17trampoline_kernelINS0_14default_configENS1_38merge_sort_block_merge_config_selectorIiiEEZZNS1_27merge_sort_block_merge_implIS3_N6thrust23THRUST_200600_302600_NS6detail15normal_iteratorINS8_10device_ptrIiEEEESD_jNS1_19radix_merge_compareILb1ELb1EiNS0_19identity_decomposerEEEEE10hipError_tT0_T1_T2_jT3_P12ihipStream_tbPNSt15iterator_traitsISI_E10value_typeEPNSO_ISJ_E10value_typeEPSK_NS1_7vsmem_tEENKUlT_SI_SJ_SK_E_clIPiSD_S10_SD_EESH_SX_SI_SJ_SK_EUlSX_E0_NS1_11comp_targetILNS1_3genE4ELNS1_11target_archE910ELNS1_3gpuE8ELNS1_3repE0EEENS1_38merge_mergepath_config_static_selectorELNS0_4arch9wavefront6targetE1EEEvSJ_,"axG",@progbits,_ZN7rocprim17ROCPRIM_400000_NS6detail17trampoline_kernelINS0_14default_configENS1_38merge_sort_block_merge_config_selectorIiiEEZZNS1_27merge_sort_block_merge_implIS3_N6thrust23THRUST_200600_302600_NS6detail15normal_iteratorINS8_10device_ptrIiEEEESD_jNS1_19radix_merge_compareILb1ELb1EiNS0_19identity_decomposerEEEEE10hipError_tT0_T1_T2_jT3_P12ihipStream_tbPNSt15iterator_traitsISI_E10value_typeEPNSO_ISJ_E10value_typeEPSK_NS1_7vsmem_tEENKUlT_SI_SJ_SK_E_clIPiSD_S10_SD_EESH_SX_SI_SJ_SK_EUlSX_E0_NS1_11comp_targetILNS1_3genE4ELNS1_11target_archE910ELNS1_3gpuE8ELNS1_3repE0EEENS1_38merge_mergepath_config_static_selectorELNS0_4arch9wavefront6targetE1EEEvSJ_,comdat
	.protected	_ZN7rocprim17ROCPRIM_400000_NS6detail17trampoline_kernelINS0_14default_configENS1_38merge_sort_block_merge_config_selectorIiiEEZZNS1_27merge_sort_block_merge_implIS3_N6thrust23THRUST_200600_302600_NS6detail15normal_iteratorINS8_10device_ptrIiEEEESD_jNS1_19radix_merge_compareILb1ELb1EiNS0_19identity_decomposerEEEEE10hipError_tT0_T1_T2_jT3_P12ihipStream_tbPNSt15iterator_traitsISI_E10value_typeEPNSO_ISJ_E10value_typeEPSK_NS1_7vsmem_tEENKUlT_SI_SJ_SK_E_clIPiSD_S10_SD_EESH_SX_SI_SJ_SK_EUlSX_E0_NS1_11comp_targetILNS1_3genE4ELNS1_11target_archE910ELNS1_3gpuE8ELNS1_3repE0EEENS1_38merge_mergepath_config_static_selectorELNS0_4arch9wavefront6targetE1EEEvSJ_ ; -- Begin function _ZN7rocprim17ROCPRIM_400000_NS6detail17trampoline_kernelINS0_14default_configENS1_38merge_sort_block_merge_config_selectorIiiEEZZNS1_27merge_sort_block_merge_implIS3_N6thrust23THRUST_200600_302600_NS6detail15normal_iteratorINS8_10device_ptrIiEEEESD_jNS1_19radix_merge_compareILb1ELb1EiNS0_19identity_decomposerEEEEE10hipError_tT0_T1_T2_jT3_P12ihipStream_tbPNSt15iterator_traitsISI_E10value_typeEPNSO_ISJ_E10value_typeEPSK_NS1_7vsmem_tEENKUlT_SI_SJ_SK_E_clIPiSD_S10_SD_EESH_SX_SI_SJ_SK_EUlSX_E0_NS1_11comp_targetILNS1_3genE4ELNS1_11target_archE910ELNS1_3gpuE8ELNS1_3repE0EEENS1_38merge_mergepath_config_static_selectorELNS0_4arch9wavefront6targetE1EEEvSJ_
	.globl	_ZN7rocprim17ROCPRIM_400000_NS6detail17trampoline_kernelINS0_14default_configENS1_38merge_sort_block_merge_config_selectorIiiEEZZNS1_27merge_sort_block_merge_implIS3_N6thrust23THRUST_200600_302600_NS6detail15normal_iteratorINS8_10device_ptrIiEEEESD_jNS1_19radix_merge_compareILb1ELb1EiNS0_19identity_decomposerEEEEE10hipError_tT0_T1_T2_jT3_P12ihipStream_tbPNSt15iterator_traitsISI_E10value_typeEPNSO_ISJ_E10value_typeEPSK_NS1_7vsmem_tEENKUlT_SI_SJ_SK_E_clIPiSD_S10_SD_EESH_SX_SI_SJ_SK_EUlSX_E0_NS1_11comp_targetILNS1_3genE4ELNS1_11target_archE910ELNS1_3gpuE8ELNS1_3repE0EEENS1_38merge_mergepath_config_static_selectorELNS0_4arch9wavefront6targetE1EEEvSJ_
	.p2align	8
	.type	_ZN7rocprim17ROCPRIM_400000_NS6detail17trampoline_kernelINS0_14default_configENS1_38merge_sort_block_merge_config_selectorIiiEEZZNS1_27merge_sort_block_merge_implIS3_N6thrust23THRUST_200600_302600_NS6detail15normal_iteratorINS8_10device_ptrIiEEEESD_jNS1_19radix_merge_compareILb1ELb1EiNS0_19identity_decomposerEEEEE10hipError_tT0_T1_T2_jT3_P12ihipStream_tbPNSt15iterator_traitsISI_E10value_typeEPNSO_ISJ_E10value_typeEPSK_NS1_7vsmem_tEENKUlT_SI_SJ_SK_E_clIPiSD_S10_SD_EESH_SX_SI_SJ_SK_EUlSX_E0_NS1_11comp_targetILNS1_3genE4ELNS1_11target_archE910ELNS1_3gpuE8ELNS1_3repE0EEENS1_38merge_mergepath_config_static_selectorELNS0_4arch9wavefront6targetE1EEEvSJ_,@function
_ZN7rocprim17ROCPRIM_400000_NS6detail17trampoline_kernelINS0_14default_configENS1_38merge_sort_block_merge_config_selectorIiiEEZZNS1_27merge_sort_block_merge_implIS3_N6thrust23THRUST_200600_302600_NS6detail15normal_iteratorINS8_10device_ptrIiEEEESD_jNS1_19radix_merge_compareILb1ELb1EiNS0_19identity_decomposerEEEEE10hipError_tT0_T1_T2_jT3_P12ihipStream_tbPNSt15iterator_traitsISI_E10value_typeEPNSO_ISJ_E10value_typeEPSK_NS1_7vsmem_tEENKUlT_SI_SJ_SK_E_clIPiSD_S10_SD_EESH_SX_SI_SJ_SK_EUlSX_E0_NS1_11comp_targetILNS1_3genE4ELNS1_11target_archE910ELNS1_3gpuE8ELNS1_3repE0EEENS1_38merge_mergepath_config_static_selectorELNS0_4arch9wavefront6targetE1EEEvSJ_: ; @_ZN7rocprim17ROCPRIM_400000_NS6detail17trampoline_kernelINS0_14default_configENS1_38merge_sort_block_merge_config_selectorIiiEEZZNS1_27merge_sort_block_merge_implIS3_N6thrust23THRUST_200600_302600_NS6detail15normal_iteratorINS8_10device_ptrIiEEEESD_jNS1_19radix_merge_compareILb1ELb1EiNS0_19identity_decomposerEEEEE10hipError_tT0_T1_T2_jT3_P12ihipStream_tbPNSt15iterator_traitsISI_E10value_typeEPNSO_ISJ_E10value_typeEPSK_NS1_7vsmem_tEENKUlT_SI_SJ_SK_E_clIPiSD_S10_SD_EESH_SX_SI_SJ_SK_EUlSX_E0_NS1_11comp_targetILNS1_3genE4ELNS1_11target_archE910ELNS1_3gpuE8ELNS1_3repE0EEENS1_38merge_mergepath_config_static_selectorELNS0_4arch9wavefront6targetE1EEEvSJ_
; %bb.0:
	.section	.rodata,"a",@progbits
	.p2align	6, 0x0
	.amdhsa_kernel _ZN7rocprim17ROCPRIM_400000_NS6detail17trampoline_kernelINS0_14default_configENS1_38merge_sort_block_merge_config_selectorIiiEEZZNS1_27merge_sort_block_merge_implIS3_N6thrust23THRUST_200600_302600_NS6detail15normal_iteratorINS8_10device_ptrIiEEEESD_jNS1_19radix_merge_compareILb1ELb1EiNS0_19identity_decomposerEEEEE10hipError_tT0_T1_T2_jT3_P12ihipStream_tbPNSt15iterator_traitsISI_E10value_typeEPNSO_ISJ_E10value_typeEPSK_NS1_7vsmem_tEENKUlT_SI_SJ_SK_E_clIPiSD_S10_SD_EESH_SX_SI_SJ_SK_EUlSX_E0_NS1_11comp_targetILNS1_3genE4ELNS1_11target_archE910ELNS1_3gpuE8ELNS1_3repE0EEENS1_38merge_mergepath_config_static_selectorELNS0_4arch9wavefront6targetE1EEEvSJ_
		.amdhsa_group_segment_fixed_size 0
		.amdhsa_private_segment_fixed_size 0
		.amdhsa_kernarg_size 64
		.amdhsa_user_sgpr_count 2
		.amdhsa_user_sgpr_dispatch_ptr 0
		.amdhsa_user_sgpr_queue_ptr 0
		.amdhsa_user_sgpr_kernarg_segment_ptr 1
		.amdhsa_user_sgpr_dispatch_id 0
		.amdhsa_user_sgpr_kernarg_preload_length 0
		.amdhsa_user_sgpr_kernarg_preload_offset 0
		.amdhsa_user_sgpr_private_segment_size 0
		.amdhsa_uses_dynamic_stack 0
		.amdhsa_enable_private_segment 0
		.amdhsa_system_sgpr_workgroup_id_x 1
		.amdhsa_system_sgpr_workgroup_id_y 0
		.amdhsa_system_sgpr_workgroup_id_z 0
		.amdhsa_system_sgpr_workgroup_info 0
		.amdhsa_system_vgpr_workitem_id 0
		.amdhsa_next_free_vgpr 1
		.amdhsa_next_free_sgpr 0
		.amdhsa_accum_offset 4
		.amdhsa_reserve_vcc 0
		.amdhsa_float_round_mode_32 0
		.amdhsa_float_round_mode_16_64 0
		.amdhsa_float_denorm_mode_32 3
		.amdhsa_float_denorm_mode_16_64 3
		.amdhsa_dx10_clamp 1
		.amdhsa_ieee_mode 1
		.amdhsa_fp16_overflow 0
		.amdhsa_tg_split 0
		.amdhsa_exception_fp_ieee_invalid_op 0
		.amdhsa_exception_fp_denorm_src 0
		.amdhsa_exception_fp_ieee_div_zero 0
		.amdhsa_exception_fp_ieee_overflow 0
		.amdhsa_exception_fp_ieee_underflow 0
		.amdhsa_exception_fp_ieee_inexact 0
		.amdhsa_exception_int_div_zero 0
	.end_amdhsa_kernel
	.section	.text._ZN7rocprim17ROCPRIM_400000_NS6detail17trampoline_kernelINS0_14default_configENS1_38merge_sort_block_merge_config_selectorIiiEEZZNS1_27merge_sort_block_merge_implIS3_N6thrust23THRUST_200600_302600_NS6detail15normal_iteratorINS8_10device_ptrIiEEEESD_jNS1_19radix_merge_compareILb1ELb1EiNS0_19identity_decomposerEEEEE10hipError_tT0_T1_T2_jT3_P12ihipStream_tbPNSt15iterator_traitsISI_E10value_typeEPNSO_ISJ_E10value_typeEPSK_NS1_7vsmem_tEENKUlT_SI_SJ_SK_E_clIPiSD_S10_SD_EESH_SX_SI_SJ_SK_EUlSX_E0_NS1_11comp_targetILNS1_3genE4ELNS1_11target_archE910ELNS1_3gpuE8ELNS1_3repE0EEENS1_38merge_mergepath_config_static_selectorELNS0_4arch9wavefront6targetE1EEEvSJ_,"axG",@progbits,_ZN7rocprim17ROCPRIM_400000_NS6detail17trampoline_kernelINS0_14default_configENS1_38merge_sort_block_merge_config_selectorIiiEEZZNS1_27merge_sort_block_merge_implIS3_N6thrust23THRUST_200600_302600_NS6detail15normal_iteratorINS8_10device_ptrIiEEEESD_jNS1_19radix_merge_compareILb1ELb1EiNS0_19identity_decomposerEEEEE10hipError_tT0_T1_T2_jT3_P12ihipStream_tbPNSt15iterator_traitsISI_E10value_typeEPNSO_ISJ_E10value_typeEPSK_NS1_7vsmem_tEENKUlT_SI_SJ_SK_E_clIPiSD_S10_SD_EESH_SX_SI_SJ_SK_EUlSX_E0_NS1_11comp_targetILNS1_3genE4ELNS1_11target_archE910ELNS1_3gpuE8ELNS1_3repE0EEENS1_38merge_mergepath_config_static_selectorELNS0_4arch9wavefront6targetE1EEEvSJ_,comdat
.Lfunc_end1782:
	.size	_ZN7rocprim17ROCPRIM_400000_NS6detail17trampoline_kernelINS0_14default_configENS1_38merge_sort_block_merge_config_selectorIiiEEZZNS1_27merge_sort_block_merge_implIS3_N6thrust23THRUST_200600_302600_NS6detail15normal_iteratorINS8_10device_ptrIiEEEESD_jNS1_19radix_merge_compareILb1ELb1EiNS0_19identity_decomposerEEEEE10hipError_tT0_T1_T2_jT3_P12ihipStream_tbPNSt15iterator_traitsISI_E10value_typeEPNSO_ISJ_E10value_typeEPSK_NS1_7vsmem_tEENKUlT_SI_SJ_SK_E_clIPiSD_S10_SD_EESH_SX_SI_SJ_SK_EUlSX_E0_NS1_11comp_targetILNS1_3genE4ELNS1_11target_archE910ELNS1_3gpuE8ELNS1_3repE0EEENS1_38merge_mergepath_config_static_selectorELNS0_4arch9wavefront6targetE1EEEvSJ_, .Lfunc_end1782-_ZN7rocprim17ROCPRIM_400000_NS6detail17trampoline_kernelINS0_14default_configENS1_38merge_sort_block_merge_config_selectorIiiEEZZNS1_27merge_sort_block_merge_implIS3_N6thrust23THRUST_200600_302600_NS6detail15normal_iteratorINS8_10device_ptrIiEEEESD_jNS1_19radix_merge_compareILb1ELb1EiNS0_19identity_decomposerEEEEE10hipError_tT0_T1_T2_jT3_P12ihipStream_tbPNSt15iterator_traitsISI_E10value_typeEPNSO_ISJ_E10value_typeEPSK_NS1_7vsmem_tEENKUlT_SI_SJ_SK_E_clIPiSD_S10_SD_EESH_SX_SI_SJ_SK_EUlSX_E0_NS1_11comp_targetILNS1_3genE4ELNS1_11target_archE910ELNS1_3gpuE8ELNS1_3repE0EEENS1_38merge_mergepath_config_static_selectorELNS0_4arch9wavefront6targetE1EEEvSJ_
                                        ; -- End function
	.set _ZN7rocprim17ROCPRIM_400000_NS6detail17trampoline_kernelINS0_14default_configENS1_38merge_sort_block_merge_config_selectorIiiEEZZNS1_27merge_sort_block_merge_implIS3_N6thrust23THRUST_200600_302600_NS6detail15normal_iteratorINS8_10device_ptrIiEEEESD_jNS1_19radix_merge_compareILb1ELb1EiNS0_19identity_decomposerEEEEE10hipError_tT0_T1_T2_jT3_P12ihipStream_tbPNSt15iterator_traitsISI_E10value_typeEPNSO_ISJ_E10value_typeEPSK_NS1_7vsmem_tEENKUlT_SI_SJ_SK_E_clIPiSD_S10_SD_EESH_SX_SI_SJ_SK_EUlSX_E0_NS1_11comp_targetILNS1_3genE4ELNS1_11target_archE910ELNS1_3gpuE8ELNS1_3repE0EEENS1_38merge_mergepath_config_static_selectorELNS0_4arch9wavefront6targetE1EEEvSJ_.num_vgpr, 0
	.set _ZN7rocprim17ROCPRIM_400000_NS6detail17trampoline_kernelINS0_14default_configENS1_38merge_sort_block_merge_config_selectorIiiEEZZNS1_27merge_sort_block_merge_implIS3_N6thrust23THRUST_200600_302600_NS6detail15normal_iteratorINS8_10device_ptrIiEEEESD_jNS1_19radix_merge_compareILb1ELb1EiNS0_19identity_decomposerEEEEE10hipError_tT0_T1_T2_jT3_P12ihipStream_tbPNSt15iterator_traitsISI_E10value_typeEPNSO_ISJ_E10value_typeEPSK_NS1_7vsmem_tEENKUlT_SI_SJ_SK_E_clIPiSD_S10_SD_EESH_SX_SI_SJ_SK_EUlSX_E0_NS1_11comp_targetILNS1_3genE4ELNS1_11target_archE910ELNS1_3gpuE8ELNS1_3repE0EEENS1_38merge_mergepath_config_static_selectorELNS0_4arch9wavefront6targetE1EEEvSJ_.num_agpr, 0
	.set _ZN7rocprim17ROCPRIM_400000_NS6detail17trampoline_kernelINS0_14default_configENS1_38merge_sort_block_merge_config_selectorIiiEEZZNS1_27merge_sort_block_merge_implIS3_N6thrust23THRUST_200600_302600_NS6detail15normal_iteratorINS8_10device_ptrIiEEEESD_jNS1_19radix_merge_compareILb1ELb1EiNS0_19identity_decomposerEEEEE10hipError_tT0_T1_T2_jT3_P12ihipStream_tbPNSt15iterator_traitsISI_E10value_typeEPNSO_ISJ_E10value_typeEPSK_NS1_7vsmem_tEENKUlT_SI_SJ_SK_E_clIPiSD_S10_SD_EESH_SX_SI_SJ_SK_EUlSX_E0_NS1_11comp_targetILNS1_3genE4ELNS1_11target_archE910ELNS1_3gpuE8ELNS1_3repE0EEENS1_38merge_mergepath_config_static_selectorELNS0_4arch9wavefront6targetE1EEEvSJ_.numbered_sgpr, 0
	.set _ZN7rocprim17ROCPRIM_400000_NS6detail17trampoline_kernelINS0_14default_configENS1_38merge_sort_block_merge_config_selectorIiiEEZZNS1_27merge_sort_block_merge_implIS3_N6thrust23THRUST_200600_302600_NS6detail15normal_iteratorINS8_10device_ptrIiEEEESD_jNS1_19radix_merge_compareILb1ELb1EiNS0_19identity_decomposerEEEEE10hipError_tT0_T1_T2_jT3_P12ihipStream_tbPNSt15iterator_traitsISI_E10value_typeEPNSO_ISJ_E10value_typeEPSK_NS1_7vsmem_tEENKUlT_SI_SJ_SK_E_clIPiSD_S10_SD_EESH_SX_SI_SJ_SK_EUlSX_E0_NS1_11comp_targetILNS1_3genE4ELNS1_11target_archE910ELNS1_3gpuE8ELNS1_3repE0EEENS1_38merge_mergepath_config_static_selectorELNS0_4arch9wavefront6targetE1EEEvSJ_.num_named_barrier, 0
	.set _ZN7rocprim17ROCPRIM_400000_NS6detail17trampoline_kernelINS0_14default_configENS1_38merge_sort_block_merge_config_selectorIiiEEZZNS1_27merge_sort_block_merge_implIS3_N6thrust23THRUST_200600_302600_NS6detail15normal_iteratorINS8_10device_ptrIiEEEESD_jNS1_19radix_merge_compareILb1ELb1EiNS0_19identity_decomposerEEEEE10hipError_tT0_T1_T2_jT3_P12ihipStream_tbPNSt15iterator_traitsISI_E10value_typeEPNSO_ISJ_E10value_typeEPSK_NS1_7vsmem_tEENKUlT_SI_SJ_SK_E_clIPiSD_S10_SD_EESH_SX_SI_SJ_SK_EUlSX_E0_NS1_11comp_targetILNS1_3genE4ELNS1_11target_archE910ELNS1_3gpuE8ELNS1_3repE0EEENS1_38merge_mergepath_config_static_selectorELNS0_4arch9wavefront6targetE1EEEvSJ_.private_seg_size, 0
	.set _ZN7rocprim17ROCPRIM_400000_NS6detail17trampoline_kernelINS0_14default_configENS1_38merge_sort_block_merge_config_selectorIiiEEZZNS1_27merge_sort_block_merge_implIS3_N6thrust23THRUST_200600_302600_NS6detail15normal_iteratorINS8_10device_ptrIiEEEESD_jNS1_19radix_merge_compareILb1ELb1EiNS0_19identity_decomposerEEEEE10hipError_tT0_T1_T2_jT3_P12ihipStream_tbPNSt15iterator_traitsISI_E10value_typeEPNSO_ISJ_E10value_typeEPSK_NS1_7vsmem_tEENKUlT_SI_SJ_SK_E_clIPiSD_S10_SD_EESH_SX_SI_SJ_SK_EUlSX_E0_NS1_11comp_targetILNS1_3genE4ELNS1_11target_archE910ELNS1_3gpuE8ELNS1_3repE0EEENS1_38merge_mergepath_config_static_selectorELNS0_4arch9wavefront6targetE1EEEvSJ_.uses_vcc, 0
	.set _ZN7rocprim17ROCPRIM_400000_NS6detail17trampoline_kernelINS0_14default_configENS1_38merge_sort_block_merge_config_selectorIiiEEZZNS1_27merge_sort_block_merge_implIS3_N6thrust23THRUST_200600_302600_NS6detail15normal_iteratorINS8_10device_ptrIiEEEESD_jNS1_19radix_merge_compareILb1ELb1EiNS0_19identity_decomposerEEEEE10hipError_tT0_T1_T2_jT3_P12ihipStream_tbPNSt15iterator_traitsISI_E10value_typeEPNSO_ISJ_E10value_typeEPSK_NS1_7vsmem_tEENKUlT_SI_SJ_SK_E_clIPiSD_S10_SD_EESH_SX_SI_SJ_SK_EUlSX_E0_NS1_11comp_targetILNS1_3genE4ELNS1_11target_archE910ELNS1_3gpuE8ELNS1_3repE0EEENS1_38merge_mergepath_config_static_selectorELNS0_4arch9wavefront6targetE1EEEvSJ_.uses_flat_scratch, 0
	.set _ZN7rocprim17ROCPRIM_400000_NS6detail17trampoline_kernelINS0_14default_configENS1_38merge_sort_block_merge_config_selectorIiiEEZZNS1_27merge_sort_block_merge_implIS3_N6thrust23THRUST_200600_302600_NS6detail15normal_iteratorINS8_10device_ptrIiEEEESD_jNS1_19radix_merge_compareILb1ELb1EiNS0_19identity_decomposerEEEEE10hipError_tT0_T1_T2_jT3_P12ihipStream_tbPNSt15iterator_traitsISI_E10value_typeEPNSO_ISJ_E10value_typeEPSK_NS1_7vsmem_tEENKUlT_SI_SJ_SK_E_clIPiSD_S10_SD_EESH_SX_SI_SJ_SK_EUlSX_E0_NS1_11comp_targetILNS1_3genE4ELNS1_11target_archE910ELNS1_3gpuE8ELNS1_3repE0EEENS1_38merge_mergepath_config_static_selectorELNS0_4arch9wavefront6targetE1EEEvSJ_.has_dyn_sized_stack, 0
	.set _ZN7rocprim17ROCPRIM_400000_NS6detail17trampoline_kernelINS0_14default_configENS1_38merge_sort_block_merge_config_selectorIiiEEZZNS1_27merge_sort_block_merge_implIS3_N6thrust23THRUST_200600_302600_NS6detail15normal_iteratorINS8_10device_ptrIiEEEESD_jNS1_19radix_merge_compareILb1ELb1EiNS0_19identity_decomposerEEEEE10hipError_tT0_T1_T2_jT3_P12ihipStream_tbPNSt15iterator_traitsISI_E10value_typeEPNSO_ISJ_E10value_typeEPSK_NS1_7vsmem_tEENKUlT_SI_SJ_SK_E_clIPiSD_S10_SD_EESH_SX_SI_SJ_SK_EUlSX_E0_NS1_11comp_targetILNS1_3genE4ELNS1_11target_archE910ELNS1_3gpuE8ELNS1_3repE0EEENS1_38merge_mergepath_config_static_selectorELNS0_4arch9wavefront6targetE1EEEvSJ_.has_recursion, 0
	.set _ZN7rocprim17ROCPRIM_400000_NS6detail17trampoline_kernelINS0_14default_configENS1_38merge_sort_block_merge_config_selectorIiiEEZZNS1_27merge_sort_block_merge_implIS3_N6thrust23THRUST_200600_302600_NS6detail15normal_iteratorINS8_10device_ptrIiEEEESD_jNS1_19radix_merge_compareILb1ELb1EiNS0_19identity_decomposerEEEEE10hipError_tT0_T1_T2_jT3_P12ihipStream_tbPNSt15iterator_traitsISI_E10value_typeEPNSO_ISJ_E10value_typeEPSK_NS1_7vsmem_tEENKUlT_SI_SJ_SK_E_clIPiSD_S10_SD_EESH_SX_SI_SJ_SK_EUlSX_E0_NS1_11comp_targetILNS1_3genE4ELNS1_11target_archE910ELNS1_3gpuE8ELNS1_3repE0EEENS1_38merge_mergepath_config_static_selectorELNS0_4arch9wavefront6targetE1EEEvSJ_.has_indirect_call, 0
	.section	.AMDGPU.csdata,"",@progbits
; Kernel info:
; codeLenInByte = 0
; TotalNumSgprs: 6
; NumVgprs: 0
; NumAgprs: 0
; TotalNumVgprs: 0
; ScratchSize: 0
; MemoryBound: 0
; FloatMode: 240
; IeeeMode: 1
; LDSByteSize: 0 bytes/workgroup (compile time only)
; SGPRBlocks: 0
; VGPRBlocks: 0
; NumSGPRsForWavesPerEU: 6
; NumVGPRsForWavesPerEU: 1
; AccumOffset: 4
; Occupancy: 8
; WaveLimiterHint : 0
; COMPUTE_PGM_RSRC2:SCRATCH_EN: 0
; COMPUTE_PGM_RSRC2:USER_SGPR: 2
; COMPUTE_PGM_RSRC2:TRAP_HANDLER: 0
; COMPUTE_PGM_RSRC2:TGID_X_EN: 1
; COMPUTE_PGM_RSRC2:TGID_Y_EN: 0
; COMPUTE_PGM_RSRC2:TGID_Z_EN: 0
; COMPUTE_PGM_RSRC2:TIDIG_COMP_CNT: 0
; COMPUTE_PGM_RSRC3_GFX90A:ACCUM_OFFSET: 0
; COMPUTE_PGM_RSRC3_GFX90A:TG_SPLIT: 0
	.section	.text._ZN7rocprim17ROCPRIM_400000_NS6detail17trampoline_kernelINS0_14default_configENS1_38merge_sort_block_merge_config_selectorIiiEEZZNS1_27merge_sort_block_merge_implIS3_N6thrust23THRUST_200600_302600_NS6detail15normal_iteratorINS8_10device_ptrIiEEEESD_jNS1_19radix_merge_compareILb1ELb1EiNS0_19identity_decomposerEEEEE10hipError_tT0_T1_T2_jT3_P12ihipStream_tbPNSt15iterator_traitsISI_E10value_typeEPNSO_ISJ_E10value_typeEPSK_NS1_7vsmem_tEENKUlT_SI_SJ_SK_E_clIPiSD_S10_SD_EESH_SX_SI_SJ_SK_EUlSX_E0_NS1_11comp_targetILNS1_3genE3ELNS1_11target_archE908ELNS1_3gpuE7ELNS1_3repE0EEENS1_38merge_mergepath_config_static_selectorELNS0_4arch9wavefront6targetE1EEEvSJ_,"axG",@progbits,_ZN7rocprim17ROCPRIM_400000_NS6detail17trampoline_kernelINS0_14default_configENS1_38merge_sort_block_merge_config_selectorIiiEEZZNS1_27merge_sort_block_merge_implIS3_N6thrust23THRUST_200600_302600_NS6detail15normal_iteratorINS8_10device_ptrIiEEEESD_jNS1_19radix_merge_compareILb1ELb1EiNS0_19identity_decomposerEEEEE10hipError_tT0_T1_T2_jT3_P12ihipStream_tbPNSt15iterator_traitsISI_E10value_typeEPNSO_ISJ_E10value_typeEPSK_NS1_7vsmem_tEENKUlT_SI_SJ_SK_E_clIPiSD_S10_SD_EESH_SX_SI_SJ_SK_EUlSX_E0_NS1_11comp_targetILNS1_3genE3ELNS1_11target_archE908ELNS1_3gpuE7ELNS1_3repE0EEENS1_38merge_mergepath_config_static_selectorELNS0_4arch9wavefront6targetE1EEEvSJ_,comdat
	.protected	_ZN7rocprim17ROCPRIM_400000_NS6detail17trampoline_kernelINS0_14default_configENS1_38merge_sort_block_merge_config_selectorIiiEEZZNS1_27merge_sort_block_merge_implIS3_N6thrust23THRUST_200600_302600_NS6detail15normal_iteratorINS8_10device_ptrIiEEEESD_jNS1_19radix_merge_compareILb1ELb1EiNS0_19identity_decomposerEEEEE10hipError_tT0_T1_T2_jT3_P12ihipStream_tbPNSt15iterator_traitsISI_E10value_typeEPNSO_ISJ_E10value_typeEPSK_NS1_7vsmem_tEENKUlT_SI_SJ_SK_E_clIPiSD_S10_SD_EESH_SX_SI_SJ_SK_EUlSX_E0_NS1_11comp_targetILNS1_3genE3ELNS1_11target_archE908ELNS1_3gpuE7ELNS1_3repE0EEENS1_38merge_mergepath_config_static_selectorELNS0_4arch9wavefront6targetE1EEEvSJ_ ; -- Begin function _ZN7rocprim17ROCPRIM_400000_NS6detail17trampoline_kernelINS0_14default_configENS1_38merge_sort_block_merge_config_selectorIiiEEZZNS1_27merge_sort_block_merge_implIS3_N6thrust23THRUST_200600_302600_NS6detail15normal_iteratorINS8_10device_ptrIiEEEESD_jNS1_19radix_merge_compareILb1ELb1EiNS0_19identity_decomposerEEEEE10hipError_tT0_T1_T2_jT3_P12ihipStream_tbPNSt15iterator_traitsISI_E10value_typeEPNSO_ISJ_E10value_typeEPSK_NS1_7vsmem_tEENKUlT_SI_SJ_SK_E_clIPiSD_S10_SD_EESH_SX_SI_SJ_SK_EUlSX_E0_NS1_11comp_targetILNS1_3genE3ELNS1_11target_archE908ELNS1_3gpuE7ELNS1_3repE0EEENS1_38merge_mergepath_config_static_selectorELNS0_4arch9wavefront6targetE1EEEvSJ_
	.globl	_ZN7rocprim17ROCPRIM_400000_NS6detail17trampoline_kernelINS0_14default_configENS1_38merge_sort_block_merge_config_selectorIiiEEZZNS1_27merge_sort_block_merge_implIS3_N6thrust23THRUST_200600_302600_NS6detail15normal_iteratorINS8_10device_ptrIiEEEESD_jNS1_19radix_merge_compareILb1ELb1EiNS0_19identity_decomposerEEEEE10hipError_tT0_T1_T2_jT3_P12ihipStream_tbPNSt15iterator_traitsISI_E10value_typeEPNSO_ISJ_E10value_typeEPSK_NS1_7vsmem_tEENKUlT_SI_SJ_SK_E_clIPiSD_S10_SD_EESH_SX_SI_SJ_SK_EUlSX_E0_NS1_11comp_targetILNS1_3genE3ELNS1_11target_archE908ELNS1_3gpuE7ELNS1_3repE0EEENS1_38merge_mergepath_config_static_selectorELNS0_4arch9wavefront6targetE1EEEvSJ_
	.p2align	8
	.type	_ZN7rocprim17ROCPRIM_400000_NS6detail17trampoline_kernelINS0_14default_configENS1_38merge_sort_block_merge_config_selectorIiiEEZZNS1_27merge_sort_block_merge_implIS3_N6thrust23THRUST_200600_302600_NS6detail15normal_iteratorINS8_10device_ptrIiEEEESD_jNS1_19radix_merge_compareILb1ELb1EiNS0_19identity_decomposerEEEEE10hipError_tT0_T1_T2_jT3_P12ihipStream_tbPNSt15iterator_traitsISI_E10value_typeEPNSO_ISJ_E10value_typeEPSK_NS1_7vsmem_tEENKUlT_SI_SJ_SK_E_clIPiSD_S10_SD_EESH_SX_SI_SJ_SK_EUlSX_E0_NS1_11comp_targetILNS1_3genE3ELNS1_11target_archE908ELNS1_3gpuE7ELNS1_3repE0EEENS1_38merge_mergepath_config_static_selectorELNS0_4arch9wavefront6targetE1EEEvSJ_,@function
_ZN7rocprim17ROCPRIM_400000_NS6detail17trampoline_kernelINS0_14default_configENS1_38merge_sort_block_merge_config_selectorIiiEEZZNS1_27merge_sort_block_merge_implIS3_N6thrust23THRUST_200600_302600_NS6detail15normal_iteratorINS8_10device_ptrIiEEEESD_jNS1_19radix_merge_compareILb1ELb1EiNS0_19identity_decomposerEEEEE10hipError_tT0_T1_T2_jT3_P12ihipStream_tbPNSt15iterator_traitsISI_E10value_typeEPNSO_ISJ_E10value_typeEPSK_NS1_7vsmem_tEENKUlT_SI_SJ_SK_E_clIPiSD_S10_SD_EESH_SX_SI_SJ_SK_EUlSX_E0_NS1_11comp_targetILNS1_3genE3ELNS1_11target_archE908ELNS1_3gpuE7ELNS1_3repE0EEENS1_38merge_mergepath_config_static_selectorELNS0_4arch9wavefront6targetE1EEEvSJ_: ; @_ZN7rocprim17ROCPRIM_400000_NS6detail17trampoline_kernelINS0_14default_configENS1_38merge_sort_block_merge_config_selectorIiiEEZZNS1_27merge_sort_block_merge_implIS3_N6thrust23THRUST_200600_302600_NS6detail15normal_iteratorINS8_10device_ptrIiEEEESD_jNS1_19radix_merge_compareILb1ELb1EiNS0_19identity_decomposerEEEEE10hipError_tT0_T1_T2_jT3_P12ihipStream_tbPNSt15iterator_traitsISI_E10value_typeEPNSO_ISJ_E10value_typeEPSK_NS1_7vsmem_tEENKUlT_SI_SJ_SK_E_clIPiSD_S10_SD_EESH_SX_SI_SJ_SK_EUlSX_E0_NS1_11comp_targetILNS1_3genE3ELNS1_11target_archE908ELNS1_3gpuE7ELNS1_3repE0EEENS1_38merge_mergepath_config_static_selectorELNS0_4arch9wavefront6targetE1EEEvSJ_
; %bb.0:
	.section	.rodata,"a",@progbits
	.p2align	6, 0x0
	.amdhsa_kernel _ZN7rocprim17ROCPRIM_400000_NS6detail17trampoline_kernelINS0_14default_configENS1_38merge_sort_block_merge_config_selectorIiiEEZZNS1_27merge_sort_block_merge_implIS3_N6thrust23THRUST_200600_302600_NS6detail15normal_iteratorINS8_10device_ptrIiEEEESD_jNS1_19radix_merge_compareILb1ELb1EiNS0_19identity_decomposerEEEEE10hipError_tT0_T1_T2_jT3_P12ihipStream_tbPNSt15iterator_traitsISI_E10value_typeEPNSO_ISJ_E10value_typeEPSK_NS1_7vsmem_tEENKUlT_SI_SJ_SK_E_clIPiSD_S10_SD_EESH_SX_SI_SJ_SK_EUlSX_E0_NS1_11comp_targetILNS1_3genE3ELNS1_11target_archE908ELNS1_3gpuE7ELNS1_3repE0EEENS1_38merge_mergepath_config_static_selectorELNS0_4arch9wavefront6targetE1EEEvSJ_
		.amdhsa_group_segment_fixed_size 0
		.amdhsa_private_segment_fixed_size 0
		.amdhsa_kernarg_size 64
		.amdhsa_user_sgpr_count 2
		.amdhsa_user_sgpr_dispatch_ptr 0
		.amdhsa_user_sgpr_queue_ptr 0
		.amdhsa_user_sgpr_kernarg_segment_ptr 1
		.amdhsa_user_sgpr_dispatch_id 0
		.amdhsa_user_sgpr_kernarg_preload_length 0
		.amdhsa_user_sgpr_kernarg_preload_offset 0
		.amdhsa_user_sgpr_private_segment_size 0
		.amdhsa_uses_dynamic_stack 0
		.amdhsa_enable_private_segment 0
		.amdhsa_system_sgpr_workgroup_id_x 1
		.amdhsa_system_sgpr_workgroup_id_y 0
		.amdhsa_system_sgpr_workgroup_id_z 0
		.amdhsa_system_sgpr_workgroup_info 0
		.amdhsa_system_vgpr_workitem_id 0
		.amdhsa_next_free_vgpr 1
		.amdhsa_next_free_sgpr 0
		.amdhsa_accum_offset 4
		.amdhsa_reserve_vcc 0
		.amdhsa_float_round_mode_32 0
		.amdhsa_float_round_mode_16_64 0
		.amdhsa_float_denorm_mode_32 3
		.amdhsa_float_denorm_mode_16_64 3
		.amdhsa_dx10_clamp 1
		.amdhsa_ieee_mode 1
		.amdhsa_fp16_overflow 0
		.amdhsa_tg_split 0
		.amdhsa_exception_fp_ieee_invalid_op 0
		.amdhsa_exception_fp_denorm_src 0
		.amdhsa_exception_fp_ieee_div_zero 0
		.amdhsa_exception_fp_ieee_overflow 0
		.amdhsa_exception_fp_ieee_underflow 0
		.amdhsa_exception_fp_ieee_inexact 0
		.amdhsa_exception_int_div_zero 0
	.end_amdhsa_kernel
	.section	.text._ZN7rocprim17ROCPRIM_400000_NS6detail17trampoline_kernelINS0_14default_configENS1_38merge_sort_block_merge_config_selectorIiiEEZZNS1_27merge_sort_block_merge_implIS3_N6thrust23THRUST_200600_302600_NS6detail15normal_iteratorINS8_10device_ptrIiEEEESD_jNS1_19radix_merge_compareILb1ELb1EiNS0_19identity_decomposerEEEEE10hipError_tT0_T1_T2_jT3_P12ihipStream_tbPNSt15iterator_traitsISI_E10value_typeEPNSO_ISJ_E10value_typeEPSK_NS1_7vsmem_tEENKUlT_SI_SJ_SK_E_clIPiSD_S10_SD_EESH_SX_SI_SJ_SK_EUlSX_E0_NS1_11comp_targetILNS1_3genE3ELNS1_11target_archE908ELNS1_3gpuE7ELNS1_3repE0EEENS1_38merge_mergepath_config_static_selectorELNS0_4arch9wavefront6targetE1EEEvSJ_,"axG",@progbits,_ZN7rocprim17ROCPRIM_400000_NS6detail17trampoline_kernelINS0_14default_configENS1_38merge_sort_block_merge_config_selectorIiiEEZZNS1_27merge_sort_block_merge_implIS3_N6thrust23THRUST_200600_302600_NS6detail15normal_iteratorINS8_10device_ptrIiEEEESD_jNS1_19radix_merge_compareILb1ELb1EiNS0_19identity_decomposerEEEEE10hipError_tT0_T1_T2_jT3_P12ihipStream_tbPNSt15iterator_traitsISI_E10value_typeEPNSO_ISJ_E10value_typeEPSK_NS1_7vsmem_tEENKUlT_SI_SJ_SK_E_clIPiSD_S10_SD_EESH_SX_SI_SJ_SK_EUlSX_E0_NS1_11comp_targetILNS1_3genE3ELNS1_11target_archE908ELNS1_3gpuE7ELNS1_3repE0EEENS1_38merge_mergepath_config_static_selectorELNS0_4arch9wavefront6targetE1EEEvSJ_,comdat
.Lfunc_end1783:
	.size	_ZN7rocprim17ROCPRIM_400000_NS6detail17trampoline_kernelINS0_14default_configENS1_38merge_sort_block_merge_config_selectorIiiEEZZNS1_27merge_sort_block_merge_implIS3_N6thrust23THRUST_200600_302600_NS6detail15normal_iteratorINS8_10device_ptrIiEEEESD_jNS1_19radix_merge_compareILb1ELb1EiNS0_19identity_decomposerEEEEE10hipError_tT0_T1_T2_jT3_P12ihipStream_tbPNSt15iterator_traitsISI_E10value_typeEPNSO_ISJ_E10value_typeEPSK_NS1_7vsmem_tEENKUlT_SI_SJ_SK_E_clIPiSD_S10_SD_EESH_SX_SI_SJ_SK_EUlSX_E0_NS1_11comp_targetILNS1_3genE3ELNS1_11target_archE908ELNS1_3gpuE7ELNS1_3repE0EEENS1_38merge_mergepath_config_static_selectorELNS0_4arch9wavefront6targetE1EEEvSJ_, .Lfunc_end1783-_ZN7rocprim17ROCPRIM_400000_NS6detail17trampoline_kernelINS0_14default_configENS1_38merge_sort_block_merge_config_selectorIiiEEZZNS1_27merge_sort_block_merge_implIS3_N6thrust23THRUST_200600_302600_NS6detail15normal_iteratorINS8_10device_ptrIiEEEESD_jNS1_19radix_merge_compareILb1ELb1EiNS0_19identity_decomposerEEEEE10hipError_tT0_T1_T2_jT3_P12ihipStream_tbPNSt15iterator_traitsISI_E10value_typeEPNSO_ISJ_E10value_typeEPSK_NS1_7vsmem_tEENKUlT_SI_SJ_SK_E_clIPiSD_S10_SD_EESH_SX_SI_SJ_SK_EUlSX_E0_NS1_11comp_targetILNS1_3genE3ELNS1_11target_archE908ELNS1_3gpuE7ELNS1_3repE0EEENS1_38merge_mergepath_config_static_selectorELNS0_4arch9wavefront6targetE1EEEvSJ_
                                        ; -- End function
	.set _ZN7rocprim17ROCPRIM_400000_NS6detail17trampoline_kernelINS0_14default_configENS1_38merge_sort_block_merge_config_selectorIiiEEZZNS1_27merge_sort_block_merge_implIS3_N6thrust23THRUST_200600_302600_NS6detail15normal_iteratorINS8_10device_ptrIiEEEESD_jNS1_19radix_merge_compareILb1ELb1EiNS0_19identity_decomposerEEEEE10hipError_tT0_T1_T2_jT3_P12ihipStream_tbPNSt15iterator_traitsISI_E10value_typeEPNSO_ISJ_E10value_typeEPSK_NS1_7vsmem_tEENKUlT_SI_SJ_SK_E_clIPiSD_S10_SD_EESH_SX_SI_SJ_SK_EUlSX_E0_NS1_11comp_targetILNS1_3genE3ELNS1_11target_archE908ELNS1_3gpuE7ELNS1_3repE0EEENS1_38merge_mergepath_config_static_selectorELNS0_4arch9wavefront6targetE1EEEvSJ_.num_vgpr, 0
	.set _ZN7rocprim17ROCPRIM_400000_NS6detail17trampoline_kernelINS0_14default_configENS1_38merge_sort_block_merge_config_selectorIiiEEZZNS1_27merge_sort_block_merge_implIS3_N6thrust23THRUST_200600_302600_NS6detail15normal_iteratorINS8_10device_ptrIiEEEESD_jNS1_19radix_merge_compareILb1ELb1EiNS0_19identity_decomposerEEEEE10hipError_tT0_T1_T2_jT3_P12ihipStream_tbPNSt15iterator_traitsISI_E10value_typeEPNSO_ISJ_E10value_typeEPSK_NS1_7vsmem_tEENKUlT_SI_SJ_SK_E_clIPiSD_S10_SD_EESH_SX_SI_SJ_SK_EUlSX_E0_NS1_11comp_targetILNS1_3genE3ELNS1_11target_archE908ELNS1_3gpuE7ELNS1_3repE0EEENS1_38merge_mergepath_config_static_selectorELNS0_4arch9wavefront6targetE1EEEvSJ_.num_agpr, 0
	.set _ZN7rocprim17ROCPRIM_400000_NS6detail17trampoline_kernelINS0_14default_configENS1_38merge_sort_block_merge_config_selectorIiiEEZZNS1_27merge_sort_block_merge_implIS3_N6thrust23THRUST_200600_302600_NS6detail15normal_iteratorINS8_10device_ptrIiEEEESD_jNS1_19radix_merge_compareILb1ELb1EiNS0_19identity_decomposerEEEEE10hipError_tT0_T1_T2_jT3_P12ihipStream_tbPNSt15iterator_traitsISI_E10value_typeEPNSO_ISJ_E10value_typeEPSK_NS1_7vsmem_tEENKUlT_SI_SJ_SK_E_clIPiSD_S10_SD_EESH_SX_SI_SJ_SK_EUlSX_E0_NS1_11comp_targetILNS1_3genE3ELNS1_11target_archE908ELNS1_3gpuE7ELNS1_3repE0EEENS1_38merge_mergepath_config_static_selectorELNS0_4arch9wavefront6targetE1EEEvSJ_.numbered_sgpr, 0
	.set _ZN7rocprim17ROCPRIM_400000_NS6detail17trampoline_kernelINS0_14default_configENS1_38merge_sort_block_merge_config_selectorIiiEEZZNS1_27merge_sort_block_merge_implIS3_N6thrust23THRUST_200600_302600_NS6detail15normal_iteratorINS8_10device_ptrIiEEEESD_jNS1_19radix_merge_compareILb1ELb1EiNS0_19identity_decomposerEEEEE10hipError_tT0_T1_T2_jT3_P12ihipStream_tbPNSt15iterator_traitsISI_E10value_typeEPNSO_ISJ_E10value_typeEPSK_NS1_7vsmem_tEENKUlT_SI_SJ_SK_E_clIPiSD_S10_SD_EESH_SX_SI_SJ_SK_EUlSX_E0_NS1_11comp_targetILNS1_3genE3ELNS1_11target_archE908ELNS1_3gpuE7ELNS1_3repE0EEENS1_38merge_mergepath_config_static_selectorELNS0_4arch9wavefront6targetE1EEEvSJ_.num_named_barrier, 0
	.set _ZN7rocprim17ROCPRIM_400000_NS6detail17trampoline_kernelINS0_14default_configENS1_38merge_sort_block_merge_config_selectorIiiEEZZNS1_27merge_sort_block_merge_implIS3_N6thrust23THRUST_200600_302600_NS6detail15normal_iteratorINS8_10device_ptrIiEEEESD_jNS1_19radix_merge_compareILb1ELb1EiNS0_19identity_decomposerEEEEE10hipError_tT0_T1_T2_jT3_P12ihipStream_tbPNSt15iterator_traitsISI_E10value_typeEPNSO_ISJ_E10value_typeEPSK_NS1_7vsmem_tEENKUlT_SI_SJ_SK_E_clIPiSD_S10_SD_EESH_SX_SI_SJ_SK_EUlSX_E0_NS1_11comp_targetILNS1_3genE3ELNS1_11target_archE908ELNS1_3gpuE7ELNS1_3repE0EEENS1_38merge_mergepath_config_static_selectorELNS0_4arch9wavefront6targetE1EEEvSJ_.private_seg_size, 0
	.set _ZN7rocprim17ROCPRIM_400000_NS6detail17trampoline_kernelINS0_14default_configENS1_38merge_sort_block_merge_config_selectorIiiEEZZNS1_27merge_sort_block_merge_implIS3_N6thrust23THRUST_200600_302600_NS6detail15normal_iteratorINS8_10device_ptrIiEEEESD_jNS1_19radix_merge_compareILb1ELb1EiNS0_19identity_decomposerEEEEE10hipError_tT0_T1_T2_jT3_P12ihipStream_tbPNSt15iterator_traitsISI_E10value_typeEPNSO_ISJ_E10value_typeEPSK_NS1_7vsmem_tEENKUlT_SI_SJ_SK_E_clIPiSD_S10_SD_EESH_SX_SI_SJ_SK_EUlSX_E0_NS1_11comp_targetILNS1_3genE3ELNS1_11target_archE908ELNS1_3gpuE7ELNS1_3repE0EEENS1_38merge_mergepath_config_static_selectorELNS0_4arch9wavefront6targetE1EEEvSJ_.uses_vcc, 0
	.set _ZN7rocprim17ROCPRIM_400000_NS6detail17trampoline_kernelINS0_14default_configENS1_38merge_sort_block_merge_config_selectorIiiEEZZNS1_27merge_sort_block_merge_implIS3_N6thrust23THRUST_200600_302600_NS6detail15normal_iteratorINS8_10device_ptrIiEEEESD_jNS1_19radix_merge_compareILb1ELb1EiNS0_19identity_decomposerEEEEE10hipError_tT0_T1_T2_jT3_P12ihipStream_tbPNSt15iterator_traitsISI_E10value_typeEPNSO_ISJ_E10value_typeEPSK_NS1_7vsmem_tEENKUlT_SI_SJ_SK_E_clIPiSD_S10_SD_EESH_SX_SI_SJ_SK_EUlSX_E0_NS1_11comp_targetILNS1_3genE3ELNS1_11target_archE908ELNS1_3gpuE7ELNS1_3repE0EEENS1_38merge_mergepath_config_static_selectorELNS0_4arch9wavefront6targetE1EEEvSJ_.uses_flat_scratch, 0
	.set _ZN7rocprim17ROCPRIM_400000_NS6detail17trampoline_kernelINS0_14default_configENS1_38merge_sort_block_merge_config_selectorIiiEEZZNS1_27merge_sort_block_merge_implIS3_N6thrust23THRUST_200600_302600_NS6detail15normal_iteratorINS8_10device_ptrIiEEEESD_jNS1_19radix_merge_compareILb1ELb1EiNS0_19identity_decomposerEEEEE10hipError_tT0_T1_T2_jT3_P12ihipStream_tbPNSt15iterator_traitsISI_E10value_typeEPNSO_ISJ_E10value_typeEPSK_NS1_7vsmem_tEENKUlT_SI_SJ_SK_E_clIPiSD_S10_SD_EESH_SX_SI_SJ_SK_EUlSX_E0_NS1_11comp_targetILNS1_3genE3ELNS1_11target_archE908ELNS1_3gpuE7ELNS1_3repE0EEENS1_38merge_mergepath_config_static_selectorELNS0_4arch9wavefront6targetE1EEEvSJ_.has_dyn_sized_stack, 0
	.set _ZN7rocprim17ROCPRIM_400000_NS6detail17trampoline_kernelINS0_14default_configENS1_38merge_sort_block_merge_config_selectorIiiEEZZNS1_27merge_sort_block_merge_implIS3_N6thrust23THRUST_200600_302600_NS6detail15normal_iteratorINS8_10device_ptrIiEEEESD_jNS1_19radix_merge_compareILb1ELb1EiNS0_19identity_decomposerEEEEE10hipError_tT0_T1_T2_jT3_P12ihipStream_tbPNSt15iterator_traitsISI_E10value_typeEPNSO_ISJ_E10value_typeEPSK_NS1_7vsmem_tEENKUlT_SI_SJ_SK_E_clIPiSD_S10_SD_EESH_SX_SI_SJ_SK_EUlSX_E0_NS1_11comp_targetILNS1_3genE3ELNS1_11target_archE908ELNS1_3gpuE7ELNS1_3repE0EEENS1_38merge_mergepath_config_static_selectorELNS0_4arch9wavefront6targetE1EEEvSJ_.has_recursion, 0
	.set _ZN7rocprim17ROCPRIM_400000_NS6detail17trampoline_kernelINS0_14default_configENS1_38merge_sort_block_merge_config_selectorIiiEEZZNS1_27merge_sort_block_merge_implIS3_N6thrust23THRUST_200600_302600_NS6detail15normal_iteratorINS8_10device_ptrIiEEEESD_jNS1_19radix_merge_compareILb1ELb1EiNS0_19identity_decomposerEEEEE10hipError_tT0_T1_T2_jT3_P12ihipStream_tbPNSt15iterator_traitsISI_E10value_typeEPNSO_ISJ_E10value_typeEPSK_NS1_7vsmem_tEENKUlT_SI_SJ_SK_E_clIPiSD_S10_SD_EESH_SX_SI_SJ_SK_EUlSX_E0_NS1_11comp_targetILNS1_3genE3ELNS1_11target_archE908ELNS1_3gpuE7ELNS1_3repE0EEENS1_38merge_mergepath_config_static_selectorELNS0_4arch9wavefront6targetE1EEEvSJ_.has_indirect_call, 0
	.section	.AMDGPU.csdata,"",@progbits
; Kernel info:
; codeLenInByte = 0
; TotalNumSgprs: 6
; NumVgprs: 0
; NumAgprs: 0
; TotalNumVgprs: 0
; ScratchSize: 0
; MemoryBound: 0
; FloatMode: 240
; IeeeMode: 1
; LDSByteSize: 0 bytes/workgroup (compile time only)
; SGPRBlocks: 0
; VGPRBlocks: 0
; NumSGPRsForWavesPerEU: 6
; NumVGPRsForWavesPerEU: 1
; AccumOffset: 4
; Occupancy: 8
; WaveLimiterHint : 0
; COMPUTE_PGM_RSRC2:SCRATCH_EN: 0
; COMPUTE_PGM_RSRC2:USER_SGPR: 2
; COMPUTE_PGM_RSRC2:TRAP_HANDLER: 0
; COMPUTE_PGM_RSRC2:TGID_X_EN: 1
; COMPUTE_PGM_RSRC2:TGID_Y_EN: 0
; COMPUTE_PGM_RSRC2:TGID_Z_EN: 0
; COMPUTE_PGM_RSRC2:TIDIG_COMP_CNT: 0
; COMPUTE_PGM_RSRC3_GFX90A:ACCUM_OFFSET: 0
; COMPUTE_PGM_RSRC3_GFX90A:TG_SPLIT: 0
	.section	.text._ZN7rocprim17ROCPRIM_400000_NS6detail17trampoline_kernelINS0_14default_configENS1_38merge_sort_block_merge_config_selectorIiiEEZZNS1_27merge_sort_block_merge_implIS3_N6thrust23THRUST_200600_302600_NS6detail15normal_iteratorINS8_10device_ptrIiEEEESD_jNS1_19radix_merge_compareILb1ELb1EiNS0_19identity_decomposerEEEEE10hipError_tT0_T1_T2_jT3_P12ihipStream_tbPNSt15iterator_traitsISI_E10value_typeEPNSO_ISJ_E10value_typeEPSK_NS1_7vsmem_tEENKUlT_SI_SJ_SK_E_clIPiSD_S10_SD_EESH_SX_SI_SJ_SK_EUlSX_E0_NS1_11comp_targetILNS1_3genE2ELNS1_11target_archE906ELNS1_3gpuE6ELNS1_3repE0EEENS1_38merge_mergepath_config_static_selectorELNS0_4arch9wavefront6targetE1EEEvSJ_,"axG",@progbits,_ZN7rocprim17ROCPRIM_400000_NS6detail17trampoline_kernelINS0_14default_configENS1_38merge_sort_block_merge_config_selectorIiiEEZZNS1_27merge_sort_block_merge_implIS3_N6thrust23THRUST_200600_302600_NS6detail15normal_iteratorINS8_10device_ptrIiEEEESD_jNS1_19radix_merge_compareILb1ELb1EiNS0_19identity_decomposerEEEEE10hipError_tT0_T1_T2_jT3_P12ihipStream_tbPNSt15iterator_traitsISI_E10value_typeEPNSO_ISJ_E10value_typeEPSK_NS1_7vsmem_tEENKUlT_SI_SJ_SK_E_clIPiSD_S10_SD_EESH_SX_SI_SJ_SK_EUlSX_E0_NS1_11comp_targetILNS1_3genE2ELNS1_11target_archE906ELNS1_3gpuE6ELNS1_3repE0EEENS1_38merge_mergepath_config_static_selectorELNS0_4arch9wavefront6targetE1EEEvSJ_,comdat
	.protected	_ZN7rocprim17ROCPRIM_400000_NS6detail17trampoline_kernelINS0_14default_configENS1_38merge_sort_block_merge_config_selectorIiiEEZZNS1_27merge_sort_block_merge_implIS3_N6thrust23THRUST_200600_302600_NS6detail15normal_iteratorINS8_10device_ptrIiEEEESD_jNS1_19radix_merge_compareILb1ELb1EiNS0_19identity_decomposerEEEEE10hipError_tT0_T1_T2_jT3_P12ihipStream_tbPNSt15iterator_traitsISI_E10value_typeEPNSO_ISJ_E10value_typeEPSK_NS1_7vsmem_tEENKUlT_SI_SJ_SK_E_clIPiSD_S10_SD_EESH_SX_SI_SJ_SK_EUlSX_E0_NS1_11comp_targetILNS1_3genE2ELNS1_11target_archE906ELNS1_3gpuE6ELNS1_3repE0EEENS1_38merge_mergepath_config_static_selectorELNS0_4arch9wavefront6targetE1EEEvSJ_ ; -- Begin function _ZN7rocprim17ROCPRIM_400000_NS6detail17trampoline_kernelINS0_14default_configENS1_38merge_sort_block_merge_config_selectorIiiEEZZNS1_27merge_sort_block_merge_implIS3_N6thrust23THRUST_200600_302600_NS6detail15normal_iteratorINS8_10device_ptrIiEEEESD_jNS1_19radix_merge_compareILb1ELb1EiNS0_19identity_decomposerEEEEE10hipError_tT0_T1_T2_jT3_P12ihipStream_tbPNSt15iterator_traitsISI_E10value_typeEPNSO_ISJ_E10value_typeEPSK_NS1_7vsmem_tEENKUlT_SI_SJ_SK_E_clIPiSD_S10_SD_EESH_SX_SI_SJ_SK_EUlSX_E0_NS1_11comp_targetILNS1_3genE2ELNS1_11target_archE906ELNS1_3gpuE6ELNS1_3repE0EEENS1_38merge_mergepath_config_static_selectorELNS0_4arch9wavefront6targetE1EEEvSJ_
	.globl	_ZN7rocprim17ROCPRIM_400000_NS6detail17trampoline_kernelINS0_14default_configENS1_38merge_sort_block_merge_config_selectorIiiEEZZNS1_27merge_sort_block_merge_implIS3_N6thrust23THRUST_200600_302600_NS6detail15normal_iteratorINS8_10device_ptrIiEEEESD_jNS1_19radix_merge_compareILb1ELb1EiNS0_19identity_decomposerEEEEE10hipError_tT0_T1_T2_jT3_P12ihipStream_tbPNSt15iterator_traitsISI_E10value_typeEPNSO_ISJ_E10value_typeEPSK_NS1_7vsmem_tEENKUlT_SI_SJ_SK_E_clIPiSD_S10_SD_EESH_SX_SI_SJ_SK_EUlSX_E0_NS1_11comp_targetILNS1_3genE2ELNS1_11target_archE906ELNS1_3gpuE6ELNS1_3repE0EEENS1_38merge_mergepath_config_static_selectorELNS0_4arch9wavefront6targetE1EEEvSJ_
	.p2align	8
	.type	_ZN7rocprim17ROCPRIM_400000_NS6detail17trampoline_kernelINS0_14default_configENS1_38merge_sort_block_merge_config_selectorIiiEEZZNS1_27merge_sort_block_merge_implIS3_N6thrust23THRUST_200600_302600_NS6detail15normal_iteratorINS8_10device_ptrIiEEEESD_jNS1_19radix_merge_compareILb1ELb1EiNS0_19identity_decomposerEEEEE10hipError_tT0_T1_T2_jT3_P12ihipStream_tbPNSt15iterator_traitsISI_E10value_typeEPNSO_ISJ_E10value_typeEPSK_NS1_7vsmem_tEENKUlT_SI_SJ_SK_E_clIPiSD_S10_SD_EESH_SX_SI_SJ_SK_EUlSX_E0_NS1_11comp_targetILNS1_3genE2ELNS1_11target_archE906ELNS1_3gpuE6ELNS1_3repE0EEENS1_38merge_mergepath_config_static_selectorELNS0_4arch9wavefront6targetE1EEEvSJ_,@function
_ZN7rocprim17ROCPRIM_400000_NS6detail17trampoline_kernelINS0_14default_configENS1_38merge_sort_block_merge_config_selectorIiiEEZZNS1_27merge_sort_block_merge_implIS3_N6thrust23THRUST_200600_302600_NS6detail15normal_iteratorINS8_10device_ptrIiEEEESD_jNS1_19radix_merge_compareILb1ELb1EiNS0_19identity_decomposerEEEEE10hipError_tT0_T1_T2_jT3_P12ihipStream_tbPNSt15iterator_traitsISI_E10value_typeEPNSO_ISJ_E10value_typeEPSK_NS1_7vsmem_tEENKUlT_SI_SJ_SK_E_clIPiSD_S10_SD_EESH_SX_SI_SJ_SK_EUlSX_E0_NS1_11comp_targetILNS1_3genE2ELNS1_11target_archE906ELNS1_3gpuE6ELNS1_3repE0EEENS1_38merge_mergepath_config_static_selectorELNS0_4arch9wavefront6targetE1EEEvSJ_: ; @_ZN7rocprim17ROCPRIM_400000_NS6detail17trampoline_kernelINS0_14default_configENS1_38merge_sort_block_merge_config_selectorIiiEEZZNS1_27merge_sort_block_merge_implIS3_N6thrust23THRUST_200600_302600_NS6detail15normal_iteratorINS8_10device_ptrIiEEEESD_jNS1_19radix_merge_compareILb1ELb1EiNS0_19identity_decomposerEEEEE10hipError_tT0_T1_T2_jT3_P12ihipStream_tbPNSt15iterator_traitsISI_E10value_typeEPNSO_ISJ_E10value_typeEPSK_NS1_7vsmem_tEENKUlT_SI_SJ_SK_E_clIPiSD_S10_SD_EESH_SX_SI_SJ_SK_EUlSX_E0_NS1_11comp_targetILNS1_3genE2ELNS1_11target_archE906ELNS1_3gpuE6ELNS1_3repE0EEENS1_38merge_mergepath_config_static_selectorELNS0_4arch9wavefront6targetE1EEEvSJ_
; %bb.0:
	.section	.rodata,"a",@progbits
	.p2align	6, 0x0
	.amdhsa_kernel _ZN7rocprim17ROCPRIM_400000_NS6detail17trampoline_kernelINS0_14default_configENS1_38merge_sort_block_merge_config_selectorIiiEEZZNS1_27merge_sort_block_merge_implIS3_N6thrust23THRUST_200600_302600_NS6detail15normal_iteratorINS8_10device_ptrIiEEEESD_jNS1_19radix_merge_compareILb1ELb1EiNS0_19identity_decomposerEEEEE10hipError_tT0_T1_T2_jT3_P12ihipStream_tbPNSt15iterator_traitsISI_E10value_typeEPNSO_ISJ_E10value_typeEPSK_NS1_7vsmem_tEENKUlT_SI_SJ_SK_E_clIPiSD_S10_SD_EESH_SX_SI_SJ_SK_EUlSX_E0_NS1_11comp_targetILNS1_3genE2ELNS1_11target_archE906ELNS1_3gpuE6ELNS1_3repE0EEENS1_38merge_mergepath_config_static_selectorELNS0_4arch9wavefront6targetE1EEEvSJ_
		.amdhsa_group_segment_fixed_size 0
		.amdhsa_private_segment_fixed_size 0
		.amdhsa_kernarg_size 64
		.amdhsa_user_sgpr_count 2
		.amdhsa_user_sgpr_dispatch_ptr 0
		.amdhsa_user_sgpr_queue_ptr 0
		.amdhsa_user_sgpr_kernarg_segment_ptr 1
		.amdhsa_user_sgpr_dispatch_id 0
		.amdhsa_user_sgpr_kernarg_preload_length 0
		.amdhsa_user_sgpr_kernarg_preload_offset 0
		.amdhsa_user_sgpr_private_segment_size 0
		.amdhsa_uses_dynamic_stack 0
		.amdhsa_enable_private_segment 0
		.amdhsa_system_sgpr_workgroup_id_x 1
		.amdhsa_system_sgpr_workgroup_id_y 0
		.amdhsa_system_sgpr_workgroup_id_z 0
		.amdhsa_system_sgpr_workgroup_info 0
		.amdhsa_system_vgpr_workitem_id 0
		.amdhsa_next_free_vgpr 1
		.amdhsa_next_free_sgpr 0
		.amdhsa_accum_offset 4
		.amdhsa_reserve_vcc 0
		.amdhsa_float_round_mode_32 0
		.amdhsa_float_round_mode_16_64 0
		.amdhsa_float_denorm_mode_32 3
		.amdhsa_float_denorm_mode_16_64 3
		.amdhsa_dx10_clamp 1
		.amdhsa_ieee_mode 1
		.amdhsa_fp16_overflow 0
		.amdhsa_tg_split 0
		.amdhsa_exception_fp_ieee_invalid_op 0
		.amdhsa_exception_fp_denorm_src 0
		.amdhsa_exception_fp_ieee_div_zero 0
		.amdhsa_exception_fp_ieee_overflow 0
		.amdhsa_exception_fp_ieee_underflow 0
		.amdhsa_exception_fp_ieee_inexact 0
		.amdhsa_exception_int_div_zero 0
	.end_amdhsa_kernel
	.section	.text._ZN7rocprim17ROCPRIM_400000_NS6detail17trampoline_kernelINS0_14default_configENS1_38merge_sort_block_merge_config_selectorIiiEEZZNS1_27merge_sort_block_merge_implIS3_N6thrust23THRUST_200600_302600_NS6detail15normal_iteratorINS8_10device_ptrIiEEEESD_jNS1_19radix_merge_compareILb1ELb1EiNS0_19identity_decomposerEEEEE10hipError_tT0_T1_T2_jT3_P12ihipStream_tbPNSt15iterator_traitsISI_E10value_typeEPNSO_ISJ_E10value_typeEPSK_NS1_7vsmem_tEENKUlT_SI_SJ_SK_E_clIPiSD_S10_SD_EESH_SX_SI_SJ_SK_EUlSX_E0_NS1_11comp_targetILNS1_3genE2ELNS1_11target_archE906ELNS1_3gpuE6ELNS1_3repE0EEENS1_38merge_mergepath_config_static_selectorELNS0_4arch9wavefront6targetE1EEEvSJ_,"axG",@progbits,_ZN7rocprim17ROCPRIM_400000_NS6detail17trampoline_kernelINS0_14default_configENS1_38merge_sort_block_merge_config_selectorIiiEEZZNS1_27merge_sort_block_merge_implIS3_N6thrust23THRUST_200600_302600_NS6detail15normal_iteratorINS8_10device_ptrIiEEEESD_jNS1_19radix_merge_compareILb1ELb1EiNS0_19identity_decomposerEEEEE10hipError_tT0_T1_T2_jT3_P12ihipStream_tbPNSt15iterator_traitsISI_E10value_typeEPNSO_ISJ_E10value_typeEPSK_NS1_7vsmem_tEENKUlT_SI_SJ_SK_E_clIPiSD_S10_SD_EESH_SX_SI_SJ_SK_EUlSX_E0_NS1_11comp_targetILNS1_3genE2ELNS1_11target_archE906ELNS1_3gpuE6ELNS1_3repE0EEENS1_38merge_mergepath_config_static_selectorELNS0_4arch9wavefront6targetE1EEEvSJ_,comdat
.Lfunc_end1784:
	.size	_ZN7rocprim17ROCPRIM_400000_NS6detail17trampoline_kernelINS0_14default_configENS1_38merge_sort_block_merge_config_selectorIiiEEZZNS1_27merge_sort_block_merge_implIS3_N6thrust23THRUST_200600_302600_NS6detail15normal_iteratorINS8_10device_ptrIiEEEESD_jNS1_19radix_merge_compareILb1ELb1EiNS0_19identity_decomposerEEEEE10hipError_tT0_T1_T2_jT3_P12ihipStream_tbPNSt15iterator_traitsISI_E10value_typeEPNSO_ISJ_E10value_typeEPSK_NS1_7vsmem_tEENKUlT_SI_SJ_SK_E_clIPiSD_S10_SD_EESH_SX_SI_SJ_SK_EUlSX_E0_NS1_11comp_targetILNS1_3genE2ELNS1_11target_archE906ELNS1_3gpuE6ELNS1_3repE0EEENS1_38merge_mergepath_config_static_selectorELNS0_4arch9wavefront6targetE1EEEvSJ_, .Lfunc_end1784-_ZN7rocprim17ROCPRIM_400000_NS6detail17trampoline_kernelINS0_14default_configENS1_38merge_sort_block_merge_config_selectorIiiEEZZNS1_27merge_sort_block_merge_implIS3_N6thrust23THRUST_200600_302600_NS6detail15normal_iteratorINS8_10device_ptrIiEEEESD_jNS1_19radix_merge_compareILb1ELb1EiNS0_19identity_decomposerEEEEE10hipError_tT0_T1_T2_jT3_P12ihipStream_tbPNSt15iterator_traitsISI_E10value_typeEPNSO_ISJ_E10value_typeEPSK_NS1_7vsmem_tEENKUlT_SI_SJ_SK_E_clIPiSD_S10_SD_EESH_SX_SI_SJ_SK_EUlSX_E0_NS1_11comp_targetILNS1_3genE2ELNS1_11target_archE906ELNS1_3gpuE6ELNS1_3repE0EEENS1_38merge_mergepath_config_static_selectorELNS0_4arch9wavefront6targetE1EEEvSJ_
                                        ; -- End function
	.set _ZN7rocprim17ROCPRIM_400000_NS6detail17trampoline_kernelINS0_14default_configENS1_38merge_sort_block_merge_config_selectorIiiEEZZNS1_27merge_sort_block_merge_implIS3_N6thrust23THRUST_200600_302600_NS6detail15normal_iteratorINS8_10device_ptrIiEEEESD_jNS1_19radix_merge_compareILb1ELb1EiNS0_19identity_decomposerEEEEE10hipError_tT0_T1_T2_jT3_P12ihipStream_tbPNSt15iterator_traitsISI_E10value_typeEPNSO_ISJ_E10value_typeEPSK_NS1_7vsmem_tEENKUlT_SI_SJ_SK_E_clIPiSD_S10_SD_EESH_SX_SI_SJ_SK_EUlSX_E0_NS1_11comp_targetILNS1_3genE2ELNS1_11target_archE906ELNS1_3gpuE6ELNS1_3repE0EEENS1_38merge_mergepath_config_static_selectorELNS0_4arch9wavefront6targetE1EEEvSJ_.num_vgpr, 0
	.set _ZN7rocprim17ROCPRIM_400000_NS6detail17trampoline_kernelINS0_14default_configENS1_38merge_sort_block_merge_config_selectorIiiEEZZNS1_27merge_sort_block_merge_implIS3_N6thrust23THRUST_200600_302600_NS6detail15normal_iteratorINS8_10device_ptrIiEEEESD_jNS1_19radix_merge_compareILb1ELb1EiNS0_19identity_decomposerEEEEE10hipError_tT0_T1_T2_jT3_P12ihipStream_tbPNSt15iterator_traitsISI_E10value_typeEPNSO_ISJ_E10value_typeEPSK_NS1_7vsmem_tEENKUlT_SI_SJ_SK_E_clIPiSD_S10_SD_EESH_SX_SI_SJ_SK_EUlSX_E0_NS1_11comp_targetILNS1_3genE2ELNS1_11target_archE906ELNS1_3gpuE6ELNS1_3repE0EEENS1_38merge_mergepath_config_static_selectorELNS0_4arch9wavefront6targetE1EEEvSJ_.num_agpr, 0
	.set _ZN7rocprim17ROCPRIM_400000_NS6detail17trampoline_kernelINS0_14default_configENS1_38merge_sort_block_merge_config_selectorIiiEEZZNS1_27merge_sort_block_merge_implIS3_N6thrust23THRUST_200600_302600_NS6detail15normal_iteratorINS8_10device_ptrIiEEEESD_jNS1_19radix_merge_compareILb1ELb1EiNS0_19identity_decomposerEEEEE10hipError_tT0_T1_T2_jT3_P12ihipStream_tbPNSt15iterator_traitsISI_E10value_typeEPNSO_ISJ_E10value_typeEPSK_NS1_7vsmem_tEENKUlT_SI_SJ_SK_E_clIPiSD_S10_SD_EESH_SX_SI_SJ_SK_EUlSX_E0_NS1_11comp_targetILNS1_3genE2ELNS1_11target_archE906ELNS1_3gpuE6ELNS1_3repE0EEENS1_38merge_mergepath_config_static_selectorELNS0_4arch9wavefront6targetE1EEEvSJ_.numbered_sgpr, 0
	.set _ZN7rocprim17ROCPRIM_400000_NS6detail17trampoline_kernelINS0_14default_configENS1_38merge_sort_block_merge_config_selectorIiiEEZZNS1_27merge_sort_block_merge_implIS3_N6thrust23THRUST_200600_302600_NS6detail15normal_iteratorINS8_10device_ptrIiEEEESD_jNS1_19radix_merge_compareILb1ELb1EiNS0_19identity_decomposerEEEEE10hipError_tT0_T1_T2_jT3_P12ihipStream_tbPNSt15iterator_traitsISI_E10value_typeEPNSO_ISJ_E10value_typeEPSK_NS1_7vsmem_tEENKUlT_SI_SJ_SK_E_clIPiSD_S10_SD_EESH_SX_SI_SJ_SK_EUlSX_E0_NS1_11comp_targetILNS1_3genE2ELNS1_11target_archE906ELNS1_3gpuE6ELNS1_3repE0EEENS1_38merge_mergepath_config_static_selectorELNS0_4arch9wavefront6targetE1EEEvSJ_.num_named_barrier, 0
	.set _ZN7rocprim17ROCPRIM_400000_NS6detail17trampoline_kernelINS0_14default_configENS1_38merge_sort_block_merge_config_selectorIiiEEZZNS1_27merge_sort_block_merge_implIS3_N6thrust23THRUST_200600_302600_NS6detail15normal_iteratorINS8_10device_ptrIiEEEESD_jNS1_19radix_merge_compareILb1ELb1EiNS0_19identity_decomposerEEEEE10hipError_tT0_T1_T2_jT3_P12ihipStream_tbPNSt15iterator_traitsISI_E10value_typeEPNSO_ISJ_E10value_typeEPSK_NS1_7vsmem_tEENKUlT_SI_SJ_SK_E_clIPiSD_S10_SD_EESH_SX_SI_SJ_SK_EUlSX_E0_NS1_11comp_targetILNS1_3genE2ELNS1_11target_archE906ELNS1_3gpuE6ELNS1_3repE0EEENS1_38merge_mergepath_config_static_selectorELNS0_4arch9wavefront6targetE1EEEvSJ_.private_seg_size, 0
	.set _ZN7rocprim17ROCPRIM_400000_NS6detail17trampoline_kernelINS0_14default_configENS1_38merge_sort_block_merge_config_selectorIiiEEZZNS1_27merge_sort_block_merge_implIS3_N6thrust23THRUST_200600_302600_NS6detail15normal_iteratorINS8_10device_ptrIiEEEESD_jNS1_19radix_merge_compareILb1ELb1EiNS0_19identity_decomposerEEEEE10hipError_tT0_T1_T2_jT3_P12ihipStream_tbPNSt15iterator_traitsISI_E10value_typeEPNSO_ISJ_E10value_typeEPSK_NS1_7vsmem_tEENKUlT_SI_SJ_SK_E_clIPiSD_S10_SD_EESH_SX_SI_SJ_SK_EUlSX_E0_NS1_11comp_targetILNS1_3genE2ELNS1_11target_archE906ELNS1_3gpuE6ELNS1_3repE0EEENS1_38merge_mergepath_config_static_selectorELNS0_4arch9wavefront6targetE1EEEvSJ_.uses_vcc, 0
	.set _ZN7rocprim17ROCPRIM_400000_NS6detail17trampoline_kernelINS0_14default_configENS1_38merge_sort_block_merge_config_selectorIiiEEZZNS1_27merge_sort_block_merge_implIS3_N6thrust23THRUST_200600_302600_NS6detail15normal_iteratorINS8_10device_ptrIiEEEESD_jNS1_19radix_merge_compareILb1ELb1EiNS0_19identity_decomposerEEEEE10hipError_tT0_T1_T2_jT3_P12ihipStream_tbPNSt15iterator_traitsISI_E10value_typeEPNSO_ISJ_E10value_typeEPSK_NS1_7vsmem_tEENKUlT_SI_SJ_SK_E_clIPiSD_S10_SD_EESH_SX_SI_SJ_SK_EUlSX_E0_NS1_11comp_targetILNS1_3genE2ELNS1_11target_archE906ELNS1_3gpuE6ELNS1_3repE0EEENS1_38merge_mergepath_config_static_selectorELNS0_4arch9wavefront6targetE1EEEvSJ_.uses_flat_scratch, 0
	.set _ZN7rocprim17ROCPRIM_400000_NS6detail17trampoline_kernelINS0_14default_configENS1_38merge_sort_block_merge_config_selectorIiiEEZZNS1_27merge_sort_block_merge_implIS3_N6thrust23THRUST_200600_302600_NS6detail15normal_iteratorINS8_10device_ptrIiEEEESD_jNS1_19radix_merge_compareILb1ELb1EiNS0_19identity_decomposerEEEEE10hipError_tT0_T1_T2_jT3_P12ihipStream_tbPNSt15iterator_traitsISI_E10value_typeEPNSO_ISJ_E10value_typeEPSK_NS1_7vsmem_tEENKUlT_SI_SJ_SK_E_clIPiSD_S10_SD_EESH_SX_SI_SJ_SK_EUlSX_E0_NS1_11comp_targetILNS1_3genE2ELNS1_11target_archE906ELNS1_3gpuE6ELNS1_3repE0EEENS1_38merge_mergepath_config_static_selectorELNS0_4arch9wavefront6targetE1EEEvSJ_.has_dyn_sized_stack, 0
	.set _ZN7rocprim17ROCPRIM_400000_NS6detail17trampoline_kernelINS0_14default_configENS1_38merge_sort_block_merge_config_selectorIiiEEZZNS1_27merge_sort_block_merge_implIS3_N6thrust23THRUST_200600_302600_NS6detail15normal_iteratorINS8_10device_ptrIiEEEESD_jNS1_19radix_merge_compareILb1ELb1EiNS0_19identity_decomposerEEEEE10hipError_tT0_T1_T2_jT3_P12ihipStream_tbPNSt15iterator_traitsISI_E10value_typeEPNSO_ISJ_E10value_typeEPSK_NS1_7vsmem_tEENKUlT_SI_SJ_SK_E_clIPiSD_S10_SD_EESH_SX_SI_SJ_SK_EUlSX_E0_NS1_11comp_targetILNS1_3genE2ELNS1_11target_archE906ELNS1_3gpuE6ELNS1_3repE0EEENS1_38merge_mergepath_config_static_selectorELNS0_4arch9wavefront6targetE1EEEvSJ_.has_recursion, 0
	.set _ZN7rocprim17ROCPRIM_400000_NS6detail17trampoline_kernelINS0_14default_configENS1_38merge_sort_block_merge_config_selectorIiiEEZZNS1_27merge_sort_block_merge_implIS3_N6thrust23THRUST_200600_302600_NS6detail15normal_iteratorINS8_10device_ptrIiEEEESD_jNS1_19radix_merge_compareILb1ELb1EiNS0_19identity_decomposerEEEEE10hipError_tT0_T1_T2_jT3_P12ihipStream_tbPNSt15iterator_traitsISI_E10value_typeEPNSO_ISJ_E10value_typeEPSK_NS1_7vsmem_tEENKUlT_SI_SJ_SK_E_clIPiSD_S10_SD_EESH_SX_SI_SJ_SK_EUlSX_E0_NS1_11comp_targetILNS1_3genE2ELNS1_11target_archE906ELNS1_3gpuE6ELNS1_3repE0EEENS1_38merge_mergepath_config_static_selectorELNS0_4arch9wavefront6targetE1EEEvSJ_.has_indirect_call, 0
	.section	.AMDGPU.csdata,"",@progbits
; Kernel info:
; codeLenInByte = 0
; TotalNumSgprs: 6
; NumVgprs: 0
; NumAgprs: 0
; TotalNumVgprs: 0
; ScratchSize: 0
; MemoryBound: 0
; FloatMode: 240
; IeeeMode: 1
; LDSByteSize: 0 bytes/workgroup (compile time only)
; SGPRBlocks: 0
; VGPRBlocks: 0
; NumSGPRsForWavesPerEU: 6
; NumVGPRsForWavesPerEU: 1
; AccumOffset: 4
; Occupancy: 8
; WaveLimiterHint : 0
; COMPUTE_PGM_RSRC2:SCRATCH_EN: 0
; COMPUTE_PGM_RSRC2:USER_SGPR: 2
; COMPUTE_PGM_RSRC2:TRAP_HANDLER: 0
; COMPUTE_PGM_RSRC2:TGID_X_EN: 1
; COMPUTE_PGM_RSRC2:TGID_Y_EN: 0
; COMPUTE_PGM_RSRC2:TGID_Z_EN: 0
; COMPUTE_PGM_RSRC2:TIDIG_COMP_CNT: 0
; COMPUTE_PGM_RSRC3_GFX90A:ACCUM_OFFSET: 0
; COMPUTE_PGM_RSRC3_GFX90A:TG_SPLIT: 0
	.section	.text._ZN7rocprim17ROCPRIM_400000_NS6detail17trampoline_kernelINS0_14default_configENS1_38merge_sort_block_merge_config_selectorIiiEEZZNS1_27merge_sort_block_merge_implIS3_N6thrust23THRUST_200600_302600_NS6detail15normal_iteratorINS8_10device_ptrIiEEEESD_jNS1_19radix_merge_compareILb1ELb1EiNS0_19identity_decomposerEEEEE10hipError_tT0_T1_T2_jT3_P12ihipStream_tbPNSt15iterator_traitsISI_E10value_typeEPNSO_ISJ_E10value_typeEPSK_NS1_7vsmem_tEENKUlT_SI_SJ_SK_E_clIPiSD_S10_SD_EESH_SX_SI_SJ_SK_EUlSX_E0_NS1_11comp_targetILNS1_3genE9ELNS1_11target_archE1100ELNS1_3gpuE3ELNS1_3repE0EEENS1_38merge_mergepath_config_static_selectorELNS0_4arch9wavefront6targetE1EEEvSJ_,"axG",@progbits,_ZN7rocprim17ROCPRIM_400000_NS6detail17trampoline_kernelINS0_14default_configENS1_38merge_sort_block_merge_config_selectorIiiEEZZNS1_27merge_sort_block_merge_implIS3_N6thrust23THRUST_200600_302600_NS6detail15normal_iteratorINS8_10device_ptrIiEEEESD_jNS1_19radix_merge_compareILb1ELb1EiNS0_19identity_decomposerEEEEE10hipError_tT0_T1_T2_jT3_P12ihipStream_tbPNSt15iterator_traitsISI_E10value_typeEPNSO_ISJ_E10value_typeEPSK_NS1_7vsmem_tEENKUlT_SI_SJ_SK_E_clIPiSD_S10_SD_EESH_SX_SI_SJ_SK_EUlSX_E0_NS1_11comp_targetILNS1_3genE9ELNS1_11target_archE1100ELNS1_3gpuE3ELNS1_3repE0EEENS1_38merge_mergepath_config_static_selectorELNS0_4arch9wavefront6targetE1EEEvSJ_,comdat
	.protected	_ZN7rocprim17ROCPRIM_400000_NS6detail17trampoline_kernelINS0_14default_configENS1_38merge_sort_block_merge_config_selectorIiiEEZZNS1_27merge_sort_block_merge_implIS3_N6thrust23THRUST_200600_302600_NS6detail15normal_iteratorINS8_10device_ptrIiEEEESD_jNS1_19radix_merge_compareILb1ELb1EiNS0_19identity_decomposerEEEEE10hipError_tT0_T1_T2_jT3_P12ihipStream_tbPNSt15iterator_traitsISI_E10value_typeEPNSO_ISJ_E10value_typeEPSK_NS1_7vsmem_tEENKUlT_SI_SJ_SK_E_clIPiSD_S10_SD_EESH_SX_SI_SJ_SK_EUlSX_E0_NS1_11comp_targetILNS1_3genE9ELNS1_11target_archE1100ELNS1_3gpuE3ELNS1_3repE0EEENS1_38merge_mergepath_config_static_selectorELNS0_4arch9wavefront6targetE1EEEvSJ_ ; -- Begin function _ZN7rocprim17ROCPRIM_400000_NS6detail17trampoline_kernelINS0_14default_configENS1_38merge_sort_block_merge_config_selectorIiiEEZZNS1_27merge_sort_block_merge_implIS3_N6thrust23THRUST_200600_302600_NS6detail15normal_iteratorINS8_10device_ptrIiEEEESD_jNS1_19radix_merge_compareILb1ELb1EiNS0_19identity_decomposerEEEEE10hipError_tT0_T1_T2_jT3_P12ihipStream_tbPNSt15iterator_traitsISI_E10value_typeEPNSO_ISJ_E10value_typeEPSK_NS1_7vsmem_tEENKUlT_SI_SJ_SK_E_clIPiSD_S10_SD_EESH_SX_SI_SJ_SK_EUlSX_E0_NS1_11comp_targetILNS1_3genE9ELNS1_11target_archE1100ELNS1_3gpuE3ELNS1_3repE0EEENS1_38merge_mergepath_config_static_selectorELNS0_4arch9wavefront6targetE1EEEvSJ_
	.globl	_ZN7rocprim17ROCPRIM_400000_NS6detail17trampoline_kernelINS0_14default_configENS1_38merge_sort_block_merge_config_selectorIiiEEZZNS1_27merge_sort_block_merge_implIS3_N6thrust23THRUST_200600_302600_NS6detail15normal_iteratorINS8_10device_ptrIiEEEESD_jNS1_19radix_merge_compareILb1ELb1EiNS0_19identity_decomposerEEEEE10hipError_tT0_T1_T2_jT3_P12ihipStream_tbPNSt15iterator_traitsISI_E10value_typeEPNSO_ISJ_E10value_typeEPSK_NS1_7vsmem_tEENKUlT_SI_SJ_SK_E_clIPiSD_S10_SD_EESH_SX_SI_SJ_SK_EUlSX_E0_NS1_11comp_targetILNS1_3genE9ELNS1_11target_archE1100ELNS1_3gpuE3ELNS1_3repE0EEENS1_38merge_mergepath_config_static_selectorELNS0_4arch9wavefront6targetE1EEEvSJ_
	.p2align	8
	.type	_ZN7rocprim17ROCPRIM_400000_NS6detail17trampoline_kernelINS0_14default_configENS1_38merge_sort_block_merge_config_selectorIiiEEZZNS1_27merge_sort_block_merge_implIS3_N6thrust23THRUST_200600_302600_NS6detail15normal_iteratorINS8_10device_ptrIiEEEESD_jNS1_19radix_merge_compareILb1ELb1EiNS0_19identity_decomposerEEEEE10hipError_tT0_T1_T2_jT3_P12ihipStream_tbPNSt15iterator_traitsISI_E10value_typeEPNSO_ISJ_E10value_typeEPSK_NS1_7vsmem_tEENKUlT_SI_SJ_SK_E_clIPiSD_S10_SD_EESH_SX_SI_SJ_SK_EUlSX_E0_NS1_11comp_targetILNS1_3genE9ELNS1_11target_archE1100ELNS1_3gpuE3ELNS1_3repE0EEENS1_38merge_mergepath_config_static_selectorELNS0_4arch9wavefront6targetE1EEEvSJ_,@function
_ZN7rocprim17ROCPRIM_400000_NS6detail17trampoline_kernelINS0_14default_configENS1_38merge_sort_block_merge_config_selectorIiiEEZZNS1_27merge_sort_block_merge_implIS3_N6thrust23THRUST_200600_302600_NS6detail15normal_iteratorINS8_10device_ptrIiEEEESD_jNS1_19radix_merge_compareILb1ELb1EiNS0_19identity_decomposerEEEEE10hipError_tT0_T1_T2_jT3_P12ihipStream_tbPNSt15iterator_traitsISI_E10value_typeEPNSO_ISJ_E10value_typeEPSK_NS1_7vsmem_tEENKUlT_SI_SJ_SK_E_clIPiSD_S10_SD_EESH_SX_SI_SJ_SK_EUlSX_E0_NS1_11comp_targetILNS1_3genE9ELNS1_11target_archE1100ELNS1_3gpuE3ELNS1_3repE0EEENS1_38merge_mergepath_config_static_selectorELNS0_4arch9wavefront6targetE1EEEvSJ_: ; @_ZN7rocprim17ROCPRIM_400000_NS6detail17trampoline_kernelINS0_14default_configENS1_38merge_sort_block_merge_config_selectorIiiEEZZNS1_27merge_sort_block_merge_implIS3_N6thrust23THRUST_200600_302600_NS6detail15normal_iteratorINS8_10device_ptrIiEEEESD_jNS1_19radix_merge_compareILb1ELb1EiNS0_19identity_decomposerEEEEE10hipError_tT0_T1_T2_jT3_P12ihipStream_tbPNSt15iterator_traitsISI_E10value_typeEPNSO_ISJ_E10value_typeEPSK_NS1_7vsmem_tEENKUlT_SI_SJ_SK_E_clIPiSD_S10_SD_EESH_SX_SI_SJ_SK_EUlSX_E0_NS1_11comp_targetILNS1_3genE9ELNS1_11target_archE1100ELNS1_3gpuE3ELNS1_3repE0EEENS1_38merge_mergepath_config_static_selectorELNS0_4arch9wavefront6targetE1EEEvSJ_
; %bb.0:
	.section	.rodata,"a",@progbits
	.p2align	6, 0x0
	.amdhsa_kernel _ZN7rocprim17ROCPRIM_400000_NS6detail17trampoline_kernelINS0_14default_configENS1_38merge_sort_block_merge_config_selectorIiiEEZZNS1_27merge_sort_block_merge_implIS3_N6thrust23THRUST_200600_302600_NS6detail15normal_iteratorINS8_10device_ptrIiEEEESD_jNS1_19radix_merge_compareILb1ELb1EiNS0_19identity_decomposerEEEEE10hipError_tT0_T1_T2_jT3_P12ihipStream_tbPNSt15iterator_traitsISI_E10value_typeEPNSO_ISJ_E10value_typeEPSK_NS1_7vsmem_tEENKUlT_SI_SJ_SK_E_clIPiSD_S10_SD_EESH_SX_SI_SJ_SK_EUlSX_E0_NS1_11comp_targetILNS1_3genE9ELNS1_11target_archE1100ELNS1_3gpuE3ELNS1_3repE0EEENS1_38merge_mergepath_config_static_selectorELNS0_4arch9wavefront6targetE1EEEvSJ_
		.amdhsa_group_segment_fixed_size 0
		.amdhsa_private_segment_fixed_size 0
		.amdhsa_kernarg_size 64
		.amdhsa_user_sgpr_count 2
		.amdhsa_user_sgpr_dispatch_ptr 0
		.amdhsa_user_sgpr_queue_ptr 0
		.amdhsa_user_sgpr_kernarg_segment_ptr 1
		.amdhsa_user_sgpr_dispatch_id 0
		.amdhsa_user_sgpr_kernarg_preload_length 0
		.amdhsa_user_sgpr_kernarg_preload_offset 0
		.amdhsa_user_sgpr_private_segment_size 0
		.amdhsa_uses_dynamic_stack 0
		.amdhsa_enable_private_segment 0
		.amdhsa_system_sgpr_workgroup_id_x 1
		.amdhsa_system_sgpr_workgroup_id_y 0
		.amdhsa_system_sgpr_workgroup_id_z 0
		.amdhsa_system_sgpr_workgroup_info 0
		.amdhsa_system_vgpr_workitem_id 0
		.amdhsa_next_free_vgpr 1
		.amdhsa_next_free_sgpr 0
		.amdhsa_accum_offset 4
		.amdhsa_reserve_vcc 0
		.amdhsa_float_round_mode_32 0
		.amdhsa_float_round_mode_16_64 0
		.amdhsa_float_denorm_mode_32 3
		.amdhsa_float_denorm_mode_16_64 3
		.amdhsa_dx10_clamp 1
		.amdhsa_ieee_mode 1
		.amdhsa_fp16_overflow 0
		.amdhsa_tg_split 0
		.amdhsa_exception_fp_ieee_invalid_op 0
		.amdhsa_exception_fp_denorm_src 0
		.amdhsa_exception_fp_ieee_div_zero 0
		.amdhsa_exception_fp_ieee_overflow 0
		.amdhsa_exception_fp_ieee_underflow 0
		.amdhsa_exception_fp_ieee_inexact 0
		.amdhsa_exception_int_div_zero 0
	.end_amdhsa_kernel
	.section	.text._ZN7rocprim17ROCPRIM_400000_NS6detail17trampoline_kernelINS0_14default_configENS1_38merge_sort_block_merge_config_selectorIiiEEZZNS1_27merge_sort_block_merge_implIS3_N6thrust23THRUST_200600_302600_NS6detail15normal_iteratorINS8_10device_ptrIiEEEESD_jNS1_19radix_merge_compareILb1ELb1EiNS0_19identity_decomposerEEEEE10hipError_tT0_T1_T2_jT3_P12ihipStream_tbPNSt15iterator_traitsISI_E10value_typeEPNSO_ISJ_E10value_typeEPSK_NS1_7vsmem_tEENKUlT_SI_SJ_SK_E_clIPiSD_S10_SD_EESH_SX_SI_SJ_SK_EUlSX_E0_NS1_11comp_targetILNS1_3genE9ELNS1_11target_archE1100ELNS1_3gpuE3ELNS1_3repE0EEENS1_38merge_mergepath_config_static_selectorELNS0_4arch9wavefront6targetE1EEEvSJ_,"axG",@progbits,_ZN7rocprim17ROCPRIM_400000_NS6detail17trampoline_kernelINS0_14default_configENS1_38merge_sort_block_merge_config_selectorIiiEEZZNS1_27merge_sort_block_merge_implIS3_N6thrust23THRUST_200600_302600_NS6detail15normal_iteratorINS8_10device_ptrIiEEEESD_jNS1_19radix_merge_compareILb1ELb1EiNS0_19identity_decomposerEEEEE10hipError_tT0_T1_T2_jT3_P12ihipStream_tbPNSt15iterator_traitsISI_E10value_typeEPNSO_ISJ_E10value_typeEPSK_NS1_7vsmem_tEENKUlT_SI_SJ_SK_E_clIPiSD_S10_SD_EESH_SX_SI_SJ_SK_EUlSX_E0_NS1_11comp_targetILNS1_3genE9ELNS1_11target_archE1100ELNS1_3gpuE3ELNS1_3repE0EEENS1_38merge_mergepath_config_static_selectorELNS0_4arch9wavefront6targetE1EEEvSJ_,comdat
.Lfunc_end1785:
	.size	_ZN7rocprim17ROCPRIM_400000_NS6detail17trampoline_kernelINS0_14default_configENS1_38merge_sort_block_merge_config_selectorIiiEEZZNS1_27merge_sort_block_merge_implIS3_N6thrust23THRUST_200600_302600_NS6detail15normal_iteratorINS8_10device_ptrIiEEEESD_jNS1_19radix_merge_compareILb1ELb1EiNS0_19identity_decomposerEEEEE10hipError_tT0_T1_T2_jT3_P12ihipStream_tbPNSt15iterator_traitsISI_E10value_typeEPNSO_ISJ_E10value_typeEPSK_NS1_7vsmem_tEENKUlT_SI_SJ_SK_E_clIPiSD_S10_SD_EESH_SX_SI_SJ_SK_EUlSX_E0_NS1_11comp_targetILNS1_3genE9ELNS1_11target_archE1100ELNS1_3gpuE3ELNS1_3repE0EEENS1_38merge_mergepath_config_static_selectorELNS0_4arch9wavefront6targetE1EEEvSJ_, .Lfunc_end1785-_ZN7rocprim17ROCPRIM_400000_NS6detail17trampoline_kernelINS0_14default_configENS1_38merge_sort_block_merge_config_selectorIiiEEZZNS1_27merge_sort_block_merge_implIS3_N6thrust23THRUST_200600_302600_NS6detail15normal_iteratorINS8_10device_ptrIiEEEESD_jNS1_19radix_merge_compareILb1ELb1EiNS0_19identity_decomposerEEEEE10hipError_tT0_T1_T2_jT3_P12ihipStream_tbPNSt15iterator_traitsISI_E10value_typeEPNSO_ISJ_E10value_typeEPSK_NS1_7vsmem_tEENKUlT_SI_SJ_SK_E_clIPiSD_S10_SD_EESH_SX_SI_SJ_SK_EUlSX_E0_NS1_11comp_targetILNS1_3genE9ELNS1_11target_archE1100ELNS1_3gpuE3ELNS1_3repE0EEENS1_38merge_mergepath_config_static_selectorELNS0_4arch9wavefront6targetE1EEEvSJ_
                                        ; -- End function
	.set _ZN7rocprim17ROCPRIM_400000_NS6detail17trampoline_kernelINS0_14default_configENS1_38merge_sort_block_merge_config_selectorIiiEEZZNS1_27merge_sort_block_merge_implIS3_N6thrust23THRUST_200600_302600_NS6detail15normal_iteratorINS8_10device_ptrIiEEEESD_jNS1_19radix_merge_compareILb1ELb1EiNS0_19identity_decomposerEEEEE10hipError_tT0_T1_T2_jT3_P12ihipStream_tbPNSt15iterator_traitsISI_E10value_typeEPNSO_ISJ_E10value_typeEPSK_NS1_7vsmem_tEENKUlT_SI_SJ_SK_E_clIPiSD_S10_SD_EESH_SX_SI_SJ_SK_EUlSX_E0_NS1_11comp_targetILNS1_3genE9ELNS1_11target_archE1100ELNS1_3gpuE3ELNS1_3repE0EEENS1_38merge_mergepath_config_static_selectorELNS0_4arch9wavefront6targetE1EEEvSJ_.num_vgpr, 0
	.set _ZN7rocprim17ROCPRIM_400000_NS6detail17trampoline_kernelINS0_14default_configENS1_38merge_sort_block_merge_config_selectorIiiEEZZNS1_27merge_sort_block_merge_implIS3_N6thrust23THRUST_200600_302600_NS6detail15normal_iteratorINS8_10device_ptrIiEEEESD_jNS1_19radix_merge_compareILb1ELb1EiNS0_19identity_decomposerEEEEE10hipError_tT0_T1_T2_jT3_P12ihipStream_tbPNSt15iterator_traitsISI_E10value_typeEPNSO_ISJ_E10value_typeEPSK_NS1_7vsmem_tEENKUlT_SI_SJ_SK_E_clIPiSD_S10_SD_EESH_SX_SI_SJ_SK_EUlSX_E0_NS1_11comp_targetILNS1_3genE9ELNS1_11target_archE1100ELNS1_3gpuE3ELNS1_3repE0EEENS1_38merge_mergepath_config_static_selectorELNS0_4arch9wavefront6targetE1EEEvSJ_.num_agpr, 0
	.set _ZN7rocprim17ROCPRIM_400000_NS6detail17trampoline_kernelINS0_14default_configENS1_38merge_sort_block_merge_config_selectorIiiEEZZNS1_27merge_sort_block_merge_implIS3_N6thrust23THRUST_200600_302600_NS6detail15normal_iteratorINS8_10device_ptrIiEEEESD_jNS1_19radix_merge_compareILb1ELb1EiNS0_19identity_decomposerEEEEE10hipError_tT0_T1_T2_jT3_P12ihipStream_tbPNSt15iterator_traitsISI_E10value_typeEPNSO_ISJ_E10value_typeEPSK_NS1_7vsmem_tEENKUlT_SI_SJ_SK_E_clIPiSD_S10_SD_EESH_SX_SI_SJ_SK_EUlSX_E0_NS1_11comp_targetILNS1_3genE9ELNS1_11target_archE1100ELNS1_3gpuE3ELNS1_3repE0EEENS1_38merge_mergepath_config_static_selectorELNS0_4arch9wavefront6targetE1EEEvSJ_.numbered_sgpr, 0
	.set _ZN7rocprim17ROCPRIM_400000_NS6detail17trampoline_kernelINS0_14default_configENS1_38merge_sort_block_merge_config_selectorIiiEEZZNS1_27merge_sort_block_merge_implIS3_N6thrust23THRUST_200600_302600_NS6detail15normal_iteratorINS8_10device_ptrIiEEEESD_jNS1_19radix_merge_compareILb1ELb1EiNS0_19identity_decomposerEEEEE10hipError_tT0_T1_T2_jT3_P12ihipStream_tbPNSt15iterator_traitsISI_E10value_typeEPNSO_ISJ_E10value_typeEPSK_NS1_7vsmem_tEENKUlT_SI_SJ_SK_E_clIPiSD_S10_SD_EESH_SX_SI_SJ_SK_EUlSX_E0_NS1_11comp_targetILNS1_3genE9ELNS1_11target_archE1100ELNS1_3gpuE3ELNS1_3repE0EEENS1_38merge_mergepath_config_static_selectorELNS0_4arch9wavefront6targetE1EEEvSJ_.num_named_barrier, 0
	.set _ZN7rocprim17ROCPRIM_400000_NS6detail17trampoline_kernelINS0_14default_configENS1_38merge_sort_block_merge_config_selectorIiiEEZZNS1_27merge_sort_block_merge_implIS3_N6thrust23THRUST_200600_302600_NS6detail15normal_iteratorINS8_10device_ptrIiEEEESD_jNS1_19radix_merge_compareILb1ELb1EiNS0_19identity_decomposerEEEEE10hipError_tT0_T1_T2_jT3_P12ihipStream_tbPNSt15iterator_traitsISI_E10value_typeEPNSO_ISJ_E10value_typeEPSK_NS1_7vsmem_tEENKUlT_SI_SJ_SK_E_clIPiSD_S10_SD_EESH_SX_SI_SJ_SK_EUlSX_E0_NS1_11comp_targetILNS1_3genE9ELNS1_11target_archE1100ELNS1_3gpuE3ELNS1_3repE0EEENS1_38merge_mergepath_config_static_selectorELNS0_4arch9wavefront6targetE1EEEvSJ_.private_seg_size, 0
	.set _ZN7rocprim17ROCPRIM_400000_NS6detail17trampoline_kernelINS0_14default_configENS1_38merge_sort_block_merge_config_selectorIiiEEZZNS1_27merge_sort_block_merge_implIS3_N6thrust23THRUST_200600_302600_NS6detail15normal_iteratorINS8_10device_ptrIiEEEESD_jNS1_19radix_merge_compareILb1ELb1EiNS0_19identity_decomposerEEEEE10hipError_tT0_T1_T2_jT3_P12ihipStream_tbPNSt15iterator_traitsISI_E10value_typeEPNSO_ISJ_E10value_typeEPSK_NS1_7vsmem_tEENKUlT_SI_SJ_SK_E_clIPiSD_S10_SD_EESH_SX_SI_SJ_SK_EUlSX_E0_NS1_11comp_targetILNS1_3genE9ELNS1_11target_archE1100ELNS1_3gpuE3ELNS1_3repE0EEENS1_38merge_mergepath_config_static_selectorELNS0_4arch9wavefront6targetE1EEEvSJ_.uses_vcc, 0
	.set _ZN7rocprim17ROCPRIM_400000_NS6detail17trampoline_kernelINS0_14default_configENS1_38merge_sort_block_merge_config_selectorIiiEEZZNS1_27merge_sort_block_merge_implIS3_N6thrust23THRUST_200600_302600_NS6detail15normal_iteratorINS8_10device_ptrIiEEEESD_jNS1_19radix_merge_compareILb1ELb1EiNS0_19identity_decomposerEEEEE10hipError_tT0_T1_T2_jT3_P12ihipStream_tbPNSt15iterator_traitsISI_E10value_typeEPNSO_ISJ_E10value_typeEPSK_NS1_7vsmem_tEENKUlT_SI_SJ_SK_E_clIPiSD_S10_SD_EESH_SX_SI_SJ_SK_EUlSX_E0_NS1_11comp_targetILNS1_3genE9ELNS1_11target_archE1100ELNS1_3gpuE3ELNS1_3repE0EEENS1_38merge_mergepath_config_static_selectorELNS0_4arch9wavefront6targetE1EEEvSJ_.uses_flat_scratch, 0
	.set _ZN7rocprim17ROCPRIM_400000_NS6detail17trampoline_kernelINS0_14default_configENS1_38merge_sort_block_merge_config_selectorIiiEEZZNS1_27merge_sort_block_merge_implIS3_N6thrust23THRUST_200600_302600_NS6detail15normal_iteratorINS8_10device_ptrIiEEEESD_jNS1_19radix_merge_compareILb1ELb1EiNS0_19identity_decomposerEEEEE10hipError_tT0_T1_T2_jT3_P12ihipStream_tbPNSt15iterator_traitsISI_E10value_typeEPNSO_ISJ_E10value_typeEPSK_NS1_7vsmem_tEENKUlT_SI_SJ_SK_E_clIPiSD_S10_SD_EESH_SX_SI_SJ_SK_EUlSX_E0_NS1_11comp_targetILNS1_3genE9ELNS1_11target_archE1100ELNS1_3gpuE3ELNS1_3repE0EEENS1_38merge_mergepath_config_static_selectorELNS0_4arch9wavefront6targetE1EEEvSJ_.has_dyn_sized_stack, 0
	.set _ZN7rocprim17ROCPRIM_400000_NS6detail17trampoline_kernelINS0_14default_configENS1_38merge_sort_block_merge_config_selectorIiiEEZZNS1_27merge_sort_block_merge_implIS3_N6thrust23THRUST_200600_302600_NS6detail15normal_iteratorINS8_10device_ptrIiEEEESD_jNS1_19radix_merge_compareILb1ELb1EiNS0_19identity_decomposerEEEEE10hipError_tT0_T1_T2_jT3_P12ihipStream_tbPNSt15iterator_traitsISI_E10value_typeEPNSO_ISJ_E10value_typeEPSK_NS1_7vsmem_tEENKUlT_SI_SJ_SK_E_clIPiSD_S10_SD_EESH_SX_SI_SJ_SK_EUlSX_E0_NS1_11comp_targetILNS1_3genE9ELNS1_11target_archE1100ELNS1_3gpuE3ELNS1_3repE0EEENS1_38merge_mergepath_config_static_selectorELNS0_4arch9wavefront6targetE1EEEvSJ_.has_recursion, 0
	.set _ZN7rocprim17ROCPRIM_400000_NS6detail17trampoline_kernelINS0_14default_configENS1_38merge_sort_block_merge_config_selectorIiiEEZZNS1_27merge_sort_block_merge_implIS3_N6thrust23THRUST_200600_302600_NS6detail15normal_iteratorINS8_10device_ptrIiEEEESD_jNS1_19radix_merge_compareILb1ELb1EiNS0_19identity_decomposerEEEEE10hipError_tT0_T1_T2_jT3_P12ihipStream_tbPNSt15iterator_traitsISI_E10value_typeEPNSO_ISJ_E10value_typeEPSK_NS1_7vsmem_tEENKUlT_SI_SJ_SK_E_clIPiSD_S10_SD_EESH_SX_SI_SJ_SK_EUlSX_E0_NS1_11comp_targetILNS1_3genE9ELNS1_11target_archE1100ELNS1_3gpuE3ELNS1_3repE0EEENS1_38merge_mergepath_config_static_selectorELNS0_4arch9wavefront6targetE1EEEvSJ_.has_indirect_call, 0
	.section	.AMDGPU.csdata,"",@progbits
; Kernel info:
; codeLenInByte = 0
; TotalNumSgprs: 6
; NumVgprs: 0
; NumAgprs: 0
; TotalNumVgprs: 0
; ScratchSize: 0
; MemoryBound: 0
; FloatMode: 240
; IeeeMode: 1
; LDSByteSize: 0 bytes/workgroup (compile time only)
; SGPRBlocks: 0
; VGPRBlocks: 0
; NumSGPRsForWavesPerEU: 6
; NumVGPRsForWavesPerEU: 1
; AccumOffset: 4
; Occupancy: 8
; WaveLimiterHint : 0
; COMPUTE_PGM_RSRC2:SCRATCH_EN: 0
; COMPUTE_PGM_RSRC2:USER_SGPR: 2
; COMPUTE_PGM_RSRC2:TRAP_HANDLER: 0
; COMPUTE_PGM_RSRC2:TGID_X_EN: 1
; COMPUTE_PGM_RSRC2:TGID_Y_EN: 0
; COMPUTE_PGM_RSRC2:TGID_Z_EN: 0
; COMPUTE_PGM_RSRC2:TIDIG_COMP_CNT: 0
; COMPUTE_PGM_RSRC3_GFX90A:ACCUM_OFFSET: 0
; COMPUTE_PGM_RSRC3_GFX90A:TG_SPLIT: 0
	.section	.text._ZN7rocprim17ROCPRIM_400000_NS6detail17trampoline_kernelINS0_14default_configENS1_38merge_sort_block_merge_config_selectorIiiEEZZNS1_27merge_sort_block_merge_implIS3_N6thrust23THRUST_200600_302600_NS6detail15normal_iteratorINS8_10device_ptrIiEEEESD_jNS1_19radix_merge_compareILb1ELb1EiNS0_19identity_decomposerEEEEE10hipError_tT0_T1_T2_jT3_P12ihipStream_tbPNSt15iterator_traitsISI_E10value_typeEPNSO_ISJ_E10value_typeEPSK_NS1_7vsmem_tEENKUlT_SI_SJ_SK_E_clIPiSD_S10_SD_EESH_SX_SI_SJ_SK_EUlSX_E0_NS1_11comp_targetILNS1_3genE8ELNS1_11target_archE1030ELNS1_3gpuE2ELNS1_3repE0EEENS1_38merge_mergepath_config_static_selectorELNS0_4arch9wavefront6targetE1EEEvSJ_,"axG",@progbits,_ZN7rocprim17ROCPRIM_400000_NS6detail17trampoline_kernelINS0_14default_configENS1_38merge_sort_block_merge_config_selectorIiiEEZZNS1_27merge_sort_block_merge_implIS3_N6thrust23THRUST_200600_302600_NS6detail15normal_iteratorINS8_10device_ptrIiEEEESD_jNS1_19radix_merge_compareILb1ELb1EiNS0_19identity_decomposerEEEEE10hipError_tT0_T1_T2_jT3_P12ihipStream_tbPNSt15iterator_traitsISI_E10value_typeEPNSO_ISJ_E10value_typeEPSK_NS1_7vsmem_tEENKUlT_SI_SJ_SK_E_clIPiSD_S10_SD_EESH_SX_SI_SJ_SK_EUlSX_E0_NS1_11comp_targetILNS1_3genE8ELNS1_11target_archE1030ELNS1_3gpuE2ELNS1_3repE0EEENS1_38merge_mergepath_config_static_selectorELNS0_4arch9wavefront6targetE1EEEvSJ_,comdat
	.protected	_ZN7rocprim17ROCPRIM_400000_NS6detail17trampoline_kernelINS0_14default_configENS1_38merge_sort_block_merge_config_selectorIiiEEZZNS1_27merge_sort_block_merge_implIS3_N6thrust23THRUST_200600_302600_NS6detail15normal_iteratorINS8_10device_ptrIiEEEESD_jNS1_19radix_merge_compareILb1ELb1EiNS0_19identity_decomposerEEEEE10hipError_tT0_T1_T2_jT3_P12ihipStream_tbPNSt15iterator_traitsISI_E10value_typeEPNSO_ISJ_E10value_typeEPSK_NS1_7vsmem_tEENKUlT_SI_SJ_SK_E_clIPiSD_S10_SD_EESH_SX_SI_SJ_SK_EUlSX_E0_NS1_11comp_targetILNS1_3genE8ELNS1_11target_archE1030ELNS1_3gpuE2ELNS1_3repE0EEENS1_38merge_mergepath_config_static_selectorELNS0_4arch9wavefront6targetE1EEEvSJ_ ; -- Begin function _ZN7rocprim17ROCPRIM_400000_NS6detail17trampoline_kernelINS0_14default_configENS1_38merge_sort_block_merge_config_selectorIiiEEZZNS1_27merge_sort_block_merge_implIS3_N6thrust23THRUST_200600_302600_NS6detail15normal_iteratorINS8_10device_ptrIiEEEESD_jNS1_19radix_merge_compareILb1ELb1EiNS0_19identity_decomposerEEEEE10hipError_tT0_T1_T2_jT3_P12ihipStream_tbPNSt15iterator_traitsISI_E10value_typeEPNSO_ISJ_E10value_typeEPSK_NS1_7vsmem_tEENKUlT_SI_SJ_SK_E_clIPiSD_S10_SD_EESH_SX_SI_SJ_SK_EUlSX_E0_NS1_11comp_targetILNS1_3genE8ELNS1_11target_archE1030ELNS1_3gpuE2ELNS1_3repE0EEENS1_38merge_mergepath_config_static_selectorELNS0_4arch9wavefront6targetE1EEEvSJ_
	.globl	_ZN7rocprim17ROCPRIM_400000_NS6detail17trampoline_kernelINS0_14default_configENS1_38merge_sort_block_merge_config_selectorIiiEEZZNS1_27merge_sort_block_merge_implIS3_N6thrust23THRUST_200600_302600_NS6detail15normal_iteratorINS8_10device_ptrIiEEEESD_jNS1_19radix_merge_compareILb1ELb1EiNS0_19identity_decomposerEEEEE10hipError_tT0_T1_T2_jT3_P12ihipStream_tbPNSt15iterator_traitsISI_E10value_typeEPNSO_ISJ_E10value_typeEPSK_NS1_7vsmem_tEENKUlT_SI_SJ_SK_E_clIPiSD_S10_SD_EESH_SX_SI_SJ_SK_EUlSX_E0_NS1_11comp_targetILNS1_3genE8ELNS1_11target_archE1030ELNS1_3gpuE2ELNS1_3repE0EEENS1_38merge_mergepath_config_static_selectorELNS0_4arch9wavefront6targetE1EEEvSJ_
	.p2align	8
	.type	_ZN7rocprim17ROCPRIM_400000_NS6detail17trampoline_kernelINS0_14default_configENS1_38merge_sort_block_merge_config_selectorIiiEEZZNS1_27merge_sort_block_merge_implIS3_N6thrust23THRUST_200600_302600_NS6detail15normal_iteratorINS8_10device_ptrIiEEEESD_jNS1_19radix_merge_compareILb1ELb1EiNS0_19identity_decomposerEEEEE10hipError_tT0_T1_T2_jT3_P12ihipStream_tbPNSt15iterator_traitsISI_E10value_typeEPNSO_ISJ_E10value_typeEPSK_NS1_7vsmem_tEENKUlT_SI_SJ_SK_E_clIPiSD_S10_SD_EESH_SX_SI_SJ_SK_EUlSX_E0_NS1_11comp_targetILNS1_3genE8ELNS1_11target_archE1030ELNS1_3gpuE2ELNS1_3repE0EEENS1_38merge_mergepath_config_static_selectorELNS0_4arch9wavefront6targetE1EEEvSJ_,@function
_ZN7rocprim17ROCPRIM_400000_NS6detail17trampoline_kernelINS0_14default_configENS1_38merge_sort_block_merge_config_selectorIiiEEZZNS1_27merge_sort_block_merge_implIS3_N6thrust23THRUST_200600_302600_NS6detail15normal_iteratorINS8_10device_ptrIiEEEESD_jNS1_19radix_merge_compareILb1ELb1EiNS0_19identity_decomposerEEEEE10hipError_tT0_T1_T2_jT3_P12ihipStream_tbPNSt15iterator_traitsISI_E10value_typeEPNSO_ISJ_E10value_typeEPSK_NS1_7vsmem_tEENKUlT_SI_SJ_SK_E_clIPiSD_S10_SD_EESH_SX_SI_SJ_SK_EUlSX_E0_NS1_11comp_targetILNS1_3genE8ELNS1_11target_archE1030ELNS1_3gpuE2ELNS1_3repE0EEENS1_38merge_mergepath_config_static_selectorELNS0_4arch9wavefront6targetE1EEEvSJ_: ; @_ZN7rocprim17ROCPRIM_400000_NS6detail17trampoline_kernelINS0_14default_configENS1_38merge_sort_block_merge_config_selectorIiiEEZZNS1_27merge_sort_block_merge_implIS3_N6thrust23THRUST_200600_302600_NS6detail15normal_iteratorINS8_10device_ptrIiEEEESD_jNS1_19radix_merge_compareILb1ELb1EiNS0_19identity_decomposerEEEEE10hipError_tT0_T1_T2_jT3_P12ihipStream_tbPNSt15iterator_traitsISI_E10value_typeEPNSO_ISJ_E10value_typeEPSK_NS1_7vsmem_tEENKUlT_SI_SJ_SK_E_clIPiSD_S10_SD_EESH_SX_SI_SJ_SK_EUlSX_E0_NS1_11comp_targetILNS1_3genE8ELNS1_11target_archE1030ELNS1_3gpuE2ELNS1_3repE0EEENS1_38merge_mergepath_config_static_selectorELNS0_4arch9wavefront6targetE1EEEvSJ_
; %bb.0:
	.section	.rodata,"a",@progbits
	.p2align	6, 0x0
	.amdhsa_kernel _ZN7rocprim17ROCPRIM_400000_NS6detail17trampoline_kernelINS0_14default_configENS1_38merge_sort_block_merge_config_selectorIiiEEZZNS1_27merge_sort_block_merge_implIS3_N6thrust23THRUST_200600_302600_NS6detail15normal_iteratorINS8_10device_ptrIiEEEESD_jNS1_19radix_merge_compareILb1ELb1EiNS0_19identity_decomposerEEEEE10hipError_tT0_T1_T2_jT3_P12ihipStream_tbPNSt15iterator_traitsISI_E10value_typeEPNSO_ISJ_E10value_typeEPSK_NS1_7vsmem_tEENKUlT_SI_SJ_SK_E_clIPiSD_S10_SD_EESH_SX_SI_SJ_SK_EUlSX_E0_NS1_11comp_targetILNS1_3genE8ELNS1_11target_archE1030ELNS1_3gpuE2ELNS1_3repE0EEENS1_38merge_mergepath_config_static_selectorELNS0_4arch9wavefront6targetE1EEEvSJ_
		.amdhsa_group_segment_fixed_size 0
		.amdhsa_private_segment_fixed_size 0
		.amdhsa_kernarg_size 64
		.amdhsa_user_sgpr_count 2
		.amdhsa_user_sgpr_dispatch_ptr 0
		.amdhsa_user_sgpr_queue_ptr 0
		.amdhsa_user_sgpr_kernarg_segment_ptr 1
		.amdhsa_user_sgpr_dispatch_id 0
		.amdhsa_user_sgpr_kernarg_preload_length 0
		.amdhsa_user_sgpr_kernarg_preload_offset 0
		.amdhsa_user_sgpr_private_segment_size 0
		.amdhsa_uses_dynamic_stack 0
		.amdhsa_enable_private_segment 0
		.amdhsa_system_sgpr_workgroup_id_x 1
		.amdhsa_system_sgpr_workgroup_id_y 0
		.amdhsa_system_sgpr_workgroup_id_z 0
		.amdhsa_system_sgpr_workgroup_info 0
		.amdhsa_system_vgpr_workitem_id 0
		.amdhsa_next_free_vgpr 1
		.amdhsa_next_free_sgpr 0
		.amdhsa_accum_offset 4
		.amdhsa_reserve_vcc 0
		.amdhsa_float_round_mode_32 0
		.amdhsa_float_round_mode_16_64 0
		.amdhsa_float_denorm_mode_32 3
		.amdhsa_float_denorm_mode_16_64 3
		.amdhsa_dx10_clamp 1
		.amdhsa_ieee_mode 1
		.amdhsa_fp16_overflow 0
		.amdhsa_tg_split 0
		.amdhsa_exception_fp_ieee_invalid_op 0
		.amdhsa_exception_fp_denorm_src 0
		.amdhsa_exception_fp_ieee_div_zero 0
		.amdhsa_exception_fp_ieee_overflow 0
		.amdhsa_exception_fp_ieee_underflow 0
		.amdhsa_exception_fp_ieee_inexact 0
		.amdhsa_exception_int_div_zero 0
	.end_amdhsa_kernel
	.section	.text._ZN7rocprim17ROCPRIM_400000_NS6detail17trampoline_kernelINS0_14default_configENS1_38merge_sort_block_merge_config_selectorIiiEEZZNS1_27merge_sort_block_merge_implIS3_N6thrust23THRUST_200600_302600_NS6detail15normal_iteratorINS8_10device_ptrIiEEEESD_jNS1_19radix_merge_compareILb1ELb1EiNS0_19identity_decomposerEEEEE10hipError_tT0_T1_T2_jT3_P12ihipStream_tbPNSt15iterator_traitsISI_E10value_typeEPNSO_ISJ_E10value_typeEPSK_NS1_7vsmem_tEENKUlT_SI_SJ_SK_E_clIPiSD_S10_SD_EESH_SX_SI_SJ_SK_EUlSX_E0_NS1_11comp_targetILNS1_3genE8ELNS1_11target_archE1030ELNS1_3gpuE2ELNS1_3repE0EEENS1_38merge_mergepath_config_static_selectorELNS0_4arch9wavefront6targetE1EEEvSJ_,"axG",@progbits,_ZN7rocprim17ROCPRIM_400000_NS6detail17trampoline_kernelINS0_14default_configENS1_38merge_sort_block_merge_config_selectorIiiEEZZNS1_27merge_sort_block_merge_implIS3_N6thrust23THRUST_200600_302600_NS6detail15normal_iteratorINS8_10device_ptrIiEEEESD_jNS1_19radix_merge_compareILb1ELb1EiNS0_19identity_decomposerEEEEE10hipError_tT0_T1_T2_jT3_P12ihipStream_tbPNSt15iterator_traitsISI_E10value_typeEPNSO_ISJ_E10value_typeEPSK_NS1_7vsmem_tEENKUlT_SI_SJ_SK_E_clIPiSD_S10_SD_EESH_SX_SI_SJ_SK_EUlSX_E0_NS1_11comp_targetILNS1_3genE8ELNS1_11target_archE1030ELNS1_3gpuE2ELNS1_3repE0EEENS1_38merge_mergepath_config_static_selectorELNS0_4arch9wavefront6targetE1EEEvSJ_,comdat
.Lfunc_end1786:
	.size	_ZN7rocprim17ROCPRIM_400000_NS6detail17trampoline_kernelINS0_14default_configENS1_38merge_sort_block_merge_config_selectorIiiEEZZNS1_27merge_sort_block_merge_implIS3_N6thrust23THRUST_200600_302600_NS6detail15normal_iteratorINS8_10device_ptrIiEEEESD_jNS1_19radix_merge_compareILb1ELb1EiNS0_19identity_decomposerEEEEE10hipError_tT0_T1_T2_jT3_P12ihipStream_tbPNSt15iterator_traitsISI_E10value_typeEPNSO_ISJ_E10value_typeEPSK_NS1_7vsmem_tEENKUlT_SI_SJ_SK_E_clIPiSD_S10_SD_EESH_SX_SI_SJ_SK_EUlSX_E0_NS1_11comp_targetILNS1_3genE8ELNS1_11target_archE1030ELNS1_3gpuE2ELNS1_3repE0EEENS1_38merge_mergepath_config_static_selectorELNS0_4arch9wavefront6targetE1EEEvSJ_, .Lfunc_end1786-_ZN7rocprim17ROCPRIM_400000_NS6detail17trampoline_kernelINS0_14default_configENS1_38merge_sort_block_merge_config_selectorIiiEEZZNS1_27merge_sort_block_merge_implIS3_N6thrust23THRUST_200600_302600_NS6detail15normal_iteratorINS8_10device_ptrIiEEEESD_jNS1_19radix_merge_compareILb1ELb1EiNS0_19identity_decomposerEEEEE10hipError_tT0_T1_T2_jT3_P12ihipStream_tbPNSt15iterator_traitsISI_E10value_typeEPNSO_ISJ_E10value_typeEPSK_NS1_7vsmem_tEENKUlT_SI_SJ_SK_E_clIPiSD_S10_SD_EESH_SX_SI_SJ_SK_EUlSX_E0_NS1_11comp_targetILNS1_3genE8ELNS1_11target_archE1030ELNS1_3gpuE2ELNS1_3repE0EEENS1_38merge_mergepath_config_static_selectorELNS0_4arch9wavefront6targetE1EEEvSJ_
                                        ; -- End function
	.set _ZN7rocprim17ROCPRIM_400000_NS6detail17trampoline_kernelINS0_14default_configENS1_38merge_sort_block_merge_config_selectorIiiEEZZNS1_27merge_sort_block_merge_implIS3_N6thrust23THRUST_200600_302600_NS6detail15normal_iteratorINS8_10device_ptrIiEEEESD_jNS1_19radix_merge_compareILb1ELb1EiNS0_19identity_decomposerEEEEE10hipError_tT0_T1_T2_jT3_P12ihipStream_tbPNSt15iterator_traitsISI_E10value_typeEPNSO_ISJ_E10value_typeEPSK_NS1_7vsmem_tEENKUlT_SI_SJ_SK_E_clIPiSD_S10_SD_EESH_SX_SI_SJ_SK_EUlSX_E0_NS1_11comp_targetILNS1_3genE8ELNS1_11target_archE1030ELNS1_3gpuE2ELNS1_3repE0EEENS1_38merge_mergepath_config_static_selectorELNS0_4arch9wavefront6targetE1EEEvSJ_.num_vgpr, 0
	.set _ZN7rocprim17ROCPRIM_400000_NS6detail17trampoline_kernelINS0_14default_configENS1_38merge_sort_block_merge_config_selectorIiiEEZZNS1_27merge_sort_block_merge_implIS3_N6thrust23THRUST_200600_302600_NS6detail15normal_iteratorINS8_10device_ptrIiEEEESD_jNS1_19radix_merge_compareILb1ELb1EiNS0_19identity_decomposerEEEEE10hipError_tT0_T1_T2_jT3_P12ihipStream_tbPNSt15iterator_traitsISI_E10value_typeEPNSO_ISJ_E10value_typeEPSK_NS1_7vsmem_tEENKUlT_SI_SJ_SK_E_clIPiSD_S10_SD_EESH_SX_SI_SJ_SK_EUlSX_E0_NS1_11comp_targetILNS1_3genE8ELNS1_11target_archE1030ELNS1_3gpuE2ELNS1_3repE0EEENS1_38merge_mergepath_config_static_selectorELNS0_4arch9wavefront6targetE1EEEvSJ_.num_agpr, 0
	.set _ZN7rocprim17ROCPRIM_400000_NS6detail17trampoline_kernelINS0_14default_configENS1_38merge_sort_block_merge_config_selectorIiiEEZZNS1_27merge_sort_block_merge_implIS3_N6thrust23THRUST_200600_302600_NS6detail15normal_iteratorINS8_10device_ptrIiEEEESD_jNS1_19radix_merge_compareILb1ELb1EiNS0_19identity_decomposerEEEEE10hipError_tT0_T1_T2_jT3_P12ihipStream_tbPNSt15iterator_traitsISI_E10value_typeEPNSO_ISJ_E10value_typeEPSK_NS1_7vsmem_tEENKUlT_SI_SJ_SK_E_clIPiSD_S10_SD_EESH_SX_SI_SJ_SK_EUlSX_E0_NS1_11comp_targetILNS1_3genE8ELNS1_11target_archE1030ELNS1_3gpuE2ELNS1_3repE0EEENS1_38merge_mergepath_config_static_selectorELNS0_4arch9wavefront6targetE1EEEvSJ_.numbered_sgpr, 0
	.set _ZN7rocprim17ROCPRIM_400000_NS6detail17trampoline_kernelINS0_14default_configENS1_38merge_sort_block_merge_config_selectorIiiEEZZNS1_27merge_sort_block_merge_implIS3_N6thrust23THRUST_200600_302600_NS6detail15normal_iteratorINS8_10device_ptrIiEEEESD_jNS1_19radix_merge_compareILb1ELb1EiNS0_19identity_decomposerEEEEE10hipError_tT0_T1_T2_jT3_P12ihipStream_tbPNSt15iterator_traitsISI_E10value_typeEPNSO_ISJ_E10value_typeEPSK_NS1_7vsmem_tEENKUlT_SI_SJ_SK_E_clIPiSD_S10_SD_EESH_SX_SI_SJ_SK_EUlSX_E0_NS1_11comp_targetILNS1_3genE8ELNS1_11target_archE1030ELNS1_3gpuE2ELNS1_3repE0EEENS1_38merge_mergepath_config_static_selectorELNS0_4arch9wavefront6targetE1EEEvSJ_.num_named_barrier, 0
	.set _ZN7rocprim17ROCPRIM_400000_NS6detail17trampoline_kernelINS0_14default_configENS1_38merge_sort_block_merge_config_selectorIiiEEZZNS1_27merge_sort_block_merge_implIS3_N6thrust23THRUST_200600_302600_NS6detail15normal_iteratorINS8_10device_ptrIiEEEESD_jNS1_19radix_merge_compareILb1ELb1EiNS0_19identity_decomposerEEEEE10hipError_tT0_T1_T2_jT3_P12ihipStream_tbPNSt15iterator_traitsISI_E10value_typeEPNSO_ISJ_E10value_typeEPSK_NS1_7vsmem_tEENKUlT_SI_SJ_SK_E_clIPiSD_S10_SD_EESH_SX_SI_SJ_SK_EUlSX_E0_NS1_11comp_targetILNS1_3genE8ELNS1_11target_archE1030ELNS1_3gpuE2ELNS1_3repE0EEENS1_38merge_mergepath_config_static_selectorELNS0_4arch9wavefront6targetE1EEEvSJ_.private_seg_size, 0
	.set _ZN7rocprim17ROCPRIM_400000_NS6detail17trampoline_kernelINS0_14default_configENS1_38merge_sort_block_merge_config_selectorIiiEEZZNS1_27merge_sort_block_merge_implIS3_N6thrust23THRUST_200600_302600_NS6detail15normal_iteratorINS8_10device_ptrIiEEEESD_jNS1_19radix_merge_compareILb1ELb1EiNS0_19identity_decomposerEEEEE10hipError_tT0_T1_T2_jT3_P12ihipStream_tbPNSt15iterator_traitsISI_E10value_typeEPNSO_ISJ_E10value_typeEPSK_NS1_7vsmem_tEENKUlT_SI_SJ_SK_E_clIPiSD_S10_SD_EESH_SX_SI_SJ_SK_EUlSX_E0_NS1_11comp_targetILNS1_3genE8ELNS1_11target_archE1030ELNS1_3gpuE2ELNS1_3repE0EEENS1_38merge_mergepath_config_static_selectorELNS0_4arch9wavefront6targetE1EEEvSJ_.uses_vcc, 0
	.set _ZN7rocprim17ROCPRIM_400000_NS6detail17trampoline_kernelINS0_14default_configENS1_38merge_sort_block_merge_config_selectorIiiEEZZNS1_27merge_sort_block_merge_implIS3_N6thrust23THRUST_200600_302600_NS6detail15normal_iteratorINS8_10device_ptrIiEEEESD_jNS1_19radix_merge_compareILb1ELb1EiNS0_19identity_decomposerEEEEE10hipError_tT0_T1_T2_jT3_P12ihipStream_tbPNSt15iterator_traitsISI_E10value_typeEPNSO_ISJ_E10value_typeEPSK_NS1_7vsmem_tEENKUlT_SI_SJ_SK_E_clIPiSD_S10_SD_EESH_SX_SI_SJ_SK_EUlSX_E0_NS1_11comp_targetILNS1_3genE8ELNS1_11target_archE1030ELNS1_3gpuE2ELNS1_3repE0EEENS1_38merge_mergepath_config_static_selectorELNS0_4arch9wavefront6targetE1EEEvSJ_.uses_flat_scratch, 0
	.set _ZN7rocprim17ROCPRIM_400000_NS6detail17trampoline_kernelINS0_14default_configENS1_38merge_sort_block_merge_config_selectorIiiEEZZNS1_27merge_sort_block_merge_implIS3_N6thrust23THRUST_200600_302600_NS6detail15normal_iteratorINS8_10device_ptrIiEEEESD_jNS1_19radix_merge_compareILb1ELb1EiNS0_19identity_decomposerEEEEE10hipError_tT0_T1_T2_jT3_P12ihipStream_tbPNSt15iterator_traitsISI_E10value_typeEPNSO_ISJ_E10value_typeEPSK_NS1_7vsmem_tEENKUlT_SI_SJ_SK_E_clIPiSD_S10_SD_EESH_SX_SI_SJ_SK_EUlSX_E0_NS1_11comp_targetILNS1_3genE8ELNS1_11target_archE1030ELNS1_3gpuE2ELNS1_3repE0EEENS1_38merge_mergepath_config_static_selectorELNS0_4arch9wavefront6targetE1EEEvSJ_.has_dyn_sized_stack, 0
	.set _ZN7rocprim17ROCPRIM_400000_NS6detail17trampoline_kernelINS0_14default_configENS1_38merge_sort_block_merge_config_selectorIiiEEZZNS1_27merge_sort_block_merge_implIS3_N6thrust23THRUST_200600_302600_NS6detail15normal_iteratorINS8_10device_ptrIiEEEESD_jNS1_19radix_merge_compareILb1ELb1EiNS0_19identity_decomposerEEEEE10hipError_tT0_T1_T2_jT3_P12ihipStream_tbPNSt15iterator_traitsISI_E10value_typeEPNSO_ISJ_E10value_typeEPSK_NS1_7vsmem_tEENKUlT_SI_SJ_SK_E_clIPiSD_S10_SD_EESH_SX_SI_SJ_SK_EUlSX_E0_NS1_11comp_targetILNS1_3genE8ELNS1_11target_archE1030ELNS1_3gpuE2ELNS1_3repE0EEENS1_38merge_mergepath_config_static_selectorELNS0_4arch9wavefront6targetE1EEEvSJ_.has_recursion, 0
	.set _ZN7rocprim17ROCPRIM_400000_NS6detail17trampoline_kernelINS0_14default_configENS1_38merge_sort_block_merge_config_selectorIiiEEZZNS1_27merge_sort_block_merge_implIS3_N6thrust23THRUST_200600_302600_NS6detail15normal_iteratorINS8_10device_ptrIiEEEESD_jNS1_19radix_merge_compareILb1ELb1EiNS0_19identity_decomposerEEEEE10hipError_tT0_T1_T2_jT3_P12ihipStream_tbPNSt15iterator_traitsISI_E10value_typeEPNSO_ISJ_E10value_typeEPSK_NS1_7vsmem_tEENKUlT_SI_SJ_SK_E_clIPiSD_S10_SD_EESH_SX_SI_SJ_SK_EUlSX_E0_NS1_11comp_targetILNS1_3genE8ELNS1_11target_archE1030ELNS1_3gpuE2ELNS1_3repE0EEENS1_38merge_mergepath_config_static_selectorELNS0_4arch9wavefront6targetE1EEEvSJ_.has_indirect_call, 0
	.section	.AMDGPU.csdata,"",@progbits
; Kernel info:
; codeLenInByte = 0
; TotalNumSgprs: 6
; NumVgprs: 0
; NumAgprs: 0
; TotalNumVgprs: 0
; ScratchSize: 0
; MemoryBound: 0
; FloatMode: 240
; IeeeMode: 1
; LDSByteSize: 0 bytes/workgroup (compile time only)
; SGPRBlocks: 0
; VGPRBlocks: 0
; NumSGPRsForWavesPerEU: 6
; NumVGPRsForWavesPerEU: 1
; AccumOffset: 4
; Occupancy: 8
; WaveLimiterHint : 0
; COMPUTE_PGM_RSRC2:SCRATCH_EN: 0
; COMPUTE_PGM_RSRC2:USER_SGPR: 2
; COMPUTE_PGM_RSRC2:TRAP_HANDLER: 0
; COMPUTE_PGM_RSRC2:TGID_X_EN: 1
; COMPUTE_PGM_RSRC2:TGID_Y_EN: 0
; COMPUTE_PGM_RSRC2:TGID_Z_EN: 0
; COMPUTE_PGM_RSRC2:TIDIG_COMP_CNT: 0
; COMPUTE_PGM_RSRC3_GFX90A:ACCUM_OFFSET: 0
; COMPUTE_PGM_RSRC3_GFX90A:TG_SPLIT: 0
	.section	.text._ZN7rocprim17ROCPRIM_400000_NS6detail17trampoline_kernelINS0_14default_configENS1_38merge_sort_block_merge_config_selectorIiiEEZZNS1_27merge_sort_block_merge_implIS3_N6thrust23THRUST_200600_302600_NS6detail15normal_iteratorINS8_10device_ptrIiEEEESD_jNS1_19radix_merge_compareILb1ELb1EiNS0_19identity_decomposerEEEEE10hipError_tT0_T1_T2_jT3_P12ihipStream_tbPNSt15iterator_traitsISI_E10value_typeEPNSO_ISJ_E10value_typeEPSK_NS1_7vsmem_tEENKUlT_SI_SJ_SK_E_clIPiSD_S10_SD_EESH_SX_SI_SJ_SK_EUlSX_E1_NS1_11comp_targetILNS1_3genE0ELNS1_11target_archE4294967295ELNS1_3gpuE0ELNS1_3repE0EEENS1_36merge_oddeven_config_static_selectorELNS0_4arch9wavefront6targetE1EEEvSJ_,"axG",@progbits,_ZN7rocprim17ROCPRIM_400000_NS6detail17trampoline_kernelINS0_14default_configENS1_38merge_sort_block_merge_config_selectorIiiEEZZNS1_27merge_sort_block_merge_implIS3_N6thrust23THRUST_200600_302600_NS6detail15normal_iteratorINS8_10device_ptrIiEEEESD_jNS1_19radix_merge_compareILb1ELb1EiNS0_19identity_decomposerEEEEE10hipError_tT0_T1_T2_jT3_P12ihipStream_tbPNSt15iterator_traitsISI_E10value_typeEPNSO_ISJ_E10value_typeEPSK_NS1_7vsmem_tEENKUlT_SI_SJ_SK_E_clIPiSD_S10_SD_EESH_SX_SI_SJ_SK_EUlSX_E1_NS1_11comp_targetILNS1_3genE0ELNS1_11target_archE4294967295ELNS1_3gpuE0ELNS1_3repE0EEENS1_36merge_oddeven_config_static_selectorELNS0_4arch9wavefront6targetE1EEEvSJ_,comdat
	.protected	_ZN7rocprim17ROCPRIM_400000_NS6detail17trampoline_kernelINS0_14default_configENS1_38merge_sort_block_merge_config_selectorIiiEEZZNS1_27merge_sort_block_merge_implIS3_N6thrust23THRUST_200600_302600_NS6detail15normal_iteratorINS8_10device_ptrIiEEEESD_jNS1_19radix_merge_compareILb1ELb1EiNS0_19identity_decomposerEEEEE10hipError_tT0_T1_T2_jT3_P12ihipStream_tbPNSt15iterator_traitsISI_E10value_typeEPNSO_ISJ_E10value_typeEPSK_NS1_7vsmem_tEENKUlT_SI_SJ_SK_E_clIPiSD_S10_SD_EESH_SX_SI_SJ_SK_EUlSX_E1_NS1_11comp_targetILNS1_3genE0ELNS1_11target_archE4294967295ELNS1_3gpuE0ELNS1_3repE0EEENS1_36merge_oddeven_config_static_selectorELNS0_4arch9wavefront6targetE1EEEvSJ_ ; -- Begin function _ZN7rocprim17ROCPRIM_400000_NS6detail17trampoline_kernelINS0_14default_configENS1_38merge_sort_block_merge_config_selectorIiiEEZZNS1_27merge_sort_block_merge_implIS3_N6thrust23THRUST_200600_302600_NS6detail15normal_iteratorINS8_10device_ptrIiEEEESD_jNS1_19radix_merge_compareILb1ELb1EiNS0_19identity_decomposerEEEEE10hipError_tT0_T1_T2_jT3_P12ihipStream_tbPNSt15iterator_traitsISI_E10value_typeEPNSO_ISJ_E10value_typeEPSK_NS1_7vsmem_tEENKUlT_SI_SJ_SK_E_clIPiSD_S10_SD_EESH_SX_SI_SJ_SK_EUlSX_E1_NS1_11comp_targetILNS1_3genE0ELNS1_11target_archE4294967295ELNS1_3gpuE0ELNS1_3repE0EEENS1_36merge_oddeven_config_static_selectorELNS0_4arch9wavefront6targetE1EEEvSJ_
	.globl	_ZN7rocprim17ROCPRIM_400000_NS6detail17trampoline_kernelINS0_14default_configENS1_38merge_sort_block_merge_config_selectorIiiEEZZNS1_27merge_sort_block_merge_implIS3_N6thrust23THRUST_200600_302600_NS6detail15normal_iteratorINS8_10device_ptrIiEEEESD_jNS1_19radix_merge_compareILb1ELb1EiNS0_19identity_decomposerEEEEE10hipError_tT0_T1_T2_jT3_P12ihipStream_tbPNSt15iterator_traitsISI_E10value_typeEPNSO_ISJ_E10value_typeEPSK_NS1_7vsmem_tEENKUlT_SI_SJ_SK_E_clIPiSD_S10_SD_EESH_SX_SI_SJ_SK_EUlSX_E1_NS1_11comp_targetILNS1_3genE0ELNS1_11target_archE4294967295ELNS1_3gpuE0ELNS1_3repE0EEENS1_36merge_oddeven_config_static_selectorELNS0_4arch9wavefront6targetE1EEEvSJ_
	.p2align	8
	.type	_ZN7rocprim17ROCPRIM_400000_NS6detail17trampoline_kernelINS0_14default_configENS1_38merge_sort_block_merge_config_selectorIiiEEZZNS1_27merge_sort_block_merge_implIS3_N6thrust23THRUST_200600_302600_NS6detail15normal_iteratorINS8_10device_ptrIiEEEESD_jNS1_19radix_merge_compareILb1ELb1EiNS0_19identity_decomposerEEEEE10hipError_tT0_T1_T2_jT3_P12ihipStream_tbPNSt15iterator_traitsISI_E10value_typeEPNSO_ISJ_E10value_typeEPSK_NS1_7vsmem_tEENKUlT_SI_SJ_SK_E_clIPiSD_S10_SD_EESH_SX_SI_SJ_SK_EUlSX_E1_NS1_11comp_targetILNS1_3genE0ELNS1_11target_archE4294967295ELNS1_3gpuE0ELNS1_3repE0EEENS1_36merge_oddeven_config_static_selectorELNS0_4arch9wavefront6targetE1EEEvSJ_,@function
_ZN7rocprim17ROCPRIM_400000_NS6detail17trampoline_kernelINS0_14default_configENS1_38merge_sort_block_merge_config_selectorIiiEEZZNS1_27merge_sort_block_merge_implIS3_N6thrust23THRUST_200600_302600_NS6detail15normal_iteratorINS8_10device_ptrIiEEEESD_jNS1_19radix_merge_compareILb1ELb1EiNS0_19identity_decomposerEEEEE10hipError_tT0_T1_T2_jT3_P12ihipStream_tbPNSt15iterator_traitsISI_E10value_typeEPNSO_ISJ_E10value_typeEPSK_NS1_7vsmem_tEENKUlT_SI_SJ_SK_E_clIPiSD_S10_SD_EESH_SX_SI_SJ_SK_EUlSX_E1_NS1_11comp_targetILNS1_3genE0ELNS1_11target_archE4294967295ELNS1_3gpuE0ELNS1_3repE0EEENS1_36merge_oddeven_config_static_selectorELNS0_4arch9wavefront6targetE1EEEvSJ_: ; @_ZN7rocprim17ROCPRIM_400000_NS6detail17trampoline_kernelINS0_14default_configENS1_38merge_sort_block_merge_config_selectorIiiEEZZNS1_27merge_sort_block_merge_implIS3_N6thrust23THRUST_200600_302600_NS6detail15normal_iteratorINS8_10device_ptrIiEEEESD_jNS1_19radix_merge_compareILb1ELb1EiNS0_19identity_decomposerEEEEE10hipError_tT0_T1_T2_jT3_P12ihipStream_tbPNSt15iterator_traitsISI_E10value_typeEPNSO_ISJ_E10value_typeEPSK_NS1_7vsmem_tEENKUlT_SI_SJ_SK_E_clIPiSD_S10_SD_EESH_SX_SI_SJ_SK_EUlSX_E1_NS1_11comp_targetILNS1_3genE0ELNS1_11target_archE4294967295ELNS1_3gpuE0ELNS1_3repE0EEENS1_36merge_oddeven_config_static_selectorELNS0_4arch9wavefront6targetE1EEEvSJ_
; %bb.0:
	s_load_dword s20, s[0:1], 0x20
	s_waitcnt lgkmcnt(0)
	s_lshr_b32 s3, s20, 8
	s_cmp_eq_u32 s2, s3
	s_cselect_b64 s[16:17], -1, 0
	s_cmp_lg_u32 s2, s3
	s_cselect_b64 s[4:5], -1, 0
	s_lshl_b32 s18, s2, 8
	s_sub_i32 s3, s20, s18
	v_cmp_gt_u32_e64 s[6:7], s3, v0
	s_or_b64 s[4:5], s[4:5], s[6:7]
	s_and_saveexec_b64 s[8:9], s[4:5]
	s_cbranch_execz .LBB1787_24
; %bb.1:
	s_load_dwordx8 s[8:15], s[0:1], 0x0
	s_mov_b32 s19, 0
	s_lshl_b64 s[4:5], s[18:19], 2
	v_lshlrev_b32_e32 v1, 2, v0
	s_load_dword s19, s[0:1], 0x24
	s_waitcnt lgkmcnt(0)
	s_add_u32 s22, s8, s4
	s_addc_u32 s23, s9, s5
	s_add_u32 s4, s12, s4
	s_addc_u32 s5, s13, s5
	global_load_dword v2, v1, s[4:5]
	global_load_dword v3, v1, s[22:23]
	s_lshr_b32 s3, s19, 8
	s_sub_i32 s4, 0, s3
	s_and_b32 s2, s2, s4
	s_and_b32 s3, s2, s3
	s_lshl_b32 s21, s2, 8
	s_sub_i32 s12, 0, s19
	s_cmp_eq_u32 s3, 0
	s_cselect_b64 s[4:5], -1, 0
	s_and_b64 s[2:3], s[4:5], exec
	s_cselect_b32 s12, s19, s12
	s_add_i32 s12, s12, s21
	s_mov_b64 s[2:3], -1
	s_cmp_gt_u32 s20, s12
	v_add_u32_e32 v0, s18, v0
	s_cbranch_scc1 .LBB1787_9
; %bb.2:
	s_and_b64 vcc, exec, s[16:17]
	s_cbranch_vccz .LBB1787_6
; %bb.3:
	v_cmp_gt_u32_e32 vcc, s20, v0
	s_and_saveexec_b64 s[2:3], vcc
	s_cbranch_execz .LBB1787_5
; %bb.4:
	v_mov_b32_e32 v1, 0
	v_lshlrev_b64 v[4:5], 2, v[0:1]
	v_lshl_add_u64 v[6:7], s[10:11], 0, v[4:5]
	v_lshl_add_u64 v[4:5], s[14:15], 0, v[4:5]
	s_waitcnt vmcnt(0)
	global_store_dword v[6:7], v3, off
	global_store_dword v[4:5], v2, off
.LBB1787_5:
	s_or_b64 exec, exec, s[2:3]
	s_mov_b64 s[2:3], 0
.LBB1787_6:
	s_andn2_b64 vcc, exec, s[2:3]
	s_cbranch_vccnz .LBB1787_8
; %bb.7:
	v_mov_b32_e32 v1, 0
	v_lshlrev_b64 v[4:5], 2, v[0:1]
	v_lshl_add_u64 v[6:7], s[10:11], 0, v[4:5]
	v_lshl_add_u64 v[4:5], s[14:15], 0, v[4:5]
	s_waitcnt vmcnt(0)
	global_store_dword v[6:7], v3, off
	global_store_dword v[4:5], v2, off
.LBB1787_8:
	s_mov_b64 s[2:3], 0
.LBB1787_9:
	s_andn2_b64 vcc, exec, s[2:3]
	s_cbranch_vccnz .LBB1787_24
; %bb.10:
	s_load_dword s13, s[0:1], 0x28
	s_min_u32 s18, s12, s20
	s_add_i32 s0, s18, s19
	s_min_u32 s19, s0, s20
	s_min_u32 s0, s21, s18
	s_add_i32 s21, s21, s18
	v_subrev_u32_e32 v0, s21, v0
	v_add_u32_e32 v4, s0, v0
	s_waitcnt vmcnt(0) lgkmcnt(0)
	v_and_b32_e32 v5, s13, v3
	s_mov_b64 s[0:1], -1
	s_and_b64 vcc, exec, s[16:17]
	s_cbranch_vccz .LBB1787_18
; %bb.11:
	s_and_saveexec_b64 s[0:1], s[6:7]
	s_cbranch_execz .LBB1787_17
; %bb.12:
	s_cmp_ge_u32 s12, s19
	v_mov_b32_e32 v6, s18
	s_cbranch_scc1 .LBB1787_16
; %bb.13:
	s_mov_b64 s[2:3], 0
	v_mov_b32_e32 v7, s19
	v_mov_b32_e32 v6, s18
	;; [unrolled: 1-line block ×3, first 2 shown]
.LBB1787_14:                            ; =>This Inner Loop Header: Depth=1
	v_add_u32_e32 v0, v6, v7
	v_lshrrev_b32_e32 v0, 1, v0
	v_lshl_add_u64 v[8:9], v[0:1], 2, s[8:9]
	global_load_dword v8, v[8:9], off
	v_add_u32_e32 v9, 1, v0
	s_waitcnt vmcnt(0)
	v_and_b32_e32 v8, s13, v8
	v_cmp_gt_i32_e32 vcc, v8, v5
	s_nop 1
	v_cndmask_b32_e64 v10, 0, 1, vcc
	v_cmp_le_i32_e32 vcc, v5, v8
	s_nop 1
	v_cndmask_b32_e64 v8, 0, 1, vcc
	v_cndmask_b32_e64 v8, v8, v10, s[4:5]
	v_and_b32_e32 v8, 1, v8
	v_cmp_eq_u32_e32 vcc, 1, v8
	s_nop 1
	v_cndmask_b32_e32 v7, v0, v7, vcc
	v_cndmask_b32_e32 v6, v6, v9, vcc
	v_cmp_ge_u32_e32 vcc, v6, v7
	s_or_b64 s[2:3], vcc, s[2:3]
	s_andn2_b64 exec, exec, s[2:3]
	s_cbranch_execnz .LBB1787_14
; %bb.15:
	s_or_b64 exec, exec, s[2:3]
.LBB1787_16:
	v_add_u32_e32 v0, v6, v4
	v_mov_b32_e32 v1, 0
	v_lshlrev_b64 v[0:1], 2, v[0:1]
	v_lshl_add_u64 v[6:7], s[10:11], 0, v[0:1]
	v_lshl_add_u64 v[0:1], s[14:15], 0, v[0:1]
	global_store_dword v[6:7], v3, off
	global_store_dword v[0:1], v2, off
.LBB1787_17:
	s_or_b64 exec, exec, s[0:1]
	s_mov_b64 s[0:1], 0
.LBB1787_18:
	s_andn2_b64 vcc, exec, s[0:1]
	s_cbranch_vccnz .LBB1787_24
; %bb.19:
	s_cmp_ge_u32 s12, s19
	v_mov_b32_e32 v6, s18
	s_cbranch_scc1 .LBB1787_23
; %bb.20:
	s_mov_b64 s[0:1], 0
	v_mov_b32_e32 v7, s19
	v_mov_b32_e32 v6, s18
	;; [unrolled: 1-line block ×3, first 2 shown]
.LBB1787_21:                            ; =>This Inner Loop Header: Depth=1
	v_add_u32_e32 v0, v6, v7
	v_lshrrev_b32_e32 v0, 1, v0
	v_lshl_add_u64 v[8:9], v[0:1], 2, s[8:9]
	global_load_dword v8, v[8:9], off
	v_add_u32_e32 v9, 1, v0
	s_waitcnt vmcnt(0)
	v_and_b32_e32 v8, s13, v8
	v_cmp_gt_i32_e32 vcc, v8, v5
	s_nop 1
	v_cndmask_b32_e64 v10, 0, 1, vcc
	v_cmp_le_i32_e32 vcc, v5, v8
	s_nop 1
	v_cndmask_b32_e64 v8, 0, 1, vcc
	v_cndmask_b32_e64 v8, v8, v10, s[4:5]
	v_and_b32_e32 v8, 1, v8
	v_cmp_eq_u32_e32 vcc, 1, v8
	s_nop 1
	v_cndmask_b32_e32 v7, v0, v7, vcc
	v_cndmask_b32_e32 v6, v6, v9, vcc
	v_cmp_ge_u32_e32 vcc, v6, v7
	s_or_b64 s[0:1], vcc, s[0:1]
	s_andn2_b64 exec, exec, s[0:1]
	s_cbranch_execnz .LBB1787_21
; %bb.22:
	s_or_b64 exec, exec, s[0:1]
.LBB1787_23:
	v_add_u32_e32 v0, v6, v4
	v_mov_b32_e32 v1, 0
	v_lshlrev_b64 v[0:1], 2, v[0:1]
	v_lshl_add_u64 v[4:5], s[10:11], 0, v[0:1]
	v_lshl_add_u64 v[0:1], s[14:15], 0, v[0:1]
	global_store_dword v[4:5], v3, off
	global_store_dword v[0:1], v2, off
.LBB1787_24:
	s_endpgm
	.section	.rodata,"a",@progbits
	.p2align	6, 0x0
	.amdhsa_kernel _ZN7rocprim17ROCPRIM_400000_NS6detail17trampoline_kernelINS0_14default_configENS1_38merge_sort_block_merge_config_selectorIiiEEZZNS1_27merge_sort_block_merge_implIS3_N6thrust23THRUST_200600_302600_NS6detail15normal_iteratorINS8_10device_ptrIiEEEESD_jNS1_19radix_merge_compareILb1ELb1EiNS0_19identity_decomposerEEEEE10hipError_tT0_T1_T2_jT3_P12ihipStream_tbPNSt15iterator_traitsISI_E10value_typeEPNSO_ISJ_E10value_typeEPSK_NS1_7vsmem_tEENKUlT_SI_SJ_SK_E_clIPiSD_S10_SD_EESH_SX_SI_SJ_SK_EUlSX_E1_NS1_11comp_targetILNS1_3genE0ELNS1_11target_archE4294967295ELNS1_3gpuE0ELNS1_3repE0EEENS1_36merge_oddeven_config_static_selectorELNS0_4arch9wavefront6targetE1EEEvSJ_
		.amdhsa_group_segment_fixed_size 0
		.amdhsa_private_segment_fixed_size 0
		.amdhsa_kernarg_size 48
		.amdhsa_user_sgpr_count 2
		.amdhsa_user_sgpr_dispatch_ptr 0
		.amdhsa_user_sgpr_queue_ptr 0
		.amdhsa_user_sgpr_kernarg_segment_ptr 1
		.amdhsa_user_sgpr_dispatch_id 0
		.amdhsa_user_sgpr_kernarg_preload_length 0
		.amdhsa_user_sgpr_kernarg_preload_offset 0
		.amdhsa_user_sgpr_private_segment_size 0
		.amdhsa_uses_dynamic_stack 0
		.amdhsa_enable_private_segment 0
		.amdhsa_system_sgpr_workgroup_id_x 1
		.amdhsa_system_sgpr_workgroup_id_y 0
		.amdhsa_system_sgpr_workgroup_id_z 0
		.amdhsa_system_sgpr_workgroup_info 0
		.amdhsa_system_vgpr_workitem_id 0
		.amdhsa_next_free_vgpr 11
		.amdhsa_next_free_sgpr 24
		.amdhsa_accum_offset 12
		.amdhsa_reserve_vcc 1
		.amdhsa_float_round_mode_32 0
		.amdhsa_float_round_mode_16_64 0
		.amdhsa_float_denorm_mode_32 3
		.amdhsa_float_denorm_mode_16_64 3
		.amdhsa_dx10_clamp 1
		.amdhsa_ieee_mode 1
		.amdhsa_fp16_overflow 0
		.amdhsa_tg_split 0
		.amdhsa_exception_fp_ieee_invalid_op 0
		.amdhsa_exception_fp_denorm_src 0
		.amdhsa_exception_fp_ieee_div_zero 0
		.amdhsa_exception_fp_ieee_overflow 0
		.amdhsa_exception_fp_ieee_underflow 0
		.amdhsa_exception_fp_ieee_inexact 0
		.amdhsa_exception_int_div_zero 0
	.end_amdhsa_kernel
	.section	.text._ZN7rocprim17ROCPRIM_400000_NS6detail17trampoline_kernelINS0_14default_configENS1_38merge_sort_block_merge_config_selectorIiiEEZZNS1_27merge_sort_block_merge_implIS3_N6thrust23THRUST_200600_302600_NS6detail15normal_iteratorINS8_10device_ptrIiEEEESD_jNS1_19radix_merge_compareILb1ELb1EiNS0_19identity_decomposerEEEEE10hipError_tT0_T1_T2_jT3_P12ihipStream_tbPNSt15iterator_traitsISI_E10value_typeEPNSO_ISJ_E10value_typeEPSK_NS1_7vsmem_tEENKUlT_SI_SJ_SK_E_clIPiSD_S10_SD_EESH_SX_SI_SJ_SK_EUlSX_E1_NS1_11comp_targetILNS1_3genE0ELNS1_11target_archE4294967295ELNS1_3gpuE0ELNS1_3repE0EEENS1_36merge_oddeven_config_static_selectorELNS0_4arch9wavefront6targetE1EEEvSJ_,"axG",@progbits,_ZN7rocprim17ROCPRIM_400000_NS6detail17trampoline_kernelINS0_14default_configENS1_38merge_sort_block_merge_config_selectorIiiEEZZNS1_27merge_sort_block_merge_implIS3_N6thrust23THRUST_200600_302600_NS6detail15normal_iteratorINS8_10device_ptrIiEEEESD_jNS1_19radix_merge_compareILb1ELb1EiNS0_19identity_decomposerEEEEE10hipError_tT0_T1_T2_jT3_P12ihipStream_tbPNSt15iterator_traitsISI_E10value_typeEPNSO_ISJ_E10value_typeEPSK_NS1_7vsmem_tEENKUlT_SI_SJ_SK_E_clIPiSD_S10_SD_EESH_SX_SI_SJ_SK_EUlSX_E1_NS1_11comp_targetILNS1_3genE0ELNS1_11target_archE4294967295ELNS1_3gpuE0ELNS1_3repE0EEENS1_36merge_oddeven_config_static_selectorELNS0_4arch9wavefront6targetE1EEEvSJ_,comdat
.Lfunc_end1787:
	.size	_ZN7rocprim17ROCPRIM_400000_NS6detail17trampoline_kernelINS0_14default_configENS1_38merge_sort_block_merge_config_selectorIiiEEZZNS1_27merge_sort_block_merge_implIS3_N6thrust23THRUST_200600_302600_NS6detail15normal_iteratorINS8_10device_ptrIiEEEESD_jNS1_19radix_merge_compareILb1ELb1EiNS0_19identity_decomposerEEEEE10hipError_tT0_T1_T2_jT3_P12ihipStream_tbPNSt15iterator_traitsISI_E10value_typeEPNSO_ISJ_E10value_typeEPSK_NS1_7vsmem_tEENKUlT_SI_SJ_SK_E_clIPiSD_S10_SD_EESH_SX_SI_SJ_SK_EUlSX_E1_NS1_11comp_targetILNS1_3genE0ELNS1_11target_archE4294967295ELNS1_3gpuE0ELNS1_3repE0EEENS1_36merge_oddeven_config_static_selectorELNS0_4arch9wavefront6targetE1EEEvSJ_, .Lfunc_end1787-_ZN7rocprim17ROCPRIM_400000_NS6detail17trampoline_kernelINS0_14default_configENS1_38merge_sort_block_merge_config_selectorIiiEEZZNS1_27merge_sort_block_merge_implIS3_N6thrust23THRUST_200600_302600_NS6detail15normal_iteratorINS8_10device_ptrIiEEEESD_jNS1_19radix_merge_compareILb1ELb1EiNS0_19identity_decomposerEEEEE10hipError_tT0_T1_T2_jT3_P12ihipStream_tbPNSt15iterator_traitsISI_E10value_typeEPNSO_ISJ_E10value_typeEPSK_NS1_7vsmem_tEENKUlT_SI_SJ_SK_E_clIPiSD_S10_SD_EESH_SX_SI_SJ_SK_EUlSX_E1_NS1_11comp_targetILNS1_3genE0ELNS1_11target_archE4294967295ELNS1_3gpuE0ELNS1_3repE0EEENS1_36merge_oddeven_config_static_selectorELNS0_4arch9wavefront6targetE1EEEvSJ_
                                        ; -- End function
	.set _ZN7rocprim17ROCPRIM_400000_NS6detail17trampoline_kernelINS0_14default_configENS1_38merge_sort_block_merge_config_selectorIiiEEZZNS1_27merge_sort_block_merge_implIS3_N6thrust23THRUST_200600_302600_NS6detail15normal_iteratorINS8_10device_ptrIiEEEESD_jNS1_19radix_merge_compareILb1ELb1EiNS0_19identity_decomposerEEEEE10hipError_tT0_T1_T2_jT3_P12ihipStream_tbPNSt15iterator_traitsISI_E10value_typeEPNSO_ISJ_E10value_typeEPSK_NS1_7vsmem_tEENKUlT_SI_SJ_SK_E_clIPiSD_S10_SD_EESH_SX_SI_SJ_SK_EUlSX_E1_NS1_11comp_targetILNS1_3genE0ELNS1_11target_archE4294967295ELNS1_3gpuE0ELNS1_3repE0EEENS1_36merge_oddeven_config_static_selectorELNS0_4arch9wavefront6targetE1EEEvSJ_.num_vgpr, 11
	.set _ZN7rocprim17ROCPRIM_400000_NS6detail17trampoline_kernelINS0_14default_configENS1_38merge_sort_block_merge_config_selectorIiiEEZZNS1_27merge_sort_block_merge_implIS3_N6thrust23THRUST_200600_302600_NS6detail15normal_iteratorINS8_10device_ptrIiEEEESD_jNS1_19radix_merge_compareILb1ELb1EiNS0_19identity_decomposerEEEEE10hipError_tT0_T1_T2_jT3_P12ihipStream_tbPNSt15iterator_traitsISI_E10value_typeEPNSO_ISJ_E10value_typeEPSK_NS1_7vsmem_tEENKUlT_SI_SJ_SK_E_clIPiSD_S10_SD_EESH_SX_SI_SJ_SK_EUlSX_E1_NS1_11comp_targetILNS1_3genE0ELNS1_11target_archE4294967295ELNS1_3gpuE0ELNS1_3repE0EEENS1_36merge_oddeven_config_static_selectorELNS0_4arch9wavefront6targetE1EEEvSJ_.num_agpr, 0
	.set _ZN7rocprim17ROCPRIM_400000_NS6detail17trampoline_kernelINS0_14default_configENS1_38merge_sort_block_merge_config_selectorIiiEEZZNS1_27merge_sort_block_merge_implIS3_N6thrust23THRUST_200600_302600_NS6detail15normal_iteratorINS8_10device_ptrIiEEEESD_jNS1_19radix_merge_compareILb1ELb1EiNS0_19identity_decomposerEEEEE10hipError_tT0_T1_T2_jT3_P12ihipStream_tbPNSt15iterator_traitsISI_E10value_typeEPNSO_ISJ_E10value_typeEPSK_NS1_7vsmem_tEENKUlT_SI_SJ_SK_E_clIPiSD_S10_SD_EESH_SX_SI_SJ_SK_EUlSX_E1_NS1_11comp_targetILNS1_3genE0ELNS1_11target_archE4294967295ELNS1_3gpuE0ELNS1_3repE0EEENS1_36merge_oddeven_config_static_selectorELNS0_4arch9wavefront6targetE1EEEvSJ_.numbered_sgpr, 24
	.set _ZN7rocprim17ROCPRIM_400000_NS6detail17trampoline_kernelINS0_14default_configENS1_38merge_sort_block_merge_config_selectorIiiEEZZNS1_27merge_sort_block_merge_implIS3_N6thrust23THRUST_200600_302600_NS6detail15normal_iteratorINS8_10device_ptrIiEEEESD_jNS1_19radix_merge_compareILb1ELb1EiNS0_19identity_decomposerEEEEE10hipError_tT0_T1_T2_jT3_P12ihipStream_tbPNSt15iterator_traitsISI_E10value_typeEPNSO_ISJ_E10value_typeEPSK_NS1_7vsmem_tEENKUlT_SI_SJ_SK_E_clIPiSD_S10_SD_EESH_SX_SI_SJ_SK_EUlSX_E1_NS1_11comp_targetILNS1_3genE0ELNS1_11target_archE4294967295ELNS1_3gpuE0ELNS1_3repE0EEENS1_36merge_oddeven_config_static_selectorELNS0_4arch9wavefront6targetE1EEEvSJ_.num_named_barrier, 0
	.set _ZN7rocprim17ROCPRIM_400000_NS6detail17trampoline_kernelINS0_14default_configENS1_38merge_sort_block_merge_config_selectorIiiEEZZNS1_27merge_sort_block_merge_implIS3_N6thrust23THRUST_200600_302600_NS6detail15normal_iteratorINS8_10device_ptrIiEEEESD_jNS1_19radix_merge_compareILb1ELb1EiNS0_19identity_decomposerEEEEE10hipError_tT0_T1_T2_jT3_P12ihipStream_tbPNSt15iterator_traitsISI_E10value_typeEPNSO_ISJ_E10value_typeEPSK_NS1_7vsmem_tEENKUlT_SI_SJ_SK_E_clIPiSD_S10_SD_EESH_SX_SI_SJ_SK_EUlSX_E1_NS1_11comp_targetILNS1_3genE0ELNS1_11target_archE4294967295ELNS1_3gpuE0ELNS1_3repE0EEENS1_36merge_oddeven_config_static_selectorELNS0_4arch9wavefront6targetE1EEEvSJ_.private_seg_size, 0
	.set _ZN7rocprim17ROCPRIM_400000_NS6detail17trampoline_kernelINS0_14default_configENS1_38merge_sort_block_merge_config_selectorIiiEEZZNS1_27merge_sort_block_merge_implIS3_N6thrust23THRUST_200600_302600_NS6detail15normal_iteratorINS8_10device_ptrIiEEEESD_jNS1_19radix_merge_compareILb1ELb1EiNS0_19identity_decomposerEEEEE10hipError_tT0_T1_T2_jT3_P12ihipStream_tbPNSt15iterator_traitsISI_E10value_typeEPNSO_ISJ_E10value_typeEPSK_NS1_7vsmem_tEENKUlT_SI_SJ_SK_E_clIPiSD_S10_SD_EESH_SX_SI_SJ_SK_EUlSX_E1_NS1_11comp_targetILNS1_3genE0ELNS1_11target_archE4294967295ELNS1_3gpuE0ELNS1_3repE0EEENS1_36merge_oddeven_config_static_selectorELNS0_4arch9wavefront6targetE1EEEvSJ_.uses_vcc, 1
	.set _ZN7rocprim17ROCPRIM_400000_NS6detail17trampoline_kernelINS0_14default_configENS1_38merge_sort_block_merge_config_selectorIiiEEZZNS1_27merge_sort_block_merge_implIS3_N6thrust23THRUST_200600_302600_NS6detail15normal_iteratorINS8_10device_ptrIiEEEESD_jNS1_19radix_merge_compareILb1ELb1EiNS0_19identity_decomposerEEEEE10hipError_tT0_T1_T2_jT3_P12ihipStream_tbPNSt15iterator_traitsISI_E10value_typeEPNSO_ISJ_E10value_typeEPSK_NS1_7vsmem_tEENKUlT_SI_SJ_SK_E_clIPiSD_S10_SD_EESH_SX_SI_SJ_SK_EUlSX_E1_NS1_11comp_targetILNS1_3genE0ELNS1_11target_archE4294967295ELNS1_3gpuE0ELNS1_3repE0EEENS1_36merge_oddeven_config_static_selectorELNS0_4arch9wavefront6targetE1EEEvSJ_.uses_flat_scratch, 0
	.set _ZN7rocprim17ROCPRIM_400000_NS6detail17trampoline_kernelINS0_14default_configENS1_38merge_sort_block_merge_config_selectorIiiEEZZNS1_27merge_sort_block_merge_implIS3_N6thrust23THRUST_200600_302600_NS6detail15normal_iteratorINS8_10device_ptrIiEEEESD_jNS1_19radix_merge_compareILb1ELb1EiNS0_19identity_decomposerEEEEE10hipError_tT0_T1_T2_jT3_P12ihipStream_tbPNSt15iterator_traitsISI_E10value_typeEPNSO_ISJ_E10value_typeEPSK_NS1_7vsmem_tEENKUlT_SI_SJ_SK_E_clIPiSD_S10_SD_EESH_SX_SI_SJ_SK_EUlSX_E1_NS1_11comp_targetILNS1_3genE0ELNS1_11target_archE4294967295ELNS1_3gpuE0ELNS1_3repE0EEENS1_36merge_oddeven_config_static_selectorELNS0_4arch9wavefront6targetE1EEEvSJ_.has_dyn_sized_stack, 0
	.set _ZN7rocprim17ROCPRIM_400000_NS6detail17trampoline_kernelINS0_14default_configENS1_38merge_sort_block_merge_config_selectorIiiEEZZNS1_27merge_sort_block_merge_implIS3_N6thrust23THRUST_200600_302600_NS6detail15normal_iteratorINS8_10device_ptrIiEEEESD_jNS1_19radix_merge_compareILb1ELb1EiNS0_19identity_decomposerEEEEE10hipError_tT0_T1_T2_jT3_P12ihipStream_tbPNSt15iterator_traitsISI_E10value_typeEPNSO_ISJ_E10value_typeEPSK_NS1_7vsmem_tEENKUlT_SI_SJ_SK_E_clIPiSD_S10_SD_EESH_SX_SI_SJ_SK_EUlSX_E1_NS1_11comp_targetILNS1_3genE0ELNS1_11target_archE4294967295ELNS1_3gpuE0ELNS1_3repE0EEENS1_36merge_oddeven_config_static_selectorELNS0_4arch9wavefront6targetE1EEEvSJ_.has_recursion, 0
	.set _ZN7rocprim17ROCPRIM_400000_NS6detail17trampoline_kernelINS0_14default_configENS1_38merge_sort_block_merge_config_selectorIiiEEZZNS1_27merge_sort_block_merge_implIS3_N6thrust23THRUST_200600_302600_NS6detail15normal_iteratorINS8_10device_ptrIiEEEESD_jNS1_19radix_merge_compareILb1ELb1EiNS0_19identity_decomposerEEEEE10hipError_tT0_T1_T2_jT3_P12ihipStream_tbPNSt15iterator_traitsISI_E10value_typeEPNSO_ISJ_E10value_typeEPSK_NS1_7vsmem_tEENKUlT_SI_SJ_SK_E_clIPiSD_S10_SD_EESH_SX_SI_SJ_SK_EUlSX_E1_NS1_11comp_targetILNS1_3genE0ELNS1_11target_archE4294967295ELNS1_3gpuE0ELNS1_3repE0EEENS1_36merge_oddeven_config_static_selectorELNS0_4arch9wavefront6targetE1EEEvSJ_.has_indirect_call, 0
	.section	.AMDGPU.csdata,"",@progbits
; Kernel info:
; codeLenInByte = 796
; TotalNumSgprs: 30
; NumVgprs: 11
; NumAgprs: 0
; TotalNumVgprs: 11
; ScratchSize: 0
; MemoryBound: 0
; FloatMode: 240
; IeeeMode: 1
; LDSByteSize: 0 bytes/workgroup (compile time only)
; SGPRBlocks: 3
; VGPRBlocks: 1
; NumSGPRsForWavesPerEU: 30
; NumVGPRsForWavesPerEU: 11
; AccumOffset: 12
; Occupancy: 8
; WaveLimiterHint : 0
; COMPUTE_PGM_RSRC2:SCRATCH_EN: 0
; COMPUTE_PGM_RSRC2:USER_SGPR: 2
; COMPUTE_PGM_RSRC2:TRAP_HANDLER: 0
; COMPUTE_PGM_RSRC2:TGID_X_EN: 1
; COMPUTE_PGM_RSRC2:TGID_Y_EN: 0
; COMPUTE_PGM_RSRC2:TGID_Z_EN: 0
; COMPUTE_PGM_RSRC2:TIDIG_COMP_CNT: 0
; COMPUTE_PGM_RSRC3_GFX90A:ACCUM_OFFSET: 2
; COMPUTE_PGM_RSRC3_GFX90A:TG_SPLIT: 0
	.section	.text._ZN7rocprim17ROCPRIM_400000_NS6detail17trampoline_kernelINS0_14default_configENS1_38merge_sort_block_merge_config_selectorIiiEEZZNS1_27merge_sort_block_merge_implIS3_N6thrust23THRUST_200600_302600_NS6detail15normal_iteratorINS8_10device_ptrIiEEEESD_jNS1_19radix_merge_compareILb1ELb1EiNS0_19identity_decomposerEEEEE10hipError_tT0_T1_T2_jT3_P12ihipStream_tbPNSt15iterator_traitsISI_E10value_typeEPNSO_ISJ_E10value_typeEPSK_NS1_7vsmem_tEENKUlT_SI_SJ_SK_E_clIPiSD_S10_SD_EESH_SX_SI_SJ_SK_EUlSX_E1_NS1_11comp_targetILNS1_3genE10ELNS1_11target_archE1201ELNS1_3gpuE5ELNS1_3repE0EEENS1_36merge_oddeven_config_static_selectorELNS0_4arch9wavefront6targetE1EEEvSJ_,"axG",@progbits,_ZN7rocprim17ROCPRIM_400000_NS6detail17trampoline_kernelINS0_14default_configENS1_38merge_sort_block_merge_config_selectorIiiEEZZNS1_27merge_sort_block_merge_implIS3_N6thrust23THRUST_200600_302600_NS6detail15normal_iteratorINS8_10device_ptrIiEEEESD_jNS1_19radix_merge_compareILb1ELb1EiNS0_19identity_decomposerEEEEE10hipError_tT0_T1_T2_jT3_P12ihipStream_tbPNSt15iterator_traitsISI_E10value_typeEPNSO_ISJ_E10value_typeEPSK_NS1_7vsmem_tEENKUlT_SI_SJ_SK_E_clIPiSD_S10_SD_EESH_SX_SI_SJ_SK_EUlSX_E1_NS1_11comp_targetILNS1_3genE10ELNS1_11target_archE1201ELNS1_3gpuE5ELNS1_3repE0EEENS1_36merge_oddeven_config_static_selectorELNS0_4arch9wavefront6targetE1EEEvSJ_,comdat
	.protected	_ZN7rocprim17ROCPRIM_400000_NS6detail17trampoline_kernelINS0_14default_configENS1_38merge_sort_block_merge_config_selectorIiiEEZZNS1_27merge_sort_block_merge_implIS3_N6thrust23THRUST_200600_302600_NS6detail15normal_iteratorINS8_10device_ptrIiEEEESD_jNS1_19radix_merge_compareILb1ELb1EiNS0_19identity_decomposerEEEEE10hipError_tT0_T1_T2_jT3_P12ihipStream_tbPNSt15iterator_traitsISI_E10value_typeEPNSO_ISJ_E10value_typeEPSK_NS1_7vsmem_tEENKUlT_SI_SJ_SK_E_clIPiSD_S10_SD_EESH_SX_SI_SJ_SK_EUlSX_E1_NS1_11comp_targetILNS1_3genE10ELNS1_11target_archE1201ELNS1_3gpuE5ELNS1_3repE0EEENS1_36merge_oddeven_config_static_selectorELNS0_4arch9wavefront6targetE1EEEvSJ_ ; -- Begin function _ZN7rocprim17ROCPRIM_400000_NS6detail17trampoline_kernelINS0_14default_configENS1_38merge_sort_block_merge_config_selectorIiiEEZZNS1_27merge_sort_block_merge_implIS3_N6thrust23THRUST_200600_302600_NS6detail15normal_iteratorINS8_10device_ptrIiEEEESD_jNS1_19radix_merge_compareILb1ELb1EiNS0_19identity_decomposerEEEEE10hipError_tT0_T1_T2_jT3_P12ihipStream_tbPNSt15iterator_traitsISI_E10value_typeEPNSO_ISJ_E10value_typeEPSK_NS1_7vsmem_tEENKUlT_SI_SJ_SK_E_clIPiSD_S10_SD_EESH_SX_SI_SJ_SK_EUlSX_E1_NS1_11comp_targetILNS1_3genE10ELNS1_11target_archE1201ELNS1_3gpuE5ELNS1_3repE0EEENS1_36merge_oddeven_config_static_selectorELNS0_4arch9wavefront6targetE1EEEvSJ_
	.globl	_ZN7rocprim17ROCPRIM_400000_NS6detail17trampoline_kernelINS0_14default_configENS1_38merge_sort_block_merge_config_selectorIiiEEZZNS1_27merge_sort_block_merge_implIS3_N6thrust23THRUST_200600_302600_NS6detail15normal_iteratorINS8_10device_ptrIiEEEESD_jNS1_19radix_merge_compareILb1ELb1EiNS0_19identity_decomposerEEEEE10hipError_tT0_T1_T2_jT3_P12ihipStream_tbPNSt15iterator_traitsISI_E10value_typeEPNSO_ISJ_E10value_typeEPSK_NS1_7vsmem_tEENKUlT_SI_SJ_SK_E_clIPiSD_S10_SD_EESH_SX_SI_SJ_SK_EUlSX_E1_NS1_11comp_targetILNS1_3genE10ELNS1_11target_archE1201ELNS1_3gpuE5ELNS1_3repE0EEENS1_36merge_oddeven_config_static_selectorELNS0_4arch9wavefront6targetE1EEEvSJ_
	.p2align	8
	.type	_ZN7rocprim17ROCPRIM_400000_NS6detail17trampoline_kernelINS0_14default_configENS1_38merge_sort_block_merge_config_selectorIiiEEZZNS1_27merge_sort_block_merge_implIS3_N6thrust23THRUST_200600_302600_NS6detail15normal_iteratorINS8_10device_ptrIiEEEESD_jNS1_19radix_merge_compareILb1ELb1EiNS0_19identity_decomposerEEEEE10hipError_tT0_T1_T2_jT3_P12ihipStream_tbPNSt15iterator_traitsISI_E10value_typeEPNSO_ISJ_E10value_typeEPSK_NS1_7vsmem_tEENKUlT_SI_SJ_SK_E_clIPiSD_S10_SD_EESH_SX_SI_SJ_SK_EUlSX_E1_NS1_11comp_targetILNS1_3genE10ELNS1_11target_archE1201ELNS1_3gpuE5ELNS1_3repE0EEENS1_36merge_oddeven_config_static_selectorELNS0_4arch9wavefront6targetE1EEEvSJ_,@function
_ZN7rocprim17ROCPRIM_400000_NS6detail17trampoline_kernelINS0_14default_configENS1_38merge_sort_block_merge_config_selectorIiiEEZZNS1_27merge_sort_block_merge_implIS3_N6thrust23THRUST_200600_302600_NS6detail15normal_iteratorINS8_10device_ptrIiEEEESD_jNS1_19radix_merge_compareILb1ELb1EiNS0_19identity_decomposerEEEEE10hipError_tT0_T1_T2_jT3_P12ihipStream_tbPNSt15iterator_traitsISI_E10value_typeEPNSO_ISJ_E10value_typeEPSK_NS1_7vsmem_tEENKUlT_SI_SJ_SK_E_clIPiSD_S10_SD_EESH_SX_SI_SJ_SK_EUlSX_E1_NS1_11comp_targetILNS1_3genE10ELNS1_11target_archE1201ELNS1_3gpuE5ELNS1_3repE0EEENS1_36merge_oddeven_config_static_selectorELNS0_4arch9wavefront6targetE1EEEvSJ_: ; @_ZN7rocprim17ROCPRIM_400000_NS6detail17trampoline_kernelINS0_14default_configENS1_38merge_sort_block_merge_config_selectorIiiEEZZNS1_27merge_sort_block_merge_implIS3_N6thrust23THRUST_200600_302600_NS6detail15normal_iteratorINS8_10device_ptrIiEEEESD_jNS1_19radix_merge_compareILb1ELb1EiNS0_19identity_decomposerEEEEE10hipError_tT0_T1_T2_jT3_P12ihipStream_tbPNSt15iterator_traitsISI_E10value_typeEPNSO_ISJ_E10value_typeEPSK_NS1_7vsmem_tEENKUlT_SI_SJ_SK_E_clIPiSD_S10_SD_EESH_SX_SI_SJ_SK_EUlSX_E1_NS1_11comp_targetILNS1_3genE10ELNS1_11target_archE1201ELNS1_3gpuE5ELNS1_3repE0EEENS1_36merge_oddeven_config_static_selectorELNS0_4arch9wavefront6targetE1EEEvSJ_
; %bb.0:
	.section	.rodata,"a",@progbits
	.p2align	6, 0x0
	.amdhsa_kernel _ZN7rocprim17ROCPRIM_400000_NS6detail17trampoline_kernelINS0_14default_configENS1_38merge_sort_block_merge_config_selectorIiiEEZZNS1_27merge_sort_block_merge_implIS3_N6thrust23THRUST_200600_302600_NS6detail15normal_iteratorINS8_10device_ptrIiEEEESD_jNS1_19radix_merge_compareILb1ELb1EiNS0_19identity_decomposerEEEEE10hipError_tT0_T1_T2_jT3_P12ihipStream_tbPNSt15iterator_traitsISI_E10value_typeEPNSO_ISJ_E10value_typeEPSK_NS1_7vsmem_tEENKUlT_SI_SJ_SK_E_clIPiSD_S10_SD_EESH_SX_SI_SJ_SK_EUlSX_E1_NS1_11comp_targetILNS1_3genE10ELNS1_11target_archE1201ELNS1_3gpuE5ELNS1_3repE0EEENS1_36merge_oddeven_config_static_selectorELNS0_4arch9wavefront6targetE1EEEvSJ_
		.amdhsa_group_segment_fixed_size 0
		.amdhsa_private_segment_fixed_size 0
		.amdhsa_kernarg_size 48
		.amdhsa_user_sgpr_count 2
		.amdhsa_user_sgpr_dispatch_ptr 0
		.amdhsa_user_sgpr_queue_ptr 0
		.amdhsa_user_sgpr_kernarg_segment_ptr 1
		.amdhsa_user_sgpr_dispatch_id 0
		.amdhsa_user_sgpr_kernarg_preload_length 0
		.amdhsa_user_sgpr_kernarg_preload_offset 0
		.amdhsa_user_sgpr_private_segment_size 0
		.amdhsa_uses_dynamic_stack 0
		.amdhsa_enable_private_segment 0
		.amdhsa_system_sgpr_workgroup_id_x 1
		.amdhsa_system_sgpr_workgroup_id_y 0
		.amdhsa_system_sgpr_workgroup_id_z 0
		.amdhsa_system_sgpr_workgroup_info 0
		.amdhsa_system_vgpr_workitem_id 0
		.amdhsa_next_free_vgpr 1
		.amdhsa_next_free_sgpr 0
		.amdhsa_accum_offset 4
		.amdhsa_reserve_vcc 0
		.amdhsa_float_round_mode_32 0
		.amdhsa_float_round_mode_16_64 0
		.amdhsa_float_denorm_mode_32 3
		.amdhsa_float_denorm_mode_16_64 3
		.amdhsa_dx10_clamp 1
		.amdhsa_ieee_mode 1
		.amdhsa_fp16_overflow 0
		.amdhsa_tg_split 0
		.amdhsa_exception_fp_ieee_invalid_op 0
		.amdhsa_exception_fp_denorm_src 0
		.amdhsa_exception_fp_ieee_div_zero 0
		.amdhsa_exception_fp_ieee_overflow 0
		.amdhsa_exception_fp_ieee_underflow 0
		.amdhsa_exception_fp_ieee_inexact 0
		.amdhsa_exception_int_div_zero 0
	.end_amdhsa_kernel
	.section	.text._ZN7rocprim17ROCPRIM_400000_NS6detail17trampoline_kernelINS0_14default_configENS1_38merge_sort_block_merge_config_selectorIiiEEZZNS1_27merge_sort_block_merge_implIS3_N6thrust23THRUST_200600_302600_NS6detail15normal_iteratorINS8_10device_ptrIiEEEESD_jNS1_19radix_merge_compareILb1ELb1EiNS0_19identity_decomposerEEEEE10hipError_tT0_T1_T2_jT3_P12ihipStream_tbPNSt15iterator_traitsISI_E10value_typeEPNSO_ISJ_E10value_typeEPSK_NS1_7vsmem_tEENKUlT_SI_SJ_SK_E_clIPiSD_S10_SD_EESH_SX_SI_SJ_SK_EUlSX_E1_NS1_11comp_targetILNS1_3genE10ELNS1_11target_archE1201ELNS1_3gpuE5ELNS1_3repE0EEENS1_36merge_oddeven_config_static_selectorELNS0_4arch9wavefront6targetE1EEEvSJ_,"axG",@progbits,_ZN7rocprim17ROCPRIM_400000_NS6detail17trampoline_kernelINS0_14default_configENS1_38merge_sort_block_merge_config_selectorIiiEEZZNS1_27merge_sort_block_merge_implIS3_N6thrust23THRUST_200600_302600_NS6detail15normal_iteratorINS8_10device_ptrIiEEEESD_jNS1_19radix_merge_compareILb1ELb1EiNS0_19identity_decomposerEEEEE10hipError_tT0_T1_T2_jT3_P12ihipStream_tbPNSt15iterator_traitsISI_E10value_typeEPNSO_ISJ_E10value_typeEPSK_NS1_7vsmem_tEENKUlT_SI_SJ_SK_E_clIPiSD_S10_SD_EESH_SX_SI_SJ_SK_EUlSX_E1_NS1_11comp_targetILNS1_3genE10ELNS1_11target_archE1201ELNS1_3gpuE5ELNS1_3repE0EEENS1_36merge_oddeven_config_static_selectorELNS0_4arch9wavefront6targetE1EEEvSJ_,comdat
.Lfunc_end1788:
	.size	_ZN7rocprim17ROCPRIM_400000_NS6detail17trampoline_kernelINS0_14default_configENS1_38merge_sort_block_merge_config_selectorIiiEEZZNS1_27merge_sort_block_merge_implIS3_N6thrust23THRUST_200600_302600_NS6detail15normal_iteratorINS8_10device_ptrIiEEEESD_jNS1_19radix_merge_compareILb1ELb1EiNS0_19identity_decomposerEEEEE10hipError_tT0_T1_T2_jT3_P12ihipStream_tbPNSt15iterator_traitsISI_E10value_typeEPNSO_ISJ_E10value_typeEPSK_NS1_7vsmem_tEENKUlT_SI_SJ_SK_E_clIPiSD_S10_SD_EESH_SX_SI_SJ_SK_EUlSX_E1_NS1_11comp_targetILNS1_3genE10ELNS1_11target_archE1201ELNS1_3gpuE5ELNS1_3repE0EEENS1_36merge_oddeven_config_static_selectorELNS0_4arch9wavefront6targetE1EEEvSJ_, .Lfunc_end1788-_ZN7rocprim17ROCPRIM_400000_NS6detail17trampoline_kernelINS0_14default_configENS1_38merge_sort_block_merge_config_selectorIiiEEZZNS1_27merge_sort_block_merge_implIS3_N6thrust23THRUST_200600_302600_NS6detail15normal_iteratorINS8_10device_ptrIiEEEESD_jNS1_19radix_merge_compareILb1ELb1EiNS0_19identity_decomposerEEEEE10hipError_tT0_T1_T2_jT3_P12ihipStream_tbPNSt15iterator_traitsISI_E10value_typeEPNSO_ISJ_E10value_typeEPSK_NS1_7vsmem_tEENKUlT_SI_SJ_SK_E_clIPiSD_S10_SD_EESH_SX_SI_SJ_SK_EUlSX_E1_NS1_11comp_targetILNS1_3genE10ELNS1_11target_archE1201ELNS1_3gpuE5ELNS1_3repE0EEENS1_36merge_oddeven_config_static_selectorELNS0_4arch9wavefront6targetE1EEEvSJ_
                                        ; -- End function
	.set _ZN7rocprim17ROCPRIM_400000_NS6detail17trampoline_kernelINS0_14default_configENS1_38merge_sort_block_merge_config_selectorIiiEEZZNS1_27merge_sort_block_merge_implIS3_N6thrust23THRUST_200600_302600_NS6detail15normal_iteratorINS8_10device_ptrIiEEEESD_jNS1_19radix_merge_compareILb1ELb1EiNS0_19identity_decomposerEEEEE10hipError_tT0_T1_T2_jT3_P12ihipStream_tbPNSt15iterator_traitsISI_E10value_typeEPNSO_ISJ_E10value_typeEPSK_NS1_7vsmem_tEENKUlT_SI_SJ_SK_E_clIPiSD_S10_SD_EESH_SX_SI_SJ_SK_EUlSX_E1_NS1_11comp_targetILNS1_3genE10ELNS1_11target_archE1201ELNS1_3gpuE5ELNS1_3repE0EEENS1_36merge_oddeven_config_static_selectorELNS0_4arch9wavefront6targetE1EEEvSJ_.num_vgpr, 0
	.set _ZN7rocprim17ROCPRIM_400000_NS6detail17trampoline_kernelINS0_14default_configENS1_38merge_sort_block_merge_config_selectorIiiEEZZNS1_27merge_sort_block_merge_implIS3_N6thrust23THRUST_200600_302600_NS6detail15normal_iteratorINS8_10device_ptrIiEEEESD_jNS1_19radix_merge_compareILb1ELb1EiNS0_19identity_decomposerEEEEE10hipError_tT0_T1_T2_jT3_P12ihipStream_tbPNSt15iterator_traitsISI_E10value_typeEPNSO_ISJ_E10value_typeEPSK_NS1_7vsmem_tEENKUlT_SI_SJ_SK_E_clIPiSD_S10_SD_EESH_SX_SI_SJ_SK_EUlSX_E1_NS1_11comp_targetILNS1_3genE10ELNS1_11target_archE1201ELNS1_3gpuE5ELNS1_3repE0EEENS1_36merge_oddeven_config_static_selectorELNS0_4arch9wavefront6targetE1EEEvSJ_.num_agpr, 0
	.set _ZN7rocprim17ROCPRIM_400000_NS6detail17trampoline_kernelINS0_14default_configENS1_38merge_sort_block_merge_config_selectorIiiEEZZNS1_27merge_sort_block_merge_implIS3_N6thrust23THRUST_200600_302600_NS6detail15normal_iteratorINS8_10device_ptrIiEEEESD_jNS1_19radix_merge_compareILb1ELb1EiNS0_19identity_decomposerEEEEE10hipError_tT0_T1_T2_jT3_P12ihipStream_tbPNSt15iterator_traitsISI_E10value_typeEPNSO_ISJ_E10value_typeEPSK_NS1_7vsmem_tEENKUlT_SI_SJ_SK_E_clIPiSD_S10_SD_EESH_SX_SI_SJ_SK_EUlSX_E1_NS1_11comp_targetILNS1_3genE10ELNS1_11target_archE1201ELNS1_3gpuE5ELNS1_3repE0EEENS1_36merge_oddeven_config_static_selectorELNS0_4arch9wavefront6targetE1EEEvSJ_.numbered_sgpr, 0
	.set _ZN7rocprim17ROCPRIM_400000_NS6detail17trampoline_kernelINS0_14default_configENS1_38merge_sort_block_merge_config_selectorIiiEEZZNS1_27merge_sort_block_merge_implIS3_N6thrust23THRUST_200600_302600_NS6detail15normal_iteratorINS8_10device_ptrIiEEEESD_jNS1_19radix_merge_compareILb1ELb1EiNS0_19identity_decomposerEEEEE10hipError_tT0_T1_T2_jT3_P12ihipStream_tbPNSt15iterator_traitsISI_E10value_typeEPNSO_ISJ_E10value_typeEPSK_NS1_7vsmem_tEENKUlT_SI_SJ_SK_E_clIPiSD_S10_SD_EESH_SX_SI_SJ_SK_EUlSX_E1_NS1_11comp_targetILNS1_3genE10ELNS1_11target_archE1201ELNS1_3gpuE5ELNS1_3repE0EEENS1_36merge_oddeven_config_static_selectorELNS0_4arch9wavefront6targetE1EEEvSJ_.num_named_barrier, 0
	.set _ZN7rocprim17ROCPRIM_400000_NS6detail17trampoline_kernelINS0_14default_configENS1_38merge_sort_block_merge_config_selectorIiiEEZZNS1_27merge_sort_block_merge_implIS3_N6thrust23THRUST_200600_302600_NS6detail15normal_iteratorINS8_10device_ptrIiEEEESD_jNS1_19radix_merge_compareILb1ELb1EiNS0_19identity_decomposerEEEEE10hipError_tT0_T1_T2_jT3_P12ihipStream_tbPNSt15iterator_traitsISI_E10value_typeEPNSO_ISJ_E10value_typeEPSK_NS1_7vsmem_tEENKUlT_SI_SJ_SK_E_clIPiSD_S10_SD_EESH_SX_SI_SJ_SK_EUlSX_E1_NS1_11comp_targetILNS1_3genE10ELNS1_11target_archE1201ELNS1_3gpuE5ELNS1_3repE0EEENS1_36merge_oddeven_config_static_selectorELNS0_4arch9wavefront6targetE1EEEvSJ_.private_seg_size, 0
	.set _ZN7rocprim17ROCPRIM_400000_NS6detail17trampoline_kernelINS0_14default_configENS1_38merge_sort_block_merge_config_selectorIiiEEZZNS1_27merge_sort_block_merge_implIS3_N6thrust23THRUST_200600_302600_NS6detail15normal_iteratorINS8_10device_ptrIiEEEESD_jNS1_19radix_merge_compareILb1ELb1EiNS0_19identity_decomposerEEEEE10hipError_tT0_T1_T2_jT3_P12ihipStream_tbPNSt15iterator_traitsISI_E10value_typeEPNSO_ISJ_E10value_typeEPSK_NS1_7vsmem_tEENKUlT_SI_SJ_SK_E_clIPiSD_S10_SD_EESH_SX_SI_SJ_SK_EUlSX_E1_NS1_11comp_targetILNS1_3genE10ELNS1_11target_archE1201ELNS1_3gpuE5ELNS1_3repE0EEENS1_36merge_oddeven_config_static_selectorELNS0_4arch9wavefront6targetE1EEEvSJ_.uses_vcc, 0
	.set _ZN7rocprim17ROCPRIM_400000_NS6detail17trampoline_kernelINS0_14default_configENS1_38merge_sort_block_merge_config_selectorIiiEEZZNS1_27merge_sort_block_merge_implIS3_N6thrust23THRUST_200600_302600_NS6detail15normal_iteratorINS8_10device_ptrIiEEEESD_jNS1_19radix_merge_compareILb1ELb1EiNS0_19identity_decomposerEEEEE10hipError_tT0_T1_T2_jT3_P12ihipStream_tbPNSt15iterator_traitsISI_E10value_typeEPNSO_ISJ_E10value_typeEPSK_NS1_7vsmem_tEENKUlT_SI_SJ_SK_E_clIPiSD_S10_SD_EESH_SX_SI_SJ_SK_EUlSX_E1_NS1_11comp_targetILNS1_3genE10ELNS1_11target_archE1201ELNS1_3gpuE5ELNS1_3repE0EEENS1_36merge_oddeven_config_static_selectorELNS0_4arch9wavefront6targetE1EEEvSJ_.uses_flat_scratch, 0
	.set _ZN7rocprim17ROCPRIM_400000_NS6detail17trampoline_kernelINS0_14default_configENS1_38merge_sort_block_merge_config_selectorIiiEEZZNS1_27merge_sort_block_merge_implIS3_N6thrust23THRUST_200600_302600_NS6detail15normal_iteratorINS8_10device_ptrIiEEEESD_jNS1_19radix_merge_compareILb1ELb1EiNS0_19identity_decomposerEEEEE10hipError_tT0_T1_T2_jT3_P12ihipStream_tbPNSt15iterator_traitsISI_E10value_typeEPNSO_ISJ_E10value_typeEPSK_NS1_7vsmem_tEENKUlT_SI_SJ_SK_E_clIPiSD_S10_SD_EESH_SX_SI_SJ_SK_EUlSX_E1_NS1_11comp_targetILNS1_3genE10ELNS1_11target_archE1201ELNS1_3gpuE5ELNS1_3repE0EEENS1_36merge_oddeven_config_static_selectorELNS0_4arch9wavefront6targetE1EEEvSJ_.has_dyn_sized_stack, 0
	.set _ZN7rocprim17ROCPRIM_400000_NS6detail17trampoline_kernelINS0_14default_configENS1_38merge_sort_block_merge_config_selectorIiiEEZZNS1_27merge_sort_block_merge_implIS3_N6thrust23THRUST_200600_302600_NS6detail15normal_iteratorINS8_10device_ptrIiEEEESD_jNS1_19radix_merge_compareILb1ELb1EiNS0_19identity_decomposerEEEEE10hipError_tT0_T1_T2_jT3_P12ihipStream_tbPNSt15iterator_traitsISI_E10value_typeEPNSO_ISJ_E10value_typeEPSK_NS1_7vsmem_tEENKUlT_SI_SJ_SK_E_clIPiSD_S10_SD_EESH_SX_SI_SJ_SK_EUlSX_E1_NS1_11comp_targetILNS1_3genE10ELNS1_11target_archE1201ELNS1_3gpuE5ELNS1_3repE0EEENS1_36merge_oddeven_config_static_selectorELNS0_4arch9wavefront6targetE1EEEvSJ_.has_recursion, 0
	.set _ZN7rocprim17ROCPRIM_400000_NS6detail17trampoline_kernelINS0_14default_configENS1_38merge_sort_block_merge_config_selectorIiiEEZZNS1_27merge_sort_block_merge_implIS3_N6thrust23THRUST_200600_302600_NS6detail15normal_iteratorINS8_10device_ptrIiEEEESD_jNS1_19radix_merge_compareILb1ELb1EiNS0_19identity_decomposerEEEEE10hipError_tT0_T1_T2_jT3_P12ihipStream_tbPNSt15iterator_traitsISI_E10value_typeEPNSO_ISJ_E10value_typeEPSK_NS1_7vsmem_tEENKUlT_SI_SJ_SK_E_clIPiSD_S10_SD_EESH_SX_SI_SJ_SK_EUlSX_E1_NS1_11comp_targetILNS1_3genE10ELNS1_11target_archE1201ELNS1_3gpuE5ELNS1_3repE0EEENS1_36merge_oddeven_config_static_selectorELNS0_4arch9wavefront6targetE1EEEvSJ_.has_indirect_call, 0
	.section	.AMDGPU.csdata,"",@progbits
; Kernel info:
; codeLenInByte = 0
; TotalNumSgprs: 6
; NumVgprs: 0
; NumAgprs: 0
; TotalNumVgprs: 0
; ScratchSize: 0
; MemoryBound: 0
; FloatMode: 240
; IeeeMode: 1
; LDSByteSize: 0 bytes/workgroup (compile time only)
; SGPRBlocks: 0
; VGPRBlocks: 0
; NumSGPRsForWavesPerEU: 6
; NumVGPRsForWavesPerEU: 1
; AccumOffset: 4
; Occupancy: 8
; WaveLimiterHint : 0
; COMPUTE_PGM_RSRC2:SCRATCH_EN: 0
; COMPUTE_PGM_RSRC2:USER_SGPR: 2
; COMPUTE_PGM_RSRC2:TRAP_HANDLER: 0
; COMPUTE_PGM_RSRC2:TGID_X_EN: 1
; COMPUTE_PGM_RSRC2:TGID_Y_EN: 0
; COMPUTE_PGM_RSRC2:TGID_Z_EN: 0
; COMPUTE_PGM_RSRC2:TIDIG_COMP_CNT: 0
; COMPUTE_PGM_RSRC3_GFX90A:ACCUM_OFFSET: 0
; COMPUTE_PGM_RSRC3_GFX90A:TG_SPLIT: 0
	.section	.text._ZN7rocprim17ROCPRIM_400000_NS6detail17trampoline_kernelINS0_14default_configENS1_38merge_sort_block_merge_config_selectorIiiEEZZNS1_27merge_sort_block_merge_implIS3_N6thrust23THRUST_200600_302600_NS6detail15normal_iteratorINS8_10device_ptrIiEEEESD_jNS1_19radix_merge_compareILb1ELb1EiNS0_19identity_decomposerEEEEE10hipError_tT0_T1_T2_jT3_P12ihipStream_tbPNSt15iterator_traitsISI_E10value_typeEPNSO_ISJ_E10value_typeEPSK_NS1_7vsmem_tEENKUlT_SI_SJ_SK_E_clIPiSD_S10_SD_EESH_SX_SI_SJ_SK_EUlSX_E1_NS1_11comp_targetILNS1_3genE5ELNS1_11target_archE942ELNS1_3gpuE9ELNS1_3repE0EEENS1_36merge_oddeven_config_static_selectorELNS0_4arch9wavefront6targetE1EEEvSJ_,"axG",@progbits,_ZN7rocprim17ROCPRIM_400000_NS6detail17trampoline_kernelINS0_14default_configENS1_38merge_sort_block_merge_config_selectorIiiEEZZNS1_27merge_sort_block_merge_implIS3_N6thrust23THRUST_200600_302600_NS6detail15normal_iteratorINS8_10device_ptrIiEEEESD_jNS1_19radix_merge_compareILb1ELb1EiNS0_19identity_decomposerEEEEE10hipError_tT0_T1_T2_jT3_P12ihipStream_tbPNSt15iterator_traitsISI_E10value_typeEPNSO_ISJ_E10value_typeEPSK_NS1_7vsmem_tEENKUlT_SI_SJ_SK_E_clIPiSD_S10_SD_EESH_SX_SI_SJ_SK_EUlSX_E1_NS1_11comp_targetILNS1_3genE5ELNS1_11target_archE942ELNS1_3gpuE9ELNS1_3repE0EEENS1_36merge_oddeven_config_static_selectorELNS0_4arch9wavefront6targetE1EEEvSJ_,comdat
	.protected	_ZN7rocprim17ROCPRIM_400000_NS6detail17trampoline_kernelINS0_14default_configENS1_38merge_sort_block_merge_config_selectorIiiEEZZNS1_27merge_sort_block_merge_implIS3_N6thrust23THRUST_200600_302600_NS6detail15normal_iteratorINS8_10device_ptrIiEEEESD_jNS1_19radix_merge_compareILb1ELb1EiNS0_19identity_decomposerEEEEE10hipError_tT0_T1_T2_jT3_P12ihipStream_tbPNSt15iterator_traitsISI_E10value_typeEPNSO_ISJ_E10value_typeEPSK_NS1_7vsmem_tEENKUlT_SI_SJ_SK_E_clIPiSD_S10_SD_EESH_SX_SI_SJ_SK_EUlSX_E1_NS1_11comp_targetILNS1_3genE5ELNS1_11target_archE942ELNS1_3gpuE9ELNS1_3repE0EEENS1_36merge_oddeven_config_static_selectorELNS0_4arch9wavefront6targetE1EEEvSJ_ ; -- Begin function _ZN7rocprim17ROCPRIM_400000_NS6detail17trampoline_kernelINS0_14default_configENS1_38merge_sort_block_merge_config_selectorIiiEEZZNS1_27merge_sort_block_merge_implIS3_N6thrust23THRUST_200600_302600_NS6detail15normal_iteratorINS8_10device_ptrIiEEEESD_jNS1_19radix_merge_compareILb1ELb1EiNS0_19identity_decomposerEEEEE10hipError_tT0_T1_T2_jT3_P12ihipStream_tbPNSt15iterator_traitsISI_E10value_typeEPNSO_ISJ_E10value_typeEPSK_NS1_7vsmem_tEENKUlT_SI_SJ_SK_E_clIPiSD_S10_SD_EESH_SX_SI_SJ_SK_EUlSX_E1_NS1_11comp_targetILNS1_3genE5ELNS1_11target_archE942ELNS1_3gpuE9ELNS1_3repE0EEENS1_36merge_oddeven_config_static_selectorELNS0_4arch9wavefront6targetE1EEEvSJ_
	.globl	_ZN7rocprim17ROCPRIM_400000_NS6detail17trampoline_kernelINS0_14default_configENS1_38merge_sort_block_merge_config_selectorIiiEEZZNS1_27merge_sort_block_merge_implIS3_N6thrust23THRUST_200600_302600_NS6detail15normal_iteratorINS8_10device_ptrIiEEEESD_jNS1_19radix_merge_compareILb1ELb1EiNS0_19identity_decomposerEEEEE10hipError_tT0_T1_T2_jT3_P12ihipStream_tbPNSt15iterator_traitsISI_E10value_typeEPNSO_ISJ_E10value_typeEPSK_NS1_7vsmem_tEENKUlT_SI_SJ_SK_E_clIPiSD_S10_SD_EESH_SX_SI_SJ_SK_EUlSX_E1_NS1_11comp_targetILNS1_3genE5ELNS1_11target_archE942ELNS1_3gpuE9ELNS1_3repE0EEENS1_36merge_oddeven_config_static_selectorELNS0_4arch9wavefront6targetE1EEEvSJ_
	.p2align	8
	.type	_ZN7rocprim17ROCPRIM_400000_NS6detail17trampoline_kernelINS0_14default_configENS1_38merge_sort_block_merge_config_selectorIiiEEZZNS1_27merge_sort_block_merge_implIS3_N6thrust23THRUST_200600_302600_NS6detail15normal_iteratorINS8_10device_ptrIiEEEESD_jNS1_19radix_merge_compareILb1ELb1EiNS0_19identity_decomposerEEEEE10hipError_tT0_T1_T2_jT3_P12ihipStream_tbPNSt15iterator_traitsISI_E10value_typeEPNSO_ISJ_E10value_typeEPSK_NS1_7vsmem_tEENKUlT_SI_SJ_SK_E_clIPiSD_S10_SD_EESH_SX_SI_SJ_SK_EUlSX_E1_NS1_11comp_targetILNS1_3genE5ELNS1_11target_archE942ELNS1_3gpuE9ELNS1_3repE0EEENS1_36merge_oddeven_config_static_selectorELNS0_4arch9wavefront6targetE1EEEvSJ_,@function
_ZN7rocprim17ROCPRIM_400000_NS6detail17trampoline_kernelINS0_14default_configENS1_38merge_sort_block_merge_config_selectorIiiEEZZNS1_27merge_sort_block_merge_implIS3_N6thrust23THRUST_200600_302600_NS6detail15normal_iteratorINS8_10device_ptrIiEEEESD_jNS1_19radix_merge_compareILb1ELb1EiNS0_19identity_decomposerEEEEE10hipError_tT0_T1_T2_jT3_P12ihipStream_tbPNSt15iterator_traitsISI_E10value_typeEPNSO_ISJ_E10value_typeEPSK_NS1_7vsmem_tEENKUlT_SI_SJ_SK_E_clIPiSD_S10_SD_EESH_SX_SI_SJ_SK_EUlSX_E1_NS1_11comp_targetILNS1_3genE5ELNS1_11target_archE942ELNS1_3gpuE9ELNS1_3repE0EEENS1_36merge_oddeven_config_static_selectorELNS0_4arch9wavefront6targetE1EEEvSJ_: ; @_ZN7rocprim17ROCPRIM_400000_NS6detail17trampoline_kernelINS0_14default_configENS1_38merge_sort_block_merge_config_selectorIiiEEZZNS1_27merge_sort_block_merge_implIS3_N6thrust23THRUST_200600_302600_NS6detail15normal_iteratorINS8_10device_ptrIiEEEESD_jNS1_19radix_merge_compareILb1ELb1EiNS0_19identity_decomposerEEEEE10hipError_tT0_T1_T2_jT3_P12ihipStream_tbPNSt15iterator_traitsISI_E10value_typeEPNSO_ISJ_E10value_typeEPSK_NS1_7vsmem_tEENKUlT_SI_SJ_SK_E_clIPiSD_S10_SD_EESH_SX_SI_SJ_SK_EUlSX_E1_NS1_11comp_targetILNS1_3genE5ELNS1_11target_archE942ELNS1_3gpuE9ELNS1_3repE0EEENS1_36merge_oddeven_config_static_selectorELNS0_4arch9wavefront6targetE1EEEvSJ_
; %bb.0:
	.section	.rodata,"a",@progbits
	.p2align	6, 0x0
	.amdhsa_kernel _ZN7rocprim17ROCPRIM_400000_NS6detail17trampoline_kernelINS0_14default_configENS1_38merge_sort_block_merge_config_selectorIiiEEZZNS1_27merge_sort_block_merge_implIS3_N6thrust23THRUST_200600_302600_NS6detail15normal_iteratorINS8_10device_ptrIiEEEESD_jNS1_19radix_merge_compareILb1ELb1EiNS0_19identity_decomposerEEEEE10hipError_tT0_T1_T2_jT3_P12ihipStream_tbPNSt15iterator_traitsISI_E10value_typeEPNSO_ISJ_E10value_typeEPSK_NS1_7vsmem_tEENKUlT_SI_SJ_SK_E_clIPiSD_S10_SD_EESH_SX_SI_SJ_SK_EUlSX_E1_NS1_11comp_targetILNS1_3genE5ELNS1_11target_archE942ELNS1_3gpuE9ELNS1_3repE0EEENS1_36merge_oddeven_config_static_selectorELNS0_4arch9wavefront6targetE1EEEvSJ_
		.amdhsa_group_segment_fixed_size 0
		.amdhsa_private_segment_fixed_size 0
		.amdhsa_kernarg_size 48
		.amdhsa_user_sgpr_count 2
		.amdhsa_user_sgpr_dispatch_ptr 0
		.amdhsa_user_sgpr_queue_ptr 0
		.amdhsa_user_sgpr_kernarg_segment_ptr 1
		.amdhsa_user_sgpr_dispatch_id 0
		.amdhsa_user_sgpr_kernarg_preload_length 0
		.amdhsa_user_sgpr_kernarg_preload_offset 0
		.amdhsa_user_sgpr_private_segment_size 0
		.amdhsa_uses_dynamic_stack 0
		.amdhsa_enable_private_segment 0
		.amdhsa_system_sgpr_workgroup_id_x 1
		.amdhsa_system_sgpr_workgroup_id_y 0
		.amdhsa_system_sgpr_workgroup_id_z 0
		.amdhsa_system_sgpr_workgroup_info 0
		.amdhsa_system_vgpr_workitem_id 0
		.amdhsa_next_free_vgpr 1
		.amdhsa_next_free_sgpr 0
		.amdhsa_accum_offset 4
		.amdhsa_reserve_vcc 0
		.amdhsa_float_round_mode_32 0
		.amdhsa_float_round_mode_16_64 0
		.amdhsa_float_denorm_mode_32 3
		.amdhsa_float_denorm_mode_16_64 3
		.amdhsa_dx10_clamp 1
		.amdhsa_ieee_mode 1
		.amdhsa_fp16_overflow 0
		.amdhsa_tg_split 0
		.amdhsa_exception_fp_ieee_invalid_op 0
		.amdhsa_exception_fp_denorm_src 0
		.amdhsa_exception_fp_ieee_div_zero 0
		.amdhsa_exception_fp_ieee_overflow 0
		.amdhsa_exception_fp_ieee_underflow 0
		.amdhsa_exception_fp_ieee_inexact 0
		.amdhsa_exception_int_div_zero 0
	.end_amdhsa_kernel
	.section	.text._ZN7rocprim17ROCPRIM_400000_NS6detail17trampoline_kernelINS0_14default_configENS1_38merge_sort_block_merge_config_selectorIiiEEZZNS1_27merge_sort_block_merge_implIS3_N6thrust23THRUST_200600_302600_NS6detail15normal_iteratorINS8_10device_ptrIiEEEESD_jNS1_19radix_merge_compareILb1ELb1EiNS0_19identity_decomposerEEEEE10hipError_tT0_T1_T2_jT3_P12ihipStream_tbPNSt15iterator_traitsISI_E10value_typeEPNSO_ISJ_E10value_typeEPSK_NS1_7vsmem_tEENKUlT_SI_SJ_SK_E_clIPiSD_S10_SD_EESH_SX_SI_SJ_SK_EUlSX_E1_NS1_11comp_targetILNS1_3genE5ELNS1_11target_archE942ELNS1_3gpuE9ELNS1_3repE0EEENS1_36merge_oddeven_config_static_selectorELNS0_4arch9wavefront6targetE1EEEvSJ_,"axG",@progbits,_ZN7rocprim17ROCPRIM_400000_NS6detail17trampoline_kernelINS0_14default_configENS1_38merge_sort_block_merge_config_selectorIiiEEZZNS1_27merge_sort_block_merge_implIS3_N6thrust23THRUST_200600_302600_NS6detail15normal_iteratorINS8_10device_ptrIiEEEESD_jNS1_19radix_merge_compareILb1ELb1EiNS0_19identity_decomposerEEEEE10hipError_tT0_T1_T2_jT3_P12ihipStream_tbPNSt15iterator_traitsISI_E10value_typeEPNSO_ISJ_E10value_typeEPSK_NS1_7vsmem_tEENKUlT_SI_SJ_SK_E_clIPiSD_S10_SD_EESH_SX_SI_SJ_SK_EUlSX_E1_NS1_11comp_targetILNS1_3genE5ELNS1_11target_archE942ELNS1_3gpuE9ELNS1_3repE0EEENS1_36merge_oddeven_config_static_selectorELNS0_4arch9wavefront6targetE1EEEvSJ_,comdat
.Lfunc_end1789:
	.size	_ZN7rocprim17ROCPRIM_400000_NS6detail17trampoline_kernelINS0_14default_configENS1_38merge_sort_block_merge_config_selectorIiiEEZZNS1_27merge_sort_block_merge_implIS3_N6thrust23THRUST_200600_302600_NS6detail15normal_iteratorINS8_10device_ptrIiEEEESD_jNS1_19radix_merge_compareILb1ELb1EiNS0_19identity_decomposerEEEEE10hipError_tT0_T1_T2_jT3_P12ihipStream_tbPNSt15iterator_traitsISI_E10value_typeEPNSO_ISJ_E10value_typeEPSK_NS1_7vsmem_tEENKUlT_SI_SJ_SK_E_clIPiSD_S10_SD_EESH_SX_SI_SJ_SK_EUlSX_E1_NS1_11comp_targetILNS1_3genE5ELNS1_11target_archE942ELNS1_3gpuE9ELNS1_3repE0EEENS1_36merge_oddeven_config_static_selectorELNS0_4arch9wavefront6targetE1EEEvSJ_, .Lfunc_end1789-_ZN7rocprim17ROCPRIM_400000_NS6detail17trampoline_kernelINS0_14default_configENS1_38merge_sort_block_merge_config_selectorIiiEEZZNS1_27merge_sort_block_merge_implIS3_N6thrust23THRUST_200600_302600_NS6detail15normal_iteratorINS8_10device_ptrIiEEEESD_jNS1_19radix_merge_compareILb1ELb1EiNS0_19identity_decomposerEEEEE10hipError_tT0_T1_T2_jT3_P12ihipStream_tbPNSt15iterator_traitsISI_E10value_typeEPNSO_ISJ_E10value_typeEPSK_NS1_7vsmem_tEENKUlT_SI_SJ_SK_E_clIPiSD_S10_SD_EESH_SX_SI_SJ_SK_EUlSX_E1_NS1_11comp_targetILNS1_3genE5ELNS1_11target_archE942ELNS1_3gpuE9ELNS1_3repE0EEENS1_36merge_oddeven_config_static_selectorELNS0_4arch9wavefront6targetE1EEEvSJ_
                                        ; -- End function
	.set _ZN7rocprim17ROCPRIM_400000_NS6detail17trampoline_kernelINS0_14default_configENS1_38merge_sort_block_merge_config_selectorIiiEEZZNS1_27merge_sort_block_merge_implIS3_N6thrust23THRUST_200600_302600_NS6detail15normal_iteratorINS8_10device_ptrIiEEEESD_jNS1_19radix_merge_compareILb1ELb1EiNS0_19identity_decomposerEEEEE10hipError_tT0_T1_T2_jT3_P12ihipStream_tbPNSt15iterator_traitsISI_E10value_typeEPNSO_ISJ_E10value_typeEPSK_NS1_7vsmem_tEENKUlT_SI_SJ_SK_E_clIPiSD_S10_SD_EESH_SX_SI_SJ_SK_EUlSX_E1_NS1_11comp_targetILNS1_3genE5ELNS1_11target_archE942ELNS1_3gpuE9ELNS1_3repE0EEENS1_36merge_oddeven_config_static_selectorELNS0_4arch9wavefront6targetE1EEEvSJ_.num_vgpr, 0
	.set _ZN7rocprim17ROCPRIM_400000_NS6detail17trampoline_kernelINS0_14default_configENS1_38merge_sort_block_merge_config_selectorIiiEEZZNS1_27merge_sort_block_merge_implIS3_N6thrust23THRUST_200600_302600_NS6detail15normal_iteratorINS8_10device_ptrIiEEEESD_jNS1_19radix_merge_compareILb1ELb1EiNS0_19identity_decomposerEEEEE10hipError_tT0_T1_T2_jT3_P12ihipStream_tbPNSt15iterator_traitsISI_E10value_typeEPNSO_ISJ_E10value_typeEPSK_NS1_7vsmem_tEENKUlT_SI_SJ_SK_E_clIPiSD_S10_SD_EESH_SX_SI_SJ_SK_EUlSX_E1_NS1_11comp_targetILNS1_3genE5ELNS1_11target_archE942ELNS1_3gpuE9ELNS1_3repE0EEENS1_36merge_oddeven_config_static_selectorELNS0_4arch9wavefront6targetE1EEEvSJ_.num_agpr, 0
	.set _ZN7rocprim17ROCPRIM_400000_NS6detail17trampoline_kernelINS0_14default_configENS1_38merge_sort_block_merge_config_selectorIiiEEZZNS1_27merge_sort_block_merge_implIS3_N6thrust23THRUST_200600_302600_NS6detail15normal_iteratorINS8_10device_ptrIiEEEESD_jNS1_19radix_merge_compareILb1ELb1EiNS0_19identity_decomposerEEEEE10hipError_tT0_T1_T2_jT3_P12ihipStream_tbPNSt15iterator_traitsISI_E10value_typeEPNSO_ISJ_E10value_typeEPSK_NS1_7vsmem_tEENKUlT_SI_SJ_SK_E_clIPiSD_S10_SD_EESH_SX_SI_SJ_SK_EUlSX_E1_NS1_11comp_targetILNS1_3genE5ELNS1_11target_archE942ELNS1_3gpuE9ELNS1_3repE0EEENS1_36merge_oddeven_config_static_selectorELNS0_4arch9wavefront6targetE1EEEvSJ_.numbered_sgpr, 0
	.set _ZN7rocprim17ROCPRIM_400000_NS6detail17trampoline_kernelINS0_14default_configENS1_38merge_sort_block_merge_config_selectorIiiEEZZNS1_27merge_sort_block_merge_implIS3_N6thrust23THRUST_200600_302600_NS6detail15normal_iteratorINS8_10device_ptrIiEEEESD_jNS1_19radix_merge_compareILb1ELb1EiNS0_19identity_decomposerEEEEE10hipError_tT0_T1_T2_jT3_P12ihipStream_tbPNSt15iterator_traitsISI_E10value_typeEPNSO_ISJ_E10value_typeEPSK_NS1_7vsmem_tEENKUlT_SI_SJ_SK_E_clIPiSD_S10_SD_EESH_SX_SI_SJ_SK_EUlSX_E1_NS1_11comp_targetILNS1_3genE5ELNS1_11target_archE942ELNS1_3gpuE9ELNS1_3repE0EEENS1_36merge_oddeven_config_static_selectorELNS0_4arch9wavefront6targetE1EEEvSJ_.num_named_barrier, 0
	.set _ZN7rocprim17ROCPRIM_400000_NS6detail17trampoline_kernelINS0_14default_configENS1_38merge_sort_block_merge_config_selectorIiiEEZZNS1_27merge_sort_block_merge_implIS3_N6thrust23THRUST_200600_302600_NS6detail15normal_iteratorINS8_10device_ptrIiEEEESD_jNS1_19radix_merge_compareILb1ELb1EiNS0_19identity_decomposerEEEEE10hipError_tT0_T1_T2_jT3_P12ihipStream_tbPNSt15iterator_traitsISI_E10value_typeEPNSO_ISJ_E10value_typeEPSK_NS1_7vsmem_tEENKUlT_SI_SJ_SK_E_clIPiSD_S10_SD_EESH_SX_SI_SJ_SK_EUlSX_E1_NS1_11comp_targetILNS1_3genE5ELNS1_11target_archE942ELNS1_3gpuE9ELNS1_3repE0EEENS1_36merge_oddeven_config_static_selectorELNS0_4arch9wavefront6targetE1EEEvSJ_.private_seg_size, 0
	.set _ZN7rocprim17ROCPRIM_400000_NS6detail17trampoline_kernelINS0_14default_configENS1_38merge_sort_block_merge_config_selectorIiiEEZZNS1_27merge_sort_block_merge_implIS3_N6thrust23THRUST_200600_302600_NS6detail15normal_iteratorINS8_10device_ptrIiEEEESD_jNS1_19radix_merge_compareILb1ELb1EiNS0_19identity_decomposerEEEEE10hipError_tT0_T1_T2_jT3_P12ihipStream_tbPNSt15iterator_traitsISI_E10value_typeEPNSO_ISJ_E10value_typeEPSK_NS1_7vsmem_tEENKUlT_SI_SJ_SK_E_clIPiSD_S10_SD_EESH_SX_SI_SJ_SK_EUlSX_E1_NS1_11comp_targetILNS1_3genE5ELNS1_11target_archE942ELNS1_3gpuE9ELNS1_3repE0EEENS1_36merge_oddeven_config_static_selectorELNS0_4arch9wavefront6targetE1EEEvSJ_.uses_vcc, 0
	.set _ZN7rocprim17ROCPRIM_400000_NS6detail17trampoline_kernelINS0_14default_configENS1_38merge_sort_block_merge_config_selectorIiiEEZZNS1_27merge_sort_block_merge_implIS3_N6thrust23THRUST_200600_302600_NS6detail15normal_iteratorINS8_10device_ptrIiEEEESD_jNS1_19radix_merge_compareILb1ELb1EiNS0_19identity_decomposerEEEEE10hipError_tT0_T1_T2_jT3_P12ihipStream_tbPNSt15iterator_traitsISI_E10value_typeEPNSO_ISJ_E10value_typeEPSK_NS1_7vsmem_tEENKUlT_SI_SJ_SK_E_clIPiSD_S10_SD_EESH_SX_SI_SJ_SK_EUlSX_E1_NS1_11comp_targetILNS1_3genE5ELNS1_11target_archE942ELNS1_3gpuE9ELNS1_3repE0EEENS1_36merge_oddeven_config_static_selectorELNS0_4arch9wavefront6targetE1EEEvSJ_.uses_flat_scratch, 0
	.set _ZN7rocprim17ROCPRIM_400000_NS6detail17trampoline_kernelINS0_14default_configENS1_38merge_sort_block_merge_config_selectorIiiEEZZNS1_27merge_sort_block_merge_implIS3_N6thrust23THRUST_200600_302600_NS6detail15normal_iteratorINS8_10device_ptrIiEEEESD_jNS1_19radix_merge_compareILb1ELb1EiNS0_19identity_decomposerEEEEE10hipError_tT0_T1_T2_jT3_P12ihipStream_tbPNSt15iterator_traitsISI_E10value_typeEPNSO_ISJ_E10value_typeEPSK_NS1_7vsmem_tEENKUlT_SI_SJ_SK_E_clIPiSD_S10_SD_EESH_SX_SI_SJ_SK_EUlSX_E1_NS1_11comp_targetILNS1_3genE5ELNS1_11target_archE942ELNS1_3gpuE9ELNS1_3repE0EEENS1_36merge_oddeven_config_static_selectorELNS0_4arch9wavefront6targetE1EEEvSJ_.has_dyn_sized_stack, 0
	.set _ZN7rocprim17ROCPRIM_400000_NS6detail17trampoline_kernelINS0_14default_configENS1_38merge_sort_block_merge_config_selectorIiiEEZZNS1_27merge_sort_block_merge_implIS3_N6thrust23THRUST_200600_302600_NS6detail15normal_iteratorINS8_10device_ptrIiEEEESD_jNS1_19radix_merge_compareILb1ELb1EiNS0_19identity_decomposerEEEEE10hipError_tT0_T1_T2_jT3_P12ihipStream_tbPNSt15iterator_traitsISI_E10value_typeEPNSO_ISJ_E10value_typeEPSK_NS1_7vsmem_tEENKUlT_SI_SJ_SK_E_clIPiSD_S10_SD_EESH_SX_SI_SJ_SK_EUlSX_E1_NS1_11comp_targetILNS1_3genE5ELNS1_11target_archE942ELNS1_3gpuE9ELNS1_3repE0EEENS1_36merge_oddeven_config_static_selectorELNS0_4arch9wavefront6targetE1EEEvSJ_.has_recursion, 0
	.set _ZN7rocprim17ROCPRIM_400000_NS6detail17trampoline_kernelINS0_14default_configENS1_38merge_sort_block_merge_config_selectorIiiEEZZNS1_27merge_sort_block_merge_implIS3_N6thrust23THRUST_200600_302600_NS6detail15normal_iteratorINS8_10device_ptrIiEEEESD_jNS1_19radix_merge_compareILb1ELb1EiNS0_19identity_decomposerEEEEE10hipError_tT0_T1_T2_jT3_P12ihipStream_tbPNSt15iterator_traitsISI_E10value_typeEPNSO_ISJ_E10value_typeEPSK_NS1_7vsmem_tEENKUlT_SI_SJ_SK_E_clIPiSD_S10_SD_EESH_SX_SI_SJ_SK_EUlSX_E1_NS1_11comp_targetILNS1_3genE5ELNS1_11target_archE942ELNS1_3gpuE9ELNS1_3repE0EEENS1_36merge_oddeven_config_static_selectorELNS0_4arch9wavefront6targetE1EEEvSJ_.has_indirect_call, 0
	.section	.AMDGPU.csdata,"",@progbits
; Kernel info:
; codeLenInByte = 0
; TotalNumSgprs: 6
; NumVgprs: 0
; NumAgprs: 0
; TotalNumVgprs: 0
; ScratchSize: 0
; MemoryBound: 0
; FloatMode: 240
; IeeeMode: 1
; LDSByteSize: 0 bytes/workgroup (compile time only)
; SGPRBlocks: 0
; VGPRBlocks: 0
; NumSGPRsForWavesPerEU: 6
; NumVGPRsForWavesPerEU: 1
; AccumOffset: 4
; Occupancy: 8
; WaveLimiterHint : 0
; COMPUTE_PGM_RSRC2:SCRATCH_EN: 0
; COMPUTE_PGM_RSRC2:USER_SGPR: 2
; COMPUTE_PGM_RSRC2:TRAP_HANDLER: 0
; COMPUTE_PGM_RSRC2:TGID_X_EN: 1
; COMPUTE_PGM_RSRC2:TGID_Y_EN: 0
; COMPUTE_PGM_RSRC2:TGID_Z_EN: 0
; COMPUTE_PGM_RSRC2:TIDIG_COMP_CNT: 0
; COMPUTE_PGM_RSRC3_GFX90A:ACCUM_OFFSET: 0
; COMPUTE_PGM_RSRC3_GFX90A:TG_SPLIT: 0
	.section	.text._ZN7rocprim17ROCPRIM_400000_NS6detail17trampoline_kernelINS0_14default_configENS1_38merge_sort_block_merge_config_selectorIiiEEZZNS1_27merge_sort_block_merge_implIS3_N6thrust23THRUST_200600_302600_NS6detail15normal_iteratorINS8_10device_ptrIiEEEESD_jNS1_19radix_merge_compareILb1ELb1EiNS0_19identity_decomposerEEEEE10hipError_tT0_T1_T2_jT3_P12ihipStream_tbPNSt15iterator_traitsISI_E10value_typeEPNSO_ISJ_E10value_typeEPSK_NS1_7vsmem_tEENKUlT_SI_SJ_SK_E_clIPiSD_S10_SD_EESH_SX_SI_SJ_SK_EUlSX_E1_NS1_11comp_targetILNS1_3genE4ELNS1_11target_archE910ELNS1_3gpuE8ELNS1_3repE0EEENS1_36merge_oddeven_config_static_selectorELNS0_4arch9wavefront6targetE1EEEvSJ_,"axG",@progbits,_ZN7rocprim17ROCPRIM_400000_NS6detail17trampoline_kernelINS0_14default_configENS1_38merge_sort_block_merge_config_selectorIiiEEZZNS1_27merge_sort_block_merge_implIS3_N6thrust23THRUST_200600_302600_NS6detail15normal_iteratorINS8_10device_ptrIiEEEESD_jNS1_19radix_merge_compareILb1ELb1EiNS0_19identity_decomposerEEEEE10hipError_tT0_T1_T2_jT3_P12ihipStream_tbPNSt15iterator_traitsISI_E10value_typeEPNSO_ISJ_E10value_typeEPSK_NS1_7vsmem_tEENKUlT_SI_SJ_SK_E_clIPiSD_S10_SD_EESH_SX_SI_SJ_SK_EUlSX_E1_NS1_11comp_targetILNS1_3genE4ELNS1_11target_archE910ELNS1_3gpuE8ELNS1_3repE0EEENS1_36merge_oddeven_config_static_selectorELNS0_4arch9wavefront6targetE1EEEvSJ_,comdat
	.protected	_ZN7rocprim17ROCPRIM_400000_NS6detail17trampoline_kernelINS0_14default_configENS1_38merge_sort_block_merge_config_selectorIiiEEZZNS1_27merge_sort_block_merge_implIS3_N6thrust23THRUST_200600_302600_NS6detail15normal_iteratorINS8_10device_ptrIiEEEESD_jNS1_19radix_merge_compareILb1ELb1EiNS0_19identity_decomposerEEEEE10hipError_tT0_T1_T2_jT3_P12ihipStream_tbPNSt15iterator_traitsISI_E10value_typeEPNSO_ISJ_E10value_typeEPSK_NS1_7vsmem_tEENKUlT_SI_SJ_SK_E_clIPiSD_S10_SD_EESH_SX_SI_SJ_SK_EUlSX_E1_NS1_11comp_targetILNS1_3genE4ELNS1_11target_archE910ELNS1_3gpuE8ELNS1_3repE0EEENS1_36merge_oddeven_config_static_selectorELNS0_4arch9wavefront6targetE1EEEvSJ_ ; -- Begin function _ZN7rocprim17ROCPRIM_400000_NS6detail17trampoline_kernelINS0_14default_configENS1_38merge_sort_block_merge_config_selectorIiiEEZZNS1_27merge_sort_block_merge_implIS3_N6thrust23THRUST_200600_302600_NS6detail15normal_iteratorINS8_10device_ptrIiEEEESD_jNS1_19radix_merge_compareILb1ELb1EiNS0_19identity_decomposerEEEEE10hipError_tT0_T1_T2_jT3_P12ihipStream_tbPNSt15iterator_traitsISI_E10value_typeEPNSO_ISJ_E10value_typeEPSK_NS1_7vsmem_tEENKUlT_SI_SJ_SK_E_clIPiSD_S10_SD_EESH_SX_SI_SJ_SK_EUlSX_E1_NS1_11comp_targetILNS1_3genE4ELNS1_11target_archE910ELNS1_3gpuE8ELNS1_3repE0EEENS1_36merge_oddeven_config_static_selectorELNS0_4arch9wavefront6targetE1EEEvSJ_
	.globl	_ZN7rocprim17ROCPRIM_400000_NS6detail17trampoline_kernelINS0_14default_configENS1_38merge_sort_block_merge_config_selectorIiiEEZZNS1_27merge_sort_block_merge_implIS3_N6thrust23THRUST_200600_302600_NS6detail15normal_iteratorINS8_10device_ptrIiEEEESD_jNS1_19radix_merge_compareILb1ELb1EiNS0_19identity_decomposerEEEEE10hipError_tT0_T1_T2_jT3_P12ihipStream_tbPNSt15iterator_traitsISI_E10value_typeEPNSO_ISJ_E10value_typeEPSK_NS1_7vsmem_tEENKUlT_SI_SJ_SK_E_clIPiSD_S10_SD_EESH_SX_SI_SJ_SK_EUlSX_E1_NS1_11comp_targetILNS1_3genE4ELNS1_11target_archE910ELNS1_3gpuE8ELNS1_3repE0EEENS1_36merge_oddeven_config_static_selectorELNS0_4arch9wavefront6targetE1EEEvSJ_
	.p2align	8
	.type	_ZN7rocprim17ROCPRIM_400000_NS6detail17trampoline_kernelINS0_14default_configENS1_38merge_sort_block_merge_config_selectorIiiEEZZNS1_27merge_sort_block_merge_implIS3_N6thrust23THRUST_200600_302600_NS6detail15normal_iteratorINS8_10device_ptrIiEEEESD_jNS1_19radix_merge_compareILb1ELb1EiNS0_19identity_decomposerEEEEE10hipError_tT0_T1_T2_jT3_P12ihipStream_tbPNSt15iterator_traitsISI_E10value_typeEPNSO_ISJ_E10value_typeEPSK_NS1_7vsmem_tEENKUlT_SI_SJ_SK_E_clIPiSD_S10_SD_EESH_SX_SI_SJ_SK_EUlSX_E1_NS1_11comp_targetILNS1_3genE4ELNS1_11target_archE910ELNS1_3gpuE8ELNS1_3repE0EEENS1_36merge_oddeven_config_static_selectorELNS0_4arch9wavefront6targetE1EEEvSJ_,@function
_ZN7rocprim17ROCPRIM_400000_NS6detail17trampoline_kernelINS0_14default_configENS1_38merge_sort_block_merge_config_selectorIiiEEZZNS1_27merge_sort_block_merge_implIS3_N6thrust23THRUST_200600_302600_NS6detail15normal_iteratorINS8_10device_ptrIiEEEESD_jNS1_19radix_merge_compareILb1ELb1EiNS0_19identity_decomposerEEEEE10hipError_tT0_T1_T2_jT3_P12ihipStream_tbPNSt15iterator_traitsISI_E10value_typeEPNSO_ISJ_E10value_typeEPSK_NS1_7vsmem_tEENKUlT_SI_SJ_SK_E_clIPiSD_S10_SD_EESH_SX_SI_SJ_SK_EUlSX_E1_NS1_11comp_targetILNS1_3genE4ELNS1_11target_archE910ELNS1_3gpuE8ELNS1_3repE0EEENS1_36merge_oddeven_config_static_selectorELNS0_4arch9wavefront6targetE1EEEvSJ_: ; @_ZN7rocprim17ROCPRIM_400000_NS6detail17trampoline_kernelINS0_14default_configENS1_38merge_sort_block_merge_config_selectorIiiEEZZNS1_27merge_sort_block_merge_implIS3_N6thrust23THRUST_200600_302600_NS6detail15normal_iteratorINS8_10device_ptrIiEEEESD_jNS1_19radix_merge_compareILb1ELb1EiNS0_19identity_decomposerEEEEE10hipError_tT0_T1_T2_jT3_P12ihipStream_tbPNSt15iterator_traitsISI_E10value_typeEPNSO_ISJ_E10value_typeEPSK_NS1_7vsmem_tEENKUlT_SI_SJ_SK_E_clIPiSD_S10_SD_EESH_SX_SI_SJ_SK_EUlSX_E1_NS1_11comp_targetILNS1_3genE4ELNS1_11target_archE910ELNS1_3gpuE8ELNS1_3repE0EEENS1_36merge_oddeven_config_static_selectorELNS0_4arch9wavefront6targetE1EEEvSJ_
; %bb.0:
	.section	.rodata,"a",@progbits
	.p2align	6, 0x0
	.amdhsa_kernel _ZN7rocprim17ROCPRIM_400000_NS6detail17trampoline_kernelINS0_14default_configENS1_38merge_sort_block_merge_config_selectorIiiEEZZNS1_27merge_sort_block_merge_implIS3_N6thrust23THRUST_200600_302600_NS6detail15normal_iteratorINS8_10device_ptrIiEEEESD_jNS1_19radix_merge_compareILb1ELb1EiNS0_19identity_decomposerEEEEE10hipError_tT0_T1_T2_jT3_P12ihipStream_tbPNSt15iterator_traitsISI_E10value_typeEPNSO_ISJ_E10value_typeEPSK_NS1_7vsmem_tEENKUlT_SI_SJ_SK_E_clIPiSD_S10_SD_EESH_SX_SI_SJ_SK_EUlSX_E1_NS1_11comp_targetILNS1_3genE4ELNS1_11target_archE910ELNS1_3gpuE8ELNS1_3repE0EEENS1_36merge_oddeven_config_static_selectorELNS0_4arch9wavefront6targetE1EEEvSJ_
		.amdhsa_group_segment_fixed_size 0
		.amdhsa_private_segment_fixed_size 0
		.amdhsa_kernarg_size 48
		.amdhsa_user_sgpr_count 2
		.amdhsa_user_sgpr_dispatch_ptr 0
		.amdhsa_user_sgpr_queue_ptr 0
		.amdhsa_user_sgpr_kernarg_segment_ptr 1
		.amdhsa_user_sgpr_dispatch_id 0
		.amdhsa_user_sgpr_kernarg_preload_length 0
		.amdhsa_user_sgpr_kernarg_preload_offset 0
		.amdhsa_user_sgpr_private_segment_size 0
		.amdhsa_uses_dynamic_stack 0
		.amdhsa_enable_private_segment 0
		.amdhsa_system_sgpr_workgroup_id_x 1
		.amdhsa_system_sgpr_workgroup_id_y 0
		.amdhsa_system_sgpr_workgroup_id_z 0
		.amdhsa_system_sgpr_workgroup_info 0
		.amdhsa_system_vgpr_workitem_id 0
		.amdhsa_next_free_vgpr 1
		.amdhsa_next_free_sgpr 0
		.amdhsa_accum_offset 4
		.amdhsa_reserve_vcc 0
		.amdhsa_float_round_mode_32 0
		.amdhsa_float_round_mode_16_64 0
		.amdhsa_float_denorm_mode_32 3
		.amdhsa_float_denorm_mode_16_64 3
		.amdhsa_dx10_clamp 1
		.amdhsa_ieee_mode 1
		.amdhsa_fp16_overflow 0
		.amdhsa_tg_split 0
		.amdhsa_exception_fp_ieee_invalid_op 0
		.amdhsa_exception_fp_denorm_src 0
		.amdhsa_exception_fp_ieee_div_zero 0
		.amdhsa_exception_fp_ieee_overflow 0
		.amdhsa_exception_fp_ieee_underflow 0
		.amdhsa_exception_fp_ieee_inexact 0
		.amdhsa_exception_int_div_zero 0
	.end_amdhsa_kernel
	.section	.text._ZN7rocprim17ROCPRIM_400000_NS6detail17trampoline_kernelINS0_14default_configENS1_38merge_sort_block_merge_config_selectorIiiEEZZNS1_27merge_sort_block_merge_implIS3_N6thrust23THRUST_200600_302600_NS6detail15normal_iteratorINS8_10device_ptrIiEEEESD_jNS1_19radix_merge_compareILb1ELb1EiNS0_19identity_decomposerEEEEE10hipError_tT0_T1_T2_jT3_P12ihipStream_tbPNSt15iterator_traitsISI_E10value_typeEPNSO_ISJ_E10value_typeEPSK_NS1_7vsmem_tEENKUlT_SI_SJ_SK_E_clIPiSD_S10_SD_EESH_SX_SI_SJ_SK_EUlSX_E1_NS1_11comp_targetILNS1_3genE4ELNS1_11target_archE910ELNS1_3gpuE8ELNS1_3repE0EEENS1_36merge_oddeven_config_static_selectorELNS0_4arch9wavefront6targetE1EEEvSJ_,"axG",@progbits,_ZN7rocprim17ROCPRIM_400000_NS6detail17trampoline_kernelINS0_14default_configENS1_38merge_sort_block_merge_config_selectorIiiEEZZNS1_27merge_sort_block_merge_implIS3_N6thrust23THRUST_200600_302600_NS6detail15normal_iteratorINS8_10device_ptrIiEEEESD_jNS1_19radix_merge_compareILb1ELb1EiNS0_19identity_decomposerEEEEE10hipError_tT0_T1_T2_jT3_P12ihipStream_tbPNSt15iterator_traitsISI_E10value_typeEPNSO_ISJ_E10value_typeEPSK_NS1_7vsmem_tEENKUlT_SI_SJ_SK_E_clIPiSD_S10_SD_EESH_SX_SI_SJ_SK_EUlSX_E1_NS1_11comp_targetILNS1_3genE4ELNS1_11target_archE910ELNS1_3gpuE8ELNS1_3repE0EEENS1_36merge_oddeven_config_static_selectorELNS0_4arch9wavefront6targetE1EEEvSJ_,comdat
.Lfunc_end1790:
	.size	_ZN7rocprim17ROCPRIM_400000_NS6detail17trampoline_kernelINS0_14default_configENS1_38merge_sort_block_merge_config_selectorIiiEEZZNS1_27merge_sort_block_merge_implIS3_N6thrust23THRUST_200600_302600_NS6detail15normal_iteratorINS8_10device_ptrIiEEEESD_jNS1_19radix_merge_compareILb1ELb1EiNS0_19identity_decomposerEEEEE10hipError_tT0_T1_T2_jT3_P12ihipStream_tbPNSt15iterator_traitsISI_E10value_typeEPNSO_ISJ_E10value_typeEPSK_NS1_7vsmem_tEENKUlT_SI_SJ_SK_E_clIPiSD_S10_SD_EESH_SX_SI_SJ_SK_EUlSX_E1_NS1_11comp_targetILNS1_3genE4ELNS1_11target_archE910ELNS1_3gpuE8ELNS1_3repE0EEENS1_36merge_oddeven_config_static_selectorELNS0_4arch9wavefront6targetE1EEEvSJ_, .Lfunc_end1790-_ZN7rocprim17ROCPRIM_400000_NS6detail17trampoline_kernelINS0_14default_configENS1_38merge_sort_block_merge_config_selectorIiiEEZZNS1_27merge_sort_block_merge_implIS3_N6thrust23THRUST_200600_302600_NS6detail15normal_iteratorINS8_10device_ptrIiEEEESD_jNS1_19radix_merge_compareILb1ELb1EiNS0_19identity_decomposerEEEEE10hipError_tT0_T1_T2_jT3_P12ihipStream_tbPNSt15iterator_traitsISI_E10value_typeEPNSO_ISJ_E10value_typeEPSK_NS1_7vsmem_tEENKUlT_SI_SJ_SK_E_clIPiSD_S10_SD_EESH_SX_SI_SJ_SK_EUlSX_E1_NS1_11comp_targetILNS1_3genE4ELNS1_11target_archE910ELNS1_3gpuE8ELNS1_3repE0EEENS1_36merge_oddeven_config_static_selectorELNS0_4arch9wavefront6targetE1EEEvSJ_
                                        ; -- End function
	.set _ZN7rocprim17ROCPRIM_400000_NS6detail17trampoline_kernelINS0_14default_configENS1_38merge_sort_block_merge_config_selectorIiiEEZZNS1_27merge_sort_block_merge_implIS3_N6thrust23THRUST_200600_302600_NS6detail15normal_iteratorINS8_10device_ptrIiEEEESD_jNS1_19radix_merge_compareILb1ELb1EiNS0_19identity_decomposerEEEEE10hipError_tT0_T1_T2_jT3_P12ihipStream_tbPNSt15iterator_traitsISI_E10value_typeEPNSO_ISJ_E10value_typeEPSK_NS1_7vsmem_tEENKUlT_SI_SJ_SK_E_clIPiSD_S10_SD_EESH_SX_SI_SJ_SK_EUlSX_E1_NS1_11comp_targetILNS1_3genE4ELNS1_11target_archE910ELNS1_3gpuE8ELNS1_3repE0EEENS1_36merge_oddeven_config_static_selectorELNS0_4arch9wavefront6targetE1EEEvSJ_.num_vgpr, 0
	.set _ZN7rocprim17ROCPRIM_400000_NS6detail17trampoline_kernelINS0_14default_configENS1_38merge_sort_block_merge_config_selectorIiiEEZZNS1_27merge_sort_block_merge_implIS3_N6thrust23THRUST_200600_302600_NS6detail15normal_iteratorINS8_10device_ptrIiEEEESD_jNS1_19radix_merge_compareILb1ELb1EiNS0_19identity_decomposerEEEEE10hipError_tT0_T1_T2_jT3_P12ihipStream_tbPNSt15iterator_traitsISI_E10value_typeEPNSO_ISJ_E10value_typeEPSK_NS1_7vsmem_tEENKUlT_SI_SJ_SK_E_clIPiSD_S10_SD_EESH_SX_SI_SJ_SK_EUlSX_E1_NS1_11comp_targetILNS1_3genE4ELNS1_11target_archE910ELNS1_3gpuE8ELNS1_3repE0EEENS1_36merge_oddeven_config_static_selectorELNS0_4arch9wavefront6targetE1EEEvSJ_.num_agpr, 0
	.set _ZN7rocprim17ROCPRIM_400000_NS6detail17trampoline_kernelINS0_14default_configENS1_38merge_sort_block_merge_config_selectorIiiEEZZNS1_27merge_sort_block_merge_implIS3_N6thrust23THRUST_200600_302600_NS6detail15normal_iteratorINS8_10device_ptrIiEEEESD_jNS1_19radix_merge_compareILb1ELb1EiNS0_19identity_decomposerEEEEE10hipError_tT0_T1_T2_jT3_P12ihipStream_tbPNSt15iterator_traitsISI_E10value_typeEPNSO_ISJ_E10value_typeEPSK_NS1_7vsmem_tEENKUlT_SI_SJ_SK_E_clIPiSD_S10_SD_EESH_SX_SI_SJ_SK_EUlSX_E1_NS1_11comp_targetILNS1_3genE4ELNS1_11target_archE910ELNS1_3gpuE8ELNS1_3repE0EEENS1_36merge_oddeven_config_static_selectorELNS0_4arch9wavefront6targetE1EEEvSJ_.numbered_sgpr, 0
	.set _ZN7rocprim17ROCPRIM_400000_NS6detail17trampoline_kernelINS0_14default_configENS1_38merge_sort_block_merge_config_selectorIiiEEZZNS1_27merge_sort_block_merge_implIS3_N6thrust23THRUST_200600_302600_NS6detail15normal_iteratorINS8_10device_ptrIiEEEESD_jNS1_19radix_merge_compareILb1ELb1EiNS0_19identity_decomposerEEEEE10hipError_tT0_T1_T2_jT3_P12ihipStream_tbPNSt15iterator_traitsISI_E10value_typeEPNSO_ISJ_E10value_typeEPSK_NS1_7vsmem_tEENKUlT_SI_SJ_SK_E_clIPiSD_S10_SD_EESH_SX_SI_SJ_SK_EUlSX_E1_NS1_11comp_targetILNS1_3genE4ELNS1_11target_archE910ELNS1_3gpuE8ELNS1_3repE0EEENS1_36merge_oddeven_config_static_selectorELNS0_4arch9wavefront6targetE1EEEvSJ_.num_named_barrier, 0
	.set _ZN7rocprim17ROCPRIM_400000_NS6detail17trampoline_kernelINS0_14default_configENS1_38merge_sort_block_merge_config_selectorIiiEEZZNS1_27merge_sort_block_merge_implIS3_N6thrust23THRUST_200600_302600_NS6detail15normal_iteratorINS8_10device_ptrIiEEEESD_jNS1_19radix_merge_compareILb1ELb1EiNS0_19identity_decomposerEEEEE10hipError_tT0_T1_T2_jT3_P12ihipStream_tbPNSt15iterator_traitsISI_E10value_typeEPNSO_ISJ_E10value_typeEPSK_NS1_7vsmem_tEENKUlT_SI_SJ_SK_E_clIPiSD_S10_SD_EESH_SX_SI_SJ_SK_EUlSX_E1_NS1_11comp_targetILNS1_3genE4ELNS1_11target_archE910ELNS1_3gpuE8ELNS1_3repE0EEENS1_36merge_oddeven_config_static_selectorELNS0_4arch9wavefront6targetE1EEEvSJ_.private_seg_size, 0
	.set _ZN7rocprim17ROCPRIM_400000_NS6detail17trampoline_kernelINS0_14default_configENS1_38merge_sort_block_merge_config_selectorIiiEEZZNS1_27merge_sort_block_merge_implIS3_N6thrust23THRUST_200600_302600_NS6detail15normal_iteratorINS8_10device_ptrIiEEEESD_jNS1_19radix_merge_compareILb1ELb1EiNS0_19identity_decomposerEEEEE10hipError_tT0_T1_T2_jT3_P12ihipStream_tbPNSt15iterator_traitsISI_E10value_typeEPNSO_ISJ_E10value_typeEPSK_NS1_7vsmem_tEENKUlT_SI_SJ_SK_E_clIPiSD_S10_SD_EESH_SX_SI_SJ_SK_EUlSX_E1_NS1_11comp_targetILNS1_3genE4ELNS1_11target_archE910ELNS1_3gpuE8ELNS1_3repE0EEENS1_36merge_oddeven_config_static_selectorELNS0_4arch9wavefront6targetE1EEEvSJ_.uses_vcc, 0
	.set _ZN7rocprim17ROCPRIM_400000_NS6detail17trampoline_kernelINS0_14default_configENS1_38merge_sort_block_merge_config_selectorIiiEEZZNS1_27merge_sort_block_merge_implIS3_N6thrust23THRUST_200600_302600_NS6detail15normal_iteratorINS8_10device_ptrIiEEEESD_jNS1_19radix_merge_compareILb1ELb1EiNS0_19identity_decomposerEEEEE10hipError_tT0_T1_T2_jT3_P12ihipStream_tbPNSt15iterator_traitsISI_E10value_typeEPNSO_ISJ_E10value_typeEPSK_NS1_7vsmem_tEENKUlT_SI_SJ_SK_E_clIPiSD_S10_SD_EESH_SX_SI_SJ_SK_EUlSX_E1_NS1_11comp_targetILNS1_3genE4ELNS1_11target_archE910ELNS1_3gpuE8ELNS1_3repE0EEENS1_36merge_oddeven_config_static_selectorELNS0_4arch9wavefront6targetE1EEEvSJ_.uses_flat_scratch, 0
	.set _ZN7rocprim17ROCPRIM_400000_NS6detail17trampoline_kernelINS0_14default_configENS1_38merge_sort_block_merge_config_selectorIiiEEZZNS1_27merge_sort_block_merge_implIS3_N6thrust23THRUST_200600_302600_NS6detail15normal_iteratorINS8_10device_ptrIiEEEESD_jNS1_19radix_merge_compareILb1ELb1EiNS0_19identity_decomposerEEEEE10hipError_tT0_T1_T2_jT3_P12ihipStream_tbPNSt15iterator_traitsISI_E10value_typeEPNSO_ISJ_E10value_typeEPSK_NS1_7vsmem_tEENKUlT_SI_SJ_SK_E_clIPiSD_S10_SD_EESH_SX_SI_SJ_SK_EUlSX_E1_NS1_11comp_targetILNS1_3genE4ELNS1_11target_archE910ELNS1_3gpuE8ELNS1_3repE0EEENS1_36merge_oddeven_config_static_selectorELNS0_4arch9wavefront6targetE1EEEvSJ_.has_dyn_sized_stack, 0
	.set _ZN7rocprim17ROCPRIM_400000_NS6detail17trampoline_kernelINS0_14default_configENS1_38merge_sort_block_merge_config_selectorIiiEEZZNS1_27merge_sort_block_merge_implIS3_N6thrust23THRUST_200600_302600_NS6detail15normal_iteratorINS8_10device_ptrIiEEEESD_jNS1_19radix_merge_compareILb1ELb1EiNS0_19identity_decomposerEEEEE10hipError_tT0_T1_T2_jT3_P12ihipStream_tbPNSt15iterator_traitsISI_E10value_typeEPNSO_ISJ_E10value_typeEPSK_NS1_7vsmem_tEENKUlT_SI_SJ_SK_E_clIPiSD_S10_SD_EESH_SX_SI_SJ_SK_EUlSX_E1_NS1_11comp_targetILNS1_3genE4ELNS1_11target_archE910ELNS1_3gpuE8ELNS1_3repE0EEENS1_36merge_oddeven_config_static_selectorELNS0_4arch9wavefront6targetE1EEEvSJ_.has_recursion, 0
	.set _ZN7rocprim17ROCPRIM_400000_NS6detail17trampoline_kernelINS0_14default_configENS1_38merge_sort_block_merge_config_selectorIiiEEZZNS1_27merge_sort_block_merge_implIS3_N6thrust23THRUST_200600_302600_NS6detail15normal_iteratorINS8_10device_ptrIiEEEESD_jNS1_19radix_merge_compareILb1ELb1EiNS0_19identity_decomposerEEEEE10hipError_tT0_T1_T2_jT3_P12ihipStream_tbPNSt15iterator_traitsISI_E10value_typeEPNSO_ISJ_E10value_typeEPSK_NS1_7vsmem_tEENKUlT_SI_SJ_SK_E_clIPiSD_S10_SD_EESH_SX_SI_SJ_SK_EUlSX_E1_NS1_11comp_targetILNS1_3genE4ELNS1_11target_archE910ELNS1_3gpuE8ELNS1_3repE0EEENS1_36merge_oddeven_config_static_selectorELNS0_4arch9wavefront6targetE1EEEvSJ_.has_indirect_call, 0
	.section	.AMDGPU.csdata,"",@progbits
; Kernel info:
; codeLenInByte = 0
; TotalNumSgprs: 6
; NumVgprs: 0
; NumAgprs: 0
; TotalNumVgprs: 0
; ScratchSize: 0
; MemoryBound: 0
; FloatMode: 240
; IeeeMode: 1
; LDSByteSize: 0 bytes/workgroup (compile time only)
; SGPRBlocks: 0
; VGPRBlocks: 0
; NumSGPRsForWavesPerEU: 6
; NumVGPRsForWavesPerEU: 1
; AccumOffset: 4
; Occupancy: 8
; WaveLimiterHint : 0
; COMPUTE_PGM_RSRC2:SCRATCH_EN: 0
; COMPUTE_PGM_RSRC2:USER_SGPR: 2
; COMPUTE_PGM_RSRC2:TRAP_HANDLER: 0
; COMPUTE_PGM_RSRC2:TGID_X_EN: 1
; COMPUTE_PGM_RSRC2:TGID_Y_EN: 0
; COMPUTE_PGM_RSRC2:TGID_Z_EN: 0
; COMPUTE_PGM_RSRC2:TIDIG_COMP_CNT: 0
; COMPUTE_PGM_RSRC3_GFX90A:ACCUM_OFFSET: 0
; COMPUTE_PGM_RSRC3_GFX90A:TG_SPLIT: 0
	.section	.text._ZN7rocprim17ROCPRIM_400000_NS6detail17trampoline_kernelINS0_14default_configENS1_38merge_sort_block_merge_config_selectorIiiEEZZNS1_27merge_sort_block_merge_implIS3_N6thrust23THRUST_200600_302600_NS6detail15normal_iteratorINS8_10device_ptrIiEEEESD_jNS1_19radix_merge_compareILb1ELb1EiNS0_19identity_decomposerEEEEE10hipError_tT0_T1_T2_jT3_P12ihipStream_tbPNSt15iterator_traitsISI_E10value_typeEPNSO_ISJ_E10value_typeEPSK_NS1_7vsmem_tEENKUlT_SI_SJ_SK_E_clIPiSD_S10_SD_EESH_SX_SI_SJ_SK_EUlSX_E1_NS1_11comp_targetILNS1_3genE3ELNS1_11target_archE908ELNS1_3gpuE7ELNS1_3repE0EEENS1_36merge_oddeven_config_static_selectorELNS0_4arch9wavefront6targetE1EEEvSJ_,"axG",@progbits,_ZN7rocprim17ROCPRIM_400000_NS6detail17trampoline_kernelINS0_14default_configENS1_38merge_sort_block_merge_config_selectorIiiEEZZNS1_27merge_sort_block_merge_implIS3_N6thrust23THRUST_200600_302600_NS6detail15normal_iteratorINS8_10device_ptrIiEEEESD_jNS1_19radix_merge_compareILb1ELb1EiNS0_19identity_decomposerEEEEE10hipError_tT0_T1_T2_jT3_P12ihipStream_tbPNSt15iterator_traitsISI_E10value_typeEPNSO_ISJ_E10value_typeEPSK_NS1_7vsmem_tEENKUlT_SI_SJ_SK_E_clIPiSD_S10_SD_EESH_SX_SI_SJ_SK_EUlSX_E1_NS1_11comp_targetILNS1_3genE3ELNS1_11target_archE908ELNS1_3gpuE7ELNS1_3repE0EEENS1_36merge_oddeven_config_static_selectorELNS0_4arch9wavefront6targetE1EEEvSJ_,comdat
	.protected	_ZN7rocprim17ROCPRIM_400000_NS6detail17trampoline_kernelINS0_14default_configENS1_38merge_sort_block_merge_config_selectorIiiEEZZNS1_27merge_sort_block_merge_implIS3_N6thrust23THRUST_200600_302600_NS6detail15normal_iteratorINS8_10device_ptrIiEEEESD_jNS1_19radix_merge_compareILb1ELb1EiNS0_19identity_decomposerEEEEE10hipError_tT0_T1_T2_jT3_P12ihipStream_tbPNSt15iterator_traitsISI_E10value_typeEPNSO_ISJ_E10value_typeEPSK_NS1_7vsmem_tEENKUlT_SI_SJ_SK_E_clIPiSD_S10_SD_EESH_SX_SI_SJ_SK_EUlSX_E1_NS1_11comp_targetILNS1_3genE3ELNS1_11target_archE908ELNS1_3gpuE7ELNS1_3repE0EEENS1_36merge_oddeven_config_static_selectorELNS0_4arch9wavefront6targetE1EEEvSJ_ ; -- Begin function _ZN7rocprim17ROCPRIM_400000_NS6detail17trampoline_kernelINS0_14default_configENS1_38merge_sort_block_merge_config_selectorIiiEEZZNS1_27merge_sort_block_merge_implIS3_N6thrust23THRUST_200600_302600_NS6detail15normal_iteratorINS8_10device_ptrIiEEEESD_jNS1_19radix_merge_compareILb1ELb1EiNS0_19identity_decomposerEEEEE10hipError_tT0_T1_T2_jT3_P12ihipStream_tbPNSt15iterator_traitsISI_E10value_typeEPNSO_ISJ_E10value_typeEPSK_NS1_7vsmem_tEENKUlT_SI_SJ_SK_E_clIPiSD_S10_SD_EESH_SX_SI_SJ_SK_EUlSX_E1_NS1_11comp_targetILNS1_3genE3ELNS1_11target_archE908ELNS1_3gpuE7ELNS1_3repE0EEENS1_36merge_oddeven_config_static_selectorELNS0_4arch9wavefront6targetE1EEEvSJ_
	.globl	_ZN7rocprim17ROCPRIM_400000_NS6detail17trampoline_kernelINS0_14default_configENS1_38merge_sort_block_merge_config_selectorIiiEEZZNS1_27merge_sort_block_merge_implIS3_N6thrust23THRUST_200600_302600_NS6detail15normal_iteratorINS8_10device_ptrIiEEEESD_jNS1_19radix_merge_compareILb1ELb1EiNS0_19identity_decomposerEEEEE10hipError_tT0_T1_T2_jT3_P12ihipStream_tbPNSt15iterator_traitsISI_E10value_typeEPNSO_ISJ_E10value_typeEPSK_NS1_7vsmem_tEENKUlT_SI_SJ_SK_E_clIPiSD_S10_SD_EESH_SX_SI_SJ_SK_EUlSX_E1_NS1_11comp_targetILNS1_3genE3ELNS1_11target_archE908ELNS1_3gpuE7ELNS1_3repE0EEENS1_36merge_oddeven_config_static_selectorELNS0_4arch9wavefront6targetE1EEEvSJ_
	.p2align	8
	.type	_ZN7rocprim17ROCPRIM_400000_NS6detail17trampoline_kernelINS0_14default_configENS1_38merge_sort_block_merge_config_selectorIiiEEZZNS1_27merge_sort_block_merge_implIS3_N6thrust23THRUST_200600_302600_NS6detail15normal_iteratorINS8_10device_ptrIiEEEESD_jNS1_19radix_merge_compareILb1ELb1EiNS0_19identity_decomposerEEEEE10hipError_tT0_T1_T2_jT3_P12ihipStream_tbPNSt15iterator_traitsISI_E10value_typeEPNSO_ISJ_E10value_typeEPSK_NS1_7vsmem_tEENKUlT_SI_SJ_SK_E_clIPiSD_S10_SD_EESH_SX_SI_SJ_SK_EUlSX_E1_NS1_11comp_targetILNS1_3genE3ELNS1_11target_archE908ELNS1_3gpuE7ELNS1_3repE0EEENS1_36merge_oddeven_config_static_selectorELNS0_4arch9wavefront6targetE1EEEvSJ_,@function
_ZN7rocprim17ROCPRIM_400000_NS6detail17trampoline_kernelINS0_14default_configENS1_38merge_sort_block_merge_config_selectorIiiEEZZNS1_27merge_sort_block_merge_implIS3_N6thrust23THRUST_200600_302600_NS6detail15normal_iteratorINS8_10device_ptrIiEEEESD_jNS1_19radix_merge_compareILb1ELb1EiNS0_19identity_decomposerEEEEE10hipError_tT0_T1_T2_jT3_P12ihipStream_tbPNSt15iterator_traitsISI_E10value_typeEPNSO_ISJ_E10value_typeEPSK_NS1_7vsmem_tEENKUlT_SI_SJ_SK_E_clIPiSD_S10_SD_EESH_SX_SI_SJ_SK_EUlSX_E1_NS1_11comp_targetILNS1_3genE3ELNS1_11target_archE908ELNS1_3gpuE7ELNS1_3repE0EEENS1_36merge_oddeven_config_static_selectorELNS0_4arch9wavefront6targetE1EEEvSJ_: ; @_ZN7rocprim17ROCPRIM_400000_NS6detail17trampoline_kernelINS0_14default_configENS1_38merge_sort_block_merge_config_selectorIiiEEZZNS1_27merge_sort_block_merge_implIS3_N6thrust23THRUST_200600_302600_NS6detail15normal_iteratorINS8_10device_ptrIiEEEESD_jNS1_19radix_merge_compareILb1ELb1EiNS0_19identity_decomposerEEEEE10hipError_tT0_T1_T2_jT3_P12ihipStream_tbPNSt15iterator_traitsISI_E10value_typeEPNSO_ISJ_E10value_typeEPSK_NS1_7vsmem_tEENKUlT_SI_SJ_SK_E_clIPiSD_S10_SD_EESH_SX_SI_SJ_SK_EUlSX_E1_NS1_11comp_targetILNS1_3genE3ELNS1_11target_archE908ELNS1_3gpuE7ELNS1_3repE0EEENS1_36merge_oddeven_config_static_selectorELNS0_4arch9wavefront6targetE1EEEvSJ_
; %bb.0:
	.section	.rodata,"a",@progbits
	.p2align	6, 0x0
	.amdhsa_kernel _ZN7rocprim17ROCPRIM_400000_NS6detail17trampoline_kernelINS0_14default_configENS1_38merge_sort_block_merge_config_selectorIiiEEZZNS1_27merge_sort_block_merge_implIS3_N6thrust23THRUST_200600_302600_NS6detail15normal_iteratorINS8_10device_ptrIiEEEESD_jNS1_19radix_merge_compareILb1ELb1EiNS0_19identity_decomposerEEEEE10hipError_tT0_T1_T2_jT3_P12ihipStream_tbPNSt15iterator_traitsISI_E10value_typeEPNSO_ISJ_E10value_typeEPSK_NS1_7vsmem_tEENKUlT_SI_SJ_SK_E_clIPiSD_S10_SD_EESH_SX_SI_SJ_SK_EUlSX_E1_NS1_11comp_targetILNS1_3genE3ELNS1_11target_archE908ELNS1_3gpuE7ELNS1_3repE0EEENS1_36merge_oddeven_config_static_selectorELNS0_4arch9wavefront6targetE1EEEvSJ_
		.amdhsa_group_segment_fixed_size 0
		.amdhsa_private_segment_fixed_size 0
		.amdhsa_kernarg_size 48
		.amdhsa_user_sgpr_count 2
		.amdhsa_user_sgpr_dispatch_ptr 0
		.amdhsa_user_sgpr_queue_ptr 0
		.amdhsa_user_sgpr_kernarg_segment_ptr 1
		.amdhsa_user_sgpr_dispatch_id 0
		.amdhsa_user_sgpr_kernarg_preload_length 0
		.amdhsa_user_sgpr_kernarg_preload_offset 0
		.amdhsa_user_sgpr_private_segment_size 0
		.amdhsa_uses_dynamic_stack 0
		.amdhsa_enable_private_segment 0
		.amdhsa_system_sgpr_workgroup_id_x 1
		.amdhsa_system_sgpr_workgroup_id_y 0
		.amdhsa_system_sgpr_workgroup_id_z 0
		.amdhsa_system_sgpr_workgroup_info 0
		.amdhsa_system_vgpr_workitem_id 0
		.amdhsa_next_free_vgpr 1
		.amdhsa_next_free_sgpr 0
		.amdhsa_accum_offset 4
		.amdhsa_reserve_vcc 0
		.amdhsa_float_round_mode_32 0
		.amdhsa_float_round_mode_16_64 0
		.amdhsa_float_denorm_mode_32 3
		.amdhsa_float_denorm_mode_16_64 3
		.amdhsa_dx10_clamp 1
		.amdhsa_ieee_mode 1
		.amdhsa_fp16_overflow 0
		.amdhsa_tg_split 0
		.amdhsa_exception_fp_ieee_invalid_op 0
		.amdhsa_exception_fp_denorm_src 0
		.amdhsa_exception_fp_ieee_div_zero 0
		.amdhsa_exception_fp_ieee_overflow 0
		.amdhsa_exception_fp_ieee_underflow 0
		.amdhsa_exception_fp_ieee_inexact 0
		.amdhsa_exception_int_div_zero 0
	.end_amdhsa_kernel
	.section	.text._ZN7rocprim17ROCPRIM_400000_NS6detail17trampoline_kernelINS0_14default_configENS1_38merge_sort_block_merge_config_selectorIiiEEZZNS1_27merge_sort_block_merge_implIS3_N6thrust23THRUST_200600_302600_NS6detail15normal_iteratorINS8_10device_ptrIiEEEESD_jNS1_19radix_merge_compareILb1ELb1EiNS0_19identity_decomposerEEEEE10hipError_tT0_T1_T2_jT3_P12ihipStream_tbPNSt15iterator_traitsISI_E10value_typeEPNSO_ISJ_E10value_typeEPSK_NS1_7vsmem_tEENKUlT_SI_SJ_SK_E_clIPiSD_S10_SD_EESH_SX_SI_SJ_SK_EUlSX_E1_NS1_11comp_targetILNS1_3genE3ELNS1_11target_archE908ELNS1_3gpuE7ELNS1_3repE0EEENS1_36merge_oddeven_config_static_selectorELNS0_4arch9wavefront6targetE1EEEvSJ_,"axG",@progbits,_ZN7rocprim17ROCPRIM_400000_NS6detail17trampoline_kernelINS0_14default_configENS1_38merge_sort_block_merge_config_selectorIiiEEZZNS1_27merge_sort_block_merge_implIS3_N6thrust23THRUST_200600_302600_NS6detail15normal_iteratorINS8_10device_ptrIiEEEESD_jNS1_19radix_merge_compareILb1ELb1EiNS0_19identity_decomposerEEEEE10hipError_tT0_T1_T2_jT3_P12ihipStream_tbPNSt15iterator_traitsISI_E10value_typeEPNSO_ISJ_E10value_typeEPSK_NS1_7vsmem_tEENKUlT_SI_SJ_SK_E_clIPiSD_S10_SD_EESH_SX_SI_SJ_SK_EUlSX_E1_NS1_11comp_targetILNS1_3genE3ELNS1_11target_archE908ELNS1_3gpuE7ELNS1_3repE0EEENS1_36merge_oddeven_config_static_selectorELNS0_4arch9wavefront6targetE1EEEvSJ_,comdat
.Lfunc_end1791:
	.size	_ZN7rocprim17ROCPRIM_400000_NS6detail17trampoline_kernelINS0_14default_configENS1_38merge_sort_block_merge_config_selectorIiiEEZZNS1_27merge_sort_block_merge_implIS3_N6thrust23THRUST_200600_302600_NS6detail15normal_iteratorINS8_10device_ptrIiEEEESD_jNS1_19radix_merge_compareILb1ELb1EiNS0_19identity_decomposerEEEEE10hipError_tT0_T1_T2_jT3_P12ihipStream_tbPNSt15iterator_traitsISI_E10value_typeEPNSO_ISJ_E10value_typeEPSK_NS1_7vsmem_tEENKUlT_SI_SJ_SK_E_clIPiSD_S10_SD_EESH_SX_SI_SJ_SK_EUlSX_E1_NS1_11comp_targetILNS1_3genE3ELNS1_11target_archE908ELNS1_3gpuE7ELNS1_3repE0EEENS1_36merge_oddeven_config_static_selectorELNS0_4arch9wavefront6targetE1EEEvSJ_, .Lfunc_end1791-_ZN7rocprim17ROCPRIM_400000_NS6detail17trampoline_kernelINS0_14default_configENS1_38merge_sort_block_merge_config_selectorIiiEEZZNS1_27merge_sort_block_merge_implIS3_N6thrust23THRUST_200600_302600_NS6detail15normal_iteratorINS8_10device_ptrIiEEEESD_jNS1_19radix_merge_compareILb1ELb1EiNS0_19identity_decomposerEEEEE10hipError_tT0_T1_T2_jT3_P12ihipStream_tbPNSt15iterator_traitsISI_E10value_typeEPNSO_ISJ_E10value_typeEPSK_NS1_7vsmem_tEENKUlT_SI_SJ_SK_E_clIPiSD_S10_SD_EESH_SX_SI_SJ_SK_EUlSX_E1_NS1_11comp_targetILNS1_3genE3ELNS1_11target_archE908ELNS1_3gpuE7ELNS1_3repE0EEENS1_36merge_oddeven_config_static_selectorELNS0_4arch9wavefront6targetE1EEEvSJ_
                                        ; -- End function
	.set _ZN7rocprim17ROCPRIM_400000_NS6detail17trampoline_kernelINS0_14default_configENS1_38merge_sort_block_merge_config_selectorIiiEEZZNS1_27merge_sort_block_merge_implIS3_N6thrust23THRUST_200600_302600_NS6detail15normal_iteratorINS8_10device_ptrIiEEEESD_jNS1_19radix_merge_compareILb1ELb1EiNS0_19identity_decomposerEEEEE10hipError_tT0_T1_T2_jT3_P12ihipStream_tbPNSt15iterator_traitsISI_E10value_typeEPNSO_ISJ_E10value_typeEPSK_NS1_7vsmem_tEENKUlT_SI_SJ_SK_E_clIPiSD_S10_SD_EESH_SX_SI_SJ_SK_EUlSX_E1_NS1_11comp_targetILNS1_3genE3ELNS1_11target_archE908ELNS1_3gpuE7ELNS1_3repE0EEENS1_36merge_oddeven_config_static_selectorELNS0_4arch9wavefront6targetE1EEEvSJ_.num_vgpr, 0
	.set _ZN7rocprim17ROCPRIM_400000_NS6detail17trampoline_kernelINS0_14default_configENS1_38merge_sort_block_merge_config_selectorIiiEEZZNS1_27merge_sort_block_merge_implIS3_N6thrust23THRUST_200600_302600_NS6detail15normal_iteratorINS8_10device_ptrIiEEEESD_jNS1_19radix_merge_compareILb1ELb1EiNS0_19identity_decomposerEEEEE10hipError_tT0_T1_T2_jT3_P12ihipStream_tbPNSt15iterator_traitsISI_E10value_typeEPNSO_ISJ_E10value_typeEPSK_NS1_7vsmem_tEENKUlT_SI_SJ_SK_E_clIPiSD_S10_SD_EESH_SX_SI_SJ_SK_EUlSX_E1_NS1_11comp_targetILNS1_3genE3ELNS1_11target_archE908ELNS1_3gpuE7ELNS1_3repE0EEENS1_36merge_oddeven_config_static_selectorELNS0_4arch9wavefront6targetE1EEEvSJ_.num_agpr, 0
	.set _ZN7rocprim17ROCPRIM_400000_NS6detail17trampoline_kernelINS0_14default_configENS1_38merge_sort_block_merge_config_selectorIiiEEZZNS1_27merge_sort_block_merge_implIS3_N6thrust23THRUST_200600_302600_NS6detail15normal_iteratorINS8_10device_ptrIiEEEESD_jNS1_19radix_merge_compareILb1ELb1EiNS0_19identity_decomposerEEEEE10hipError_tT0_T1_T2_jT3_P12ihipStream_tbPNSt15iterator_traitsISI_E10value_typeEPNSO_ISJ_E10value_typeEPSK_NS1_7vsmem_tEENKUlT_SI_SJ_SK_E_clIPiSD_S10_SD_EESH_SX_SI_SJ_SK_EUlSX_E1_NS1_11comp_targetILNS1_3genE3ELNS1_11target_archE908ELNS1_3gpuE7ELNS1_3repE0EEENS1_36merge_oddeven_config_static_selectorELNS0_4arch9wavefront6targetE1EEEvSJ_.numbered_sgpr, 0
	.set _ZN7rocprim17ROCPRIM_400000_NS6detail17trampoline_kernelINS0_14default_configENS1_38merge_sort_block_merge_config_selectorIiiEEZZNS1_27merge_sort_block_merge_implIS3_N6thrust23THRUST_200600_302600_NS6detail15normal_iteratorINS8_10device_ptrIiEEEESD_jNS1_19radix_merge_compareILb1ELb1EiNS0_19identity_decomposerEEEEE10hipError_tT0_T1_T2_jT3_P12ihipStream_tbPNSt15iterator_traitsISI_E10value_typeEPNSO_ISJ_E10value_typeEPSK_NS1_7vsmem_tEENKUlT_SI_SJ_SK_E_clIPiSD_S10_SD_EESH_SX_SI_SJ_SK_EUlSX_E1_NS1_11comp_targetILNS1_3genE3ELNS1_11target_archE908ELNS1_3gpuE7ELNS1_3repE0EEENS1_36merge_oddeven_config_static_selectorELNS0_4arch9wavefront6targetE1EEEvSJ_.num_named_barrier, 0
	.set _ZN7rocprim17ROCPRIM_400000_NS6detail17trampoline_kernelINS0_14default_configENS1_38merge_sort_block_merge_config_selectorIiiEEZZNS1_27merge_sort_block_merge_implIS3_N6thrust23THRUST_200600_302600_NS6detail15normal_iteratorINS8_10device_ptrIiEEEESD_jNS1_19radix_merge_compareILb1ELb1EiNS0_19identity_decomposerEEEEE10hipError_tT0_T1_T2_jT3_P12ihipStream_tbPNSt15iterator_traitsISI_E10value_typeEPNSO_ISJ_E10value_typeEPSK_NS1_7vsmem_tEENKUlT_SI_SJ_SK_E_clIPiSD_S10_SD_EESH_SX_SI_SJ_SK_EUlSX_E1_NS1_11comp_targetILNS1_3genE3ELNS1_11target_archE908ELNS1_3gpuE7ELNS1_3repE0EEENS1_36merge_oddeven_config_static_selectorELNS0_4arch9wavefront6targetE1EEEvSJ_.private_seg_size, 0
	.set _ZN7rocprim17ROCPRIM_400000_NS6detail17trampoline_kernelINS0_14default_configENS1_38merge_sort_block_merge_config_selectorIiiEEZZNS1_27merge_sort_block_merge_implIS3_N6thrust23THRUST_200600_302600_NS6detail15normal_iteratorINS8_10device_ptrIiEEEESD_jNS1_19radix_merge_compareILb1ELb1EiNS0_19identity_decomposerEEEEE10hipError_tT0_T1_T2_jT3_P12ihipStream_tbPNSt15iterator_traitsISI_E10value_typeEPNSO_ISJ_E10value_typeEPSK_NS1_7vsmem_tEENKUlT_SI_SJ_SK_E_clIPiSD_S10_SD_EESH_SX_SI_SJ_SK_EUlSX_E1_NS1_11comp_targetILNS1_3genE3ELNS1_11target_archE908ELNS1_3gpuE7ELNS1_3repE0EEENS1_36merge_oddeven_config_static_selectorELNS0_4arch9wavefront6targetE1EEEvSJ_.uses_vcc, 0
	.set _ZN7rocprim17ROCPRIM_400000_NS6detail17trampoline_kernelINS0_14default_configENS1_38merge_sort_block_merge_config_selectorIiiEEZZNS1_27merge_sort_block_merge_implIS3_N6thrust23THRUST_200600_302600_NS6detail15normal_iteratorINS8_10device_ptrIiEEEESD_jNS1_19radix_merge_compareILb1ELb1EiNS0_19identity_decomposerEEEEE10hipError_tT0_T1_T2_jT3_P12ihipStream_tbPNSt15iterator_traitsISI_E10value_typeEPNSO_ISJ_E10value_typeEPSK_NS1_7vsmem_tEENKUlT_SI_SJ_SK_E_clIPiSD_S10_SD_EESH_SX_SI_SJ_SK_EUlSX_E1_NS1_11comp_targetILNS1_3genE3ELNS1_11target_archE908ELNS1_3gpuE7ELNS1_3repE0EEENS1_36merge_oddeven_config_static_selectorELNS0_4arch9wavefront6targetE1EEEvSJ_.uses_flat_scratch, 0
	.set _ZN7rocprim17ROCPRIM_400000_NS6detail17trampoline_kernelINS0_14default_configENS1_38merge_sort_block_merge_config_selectorIiiEEZZNS1_27merge_sort_block_merge_implIS3_N6thrust23THRUST_200600_302600_NS6detail15normal_iteratorINS8_10device_ptrIiEEEESD_jNS1_19radix_merge_compareILb1ELb1EiNS0_19identity_decomposerEEEEE10hipError_tT0_T1_T2_jT3_P12ihipStream_tbPNSt15iterator_traitsISI_E10value_typeEPNSO_ISJ_E10value_typeEPSK_NS1_7vsmem_tEENKUlT_SI_SJ_SK_E_clIPiSD_S10_SD_EESH_SX_SI_SJ_SK_EUlSX_E1_NS1_11comp_targetILNS1_3genE3ELNS1_11target_archE908ELNS1_3gpuE7ELNS1_3repE0EEENS1_36merge_oddeven_config_static_selectorELNS0_4arch9wavefront6targetE1EEEvSJ_.has_dyn_sized_stack, 0
	.set _ZN7rocprim17ROCPRIM_400000_NS6detail17trampoline_kernelINS0_14default_configENS1_38merge_sort_block_merge_config_selectorIiiEEZZNS1_27merge_sort_block_merge_implIS3_N6thrust23THRUST_200600_302600_NS6detail15normal_iteratorINS8_10device_ptrIiEEEESD_jNS1_19radix_merge_compareILb1ELb1EiNS0_19identity_decomposerEEEEE10hipError_tT0_T1_T2_jT3_P12ihipStream_tbPNSt15iterator_traitsISI_E10value_typeEPNSO_ISJ_E10value_typeEPSK_NS1_7vsmem_tEENKUlT_SI_SJ_SK_E_clIPiSD_S10_SD_EESH_SX_SI_SJ_SK_EUlSX_E1_NS1_11comp_targetILNS1_3genE3ELNS1_11target_archE908ELNS1_3gpuE7ELNS1_3repE0EEENS1_36merge_oddeven_config_static_selectorELNS0_4arch9wavefront6targetE1EEEvSJ_.has_recursion, 0
	.set _ZN7rocprim17ROCPRIM_400000_NS6detail17trampoline_kernelINS0_14default_configENS1_38merge_sort_block_merge_config_selectorIiiEEZZNS1_27merge_sort_block_merge_implIS3_N6thrust23THRUST_200600_302600_NS6detail15normal_iteratorINS8_10device_ptrIiEEEESD_jNS1_19radix_merge_compareILb1ELb1EiNS0_19identity_decomposerEEEEE10hipError_tT0_T1_T2_jT3_P12ihipStream_tbPNSt15iterator_traitsISI_E10value_typeEPNSO_ISJ_E10value_typeEPSK_NS1_7vsmem_tEENKUlT_SI_SJ_SK_E_clIPiSD_S10_SD_EESH_SX_SI_SJ_SK_EUlSX_E1_NS1_11comp_targetILNS1_3genE3ELNS1_11target_archE908ELNS1_3gpuE7ELNS1_3repE0EEENS1_36merge_oddeven_config_static_selectorELNS0_4arch9wavefront6targetE1EEEvSJ_.has_indirect_call, 0
	.section	.AMDGPU.csdata,"",@progbits
; Kernel info:
; codeLenInByte = 0
; TotalNumSgprs: 6
; NumVgprs: 0
; NumAgprs: 0
; TotalNumVgprs: 0
; ScratchSize: 0
; MemoryBound: 0
; FloatMode: 240
; IeeeMode: 1
; LDSByteSize: 0 bytes/workgroup (compile time only)
; SGPRBlocks: 0
; VGPRBlocks: 0
; NumSGPRsForWavesPerEU: 6
; NumVGPRsForWavesPerEU: 1
; AccumOffset: 4
; Occupancy: 8
; WaveLimiterHint : 0
; COMPUTE_PGM_RSRC2:SCRATCH_EN: 0
; COMPUTE_PGM_RSRC2:USER_SGPR: 2
; COMPUTE_PGM_RSRC2:TRAP_HANDLER: 0
; COMPUTE_PGM_RSRC2:TGID_X_EN: 1
; COMPUTE_PGM_RSRC2:TGID_Y_EN: 0
; COMPUTE_PGM_RSRC2:TGID_Z_EN: 0
; COMPUTE_PGM_RSRC2:TIDIG_COMP_CNT: 0
; COMPUTE_PGM_RSRC3_GFX90A:ACCUM_OFFSET: 0
; COMPUTE_PGM_RSRC3_GFX90A:TG_SPLIT: 0
	.section	.text._ZN7rocprim17ROCPRIM_400000_NS6detail17trampoline_kernelINS0_14default_configENS1_38merge_sort_block_merge_config_selectorIiiEEZZNS1_27merge_sort_block_merge_implIS3_N6thrust23THRUST_200600_302600_NS6detail15normal_iteratorINS8_10device_ptrIiEEEESD_jNS1_19radix_merge_compareILb1ELb1EiNS0_19identity_decomposerEEEEE10hipError_tT0_T1_T2_jT3_P12ihipStream_tbPNSt15iterator_traitsISI_E10value_typeEPNSO_ISJ_E10value_typeEPSK_NS1_7vsmem_tEENKUlT_SI_SJ_SK_E_clIPiSD_S10_SD_EESH_SX_SI_SJ_SK_EUlSX_E1_NS1_11comp_targetILNS1_3genE2ELNS1_11target_archE906ELNS1_3gpuE6ELNS1_3repE0EEENS1_36merge_oddeven_config_static_selectorELNS0_4arch9wavefront6targetE1EEEvSJ_,"axG",@progbits,_ZN7rocprim17ROCPRIM_400000_NS6detail17trampoline_kernelINS0_14default_configENS1_38merge_sort_block_merge_config_selectorIiiEEZZNS1_27merge_sort_block_merge_implIS3_N6thrust23THRUST_200600_302600_NS6detail15normal_iteratorINS8_10device_ptrIiEEEESD_jNS1_19radix_merge_compareILb1ELb1EiNS0_19identity_decomposerEEEEE10hipError_tT0_T1_T2_jT3_P12ihipStream_tbPNSt15iterator_traitsISI_E10value_typeEPNSO_ISJ_E10value_typeEPSK_NS1_7vsmem_tEENKUlT_SI_SJ_SK_E_clIPiSD_S10_SD_EESH_SX_SI_SJ_SK_EUlSX_E1_NS1_11comp_targetILNS1_3genE2ELNS1_11target_archE906ELNS1_3gpuE6ELNS1_3repE0EEENS1_36merge_oddeven_config_static_selectorELNS0_4arch9wavefront6targetE1EEEvSJ_,comdat
	.protected	_ZN7rocprim17ROCPRIM_400000_NS6detail17trampoline_kernelINS0_14default_configENS1_38merge_sort_block_merge_config_selectorIiiEEZZNS1_27merge_sort_block_merge_implIS3_N6thrust23THRUST_200600_302600_NS6detail15normal_iteratorINS8_10device_ptrIiEEEESD_jNS1_19radix_merge_compareILb1ELb1EiNS0_19identity_decomposerEEEEE10hipError_tT0_T1_T2_jT3_P12ihipStream_tbPNSt15iterator_traitsISI_E10value_typeEPNSO_ISJ_E10value_typeEPSK_NS1_7vsmem_tEENKUlT_SI_SJ_SK_E_clIPiSD_S10_SD_EESH_SX_SI_SJ_SK_EUlSX_E1_NS1_11comp_targetILNS1_3genE2ELNS1_11target_archE906ELNS1_3gpuE6ELNS1_3repE0EEENS1_36merge_oddeven_config_static_selectorELNS0_4arch9wavefront6targetE1EEEvSJ_ ; -- Begin function _ZN7rocprim17ROCPRIM_400000_NS6detail17trampoline_kernelINS0_14default_configENS1_38merge_sort_block_merge_config_selectorIiiEEZZNS1_27merge_sort_block_merge_implIS3_N6thrust23THRUST_200600_302600_NS6detail15normal_iteratorINS8_10device_ptrIiEEEESD_jNS1_19radix_merge_compareILb1ELb1EiNS0_19identity_decomposerEEEEE10hipError_tT0_T1_T2_jT3_P12ihipStream_tbPNSt15iterator_traitsISI_E10value_typeEPNSO_ISJ_E10value_typeEPSK_NS1_7vsmem_tEENKUlT_SI_SJ_SK_E_clIPiSD_S10_SD_EESH_SX_SI_SJ_SK_EUlSX_E1_NS1_11comp_targetILNS1_3genE2ELNS1_11target_archE906ELNS1_3gpuE6ELNS1_3repE0EEENS1_36merge_oddeven_config_static_selectorELNS0_4arch9wavefront6targetE1EEEvSJ_
	.globl	_ZN7rocprim17ROCPRIM_400000_NS6detail17trampoline_kernelINS0_14default_configENS1_38merge_sort_block_merge_config_selectorIiiEEZZNS1_27merge_sort_block_merge_implIS3_N6thrust23THRUST_200600_302600_NS6detail15normal_iteratorINS8_10device_ptrIiEEEESD_jNS1_19radix_merge_compareILb1ELb1EiNS0_19identity_decomposerEEEEE10hipError_tT0_T1_T2_jT3_P12ihipStream_tbPNSt15iterator_traitsISI_E10value_typeEPNSO_ISJ_E10value_typeEPSK_NS1_7vsmem_tEENKUlT_SI_SJ_SK_E_clIPiSD_S10_SD_EESH_SX_SI_SJ_SK_EUlSX_E1_NS1_11comp_targetILNS1_3genE2ELNS1_11target_archE906ELNS1_3gpuE6ELNS1_3repE0EEENS1_36merge_oddeven_config_static_selectorELNS0_4arch9wavefront6targetE1EEEvSJ_
	.p2align	8
	.type	_ZN7rocprim17ROCPRIM_400000_NS6detail17trampoline_kernelINS0_14default_configENS1_38merge_sort_block_merge_config_selectorIiiEEZZNS1_27merge_sort_block_merge_implIS3_N6thrust23THRUST_200600_302600_NS6detail15normal_iteratorINS8_10device_ptrIiEEEESD_jNS1_19radix_merge_compareILb1ELb1EiNS0_19identity_decomposerEEEEE10hipError_tT0_T1_T2_jT3_P12ihipStream_tbPNSt15iterator_traitsISI_E10value_typeEPNSO_ISJ_E10value_typeEPSK_NS1_7vsmem_tEENKUlT_SI_SJ_SK_E_clIPiSD_S10_SD_EESH_SX_SI_SJ_SK_EUlSX_E1_NS1_11comp_targetILNS1_3genE2ELNS1_11target_archE906ELNS1_3gpuE6ELNS1_3repE0EEENS1_36merge_oddeven_config_static_selectorELNS0_4arch9wavefront6targetE1EEEvSJ_,@function
_ZN7rocprim17ROCPRIM_400000_NS6detail17trampoline_kernelINS0_14default_configENS1_38merge_sort_block_merge_config_selectorIiiEEZZNS1_27merge_sort_block_merge_implIS3_N6thrust23THRUST_200600_302600_NS6detail15normal_iteratorINS8_10device_ptrIiEEEESD_jNS1_19radix_merge_compareILb1ELb1EiNS0_19identity_decomposerEEEEE10hipError_tT0_T1_T2_jT3_P12ihipStream_tbPNSt15iterator_traitsISI_E10value_typeEPNSO_ISJ_E10value_typeEPSK_NS1_7vsmem_tEENKUlT_SI_SJ_SK_E_clIPiSD_S10_SD_EESH_SX_SI_SJ_SK_EUlSX_E1_NS1_11comp_targetILNS1_3genE2ELNS1_11target_archE906ELNS1_3gpuE6ELNS1_3repE0EEENS1_36merge_oddeven_config_static_selectorELNS0_4arch9wavefront6targetE1EEEvSJ_: ; @_ZN7rocprim17ROCPRIM_400000_NS6detail17trampoline_kernelINS0_14default_configENS1_38merge_sort_block_merge_config_selectorIiiEEZZNS1_27merge_sort_block_merge_implIS3_N6thrust23THRUST_200600_302600_NS6detail15normal_iteratorINS8_10device_ptrIiEEEESD_jNS1_19radix_merge_compareILb1ELb1EiNS0_19identity_decomposerEEEEE10hipError_tT0_T1_T2_jT3_P12ihipStream_tbPNSt15iterator_traitsISI_E10value_typeEPNSO_ISJ_E10value_typeEPSK_NS1_7vsmem_tEENKUlT_SI_SJ_SK_E_clIPiSD_S10_SD_EESH_SX_SI_SJ_SK_EUlSX_E1_NS1_11comp_targetILNS1_3genE2ELNS1_11target_archE906ELNS1_3gpuE6ELNS1_3repE0EEENS1_36merge_oddeven_config_static_selectorELNS0_4arch9wavefront6targetE1EEEvSJ_
; %bb.0:
	.section	.rodata,"a",@progbits
	.p2align	6, 0x0
	.amdhsa_kernel _ZN7rocprim17ROCPRIM_400000_NS6detail17trampoline_kernelINS0_14default_configENS1_38merge_sort_block_merge_config_selectorIiiEEZZNS1_27merge_sort_block_merge_implIS3_N6thrust23THRUST_200600_302600_NS6detail15normal_iteratorINS8_10device_ptrIiEEEESD_jNS1_19radix_merge_compareILb1ELb1EiNS0_19identity_decomposerEEEEE10hipError_tT0_T1_T2_jT3_P12ihipStream_tbPNSt15iterator_traitsISI_E10value_typeEPNSO_ISJ_E10value_typeEPSK_NS1_7vsmem_tEENKUlT_SI_SJ_SK_E_clIPiSD_S10_SD_EESH_SX_SI_SJ_SK_EUlSX_E1_NS1_11comp_targetILNS1_3genE2ELNS1_11target_archE906ELNS1_3gpuE6ELNS1_3repE0EEENS1_36merge_oddeven_config_static_selectorELNS0_4arch9wavefront6targetE1EEEvSJ_
		.amdhsa_group_segment_fixed_size 0
		.amdhsa_private_segment_fixed_size 0
		.amdhsa_kernarg_size 48
		.amdhsa_user_sgpr_count 2
		.amdhsa_user_sgpr_dispatch_ptr 0
		.amdhsa_user_sgpr_queue_ptr 0
		.amdhsa_user_sgpr_kernarg_segment_ptr 1
		.amdhsa_user_sgpr_dispatch_id 0
		.amdhsa_user_sgpr_kernarg_preload_length 0
		.amdhsa_user_sgpr_kernarg_preload_offset 0
		.amdhsa_user_sgpr_private_segment_size 0
		.amdhsa_uses_dynamic_stack 0
		.amdhsa_enable_private_segment 0
		.amdhsa_system_sgpr_workgroup_id_x 1
		.amdhsa_system_sgpr_workgroup_id_y 0
		.amdhsa_system_sgpr_workgroup_id_z 0
		.amdhsa_system_sgpr_workgroup_info 0
		.amdhsa_system_vgpr_workitem_id 0
		.amdhsa_next_free_vgpr 1
		.amdhsa_next_free_sgpr 0
		.amdhsa_accum_offset 4
		.amdhsa_reserve_vcc 0
		.amdhsa_float_round_mode_32 0
		.amdhsa_float_round_mode_16_64 0
		.amdhsa_float_denorm_mode_32 3
		.amdhsa_float_denorm_mode_16_64 3
		.amdhsa_dx10_clamp 1
		.amdhsa_ieee_mode 1
		.amdhsa_fp16_overflow 0
		.amdhsa_tg_split 0
		.amdhsa_exception_fp_ieee_invalid_op 0
		.amdhsa_exception_fp_denorm_src 0
		.amdhsa_exception_fp_ieee_div_zero 0
		.amdhsa_exception_fp_ieee_overflow 0
		.amdhsa_exception_fp_ieee_underflow 0
		.amdhsa_exception_fp_ieee_inexact 0
		.amdhsa_exception_int_div_zero 0
	.end_amdhsa_kernel
	.section	.text._ZN7rocprim17ROCPRIM_400000_NS6detail17trampoline_kernelINS0_14default_configENS1_38merge_sort_block_merge_config_selectorIiiEEZZNS1_27merge_sort_block_merge_implIS3_N6thrust23THRUST_200600_302600_NS6detail15normal_iteratorINS8_10device_ptrIiEEEESD_jNS1_19radix_merge_compareILb1ELb1EiNS0_19identity_decomposerEEEEE10hipError_tT0_T1_T2_jT3_P12ihipStream_tbPNSt15iterator_traitsISI_E10value_typeEPNSO_ISJ_E10value_typeEPSK_NS1_7vsmem_tEENKUlT_SI_SJ_SK_E_clIPiSD_S10_SD_EESH_SX_SI_SJ_SK_EUlSX_E1_NS1_11comp_targetILNS1_3genE2ELNS1_11target_archE906ELNS1_3gpuE6ELNS1_3repE0EEENS1_36merge_oddeven_config_static_selectorELNS0_4arch9wavefront6targetE1EEEvSJ_,"axG",@progbits,_ZN7rocprim17ROCPRIM_400000_NS6detail17trampoline_kernelINS0_14default_configENS1_38merge_sort_block_merge_config_selectorIiiEEZZNS1_27merge_sort_block_merge_implIS3_N6thrust23THRUST_200600_302600_NS6detail15normal_iteratorINS8_10device_ptrIiEEEESD_jNS1_19radix_merge_compareILb1ELb1EiNS0_19identity_decomposerEEEEE10hipError_tT0_T1_T2_jT3_P12ihipStream_tbPNSt15iterator_traitsISI_E10value_typeEPNSO_ISJ_E10value_typeEPSK_NS1_7vsmem_tEENKUlT_SI_SJ_SK_E_clIPiSD_S10_SD_EESH_SX_SI_SJ_SK_EUlSX_E1_NS1_11comp_targetILNS1_3genE2ELNS1_11target_archE906ELNS1_3gpuE6ELNS1_3repE0EEENS1_36merge_oddeven_config_static_selectorELNS0_4arch9wavefront6targetE1EEEvSJ_,comdat
.Lfunc_end1792:
	.size	_ZN7rocprim17ROCPRIM_400000_NS6detail17trampoline_kernelINS0_14default_configENS1_38merge_sort_block_merge_config_selectorIiiEEZZNS1_27merge_sort_block_merge_implIS3_N6thrust23THRUST_200600_302600_NS6detail15normal_iteratorINS8_10device_ptrIiEEEESD_jNS1_19radix_merge_compareILb1ELb1EiNS0_19identity_decomposerEEEEE10hipError_tT0_T1_T2_jT3_P12ihipStream_tbPNSt15iterator_traitsISI_E10value_typeEPNSO_ISJ_E10value_typeEPSK_NS1_7vsmem_tEENKUlT_SI_SJ_SK_E_clIPiSD_S10_SD_EESH_SX_SI_SJ_SK_EUlSX_E1_NS1_11comp_targetILNS1_3genE2ELNS1_11target_archE906ELNS1_3gpuE6ELNS1_3repE0EEENS1_36merge_oddeven_config_static_selectorELNS0_4arch9wavefront6targetE1EEEvSJ_, .Lfunc_end1792-_ZN7rocprim17ROCPRIM_400000_NS6detail17trampoline_kernelINS0_14default_configENS1_38merge_sort_block_merge_config_selectorIiiEEZZNS1_27merge_sort_block_merge_implIS3_N6thrust23THRUST_200600_302600_NS6detail15normal_iteratorINS8_10device_ptrIiEEEESD_jNS1_19radix_merge_compareILb1ELb1EiNS0_19identity_decomposerEEEEE10hipError_tT0_T1_T2_jT3_P12ihipStream_tbPNSt15iterator_traitsISI_E10value_typeEPNSO_ISJ_E10value_typeEPSK_NS1_7vsmem_tEENKUlT_SI_SJ_SK_E_clIPiSD_S10_SD_EESH_SX_SI_SJ_SK_EUlSX_E1_NS1_11comp_targetILNS1_3genE2ELNS1_11target_archE906ELNS1_3gpuE6ELNS1_3repE0EEENS1_36merge_oddeven_config_static_selectorELNS0_4arch9wavefront6targetE1EEEvSJ_
                                        ; -- End function
	.set _ZN7rocprim17ROCPRIM_400000_NS6detail17trampoline_kernelINS0_14default_configENS1_38merge_sort_block_merge_config_selectorIiiEEZZNS1_27merge_sort_block_merge_implIS3_N6thrust23THRUST_200600_302600_NS6detail15normal_iteratorINS8_10device_ptrIiEEEESD_jNS1_19radix_merge_compareILb1ELb1EiNS0_19identity_decomposerEEEEE10hipError_tT0_T1_T2_jT3_P12ihipStream_tbPNSt15iterator_traitsISI_E10value_typeEPNSO_ISJ_E10value_typeEPSK_NS1_7vsmem_tEENKUlT_SI_SJ_SK_E_clIPiSD_S10_SD_EESH_SX_SI_SJ_SK_EUlSX_E1_NS1_11comp_targetILNS1_3genE2ELNS1_11target_archE906ELNS1_3gpuE6ELNS1_3repE0EEENS1_36merge_oddeven_config_static_selectorELNS0_4arch9wavefront6targetE1EEEvSJ_.num_vgpr, 0
	.set _ZN7rocprim17ROCPRIM_400000_NS6detail17trampoline_kernelINS0_14default_configENS1_38merge_sort_block_merge_config_selectorIiiEEZZNS1_27merge_sort_block_merge_implIS3_N6thrust23THRUST_200600_302600_NS6detail15normal_iteratorINS8_10device_ptrIiEEEESD_jNS1_19radix_merge_compareILb1ELb1EiNS0_19identity_decomposerEEEEE10hipError_tT0_T1_T2_jT3_P12ihipStream_tbPNSt15iterator_traitsISI_E10value_typeEPNSO_ISJ_E10value_typeEPSK_NS1_7vsmem_tEENKUlT_SI_SJ_SK_E_clIPiSD_S10_SD_EESH_SX_SI_SJ_SK_EUlSX_E1_NS1_11comp_targetILNS1_3genE2ELNS1_11target_archE906ELNS1_3gpuE6ELNS1_3repE0EEENS1_36merge_oddeven_config_static_selectorELNS0_4arch9wavefront6targetE1EEEvSJ_.num_agpr, 0
	.set _ZN7rocprim17ROCPRIM_400000_NS6detail17trampoline_kernelINS0_14default_configENS1_38merge_sort_block_merge_config_selectorIiiEEZZNS1_27merge_sort_block_merge_implIS3_N6thrust23THRUST_200600_302600_NS6detail15normal_iteratorINS8_10device_ptrIiEEEESD_jNS1_19radix_merge_compareILb1ELb1EiNS0_19identity_decomposerEEEEE10hipError_tT0_T1_T2_jT3_P12ihipStream_tbPNSt15iterator_traitsISI_E10value_typeEPNSO_ISJ_E10value_typeEPSK_NS1_7vsmem_tEENKUlT_SI_SJ_SK_E_clIPiSD_S10_SD_EESH_SX_SI_SJ_SK_EUlSX_E1_NS1_11comp_targetILNS1_3genE2ELNS1_11target_archE906ELNS1_3gpuE6ELNS1_3repE0EEENS1_36merge_oddeven_config_static_selectorELNS0_4arch9wavefront6targetE1EEEvSJ_.numbered_sgpr, 0
	.set _ZN7rocprim17ROCPRIM_400000_NS6detail17trampoline_kernelINS0_14default_configENS1_38merge_sort_block_merge_config_selectorIiiEEZZNS1_27merge_sort_block_merge_implIS3_N6thrust23THRUST_200600_302600_NS6detail15normal_iteratorINS8_10device_ptrIiEEEESD_jNS1_19radix_merge_compareILb1ELb1EiNS0_19identity_decomposerEEEEE10hipError_tT0_T1_T2_jT3_P12ihipStream_tbPNSt15iterator_traitsISI_E10value_typeEPNSO_ISJ_E10value_typeEPSK_NS1_7vsmem_tEENKUlT_SI_SJ_SK_E_clIPiSD_S10_SD_EESH_SX_SI_SJ_SK_EUlSX_E1_NS1_11comp_targetILNS1_3genE2ELNS1_11target_archE906ELNS1_3gpuE6ELNS1_3repE0EEENS1_36merge_oddeven_config_static_selectorELNS0_4arch9wavefront6targetE1EEEvSJ_.num_named_barrier, 0
	.set _ZN7rocprim17ROCPRIM_400000_NS6detail17trampoline_kernelINS0_14default_configENS1_38merge_sort_block_merge_config_selectorIiiEEZZNS1_27merge_sort_block_merge_implIS3_N6thrust23THRUST_200600_302600_NS6detail15normal_iteratorINS8_10device_ptrIiEEEESD_jNS1_19radix_merge_compareILb1ELb1EiNS0_19identity_decomposerEEEEE10hipError_tT0_T1_T2_jT3_P12ihipStream_tbPNSt15iterator_traitsISI_E10value_typeEPNSO_ISJ_E10value_typeEPSK_NS1_7vsmem_tEENKUlT_SI_SJ_SK_E_clIPiSD_S10_SD_EESH_SX_SI_SJ_SK_EUlSX_E1_NS1_11comp_targetILNS1_3genE2ELNS1_11target_archE906ELNS1_3gpuE6ELNS1_3repE0EEENS1_36merge_oddeven_config_static_selectorELNS0_4arch9wavefront6targetE1EEEvSJ_.private_seg_size, 0
	.set _ZN7rocprim17ROCPRIM_400000_NS6detail17trampoline_kernelINS0_14default_configENS1_38merge_sort_block_merge_config_selectorIiiEEZZNS1_27merge_sort_block_merge_implIS3_N6thrust23THRUST_200600_302600_NS6detail15normal_iteratorINS8_10device_ptrIiEEEESD_jNS1_19radix_merge_compareILb1ELb1EiNS0_19identity_decomposerEEEEE10hipError_tT0_T1_T2_jT3_P12ihipStream_tbPNSt15iterator_traitsISI_E10value_typeEPNSO_ISJ_E10value_typeEPSK_NS1_7vsmem_tEENKUlT_SI_SJ_SK_E_clIPiSD_S10_SD_EESH_SX_SI_SJ_SK_EUlSX_E1_NS1_11comp_targetILNS1_3genE2ELNS1_11target_archE906ELNS1_3gpuE6ELNS1_3repE0EEENS1_36merge_oddeven_config_static_selectorELNS0_4arch9wavefront6targetE1EEEvSJ_.uses_vcc, 0
	.set _ZN7rocprim17ROCPRIM_400000_NS6detail17trampoline_kernelINS0_14default_configENS1_38merge_sort_block_merge_config_selectorIiiEEZZNS1_27merge_sort_block_merge_implIS3_N6thrust23THRUST_200600_302600_NS6detail15normal_iteratorINS8_10device_ptrIiEEEESD_jNS1_19radix_merge_compareILb1ELb1EiNS0_19identity_decomposerEEEEE10hipError_tT0_T1_T2_jT3_P12ihipStream_tbPNSt15iterator_traitsISI_E10value_typeEPNSO_ISJ_E10value_typeEPSK_NS1_7vsmem_tEENKUlT_SI_SJ_SK_E_clIPiSD_S10_SD_EESH_SX_SI_SJ_SK_EUlSX_E1_NS1_11comp_targetILNS1_3genE2ELNS1_11target_archE906ELNS1_3gpuE6ELNS1_3repE0EEENS1_36merge_oddeven_config_static_selectorELNS0_4arch9wavefront6targetE1EEEvSJ_.uses_flat_scratch, 0
	.set _ZN7rocprim17ROCPRIM_400000_NS6detail17trampoline_kernelINS0_14default_configENS1_38merge_sort_block_merge_config_selectorIiiEEZZNS1_27merge_sort_block_merge_implIS3_N6thrust23THRUST_200600_302600_NS6detail15normal_iteratorINS8_10device_ptrIiEEEESD_jNS1_19radix_merge_compareILb1ELb1EiNS0_19identity_decomposerEEEEE10hipError_tT0_T1_T2_jT3_P12ihipStream_tbPNSt15iterator_traitsISI_E10value_typeEPNSO_ISJ_E10value_typeEPSK_NS1_7vsmem_tEENKUlT_SI_SJ_SK_E_clIPiSD_S10_SD_EESH_SX_SI_SJ_SK_EUlSX_E1_NS1_11comp_targetILNS1_3genE2ELNS1_11target_archE906ELNS1_3gpuE6ELNS1_3repE0EEENS1_36merge_oddeven_config_static_selectorELNS0_4arch9wavefront6targetE1EEEvSJ_.has_dyn_sized_stack, 0
	.set _ZN7rocprim17ROCPRIM_400000_NS6detail17trampoline_kernelINS0_14default_configENS1_38merge_sort_block_merge_config_selectorIiiEEZZNS1_27merge_sort_block_merge_implIS3_N6thrust23THRUST_200600_302600_NS6detail15normal_iteratorINS8_10device_ptrIiEEEESD_jNS1_19radix_merge_compareILb1ELb1EiNS0_19identity_decomposerEEEEE10hipError_tT0_T1_T2_jT3_P12ihipStream_tbPNSt15iterator_traitsISI_E10value_typeEPNSO_ISJ_E10value_typeEPSK_NS1_7vsmem_tEENKUlT_SI_SJ_SK_E_clIPiSD_S10_SD_EESH_SX_SI_SJ_SK_EUlSX_E1_NS1_11comp_targetILNS1_3genE2ELNS1_11target_archE906ELNS1_3gpuE6ELNS1_3repE0EEENS1_36merge_oddeven_config_static_selectorELNS0_4arch9wavefront6targetE1EEEvSJ_.has_recursion, 0
	.set _ZN7rocprim17ROCPRIM_400000_NS6detail17trampoline_kernelINS0_14default_configENS1_38merge_sort_block_merge_config_selectorIiiEEZZNS1_27merge_sort_block_merge_implIS3_N6thrust23THRUST_200600_302600_NS6detail15normal_iteratorINS8_10device_ptrIiEEEESD_jNS1_19radix_merge_compareILb1ELb1EiNS0_19identity_decomposerEEEEE10hipError_tT0_T1_T2_jT3_P12ihipStream_tbPNSt15iterator_traitsISI_E10value_typeEPNSO_ISJ_E10value_typeEPSK_NS1_7vsmem_tEENKUlT_SI_SJ_SK_E_clIPiSD_S10_SD_EESH_SX_SI_SJ_SK_EUlSX_E1_NS1_11comp_targetILNS1_3genE2ELNS1_11target_archE906ELNS1_3gpuE6ELNS1_3repE0EEENS1_36merge_oddeven_config_static_selectorELNS0_4arch9wavefront6targetE1EEEvSJ_.has_indirect_call, 0
	.section	.AMDGPU.csdata,"",@progbits
; Kernel info:
; codeLenInByte = 0
; TotalNumSgprs: 6
; NumVgprs: 0
; NumAgprs: 0
; TotalNumVgprs: 0
; ScratchSize: 0
; MemoryBound: 0
; FloatMode: 240
; IeeeMode: 1
; LDSByteSize: 0 bytes/workgroup (compile time only)
; SGPRBlocks: 0
; VGPRBlocks: 0
; NumSGPRsForWavesPerEU: 6
; NumVGPRsForWavesPerEU: 1
; AccumOffset: 4
; Occupancy: 8
; WaveLimiterHint : 0
; COMPUTE_PGM_RSRC2:SCRATCH_EN: 0
; COMPUTE_PGM_RSRC2:USER_SGPR: 2
; COMPUTE_PGM_RSRC2:TRAP_HANDLER: 0
; COMPUTE_PGM_RSRC2:TGID_X_EN: 1
; COMPUTE_PGM_RSRC2:TGID_Y_EN: 0
; COMPUTE_PGM_RSRC2:TGID_Z_EN: 0
; COMPUTE_PGM_RSRC2:TIDIG_COMP_CNT: 0
; COMPUTE_PGM_RSRC3_GFX90A:ACCUM_OFFSET: 0
; COMPUTE_PGM_RSRC3_GFX90A:TG_SPLIT: 0
	.section	.text._ZN7rocprim17ROCPRIM_400000_NS6detail17trampoline_kernelINS0_14default_configENS1_38merge_sort_block_merge_config_selectorIiiEEZZNS1_27merge_sort_block_merge_implIS3_N6thrust23THRUST_200600_302600_NS6detail15normal_iteratorINS8_10device_ptrIiEEEESD_jNS1_19radix_merge_compareILb1ELb1EiNS0_19identity_decomposerEEEEE10hipError_tT0_T1_T2_jT3_P12ihipStream_tbPNSt15iterator_traitsISI_E10value_typeEPNSO_ISJ_E10value_typeEPSK_NS1_7vsmem_tEENKUlT_SI_SJ_SK_E_clIPiSD_S10_SD_EESH_SX_SI_SJ_SK_EUlSX_E1_NS1_11comp_targetILNS1_3genE9ELNS1_11target_archE1100ELNS1_3gpuE3ELNS1_3repE0EEENS1_36merge_oddeven_config_static_selectorELNS0_4arch9wavefront6targetE1EEEvSJ_,"axG",@progbits,_ZN7rocprim17ROCPRIM_400000_NS6detail17trampoline_kernelINS0_14default_configENS1_38merge_sort_block_merge_config_selectorIiiEEZZNS1_27merge_sort_block_merge_implIS3_N6thrust23THRUST_200600_302600_NS6detail15normal_iteratorINS8_10device_ptrIiEEEESD_jNS1_19radix_merge_compareILb1ELb1EiNS0_19identity_decomposerEEEEE10hipError_tT0_T1_T2_jT3_P12ihipStream_tbPNSt15iterator_traitsISI_E10value_typeEPNSO_ISJ_E10value_typeEPSK_NS1_7vsmem_tEENKUlT_SI_SJ_SK_E_clIPiSD_S10_SD_EESH_SX_SI_SJ_SK_EUlSX_E1_NS1_11comp_targetILNS1_3genE9ELNS1_11target_archE1100ELNS1_3gpuE3ELNS1_3repE0EEENS1_36merge_oddeven_config_static_selectorELNS0_4arch9wavefront6targetE1EEEvSJ_,comdat
	.protected	_ZN7rocprim17ROCPRIM_400000_NS6detail17trampoline_kernelINS0_14default_configENS1_38merge_sort_block_merge_config_selectorIiiEEZZNS1_27merge_sort_block_merge_implIS3_N6thrust23THRUST_200600_302600_NS6detail15normal_iteratorINS8_10device_ptrIiEEEESD_jNS1_19radix_merge_compareILb1ELb1EiNS0_19identity_decomposerEEEEE10hipError_tT0_T1_T2_jT3_P12ihipStream_tbPNSt15iterator_traitsISI_E10value_typeEPNSO_ISJ_E10value_typeEPSK_NS1_7vsmem_tEENKUlT_SI_SJ_SK_E_clIPiSD_S10_SD_EESH_SX_SI_SJ_SK_EUlSX_E1_NS1_11comp_targetILNS1_3genE9ELNS1_11target_archE1100ELNS1_3gpuE3ELNS1_3repE0EEENS1_36merge_oddeven_config_static_selectorELNS0_4arch9wavefront6targetE1EEEvSJ_ ; -- Begin function _ZN7rocprim17ROCPRIM_400000_NS6detail17trampoline_kernelINS0_14default_configENS1_38merge_sort_block_merge_config_selectorIiiEEZZNS1_27merge_sort_block_merge_implIS3_N6thrust23THRUST_200600_302600_NS6detail15normal_iteratorINS8_10device_ptrIiEEEESD_jNS1_19radix_merge_compareILb1ELb1EiNS0_19identity_decomposerEEEEE10hipError_tT0_T1_T2_jT3_P12ihipStream_tbPNSt15iterator_traitsISI_E10value_typeEPNSO_ISJ_E10value_typeEPSK_NS1_7vsmem_tEENKUlT_SI_SJ_SK_E_clIPiSD_S10_SD_EESH_SX_SI_SJ_SK_EUlSX_E1_NS1_11comp_targetILNS1_3genE9ELNS1_11target_archE1100ELNS1_3gpuE3ELNS1_3repE0EEENS1_36merge_oddeven_config_static_selectorELNS0_4arch9wavefront6targetE1EEEvSJ_
	.globl	_ZN7rocprim17ROCPRIM_400000_NS6detail17trampoline_kernelINS0_14default_configENS1_38merge_sort_block_merge_config_selectorIiiEEZZNS1_27merge_sort_block_merge_implIS3_N6thrust23THRUST_200600_302600_NS6detail15normal_iteratorINS8_10device_ptrIiEEEESD_jNS1_19radix_merge_compareILb1ELb1EiNS0_19identity_decomposerEEEEE10hipError_tT0_T1_T2_jT3_P12ihipStream_tbPNSt15iterator_traitsISI_E10value_typeEPNSO_ISJ_E10value_typeEPSK_NS1_7vsmem_tEENKUlT_SI_SJ_SK_E_clIPiSD_S10_SD_EESH_SX_SI_SJ_SK_EUlSX_E1_NS1_11comp_targetILNS1_3genE9ELNS1_11target_archE1100ELNS1_3gpuE3ELNS1_3repE0EEENS1_36merge_oddeven_config_static_selectorELNS0_4arch9wavefront6targetE1EEEvSJ_
	.p2align	8
	.type	_ZN7rocprim17ROCPRIM_400000_NS6detail17trampoline_kernelINS0_14default_configENS1_38merge_sort_block_merge_config_selectorIiiEEZZNS1_27merge_sort_block_merge_implIS3_N6thrust23THRUST_200600_302600_NS6detail15normal_iteratorINS8_10device_ptrIiEEEESD_jNS1_19radix_merge_compareILb1ELb1EiNS0_19identity_decomposerEEEEE10hipError_tT0_T1_T2_jT3_P12ihipStream_tbPNSt15iterator_traitsISI_E10value_typeEPNSO_ISJ_E10value_typeEPSK_NS1_7vsmem_tEENKUlT_SI_SJ_SK_E_clIPiSD_S10_SD_EESH_SX_SI_SJ_SK_EUlSX_E1_NS1_11comp_targetILNS1_3genE9ELNS1_11target_archE1100ELNS1_3gpuE3ELNS1_3repE0EEENS1_36merge_oddeven_config_static_selectorELNS0_4arch9wavefront6targetE1EEEvSJ_,@function
_ZN7rocprim17ROCPRIM_400000_NS6detail17trampoline_kernelINS0_14default_configENS1_38merge_sort_block_merge_config_selectorIiiEEZZNS1_27merge_sort_block_merge_implIS3_N6thrust23THRUST_200600_302600_NS6detail15normal_iteratorINS8_10device_ptrIiEEEESD_jNS1_19radix_merge_compareILb1ELb1EiNS0_19identity_decomposerEEEEE10hipError_tT0_T1_T2_jT3_P12ihipStream_tbPNSt15iterator_traitsISI_E10value_typeEPNSO_ISJ_E10value_typeEPSK_NS1_7vsmem_tEENKUlT_SI_SJ_SK_E_clIPiSD_S10_SD_EESH_SX_SI_SJ_SK_EUlSX_E1_NS1_11comp_targetILNS1_3genE9ELNS1_11target_archE1100ELNS1_3gpuE3ELNS1_3repE0EEENS1_36merge_oddeven_config_static_selectorELNS0_4arch9wavefront6targetE1EEEvSJ_: ; @_ZN7rocprim17ROCPRIM_400000_NS6detail17trampoline_kernelINS0_14default_configENS1_38merge_sort_block_merge_config_selectorIiiEEZZNS1_27merge_sort_block_merge_implIS3_N6thrust23THRUST_200600_302600_NS6detail15normal_iteratorINS8_10device_ptrIiEEEESD_jNS1_19radix_merge_compareILb1ELb1EiNS0_19identity_decomposerEEEEE10hipError_tT0_T1_T2_jT3_P12ihipStream_tbPNSt15iterator_traitsISI_E10value_typeEPNSO_ISJ_E10value_typeEPSK_NS1_7vsmem_tEENKUlT_SI_SJ_SK_E_clIPiSD_S10_SD_EESH_SX_SI_SJ_SK_EUlSX_E1_NS1_11comp_targetILNS1_3genE9ELNS1_11target_archE1100ELNS1_3gpuE3ELNS1_3repE0EEENS1_36merge_oddeven_config_static_selectorELNS0_4arch9wavefront6targetE1EEEvSJ_
; %bb.0:
	.section	.rodata,"a",@progbits
	.p2align	6, 0x0
	.amdhsa_kernel _ZN7rocprim17ROCPRIM_400000_NS6detail17trampoline_kernelINS0_14default_configENS1_38merge_sort_block_merge_config_selectorIiiEEZZNS1_27merge_sort_block_merge_implIS3_N6thrust23THRUST_200600_302600_NS6detail15normal_iteratorINS8_10device_ptrIiEEEESD_jNS1_19radix_merge_compareILb1ELb1EiNS0_19identity_decomposerEEEEE10hipError_tT0_T1_T2_jT3_P12ihipStream_tbPNSt15iterator_traitsISI_E10value_typeEPNSO_ISJ_E10value_typeEPSK_NS1_7vsmem_tEENKUlT_SI_SJ_SK_E_clIPiSD_S10_SD_EESH_SX_SI_SJ_SK_EUlSX_E1_NS1_11comp_targetILNS1_3genE9ELNS1_11target_archE1100ELNS1_3gpuE3ELNS1_3repE0EEENS1_36merge_oddeven_config_static_selectorELNS0_4arch9wavefront6targetE1EEEvSJ_
		.amdhsa_group_segment_fixed_size 0
		.amdhsa_private_segment_fixed_size 0
		.amdhsa_kernarg_size 48
		.amdhsa_user_sgpr_count 2
		.amdhsa_user_sgpr_dispatch_ptr 0
		.amdhsa_user_sgpr_queue_ptr 0
		.amdhsa_user_sgpr_kernarg_segment_ptr 1
		.amdhsa_user_sgpr_dispatch_id 0
		.amdhsa_user_sgpr_kernarg_preload_length 0
		.amdhsa_user_sgpr_kernarg_preload_offset 0
		.amdhsa_user_sgpr_private_segment_size 0
		.amdhsa_uses_dynamic_stack 0
		.amdhsa_enable_private_segment 0
		.amdhsa_system_sgpr_workgroup_id_x 1
		.amdhsa_system_sgpr_workgroup_id_y 0
		.amdhsa_system_sgpr_workgroup_id_z 0
		.amdhsa_system_sgpr_workgroup_info 0
		.amdhsa_system_vgpr_workitem_id 0
		.amdhsa_next_free_vgpr 1
		.amdhsa_next_free_sgpr 0
		.amdhsa_accum_offset 4
		.amdhsa_reserve_vcc 0
		.amdhsa_float_round_mode_32 0
		.amdhsa_float_round_mode_16_64 0
		.amdhsa_float_denorm_mode_32 3
		.amdhsa_float_denorm_mode_16_64 3
		.amdhsa_dx10_clamp 1
		.amdhsa_ieee_mode 1
		.amdhsa_fp16_overflow 0
		.amdhsa_tg_split 0
		.amdhsa_exception_fp_ieee_invalid_op 0
		.amdhsa_exception_fp_denorm_src 0
		.amdhsa_exception_fp_ieee_div_zero 0
		.amdhsa_exception_fp_ieee_overflow 0
		.amdhsa_exception_fp_ieee_underflow 0
		.amdhsa_exception_fp_ieee_inexact 0
		.amdhsa_exception_int_div_zero 0
	.end_amdhsa_kernel
	.section	.text._ZN7rocprim17ROCPRIM_400000_NS6detail17trampoline_kernelINS0_14default_configENS1_38merge_sort_block_merge_config_selectorIiiEEZZNS1_27merge_sort_block_merge_implIS3_N6thrust23THRUST_200600_302600_NS6detail15normal_iteratorINS8_10device_ptrIiEEEESD_jNS1_19radix_merge_compareILb1ELb1EiNS0_19identity_decomposerEEEEE10hipError_tT0_T1_T2_jT3_P12ihipStream_tbPNSt15iterator_traitsISI_E10value_typeEPNSO_ISJ_E10value_typeEPSK_NS1_7vsmem_tEENKUlT_SI_SJ_SK_E_clIPiSD_S10_SD_EESH_SX_SI_SJ_SK_EUlSX_E1_NS1_11comp_targetILNS1_3genE9ELNS1_11target_archE1100ELNS1_3gpuE3ELNS1_3repE0EEENS1_36merge_oddeven_config_static_selectorELNS0_4arch9wavefront6targetE1EEEvSJ_,"axG",@progbits,_ZN7rocprim17ROCPRIM_400000_NS6detail17trampoline_kernelINS0_14default_configENS1_38merge_sort_block_merge_config_selectorIiiEEZZNS1_27merge_sort_block_merge_implIS3_N6thrust23THRUST_200600_302600_NS6detail15normal_iteratorINS8_10device_ptrIiEEEESD_jNS1_19radix_merge_compareILb1ELb1EiNS0_19identity_decomposerEEEEE10hipError_tT0_T1_T2_jT3_P12ihipStream_tbPNSt15iterator_traitsISI_E10value_typeEPNSO_ISJ_E10value_typeEPSK_NS1_7vsmem_tEENKUlT_SI_SJ_SK_E_clIPiSD_S10_SD_EESH_SX_SI_SJ_SK_EUlSX_E1_NS1_11comp_targetILNS1_3genE9ELNS1_11target_archE1100ELNS1_3gpuE3ELNS1_3repE0EEENS1_36merge_oddeven_config_static_selectorELNS0_4arch9wavefront6targetE1EEEvSJ_,comdat
.Lfunc_end1793:
	.size	_ZN7rocprim17ROCPRIM_400000_NS6detail17trampoline_kernelINS0_14default_configENS1_38merge_sort_block_merge_config_selectorIiiEEZZNS1_27merge_sort_block_merge_implIS3_N6thrust23THRUST_200600_302600_NS6detail15normal_iteratorINS8_10device_ptrIiEEEESD_jNS1_19radix_merge_compareILb1ELb1EiNS0_19identity_decomposerEEEEE10hipError_tT0_T1_T2_jT3_P12ihipStream_tbPNSt15iterator_traitsISI_E10value_typeEPNSO_ISJ_E10value_typeEPSK_NS1_7vsmem_tEENKUlT_SI_SJ_SK_E_clIPiSD_S10_SD_EESH_SX_SI_SJ_SK_EUlSX_E1_NS1_11comp_targetILNS1_3genE9ELNS1_11target_archE1100ELNS1_3gpuE3ELNS1_3repE0EEENS1_36merge_oddeven_config_static_selectorELNS0_4arch9wavefront6targetE1EEEvSJ_, .Lfunc_end1793-_ZN7rocprim17ROCPRIM_400000_NS6detail17trampoline_kernelINS0_14default_configENS1_38merge_sort_block_merge_config_selectorIiiEEZZNS1_27merge_sort_block_merge_implIS3_N6thrust23THRUST_200600_302600_NS6detail15normal_iteratorINS8_10device_ptrIiEEEESD_jNS1_19radix_merge_compareILb1ELb1EiNS0_19identity_decomposerEEEEE10hipError_tT0_T1_T2_jT3_P12ihipStream_tbPNSt15iterator_traitsISI_E10value_typeEPNSO_ISJ_E10value_typeEPSK_NS1_7vsmem_tEENKUlT_SI_SJ_SK_E_clIPiSD_S10_SD_EESH_SX_SI_SJ_SK_EUlSX_E1_NS1_11comp_targetILNS1_3genE9ELNS1_11target_archE1100ELNS1_3gpuE3ELNS1_3repE0EEENS1_36merge_oddeven_config_static_selectorELNS0_4arch9wavefront6targetE1EEEvSJ_
                                        ; -- End function
	.set _ZN7rocprim17ROCPRIM_400000_NS6detail17trampoline_kernelINS0_14default_configENS1_38merge_sort_block_merge_config_selectorIiiEEZZNS1_27merge_sort_block_merge_implIS3_N6thrust23THRUST_200600_302600_NS6detail15normal_iteratorINS8_10device_ptrIiEEEESD_jNS1_19radix_merge_compareILb1ELb1EiNS0_19identity_decomposerEEEEE10hipError_tT0_T1_T2_jT3_P12ihipStream_tbPNSt15iterator_traitsISI_E10value_typeEPNSO_ISJ_E10value_typeEPSK_NS1_7vsmem_tEENKUlT_SI_SJ_SK_E_clIPiSD_S10_SD_EESH_SX_SI_SJ_SK_EUlSX_E1_NS1_11comp_targetILNS1_3genE9ELNS1_11target_archE1100ELNS1_3gpuE3ELNS1_3repE0EEENS1_36merge_oddeven_config_static_selectorELNS0_4arch9wavefront6targetE1EEEvSJ_.num_vgpr, 0
	.set _ZN7rocprim17ROCPRIM_400000_NS6detail17trampoline_kernelINS0_14default_configENS1_38merge_sort_block_merge_config_selectorIiiEEZZNS1_27merge_sort_block_merge_implIS3_N6thrust23THRUST_200600_302600_NS6detail15normal_iteratorINS8_10device_ptrIiEEEESD_jNS1_19radix_merge_compareILb1ELb1EiNS0_19identity_decomposerEEEEE10hipError_tT0_T1_T2_jT3_P12ihipStream_tbPNSt15iterator_traitsISI_E10value_typeEPNSO_ISJ_E10value_typeEPSK_NS1_7vsmem_tEENKUlT_SI_SJ_SK_E_clIPiSD_S10_SD_EESH_SX_SI_SJ_SK_EUlSX_E1_NS1_11comp_targetILNS1_3genE9ELNS1_11target_archE1100ELNS1_3gpuE3ELNS1_3repE0EEENS1_36merge_oddeven_config_static_selectorELNS0_4arch9wavefront6targetE1EEEvSJ_.num_agpr, 0
	.set _ZN7rocprim17ROCPRIM_400000_NS6detail17trampoline_kernelINS0_14default_configENS1_38merge_sort_block_merge_config_selectorIiiEEZZNS1_27merge_sort_block_merge_implIS3_N6thrust23THRUST_200600_302600_NS6detail15normal_iteratorINS8_10device_ptrIiEEEESD_jNS1_19radix_merge_compareILb1ELb1EiNS0_19identity_decomposerEEEEE10hipError_tT0_T1_T2_jT3_P12ihipStream_tbPNSt15iterator_traitsISI_E10value_typeEPNSO_ISJ_E10value_typeEPSK_NS1_7vsmem_tEENKUlT_SI_SJ_SK_E_clIPiSD_S10_SD_EESH_SX_SI_SJ_SK_EUlSX_E1_NS1_11comp_targetILNS1_3genE9ELNS1_11target_archE1100ELNS1_3gpuE3ELNS1_3repE0EEENS1_36merge_oddeven_config_static_selectorELNS0_4arch9wavefront6targetE1EEEvSJ_.numbered_sgpr, 0
	.set _ZN7rocprim17ROCPRIM_400000_NS6detail17trampoline_kernelINS0_14default_configENS1_38merge_sort_block_merge_config_selectorIiiEEZZNS1_27merge_sort_block_merge_implIS3_N6thrust23THRUST_200600_302600_NS6detail15normal_iteratorINS8_10device_ptrIiEEEESD_jNS1_19radix_merge_compareILb1ELb1EiNS0_19identity_decomposerEEEEE10hipError_tT0_T1_T2_jT3_P12ihipStream_tbPNSt15iterator_traitsISI_E10value_typeEPNSO_ISJ_E10value_typeEPSK_NS1_7vsmem_tEENKUlT_SI_SJ_SK_E_clIPiSD_S10_SD_EESH_SX_SI_SJ_SK_EUlSX_E1_NS1_11comp_targetILNS1_3genE9ELNS1_11target_archE1100ELNS1_3gpuE3ELNS1_3repE0EEENS1_36merge_oddeven_config_static_selectorELNS0_4arch9wavefront6targetE1EEEvSJ_.num_named_barrier, 0
	.set _ZN7rocprim17ROCPRIM_400000_NS6detail17trampoline_kernelINS0_14default_configENS1_38merge_sort_block_merge_config_selectorIiiEEZZNS1_27merge_sort_block_merge_implIS3_N6thrust23THRUST_200600_302600_NS6detail15normal_iteratorINS8_10device_ptrIiEEEESD_jNS1_19radix_merge_compareILb1ELb1EiNS0_19identity_decomposerEEEEE10hipError_tT0_T1_T2_jT3_P12ihipStream_tbPNSt15iterator_traitsISI_E10value_typeEPNSO_ISJ_E10value_typeEPSK_NS1_7vsmem_tEENKUlT_SI_SJ_SK_E_clIPiSD_S10_SD_EESH_SX_SI_SJ_SK_EUlSX_E1_NS1_11comp_targetILNS1_3genE9ELNS1_11target_archE1100ELNS1_3gpuE3ELNS1_3repE0EEENS1_36merge_oddeven_config_static_selectorELNS0_4arch9wavefront6targetE1EEEvSJ_.private_seg_size, 0
	.set _ZN7rocprim17ROCPRIM_400000_NS6detail17trampoline_kernelINS0_14default_configENS1_38merge_sort_block_merge_config_selectorIiiEEZZNS1_27merge_sort_block_merge_implIS3_N6thrust23THRUST_200600_302600_NS6detail15normal_iteratorINS8_10device_ptrIiEEEESD_jNS1_19radix_merge_compareILb1ELb1EiNS0_19identity_decomposerEEEEE10hipError_tT0_T1_T2_jT3_P12ihipStream_tbPNSt15iterator_traitsISI_E10value_typeEPNSO_ISJ_E10value_typeEPSK_NS1_7vsmem_tEENKUlT_SI_SJ_SK_E_clIPiSD_S10_SD_EESH_SX_SI_SJ_SK_EUlSX_E1_NS1_11comp_targetILNS1_3genE9ELNS1_11target_archE1100ELNS1_3gpuE3ELNS1_3repE0EEENS1_36merge_oddeven_config_static_selectorELNS0_4arch9wavefront6targetE1EEEvSJ_.uses_vcc, 0
	.set _ZN7rocprim17ROCPRIM_400000_NS6detail17trampoline_kernelINS0_14default_configENS1_38merge_sort_block_merge_config_selectorIiiEEZZNS1_27merge_sort_block_merge_implIS3_N6thrust23THRUST_200600_302600_NS6detail15normal_iteratorINS8_10device_ptrIiEEEESD_jNS1_19radix_merge_compareILb1ELb1EiNS0_19identity_decomposerEEEEE10hipError_tT0_T1_T2_jT3_P12ihipStream_tbPNSt15iterator_traitsISI_E10value_typeEPNSO_ISJ_E10value_typeEPSK_NS1_7vsmem_tEENKUlT_SI_SJ_SK_E_clIPiSD_S10_SD_EESH_SX_SI_SJ_SK_EUlSX_E1_NS1_11comp_targetILNS1_3genE9ELNS1_11target_archE1100ELNS1_3gpuE3ELNS1_3repE0EEENS1_36merge_oddeven_config_static_selectorELNS0_4arch9wavefront6targetE1EEEvSJ_.uses_flat_scratch, 0
	.set _ZN7rocprim17ROCPRIM_400000_NS6detail17trampoline_kernelINS0_14default_configENS1_38merge_sort_block_merge_config_selectorIiiEEZZNS1_27merge_sort_block_merge_implIS3_N6thrust23THRUST_200600_302600_NS6detail15normal_iteratorINS8_10device_ptrIiEEEESD_jNS1_19radix_merge_compareILb1ELb1EiNS0_19identity_decomposerEEEEE10hipError_tT0_T1_T2_jT3_P12ihipStream_tbPNSt15iterator_traitsISI_E10value_typeEPNSO_ISJ_E10value_typeEPSK_NS1_7vsmem_tEENKUlT_SI_SJ_SK_E_clIPiSD_S10_SD_EESH_SX_SI_SJ_SK_EUlSX_E1_NS1_11comp_targetILNS1_3genE9ELNS1_11target_archE1100ELNS1_3gpuE3ELNS1_3repE0EEENS1_36merge_oddeven_config_static_selectorELNS0_4arch9wavefront6targetE1EEEvSJ_.has_dyn_sized_stack, 0
	.set _ZN7rocprim17ROCPRIM_400000_NS6detail17trampoline_kernelINS0_14default_configENS1_38merge_sort_block_merge_config_selectorIiiEEZZNS1_27merge_sort_block_merge_implIS3_N6thrust23THRUST_200600_302600_NS6detail15normal_iteratorINS8_10device_ptrIiEEEESD_jNS1_19radix_merge_compareILb1ELb1EiNS0_19identity_decomposerEEEEE10hipError_tT0_T1_T2_jT3_P12ihipStream_tbPNSt15iterator_traitsISI_E10value_typeEPNSO_ISJ_E10value_typeEPSK_NS1_7vsmem_tEENKUlT_SI_SJ_SK_E_clIPiSD_S10_SD_EESH_SX_SI_SJ_SK_EUlSX_E1_NS1_11comp_targetILNS1_3genE9ELNS1_11target_archE1100ELNS1_3gpuE3ELNS1_3repE0EEENS1_36merge_oddeven_config_static_selectorELNS0_4arch9wavefront6targetE1EEEvSJ_.has_recursion, 0
	.set _ZN7rocprim17ROCPRIM_400000_NS6detail17trampoline_kernelINS0_14default_configENS1_38merge_sort_block_merge_config_selectorIiiEEZZNS1_27merge_sort_block_merge_implIS3_N6thrust23THRUST_200600_302600_NS6detail15normal_iteratorINS8_10device_ptrIiEEEESD_jNS1_19radix_merge_compareILb1ELb1EiNS0_19identity_decomposerEEEEE10hipError_tT0_T1_T2_jT3_P12ihipStream_tbPNSt15iterator_traitsISI_E10value_typeEPNSO_ISJ_E10value_typeEPSK_NS1_7vsmem_tEENKUlT_SI_SJ_SK_E_clIPiSD_S10_SD_EESH_SX_SI_SJ_SK_EUlSX_E1_NS1_11comp_targetILNS1_3genE9ELNS1_11target_archE1100ELNS1_3gpuE3ELNS1_3repE0EEENS1_36merge_oddeven_config_static_selectorELNS0_4arch9wavefront6targetE1EEEvSJ_.has_indirect_call, 0
	.section	.AMDGPU.csdata,"",@progbits
; Kernel info:
; codeLenInByte = 0
; TotalNumSgprs: 6
; NumVgprs: 0
; NumAgprs: 0
; TotalNumVgprs: 0
; ScratchSize: 0
; MemoryBound: 0
; FloatMode: 240
; IeeeMode: 1
; LDSByteSize: 0 bytes/workgroup (compile time only)
; SGPRBlocks: 0
; VGPRBlocks: 0
; NumSGPRsForWavesPerEU: 6
; NumVGPRsForWavesPerEU: 1
; AccumOffset: 4
; Occupancy: 8
; WaveLimiterHint : 0
; COMPUTE_PGM_RSRC2:SCRATCH_EN: 0
; COMPUTE_PGM_RSRC2:USER_SGPR: 2
; COMPUTE_PGM_RSRC2:TRAP_HANDLER: 0
; COMPUTE_PGM_RSRC2:TGID_X_EN: 1
; COMPUTE_PGM_RSRC2:TGID_Y_EN: 0
; COMPUTE_PGM_RSRC2:TGID_Z_EN: 0
; COMPUTE_PGM_RSRC2:TIDIG_COMP_CNT: 0
; COMPUTE_PGM_RSRC3_GFX90A:ACCUM_OFFSET: 0
; COMPUTE_PGM_RSRC3_GFX90A:TG_SPLIT: 0
	.section	.text._ZN7rocprim17ROCPRIM_400000_NS6detail17trampoline_kernelINS0_14default_configENS1_38merge_sort_block_merge_config_selectorIiiEEZZNS1_27merge_sort_block_merge_implIS3_N6thrust23THRUST_200600_302600_NS6detail15normal_iteratorINS8_10device_ptrIiEEEESD_jNS1_19radix_merge_compareILb1ELb1EiNS0_19identity_decomposerEEEEE10hipError_tT0_T1_T2_jT3_P12ihipStream_tbPNSt15iterator_traitsISI_E10value_typeEPNSO_ISJ_E10value_typeEPSK_NS1_7vsmem_tEENKUlT_SI_SJ_SK_E_clIPiSD_S10_SD_EESH_SX_SI_SJ_SK_EUlSX_E1_NS1_11comp_targetILNS1_3genE8ELNS1_11target_archE1030ELNS1_3gpuE2ELNS1_3repE0EEENS1_36merge_oddeven_config_static_selectorELNS0_4arch9wavefront6targetE1EEEvSJ_,"axG",@progbits,_ZN7rocprim17ROCPRIM_400000_NS6detail17trampoline_kernelINS0_14default_configENS1_38merge_sort_block_merge_config_selectorIiiEEZZNS1_27merge_sort_block_merge_implIS3_N6thrust23THRUST_200600_302600_NS6detail15normal_iteratorINS8_10device_ptrIiEEEESD_jNS1_19radix_merge_compareILb1ELb1EiNS0_19identity_decomposerEEEEE10hipError_tT0_T1_T2_jT3_P12ihipStream_tbPNSt15iterator_traitsISI_E10value_typeEPNSO_ISJ_E10value_typeEPSK_NS1_7vsmem_tEENKUlT_SI_SJ_SK_E_clIPiSD_S10_SD_EESH_SX_SI_SJ_SK_EUlSX_E1_NS1_11comp_targetILNS1_3genE8ELNS1_11target_archE1030ELNS1_3gpuE2ELNS1_3repE0EEENS1_36merge_oddeven_config_static_selectorELNS0_4arch9wavefront6targetE1EEEvSJ_,comdat
	.protected	_ZN7rocprim17ROCPRIM_400000_NS6detail17trampoline_kernelINS0_14default_configENS1_38merge_sort_block_merge_config_selectorIiiEEZZNS1_27merge_sort_block_merge_implIS3_N6thrust23THRUST_200600_302600_NS6detail15normal_iteratorINS8_10device_ptrIiEEEESD_jNS1_19radix_merge_compareILb1ELb1EiNS0_19identity_decomposerEEEEE10hipError_tT0_T1_T2_jT3_P12ihipStream_tbPNSt15iterator_traitsISI_E10value_typeEPNSO_ISJ_E10value_typeEPSK_NS1_7vsmem_tEENKUlT_SI_SJ_SK_E_clIPiSD_S10_SD_EESH_SX_SI_SJ_SK_EUlSX_E1_NS1_11comp_targetILNS1_3genE8ELNS1_11target_archE1030ELNS1_3gpuE2ELNS1_3repE0EEENS1_36merge_oddeven_config_static_selectorELNS0_4arch9wavefront6targetE1EEEvSJ_ ; -- Begin function _ZN7rocprim17ROCPRIM_400000_NS6detail17trampoline_kernelINS0_14default_configENS1_38merge_sort_block_merge_config_selectorIiiEEZZNS1_27merge_sort_block_merge_implIS3_N6thrust23THRUST_200600_302600_NS6detail15normal_iteratorINS8_10device_ptrIiEEEESD_jNS1_19radix_merge_compareILb1ELb1EiNS0_19identity_decomposerEEEEE10hipError_tT0_T1_T2_jT3_P12ihipStream_tbPNSt15iterator_traitsISI_E10value_typeEPNSO_ISJ_E10value_typeEPSK_NS1_7vsmem_tEENKUlT_SI_SJ_SK_E_clIPiSD_S10_SD_EESH_SX_SI_SJ_SK_EUlSX_E1_NS1_11comp_targetILNS1_3genE8ELNS1_11target_archE1030ELNS1_3gpuE2ELNS1_3repE0EEENS1_36merge_oddeven_config_static_selectorELNS0_4arch9wavefront6targetE1EEEvSJ_
	.globl	_ZN7rocprim17ROCPRIM_400000_NS6detail17trampoline_kernelINS0_14default_configENS1_38merge_sort_block_merge_config_selectorIiiEEZZNS1_27merge_sort_block_merge_implIS3_N6thrust23THRUST_200600_302600_NS6detail15normal_iteratorINS8_10device_ptrIiEEEESD_jNS1_19radix_merge_compareILb1ELb1EiNS0_19identity_decomposerEEEEE10hipError_tT0_T1_T2_jT3_P12ihipStream_tbPNSt15iterator_traitsISI_E10value_typeEPNSO_ISJ_E10value_typeEPSK_NS1_7vsmem_tEENKUlT_SI_SJ_SK_E_clIPiSD_S10_SD_EESH_SX_SI_SJ_SK_EUlSX_E1_NS1_11comp_targetILNS1_3genE8ELNS1_11target_archE1030ELNS1_3gpuE2ELNS1_3repE0EEENS1_36merge_oddeven_config_static_selectorELNS0_4arch9wavefront6targetE1EEEvSJ_
	.p2align	8
	.type	_ZN7rocprim17ROCPRIM_400000_NS6detail17trampoline_kernelINS0_14default_configENS1_38merge_sort_block_merge_config_selectorIiiEEZZNS1_27merge_sort_block_merge_implIS3_N6thrust23THRUST_200600_302600_NS6detail15normal_iteratorINS8_10device_ptrIiEEEESD_jNS1_19radix_merge_compareILb1ELb1EiNS0_19identity_decomposerEEEEE10hipError_tT0_T1_T2_jT3_P12ihipStream_tbPNSt15iterator_traitsISI_E10value_typeEPNSO_ISJ_E10value_typeEPSK_NS1_7vsmem_tEENKUlT_SI_SJ_SK_E_clIPiSD_S10_SD_EESH_SX_SI_SJ_SK_EUlSX_E1_NS1_11comp_targetILNS1_3genE8ELNS1_11target_archE1030ELNS1_3gpuE2ELNS1_3repE0EEENS1_36merge_oddeven_config_static_selectorELNS0_4arch9wavefront6targetE1EEEvSJ_,@function
_ZN7rocprim17ROCPRIM_400000_NS6detail17trampoline_kernelINS0_14default_configENS1_38merge_sort_block_merge_config_selectorIiiEEZZNS1_27merge_sort_block_merge_implIS3_N6thrust23THRUST_200600_302600_NS6detail15normal_iteratorINS8_10device_ptrIiEEEESD_jNS1_19radix_merge_compareILb1ELb1EiNS0_19identity_decomposerEEEEE10hipError_tT0_T1_T2_jT3_P12ihipStream_tbPNSt15iterator_traitsISI_E10value_typeEPNSO_ISJ_E10value_typeEPSK_NS1_7vsmem_tEENKUlT_SI_SJ_SK_E_clIPiSD_S10_SD_EESH_SX_SI_SJ_SK_EUlSX_E1_NS1_11comp_targetILNS1_3genE8ELNS1_11target_archE1030ELNS1_3gpuE2ELNS1_3repE0EEENS1_36merge_oddeven_config_static_selectorELNS0_4arch9wavefront6targetE1EEEvSJ_: ; @_ZN7rocprim17ROCPRIM_400000_NS6detail17trampoline_kernelINS0_14default_configENS1_38merge_sort_block_merge_config_selectorIiiEEZZNS1_27merge_sort_block_merge_implIS3_N6thrust23THRUST_200600_302600_NS6detail15normal_iteratorINS8_10device_ptrIiEEEESD_jNS1_19radix_merge_compareILb1ELb1EiNS0_19identity_decomposerEEEEE10hipError_tT0_T1_T2_jT3_P12ihipStream_tbPNSt15iterator_traitsISI_E10value_typeEPNSO_ISJ_E10value_typeEPSK_NS1_7vsmem_tEENKUlT_SI_SJ_SK_E_clIPiSD_S10_SD_EESH_SX_SI_SJ_SK_EUlSX_E1_NS1_11comp_targetILNS1_3genE8ELNS1_11target_archE1030ELNS1_3gpuE2ELNS1_3repE0EEENS1_36merge_oddeven_config_static_selectorELNS0_4arch9wavefront6targetE1EEEvSJ_
; %bb.0:
	.section	.rodata,"a",@progbits
	.p2align	6, 0x0
	.amdhsa_kernel _ZN7rocprim17ROCPRIM_400000_NS6detail17trampoline_kernelINS0_14default_configENS1_38merge_sort_block_merge_config_selectorIiiEEZZNS1_27merge_sort_block_merge_implIS3_N6thrust23THRUST_200600_302600_NS6detail15normal_iteratorINS8_10device_ptrIiEEEESD_jNS1_19radix_merge_compareILb1ELb1EiNS0_19identity_decomposerEEEEE10hipError_tT0_T1_T2_jT3_P12ihipStream_tbPNSt15iterator_traitsISI_E10value_typeEPNSO_ISJ_E10value_typeEPSK_NS1_7vsmem_tEENKUlT_SI_SJ_SK_E_clIPiSD_S10_SD_EESH_SX_SI_SJ_SK_EUlSX_E1_NS1_11comp_targetILNS1_3genE8ELNS1_11target_archE1030ELNS1_3gpuE2ELNS1_3repE0EEENS1_36merge_oddeven_config_static_selectorELNS0_4arch9wavefront6targetE1EEEvSJ_
		.amdhsa_group_segment_fixed_size 0
		.amdhsa_private_segment_fixed_size 0
		.amdhsa_kernarg_size 48
		.amdhsa_user_sgpr_count 2
		.amdhsa_user_sgpr_dispatch_ptr 0
		.amdhsa_user_sgpr_queue_ptr 0
		.amdhsa_user_sgpr_kernarg_segment_ptr 1
		.amdhsa_user_sgpr_dispatch_id 0
		.amdhsa_user_sgpr_kernarg_preload_length 0
		.amdhsa_user_sgpr_kernarg_preload_offset 0
		.amdhsa_user_sgpr_private_segment_size 0
		.amdhsa_uses_dynamic_stack 0
		.amdhsa_enable_private_segment 0
		.amdhsa_system_sgpr_workgroup_id_x 1
		.amdhsa_system_sgpr_workgroup_id_y 0
		.amdhsa_system_sgpr_workgroup_id_z 0
		.amdhsa_system_sgpr_workgroup_info 0
		.amdhsa_system_vgpr_workitem_id 0
		.amdhsa_next_free_vgpr 1
		.amdhsa_next_free_sgpr 0
		.amdhsa_accum_offset 4
		.amdhsa_reserve_vcc 0
		.amdhsa_float_round_mode_32 0
		.amdhsa_float_round_mode_16_64 0
		.amdhsa_float_denorm_mode_32 3
		.amdhsa_float_denorm_mode_16_64 3
		.amdhsa_dx10_clamp 1
		.amdhsa_ieee_mode 1
		.amdhsa_fp16_overflow 0
		.amdhsa_tg_split 0
		.amdhsa_exception_fp_ieee_invalid_op 0
		.amdhsa_exception_fp_denorm_src 0
		.amdhsa_exception_fp_ieee_div_zero 0
		.amdhsa_exception_fp_ieee_overflow 0
		.amdhsa_exception_fp_ieee_underflow 0
		.amdhsa_exception_fp_ieee_inexact 0
		.amdhsa_exception_int_div_zero 0
	.end_amdhsa_kernel
	.section	.text._ZN7rocprim17ROCPRIM_400000_NS6detail17trampoline_kernelINS0_14default_configENS1_38merge_sort_block_merge_config_selectorIiiEEZZNS1_27merge_sort_block_merge_implIS3_N6thrust23THRUST_200600_302600_NS6detail15normal_iteratorINS8_10device_ptrIiEEEESD_jNS1_19radix_merge_compareILb1ELb1EiNS0_19identity_decomposerEEEEE10hipError_tT0_T1_T2_jT3_P12ihipStream_tbPNSt15iterator_traitsISI_E10value_typeEPNSO_ISJ_E10value_typeEPSK_NS1_7vsmem_tEENKUlT_SI_SJ_SK_E_clIPiSD_S10_SD_EESH_SX_SI_SJ_SK_EUlSX_E1_NS1_11comp_targetILNS1_3genE8ELNS1_11target_archE1030ELNS1_3gpuE2ELNS1_3repE0EEENS1_36merge_oddeven_config_static_selectorELNS0_4arch9wavefront6targetE1EEEvSJ_,"axG",@progbits,_ZN7rocprim17ROCPRIM_400000_NS6detail17trampoline_kernelINS0_14default_configENS1_38merge_sort_block_merge_config_selectorIiiEEZZNS1_27merge_sort_block_merge_implIS3_N6thrust23THRUST_200600_302600_NS6detail15normal_iteratorINS8_10device_ptrIiEEEESD_jNS1_19radix_merge_compareILb1ELb1EiNS0_19identity_decomposerEEEEE10hipError_tT0_T1_T2_jT3_P12ihipStream_tbPNSt15iterator_traitsISI_E10value_typeEPNSO_ISJ_E10value_typeEPSK_NS1_7vsmem_tEENKUlT_SI_SJ_SK_E_clIPiSD_S10_SD_EESH_SX_SI_SJ_SK_EUlSX_E1_NS1_11comp_targetILNS1_3genE8ELNS1_11target_archE1030ELNS1_3gpuE2ELNS1_3repE0EEENS1_36merge_oddeven_config_static_selectorELNS0_4arch9wavefront6targetE1EEEvSJ_,comdat
.Lfunc_end1794:
	.size	_ZN7rocprim17ROCPRIM_400000_NS6detail17trampoline_kernelINS0_14default_configENS1_38merge_sort_block_merge_config_selectorIiiEEZZNS1_27merge_sort_block_merge_implIS3_N6thrust23THRUST_200600_302600_NS6detail15normal_iteratorINS8_10device_ptrIiEEEESD_jNS1_19radix_merge_compareILb1ELb1EiNS0_19identity_decomposerEEEEE10hipError_tT0_T1_T2_jT3_P12ihipStream_tbPNSt15iterator_traitsISI_E10value_typeEPNSO_ISJ_E10value_typeEPSK_NS1_7vsmem_tEENKUlT_SI_SJ_SK_E_clIPiSD_S10_SD_EESH_SX_SI_SJ_SK_EUlSX_E1_NS1_11comp_targetILNS1_3genE8ELNS1_11target_archE1030ELNS1_3gpuE2ELNS1_3repE0EEENS1_36merge_oddeven_config_static_selectorELNS0_4arch9wavefront6targetE1EEEvSJ_, .Lfunc_end1794-_ZN7rocprim17ROCPRIM_400000_NS6detail17trampoline_kernelINS0_14default_configENS1_38merge_sort_block_merge_config_selectorIiiEEZZNS1_27merge_sort_block_merge_implIS3_N6thrust23THRUST_200600_302600_NS6detail15normal_iteratorINS8_10device_ptrIiEEEESD_jNS1_19radix_merge_compareILb1ELb1EiNS0_19identity_decomposerEEEEE10hipError_tT0_T1_T2_jT3_P12ihipStream_tbPNSt15iterator_traitsISI_E10value_typeEPNSO_ISJ_E10value_typeEPSK_NS1_7vsmem_tEENKUlT_SI_SJ_SK_E_clIPiSD_S10_SD_EESH_SX_SI_SJ_SK_EUlSX_E1_NS1_11comp_targetILNS1_3genE8ELNS1_11target_archE1030ELNS1_3gpuE2ELNS1_3repE0EEENS1_36merge_oddeven_config_static_selectorELNS0_4arch9wavefront6targetE1EEEvSJ_
                                        ; -- End function
	.set _ZN7rocprim17ROCPRIM_400000_NS6detail17trampoline_kernelINS0_14default_configENS1_38merge_sort_block_merge_config_selectorIiiEEZZNS1_27merge_sort_block_merge_implIS3_N6thrust23THRUST_200600_302600_NS6detail15normal_iteratorINS8_10device_ptrIiEEEESD_jNS1_19radix_merge_compareILb1ELb1EiNS0_19identity_decomposerEEEEE10hipError_tT0_T1_T2_jT3_P12ihipStream_tbPNSt15iterator_traitsISI_E10value_typeEPNSO_ISJ_E10value_typeEPSK_NS1_7vsmem_tEENKUlT_SI_SJ_SK_E_clIPiSD_S10_SD_EESH_SX_SI_SJ_SK_EUlSX_E1_NS1_11comp_targetILNS1_3genE8ELNS1_11target_archE1030ELNS1_3gpuE2ELNS1_3repE0EEENS1_36merge_oddeven_config_static_selectorELNS0_4arch9wavefront6targetE1EEEvSJ_.num_vgpr, 0
	.set _ZN7rocprim17ROCPRIM_400000_NS6detail17trampoline_kernelINS0_14default_configENS1_38merge_sort_block_merge_config_selectorIiiEEZZNS1_27merge_sort_block_merge_implIS3_N6thrust23THRUST_200600_302600_NS6detail15normal_iteratorINS8_10device_ptrIiEEEESD_jNS1_19radix_merge_compareILb1ELb1EiNS0_19identity_decomposerEEEEE10hipError_tT0_T1_T2_jT3_P12ihipStream_tbPNSt15iterator_traitsISI_E10value_typeEPNSO_ISJ_E10value_typeEPSK_NS1_7vsmem_tEENKUlT_SI_SJ_SK_E_clIPiSD_S10_SD_EESH_SX_SI_SJ_SK_EUlSX_E1_NS1_11comp_targetILNS1_3genE8ELNS1_11target_archE1030ELNS1_3gpuE2ELNS1_3repE0EEENS1_36merge_oddeven_config_static_selectorELNS0_4arch9wavefront6targetE1EEEvSJ_.num_agpr, 0
	.set _ZN7rocprim17ROCPRIM_400000_NS6detail17trampoline_kernelINS0_14default_configENS1_38merge_sort_block_merge_config_selectorIiiEEZZNS1_27merge_sort_block_merge_implIS3_N6thrust23THRUST_200600_302600_NS6detail15normal_iteratorINS8_10device_ptrIiEEEESD_jNS1_19radix_merge_compareILb1ELb1EiNS0_19identity_decomposerEEEEE10hipError_tT0_T1_T2_jT3_P12ihipStream_tbPNSt15iterator_traitsISI_E10value_typeEPNSO_ISJ_E10value_typeEPSK_NS1_7vsmem_tEENKUlT_SI_SJ_SK_E_clIPiSD_S10_SD_EESH_SX_SI_SJ_SK_EUlSX_E1_NS1_11comp_targetILNS1_3genE8ELNS1_11target_archE1030ELNS1_3gpuE2ELNS1_3repE0EEENS1_36merge_oddeven_config_static_selectorELNS0_4arch9wavefront6targetE1EEEvSJ_.numbered_sgpr, 0
	.set _ZN7rocprim17ROCPRIM_400000_NS6detail17trampoline_kernelINS0_14default_configENS1_38merge_sort_block_merge_config_selectorIiiEEZZNS1_27merge_sort_block_merge_implIS3_N6thrust23THRUST_200600_302600_NS6detail15normal_iteratorINS8_10device_ptrIiEEEESD_jNS1_19radix_merge_compareILb1ELb1EiNS0_19identity_decomposerEEEEE10hipError_tT0_T1_T2_jT3_P12ihipStream_tbPNSt15iterator_traitsISI_E10value_typeEPNSO_ISJ_E10value_typeEPSK_NS1_7vsmem_tEENKUlT_SI_SJ_SK_E_clIPiSD_S10_SD_EESH_SX_SI_SJ_SK_EUlSX_E1_NS1_11comp_targetILNS1_3genE8ELNS1_11target_archE1030ELNS1_3gpuE2ELNS1_3repE0EEENS1_36merge_oddeven_config_static_selectorELNS0_4arch9wavefront6targetE1EEEvSJ_.num_named_barrier, 0
	.set _ZN7rocprim17ROCPRIM_400000_NS6detail17trampoline_kernelINS0_14default_configENS1_38merge_sort_block_merge_config_selectorIiiEEZZNS1_27merge_sort_block_merge_implIS3_N6thrust23THRUST_200600_302600_NS6detail15normal_iteratorINS8_10device_ptrIiEEEESD_jNS1_19radix_merge_compareILb1ELb1EiNS0_19identity_decomposerEEEEE10hipError_tT0_T1_T2_jT3_P12ihipStream_tbPNSt15iterator_traitsISI_E10value_typeEPNSO_ISJ_E10value_typeEPSK_NS1_7vsmem_tEENKUlT_SI_SJ_SK_E_clIPiSD_S10_SD_EESH_SX_SI_SJ_SK_EUlSX_E1_NS1_11comp_targetILNS1_3genE8ELNS1_11target_archE1030ELNS1_3gpuE2ELNS1_3repE0EEENS1_36merge_oddeven_config_static_selectorELNS0_4arch9wavefront6targetE1EEEvSJ_.private_seg_size, 0
	.set _ZN7rocprim17ROCPRIM_400000_NS6detail17trampoline_kernelINS0_14default_configENS1_38merge_sort_block_merge_config_selectorIiiEEZZNS1_27merge_sort_block_merge_implIS3_N6thrust23THRUST_200600_302600_NS6detail15normal_iteratorINS8_10device_ptrIiEEEESD_jNS1_19radix_merge_compareILb1ELb1EiNS0_19identity_decomposerEEEEE10hipError_tT0_T1_T2_jT3_P12ihipStream_tbPNSt15iterator_traitsISI_E10value_typeEPNSO_ISJ_E10value_typeEPSK_NS1_7vsmem_tEENKUlT_SI_SJ_SK_E_clIPiSD_S10_SD_EESH_SX_SI_SJ_SK_EUlSX_E1_NS1_11comp_targetILNS1_3genE8ELNS1_11target_archE1030ELNS1_3gpuE2ELNS1_3repE0EEENS1_36merge_oddeven_config_static_selectorELNS0_4arch9wavefront6targetE1EEEvSJ_.uses_vcc, 0
	.set _ZN7rocprim17ROCPRIM_400000_NS6detail17trampoline_kernelINS0_14default_configENS1_38merge_sort_block_merge_config_selectorIiiEEZZNS1_27merge_sort_block_merge_implIS3_N6thrust23THRUST_200600_302600_NS6detail15normal_iteratorINS8_10device_ptrIiEEEESD_jNS1_19radix_merge_compareILb1ELb1EiNS0_19identity_decomposerEEEEE10hipError_tT0_T1_T2_jT3_P12ihipStream_tbPNSt15iterator_traitsISI_E10value_typeEPNSO_ISJ_E10value_typeEPSK_NS1_7vsmem_tEENKUlT_SI_SJ_SK_E_clIPiSD_S10_SD_EESH_SX_SI_SJ_SK_EUlSX_E1_NS1_11comp_targetILNS1_3genE8ELNS1_11target_archE1030ELNS1_3gpuE2ELNS1_3repE0EEENS1_36merge_oddeven_config_static_selectorELNS0_4arch9wavefront6targetE1EEEvSJ_.uses_flat_scratch, 0
	.set _ZN7rocprim17ROCPRIM_400000_NS6detail17trampoline_kernelINS0_14default_configENS1_38merge_sort_block_merge_config_selectorIiiEEZZNS1_27merge_sort_block_merge_implIS3_N6thrust23THRUST_200600_302600_NS6detail15normal_iteratorINS8_10device_ptrIiEEEESD_jNS1_19radix_merge_compareILb1ELb1EiNS0_19identity_decomposerEEEEE10hipError_tT0_T1_T2_jT3_P12ihipStream_tbPNSt15iterator_traitsISI_E10value_typeEPNSO_ISJ_E10value_typeEPSK_NS1_7vsmem_tEENKUlT_SI_SJ_SK_E_clIPiSD_S10_SD_EESH_SX_SI_SJ_SK_EUlSX_E1_NS1_11comp_targetILNS1_3genE8ELNS1_11target_archE1030ELNS1_3gpuE2ELNS1_3repE0EEENS1_36merge_oddeven_config_static_selectorELNS0_4arch9wavefront6targetE1EEEvSJ_.has_dyn_sized_stack, 0
	.set _ZN7rocprim17ROCPRIM_400000_NS6detail17trampoline_kernelINS0_14default_configENS1_38merge_sort_block_merge_config_selectorIiiEEZZNS1_27merge_sort_block_merge_implIS3_N6thrust23THRUST_200600_302600_NS6detail15normal_iteratorINS8_10device_ptrIiEEEESD_jNS1_19radix_merge_compareILb1ELb1EiNS0_19identity_decomposerEEEEE10hipError_tT0_T1_T2_jT3_P12ihipStream_tbPNSt15iterator_traitsISI_E10value_typeEPNSO_ISJ_E10value_typeEPSK_NS1_7vsmem_tEENKUlT_SI_SJ_SK_E_clIPiSD_S10_SD_EESH_SX_SI_SJ_SK_EUlSX_E1_NS1_11comp_targetILNS1_3genE8ELNS1_11target_archE1030ELNS1_3gpuE2ELNS1_3repE0EEENS1_36merge_oddeven_config_static_selectorELNS0_4arch9wavefront6targetE1EEEvSJ_.has_recursion, 0
	.set _ZN7rocprim17ROCPRIM_400000_NS6detail17trampoline_kernelINS0_14default_configENS1_38merge_sort_block_merge_config_selectorIiiEEZZNS1_27merge_sort_block_merge_implIS3_N6thrust23THRUST_200600_302600_NS6detail15normal_iteratorINS8_10device_ptrIiEEEESD_jNS1_19radix_merge_compareILb1ELb1EiNS0_19identity_decomposerEEEEE10hipError_tT0_T1_T2_jT3_P12ihipStream_tbPNSt15iterator_traitsISI_E10value_typeEPNSO_ISJ_E10value_typeEPSK_NS1_7vsmem_tEENKUlT_SI_SJ_SK_E_clIPiSD_S10_SD_EESH_SX_SI_SJ_SK_EUlSX_E1_NS1_11comp_targetILNS1_3genE8ELNS1_11target_archE1030ELNS1_3gpuE2ELNS1_3repE0EEENS1_36merge_oddeven_config_static_selectorELNS0_4arch9wavefront6targetE1EEEvSJ_.has_indirect_call, 0
	.section	.AMDGPU.csdata,"",@progbits
; Kernel info:
; codeLenInByte = 0
; TotalNumSgprs: 6
; NumVgprs: 0
; NumAgprs: 0
; TotalNumVgprs: 0
; ScratchSize: 0
; MemoryBound: 0
; FloatMode: 240
; IeeeMode: 1
; LDSByteSize: 0 bytes/workgroup (compile time only)
; SGPRBlocks: 0
; VGPRBlocks: 0
; NumSGPRsForWavesPerEU: 6
; NumVGPRsForWavesPerEU: 1
; AccumOffset: 4
; Occupancy: 8
; WaveLimiterHint : 0
; COMPUTE_PGM_RSRC2:SCRATCH_EN: 0
; COMPUTE_PGM_RSRC2:USER_SGPR: 2
; COMPUTE_PGM_RSRC2:TRAP_HANDLER: 0
; COMPUTE_PGM_RSRC2:TGID_X_EN: 1
; COMPUTE_PGM_RSRC2:TGID_Y_EN: 0
; COMPUTE_PGM_RSRC2:TGID_Z_EN: 0
; COMPUTE_PGM_RSRC2:TIDIG_COMP_CNT: 0
; COMPUTE_PGM_RSRC3_GFX90A:ACCUM_OFFSET: 0
; COMPUTE_PGM_RSRC3_GFX90A:TG_SPLIT: 0
	.section	.text._ZN7rocprim17ROCPRIM_400000_NS6detail17trampoline_kernelINS0_14default_configENS1_38merge_sort_block_merge_config_selectorIiiEEZZNS1_27merge_sort_block_merge_implIS3_N6thrust23THRUST_200600_302600_NS6detail15normal_iteratorINS8_10device_ptrIiEEEESD_jNS1_19radix_merge_compareILb1ELb1EiNS0_19identity_decomposerEEEEE10hipError_tT0_T1_T2_jT3_P12ihipStream_tbPNSt15iterator_traitsISI_E10value_typeEPNSO_ISJ_E10value_typeEPSK_NS1_7vsmem_tEENKUlT_SI_SJ_SK_E_clISD_PiSD_S10_EESH_SX_SI_SJ_SK_EUlSX_E_NS1_11comp_targetILNS1_3genE0ELNS1_11target_archE4294967295ELNS1_3gpuE0ELNS1_3repE0EEENS1_48merge_mergepath_partition_config_static_selectorELNS0_4arch9wavefront6targetE1EEEvSJ_,"axG",@progbits,_ZN7rocprim17ROCPRIM_400000_NS6detail17trampoline_kernelINS0_14default_configENS1_38merge_sort_block_merge_config_selectorIiiEEZZNS1_27merge_sort_block_merge_implIS3_N6thrust23THRUST_200600_302600_NS6detail15normal_iteratorINS8_10device_ptrIiEEEESD_jNS1_19radix_merge_compareILb1ELb1EiNS0_19identity_decomposerEEEEE10hipError_tT0_T1_T2_jT3_P12ihipStream_tbPNSt15iterator_traitsISI_E10value_typeEPNSO_ISJ_E10value_typeEPSK_NS1_7vsmem_tEENKUlT_SI_SJ_SK_E_clISD_PiSD_S10_EESH_SX_SI_SJ_SK_EUlSX_E_NS1_11comp_targetILNS1_3genE0ELNS1_11target_archE4294967295ELNS1_3gpuE0ELNS1_3repE0EEENS1_48merge_mergepath_partition_config_static_selectorELNS0_4arch9wavefront6targetE1EEEvSJ_,comdat
	.protected	_ZN7rocprim17ROCPRIM_400000_NS6detail17trampoline_kernelINS0_14default_configENS1_38merge_sort_block_merge_config_selectorIiiEEZZNS1_27merge_sort_block_merge_implIS3_N6thrust23THRUST_200600_302600_NS6detail15normal_iteratorINS8_10device_ptrIiEEEESD_jNS1_19radix_merge_compareILb1ELb1EiNS0_19identity_decomposerEEEEE10hipError_tT0_T1_T2_jT3_P12ihipStream_tbPNSt15iterator_traitsISI_E10value_typeEPNSO_ISJ_E10value_typeEPSK_NS1_7vsmem_tEENKUlT_SI_SJ_SK_E_clISD_PiSD_S10_EESH_SX_SI_SJ_SK_EUlSX_E_NS1_11comp_targetILNS1_3genE0ELNS1_11target_archE4294967295ELNS1_3gpuE0ELNS1_3repE0EEENS1_48merge_mergepath_partition_config_static_selectorELNS0_4arch9wavefront6targetE1EEEvSJ_ ; -- Begin function _ZN7rocprim17ROCPRIM_400000_NS6detail17trampoline_kernelINS0_14default_configENS1_38merge_sort_block_merge_config_selectorIiiEEZZNS1_27merge_sort_block_merge_implIS3_N6thrust23THRUST_200600_302600_NS6detail15normal_iteratorINS8_10device_ptrIiEEEESD_jNS1_19radix_merge_compareILb1ELb1EiNS0_19identity_decomposerEEEEE10hipError_tT0_T1_T2_jT3_P12ihipStream_tbPNSt15iterator_traitsISI_E10value_typeEPNSO_ISJ_E10value_typeEPSK_NS1_7vsmem_tEENKUlT_SI_SJ_SK_E_clISD_PiSD_S10_EESH_SX_SI_SJ_SK_EUlSX_E_NS1_11comp_targetILNS1_3genE0ELNS1_11target_archE4294967295ELNS1_3gpuE0ELNS1_3repE0EEENS1_48merge_mergepath_partition_config_static_selectorELNS0_4arch9wavefront6targetE1EEEvSJ_
	.globl	_ZN7rocprim17ROCPRIM_400000_NS6detail17trampoline_kernelINS0_14default_configENS1_38merge_sort_block_merge_config_selectorIiiEEZZNS1_27merge_sort_block_merge_implIS3_N6thrust23THRUST_200600_302600_NS6detail15normal_iteratorINS8_10device_ptrIiEEEESD_jNS1_19radix_merge_compareILb1ELb1EiNS0_19identity_decomposerEEEEE10hipError_tT0_T1_T2_jT3_P12ihipStream_tbPNSt15iterator_traitsISI_E10value_typeEPNSO_ISJ_E10value_typeEPSK_NS1_7vsmem_tEENKUlT_SI_SJ_SK_E_clISD_PiSD_S10_EESH_SX_SI_SJ_SK_EUlSX_E_NS1_11comp_targetILNS1_3genE0ELNS1_11target_archE4294967295ELNS1_3gpuE0ELNS1_3repE0EEENS1_48merge_mergepath_partition_config_static_selectorELNS0_4arch9wavefront6targetE1EEEvSJ_
	.p2align	8
	.type	_ZN7rocprim17ROCPRIM_400000_NS6detail17trampoline_kernelINS0_14default_configENS1_38merge_sort_block_merge_config_selectorIiiEEZZNS1_27merge_sort_block_merge_implIS3_N6thrust23THRUST_200600_302600_NS6detail15normal_iteratorINS8_10device_ptrIiEEEESD_jNS1_19radix_merge_compareILb1ELb1EiNS0_19identity_decomposerEEEEE10hipError_tT0_T1_T2_jT3_P12ihipStream_tbPNSt15iterator_traitsISI_E10value_typeEPNSO_ISJ_E10value_typeEPSK_NS1_7vsmem_tEENKUlT_SI_SJ_SK_E_clISD_PiSD_S10_EESH_SX_SI_SJ_SK_EUlSX_E_NS1_11comp_targetILNS1_3genE0ELNS1_11target_archE4294967295ELNS1_3gpuE0ELNS1_3repE0EEENS1_48merge_mergepath_partition_config_static_selectorELNS0_4arch9wavefront6targetE1EEEvSJ_,@function
_ZN7rocprim17ROCPRIM_400000_NS6detail17trampoline_kernelINS0_14default_configENS1_38merge_sort_block_merge_config_selectorIiiEEZZNS1_27merge_sort_block_merge_implIS3_N6thrust23THRUST_200600_302600_NS6detail15normal_iteratorINS8_10device_ptrIiEEEESD_jNS1_19radix_merge_compareILb1ELb1EiNS0_19identity_decomposerEEEEE10hipError_tT0_T1_T2_jT3_P12ihipStream_tbPNSt15iterator_traitsISI_E10value_typeEPNSO_ISJ_E10value_typeEPSK_NS1_7vsmem_tEENKUlT_SI_SJ_SK_E_clISD_PiSD_S10_EESH_SX_SI_SJ_SK_EUlSX_E_NS1_11comp_targetILNS1_3genE0ELNS1_11target_archE4294967295ELNS1_3gpuE0ELNS1_3repE0EEENS1_48merge_mergepath_partition_config_static_selectorELNS0_4arch9wavefront6targetE1EEEvSJ_: ; @_ZN7rocprim17ROCPRIM_400000_NS6detail17trampoline_kernelINS0_14default_configENS1_38merge_sort_block_merge_config_selectorIiiEEZZNS1_27merge_sort_block_merge_implIS3_N6thrust23THRUST_200600_302600_NS6detail15normal_iteratorINS8_10device_ptrIiEEEESD_jNS1_19radix_merge_compareILb1ELb1EiNS0_19identity_decomposerEEEEE10hipError_tT0_T1_T2_jT3_P12ihipStream_tbPNSt15iterator_traitsISI_E10value_typeEPNSO_ISJ_E10value_typeEPSK_NS1_7vsmem_tEENKUlT_SI_SJ_SK_E_clISD_PiSD_S10_EESH_SX_SI_SJ_SK_EUlSX_E_NS1_11comp_targetILNS1_3genE0ELNS1_11target_archE4294967295ELNS1_3gpuE0ELNS1_3repE0EEENS1_48merge_mergepath_partition_config_static_selectorELNS0_4arch9wavefront6targetE1EEEvSJ_
; %bb.0:
	s_load_dword s3, s[0:1], 0x0
	v_lshl_or_b32 v0, s2, 7, v0
	s_waitcnt lgkmcnt(0)
	v_cmp_gt_u32_e32 vcc, s3, v0
	s_and_saveexec_b64 s[2:3], vcc
	s_cbranch_execz .LBB1795_6
; %bb.1:
	s_load_dwordx2 s[4:5], s[0:1], 0x4
	s_load_dwordx2 s[2:3], s[0:1], 0x20
	s_waitcnt lgkmcnt(0)
	s_lshr_b32 s6, s4, 9
	s_and_b32 s6, s6, 0x7ffffe
	s_add_i32 s7, s6, -1
	s_sub_i32 s6, 0, s6
	v_and_b32_e32 v1, s6, v0
	v_lshlrev_b32_e32 v1, 10, v1
	v_min_u32_e32 v2, s5, v1
	v_add_u32_e32 v1, s4, v1
	v_min_u32_e32 v4, s5, v1
	v_add_u32_e32 v1, s4, v4
	v_and_b32_e32 v3, s7, v0
	v_min_u32_e32 v1, s5, v1
	v_sub_u32_e32 v5, v1, v2
	v_lshlrev_b32_e32 v3, 10, v3
	v_min_u32_e32 v10, v5, v3
	v_sub_u32_e32 v3, v4, v2
	v_sub_u32_e32 v1, v1, v4
	v_sub_u32_e64 v1, v10, v1 clamp
	v_min_u32_e32 v11, v10, v3
	v_cmp_lt_u32_e32 vcc, v1, v11
	s_and_saveexec_b64 s[4:5], vcc
	s_cbranch_execz .LBB1795_5
; %bb.2:
	s_load_dwordx2 s[8:9], s[0:1], 0x10
	s_load_dword s6, s[0:1], 0x18
	v_mov_b32_e32 v5, 0
	v_mov_b32_e32 v3, v5
	s_mov_b64 s[0:1], 0
	s_waitcnt lgkmcnt(0)
	v_lshl_add_u64 v[6:7], v[2:3], 2, s[8:9]
	v_lshl_add_u64 v[8:9], v[4:5], 2, s[8:9]
.LBB1795_3:                             ; =>This Inner Loop Header: Depth=1
	v_add_u32_e32 v3, v11, v1
	v_lshrrev_b32_e32 v4, 1, v3
	v_mov_b32_e32 v13, v5
	v_xad_u32 v12, v4, -1, v10
	v_lshl_add_u64 v[14:15], v[4:5], 2, v[6:7]
	v_lshl_add_u64 v[12:13], v[12:13], 2, v[8:9]
	flat_load_dword v3, v[14:15]
	flat_load_dword v16, v[12:13]
	v_add_u32_e32 v12, 1, v4
	s_waitcnt vmcnt(0) lgkmcnt(0)
	v_and_b32_e32 v3, s6, v3
	v_and_b32_e32 v13, s6, v16
	v_cmp_gt_i32_e32 vcc, v13, v3
	s_nop 1
	v_cndmask_b32_e32 v11, v11, v4, vcc
	v_cndmask_b32_e32 v1, v12, v1, vcc
	v_cmp_ge_u32_e32 vcc, v1, v11
	s_or_b64 s[0:1], vcc, s[0:1]
	s_andn2_b64 exec, exec, s[0:1]
	s_cbranch_execnz .LBB1795_3
; %bb.4:
	s_or_b64 exec, exec, s[0:1]
.LBB1795_5:
	s_or_b64 exec, exec, s[4:5]
	v_add_u32_e32 v2, v1, v2
	v_mov_b32_e32 v1, 0
	v_lshl_add_u64 v[0:1], v[0:1], 2, s[2:3]
	global_store_dword v[0:1], v2, off
.LBB1795_6:
	s_endpgm
	.section	.rodata,"a",@progbits
	.p2align	6, 0x0
	.amdhsa_kernel _ZN7rocprim17ROCPRIM_400000_NS6detail17trampoline_kernelINS0_14default_configENS1_38merge_sort_block_merge_config_selectorIiiEEZZNS1_27merge_sort_block_merge_implIS3_N6thrust23THRUST_200600_302600_NS6detail15normal_iteratorINS8_10device_ptrIiEEEESD_jNS1_19radix_merge_compareILb1ELb1EiNS0_19identity_decomposerEEEEE10hipError_tT0_T1_T2_jT3_P12ihipStream_tbPNSt15iterator_traitsISI_E10value_typeEPNSO_ISJ_E10value_typeEPSK_NS1_7vsmem_tEENKUlT_SI_SJ_SK_E_clISD_PiSD_S10_EESH_SX_SI_SJ_SK_EUlSX_E_NS1_11comp_targetILNS1_3genE0ELNS1_11target_archE4294967295ELNS1_3gpuE0ELNS1_3repE0EEENS1_48merge_mergepath_partition_config_static_selectorELNS0_4arch9wavefront6targetE1EEEvSJ_
		.amdhsa_group_segment_fixed_size 0
		.amdhsa_private_segment_fixed_size 0
		.amdhsa_kernarg_size 40
		.amdhsa_user_sgpr_count 2
		.amdhsa_user_sgpr_dispatch_ptr 0
		.amdhsa_user_sgpr_queue_ptr 0
		.amdhsa_user_sgpr_kernarg_segment_ptr 1
		.amdhsa_user_sgpr_dispatch_id 0
		.amdhsa_user_sgpr_kernarg_preload_length 0
		.amdhsa_user_sgpr_kernarg_preload_offset 0
		.amdhsa_user_sgpr_private_segment_size 0
		.amdhsa_uses_dynamic_stack 0
		.amdhsa_enable_private_segment 0
		.amdhsa_system_sgpr_workgroup_id_x 1
		.amdhsa_system_sgpr_workgroup_id_y 0
		.amdhsa_system_sgpr_workgroup_id_z 0
		.amdhsa_system_sgpr_workgroup_info 0
		.amdhsa_system_vgpr_workitem_id 0
		.amdhsa_next_free_vgpr 17
		.amdhsa_next_free_sgpr 10
		.amdhsa_accum_offset 20
		.amdhsa_reserve_vcc 1
		.amdhsa_float_round_mode_32 0
		.amdhsa_float_round_mode_16_64 0
		.amdhsa_float_denorm_mode_32 3
		.amdhsa_float_denorm_mode_16_64 3
		.amdhsa_dx10_clamp 1
		.amdhsa_ieee_mode 1
		.amdhsa_fp16_overflow 0
		.amdhsa_tg_split 0
		.amdhsa_exception_fp_ieee_invalid_op 0
		.amdhsa_exception_fp_denorm_src 0
		.amdhsa_exception_fp_ieee_div_zero 0
		.amdhsa_exception_fp_ieee_overflow 0
		.amdhsa_exception_fp_ieee_underflow 0
		.amdhsa_exception_fp_ieee_inexact 0
		.amdhsa_exception_int_div_zero 0
	.end_amdhsa_kernel
	.section	.text._ZN7rocprim17ROCPRIM_400000_NS6detail17trampoline_kernelINS0_14default_configENS1_38merge_sort_block_merge_config_selectorIiiEEZZNS1_27merge_sort_block_merge_implIS3_N6thrust23THRUST_200600_302600_NS6detail15normal_iteratorINS8_10device_ptrIiEEEESD_jNS1_19radix_merge_compareILb1ELb1EiNS0_19identity_decomposerEEEEE10hipError_tT0_T1_T2_jT3_P12ihipStream_tbPNSt15iterator_traitsISI_E10value_typeEPNSO_ISJ_E10value_typeEPSK_NS1_7vsmem_tEENKUlT_SI_SJ_SK_E_clISD_PiSD_S10_EESH_SX_SI_SJ_SK_EUlSX_E_NS1_11comp_targetILNS1_3genE0ELNS1_11target_archE4294967295ELNS1_3gpuE0ELNS1_3repE0EEENS1_48merge_mergepath_partition_config_static_selectorELNS0_4arch9wavefront6targetE1EEEvSJ_,"axG",@progbits,_ZN7rocprim17ROCPRIM_400000_NS6detail17trampoline_kernelINS0_14default_configENS1_38merge_sort_block_merge_config_selectorIiiEEZZNS1_27merge_sort_block_merge_implIS3_N6thrust23THRUST_200600_302600_NS6detail15normal_iteratorINS8_10device_ptrIiEEEESD_jNS1_19radix_merge_compareILb1ELb1EiNS0_19identity_decomposerEEEEE10hipError_tT0_T1_T2_jT3_P12ihipStream_tbPNSt15iterator_traitsISI_E10value_typeEPNSO_ISJ_E10value_typeEPSK_NS1_7vsmem_tEENKUlT_SI_SJ_SK_E_clISD_PiSD_S10_EESH_SX_SI_SJ_SK_EUlSX_E_NS1_11comp_targetILNS1_3genE0ELNS1_11target_archE4294967295ELNS1_3gpuE0ELNS1_3repE0EEENS1_48merge_mergepath_partition_config_static_selectorELNS0_4arch9wavefront6targetE1EEEvSJ_,comdat
.Lfunc_end1795:
	.size	_ZN7rocprim17ROCPRIM_400000_NS6detail17trampoline_kernelINS0_14default_configENS1_38merge_sort_block_merge_config_selectorIiiEEZZNS1_27merge_sort_block_merge_implIS3_N6thrust23THRUST_200600_302600_NS6detail15normal_iteratorINS8_10device_ptrIiEEEESD_jNS1_19radix_merge_compareILb1ELb1EiNS0_19identity_decomposerEEEEE10hipError_tT0_T1_T2_jT3_P12ihipStream_tbPNSt15iterator_traitsISI_E10value_typeEPNSO_ISJ_E10value_typeEPSK_NS1_7vsmem_tEENKUlT_SI_SJ_SK_E_clISD_PiSD_S10_EESH_SX_SI_SJ_SK_EUlSX_E_NS1_11comp_targetILNS1_3genE0ELNS1_11target_archE4294967295ELNS1_3gpuE0ELNS1_3repE0EEENS1_48merge_mergepath_partition_config_static_selectorELNS0_4arch9wavefront6targetE1EEEvSJ_, .Lfunc_end1795-_ZN7rocprim17ROCPRIM_400000_NS6detail17trampoline_kernelINS0_14default_configENS1_38merge_sort_block_merge_config_selectorIiiEEZZNS1_27merge_sort_block_merge_implIS3_N6thrust23THRUST_200600_302600_NS6detail15normal_iteratorINS8_10device_ptrIiEEEESD_jNS1_19radix_merge_compareILb1ELb1EiNS0_19identity_decomposerEEEEE10hipError_tT0_T1_T2_jT3_P12ihipStream_tbPNSt15iterator_traitsISI_E10value_typeEPNSO_ISJ_E10value_typeEPSK_NS1_7vsmem_tEENKUlT_SI_SJ_SK_E_clISD_PiSD_S10_EESH_SX_SI_SJ_SK_EUlSX_E_NS1_11comp_targetILNS1_3genE0ELNS1_11target_archE4294967295ELNS1_3gpuE0ELNS1_3repE0EEENS1_48merge_mergepath_partition_config_static_selectorELNS0_4arch9wavefront6targetE1EEEvSJ_
                                        ; -- End function
	.set _ZN7rocprim17ROCPRIM_400000_NS6detail17trampoline_kernelINS0_14default_configENS1_38merge_sort_block_merge_config_selectorIiiEEZZNS1_27merge_sort_block_merge_implIS3_N6thrust23THRUST_200600_302600_NS6detail15normal_iteratorINS8_10device_ptrIiEEEESD_jNS1_19radix_merge_compareILb1ELb1EiNS0_19identity_decomposerEEEEE10hipError_tT0_T1_T2_jT3_P12ihipStream_tbPNSt15iterator_traitsISI_E10value_typeEPNSO_ISJ_E10value_typeEPSK_NS1_7vsmem_tEENKUlT_SI_SJ_SK_E_clISD_PiSD_S10_EESH_SX_SI_SJ_SK_EUlSX_E_NS1_11comp_targetILNS1_3genE0ELNS1_11target_archE4294967295ELNS1_3gpuE0ELNS1_3repE0EEENS1_48merge_mergepath_partition_config_static_selectorELNS0_4arch9wavefront6targetE1EEEvSJ_.num_vgpr, 17
	.set _ZN7rocprim17ROCPRIM_400000_NS6detail17trampoline_kernelINS0_14default_configENS1_38merge_sort_block_merge_config_selectorIiiEEZZNS1_27merge_sort_block_merge_implIS3_N6thrust23THRUST_200600_302600_NS6detail15normal_iteratorINS8_10device_ptrIiEEEESD_jNS1_19radix_merge_compareILb1ELb1EiNS0_19identity_decomposerEEEEE10hipError_tT0_T1_T2_jT3_P12ihipStream_tbPNSt15iterator_traitsISI_E10value_typeEPNSO_ISJ_E10value_typeEPSK_NS1_7vsmem_tEENKUlT_SI_SJ_SK_E_clISD_PiSD_S10_EESH_SX_SI_SJ_SK_EUlSX_E_NS1_11comp_targetILNS1_3genE0ELNS1_11target_archE4294967295ELNS1_3gpuE0ELNS1_3repE0EEENS1_48merge_mergepath_partition_config_static_selectorELNS0_4arch9wavefront6targetE1EEEvSJ_.num_agpr, 0
	.set _ZN7rocprim17ROCPRIM_400000_NS6detail17trampoline_kernelINS0_14default_configENS1_38merge_sort_block_merge_config_selectorIiiEEZZNS1_27merge_sort_block_merge_implIS3_N6thrust23THRUST_200600_302600_NS6detail15normal_iteratorINS8_10device_ptrIiEEEESD_jNS1_19radix_merge_compareILb1ELb1EiNS0_19identity_decomposerEEEEE10hipError_tT0_T1_T2_jT3_P12ihipStream_tbPNSt15iterator_traitsISI_E10value_typeEPNSO_ISJ_E10value_typeEPSK_NS1_7vsmem_tEENKUlT_SI_SJ_SK_E_clISD_PiSD_S10_EESH_SX_SI_SJ_SK_EUlSX_E_NS1_11comp_targetILNS1_3genE0ELNS1_11target_archE4294967295ELNS1_3gpuE0ELNS1_3repE0EEENS1_48merge_mergepath_partition_config_static_selectorELNS0_4arch9wavefront6targetE1EEEvSJ_.numbered_sgpr, 10
	.set _ZN7rocprim17ROCPRIM_400000_NS6detail17trampoline_kernelINS0_14default_configENS1_38merge_sort_block_merge_config_selectorIiiEEZZNS1_27merge_sort_block_merge_implIS3_N6thrust23THRUST_200600_302600_NS6detail15normal_iteratorINS8_10device_ptrIiEEEESD_jNS1_19radix_merge_compareILb1ELb1EiNS0_19identity_decomposerEEEEE10hipError_tT0_T1_T2_jT3_P12ihipStream_tbPNSt15iterator_traitsISI_E10value_typeEPNSO_ISJ_E10value_typeEPSK_NS1_7vsmem_tEENKUlT_SI_SJ_SK_E_clISD_PiSD_S10_EESH_SX_SI_SJ_SK_EUlSX_E_NS1_11comp_targetILNS1_3genE0ELNS1_11target_archE4294967295ELNS1_3gpuE0ELNS1_3repE0EEENS1_48merge_mergepath_partition_config_static_selectorELNS0_4arch9wavefront6targetE1EEEvSJ_.num_named_barrier, 0
	.set _ZN7rocprim17ROCPRIM_400000_NS6detail17trampoline_kernelINS0_14default_configENS1_38merge_sort_block_merge_config_selectorIiiEEZZNS1_27merge_sort_block_merge_implIS3_N6thrust23THRUST_200600_302600_NS6detail15normal_iteratorINS8_10device_ptrIiEEEESD_jNS1_19radix_merge_compareILb1ELb1EiNS0_19identity_decomposerEEEEE10hipError_tT0_T1_T2_jT3_P12ihipStream_tbPNSt15iterator_traitsISI_E10value_typeEPNSO_ISJ_E10value_typeEPSK_NS1_7vsmem_tEENKUlT_SI_SJ_SK_E_clISD_PiSD_S10_EESH_SX_SI_SJ_SK_EUlSX_E_NS1_11comp_targetILNS1_3genE0ELNS1_11target_archE4294967295ELNS1_3gpuE0ELNS1_3repE0EEENS1_48merge_mergepath_partition_config_static_selectorELNS0_4arch9wavefront6targetE1EEEvSJ_.private_seg_size, 0
	.set _ZN7rocprim17ROCPRIM_400000_NS6detail17trampoline_kernelINS0_14default_configENS1_38merge_sort_block_merge_config_selectorIiiEEZZNS1_27merge_sort_block_merge_implIS3_N6thrust23THRUST_200600_302600_NS6detail15normal_iteratorINS8_10device_ptrIiEEEESD_jNS1_19radix_merge_compareILb1ELb1EiNS0_19identity_decomposerEEEEE10hipError_tT0_T1_T2_jT3_P12ihipStream_tbPNSt15iterator_traitsISI_E10value_typeEPNSO_ISJ_E10value_typeEPSK_NS1_7vsmem_tEENKUlT_SI_SJ_SK_E_clISD_PiSD_S10_EESH_SX_SI_SJ_SK_EUlSX_E_NS1_11comp_targetILNS1_3genE0ELNS1_11target_archE4294967295ELNS1_3gpuE0ELNS1_3repE0EEENS1_48merge_mergepath_partition_config_static_selectorELNS0_4arch9wavefront6targetE1EEEvSJ_.uses_vcc, 1
	.set _ZN7rocprim17ROCPRIM_400000_NS6detail17trampoline_kernelINS0_14default_configENS1_38merge_sort_block_merge_config_selectorIiiEEZZNS1_27merge_sort_block_merge_implIS3_N6thrust23THRUST_200600_302600_NS6detail15normal_iteratorINS8_10device_ptrIiEEEESD_jNS1_19radix_merge_compareILb1ELb1EiNS0_19identity_decomposerEEEEE10hipError_tT0_T1_T2_jT3_P12ihipStream_tbPNSt15iterator_traitsISI_E10value_typeEPNSO_ISJ_E10value_typeEPSK_NS1_7vsmem_tEENKUlT_SI_SJ_SK_E_clISD_PiSD_S10_EESH_SX_SI_SJ_SK_EUlSX_E_NS1_11comp_targetILNS1_3genE0ELNS1_11target_archE4294967295ELNS1_3gpuE0ELNS1_3repE0EEENS1_48merge_mergepath_partition_config_static_selectorELNS0_4arch9wavefront6targetE1EEEvSJ_.uses_flat_scratch, 0
	.set _ZN7rocprim17ROCPRIM_400000_NS6detail17trampoline_kernelINS0_14default_configENS1_38merge_sort_block_merge_config_selectorIiiEEZZNS1_27merge_sort_block_merge_implIS3_N6thrust23THRUST_200600_302600_NS6detail15normal_iteratorINS8_10device_ptrIiEEEESD_jNS1_19radix_merge_compareILb1ELb1EiNS0_19identity_decomposerEEEEE10hipError_tT0_T1_T2_jT3_P12ihipStream_tbPNSt15iterator_traitsISI_E10value_typeEPNSO_ISJ_E10value_typeEPSK_NS1_7vsmem_tEENKUlT_SI_SJ_SK_E_clISD_PiSD_S10_EESH_SX_SI_SJ_SK_EUlSX_E_NS1_11comp_targetILNS1_3genE0ELNS1_11target_archE4294967295ELNS1_3gpuE0ELNS1_3repE0EEENS1_48merge_mergepath_partition_config_static_selectorELNS0_4arch9wavefront6targetE1EEEvSJ_.has_dyn_sized_stack, 0
	.set _ZN7rocprim17ROCPRIM_400000_NS6detail17trampoline_kernelINS0_14default_configENS1_38merge_sort_block_merge_config_selectorIiiEEZZNS1_27merge_sort_block_merge_implIS3_N6thrust23THRUST_200600_302600_NS6detail15normal_iteratorINS8_10device_ptrIiEEEESD_jNS1_19radix_merge_compareILb1ELb1EiNS0_19identity_decomposerEEEEE10hipError_tT0_T1_T2_jT3_P12ihipStream_tbPNSt15iterator_traitsISI_E10value_typeEPNSO_ISJ_E10value_typeEPSK_NS1_7vsmem_tEENKUlT_SI_SJ_SK_E_clISD_PiSD_S10_EESH_SX_SI_SJ_SK_EUlSX_E_NS1_11comp_targetILNS1_3genE0ELNS1_11target_archE4294967295ELNS1_3gpuE0ELNS1_3repE0EEENS1_48merge_mergepath_partition_config_static_selectorELNS0_4arch9wavefront6targetE1EEEvSJ_.has_recursion, 0
	.set _ZN7rocprim17ROCPRIM_400000_NS6detail17trampoline_kernelINS0_14default_configENS1_38merge_sort_block_merge_config_selectorIiiEEZZNS1_27merge_sort_block_merge_implIS3_N6thrust23THRUST_200600_302600_NS6detail15normal_iteratorINS8_10device_ptrIiEEEESD_jNS1_19radix_merge_compareILb1ELb1EiNS0_19identity_decomposerEEEEE10hipError_tT0_T1_T2_jT3_P12ihipStream_tbPNSt15iterator_traitsISI_E10value_typeEPNSO_ISJ_E10value_typeEPSK_NS1_7vsmem_tEENKUlT_SI_SJ_SK_E_clISD_PiSD_S10_EESH_SX_SI_SJ_SK_EUlSX_E_NS1_11comp_targetILNS1_3genE0ELNS1_11target_archE4294967295ELNS1_3gpuE0ELNS1_3repE0EEENS1_48merge_mergepath_partition_config_static_selectorELNS0_4arch9wavefront6targetE1EEEvSJ_.has_indirect_call, 0
	.section	.AMDGPU.csdata,"",@progbits
; Kernel info:
; codeLenInByte = 332
; TotalNumSgprs: 16
; NumVgprs: 17
; NumAgprs: 0
; TotalNumVgprs: 17
; ScratchSize: 0
; MemoryBound: 0
; FloatMode: 240
; IeeeMode: 1
; LDSByteSize: 0 bytes/workgroup (compile time only)
; SGPRBlocks: 1
; VGPRBlocks: 2
; NumSGPRsForWavesPerEU: 16
; NumVGPRsForWavesPerEU: 17
; AccumOffset: 20
; Occupancy: 8
; WaveLimiterHint : 0
; COMPUTE_PGM_RSRC2:SCRATCH_EN: 0
; COMPUTE_PGM_RSRC2:USER_SGPR: 2
; COMPUTE_PGM_RSRC2:TRAP_HANDLER: 0
; COMPUTE_PGM_RSRC2:TGID_X_EN: 1
; COMPUTE_PGM_RSRC2:TGID_Y_EN: 0
; COMPUTE_PGM_RSRC2:TGID_Z_EN: 0
; COMPUTE_PGM_RSRC2:TIDIG_COMP_CNT: 0
; COMPUTE_PGM_RSRC3_GFX90A:ACCUM_OFFSET: 4
; COMPUTE_PGM_RSRC3_GFX90A:TG_SPLIT: 0
	.section	.text._ZN7rocprim17ROCPRIM_400000_NS6detail17trampoline_kernelINS0_14default_configENS1_38merge_sort_block_merge_config_selectorIiiEEZZNS1_27merge_sort_block_merge_implIS3_N6thrust23THRUST_200600_302600_NS6detail15normal_iteratorINS8_10device_ptrIiEEEESD_jNS1_19radix_merge_compareILb1ELb1EiNS0_19identity_decomposerEEEEE10hipError_tT0_T1_T2_jT3_P12ihipStream_tbPNSt15iterator_traitsISI_E10value_typeEPNSO_ISJ_E10value_typeEPSK_NS1_7vsmem_tEENKUlT_SI_SJ_SK_E_clISD_PiSD_S10_EESH_SX_SI_SJ_SK_EUlSX_E_NS1_11comp_targetILNS1_3genE10ELNS1_11target_archE1201ELNS1_3gpuE5ELNS1_3repE0EEENS1_48merge_mergepath_partition_config_static_selectorELNS0_4arch9wavefront6targetE1EEEvSJ_,"axG",@progbits,_ZN7rocprim17ROCPRIM_400000_NS6detail17trampoline_kernelINS0_14default_configENS1_38merge_sort_block_merge_config_selectorIiiEEZZNS1_27merge_sort_block_merge_implIS3_N6thrust23THRUST_200600_302600_NS6detail15normal_iteratorINS8_10device_ptrIiEEEESD_jNS1_19radix_merge_compareILb1ELb1EiNS0_19identity_decomposerEEEEE10hipError_tT0_T1_T2_jT3_P12ihipStream_tbPNSt15iterator_traitsISI_E10value_typeEPNSO_ISJ_E10value_typeEPSK_NS1_7vsmem_tEENKUlT_SI_SJ_SK_E_clISD_PiSD_S10_EESH_SX_SI_SJ_SK_EUlSX_E_NS1_11comp_targetILNS1_3genE10ELNS1_11target_archE1201ELNS1_3gpuE5ELNS1_3repE0EEENS1_48merge_mergepath_partition_config_static_selectorELNS0_4arch9wavefront6targetE1EEEvSJ_,comdat
	.protected	_ZN7rocprim17ROCPRIM_400000_NS6detail17trampoline_kernelINS0_14default_configENS1_38merge_sort_block_merge_config_selectorIiiEEZZNS1_27merge_sort_block_merge_implIS3_N6thrust23THRUST_200600_302600_NS6detail15normal_iteratorINS8_10device_ptrIiEEEESD_jNS1_19radix_merge_compareILb1ELb1EiNS0_19identity_decomposerEEEEE10hipError_tT0_T1_T2_jT3_P12ihipStream_tbPNSt15iterator_traitsISI_E10value_typeEPNSO_ISJ_E10value_typeEPSK_NS1_7vsmem_tEENKUlT_SI_SJ_SK_E_clISD_PiSD_S10_EESH_SX_SI_SJ_SK_EUlSX_E_NS1_11comp_targetILNS1_3genE10ELNS1_11target_archE1201ELNS1_3gpuE5ELNS1_3repE0EEENS1_48merge_mergepath_partition_config_static_selectorELNS0_4arch9wavefront6targetE1EEEvSJ_ ; -- Begin function _ZN7rocprim17ROCPRIM_400000_NS6detail17trampoline_kernelINS0_14default_configENS1_38merge_sort_block_merge_config_selectorIiiEEZZNS1_27merge_sort_block_merge_implIS3_N6thrust23THRUST_200600_302600_NS6detail15normal_iteratorINS8_10device_ptrIiEEEESD_jNS1_19radix_merge_compareILb1ELb1EiNS0_19identity_decomposerEEEEE10hipError_tT0_T1_T2_jT3_P12ihipStream_tbPNSt15iterator_traitsISI_E10value_typeEPNSO_ISJ_E10value_typeEPSK_NS1_7vsmem_tEENKUlT_SI_SJ_SK_E_clISD_PiSD_S10_EESH_SX_SI_SJ_SK_EUlSX_E_NS1_11comp_targetILNS1_3genE10ELNS1_11target_archE1201ELNS1_3gpuE5ELNS1_3repE0EEENS1_48merge_mergepath_partition_config_static_selectorELNS0_4arch9wavefront6targetE1EEEvSJ_
	.globl	_ZN7rocprim17ROCPRIM_400000_NS6detail17trampoline_kernelINS0_14default_configENS1_38merge_sort_block_merge_config_selectorIiiEEZZNS1_27merge_sort_block_merge_implIS3_N6thrust23THRUST_200600_302600_NS6detail15normal_iteratorINS8_10device_ptrIiEEEESD_jNS1_19radix_merge_compareILb1ELb1EiNS0_19identity_decomposerEEEEE10hipError_tT0_T1_T2_jT3_P12ihipStream_tbPNSt15iterator_traitsISI_E10value_typeEPNSO_ISJ_E10value_typeEPSK_NS1_7vsmem_tEENKUlT_SI_SJ_SK_E_clISD_PiSD_S10_EESH_SX_SI_SJ_SK_EUlSX_E_NS1_11comp_targetILNS1_3genE10ELNS1_11target_archE1201ELNS1_3gpuE5ELNS1_3repE0EEENS1_48merge_mergepath_partition_config_static_selectorELNS0_4arch9wavefront6targetE1EEEvSJ_
	.p2align	8
	.type	_ZN7rocprim17ROCPRIM_400000_NS6detail17trampoline_kernelINS0_14default_configENS1_38merge_sort_block_merge_config_selectorIiiEEZZNS1_27merge_sort_block_merge_implIS3_N6thrust23THRUST_200600_302600_NS6detail15normal_iteratorINS8_10device_ptrIiEEEESD_jNS1_19radix_merge_compareILb1ELb1EiNS0_19identity_decomposerEEEEE10hipError_tT0_T1_T2_jT3_P12ihipStream_tbPNSt15iterator_traitsISI_E10value_typeEPNSO_ISJ_E10value_typeEPSK_NS1_7vsmem_tEENKUlT_SI_SJ_SK_E_clISD_PiSD_S10_EESH_SX_SI_SJ_SK_EUlSX_E_NS1_11comp_targetILNS1_3genE10ELNS1_11target_archE1201ELNS1_3gpuE5ELNS1_3repE0EEENS1_48merge_mergepath_partition_config_static_selectorELNS0_4arch9wavefront6targetE1EEEvSJ_,@function
_ZN7rocprim17ROCPRIM_400000_NS6detail17trampoline_kernelINS0_14default_configENS1_38merge_sort_block_merge_config_selectorIiiEEZZNS1_27merge_sort_block_merge_implIS3_N6thrust23THRUST_200600_302600_NS6detail15normal_iteratorINS8_10device_ptrIiEEEESD_jNS1_19radix_merge_compareILb1ELb1EiNS0_19identity_decomposerEEEEE10hipError_tT0_T1_T2_jT3_P12ihipStream_tbPNSt15iterator_traitsISI_E10value_typeEPNSO_ISJ_E10value_typeEPSK_NS1_7vsmem_tEENKUlT_SI_SJ_SK_E_clISD_PiSD_S10_EESH_SX_SI_SJ_SK_EUlSX_E_NS1_11comp_targetILNS1_3genE10ELNS1_11target_archE1201ELNS1_3gpuE5ELNS1_3repE0EEENS1_48merge_mergepath_partition_config_static_selectorELNS0_4arch9wavefront6targetE1EEEvSJ_: ; @_ZN7rocprim17ROCPRIM_400000_NS6detail17trampoline_kernelINS0_14default_configENS1_38merge_sort_block_merge_config_selectorIiiEEZZNS1_27merge_sort_block_merge_implIS3_N6thrust23THRUST_200600_302600_NS6detail15normal_iteratorINS8_10device_ptrIiEEEESD_jNS1_19radix_merge_compareILb1ELb1EiNS0_19identity_decomposerEEEEE10hipError_tT0_T1_T2_jT3_P12ihipStream_tbPNSt15iterator_traitsISI_E10value_typeEPNSO_ISJ_E10value_typeEPSK_NS1_7vsmem_tEENKUlT_SI_SJ_SK_E_clISD_PiSD_S10_EESH_SX_SI_SJ_SK_EUlSX_E_NS1_11comp_targetILNS1_3genE10ELNS1_11target_archE1201ELNS1_3gpuE5ELNS1_3repE0EEENS1_48merge_mergepath_partition_config_static_selectorELNS0_4arch9wavefront6targetE1EEEvSJ_
; %bb.0:
	.section	.rodata,"a",@progbits
	.p2align	6, 0x0
	.amdhsa_kernel _ZN7rocprim17ROCPRIM_400000_NS6detail17trampoline_kernelINS0_14default_configENS1_38merge_sort_block_merge_config_selectorIiiEEZZNS1_27merge_sort_block_merge_implIS3_N6thrust23THRUST_200600_302600_NS6detail15normal_iteratorINS8_10device_ptrIiEEEESD_jNS1_19radix_merge_compareILb1ELb1EiNS0_19identity_decomposerEEEEE10hipError_tT0_T1_T2_jT3_P12ihipStream_tbPNSt15iterator_traitsISI_E10value_typeEPNSO_ISJ_E10value_typeEPSK_NS1_7vsmem_tEENKUlT_SI_SJ_SK_E_clISD_PiSD_S10_EESH_SX_SI_SJ_SK_EUlSX_E_NS1_11comp_targetILNS1_3genE10ELNS1_11target_archE1201ELNS1_3gpuE5ELNS1_3repE0EEENS1_48merge_mergepath_partition_config_static_selectorELNS0_4arch9wavefront6targetE1EEEvSJ_
		.amdhsa_group_segment_fixed_size 0
		.amdhsa_private_segment_fixed_size 0
		.amdhsa_kernarg_size 40
		.amdhsa_user_sgpr_count 2
		.amdhsa_user_sgpr_dispatch_ptr 0
		.amdhsa_user_sgpr_queue_ptr 0
		.amdhsa_user_sgpr_kernarg_segment_ptr 1
		.amdhsa_user_sgpr_dispatch_id 0
		.amdhsa_user_sgpr_kernarg_preload_length 0
		.amdhsa_user_sgpr_kernarg_preload_offset 0
		.amdhsa_user_sgpr_private_segment_size 0
		.amdhsa_uses_dynamic_stack 0
		.amdhsa_enable_private_segment 0
		.amdhsa_system_sgpr_workgroup_id_x 1
		.amdhsa_system_sgpr_workgroup_id_y 0
		.amdhsa_system_sgpr_workgroup_id_z 0
		.amdhsa_system_sgpr_workgroup_info 0
		.amdhsa_system_vgpr_workitem_id 0
		.amdhsa_next_free_vgpr 1
		.amdhsa_next_free_sgpr 0
		.amdhsa_accum_offset 4
		.amdhsa_reserve_vcc 0
		.amdhsa_float_round_mode_32 0
		.amdhsa_float_round_mode_16_64 0
		.amdhsa_float_denorm_mode_32 3
		.amdhsa_float_denorm_mode_16_64 3
		.amdhsa_dx10_clamp 1
		.amdhsa_ieee_mode 1
		.amdhsa_fp16_overflow 0
		.amdhsa_tg_split 0
		.amdhsa_exception_fp_ieee_invalid_op 0
		.amdhsa_exception_fp_denorm_src 0
		.amdhsa_exception_fp_ieee_div_zero 0
		.amdhsa_exception_fp_ieee_overflow 0
		.amdhsa_exception_fp_ieee_underflow 0
		.amdhsa_exception_fp_ieee_inexact 0
		.amdhsa_exception_int_div_zero 0
	.end_amdhsa_kernel
	.section	.text._ZN7rocprim17ROCPRIM_400000_NS6detail17trampoline_kernelINS0_14default_configENS1_38merge_sort_block_merge_config_selectorIiiEEZZNS1_27merge_sort_block_merge_implIS3_N6thrust23THRUST_200600_302600_NS6detail15normal_iteratorINS8_10device_ptrIiEEEESD_jNS1_19radix_merge_compareILb1ELb1EiNS0_19identity_decomposerEEEEE10hipError_tT0_T1_T2_jT3_P12ihipStream_tbPNSt15iterator_traitsISI_E10value_typeEPNSO_ISJ_E10value_typeEPSK_NS1_7vsmem_tEENKUlT_SI_SJ_SK_E_clISD_PiSD_S10_EESH_SX_SI_SJ_SK_EUlSX_E_NS1_11comp_targetILNS1_3genE10ELNS1_11target_archE1201ELNS1_3gpuE5ELNS1_3repE0EEENS1_48merge_mergepath_partition_config_static_selectorELNS0_4arch9wavefront6targetE1EEEvSJ_,"axG",@progbits,_ZN7rocprim17ROCPRIM_400000_NS6detail17trampoline_kernelINS0_14default_configENS1_38merge_sort_block_merge_config_selectorIiiEEZZNS1_27merge_sort_block_merge_implIS3_N6thrust23THRUST_200600_302600_NS6detail15normal_iteratorINS8_10device_ptrIiEEEESD_jNS1_19radix_merge_compareILb1ELb1EiNS0_19identity_decomposerEEEEE10hipError_tT0_T1_T2_jT3_P12ihipStream_tbPNSt15iterator_traitsISI_E10value_typeEPNSO_ISJ_E10value_typeEPSK_NS1_7vsmem_tEENKUlT_SI_SJ_SK_E_clISD_PiSD_S10_EESH_SX_SI_SJ_SK_EUlSX_E_NS1_11comp_targetILNS1_3genE10ELNS1_11target_archE1201ELNS1_3gpuE5ELNS1_3repE0EEENS1_48merge_mergepath_partition_config_static_selectorELNS0_4arch9wavefront6targetE1EEEvSJ_,comdat
.Lfunc_end1796:
	.size	_ZN7rocprim17ROCPRIM_400000_NS6detail17trampoline_kernelINS0_14default_configENS1_38merge_sort_block_merge_config_selectorIiiEEZZNS1_27merge_sort_block_merge_implIS3_N6thrust23THRUST_200600_302600_NS6detail15normal_iteratorINS8_10device_ptrIiEEEESD_jNS1_19radix_merge_compareILb1ELb1EiNS0_19identity_decomposerEEEEE10hipError_tT0_T1_T2_jT3_P12ihipStream_tbPNSt15iterator_traitsISI_E10value_typeEPNSO_ISJ_E10value_typeEPSK_NS1_7vsmem_tEENKUlT_SI_SJ_SK_E_clISD_PiSD_S10_EESH_SX_SI_SJ_SK_EUlSX_E_NS1_11comp_targetILNS1_3genE10ELNS1_11target_archE1201ELNS1_3gpuE5ELNS1_3repE0EEENS1_48merge_mergepath_partition_config_static_selectorELNS0_4arch9wavefront6targetE1EEEvSJ_, .Lfunc_end1796-_ZN7rocprim17ROCPRIM_400000_NS6detail17trampoline_kernelINS0_14default_configENS1_38merge_sort_block_merge_config_selectorIiiEEZZNS1_27merge_sort_block_merge_implIS3_N6thrust23THRUST_200600_302600_NS6detail15normal_iteratorINS8_10device_ptrIiEEEESD_jNS1_19radix_merge_compareILb1ELb1EiNS0_19identity_decomposerEEEEE10hipError_tT0_T1_T2_jT3_P12ihipStream_tbPNSt15iterator_traitsISI_E10value_typeEPNSO_ISJ_E10value_typeEPSK_NS1_7vsmem_tEENKUlT_SI_SJ_SK_E_clISD_PiSD_S10_EESH_SX_SI_SJ_SK_EUlSX_E_NS1_11comp_targetILNS1_3genE10ELNS1_11target_archE1201ELNS1_3gpuE5ELNS1_3repE0EEENS1_48merge_mergepath_partition_config_static_selectorELNS0_4arch9wavefront6targetE1EEEvSJ_
                                        ; -- End function
	.set _ZN7rocprim17ROCPRIM_400000_NS6detail17trampoline_kernelINS0_14default_configENS1_38merge_sort_block_merge_config_selectorIiiEEZZNS1_27merge_sort_block_merge_implIS3_N6thrust23THRUST_200600_302600_NS6detail15normal_iteratorINS8_10device_ptrIiEEEESD_jNS1_19radix_merge_compareILb1ELb1EiNS0_19identity_decomposerEEEEE10hipError_tT0_T1_T2_jT3_P12ihipStream_tbPNSt15iterator_traitsISI_E10value_typeEPNSO_ISJ_E10value_typeEPSK_NS1_7vsmem_tEENKUlT_SI_SJ_SK_E_clISD_PiSD_S10_EESH_SX_SI_SJ_SK_EUlSX_E_NS1_11comp_targetILNS1_3genE10ELNS1_11target_archE1201ELNS1_3gpuE5ELNS1_3repE0EEENS1_48merge_mergepath_partition_config_static_selectorELNS0_4arch9wavefront6targetE1EEEvSJ_.num_vgpr, 0
	.set _ZN7rocprim17ROCPRIM_400000_NS6detail17trampoline_kernelINS0_14default_configENS1_38merge_sort_block_merge_config_selectorIiiEEZZNS1_27merge_sort_block_merge_implIS3_N6thrust23THRUST_200600_302600_NS6detail15normal_iteratorINS8_10device_ptrIiEEEESD_jNS1_19radix_merge_compareILb1ELb1EiNS0_19identity_decomposerEEEEE10hipError_tT0_T1_T2_jT3_P12ihipStream_tbPNSt15iterator_traitsISI_E10value_typeEPNSO_ISJ_E10value_typeEPSK_NS1_7vsmem_tEENKUlT_SI_SJ_SK_E_clISD_PiSD_S10_EESH_SX_SI_SJ_SK_EUlSX_E_NS1_11comp_targetILNS1_3genE10ELNS1_11target_archE1201ELNS1_3gpuE5ELNS1_3repE0EEENS1_48merge_mergepath_partition_config_static_selectorELNS0_4arch9wavefront6targetE1EEEvSJ_.num_agpr, 0
	.set _ZN7rocprim17ROCPRIM_400000_NS6detail17trampoline_kernelINS0_14default_configENS1_38merge_sort_block_merge_config_selectorIiiEEZZNS1_27merge_sort_block_merge_implIS3_N6thrust23THRUST_200600_302600_NS6detail15normal_iteratorINS8_10device_ptrIiEEEESD_jNS1_19radix_merge_compareILb1ELb1EiNS0_19identity_decomposerEEEEE10hipError_tT0_T1_T2_jT3_P12ihipStream_tbPNSt15iterator_traitsISI_E10value_typeEPNSO_ISJ_E10value_typeEPSK_NS1_7vsmem_tEENKUlT_SI_SJ_SK_E_clISD_PiSD_S10_EESH_SX_SI_SJ_SK_EUlSX_E_NS1_11comp_targetILNS1_3genE10ELNS1_11target_archE1201ELNS1_3gpuE5ELNS1_3repE0EEENS1_48merge_mergepath_partition_config_static_selectorELNS0_4arch9wavefront6targetE1EEEvSJ_.numbered_sgpr, 0
	.set _ZN7rocprim17ROCPRIM_400000_NS6detail17trampoline_kernelINS0_14default_configENS1_38merge_sort_block_merge_config_selectorIiiEEZZNS1_27merge_sort_block_merge_implIS3_N6thrust23THRUST_200600_302600_NS6detail15normal_iteratorINS8_10device_ptrIiEEEESD_jNS1_19radix_merge_compareILb1ELb1EiNS0_19identity_decomposerEEEEE10hipError_tT0_T1_T2_jT3_P12ihipStream_tbPNSt15iterator_traitsISI_E10value_typeEPNSO_ISJ_E10value_typeEPSK_NS1_7vsmem_tEENKUlT_SI_SJ_SK_E_clISD_PiSD_S10_EESH_SX_SI_SJ_SK_EUlSX_E_NS1_11comp_targetILNS1_3genE10ELNS1_11target_archE1201ELNS1_3gpuE5ELNS1_3repE0EEENS1_48merge_mergepath_partition_config_static_selectorELNS0_4arch9wavefront6targetE1EEEvSJ_.num_named_barrier, 0
	.set _ZN7rocprim17ROCPRIM_400000_NS6detail17trampoline_kernelINS0_14default_configENS1_38merge_sort_block_merge_config_selectorIiiEEZZNS1_27merge_sort_block_merge_implIS3_N6thrust23THRUST_200600_302600_NS6detail15normal_iteratorINS8_10device_ptrIiEEEESD_jNS1_19radix_merge_compareILb1ELb1EiNS0_19identity_decomposerEEEEE10hipError_tT0_T1_T2_jT3_P12ihipStream_tbPNSt15iterator_traitsISI_E10value_typeEPNSO_ISJ_E10value_typeEPSK_NS1_7vsmem_tEENKUlT_SI_SJ_SK_E_clISD_PiSD_S10_EESH_SX_SI_SJ_SK_EUlSX_E_NS1_11comp_targetILNS1_3genE10ELNS1_11target_archE1201ELNS1_3gpuE5ELNS1_3repE0EEENS1_48merge_mergepath_partition_config_static_selectorELNS0_4arch9wavefront6targetE1EEEvSJ_.private_seg_size, 0
	.set _ZN7rocprim17ROCPRIM_400000_NS6detail17trampoline_kernelINS0_14default_configENS1_38merge_sort_block_merge_config_selectorIiiEEZZNS1_27merge_sort_block_merge_implIS3_N6thrust23THRUST_200600_302600_NS6detail15normal_iteratorINS8_10device_ptrIiEEEESD_jNS1_19radix_merge_compareILb1ELb1EiNS0_19identity_decomposerEEEEE10hipError_tT0_T1_T2_jT3_P12ihipStream_tbPNSt15iterator_traitsISI_E10value_typeEPNSO_ISJ_E10value_typeEPSK_NS1_7vsmem_tEENKUlT_SI_SJ_SK_E_clISD_PiSD_S10_EESH_SX_SI_SJ_SK_EUlSX_E_NS1_11comp_targetILNS1_3genE10ELNS1_11target_archE1201ELNS1_3gpuE5ELNS1_3repE0EEENS1_48merge_mergepath_partition_config_static_selectorELNS0_4arch9wavefront6targetE1EEEvSJ_.uses_vcc, 0
	.set _ZN7rocprim17ROCPRIM_400000_NS6detail17trampoline_kernelINS0_14default_configENS1_38merge_sort_block_merge_config_selectorIiiEEZZNS1_27merge_sort_block_merge_implIS3_N6thrust23THRUST_200600_302600_NS6detail15normal_iteratorINS8_10device_ptrIiEEEESD_jNS1_19radix_merge_compareILb1ELb1EiNS0_19identity_decomposerEEEEE10hipError_tT0_T1_T2_jT3_P12ihipStream_tbPNSt15iterator_traitsISI_E10value_typeEPNSO_ISJ_E10value_typeEPSK_NS1_7vsmem_tEENKUlT_SI_SJ_SK_E_clISD_PiSD_S10_EESH_SX_SI_SJ_SK_EUlSX_E_NS1_11comp_targetILNS1_3genE10ELNS1_11target_archE1201ELNS1_3gpuE5ELNS1_3repE0EEENS1_48merge_mergepath_partition_config_static_selectorELNS0_4arch9wavefront6targetE1EEEvSJ_.uses_flat_scratch, 0
	.set _ZN7rocprim17ROCPRIM_400000_NS6detail17trampoline_kernelINS0_14default_configENS1_38merge_sort_block_merge_config_selectorIiiEEZZNS1_27merge_sort_block_merge_implIS3_N6thrust23THRUST_200600_302600_NS6detail15normal_iteratorINS8_10device_ptrIiEEEESD_jNS1_19radix_merge_compareILb1ELb1EiNS0_19identity_decomposerEEEEE10hipError_tT0_T1_T2_jT3_P12ihipStream_tbPNSt15iterator_traitsISI_E10value_typeEPNSO_ISJ_E10value_typeEPSK_NS1_7vsmem_tEENKUlT_SI_SJ_SK_E_clISD_PiSD_S10_EESH_SX_SI_SJ_SK_EUlSX_E_NS1_11comp_targetILNS1_3genE10ELNS1_11target_archE1201ELNS1_3gpuE5ELNS1_3repE0EEENS1_48merge_mergepath_partition_config_static_selectorELNS0_4arch9wavefront6targetE1EEEvSJ_.has_dyn_sized_stack, 0
	.set _ZN7rocprim17ROCPRIM_400000_NS6detail17trampoline_kernelINS0_14default_configENS1_38merge_sort_block_merge_config_selectorIiiEEZZNS1_27merge_sort_block_merge_implIS3_N6thrust23THRUST_200600_302600_NS6detail15normal_iteratorINS8_10device_ptrIiEEEESD_jNS1_19radix_merge_compareILb1ELb1EiNS0_19identity_decomposerEEEEE10hipError_tT0_T1_T2_jT3_P12ihipStream_tbPNSt15iterator_traitsISI_E10value_typeEPNSO_ISJ_E10value_typeEPSK_NS1_7vsmem_tEENKUlT_SI_SJ_SK_E_clISD_PiSD_S10_EESH_SX_SI_SJ_SK_EUlSX_E_NS1_11comp_targetILNS1_3genE10ELNS1_11target_archE1201ELNS1_3gpuE5ELNS1_3repE0EEENS1_48merge_mergepath_partition_config_static_selectorELNS0_4arch9wavefront6targetE1EEEvSJ_.has_recursion, 0
	.set _ZN7rocprim17ROCPRIM_400000_NS6detail17trampoline_kernelINS0_14default_configENS1_38merge_sort_block_merge_config_selectorIiiEEZZNS1_27merge_sort_block_merge_implIS3_N6thrust23THRUST_200600_302600_NS6detail15normal_iteratorINS8_10device_ptrIiEEEESD_jNS1_19radix_merge_compareILb1ELb1EiNS0_19identity_decomposerEEEEE10hipError_tT0_T1_T2_jT3_P12ihipStream_tbPNSt15iterator_traitsISI_E10value_typeEPNSO_ISJ_E10value_typeEPSK_NS1_7vsmem_tEENKUlT_SI_SJ_SK_E_clISD_PiSD_S10_EESH_SX_SI_SJ_SK_EUlSX_E_NS1_11comp_targetILNS1_3genE10ELNS1_11target_archE1201ELNS1_3gpuE5ELNS1_3repE0EEENS1_48merge_mergepath_partition_config_static_selectorELNS0_4arch9wavefront6targetE1EEEvSJ_.has_indirect_call, 0
	.section	.AMDGPU.csdata,"",@progbits
; Kernel info:
; codeLenInByte = 0
; TotalNumSgprs: 6
; NumVgprs: 0
; NumAgprs: 0
; TotalNumVgprs: 0
; ScratchSize: 0
; MemoryBound: 0
; FloatMode: 240
; IeeeMode: 1
; LDSByteSize: 0 bytes/workgroup (compile time only)
; SGPRBlocks: 0
; VGPRBlocks: 0
; NumSGPRsForWavesPerEU: 6
; NumVGPRsForWavesPerEU: 1
; AccumOffset: 4
; Occupancy: 8
; WaveLimiterHint : 0
; COMPUTE_PGM_RSRC2:SCRATCH_EN: 0
; COMPUTE_PGM_RSRC2:USER_SGPR: 2
; COMPUTE_PGM_RSRC2:TRAP_HANDLER: 0
; COMPUTE_PGM_RSRC2:TGID_X_EN: 1
; COMPUTE_PGM_RSRC2:TGID_Y_EN: 0
; COMPUTE_PGM_RSRC2:TGID_Z_EN: 0
; COMPUTE_PGM_RSRC2:TIDIG_COMP_CNT: 0
; COMPUTE_PGM_RSRC3_GFX90A:ACCUM_OFFSET: 0
; COMPUTE_PGM_RSRC3_GFX90A:TG_SPLIT: 0
	.section	.text._ZN7rocprim17ROCPRIM_400000_NS6detail17trampoline_kernelINS0_14default_configENS1_38merge_sort_block_merge_config_selectorIiiEEZZNS1_27merge_sort_block_merge_implIS3_N6thrust23THRUST_200600_302600_NS6detail15normal_iteratorINS8_10device_ptrIiEEEESD_jNS1_19radix_merge_compareILb1ELb1EiNS0_19identity_decomposerEEEEE10hipError_tT0_T1_T2_jT3_P12ihipStream_tbPNSt15iterator_traitsISI_E10value_typeEPNSO_ISJ_E10value_typeEPSK_NS1_7vsmem_tEENKUlT_SI_SJ_SK_E_clISD_PiSD_S10_EESH_SX_SI_SJ_SK_EUlSX_E_NS1_11comp_targetILNS1_3genE5ELNS1_11target_archE942ELNS1_3gpuE9ELNS1_3repE0EEENS1_48merge_mergepath_partition_config_static_selectorELNS0_4arch9wavefront6targetE1EEEvSJ_,"axG",@progbits,_ZN7rocprim17ROCPRIM_400000_NS6detail17trampoline_kernelINS0_14default_configENS1_38merge_sort_block_merge_config_selectorIiiEEZZNS1_27merge_sort_block_merge_implIS3_N6thrust23THRUST_200600_302600_NS6detail15normal_iteratorINS8_10device_ptrIiEEEESD_jNS1_19radix_merge_compareILb1ELb1EiNS0_19identity_decomposerEEEEE10hipError_tT0_T1_T2_jT3_P12ihipStream_tbPNSt15iterator_traitsISI_E10value_typeEPNSO_ISJ_E10value_typeEPSK_NS1_7vsmem_tEENKUlT_SI_SJ_SK_E_clISD_PiSD_S10_EESH_SX_SI_SJ_SK_EUlSX_E_NS1_11comp_targetILNS1_3genE5ELNS1_11target_archE942ELNS1_3gpuE9ELNS1_3repE0EEENS1_48merge_mergepath_partition_config_static_selectorELNS0_4arch9wavefront6targetE1EEEvSJ_,comdat
	.protected	_ZN7rocprim17ROCPRIM_400000_NS6detail17trampoline_kernelINS0_14default_configENS1_38merge_sort_block_merge_config_selectorIiiEEZZNS1_27merge_sort_block_merge_implIS3_N6thrust23THRUST_200600_302600_NS6detail15normal_iteratorINS8_10device_ptrIiEEEESD_jNS1_19radix_merge_compareILb1ELb1EiNS0_19identity_decomposerEEEEE10hipError_tT0_T1_T2_jT3_P12ihipStream_tbPNSt15iterator_traitsISI_E10value_typeEPNSO_ISJ_E10value_typeEPSK_NS1_7vsmem_tEENKUlT_SI_SJ_SK_E_clISD_PiSD_S10_EESH_SX_SI_SJ_SK_EUlSX_E_NS1_11comp_targetILNS1_3genE5ELNS1_11target_archE942ELNS1_3gpuE9ELNS1_3repE0EEENS1_48merge_mergepath_partition_config_static_selectorELNS0_4arch9wavefront6targetE1EEEvSJ_ ; -- Begin function _ZN7rocprim17ROCPRIM_400000_NS6detail17trampoline_kernelINS0_14default_configENS1_38merge_sort_block_merge_config_selectorIiiEEZZNS1_27merge_sort_block_merge_implIS3_N6thrust23THRUST_200600_302600_NS6detail15normal_iteratorINS8_10device_ptrIiEEEESD_jNS1_19radix_merge_compareILb1ELb1EiNS0_19identity_decomposerEEEEE10hipError_tT0_T1_T2_jT3_P12ihipStream_tbPNSt15iterator_traitsISI_E10value_typeEPNSO_ISJ_E10value_typeEPSK_NS1_7vsmem_tEENKUlT_SI_SJ_SK_E_clISD_PiSD_S10_EESH_SX_SI_SJ_SK_EUlSX_E_NS1_11comp_targetILNS1_3genE5ELNS1_11target_archE942ELNS1_3gpuE9ELNS1_3repE0EEENS1_48merge_mergepath_partition_config_static_selectorELNS0_4arch9wavefront6targetE1EEEvSJ_
	.globl	_ZN7rocprim17ROCPRIM_400000_NS6detail17trampoline_kernelINS0_14default_configENS1_38merge_sort_block_merge_config_selectorIiiEEZZNS1_27merge_sort_block_merge_implIS3_N6thrust23THRUST_200600_302600_NS6detail15normal_iteratorINS8_10device_ptrIiEEEESD_jNS1_19radix_merge_compareILb1ELb1EiNS0_19identity_decomposerEEEEE10hipError_tT0_T1_T2_jT3_P12ihipStream_tbPNSt15iterator_traitsISI_E10value_typeEPNSO_ISJ_E10value_typeEPSK_NS1_7vsmem_tEENKUlT_SI_SJ_SK_E_clISD_PiSD_S10_EESH_SX_SI_SJ_SK_EUlSX_E_NS1_11comp_targetILNS1_3genE5ELNS1_11target_archE942ELNS1_3gpuE9ELNS1_3repE0EEENS1_48merge_mergepath_partition_config_static_selectorELNS0_4arch9wavefront6targetE1EEEvSJ_
	.p2align	8
	.type	_ZN7rocprim17ROCPRIM_400000_NS6detail17trampoline_kernelINS0_14default_configENS1_38merge_sort_block_merge_config_selectorIiiEEZZNS1_27merge_sort_block_merge_implIS3_N6thrust23THRUST_200600_302600_NS6detail15normal_iteratorINS8_10device_ptrIiEEEESD_jNS1_19radix_merge_compareILb1ELb1EiNS0_19identity_decomposerEEEEE10hipError_tT0_T1_T2_jT3_P12ihipStream_tbPNSt15iterator_traitsISI_E10value_typeEPNSO_ISJ_E10value_typeEPSK_NS1_7vsmem_tEENKUlT_SI_SJ_SK_E_clISD_PiSD_S10_EESH_SX_SI_SJ_SK_EUlSX_E_NS1_11comp_targetILNS1_3genE5ELNS1_11target_archE942ELNS1_3gpuE9ELNS1_3repE0EEENS1_48merge_mergepath_partition_config_static_selectorELNS0_4arch9wavefront6targetE1EEEvSJ_,@function
_ZN7rocprim17ROCPRIM_400000_NS6detail17trampoline_kernelINS0_14default_configENS1_38merge_sort_block_merge_config_selectorIiiEEZZNS1_27merge_sort_block_merge_implIS3_N6thrust23THRUST_200600_302600_NS6detail15normal_iteratorINS8_10device_ptrIiEEEESD_jNS1_19radix_merge_compareILb1ELb1EiNS0_19identity_decomposerEEEEE10hipError_tT0_T1_T2_jT3_P12ihipStream_tbPNSt15iterator_traitsISI_E10value_typeEPNSO_ISJ_E10value_typeEPSK_NS1_7vsmem_tEENKUlT_SI_SJ_SK_E_clISD_PiSD_S10_EESH_SX_SI_SJ_SK_EUlSX_E_NS1_11comp_targetILNS1_3genE5ELNS1_11target_archE942ELNS1_3gpuE9ELNS1_3repE0EEENS1_48merge_mergepath_partition_config_static_selectorELNS0_4arch9wavefront6targetE1EEEvSJ_: ; @_ZN7rocprim17ROCPRIM_400000_NS6detail17trampoline_kernelINS0_14default_configENS1_38merge_sort_block_merge_config_selectorIiiEEZZNS1_27merge_sort_block_merge_implIS3_N6thrust23THRUST_200600_302600_NS6detail15normal_iteratorINS8_10device_ptrIiEEEESD_jNS1_19radix_merge_compareILb1ELb1EiNS0_19identity_decomposerEEEEE10hipError_tT0_T1_T2_jT3_P12ihipStream_tbPNSt15iterator_traitsISI_E10value_typeEPNSO_ISJ_E10value_typeEPSK_NS1_7vsmem_tEENKUlT_SI_SJ_SK_E_clISD_PiSD_S10_EESH_SX_SI_SJ_SK_EUlSX_E_NS1_11comp_targetILNS1_3genE5ELNS1_11target_archE942ELNS1_3gpuE9ELNS1_3repE0EEENS1_48merge_mergepath_partition_config_static_selectorELNS0_4arch9wavefront6targetE1EEEvSJ_
; %bb.0:
	.section	.rodata,"a",@progbits
	.p2align	6, 0x0
	.amdhsa_kernel _ZN7rocprim17ROCPRIM_400000_NS6detail17trampoline_kernelINS0_14default_configENS1_38merge_sort_block_merge_config_selectorIiiEEZZNS1_27merge_sort_block_merge_implIS3_N6thrust23THRUST_200600_302600_NS6detail15normal_iteratorINS8_10device_ptrIiEEEESD_jNS1_19radix_merge_compareILb1ELb1EiNS0_19identity_decomposerEEEEE10hipError_tT0_T1_T2_jT3_P12ihipStream_tbPNSt15iterator_traitsISI_E10value_typeEPNSO_ISJ_E10value_typeEPSK_NS1_7vsmem_tEENKUlT_SI_SJ_SK_E_clISD_PiSD_S10_EESH_SX_SI_SJ_SK_EUlSX_E_NS1_11comp_targetILNS1_3genE5ELNS1_11target_archE942ELNS1_3gpuE9ELNS1_3repE0EEENS1_48merge_mergepath_partition_config_static_selectorELNS0_4arch9wavefront6targetE1EEEvSJ_
		.amdhsa_group_segment_fixed_size 0
		.amdhsa_private_segment_fixed_size 0
		.amdhsa_kernarg_size 40
		.amdhsa_user_sgpr_count 2
		.amdhsa_user_sgpr_dispatch_ptr 0
		.amdhsa_user_sgpr_queue_ptr 0
		.amdhsa_user_sgpr_kernarg_segment_ptr 1
		.amdhsa_user_sgpr_dispatch_id 0
		.amdhsa_user_sgpr_kernarg_preload_length 0
		.amdhsa_user_sgpr_kernarg_preload_offset 0
		.amdhsa_user_sgpr_private_segment_size 0
		.amdhsa_uses_dynamic_stack 0
		.amdhsa_enable_private_segment 0
		.amdhsa_system_sgpr_workgroup_id_x 1
		.amdhsa_system_sgpr_workgroup_id_y 0
		.amdhsa_system_sgpr_workgroup_id_z 0
		.amdhsa_system_sgpr_workgroup_info 0
		.amdhsa_system_vgpr_workitem_id 0
		.amdhsa_next_free_vgpr 1
		.amdhsa_next_free_sgpr 0
		.amdhsa_accum_offset 4
		.amdhsa_reserve_vcc 0
		.amdhsa_float_round_mode_32 0
		.amdhsa_float_round_mode_16_64 0
		.amdhsa_float_denorm_mode_32 3
		.amdhsa_float_denorm_mode_16_64 3
		.amdhsa_dx10_clamp 1
		.amdhsa_ieee_mode 1
		.amdhsa_fp16_overflow 0
		.amdhsa_tg_split 0
		.amdhsa_exception_fp_ieee_invalid_op 0
		.amdhsa_exception_fp_denorm_src 0
		.amdhsa_exception_fp_ieee_div_zero 0
		.amdhsa_exception_fp_ieee_overflow 0
		.amdhsa_exception_fp_ieee_underflow 0
		.amdhsa_exception_fp_ieee_inexact 0
		.amdhsa_exception_int_div_zero 0
	.end_amdhsa_kernel
	.section	.text._ZN7rocprim17ROCPRIM_400000_NS6detail17trampoline_kernelINS0_14default_configENS1_38merge_sort_block_merge_config_selectorIiiEEZZNS1_27merge_sort_block_merge_implIS3_N6thrust23THRUST_200600_302600_NS6detail15normal_iteratorINS8_10device_ptrIiEEEESD_jNS1_19radix_merge_compareILb1ELb1EiNS0_19identity_decomposerEEEEE10hipError_tT0_T1_T2_jT3_P12ihipStream_tbPNSt15iterator_traitsISI_E10value_typeEPNSO_ISJ_E10value_typeEPSK_NS1_7vsmem_tEENKUlT_SI_SJ_SK_E_clISD_PiSD_S10_EESH_SX_SI_SJ_SK_EUlSX_E_NS1_11comp_targetILNS1_3genE5ELNS1_11target_archE942ELNS1_3gpuE9ELNS1_3repE0EEENS1_48merge_mergepath_partition_config_static_selectorELNS0_4arch9wavefront6targetE1EEEvSJ_,"axG",@progbits,_ZN7rocprim17ROCPRIM_400000_NS6detail17trampoline_kernelINS0_14default_configENS1_38merge_sort_block_merge_config_selectorIiiEEZZNS1_27merge_sort_block_merge_implIS3_N6thrust23THRUST_200600_302600_NS6detail15normal_iteratorINS8_10device_ptrIiEEEESD_jNS1_19radix_merge_compareILb1ELb1EiNS0_19identity_decomposerEEEEE10hipError_tT0_T1_T2_jT3_P12ihipStream_tbPNSt15iterator_traitsISI_E10value_typeEPNSO_ISJ_E10value_typeEPSK_NS1_7vsmem_tEENKUlT_SI_SJ_SK_E_clISD_PiSD_S10_EESH_SX_SI_SJ_SK_EUlSX_E_NS1_11comp_targetILNS1_3genE5ELNS1_11target_archE942ELNS1_3gpuE9ELNS1_3repE0EEENS1_48merge_mergepath_partition_config_static_selectorELNS0_4arch9wavefront6targetE1EEEvSJ_,comdat
.Lfunc_end1797:
	.size	_ZN7rocprim17ROCPRIM_400000_NS6detail17trampoline_kernelINS0_14default_configENS1_38merge_sort_block_merge_config_selectorIiiEEZZNS1_27merge_sort_block_merge_implIS3_N6thrust23THRUST_200600_302600_NS6detail15normal_iteratorINS8_10device_ptrIiEEEESD_jNS1_19radix_merge_compareILb1ELb1EiNS0_19identity_decomposerEEEEE10hipError_tT0_T1_T2_jT3_P12ihipStream_tbPNSt15iterator_traitsISI_E10value_typeEPNSO_ISJ_E10value_typeEPSK_NS1_7vsmem_tEENKUlT_SI_SJ_SK_E_clISD_PiSD_S10_EESH_SX_SI_SJ_SK_EUlSX_E_NS1_11comp_targetILNS1_3genE5ELNS1_11target_archE942ELNS1_3gpuE9ELNS1_3repE0EEENS1_48merge_mergepath_partition_config_static_selectorELNS0_4arch9wavefront6targetE1EEEvSJ_, .Lfunc_end1797-_ZN7rocprim17ROCPRIM_400000_NS6detail17trampoline_kernelINS0_14default_configENS1_38merge_sort_block_merge_config_selectorIiiEEZZNS1_27merge_sort_block_merge_implIS3_N6thrust23THRUST_200600_302600_NS6detail15normal_iteratorINS8_10device_ptrIiEEEESD_jNS1_19radix_merge_compareILb1ELb1EiNS0_19identity_decomposerEEEEE10hipError_tT0_T1_T2_jT3_P12ihipStream_tbPNSt15iterator_traitsISI_E10value_typeEPNSO_ISJ_E10value_typeEPSK_NS1_7vsmem_tEENKUlT_SI_SJ_SK_E_clISD_PiSD_S10_EESH_SX_SI_SJ_SK_EUlSX_E_NS1_11comp_targetILNS1_3genE5ELNS1_11target_archE942ELNS1_3gpuE9ELNS1_3repE0EEENS1_48merge_mergepath_partition_config_static_selectorELNS0_4arch9wavefront6targetE1EEEvSJ_
                                        ; -- End function
	.set _ZN7rocprim17ROCPRIM_400000_NS6detail17trampoline_kernelINS0_14default_configENS1_38merge_sort_block_merge_config_selectorIiiEEZZNS1_27merge_sort_block_merge_implIS3_N6thrust23THRUST_200600_302600_NS6detail15normal_iteratorINS8_10device_ptrIiEEEESD_jNS1_19radix_merge_compareILb1ELb1EiNS0_19identity_decomposerEEEEE10hipError_tT0_T1_T2_jT3_P12ihipStream_tbPNSt15iterator_traitsISI_E10value_typeEPNSO_ISJ_E10value_typeEPSK_NS1_7vsmem_tEENKUlT_SI_SJ_SK_E_clISD_PiSD_S10_EESH_SX_SI_SJ_SK_EUlSX_E_NS1_11comp_targetILNS1_3genE5ELNS1_11target_archE942ELNS1_3gpuE9ELNS1_3repE0EEENS1_48merge_mergepath_partition_config_static_selectorELNS0_4arch9wavefront6targetE1EEEvSJ_.num_vgpr, 0
	.set _ZN7rocprim17ROCPRIM_400000_NS6detail17trampoline_kernelINS0_14default_configENS1_38merge_sort_block_merge_config_selectorIiiEEZZNS1_27merge_sort_block_merge_implIS3_N6thrust23THRUST_200600_302600_NS6detail15normal_iteratorINS8_10device_ptrIiEEEESD_jNS1_19radix_merge_compareILb1ELb1EiNS0_19identity_decomposerEEEEE10hipError_tT0_T1_T2_jT3_P12ihipStream_tbPNSt15iterator_traitsISI_E10value_typeEPNSO_ISJ_E10value_typeEPSK_NS1_7vsmem_tEENKUlT_SI_SJ_SK_E_clISD_PiSD_S10_EESH_SX_SI_SJ_SK_EUlSX_E_NS1_11comp_targetILNS1_3genE5ELNS1_11target_archE942ELNS1_3gpuE9ELNS1_3repE0EEENS1_48merge_mergepath_partition_config_static_selectorELNS0_4arch9wavefront6targetE1EEEvSJ_.num_agpr, 0
	.set _ZN7rocprim17ROCPRIM_400000_NS6detail17trampoline_kernelINS0_14default_configENS1_38merge_sort_block_merge_config_selectorIiiEEZZNS1_27merge_sort_block_merge_implIS3_N6thrust23THRUST_200600_302600_NS6detail15normal_iteratorINS8_10device_ptrIiEEEESD_jNS1_19radix_merge_compareILb1ELb1EiNS0_19identity_decomposerEEEEE10hipError_tT0_T1_T2_jT3_P12ihipStream_tbPNSt15iterator_traitsISI_E10value_typeEPNSO_ISJ_E10value_typeEPSK_NS1_7vsmem_tEENKUlT_SI_SJ_SK_E_clISD_PiSD_S10_EESH_SX_SI_SJ_SK_EUlSX_E_NS1_11comp_targetILNS1_3genE5ELNS1_11target_archE942ELNS1_3gpuE9ELNS1_3repE0EEENS1_48merge_mergepath_partition_config_static_selectorELNS0_4arch9wavefront6targetE1EEEvSJ_.numbered_sgpr, 0
	.set _ZN7rocprim17ROCPRIM_400000_NS6detail17trampoline_kernelINS0_14default_configENS1_38merge_sort_block_merge_config_selectorIiiEEZZNS1_27merge_sort_block_merge_implIS3_N6thrust23THRUST_200600_302600_NS6detail15normal_iteratorINS8_10device_ptrIiEEEESD_jNS1_19radix_merge_compareILb1ELb1EiNS0_19identity_decomposerEEEEE10hipError_tT0_T1_T2_jT3_P12ihipStream_tbPNSt15iterator_traitsISI_E10value_typeEPNSO_ISJ_E10value_typeEPSK_NS1_7vsmem_tEENKUlT_SI_SJ_SK_E_clISD_PiSD_S10_EESH_SX_SI_SJ_SK_EUlSX_E_NS1_11comp_targetILNS1_3genE5ELNS1_11target_archE942ELNS1_3gpuE9ELNS1_3repE0EEENS1_48merge_mergepath_partition_config_static_selectorELNS0_4arch9wavefront6targetE1EEEvSJ_.num_named_barrier, 0
	.set _ZN7rocprim17ROCPRIM_400000_NS6detail17trampoline_kernelINS0_14default_configENS1_38merge_sort_block_merge_config_selectorIiiEEZZNS1_27merge_sort_block_merge_implIS3_N6thrust23THRUST_200600_302600_NS6detail15normal_iteratorINS8_10device_ptrIiEEEESD_jNS1_19radix_merge_compareILb1ELb1EiNS0_19identity_decomposerEEEEE10hipError_tT0_T1_T2_jT3_P12ihipStream_tbPNSt15iterator_traitsISI_E10value_typeEPNSO_ISJ_E10value_typeEPSK_NS1_7vsmem_tEENKUlT_SI_SJ_SK_E_clISD_PiSD_S10_EESH_SX_SI_SJ_SK_EUlSX_E_NS1_11comp_targetILNS1_3genE5ELNS1_11target_archE942ELNS1_3gpuE9ELNS1_3repE0EEENS1_48merge_mergepath_partition_config_static_selectorELNS0_4arch9wavefront6targetE1EEEvSJ_.private_seg_size, 0
	.set _ZN7rocprim17ROCPRIM_400000_NS6detail17trampoline_kernelINS0_14default_configENS1_38merge_sort_block_merge_config_selectorIiiEEZZNS1_27merge_sort_block_merge_implIS3_N6thrust23THRUST_200600_302600_NS6detail15normal_iteratorINS8_10device_ptrIiEEEESD_jNS1_19radix_merge_compareILb1ELb1EiNS0_19identity_decomposerEEEEE10hipError_tT0_T1_T2_jT3_P12ihipStream_tbPNSt15iterator_traitsISI_E10value_typeEPNSO_ISJ_E10value_typeEPSK_NS1_7vsmem_tEENKUlT_SI_SJ_SK_E_clISD_PiSD_S10_EESH_SX_SI_SJ_SK_EUlSX_E_NS1_11comp_targetILNS1_3genE5ELNS1_11target_archE942ELNS1_3gpuE9ELNS1_3repE0EEENS1_48merge_mergepath_partition_config_static_selectorELNS0_4arch9wavefront6targetE1EEEvSJ_.uses_vcc, 0
	.set _ZN7rocprim17ROCPRIM_400000_NS6detail17trampoline_kernelINS0_14default_configENS1_38merge_sort_block_merge_config_selectorIiiEEZZNS1_27merge_sort_block_merge_implIS3_N6thrust23THRUST_200600_302600_NS6detail15normal_iteratorINS8_10device_ptrIiEEEESD_jNS1_19radix_merge_compareILb1ELb1EiNS0_19identity_decomposerEEEEE10hipError_tT0_T1_T2_jT3_P12ihipStream_tbPNSt15iterator_traitsISI_E10value_typeEPNSO_ISJ_E10value_typeEPSK_NS1_7vsmem_tEENKUlT_SI_SJ_SK_E_clISD_PiSD_S10_EESH_SX_SI_SJ_SK_EUlSX_E_NS1_11comp_targetILNS1_3genE5ELNS1_11target_archE942ELNS1_3gpuE9ELNS1_3repE0EEENS1_48merge_mergepath_partition_config_static_selectorELNS0_4arch9wavefront6targetE1EEEvSJ_.uses_flat_scratch, 0
	.set _ZN7rocprim17ROCPRIM_400000_NS6detail17trampoline_kernelINS0_14default_configENS1_38merge_sort_block_merge_config_selectorIiiEEZZNS1_27merge_sort_block_merge_implIS3_N6thrust23THRUST_200600_302600_NS6detail15normal_iteratorINS8_10device_ptrIiEEEESD_jNS1_19radix_merge_compareILb1ELb1EiNS0_19identity_decomposerEEEEE10hipError_tT0_T1_T2_jT3_P12ihipStream_tbPNSt15iterator_traitsISI_E10value_typeEPNSO_ISJ_E10value_typeEPSK_NS1_7vsmem_tEENKUlT_SI_SJ_SK_E_clISD_PiSD_S10_EESH_SX_SI_SJ_SK_EUlSX_E_NS1_11comp_targetILNS1_3genE5ELNS1_11target_archE942ELNS1_3gpuE9ELNS1_3repE0EEENS1_48merge_mergepath_partition_config_static_selectorELNS0_4arch9wavefront6targetE1EEEvSJ_.has_dyn_sized_stack, 0
	.set _ZN7rocprim17ROCPRIM_400000_NS6detail17trampoline_kernelINS0_14default_configENS1_38merge_sort_block_merge_config_selectorIiiEEZZNS1_27merge_sort_block_merge_implIS3_N6thrust23THRUST_200600_302600_NS6detail15normal_iteratorINS8_10device_ptrIiEEEESD_jNS1_19radix_merge_compareILb1ELb1EiNS0_19identity_decomposerEEEEE10hipError_tT0_T1_T2_jT3_P12ihipStream_tbPNSt15iterator_traitsISI_E10value_typeEPNSO_ISJ_E10value_typeEPSK_NS1_7vsmem_tEENKUlT_SI_SJ_SK_E_clISD_PiSD_S10_EESH_SX_SI_SJ_SK_EUlSX_E_NS1_11comp_targetILNS1_3genE5ELNS1_11target_archE942ELNS1_3gpuE9ELNS1_3repE0EEENS1_48merge_mergepath_partition_config_static_selectorELNS0_4arch9wavefront6targetE1EEEvSJ_.has_recursion, 0
	.set _ZN7rocprim17ROCPRIM_400000_NS6detail17trampoline_kernelINS0_14default_configENS1_38merge_sort_block_merge_config_selectorIiiEEZZNS1_27merge_sort_block_merge_implIS3_N6thrust23THRUST_200600_302600_NS6detail15normal_iteratorINS8_10device_ptrIiEEEESD_jNS1_19radix_merge_compareILb1ELb1EiNS0_19identity_decomposerEEEEE10hipError_tT0_T1_T2_jT3_P12ihipStream_tbPNSt15iterator_traitsISI_E10value_typeEPNSO_ISJ_E10value_typeEPSK_NS1_7vsmem_tEENKUlT_SI_SJ_SK_E_clISD_PiSD_S10_EESH_SX_SI_SJ_SK_EUlSX_E_NS1_11comp_targetILNS1_3genE5ELNS1_11target_archE942ELNS1_3gpuE9ELNS1_3repE0EEENS1_48merge_mergepath_partition_config_static_selectorELNS0_4arch9wavefront6targetE1EEEvSJ_.has_indirect_call, 0
	.section	.AMDGPU.csdata,"",@progbits
; Kernel info:
; codeLenInByte = 0
; TotalNumSgprs: 6
; NumVgprs: 0
; NumAgprs: 0
; TotalNumVgprs: 0
; ScratchSize: 0
; MemoryBound: 0
; FloatMode: 240
; IeeeMode: 1
; LDSByteSize: 0 bytes/workgroup (compile time only)
; SGPRBlocks: 0
; VGPRBlocks: 0
; NumSGPRsForWavesPerEU: 6
; NumVGPRsForWavesPerEU: 1
; AccumOffset: 4
; Occupancy: 8
; WaveLimiterHint : 0
; COMPUTE_PGM_RSRC2:SCRATCH_EN: 0
; COMPUTE_PGM_RSRC2:USER_SGPR: 2
; COMPUTE_PGM_RSRC2:TRAP_HANDLER: 0
; COMPUTE_PGM_RSRC2:TGID_X_EN: 1
; COMPUTE_PGM_RSRC2:TGID_Y_EN: 0
; COMPUTE_PGM_RSRC2:TGID_Z_EN: 0
; COMPUTE_PGM_RSRC2:TIDIG_COMP_CNT: 0
; COMPUTE_PGM_RSRC3_GFX90A:ACCUM_OFFSET: 0
; COMPUTE_PGM_RSRC3_GFX90A:TG_SPLIT: 0
	.section	.text._ZN7rocprim17ROCPRIM_400000_NS6detail17trampoline_kernelINS0_14default_configENS1_38merge_sort_block_merge_config_selectorIiiEEZZNS1_27merge_sort_block_merge_implIS3_N6thrust23THRUST_200600_302600_NS6detail15normal_iteratorINS8_10device_ptrIiEEEESD_jNS1_19radix_merge_compareILb1ELb1EiNS0_19identity_decomposerEEEEE10hipError_tT0_T1_T2_jT3_P12ihipStream_tbPNSt15iterator_traitsISI_E10value_typeEPNSO_ISJ_E10value_typeEPSK_NS1_7vsmem_tEENKUlT_SI_SJ_SK_E_clISD_PiSD_S10_EESH_SX_SI_SJ_SK_EUlSX_E_NS1_11comp_targetILNS1_3genE4ELNS1_11target_archE910ELNS1_3gpuE8ELNS1_3repE0EEENS1_48merge_mergepath_partition_config_static_selectorELNS0_4arch9wavefront6targetE1EEEvSJ_,"axG",@progbits,_ZN7rocprim17ROCPRIM_400000_NS6detail17trampoline_kernelINS0_14default_configENS1_38merge_sort_block_merge_config_selectorIiiEEZZNS1_27merge_sort_block_merge_implIS3_N6thrust23THRUST_200600_302600_NS6detail15normal_iteratorINS8_10device_ptrIiEEEESD_jNS1_19radix_merge_compareILb1ELb1EiNS0_19identity_decomposerEEEEE10hipError_tT0_T1_T2_jT3_P12ihipStream_tbPNSt15iterator_traitsISI_E10value_typeEPNSO_ISJ_E10value_typeEPSK_NS1_7vsmem_tEENKUlT_SI_SJ_SK_E_clISD_PiSD_S10_EESH_SX_SI_SJ_SK_EUlSX_E_NS1_11comp_targetILNS1_3genE4ELNS1_11target_archE910ELNS1_3gpuE8ELNS1_3repE0EEENS1_48merge_mergepath_partition_config_static_selectorELNS0_4arch9wavefront6targetE1EEEvSJ_,comdat
	.protected	_ZN7rocprim17ROCPRIM_400000_NS6detail17trampoline_kernelINS0_14default_configENS1_38merge_sort_block_merge_config_selectorIiiEEZZNS1_27merge_sort_block_merge_implIS3_N6thrust23THRUST_200600_302600_NS6detail15normal_iteratorINS8_10device_ptrIiEEEESD_jNS1_19radix_merge_compareILb1ELb1EiNS0_19identity_decomposerEEEEE10hipError_tT0_T1_T2_jT3_P12ihipStream_tbPNSt15iterator_traitsISI_E10value_typeEPNSO_ISJ_E10value_typeEPSK_NS1_7vsmem_tEENKUlT_SI_SJ_SK_E_clISD_PiSD_S10_EESH_SX_SI_SJ_SK_EUlSX_E_NS1_11comp_targetILNS1_3genE4ELNS1_11target_archE910ELNS1_3gpuE8ELNS1_3repE0EEENS1_48merge_mergepath_partition_config_static_selectorELNS0_4arch9wavefront6targetE1EEEvSJ_ ; -- Begin function _ZN7rocprim17ROCPRIM_400000_NS6detail17trampoline_kernelINS0_14default_configENS1_38merge_sort_block_merge_config_selectorIiiEEZZNS1_27merge_sort_block_merge_implIS3_N6thrust23THRUST_200600_302600_NS6detail15normal_iteratorINS8_10device_ptrIiEEEESD_jNS1_19radix_merge_compareILb1ELb1EiNS0_19identity_decomposerEEEEE10hipError_tT0_T1_T2_jT3_P12ihipStream_tbPNSt15iterator_traitsISI_E10value_typeEPNSO_ISJ_E10value_typeEPSK_NS1_7vsmem_tEENKUlT_SI_SJ_SK_E_clISD_PiSD_S10_EESH_SX_SI_SJ_SK_EUlSX_E_NS1_11comp_targetILNS1_3genE4ELNS1_11target_archE910ELNS1_3gpuE8ELNS1_3repE0EEENS1_48merge_mergepath_partition_config_static_selectorELNS0_4arch9wavefront6targetE1EEEvSJ_
	.globl	_ZN7rocprim17ROCPRIM_400000_NS6detail17trampoline_kernelINS0_14default_configENS1_38merge_sort_block_merge_config_selectorIiiEEZZNS1_27merge_sort_block_merge_implIS3_N6thrust23THRUST_200600_302600_NS6detail15normal_iteratorINS8_10device_ptrIiEEEESD_jNS1_19radix_merge_compareILb1ELb1EiNS0_19identity_decomposerEEEEE10hipError_tT0_T1_T2_jT3_P12ihipStream_tbPNSt15iterator_traitsISI_E10value_typeEPNSO_ISJ_E10value_typeEPSK_NS1_7vsmem_tEENKUlT_SI_SJ_SK_E_clISD_PiSD_S10_EESH_SX_SI_SJ_SK_EUlSX_E_NS1_11comp_targetILNS1_3genE4ELNS1_11target_archE910ELNS1_3gpuE8ELNS1_3repE0EEENS1_48merge_mergepath_partition_config_static_selectorELNS0_4arch9wavefront6targetE1EEEvSJ_
	.p2align	8
	.type	_ZN7rocprim17ROCPRIM_400000_NS6detail17trampoline_kernelINS0_14default_configENS1_38merge_sort_block_merge_config_selectorIiiEEZZNS1_27merge_sort_block_merge_implIS3_N6thrust23THRUST_200600_302600_NS6detail15normal_iteratorINS8_10device_ptrIiEEEESD_jNS1_19radix_merge_compareILb1ELb1EiNS0_19identity_decomposerEEEEE10hipError_tT0_T1_T2_jT3_P12ihipStream_tbPNSt15iterator_traitsISI_E10value_typeEPNSO_ISJ_E10value_typeEPSK_NS1_7vsmem_tEENKUlT_SI_SJ_SK_E_clISD_PiSD_S10_EESH_SX_SI_SJ_SK_EUlSX_E_NS1_11comp_targetILNS1_3genE4ELNS1_11target_archE910ELNS1_3gpuE8ELNS1_3repE0EEENS1_48merge_mergepath_partition_config_static_selectorELNS0_4arch9wavefront6targetE1EEEvSJ_,@function
_ZN7rocprim17ROCPRIM_400000_NS6detail17trampoline_kernelINS0_14default_configENS1_38merge_sort_block_merge_config_selectorIiiEEZZNS1_27merge_sort_block_merge_implIS3_N6thrust23THRUST_200600_302600_NS6detail15normal_iteratorINS8_10device_ptrIiEEEESD_jNS1_19radix_merge_compareILb1ELb1EiNS0_19identity_decomposerEEEEE10hipError_tT0_T1_T2_jT3_P12ihipStream_tbPNSt15iterator_traitsISI_E10value_typeEPNSO_ISJ_E10value_typeEPSK_NS1_7vsmem_tEENKUlT_SI_SJ_SK_E_clISD_PiSD_S10_EESH_SX_SI_SJ_SK_EUlSX_E_NS1_11comp_targetILNS1_3genE4ELNS1_11target_archE910ELNS1_3gpuE8ELNS1_3repE0EEENS1_48merge_mergepath_partition_config_static_selectorELNS0_4arch9wavefront6targetE1EEEvSJ_: ; @_ZN7rocprim17ROCPRIM_400000_NS6detail17trampoline_kernelINS0_14default_configENS1_38merge_sort_block_merge_config_selectorIiiEEZZNS1_27merge_sort_block_merge_implIS3_N6thrust23THRUST_200600_302600_NS6detail15normal_iteratorINS8_10device_ptrIiEEEESD_jNS1_19radix_merge_compareILb1ELb1EiNS0_19identity_decomposerEEEEE10hipError_tT0_T1_T2_jT3_P12ihipStream_tbPNSt15iterator_traitsISI_E10value_typeEPNSO_ISJ_E10value_typeEPSK_NS1_7vsmem_tEENKUlT_SI_SJ_SK_E_clISD_PiSD_S10_EESH_SX_SI_SJ_SK_EUlSX_E_NS1_11comp_targetILNS1_3genE4ELNS1_11target_archE910ELNS1_3gpuE8ELNS1_3repE0EEENS1_48merge_mergepath_partition_config_static_selectorELNS0_4arch9wavefront6targetE1EEEvSJ_
; %bb.0:
	.section	.rodata,"a",@progbits
	.p2align	6, 0x0
	.amdhsa_kernel _ZN7rocprim17ROCPRIM_400000_NS6detail17trampoline_kernelINS0_14default_configENS1_38merge_sort_block_merge_config_selectorIiiEEZZNS1_27merge_sort_block_merge_implIS3_N6thrust23THRUST_200600_302600_NS6detail15normal_iteratorINS8_10device_ptrIiEEEESD_jNS1_19radix_merge_compareILb1ELb1EiNS0_19identity_decomposerEEEEE10hipError_tT0_T1_T2_jT3_P12ihipStream_tbPNSt15iterator_traitsISI_E10value_typeEPNSO_ISJ_E10value_typeEPSK_NS1_7vsmem_tEENKUlT_SI_SJ_SK_E_clISD_PiSD_S10_EESH_SX_SI_SJ_SK_EUlSX_E_NS1_11comp_targetILNS1_3genE4ELNS1_11target_archE910ELNS1_3gpuE8ELNS1_3repE0EEENS1_48merge_mergepath_partition_config_static_selectorELNS0_4arch9wavefront6targetE1EEEvSJ_
		.amdhsa_group_segment_fixed_size 0
		.amdhsa_private_segment_fixed_size 0
		.amdhsa_kernarg_size 40
		.amdhsa_user_sgpr_count 2
		.amdhsa_user_sgpr_dispatch_ptr 0
		.amdhsa_user_sgpr_queue_ptr 0
		.amdhsa_user_sgpr_kernarg_segment_ptr 1
		.amdhsa_user_sgpr_dispatch_id 0
		.amdhsa_user_sgpr_kernarg_preload_length 0
		.amdhsa_user_sgpr_kernarg_preload_offset 0
		.amdhsa_user_sgpr_private_segment_size 0
		.amdhsa_uses_dynamic_stack 0
		.amdhsa_enable_private_segment 0
		.amdhsa_system_sgpr_workgroup_id_x 1
		.amdhsa_system_sgpr_workgroup_id_y 0
		.amdhsa_system_sgpr_workgroup_id_z 0
		.amdhsa_system_sgpr_workgroup_info 0
		.amdhsa_system_vgpr_workitem_id 0
		.amdhsa_next_free_vgpr 1
		.amdhsa_next_free_sgpr 0
		.amdhsa_accum_offset 4
		.amdhsa_reserve_vcc 0
		.amdhsa_float_round_mode_32 0
		.amdhsa_float_round_mode_16_64 0
		.amdhsa_float_denorm_mode_32 3
		.amdhsa_float_denorm_mode_16_64 3
		.amdhsa_dx10_clamp 1
		.amdhsa_ieee_mode 1
		.amdhsa_fp16_overflow 0
		.amdhsa_tg_split 0
		.amdhsa_exception_fp_ieee_invalid_op 0
		.amdhsa_exception_fp_denorm_src 0
		.amdhsa_exception_fp_ieee_div_zero 0
		.amdhsa_exception_fp_ieee_overflow 0
		.amdhsa_exception_fp_ieee_underflow 0
		.amdhsa_exception_fp_ieee_inexact 0
		.amdhsa_exception_int_div_zero 0
	.end_amdhsa_kernel
	.section	.text._ZN7rocprim17ROCPRIM_400000_NS6detail17trampoline_kernelINS0_14default_configENS1_38merge_sort_block_merge_config_selectorIiiEEZZNS1_27merge_sort_block_merge_implIS3_N6thrust23THRUST_200600_302600_NS6detail15normal_iteratorINS8_10device_ptrIiEEEESD_jNS1_19radix_merge_compareILb1ELb1EiNS0_19identity_decomposerEEEEE10hipError_tT0_T1_T2_jT3_P12ihipStream_tbPNSt15iterator_traitsISI_E10value_typeEPNSO_ISJ_E10value_typeEPSK_NS1_7vsmem_tEENKUlT_SI_SJ_SK_E_clISD_PiSD_S10_EESH_SX_SI_SJ_SK_EUlSX_E_NS1_11comp_targetILNS1_3genE4ELNS1_11target_archE910ELNS1_3gpuE8ELNS1_3repE0EEENS1_48merge_mergepath_partition_config_static_selectorELNS0_4arch9wavefront6targetE1EEEvSJ_,"axG",@progbits,_ZN7rocprim17ROCPRIM_400000_NS6detail17trampoline_kernelINS0_14default_configENS1_38merge_sort_block_merge_config_selectorIiiEEZZNS1_27merge_sort_block_merge_implIS3_N6thrust23THRUST_200600_302600_NS6detail15normal_iteratorINS8_10device_ptrIiEEEESD_jNS1_19radix_merge_compareILb1ELb1EiNS0_19identity_decomposerEEEEE10hipError_tT0_T1_T2_jT3_P12ihipStream_tbPNSt15iterator_traitsISI_E10value_typeEPNSO_ISJ_E10value_typeEPSK_NS1_7vsmem_tEENKUlT_SI_SJ_SK_E_clISD_PiSD_S10_EESH_SX_SI_SJ_SK_EUlSX_E_NS1_11comp_targetILNS1_3genE4ELNS1_11target_archE910ELNS1_3gpuE8ELNS1_3repE0EEENS1_48merge_mergepath_partition_config_static_selectorELNS0_4arch9wavefront6targetE1EEEvSJ_,comdat
.Lfunc_end1798:
	.size	_ZN7rocprim17ROCPRIM_400000_NS6detail17trampoline_kernelINS0_14default_configENS1_38merge_sort_block_merge_config_selectorIiiEEZZNS1_27merge_sort_block_merge_implIS3_N6thrust23THRUST_200600_302600_NS6detail15normal_iteratorINS8_10device_ptrIiEEEESD_jNS1_19radix_merge_compareILb1ELb1EiNS0_19identity_decomposerEEEEE10hipError_tT0_T1_T2_jT3_P12ihipStream_tbPNSt15iterator_traitsISI_E10value_typeEPNSO_ISJ_E10value_typeEPSK_NS1_7vsmem_tEENKUlT_SI_SJ_SK_E_clISD_PiSD_S10_EESH_SX_SI_SJ_SK_EUlSX_E_NS1_11comp_targetILNS1_3genE4ELNS1_11target_archE910ELNS1_3gpuE8ELNS1_3repE0EEENS1_48merge_mergepath_partition_config_static_selectorELNS0_4arch9wavefront6targetE1EEEvSJ_, .Lfunc_end1798-_ZN7rocprim17ROCPRIM_400000_NS6detail17trampoline_kernelINS0_14default_configENS1_38merge_sort_block_merge_config_selectorIiiEEZZNS1_27merge_sort_block_merge_implIS3_N6thrust23THRUST_200600_302600_NS6detail15normal_iteratorINS8_10device_ptrIiEEEESD_jNS1_19radix_merge_compareILb1ELb1EiNS0_19identity_decomposerEEEEE10hipError_tT0_T1_T2_jT3_P12ihipStream_tbPNSt15iterator_traitsISI_E10value_typeEPNSO_ISJ_E10value_typeEPSK_NS1_7vsmem_tEENKUlT_SI_SJ_SK_E_clISD_PiSD_S10_EESH_SX_SI_SJ_SK_EUlSX_E_NS1_11comp_targetILNS1_3genE4ELNS1_11target_archE910ELNS1_3gpuE8ELNS1_3repE0EEENS1_48merge_mergepath_partition_config_static_selectorELNS0_4arch9wavefront6targetE1EEEvSJ_
                                        ; -- End function
	.set _ZN7rocprim17ROCPRIM_400000_NS6detail17trampoline_kernelINS0_14default_configENS1_38merge_sort_block_merge_config_selectorIiiEEZZNS1_27merge_sort_block_merge_implIS3_N6thrust23THRUST_200600_302600_NS6detail15normal_iteratorINS8_10device_ptrIiEEEESD_jNS1_19radix_merge_compareILb1ELb1EiNS0_19identity_decomposerEEEEE10hipError_tT0_T1_T2_jT3_P12ihipStream_tbPNSt15iterator_traitsISI_E10value_typeEPNSO_ISJ_E10value_typeEPSK_NS1_7vsmem_tEENKUlT_SI_SJ_SK_E_clISD_PiSD_S10_EESH_SX_SI_SJ_SK_EUlSX_E_NS1_11comp_targetILNS1_3genE4ELNS1_11target_archE910ELNS1_3gpuE8ELNS1_3repE0EEENS1_48merge_mergepath_partition_config_static_selectorELNS0_4arch9wavefront6targetE1EEEvSJ_.num_vgpr, 0
	.set _ZN7rocprim17ROCPRIM_400000_NS6detail17trampoline_kernelINS0_14default_configENS1_38merge_sort_block_merge_config_selectorIiiEEZZNS1_27merge_sort_block_merge_implIS3_N6thrust23THRUST_200600_302600_NS6detail15normal_iteratorINS8_10device_ptrIiEEEESD_jNS1_19radix_merge_compareILb1ELb1EiNS0_19identity_decomposerEEEEE10hipError_tT0_T1_T2_jT3_P12ihipStream_tbPNSt15iterator_traitsISI_E10value_typeEPNSO_ISJ_E10value_typeEPSK_NS1_7vsmem_tEENKUlT_SI_SJ_SK_E_clISD_PiSD_S10_EESH_SX_SI_SJ_SK_EUlSX_E_NS1_11comp_targetILNS1_3genE4ELNS1_11target_archE910ELNS1_3gpuE8ELNS1_3repE0EEENS1_48merge_mergepath_partition_config_static_selectorELNS0_4arch9wavefront6targetE1EEEvSJ_.num_agpr, 0
	.set _ZN7rocprim17ROCPRIM_400000_NS6detail17trampoline_kernelINS0_14default_configENS1_38merge_sort_block_merge_config_selectorIiiEEZZNS1_27merge_sort_block_merge_implIS3_N6thrust23THRUST_200600_302600_NS6detail15normal_iteratorINS8_10device_ptrIiEEEESD_jNS1_19radix_merge_compareILb1ELb1EiNS0_19identity_decomposerEEEEE10hipError_tT0_T1_T2_jT3_P12ihipStream_tbPNSt15iterator_traitsISI_E10value_typeEPNSO_ISJ_E10value_typeEPSK_NS1_7vsmem_tEENKUlT_SI_SJ_SK_E_clISD_PiSD_S10_EESH_SX_SI_SJ_SK_EUlSX_E_NS1_11comp_targetILNS1_3genE4ELNS1_11target_archE910ELNS1_3gpuE8ELNS1_3repE0EEENS1_48merge_mergepath_partition_config_static_selectorELNS0_4arch9wavefront6targetE1EEEvSJ_.numbered_sgpr, 0
	.set _ZN7rocprim17ROCPRIM_400000_NS6detail17trampoline_kernelINS0_14default_configENS1_38merge_sort_block_merge_config_selectorIiiEEZZNS1_27merge_sort_block_merge_implIS3_N6thrust23THRUST_200600_302600_NS6detail15normal_iteratorINS8_10device_ptrIiEEEESD_jNS1_19radix_merge_compareILb1ELb1EiNS0_19identity_decomposerEEEEE10hipError_tT0_T1_T2_jT3_P12ihipStream_tbPNSt15iterator_traitsISI_E10value_typeEPNSO_ISJ_E10value_typeEPSK_NS1_7vsmem_tEENKUlT_SI_SJ_SK_E_clISD_PiSD_S10_EESH_SX_SI_SJ_SK_EUlSX_E_NS1_11comp_targetILNS1_3genE4ELNS1_11target_archE910ELNS1_3gpuE8ELNS1_3repE0EEENS1_48merge_mergepath_partition_config_static_selectorELNS0_4arch9wavefront6targetE1EEEvSJ_.num_named_barrier, 0
	.set _ZN7rocprim17ROCPRIM_400000_NS6detail17trampoline_kernelINS0_14default_configENS1_38merge_sort_block_merge_config_selectorIiiEEZZNS1_27merge_sort_block_merge_implIS3_N6thrust23THRUST_200600_302600_NS6detail15normal_iteratorINS8_10device_ptrIiEEEESD_jNS1_19radix_merge_compareILb1ELb1EiNS0_19identity_decomposerEEEEE10hipError_tT0_T1_T2_jT3_P12ihipStream_tbPNSt15iterator_traitsISI_E10value_typeEPNSO_ISJ_E10value_typeEPSK_NS1_7vsmem_tEENKUlT_SI_SJ_SK_E_clISD_PiSD_S10_EESH_SX_SI_SJ_SK_EUlSX_E_NS1_11comp_targetILNS1_3genE4ELNS1_11target_archE910ELNS1_3gpuE8ELNS1_3repE0EEENS1_48merge_mergepath_partition_config_static_selectorELNS0_4arch9wavefront6targetE1EEEvSJ_.private_seg_size, 0
	.set _ZN7rocprim17ROCPRIM_400000_NS6detail17trampoline_kernelINS0_14default_configENS1_38merge_sort_block_merge_config_selectorIiiEEZZNS1_27merge_sort_block_merge_implIS3_N6thrust23THRUST_200600_302600_NS6detail15normal_iteratorINS8_10device_ptrIiEEEESD_jNS1_19radix_merge_compareILb1ELb1EiNS0_19identity_decomposerEEEEE10hipError_tT0_T1_T2_jT3_P12ihipStream_tbPNSt15iterator_traitsISI_E10value_typeEPNSO_ISJ_E10value_typeEPSK_NS1_7vsmem_tEENKUlT_SI_SJ_SK_E_clISD_PiSD_S10_EESH_SX_SI_SJ_SK_EUlSX_E_NS1_11comp_targetILNS1_3genE4ELNS1_11target_archE910ELNS1_3gpuE8ELNS1_3repE0EEENS1_48merge_mergepath_partition_config_static_selectorELNS0_4arch9wavefront6targetE1EEEvSJ_.uses_vcc, 0
	.set _ZN7rocprim17ROCPRIM_400000_NS6detail17trampoline_kernelINS0_14default_configENS1_38merge_sort_block_merge_config_selectorIiiEEZZNS1_27merge_sort_block_merge_implIS3_N6thrust23THRUST_200600_302600_NS6detail15normal_iteratorINS8_10device_ptrIiEEEESD_jNS1_19radix_merge_compareILb1ELb1EiNS0_19identity_decomposerEEEEE10hipError_tT0_T1_T2_jT3_P12ihipStream_tbPNSt15iterator_traitsISI_E10value_typeEPNSO_ISJ_E10value_typeEPSK_NS1_7vsmem_tEENKUlT_SI_SJ_SK_E_clISD_PiSD_S10_EESH_SX_SI_SJ_SK_EUlSX_E_NS1_11comp_targetILNS1_3genE4ELNS1_11target_archE910ELNS1_3gpuE8ELNS1_3repE0EEENS1_48merge_mergepath_partition_config_static_selectorELNS0_4arch9wavefront6targetE1EEEvSJ_.uses_flat_scratch, 0
	.set _ZN7rocprim17ROCPRIM_400000_NS6detail17trampoline_kernelINS0_14default_configENS1_38merge_sort_block_merge_config_selectorIiiEEZZNS1_27merge_sort_block_merge_implIS3_N6thrust23THRUST_200600_302600_NS6detail15normal_iteratorINS8_10device_ptrIiEEEESD_jNS1_19radix_merge_compareILb1ELb1EiNS0_19identity_decomposerEEEEE10hipError_tT0_T1_T2_jT3_P12ihipStream_tbPNSt15iterator_traitsISI_E10value_typeEPNSO_ISJ_E10value_typeEPSK_NS1_7vsmem_tEENKUlT_SI_SJ_SK_E_clISD_PiSD_S10_EESH_SX_SI_SJ_SK_EUlSX_E_NS1_11comp_targetILNS1_3genE4ELNS1_11target_archE910ELNS1_3gpuE8ELNS1_3repE0EEENS1_48merge_mergepath_partition_config_static_selectorELNS0_4arch9wavefront6targetE1EEEvSJ_.has_dyn_sized_stack, 0
	.set _ZN7rocprim17ROCPRIM_400000_NS6detail17trampoline_kernelINS0_14default_configENS1_38merge_sort_block_merge_config_selectorIiiEEZZNS1_27merge_sort_block_merge_implIS3_N6thrust23THRUST_200600_302600_NS6detail15normal_iteratorINS8_10device_ptrIiEEEESD_jNS1_19radix_merge_compareILb1ELb1EiNS0_19identity_decomposerEEEEE10hipError_tT0_T1_T2_jT3_P12ihipStream_tbPNSt15iterator_traitsISI_E10value_typeEPNSO_ISJ_E10value_typeEPSK_NS1_7vsmem_tEENKUlT_SI_SJ_SK_E_clISD_PiSD_S10_EESH_SX_SI_SJ_SK_EUlSX_E_NS1_11comp_targetILNS1_3genE4ELNS1_11target_archE910ELNS1_3gpuE8ELNS1_3repE0EEENS1_48merge_mergepath_partition_config_static_selectorELNS0_4arch9wavefront6targetE1EEEvSJ_.has_recursion, 0
	.set _ZN7rocprim17ROCPRIM_400000_NS6detail17trampoline_kernelINS0_14default_configENS1_38merge_sort_block_merge_config_selectorIiiEEZZNS1_27merge_sort_block_merge_implIS3_N6thrust23THRUST_200600_302600_NS6detail15normal_iteratorINS8_10device_ptrIiEEEESD_jNS1_19radix_merge_compareILb1ELb1EiNS0_19identity_decomposerEEEEE10hipError_tT0_T1_T2_jT3_P12ihipStream_tbPNSt15iterator_traitsISI_E10value_typeEPNSO_ISJ_E10value_typeEPSK_NS1_7vsmem_tEENKUlT_SI_SJ_SK_E_clISD_PiSD_S10_EESH_SX_SI_SJ_SK_EUlSX_E_NS1_11comp_targetILNS1_3genE4ELNS1_11target_archE910ELNS1_3gpuE8ELNS1_3repE0EEENS1_48merge_mergepath_partition_config_static_selectorELNS0_4arch9wavefront6targetE1EEEvSJ_.has_indirect_call, 0
	.section	.AMDGPU.csdata,"",@progbits
; Kernel info:
; codeLenInByte = 0
; TotalNumSgprs: 6
; NumVgprs: 0
; NumAgprs: 0
; TotalNumVgprs: 0
; ScratchSize: 0
; MemoryBound: 0
; FloatMode: 240
; IeeeMode: 1
; LDSByteSize: 0 bytes/workgroup (compile time only)
; SGPRBlocks: 0
; VGPRBlocks: 0
; NumSGPRsForWavesPerEU: 6
; NumVGPRsForWavesPerEU: 1
; AccumOffset: 4
; Occupancy: 8
; WaveLimiterHint : 0
; COMPUTE_PGM_RSRC2:SCRATCH_EN: 0
; COMPUTE_PGM_RSRC2:USER_SGPR: 2
; COMPUTE_PGM_RSRC2:TRAP_HANDLER: 0
; COMPUTE_PGM_RSRC2:TGID_X_EN: 1
; COMPUTE_PGM_RSRC2:TGID_Y_EN: 0
; COMPUTE_PGM_RSRC2:TGID_Z_EN: 0
; COMPUTE_PGM_RSRC2:TIDIG_COMP_CNT: 0
; COMPUTE_PGM_RSRC3_GFX90A:ACCUM_OFFSET: 0
; COMPUTE_PGM_RSRC3_GFX90A:TG_SPLIT: 0
	.section	.text._ZN7rocprim17ROCPRIM_400000_NS6detail17trampoline_kernelINS0_14default_configENS1_38merge_sort_block_merge_config_selectorIiiEEZZNS1_27merge_sort_block_merge_implIS3_N6thrust23THRUST_200600_302600_NS6detail15normal_iteratorINS8_10device_ptrIiEEEESD_jNS1_19radix_merge_compareILb1ELb1EiNS0_19identity_decomposerEEEEE10hipError_tT0_T1_T2_jT3_P12ihipStream_tbPNSt15iterator_traitsISI_E10value_typeEPNSO_ISJ_E10value_typeEPSK_NS1_7vsmem_tEENKUlT_SI_SJ_SK_E_clISD_PiSD_S10_EESH_SX_SI_SJ_SK_EUlSX_E_NS1_11comp_targetILNS1_3genE3ELNS1_11target_archE908ELNS1_3gpuE7ELNS1_3repE0EEENS1_48merge_mergepath_partition_config_static_selectorELNS0_4arch9wavefront6targetE1EEEvSJ_,"axG",@progbits,_ZN7rocprim17ROCPRIM_400000_NS6detail17trampoline_kernelINS0_14default_configENS1_38merge_sort_block_merge_config_selectorIiiEEZZNS1_27merge_sort_block_merge_implIS3_N6thrust23THRUST_200600_302600_NS6detail15normal_iteratorINS8_10device_ptrIiEEEESD_jNS1_19radix_merge_compareILb1ELb1EiNS0_19identity_decomposerEEEEE10hipError_tT0_T1_T2_jT3_P12ihipStream_tbPNSt15iterator_traitsISI_E10value_typeEPNSO_ISJ_E10value_typeEPSK_NS1_7vsmem_tEENKUlT_SI_SJ_SK_E_clISD_PiSD_S10_EESH_SX_SI_SJ_SK_EUlSX_E_NS1_11comp_targetILNS1_3genE3ELNS1_11target_archE908ELNS1_3gpuE7ELNS1_3repE0EEENS1_48merge_mergepath_partition_config_static_selectorELNS0_4arch9wavefront6targetE1EEEvSJ_,comdat
	.protected	_ZN7rocprim17ROCPRIM_400000_NS6detail17trampoline_kernelINS0_14default_configENS1_38merge_sort_block_merge_config_selectorIiiEEZZNS1_27merge_sort_block_merge_implIS3_N6thrust23THRUST_200600_302600_NS6detail15normal_iteratorINS8_10device_ptrIiEEEESD_jNS1_19radix_merge_compareILb1ELb1EiNS0_19identity_decomposerEEEEE10hipError_tT0_T1_T2_jT3_P12ihipStream_tbPNSt15iterator_traitsISI_E10value_typeEPNSO_ISJ_E10value_typeEPSK_NS1_7vsmem_tEENKUlT_SI_SJ_SK_E_clISD_PiSD_S10_EESH_SX_SI_SJ_SK_EUlSX_E_NS1_11comp_targetILNS1_3genE3ELNS1_11target_archE908ELNS1_3gpuE7ELNS1_3repE0EEENS1_48merge_mergepath_partition_config_static_selectorELNS0_4arch9wavefront6targetE1EEEvSJ_ ; -- Begin function _ZN7rocprim17ROCPRIM_400000_NS6detail17trampoline_kernelINS0_14default_configENS1_38merge_sort_block_merge_config_selectorIiiEEZZNS1_27merge_sort_block_merge_implIS3_N6thrust23THRUST_200600_302600_NS6detail15normal_iteratorINS8_10device_ptrIiEEEESD_jNS1_19radix_merge_compareILb1ELb1EiNS0_19identity_decomposerEEEEE10hipError_tT0_T1_T2_jT3_P12ihipStream_tbPNSt15iterator_traitsISI_E10value_typeEPNSO_ISJ_E10value_typeEPSK_NS1_7vsmem_tEENKUlT_SI_SJ_SK_E_clISD_PiSD_S10_EESH_SX_SI_SJ_SK_EUlSX_E_NS1_11comp_targetILNS1_3genE3ELNS1_11target_archE908ELNS1_3gpuE7ELNS1_3repE0EEENS1_48merge_mergepath_partition_config_static_selectorELNS0_4arch9wavefront6targetE1EEEvSJ_
	.globl	_ZN7rocprim17ROCPRIM_400000_NS6detail17trampoline_kernelINS0_14default_configENS1_38merge_sort_block_merge_config_selectorIiiEEZZNS1_27merge_sort_block_merge_implIS3_N6thrust23THRUST_200600_302600_NS6detail15normal_iteratorINS8_10device_ptrIiEEEESD_jNS1_19radix_merge_compareILb1ELb1EiNS0_19identity_decomposerEEEEE10hipError_tT0_T1_T2_jT3_P12ihipStream_tbPNSt15iterator_traitsISI_E10value_typeEPNSO_ISJ_E10value_typeEPSK_NS1_7vsmem_tEENKUlT_SI_SJ_SK_E_clISD_PiSD_S10_EESH_SX_SI_SJ_SK_EUlSX_E_NS1_11comp_targetILNS1_3genE3ELNS1_11target_archE908ELNS1_3gpuE7ELNS1_3repE0EEENS1_48merge_mergepath_partition_config_static_selectorELNS0_4arch9wavefront6targetE1EEEvSJ_
	.p2align	8
	.type	_ZN7rocprim17ROCPRIM_400000_NS6detail17trampoline_kernelINS0_14default_configENS1_38merge_sort_block_merge_config_selectorIiiEEZZNS1_27merge_sort_block_merge_implIS3_N6thrust23THRUST_200600_302600_NS6detail15normal_iteratorINS8_10device_ptrIiEEEESD_jNS1_19radix_merge_compareILb1ELb1EiNS0_19identity_decomposerEEEEE10hipError_tT0_T1_T2_jT3_P12ihipStream_tbPNSt15iterator_traitsISI_E10value_typeEPNSO_ISJ_E10value_typeEPSK_NS1_7vsmem_tEENKUlT_SI_SJ_SK_E_clISD_PiSD_S10_EESH_SX_SI_SJ_SK_EUlSX_E_NS1_11comp_targetILNS1_3genE3ELNS1_11target_archE908ELNS1_3gpuE7ELNS1_3repE0EEENS1_48merge_mergepath_partition_config_static_selectorELNS0_4arch9wavefront6targetE1EEEvSJ_,@function
_ZN7rocprim17ROCPRIM_400000_NS6detail17trampoline_kernelINS0_14default_configENS1_38merge_sort_block_merge_config_selectorIiiEEZZNS1_27merge_sort_block_merge_implIS3_N6thrust23THRUST_200600_302600_NS6detail15normal_iteratorINS8_10device_ptrIiEEEESD_jNS1_19radix_merge_compareILb1ELb1EiNS0_19identity_decomposerEEEEE10hipError_tT0_T1_T2_jT3_P12ihipStream_tbPNSt15iterator_traitsISI_E10value_typeEPNSO_ISJ_E10value_typeEPSK_NS1_7vsmem_tEENKUlT_SI_SJ_SK_E_clISD_PiSD_S10_EESH_SX_SI_SJ_SK_EUlSX_E_NS1_11comp_targetILNS1_3genE3ELNS1_11target_archE908ELNS1_3gpuE7ELNS1_3repE0EEENS1_48merge_mergepath_partition_config_static_selectorELNS0_4arch9wavefront6targetE1EEEvSJ_: ; @_ZN7rocprim17ROCPRIM_400000_NS6detail17trampoline_kernelINS0_14default_configENS1_38merge_sort_block_merge_config_selectorIiiEEZZNS1_27merge_sort_block_merge_implIS3_N6thrust23THRUST_200600_302600_NS6detail15normal_iteratorINS8_10device_ptrIiEEEESD_jNS1_19radix_merge_compareILb1ELb1EiNS0_19identity_decomposerEEEEE10hipError_tT0_T1_T2_jT3_P12ihipStream_tbPNSt15iterator_traitsISI_E10value_typeEPNSO_ISJ_E10value_typeEPSK_NS1_7vsmem_tEENKUlT_SI_SJ_SK_E_clISD_PiSD_S10_EESH_SX_SI_SJ_SK_EUlSX_E_NS1_11comp_targetILNS1_3genE3ELNS1_11target_archE908ELNS1_3gpuE7ELNS1_3repE0EEENS1_48merge_mergepath_partition_config_static_selectorELNS0_4arch9wavefront6targetE1EEEvSJ_
; %bb.0:
	.section	.rodata,"a",@progbits
	.p2align	6, 0x0
	.amdhsa_kernel _ZN7rocprim17ROCPRIM_400000_NS6detail17trampoline_kernelINS0_14default_configENS1_38merge_sort_block_merge_config_selectorIiiEEZZNS1_27merge_sort_block_merge_implIS3_N6thrust23THRUST_200600_302600_NS6detail15normal_iteratorINS8_10device_ptrIiEEEESD_jNS1_19radix_merge_compareILb1ELb1EiNS0_19identity_decomposerEEEEE10hipError_tT0_T1_T2_jT3_P12ihipStream_tbPNSt15iterator_traitsISI_E10value_typeEPNSO_ISJ_E10value_typeEPSK_NS1_7vsmem_tEENKUlT_SI_SJ_SK_E_clISD_PiSD_S10_EESH_SX_SI_SJ_SK_EUlSX_E_NS1_11comp_targetILNS1_3genE3ELNS1_11target_archE908ELNS1_3gpuE7ELNS1_3repE0EEENS1_48merge_mergepath_partition_config_static_selectorELNS0_4arch9wavefront6targetE1EEEvSJ_
		.amdhsa_group_segment_fixed_size 0
		.amdhsa_private_segment_fixed_size 0
		.amdhsa_kernarg_size 40
		.amdhsa_user_sgpr_count 2
		.amdhsa_user_sgpr_dispatch_ptr 0
		.amdhsa_user_sgpr_queue_ptr 0
		.amdhsa_user_sgpr_kernarg_segment_ptr 1
		.amdhsa_user_sgpr_dispatch_id 0
		.amdhsa_user_sgpr_kernarg_preload_length 0
		.amdhsa_user_sgpr_kernarg_preload_offset 0
		.amdhsa_user_sgpr_private_segment_size 0
		.amdhsa_uses_dynamic_stack 0
		.amdhsa_enable_private_segment 0
		.amdhsa_system_sgpr_workgroup_id_x 1
		.amdhsa_system_sgpr_workgroup_id_y 0
		.amdhsa_system_sgpr_workgroup_id_z 0
		.amdhsa_system_sgpr_workgroup_info 0
		.amdhsa_system_vgpr_workitem_id 0
		.amdhsa_next_free_vgpr 1
		.amdhsa_next_free_sgpr 0
		.amdhsa_accum_offset 4
		.amdhsa_reserve_vcc 0
		.amdhsa_float_round_mode_32 0
		.amdhsa_float_round_mode_16_64 0
		.amdhsa_float_denorm_mode_32 3
		.amdhsa_float_denorm_mode_16_64 3
		.amdhsa_dx10_clamp 1
		.amdhsa_ieee_mode 1
		.amdhsa_fp16_overflow 0
		.amdhsa_tg_split 0
		.amdhsa_exception_fp_ieee_invalid_op 0
		.amdhsa_exception_fp_denorm_src 0
		.amdhsa_exception_fp_ieee_div_zero 0
		.amdhsa_exception_fp_ieee_overflow 0
		.amdhsa_exception_fp_ieee_underflow 0
		.amdhsa_exception_fp_ieee_inexact 0
		.amdhsa_exception_int_div_zero 0
	.end_amdhsa_kernel
	.section	.text._ZN7rocprim17ROCPRIM_400000_NS6detail17trampoline_kernelINS0_14default_configENS1_38merge_sort_block_merge_config_selectorIiiEEZZNS1_27merge_sort_block_merge_implIS3_N6thrust23THRUST_200600_302600_NS6detail15normal_iteratorINS8_10device_ptrIiEEEESD_jNS1_19radix_merge_compareILb1ELb1EiNS0_19identity_decomposerEEEEE10hipError_tT0_T1_T2_jT3_P12ihipStream_tbPNSt15iterator_traitsISI_E10value_typeEPNSO_ISJ_E10value_typeEPSK_NS1_7vsmem_tEENKUlT_SI_SJ_SK_E_clISD_PiSD_S10_EESH_SX_SI_SJ_SK_EUlSX_E_NS1_11comp_targetILNS1_3genE3ELNS1_11target_archE908ELNS1_3gpuE7ELNS1_3repE0EEENS1_48merge_mergepath_partition_config_static_selectorELNS0_4arch9wavefront6targetE1EEEvSJ_,"axG",@progbits,_ZN7rocprim17ROCPRIM_400000_NS6detail17trampoline_kernelINS0_14default_configENS1_38merge_sort_block_merge_config_selectorIiiEEZZNS1_27merge_sort_block_merge_implIS3_N6thrust23THRUST_200600_302600_NS6detail15normal_iteratorINS8_10device_ptrIiEEEESD_jNS1_19radix_merge_compareILb1ELb1EiNS0_19identity_decomposerEEEEE10hipError_tT0_T1_T2_jT3_P12ihipStream_tbPNSt15iterator_traitsISI_E10value_typeEPNSO_ISJ_E10value_typeEPSK_NS1_7vsmem_tEENKUlT_SI_SJ_SK_E_clISD_PiSD_S10_EESH_SX_SI_SJ_SK_EUlSX_E_NS1_11comp_targetILNS1_3genE3ELNS1_11target_archE908ELNS1_3gpuE7ELNS1_3repE0EEENS1_48merge_mergepath_partition_config_static_selectorELNS0_4arch9wavefront6targetE1EEEvSJ_,comdat
.Lfunc_end1799:
	.size	_ZN7rocprim17ROCPRIM_400000_NS6detail17trampoline_kernelINS0_14default_configENS1_38merge_sort_block_merge_config_selectorIiiEEZZNS1_27merge_sort_block_merge_implIS3_N6thrust23THRUST_200600_302600_NS6detail15normal_iteratorINS8_10device_ptrIiEEEESD_jNS1_19radix_merge_compareILb1ELb1EiNS0_19identity_decomposerEEEEE10hipError_tT0_T1_T2_jT3_P12ihipStream_tbPNSt15iterator_traitsISI_E10value_typeEPNSO_ISJ_E10value_typeEPSK_NS1_7vsmem_tEENKUlT_SI_SJ_SK_E_clISD_PiSD_S10_EESH_SX_SI_SJ_SK_EUlSX_E_NS1_11comp_targetILNS1_3genE3ELNS1_11target_archE908ELNS1_3gpuE7ELNS1_3repE0EEENS1_48merge_mergepath_partition_config_static_selectorELNS0_4arch9wavefront6targetE1EEEvSJ_, .Lfunc_end1799-_ZN7rocprim17ROCPRIM_400000_NS6detail17trampoline_kernelINS0_14default_configENS1_38merge_sort_block_merge_config_selectorIiiEEZZNS1_27merge_sort_block_merge_implIS3_N6thrust23THRUST_200600_302600_NS6detail15normal_iteratorINS8_10device_ptrIiEEEESD_jNS1_19radix_merge_compareILb1ELb1EiNS0_19identity_decomposerEEEEE10hipError_tT0_T1_T2_jT3_P12ihipStream_tbPNSt15iterator_traitsISI_E10value_typeEPNSO_ISJ_E10value_typeEPSK_NS1_7vsmem_tEENKUlT_SI_SJ_SK_E_clISD_PiSD_S10_EESH_SX_SI_SJ_SK_EUlSX_E_NS1_11comp_targetILNS1_3genE3ELNS1_11target_archE908ELNS1_3gpuE7ELNS1_3repE0EEENS1_48merge_mergepath_partition_config_static_selectorELNS0_4arch9wavefront6targetE1EEEvSJ_
                                        ; -- End function
	.set _ZN7rocprim17ROCPRIM_400000_NS6detail17trampoline_kernelINS0_14default_configENS1_38merge_sort_block_merge_config_selectorIiiEEZZNS1_27merge_sort_block_merge_implIS3_N6thrust23THRUST_200600_302600_NS6detail15normal_iteratorINS8_10device_ptrIiEEEESD_jNS1_19radix_merge_compareILb1ELb1EiNS0_19identity_decomposerEEEEE10hipError_tT0_T1_T2_jT3_P12ihipStream_tbPNSt15iterator_traitsISI_E10value_typeEPNSO_ISJ_E10value_typeEPSK_NS1_7vsmem_tEENKUlT_SI_SJ_SK_E_clISD_PiSD_S10_EESH_SX_SI_SJ_SK_EUlSX_E_NS1_11comp_targetILNS1_3genE3ELNS1_11target_archE908ELNS1_3gpuE7ELNS1_3repE0EEENS1_48merge_mergepath_partition_config_static_selectorELNS0_4arch9wavefront6targetE1EEEvSJ_.num_vgpr, 0
	.set _ZN7rocprim17ROCPRIM_400000_NS6detail17trampoline_kernelINS0_14default_configENS1_38merge_sort_block_merge_config_selectorIiiEEZZNS1_27merge_sort_block_merge_implIS3_N6thrust23THRUST_200600_302600_NS6detail15normal_iteratorINS8_10device_ptrIiEEEESD_jNS1_19radix_merge_compareILb1ELb1EiNS0_19identity_decomposerEEEEE10hipError_tT0_T1_T2_jT3_P12ihipStream_tbPNSt15iterator_traitsISI_E10value_typeEPNSO_ISJ_E10value_typeEPSK_NS1_7vsmem_tEENKUlT_SI_SJ_SK_E_clISD_PiSD_S10_EESH_SX_SI_SJ_SK_EUlSX_E_NS1_11comp_targetILNS1_3genE3ELNS1_11target_archE908ELNS1_3gpuE7ELNS1_3repE0EEENS1_48merge_mergepath_partition_config_static_selectorELNS0_4arch9wavefront6targetE1EEEvSJ_.num_agpr, 0
	.set _ZN7rocprim17ROCPRIM_400000_NS6detail17trampoline_kernelINS0_14default_configENS1_38merge_sort_block_merge_config_selectorIiiEEZZNS1_27merge_sort_block_merge_implIS3_N6thrust23THRUST_200600_302600_NS6detail15normal_iteratorINS8_10device_ptrIiEEEESD_jNS1_19radix_merge_compareILb1ELb1EiNS0_19identity_decomposerEEEEE10hipError_tT0_T1_T2_jT3_P12ihipStream_tbPNSt15iterator_traitsISI_E10value_typeEPNSO_ISJ_E10value_typeEPSK_NS1_7vsmem_tEENKUlT_SI_SJ_SK_E_clISD_PiSD_S10_EESH_SX_SI_SJ_SK_EUlSX_E_NS1_11comp_targetILNS1_3genE3ELNS1_11target_archE908ELNS1_3gpuE7ELNS1_3repE0EEENS1_48merge_mergepath_partition_config_static_selectorELNS0_4arch9wavefront6targetE1EEEvSJ_.numbered_sgpr, 0
	.set _ZN7rocprim17ROCPRIM_400000_NS6detail17trampoline_kernelINS0_14default_configENS1_38merge_sort_block_merge_config_selectorIiiEEZZNS1_27merge_sort_block_merge_implIS3_N6thrust23THRUST_200600_302600_NS6detail15normal_iteratorINS8_10device_ptrIiEEEESD_jNS1_19radix_merge_compareILb1ELb1EiNS0_19identity_decomposerEEEEE10hipError_tT0_T1_T2_jT3_P12ihipStream_tbPNSt15iterator_traitsISI_E10value_typeEPNSO_ISJ_E10value_typeEPSK_NS1_7vsmem_tEENKUlT_SI_SJ_SK_E_clISD_PiSD_S10_EESH_SX_SI_SJ_SK_EUlSX_E_NS1_11comp_targetILNS1_3genE3ELNS1_11target_archE908ELNS1_3gpuE7ELNS1_3repE0EEENS1_48merge_mergepath_partition_config_static_selectorELNS0_4arch9wavefront6targetE1EEEvSJ_.num_named_barrier, 0
	.set _ZN7rocprim17ROCPRIM_400000_NS6detail17trampoline_kernelINS0_14default_configENS1_38merge_sort_block_merge_config_selectorIiiEEZZNS1_27merge_sort_block_merge_implIS3_N6thrust23THRUST_200600_302600_NS6detail15normal_iteratorINS8_10device_ptrIiEEEESD_jNS1_19radix_merge_compareILb1ELb1EiNS0_19identity_decomposerEEEEE10hipError_tT0_T1_T2_jT3_P12ihipStream_tbPNSt15iterator_traitsISI_E10value_typeEPNSO_ISJ_E10value_typeEPSK_NS1_7vsmem_tEENKUlT_SI_SJ_SK_E_clISD_PiSD_S10_EESH_SX_SI_SJ_SK_EUlSX_E_NS1_11comp_targetILNS1_3genE3ELNS1_11target_archE908ELNS1_3gpuE7ELNS1_3repE0EEENS1_48merge_mergepath_partition_config_static_selectorELNS0_4arch9wavefront6targetE1EEEvSJ_.private_seg_size, 0
	.set _ZN7rocprim17ROCPRIM_400000_NS6detail17trampoline_kernelINS0_14default_configENS1_38merge_sort_block_merge_config_selectorIiiEEZZNS1_27merge_sort_block_merge_implIS3_N6thrust23THRUST_200600_302600_NS6detail15normal_iteratorINS8_10device_ptrIiEEEESD_jNS1_19radix_merge_compareILb1ELb1EiNS0_19identity_decomposerEEEEE10hipError_tT0_T1_T2_jT3_P12ihipStream_tbPNSt15iterator_traitsISI_E10value_typeEPNSO_ISJ_E10value_typeEPSK_NS1_7vsmem_tEENKUlT_SI_SJ_SK_E_clISD_PiSD_S10_EESH_SX_SI_SJ_SK_EUlSX_E_NS1_11comp_targetILNS1_3genE3ELNS1_11target_archE908ELNS1_3gpuE7ELNS1_3repE0EEENS1_48merge_mergepath_partition_config_static_selectorELNS0_4arch9wavefront6targetE1EEEvSJ_.uses_vcc, 0
	.set _ZN7rocprim17ROCPRIM_400000_NS6detail17trampoline_kernelINS0_14default_configENS1_38merge_sort_block_merge_config_selectorIiiEEZZNS1_27merge_sort_block_merge_implIS3_N6thrust23THRUST_200600_302600_NS6detail15normal_iteratorINS8_10device_ptrIiEEEESD_jNS1_19radix_merge_compareILb1ELb1EiNS0_19identity_decomposerEEEEE10hipError_tT0_T1_T2_jT3_P12ihipStream_tbPNSt15iterator_traitsISI_E10value_typeEPNSO_ISJ_E10value_typeEPSK_NS1_7vsmem_tEENKUlT_SI_SJ_SK_E_clISD_PiSD_S10_EESH_SX_SI_SJ_SK_EUlSX_E_NS1_11comp_targetILNS1_3genE3ELNS1_11target_archE908ELNS1_3gpuE7ELNS1_3repE0EEENS1_48merge_mergepath_partition_config_static_selectorELNS0_4arch9wavefront6targetE1EEEvSJ_.uses_flat_scratch, 0
	.set _ZN7rocprim17ROCPRIM_400000_NS6detail17trampoline_kernelINS0_14default_configENS1_38merge_sort_block_merge_config_selectorIiiEEZZNS1_27merge_sort_block_merge_implIS3_N6thrust23THRUST_200600_302600_NS6detail15normal_iteratorINS8_10device_ptrIiEEEESD_jNS1_19radix_merge_compareILb1ELb1EiNS0_19identity_decomposerEEEEE10hipError_tT0_T1_T2_jT3_P12ihipStream_tbPNSt15iterator_traitsISI_E10value_typeEPNSO_ISJ_E10value_typeEPSK_NS1_7vsmem_tEENKUlT_SI_SJ_SK_E_clISD_PiSD_S10_EESH_SX_SI_SJ_SK_EUlSX_E_NS1_11comp_targetILNS1_3genE3ELNS1_11target_archE908ELNS1_3gpuE7ELNS1_3repE0EEENS1_48merge_mergepath_partition_config_static_selectorELNS0_4arch9wavefront6targetE1EEEvSJ_.has_dyn_sized_stack, 0
	.set _ZN7rocprim17ROCPRIM_400000_NS6detail17trampoline_kernelINS0_14default_configENS1_38merge_sort_block_merge_config_selectorIiiEEZZNS1_27merge_sort_block_merge_implIS3_N6thrust23THRUST_200600_302600_NS6detail15normal_iteratorINS8_10device_ptrIiEEEESD_jNS1_19radix_merge_compareILb1ELb1EiNS0_19identity_decomposerEEEEE10hipError_tT0_T1_T2_jT3_P12ihipStream_tbPNSt15iterator_traitsISI_E10value_typeEPNSO_ISJ_E10value_typeEPSK_NS1_7vsmem_tEENKUlT_SI_SJ_SK_E_clISD_PiSD_S10_EESH_SX_SI_SJ_SK_EUlSX_E_NS1_11comp_targetILNS1_3genE3ELNS1_11target_archE908ELNS1_3gpuE7ELNS1_3repE0EEENS1_48merge_mergepath_partition_config_static_selectorELNS0_4arch9wavefront6targetE1EEEvSJ_.has_recursion, 0
	.set _ZN7rocprim17ROCPRIM_400000_NS6detail17trampoline_kernelINS0_14default_configENS1_38merge_sort_block_merge_config_selectorIiiEEZZNS1_27merge_sort_block_merge_implIS3_N6thrust23THRUST_200600_302600_NS6detail15normal_iteratorINS8_10device_ptrIiEEEESD_jNS1_19radix_merge_compareILb1ELb1EiNS0_19identity_decomposerEEEEE10hipError_tT0_T1_T2_jT3_P12ihipStream_tbPNSt15iterator_traitsISI_E10value_typeEPNSO_ISJ_E10value_typeEPSK_NS1_7vsmem_tEENKUlT_SI_SJ_SK_E_clISD_PiSD_S10_EESH_SX_SI_SJ_SK_EUlSX_E_NS1_11comp_targetILNS1_3genE3ELNS1_11target_archE908ELNS1_3gpuE7ELNS1_3repE0EEENS1_48merge_mergepath_partition_config_static_selectorELNS0_4arch9wavefront6targetE1EEEvSJ_.has_indirect_call, 0
	.section	.AMDGPU.csdata,"",@progbits
; Kernel info:
; codeLenInByte = 0
; TotalNumSgprs: 6
; NumVgprs: 0
; NumAgprs: 0
; TotalNumVgprs: 0
; ScratchSize: 0
; MemoryBound: 0
; FloatMode: 240
; IeeeMode: 1
; LDSByteSize: 0 bytes/workgroup (compile time only)
; SGPRBlocks: 0
; VGPRBlocks: 0
; NumSGPRsForWavesPerEU: 6
; NumVGPRsForWavesPerEU: 1
; AccumOffset: 4
; Occupancy: 8
; WaveLimiterHint : 0
; COMPUTE_PGM_RSRC2:SCRATCH_EN: 0
; COMPUTE_PGM_RSRC2:USER_SGPR: 2
; COMPUTE_PGM_RSRC2:TRAP_HANDLER: 0
; COMPUTE_PGM_RSRC2:TGID_X_EN: 1
; COMPUTE_PGM_RSRC2:TGID_Y_EN: 0
; COMPUTE_PGM_RSRC2:TGID_Z_EN: 0
; COMPUTE_PGM_RSRC2:TIDIG_COMP_CNT: 0
; COMPUTE_PGM_RSRC3_GFX90A:ACCUM_OFFSET: 0
; COMPUTE_PGM_RSRC3_GFX90A:TG_SPLIT: 0
	.section	.text._ZN7rocprim17ROCPRIM_400000_NS6detail17trampoline_kernelINS0_14default_configENS1_38merge_sort_block_merge_config_selectorIiiEEZZNS1_27merge_sort_block_merge_implIS3_N6thrust23THRUST_200600_302600_NS6detail15normal_iteratorINS8_10device_ptrIiEEEESD_jNS1_19radix_merge_compareILb1ELb1EiNS0_19identity_decomposerEEEEE10hipError_tT0_T1_T2_jT3_P12ihipStream_tbPNSt15iterator_traitsISI_E10value_typeEPNSO_ISJ_E10value_typeEPSK_NS1_7vsmem_tEENKUlT_SI_SJ_SK_E_clISD_PiSD_S10_EESH_SX_SI_SJ_SK_EUlSX_E_NS1_11comp_targetILNS1_3genE2ELNS1_11target_archE906ELNS1_3gpuE6ELNS1_3repE0EEENS1_48merge_mergepath_partition_config_static_selectorELNS0_4arch9wavefront6targetE1EEEvSJ_,"axG",@progbits,_ZN7rocprim17ROCPRIM_400000_NS6detail17trampoline_kernelINS0_14default_configENS1_38merge_sort_block_merge_config_selectorIiiEEZZNS1_27merge_sort_block_merge_implIS3_N6thrust23THRUST_200600_302600_NS6detail15normal_iteratorINS8_10device_ptrIiEEEESD_jNS1_19radix_merge_compareILb1ELb1EiNS0_19identity_decomposerEEEEE10hipError_tT0_T1_T2_jT3_P12ihipStream_tbPNSt15iterator_traitsISI_E10value_typeEPNSO_ISJ_E10value_typeEPSK_NS1_7vsmem_tEENKUlT_SI_SJ_SK_E_clISD_PiSD_S10_EESH_SX_SI_SJ_SK_EUlSX_E_NS1_11comp_targetILNS1_3genE2ELNS1_11target_archE906ELNS1_3gpuE6ELNS1_3repE0EEENS1_48merge_mergepath_partition_config_static_selectorELNS0_4arch9wavefront6targetE1EEEvSJ_,comdat
	.protected	_ZN7rocprim17ROCPRIM_400000_NS6detail17trampoline_kernelINS0_14default_configENS1_38merge_sort_block_merge_config_selectorIiiEEZZNS1_27merge_sort_block_merge_implIS3_N6thrust23THRUST_200600_302600_NS6detail15normal_iteratorINS8_10device_ptrIiEEEESD_jNS1_19radix_merge_compareILb1ELb1EiNS0_19identity_decomposerEEEEE10hipError_tT0_T1_T2_jT3_P12ihipStream_tbPNSt15iterator_traitsISI_E10value_typeEPNSO_ISJ_E10value_typeEPSK_NS1_7vsmem_tEENKUlT_SI_SJ_SK_E_clISD_PiSD_S10_EESH_SX_SI_SJ_SK_EUlSX_E_NS1_11comp_targetILNS1_3genE2ELNS1_11target_archE906ELNS1_3gpuE6ELNS1_3repE0EEENS1_48merge_mergepath_partition_config_static_selectorELNS0_4arch9wavefront6targetE1EEEvSJ_ ; -- Begin function _ZN7rocprim17ROCPRIM_400000_NS6detail17trampoline_kernelINS0_14default_configENS1_38merge_sort_block_merge_config_selectorIiiEEZZNS1_27merge_sort_block_merge_implIS3_N6thrust23THRUST_200600_302600_NS6detail15normal_iteratorINS8_10device_ptrIiEEEESD_jNS1_19radix_merge_compareILb1ELb1EiNS0_19identity_decomposerEEEEE10hipError_tT0_T1_T2_jT3_P12ihipStream_tbPNSt15iterator_traitsISI_E10value_typeEPNSO_ISJ_E10value_typeEPSK_NS1_7vsmem_tEENKUlT_SI_SJ_SK_E_clISD_PiSD_S10_EESH_SX_SI_SJ_SK_EUlSX_E_NS1_11comp_targetILNS1_3genE2ELNS1_11target_archE906ELNS1_3gpuE6ELNS1_3repE0EEENS1_48merge_mergepath_partition_config_static_selectorELNS0_4arch9wavefront6targetE1EEEvSJ_
	.globl	_ZN7rocprim17ROCPRIM_400000_NS6detail17trampoline_kernelINS0_14default_configENS1_38merge_sort_block_merge_config_selectorIiiEEZZNS1_27merge_sort_block_merge_implIS3_N6thrust23THRUST_200600_302600_NS6detail15normal_iteratorINS8_10device_ptrIiEEEESD_jNS1_19radix_merge_compareILb1ELb1EiNS0_19identity_decomposerEEEEE10hipError_tT0_T1_T2_jT3_P12ihipStream_tbPNSt15iterator_traitsISI_E10value_typeEPNSO_ISJ_E10value_typeEPSK_NS1_7vsmem_tEENKUlT_SI_SJ_SK_E_clISD_PiSD_S10_EESH_SX_SI_SJ_SK_EUlSX_E_NS1_11comp_targetILNS1_3genE2ELNS1_11target_archE906ELNS1_3gpuE6ELNS1_3repE0EEENS1_48merge_mergepath_partition_config_static_selectorELNS0_4arch9wavefront6targetE1EEEvSJ_
	.p2align	8
	.type	_ZN7rocprim17ROCPRIM_400000_NS6detail17trampoline_kernelINS0_14default_configENS1_38merge_sort_block_merge_config_selectorIiiEEZZNS1_27merge_sort_block_merge_implIS3_N6thrust23THRUST_200600_302600_NS6detail15normal_iteratorINS8_10device_ptrIiEEEESD_jNS1_19radix_merge_compareILb1ELb1EiNS0_19identity_decomposerEEEEE10hipError_tT0_T1_T2_jT3_P12ihipStream_tbPNSt15iterator_traitsISI_E10value_typeEPNSO_ISJ_E10value_typeEPSK_NS1_7vsmem_tEENKUlT_SI_SJ_SK_E_clISD_PiSD_S10_EESH_SX_SI_SJ_SK_EUlSX_E_NS1_11comp_targetILNS1_3genE2ELNS1_11target_archE906ELNS1_3gpuE6ELNS1_3repE0EEENS1_48merge_mergepath_partition_config_static_selectorELNS0_4arch9wavefront6targetE1EEEvSJ_,@function
_ZN7rocprim17ROCPRIM_400000_NS6detail17trampoline_kernelINS0_14default_configENS1_38merge_sort_block_merge_config_selectorIiiEEZZNS1_27merge_sort_block_merge_implIS3_N6thrust23THRUST_200600_302600_NS6detail15normal_iteratorINS8_10device_ptrIiEEEESD_jNS1_19radix_merge_compareILb1ELb1EiNS0_19identity_decomposerEEEEE10hipError_tT0_T1_T2_jT3_P12ihipStream_tbPNSt15iterator_traitsISI_E10value_typeEPNSO_ISJ_E10value_typeEPSK_NS1_7vsmem_tEENKUlT_SI_SJ_SK_E_clISD_PiSD_S10_EESH_SX_SI_SJ_SK_EUlSX_E_NS1_11comp_targetILNS1_3genE2ELNS1_11target_archE906ELNS1_3gpuE6ELNS1_3repE0EEENS1_48merge_mergepath_partition_config_static_selectorELNS0_4arch9wavefront6targetE1EEEvSJ_: ; @_ZN7rocprim17ROCPRIM_400000_NS6detail17trampoline_kernelINS0_14default_configENS1_38merge_sort_block_merge_config_selectorIiiEEZZNS1_27merge_sort_block_merge_implIS3_N6thrust23THRUST_200600_302600_NS6detail15normal_iteratorINS8_10device_ptrIiEEEESD_jNS1_19radix_merge_compareILb1ELb1EiNS0_19identity_decomposerEEEEE10hipError_tT0_T1_T2_jT3_P12ihipStream_tbPNSt15iterator_traitsISI_E10value_typeEPNSO_ISJ_E10value_typeEPSK_NS1_7vsmem_tEENKUlT_SI_SJ_SK_E_clISD_PiSD_S10_EESH_SX_SI_SJ_SK_EUlSX_E_NS1_11comp_targetILNS1_3genE2ELNS1_11target_archE906ELNS1_3gpuE6ELNS1_3repE0EEENS1_48merge_mergepath_partition_config_static_selectorELNS0_4arch9wavefront6targetE1EEEvSJ_
; %bb.0:
	.section	.rodata,"a",@progbits
	.p2align	6, 0x0
	.amdhsa_kernel _ZN7rocprim17ROCPRIM_400000_NS6detail17trampoline_kernelINS0_14default_configENS1_38merge_sort_block_merge_config_selectorIiiEEZZNS1_27merge_sort_block_merge_implIS3_N6thrust23THRUST_200600_302600_NS6detail15normal_iteratorINS8_10device_ptrIiEEEESD_jNS1_19radix_merge_compareILb1ELb1EiNS0_19identity_decomposerEEEEE10hipError_tT0_T1_T2_jT3_P12ihipStream_tbPNSt15iterator_traitsISI_E10value_typeEPNSO_ISJ_E10value_typeEPSK_NS1_7vsmem_tEENKUlT_SI_SJ_SK_E_clISD_PiSD_S10_EESH_SX_SI_SJ_SK_EUlSX_E_NS1_11comp_targetILNS1_3genE2ELNS1_11target_archE906ELNS1_3gpuE6ELNS1_3repE0EEENS1_48merge_mergepath_partition_config_static_selectorELNS0_4arch9wavefront6targetE1EEEvSJ_
		.amdhsa_group_segment_fixed_size 0
		.amdhsa_private_segment_fixed_size 0
		.amdhsa_kernarg_size 40
		.amdhsa_user_sgpr_count 2
		.amdhsa_user_sgpr_dispatch_ptr 0
		.amdhsa_user_sgpr_queue_ptr 0
		.amdhsa_user_sgpr_kernarg_segment_ptr 1
		.amdhsa_user_sgpr_dispatch_id 0
		.amdhsa_user_sgpr_kernarg_preload_length 0
		.amdhsa_user_sgpr_kernarg_preload_offset 0
		.amdhsa_user_sgpr_private_segment_size 0
		.amdhsa_uses_dynamic_stack 0
		.amdhsa_enable_private_segment 0
		.amdhsa_system_sgpr_workgroup_id_x 1
		.amdhsa_system_sgpr_workgroup_id_y 0
		.amdhsa_system_sgpr_workgroup_id_z 0
		.amdhsa_system_sgpr_workgroup_info 0
		.amdhsa_system_vgpr_workitem_id 0
		.amdhsa_next_free_vgpr 1
		.amdhsa_next_free_sgpr 0
		.amdhsa_accum_offset 4
		.amdhsa_reserve_vcc 0
		.amdhsa_float_round_mode_32 0
		.amdhsa_float_round_mode_16_64 0
		.amdhsa_float_denorm_mode_32 3
		.amdhsa_float_denorm_mode_16_64 3
		.amdhsa_dx10_clamp 1
		.amdhsa_ieee_mode 1
		.amdhsa_fp16_overflow 0
		.amdhsa_tg_split 0
		.amdhsa_exception_fp_ieee_invalid_op 0
		.amdhsa_exception_fp_denorm_src 0
		.amdhsa_exception_fp_ieee_div_zero 0
		.amdhsa_exception_fp_ieee_overflow 0
		.amdhsa_exception_fp_ieee_underflow 0
		.amdhsa_exception_fp_ieee_inexact 0
		.amdhsa_exception_int_div_zero 0
	.end_amdhsa_kernel
	.section	.text._ZN7rocprim17ROCPRIM_400000_NS6detail17trampoline_kernelINS0_14default_configENS1_38merge_sort_block_merge_config_selectorIiiEEZZNS1_27merge_sort_block_merge_implIS3_N6thrust23THRUST_200600_302600_NS6detail15normal_iteratorINS8_10device_ptrIiEEEESD_jNS1_19radix_merge_compareILb1ELb1EiNS0_19identity_decomposerEEEEE10hipError_tT0_T1_T2_jT3_P12ihipStream_tbPNSt15iterator_traitsISI_E10value_typeEPNSO_ISJ_E10value_typeEPSK_NS1_7vsmem_tEENKUlT_SI_SJ_SK_E_clISD_PiSD_S10_EESH_SX_SI_SJ_SK_EUlSX_E_NS1_11comp_targetILNS1_3genE2ELNS1_11target_archE906ELNS1_3gpuE6ELNS1_3repE0EEENS1_48merge_mergepath_partition_config_static_selectorELNS0_4arch9wavefront6targetE1EEEvSJ_,"axG",@progbits,_ZN7rocprim17ROCPRIM_400000_NS6detail17trampoline_kernelINS0_14default_configENS1_38merge_sort_block_merge_config_selectorIiiEEZZNS1_27merge_sort_block_merge_implIS3_N6thrust23THRUST_200600_302600_NS6detail15normal_iteratorINS8_10device_ptrIiEEEESD_jNS1_19radix_merge_compareILb1ELb1EiNS0_19identity_decomposerEEEEE10hipError_tT0_T1_T2_jT3_P12ihipStream_tbPNSt15iterator_traitsISI_E10value_typeEPNSO_ISJ_E10value_typeEPSK_NS1_7vsmem_tEENKUlT_SI_SJ_SK_E_clISD_PiSD_S10_EESH_SX_SI_SJ_SK_EUlSX_E_NS1_11comp_targetILNS1_3genE2ELNS1_11target_archE906ELNS1_3gpuE6ELNS1_3repE0EEENS1_48merge_mergepath_partition_config_static_selectorELNS0_4arch9wavefront6targetE1EEEvSJ_,comdat
.Lfunc_end1800:
	.size	_ZN7rocprim17ROCPRIM_400000_NS6detail17trampoline_kernelINS0_14default_configENS1_38merge_sort_block_merge_config_selectorIiiEEZZNS1_27merge_sort_block_merge_implIS3_N6thrust23THRUST_200600_302600_NS6detail15normal_iteratorINS8_10device_ptrIiEEEESD_jNS1_19radix_merge_compareILb1ELb1EiNS0_19identity_decomposerEEEEE10hipError_tT0_T1_T2_jT3_P12ihipStream_tbPNSt15iterator_traitsISI_E10value_typeEPNSO_ISJ_E10value_typeEPSK_NS1_7vsmem_tEENKUlT_SI_SJ_SK_E_clISD_PiSD_S10_EESH_SX_SI_SJ_SK_EUlSX_E_NS1_11comp_targetILNS1_3genE2ELNS1_11target_archE906ELNS1_3gpuE6ELNS1_3repE0EEENS1_48merge_mergepath_partition_config_static_selectorELNS0_4arch9wavefront6targetE1EEEvSJ_, .Lfunc_end1800-_ZN7rocprim17ROCPRIM_400000_NS6detail17trampoline_kernelINS0_14default_configENS1_38merge_sort_block_merge_config_selectorIiiEEZZNS1_27merge_sort_block_merge_implIS3_N6thrust23THRUST_200600_302600_NS6detail15normal_iteratorINS8_10device_ptrIiEEEESD_jNS1_19radix_merge_compareILb1ELb1EiNS0_19identity_decomposerEEEEE10hipError_tT0_T1_T2_jT3_P12ihipStream_tbPNSt15iterator_traitsISI_E10value_typeEPNSO_ISJ_E10value_typeEPSK_NS1_7vsmem_tEENKUlT_SI_SJ_SK_E_clISD_PiSD_S10_EESH_SX_SI_SJ_SK_EUlSX_E_NS1_11comp_targetILNS1_3genE2ELNS1_11target_archE906ELNS1_3gpuE6ELNS1_3repE0EEENS1_48merge_mergepath_partition_config_static_selectorELNS0_4arch9wavefront6targetE1EEEvSJ_
                                        ; -- End function
	.set _ZN7rocprim17ROCPRIM_400000_NS6detail17trampoline_kernelINS0_14default_configENS1_38merge_sort_block_merge_config_selectorIiiEEZZNS1_27merge_sort_block_merge_implIS3_N6thrust23THRUST_200600_302600_NS6detail15normal_iteratorINS8_10device_ptrIiEEEESD_jNS1_19radix_merge_compareILb1ELb1EiNS0_19identity_decomposerEEEEE10hipError_tT0_T1_T2_jT3_P12ihipStream_tbPNSt15iterator_traitsISI_E10value_typeEPNSO_ISJ_E10value_typeEPSK_NS1_7vsmem_tEENKUlT_SI_SJ_SK_E_clISD_PiSD_S10_EESH_SX_SI_SJ_SK_EUlSX_E_NS1_11comp_targetILNS1_3genE2ELNS1_11target_archE906ELNS1_3gpuE6ELNS1_3repE0EEENS1_48merge_mergepath_partition_config_static_selectorELNS0_4arch9wavefront6targetE1EEEvSJ_.num_vgpr, 0
	.set _ZN7rocprim17ROCPRIM_400000_NS6detail17trampoline_kernelINS0_14default_configENS1_38merge_sort_block_merge_config_selectorIiiEEZZNS1_27merge_sort_block_merge_implIS3_N6thrust23THRUST_200600_302600_NS6detail15normal_iteratorINS8_10device_ptrIiEEEESD_jNS1_19radix_merge_compareILb1ELb1EiNS0_19identity_decomposerEEEEE10hipError_tT0_T1_T2_jT3_P12ihipStream_tbPNSt15iterator_traitsISI_E10value_typeEPNSO_ISJ_E10value_typeEPSK_NS1_7vsmem_tEENKUlT_SI_SJ_SK_E_clISD_PiSD_S10_EESH_SX_SI_SJ_SK_EUlSX_E_NS1_11comp_targetILNS1_3genE2ELNS1_11target_archE906ELNS1_3gpuE6ELNS1_3repE0EEENS1_48merge_mergepath_partition_config_static_selectorELNS0_4arch9wavefront6targetE1EEEvSJ_.num_agpr, 0
	.set _ZN7rocprim17ROCPRIM_400000_NS6detail17trampoline_kernelINS0_14default_configENS1_38merge_sort_block_merge_config_selectorIiiEEZZNS1_27merge_sort_block_merge_implIS3_N6thrust23THRUST_200600_302600_NS6detail15normal_iteratorINS8_10device_ptrIiEEEESD_jNS1_19radix_merge_compareILb1ELb1EiNS0_19identity_decomposerEEEEE10hipError_tT0_T1_T2_jT3_P12ihipStream_tbPNSt15iterator_traitsISI_E10value_typeEPNSO_ISJ_E10value_typeEPSK_NS1_7vsmem_tEENKUlT_SI_SJ_SK_E_clISD_PiSD_S10_EESH_SX_SI_SJ_SK_EUlSX_E_NS1_11comp_targetILNS1_3genE2ELNS1_11target_archE906ELNS1_3gpuE6ELNS1_3repE0EEENS1_48merge_mergepath_partition_config_static_selectorELNS0_4arch9wavefront6targetE1EEEvSJ_.numbered_sgpr, 0
	.set _ZN7rocprim17ROCPRIM_400000_NS6detail17trampoline_kernelINS0_14default_configENS1_38merge_sort_block_merge_config_selectorIiiEEZZNS1_27merge_sort_block_merge_implIS3_N6thrust23THRUST_200600_302600_NS6detail15normal_iteratorINS8_10device_ptrIiEEEESD_jNS1_19radix_merge_compareILb1ELb1EiNS0_19identity_decomposerEEEEE10hipError_tT0_T1_T2_jT3_P12ihipStream_tbPNSt15iterator_traitsISI_E10value_typeEPNSO_ISJ_E10value_typeEPSK_NS1_7vsmem_tEENKUlT_SI_SJ_SK_E_clISD_PiSD_S10_EESH_SX_SI_SJ_SK_EUlSX_E_NS1_11comp_targetILNS1_3genE2ELNS1_11target_archE906ELNS1_3gpuE6ELNS1_3repE0EEENS1_48merge_mergepath_partition_config_static_selectorELNS0_4arch9wavefront6targetE1EEEvSJ_.num_named_barrier, 0
	.set _ZN7rocprim17ROCPRIM_400000_NS6detail17trampoline_kernelINS0_14default_configENS1_38merge_sort_block_merge_config_selectorIiiEEZZNS1_27merge_sort_block_merge_implIS3_N6thrust23THRUST_200600_302600_NS6detail15normal_iteratorINS8_10device_ptrIiEEEESD_jNS1_19radix_merge_compareILb1ELb1EiNS0_19identity_decomposerEEEEE10hipError_tT0_T1_T2_jT3_P12ihipStream_tbPNSt15iterator_traitsISI_E10value_typeEPNSO_ISJ_E10value_typeEPSK_NS1_7vsmem_tEENKUlT_SI_SJ_SK_E_clISD_PiSD_S10_EESH_SX_SI_SJ_SK_EUlSX_E_NS1_11comp_targetILNS1_3genE2ELNS1_11target_archE906ELNS1_3gpuE6ELNS1_3repE0EEENS1_48merge_mergepath_partition_config_static_selectorELNS0_4arch9wavefront6targetE1EEEvSJ_.private_seg_size, 0
	.set _ZN7rocprim17ROCPRIM_400000_NS6detail17trampoline_kernelINS0_14default_configENS1_38merge_sort_block_merge_config_selectorIiiEEZZNS1_27merge_sort_block_merge_implIS3_N6thrust23THRUST_200600_302600_NS6detail15normal_iteratorINS8_10device_ptrIiEEEESD_jNS1_19radix_merge_compareILb1ELb1EiNS0_19identity_decomposerEEEEE10hipError_tT0_T1_T2_jT3_P12ihipStream_tbPNSt15iterator_traitsISI_E10value_typeEPNSO_ISJ_E10value_typeEPSK_NS1_7vsmem_tEENKUlT_SI_SJ_SK_E_clISD_PiSD_S10_EESH_SX_SI_SJ_SK_EUlSX_E_NS1_11comp_targetILNS1_3genE2ELNS1_11target_archE906ELNS1_3gpuE6ELNS1_3repE0EEENS1_48merge_mergepath_partition_config_static_selectorELNS0_4arch9wavefront6targetE1EEEvSJ_.uses_vcc, 0
	.set _ZN7rocprim17ROCPRIM_400000_NS6detail17trampoline_kernelINS0_14default_configENS1_38merge_sort_block_merge_config_selectorIiiEEZZNS1_27merge_sort_block_merge_implIS3_N6thrust23THRUST_200600_302600_NS6detail15normal_iteratorINS8_10device_ptrIiEEEESD_jNS1_19radix_merge_compareILb1ELb1EiNS0_19identity_decomposerEEEEE10hipError_tT0_T1_T2_jT3_P12ihipStream_tbPNSt15iterator_traitsISI_E10value_typeEPNSO_ISJ_E10value_typeEPSK_NS1_7vsmem_tEENKUlT_SI_SJ_SK_E_clISD_PiSD_S10_EESH_SX_SI_SJ_SK_EUlSX_E_NS1_11comp_targetILNS1_3genE2ELNS1_11target_archE906ELNS1_3gpuE6ELNS1_3repE0EEENS1_48merge_mergepath_partition_config_static_selectorELNS0_4arch9wavefront6targetE1EEEvSJ_.uses_flat_scratch, 0
	.set _ZN7rocprim17ROCPRIM_400000_NS6detail17trampoline_kernelINS0_14default_configENS1_38merge_sort_block_merge_config_selectorIiiEEZZNS1_27merge_sort_block_merge_implIS3_N6thrust23THRUST_200600_302600_NS6detail15normal_iteratorINS8_10device_ptrIiEEEESD_jNS1_19radix_merge_compareILb1ELb1EiNS0_19identity_decomposerEEEEE10hipError_tT0_T1_T2_jT3_P12ihipStream_tbPNSt15iterator_traitsISI_E10value_typeEPNSO_ISJ_E10value_typeEPSK_NS1_7vsmem_tEENKUlT_SI_SJ_SK_E_clISD_PiSD_S10_EESH_SX_SI_SJ_SK_EUlSX_E_NS1_11comp_targetILNS1_3genE2ELNS1_11target_archE906ELNS1_3gpuE6ELNS1_3repE0EEENS1_48merge_mergepath_partition_config_static_selectorELNS0_4arch9wavefront6targetE1EEEvSJ_.has_dyn_sized_stack, 0
	.set _ZN7rocprim17ROCPRIM_400000_NS6detail17trampoline_kernelINS0_14default_configENS1_38merge_sort_block_merge_config_selectorIiiEEZZNS1_27merge_sort_block_merge_implIS3_N6thrust23THRUST_200600_302600_NS6detail15normal_iteratorINS8_10device_ptrIiEEEESD_jNS1_19radix_merge_compareILb1ELb1EiNS0_19identity_decomposerEEEEE10hipError_tT0_T1_T2_jT3_P12ihipStream_tbPNSt15iterator_traitsISI_E10value_typeEPNSO_ISJ_E10value_typeEPSK_NS1_7vsmem_tEENKUlT_SI_SJ_SK_E_clISD_PiSD_S10_EESH_SX_SI_SJ_SK_EUlSX_E_NS1_11comp_targetILNS1_3genE2ELNS1_11target_archE906ELNS1_3gpuE6ELNS1_3repE0EEENS1_48merge_mergepath_partition_config_static_selectorELNS0_4arch9wavefront6targetE1EEEvSJ_.has_recursion, 0
	.set _ZN7rocprim17ROCPRIM_400000_NS6detail17trampoline_kernelINS0_14default_configENS1_38merge_sort_block_merge_config_selectorIiiEEZZNS1_27merge_sort_block_merge_implIS3_N6thrust23THRUST_200600_302600_NS6detail15normal_iteratorINS8_10device_ptrIiEEEESD_jNS1_19radix_merge_compareILb1ELb1EiNS0_19identity_decomposerEEEEE10hipError_tT0_T1_T2_jT3_P12ihipStream_tbPNSt15iterator_traitsISI_E10value_typeEPNSO_ISJ_E10value_typeEPSK_NS1_7vsmem_tEENKUlT_SI_SJ_SK_E_clISD_PiSD_S10_EESH_SX_SI_SJ_SK_EUlSX_E_NS1_11comp_targetILNS1_3genE2ELNS1_11target_archE906ELNS1_3gpuE6ELNS1_3repE0EEENS1_48merge_mergepath_partition_config_static_selectorELNS0_4arch9wavefront6targetE1EEEvSJ_.has_indirect_call, 0
	.section	.AMDGPU.csdata,"",@progbits
; Kernel info:
; codeLenInByte = 0
; TotalNumSgprs: 6
; NumVgprs: 0
; NumAgprs: 0
; TotalNumVgprs: 0
; ScratchSize: 0
; MemoryBound: 0
; FloatMode: 240
; IeeeMode: 1
; LDSByteSize: 0 bytes/workgroup (compile time only)
; SGPRBlocks: 0
; VGPRBlocks: 0
; NumSGPRsForWavesPerEU: 6
; NumVGPRsForWavesPerEU: 1
; AccumOffset: 4
; Occupancy: 8
; WaveLimiterHint : 0
; COMPUTE_PGM_RSRC2:SCRATCH_EN: 0
; COMPUTE_PGM_RSRC2:USER_SGPR: 2
; COMPUTE_PGM_RSRC2:TRAP_HANDLER: 0
; COMPUTE_PGM_RSRC2:TGID_X_EN: 1
; COMPUTE_PGM_RSRC2:TGID_Y_EN: 0
; COMPUTE_PGM_RSRC2:TGID_Z_EN: 0
; COMPUTE_PGM_RSRC2:TIDIG_COMP_CNT: 0
; COMPUTE_PGM_RSRC3_GFX90A:ACCUM_OFFSET: 0
; COMPUTE_PGM_RSRC3_GFX90A:TG_SPLIT: 0
	.section	.text._ZN7rocprim17ROCPRIM_400000_NS6detail17trampoline_kernelINS0_14default_configENS1_38merge_sort_block_merge_config_selectorIiiEEZZNS1_27merge_sort_block_merge_implIS3_N6thrust23THRUST_200600_302600_NS6detail15normal_iteratorINS8_10device_ptrIiEEEESD_jNS1_19radix_merge_compareILb1ELb1EiNS0_19identity_decomposerEEEEE10hipError_tT0_T1_T2_jT3_P12ihipStream_tbPNSt15iterator_traitsISI_E10value_typeEPNSO_ISJ_E10value_typeEPSK_NS1_7vsmem_tEENKUlT_SI_SJ_SK_E_clISD_PiSD_S10_EESH_SX_SI_SJ_SK_EUlSX_E_NS1_11comp_targetILNS1_3genE9ELNS1_11target_archE1100ELNS1_3gpuE3ELNS1_3repE0EEENS1_48merge_mergepath_partition_config_static_selectorELNS0_4arch9wavefront6targetE1EEEvSJ_,"axG",@progbits,_ZN7rocprim17ROCPRIM_400000_NS6detail17trampoline_kernelINS0_14default_configENS1_38merge_sort_block_merge_config_selectorIiiEEZZNS1_27merge_sort_block_merge_implIS3_N6thrust23THRUST_200600_302600_NS6detail15normal_iteratorINS8_10device_ptrIiEEEESD_jNS1_19radix_merge_compareILb1ELb1EiNS0_19identity_decomposerEEEEE10hipError_tT0_T1_T2_jT3_P12ihipStream_tbPNSt15iterator_traitsISI_E10value_typeEPNSO_ISJ_E10value_typeEPSK_NS1_7vsmem_tEENKUlT_SI_SJ_SK_E_clISD_PiSD_S10_EESH_SX_SI_SJ_SK_EUlSX_E_NS1_11comp_targetILNS1_3genE9ELNS1_11target_archE1100ELNS1_3gpuE3ELNS1_3repE0EEENS1_48merge_mergepath_partition_config_static_selectorELNS0_4arch9wavefront6targetE1EEEvSJ_,comdat
	.protected	_ZN7rocprim17ROCPRIM_400000_NS6detail17trampoline_kernelINS0_14default_configENS1_38merge_sort_block_merge_config_selectorIiiEEZZNS1_27merge_sort_block_merge_implIS3_N6thrust23THRUST_200600_302600_NS6detail15normal_iteratorINS8_10device_ptrIiEEEESD_jNS1_19radix_merge_compareILb1ELb1EiNS0_19identity_decomposerEEEEE10hipError_tT0_T1_T2_jT3_P12ihipStream_tbPNSt15iterator_traitsISI_E10value_typeEPNSO_ISJ_E10value_typeEPSK_NS1_7vsmem_tEENKUlT_SI_SJ_SK_E_clISD_PiSD_S10_EESH_SX_SI_SJ_SK_EUlSX_E_NS1_11comp_targetILNS1_3genE9ELNS1_11target_archE1100ELNS1_3gpuE3ELNS1_3repE0EEENS1_48merge_mergepath_partition_config_static_selectorELNS0_4arch9wavefront6targetE1EEEvSJ_ ; -- Begin function _ZN7rocprim17ROCPRIM_400000_NS6detail17trampoline_kernelINS0_14default_configENS1_38merge_sort_block_merge_config_selectorIiiEEZZNS1_27merge_sort_block_merge_implIS3_N6thrust23THRUST_200600_302600_NS6detail15normal_iteratorINS8_10device_ptrIiEEEESD_jNS1_19radix_merge_compareILb1ELb1EiNS0_19identity_decomposerEEEEE10hipError_tT0_T1_T2_jT3_P12ihipStream_tbPNSt15iterator_traitsISI_E10value_typeEPNSO_ISJ_E10value_typeEPSK_NS1_7vsmem_tEENKUlT_SI_SJ_SK_E_clISD_PiSD_S10_EESH_SX_SI_SJ_SK_EUlSX_E_NS1_11comp_targetILNS1_3genE9ELNS1_11target_archE1100ELNS1_3gpuE3ELNS1_3repE0EEENS1_48merge_mergepath_partition_config_static_selectorELNS0_4arch9wavefront6targetE1EEEvSJ_
	.globl	_ZN7rocprim17ROCPRIM_400000_NS6detail17trampoline_kernelINS0_14default_configENS1_38merge_sort_block_merge_config_selectorIiiEEZZNS1_27merge_sort_block_merge_implIS3_N6thrust23THRUST_200600_302600_NS6detail15normal_iteratorINS8_10device_ptrIiEEEESD_jNS1_19radix_merge_compareILb1ELb1EiNS0_19identity_decomposerEEEEE10hipError_tT0_T1_T2_jT3_P12ihipStream_tbPNSt15iterator_traitsISI_E10value_typeEPNSO_ISJ_E10value_typeEPSK_NS1_7vsmem_tEENKUlT_SI_SJ_SK_E_clISD_PiSD_S10_EESH_SX_SI_SJ_SK_EUlSX_E_NS1_11comp_targetILNS1_3genE9ELNS1_11target_archE1100ELNS1_3gpuE3ELNS1_3repE0EEENS1_48merge_mergepath_partition_config_static_selectorELNS0_4arch9wavefront6targetE1EEEvSJ_
	.p2align	8
	.type	_ZN7rocprim17ROCPRIM_400000_NS6detail17trampoline_kernelINS0_14default_configENS1_38merge_sort_block_merge_config_selectorIiiEEZZNS1_27merge_sort_block_merge_implIS3_N6thrust23THRUST_200600_302600_NS6detail15normal_iteratorINS8_10device_ptrIiEEEESD_jNS1_19radix_merge_compareILb1ELb1EiNS0_19identity_decomposerEEEEE10hipError_tT0_T1_T2_jT3_P12ihipStream_tbPNSt15iterator_traitsISI_E10value_typeEPNSO_ISJ_E10value_typeEPSK_NS1_7vsmem_tEENKUlT_SI_SJ_SK_E_clISD_PiSD_S10_EESH_SX_SI_SJ_SK_EUlSX_E_NS1_11comp_targetILNS1_3genE9ELNS1_11target_archE1100ELNS1_3gpuE3ELNS1_3repE0EEENS1_48merge_mergepath_partition_config_static_selectorELNS0_4arch9wavefront6targetE1EEEvSJ_,@function
_ZN7rocprim17ROCPRIM_400000_NS6detail17trampoline_kernelINS0_14default_configENS1_38merge_sort_block_merge_config_selectorIiiEEZZNS1_27merge_sort_block_merge_implIS3_N6thrust23THRUST_200600_302600_NS6detail15normal_iteratorINS8_10device_ptrIiEEEESD_jNS1_19radix_merge_compareILb1ELb1EiNS0_19identity_decomposerEEEEE10hipError_tT0_T1_T2_jT3_P12ihipStream_tbPNSt15iterator_traitsISI_E10value_typeEPNSO_ISJ_E10value_typeEPSK_NS1_7vsmem_tEENKUlT_SI_SJ_SK_E_clISD_PiSD_S10_EESH_SX_SI_SJ_SK_EUlSX_E_NS1_11comp_targetILNS1_3genE9ELNS1_11target_archE1100ELNS1_3gpuE3ELNS1_3repE0EEENS1_48merge_mergepath_partition_config_static_selectorELNS0_4arch9wavefront6targetE1EEEvSJ_: ; @_ZN7rocprim17ROCPRIM_400000_NS6detail17trampoline_kernelINS0_14default_configENS1_38merge_sort_block_merge_config_selectorIiiEEZZNS1_27merge_sort_block_merge_implIS3_N6thrust23THRUST_200600_302600_NS6detail15normal_iteratorINS8_10device_ptrIiEEEESD_jNS1_19radix_merge_compareILb1ELb1EiNS0_19identity_decomposerEEEEE10hipError_tT0_T1_T2_jT3_P12ihipStream_tbPNSt15iterator_traitsISI_E10value_typeEPNSO_ISJ_E10value_typeEPSK_NS1_7vsmem_tEENKUlT_SI_SJ_SK_E_clISD_PiSD_S10_EESH_SX_SI_SJ_SK_EUlSX_E_NS1_11comp_targetILNS1_3genE9ELNS1_11target_archE1100ELNS1_3gpuE3ELNS1_3repE0EEENS1_48merge_mergepath_partition_config_static_selectorELNS0_4arch9wavefront6targetE1EEEvSJ_
; %bb.0:
	.section	.rodata,"a",@progbits
	.p2align	6, 0x0
	.amdhsa_kernel _ZN7rocprim17ROCPRIM_400000_NS6detail17trampoline_kernelINS0_14default_configENS1_38merge_sort_block_merge_config_selectorIiiEEZZNS1_27merge_sort_block_merge_implIS3_N6thrust23THRUST_200600_302600_NS6detail15normal_iteratorINS8_10device_ptrIiEEEESD_jNS1_19radix_merge_compareILb1ELb1EiNS0_19identity_decomposerEEEEE10hipError_tT0_T1_T2_jT3_P12ihipStream_tbPNSt15iterator_traitsISI_E10value_typeEPNSO_ISJ_E10value_typeEPSK_NS1_7vsmem_tEENKUlT_SI_SJ_SK_E_clISD_PiSD_S10_EESH_SX_SI_SJ_SK_EUlSX_E_NS1_11comp_targetILNS1_3genE9ELNS1_11target_archE1100ELNS1_3gpuE3ELNS1_3repE0EEENS1_48merge_mergepath_partition_config_static_selectorELNS0_4arch9wavefront6targetE1EEEvSJ_
		.amdhsa_group_segment_fixed_size 0
		.amdhsa_private_segment_fixed_size 0
		.amdhsa_kernarg_size 40
		.amdhsa_user_sgpr_count 2
		.amdhsa_user_sgpr_dispatch_ptr 0
		.amdhsa_user_sgpr_queue_ptr 0
		.amdhsa_user_sgpr_kernarg_segment_ptr 1
		.amdhsa_user_sgpr_dispatch_id 0
		.amdhsa_user_sgpr_kernarg_preload_length 0
		.amdhsa_user_sgpr_kernarg_preload_offset 0
		.amdhsa_user_sgpr_private_segment_size 0
		.amdhsa_uses_dynamic_stack 0
		.amdhsa_enable_private_segment 0
		.amdhsa_system_sgpr_workgroup_id_x 1
		.amdhsa_system_sgpr_workgroup_id_y 0
		.amdhsa_system_sgpr_workgroup_id_z 0
		.amdhsa_system_sgpr_workgroup_info 0
		.amdhsa_system_vgpr_workitem_id 0
		.amdhsa_next_free_vgpr 1
		.amdhsa_next_free_sgpr 0
		.amdhsa_accum_offset 4
		.amdhsa_reserve_vcc 0
		.amdhsa_float_round_mode_32 0
		.amdhsa_float_round_mode_16_64 0
		.amdhsa_float_denorm_mode_32 3
		.amdhsa_float_denorm_mode_16_64 3
		.amdhsa_dx10_clamp 1
		.amdhsa_ieee_mode 1
		.amdhsa_fp16_overflow 0
		.amdhsa_tg_split 0
		.amdhsa_exception_fp_ieee_invalid_op 0
		.amdhsa_exception_fp_denorm_src 0
		.amdhsa_exception_fp_ieee_div_zero 0
		.amdhsa_exception_fp_ieee_overflow 0
		.amdhsa_exception_fp_ieee_underflow 0
		.amdhsa_exception_fp_ieee_inexact 0
		.amdhsa_exception_int_div_zero 0
	.end_amdhsa_kernel
	.section	.text._ZN7rocprim17ROCPRIM_400000_NS6detail17trampoline_kernelINS0_14default_configENS1_38merge_sort_block_merge_config_selectorIiiEEZZNS1_27merge_sort_block_merge_implIS3_N6thrust23THRUST_200600_302600_NS6detail15normal_iteratorINS8_10device_ptrIiEEEESD_jNS1_19radix_merge_compareILb1ELb1EiNS0_19identity_decomposerEEEEE10hipError_tT0_T1_T2_jT3_P12ihipStream_tbPNSt15iterator_traitsISI_E10value_typeEPNSO_ISJ_E10value_typeEPSK_NS1_7vsmem_tEENKUlT_SI_SJ_SK_E_clISD_PiSD_S10_EESH_SX_SI_SJ_SK_EUlSX_E_NS1_11comp_targetILNS1_3genE9ELNS1_11target_archE1100ELNS1_3gpuE3ELNS1_3repE0EEENS1_48merge_mergepath_partition_config_static_selectorELNS0_4arch9wavefront6targetE1EEEvSJ_,"axG",@progbits,_ZN7rocprim17ROCPRIM_400000_NS6detail17trampoline_kernelINS0_14default_configENS1_38merge_sort_block_merge_config_selectorIiiEEZZNS1_27merge_sort_block_merge_implIS3_N6thrust23THRUST_200600_302600_NS6detail15normal_iteratorINS8_10device_ptrIiEEEESD_jNS1_19radix_merge_compareILb1ELb1EiNS0_19identity_decomposerEEEEE10hipError_tT0_T1_T2_jT3_P12ihipStream_tbPNSt15iterator_traitsISI_E10value_typeEPNSO_ISJ_E10value_typeEPSK_NS1_7vsmem_tEENKUlT_SI_SJ_SK_E_clISD_PiSD_S10_EESH_SX_SI_SJ_SK_EUlSX_E_NS1_11comp_targetILNS1_3genE9ELNS1_11target_archE1100ELNS1_3gpuE3ELNS1_3repE0EEENS1_48merge_mergepath_partition_config_static_selectorELNS0_4arch9wavefront6targetE1EEEvSJ_,comdat
.Lfunc_end1801:
	.size	_ZN7rocprim17ROCPRIM_400000_NS6detail17trampoline_kernelINS0_14default_configENS1_38merge_sort_block_merge_config_selectorIiiEEZZNS1_27merge_sort_block_merge_implIS3_N6thrust23THRUST_200600_302600_NS6detail15normal_iteratorINS8_10device_ptrIiEEEESD_jNS1_19radix_merge_compareILb1ELb1EiNS0_19identity_decomposerEEEEE10hipError_tT0_T1_T2_jT3_P12ihipStream_tbPNSt15iterator_traitsISI_E10value_typeEPNSO_ISJ_E10value_typeEPSK_NS1_7vsmem_tEENKUlT_SI_SJ_SK_E_clISD_PiSD_S10_EESH_SX_SI_SJ_SK_EUlSX_E_NS1_11comp_targetILNS1_3genE9ELNS1_11target_archE1100ELNS1_3gpuE3ELNS1_3repE0EEENS1_48merge_mergepath_partition_config_static_selectorELNS0_4arch9wavefront6targetE1EEEvSJ_, .Lfunc_end1801-_ZN7rocprim17ROCPRIM_400000_NS6detail17trampoline_kernelINS0_14default_configENS1_38merge_sort_block_merge_config_selectorIiiEEZZNS1_27merge_sort_block_merge_implIS3_N6thrust23THRUST_200600_302600_NS6detail15normal_iteratorINS8_10device_ptrIiEEEESD_jNS1_19radix_merge_compareILb1ELb1EiNS0_19identity_decomposerEEEEE10hipError_tT0_T1_T2_jT3_P12ihipStream_tbPNSt15iterator_traitsISI_E10value_typeEPNSO_ISJ_E10value_typeEPSK_NS1_7vsmem_tEENKUlT_SI_SJ_SK_E_clISD_PiSD_S10_EESH_SX_SI_SJ_SK_EUlSX_E_NS1_11comp_targetILNS1_3genE9ELNS1_11target_archE1100ELNS1_3gpuE3ELNS1_3repE0EEENS1_48merge_mergepath_partition_config_static_selectorELNS0_4arch9wavefront6targetE1EEEvSJ_
                                        ; -- End function
	.set _ZN7rocprim17ROCPRIM_400000_NS6detail17trampoline_kernelINS0_14default_configENS1_38merge_sort_block_merge_config_selectorIiiEEZZNS1_27merge_sort_block_merge_implIS3_N6thrust23THRUST_200600_302600_NS6detail15normal_iteratorINS8_10device_ptrIiEEEESD_jNS1_19radix_merge_compareILb1ELb1EiNS0_19identity_decomposerEEEEE10hipError_tT0_T1_T2_jT3_P12ihipStream_tbPNSt15iterator_traitsISI_E10value_typeEPNSO_ISJ_E10value_typeEPSK_NS1_7vsmem_tEENKUlT_SI_SJ_SK_E_clISD_PiSD_S10_EESH_SX_SI_SJ_SK_EUlSX_E_NS1_11comp_targetILNS1_3genE9ELNS1_11target_archE1100ELNS1_3gpuE3ELNS1_3repE0EEENS1_48merge_mergepath_partition_config_static_selectorELNS0_4arch9wavefront6targetE1EEEvSJ_.num_vgpr, 0
	.set _ZN7rocprim17ROCPRIM_400000_NS6detail17trampoline_kernelINS0_14default_configENS1_38merge_sort_block_merge_config_selectorIiiEEZZNS1_27merge_sort_block_merge_implIS3_N6thrust23THRUST_200600_302600_NS6detail15normal_iteratorINS8_10device_ptrIiEEEESD_jNS1_19radix_merge_compareILb1ELb1EiNS0_19identity_decomposerEEEEE10hipError_tT0_T1_T2_jT3_P12ihipStream_tbPNSt15iterator_traitsISI_E10value_typeEPNSO_ISJ_E10value_typeEPSK_NS1_7vsmem_tEENKUlT_SI_SJ_SK_E_clISD_PiSD_S10_EESH_SX_SI_SJ_SK_EUlSX_E_NS1_11comp_targetILNS1_3genE9ELNS1_11target_archE1100ELNS1_3gpuE3ELNS1_3repE0EEENS1_48merge_mergepath_partition_config_static_selectorELNS0_4arch9wavefront6targetE1EEEvSJ_.num_agpr, 0
	.set _ZN7rocprim17ROCPRIM_400000_NS6detail17trampoline_kernelINS0_14default_configENS1_38merge_sort_block_merge_config_selectorIiiEEZZNS1_27merge_sort_block_merge_implIS3_N6thrust23THRUST_200600_302600_NS6detail15normal_iteratorINS8_10device_ptrIiEEEESD_jNS1_19radix_merge_compareILb1ELb1EiNS0_19identity_decomposerEEEEE10hipError_tT0_T1_T2_jT3_P12ihipStream_tbPNSt15iterator_traitsISI_E10value_typeEPNSO_ISJ_E10value_typeEPSK_NS1_7vsmem_tEENKUlT_SI_SJ_SK_E_clISD_PiSD_S10_EESH_SX_SI_SJ_SK_EUlSX_E_NS1_11comp_targetILNS1_3genE9ELNS1_11target_archE1100ELNS1_3gpuE3ELNS1_3repE0EEENS1_48merge_mergepath_partition_config_static_selectorELNS0_4arch9wavefront6targetE1EEEvSJ_.numbered_sgpr, 0
	.set _ZN7rocprim17ROCPRIM_400000_NS6detail17trampoline_kernelINS0_14default_configENS1_38merge_sort_block_merge_config_selectorIiiEEZZNS1_27merge_sort_block_merge_implIS3_N6thrust23THRUST_200600_302600_NS6detail15normal_iteratorINS8_10device_ptrIiEEEESD_jNS1_19radix_merge_compareILb1ELb1EiNS0_19identity_decomposerEEEEE10hipError_tT0_T1_T2_jT3_P12ihipStream_tbPNSt15iterator_traitsISI_E10value_typeEPNSO_ISJ_E10value_typeEPSK_NS1_7vsmem_tEENKUlT_SI_SJ_SK_E_clISD_PiSD_S10_EESH_SX_SI_SJ_SK_EUlSX_E_NS1_11comp_targetILNS1_3genE9ELNS1_11target_archE1100ELNS1_3gpuE3ELNS1_3repE0EEENS1_48merge_mergepath_partition_config_static_selectorELNS0_4arch9wavefront6targetE1EEEvSJ_.num_named_barrier, 0
	.set _ZN7rocprim17ROCPRIM_400000_NS6detail17trampoline_kernelINS0_14default_configENS1_38merge_sort_block_merge_config_selectorIiiEEZZNS1_27merge_sort_block_merge_implIS3_N6thrust23THRUST_200600_302600_NS6detail15normal_iteratorINS8_10device_ptrIiEEEESD_jNS1_19radix_merge_compareILb1ELb1EiNS0_19identity_decomposerEEEEE10hipError_tT0_T1_T2_jT3_P12ihipStream_tbPNSt15iterator_traitsISI_E10value_typeEPNSO_ISJ_E10value_typeEPSK_NS1_7vsmem_tEENKUlT_SI_SJ_SK_E_clISD_PiSD_S10_EESH_SX_SI_SJ_SK_EUlSX_E_NS1_11comp_targetILNS1_3genE9ELNS1_11target_archE1100ELNS1_3gpuE3ELNS1_3repE0EEENS1_48merge_mergepath_partition_config_static_selectorELNS0_4arch9wavefront6targetE1EEEvSJ_.private_seg_size, 0
	.set _ZN7rocprim17ROCPRIM_400000_NS6detail17trampoline_kernelINS0_14default_configENS1_38merge_sort_block_merge_config_selectorIiiEEZZNS1_27merge_sort_block_merge_implIS3_N6thrust23THRUST_200600_302600_NS6detail15normal_iteratorINS8_10device_ptrIiEEEESD_jNS1_19radix_merge_compareILb1ELb1EiNS0_19identity_decomposerEEEEE10hipError_tT0_T1_T2_jT3_P12ihipStream_tbPNSt15iterator_traitsISI_E10value_typeEPNSO_ISJ_E10value_typeEPSK_NS1_7vsmem_tEENKUlT_SI_SJ_SK_E_clISD_PiSD_S10_EESH_SX_SI_SJ_SK_EUlSX_E_NS1_11comp_targetILNS1_3genE9ELNS1_11target_archE1100ELNS1_3gpuE3ELNS1_3repE0EEENS1_48merge_mergepath_partition_config_static_selectorELNS0_4arch9wavefront6targetE1EEEvSJ_.uses_vcc, 0
	.set _ZN7rocprim17ROCPRIM_400000_NS6detail17trampoline_kernelINS0_14default_configENS1_38merge_sort_block_merge_config_selectorIiiEEZZNS1_27merge_sort_block_merge_implIS3_N6thrust23THRUST_200600_302600_NS6detail15normal_iteratorINS8_10device_ptrIiEEEESD_jNS1_19radix_merge_compareILb1ELb1EiNS0_19identity_decomposerEEEEE10hipError_tT0_T1_T2_jT3_P12ihipStream_tbPNSt15iterator_traitsISI_E10value_typeEPNSO_ISJ_E10value_typeEPSK_NS1_7vsmem_tEENKUlT_SI_SJ_SK_E_clISD_PiSD_S10_EESH_SX_SI_SJ_SK_EUlSX_E_NS1_11comp_targetILNS1_3genE9ELNS1_11target_archE1100ELNS1_3gpuE3ELNS1_3repE0EEENS1_48merge_mergepath_partition_config_static_selectorELNS0_4arch9wavefront6targetE1EEEvSJ_.uses_flat_scratch, 0
	.set _ZN7rocprim17ROCPRIM_400000_NS6detail17trampoline_kernelINS0_14default_configENS1_38merge_sort_block_merge_config_selectorIiiEEZZNS1_27merge_sort_block_merge_implIS3_N6thrust23THRUST_200600_302600_NS6detail15normal_iteratorINS8_10device_ptrIiEEEESD_jNS1_19radix_merge_compareILb1ELb1EiNS0_19identity_decomposerEEEEE10hipError_tT0_T1_T2_jT3_P12ihipStream_tbPNSt15iterator_traitsISI_E10value_typeEPNSO_ISJ_E10value_typeEPSK_NS1_7vsmem_tEENKUlT_SI_SJ_SK_E_clISD_PiSD_S10_EESH_SX_SI_SJ_SK_EUlSX_E_NS1_11comp_targetILNS1_3genE9ELNS1_11target_archE1100ELNS1_3gpuE3ELNS1_3repE0EEENS1_48merge_mergepath_partition_config_static_selectorELNS0_4arch9wavefront6targetE1EEEvSJ_.has_dyn_sized_stack, 0
	.set _ZN7rocprim17ROCPRIM_400000_NS6detail17trampoline_kernelINS0_14default_configENS1_38merge_sort_block_merge_config_selectorIiiEEZZNS1_27merge_sort_block_merge_implIS3_N6thrust23THRUST_200600_302600_NS6detail15normal_iteratorINS8_10device_ptrIiEEEESD_jNS1_19radix_merge_compareILb1ELb1EiNS0_19identity_decomposerEEEEE10hipError_tT0_T1_T2_jT3_P12ihipStream_tbPNSt15iterator_traitsISI_E10value_typeEPNSO_ISJ_E10value_typeEPSK_NS1_7vsmem_tEENKUlT_SI_SJ_SK_E_clISD_PiSD_S10_EESH_SX_SI_SJ_SK_EUlSX_E_NS1_11comp_targetILNS1_3genE9ELNS1_11target_archE1100ELNS1_3gpuE3ELNS1_3repE0EEENS1_48merge_mergepath_partition_config_static_selectorELNS0_4arch9wavefront6targetE1EEEvSJ_.has_recursion, 0
	.set _ZN7rocprim17ROCPRIM_400000_NS6detail17trampoline_kernelINS0_14default_configENS1_38merge_sort_block_merge_config_selectorIiiEEZZNS1_27merge_sort_block_merge_implIS3_N6thrust23THRUST_200600_302600_NS6detail15normal_iteratorINS8_10device_ptrIiEEEESD_jNS1_19radix_merge_compareILb1ELb1EiNS0_19identity_decomposerEEEEE10hipError_tT0_T1_T2_jT3_P12ihipStream_tbPNSt15iterator_traitsISI_E10value_typeEPNSO_ISJ_E10value_typeEPSK_NS1_7vsmem_tEENKUlT_SI_SJ_SK_E_clISD_PiSD_S10_EESH_SX_SI_SJ_SK_EUlSX_E_NS1_11comp_targetILNS1_3genE9ELNS1_11target_archE1100ELNS1_3gpuE3ELNS1_3repE0EEENS1_48merge_mergepath_partition_config_static_selectorELNS0_4arch9wavefront6targetE1EEEvSJ_.has_indirect_call, 0
	.section	.AMDGPU.csdata,"",@progbits
; Kernel info:
; codeLenInByte = 0
; TotalNumSgprs: 6
; NumVgprs: 0
; NumAgprs: 0
; TotalNumVgprs: 0
; ScratchSize: 0
; MemoryBound: 0
; FloatMode: 240
; IeeeMode: 1
; LDSByteSize: 0 bytes/workgroup (compile time only)
; SGPRBlocks: 0
; VGPRBlocks: 0
; NumSGPRsForWavesPerEU: 6
; NumVGPRsForWavesPerEU: 1
; AccumOffset: 4
; Occupancy: 8
; WaveLimiterHint : 0
; COMPUTE_PGM_RSRC2:SCRATCH_EN: 0
; COMPUTE_PGM_RSRC2:USER_SGPR: 2
; COMPUTE_PGM_RSRC2:TRAP_HANDLER: 0
; COMPUTE_PGM_RSRC2:TGID_X_EN: 1
; COMPUTE_PGM_RSRC2:TGID_Y_EN: 0
; COMPUTE_PGM_RSRC2:TGID_Z_EN: 0
; COMPUTE_PGM_RSRC2:TIDIG_COMP_CNT: 0
; COMPUTE_PGM_RSRC3_GFX90A:ACCUM_OFFSET: 0
; COMPUTE_PGM_RSRC3_GFX90A:TG_SPLIT: 0
	.section	.text._ZN7rocprim17ROCPRIM_400000_NS6detail17trampoline_kernelINS0_14default_configENS1_38merge_sort_block_merge_config_selectorIiiEEZZNS1_27merge_sort_block_merge_implIS3_N6thrust23THRUST_200600_302600_NS6detail15normal_iteratorINS8_10device_ptrIiEEEESD_jNS1_19radix_merge_compareILb1ELb1EiNS0_19identity_decomposerEEEEE10hipError_tT0_T1_T2_jT3_P12ihipStream_tbPNSt15iterator_traitsISI_E10value_typeEPNSO_ISJ_E10value_typeEPSK_NS1_7vsmem_tEENKUlT_SI_SJ_SK_E_clISD_PiSD_S10_EESH_SX_SI_SJ_SK_EUlSX_E_NS1_11comp_targetILNS1_3genE8ELNS1_11target_archE1030ELNS1_3gpuE2ELNS1_3repE0EEENS1_48merge_mergepath_partition_config_static_selectorELNS0_4arch9wavefront6targetE1EEEvSJ_,"axG",@progbits,_ZN7rocprim17ROCPRIM_400000_NS6detail17trampoline_kernelINS0_14default_configENS1_38merge_sort_block_merge_config_selectorIiiEEZZNS1_27merge_sort_block_merge_implIS3_N6thrust23THRUST_200600_302600_NS6detail15normal_iteratorINS8_10device_ptrIiEEEESD_jNS1_19radix_merge_compareILb1ELb1EiNS0_19identity_decomposerEEEEE10hipError_tT0_T1_T2_jT3_P12ihipStream_tbPNSt15iterator_traitsISI_E10value_typeEPNSO_ISJ_E10value_typeEPSK_NS1_7vsmem_tEENKUlT_SI_SJ_SK_E_clISD_PiSD_S10_EESH_SX_SI_SJ_SK_EUlSX_E_NS1_11comp_targetILNS1_3genE8ELNS1_11target_archE1030ELNS1_3gpuE2ELNS1_3repE0EEENS1_48merge_mergepath_partition_config_static_selectorELNS0_4arch9wavefront6targetE1EEEvSJ_,comdat
	.protected	_ZN7rocprim17ROCPRIM_400000_NS6detail17trampoline_kernelINS0_14default_configENS1_38merge_sort_block_merge_config_selectorIiiEEZZNS1_27merge_sort_block_merge_implIS3_N6thrust23THRUST_200600_302600_NS6detail15normal_iteratorINS8_10device_ptrIiEEEESD_jNS1_19radix_merge_compareILb1ELb1EiNS0_19identity_decomposerEEEEE10hipError_tT0_T1_T2_jT3_P12ihipStream_tbPNSt15iterator_traitsISI_E10value_typeEPNSO_ISJ_E10value_typeEPSK_NS1_7vsmem_tEENKUlT_SI_SJ_SK_E_clISD_PiSD_S10_EESH_SX_SI_SJ_SK_EUlSX_E_NS1_11comp_targetILNS1_3genE8ELNS1_11target_archE1030ELNS1_3gpuE2ELNS1_3repE0EEENS1_48merge_mergepath_partition_config_static_selectorELNS0_4arch9wavefront6targetE1EEEvSJ_ ; -- Begin function _ZN7rocprim17ROCPRIM_400000_NS6detail17trampoline_kernelINS0_14default_configENS1_38merge_sort_block_merge_config_selectorIiiEEZZNS1_27merge_sort_block_merge_implIS3_N6thrust23THRUST_200600_302600_NS6detail15normal_iteratorINS8_10device_ptrIiEEEESD_jNS1_19radix_merge_compareILb1ELb1EiNS0_19identity_decomposerEEEEE10hipError_tT0_T1_T2_jT3_P12ihipStream_tbPNSt15iterator_traitsISI_E10value_typeEPNSO_ISJ_E10value_typeEPSK_NS1_7vsmem_tEENKUlT_SI_SJ_SK_E_clISD_PiSD_S10_EESH_SX_SI_SJ_SK_EUlSX_E_NS1_11comp_targetILNS1_3genE8ELNS1_11target_archE1030ELNS1_3gpuE2ELNS1_3repE0EEENS1_48merge_mergepath_partition_config_static_selectorELNS0_4arch9wavefront6targetE1EEEvSJ_
	.globl	_ZN7rocprim17ROCPRIM_400000_NS6detail17trampoline_kernelINS0_14default_configENS1_38merge_sort_block_merge_config_selectorIiiEEZZNS1_27merge_sort_block_merge_implIS3_N6thrust23THRUST_200600_302600_NS6detail15normal_iteratorINS8_10device_ptrIiEEEESD_jNS1_19radix_merge_compareILb1ELb1EiNS0_19identity_decomposerEEEEE10hipError_tT0_T1_T2_jT3_P12ihipStream_tbPNSt15iterator_traitsISI_E10value_typeEPNSO_ISJ_E10value_typeEPSK_NS1_7vsmem_tEENKUlT_SI_SJ_SK_E_clISD_PiSD_S10_EESH_SX_SI_SJ_SK_EUlSX_E_NS1_11comp_targetILNS1_3genE8ELNS1_11target_archE1030ELNS1_3gpuE2ELNS1_3repE0EEENS1_48merge_mergepath_partition_config_static_selectorELNS0_4arch9wavefront6targetE1EEEvSJ_
	.p2align	8
	.type	_ZN7rocprim17ROCPRIM_400000_NS6detail17trampoline_kernelINS0_14default_configENS1_38merge_sort_block_merge_config_selectorIiiEEZZNS1_27merge_sort_block_merge_implIS3_N6thrust23THRUST_200600_302600_NS6detail15normal_iteratorINS8_10device_ptrIiEEEESD_jNS1_19radix_merge_compareILb1ELb1EiNS0_19identity_decomposerEEEEE10hipError_tT0_T1_T2_jT3_P12ihipStream_tbPNSt15iterator_traitsISI_E10value_typeEPNSO_ISJ_E10value_typeEPSK_NS1_7vsmem_tEENKUlT_SI_SJ_SK_E_clISD_PiSD_S10_EESH_SX_SI_SJ_SK_EUlSX_E_NS1_11comp_targetILNS1_3genE8ELNS1_11target_archE1030ELNS1_3gpuE2ELNS1_3repE0EEENS1_48merge_mergepath_partition_config_static_selectorELNS0_4arch9wavefront6targetE1EEEvSJ_,@function
_ZN7rocprim17ROCPRIM_400000_NS6detail17trampoline_kernelINS0_14default_configENS1_38merge_sort_block_merge_config_selectorIiiEEZZNS1_27merge_sort_block_merge_implIS3_N6thrust23THRUST_200600_302600_NS6detail15normal_iteratorINS8_10device_ptrIiEEEESD_jNS1_19radix_merge_compareILb1ELb1EiNS0_19identity_decomposerEEEEE10hipError_tT0_T1_T2_jT3_P12ihipStream_tbPNSt15iterator_traitsISI_E10value_typeEPNSO_ISJ_E10value_typeEPSK_NS1_7vsmem_tEENKUlT_SI_SJ_SK_E_clISD_PiSD_S10_EESH_SX_SI_SJ_SK_EUlSX_E_NS1_11comp_targetILNS1_3genE8ELNS1_11target_archE1030ELNS1_3gpuE2ELNS1_3repE0EEENS1_48merge_mergepath_partition_config_static_selectorELNS0_4arch9wavefront6targetE1EEEvSJ_: ; @_ZN7rocprim17ROCPRIM_400000_NS6detail17trampoline_kernelINS0_14default_configENS1_38merge_sort_block_merge_config_selectorIiiEEZZNS1_27merge_sort_block_merge_implIS3_N6thrust23THRUST_200600_302600_NS6detail15normal_iteratorINS8_10device_ptrIiEEEESD_jNS1_19radix_merge_compareILb1ELb1EiNS0_19identity_decomposerEEEEE10hipError_tT0_T1_T2_jT3_P12ihipStream_tbPNSt15iterator_traitsISI_E10value_typeEPNSO_ISJ_E10value_typeEPSK_NS1_7vsmem_tEENKUlT_SI_SJ_SK_E_clISD_PiSD_S10_EESH_SX_SI_SJ_SK_EUlSX_E_NS1_11comp_targetILNS1_3genE8ELNS1_11target_archE1030ELNS1_3gpuE2ELNS1_3repE0EEENS1_48merge_mergepath_partition_config_static_selectorELNS0_4arch9wavefront6targetE1EEEvSJ_
; %bb.0:
	.section	.rodata,"a",@progbits
	.p2align	6, 0x0
	.amdhsa_kernel _ZN7rocprim17ROCPRIM_400000_NS6detail17trampoline_kernelINS0_14default_configENS1_38merge_sort_block_merge_config_selectorIiiEEZZNS1_27merge_sort_block_merge_implIS3_N6thrust23THRUST_200600_302600_NS6detail15normal_iteratorINS8_10device_ptrIiEEEESD_jNS1_19radix_merge_compareILb1ELb1EiNS0_19identity_decomposerEEEEE10hipError_tT0_T1_T2_jT3_P12ihipStream_tbPNSt15iterator_traitsISI_E10value_typeEPNSO_ISJ_E10value_typeEPSK_NS1_7vsmem_tEENKUlT_SI_SJ_SK_E_clISD_PiSD_S10_EESH_SX_SI_SJ_SK_EUlSX_E_NS1_11comp_targetILNS1_3genE8ELNS1_11target_archE1030ELNS1_3gpuE2ELNS1_3repE0EEENS1_48merge_mergepath_partition_config_static_selectorELNS0_4arch9wavefront6targetE1EEEvSJ_
		.amdhsa_group_segment_fixed_size 0
		.amdhsa_private_segment_fixed_size 0
		.amdhsa_kernarg_size 40
		.amdhsa_user_sgpr_count 2
		.amdhsa_user_sgpr_dispatch_ptr 0
		.amdhsa_user_sgpr_queue_ptr 0
		.amdhsa_user_sgpr_kernarg_segment_ptr 1
		.amdhsa_user_sgpr_dispatch_id 0
		.amdhsa_user_sgpr_kernarg_preload_length 0
		.amdhsa_user_sgpr_kernarg_preload_offset 0
		.amdhsa_user_sgpr_private_segment_size 0
		.amdhsa_uses_dynamic_stack 0
		.amdhsa_enable_private_segment 0
		.amdhsa_system_sgpr_workgroup_id_x 1
		.amdhsa_system_sgpr_workgroup_id_y 0
		.amdhsa_system_sgpr_workgroup_id_z 0
		.amdhsa_system_sgpr_workgroup_info 0
		.amdhsa_system_vgpr_workitem_id 0
		.amdhsa_next_free_vgpr 1
		.amdhsa_next_free_sgpr 0
		.amdhsa_accum_offset 4
		.amdhsa_reserve_vcc 0
		.amdhsa_float_round_mode_32 0
		.amdhsa_float_round_mode_16_64 0
		.amdhsa_float_denorm_mode_32 3
		.amdhsa_float_denorm_mode_16_64 3
		.amdhsa_dx10_clamp 1
		.amdhsa_ieee_mode 1
		.amdhsa_fp16_overflow 0
		.amdhsa_tg_split 0
		.amdhsa_exception_fp_ieee_invalid_op 0
		.amdhsa_exception_fp_denorm_src 0
		.amdhsa_exception_fp_ieee_div_zero 0
		.amdhsa_exception_fp_ieee_overflow 0
		.amdhsa_exception_fp_ieee_underflow 0
		.amdhsa_exception_fp_ieee_inexact 0
		.amdhsa_exception_int_div_zero 0
	.end_amdhsa_kernel
	.section	.text._ZN7rocprim17ROCPRIM_400000_NS6detail17trampoline_kernelINS0_14default_configENS1_38merge_sort_block_merge_config_selectorIiiEEZZNS1_27merge_sort_block_merge_implIS3_N6thrust23THRUST_200600_302600_NS6detail15normal_iteratorINS8_10device_ptrIiEEEESD_jNS1_19radix_merge_compareILb1ELb1EiNS0_19identity_decomposerEEEEE10hipError_tT0_T1_T2_jT3_P12ihipStream_tbPNSt15iterator_traitsISI_E10value_typeEPNSO_ISJ_E10value_typeEPSK_NS1_7vsmem_tEENKUlT_SI_SJ_SK_E_clISD_PiSD_S10_EESH_SX_SI_SJ_SK_EUlSX_E_NS1_11comp_targetILNS1_3genE8ELNS1_11target_archE1030ELNS1_3gpuE2ELNS1_3repE0EEENS1_48merge_mergepath_partition_config_static_selectorELNS0_4arch9wavefront6targetE1EEEvSJ_,"axG",@progbits,_ZN7rocprim17ROCPRIM_400000_NS6detail17trampoline_kernelINS0_14default_configENS1_38merge_sort_block_merge_config_selectorIiiEEZZNS1_27merge_sort_block_merge_implIS3_N6thrust23THRUST_200600_302600_NS6detail15normal_iteratorINS8_10device_ptrIiEEEESD_jNS1_19radix_merge_compareILb1ELb1EiNS0_19identity_decomposerEEEEE10hipError_tT0_T1_T2_jT3_P12ihipStream_tbPNSt15iterator_traitsISI_E10value_typeEPNSO_ISJ_E10value_typeEPSK_NS1_7vsmem_tEENKUlT_SI_SJ_SK_E_clISD_PiSD_S10_EESH_SX_SI_SJ_SK_EUlSX_E_NS1_11comp_targetILNS1_3genE8ELNS1_11target_archE1030ELNS1_3gpuE2ELNS1_3repE0EEENS1_48merge_mergepath_partition_config_static_selectorELNS0_4arch9wavefront6targetE1EEEvSJ_,comdat
.Lfunc_end1802:
	.size	_ZN7rocprim17ROCPRIM_400000_NS6detail17trampoline_kernelINS0_14default_configENS1_38merge_sort_block_merge_config_selectorIiiEEZZNS1_27merge_sort_block_merge_implIS3_N6thrust23THRUST_200600_302600_NS6detail15normal_iteratorINS8_10device_ptrIiEEEESD_jNS1_19radix_merge_compareILb1ELb1EiNS0_19identity_decomposerEEEEE10hipError_tT0_T1_T2_jT3_P12ihipStream_tbPNSt15iterator_traitsISI_E10value_typeEPNSO_ISJ_E10value_typeEPSK_NS1_7vsmem_tEENKUlT_SI_SJ_SK_E_clISD_PiSD_S10_EESH_SX_SI_SJ_SK_EUlSX_E_NS1_11comp_targetILNS1_3genE8ELNS1_11target_archE1030ELNS1_3gpuE2ELNS1_3repE0EEENS1_48merge_mergepath_partition_config_static_selectorELNS0_4arch9wavefront6targetE1EEEvSJ_, .Lfunc_end1802-_ZN7rocprim17ROCPRIM_400000_NS6detail17trampoline_kernelINS0_14default_configENS1_38merge_sort_block_merge_config_selectorIiiEEZZNS1_27merge_sort_block_merge_implIS3_N6thrust23THRUST_200600_302600_NS6detail15normal_iteratorINS8_10device_ptrIiEEEESD_jNS1_19radix_merge_compareILb1ELb1EiNS0_19identity_decomposerEEEEE10hipError_tT0_T1_T2_jT3_P12ihipStream_tbPNSt15iterator_traitsISI_E10value_typeEPNSO_ISJ_E10value_typeEPSK_NS1_7vsmem_tEENKUlT_SI_SJ_SK_E_clISD_PiSD_S10_EESH_SX_SI_SJ_SK_EUlSX_E_NS1_11comp_targetILNS1_3genE8ELNS1_11target_archE1030ELNS1_3gpuE2ELNS1_3repE0EEENS1_48merge_mergepath_partition_config_static_selectorELNS0_4arch9wavefront6targetE1EEEvSJ_
                                        ; -- End function
	.set _ZN7rocprim17ROCPRIM_400000_NS6detail17trampoline_kernelINS0_14default_configENS1_38merge_sort_block_merge_config_selectorIiiEEZZNS1_27merge_sort_block_merge_implIS3_N6thrust23THRUST_200600_302600_NS6detail15normal_iteratorINS8_10device_ptrIiEEEESD_jNS1_19radix_merge_compareILb1ELb1EiNS0_19identity_decomposerEEEEE10hipError_tT0_T1_T2_jT3_P12ihipStream_tbPNSt15iterator_traitsISI_E10value_typeEPNSO_ISJ_E10value_typeEPSK_NS1_7vsmem_tEENKUlT_SI_SJ_SK_E_clISD_PiSD_S10_EESH_SX_SI_SJ_SK_EUlSX_E_NS1_11comp_targetILNS1_3genE8ELNS1_11target_archE1030ELNS1_3gpuE2ELNS1_3repE0EEENS1_48merge_mergepath_partition_config_static_selectorELNS0_4arch9wavefront6targetE1EEEvSJ_.num_vgpr, 0
	.set _ZN7rocprim17ROCPRIM_400000_NS6detail17trampoline_kernelINS0_14default_configENS1_38merge_sort_block_merge_config_selectorIiiEEZZNS1_27merge_sort_block_merge_implIS3_N6thrust23THRUST_200600_302600_NS6detail15normal_iteratorINS8_10device_ptrIiEEEESD_jNS1_19radix_merge_compareILb1ELb1EiNS0_19identity_decomposerEEEEE10hipError_tT0_T1_T2_jT3_P12ihipStream_tbPNSt15iterator_traitsISI_E10value_typeEPNSO_ISJ_E10value_typeEPSK_NS1_7vsmem_tEENKUlT_SI_SJ_SK_E_clISD_PiSD_S10_EESH_SX_SI_SJ_SK_EUlSX_E_NS1_11comp_targetILNS1_3genE8ELNS1_11target_archE1030ELNS1_3gpuE2ELNS1_3repE0EEENS1_48merge_mergepath_partition_config_static_selectorELNS0_4arch9wavefront6targetE1EEEvSJ_.num_agpr, 0
	.set _ZN7rocprim17ROCPRIM_400000_NS6detail17trampoline_kernelINS0_14default_configENS1_38merge_sort_block_merge_config_selectorIiiEEZZNS1_27merge_sort_block_merge_implIS3_N6thrust23THRUST_200600_302600_NS6detail15normal_iteratorINS8_10device_ptrIiEEEESD_jNS1_19radix_merge_compareILb1ELb1EiNS0_19identity_decomposerEEEEE10hipError_tT0_T1_T2_jT3_P12ihipStream_tbPNSt15iterator_traitsISI_E10value_typeEPNSO_ISJ_E10value_typeEPSK_NS1_7vsmem_tEENKUlT_SI_SJ_SK_E_clISD_PiSD_S10_EESH_SX_SI_SJ_SK_EUlSX_E_NS1_11comp_targetILNS1_3genE8ELNS1_11target_archE1030ELNS1_3gpuE2ELNS1_3repE0EEENS1_48merge_mergepath_partition_config_static_selectorELNS0_4arch9wavefront6targetE1EEEvSJ_.numbered_sgpr, 0
	.set _ZN7rocprim17ROCPRIM_400000_NS6detail17trampoline_kernelINS0_14default_configENS1_38merge_sort_block_merge_config_selectorIiiEEZZNS1_27merge_sort_block_merge_implIS3_N6thrust23THRUST_200600_302600_NS6detail15normal_iteratorINS8_10device_ptrIiEEEESD_jNS1_19radix_merge_compareILb1ELb1EiNS0_19identity_decomposerEEEEE10hipError_tT0_T1_T2_jT3_P12ihipStream_tbPNSt15iterator_traitsISI_E10value_typeEPNSO_ISJ_E10value_typeEPSK_NS1_7vsmem_tEENKUlT_SI_SJ_SK_E_clISD_PiSD_S10_EESH_SX_SI_SJ_SK_EUlSX_E_NS1_11comp_targetILNS1_3genE8ELNS1_11target_archE1030ELNS1_3gpuE2ELNS1_3repE0EEENS1_48merge_mergepath_partition_config_static_selectorELNS0_4arch9wavefront6targetE1EEEvSJ_.num_named_barrier, 0
	.set _ZN7rocprim17ROCPRIM_400000_NS6detail17trampoline_kernelINS0_14default_configENS1_38merge_sort_block_merge_config_selectorIiiEEZZNS1_27merge_sort_block_merge_implIS3_N6thrust23THRUST_200600_302600_NS6detail15normal_iteratorINS8_10device_ptrIiEEEESD_jNS1_19radix_merge_compareILb1ELb1EiNS0_19identity_decomposerEEEEE10hipError_tT0_T1_T2_jT3_P12ihipStream_tbPNSt15iterator_traitsISI_E10value_typeEPNSO_ISJ_E10value_typeEPSK_NS1_7vsmem_tEENKUlT_SI_SJ_SK_E_clISD_PiSD_S10_EESH_SX_SI_SJ_SK_EUlSX_E_NS1_11comp_targetILNS1_3genE8ELNS1_11target_archE1030ELNS1_3gpuE2ELNS1_3repE0EEENS1_48merge_mergepath_partition_config_static_selectorELNS0_4arch9wavefront6targetE1EEEvSJ_.private_seg_size, 0
	.set _ZN7rocprim17ROCPRIM_400000_NS6detail17trampoline_kernelINS0_14default_configENS1_38merge_sort_block_merge_config_selectorIiiEEZZNS1_27merge_sort_block_merge_implIS3_N6thrust23THRUST_200600_302600_NS6detail15normal_iteratorINS8_10device_ptrIiEEEESD_jNS1_19radix_merge_compareILb1ELb1EiNS0_19identity_decomposerEEEEE10hipError_tT0_T1_T2_jT3_P12ihipStream_tbPNSt15iterator_traitsISI_E10value_typeEPNSO_ISJ_E10value_typeEPSK_NS1_7vsmem_tEENKUlT_SI_SJ_SK_E_clISD_PiSD_S10_EESH_SX_SI_SJ_SK_EUlSX_E_NS1_11comp_targetILNS1_3genE8ELNS1_11target_archE1030ELNS1_3gpuE2ELNS1_3repE0EEENS1_48merge_mergepath_partition_config_static_selectorELNS0_4arch9wavefront6targetE1EEEvSJ_.uses_vcc, 0
	.set _ZN7rocprim17ROCPRIM_400000_NS6detail17trampoline_kernelINS0_14default_configENS1_38merge_sort_block_merge_config_selectorIiiEEZZNS1_27merge_sort_block_merge_implIS3_N6thrust23THRUST_200600_302600_NS6detail15normal_iteratorINS8_10device_ptrIiEEEESD_jNS1_19radix_merge_compareILb1ELb1EiNS0_19identity_decomposerEEEEE10hipError_tT0_T1_T2_jT3_P12ihipStream_tbPNSt15iterator_traitsISI_E10value_typeEPNSO_ISJ_E10value_typeEPSK_NS1_7vsmem_tEENKUlT_SI_SJ_SK_E_clISD_PiSD_S10_EESH_SX_SI_SJ_SK_EUlSX_E_NS1_11comp_targetILNS1_3genE8ELNS1_11target_archE1030ELNS1_3gpuE2ELNS1_3repE0EEENS1_48merge_mergepath_partition_config_static_selectorELNS0_4arch9wavefront6targetE1EEEvSJ_.uses_flat_scratch, 0
	.set _ZN7rocprim17ROCPRIM_400000_NS6detail17trampoline_kernelINS0_14default_configENS1_38merge_sort_block_merge_config_selectorIiiEEZZNS1_27merge_sort_block_merge_implIS3_N6thrust23THRUST_200600_302600_NS6detail15normal_iteratorINS8_10device_ptrIiEEEESD_jNS1_19radix_merge_compareILb1ELb1EiNS0_19identity_decomposerEEEEE10hipError_tT0_T1_T2_jT3_P12ihipStream_tbPNSt15iterator_traitsISI_E10value_typeEPNSO_ISJ_E10value_typeEPSK_NS1_7vsmem_tEENKUlT_SI_SJ_SK_E_clISD_PiSD_S10_EESH_SX_SI_SJ_SK_EUlSX_E_NS1_11comp_targetILNS1_3genE8ELNS1_11target_archE1030ELNS1_3gpuE2ELNS1_3repE0EEENS1_48merge_mergepath_partition_config_static_selectorELNS0_4arch9wavefront6targetE1EEEvSJ_.has_dyn_sized_stack, 0
	.set _ZN7rocprim17ROCPRIM_400000_NS6detail17trampoline_kernelINS0_14default_configENS1_38merge_sort_block_merge_config_selectorIiiEEZZNS1_27merge_sort_block_merge_implIS3_N6thrust23THRUST_200600_302600_NS6detail15normal_iteratorINS8_10device_ptrIiEEEESD_jNS1_19radix_merge_compareILb1ELb1EiNS0_19identity_decomposerEEEEE10hipError_tT0_T1_T2_jT3_P12ihipStream_tbPNSt15iterator_traitsISI_E10value_typeEPNSO_ISJ_E10value_typeEPSK_NS1_7vsmem_tEENKUlT_SI_SJ_SK_E_clISD_PiSD_S10_EESH_SX_SI_SJ_SK_EUlSX_E_NS1_11comp_targetILNS1_3genE8ELNS1_11target_archE1030ELNS1_3gpuE2ELNS1_3repE0EEENS1_48merge_mergepath_partition_config_static_selectorELNS0_4arch9wavefront6targetE1EEEvSJ_.has_recursion, 0
	.set _ZN7rocprim17ROCPRIM_400000_NS6detail17trampoline_kernelINS0_14default_configENS1_38merge_sort_block_merge_config_selectorIiiEEZZNS1_27merge_sort_block_merge_implIS3_N6thrust23THRUST_200600_302600_NS6detail15normal_iteratorINS8_10device_ptrIiEEEESD_jNS1_19radix_merge_compareILb1ELb1EiNS0_19identity_decomposerEEEEE10hipError_tT0_T1_T2_jT3_P12ihipStream_tbPNSt15iterator_traitsISI_E10value_typeEPNSO_ISJ_E10value_typeEPSK_NS1_7vsmem_tEENKUlT_SI_SJ_SK_E_clISD_PiSD_S10_EESH_SX_SI_SJ_SK_EUlSX_E_NS1_11comp_targetILNS1_3genE8ELNS1_11target_archE1030ELNS1_3gpuE2ELNS1_3repE0EEENS1_48merge_mergepath_partition_config_static_selectorELNS0_4arch9wavefront6targetE1EEEvSJ_.has_indirect_call, 0
	.section	.AMDGPU.csdata,"",@progbits
; Kernel info:
; codeLenInByte = 0
; TotalNumSgprs: 6
; NumVgprs: 0
; NumAgprs: 0
; TotalNumVgprs: 0
; ScratchSize: 0
; MemoryBound: 0
; FloatMode: 240
; IeeeMode: 1
; LDSByteSize: 0 bytes/workgroup (compile time only)
; SGPRBlocks: 0
; VGPRBlocks: 0
; NumSGPRsForWavesPerEU: 6
; NumVGPRsForWavesPerEU: 1
; AccumOffset: 4
; Occupancy: 8
; WaveLimiterHint : 0
; COMPUTE_PGM_RSRC2:SCRATCH_EN: 0
; COMPUTE_PGM_RSRC2:USER_SGPR: 2
; COMPUTE_PGM_RSRC2:TRAP_HANDLER: 0
; COMPUTE_PGM_RSRC2:TGID_X_EN: 1
; COMPUTE_PGM_RSRC2:TGID_Y_EN: 0
; COMPUTE_PGM_RSRC2:TGID_Z_EN: 0
; COMPUTE_PGM_RSRC2:TIDIG_COMP_CNT: 0
; COMPUTE_PGM_RSRC3_GFX90A:ACCUM_OFFSET: 0
; COMPUTE_PGM_RSRC3_GFX90A:TG_SPLIT: 0
	.section	.text._ZN7rocprim17ROCPRIM_400000_NS6detail17trampoline_kernelINS0_14default_configENS1_38merge_sort_block_merge_config_selectorIiiEEZZNS1_27merge_sort_block_merge_implIS3_N6thrust23THRUST_200600_302600_NS6detail15normal_iteratorINS8_10device_ptrIiEEEESD_jNS1_19radix_merge_compareILb1ELb1EiNS0_19identity_decomposerEEEEE10hipError_tT0_T1_T2_jT3_P12ihipStream_tbPNSt15iterator_traitsISI_E10value_typeEPNSO_ISJ_E10value_typeEPSK_NS1_7vsmem_tEENKUlT_SI_SJ_SK_E_clISD_PiSD_S10_EESH_SX_SI_SJ_SK_EUlSX_E0_NS1_11comp_targetILNS1_3genE0ELNS1_11target_archE4294967295ELNS1_3gpuE0ELNS1_3repE0EEENS1_38merge_mergepath_config_static_selectorELNS0_4arch9wavefront6targetE1EEEvSJ_,"axG",@progbits,_ZN7rocprim17ROCPRIM_400000_NS6detail17trampoline_kernelINS0_14default_configENS1_38merge_sort_block_merge_config_selectorIiiEEZZNS1_27merge_sort_block_merge_implIS3_N6thrust23THRUST_200600_302600_NS6detail15normal_iteratorINS8_10device_ptrIiEEEESD_jNS1_19radix_merge_compareILb1ELb1EiNS0_19identity_decomposerEEEEE10hipError_tT0_T1_T2_jT3_P12ihipStream_tbPNSt15iterator_traitsISI_E10value_typeEPNSO_ISJ_E10value_typeEPSK_NS1_7vsmem_tEENKUlT_SI_SJ_SK_E_clISD_PiSD_S10_EESH_SX_SI_SJ_SK_EUlSX_E0_NS1_11comp_targetILNS1_3genE0ELNS1_11target_archE4294967295ELNS1_3gpuE0ELNS1_3repE0EEENS1_38merge_mergepath_config_static_selectorELNS0_4arch9wavefront6targetE1EEEvSJ_,comdat
	.protected	_ZN7rocprim17ROCPRIM_400000_NS6detail17trampoline_kernelINS0_14default_configENS1_38merge_sort_block_merge_config_selectorIiiEEZZNS1_27merge_sort_block_merge_implIS3_N6thrust23THRUST_200600_302600_NS6detail15normal_iteratorINS8_10device_ptrIiEEEESD_jNS1_19radix_merge_compareILb1ELb1EiNS0_19identity_decomposerEEEEE10hipError_tT0_T1_T2_jT3_P12ihipStream_tbPNSt15iterator_traitsISI_E10value_typeEPNSO_ISJ_E10value_typeEPSK_NS1_7vsmem_tEENKUlT_SI_SJ_SK_E_clISD_PiSD_S10_EESH_SX_SI_SJ_SK_EUlSX_E0_NS1_11comp_targetILNS1_3genE0ELNS1_11target_archE4294967295ELNS1_3gpuE0ELNS1_3repE0EEENS1_38merge_mergepath_config_static_selectorELNS0_4arch9wavefront6targetE1EEEvSJ_ ; -- Begin function _ZN7rocprim17ROCPRIM_400000_NS6detail17trampoline_kernelINS0_14default_configENS1_38merge_sort_block_merge_config_selectorIiiEEZZNS1_27merge_sort_block_merge_implIS3_N6thrust23THRUST_200600_302600_NS6detail15normal_iteratorINS8_10device_ptrIiEEEESD_jNS1_19radix_merge_compareILb1ELb1EiNS0_19identity_decomposerEEEEE10hipError_tT0_T1_T2_jT3_P12ihipStream_tbPNSt15iterator_traitsISI_E10value_typeEPNSO_ISJ_E10value_typeEPSK_NS1_7vsmem_tEENKUlT_SI_SJ_SK_E_clISD_PiSD_S10_EESH_SX_SI_SJ_SK_EUlSX_E0_NS1_11comp_targetILNS1_3genE0ELNS1_11target_archE4294967295ELNS1_3gpuE0ELNS1_3repE0EEENS1_38merge_mergepath_config_static_selectorELNS0_4arch9wavefront6targetE1EEEvSJ_
	.globl	_ZN7rocprim17ROCPRIM_400000_NS6detail17trampoline_kernelINS0_14default_configENS1_38merge_sort_block_merge_config_selectorIiiEEZZNS1_27merge_sort_block_merge_implIS3_N6thrust23THRUST_200600_302600_NS6detail15normal_iteratorINS8_10device_ptrIiEEEESD_jNS1_19radix_merge_compareILb1ELb1EiNS0_19identity_decomposerEEEEE10hipError_tT0_T1_T2_jT3_P12ihipStream_tbPNSt15iterator_traitsISI_E10value_typeEPNSO_ISJ_E10value_typeEPSK_NS1_7vsmem_tEENKUlT_SI_SJ_SK_E_clISD_PiSD_S10_EESH_SX_SI_SJ_SK_EUlSX_E0_NS1_11comp_targetILNS1_3genE0ELNS1_11target_archE4294967295ELNS1_3gpuE0ELNS1_3repE0EEENS1_38merge_mergepath_config_static_selectorELNS0_4arch9wavefront6targetE1EEEvSJ_
	.p2align	8
	.type	_ZN7rocprim17ROCPRIM_400000_NS6detail17trampoline_kernelINS0_14default_configENS1_38merge_sort_block_merge_config_selectorIiiEEZZNS1_27merge_sort_block_merge_implIS3_N6thrust23THRUST_200600_302600_NS6detail15normal_iteratorINS8_10device_ptrIiEEEESD_jNS1_19radix_merge_compareILb1ELb1EiNS0_19identity_decomposerEEEEE10hipError_tT0_T1_T2_jT3_P12ihipStream_tbPNSt15iterator_traitsISI_E10value_typeEPNSO_ISJ_E10value_typeEPSK_NS1_7vsmem_tEENKUlT_SI_SJ_SK_E_clISD_PiSD_S10_EESH_SX_SI_SJ_SK_EUlSX_E0_NS1_11comp_targetILNS1_3genE0ELNS1_11target_archE4294967295ELNS1_3gpuE0ELNS1_3repE0EEENS1_38merge_mergepath_config_static_selectorELNS0_4arch9wavefront6targetE1EEEvSJ_,@function
_ZN7rocprim17ROCPRIM_400000_NS6detail17trampoline_kernelINS0_14default_configENS1_38merge_sort_block_merge_config_selectorIiiEEZZNS1_27merge_sort_block_merge_implIS3_N6thrust23THRUST_200600_302600_NS6detail15normal_iteratorINS8_10device_ptrIiEEEESD_jNS1_19radix_merge_compareILb1ELb1EiNS0_19identity_decomposerEEEEE10hipError_tT0_T1_T2_jT3_P12ihipStream_tbPNSt15iterator_traitsISI_E10value_typeEPNSO_ISJ_E10value_typeEPSK_NS1_7vsmem_tEENKUlT_SI_SJ_SK_E_clISD_PiSD_S10_EESH_SX_SI_SJ_SK_EUlSX_E0_NS1_11comp_targetILNS1_3genE0ELNS1_11target_archE4294967295ELNS1_3gpuE0ELNS1_3repE0EEENS1_38merge_mergepath_config_static_selectorELNS0_4arch9wavefront6targetE1EEEvSJ_: ; @_ZN7rocprim17ROCPRIM_400000_NS6detail17trampoline_kernelINS0_14default_configENS1_38merge_sort_block_merge_config_selectorIiiEEZZNS1_27merge_sort_block_merge_implIS3_N6thrust23THRUST_200600_302600_NS6detail15normal_iteratorINS8_10device_ptrIiEEEESD_jNS1_19radix_merge_compareILb1ELb1EiNS0_19identity_decomposerEEEEE10hipError_tT0_T1_T2_jT3_P12ihipStream_tbPNSt15iterator_traitsISI_E10value_typeEPNSO_ISJ_E10value_typeEPSK_NS1_7vsmem_tEENKUlT_SI_SJ_SK_E_clISD_PiSD_S10_EESH_SX_SI_SJ_SK_EUlSX_E0_NS1_11comp_targetILNS1_3genE0ELNS1_11target_archE4294967295ELNS1_3gpuE0ELNS1_3repE0EEENS1_38merge_mergepath_config_static_selectorELNS0_4arch9wavefront6targetE1EEEvSJ_
; %bb.0:
	s_load_dwordx2 s[28:29], s[0:1], 0x40
	s_load_dwordx2 s[16:17], s[0:1], 0x30
	s_add_u32 s24, s0, 64
	s_addc_u32 s25, s1, 0
	s_waitcnt lgkmcnt(0)
	s_mul_i32 s4, s29, s4
	s_add_i32 s3, s4, s3
	s_mul_i32 s3, s3, s28
	s_add_i32 s26, s3, s2
	s_cmp_ge_u32 s26, s16
	s_cbranch_scc1 .LBB1803_46
; %bb.1:
	s_load_dwordx8 s[8:15], s[0:1], 0x10
	s_load_dwordx2 s[20:21], s[0:1], 0x8
	s_load_dwordx2 s[4:5], s[0:1], 0x38
	s_mov_b32 s27, 0
	s_mov_b32 s23, s27
	s_waitcnt lgkmcnt(0)
	s_lshr_b32 s30, s14, 10
	s_cmp_lg_u32 s26, s30
	s_cselect_b64 s[18:19], -1, 0
	s_lshl_b64 s[0:1], s[26:27], 2
	s_add_u32 s0, s4, s0
	s_addc_u32 s1, s5, s1
	s_load_dwordx2 s[4:5], s[0:1], 0x0
	s_lshr_b32 s0, s15, 9
	s_and_b32 s0, s0, 0x7ffffe
	s_sub_i32 s0, 0, s0
	s_and_b32 s1, s26, s0
	s_lshl_b32 s3, s1, 10
	s_lshl_b32 s16, s26, 10
	;; [unrolled: 1-line block ×3, first 2 shown]
	s_sub_i32 s6, s16, s3
	s_add_i32 s1, s1, s15
	s_add_i32 s6, s1, s6
	s_waitcnt lgkmcnt(0)
	s_sub_i32 s7, s6, s4
	s_sub_i32 s6, s6, s5
	;; [unrolled: 1-line block ×3, first 2 shown]
	s_min_u32 s22, s14, s7
	s_addk_i32 s6, 0x400
	s_or_b32 s0, s26, s0
	s_min_u32 s3, s14, s1
	s_add_i32 s1, s1, s15
	s_cmp_eq_u32 s0, -1
	s_cselect_b32 s0, s1, s6
	s_cselect_b32 s1, s3, s5
	s_mov_b32 s5, s27
	s_min_u32 s29, s0, s14
	s_sub_i32 s15, s1, s4
	s_lshl_b64 s[0:1], s[4:5], 2
	s_add_u32 s6, s20, s0
	s_addc_u32 s7, s21, s1
	s_lshl_b64 s[4:5], s[22:23], 2
	s_add_u32 s20, s20, s4
	s_addc_u32 s21, s21, s5
	s_cmp_lt_u32 s2, s28
	v_mov_b32_e32 v5, 0
	s_cselect_b32 s2, 12, 18
	global_load_dword v1, v5, s[24:25] offset:14
	s_add_u32 s2, s24, s2
	s_addc_u32 s3, s25, 0
	global_load_ushort v2, v5, s[2:3]
	s_cmp_eq_u32 s26, s30
	v_lshlrev_b32_e32 v10, 2, v0
	s_waitcnt vmcnt(1)
	v_lshrrev_b32_e32 v3, 16, v1
	v_and_b32_e32 v1, 0xffff, v1
	v_mul_lo_u32 v1, v1, v3
	s_waitcnt vmcnt(0)
	v_mul_lo_u32 v1, v1, v2
	v_add_u32_e32 v14, v1, v0
	v_add_u32_e32 v12, v14, v1
	s_cbranch_scc1 .LBB1803_3
; %bb.2:
	v_mov_b32_e32 v11, v5
	v_subrev_co_u32_e32 v4, vcc, s15, v0
	v_lshl_add_u64 v[2:3], s[6:7], 0, v[10:11]
	v_lshl_add_u64 v[6:7], v[4:5], 2, s[20:21]
	v_cndmask_b32_e32 v3, v7, v3, vcc
	v_cndmask_b32_e32 v2, v6, v2, vcc
	v_mov_b32_e32 v15, v5
	v_subrev_co_u32_e32 v4, vcc, s15, v14
	v_lshl_add_u64 v[6:7], v[14:15], 2, s[6:7]
	v_lshl_add_u64 v[8:9], v[4:5], 2, s[20:21]
	v_cndmask_b32_e32 v7, v9, v7, vcc
	v_cndmask_b32_e32 v6, v8, v6, vcc
	v_mov_b32_e32 v13, v5
	v_subrev_co_u32_e32 v4, vcc, s15, v12
	global_load_dword v2, v[2:3], off
	v_lshl_add_u64 v[8:9], v[4:5], 2, s[20:21]
	global_load_dword v3, v[6:7], off
	v_lshl_add_u64 v[6:7], v[12:13], 2, s[6:7]
	v_cndmask_b32_e32 v7, v9, v7, vcc
	v_cndmask_b32_e32 v6, v8, v6, vcc
	global_load_dword v4, v[6:7], off
	v_add_u32_e32 v6, v12, v1
	s_mov_b64 s[2:3], -1
	s_sub_i32 s24, s29, s22
	s_cbranch_execz .LBB1803_4
	s_branch .LBB1803_9
.LBB1803_3:
	s_mov_b64 s[2:3], 0
                                        ; implicit-def: $vgpr6
                                        ; implicit-def: $vgpr2_vgpr3_vgpr4_vgpr5
	s_sub_i32 s24, s29, s22
.LBB1803_4:
	s_add_i32 s22, s24, s15
	s_waitcnt vmcnt(2)
	v_mov_b32_e32 v2, 0
	v_cmp_gt_u32_e32 vcc, s22, v0
	s_waitcnt vmcnt(1)
	v_mov_b32_e32 v3, v2
	s_waitcnt vmcnt(0)
	v_mov_b32_e32 v4, v2
	v_mov_b32_e32 v5, v2
	s_and_saveexec_b64 s[2:3], vcc
	s_cbranch_execnz .LBB1803_47
; %bb.5:
	s_or_b64 exec, exec, s[2:3]
	v_cmp_gt_u32_e32 vcc, s22, v14
	s_and_saveexec_b64 s[2:3], vcc
	s_cbranch_execnz .LBB1803_48
.LBB1803_6:
	s_or_b64 exec, exec, s[2:3]
	v_cmp_gt_u32_e32 vcc, s22, v12
	s_and_saveexec_b64 s[2:3], vcc
	s_cbranch_execz .LBB1803_8
.LBB1803_7:
	v_mov_b32_e32 v13, 0
	v_subrev_co_u32_e32 v8, vcc, s15, v12
	v_mov_b32_e32 v9, v13
	v_lshl_add_u64 v[6:7], v[12:13], 2, s[6:7]
	v_lshl_add_u64 v[8:9], v[8:9], 2, s[20:21]
	v_cndmask_b32_e32 v7, v9, v7, vcc
	v_cndmask_b32_e32 v6, v8, v6, vcc
	global_load_dword v4, v[6:7], off
.LBB1803_8:
	s_or_b64 exec, exec, s[2:3]
	v_add_u32_e32 v6, v12, v1
	v_cmp_gt_u32_e64 s[2:3], s22, v6
.LBB1803_9:
	s_and_saveexec_b64 s[22:23], s[2:3]
	s_cbranch_execz .LBB1803_11
; %bb.10:
	v_mov_b32_e32 v9, 0
	v_mov_b32_e32 v7, v9
	v_subrev_co_u32_e32 v8, vcc, s15, v6
	v_lshl_add_u64 v[16:17], v[6:7], 2, s[6:7]
	v_lshl_add_u64 v[6:7], v[8:9], 2, s[20:21]
	v_cndmask_b32_e32 v7, v7, v17, vcc
	v_cndmask_b32_e32 v6, v6, v16, vcc
	global_load_dword v5, v[6:7], off
.LBB1803_11:
	s_or_b64 exec, exec, s[22:23]
	s_add_u32 s0, s10, s0
	s_addc_u32 s1, s11, s1
	s_add_u32 s2, s10, s4
	v_mov_b32_e32 v9, 0
	s_addc_u32 s3, s11, s5
	s_andn2_b64 vcc, exec, s[18:19]
	s_waitcnt vmcnt(0)
	ds_write2st64_b32 v10, v2, v3 offset1:4
	ds_write2st64_b32 v10, v4, v5 offset0:8 offset1:12
	s_cbranch_vccnz .LBB1803_13
; %bb.12:
	v_mov_b32_e32 v11, v9
	v_subrev_co_u32_e32 v8, vcc, s15, v0
	v_lshl_add_u64 v[6:7], s[0:1], 0, v[10:11]
	v_lshl_add_u64 v[16:17], v[8:9], 2, s[2:3]
	v_cndmask_b32_e32 v7, v17, v7, vcc
	v_cndmask_b32_e32 v6, v16, v6, vcc
	v_mov_b32_e32 v15, v9
	v_subrev_co_u32_e32 v8, vcc, s15, v14
	v_lshl_add_u64 v[16:17], v[14:15], 2, s[0:1]
	v_lshl_add_u64 v[18:19], v[8:9], 2, s[2:3]
	v_cndmask_b32_e32 v17, v19, v17, vcc
	v_cndmask_b32_e32 v16, v18, v16, vcc
	v_mov_b32_e32 v13, v9
	v_subrev_co_u32_e32 v8, vcc, s15, v12
	global_load_dword v6, v[6:7], off
	v_lshl_add_u64 v[18:19], v[8:9], 2, s[2:3]
	global_load_dword v7, v[16:17], off
	v_lshl_add_u64 v[16:17], v[12:13], 2, s[0:1]
	v_cndmask_b32_e32 v17, v19, v17, vcc
	v_cndmask_b32_e32 v16, v18, v16, vcc
	global_load_dword v8, v[16:17], off
	s_add_i32 s10, s24, s15
	v_add_u32_e32 v16, v12, v1
	s_mov_b64 s[4:5], -1
	v_mov_b32_e32 v11, s10
	s_cbranch_execz .LBB1803_14
	s_branch .LBB1803_19
.LBB1803_13:
	s_mov_b64 s[4:5], 0
                                        ; implicit-def: $vgpr16
                                        ; implicit-def: $vgpr6_vgpr7_vgpr8_vgpr9
                                        ; implicit-def: $vgpr11
.LBB1803_14:
	s_add_i32 s6, s24, s15
	s_waitcnt vmcnt(2)
	v_mov_b32_e32 v6, 0
	v_cmp_gt_u32_e32 vcc, s6, v0
	s_waitcnt vmcnt(1)
	v_mov_b32_e32 v7, v6
	s_waitcnt vmcnt(0)
	v_mov_b32_e32 v8, v6
	v_mov_b32_e32 v9, v6
	s_and_saveexec_b64 s[4:5], vcc
	s_cbranch_execnz .LBB1803_49
; %bb.15:
	s_or_b64 exec, exec, s[4:5]
	v_cmp_gt_u32_e32 vcc, s6, v14
	s_and_saveexec_b64 s[4:5], vcc
	s_cbranch_execnz .LBB1803_50
.LBB1803_16:
	s_or_b64 exec, exec, s[4:5]
	v_cmp_gt_u32_e32 vcc, s6, v12
	s_and_saveexec_b64 s[4:5], vcc
	s_cbranch_execz .LBB1803_18
.LBB1803_17:
	v_mov_b32_e32 v13, 0
	v_subrev_co_u32_e32 v16, vcc, s15, v12
	v_mov_b32_e32 v17, v13
	v_lshl_add_u64 v[14:15], v[12:13], 2, s[0:1]
	v_lshl_add_u64 v[16:17], v[16:17], 2, s[2:3]
	v_cndmask_b32_e32 v15, v17, v15, vcc
	v_cndmask_b32_e32 v14, v16, v14, vcc
	global_load_dword v8, v[14:15], off
.LBB1803_18:
	s_or_b64 exec, exec, s[4:5]
	v_add_u32_e32 v16, v12, v1
	v_cmp_gt_u32_e64 s[4:5], s6, v16
	v_mov_b32_e32 v11, s6
.LBB1803_19:
	s_and_saveexec_b64 s[6:7], s[4:5]
	s_cbranch_execz .LBB1803_21
; %bb.20:
	v_mov_b32_e32 v13, 0
	v_mov_b32_e32 v17, v13
	v_subrev_co_u32_e32 v12, vcc, s15, v16
	v_lshl_add_u64 v[14:15], v[16:17], 2, s[0:1]
	v_lshl_add_u64 v[12:13], v[12:13], 2, s[2:3]
	v_cndmask_b32_e32 v13, v13, v15, vcc
	v_cndmask_b32_e32 v12, v12, v14, vcc
	global_load_dword v9, v[12:13], off
.LBB1803_21:
	s_or_b64 exec, exec, s[6:7]
	v_min_u32_e32 v12, v11, v10
	v_sub_u32_e64 v1, v12, s24 clamp
	v_min_u32_e32 v13, s15, v12
	v_cmp_lt_u32_e32 vcc, v1, v13
	s_waitcnt lgkmcnt(0)
	s_barrier
	s_and_saveexec_b64 s[0:1], vcc
	s_cbranch_execz .LBB1803_25
; %bb.22:
	v_lshlrev_b32_e32 v14, 2, v12
	v_lshl_add_u32 v14, s15, 2, v14
	s_mov_b64 s[2:3], 0
.LBB1803_23:                            ; =>This Inner Loop Header: Depth=1
	v_add_u32_e32 v15, v13, v1
	v_lshrrev_b32_e32 v15, 1, v15
	v_not_b32_e32 v16, v15
	v_lshlrev_b32_e32 v17, 2, v15
	v_lshl_add_u32 v16, v16, 2, v14
	ds_read_b32 v17, v17
	ds_read_b32 v16, v16
	v_add_u32_e32 v18, 1, v15
	s_waitcnt lgkmcnt(1)
	v_and_b32_e32 v17, s17, v17
	s_waitcnt lgkmcnt(0)
	v_and_b32_e32 v16, s17, v16
	v_cmp_gt_i32_e32 vcc, v16, v17
	s_nop 1
	v_cndmask_b32_e32 v13, v13, v15, vcc
	v_cndmask_b32_e32 v1, v18, v1, vcc
	v_cmp_ge_u32_e32 vcc, v1, v13
	s_or_b64 s[2:3], vcc, s[2:3]
	s_andn2_b64 exec, exec, s[2:3]
	s_cbranch_execnz .LBB1803_23
; %bb.24:
	s_or_b64 exec, exec, s[2:3]
.LBB1803_25:
	s_or_b64 exec, exec, s[0:1]
	v_sub_u32_e32 v12, v12, v1
	v_add_u32_e32 v15, s15, v12
	v_cmp_ge_u32_e32 vcc, s15, v1
	v_cmp_le_u32_e64 s[0:1], v15, v11
	s_or_b64 s[0:1], vcc, s[0:1]
	v_mov_b32_e32 v16, 0
	v_mov_b32_e32 v14, 0
	;; [unrolled: 1-line block ×4, first 2 shown]
	s_and_saveexec_b64 s[10:11], s[0:1]
	s_cbranch_execz .LBB1803_31
; %bb.26:
	v_cmp_gt_u32_e32 vcc, s15, v1
                                        ; implicit-def: $vgpr2
	s_and_saveexec_b64 s[0:1], vcc
; %bb.27:
	v_lshlrev_b32_e32 v2, 2, v1
	ds_read_b32 v2, v2
; %bb.28:
	s_or_b64 exec, exec, s[0:1]
	v_cmp_ge_u32_e64 s[0:1], v15, v11
	v_cmp_lt_u32_e64 s[2:3], v15, v11
                                        ; implicit-def: $vgpr3
	s_and_saveexec_b64 s[4:5], s[2:3]
; %bb.29:
	v_lshlrev_b32_e32 v3, 2, v15
	ds_read_b32 v3, v3
; %bb.30:
	s_or_b64 exec, exec, s[4:5]
	s_waitcnt lgkmcnt(0)
	v_and_b32_e32 v4, s17, v3
	v_and_b32_e32 v5, s17, v2
	v_cmp_le_i32_e64 s[2:3], v4, v5
	s_and_b64 s[2:3], vcc, s[2:3]
	s_or_b64 vcc, s[0:1], s[2:3]
	v_mov_b32_e32 v4, s15
	v_cndmask_b32_e32 v12, v15, v1, vcc
	v_cndmask_b32_e32 v5, v11, v4, vcc
	v_add_u32_e32 v13, 1, v12
	v_add_u32_e32 v5, -1, v5
	v_min_u32_e32 v5, v13, v5
	v_lshlrev_b32_e32 v5, 2, v5
	ds_read_b32 v5, v5
	v_cndmask_b32_e32 v14, v13, v15, vcc
	v_cndmask_b32_e32 v1, v1, v13, vcc
	v_cmp_gt_u32_e64 s[2:3], s15, v1
	v_cmp_ge_u32_e64 s[0:1], v14, v11
	s_waitcnt lgkmcnt(0)
	v_cndmask_b32_e32 v16, v5, v3, vcc
	v_cndmask_b32_e32 v5, v2, v5, vcc
	v_and_b32_e32 v13, s17, v16
	v_and_b32_e32 v15, s17, v5
	v_cmp_le_i32_e64 s[4:5], v13, v15
	s_and_b64 s[2:3], s[2:3], s[4:5]
	s_or_b64 s[0:1], s[0:1], s[2:3]
	v_cndmask_b32_e64 v13, v14, v1, s[0:1]
	v_cndmask_b32_e64 v15, v11, v4, s[0:1]
	v_add_u32_e32 v17, 1, v13
	v_add_u32_e32 v15, -1, v15
	v_min_u32_e32 v15, v17, v15
	v_lshlrev_b32_e32 v15, 2, v15
	ds_read_b32 v15, v15
	v_cndmask_b32_e64 v19, v17, v14, s[0:1]
	v_cndmask_b32_e64 v1, v1, v17, s[0:1]
	v_cmp_gt_u32_e64 s[4:5], s15, v1
	v_cmp_ge_u32_e64 s[2:3], v19, v11
	s_waitcnt lgkmcnt(0)
	v_cndmask_b32_e64 v18, v15, v16, s[0:1]
	v_cndmask_b32_e64 v15, v5, v15, s[0:1]
	v_and_b32_e32 v14, s17, v18
	v_and_b32_e32 v17, s17, v15
	v_cmp_le_i32_e64 s[6:7], v14, v17
	s_and_b64 s[4:5], s[4:5], s[6:7]
	s_or_b64 s[2:3], s[2:3], s[4:5]
	v_cndmask_b32_e64 v14, v19, v1, s[2:3]
	v_cndmask_b32_e64 v4, v11, v4, s[2:3]
	v_add_u32_e32 v17, 1, v14
	v_add_u32_e32 v4, -1, v4
	v_min_u32_e32 v4, v17, v4
	v_lshlrev_b32_e32 v4, 2, v4
	ds_read_b32 v20, v4
	v_cndmask_b32_e32 v2, v3, v2, vcc
	v_cndmask_b32_e64 v3, v16, v5, s[0:1]
	v_cndmask_b32_e64 v4, v18, v15, s[2:3]
	;; [unrolled: 1-line block ×3, first 2 shown]
	s_waitcnt lgkmcnt(0)
	v_cndmask_b32_e64 v5, v20, v18, s[2:3]
	v_cndmask_b32_e64 v15, v15, v20, s[2:3]
	;; [unrolled: 1-line block ×3, first 2 shown]
	v_cmp_ge_u32_e32 vcc, v16, v11
	v_and_b32_e32 v11, s17, v5
	v_and_b32_e32 v17, s17, v15
	v_cmp_gt_u32_e64 s[0:1], s15, v1
	v_cmp_le_i32_e64 s[2:3], v11, v17
	s_and_b64 s[0:1], s[0:1], s[2:3]
	s_or_b64 vcc, vcc, s[0:1]
	v_cndmask_b32_e32 v16, v16, v1, vcc
	v_cndmask_b32_e32 v5, v5, v15, vcc
.LBB1803_31:
	s_or_b64 exec, exec, s[10:11]
	s_barrier
	s_waitcnt vmcnt(0)
	ds_write2st64_b32 v10, v6, v7 offset1:4
	ds_write2st64_b32 v10, v8, v9 offset0:8 offset1:12
	v_lshrrev_b32_e32 v11, 3, v0
	v_lshlrev_b32_e32 v9, 2, v10
	v_lshlrev_b32_e32 v1, 2, v12
	;; [unrolled: 1-line block ×5, first 2 shown]
	v_lshl_add_u32 v9, v11, 2, v9
	s_waitcnt lgkmcnt(0)
	s_barrier
	ds_read_b32 v1, v1
	ds_read_b32 v6, v6
	;; [unrolled: 1-line block ×4, first 2 shown]
	s_waitcnt lgkmcnt(0)
	s_barrier
	s_barrier
	ds_write2_b32 v9, v2, v3 offset1:1
	ds_write2_b32 v9, v4, v5 offset0:2 offset1:3
	v_and_b32_e32 v2, 28, v11
	v_or_b32_e32 v16, 0x100, v0
	v_add_u32_e32 v4, v2, v10
	v_lshrrev_b32_e32 v2, 3, v16
	v_and_b32_e32 v2, 60, v2
	v_or_b32_e32 v15, 0x200, v0
	s_mov_b32 s17, 0
	v_add_u32_e32 v5, v2, v10
	v_lshrrev_b32_e32 v2, 3, v15
	s_lshl_b64 s[4:5], s[16:17], 2
	v_and_b32_e32 v2, 0x5c, v2
	v_or_b32_e32 v14, 0x300, v0
	s_add_u32 s0, s8, s4
	v_add_u32_e32 v12, v2, v10
	v_lshrrev_b32_e32 v2, 3, v14
	s_addc_u32 s1, s9, s5
	v_and_b32_e32 v2, 0x7c, v2
	v_mov_b32_e32 v11, 0
	v_add_u32_e32 v13, v2, v10
	v_lshl_add_u64 v[2:3], s[0:1], 0, v[10:11]
	s_and_b64 vcc, exec, s[18:19]
	s_waitcnt lgkmcnt(0)
	s_cbranch_vccz .LBB1803_33
; %bb.32:
	s_barrier
	ds_read_b32 v11, v4
	ds_read_b32 v17, v5 offset:1024
	ds_read_b32 v18, v12 offset:2048
	;; [unrolled: 1-line block ×3, first 2 shown]
	s_add_u32 s0, s12, s4
	s_addc_u32 s1, s13, s5
	s_waitcnt lgkmcnt(3)
	global_store_dword v[2:3], v11, off
	s_waitcnt lgkmcnt(2)
	global_store_dword v[2:3], v17, off offset:1024
	s_waitcnt lgkmcnt(1)
	global_store_dword v[2:3], v18, off offset:2048
	s_waitcnt lgkmcnt(0)
	global_store_dword v[2:3], v19, off offset:3072
	s_barrier
	ds_write2_b32 v9, v1, v6 offset1:1
	ds_write2_b32 v9, v7, v8 offset0:2 offset1:3
	s_waitcnt lgkmcnt(0)
	s_barrier
	ds_read_b32 v11, v4
	ds_read_b32 v18, v5 offset:1024
	ds_read_b32 v19, v12 offset:2048
	;; [unrolled: 1-line block ×3, first 2 shown]
	s_waitcnt lgkmcnt(3)
	global_store_dword v10, v11, s[0:1]
	s_waitcnt lgkmcnt(2)
	global_store_dword v10, v18, s[0:1] offset:1024
	s_waitcnt lgkmcnt(1)
	global_store_dword v10, v19, s[0:1] offset:2048
	s_mov_b64 s[6:7], -1
	s_cbranch_execz .LBB1803_34
	s_branch .LBB1803_44
.LBB1803_33:
	s_mov_b64 s[6:7], 0
                                        ; implicit-def: $vgpr17
.LBB1803_34:
	s_barrier
	s_waitcnt lgkmcnt(0)
	ds_read_b32 v18, v5 offset:1024
	ds_read_b32 v17, v12 offset:2048
	;; [unrolled: 1-line block ×3, first 2 shown]
	s_sub_i32 s8, s14, s16
	v_cmp_gt_u32_e32 vcc, s8, v0
	s_and_saveexec_b64 s[0:1], vcc
	s_cbranch_execnz .LBB1803_51
; %bb.35:
	s_or_b64 exec, exec, s[0:1]
	v_cmp_gt_u32_e64 s[0:1], s8, v16
	s_and_saveexec_b64 s[2:3], s[0:1]
	s_cbranch_execnz .LBB1803_52
.LBB1803_36:
	s_or_b64 exec, exec, s[2:3]
	v_cmp_gt_u32_e64 s[2:3], s8, v15
	s_and_saveexec_b64 s[6:7], s[2:3]
	s_cbranch_execnz .LBB1803_53
.LBB1803_37:
	s_or_b64 exec, exec, s[6:7]
	v_cmp_gt_u32_e64 s[6:7], s8, v14
	s_and_saveexec_b64 s[8:9], s[6:7]
	s_cbranch_execz .LBB1803_39
.LBB1803_38:
	s_waitcnt lgkmcnt(0)
	global_store_dword v[2:3], v11, off offset:3072
.LBB1803_39:
	s_or_b64 exec, exec, s[8:9]
	s_waitcnt lgkmcnt(0)
	s_barrier
	ds_write2_b32 v9, v1, v6 offset1:1
	ds_write2_b32 v9, v7, v8 offset0:2 offset1:3
	s_waitcnt lgkmcnt(0)
	s_barrier
	ds_read_b32 v3, v5 offset:1024
	ds_read_b32 v2, v12 offset:2048
	;; [unrolled: 1-line block ×3, first 2 shown]
	s_add_u32 s8, s12, s4
	s_addc_u32 s9, s13, s5
	v_mov_b32_e32 v11, 0
	v_lshl_add_u64 v[0:1], s[8:9], 0, v[10:11]
	s_and_saveexec_b64 s[8:9], vcc
	s_cbranch_execnz .LBB1803_54
; %bb.40:
	s_or_b64 exec, exec, s[8:9]
	s_and_saveexec_b64 s[8:9], s[0:1]
	s_cbranch_execnz .LBB1803_55
.LBB1803_41:
	s_or_b64 exec, exec, s[8:9]
	s_and_saveexec_b64 s[0:1], s[2:3]
	s_cbranch_execz .LBB1803_43
.LBB1803_42:
	s_waitcnt lgkmcnt(1)
	global_store_dword v[0:1], v2, off offset:2048
.LBB1803_43:
	s_or_b64 exec, exec, s[0:1]
.LBB1803_44:
	s_and_saveexec_b64 s[0:1], s[6:7]
	s_cbranch_execz .LBB1803_46
; %bb.45:
	s_add_u32 s0, s12, s4
	s_addc_u32 s1, s13, s5
	s_waitcnt lgkmcnt(0)
	global_store_dword v10, v17, s[0:1] offset:3072
.LBB1803_46:
	s_endpgm
.LBB1803_47:
	v_mov_b32_e32 v11, v2
	v_subrev_co_u32_e32 v6, vcc, s15, v0
	v_mov_b32_e32 v7, v2
	v_lshl_add_u64 v[4:5], s[6:7], 0, v[10:11]
	v_lshl_add_u64 v[6:7], v[6:7], 2, s[20:21]
	v_cndmask_b32_e32 v5, v7, v5, vcc
	v_cndmask_b32_e32 v4, v6, v4, vcc
	global_load_dword v4, v[4:5], off
	v_mov_b32_e32 v5, v2
	v_mov_b32_e32 v6, v2
	;; [unrolled: 1-line block ×3, first 2 shown]
	s_waitcnt vmcnt(0)
	v_mov_b64_e32 v[2:3], v[4:5]
	v_mov_b64_e32 v[4:5], v[6:7]
	s_or_b64 exec, exec, s[2:3]
	v_cmp_gt_u32_e32 vcc, s22, v14
	s_and_saveexec_b64 s[2:3], vcc
	s_cbranch_execz .LBB1803_6
.LBB1803_48:
	v_mov_b32_e32 v15, 0
	v_subrev_co_u32_e32 v8, vcc, s15, v14
	v_mov_b32_e32 v9, v15
	v_lshl_add_u64 v[6:7], v[14:15], 2, s[6:7]
	v_lshl_add_u64 v[8:9], v[8:9], 2, s[20:21]
	v_cndmask_b32_e32 v7, v9, v7, vcc
	v_cndmask_b32_e32 v6, v8, v6, vcc
	global_load_dword v3, v[6:7], off
	s_or_b64 exec, exec, s[2:3]
	v_cmp_gt_u32_e32 vcc, s22, v12
	s_and_saveexec_b64 s[2:3], vcc
	s_cbranch_execnz .LBB1803_7
	s_branch .LBB1803_8
.LBB1803_49:
	v_mov_b32_e32 v11, v6
	v_subrev_co_u32_e32 v16, vcc, s15, v0
	v_mov_b32_e32 v17, v6
	v_lshl_add_u64 v[8:9], s[0:1], 0, v[10:11]
	v_lshl_add_u64 v[16:17], v[16:17], 2, s[2:3]
	v_cndmask_b32_e32 v9, v17, v9, vcc
	v_cndmask_b32_e32 v8, v16, v8, vcc
	global_load_dword v16, v[8:9], off
	v_mov_b32_e32 v17, v6
	v_mov_b32_e32 v18, v6
	;; [unrolled: 1-line block ×3, first 2 shown]
	s_waitcnt vmcnt(0)
	v_mov_b64_e32 v[6:7], v[16:17]
	v_mov_b64_e32 v[8:9], v[18:19]
	s_or_b64 exec, exec, s[4:5]
	v_cmp_gt_u32_e32 vcc, s6, v14
	s_and_saveexec_b64 s[4:5], vcc
	s_cbranch_execz .LBB1803_16
.LBB1803_50:
	v_mov_b32_e32 v15, 0
	v_lshl_add_u64 v[16:17], v[14:15], 2, s[0:1]
	v_subrev_co_u32_e32 v14, vcc, s15, v14
	v_lshl_add_u64 v[14:15], v[14:15], 2, s[2:3]
	s_nop 0
	v_cndmask_b32_e32 v15, v15, v17, vcc
	v_cndmask_b32_e32 v14, v14, v16, vcc
	global_load_dword v7, v[14:15], off
	s_or_b64 exec, exec, s[4:5]
	v_cmp_gt_u32_e32 vcc, s6, v12
	s_and_saveexec_b64 s[4:5], vcc
	s_cbranch_execnz .LBB1803_17
	s_branch .LBB1803_18
.LBB1803_51:
	ds_read_b32 v0, v4
	s_waitcnt lgkmcnt(0)
	global_store_dword v[2:3], v0, off
	s_or_b64 exec, exec, s[0:1]
	v_cmp_gt_u32_e64 s[0:1], s8, v16
	s_and_saveexec_b64 s[2:3], s[0:1]
	s_cbranch_execz .LBB1803_36
.LBB1803_52:
	s_waitcnt lgkmcnt(2)
	global_store_dword v[2:3], v18, off offset:1024
	s_or_b64 exec, exec, s[2:3]
	v_cmp_gt_u32_e64 s[2:3], s8, v15
	s_and_saveexec_b64 s[6:7], s[2:3]
	s_cbranch_execz .LBB1803_37
.LBB1803_53:
	s_waitcnt lgkmcnt(1)
	global_store_dword v[2:3], v17, off offset:2048
	s_or_b64 exec, exec, s[6:7]
	v_cmp_gt_u32_e64 s[6:7], s8, v14
	s_and_saveexec_b64 s[8:9], s[6:7]
	s_cbranch_execnz .LBB1803_38
	s_branch .LBB1803_39
.LBB1803_54:
	ds_read_b32 v4, v4
	s_waitcnt lgkmcnt(0)
	global_store_dword v[0:1], v4, off
	s_or_b64 exec, exec, s[8:9]
	s_and_saveexec_b64 s[8:9], s[0:1]
	s_cbranch_execz .LBB1803_41
.LBB1803_55:
	s_waitcnt lgkmcnt(2)
	global_store_dword v[0:1], v3, off offset:1024
	s_or_b64 exec, exec, s[8:9]
	s_and_saveexec_b64 s[0:1], s[2:3]
	s_cbranch_execnz .LBB1803_42
	s_branch .LBB1803_43
	.section	.rodata,"a",@progbits
	.p2align	6, 0x0
	.amdhsa_kernel _ZN7rocprim17ROCPRIM_400000_NS6detail17trampoline_kernelINS0_14default_configENS1_38merge_sort_block_merge_config_selectorIiiEEZZNS1_27merge_sort_block_merge_implIS3_N6thrust23THRUST_200600_302600_NS6detail15normal_iteratorINS8_10device_ptrIiEEEESD_jNS1_19radix_merge_compareILb1ELb1EiNS0_19identity_decomposerEEEEE10hipError_tT0_T1_T2_jT3_P12ihipStream_tbPNSt15iterator_traitsISI_E10value_typeEPNSO_ISJ_E10value_typeEPSK_NS1_7vsmem_tEENKUlT_SI_SJ_SK_E_clISD_PiSD_S10_EESH_SX_SI_SJ_SK_EUlSX_E0_NS1_11comp_targetILNS1_3genE0ELNS1_11target_archE4294967295ELNS1_3gpuE0ELNS1_3repE0EEENS1_38merge_mergepath_config_static_selectorELNS0_4arch9wavefront6targetE1EEEvSJ_
		.amdhsa_group_segment_fixed_size 4224
		.amdhsa_private_segment_fixed_size 0
		.amdhsa_kernarg_size 320
		.amdhsa_user_sgpr_count 2
		.amdhsa_user_sgpr_dispatch_ptr 0
		.amdhsa_user_sgpr_queue_ptr 0
		.amdhsa_user_sgpr_kernarg_segment_ptr 1
		.amdhsa_user_sgpr_dispatch_id 0
		.amdhsa_user_sgpr_kernarg_preload_length 0
		.amdhsa_user_sgpr_kernarg_preload_offset 0
		.amdhsa_user_sgpr_private_segment_size 0
		.amdhsa_uses_dynamic_stack 0
		.amdhsa_enable_private_segment 0
		.amdhsa_system_sgpr_workgroup_id_x 1
		.amdhsa_system_sgpr_workgroup_id_y 1
		.amdhsa_system_sgpr_workgroup_id_z 1
		.amdhsa_system_sgpr_workgroup_info 0
		.amdhsa_system_vgpr_workitem_id 0
		.amdhsa_next_free_vgpr 21
		.amdhsa_next_free_sgpr 31
		.amdhsa_accum_offset 24
		.amdhsa_reserve_vcc 1
		.amdhsa_float_round_mode_32 0
		.amdhsa_float_round_mode_16_64 0
		.amdhsa_float_denorm_mode_32 3
		.amdhsa_float_denorm_mode_16_64 3
		.amdhsa_dx10_clamp 1
		.amdhsa_ieee_mode 1
		.amdhsa_fp16_overflow 0
		.amdhsa_tg_split 0
		.amdhsa_exception_fp_ieee_invalid_op 0
		.amdhsa_exception_fp_denorm_src 0
		.amdhsa_exception_fp_ieee_div_zero 0
		.amdhsa_exception_fp_ieee_overflow 0
		.amdhsa_exception_fp_ieee_underflow 0
		.amdhsa_exception_fp_ieee_inexact 0
		.amdhsa_exception_int_div_zero 0
	.end_amdhsa_kernel
	.section	.text._ZN7rocprim17ROCPRIM_400000_NS6detail17trampoline_kernelINS0_14default_configENS1_38merge_sort_block_merge_config_selectorIiiEEZZNS1_27merge_sort_block_merge_implIS3_N6thrust23THRUST_200600_302600_NS6detail15normal_iteratorINS8_10device_ptrIiEEEESD_jNS1_19radix_merge_compareILb1ELb1EiNS0_19identity_decomposerEEEEE10hipError_tT0_T1_T2_jT3_P12ihipStream_tbPNSt15iterator_traitsISI_E10value_typeEPNSO_ISJ_E10value_typeEPSK_NS1_7vsmem_tEENKUlT_SI_SJ_SK_E_clISD_PiSD_S10_EESH_SX_SI_SJ_SK_EUlSX_E0_NS1_11comp_targetILNS1_3genE0ELNS1_11target_archE4294967295ELNS1_3gpuE0ELNS1_3repE0EEENS1_38merge_mergepath_config_static_selectorELNS0_4arch9wavefront6targetE1EEEvSJ_,"axG",@progbits,_ZN7rocprim17ROCPRIM_400000_NS6detail17trampoline_kernelINS0_14default_configENS1_38merge_sort_block_merge_config_selectorIiiEEZZNS1_27merge_sort_block_merge_implIS3_N6thrust23THRUST_200600_302600_NS6detail15normal_iteratorINS8_10device_ptrIiEEEESD_jNS1_19radix_merge_compareILb1ELb1EiNS0_19identity_decomposerEEEEE10hipError_tT0_T1_T2_jT3_P12ihipStream_tbPNSt15iterator_traitsISI_E10value_typeEPNSO_ISJ_E10value_typeEPSK_NS1_7vsmem_tEENKUlT_SI_SJ_SK_E_clISD_PiSD_S10_EESH_SX_SI_SJ_SK_EUlSX_E0_NS1_11comp_targetILNS1_3genE0ELNS1_11target_archE4294967295ELNS1_3gpuE0ELNS1_3repE0EEENS1_38merge_mergepath_config_static_selectorELNS0_4arch9wavefront6targetE1EEEvSJ_,comdat
.Lfunc_end1803:
	.size	_ZN7rocprim17ROCPRIM_400000_NS6detail17trampoline_kernelINS0_14default_configENS1_38merge_sort_block_merge_config_selectorIiiEEZZNS1_27merge_sort_block_merge_implIS3_N6thrust23THRUST_200600_302600_NS6detail15normal_iteratorINS8_10device_ptrIiEEEESD_jNS1_19radix_merge_compareILb1ELb1EiNS0_19identity_decomposerEEEEE10hipError_tT0_T1_T2_jT3_P12ihipStream_tbPNSt15iterator_traitsISI_E10value_typeEPNSO_ISJ_E10value_typeEPSK_NS1_7vsmem_tEENKUlT_SI_SJ_SK_E_clISD_PiSD_S10_EESH_SX_SI_SJ_SK_EUlSX_E0_NS1_11comp_targetILNS1_3genE0ELNS1_11target_archE4294967295ELNS1_3gpuE0ELNS1_3repE0EEENS1_38merge_mergepath_config_static_selectorELNS0_4arch9wavefront6targetE1EEEvSJ_, .Lfunc_end1803-_ZN7rocprim17ROCPRIM_400000_NS6detail17trampoline_kernelINS0_14default_configENS1_38merge_sort_block_merge_config_selectorIiiEEZZNS1_27merge_sort_block_merge_implIS3_N6thrust23THRUST_200600_302600_NS6detail15normal_iteratorINS8_10device_ptrIiEEEESD_jNS1_19radix_merge_compareILb1ELb1EiNS0_19identity_decomposerEEEEE10hipError_tT0_T1_T2_jT3_P12ihipStream_tbPNSt15iterator_traitsISI_E10value_typeEPNSO_ISJ_E10value_typeEPSK_NS1_7vsmem_tEENKUlT_SI_SJ_SK_E_clISD_PiSD_S10_EESH_SX_SI_SJ_SK_EUlSX_E0_NS1_11comp_targetILNS1_3genE0ELNS1_11target_archE4294967295ELNS1_3gpuE0ELNS1_3repE0EEENS1_38merge_mergepath_config_static_selectorELNS0_4arch9wavefront6targetE1EEEvSJ_
                                        ; -- End function
	.set _ZN7rocprim17ROCPRIM_400000_NS6detail17trampoline_kernelINS0_14default_configENS1_38merge_sort_block_merge_config_selectorIiiEEZZNS1_27merge_sort_block_merge_implIS3_N6thrust23THRUST_200600_302600_NS6detail15normal_iteratorINS8_10device_ptrIiEEEESD_jNS1_19radix_merge_compareILb1ELb1EiNS0_19identity_decomposerEEEEE10hipError_tT0_T1_T2_jT3_P12ihipStream_tbPNSt15iterator_traitsISI_E10value_typeEPNSO_ISJ_E10value_typeEPSK_NS1_7vsmem_tEENKUlT_SI_SJ_SK_E_clISD_PiSD_S10_EESH_SX_SI_SJ_SK_EUlSX_E0_NS1_11comp_targetILNS1_3genE0ELNS1_11target_archE4294967295ELNS1_3gpuE0ELNS1_3repE0EEENS1_38merge_mergepath_config_static_selectorELNS0_4arch9wavefront6targetE1EEEvSJ_.num_vgpr, 21
	.set _ZN7rocprim17ROCPRIM_400000_NS6detail17trampoline_kernelINS0_14default_configENS1_38merge_sort_block_merge_config_selectorIiiEEZZNS1_27merge_sort_block_merge_implIS3_N6thrust23THRUST_200600_302600_NS6detail15normal_iteratorINS8_10device_ptrIiEEEESD_jNS1_19radix_merge_compareILb1ELb1EiNS0_19identity_decomposerEEEEE10hipError_tT0_T1_T2_jT3_P12ihipStream_tbPNSt15iterator_traitsISI_E10value_typeEPNSO_ISJ_E10value_typeEPSK_NS1_7vsmem_tEENKUlT_SI_SJ_SK_E_clISD_PiSD_S10_EESH_SX_SI_SJ_SK_EUlSX_E0_NS1_11comp_targetILNS1_3genE0ELNS1_11target_archE4294967295ELNS1_3gpuE0ELNS1_3repE0EEENS1_38merge_mergepath_config_static_selectorELNS0_4arch9wavefront6targetE1EEEvSJ_.num_agpr, 0
	.set _ZN7rocprim17ROCPRIM_400000_NS6detail17trampoline_kernelINS0_14default_configENS1_38merge_sort_block_merge_config_selectorIiiEEZZNS1_27merge_sort_block_merge_implIS3_N6thrust23THRUST_200600_302600_NS6detail15normal_iteratorINS8_10device_ptrIiEEEESD_jNS1_19radix_merge_compareILb1ELb1EiNS0_19identity_decomposerEEEEE10hipError_tT0_T1_T2_jT3_P12ihipStream_tbPNSt15iterator_traitsISI_E10value_typeEPNSO_ISJ_E10value_typeEPSK_NS1_7vsmem_tEENKUlT_SI_SJ_SK_E_clISD_PiSD_S10_EESH_SX_SI_SJ_SK_EUlSX_E0_NS1_11comp_targetILNS1_3genE0ELNS1_11target_archE4294967295ELNS1_3gpuE0ELNS1_3repE0EEENS1_38merge_mergepath_config_static_selectorELNS0_4arch9wavefront6targetE1EEEvSJ_.numbered_sgpr, 31
	.set _ZN7rocprim17ROCPRIM_400000_NS6detail17trampoline_kernelINS0_14default_configENS1_38merge_sort_block_merge_config_selectorIiiEEZZNS1_27merge_sort_block_merge_implIS3_N6thrust23THRUST_200600_302600_NS6detail15normal_iteratorINS8_10device_ptrIiEEEESD_jNS1_19radix_merge_compareILb1ELb1EiNS0_19identity_decomposerEEEEE10hipError_tT0_T1_T2_jT3_P12ihipStream_tbPNSt15iterator_traitsISI_E10value_typeEPNSO_ISJ_E10value_typeEPSK_NS1_7vsmem_tEENKUlT_SI_SJ_SK_E_clISD_PiSD_S10_EESH_SX_SI_SJ_SK_EUlSX_E0_NS1_11comp_targetILNS1_3genE0ELNS1_11target_archE4294967295ELNS1_3gpuE0ELNS1_3repE0EEENS1_38merge_mergepath_config_static_selectorELNS0_4arch9wavefront6targetE1EEEvSJ_.num_named_barrier, 0
	.set _ZN7rocprim17ROCPRIM_400000_NS6detail17trampoline_kernelINS0_14default_configENS1_38merge_sort_block_merge_config_selectorIiiEEZZNS1_27merge_sort_block_merge_implIS3_N6thrust23THRUST_200600_302600_NS6detail15normal_iteratorINS8_10device_ptrIiEEEESD_jNS1_19radix_merge_compareILb1ELb1EiNS0_19identity_decomposerEEEEE10hipError_tT0_T1_T2_jT3_P12ihipStream_tbPNSt15iterator_traitsISI_E10value_typeEPNSO_ISJ_E10value_typeEPSK_NS1_7vsmem_tEENKUlT_SI_SJ_SK_E_clISD_PiSD_S10_EESH_SX_SI_SJ_SK_EUlSX_E0_NS1_11comp_targetILNS1_3genE0ELNS1_11target_archE4294967295ELNS1_3gpuE0ELNS1_3repE0EEENS1_38merge_mergepath_config_static_selectorELNS0_4arch9wavefront6targetE1EEEvSJ_.private_seg_size, 0
	.set _ZN7rocprim17ROCPRIM_400000_NS6detail17trampoline_kernelINS0_14default_configENS1_38merge_sort_block_merge_config_selectorIiiEEZZNS1_27merge_sort_block_merge_implIS3_N6thrust23THRUST_200600_302600_NS6detail15normal_iteratorINS8_10device_ptrIiEEEESD_jNS1_19radix_merge_compareILb1ELb1EiNS0_19identity_decomposerEEEEE10hipError_tT0_T1_T2_jT3_P12ihipStream_tbPNSt15iterator_traitsISI_E10value_typeEPNSO_ISJ_E10value_typeEPSK_NS1_7vsmem_tEENKUlT_SI_SJ_SK_E_clISD_PiSD_S10_EESH_SX_SI_SJ_SK_EUlSX_E0_NS1_11comp_targetILNS1_3genE0ELNS1_11target_archE4294967295ELNS1_3gpuE0ELNS1_3repE0EEENS1_38merge_mergepath_config_static_selectorELNS0_4arch9wavefront6targetE1EEEvSJ_.uses_vcc, 1
	.set _ZN7rocprim17ROCPRIM_400000_NS6detail17trampoline_kernelINS0_14default_configENS1_38merge_sort_block_merge_config_selectorIiiEEZZNS1_27merge_sort_block_merge_implIS3_N6thrust23THRUST_200600_302600_NS6detail15normal_iteratorINS8_10device_ptrIiEEEESD_jNS1_19radix_merge_compareILb1ELb1EiNS0_19identity_decomposerEEEEE10hipError_tT0_T1_T2_jT3_P12ihipStream_tbPNSt15iterator_traitsISI_E10value_typeEPNSO_ISJ_E10value_typeEPSK_NS1_7vsmem_tEENKUlT_SI_SJ_SK_E_clISD_PiSD_S10_EESH_SX_SI_SJ_SK_EUlSX_E0_NS1_11comp_targetILNS1_3genE0ELNS1_11target_archE4294967295ELNS1_3gpuE0ELNS1_3repE0EEENS1_38merge_mergepath_config_static_selectorELNS0_4arch9wavefront6targetE1EEEvSJ_.uses_flat_scratch, 0
	.set _ZN7rocprim17ROCPRIM_400000_NS6detail17trampoline_kernelINS0_14default_configENS1_38merge_sort_block_merge_config_selectorIiiEEZZNS1_27merge_sort_block_merge_implIS3_N6thrust23THRUST_200600_302600_NS6detail15normal_iteratorINS8_10device_ptrIiEEEESD_jNS1_19radix_merge_compareILb1ELb1EiNS0_19identity_decomposerEEEEE10hipError_tT0_T1_T2_jT3_P12ihipStream_tbPNSt15iterator_traitsISI_E10value_typeEPNSO_ISJ_E10value_typeEPSK_NS1_7vsmem_tEENKUlT_SI_SJ_SK_E_clISD_PiSD_S10_EESH_SX_SI_SJ_SK_EUlSX_E0_NS1_11comp_targetILNS1_3genE0ELNS1_11target_archE4294967295ELNS1_3gpuE0ELNS1_3repE0EEENS1_38merge_mergepath_config_static_selectorELNS0_4arch9wavefront6targetE1EEEvSJ_.has_dyn_sized_stack, 0
	.set _ZN7rocprim17ROCPRIM_400000_NS6detail17trampoline_kernelINS0_14default_configENS1_38merge_sort_block_merge_config_selectorIiiEEZZNS1_27merge_sort_block_merge_implIS3_N6thrust23THRUST_200600_302600_NS6detail15normal_iteratorINS8_10device_ptrIiEEEESD_jNS1_19radix_merge_compareILb1ELb1EiNS0_19identity_decomposerEEEEE10hipError_tT0_T1_T2_jT3_P12ihipStream_tbPNSt15iterator_traitsISI_E10value_typeEPNSO_ISJ_E10value_typeEPSK_NS1_7vsmem_tEENKUlT_SI_SJ_SK_E_clISD_PiSD_S10_EESH_SX_SI_SJ_SK_EUlSX_E0_NS1_11comp_targetILNS1_3genE0ELNS1_11target_archE4294967295ELNS1_3gpuE0ELNS1_3repE0EEENS1_38merge_mergepath_config_static_selectorELNS0_4arch9wavefront6targetE1EEEvSJ_.has_recursion, 0
	.set _ZN7rocprim17ROCPRIM_400000_NS6detail17trampoline_kernelINS0_14default_configENS1_38merge_sort_block_merge_config_selectorIiiEEZZNS1_27merge_sort_block_merge_implIS3_N6thrust23THRUST_200600_302600_NS6detail15normal_iteratorINS8_10device_ptrIiEEEESD_jNS1_19radix_merge_compareILb1ELb1EiNS0_19identity_decomposerEEEEE10hipError_tT0_T1_T2_jT3_P12ihipStream_tbPNSt15iterator_traitsISI_E10value_typeEPNSO_ISJ_E10value_typeEPSK_NS1_7vsmem_tEENKUlT_SI_SJ_SK_E_clISD_PiSD_S10_EESH_SX_SI_SJ_SK_EUlSX_E0_NS1_11comp_targetILNS1_3genE0ELNS1_11target_archE4294967295ELNS1_3gpuE0ELNS1_3repE0EEENS1_38merge_mergepath_config_static_selectorELNS0_4arch9wavefront6targetE1EEEvSJ_.has_indirect_call, 0
	.section	.AMDGPU.csdata,"",@progbits
; Kernel info:
; codeLenInByte = 2904
; TotalNumSgprs: 37
; NumVgprs: 21
; NumAgprs: 0
; TotalNumVgprs: 21
; ScratchSize: 0
; MemoryBound: 0
; FloatMode: 240
; IeeeMode: 1
; LDSByteSize: 4224 bytes/workgroup (compile time only)
; SGPRBlocks: 4
; VGPRBlocks: 2
; NumSGPRsForWavesPerEU: 37
; NumVGPRsForWavesPerEU: 21
; AccumOffset: 24
; Occupancy: 8
; WaveLimiterHint : 1
; COMPUTE_PGM_RSRC2:SCRATCH_EN: 0
; COMPUTE_PGM_RSRC2:USER_SGPR: 2
; COMPUTE_PGM_RSRC2:TRAP_HANDLER: 0
; COMPUTE_PGM_RSRC2:TGID_X_EN: 1
; COMPUTE_PGM_RSRC2:TGID_Y_EN: 1
; COMPUTE_PGM_RSRC2:TGID_Z_EN: 1
; COMPUTE_PGM_RSRC2:TIDIG_COMP_CNT: 0
; COMPUTE_PGM_RSRC3_GFX90A:ACCUM_OFFSET: 5
; COMPUTE_PGM_RSRC3_GFX90A:TG_SPLIT: 0
	.section	.text._ZN7rocprim17ROCPRIM_400000_NS6detail17trampoline_kernelINS0_14default_configENS1_38merge_sort_block_merge_config_selectorIiiEEZZNS1_27merge_sort_block_merge_implIS3_N6thrust23THRUST_200600_302600_NS6detail15normal_iteratorINS8_10device_ptrIiEEEESD_jNS1_19radix_merge_compareILb1ELb1EiNS0_19identity_decomposerEEEEE10hipError_tT0_T1_T2_jT3_P12ihipStream_tbPNSt15iterator_traitsISI_E10value_typeEPNSO_ISJ_E10value_typeEPSK_NS1_7vsmem_tEENKUlT_SI_SJ_SK_E_clISD_PiSD_S10_EESH_SX_SI_SJ_SK_EUlSX_E0_NS1_11comp_targetILNS1_3genE10ELNS1_11target_archE1201ELNS1_3gpuE5ELNS1_3repE0EEENS1_38merge_mergepath_config_static_selectorELNS0_4arch9wavefront6targetE1EEEvSJ_,"axG",@progbits,_ZN7rocprim17ROCPRIM_400000_NS6detail17trampoline_kernelINS0_14default_configENS1_38merge_sort_block_merge_config_selectorIiiEEZZNS1_27merge_sort_block_merge_implIS3_N6thrust23THRUST_200600_302600_NS6detail15normal_iteratorINS8_10device_ptrIiEEEESD_jNS1_19radix_merge_compareILb1ELb1EiNS0_19identity_decomposerEEEEE10hipError_tT0_T1_T2_jT3_P12ihipStream_tbPNSt15iterator_traitsISI_E10value_typeEPNSO_ISJ_E10value_typeEPSK_NS1_7vsmem_tEENKUlT_SI_SJ_SK_E_clISD_PiSD_S10_EESH_SX_SI_SJ_SK_EUlSX_E0_NS1_11comp_targetILNS1_3genE10ELNS1_11target_archE1201ELNS1_3gpuE5ELNS1_3repE0EEENS1_38merge_mergepath_config_static_selectorELNS0_4arch9wavefront6targetE1EEEvSJ_,comdat
	.protected	_ZN7rocprim17ROCPRIM_400000_NS6detail17trampoline_kernelINS0_14default_configENS1_38merge_sort_block_merge_config_selectorIiiEEZZNS1_27merge_sort_block_merge_implIS3_N6thrust23THRUST_200600_302600_NS6detail15normal_iteratorINS8_10device_ptrIiEEEESD_jNS1_19radix_merge_compareILb1ELb1EiNS0_19identity_decomposerEEEEE10hipError_tT0_T1_T2_jT3_P12ihipStream_tbPNSt15iterator_traitsISI_E10value_typeEPNSO_ISJ_E10value_typeEPSK_NS1_7vsmem_tEENKUlT_SI_SJ_SK_E_clISD_PiSD_S10_EESH_SX_SI_SJ_SK_EUlSX_E0_NS1_11comp_targetILNS1_3genE10ELNS1_11target_archE1201ELNS1_3gpuE5ELNS1_3repE0EEENS1_38merge_mergepath_config_static_selectorELNS0_4arch9wavefront6targetE1EEEvSJ_ ; -- Begin function _ZN7rocprim17ROCPRIM_400000_NS6detail17trampoline_kernelINS0_14default_configENS1_38merge_sort_block_merge_config_selectorIiiEEZZNS1_27merge_sort_block_merge_implIS3_N6thrust23THRUST_200600_302600_NS6detail15normal_iteratorINS8_10device_ptrIiEEEESD_jNS1_19radix_merge_compareILb1ELb1EiNS0_19identity_decomposerEEEEE10hipError_tT0_T1_T2_jT3_P12ihipStream_tbPNSt15iterator_traitsISI_E10value_typeEPNSO_ISJ_E10value_typeEPSK_NS1_7vsmem_tEENKUlT_SI_SJ_SK_E_clISD_PiSD_S10_EESH_SX_SI_SJ_SK_EUlSX_E0_NS1_11comp_targetILNS1_3genE10ELNS1_11target_archE1201ELNS1_3gpuE5ELNS1_3repE0EEENS1_38merge_mergepath_config_static_selectorELNS0_4arch9wavefront6targetE1EEEvSJ_
	.globl	_ZN7rocprim17ROCPRIM_400000_NS6detail17trampoline_kernelINS0_14default_configENS1_38merge_sort_block_merge_config_selectorIiiEEZZNS1_27merge_sort_block_merge_implIS3_N6thrust23THRUST_200600_302600_NS6detail15normal_iteratorINS8_10device_ptrIiEEEESD_jNS1_19radix_merge_compareILb1ELb1EiNS0_19identity_decomposerEEEEE10hipError_tT0_T1_T2_jT3_P12ihipStream_tbPNSt15iterator_traitsISI_E10value_typeEPNSO_ISJ_E10value_typeEPSK_NS1_7vsmem_tEENKUlT_SI_SJ_SK_E_clISD_PiSD_S10_EESH_SX_SI_SJ_SK_EUlSX_E0_NS1_11comp_targetILNS1_3genE10ELNS1_11target_archE1201ELNS1_3gpuE5ELNS1_3repE0EEENS1_38merge_mergepath_config_static_selectorELNS0_4arch9wavefront6targetE1EEEvSJ_
	.p2align	8
	.type	_ZN7rocprim17ROCPRIM_400000_NS6detail17trampoline_kernelINS0_14default_configENS1_38merge_sort_block_merge_config_selectorIiiEEZZNS1_27merge_sort_block_merge_implIS3_N6thrust23THRUST_200600_302600_NS6detail15normal_iteratorINS8_10device_ptrIiEEEESD_jNS1_19radix_merge_compareILb1ELb1EiNS0_19identity_decomposerEEEEE10hipError_tT0_T1_T2_jT3_P12ihipStream_tbPNSt15iterator_traitsISI_E10value_typeEPNSO_ISJ_E10value_typeEPSK_NS1_7vsmem_tEENKUlT_SI_SJ_SK_E_clISD_PiSD_S10_EESH_SX_SI_SJ_SK_EUlSX_E0_NS1_11comp_targetILNS1_3genE10ELNS1_11target_archE1201ELNS1_3gpuE5ELNS1_3repE0EEENS1_38merge_mergepath_config_static_selectorELNS0_4arch9wavefront6targetE1EEEvSJ_,@function
_ZN7rocprim17ROCPRIM_400000_NS6detail17trampoline_kernelINS0_14default_configENS1_38merge_sort_block_merge_config_selectorIiiEEZZNS1_27merge_sort_block_merge_implIS3_N6thrust23THRUST_200600_302600_NS6detail15normal_iteratorINS8_10device_ptrIiEEEESD_jNS1_19radix_merge_compareILb1ELb1EiNS0_19identity_decomposerEEEEE10hipError_tT0_T1_T2_jT3_P12ihipStream_tbPNSt15iterator_traitsISI_E10value_typeEPNSO_ISJ_E10value_typeEPSK_NS1_7vsmem_tEENKUlT_SI_SJ_SK_E_clISD_PiSD_S10_EESH_SX_SI_SJ_SK_EUlSX_E0_NS1_11comp_targetILNS1_3genE10ELNS1_11target_archE1201ELNS1_3gpuE5ELNS1_3repE0EEENS1_38merge_mergepath_config_static_selectorELNS0_4arch9wavefront6targetE1EEEvSJ_: ; @_ZN7rocprim17ROCPRIM_400000_NS6detail17trampoline_kernelINS0_14default_configENS1_38merge_sort_block_merge_config_selectorIiiEEZZNS1_27merge_sort_block_merge_implIS3_N6thrust23THRUST_200600_302600_NS6detail15normal_iteratorINS8_10device_ptrIiEEEESD_jNS1_19radix_merge_compareILb1ELb1EiNS0_19identity_decomposerEEEEE10hipError_tT0_T1_T2_jT3_P12ihipStream_tbPNSt15iterator_traitsISI_E10value_typeEPNSO_ISJ_E10value_typeEPSK_NS1_7vsmem_tEENKUlT_SI_SJ_SK_E_clISD_PiSD_S10_EESH_SX_SI_SJ_SK_EUlSX_E0_NS1_11comp_targetILNS1_3genE10ELNS1_11target_archE1201ELNS1_3gpuE5ELNS1_3repE0EEENS1_38merge_mergepath_config_static_selectorELNS0_4arch9wavefront6targetE1EEEvSJ_
; %bb.0:
	.section	.rodata,"a",@progbits
	.p2align	6, 0x0
	.amdhsa_kernel _ZN7rocprim17ROCPRIM_400000_NS6detail17trampoline_kernelINS0_14default_configENS1_38merge_sort_block_merge_config_selectorIiiEEZZNS1_27merge_sort_block_merge_implIS3_N6thrust23THRUST_200600_302600_NS6detail15normal_iteratorINS8_10device_ptrIiEEEESD_jNS1_19radix_merge_compareILb1ELb1EiNS0_19identity_decomposerEEEEE10hipError_tT0_T1_T2_jT3_P12ihipStream_tbPNSt15iterator_traitsISI_E10value_typeEPNSO_ISJ_E10value_typeEPSK_NS1_7vsmem_tEENKUlT_SI_SJ_SK_E_clISD_PiSD_S10_EESH_SX_SI_SJ_SK_EUlSX_E0_NS1_11comp_targetILNS1_3genE10ELNS1_11target_archE1201ELNS1_3gpuE5ELNS1_3repE0EEENS1_38merge_mergepath_config_static_selectorELNS0_4arch9wavefront6targetE1EEEvSJ_
		.amdhsa_group_segment_fixed_size 0
		.amdhsa_private_segment_fixed_size 0
		.amdhsa_kernarg_size 64
		.amdhsa_user_sgpr_count 2
		.amdhsa_user_sgpr_dispatch_ptr 0
		.amdhsa_user_sgpr_queue_ptr 0
		.amdhsa_user_sgpr_kernarg_segment_ptr 1
		.amdhsa_user_sgpr_dispatch_id 0
		.amdhsa_user_sgpr_kernarg_preload_length 0
		.amdhsa_user_sgpr_kernarg_preload_offset 0
		.amdhsa_user_sgpr_private_segment_size 0
		.amdhsa_uses_dynamic_stack 0
		.amdhsa_enable_private_segment 0
		.amdhsa_system_sgpr_workgroup_id_x 1
		.amdhsa_system_sgpr_workgroup_id_y 0
		.amdhsa_system_sgpr_workgroup_id_z 0
		.amdhsa_system_sgpr_workgroup_info 0
		.amdhsa_system_vgpr_workitem_id 0
		.amdhsa_next_free_vgpr 1
		.amdhsa_next_free_sgpr 0
		.amdhsa_accum_offset 4
		.amdhsa_reserve_vcc 0
		.amdhsa_float_round_mode_32 0
		.amdhsa_float_round_mode_16_64 0
		.amdhsa_float_denorm_mode_32 3
		.amdhsa_float_denorm_mode_16_64 3
		.amdhsa_dx10_clamp 1
		.amdhsa_ieee_mode 1
		.amdhsa_fp16_overflow 0
		.amdhsa_tg_split 0
		.amdhsa_exception_fp_ieee_invalid_op 0
		.amdhsa_exception_fp_denorm_src 0
		.amdhsa_exception_fp_ieee_div_zero 0
		.amdhsa_exception_fp_ieee_overflow 0
		.amdhsa_exception_fp_ieee_underflow 0
		.amdhsa_exception_fp_ieee_inexact 0
		.amdhsa_exception_int_div_zero 0
	.end_amdhsa_kernel
	.section	.text._ZN7rocprim17ROCPRIM_400000_NS6detail17trampoline_kernelINS0_14default_configENS1_38merge_sort_block_merge_config_selectorIiiEEZZNS1_27merge_sort_block_merge_implIS3_N6thrust23THRUST_200600_302600_NS6detail15normal_iteratorINS8_10device_ptrIiEEEESD_jNS1_19radix_merge_compareILb1ELb1EiNS0_19identity_decomposerEEEEE10hipError_tT0_T1_T2_jT3_P12ihipStream_tbPNSt15iterator_traitsISI_E10value_typeEPNSO_ISJ_E10value_typeEPSK_NS1_7vsmem_tEENKUlT_SI_SJ_SK_E_clISD_PiSD_S10_EESH_SX_SI_SJ_SK_EUlSX_E0_NS1_11comp_targetILNS1_3genE10ELNS1_11target_archE1201ELNS1_3gpuE5ELNS1_3repE0EEENS1_38merge_mergepath_config_static_selectorELNS0_4arch9wavefront6targetE1EEEvSJ_,"axG",@progbits,_ZN7rocprim17ROCPRIM_400000_NS6detail17trampoline_kernelINS0_14default_configENS1_38merge_sort_block_merge_config_selectorIiiEEZZNS1_27merge_sort_block_merge_implIS3_N6thrust23THRUST_200600_302600_NS6detail15normal_iteratorINS8_10device_ptrIiEEEESD_jNS1_19radix_merge_compareILb1ELb1EiNS0_19identity_decomposerEEEEE10hipError_tT0_T1_T2_jT3_P12ihipStream_tbPNSt15iterator_traitsISI_E10value_typeEPNSO_ISJ_E10value_typeEPSK_NS1_7vsmem_tEENKUlT_SI_SJ_SK_E_clISD_PiSD_S10_EESH_SX_SI_SJ_SK_EUlSX_E0_NS1_11comp_targetILNS1_3genE10ELNS1_11target_archE1201ELNS1_3gpuE5ELNS1_3repE0EEENS1_38merge_mergepath_config_static_selectorELNS0_4arch9wavefront6targetE1EEEvSJ_,comdat
.Lfunc_end1804:
	.size	_ZN7rocprim17ROCPRIM_400000_NS6detail17trampoline_kernelINS0_14default_configENS1_38merge_sort_block_merge_config_selectorIiiEEZZNS1_27merge_sort_block_merge_implIS3_N6thrust23THRUST_200600_302600_NS6detail15normal_iteratorINS8_10device_ptrIiEEEESD_jNS1_19radix_merge_compareILb1ELb1EiNS0_19identity_decomposerEEEEE10hipError_tT0_T1_T2_jT3_P12ihipStream_tbPNSt15iterator_traitsISI_E10value_typeEPNSO_ISJ_E10value_typeEPSK_NS1_7vsmem_tEENKUlT_SI_SJ_SK_E_clISD_PiSD_S10_EESH_SX_SI_SJ_SK_EUlSX_E0_NS1_11comp_targetILNS1_3genE10ELNS1_11target_archE1201ELNS1_3gpuE5ELNS1_3repE0EEENS1_38merge_mergepath_config_static_selectorELNS0_4arch9wavefront6targetE1EEEvSJ_, .Lfunc_end1804-_ZN7rocprim17ROCPRIM_400000_NS6detail17trampoline_kernelINS0_14default_configENS1_38merge_sort_block_merge_config_selectorIiiEEZZNS1_27merge_sort_block_merge_implIS3_N6thrust23THRUST_200600_302600_NS6detail15normal_iteratorINS8_10device_ptrIiEEEESD_jNS1_19radix_merge_compareILb1ELb1EiNS0_19identity_decomposerEEEEE10hipError_tT0_T1_T2_jT3_P12ihipStream_tbPNSt15iterator_traitsISI_E10value_typeEPNSO_ISJ_E10value_typeEPSK_NS1_7vsmem_tEENKUlT_SI_SJ_SK_E_clISD_PiSD_S10_EESH_SX_SI_SJ_SK_EUlSX_E0_NS1_11comp_targetILNS1_3genE10ELNS1_11target_archE1201ELNS1_3gpuE5ELNS1_3repE0EEENS1_38merge_mergepath_config_static_selectorELNS0_4arch9wavefront6targetE1EEEvSJ_
                                        ; -- End function
	.set _ZN7rocprim17ROCPRIM_400000_NS6detail17trampoline_kernelINS0_14default_configENS1_38merge_sort_block_merge_config_selectorIiiEEZZNS1_27merge_sort_block_merge_implIS3_N6thrust23THRUST_200600_302600_NS6detail15normal_iteratorINS8_10device_ptrIiEEEESD_jNS1_19radix_merge_compareILb1ELb1EiNS0_19identity_decomposerEEEEE10hipError_tT0_T1_T2_jT3_P12ihipStream_tbPNSt15iterator_traitsISI_E10value_typeEPNSO_ISJ_E10value_typeEPSK_NS1_7vsmem_tEENKUlT_SI_SJ_SK_E_clISD_PiSD_S10_EESH_SX_SI_SJ_SK_EUlSX_E0_NS1_11comp_targetILNS1_3genE10ELNS1_11target_archE1201ELNS1_3gpuE5ELNS1_3repE0EEENS1_38merge_mergepath_config_static_selectorELNS0_4arch9wavefront6targetE1EEEvSJ_.num_vgpr, 0
	.set _ZN7rocprim17ROCPRIM_400000_NS6detail17trampoline_kernelINS0_14default_configENS1_38merge_sort_block_merge_config_selectorIiiEEZZNS1_27merge_sort_block_merge_implIS3_N6thrust23THRUST_200600_302600_NS6detail15normal_iteratorINS8_10device_ptrIiEEEESD_jNS1_19radix_merge_compareILb1ELb1EiNS0_19identity_decomposerEEEEE10hipError_tT0_T1_T2_jT3_P12ihipStream_tbPNSt15iterator_traitsISI_E10value_typeEPNSO_ISJ_E10value_typeEPSK_NS1_7vsmem_tEENKUlT_SI_SJ_SK_E_clISD_PiSD_S10_EESH_SX_SI_SJ_SK_EUlSX_E0_NS1_11comp_targetILNS1_3genE10ELNS1_11target_archE1201ELNS1_3gpuE5ELNS1_3repE0EEENS1_38merge_mergepath_config_static_selectorELNS0_4arch9wavefront6targetE1EEEvSJ_.num_agpr, 0
	.set _ZN7rocprim17ROCPRIM_400000_NS6detail17trampoline_kernelINS0_14default_configENS1_38merge_sort_block_merge_config_selectorIiiEEZZNS1_27merge_sort_block_merge_implIS3_N6thrust23THRUST_200600_302600_NS6detail15normal_iteratorINS8_10device_ptrIiEEEESD_jNS1_19radix_merge_compareILb1ELb1EiNS0_19identity_decomposerEEEEE10hipError_tT0_T1_T2_jT3_P12ihipStream_tbPNSt15iterator_traitsISI_E10value_typeEPNSO_ISJ_E10value_typeEPSK_NS1_7vsmem_tEENKUlT_SI_SJ_SK_E_clISD_PiSD_S10_EESH_SX_SI_SJ_SK_EUlSX_E0_NS1_11comp_targetILNS1_3genE10ELNS1_11target_archE1201ELNS1_3gpuE5ELNS1_3repE0EEENS1_38merge_mergepath_config_static_selectorELNS0_4arch9wavefront6targetE1EEEvSJ_.numbered_sgpr, 0
	.set _ZN7rocprim17ROCPRIM_400000_NS6detail17trampoline_kernelINS0_14default_configENS1_38merge_sort_block_merge_config_selectorIiiEEZZNS1_27merge_sort_block_merge_implIS3_N6thrust23THRUST_200600_302600_NS6detail15normal_iteratorINS8_10device_ptrIiEEEESD_jNS1_19radix_merge_compareILb1ELb1EiNS0_19identity_decomposerEEEEE10hipError_tT0_T1_T2_jT3_P12ihipStream_tbPNSt15iterator_traitsISI_E10value_typeEPNSO_ISJ_E10value_typeEPSK_NS1_7vsmem_tEENKUlT_SI_SJ_SK_E_clISD_PiSD_S10_EESH_SX_SI_SJ_SK_EUlSX_E0_NS1_11comp_targetILNS1_3genE10ELNS1_11target_archE1201ELNS1_3gpuE5ELNS1_3repE0EEENS1_38merge_mergepath_config_static_selectorELNS0_4arch9wavefront6targetE1EEEvSJ_.num_named_barrier, 0
	.set _ZN7rocprim17ROCPRIM_400000_NS6detail17trampoline_kernelINS0_14default_configENS1_38merge_sort_block_merge_config_selectorIiiEEZZNS1_27merge_sort_block_merge_implIS3_N6thrust23THRUST_200600_302600_NS6detail15normal_iteratorINS8_10device_ptrIiEEEESD_jNS1_19radix_merge_compareILb1ELb1EiNS0_19identity_decomposerEEEEE10hipError_tT0_T1_T2_jT3_P12ihipStream_tbPNSt15iterator_traitsISI_E10value_typeEPNSO_ISJ_E10value_typeEPSK_NS1_7vsmem_tEENKUlT_SI_SJ_SK_E_clISD_PiSD_S10_EESH_SX_SI_SJ_SK_EUlSX_E0_NS1_11comp_targetILNS1_3genE10ELNS1_11target_archE1201ELNS1_3gpuE5ELNS1_3repE0EEENS1_38merge_mergepath_config_static_selectorELNS0_4arch9wavefront6targetE1EEEvSJ_.private_seg_size, 0
	.set _ZN7rocprim17ROCPRIM_400000_NS6detail17trampoline_kernelINS0_14default_configENS1_38merge_sort_block_merge_config_selectorIiiEEZZNS1_27merge_sort_block_merge_implIS3_N6thrust23THRUST_200600_302600_NS6detail15normal_iteratorINS8_10device_ptrIiEEEESD_jNS1_19radix_merge_compareILb1ELb1EiNS0_19identity_decomposerEEEEE10hipError_tT0_T1_T2_jT3_P12ihipStream_tbPNSt15iterator_traitsISI_E10value_typeEPNSO_ISJ_E10value_typeEPSK_NS1_7vsmem_tEENKUlT_SI_SJ_SK_E_clISD_PiSD_S10_EESH_SX_SI_SJ_SK_EUlSX_E0_NS1_11comp_targetILNS1_3genE10ELNS1_11target_archE1201ELNS1_3gpuE5ELNS1_3repE0EEENS1_38merge_mergepath_config_static_selectorELNS0_4arch9wavefront6targetE1EEEvSJ_.uses_vcc, 0
	.set _ZN7rocprim17ROCPRIM_400000_NS6detail17trampoline_kernelINS0_14default_configENS1_38merge_sort_block_merge_config_selectorIiiEEZZNS1_27merge_sort_block_merge_implIS3_N6thrust23THRUST_200600_302600_NS6detail15normal_iteratorINS8_10device_ptrIiEEEESD_jNS1_19radix_merge_compareILb1ELb1EiNS0_19identity_decomposerEEEEE10hipError_tT0_T1_T2_jT3_P12ihipStream_tbPNSt15iterator_traitsISI_E10value_typeEPNSO_ISJ_E10value_typeEPSK_NS1_7vsmem_tEENKUlT_SI_SJ_SK_E_clISD_PiSD_S10_EESH_SX_SI_SJ_SK_EUlSX_E0_NS1_11comp_targetILNS1_3genE10ELNS1_11target_archE1201ELNS1_3gpuE5ELNS1_3repE0EEENS1_38merge_mergepath_config_static_selectorELNS0_4arch9wavefront6targetE1EEEvSJ_.uses_flat_scratch, 0
	.set _ZN7rocprim17ROCPRIM_400000_NS6detail17trampoline_kernelINS0_14default_configENS1_38merge_sort_block_merge_config_selectorIiiEEZZNS1_27merge_sort_block_merge_implIS3_N6thrust23THRUST_200600_302600_NS6detail15normal_iteratorINS8_10device_ptrIiEEEESD_jNS1_19radix_merge_compareILb1ELb1EiNS0_19identity_decomposerEEEEE10hipError_tT0_T1_T2_jT3_P12ihipStream_tbPNSt15iterator_traitsISI_E10value_typeEPNSO_ISJ_E10value_typeEPSK_NS1_7vsmem_tEENKUlT_SI_SJ_SK_E_clISD_PiSD_S10_EESH_SX_SI_SJ_SK_EUlSX_E0_NS1_11comp_targetILNS1_3genE10ELNS1_11target_archE1201ELNS1_3gpuE5ELNS1_3repE0EEENS1_38merge_mergepath_config_static_selectorELNS0_4arch9wavefront6targetE1EEEvSJ_.has_dyn_sized_stack, 0
	.set _ZN7rocprim17ROCPRIM_400000_NS6detail17trampoline_kernelINS0_14default_configENS1_38merge_sort_block_merge_config_selectorIiiEEZZNS1_27merge_sort_block_merge_implIS3_N6thrust23THRUST_200600_302600_NS6detail15normal_iteratorINS8_10device_ptrIiEEEESD_jNS1_19radix_merge_compareILb1ELb1EiNS0_19identity_decomposerEEEEE10hipError_tT0_T1_T2_jT3_P12ihipStream_tbPNSt15iterator_traitsISI_E10value_typeEPNSO_ISJ_E10value_typeEPSK_NS1_7vsmem_tEENKUlT_SI_SJ_SK_E_clISD_PiSD_S10_EESH_SX_SI_SJ_SK_EUlSX_E0_NS1_11comp_targetILNS1_3genE10ELNS1_11target_archE1201ELNS1_3gpuE5ELNS1_3repE0EEENS1_38merge_mergepath_config_static_selectorELNS0_4arch9wavefront6targetE1EEEvSJ_.has_recursion, 0
	.set _ZN7rocprim17ROCPRIM_400000_NS6detail17trampoline_kernelINS0_14default_configENS1_38merge_sort_block_merge_config_selectorIiiEEZZNS1_27merge_sort_block_merge_implIS3_N6thrust23THRUST_200600_302600_NS6detail15normal_iteratorINS8_10device_ptrIiEEEESD_jNS1_19radix_merge_compareILb1ELb1EiNS0_19identity_decomposerEEEEE10hipError_tT0_T1_T2_jT3_P12ihipStream_tbPNSt15iterator_traitsISI_E10value_typeEPNSO_ISJ_E10value_typeEPSK_NS1_7vsmem_tEENKUlT_SI_SJ_SK_E_clISD_PiSD_S10_EESH_SX_SI_SJ_SK_EUlSX_E0_NS1_11comp_targetILNS1_3genE10ELNS1_11target_archE1201ELNS1_3gpuE5ELNS1_3repE0EEENS1_38merge_mergepath_config_static_selectorELNS0_4arch9wavefront6targetE1EEEvSJ_.has_indirect_call, 0
	.section	.AMDGPU.csdata,"",@progbits
; Kernel info:
; codeLenInByte = 0
; TotalNumSgprs: 6
; NumVgprs: 0
; NumAgprs: 0
; TotalNumVgprs: 0
; ScratchSize: 0
; MemoryBound: 0
; FloatMode: 240
; IeeeMode: 1
; LDSByteSize: 0 bytes/workgroup (compile time only)
; SGPRBlocks: 0
; VGPRBlocks: 0
; NumSGPRsForWavesPerEU: 6
; NumVGPRsForWavesPerEU: 1
; AccumOffset: 4
; Occupancy: 8
; WaveLimiterHint : 0
; COMPUTE_PGM_RSRC2:SCRATCH_EN: 0
; COMPUTE_PGM_RSRC2:USER_SGPR: 2
; COMPUTE_PGM_RSRC2:TRAP_HANDLER: 0
; COMPUTE_PGM_RSRC2:TGID_X_EN: 1
; COMPUTE_PGM_RSRC2:TGID_Y_EN: 0
; COMPUTE_PGM_RSRC2:TGID_Z_EN: 0
; COMPUTE_PGM_RSRC2:TIDIG_COMP_CNT: 0
; COMPUTE_PGM_RSRC3_GFX90A:ACCUM_OFFSET: 0
; COMPUTE_PGM_RSRC3_GFX90A:TG_SPLIT: 0
	.section	.text._ZN7rocprim17ROCPRIM_400000_NS6detail17trampoline_kernelINS0_14default_configENS1_38merge_sort_block_merge_config_selectorIiiEEZZNS1_27merge_sort_block_merge_implIS3_N6thrust23THRUST_200600_302600_NS6detail15normal_iteratorINS8_10device_ptrIiEEEESD_jNS1_19radix_merge_compareILb1ELb1EiNS0_19identity_decomposerEEEEE10hipError_tT0_T1_T2_jT3_P12ihipStream_tbPNSt15iterator_traitsISI_E10value_typeEPNSO_ISJ_E10value_typeEPSK_NS1_7vsmem_tEENKUlT_SI_SJ_SK_E_clISD_PiSD_S10_EESH_SX_SI_SJ_SK_EUlSX_E0_NS1_11comp_targetILNS1_3genE5ELNS1_11target_archE942ELNS1_3gpuE9ELNS1_3repE0EEENS1_38merge_mergepath_config_static_selectorELNS0_4arch9wavefront6targetE1EEEvSJ_,"axG",@progbits,_ZN7rocprim17ROCPRIM_400000_NS6detail17trampoline_kernelINS0_14default_configENS1_38merge_sort_block_merge_config_selectorIiiEEZZNS1_27merge_sort_block_merge_implIS3_N6thrust23THRUST_200600_302600_NS6detail15normal_iteratorINS8_10device_ptrIiEEEESD_jNS1_19radix_merge_compareILb1ELb1EiNS0_19identity_decomposerEEEEE10hipError_tT0_T1_T2_jT3_P12ihipStream_tbPNSt15iterator_traitsISI_E10value_typeEPNSO_ISJ_E10value_typeEPSK_NS1_7vsmem_tEENKUlT_SI_SJ_SK_E_clISD_PiSD_S10_EESH_SX_SI_SJ_SK_EUlSX_E0_NS1_11comp_targetILNS1_3genE5ELNS1_11target_archE942ELNS1_3gpuE9ELNS1_3repE0EEENS1_38merge_mergepath_config_static_selectorELNS0_4arch9wavefront6targetE1EEEvSJ_,comdat
	.protected	_ZN7rocprim17ROCPRIM_400000_NS6detail17trampoline_kernelINS0_14default_configENS1_38merge_sort_block_merge_config_selectorIiiEEZZNS1_27merge_sort_block_merge_implIS3_N6thrust23THRUST_200600_302600_NS6detail15normal_iteratorINS8_10device_ptrIiEEEESD_jNS1_19radix_merge_compareILb1ELb1EiNS0_19identity_decomposerEEEEE10hipError_tT0_T1_T2_jT3_P12ihipStream_tbPNSt15iterator_traitsISI_E10value_typeEPNSO_ISJ_E10value_typeEPSK_NS1_7vsmem_tEENKUlT_SI_SJ_SK_E_clISD_PiSD_S10_EESH_SX_SI_SJ_SK_EUlSX_E0_NS1_11comp_targetILNS1_3genE5ELNS1_11target_archE942ELNS1_3gpuE9ELNS1_3repE0EEENS1_38merge_mergepath_config_static_selectorELNS0_4arch9wavefront6targetE1EEEvSJ_ ; -- Begin function _ZN7rocprim17ROCPRIM_400000_NS6detail17trampoline_kernelINS0_14default_configENS1_38merge_sort_block_merge_config_selectorIiiEEZZNS1_27merge_sort_block_merge_implIS3_N6thrust23THRUST_200600_302600_NS6detail15normal_iteratorINS8_10device_ptrIiEEEESD_jNS1_19radix_merge_compareILb1ELb1EiNS0_19identity_decomposerEEEEE10hipError_tT0_T1_T2_jT3_P12ihipStream_tbPNSt15iterator_traitsISI_E10value_typeEPNSO_ISJ_E10value_typeEPSK_NS1_7vsmem_tEENKUlT_SI_SJ_SK_E_clISD_PiSD_S10_EESH_SX_SI_SJ_SK_EUlSX_E0_NS1_11comp_targetILNS1_3genE5ELNS1_11target_archE942ELNS1_3gpuE9ELNS1_3repE0EEENS1_38merge_mergepath_config_static_selectorELNS0_4arch9wavefront6targetE1EEEvSJ_
	.globl	_ZN7rocprim17ROCPRIM_400000_NS6detail17trampoline_kernelINS0_14default_configENS1_38merge_sort_block_merge_config_selectorIiiEEZZNS1_27merge_sort_block_merge_implIS3_N6thrust23THRUST_200600_302600_NS6detail15normal_iteratorINS8_10device_ptrIiEEEESD_jNS1_19radix_merge_compareILb1ELb1EiNS0_19identity_decomposerEEEEE10hipError_tT0_T1_T2_jT3_P12ihipStream_tbPNSt15iterator_traitsISI_E10value_typeEPNSO_ISJ_E10value_typeEPSK_NS1_7vsmem_tEENKUlT_SI_SJ_SK_E_clISD_PiSD_S10_EESH_SX_SI_SJ_SK_EUlSX_E0_NS1_11comp_targetILNS1_3genE5ELNS1_11target_archE942ELNS1_3gpuE9ELNS1_3repE0EEENS1_38merge_mergepath_config_static_selectorELNS0_4arch9wavefront6targetE1EEEvSJ_
	.p2align	8
	.type	_ZN7rocprim17ROCPRIM_400000_NS6detail17trampoline_kernelINS0_14default_configENS1_38merge_sort_block_merge_config_selectorIiiEEZZNS1_27merge_sort_block_merge_implIS3_N6thrust23THRUST_200600_302600_NS6detail15normal_iteratorINS8_10device_ptrIiEEEESD_jNS1_19radix_merge_compareILb1ELb1EiNS0_19identity_decomposerEEEEE10hipError_tT0_T1_T2_jT3_P12ihipStream_tbPNSt15iterator_traitsISI_E10value_typeEPNSO_ISJ_E10value_typeEPSK_NS1_7vsmem_tEENKUlT_SI_SJ_SK_E_clISD_PiSD_S10_EESH_SX_SI_SJ_SK_EUlSX_E0_NS1_11comp_targetILNS1_3genE5ELNS1_11target_archE942ELNS1_3gpuE9ELNS1_3repE0EEENS1_38merge_mergepath_config_static_selectorELNS0_4arch9wavefront6targetE1EEEvSJ_,@function
_ZN7rocprim17ROCPRIM_400000_NS6detail17trampoline_kernelINS0_14default_configENS1_38merge_sort_block_merge_config_selectorIiiEEZZNS1_27merge_sort_block_merge_implIS3_N6thrust23THRUST_200600_302600_NS6detail15normal_iteratorINS8_10device_ptrIiEEEESD_jNS1_19radix_merge_compareILb1ELb1EiNS0_19identity_decomposerEEEEE10hipError_tT0_T1_T2_jT3_P12ihipStream_tbPNSt15iterator_traitsISI_E10value_typeEPNSO_ISJ_E10value_typeEPSK_NS1_7vsmem_tEENKUlT_SI_SJ_SK_E_clISD_PiSD_S10_EESH_SX_SI_SJ_SK_EUlSX_E0_NS1_11comp_targetILNS1_3genE5ELNS1_11target_archE942ELNS1_3gpuE9ELNS1_3repE0EEENS1_38merge_mergepath_config_static_selectorELNS0_4arch9wavefront6targetE1EEEvSJ_: ; @_ZN7rocprim17ROCPRIM_400000_NS6detail17trampoline_kernelINS0_14default_configENS1_38merge_sort_block_merge_config_selectorIiiEEZZNS1_27merge_sort_block_merge_implIS3_N6thrust23THRUST_200600_302600_NS6detail15normal_iteratorINS8_10device_ptrIiEEEESD_jNS1_19radix_merge_compareILb1ELb1EiNS0_19identity_decomposerEEEEE10hipError_tT0_T1_T2_jT3_P12ihipStream_tbPNSt15iterator_traitsISI_E10value_typeEPNSO_ISJ_E10value_typeEPSK_NS1_7vsmem_tEENKUlT_SI_SJ_SK_E_clISD_PiSD_S10_EESH_SX_SI_SJ_SK_EUlSX_E0_NS1_11comp_targetILNS1_3genE5ELNS1_11target_archE942ELNS1_3gpuE9ELNS1_3repE0EEENS1_38merge_mergepath_config_static_selectorELNS0_4arch9wavefront6targetE1EEEvSJ_
; %bb.0:
	.section	.rodata,"a",@progbits
	.p2align	6, 0x0
	.amdhsa_kernel _ZN7rocprim17ROCPRIM_400000_NS6detail17trampoline_kernelINS0_14default_configENS1_38merge_sort_block_merge_config_selectorIiiEEZZNS1_27merge_sort_block_merge_implIS3_N6thrust23THRUST_200600_302600_NS6detail15normal_iteratorINS8_10device_ptrIiEEEESD_jNS1_19radix_merge_compareILb1ELb1EiNS0_19identity_decomposerEEEEE10hipError_tT0_T1_T2_jT3_P12ihipStream_tbPNSt15iterator_traitsISI_E10value_typeEPNSO_ISJ_E10value_typeEPSK_NS1_7vsmem_tEENKUlT_SI_SJ_SK_E_clISD_PiSD_S10_EESH_SX_SI_SJ_SK_EUlSX_E0_NS1_11comp_targetILNS1_3genE5ELNS1_11target_archE942ELNS1_3gpuE9ELNS1_3repE0EEENS1_38merge_mergepath_config_static_selectorELNS0_4arch9wavefront6targetE1EEEvSJ_
		.amdhsa_group_segment_fixed_size 0
		.amdhsa_private_segment_fixed_size 0
		.amdhsa_kernarg_size 64
		.amdhsa_user_sgpr_count 2
		.amdhsa_user_sgpr_dispatch_ptr 0
		.amdhsa_user_sgpr_queue_ptr 0
		.amdhsa_user_sgpr_kernarg_segment_ptr 1
		.amdhsa_user_sgpr_dispatch_id 0
		.amdhsa_user_sgpr_kernarg_preload_length 0
		.amdhsa_user_sgpr_kernarg_preload_offset 0
		.amdhsa_user_sgpr_private_segment_size 0
		.amdhsa_uses_dynamic_stack 0
		.amdhsa_enable_private_segment 0
		.amdhsa_system_sgpr_workgroup_id_x 1
		.amdhsa_system_sgpr_workgroup_id_y 0
		.amdhsa_system_sgpr_workgroup_id_z 0
		.amdhsa_system_sgpr_workgroup_info 0
		.amdhsa_system_vgpr_workitem_id 0
		.amdhsa_next_free_vgpr 1
		.amdhsa_next_free_sgpr 0
		.amdhsa_accum_offset 4
		.amdhsa_reserve_vcc 0
		.amdhsa_float_round_mode_32 0
		.amdhsa_float_round_mode_16_64 0
		.amdhsa_float_denorm_mode_32 3
		.amdhsa_float_denorm_mode_16_64 3
		.amdhsa_dx10_clamp 1
		.amdhsa_ieee_mode 1
		.amdhsa_fp16_overflow 0
		.amdhsa_tg_split 0
		.amdhsa_exception_fp_ieee_invalid_op 0
		.amdhsa_exception_fp_denorm_src 0
		.amdhsa_exception_fp_ieee_div_zero 0
		.amdhsa_exception_fp_ieee_overflow 0
		.amdhsa_exception_fp_ieee_underflow 0
		.amdhsa_exception_fp_ieee_inexact 0
		.amdhsa_exception_int_div_zero 0
	.end_amdhsa_kernel
	.section	.text._ZN7rocprim17ROCPRIM_400000_NS6detail17trampoline_kernelINS0_14default_configENS1_38merge_sort_block_merge_config_selectorIiiEEZZNS1_27merge_sort_block_merge_implIS3_N6thrust23THRUST_200600_302600_NS6detail15normal_iteratorINS8_10device_ptrIiEEEESD_jNS1_19radix_merge_compareILb1ELb1EiNS0_19identity_decomposerEEEEE10hipError_tT0_T1_T2_jT3_P12ihipStream_tbPNSt15iterator_traitsISI_E10value_typeEPNSO_ISJ_E10value_typeEPSK_NS1_7vsmem_tEENKUlT_SI_SJ_SK_E_clISD_PiSD_S10_EESH_SX_SI_SJ_SK_EUlSX_E0_NS1_11comp_targetILNS1_3genE5ELNS1_11target_archE942ELNS1_3gpuE9ELNS1_3repE0EEENS1_38merge_mergepath_config_static_selectorELNS0_4arch9wavefront6targetE1EEEvSJ_,"axG",@progbits,_ZN7rocprim17ROCPRIM_400000_NS6detail17trampoline_kernelINS0_14default_configENS1_38merge_sort_block_merge_config_selectorIiiEEZZNS1_27merge_sort_block_merge_implIS3_N6thrust23THRUST_200600_302600_NS6detail15normal_iteratorINS8_10device_ptrIiEEEESD_jNS1_19radix_merge_compareILb1ELb1EiNS0_19identity_decomposerEEEEE10hipError_tT0_T1_T2_jT3_P12ihipStream_tbPNSt15iterator_traitsISI_E10value_typeEPNSO_ISJ_E10value_typeEPSK_NS1_7vsmem_tEENKUlT_SI_SJ_SK_E_clISD_PiSD_S10_EESH_SX_SI_SJ_SK_EUlSX_E0_NS1_11comp_targetILNS1_3genE5ELNS1_11target_archE942ELNS1_3gpuE9ELNS1_3repE0EEENS1_38merge_mergepath_config_static_selectorELNS0_4arch9wavefront6targetE1EEEvSJ_,comdat
.Lfunc_end1805:
	.size	_ZN7rocprim17ROCPRIM_400000_NS6detail17trampoline_kernelINS0_14default_configENS1_38merge_sort_block_merge_config_selectorIiiEEZZNS1_27merge_sort_block_merge_implIS3_N6thrust23THRUST_200600_302600_NS6detail15normal_iteratorINS8_10device_ptrIiEEEESD_jNS1_19radix_merge_compareILb1ELb1EiNS0_19identity_decomposerEEEEE10hipError_tT0_T1_T2_jT3_P12ihipStream_tbPNSt15iterator_traitsISI_E10value_typeEPNSO_ISJ_E10value_typeEPSK_NS1_7vsmem_tEENKUlT_SI_SJ_SK_E_clISD_PiSD_S10_EESH_SX_SI_SJ_SK_EUlSX_E0_NS1_11comp_targetILNS1_3genE5ELNS1_11target_archE942ELNS1_3gpuE9ELNS1_3repE0EEENS1_38merge_mergepath_config_static_selectorELNS0_4arch9wavefront6targetE1EEEvSJ_, .Lfunc_end1805-_ZN7rocprim17ROCPRIM_400000_NS6detail17trampoline_kernelINS0_14default_configENS1_38merge_sort_block_merge_config_selectorIiiEEZZNS1_27merge_sort_block_merge_implIS3_N6thrust23THRUST_200600_302600_NS6detail15normal_iteratorINS8_10device_ptrIiEEEESD_jNS1_19radix_merge_compareILb1ELb1EiNS0_19identity_decomposerEEEEE10hipError_tT0_T1_T2_jT3_P12ihipStream_tbPNSt15iterator_traitsISI_E10value_typeEPNSO_ISJ_E10value_typeEPSK_NS1_7vsmem_tEENKUlT_SI_SJ_SK_E_clISD_PiSD_S10_EESH_SX_SI_SJ_SK_EUlSX_E0_NS1_11comp_targetILNS1_3genE5ELNS1_11target_archE942ELNS1_3gpuE9ELNS1_3repE0EEENS1_38merge_mergepath_config_static_selectorELNS0_4arch9wavefront6targetE1EEEvSJ_
                                        ; -- End function
	.set _ZN7rocprim17ROCPRIM_400000_NS6detail17trampoline_kernelINS0_14default_configENS1_38merge_sort_block_merge_config_selectorIiiEEZZNS1_27merge_sort_block_merge_implIS3_N6thrust23THRUST_200600_302600_NS6detail15normal_iteratorINS8_10device_ptrIiEEEESD_jNS1_19radix_merge_compareILb1ELb1EiNS0_19identity_decomposerEEEEE10hipError_tT0_T1_T2_jT3_P12ihipStream_tbPNSt15iterator_traitsISI_E10value_typeEPNSO_ISJ_E10value_typeEPSK_NS1_7vsmem_tEENKUlT_SI_SJ_SK_E_clISD_PiSD_S10_EESH_SX_SI_SJ_SK_EUlSX_E0_NS1_11comp_targetILNS1_3genE5ELNS1_11target_archE942ELNS1_3gpuE9ELNS1_3repE0EEENS1_38merge_mergepath_config_static_selectorELNS0_4arch9wavefront6targetE1EEEvSJ_.num_vgpr, 0
	.set _ZN7rocprim17ROCPRIM_400000_NS6detail17trampoline_kernelINS0_14default_configENS1_38merge_sort_block_merge_config_selectorIiiEEZZNS1_27merge_sort_block_merge_implIS3_N6thrust23THRUST_200600_302600_NS6detail15normal_iteratorINS8_10device_ptrIiEEEESD_jNS1_19radix_merge_compareILb1ELb1EiNS0_19identity_decomposerEEEEE10hipError_tT0_T1_T2_jT3_P12ihipStream_tbPNSt15iterator_traitsISI_E10value_typeEPNSO_ISJ_E10value_typeEPSK_NS1_7vsmem_tEENKUlT_SI_SJ_SK_E_clISD_PiSD_S10_EESH_SX_SI_SJ_SK_EUlSX_E0_NS1_11comp_targetILNS1_3genE5ELNS1_11target_archE942ELNS1_3gpuE9ELNS1_3repE0EEENS1_38merge_mergepath_config_static_selectorELNS0_4arch9wavefront6targetE1EEEvSJ_.num_agpr, 0
	.set _ZN7rocprim17ROCPRIM_400000_NS6detail17trampoline_kernelINS0_14default_configENS1_38merge_sort_block_merge_config_selectorIiiEEZZNS1_27merge_sort_block_merge_implIS3_N6thrust23THRUST_200600_302600_NS6detail15normal_iteratorINS8_10device_ptrIiEEEESD_jNS1_19radix_merge_compareILb1ELb1EiNS0_19identity_decomposerEEEEE10hipError_tT0_T1_T2_jT3_P12ihipStream_tbPNSt15iterator_traitsISI_E10value_typeEPNSO_ISJ_E10value_typeEPSK_NS1_7vsmem_tEENKUlT_SI_SJ_SK_E_clISD_PiSD_S10_EESH_SX_SI_SJ_SK_EUlSX_E0_NS1_11comp_targetILNS1_3genE5ELNS1_11target_archE942ELNS1_3gpuE9ELNS1_3repE0EEENS1_38merge_mergepath_config_static_selectorELNS0_4arch9wavefront6targetE1EEEvSJ_.numbered_sgpr, 0
	.set _ZN7rocprim17ROCPRIM_400000_NS6detail17trampoline_kernelINS0_14default_configENS1_38merge_sort_block_merge_config_selectorIiiEEZZNS1_27merge_sort_block_merge_implIS3_N6thrust23THRUST_200600_302600_NS6detail15normal_iteratorINS8_10device_ptrIiEEEESD_jNS1_19radix_merge_compareILb1ELb1EiNS0_19identity_decomposerEEEEE10hipError_tT0_T1_T2_jT3_P12ihipStream_tbPNSt15iterator_traitsISI_E10value_typeEPNSO_ISJ_E10value_typeEPSK_NS1_7vsmem_tEENKUlT_SI_SJ_SK_E_clISD_PiSD_S10_EESH_SX_SI_SJ_SK_EUlSX_E0_NS1_11comp_targetILNS1_3genE5ELNS1_11target_archE942ELNS1_3gpuE9ELNS1_3repE0EEENS1_38merge_mergepath_config_static_selectorELNS0_4arch9wavefront6targetE1EEEvSJ_.num_named_barrier, 0
	.set _ZN7rocprim17ROCPRIM_400000_NS6detail17trampoline_kernelINS0_14default_configENS1_38merge_sort_block_merge_config_selectorIiiEEZZNS1_27merge_sort_block_merge_implIS3_N6thrust23THRUST_200600_302600_NS6detail15normal_iteratorINS8_10device_ptrIiEEEESD_jNS1_19radix_merge_compareILb1ELb1EiNS0_19identity_decomposerEEEEE10hipError_tT0_T1_T2_jT3_P12ihipStream_tbPNSt15iterator_traitsISI_E10value_typeEPNSO_ISJ_E10value_typeEPSK_NS1_7vsmem_tEENKUlT_SI_SJ_SK_E_clISD_PiSD_S10_EESH_SX_SI_SJ_SK_EUlSX_E0_NS1_11comp_targetILNS1_3genE5ELNS1_11target_archE942ELNS1_3gpuE9ELNS1_3repE0EEENS1_38merge_mergepath_config_static_selectorELNS0_4arch9wavefront6targetE1EEEvSJ_.private_seg_size, 0
	.set _ZN7rocprim17ROCPRIM_400000_NS6detail17trampoline_kernelINS0_14default_configENS1_38merge_sort_block_merge_config_selectorIiiEEZZNS1_27merge_sort_block_merge_implIS3_N6thrust23THRUST_200600_302600_NS6detail15normal_iteratorINS8_10device_ptrIiEEEESD_jNS1_19radix_merge_compareILb1ELb1EiNS0_19identity_decomposerEEEEE10hipError_tT0_T1_T2_jT3_P12ihipStream_tbPNSt15iterator_traitsISI_E10value_typeEPNSO_ISJ_E10value_typeEPSK_NS1_7vsmem_tEENKUlT_SI_SJ_SK_E_clISD_PiSD_S10_EESH_SX_SI_SJ_SK_EUlSX_E0_NS1_11comp_targetILNS1_3genE5ELNS1_11target_archE942ELNS1_3gpuE9ELNS1_3repE0EEENS1_38merge_mergepath_config_static_selectorELNS0_4arch9wavefront6targetE1EEEvSJ_.uses_vcc, 0
	.set _ZN7rocprim17ROCPRIM_400000_NS6detail17trampoline_kernelINS0_14default_configENS1_38merge_sort_block_merge_config_selectorIiiEEZZNS1_27merge_sort_block_merge_implIS3_N6thrust23THRUST_200600_302600_NS6detail15normal_iteratorINS8_10device_ptrIiEEEESD_jNS1_19radix_merge_compareILb1ELb1EiNS0_19identity_decomposerEEEEE10hipError_tT0_T1_T2_jT3_P12ihipStream_tbPNSt15iterator_traitsISI_E10value_typeEPNSO_ISJ_E10value_typeEPSK_NS1_7vsmem_tEENKUlT_SI_SJ_SK_E_clISD_PiSD_S10_EESH_SX_SI_SJ_SK_EUlSX_E0_NS1_11comp_targetILNS1_3genE5ELNS1_11target_archE942ELNS1_3gpuE9ELNS1_3repE0EEENS1_38merge_mergepath_config_static_selectorELNS0_4arch9wavefront6targetE1EEEvSJ_.uses_flat_scratch, 0
	.set _ZN7rocprim17ROCPRIM_400000_NS6detail17trampoline_kernelINS0_14default_configENS1_38merge_sort_block_merge_config_selectorIiiEEZZNS1_27merge_sort_block_merge_implIS3_N6thrust23THRUST_200600_302600_NS6detail15normal_iteratorINS8_10device_ptrIiEEEESD_jNS1_19radix_merge_compareILb1ELb1EiNS0_19identity_decomposerEEEEE10hipError_tT0_T1_T2_jT3_P12ihipStream_tbPNSt15iterator_traitsISI_E10value_typeEPNSO_ISJ_E10value_typeEPSK_NS1_7vsmem_tEENKUlT_SI_SJ_SK_E_clISD_PiSD_S10_EESH_SX_SI_SJ_SK_EUlSX_E0_NS1_11comp_targetILNS1_3genE5ELNS1_11target_archE942ELNS1_3gpuE9ELNS1_3repE0EEENS1_38merge_mergepath_config_static_selectorELNS0_4arch9wavefront6targetE1EEEvSJ_.has_dyn_sized_stack, 0
	.set _ZN7rocprim17ROCPRIM_400000_NS6detail17trampoline_kernelINS0_14default_configENS1_38merge_sort_block_merge_config_selectorIiiEEZZNS1_27merge_sort_block_merge_implIS3_N6thrust23THRUST_200600_302600_NS6detail15normal_iteratorINS8_10device_ptrIiEEEESD_jNS1_19radix_merge_compareILb1ELb1EiNS0_19identity_decomposerEEEEE10hipError_tT0_T1_T2_jT3_P12ihipStream_tbPNSt15iterator_traitsISI_E10value_typeEPNSO_ISJ_E10value_typeEPSK_NS1_7vsmem_tEENKUlT_SI_SJ_SK_E_clISD_PiSD_S10_EESH_SX_SI_SJ_SK_EUlSX_E0_NS1_11comp_targetILNS1_3genE5ELNS1_11target_archE942ELNS1_3gpuE9ELNS1_3repE0EEENS1_38merge_mergepath_config_static_selectorELNS0_4arch9wavefront6targetE1EEEvSJ_.has_recursion, 0
	.set _ZN7rocprim17ROCPRIM_400000_NS6detail17trampoline_kernelINS0_14default_configENS1_38merge_sort_block_merge_config_selectorIiiEEZZNS1_27merge_sort_block_merge_implIS3_N6thrust23THRUST_200600_302600_NS6detail15normal_iteratorINS8_10device_ptrIiEEEESD_jNS1_19radix_merge_compareILb1ELb1EiNS0_19identity_decomposerEEEEE10hipError_tT0_T1_T2_jT3_P12ihipStream_tbPNSt15iterator_traitsISI_E10value_typeEPNSO_ISJ_E10value_typeEPSK_NS1_7vsmem_tEENKUlT_SI_SJ_SK_E_clISD_PiSD_S10_EESH_SX_SI_SJ_SK_EUlSX_E0_NS1_11comp_targetILNS1_3genE5ELNS1_11target_archE942ELNS1_3gpuE9ELNS1_3repE0EEENS1_38merge_mergepath_config_static_selectorELNS0_4arch9wavefront6targetE1EEEvSJ_.has_indirect_call, 0
	.section	.AMDGPU.csdata,"",@progbits
; Kernel info:
; codeLenInByte = 0
; TotalNumSgprs: 6
; NumVgprs: 0
; NumAgprs: 0
; TotalNumVgprs: 0
; ScratchSize: 0
; MemoryBound: 0
; FloatMode: 240
; IeeeMode: 1
; LDSByteSize: 0 bytes/workgroup (compile time only)
; SGPRBlocks: 0
; VGPRBlocks: 0
; NumSGPRsForWavesPerEU: 6
; NumVGPRsForWavesPerEU: 1
; AccumOffset: 4
; Occupancy: 8
; WaveLimiterHint : 0
; COMPUTE_PGM_RSRC2:SCRATCH_EN: 0
; COMPUTE_PGM_RSRC2:USER_SGPR: 2
; COMPUTE_PGM_RSRC2:TRAP_HANDLER: 0
; COMPUTE_PGM_RSRC2:TGID_X_EN: 1
; COMPUTE_PGM_RSRC2:TGID_Y_EN: 0
; COMPUTE_PGM_RSRC2:TGID_Z_EN: 0
; COMPUTE_PGM_RSRC2:TIDIG_COMP_CNT: 0
; COMPUTE_PGM_RSRC3_GFX90A:ACCUM_OFFSET: 0
; COMPUTE_PGM_RSRC3_GFX90A:TG_SPLIT: 0
	.section	.text._ZN7rocprim17ROCPRIM_400000_NS6detail17trampoline_kernelINS0_14default_configENS1_38merge_sort_block_merge_config_selectorIiiEEZZNS1_27merge_sort_block_merge_implIS3_N6thrust23THRUST_200600_302600_NS6detail15normal_iteratorINS8_10device_ptrIiEEEESD_jNS1_19radix_merge_compareILb1ELb1EiNS0_19identity_decomposerEEEEE10hipError_tT0_T1_T2_jT3_P12ihipStream_tbPNSt15iterator_traitsISI_E10value_typeEPNSO_ISJ_E10value_typeEPSK_NS1_7vsmem_tEENKUlT_SI_SJ_SK_E_clISD_PiSD_S10_EESH_SX_SI_SJ_SK_EUlSX_E0_NS1_11comp_targetILNS1_3genE4ELNS1_11target_archE910ELNS1_3gpuE8ELNS1_3repE0EEENS1_38merge_mergepath_config_static_selectorELNS0_4arch9wavefront6targetE1EEEvSJ_,"axG",@progbits,_ZN7rocprim17ROCPRIM_400000_NS6detail17trampoline_kernelINS0_14default_configENS1_38merge_sort_block_merge_config_selectorIiiEEZZNS1_27merge_sort_block_merge_implIS3_N6thrust23THRUST_200600_302600_NS6detail15normal_iteratorINS8_10device_ptrIiEEEESD_jNS1_19radix_merge_compareILb1ELb1EiNS0_19identity_decomposerEEEEE10hipError_tT0_T1_T2_jT3_P12ihipStream_tbPNSt15iterator_traitsISI_E10value_typeEPNSO_ISJ_E10value_typeEPSK_NS1_7vsmem_tEENKUlT_SI_SJ_SK_E_clISD_PiSD_S10_EESH_SX_SI_SJ_SK_EUlSX_E0_NS1_11comp_targetILNS1_3genE4ELNS1_11target_archE910ELNS1_3gpuE8ELNS1_3repE0EEENS1_38merge_mergepath_config_static_selectorELNS0_4arch9wavefront6targetE1EEEvSJ_,comdat
	.protected	_ZN7rocprim17ROCPRIM_400000_NS6detail17trampoline_kernelINS0_14default_configENS1_38merge_sort_block_merge_config_selectorIiiEEZZNS1_27merge_sort_block_merge_implIS3_N6thrust23THRUST_200600_302600_NS6detail15normal_iteratorINS8_10device_ptrIiEEEESD_jNS1_19radix_merge_compareILb1ELb1EiNS0_19identity_decomposerEEEEE10hipError_tT0_T1_T2_jT3_P12ihipStream_tbPNSt15iterator_traitsISI_E10value_typeEPNSO_ISJ_E10value_typeEPSK_NS1_7vsmem_tEENKUlT_SI_SJ_SK_E_clISD_PiSD_S10_EESH_SX_SI_SJ_SK_EUlSX_E0_NS1_11comp_targetILNS1_3genE4ELNS1_11target_archE910ELNS1_3gpuE8ELNS1_3repE0EEENS1_38merge_mergepath_config_static_selectorELNS0_4arch9wavefront6targetE1EEEvSJ_ ; -- Begin function _ZN7rocprim17ROCPRIM_400000_NS6detail17trampoline_kernelINS0_14default_configENS1_38merge_sort_block_merge_config_selectorIiiEEZZNS1_27merge_sort_block_merge_implIS3_N6thrust23THRUST_200600_302600_NS6detail15normal_iteratorINS8_10device_ptrIiEEEESD_jNS1_19radix_merge_compareILb1ELb1EiNS0_19identity_decomposerEEEEE10hipError_tT0_T1_T2_jT3_P12ihipStream_tbPNSt15iterator_traitsISI_E10value_typeEPNSO_ISJ_E10value_typeEPSK_NS1_7vsmem_tEENKUlT_SI_SJ_SK_E_clISD_PiSD_S10_EESH_SX_SI_SJ_SK_EUlSX_E0_NS1_11comp_targetILNS1_3genE4ELNS1_11target_archE910ELNS1_3gpuE8ELNS1_3repE0EEENS1_38merge_mergepath_config_static_selectorELNS0_4arch9wavefront6targetE1EEEvSJ_
	.globl	_ZN7rocprim17ROCPRIM_400000_NS6detail17trampoline_kernelINS0_14default_configENS1_38merge_sort_block_merge_config_selectorIiiEEZZNS1_27merge_sort_block_merge_implIS3_N6thrust23THRUST_200600_302600_NS6detail15normal_iteratorINS8_10device_ptrIiEEEESD_jNS1_19radix_merge_compareILb1ELb1EiNS0_19identity_decomposerEEEEE10hipError_tT0_T1_T2_jT3_P12ihipStream_tbPNSt15iterator_traitsISI_E10value_typeEPNSO_ISJ_E10value_typeEPSK_NS1_7vsmem_tEENKUlT_SI_SJ_SK_E_clISD_PiSD_S10_EESH_SX_SI_SJ_SK_EUlSX_E0_NS1_11comp_targetILNS1_3genE4ELNS1_11target_archE910ELNS1_3gpuE8ELNS1_3repE0EEENS1_38merge_mergepath_config_static_selectorELNS0_4arch9wavefront6targetE1EEEvSJ_
	.p2align	8
	.type	_ZN7rocprim17ROCPRIM_400000_NS6detail17trampoline_kernelINS0_14default_configENS1_38merge_sort_block_merge_config_selectorIiiEEZZNS1_27merge_sort_block_merge_implIS3_N6thrust23THRUST_200600_302600_NS6detail15normal_iteratorINS8_10device_ptrIiEEEESD_jNS1_19radix_merge_compareILb1ELb1EiNS0_19identity_decomposerEEEEE10hipError_tT0_T1_T2_jT3_P12ihipStream_tbPNSt15iterator_traitsISI_E10value_typeEPNSO_ISJ_E10value_typeEPSK_NS1_7vsmem_tEENKUlT_SI_SJ_SK_E_clISD_PiSD_S10_EESH_SX_SI_SJ_SK_EUlSX_E0_NS1_11comp_targetILNS1_3genE4ELNS1_11target_archE910ELNS1_3gpuE8ELNS1_3repE0EEENS1_38merge_mergepath_config_static_selectorELNS0_4arch9wavefront6targetE1EEEvSJ_,@function
_ZN7rocprim17ROCPRIM_400000_NS6detail17trampoline_kernelINS0_14default_configENS1_38merge_sort_block_merge_config_selectorIiiEEZZNS1_27merge_sort_block_merge_implIS3_N6thrust23THRUST_200600_302600_NS6detail15normal_iteratorINS8_10device_ptrIiEEEESD_jNS1_19radix_merge_compareILb1ELb1EiNS0_19identity_decomposerEEEEE10hipError_tT0_T1_T2_jT3_P12ihipStream_tbPNSt15iterator_traitsISI_E10value_typeEPNSO_ISJ_E10value_typeEPSK_NS1_7vsmem_tEENKUlT_SI_SJ_SK_E_clISD_PiSD_S10_EESH_SX_SI_SJ_SK_EUlSX_E0_NS1_11comp_targetILNS1_3genE4ELNS1_11target_archE910ELNS1_3gpuE8ELNS1_3repE0EEENS1_38merge_mergepath_config_static_selectorELNS0_4arch9wavefront6targetE1EEEvSJ_: ; @_ZN7rocprim17ROCPRIM_400000_NS6detail17trampoline_kernelINS0_14default_configENS1_38merge_sort_block_merge_config_selectorIiiEEZZNS1_27merge_sort_block_merge_implIS3_N6thrust23THRUST_200600_302600_NS6detail15normal_iteratorINS8_10device_ptrIiEEEESD_jNS1_19radix_merge_compareILb1ELb1EiNS0_19identity_decomposerEEEEE10hipError_tT0_T1_T2_jT3_P12ihipStream_tbPNSt15iterator_traitsISI_E10value_typeEPNSO_ISJ_E10value_typeEPSK_NS1_7vsmem_tEENKUlT_SI_SJ_SK_E_clISD_PiSD_S10_EESH_SX_SI_SJ_SK_EUlSX_E0_NS1_11comp_targetILNS1_3genE4ELNS1_11target_archE910ELNS1_3gpuE8ELNS1_3repE0EEENS1_38merge_mergepath_config_static_selectorELNS0_4arch9wavefront6targetE1EEEvSJ_
; %bb.0:
	.section	.rodata,"a",@progbits
	.p2align	6, 0x0
	.amdhsa_kernel _ZN7rocprim17ROCPRIM_400000_NS6detail17trampoline_kernelINS0_14default_configENS1_38merge_sort_block_merge_config_selectorIiiEEZZNS1_27merge_sort_block_merge_implIS3_N6thrust23THRUST_200600_302600_NS6detail15normal_iteratorINS8_10device_ptrIiEEEESD_jNS1_19radix_merge_compareILb1ELb1EiNS0_19identity_decomposerEEEEE10hipError_tT0_T1_T2_jT3_P12ihipStream_tbPNSt15iterator_traitsISI_E10value_typeEPNSO_ISJ_E10value_typeEPSK_NS1_7vsmem_tEENKUlT_SI_SJ_SK_E_clISD_PiSD_S10_EESH_SX_SI_SJ_SK_EUlSX_E0_NS1_11comp_targetILNS1_3genE4ELNS1_11target_archE910ELNS1_3gpuE8ELNS1_3repE0EEENS1_38merge_mergepath_config_static_selectorELNS0_4arch9wavefront6targetE1EEEvSJ_
		.amdhsa_group_segment_fixed_size 0
		.amdhsa_private_segment_fixed_size 0
		.amdhsa_kernarg_size 64
		.amdhsa_user_sgpr_count 2
		.amdhsa_user_sgpr_dispatch_ptr 0
		.amdhsa_user_sgpr_queue_ptr 0
		.amdhsa_user_sgpr_kernarg_segment_ptr 1
		.amdhsa_user_sgpr_dispatch_id 0
		.amdhsa_user_sgpr_kernarg_preload_length 0
		.amdhsa_user_sgpr_kernarg_preload_offset 0
		.amdhsa_user_sgpr_private_segment_size 0
		.amdhsa_uses_dynamic_stack 0
		.amdhsa_enable_private_segment 0
		.amdhsa_system_sgpr_workgroup_id_x 1
		.amdhsa_system_sgpr_workgroup_id_y 0
		.amdhsa_system_sgpr_workgroup_id_z 0
		.amdhsa_system_sgpr_workgroup_info 0
		.amdhsa_system_vgpr_workitem_id 0
		.amdhsa_next_free_vgpr 1
		.amdhsa_next_free_sgpr 0
		.amdhsa_accum_offset 4
		.amdhsa_reserve_vcc 0
		.amdhsa_float_round_mode_32 0
		.amdhsa_float_round_mode_16_64 0
		.amdhsa_float_denorm_mode_32 3
		.amdhsa_float_denorm_mode_16_64 3
		.amdhsa_dx10_clamp 1
		.amdhsa_ieee_mode 1
		.amdhsa_fp16_overflow 0
		.amdhsa_tg_split 0
		.amdhsa_exception_fp_ieee_invalid_op 0
		.amdhsa_exception_fp_denorm_src 0
		.amdhsa_exception_fp_ieee_div_zero 0
		.amdhsa_exception_fp_ieee_overflow 0
		.amdhsa_exception_fp_ieee_underflow 0
		.amdhsa_exception_fp_ieee_inexact 0
		.amdhsa_exception_int_div_zero 0
	.end_amdhsa_kernel
	.section	.text._ZN7rocprim17ROCPRIM_400000_NS6detail17trampoline_kernelINS0_14default_configENS1_38merge_sort_block_merge_config_selectorIiiEEZZNS1_27merge_sort_block_merge_implIS3_N6thrust23THRUST_200600_302600_NS6detail15normal_iteratorINS8_10device_ptrIiEEEESD_jNS1_19radix_merge_compareILb1ELb1EiNS0_19identity_decomposerEEEEE10hipError_tT0_T1_T2_jT3_P12ihipStream_tbPNSt15iterator_traitsISI_E10value_typeEPNSO_ISJ_E10value_typeEPSK_NS1_7vsmem_tEENKUlT_SI_SJ_SK_E_clISD_PiSD_S10_EESH_SX_SI_SJ_SK_EUlSX_E0_NS1_11comp_targetILNS1_3genE4ELNS1_11target_archE910ELNS1_3gpuE8ELNS1_3repE0EEENS1_38merge_mergepath_config_static_selectorELNS0_4arch9wavefront6targetE1EEEvSJ_,"axG",@progbits,_ZN7rocprim17ROCPRIM_400000_NS6detail17trampoline_kernelINS0_14default_configENS1_38merge_sort_block_merge_config_selectorIiiEEZZNS1_27merge_sort_block_merge_implIS3_N6thrust23THRUST_200600_302600_NS6detail15normal_iteratorINS8_10device_ptrIiEEEESD_jNS1_19radix_merge_compareILb1ELb1EiNS0_19identity_decomposerEEEEE10hipError_tT0_T1_T2_jT3_P12ihipStream_tbPNSt15iterator_traitsISI_E10value_typeEPNSO_ISJ_E10value_typeEPSK_NS1_7vsmem_tEENKUlT_SI_SJ_SK_E_clISD_PiSD_S10_EESH_SX_SI_SJ_SK_EUlSX_E0_NS1_11comp_targetILNS1_3genE4ELNS1_11target_archE910ELNS1_3gpuE8ELNS1_3repE0EEENS1_38merge_mergepath_config_static_selectorELNS0_4arch9wavefront6targetE1EEEvSJ_,comdat
.Lfunc_end1806:
	.size	_ZN7rocprim17ROCPRIM_400000_NS6detail17trampoline_kernelINS0_14default_configENS1_38merge_sort_block_merge_config_selectorIiiEEZZNS1_27merge_sort_block_merge_implIS3_N6thrust23THRUST_200600_302600_NS6detail15normal_iteratorINS8_10device_ptrIiEEEESD_jNS1_19radix_merge_compareILb1ELb1EiNS0_19identity_decomposerEEEEE10hipError_tT0_T1_T2_jT3_P12ihipStream_tbPNSt15iterator_traitsISI_E10value_typeEPNSO_ISJ_E10value_typeEPSK_NS1_7vsmem_tEENKUlT_SI_SJ_SK_E_clISD_PiSD_S10_EESH_SX_SI_SJ_SK_EUlSX_E0_NS1_11comp_targetILNS1_3genE4ELNS1_11target_archE910ELNS1_3gpuE8ELNS1_3repE0EEENS1_38merge_mergepath_config_static_selectorELNS0_4arch9wavefront6targetE1EEEvSJ_, .Lfunc_end1806-_ZN7rocprim17ROCPRIM_400000_NS6detail17trampoline_kernelINS0_14default_configENS1_38merge_sort_block_merge_config_selectorIiiEEZZNS1_27merge_sort_block_merge_implIS3_N6thrust23THRUST_200600_302600_NS6detail15normal_iteratorINS8_10device_ptrIiEEEESD_jNS1_19radix_merge_compareILb1ELb1EiNS0_19identity_decomposerEEEEE10hipError_tT0_T1_T2_jT3_P12ihipStream_tbPNSt15iterator_traitsISI_E10value_typeEPNSO_ISJ_E10value_typeEPSK_NS1_7vsmem_tEENKUlT_SI_SJ_SK_E_clISD_PiSD_S10_EESH_SX_SI_SJ_SK_EUlSX_E0_NS1_11comp_targetILNS1_3genE4ELNS1_11target_archE910ELNS1_3gpuE8ELNS1_3repE0EEENS1_38merge_mergepath_config_static_selectorELNS0_4arch9wavefront6targetE1EEEvSJ_
                                        ; -- End function
	.set _ZN7rocprim17ROCPRIM_400000_NS6detail17trampoline_kernelINS0_14default_configENS1_38merge_sort_block_merge_config_selectorIiiEEZZNS1_27merge_sort_block_merge_implIS3_N6thrust23THRUST_200600_302600_NS6detail15normal_iteratorINS8_10device_ptrIiEEEESD_jNS1_19radix_merge_compareILb1ELb1EiNS0_19identity_decomposerEEEEE10hipError_tT0_T1_T2_jT3_P12ihipStream_tbPNSt15iterator_traitsISI_E10value_typeEPNSO_ISJ_E10value_typeEPSK_NS1_7vsmem_tEENKUlT_SI_SJ_SK_E_clISD_PiSD_S10_EESH_SX_SI_SJ_SK_EUlSX_E0_NS1_11comp_targetILNS1_3genE4ELNS1_11target_archE910ELNS1_3gpuE8ELNS1_3repE0EEENS1_38merge_mergepath_config_static_selectorELNS0_4arch9wavefront6targetE1EEEvSJ_.num_vgpr, 0
	.set _ZN7rocprim17ROCPRIM_400000_NS6detail17trampoline_kernelINS0_14default_configENS1_38merge_sort_block_merge_config_selectorIiiEEZZNS1_27merge_sort_block_merge_implIS3_N6thrust23THRUST_200600_302600_NS6detail15normal_iteratorINS8_10device_ptrIiEEEESD_jNS1_19radix_merge_compareILb1ELb1EiNS0_19identity_decomposerEEEEE10hipError_tT0_T1_T2_jT3_P12ihipStream_tbPNSt15iterator_traitsISI_E10value_typeEPNSO_ISJ_E10value_typeEPSK_NS1_7vsmem_tEENKUlT_SI_SJ_SK_E_clISD_PiSD_S10_EESH_SX_SI_SJ_SK_EUlSX_E0_NS1_11comp_targetILNS1_3genE4ELNS1_11target_archE910ELNS1_3gpuE8ELNS1_3repE0EEENS1_38merge_mergepath_config_static_selectorELNS0_4arch9wavefront6targetE1EEEvSJ_.num_agpr, 0
	.set _ZN7rocprim17ROCPRIM_400000_NS6detail17trampoline_kernelINS0_14default_configENS1_38merge_sort_block_merge_config_selectorIiiEEZZNS1_27merge_sort_block_merge_implIS3_N6thrust23THRUST_200600_302600_NS6detail15normal_iteratorINS8_10device_ptrIiEEEESD_jNS1_19radix_merge_compareILb1ELb1EiNS0_19identity_decomposerEEEEE10hipError_tT0_T1_T2_jT3_P12ihipStream_tbPNSt15iterator_traitsISI_E10value_typeEPNSO_ISJ_E10value_typeEPSK_NS1_7vsmem_tEENKUlT_SI_SJ_SK_E_clISD_PiSD_S10_EESH_SX_SI_SJ_SK_EUlSX_E0_NS1_11comp_targetILNS1_3genE4ELNS1_11target_archE910ELNS1_3gpuE8ELNS1_3repE0EEENS1_38merge_mergepath_config_static_selectorELNS0_4arch9wavefront6targetE1EEEvSJ_.numbered_sgpr, 0
	.set _ZN7rocprim17ROCPRIM_400000_NS6detail17trampoline_kernelINS0_14default_configENS1_38merge_sort_block_merge_config_selectorIiiEEZZNS1_27merge_sort_block_merge_implIS3_N6thrust23THRUST_200600_302600_NS6detail15normal_iteratorINS8_10device_ptrIiEEEESD_jNS1_19radix_merge_compareILb1ELb1EiNS0_19identity_decomposerEEEEE10hipError_tT0_T1_T2_jT3_P12ihipStream_tbPNSt15iterator_traitsISI_E10value_typeEPNSO_ISJ_E10value_typeEPSK_NS1_7vsmem_tEENKUlT_SI_SJ_SK_E_clISD_PiSD_S10_EESH_SX_SI_SJ_SK_EUlSX_E0_NS1_11comp_targetILNS1_3genE4ELNS1_11target_archE910ELNS1_3gpuE8ELNS1_3repE0EEENS1_38merge_mergepath_config_static_selectorELNS0_4arch9wavefront6targetE1EEEvSJ_.num_named_barrier, 0
	.set _ZN7rocprim17ROCPRIM_400000_NS6detail17trampoline_kernelINS0_14default_configENS1_38merge_sort_block_merge_config_selectorIiiEEZZNS1_27merge_sort_block_merge_implIS3_N6thrust23THRUST_200600_302600_NS6detail15normal_iteratorINS8_10device_ptrIiEEEESD_jNS1_19radix_merge_compareILb1ELb1EiNS0_19identity_decomposerEEEEE10hipError_tT0_T1_T2_jT3_P12ihipStream_tbPNSt15iterator_traitsISI_E10value_typeEPNSO_ISJ_E10value_typeEPSK_NS1_7vsmem_tEENKUlT_SI_SJ_SK_E_clISD_PiSD_S10_EESH_SX_SI_SJ_SK_EUlSX_E0_NS1_11comp_targetILNS1_3genE4ELNS1_11target_archE910ELNS1_3gpuE8ELNS1_3repE0EEENS1_38merge_mergepath_config_static_selectorELNS0_4arch9wavefront6targetE1EEEvSJ_.private_seg_size, 0
	.set _ZN7rocprim17ROCPRIM_400000_NS6detail17trampoline_kernelINS0_14default_configENS1_38merge_sort_block_merge_config_selectorIiiEEZZNS1_27merge_sort_block_merge_implIS3_N6thrust23THRUST_200600_302600_NS6detail15normal_iteratorINS8_10device_ptrIiEEEESD_jNS1_19radix_merge_compareILb1ELb1EiNS0_19identity_decomposerEEEEE10hipError_tT0_T1_T2_jT3_P12ihipStream_tbPNSt15iterator_traitsISI_E10value_typeEPNSO_ISJ_E10value_typeEPSK_NS1_7vsmem_tEENKUlT_SI_SJ_SK_E_clISD_PiSD_S10_EESH_SX_SI_SJ_SK_EUlSX_E0_NS1_11comp_targetILNS1_3genE4ELNS1_11target_archE910ELNS1_3gpuE8ELNS1_3repE0EEENS1_38merge_mergepath_config_static_selectorELNS0_4arch9wavefront6targetE1EEEvSJ_.uses_vcc, 0
	.set _ZN7rocprim17ROCPRIM_400000_NS6detail17trampoline_kernelINS0_14default_configENS1_38merge_sort_block_merge_config_selectorIiiEEZZNS1_27merge_sort_block_merge_implIS3_N6thrust23THRUST_200600_302600_NS6detail15normal_iteratorINS8_10device_ptrIiEEEESD_jNS1_19radix_merge_compareILb1ELb1EiNS0_19identity_decomposerEEEEE10hipError_tT0_T1_T2_jT3_P12ihipStream_tbPNSt15iterator_traitsISI_E10value_typeEPNSO_ISJ_E10value_typeEPSK_NS1_7vsmem_tEENKUlT_SI_SJ_SK_E_clISD_PiSD_S10_EESH_SX_SI_SJ_SK_EUlSX_E0_NS1_11comp_targetILNS1_3genE4ELNS1_11target_archE910ELNS1_3gpuE8ELNS1_3repE0EEENS1_38merge_mergepath_config_static_selectorELNS0_4arch9wavefront6targetE1EEEvSJ_.uses_flat_scratch, 0
	.set _ZN7rocprim17ROCPRIM_400000_NS6detail17trampoline_kernelINS0_14default_configENS1_38merge_sort_block_merge_config_selectorIiiEEZZNS1_27merge_sort_block_merge_implIS3_N6thrust23THRUST_200600_302600_NS6detail15normal_iteratorINS8_10device_ptrIiEEEESD_jNS1_19radix_merge_compareILb1ELb1EiNS0_19identity_decomposerEEEEE10hipError_tT0_T1_T2_jT3_P12ihipStream_tbPNSt15iterator_traitsISI_E10value_typeEPNSO_ISJ_E10value_typeEPSK_NS1_7vsmem_tEENKUlT_SI_SJ_SK_E_clISD_PiSD_S10_EESH_SX_SI_SJ_SK_EUlSX_E0_NS1_11comp_targetILNS1_3genE4ELNS1_11target_archE910ELNS1_3gpuE8ELNS1_3repE0EEENS1_38merge_mergepath_config_static_selectorELNS0_4arch9wavefront6targetE1EEEvSJ_.has_dyn_sized_stack, 0
	.set _ZN7rocprim17ROCPRIM_400000_NS6detail17trampoline_kernelINS0_14default_configENS1_38merge_sort_block_merge_config_selectorIiiEEZZNS1_27merge_sort_block_merge_implIS3_N6thrust23THRUST_200600_302600_NS6detail15normal_iteratorINS8_10device_ptrIiEEEESD_jNS1_19radix_merge_compareILb1ELb1EiNS0_19identity_decomposerEEEEE10hipError_tT0_T1_T2_jT3_P12ihipStream_tbPNSt15iterator_traitsISI_E10value_typeEPNSO_ISJ_E10value_typeEPSK_NS1_7vsmem_tEENKUlT_SI_SJ_SK_E_clISD_PiSD_S10_EESH_SX_SI_SJ_SK_EUlSX_E0_NS1_11comp_targetILNS1_3genE4ELNS1_11target_archE910ELNS1_3gpuE8ELNS1_3repE0EEENS1_38merge_mergepath_config_static_selectorELNS0_4arch9wavefront6targetE1EEEvSJ_.has_recursion, 0
	.set _ZN7rocprim17ROCPRIM_400000_NS6detail17trampoline_kernelINS0_14default_configENS1_38merge_sort_block_merge_config_selectorIiiEEZZNS1_27merge_sort_block_merge_implIS3_N6thrust23THRUST_200600_302600_NS6detail15normal_iteratorINS8_10device_ptrIiEEEESD_jNS1_19radix_merge_compareILb1ELb1EiNS0_19identity_decomposerEEEEE10hipError_tT0_T1_T2_jT3_P12ihipStream_tbPNSt15iterator_traitsISI_E10value_typeEPNSO_ISJ_E10value_typeEPSK_NS1_7vsmem_tEENKUlT_SI_SJ_SK_E_clISD_PiSD_S10_EESH_SX_SI_SJ_SK_EUlSX_E0_NS1_11comp_targetILNS1_3genE4ELNS1_11target_archE910ELNS1_3gpuE8ELNS1_3repE0EEENS1_38merge_mergepath_config_static_selectorELNS0_4arch9wavefront6targetE1EEEvSJ_.has_indirect_call, 0
	.section	.AMDGPU.csdata,"",@progbits
; Kernel info:
; codeLenInByte = 0
; TotalNumSgprs: 6
; NumVgprs: 0
; NumAgprs: 0
; TotalNumVgprs: 0
; ScratchSize: 0
; MemoryBound: 0
; FloatMode: 240
; IeeeMode: 1
; LDSByteSize: 0 bytes/workgroup (compile time only)
; SGPRBlocks: 0
; VGPRBlocks: 0
; NumSGPRsForWavesPerEU: 6
; NumVGPRsForWavesPerEU: 1
; AccumOffset: 4
; Occupancy: 8
; WaveLimiterHint : 0
; COMPUTE_PGM_RSRC2:SCRATCH_EN: 0
; COMPUTE_PGM_RSRC2:USER_SGPR: 2
; COMPUTE_PGM_RSRC2:TRAP_HANDLER: 0
; COMPUTE_PGM_RSRC2:TGID_X_EN: 1
; COMPUTE_PGM_RSRC2:TGID_Y_EN: 0
; COMPUTE_PGM_RSRC2:TGID_Z_EN: 0
; COMPUTE_PGM_RSRC2:TIDIG_COMP_CNT: 0
; COMPUTE_PGM_RSRC3_GFX90A:ACCUM_OFFSET: 0
; COMPUTE_PGM_RSRC3_GFX90A:TG_SPLIT: 0
	.section	.text._ZN7rocprim17ROCPRIM_400000_NS6detail17trampoline_kernelINS0_14default_configENS1_38merge_sort_block_merge_config_selectorIiiEEZZNS1_27merge_sort_block_merge_implIS3_N6thrust23THRUST_200600_302600_NS6detail15normal_iteratorINS8_10device_ptrIiEEEESD_jNS1_19radix_merge_compareILb1ELb1EiNS0_19identity_decomposerEEEEE10hipError_tT0_T1_T2_jT3_P12ihipStream_tbPNSt15iterator_traitsISI_E10value_typeEPNSO_ISJ_E10value_typeEPSK_NS1_7vsmem_tEENKUlT_SI_SJ_SK_E_clISD_PiSD_S10_EESH_SX_SI_SJ_SK_EUlSX_E0_NS1_11comp_targetILNS1_3genE3ELNS1_11target_archE908ELNS1_3gpuE7ELNS1_3repE0EEENS1_38merge_mergepath_config_static_selectorELNS0_4arch9wavefront6targetE1EEEvSJ_,"axG",@progbits,_ZN7rocprim17ROCPRIM_400000_NS6detail17trampoline_kernelINS0_14default_configENS1_38merge_sort_block_merge_config_selectorIiiEEZZNS1_27merge_sort_block_merge_implIS3_N6thrust23THRUST_200600_302600_NS6detail15normal_iteratorINS8_10device_ptrIiEEEESD_jNS1_19radix_merge_compareILb1ELb1EiNS0_19identity_decomposerEEEEE10hipError_tT0_T1_T2_jT3_P12ihipStream_tbPNSt15iterator_traitsISI_E10value_typeEPNSO_ISJ_E10value_typeEPSK_NS1_7vsmem_tEENKUlT_SI_SJ_SK_E_clISD_PiSD_S10_EESH_SX_SI_SJ_SK_EUlSX_E0_NS1_11comp_targetILNS1_3genE3ELNS1_11target_archE908ELNS1_3gpuE7ELNS1_3repE0EEENS1_38merge_mergepath_config_static_selectorELNS0_4arch9wavefront6targetE1EEEvSJ_,comdat
	.protected	_ZN7rocprim17ROCPRIM_400000_NS6detail17trampoline_kernelINS0_14default_configENS1_38merge_sort_block_merge_config_selectorIiiEEZZNS1_27merge_sort_block_merge_implIS3_N6thrust23THRUST_200600_302600_NS6detail15normal_iteratorINS8_10device_ptrIiEEEESD_jNS1_19radix_merge_compareILb1ELb1EiNS0_19identity_decomposerEEEEE10hipError_tT0_T1_T2_jT3_P12ihipStream_tbPNSt15iterator_traitsISI_E10value_typeEPNSO_ISJ_E10value_typeEPSK_NS1_7vsmem_tEENKUlT_SI_SJ_SK_E_clISD_PiSD_S10_EESH_SX_SI_SJ_SK_EUlSX_E0_NS1_11comp_targetILNS1_3genE3ELNS1_11target_archE908ELNS1_3gpuE7ELNS1_3repE0EEENS1_38merge_mergepath_config_static_selectorELNS0_4arch9wavefront6targetE1EEEvSJ_ ; -- Begin function _ZN7rocprim17ROCPRIM_400000_NS6detail17trampoline_kernelINS0_14default_configENS1_38merge_sort_block_merge_config_selectorIiiEEZZNS1_27merge_sort_block_merge_implIS3_N6thrust23THRUST_200600_302600_NS6detail15normal_iteratorINS8_10device_ptrIiEEEESD_jNS1_19radix_merge_compareILb1ELb1EiNS0_19identity_decomposerEEEEE10hipError_tT0_T1_T2_jT3_P12ihipStream_tbPNSt15iterator_traitsISI_E10value_typeEPNSO_ISJ_E10value_typeEPSK_NS1_7vsmem_tEENKUlT_SI_SJ_SK_E_clISD_PiSD_S10_EESH_SX_SI_SJ_SK_EUlSX_E0_NS1_11comp_targetILNS1_3genE3ELNS1_11target_archE908ELNS1_3gpuE7ELNS1_3repE0EEENS1_38merge_mergepath_config_static_selectorELNS0_4arch9wavefront6targetE1EEEvSJ_
	.globl	_ZN7rocprim17ROCPRIM_400000_NS6detail17trampoline_kernelINS0_14default_configENS1_38merge_sort_block_merge_config_selectorIiiEEZZNS1_27merge_sort_block_merge_implIS3_N6thrust23THRUST_200600_302600_NS6detail15normal_iteratorINS8_10device_ptrIiEEEESD_jNS1_19radix_merge_compareILb1ELb1EiNS0_19identity_decomposerEEEEE10hipError_tT0_T1_T2_jT3_P12ihipStream_tbPNSt15iterator_traitsISI_E10value_typeEPNSO_ISJ_E10value_typeEPSK_NS1_7vsmem_tEENKUlT_SI_SJ_SK_E_clISD_PiSD_S10_EESH_SX_SI_SJ_SK_EUlSX_E0_NS1_11comp_targetILNS1_3genE3ELNS1_11target_archE908ELNS1_3gpuE7ELNS1_3repE0EEENS1_38merge_mergepath_config_static_selectorELNS0_4arch9wavefront6targetE1EEEvSJ_
	.p2align	8
	.type	_ZN7rocprim17ROCPRIM_400000_NS6detail17trampoline_kernelINS0_14default_configENS1_38merge_sort_block_merge_config_selectorIiiEEZZNS1_27merge_sort_block_merge_implIS3_N6thrust23THRUST_200600_302600_NS6detail15normal_iteratorINS8_10device_ptrIiEEEESD_jNS1_19radix_merge_compareILb1ELb1EiNS0_19identity_decomposerEEEEE10hipError_tT0_T1_T2_jT3_P12ihipStream_tbPNSt15iterator_traitsISI_E10value_typeEPNSO_ISJ_E10value_typeEPSK_NS1_7vsmem_tEENKUlT_SI_SJ_SK_E_clISD_PiSD_S10_EESH_SX_SI_SJ_SK_EUlSX_E0_NS1_11comp_targetILNS1_3genE3ELNS1_11target_archE908ELNS1_3gpuE7ELNS1_3repE0EEENS1_38merge_mergepath_config_static_selectorELNS0_4arch9wavefront6targetE1EEEvSJ_,@function
_ZN7rocprim17ROCPRIM_400000_NS6detail17trampoline_kernelINS0_14default_configENS1_38merge_sort_block_merge_config_selectorIiiEEZZNS1_27merge_sort_block_merge_implIS3_N6thrust23THRUST_200600_302600_NS6detail15normal_iteratorINS8_10device_ptrIiEEEESD_jNS1_19radix_merge_compareILb1ELb1EiNS0_19identity_decomposerEEEEE10hipError_tT0_T1_T2_jT3_P12ihipStream_tbPNSt15iterator_traitsISI_E10value_typeEPNSO_ISJ_E10value_typeEPSK_NS1_7vsmem_tEENKUlT_SI_SJ_SK_E_clISD_PiSD_S10_EESH_SX_SI_SJ_SK_EUlSX_E0_NS1_11comp_targetILNS1_3genE3ELNS1_11target_archE908ELNS1_3gpuE7ELNS1_3repE0EEENS1_38merge_mergepath_config_static_selectorELNS0_4arch9wavefront6targetE1EEEvSJ_: ; @_ZN7rocprim17ROCPRIM_400000_NS6detail17trampoline_kernelINS0_14default_configENS1_38merge_sort_block_merge_config_selectorIiiEEZZNS1_27merge_sort_block_merge_implIS3_N6thrust23THRUST_200600_302600_NS6detail15normal_iteratorINS8_10device_ptrIiEEEESD_jNS1_19radix_merge_compareILb1ELb1EiNS0_19identity_decomposerEEEEE10hipError_tT0_T1_T2_jT3_P12ihipStream_tbPNSt15iterator_traitsISI_E10value_typeEPNSO_ISJ_E10value_typeEPSK_NS1_7vsmem_tEENKUlT_SI_SJ_SK_E_clISD_PiSD_S10_EESH_SX_SI_SJ_SK_EUlSX_E0_NS1_11comp_targetILNS1_3genE3ELNS1_11target_archE908ELNS1_3gpuE7ELNS1_3repE0EEENS1_38merge_mergepath_config_static_selectorELNS0_4arch9wavefront6targetE1EEEvSJ_
; %bb.0:
	.section	.rodata,"a",@progbits
	.p2align	6, 0x0
	.amdhsa_kernel _ZN7rocprim17ROCPRIM_400000_NS6detail17trampoline_kernelINS0_14default_configENS1_38merge_sort_block_merge_config_selectorIiiEEZZNS1_27merge_sort_block_merge_implIS3_N6thrust23THRUST_200600_302600_NS6detail15normal_iteratorINS8_10device_ptrIiEEEESD_jNS1_19radix_merge_compareILb1ELb1EiNS0_19identity_decomposerEEEEE10hipError_tT0_T1_T2_jT3_P12ihipStream_tbPNSt15iterator_traitsISI_E10value_typeEPNSO_ISJ_E10value_typeEPSK_NS1_7vsmem_tEENKUlT_SI_SJ_SK_E_clISD_PiSD_S10_EESH_SX_SI_SJ_SK_EUlSX_E0_NS1_11comp_targetILNS1_3genE3ELNS1_11target_archE908ELNS1_3gpuE7ELNS1_3repE0EEENS1_38merge_mergepath_config_static_selectorELNS0_4arch9wavefront6targetE1EEEvSJ_
		.amdhsa_group_segment_fixed_size 0
		.amdhsa_private_segment_fixed_size 0
		.amdhsa_kernarg_size 64
		.amdhsa_user_sgpr_count 2
		.amdhsa_user_sgpr_dispatch_ptr 0
		.amdhsa_user_sgpr_queue_ptr 0
		.amdhsa_user_sgpr_kernarg_segment_ptr 1
		.amdhsa_user_sgpr_dispatch_id 0
		.amdhsa_user_sgpr_kernarg_preload_length 0
		.amdhsa_user_sgpr_kernarg_preload_offset 0
		.amdhsa_user_sgpr_private_segment_size 0
		.amdhsa_uses_dynamic_stack 0
		.amdhsa_enable_private_segment 0
		.amdhsa_system_sgpr_workgroup_id_x 1
		.amdhsa_system_sgpr_workgroup_id_y 0
		.amdhsa_system_sgpr_workgroup_id_z 0
		.amdhsa_system_sgpr_workgroup_info 0
		.amdhsa_system_vgpr_workitem_id 0
		.amdhsa_next_free_vgpr 1
		.amdhsa_next_free_sgpr 0
		.amdhsa_accum_offset 4
		.amdhsa_reserve_vcc 0
		.amdhsa_float_round_mode_32 0
		.amdhsa_float_round_mode_16_64 0
		.amdhsa_float_denorm_mode_32 3
		.amdhsa_float_denorm_mode_16_64 3
		.amdhsa_dx10_clamp 1
		.amdhsa_ieee_mode 1
		.amdhsa_fp16_overflow 0
		.amdhsa_tg_split 0
		.amdhsa_exception_fp_ieee_invalid_op 0
		.amdhsa_exception_fp_denorm_src 0
		.amdhsa_exception_fp_ieee_div_zero 0
		.amdhsa_exception_fp_ieee_overflow 0
		.amdhsa_exception_fp_ieee_underflow 0
		.amdhsa_exception_fp_ieee_inexact 0
		.amdhsa_exception_int_div_zero 0
	.end_amdhsa_kernel
	.section	.text._ZN7rocprim17ROCPRIM_400000_NS6detail17trampoline_kernelINS0_14default_configENS1_38merge_sort_block_merge_config_selectorIiiEEZZNS1_27merge_sort_block_merge_implIS3_N6thrust23THRUST_200600_302600_NS6detail15normal_iteratorINS8_10device_ptrIiEEEESD_jNS1_19radix_merge_compareILb1ELb1EiNS0_19identity_decomposerEEEEE10hipError_tT0_T1_T2_jT3_P12ihipStream_tbPNSt15iterator_traitsISI_E10value_typeEPNSO_ISJ_E10value_typeEPSK_NS1_7vsmem_tEENKUlT_SI_SJ_SK_E_clISD_PiSD_S10_EESH_SX_SI_SJ_SK_EUlSX_E0_NS1_11comp_targetILNS1_3genE3ELNS1_11target_archE908ELNS1_3gpuE7ELNS1_3repE0EEENS1_38merge_mergepath_config_static_selectorELNS0_4arch9wavefront6targetE1EEEvSJ_,"axG",@progbits,_ZN7rocprim17ROCPRIM_400000_NS6detail17trampoline_kernelINS0_14default_configENS1_38merge_sort_block_merge_config_selectorIiiEEZZNS1_27merge_sort_block_merge_implIS3_N6thrust23THRUST_200600_302600_NS6detail15normal_iteratorINS8_10device_ptrIiEEEESD_jNS1_19radix_merge_compareILb1ELb1EiNS0_19identity_decomposerEEEEE10hipError_tT0_T1_T2_jT3_P12ihipStream_tbPNSt15iterator_traitsISI_E10value_typeEPNSO_ISJ_E10value_typeEPSK_NS1_7vsmem_tEENKUlT_SI_SJ_SK_E_clISD_PiSD_S10_EESH_SX_SI_SJ_SK_EUlSX_E0_NS1_11comp_targetILNS1_3genE3ELNS1_11target_archE908ELNS1_3gpuE7ELNS1_3repE0EEENS1_38merge_mergepath_config_static_selectorELNS0_4arch9wavefront6targetE1EEEvSJ_,comdat
.Lfunc_end1807:
	.size	_ZN7rocprim17ROCPRIM_400000_NS6detail17trampoline_kernelINS0_14default_configENS1_38merge_sort_block_merge_config_selectorIiiEEZZNS1_27merge_sort_block_merge_implIS3_N6thrust23THRUST_200600_302600_NS6detail15normal_iteratorINS8_10device_ptrIiEEEESD_jNS1_19radix_merge_compareILb1ELb1EiNS0_19identity_decomposerEEEEE10hipError_tT0_T1_T2_jT3_P12ihipStream_tbPNSt15iterator_traitsISI_E10value_typeEPNSO_ISJ_E10value_typeEPSK_NS1_7vsmem_tEENKUlT_SI_SJ_SK_E_clISD_PiSD_S10_EESH_SX_SI_SJ_SK_EUlSX_E0_NS1_11comp_targetILNS1_3genE3ELNS1_11target_archE908ELNS1_3gpuE7ELNS1_3repE0EEENS1_38merge_mergepath_config_static_selectorELNS0_4arch9wavefront6targetE1EEEvSJ_, .Lfunc_end1807-_ZN7rocprim17ROCPRIM_400000_NS6detail17trampoline_kernelINS0_14default_configENS1_38merge_sort_block_merge_config_selectorIiiEEZZNS1_27merge_sort_block_merge_implIS3_N6thrust23THRUST_200600_302600_NS6detail15normal_iteratorINS8_10device_ptrIiEEEESD_jNS1_19radix_merge_compareILb1ELb1EiNS0_19identity_decomposerEEEEE10hipError_tT0_T1_T2_jT3_P12ihipStream_tbPNSt15iterator_traitsISI_E10value_typeEPNSO_ISJ_E10value_typeEPSK_NS1_7vsmem_tEENKUlT_SI_SJ_SK_E_clISD_PiSD_S10_EESH_SX_SI_SJ_SK_EUlSX_E0_NS1_11comp_targetILNS1_3genE3ELNS1_11target_archE908ELNS1_3gpuE7ELNS1_3repE0EEENS1_38merge_mergepath_config_static_selectorELNS0_4arch9wavefront6targetE1EEEvSJ_
                                        ; -- End function
	.set _ZN7rocprim17ROCPRIM_400000_NS6detail17trampoline_kernelINS0_14default_configENS1_38merge_sort_block_merge_config_selectorIiiEEZZNS1_27merge_sort_block_merge_implIS3_N6thrust23THRUST_200600_302600_NS6detail15normal_iteratorINS8_10device_ptrIiEEEESD_jNS1_19radix_merge_compareILb1ELb1EiNS0_19identity_decomposerEEEEE10hipError_tT0_T1_T2_jT3_P12ihipStream_tbPNSt15iterator_traitsISI_E10value_typeEPNSO_ISJ_E10value_typeEPSK_NS1_7vsmem_tEENKUlT_SI_SJ_SK_E_clISD_PiSD_S10_EESH_SX_SI_SJ_SK_EUlSX_E0_NS1_11comp_targetILNS1_3genE3ELNS1_11target_archE908ELNS1_3gpuE7ELNS1_3repE0EEENS1_38merge_mergepath_config_static_selectorELNS0_4arch9wavefront6targetE1EEEvSJ_.num_vgpr, 0
	.set _ZN7rocprim17ROCPRIM_400000_NS6detail17trampoline_kernelINS0_14default_configENS1_38merge_sort_block_merge_config_selectorIiiEEZZNS1_27merge_sort_block_merge_implIS3_N6thrust23THRUST_200600_302600_NS6detail15normal_iteratorINS8_10device_ptrIiEEEESD_jNS1_19radix_merge_compareILb1ELb1EiNS0_19identity_decomposerEEEEE10hipError_tT0_T1_T2_jT3_P12ihipStream_tbPNSt15iterator_traitsISI_E10value_typeEPNSO_ISJ_E10value_typeEPSK_NS1_7vsmem_tEENKUlT_SI_SJ_SK_E_clISD_PiSD_S10_EESH_SX_SI_SJ_SK_EUlSX_E0_NS1_11comp_targetILNS1_3genE3ELNS1_11target_archE908ELNS1_3gpuE7ELNS1_3repE0EEENS1_38merge_mergepath_config_static_selectorELNS0_4arch9wavefront6targetE1EEEvSJ_.num_agpr, 0
	.set _ZN7rocprim17ROCPRIM_400000_NS6detail17trampoline_kernelINS0_14default_configENS1_38merge_sort_block_merge_config_selectorIiiEEZZNS1_27merge_sort_block_merge_implIS3_N6thrust23THRUST_200600_302600_NS6detail15normal_iteratorINS8_10device_ptrIiEEEESD_jNS1_19radix_merge_compareILb1ELb1EiNS0_19identity_decomposerEEEEE10hipError_tT0_T1_T2_jT3_P12ihipStream_tbPNSt15iterator_traitsISI_E10value_typeEPNSO_ISJ_E10value_typeEPSK_NS1_7vsmem_tEENKUlT_SI_SJ_SK_E_clISD_PiSD_S10_EESH_SX_SI_SJ_SK_EUlSX_E0_NS1_11comp_targetILNS1_3genE3ELNS1_11target_archE908ELNS1_3gpuE7ELNS1_3repE0EEENS1_38merge_mergepath_config_static_selectorELNS0_4arch9wavefront6targetE1EEEvSJ_.numbered_sgpr, 0
	.set _ZN7rocprim17ROCPRIM_400000_NS6detail17trampoline_kernelINS0_14default_configENS1_38merge_sort_block_merge_config_selectorIiiEEZZNS1_27merge_sort_block_merge_implIS3_N6thrust23THRUST_200600_302600_NS6detail15normal_iteratorINS8_10device_ptrIiEEEESD_jNS1_19radix_merge_compareILb1ELb1EiNS0_19identity_decomposerEEEEE10hipError_tT0_T1_T2_jT3_P12ihipStream_tbPNSt15iterator_traitsISI_E10value_typeEPNSO_ISJ_E10value_typeEPSK_NS1_7vsmem_tEENKUlT_SI_SJ_SK_E_clISD_PiSD_S10_EESH_SX_SI_SJ_SK_EUlSX_E0_NS1_11comp_targetILNS1_3genE3ELNS1_11target_archE908ELNS1_3gpuE7ELNS1_3repE0EEENS1_38merge_mergepath_config_static_selectorELNS0_4arch9wavefront6targetE1EEEvSJ_.num_named_barrier, 0
	.set _ZN7rocprim17ROCPRIM_400000_NS6detail17trampoline_kernelINS0_14default_configENS1_38merge_sort_block_merge_config_selectorIiiEEZZNS1_27merge_sort_block_merge_implIS3_N6thrust23THRUST_200600_302600_NS6detail15normal_iteratorINS8_10device_ptrIiEEEESD_jNS1_19radix_merge_compareILb1ELb1EiNS0_19identity_decomposerEEEEE10hipError_tT0_T1_T2_jT3_P12ihipStream_tbPNSt15iterator_traitsISI_E10value_typeEPNSO_ISJ_E10value_typeEPSK_NS1_7vsmem_tEENKUlT_SI_SJ_SK_E_clISD_PiSD_S10_EESH_SX_SI_SJ_SK_EUlSX_E0_NS1_11comp_targetILNS1_3genE3ELNS1_11target_archE908ELNS1_3gpuE7ELNS1_3repE0EEENS1_38merge_mergepath_config_static_selectorELNS0_4arch9wavefront6targetE1EEEvSJ_.private_seg_size, 0
	.set _ZN7rocprim17ROCPRIM_400000_NS6detail17trampoline_kernelINS0_14default_configENS1_38merge_sort_block_merge_config_selectorIiiEEZZNS1_27merge_sort_block_merge_implIS3_N6thrust23THRUST_200600_302600_NS6detail15normal_iteratorINS8_10device_ptrIiEEEESD_jNS1_19radix_merge_compareILb1ELb1EiNS0_19identity_decomposerEEEEE10hipError_tT0_T1_T2_jT3_P12ihipStream_tbPNSt15iterator_traitsISI_E10value_typeEPNSO_ISJ_E10value_typeEPSK_NS1_7vsmem_tEENKUlT_SI_SJ_SK_E_clISD_PiSD_S10_EESH_SX_SI_SJ_SK_EUlSX_E0_NS1_11comp_targetILNS1_3genE3ELNS1_11target_archE908ELNS1_3gpuE7ELNS1_3repE0EEENS1_38merge_mergepath_config_static_selectorELNS0_4arch9wavefront6targetE1EEEvSJ_.uses_vcc, 0
	.set _ZN7rocprim17ROCPRIM_400000_NS6detail17trampoline_kernelINS0_14default_configENS1_38merge_sort_block_merge_config_selectorIiiEEZZNS1_27merge_sort_block_merge_implIS3_N6thrust23THRUST_200600_302600_NS6detail15normal_iteratorINS8_10device_ptrIiEEEESD_jNS1_19radix_merge_compareILb1ELb1EiNS0_19identity_decomposerEEEEE10hipError_tT0_T1_T2_jT3_P12ihipStream_tbPNSt15iterator_traitsISI_E10value_typeEPNSO_ISJ_E10value_typeEPSK_NS1_7vsmem_tEENKUlT_SI_SJ_SK_E_clISD_PiSD_S10_EESH_SX_SI_SJ_SK_EUlSX_E0_NS1_11comp_targetILNS1_3genE3ELNS1_11target_archE908ELNS1_3gpuE7ELNS1_3repE0EEENS1_38merge_mergepath_config_static_selectorELNS0_4arch9wavefront6targetE1EEEvSJ_.uses_flat_scratch, 0
	.set _ZN7rocprim17ROCPRIM_400000_NS6detail17trampoline_kernelINS0_14default_configENS1_38merge_sort_block_merge_config_selectorIiiEEZZNS1_27merge_sort_block_merge_implIS3_N6thrust23THRUST_200600_302600_NS6detail15normal_iteratorINS8_10device_ptrIiEEEESD_jNS1_19radix_merge_compareILb1ELb1EiNS0_19identity_decomposerEEEEE10hipError_tT0_T1_T2_jT3_P12ihipStream_tbPNSt15iterator_traitsISI_E10value_typeEPNSO_ISJ_E10value_typeEPSK_NS1_7vsmem_tEENKUlT_SI_SJ_SK_E_clISD_PiSD_S10_EESH_SX_SI_SJ_SK_EUlSX_E0_NS1_11comp_targetILNS1_3genE3ELNS1_11target_archE908ELNS1_3gpuE7ELNS1_3repE0EEENS1_38merge_mergepath_config_static_selectorELNS0_4arch9wavefront6targetE1EEEvSJ_.has_dyn_sized_stack, 0
	.set _ZN7rocprim17ROCPRIM_400000_NS6detail17trampoline_kernelINS0_14default_configENS1_38merge_sort_block_merge_config_selectorIiiEEZZNS1_27merge_sort_block_merge_implIS3_N6thrust23THRUST_200600_302600_NS6detail15normal_iteratorINS8_10device_ptrIiEEEESD_jNS1_19radix_merge_compareILb1ELb1EiNS0_19identity_decomposerEEEEE10hipError_tT0_T1_T2_jT3_P12ihipStream_tbPNSt15iterator_traitsISI_E10value_typeEPNSO_ISJ_E10value_typeEPSK_NS1_7vsmem_tEENKUlT_SI_SJ_SK_E_clISD_PiSD_S10_EESH_SX_SI_SJ_SK_EUlSX_E0_NS1_11comp_targetILNS1_3genE3ELNS1_11target_archE908ELNS1_3gpuE7ELNS1_3repE0EEENS1_38merge_mergepath_config_static_selectorELNS0_4arch9wavefront6targetE1EEEvSJ_.has_recursion, 0
	.set _ZN7rocprim17ROCPRIM_400000_NS6detail17trampoline_kernelINS0_14default_configENS1_38merge_sort_block_merge_config_selectorIiiEEZZNS1_27merge_sort_block_merge_implIS3_N6thrust23THRUST_200600_302600_NS6detail15normal_iteratorINS8_10device_ptrIiEEEESD_jNS1_19radix_merge_compareILb1ELb1EiNS0_19identity_decomposerEEEEE10hipError_tT0_T1_T2_jT3_P12ihipStream_tbPNSt15iterator_traitsISI_E10value_typeEPNSO_ISJ_E10value_typeEPSK_NS1_7vsmem_tEENKUlT_SI_SJ_SK_E_clISD_PiSD_S10_EESH_SX_SI_SJ_SK_EUlSX_E0_NS1_11comp_targetILNS1_3genE3ELNS1_11target_archE908ELNS1_3gpuE7ELNS1_3repE0EEENS1_38merge_mergepath_config_static_selectorELNS0_4arch9wavefront6targetE1EEEvSJ_.has_indirect_call, 0
	.section	.AMDGPU.csdata,"",@progbits
; Kernel info:
; codeLenInByte = 0
; TotalNumSgprs: 6
; NumVgprs: 0
; NumAgprs: 0
; TotalNumVgprs: 0
; ScratchSize: 0
; MemoryBound: 0
; FloatMode: 240
; IeeeMode: 1
; LDSByteSize: 0 bytes/workgroup (compile time only)
; SGPRBlocks: 0
; VGPRBlocks: 0
; NumSGPRsForWavesPerEU: 6
; NumVGPRsForWavesPerEU: 1
; AccumOffset: 4
; Occupancy: 8
; WaveLimiterHint : 0
; COMPUTE_PGM_RSRC2:SCRATCH_EN: 0
; COMPUTE_PGM_RSRC2:USER_SGPR: 2
; COMPUTE_PGM_RSRC2:TRAP_HANDLER: 0
; COMPUTE_PGM_RSRC2:TGID_X_EN: 1
; COMPUTE_PGM_RSRC2:TGID_Y_EN: 0
; COMPUTE_PGM_RSRC2:TGID_Z_EN: 0
; COMPUTE_PGM_RSRC2:TIDIG_COMP_CNT: 0
; COMPUTE_PGM_RSRC3_GFX90A:ACCUM_OFFSET: 0
; COMPUTE_PGM_RSRC3_GFX90A:TG_SPLIT: 0
	.section	.text._ZN7rocprim17ROCPRIM_400000_NS6detail17trampoline_kernelINS0_14default_configENS1_38merge_sort_block_merge_config_selectorIiiEEZZNS1_27merge_sort_block_merge_implIS3_N6thrust23THRUST_200600_302600_NS6detail15normal_iteratorINS8_10device_ptrIiEEEESD_jNS1_19radix_merge_compareILb1ELb1EiNS0_19identity_decomposerEEEEE10hipError_tT0_T1_T2_jT3_P12ihipStream_tbPNSt15iterator_traitsISI_E10value_typeEPNSO_ISJ_E10value_typeEPSK_NS1_7vsmem_tEENKUlT_SI_SJ_SK_E_clISD_PiSD_S10_EESH_SX_SI_SJ_SK_EUlSX_E0_NS1_11comp_targetILNS1_3genE2ELNS1_11target_archE906ELNS1_3gpuE6ELNS1_3repE0EEENS1_38merge_mergepath_config_static_selectorELNS0_4arch9wavefront6targetE1EEEvSJ_,"axG",@progbits,_ZN7rocprim17ROCPRIM_400000_NS6detail17trampoline_kernelINS0_14default_configENS1_38merge_sort_block_merge_config_selectorIiiEEZZNS1_27merge_sort_block_merge_implIS3_N6thrust23THRUST_200600_302600_NS6detail15normal_iteratorINS8_10device_ptrIiEEEESD_jNS1_19radix_merge_compareILb1ELb1EiNS0_19identity_decomposerEEEEE10hipError_tT0_T1_T2_jT3_P12ihipStream_tbPNSt15iterator_traitsISI_E10value_typeEPNSO_ISJ_E10value_typeEPSK_NS1_7vsmem_tEENKUlT_SI_SJ_SK_E_clISD_PiSD_S10_EESH_SX_SI_SJ_SK_EUlSX_E0_NS1_11comp_targetILNS1_3genE2ELNS1_11target_archE906ELNS1_3gpuE6ELNS1_3repE0EEENS1_38merge_mergepath_config_static_selectorELNS0_4arch9wavefront6targetE1EEEvSJ_,comdat
	.protected	_ZN7rocprim17ROCPRIM_400000_NS6detail17trampoline_kernelINS0_14default_configENS1_38merge_sort_block_merge_config_selectorIiiEEZZNS1_27merge_sort_block_merge_implIS3_N6thrust23THRUST_200600_302600_NS6detail15normal_iteratorINS8_10device_ptrIiEEEESD_jNS1_19radix_merge_compareILb1ELb1EiNS0_19identity_decomposerEEEEE10hipError_tT0_T1_T2_jT3_P12ihipStream_tbPNSt15iterator_traitsISI_E10value_typeEPNSO_ISJ_E10value_typeEPSK_NS1_7vsmem_tEENKUlT_SI_SJ_SK_E_clISD_PiSD_S10_EESH_SX_SI_SJ_SK_EUlSX_E0_NS1_11comp_targetILNS1_3genE2ELNS1_11target_archE906ELNS1_3gpuE6ELNS1_3repE0EEENS1_38merge_mergepath_config_static_selectorELNS0_4arch9wavefront6targetE1EEEvSJ_ ; -- Begin function _ZN7rocprim17ROCPRIM_400000_NS6detail17trampoline_kernelINS0_14default_configENS1_38merge_sort_block_merge_config_selectorIiiEEZZNS1_27merge_sort_block_merge_implIS3_N6thrust23THRUST_200600_302600_NS6detail15normal_iteratorINS8_10device_ptrIiEEEESD_jNS1_19radix_merge_compareILb1ELb1EiNS0_19identity_decomposerEEEEE10hipError_tT0_T1_T2_jT3_P12ihipStream_tbPNSt15iterator_traitsISI_E10value_typeEPNSO_ISJ_E10value_typeEPSK_NS1_7vsmem_tEENKUlT_SI_SJ_SK_E_clISD_PiSD_S10_EESH_SX_SI_SJ_SK_EUlSX_E0_NS1_11comp_targetILNS1_3genE2ELNS1_11target_archE906ELNS1_3gpuE6ELNS1_3repE0EEENS1_38merge_mergepath_config_static_selectorELNS0_4arch9wavefront6targetE1EEEvSJ_
	.globl	_ZN7rocprim17ROCPRIM_400000_NS6detail17trampoline_kernelINS0_14default_configENS1_38merge_sort_block_merge_config_selectorIiiEEZZNS1_27merge_sort_block_merge_implIS3_N6thrust23THRUST_200600_302600_NS6detail15normal_iteratorINS8_10device_ptrIiEEEESD_jNS1_19radix_merge_compareILb1ELb1EiNS0_19identity_decomposerEEEEE10hipError_tT0_T1_T2_jT3_P12ihipStream_tbPNSt15iterator_traitsISI_E10value_typeEPNSO_ISJ_E10value_typeEPSK_NS1_7vsmem_tEENKUlT_SI_SJ_SK_E_clISD_PiSD_S10_EESH_SX_SI_SJ_SK_EUlSX_E0_NS1_11comp_targetILNS1_3genE2ELNS1_11target_archE906ELNS1_3gpuE6ELNS1_3repE0EEENS1_38merge_mergepath_config_static_selectorELNS0_4arch9wavefront6targetE1EEEvSJ_
	.p2align	8
	.type	_ZN7rocprim17ROCPRIM_400000_NS6detail17trampoline_kernelINS0_14default_configENS1_38merge_sort_block_merge_config_selectorIiiEEZZNS1_27merge_sort_block_merge_implIS3_N6thrust23THRUST_200600_302600_NS6detail15normal_iteratorINS8_10device_ptrIiEEEESD_jNS1_19radix_merge_compareILb1ELb1EiNS0_19identity_decomposerEEEEE10hipError_tT0_T1_T2_jT3_P12ihipStream_tbPNSt15iterator_traitsISI_E10value_typeEPNSO_ISJ_E10value_typeEPSK_NS1_7vsmem_tEENKUlT_SI_SJ_SK_E_clISD_PiSD_S10_EESH_SX_SI_SJ_SK_EUlSX_E0_NS1_11comp_targetILNS1_3genE2ELNS1_11target_archE906ELNS1_3gpuE6ELNS1_3repE0EEENS1_38merge_mergepath_config_static_selectorELNS0_4arch9wavefront6targetE1EEEvSJ_,@function
_ZN7rocprim17ROCPRIM_400000_NS6detail17trampoline_kernelINS0_14default_configENS1_38merge_sort_block_merge_config_selectorIiiEEZZNS1_27merge_sort_block_merge_implIS3_N6thrust23THRUST_200600_302600_NS6detail15normal_iteratorINS8_10device_ptrIiEEEESD_jNS1_19radix_merge_compareILb1ELb1EiNS0_19identity_decomposerEEEEE10hipError_tT0_T1_T2_jT3_P12ihipStream_tbPNSt15iterator_traitsISI_E10value_typeEPNSO_ISJ_E10value_typeEPSK_NS1_7vsmem_tEENKUlT_SI_SJ_SK_E_clISD_PiSD_S10_EESH_SX_SI_SJ_SK_EUlSX_E0_NS1_11comp_targetILNS1_3genE2ELNS1_11target_archE906ELNS1_3gpuE6ELNS1_3repE0EEENS1_38merge_mergepath_config_static_selectorELNS0_4arch9wavefront6targetE1EEEvSJ_: ; @_ZN7rocprim17ROCPRIM_400000_NS6detail17trampoline_kernelINS0_14default_configENS1_38merge_sort_block_merge_config_selectorIiiEEZZNS1_27merge_sort_block_merge_implIS3_N6thrust23THRUST_200600_302600_NS6detail15normal_iteratorINS8_10device_ptrIiEEEESD_jNS1_19radix_merge_compareILb1ELb1EiNS0_19identity_decomposerEEEEE10hipError_tT0_T1_T2_jT3_P12ihipStream_tbPNSt15iterator_traitsISI_E10value_typeEPNSO_ISJ_E10value_typeEPSK_NS1_7vsmem_tEENKUlT_SI_SJ_SK_E_clISD_PiSD_S10_EESH_SX_SI_SJ_SK_EUlSX_E0_NS1_11comp_targetILNS1_3genE2ELNS1_11target_archE906ELNS1_3gpuE6ELNS1_3repE0EEENS1_38merge_mergepath_config_static_selectorELNS0_4arch9wavefront6targetE1EEEvSJ_
; %bb.0:
	.section	.rodata,"a",@progbits
	.p2align	6, 0x0
	.amdhsa_kernel _ZN7rocprim17ROCPRIM_400000_NS6detail17trampoline_kernelINS0_14default_configENS1_38merge_sort_block_merge_config_selectorIiiEEZZNS1_27merge_sort_block_merge_implIS3_N6thrust23THRUST_200600_302600_NS6detail15normal_iteratorINS8_10device_ptrIiEEEESD_jNS1_19radix_merge_compareILb1ELb1EiNS0_19identity_decomposerEEEEE10hipError_tT0_T1_T2_jT3_P12ihipStream_tbPNSt15iterator_traitsISI_E10value_typeEPNSO_ISJ_E10value_typeEPSK_NS1_7vsmem_tEENKUlT_SI_SJ_SK_E_clISD_PiSD_S10_EESH_SX_SI_SJ_SK_EUlSX_E0_NS1_11comp_targetILNS1_3genE2ELNS1_11target_archE906ELNS1_3gpuE6ELNS1_3repE0EEENS1_38merge_mergepath_config_static_selectorELNS0_4arch9wavefront6targetE1EEEvSJ_
		.amdhsa_group_segment_fixed_size 0
		.amdhsa_private_segment_fixed_size 0
		.amdhsa_kernarg_size 64
		.amdhsa_user_sgpr_count 2
		.amdhsa_user_sgpr_dispatch_ptr 0
		.amdhsa_user_sgpr_queue_ptr 0
		.amdhsa_user_sgpr_kernarg_segment_ptr 1
		.amdhsa_user_sgpr_dispatch_id 0
		.amdhsa_user_sgpr_kernarg_preload_length 0
		.amdhsa_user_sgpr_kernarg_preload_offset 0
		.amdhsa_user_sgpr_private_segment_size 0
		.amdhsa_uses_dynamic_stack 0
		.amdhsa_enable_private_segment 0
		.amdhsa_system_sgpr_workgroup_id_x 1
		.amdhsa_system_sgpr_workgroup_id_y 0
		.amdhsa_system_sgpr_workgroup_id_z 0
		.amdhsa_system_sgpr_workgroup_info 0
		.amdhsa_system_vgpr_workitem_id 0
		.amdhsa_next_free_vgpr 1
		.amdhsa_next_free_sgpr 0
		.amdhsa_accum_offset 4
		.amdhsa_reserve_vcc 0
		.amdhsa_float_round_mode_32 0
		.amdhsa_float_round_mode_16_64 0
		.amdhsa_float_denorm_mode_32 3
		.amdhsa_float_denorm_mode_16_64 3
		.amdhsa_dx10_clamp 1
		.amdhsa_ieee_mode 1
		.amdhsa_fp16_overflow 0
		.amdhsa_tg_split 0
		.amdhsa_exception_fp_ieee_invalid_op 0
		.amdhsa_exception_fp_denorm_src 0
		.amdhsa_exception_fp_ieee_div_zero 0
		.amdhsa_exception_fp_ieee_overflow 0
		.amdhsa_exception_fp_ieee_underflow 0
		.amdhsa_exception_fp_ieee_inexact 0
		.amdhsa_exception_int_div_zero 0
	.end_amdhsa_kernel
	.section	.text._ZN7rocprim17ROCPRIM_400000_NS6detail17trampoline_kernelINS0_14default_configENS1_38merge_sort_block_merge_config_selectorIiiEEZZNS1_27merge_sort_block_merge_implIS3_N6thrust23THRUST_200600_302600_NS6detail15normal_iteratorINS8_10device_ptrIiEEEESD_jNS1_19radix_merge_compareILb1ELb1EiNS0_19identity_decomposerEEEEE10hipError_tT0_T1_T2_jT3_P12ihipStream_tbPNSt15iterator_traitsISI_E10value_typeEPNSO_ISJ_E10value_typeEPSK_NS1_7vsmem_tEENKUlT_SI_SJ_SK_E_clISD_PiSD_S10_EESH_SX_SI_SJ_SK_EUlSX_E0_NS1_11comp_targetILNS1_3genE2ELNS1_11target_archE906ELNS1_3gpuE6ELNS1_3repE0EEENS1_38merge_mergepath_config_static_selectorELNS0_4arch9wavefront6targetE1EEEvSJ_,"axG",@progbits,_ZN7rocprim17ROCPRIM_400000_NS6detail17trampoline_kernelINS0_14default_configENS1_38merge_sort_block_merge_config_selectorIiiEEZZNS1_27merge_sort_block_merge_implIS3_N6thrust23THRUST_200600_302600_NS6detail15normal_iteratorINS8_10device_ptrIiEEEESD_jNS1_19radix_merge_compareILb1ELb1EiNS0_19identity_decomposerEEEEE10hipError_tT0_T1_T2_jT3_P12ihipStream_tbPNSt15iterator_traitsISI_E10value_typeEPNSO_ISJ_E10value_typeEPSK_NS1_7vsmem_tEENKUlT_SI_SJ_SK_E_clISD_PiSD_S10_EESH_SX_SI_SJ_SK_EUlSX_E0_NS1_11comp_targetILNS1_3genE2ELNS1_11target_archE906ELNS1_3gpuE6ELNS1_3repE0EEENS1_38merge_mergepath_config_static_selectorELNS0_4arch9wavefront6targetE1EEEvSJ_,comdat
.Lfunc_end1808:
	.size	_ZN7rocprim17ROCPRIM_400000_NS6detail17trampoline_kernelINS0_14default_configENS1_38merge_sort_block_merge_config_selectorIiiEEZZNS1_27merge_sort_block_merge_implIS3_N6thrust23THRUST_200600_302600_NS6detail15normal_iteratorINS8_10device_ptrIiEEEESD_jNS1_19radix_merge_compareILb1ELb1EiNS0_19identity_decomposerEEEEE10hipError_tT0_T1_T2_jT3_P12ihipStream_tbPNSt15iterator_traitsISI_E10value_typeEPNSO_ISJ_E10value_typeEPSK_NS1_7vsmem_tEENKUlT_SI_SJ_SK_E_clISD_PiSD_S10_EESH_SX_SI_SJ_SK_EUlSX_E0_NS1_11comp_targetILNS1_3genE2ELNS1_11target_archE906ELNS1_3gpuE6ELNS1_3repE0EEENS1_38merge_mergepath_config_static_selectorELNS0_4arch9wavefront6targetE1EEEvSJ_, .Lfunc_end1808-_ZN7rocprim17ROCPRIM_400000_NS6detail17trampoline_kernelINS0_14default_configENS1_38merge_sort_block_merge_config_selectorIiiEEZZNS1_27merge_sort_block_merge_implIS3_N6thrust23THRUST_200600_302600_NS6detail15normal_iteratorINS8_10device_ptrIiEEEESD_jNS1_19radix_merge_compareILb1ELb1EiNS0_19identity_decomposerEEEEE10hipError_tT0_T1_T2_jT3_P12ihipStream_tbPNSt15iterator_traitsISI_E10value_typeEPNSO_ISJ_E10value_typeEPSK_NS1_7vsmem_tEENKUlT_SI_SJ_SK_E_clISD_PiSD_S10_EESH_SX_SI_SJ_SK_EUlSX_E0_NS1_11comp_targetILNS1_3genE2ELNS1_11target_archE906ELNS1_3gpuE6ELNS1_3repE0EEENS1_38merge_mergepath_config_static_selectorELNS0_4arch9wavefront6targetE1EEEvSJ_
                                        ; -- End function
	.set _ZN7rocprim17ROCPRIM_400000_NS6detail17trampoline_kernelINS0_14default_configENS1_38merge_sort_block_merge_config_selectorIiiEEZZNS1_27merge_sort_block_merge_implIS3_N6thrust23THRUST_200600_302600_NS6detail15normal_iteratorINS8_10device_ptrIiEEEESD_jNS1_19radix_merge_compareILb1ELb1EiNS0_19identity_decomposerEEEEE10hipError_tT0_T1_T2_jT3_P12ihipStream_tbPNSt15iterator_traitsISI_E10value_typeEPNSO_ISJ_E10value_typeEPSK_NS1_7vsmem_tEENKUlT_SI_SJ_SK_E_clISD_PiSD_S10_EESH_SX_SI_SJ_SK_EUlSX_E0_NS1_11comp_targetILNS1_3genE2ELNS1_11target_archE906ELNS1_3gpuE6ELNS1_3repE0EEENS1_38merge_mergepath_config_static_selectorELNS0_4arch9wavefront6targetE1EEEvSJ_.num_vgpr, 0
	.set _ZN7rocprim17ROCPRIM_400000_NS6detail17trampoline_kernelINS0_14default_configENS1_38merge_sort_block_merge_config_selectorIiiEEZZNS1_27merge_sort_block_merge_implIS3_N6thrust23THRUST_200600_302600_NS6detail15normal_iteratorINS8_10device_ptrIiEEEESD_jNS1_19radix_merge_compareILb1ELb1EiNS0_19identity_decomposerEEEEE10hipError_tT0_T1_T2_jT3_P12ihipStream_tbPNSt15iterator_traitsISI_E10value_typeEPNSO_ISJ_E10value_typeEPSK_NS1_7vsmem_tEENKUlT_SI_SJ_SK_E_clISD_PiSD_S10_EESH_SX_SI_SJ_SK_EUlSX_E0_NS1_11comp_targetILNS1_3genE2ELNS1_11target_archE906ELNS1_3gpuE6ELNS1_3repE0EEENS1_38merge_mergepath_config_static_selectorELNS0_4arch9wavefront6targetE1EEEvSJ_.num_agpr, 0
	.set _ZN7rocprim17ROCPRIM_400000_NS6detail17trampoline_kernelINS0_14default_configENS1_38merge_sort_block_merge_config_selectorIiiEEZZNS1_27merge_sort_block_merge_implIS3_N6thrust23THRUST_200600_302600_NS6detail15normal_iteratorINS8_10device_ptrIiEEEESD_jNS1_19radix_merge_compareILb1ELb1EiNS0_19identity_decomposerEEEEE10hipError_tT0_T1_T2_jT3_P12ihipStream_tbPNSt15iterator_traitsISI_E10value_typeEPNSO_ISJ_E10value_typeEPSK_NS1_7vsmem_tEENKUlT_SI_SJ_SK_E_clISD_PiSD_S10_EESH_SX_SI_SJ_SK_EUlSX_E0_NS1_11comp_targetILNS1_3genE2ELNS1_11target_archE906ELNS1_3gpuE6ELNS1_3repE0EEENS1_38merge_mergepath_config_static_selectorELNS0_4arch9wavefront6targetE1EEEvSJ_.numbered_sgpr, 0
	.set _ZN7rocprim17ROCPRIM_400000_NS6detail17trampoline_kernelINS0_14default_configENS1_38merge_sort_block_merge_config_selectorIiiEEZZNS1_27merge_sort_block_merge_implIS3_N6thrust23THRUST_200600_302600_NS6detail15normal_iteratorINS8_10device_ptrIiEEEESD_jNS1_19radix_merge_compareILb1ELb1EiNS0_19identity_decomposerEEEEE10hipError_tT0_T1_T2_jT3_P12ihipStream_tbPNSt15iterator_traitsISI_E10value_typeEPNSO_ISJ_E10value_typeEPSK_NS1_7vsmem_tEENKUlT_SI_SJ_SK_E_clISD_PiSD_S10_EESH_SX_SI_SJ_SK_EUlSX_E0_NS1_11comp_targetILNS1_3genE2ELNS1_11target_archE906ELNS1_3gpuE6ELNS1_3repE0EEENS1_38merge_mergepath_config_static_selectorELNS0_4arch9wavefront6targetE1EEEvSJ_.num_named_barrier, 0
	.set _ZN7rocprim17ROCPRIM_400000_NS6detail17trampoline_kernelINS0_14default_configENS1_38merge_sort_block_merge_config_selectorIiiEEZZNS1_27merge_sort_block_merge_implIS3_N6thrust23THRUST_200600_302600_NS6detail15normal_iteratorINS8_10device_ptrIiEEEESD_jNS1_19radix_merge_compareILb1ELb1EiNS0_19identity_decomposerEEEEE10hipError_tT0_T1_T2_jT3_P12ihipStream_tbPNSt15iterator_traitsISI_E10value_typeEPNSO_ISJ_E10value_typeEPSK_NS1_7vsmem_tEENKUlT_SI_SJ_SK_E_clISD_PiSD_S10_EESH_SX_SI_SJ_SK_EUlSX_E0_NS1_11comp_targetILNS1_3genE2ELNS1_11target_archE906ELNS1_3gpuE6ELNS1_3repE0EEENS1_38merge_mergepath_config_static_selectorELNS0_4arch9wavefront6targetE1EEEvSJ_.private_seg_size, 0
	.set _ZN7rocprim17ROCPRIM_400000_NS6detail17trampoline_kernelINS0_14default_configENS1_38merge_sort_block_merge_config_selectorIiiEEZZNS1_27merge_sort_block_merge_implIS3_N6thrust23THRUST_200600_302600_NS6detail15normal_iteratorINS8_10device_ptrIiEEEESD_jNS1_19radix_merge_compareILb1ELb1EiNS0_19identity_decomposerEEEEE10hipError_tT0_T1_T2_jT3_P12ihipStream_tbPNSt15iterator_traitsISI_E10value_typeEPNSO_ISJ_E10value_typeEPSK_NS1_7vsmem_tEENKUlT_SI_SJ_SK_E_clISD_PiSD_S10_EESH_SX_SI_SJ_SK_EUlSX_E0_NS1_11comp_targetILNS1_3genE2ELNS1_11target_archE906ELNS1_3gpuE6ELNS1_3repE0EEENS1_38merge_mergepath_config_static_selectorELNS0_4arch9wavefront6targetE1EEEvSJ_.uses_vcc, 0
	.set _ZN7rocprim17ROCPRIM_400000_NS6detail17trampoline_kernelINS0_14default_configENS1_38merge_sort_block_merge_config_selectorIiiEEZZNS1_27merge_sort_block_merge_implIS3_N6thrust23THRUST_200600_302600_NS6detail15normal_iteratorINS8_10device_ptrIiEEEESD_jNS1_19radix_merge_compareILb1ELb1EiNS0_19identity_decomposerEEEEE10hipError_tT0_T1_T2_jT3_P12ihipStream_tbPNSt15iterator_traitsISI_E10value_typeEPNSO_ISJ_E10value_typeEPSK_NS1_7vsmem_tEENKUlT_SI_SJ_SK_E_clISD_PiSD_S10_EESH_SX_SI_SJ_SK_EUlSX_E0_NS1_11comp_targetILNS1_3genE2ELNS1_11target_archE906ELNS1_3gpuE6ELNS1_3repE0EEENS1_38merge_mergepath_config_static_selectorELNS0_4arch9wavefront6targetE1EEEvSJ_.uses_flat_scratch, 0
	.set _ZN7rocprim17ROCPRIM_400000_NS6detail17trampoline_kernelINS0_14default_configENS1_38merge_sort_block_merge_config_selectorIiiEEZZNS1_27merge_sort_block_merge_implIS3_N6thrust23THRUST_200600_302600_NS6detail15normal_iteratorINS8_10device_ptrIiEEEESD_jNS1_19radix_merge_compareILb1ELb1EiNS0_19identity_decomposerEEEEE10hipError_tT0_T1_T2_jT3_P12ihipStream_tbPNSt15iterator_traitsISI_E10value_typeEPNSO_ISJ_E10value_typeEPSK_NS1_7vsmem_tEENKUlT_SI_SJ_SK_E_clISD_PiSD_S10_EESH_SX_SI_SJ_SK_EUlSX_E0_NS1_11comp_targetILNS1_3genE2ELNS1_11target_archE906ELNS1_3gpuE6ELNS1_3repE0EEENS1_38merge_mergepath_config_static_selectorELNS0_4arch9wavefront6targetE1EEEvSJ_.has_dyn_sized_stack, 0
	.set _ZN7rocprim17ROCPRIM_400000_NS6detail17trampoline_kernelINS0_14default_configENS1_38merge_sort_block_merge_config_selectorIiiEEZZNS1_27merge_sort_block_merge_implIS3_N6thrust23THRUST_200600_302600_NS6detail15normal_iteratorINS8_10device_ptrIiEEEESD_jNS1_19radix_merge_compareILb1ELb1EiNS0_19identity_decomposerEEEEE10hipError_tT0_T1_T2_jT3_P12ihipStream_tbPNSt15iterator_traitsISI_E10value_typeEPNSO_ISJ_E10value_typeEPSK_NS1_7vsmem_tEENKUlT_SI_SJ_SK_E_clISD_PiSD_S10_EESH_SX_SI_SJ_SK_EUlSX_E0_NS1_11comp_targetILNS1_3genE2ELNS1_11target_archE906ELNS1_3gpuE6ELNS1_3repE0EEENS1_38merge_mergepath_config_static_selectorELNS0_4arch9wavefront6targetE1EEEvSJ_.has_recursion, 0
	.set _ZN7rocprim17ROCPRIM_400000_NS6detail17trampoline_kernelINS0_14default_configENS1_38merge_sort_block_merge_config_selectorIiiEEZZNS1_27merge_sort_block_merge_implIS3_N6thrust23THRUST_200600_302600_NS6detail15normal_iteratorINS8_10device_ptrIiEEEESD_jNS1_19radix_merge_compareILb1ELb1EiNS0_19identity_decomposerEEEEE10hipError_tT0_T1_T2_jT3_P12ihipStream_tbPNSt15iterator_traitsISI_E10value_typeEPNSO_ISJ_E10value_typeEPSK_NS1_7vsmem_tEENKUlT_SI_SJ_SK_E_clISD_PiSD_S10_EESH_SX_SI_SJ_SK_EUlSX_E0_NS1_11comp_targetILNS1_3genE2ELNS1_11target_archE906ELNS1_3gpuE6ELNS1_3repE0EEENS1_38merge_mergepath_config_static_selectorELNS0_4arch9wavefront6targetE1EEEvSJ_.has_indirect_call, 0
	.section	.AMDGPU.csdata,"",@progbits
; Kernel info:
; codeLenInByte = 0
; TotalNumSgprs: 6
; NumVgprs: 0
; NumAgprs: 0
; TotalNumVgprs: 0
; ScratchSize: 0
; MemoryBound: 0
; FloatMode: 240
; IeeeMode: 1
; LDSByteSize: 0 bytes/workgroup (compile time only)
; SGPRBlocks: 0
; VGPRBlocks: 0
; NumSGPRsForWavesPerEU: 6
; NumVGPRsForWavesPerEU: 1
; AccumOffset: 4
; Occupancy: 8
; WaveLimiterHint : 0
; COMPUTE_PGM_RSRC2:SCRATCH_EN: 0
; COMPUTE_PGM_RSRC2:USER_SGPR: 2
; COMPUTE_PGM_RSRC2:TRAP_HANDLER: 0
; COMPUTE_PGM_RSRC2:TGID_X_EN: 1
; COMPUTE_PGM_RSRC2:TGID_Y_EN: 0
; COMPUTE_PGM_RSRC2:TGID_Z_EN: 0
; COMPUTE_PGM_RSRC2:TIDIG_COMP_CNT: 0
; COMPUTE_PGM_RSRC3_GFX90A:ACCUM_OFFSET: 0
; COMPUTE_PGM_RSRC3_GFX90A:TG_SPLIT: 0
	.section	.text._ZN7rocprim17ROCPRIM_400000_NS6detail17trampoline_kernelINS0_14default_configENS1_38merge_sort_block_merge_config_selectorIiiEEZZNS1_27merge_sort_block_merge_implIS3_N6thrust23THRUST_200600_302600_NS6detail15normal_iteratorINS8_10device_ptrIiEEEESD_jNS1_19radix_merge_compareILb1ELb1EiNS0_19identity_decomposerEEEEE10hipError_tT0_T1_T2_jT3_P12ihipStream_tbPNSt15iterator_traitsISI_E10value_typeEPNSO_ISJ_E10value_typeEPSK_NS1_7vsmem_tEENKUlT_SI_SJ_SK_E_clISD_PiSD_S10_EESH_SX_SI_SJ_SK_EUlSX_E0_NS1_11comp_targetILNS1_3genE9ELNS1_11target_archE1100ELNS1_3gpuE3ELNS1_3repE0EEENS1_38merge_mergepath_config_static_selectorELNS0_4arch9wavefront6targetE1EEEvSJ_,"axG",@progbits,_ZN7rocprim17ROCPRIM_400000_NS6detail17trampoline_kernelINS0_14default_configENS1_38merge_sort_block_merge_config_selectorIiiEEZZNS1_27merge_sort_block_merge_implIS3_N6thrust23THRUST_200600_302600_NS6detail15normal_iteratorINS8_10device_ptrIiEEEESD_jNS1_19radix_merge_compareILb1ELb1EiNS0_19identity_decomposerEEEEE10hipError_tT0_T1_T2_jT3_P12ihipStream_tbPNSt15iterator_traitsISI_E10value_typeEPNSO_ISJ_E10value_typeEPSK_NS1_7vsmem_tEENKUlT_SI_SJ_SK_E_clISD_PiSD_S10_EESH_SX_SI_SJ_SK_EUlSX_E0_NS1_11comp_targetILNS1_3genE9ELNS1_11target_archE1100ELNS1_3gpuE3ELNS1_3repE0EEENS1_38merge_mergepath_config_static_selectorELNS0_4arch9wavefront6targetE1EEEvSJ_,comdat
	.protected	_ZN7rocprim17ROCPRIM_400000_NS6detail17trampoline_kernelINS0_14default_configENS1_38merge_sort_block_merge_config_selectorIiiEEZZNS1_27merge_sort_block_merge_implIS3_N6thrust23THRUST_200600_302600_NS6detail15normal_iteratorINS8_10device_ptrIiEEEESD_jNS1_19radix_merge_compareILb1ELb1EiNS0_19identity_decomposerEEEEE10hipError_tT0_T1_T2_jT3_P12ihipStream_tbPNSt15iterator_traitsISI_E10value_typeEPNSO_ISJ_E10value_typeEPSK_NS1_7vsmem_tEENKUlT_SI_SJ_SK_E_clISD_PiSD_S10_EESH_SX_SI_SJ_SK_EUlSX_E0_NS1_11comp_targetILNS1_3genE9ELNS1_11target_archE1100ELNS1_3gpuE3ELNS1_3repE0EEENS1_38merge_mergepath_config_static_selectorELNS0_4arch9wavefront6targetE1EEEvSJ_ ; -- Begin function _ZN7rocprim17ROCPRIM_400000_NS6detail17trampoline_kernelINS0_14default_configENS1_38merge_sort_block_merge_config_selectorIiiEEZZNS1_27merge_sort_block_merge_implIS3_N6thrust23THRUST_200600_302600_NS6detail15normal_iteratorINS8_10device_ptrIiEEEESD_jNS1_19radix_merge_compareILb1ELb1EiNS0_19identity_decomposerEEEEE10hipError_tT0_T1_T2_jT3_P12ihipStream_tbPNSt15iterator_traitsISI_E10value_typeEPNSO_ISJ_E10value_typeEPSK_NS1_7vsmem_tEENKUlT_SI_SJ_SK_E_clISD_PiSD_S10_EESH_SX_SI_SJ_SK_EUlSX_E0_NS1_11comp_targetILNS1_3genE9ELNS1_11target_archE1100ELNS1_3gpuE3ELNS1_3repE0EEENS1_38merge_mergepath_config_static_selectorELNS0_4arch9wavefront6targetE1EEEvSJ_
	.globl	_ZN7rocprim17ROCPRIM_400000_NS6detail17trampoline_kernelINS0_14default_configENS1_38merge_sort_block_merge_config_selectorIiiEEZZNS1_27merge_sort_block_merge_implIS3_N6thrust23THRUST_200600_302600_NS6detail15normal_iteratorINS8_10device_ptrIiEEEESD_jNS1_19radix_merge_compareILb1ELb1EiNS0_19identity_decomposerEEEEE10hipError_tT0_T1_T2_jT3_P12ihipStream_tbPNSt15iterator_traitsISI_E10value_typeEPNSO_ISJ_E10value_typeEPSK_NS1_7vsmem_tEENKUlT_SI_SJ_SK_E_clISD_PiSD_S10_EESH_SX_SI_SJ_SK_EUlSX_E0_NS1_11comp_targetILNS1_3genE9ELNS1_11target_archE1100ELNS1_3gpuE3ELNS1_3repE0EEENS1_38merge_mergepath_config_static_selectorELNS0_4arch9wavefront6targetE1EEEvSJ_
	.p2align	8
	.type	_ZN7rocprim17ROCPRIM_400000_NS6detail17trampoline_kernelINS0_14default_configENS1_38merge_sort_block_merge_config_selectorIiiEEZZNS1_27merge_sort_block_merge_implIS3_N6thrust23THRUST_200600_302600_NS6detail15normal_iteratorINS8_10device_ptrIiEEEESD_jNS1_19radix_merge_compareILb1ELb1EiNS0_19identity_decomposerEEEEE10hipError_tT0_T1_T2_jT3_P12ihipStream_tbPNSt15iterator_traitsISI_E10value_typeEPNSO_ISJ_E10value_typeEPSK_NS1_7vsmem_tEENKUlT_SI_SJ_SK_E_clISD_PiSD_S10_EESH_SX_SI_SJ_SK_EUlSX_E0_NS1_11comp_targetILNS1_3genE9ELNS1_11target_archE1100ELNS1_3gpuE3ELNS1_3repE0EEENS1_38merge_mergepath_config_static_selectorELNS0_4arch9wavefront6targetE1EEEvSJ_,@function
_ZN7rocprim17ROCPRIM_400000_NS6detail17trampoline_kernelINS0_14default_configENS1_38merge_sort_block_merge_config_selectorIiiEEZZNS1_27merge_sort_block_merge_implIS3_N6thrust23THRUST_200600_302600_NS6detail15normal_iteratorINS8_10device_ptrIiEEEESD_jNS1_19radix_merge_compareILb1ELb1EiNS0_19identity_decomposerEEEEE10hipError_tT0_T1_T2_jT3_P12ihipStream_tbPNSt15iterator_traitsISI_E10value_typeEPNSO_ISJ_E10value_typeEPSK_NS1_7vsmem_tEENKUlT_SI_SJ_SK_E_clISD_PiSD_S10_EESH_SX_SI_SJ_SK_EUlSX_E0_NS1_11comp_targetILNS1_3genE9ELNS1_11target_archE1100ELNS1_3gpuE3ELNS1_3repE0EEENS1_38merge_mergepath_config_static_selectorELNS0_4arch9wavefront6targetE1EEEvSJ_: ; @_ZN7rocprim17ROCPRIM_400000_NS6detail17trampoline_kernelINS0_14default_configENS1_38merge_sort_block_merge_config_selectorIiiEEZZNS1_27merge_sort_block_merge_implIS3_N6thrust23THRUST_200600_302600_NS6detail15normal_iteratorINS8_10device_ptrIiEEEESD_jNS1_19radix_merge_compareILb1ELb1EiNS0_19identity_decomposerEEEEE10hipError_tT0_T1_T2_jT3_P12ihipStream_tbPNSt15iterator_traitsISI_E10value_typeEPNSO_ISJ_E10value_typeEPSK_NS1_7vsmem_tEENKUlT_SI_SJ_SK_E_clISD_PiSD_S10_EESH_SX_SI_SJ_SK_EUlSX_E0_NS1_11comp_targetILNS1_3genE9ELNS1_11target_archE1100ELNS1_3gpuE3ELNS1_3repE0EEENS1_38merge_mergepath_config_static_selectorELNS0_4arch9wavefront6targetE1EEEvSJ_
; %bb.0:
	.section	.rodata,"a",@progbits
	.p2align	6, 0x0
	.amdhsa_kernel _ZN7rocprim17ROCPRIM_400000_NS6detail17trampoline_kernelINS0_14default_configENS1_38merge_sort_block_merge_config_selectorIiiEEZZNS1_27merge_sort_block_merge_implIS3_N6thrust23THRUST_200600_302600_NS6detail15normal_iteratorINS8_10device_ptrIiEEEESD_jNS1_19radix_merge_compareILb1ELb1EiNS0_19identity_decomposerEEEEE10hipError_tT0_T1_T2_jT3_P12ihipStream_tbPNSt15iterator_traitsISI_E10value_typeEPNSO_ISJ_E10value_typeEPSK_NS1_7vsmem_tEENKUlT_SI_SJ_SK_E_clISD_PiSD_S10_EESH_SX_SI_SJ_SK_EUlSX_E0_NS1_11comp_targetILNS1_3genE9ELNS1_11target_archE1100ELNS1_3gpuE3ELNS1_3repE0EEENS1_38merge_mergepath_config_static_selectorELNS0_4arch9wavefront6targetE1EEEvSJ_
		.amdhsa_group_segment_fixed_size 0
		.amdhsa_private_segment_fixed_size 0
		.amdhsa_kernarg_size 64
		.amdhsa_user_sgpr_count 2
		.amdhsa_user_sgpr_dispatch_ptr 0
		.amdhsa_user_sgpr_queue_ptr 0
		.amdhsa_user_sgpr_kernarg_segment_ptr 1
		.amdhsa_user_sgpr_dispatch_id 0
		.amdhsa_user_sgpr_kernarg_preload_length 0
		.amdhsa_user_sgpr_kernarg_preload_offset 0
		.amdhsa_user_sgpr_private_segment_size 0
		.amdhsa_uses_dynamic_stack 0
		.amdhsa_enable_private_segment 0
		.amdhsa_system_sgpr_workgroup_id_x 1
		.amdhsa_system_sgpr_workgroup_id_y 0
		.amdhsa_system_sgpr_workgroup_id_z 0
		.amdhsa_system_sgpr_workgroup_info 0
		.amdhsa_system_vgpr_workitem_id 0
		.amdhsa_next_free_vgpr 1
		.amdhsa_next_free_sgpr 0
		.amdhsa_accum_offset 4
		.amdhsa_reserve_vcc 0
		.amdhsa_float_round_mode_32 0
		.amdhsa_float_round_mode_16_64 0
		.amdhsa_float_denorm_mode_32 3
		.amdhsa_float_denorm_mode_16_64 3
		.amdhsa_dx10_clamp 1
		.amdhsa_ieee_mode 1
		.amdhsa_fp16_overflow 0
		.amdhsa_tg_split 0
		.amdhsa_exception_fp_ieee_invalid_op 0
		.amdhsa_exception_fp_denorm_src 0
		.amdhsa_exception_fp_ieee_div_zero 0
		.amdhsa_exception_fp_ieee_overflow 0
		.amdhsa_exception_fp_ieee_underflow 0
		.amdhsa_exception_fp_ieee_inexact 0
		.amdhsa_exception_int_div_zero 0
	.end_amdhsa_kernel
	.section	.text._ZN7rocprim17ROCPRIM_400000_NS6detail17trampoline_kernelINS0_14default_configENS1_38merge_sort_block_merge_config_selectorIiiEEZZNS1_27merge_sort_block_merge_implIS3_N6thrust23THRUST_200600_302600_NS6detail15normal_iteratorINS8_10device_ptrIiEEEESD_jNS1_19radix_merge_compareILb1ELb1EiNS0_19identity_decomposerEEEEE10hipError_tT0_T1_T2_jT3_P12ihipStream_tbPNSt15iterator_traitsISI_E10value_typeEPNSO_ISJ_E10value_typeEPSK_NS1_7vsmem_tEENKUlT_SI_SJ_SK_E_clISD_PiSD_S10_EESH_SX_SI_SJ_SK_EUlSX_E0_NS1_11comp_targetILNS1_3genE9ELNS1_11target_archE1100ELNS1_3gpuE3ELNS1_3repE0EEENS1_38merge_mergepath_config_static_selectorELNS0_4arch9wavefront6targetE1EEEvSJ_,"axG",@progbits,_ZN7rocprim17ROCPRIM_400000_NS6detail17trampoline_kernelINS0_14default_configENS1_38merge_sort_block_merge_config_selectorIiiEEZZNS1_27merge_sort_block_merge_implIS3_N6thrust23THRUST_200600_302600_NS6detail15normal_iteratorINS8_10device_ptrIiEEEESD_jNS1_19radix_merge_compareILb1ELb1EiNS0_19identity_decomposerEEEEE10hipError_tT0_T1_T2_jT3_P12ihipStream_tbPNSt15iterator_traitsISI_E10value_typeEPNSO_ISJ_E10value_typeEPSK_NS1_7vsmem_tEENKUlT_SI_SJ_SK_E_clISD_PiSD_S10_EESH_SX_SI_SJ_SK_EUlSX_E0_NS1_11comp_targetILNS1_3genE9ELNS1_11target_archE1100ELNS1_3gpuE3ELNS1_3repE0EEENS1_38merge_mergepath_config_static_selectorELNS0_4arch9wavefront6targetE1EEEvSJ_,comdat
.Lfunc_end1809:
	.size	_ZN7rocprim17ROCPRIM_400000_NS6detail17trampoline_kernelINS0_14default_configENS1_38merge_sort_block_merge_config_selectorIiiEEZZNS1_27merge_sort_block_merge_implIS3_N6thrust23THRUST_200600_302600_NS6detail15normal_iteratorINS8_10device_ptrIiEEEESD_jNS1_19radix_merge_compareILb1ELb1EiNS0_19identity_decomposerEEEEE10hipError_tT0_T1_T2_jT3_P12ihipStream_tbPNSt15iterator_traitsISI_E10value_typeEPNSO_ISJ_E10value_typeEPSK_NS1_7vsmem_tEENKUlT_SI_SJ_SK_E_clISD_PiSD_S10_EESH_SX_SI_SJ_SK_EUlSX_E0_NS1_11comp_targetILNS1_3genE9ELNS1_11target_archE1100ELNS1_3gpuE3ELNS1_3repE0EEENS1_38merge_mergepath_config_static_selectorELNS0_4arch9wavefront6targetE1EEEvSJ_, .Lfunc_end1809-_ZN7rocprim17ROCPRIM_400000_NS6detail17trampoline_kernelINS0_14default_configENS1_38merge_sort_block_merge_config_selectorIiiEEZZNS1_27merge_sort_block_merge_implIS3_N6thrust23THRUST_200600_302600_NS6detail15normal_iteratorINS8_10device_ptrIiEEEESD_jNS1_19radix_merge_compareILb1ELb1EiNS0_19identity_decomposerEEEEE10hipError_tT0_T1_T2_jT3_P12ihipStream_tbPNSt15iterator_traitsISI_E10value_typeEPNSO_ISJ_E10value_typeEPSK_NS1_7vsmem_tEENKUlT_SI_SJ_SK_E_clISD_PiSD_S10_EESH_SX_SI_SJ_SK_EUlSX_E0_NS1_11comp_targetILNS1_3genE9ELNS1_11target_archE1100ELNS1_3gpuE3ELNS1_3repE0EEENS1_38merge_mergepath_config_static_selectorELNS0_4arch9wavefront6targetE1EEEvSJ_
                                        ; -- End function
	.set _ZN7rocprim17ROCPRIM_400000_NS6detail17trampoline_kernelINS0_14default_configENS1_38merge_sort_block_merge_config_selectorIiiEEZZNS1_27merge_sort_block_merge_implIS3_N6thrust23THRUST_200600_302600_NS6detail15normal_iteratorINS8_10device_ptrIiEEEESD_jNS1_19radix_merge_compareILb1ELb1EiNS0_19identity_decomposerEEEEE10hipError_tT0_T1_T2_jT3_P12ihipStream_tbPNSt15iterator_traitsISI_E10value_typeEPNSO_ISJ_E10value_typeEPSK_NS1_7vsmem_tEENKUlT_SI_SJ_SK_E_clISD_PiSD_S10_EESH_SX_SI_SJ_SK_EUlSX_E0_NS1_11comp_targetILNS1_3genE9ELNS1_11target_archE1100ELNS1_3gpuE3ELNS1_3repE0EEENS1_38merge_mergepath_config_static_selectorELNS0_4arch9wavefront6targetE1EEEvSJ_.num_vgpr, 0
	.set _ZN7rocprim17ROCPRIM_400000_NS6detail17trampoline_kernelINS0_14default_configENS1_38merge_sort_block_merge_config_selectorIiiEEZZNS1_27merge_sort_block_merge_implIS3_N6thrust23THRUST_200600_302600_NS6detail15normal_iteratorINS8_10device_ptrIiEEEESD_jNS1_19radix_merge_compareILb1ELb1EiNS0_19identity_decomposerEEEEE10hipError_tT0_T1_T2_jT3_P12ihipStream_tbPNSt15iterator_traitsISI_E10value_typeEPNSO_ISJ_E10value_typeEPSK_NS1_7vsmem_tEENKUlT_SI_SJ_SK_E_clISD_PiSD_S10_EESH_SX_SI_SJ_SK_EUlSX_E0_NS1_11comp_targetILNS1_3genE9ELNS1_11target_archE1100ELNS1_3gpuE3ELNS1_3repE0EEENS1_38merge_mergepath_config_static_selectorELNS0_4arch9wavefront6targetE1EEEvSJ_.num_agpr, 0
	.set _ZN7rocprim17ROCPRIM_400000_NS6detail17trampoline_kernelINS0_14default_configENS1_38merge_sort_block_merge_config_selectorIiiEEZZNS1_27merge_sort_block_merge_implIS3_N6thrust23THRUST_200600_302600_NS6detail15normal_iteratorINS8_10device_ptrIiEEEESD_jNS1_19radix_merge_compareILb1ELb1EiNS0_19identity_decomposerEEEEE10hipError_tT0_T1_T2_jT3_P12ihipStream_tbPNSt15iterator_traitsISI_E10value_typeEPNSO_ISJ_E10value_typeEPSK_NS1_7vsmem_tEENKUlT_SI_SJ_SK_E_clISD_PiSD_S10_EESH_SX_SI_SJ_SK_EUlSX_E0_NS1_11comp_targetILNS1_3genE9ELNS1_11target_archE1100ELNS1_3gpuE3ELNS1_3repE0EEENS1_38merge_mergepath_config_static_selectorELNS0_4arch9wavefront6targetE1EEEvSJ_.numbered_sgpr, 0
	.set _ZN7rocprim17ROCPRIM_400000_NS6detail17trampoline_kernelINS0_14default_configENS1_38merge_sort_block_merge_config_selectorIiiEEZZNS1_27merge_sort_block_merge_implIS3_N6thrust23THRUST_200600_302600_NS6detail15normal_iteratorINS8_10device_ptrIiEEEESD_jNS1_19radix_merge_compareILb1ELb1EiNS0_19identity_decomposerEEEEE10hipError_tT0_T1_T2_jT3_P12ihipStream_tbPNSt15iterator_traitsISI_E10value_typeEPNSO_ISJ_E10value_typeEPSK_NS1_7vsmem_tEENKUlT_SI_SJ_SK_E_clISD_PiSD_S10_EESH_SX_SI_SJ_SK_EUlSX_E0_NS1_11comp_targetILNS1_3genE9ELNS1_11target_archE1100ELNS1_3gpuE3ELNS1_3repE0EEENS1_38merge_mergepath_config_static_selectorELNS0_4arch9wavefront6targetE1EEEvSJ_.num_named_barrier, 0
	.set _ZN7rocprim17ROCPRIM_400000_NS6detail17trampoline_kernelINS0_14default_configENS1_38merge_sort_block_merge_config_selectorIiiEEZZNS1_27merge_sort_block_merge_implIS3_N6thrust23THRUST_200600_302600_NS6detail15normal_iteratorINS8_10device_ptrIiEEEESD_jNS1_19radix_merge_compareILb1ELb1EiNS0_19identity_decomposerEEEEE10hipError_tT0_T1_T2_jT3_P12ihipStream_tbPNSt15iterator_traitsISI_E10value_typeEPNSO_ISJ_E10value_typeEPSK_NS1_7vsmem_tEENKUlT_SI_SJ_SK_E_clISD_PiSD_S10_EESH_SX_SI_SJ_SK_EUlSX_E0_NS1_11comp_targetILNS1_3genE9ELNS1_11target_archE1100ELNS1_3gpuE3ELNS1_3repE0EEENS1_38merge_mergepath_config_static_selectorELNS0_4arch9wavefront6targetE1EEEvSJ_.private_seg_size, 0
	.set _ZN7rocprim17ROCPRIM_400000_NS6detail17trampoline_kernelINS0_14default_configENS1_38merge_sort_block_merge_config_selectorIiiEEZZNS1_27merge_sort_block_merge_implIS3_N6thrust23THRUST_200600_302600_NS6detail15normal_iteratorINS8_10device_ptrIiEEEESD_jNS1_19radix_merge_compareILb1ELb1EiNS0_19identity_decomposerEEEEE10hipError_tT0_T1_T2_jT3_P12ihipStream_tbPNSt15iterator_traitsISI_E10value_typeEPNSO_ISJ_E10value_typeEPSK_NS1_7vsmem_tEENKUlT_SI_SJ_SK_E_clISD_PiSD_S10_EESH_SX_SI_SJ_SK_EUlSX_E0_NS1_11comp_targetILNS1_3genE9ELNS1_11target_archE1100ELNS1_3gpuE3ELNS1_3repE0EEENS1_38merge_mergepath_config_static_selectorELNS0_4arch9wavefront6targetE1EEEvSJ_.uses_vcc, 0
	.set _ZN7rocprim17ROCPRIM_400000_NS6detail17trampoline_kernelINS0_14default_configENS1_38merge_sort_block_merge_config_selectorIiiEEZZNS1_27merge_sort_block_merge_implIS3_N6thrust23THRUST_200600_302600_NS6detail15normal_iteratorINS8_10device_ptrIiEEEESD_jNS1_19radix_merge_compareILb1ELb1EiNS0_19identity_decomposerEEEEE10hipError_tT0_T1_T2_jT3_P12ihipStream_tbPNSt15iterator_traitsISI_E10value_typeEPNSO_ISJ_E10value_typeEPSK_NS1_7vsmem_tEENKUlT_SI_SJ_SK_E_clISD_PiSD_S10_EESH_SX_SI_SJ_SK_EUlSX_E0_NS1_11comp_targetILNS1_3genE9ELNS1_11target_archE1100ELNS1_3gpuE3ELNS1_3repE0EEENS1_38merge_mergepath_config_static_selectorELNS0_4arch9wavefront6targetE1EEEvSJ_.uses_flat_scratch, 0
	.set _ZN7rocprim17ROCPRIM_400000_NS6detail17trampoline_kernelINS0_14default_configENS1_38merge_sort_block_merge_config_selectorIiiEEZZNS1_27merge_sort_block_merge_implIS3_N6thrust23THRUST_200600_302600_NS6detail15normal_iteratorINS8_10device_ptrIiEEEESD_jNS1_19radix_merge_compareILb1ELb1EiNS0_19identity_decomposerEEEEE10hipError_tT0_T1_T2_jT3_P12ihipStream_tbPNSt15iterator_traitsISI_E10value_typeEPNSO_ISJ_E10value_typeEPSK_NS1_7vsmem_tEENKUlT_SI_SJ_SK_E_clISD_PiSD_S10_EESH_SX_SI_SJ_SK_EUlSX_E0_NS1_11comp_targetILNS1_3genE9ELNS1_11target_archE1100ELNS1_3gpuE3ELNS1_3repE0EEENS1_38merge_mergepath_config_static_selectorELNS0_4arch9wavefront6targetE1EEEvSJ_.has_dyn_sized_stack, 0
	.set _ZN7rocprim17ROCPRIM_400000_NS6detail17trampoline_kernelINS0_14default_configENS1_38merge_sort_block_merge_config_selectorIiiEEZZNS1_27merge_sort_block_merge_implIS3_N6thrust23THRUST_200600_302600_NS6detail15normal_iteratorINS8_10device_ptrIiEEEESD_jNS1_19radix_merge_compareILb1ELb1EiNS0_19identity_decomposerEEEEE10hipError_tT0_T1_T2_jT3_P12ihipStream_tbPNSt15iterator_traitsISI_E10value_typeEPNSO_ISJ_E10value_typeEPSK_NS1_7vsmem_tEENKUlT_SI_SJ_SK_E_clISD_PiSD_S10_EESH_SX_SI_SJ_SK_EUlSX_E0_NS1_11comp_targetILNS1_3genE9ELNS1_11target_archE1100ELNS1_3gpuE3ELNS1_3repE0EEENS1_38merge_mergepath_config_static_selectorELNS0_4arch9wavefront6targetE1EEEvSJ_.has_recursion, 0
	.set _ZN7rocprim17ROCPRIM_400000_NS6detail17trampoline_kernelINS0_14default_configENS1_38merge_sort_block_merge_config_selectorIiiEEZZNS1_27merge_sort_block_merge_implIS3_N6thrust23THRUST_200600_302600_NS6detail15normal_iteratorINS8_10device_ptrIiEEEESD_jNS1_19radix_merge_compareILb1ELb1EiNS0_19identity_decomposerEEEEE10hipError_tT0_T1_T2_jT3_P12ihipStream_tbPNSt15iterator_traitsISI_E10value_typeEPNSO_ISJ_E10value_typeEPSK_NS1_7vsmem_tEENKUlT_SI_SJ_SK_E_clISD_PiSD_S10_EESH_SX_SI_SJ_SK_EUlSX_E0_NS1_11comp_targetILNS1_3genE9ELNS1_11target_archE1100ELNS1_3gpuE3ELNS1_3repE0EEENS1_38merge_mergepath_config_static_selectorELNS0_4arch9wavefront6targetE1EEEvSJ_.has_indirect_call, 0
	.section	.AMDGPU.csdata,"",@progbits
; Kernel info:
; codeLenInByte = 0
; TotalNumSgprs: 6
; NumVgprs: 0
; NumAgprs: 0
; TotalNumVgprs: 0
; ScratchSize: 0
; MemoryBound: 0
; FloatMode: 240
; IeeeMode: 1
; LDSByteSize: 0 bytes/workgroup (compile time only)
; SGPRBlocks: 0
; VGPRBlocks: 0
; NumSGPRsForWavesPerEU: 6
; NumVGPRsForWavesPerEU: 1
; AccumOffset: 4
; Occupancy: 8
; WaveLimiterHint : 0
; COMPUTE_PGM_RSRC2:SCRATCH_EN: 0
; COMPUTE_PGM_RSRC2:USER_SGPR: 2
; COMPUTE_PGM_RSRC2:TRAP_HANDLER: 0
; COMPUTE_PGM_RSRC2:TGID_X_EN: 1
; COMPUTE_PGM_RSRC2:TGID_Y_EN: 0
; COMPUTE_PGM_RSRC2:TGID_Z_EN: 0
; COMPUTE_PGM_RSRC2:TIDIG_COMP_CNT: 0
; COMPUTE_PGM_RSRC3_GFX90A:ACCUM_OFFSET: 0
; COMPUTE_PGM_RSRC3_GFX90A:TG_SPLIT: 0
	.section	.text._ZN7rocprim17ROCPRIM_400000_NS6detail17trampoline_kernelINS0_14default_configENS1_38merge_sort_block_merge_config_selectorIiiEEZZNS1_27merge_sort_block_merge_implIS3_N6thrust23THRUST_200600_302600_NS6detail15normal_iteratorINS8_10device_ptrIiEEEESD_jNS1_19radix_merge_compareILb1ELb1EiNS0_19identity_decomposerEEEEE10hipError_tT0_T1_T2_jT3_P12ihipStream_tbPNSt15iterator_traitsISI_E10value_typeEPNSO_ISJ_E10value_typeEPSK_NS1_7vsmem_tEENKUlT_SI_SJ_SK_E_clISD_PiSD_S10_EESH_SX_SI_SJ_SK_EUlSX_E0_NS1_11comp_targetILNS1_3genE8ELNS1_11target_archE1030ELNS1_3gpuE2ELNS1_3repE0EEENS1_38merge_mergepath_config_static_selectorELNS0_4arch9wavefront6targetE1EEEvSJ_,"axG",@progbits,_ZN7rocprim17ROCPRIM_400000_NS6detail17trampoline_kernelINS0_14default_configENS1_38merge_sort_block_merge_config_selectorIiiEEZZNS1_27merge_sort_block_merge_implIS3_N6thrust23THRUST_200600_302600_NS6detail15normal_iteratorINS8_10device_ptrIiEEEESD_jNS1_19radix_merge_compareILb1ELb1EiNS0_19identity_decomposerEEEEE10hipError_tT0_T1_T2_jT3_P12ihipStream_tbPNSt15iterator_traitsISI_E10value_typeEPNSO_ISJ_E10value_typeEPSK_NS1_7vsmem_tEENKUlT_SI_SJ_SK_E_clISD_PiSD_S10_EESH_SX_SI_SJ_SK_EUlSX_E0_NS1_11comp_targetILNS1_3genE8ELNS1_11target_archE1030ELNS1_3gpuE2ELNS1_3repE0EEENS1_38merge_mergepath_config_static_selectorELNS0_4arch9wavefront6targetE1EEEvSJ_,comdat
	.protected	_ZN7rocprim17ROCPRIM_400000_NS6detail17trampoline_kernelINS0_14default_configENS1_38merge_sort_block_merge_config_selectorIiiEEZZNS1_27merge_sort_block_merge_implIS3_N6thrust23THRUST_200600_302600_NS6detail15normal_iteratorINS8_10device_ptrIiEEEESD_jNS1_19radix_merge_compareILb1ELb1EiNS0_19identity_decomposerEEEEE10hipError_tT0_T1_T2_jT3_P12ihipStream_tbPNSt15iterator_traitsISI_E10value_typeEPNSO_ISJ_E10value_typeEPSK_NS1_7vsmem_tEENKUlT_SI_SJ_SK_E_clISD_PiSD_S10_EESH_SX_SI_SJ_SK_EUlSX_E0_NS1_11comp_targetILNS1_3genE8ELNS1_11target_archE1030ELNS1_3gpuE2ELNS1_3repE0EEENS1_38merge_mergepath_config_static_selectorELNS0_4arch9wavefront6targetE1EEEvSJ_ ; -- Begin function _ZN7rocprim17ROCPRIM_400000_NS6detail17trampoline_kernelINS0_14default_configENS1_38merge_sort_block_merge_config_selectorIiiEEZZNS1_27merge_sort_block_merge_implIS3_N6thrust23THRUST_200600_302600_NS6detail15normal_iteratorINS8_10device_ptrIiEEEESD_jNS1_19radix_merge_compareILb1ELb1EiNS0_19identity_decomposerEEEEE10hipError_tT0_T1_T2_jT3_P12ihipStream_tbPNSt15iterator_traitsISI_E10value_typeEPNSO_ISJ_E10value_typeEPSK_NS1_7vsmem_tEENKUlT_SI_SJ_SK_E_clISD_PiSD_S10_EESH_SX_SI_SJ_SK_EUlSX_E0_NS1_11comp_targetILNS1_3genE8ELNS1_11target_archE1030ELNS1_3gpuE2ELNS1_3repE0EEENS1_38merge_mergepath_config_static_selectorELNS0_4arch9wavefront6targetE1EEEvSJ_
	.globl	_ZN7rocprim17ROCPRIM_400000_NS6detail17trampoline_kernelINS0_14default_configENS1_38merge_sort_block_merge_config_selectorIiiEEZZNS1_27merge_sort_block_merge_implIS3_N6thrust23THRUST_200600_302600_NS6detail15normal_iteratorINS8_10device_ptrIiEEEESD_jNS1_19radix_merge_compareILb1ELb1EiNS0_19identity_decomposerEEEEE10hipError_tT0_T1_T2_jT3_P12ihipStream_tbPNSt15iterator_traitsISI_E10value_typeEPNSO_ISJ_E10value_typeEPSK_NS1_7vsmem_tEENKUlT_SI_SJ_SK_E_clISD_PiSD_S10_EESH_SX_SI_SJ_SK_EUlSX_E0_NS1_11comp_targetILNS1_3genE8ELNS1_11target_archE1030ELNS1_3gpuE2ELNS1_3repE0EEENS1_38merge_mergepath_config_static_selectorELNS0_4arch9wavefront6targetE1EEEvSJ_
	.p2align	8
	.type	_ZN7rocprim17ROCPRIM_400000_NS6detail17trampoline_kernelINS0_14default_configENS1_38merge_sort_block_merge_config_selectorIiiEEZZNS1_27merge_sort_block_merge_implIS3_N6thrust23THRUST_200600_302600_NS6detail15normal_iteratorINS8_10device_ptrIiEEEESD_jNS1_19radix_merge_compareILb1ELb1EiNS0_19identity_decomposerEEEEE10hipError_tT0_T1_T2_jT3_P12ihipStream_tbPNSt15iterator_traitsISI_E10value_typeEPNSO_ISJ_E10value_typeEPSK_NS1_7vsmem_tEENKUlT_SI_SJ_SK_E_clISD_PiSD_S10_EESH_SX_SI_SJ_SK_EUlSX_E0_NS1_11comp_targetILNS1_3genE8ELNS1_11target_archE1030ELNS1_3gpuE2ELNS1_3repE0EEENS1_38merge_mergepath_config_static_selectorELNS0_4arch9wavefront6targetE1EEEvSJ_,@function
_ZN7rocprim17ROCPRIM_400000_NS6detail17trampoline_kernelINS0_14default_configENS1_38merge_sort_block_merge_config_selectorIiiEEZZNS1_27merge_sort_block_merge_implIS3_N6thrust23THRUST_200600_302600_NS6detail15normal_iteratorINS8_10device_ptrIiEEEESD_jNS1_19radix_merge_compareILb1ELb1EiNS0_19identity_decomposerEEEEE10hipError_tT0_T1_T2_jT3_P12ihipStream_tbPNSt15iterator_traitsISI_E10value_typeEPNSO_ISJ_E10value_typeEPSK_NS1_7vsmem_tEENKUlT_SI_SJ_SK_E_clISD_PiSD_S10_EESH_SX_SI_SJ_SK_EUlSX_E0_NS1_11comp_targetILNS1_3genE8ELNS1_11target_archE1030ELNS1_3gpuE2ELNS1_3repE0EEENS1_38merge_mergepath_config_static_selectorELNS0_4arch9wavefront6targetE1EEEvSJ_: ; @_ZN7rocprim17ROCPRIM_400000_NS6detail17trampoline_kernelINS0_14default_configENS1_38merge_sort_block_merge_config_selectorIiiEEZZNS1_27merge_sort_block_merge_implIS3_N6thrust23THRUST_200600_302600_NS6detail15normal_iteratorINS8_10device_ptrIiEEEESD_jNS1_19radix_merge_compareILb1ELb1EiNS0_19identity_decomposerEEEEE10hipError_tT0_T1_T2_jT3_P12ihipStream_tbPNSt15iterator_traitsISI_E10value_typeEPNSO_ISJ_E10value_typeEPSK_NS1_7vsmem_tEENKUlT_SI_SJ_SK_E_clISD_PiSD_S10_EESH_SX_SI_SJ_SK_EUlSX_E0_NS1_11comp_targetILNS1_3genE8ELNS1_11target_archE1030ELNS1_3gpuE2ELNS1_3repE0EEENS1_38merge_mergepath_config_static_selectorELNS0_4arch9wavefront6targetE1EEEvSJ_
; %bb.0:
	.section	.rodata,"a",@progbits
	.p2align	6, 0x0
	.amdhsa_kernel _ZN7rocprim17ROCPRIM_400000_NS6detail17trampoline_kernelINS0_14default_configENS1_38merge_sort_block_merge_config_selectorIiiEEZZNS1_27merge_sort_block_merge_implIS3_N6thrust23THRUST_200600_302600_NS6detail15normal_iteratorINS8_10device_ptrIiEEEESD_jNS1_19radix_merge_compareILb1ELb1EiNS0_19identity_decomposerEEEEE10hipError_tT0_T1_T2_jT3_P12ihipStream_tbPNSt15iterator_traitsISI_E10value_typeEPNSO_ISJ_E10value_typeEPSK_NS1_7vsmem_tEENKUlT_SI_SJ_SK_E_clISD_PiSD_S10_EESH_SX_SI_SJ_SK_EUlSX_E0_NS1_11comp_targetILNS1_3genE8ELNS1_11target_archE1030ELNS1_3gpuE2ELNS1_3repE0EEENS1_38merge_mergepath_config_static_selectorELNS0_4arch9wavefront6targetE1EEEvSJ_
		.amdhsa_group_segment_fixed_size 0
		.amdhsa_private_segment_fixed_size 0
		.amdhsa_kernarg_size 64
		.amdhsa_user_sgpr_count 2
		.amdhsa_user_sgpr_dispatch_ptr 0
		.amdhsa_user_sgpr_queue_ptr 0
		.amdhsa_user_sgpr_kernarg_segment_ptr 1
		.amdhsa_user_sgpr_dispatch_id 0
		.amdhsa_user_sgpr_kernarg_preload_length 0
		.amdhsa_user_sgpr_kernarg_preload_offset 0
		.amdhsa_user_sgpr_private_segment_size 0
		.amdhsa_uses_dynamic_stack 0
		.amdhsa_enable_private_segment 0
		.amdhsa_system_sgpr_workgroup_id_x 1
		.amdhsa_system_sgpr_workgroup_id_y 0
		.amdhsa_system_sgpr_workgroup_id_z 0
		.amdhsa_system_sgpr_workgroup_info 0
		.amdhsa_system_vgpr_workitem_id 0
		.amdhsa_next_free_vgpr 1
		.amdhsa_next_free_sgpr 0
		.amdhsa_accum_offset 4
		.amdhsa_reserve_vcc 0
		.amdhsa_float_round_mode_32 0
		.amdhsa_float_round_mode_16_64 0
		.amdhsa_float_denorm_mode_32 3
		.amdhsa_float_denorm_mode_16_64 3
		.amdhsa_dx10_clamp 1
		.amdhsa_ieee_mode 1
		.amdhsa_fp16_overflow 0
		.amdhsa_tg_split 0
		.amdhsa_exception_fp_ieee_invalid_op 0
		.amdhsa_exception_fp_denorm_src 0
		.amdhsa_exception_fp_ieee_div_zero 0
		.amdhsa_exception_fp_ieee_overflow 0
		.amdhsa_exception_fp_ieee_underflow 0
		.amdhsa_exception_fp_ieee_inexact 0
		.amdhsa_exception_int_div_zero 0
	.end_amdhsa_kernel
	.section	.text._ZN7rocprim17ROCPRIM_400000_NS6detail17trampoline_kernelINS0_14default_configENS1_38merge_sort_block_merge_config_selectorIiiEEZZNS1_27merge_sort_block_merge_implIS3_N6thrust23THRUST_200600_302600_NS6detail15normal_iteratorINS8_10device_ptrIiEEEESD_jNS1_19radix_merge_compareILb1ELb1EiNS0_19identity_decomposerEEEEE10hipError_tT0_T1_T2_jT3_P12ihipStream_tbPNSt15iterator_traitsISI_E10value_typeEPNSO_ISJ_E10value_typeEPSK_NS1_7vsmem_tEENKUlT_SI_SJ_SK_E_clISD_PiSD_S10_EESH_SX_SI_SJ_SK_EUlSX_E0_NS1_11comp_targetILNS1_3genE8ELNS1_11target_archE1030ELNS1_3gpuE2ELNS1_3repE0EEENS1_38merge_mergepath_config_static_selectorELNS0_4arch9wavefront6targetE1EEEvSJ_,"axG",@progbits,_ZN7rocprim17ROCPRIM_400000_NS6detail17trampoline_kernelINS0_14default_configENS1_38merge_sort_block_merge_config_selectorIiiEEZZNS1_27merge_sort_block_merge_implIS3_N6thrust23THRUST_200600_302600_NS6detail15normal_iteratorINS8_10device_ptrIiEEEESD_jNS1_19radix_merge_compareILb1ELb1EiNS0_19identity_decomposerEEEEE10hipError_tT0_T1_T2_jT3_P12ihipStream_tbPNSt15iterator_traitsISI_E10value_typeEPNSO_ISJ_E10value_typeEPSK_NS1_7vsmem_tEENKUlT_SI_SJ_SK_E_clISD_PiSD_S10_EESH_SX_SI_SJ_SK_EUlSX_E0_NS1_11comp_targetILNS1_3genE8ELNS1_11target_archE1030ELNS1_3gpuE2ELNS1_3repE0EEENS1_38merge_mergepath_config_static_selectorELNS0_4arch9wavefront6targetE1EEEvSJ_,comdat
.Lfunc_end1810:
	.size	_ZN7rocprim17ROCPRIM_400000_NS6detail17trampoline_kernelINS0_14default_configENS1_38merge_sort_block_merge_config_selectorIiiEEZZNS1_27merge_sort_block_merge_implIS3_N6thrust23THRUST_200600_302600_NS6detail15normal_iteratorINS8_10device_ptrIiEEEESD_jNS1_19radix_merge_compareILb1ELb1EiNS0_19identity_decomposerEEEEE10hipError_tT0_T1_T2_jT3_P12ihipStream_tbPNSt15iterator_traitsISI_E10value_typeEPNSO_ISJ_E10value_typeEPSK_NS1_7vsmem_tEENKUlT_SI_SJ_SK_E_clISD_PiSD_S10_EESH_SX_SI_SJ_SK_EUlSX_E0_NS1_11comp_targetILNS1_3genE8ELNS1_11target_archE1030ELNS1_3gpuE2ELNS1_3repE0EEENS1_38merge_mergepath_config_static_selectorELNS0_4arch9wavefront6targetE1EEEvSJ_, .Lfunc_end1810-_ZN7rocprim17ROCPRIM_400000_NS6detail17trampoline_kernelINS0_14default_configENS1_38merge_sort_block_merge_config_selectorIiiEEZZNS1_27merge_sort_block_merge_implIS3_N6thrust23THRUST_200600_302600_NS6detail15normal_iteratorINS8_10device_ptrIiEEEESD_jNS1_19radix_merge_compareILb1ELb1EiNS0_19identity_decomposerEEEEE10hipError_tT0_T1_T2_jT3_P12ihipStream_tbPNSt15iterator_traitsISI_E10value_typeEPNSO_ISJ_E10value_typeEPSK_NS1_7vsmem_tEENKUlT_SI_SJ_SK_E_clISD_PiSD_S10_EESH_SX_SI_SJ_SK_EUlSX_E0_NS1_11comp_targetILNS1_3genE8ELNS1_11target_archE1030ELNS1_3gpuE2ELNS1_3repE0EEENS1_38merge_mergepath_config_static_selectorELNS0_4arch9wavefront6targetE1EEEvSJ_
                                        ; -- End function
	.set _ZN7rocprim17ROCPRIM_400000_NS6detail17trampoline_kernelINS0_14default_configENS1_38merge_sort_block_merge_config_selectorIiiEEZZNS1_27merge_sort_block_merge_implIS3_N6thrust23THRUST_200600_302600_NS6detail15normal_iteratorINS8_10device_ptrIiEEEESD_jNS1_19radix_merge_compareILb1ELb1EiNS0_19identity_decomposerEEEEE10hipError_tT0_T1_T2_jT3_P12ihipStream_tbPNSt15iterator_traitsISI_E10value_typeEPNSO_ISJ_E10value_typeEPSK_NS1_7vsmem_tEENKUlT_SI_SJ_SK_E_clISD_PiSD_S10_EESH_SX_SI_SJ_SK_EUlSX_E0_NS1_11comp_targetILNS1_3genE8ELNS1_11target_archE1030ELNS1_3gpuE2ELNS1_3repE0EEENS1_38merge_mergepath_config_static_selectorELNS0_4arch9wavefront6targetE1EEEvSJ_.num_vgpr, 0
	.set _ZN7rocprim17ROCPRIM_400000_NS6detail17trampoline_kernelINS0_14default_configENS1_38merge_sort_block_merge_config_selectorIiiEEZZNS1_27merge_sort_block_merge_implIS3_N6thrust23THRUST_200600_302600_NS6detail15normal_iteratorINS8_10device_ptrIiEEEESD_jNS1_19radix_merge_compareILb1ELb1EiNS0_19identity_decomposerEEEEE10hipError_tT0_T1_T2_jT3_P12ihipStream_tbPNSt15iterator_traitsISI_E10value_typeEPNSO_ISJ_E10value_typeEPSK_NS1_7vsmem_tEENKUlT_SI_SJ_SK_E_clISD_PiSD_S10_EESH_SX_SI_SJ_SK_EUlSX_E0_NS1_11comp_targetILNS1_3genE8ELNS1_11target_archE1030ELNS1_3gpuE2ELNS1_3repE0EEENS1_38merge_mergepath_config_static_selectorELNS0_4arch9wavefront6targetE1EEEvSJ_.num_agpr, 0
	.set _ZN7rocprim17ROCPRIM_400000_NS6detail17trampoline_kernelINS0_14default_configENS1_38merge_sort_block_merge_config_selectorIiiEEZZNS1_27merge_sort_block_merge_implIS3_N6thrust23THRUST_200600_302600_NS6detail15normal_iteratorINS8_10device_ptrIiEEEESD_jNS1_19radix_merge_compareILb1ELb1EiNS0_19identity_decomposerEEEEE10hipError_tT0_T1_T2_jT3_P12ihipStream_tbPNSt15iterator_traitsISI_E10value_typeEPNSO_ISJ_E10value_typeEPSK_NS1_7vsmem_tEENKUlT_SI_SJ_SK_E_clISD_PiSD_S10_EESH_SX_SI_SJ_SK_EUlSX_E0_NS1_11comp_targetILNS1_3genE8ELNS1_11target_archE1030ELNS1_3gpuE2ELNS1_3repE0EEENS1_38merge_mergepath_config_static_selectorELNS0_4arch9wavefront6targetE1EEEvSJ_.numbered_sgpr, 0
	.set _ZN7rocprim17ROCPRIM_400000_NS6detail17trampoline_kernelINS0_14default_configENS1_38merge_sort_block_merge_config_selectorIiiEEZZNS1_27merge_sort_block_merge_implIS3_N6thrust23THRUST_200600_302600_NS6detail15normal_iteratorINS8_10device_ptrIiEEEESD_jNS1_19radix_merge_compareILb1ELb1EiNS0_19identity_decomposerEEEEE10hipError_tT0_T1_T2_jT3_P12ihipStream_tbPNSt15iterator_traitsISI_E10value_typeEPNSO_ISJ_E10value_typeEPSK_NS1_7vsmem_tEENKUlT_SI_SJ_SK_E_clISD_PiSD_S10_EESH_SX_SI_SJ_SK_EUlSX_E0_NS1_11comp_targetILNS1_3genE8ELNS1_11target_archE1030ELNS1_3gpuE2ELNS1_3repE0EEENS1_38merge_mergepath_config_static_selectorELNS0_4arch9wavefront6targetE1EEEvSJ_.num_named_barrier, 0
	.set _ZN7rocprim17ROCPRIM_400000_NS6detail17trampoline_kernelINS0_14default_configENS1_38merge_sort_block_merge_config_selectorIiiEEZZNS1_27merge_sort_block_merge_implIS3_N6thrust23THRUST_200600_302600_NS6detail15normal_iteratorINS8_10device_ptrIiEEEESD_jNS1_19radix_merge_compareILb1ELb1EiNS0_19identity_decomposerEEEEE10hipError_tT0_T1_T2_jT3_P12ihipStream_tbPNSt15iterator_traitsISI_E10value_typeEPNSO_ISJ_E10value_typeEPSK_NS1_7vsmem_tEENKUlT_SI_SJ_SK_E_clISD_PiSD_S10_EESH_SX_SI_SJ_SK_EUlSX_E0_NS1_11comp_targetILNS1_3genE8ELNS1_11target_archE1030ELNS1_3gpuE2ELNS1_3repE0EEENS1_38merge_mergepath_config_static_selectorELNS0_4arch9wavefront6targetE1EEEvSJ_.private_seg_size, 0
	.set _ZN7rocprim17ROCPRIM_400000_NS6detail17trampoline_kernelINS0_14default_configENS1_38merge_sort_block_merge_config_selectorIiiEEZZNS1_27merge_sort_block_merge_implIS3_N6thrust23THRUST_200600_302600_NS6detail15normal_iteratorINS8_10device_ptrIiEEEESD_jNS1_19radix_merge_compareILb1ELb1EiNS0_19identity_decomposerEEEEE10hipError_tT0_T1_T2_jT3_P12ihipStream_tbPNSt15iterator_traitsISI_E10value_typeEPNSO_ISJ_E10value_typeEPSK_NS1_7vsmem_tEENKUlT_SI_SJ_SK_E_clISD_PiSD_S10_EESH_SX_SI_SJ_SK_EUlSX_E0_NS1_11comp_targetILNS1_3genE8ELNS1_11target_archE1030ELNS1_3gpuE2ELNS1_3repE0EEENS1_38merge_mergepath_config_static_selectorELNS0_4arch9wavefront6targetE1EEEvSJ_.uses_vcc, 0
	.set _ZN7rocprim17ROCPRIM_400000_NS6detail17trampoline_kernelINS0_14default_configENS1_38merge_sort_block_merge_config_selectorIiiEEZZNS1_27merge_sort_block_merge_implIS3_N6thrust23THRUST_200600_302600_NS6detail15normal_iteratorINS8_10device_ptrIiEEEESD_jNS1_19radix_merge_compareILb1ELb1EiNS0_19identity_decomposerEEEEE10hipError_tT0_T1_T2_jT3_P12ihipStream_tbPNSt15iterator_traitsISI_E10value_typeEPNSO_ISJ_E10value_typeEPSK_NS1_7vsmem_tEENKUlT_SI_SJ_SK_E_clISD_PiSD_S10_EESH_SX_SI_SJ_SK_EUlSX_E0_NS1_11comp_targetILNS1_3genE8ELNS1_11target_archE1030ELNS1_3gpuE2ELNS1_3repE0EEENS1_38merge_mergepath_config_static_selectorELNS0_4arch9wavefront6targetE1EEEvSJ_.uses_flat_scratch, 0
	.set _ZN7rocprim17ROCPRIM_400000_NS6detail17trampoline_kernelINS0_14default_configENS1_38merge_sort_block_merge_config_selectorIiiEEZZNS1_27merge_sort_block_merge_implIS3_N6thrust23THRUST_200600_302600_NS6detail15normal_iteratorINS8_10device_ptrIiEEEESD_jNS1_19radix_merge_compareILb1ELb1EiNS0_19identity_decomposerEEEEE10hipError_tT0_T1_T2_jT3_P12ihipStream_tbPNSt15iterator_traitsISI_E10value_typeEPNSO_ISJ_E10value_typeEPSK_NS1_7vsmem_tEENKUlT_SI_SJ_SK_E_clISD_PiSD_S10_EESH_SX_SI_SJ_SK_EUlSX_E0_NS1_11comp_targetILNS1_3genE8ELNS1_11target_archE1030ELNS1_3gpuE2ELNS1_3repE0EEENS1_38merge_mergepath_config_static_selectorELNS0_4arch9wavefront6targetE1EEEvSJ_.has_dyn_sized_stack, 0
	.set _ZN7rocprim17ROCPRIM_400000_NS6detail17trampoline_kernelINS0_14default_configENS1_38merge_sort_block_merge_config_selectorIiiEEZZNS1_27merge_sort_block_merge_implIS3_N6thrust23THRUST_200600_302600_NS6detail15normal_iteratorINS8_10device_ptrIiEEEESD_jNS1_19radix_merge_compareILb1ELb1EiNS0_19identity_decomposerEEEEE10hipError_tT0_T1_T2_jT3_P12ihipStream_tbPNSt15iterator_traitsISI_E10value_typeEPNSO_ISJ_E10value_typeEPSK_NS1_7vsmem_tEENKUlT_SI_SJ_SK_E_clISD_PiSD_S10_EESH_SX_SI_SJ_SK_EUlSX_E0_NS1_11comp_targetILNS1_3genE8ELNS1_11target_archE1030ELNS1_3gpuE2ELNS1_3repE0EEENS1_38merge_mergepath_config_static_selectorELNS0_4arch9wavefront6targetE1EEEvSJ_.has_recursion, 0
	.set _ZN7rocprim17ROCPRIM_400000_NS6detail17trampoline_kernelINS0_14default_configENS1_38merge_sort_block_merge_config_selectorIiiEEZZNS1_27merge_sort_block_merge_implIS3_N6thrust23THRUST_200600_302600_NS6detail15normal_iteratorINS8_10device_ptrIiEEEESD_jNS1_19radix_merge_compareILb1ELb1EiNS0_19identity_decomposerEEEEE10hipError_tT0_T1_T2_jT3_P12ihipStream_tbPNSt15iterator_traitsISI_E10value_typeEPNSO_ISJ_E10value_typeEPSK_NS1_7vsmem_tEENKUlT_SI_SJ_SK_E_clISD_PiSD_S10_EESH_SX_SI_SJ_SK_EUlSX_E0_NS1_11comp_targetILNS1_3genE8ELNS1_11target_archE1030ELNS1_3gpuE2ELNS1_3repE0EEENS1_38merge_mergepath_config_static_selectorELNS0_4arch9wavefront6targetE1EEEvSJ_.has_indirect_call, 0
	.section	.AMDGPU.csdata,"",@progbits
; Kernel info:
; codeLenInByte = 0
; TotalNumSgprs: 6
; NumVgprs: 0
; NumAgprs: 0
; TotalNumVgprs: 0
; ScratchSize: 0
; MemoryBound: 0
; FloatMode: 240
; IeeeMode: 1
; LDSByteSize: 0 bytes/workgroup (compile time only)
; SGPRBlocks: 0
; VGPRBlocks: 0
; NumSGPRsForWavesPerEU: 6
; NumVGPRsForWavesPerEU: 1
; AccumOffset: 4
; Occupancy: 8
; WaveLimiterHint : 0
; COMPUTE_PGM_RSRC2:SCRATCH_EN: 0
; COMPUTE_PGM_RSRC2:USER_SGPR: 2
; COMPUTE_PGM_RSRC2:TRAP_HANDLER: 0
; COMPUTE_PGM_RSRC2:TGID_X_EN: 1
; COMPUTE_PGM_RSRC2:TGID_Y_EN: 0
; COMPUTE_PGM_RSRC2:TGID_Z_EN: 0
; COMPUTE_PGM_RSRC2:TIDIG_COMP_CNT: 0
; COMPUTE_PGM_RSRC3_GFX90A:ACCUM_OFFSET: 0
; COMPUTE_PGM_RSRC3_GFX90A:TG_SPLIT: 0
	.section	.text._ZN7rocprim17ROCPRIM_400000_NS6detail17trampoline_kernelINS0_14default_configENS1_38merge_sort_block_merge_config_selectorIiiEEZZNS1_27merge_sort_block_merge_implIS3_N6thrust23THRUST_200600_302600_NS6detail15normal_iteratorINS8_10device_ptrIiEEEESD_jNS1_19radix_merge_compareILb1ELb1EiNS0_19identity_decomposerEEEEE10hipError_tT0_T1_T2_jT3_P12ihipStream_tbPNSt15iterator_traitsISI_E10value_typeEPNSO_ISJ_E10value_typeEPSK_NS1_7vsmem_tEENKUlT_SI_SJ_SK_E_clISD_PiSD_S10_EESH_SX_SI_SJ_SK_EUlSX_E1_NS1_11comp_targetILNS1_3genE0ELNS1_11target_archE4294967295ELNS1_3gpuE0ELNS1_3repE0EEENS1_36merge_oddeven_config_static_selectorELNS0_4arch9wavefront6targetE1EEEvSJ_,"axG",@progbits,_ZN7rocprim17ROCPRIM_400000_NS6detail17trampoline_kernelINS0_14default_configENS1_38merge_sort_block_merge_config_selectorIiiEEZZNS1_27merge_sort_block_merge_implIS3_N6thrust23THRUST_200600_302600_NS6detail15normal_iteratorINS8_10device_ptrIiEEEESD_jNS1_19radix_merge_compareILb1ELb1EiNS0_19identity_decomposerEEEEE10hipError_tT0_T1_T2_jT3_P12ihipStream_tbPNSt15iterator_traitsISI_E10value_typeEPNSO_ISJ_E10value_typeEPSK_NS1_7vsmem_tEENKUlT_SI_SJ_SK_E_clISD_PiSD_S10_EESH_SX_SI_SJ_SK_EUlSX_E1_NS1_11comp_targetILNS1_3genE0ELNS1_11target_archE4294967295ELNS1_3gpuE0ELNS1_3repE0EEENS1_36merge_oddeven_config_static_selectorELNS0_4arch9wavefront6targetE1EEEvSJ_,comdat
	.protected	_ZN7rocprim17ROCPRIM_400000_NS6detail17trampoline_kernelINS0_14default_configENS1_38merge_sort_block_merge_config_selectorIiiEEZZNS1_27merge_sort_block_merge_implIS3_N6thrust23THRUST_200600_302600_NS6detail15normal_iteratorINS8_10device_ptrIiEEEESD_jNS1_19radix_merge_compareILb1ELb1EiNS0_19identity_decomposerEEEEE10hipError_tT0_T1_T2_jT3_P12ihipStream_tbPNSt15iterator_traitsISI_E10value_typeEPNSO_ISJ_E10value_typeEPSK_NS1_7vsmem_tEENKUlT_SI_SJ_SK_E_clISD_PiSD_S10_EESH_SX_SI_SJ_SK_EUlSX_E1_NS1_11comp_targetILNS1_3genE0ELNS1_11target_archE4294967295ELNS1_3gpuE0ELNS1_3repE0EEENS1_36merge_oddeven_config_static_selectorELNS0_4arch9wavefront6targetE1EEEvSJ_ ; -- Begin function _ZN7rocprim17ROCPRIM_400000_NS6detail17trampoline_kernelINS0_14default_configENS1_38merge_sort_block_merge_config_selectorIiiEEZZNS1_27merge_sort_block_merge_implIS3_N6thrust23THRUST_200600_302600_NS6detail15normal_iteratorINS8_10device_ptrIiEEEESD_jNS1_19radix_merge_compareILb1ELb1EiNS0_19identity_decomposerEEEEE10hipError_tT0_T1_T2_jT3_P12ihipStream_tbPNSt15iterator_traitsISI_E10value_typeEPNSO_ISJ_E10value_typeEPSK_NS1_7vsmem_tEENKUlT_SI_SJ_SK_E_clISD_PiSD_S10_EESH_SX_SI_SJ_SK_EUlSX_E1_NS1_11comp_targetILNS1_3genE0ELNS1_11target_archE4294967295ELNS1_3gpuE0ELNS1_3repE0EEENS1_36merge_oddeven_config_static_selectorELNS0_4arch9wavefront6targetE1EEEvSJ_
	.globl	_ZN7rocprim17ROCPRIM_400000_NS6detail17trampoline_kernelINS0_14default_configENS1_38merge_sort_block_merge_config_selectorIiiEEZZNS1_27merge_sort_block_merge_implIS3_N6thrust23THRUST_200600_302600_NS6detail15normal_iteratorINS8_10device_ptrIiEEEESD_jNS1_19radix_merge_compareILb1ELb1EiNS0_19identity_decomposerEEEEE10hipError_tT0_T1_T2_jT3_P12ihipStream_tbPNSt15iterator_traitsISI_E10value_typeEPNSO_ISJ_E10value_typeEPSK_NS1_7vsmem_tEENKUlT_SI_SJ_SK_E_clISD_PiSD_S10_EESH_SX_SI_SJ_SK_EUlSX_E1_NS1_11comp_targetILNS1_3genE0ELNS1_11target_archE4294967295ELNS1_3gpuE0ELNS1_3repE0EEENS1_36merge_oddeven_config_static_selectorELNS0_4arch9wavefront6targetE1EEEvSJ_
	.p2align	8
	.type	_ZN7rocprim17ROCPRIM_400000_NS6detail17trampoline_kernelINS0_14default_configENS1_38merge_sort_block_merge_config_selectorIiiEEZZNS1_27merge_sort_block_merge_implIS3_N6thrust23THRUST_200600_302600_NS6detail15normal_iteratorINS8_10device_ptrIiEEEESD_jNS1_19radix_merge_compareILb1ELb1EiNS0_19identity_decomposerEEEEE10hipError_tT0_T1_T2_jT3_P12ihipStream_tbPNSt15iterator_traitsISI_E10value_typeEPNSO_ISJ_E10value_typeEPSK_NS1_7vsmem_tEENKUlT_SI_SJ_SK_E_clISD_PiSD_S10_EESH_SX_SI_SJ_SK_EUlSX_E1_NS1_11comp_targetILNS1_3genE0ELNS1_11target_archE4294967295ELNS1_3gpuE0ELNS1_3repE0EEENS1_36merge_oddeven_config_static_selectorELNS0_4arch9wavefront6targetE1EEEvSJ_,@function
_ZN7rocprim17ROCPRIM_400000_NS6detail17trampoline_kernelINS0_14default_configENS1_38merge_sort_block_merge_config_selectorIiiEEZZNS1_27merge_sort_block_merge_implIS3_N6thrust23THRUST_200600_302600_NS6detail15normal_iteratorINS8_10device_ptrIiEEEESD_jNS1_19radix_merge_compareILb1ELb1EiNS0_19identity_decomposerEEEEE10hipError_tT0_T1_T2_jT3_P12ihipStream_tbPNSt15iterator_traitsISI_E10value_typeEPNSO_ISJ_E10value_typeEPSK_NS1_7vsmem_tEENKUlT_SI_SJ_SK_E_clISD_PiSD_S10_EESH_SX_SI_SJ_SK_EUlSX_E1_NS1_11comp_targetILNS1_3genE0ELNS1_11target_archE4294967295ELNS1_3gpuE0ELNS1_3repE0EEENS1_36merge_oddeven_config_static_selectorELNS0_4arch9wavefront6targetE1EEEvSJ_: ; @_ZN7rocprim17ROCPRIM_400000_NS6detail17trampoline_kernelINS0_14default_configENS1_38merge_sort_block_merge_config_selectorIiiEEZZNS1_27merge_sort_block_merge_implIS3_N6thrust23THRUST_200600_302600_NS6detail15normal_iteratorINS8_10device_ptrIiEEEESD_jNS1_19radix_merge_compareILb1ELb1EiNS0_19identity_decomposerEEEEE10hipError_tT0_T1_T2_jT3_P12ihipStream_tbPNSt15iterator_traitsISI_E10value_typeEPNSO_ISJ_E10value_typeEPSK_NS1_7vsmem_tEENKUlT_SI_SJ_SK_E_clISD_PiSD_S10_EESH_SX_SI_SJ_SK_EUlSX_E1_NS1_11comp_targetILNS1_3genE0ELNS1_11target_archE4294967295ELNS1_3gpuE0ELNS1_3repE0EEENS1_36merge_oddeven_config_static_selectorELNS0_4arch9wavefront6targetE1EEEvSJ_
; %bb.0:
	s_load_dword s20, s[0:1], 0x20
	s_waitcnt lgkmcnt(0)
	s_lshr_b32 s3, s20, 8
	s_cmp_eq_u32 s2, s3
	s_cselect_b64 s[16:17], -1, 0
	s_cmp_lg_u32 s2, s3
	s_cselect_b64 s[4:5], -1, 0
	s_lshl_b32 s18, s2, 8
	s_sub_i32 s3, s20, s18
	v_cmp_gt_u32_e64 s[6:7], s3, v0
	s_or_b64 s[4:5], s[4:5], s[6:7]
	s_and_saveexec_b64 s[8:9], s[4:5]
	s_cbranch_execz .LBB1811_24
; %bb.1:
	s_load_dwordx8 s[8:15], s[0:1], 0x0
	s_mov_b32 s19, 0
	s_lshl_b64 s[4:5], s[18:19], 2
	v_lshlrev_b32_e32 v1, 2, v0
	s_load_dword s19, s[0:1], 0x24
	s_waitcnt lgkmcnt(0)
	s_add_u32 s22, s8, s4
	s_addc_u32 s23, s9, s5
	s_add_u32 s4, s12, s4
	s_addc_u32 s5, s13, s5
	global_load_dword v2, v1, s[4:5]
	global_load_dword v3, v1, s[22:23]
	s_lshr_b32 s3, s19, 8
	s_sub_i32 s4, 0, s3
	s_and_b32 s2, s2, s4
	s_and_b32 s3, s2, s3
	s_lshl_b32 s21, s2, 8
	s_sub_i32 s12, 0, s19
	s_cmp_eq_u32 s3, 0
	s_cselect_b64 s[4:5], -1, 0
	s_and_b64 s[2:3], s[4:5], exec
	s_cselect_b32 s12, s19, s12
	s_add_i32 s12, s12, s21
	s_mov_b64 s[2:3], -1
	s_cmp_gt_u32 s20, s12
	v_add_u32_e32 v0, s18, v0
	s_cbranch_scc1 .LBB1811_9
; %bb.2:
	s_and_b64 vcc, exec, s[16:17]
	s_cbranch_vccz .LBB1811_6
; %bb.3:
	v_cmp_gt_u32_e32 vcc, s20, v0
	s_and_saveexec_b64 s[2:3], vcc
	s_cbranch_execz .LBB1811_5
; %bb.4:
	v_mov_b32_e32 v1, 0
	v_lshlrev_b64 v[4:5], 2, v[0:1]
	v_lshl_add_u64 v[6:7], s[10:11], 0, v[4:5]
	v_lshl_add_u64 v[4:5], s[14:15], 0, v[4:5]
	s_waitcnt vmcnt(0)
	global_store_dword v[6:7], v3, off
	global_store_dword v[4:5], v2, off
.LBB1811_5:
	s_or_b64 exec, exec, s[2:3]
	s_mov_b64 s[2:3], 0
.LBB1811_6:
	s_andn2_b64 vcc, exec, s[2:3]
	s_cbranch_vccnz .LBB1811_8
; %bb.7:
	v_mov_b32_e32 v1, 0
	v_lshlrev_b64 v[4:5], 2, v[0:1]
	v_lshl_add_u64 v[6:7], s[10:11], 0, v[4:5]
	v_lshl_add_u64 v[4:5], s[14:15], 0, v[4:5]
	s_waitcnt vmcnt(0)
	global_store_dword v[6:7], v3, off
	global_store_dword v[4:5], v2, off
.LBB1811_8:
	s_mov_b64 s[2:3], 0
.LBB1811_9:
	s_andn2_b64 vcc, exec, s[2:3]
	s_cbranch_vccnz .LBB1811_24
; %bb.10:
	s_load_dword s13, s[0:1], 0x28
	s_min_u32 s18, s12, s20
	s_add_i32 s0, s18, s19
	s_min_u32 s19, s0, s20
	s_min_u32 s0, s21, s18
	s_add_i32 s21, s21, s18
	v_subrev_u32_e32 v0, s21, v0
	v_add_u32_e32 v4, s0, v0
	s_waitcnt vmcnt(0) lgkmcnt(0)
	v_and_b32_e32 v5, s13, v3
	s_mov_b64 s[0:1], -1
	s_and_b64 vcc, exec, s[16:17]
	s_cbranch_vccz .LBB1811_18
; %bb.11:
	s_and_saveexec_b64 s[0:1], s[6:7]
	s_cbranch_execz .LBB1811_17
; %bb.12:
	s_cmp_ge_u32 s12, s19
	v_mov_b32_e32 v6, s18
	s_cbranch_scc1 .LBB1811_16
; %bb.13:
	s_mov_b64 s[2:3], 0
	v_mov_b32_e32 v7, s19
	v_mov_b32_e32 v6, s18
	;; [unrolled: 1-line block ×3, first 2 shown]
.LBB1811_14:                            ; =>This Inner Loop Header: Depth=1
	v_add_u32_e32 v0, v6, v7
	v_lshrrev_b32_e32 v0, 1, v0
	v_lshl_add_u64 v[8:9], v[0:1], 2, s[8:9]
	global_load_dword v8, v[8:9], off
	v_add_u32_e32 v9, 1, v0
	s_waitcnt vmcnt(0)
	v_and_b32_e32 v8, s13, v8
	v_cmp_gt_i32_e32 vcc, v8, v5
	s_nop 1
	v_cndmask_b32_e64 v10, 0, 1, vcc
	v_cmp_le_i32_e32 vcc, v5, v8
	s_nop 1
	v_cndmask_b32_e64 v8, 0, 1, vcc
	v_cndmask_b32_e64 v8, v8, v10, s[4:5]
	v_and_b32_e32 v8, 1, v8
	v_cmp_eq_u32_e32 vcc, 1, v8
	s_nop 1
	v_cndmask_b32_e32 v7, v0, v7, vcc
	v_cndmask_b32_e32 v6, v6, v9, vcc
	v_cmp_ge_u32_e32 vcc, v6, v7
	s_or_b64 s[2:3], vcc, s[2:3]
	s_andn2_b64 exec, exec, s[2:3]
	s_cbranch_execnz .LBB1811_14
; %bb.15:
	s_or_b64 exec, exec, s[2:3]
.LBB1811_16:
	v_add_u32_e32 v0, v6, v4
	v_mov_b32_e32 v1, 0
	v_lshlrev_b64 v[0:1], 2, v[0:1]
	v_lshl_add_u64 v[6:7], s[10:11], 0, v[0:1]
	v_lshl_add_u64 v[0:1], s[14:15], 0, v[0:1]
	global_store_dword v[6:7], v3, off
	global_store_dword v[0:1], v2, off
.LBB1811_17:
	s_or_b64 exec, exec, s[0:1]
	s_mov_b64 s[0:1], 0
.LBB1811_18:
	s_andn2_b64 vcc, exec, s[0:1]
	s_cbranch_vccnz .LBB1811_24
; %bb.19:
	s_cmp_ge_u32 s12, s19
	v_mov_b32_e32 v6, s18
	s_cbranch_scc1 .LBB1811_23
; %bb.20:
	s_mov_b64 s[0:1], 0
	v_mov_b32_e32 v7, s19
	v_mov_b32_e32 v6, s18
	;; [unrolled: 1-line block ×3, first 2 shown]
.LBB1811_21:                            ; =>This Inner Loop Header: Depth=1
	v_add_u32_e32 v0, v6, v7
	v_lshrrev_b32_e32 v0, 1, v0
	v_lshl_add_u64 v[8:9], v[0:1], 2, s[8:9]
	global_load_dword v8, v[8:9], off
	v_add_u32_e32 v9, 1, v0
	s_waitcnt vmcnt(0)
	v_and_b32_e32 v8, s13, v8
	v_cmp_gt_i32_e32 vcc, v8, v5
	s_nop 1
	v_cndmask_b32_e64 v10, 0, 1, vcc
	v_cmp_le_i32_e32 vcc, v5, v8
	s_nop 1
	v_cndmask_b32_e64 v8, 0, 1, vcc
	v_cndmask_b32_e64 v8, v8, v10, s[4:5]
	v_and_b32_e32 v8, 1, v8
	v_cmp_eq_u32_e32 vcc, 1, v8
	s_nop 1
	v_cndmask_b32_e32 v7, v0, v7, vcc
	v_cndmask_b32_e32 v6, v6, v9, vcc
	v_cmp_ge_u32_e32 vcc, v6, v7
	s_or_b64 s[0:1], vcc, s[0:1]
	s_andn2_b64 exec, exec, s[0:1]
	s_cbranch_execnz .LBB1811_21
; %bb.22:
	s_or_b64 exec, exec, s[0:1]
.LBB1811_23:
	v_add_u32_e32 v0, v6, v4
	v_mov_b32_e32 v1, 0
	v_lshlrev_b64 v[0:1], 2, v[0:1]
	v_lshl_add_u64 v[4:5], s[10:11], 0, v[0:1]
	v_lshl_add_u64 v[0:1], s[14:15], 0, v[0:1]
	global_store_dword v[4:5], v3, off
	global_store_dword v[0:1], v2, off
.LBB1811_24:
	s_endpgm
	.section	.rodata,"a",@progbits
	.p2align	6, 0x0
	.amdhsa_kernel _ZN7rocprim17ROCPRIM_400000_NS6detail17trampoline_kernelINS0_14default_configENS1_38merge_sort_block_merge_config_selectorIiiEEZZNS1_27merge_sort_block_merge_implIS3_N6thrust23THRUST_200600_302600_NS6detail15normal_iteratorINS8_10device_ptrIiEEEESD_jNS1_19radix_merge_compareILb1ELb1EiNS0_19identity_decomposerEEEEE10hipError_tT0_T1_T2_jT3_P12ihipStream_tbPNSt15iterator_traitsISI_E10value_typeEPNSO_ISJ_E10value_typeEPSK_NS1_7vsmem_tEENKUlT_SI_SJ_SK_E_clISD_PiSD_S10_EESH_SX_SI_SJ_SK_EUlSX_E1_NS1_11comp_targetILNS1_3genE0ELNS1_11target_archE4294967295ELNS1_3gpuE0ELNS1_3repE0EEENS1_36merge_oddeven_config_static_selectorELNS0_4arch9wavefront6targetE1EEEvSJ_
		.amdhsa_group_segment_fixed_size 0
		.amdhsa_private_segment_fixed_size 0
		.amdhsa_kernarg_size 48
		.amdhsa_user_sgpr_count 2
		.amdhsa_user_sgpr_dispatch_ptr 0
		.amdhsa_user_sgpr_queue_ptr 0
		.amdhsa_user_sgpr_kernarg_segment_ptr 1
		.amdhsa_user_sgpr_dispatch_id 0
		.amdhsa_user_sgpr_kernarg_preload_length 0
		.amdhsa_user_sgpr_kernarg_preload_offset 0
		.amdhsa_user_sgpr_private_segment_size 0
		.amdhsa_uses_dynamic_stack 0
		.amdhsa_enable_private_segment 0
		.amdhsa_system_sgpr_workgroup_id_x 1
		.amdhsa_system_sgpr_workgroup_id_y 0
		.amdhsa_system_sgpr_workgroup_id_z 0
		.amdhsa_system_sgpr_workgroup_info 0
		.amdhsa_system_vgpr_workitem_id 0
		.amdhsa_next_free_vgpr 11
		.amdhsa_next_free_sgpr 24
		.amdhsa_accum_offset 12
		.amdhsa_reserve_vcc 1
		.amdhsa_float_round_mode_32 0
		.amdhsa_float_round_mode_16_64 0
		.amdhsa_float_denorm_mode_32 3
		.amdhsa_float_denorm_mode_16_64 3
		.amdhsa_dx10_clamp 1
		.amdhsa_ieee_mode 1
		.amdhsa_fp16_overflow 0
		.amdhsa_tg_split 0
		.amdhsa_exception_fp_ieee_invalid_op 0
		.amdhsa_exception_fp_denorm_src 0
		.amdhsa_exception_fp_ieee_div_zero 0
		.amdhsa_exception_fp_ieee_overflow 0
		.amdhsa_exception_fp_ieee_underflow 0
		.amdhsa_exception_fp_ieee_inexact 0
		.amdhsa_exception_int_div_zero 0
	.end_amdhsa_kernel
	.section	.text._ZN7rocprim17ROCPRIM_400000_NS6detail17trampoline_kernelINS0_14default_configENS1_38merge_sort_block_merge_config_selectorIiiEEZZNS1_27merge_sort_block_merge_implIS3_N6thrust23THRUST_200600_302600_NS6detail15normal_iteratorINS8_10device_ptrIiEEEESD_jNS1_19radix_merge_compareILb1ELb1EiNS0_19identity_decomposerEEEEE10hipError_tT0_T1_T2_jT3_P12ihipStream_tbPNSt15iterator_traitsISI_E10value_typeEPNSO_ISJ_E10value_typeEPSK_NS1_7vsmem_tEENKUlT_SI_SJ_SK_E_clISD_PiSD_S10_EESH_SX_SI_SJ_SK_EUlSX_E1_NS1_11comp_targetILNS1_3genE0ELNS1_11target_archE4294967295ELNS1_3gpuE0ELNS1_3repE0EEENS1_36merge_oddeven_config_static_selectorELNS0_4arch9wavefront6targetE1EEEvSJ_,"axG",@progbits,_ZN7rocprim17ROCPRIM_400000_NS6detail17trampoline_kernelINS0_14default_configENS1_38merge_sort_block_merge_config_selectorIiiEEZZNS1_27merge_sort_block_merge_implIS3_N6thrust23THRUST_200600_302600_NS6detail15normal_iteratorINS8_10device_ptrIiEEEESD_jNS1_19radix_merge_compareILb1ELb1EiNS0_19identity_decomposerEEEEE10hipError_tT0_T1_T2_jT3_P12ihipStream_tbPNSt15iterator_traitsISI_E10value_typeEPNSO_ISJ_E10value_typeEPSK_NS1_7vsmem_tEENKUlT_SI_SJ_SK_E_clISD_PiSD_S10_EESH_SX_SI_SJ_SK_EUlSX_E1_NS1_11comp_targetILNS1_3genE0ELNS1_11target_archE4294967295ELNS1_3gpuE0ELNS1_3repE0EEENS1_36merge_oddeven_config_static_selectorELNS0_4arch9wavefront6targetE1EEEvSJ_,comdat
.Lfunc_end1811:
	.size	_ZN7rocprim17ROCPRIM_400000_NS6detail17trampoline_kernelINS0_14default_configENS1_38merge_sort_block_merge_config_selectorIiiEEZZNS1_27merge_sort_block_merge_implIS3_N6thrust23THRUST_200600_302600_NS6detail15normal_iteratorINS8_10device_ptrIiEEEESD_jNS1_19radix_merge_compareILb1ELb1EiNS0_19identity_decomposerEEEEE10hipError_tT0_T1_T2_jT3_P12ihipStream_tbPNSt15iterator_traitsISI_E10value_typeEPNSO_ISJ_E10value_typeEPSK_NS1_7vsmem_tEENKUlT_SI_SJ_SK_E_clISD_PiSD_S10_EESH_SX_SI_SJ_SK_EUlSX_E1_NS1_11comp_targetILNS1_3genE0ELNS1_11target_archE4294967295ELNS1_3gpuE0ELNS1_3repE0EEENS1_36merge_oddeven_config_static_selectorELNS0_4arch9wavefront6targetE1EEEvSJ_, .Lfunc_end1811-_ZN7rocprim17ROCPRIM_400000_NS6detail17trampoline_kernelINS0_14default_configENS1_38merge_sort_block_merge_config_selectorIiiEEZZNS1_27merge_sort_block_merge_implIS3_N6thrust23THRUST_200600_302600_NS6detail15normal_iteratorINS8_10device_ptrIiEEEESD_jNS1_19radix_merge_compareILb1ELb1EiNS0_19identity_decomposerEEEEE10hipError_tT0_T1_T2_jT3_P12ihipStream_tbPNSt15iterator_traitsISI_E10value_typeEPNSO_ISJ_E10value_typeEPSK_NS1_7vsmem_tEENKUlT_SI_SJ_SK_E_clISD_PiSD_S10_EESH_SX_SI_SJ_SK_EUlSX_E1_NS1_11comp_targetILNS1_3genE0ELNS1_11target_archE4294967295ELNS1_3gpuE0ELNS1_3repE0EEENS1_36merge_oddeven_config_static_selectorELNS0_4arch9wavefront6targetE1EEEvSJ_
                                        ; -- End function
	.set _ZN7rocprim17ROCPRIM_400000_NS6detail17trampoline_kernelINS0_14default_configENS1_38merge_sort_block_merge_config_selectorIiiEEZZNS1_27merge_sort_block_merge_implIS3_N6thrust23THRUST_200600_302600_NS6detail15normal_iteratorINS8_10device_ptrIiEEEESD_jNS1_19radix_merge_compareILb1ELb1EiNS0_19identity_decomposerEEEEE10hipError_tT0_T1_T2_jT3_P12ihipStream_tbPNSt15iterator_traitsISI_E10value_typeEPNSO_ISJ_E10value_typeEPSK_NS1_7vsmem_tEENKUlT_SI_SJ_SK_E_clISD_PiSD_S10_EESH_SX_SI_SJ_SK_EUlSX_E1_NS1_11comp_targetILNS1_3genE0ELNS1_11target_archE4294967295ELNS1_3gpuE0ELNS1_3repE0EEENS1_36merge_oddeven_config_static_selectorELNS0_4arch9wavefront6targetE1EEEvSJ_.num_vgpr, 11
	.set _ZN7rocprim17ROCPRIM_400000_NS6detail17trampoline_kernelINS0_14default_configENS1_38merge_sort_block_merge_config_selectorIiiEEZZNS1_27merge_sort_block_merge_implIS3_N6thrust23THRUST_200600_302600_NS6detail15normal_iteratorINS8_10device_ptrIiEEEESD_jNS1_19radix_merge_compareILb1ELb1EiNS0_19identity_decomposerEEEEE10hipError_tT0_T1_T2_jT3_P12ihipStream_tbPNSt15iterator_traitsISI_E10value_typeEPNSO_ISJ_E10value_typeEPSK_NS1_7vsmem_tEENKUlT_SI_SJ_SK_E_clISD_PiSD_S10_EESH_SX_SI_SJ_SK_EUlSX_E1_NS1_11comp_targetILNS1_3genE0ELNS1_11target_archE4294967295ELNS1_3gpuE0ELNS1_3repE0EEENS1_36merge_oddeven_config_static_selectorELNS0_4arch9wavefront6targetE1EEEvSJ_.num_agpr, 0
	.set _ZN7rocprim17ROCPRIM_400000_NS6detail17trampoline_kernelINS0_14default_configENS1_38merge_sort_block_merge_config_selectorIiiEEZZNS1_27merge_sort_block_merge_implIS3_N6thrust23THRUST_200600_302600_NS6detail15normal_iteratorINS8_10device_ptrIiEEEESD_jNS1_19radix_merge_compareILb1ELb1EiNS0_19identity_decomposerEEEEE10hipError_tT0_T1_T2_jT3_P12ihipStream_tbPNSt15iterator_traitsISI_E10value_typeEPNSO_ISJ_E10value_typeEPSK_NS1_7vsmem_tEENKUlT_SI_SJ_SK_E_clISD_PiSD_S10_EESH_SX_SI_SJ_SK_EUlSX_E1_NS1_11comp_targetILNS1_3genE0ELNS1_11target_archE4294967295ELNS1_3gpuE0ELNS1_3repE0EEENS1_36merge_oddeven_config_static_selectorELNS0_4arch9wavefront6targetE1EEEvSJ_.numbered_sgpr, 24
	.set _ZN7rocprim17ROCPRIM_400000_NS6detail17trampoline_kernelINS0_14default_configENS1_38merge_sort_block_merge_config_selectorIiiEEZZNS1_27merge_sort_block_merge_implIS3_N6thrust23THRUST_200600_302600_NS6detail15normal_iteratorINS8_10device_ptrIiEEEESD_jNS1_19radix_merge_compareILb1ELb1EiNS0_19identity_decomposerEEEEE10hipError_tT0_T1_T2_jT3_P12ihipStream_tbPNSt15iterator_traitsISI_E10value_typeEPNSO_ISJ_E10value_typeEPSK_NS1_7vsmem_tEENKUlT_SI_SJ_SK_E_clISD_PiSD_S10_EESH_SX_SI_SJ_SK_EUlSX_E1_NS1_11comp_targetILNS1_3genE0ELNS1_11target_archE4294967295ELNS1_3gpuE0ELNS1_3repE0EEENS1_36merge_oddeven_config_static_selectorELNS0_4arch9wavefront6targetE1EEEvSJ_.num_named_barrier, 0
	.set _ZN7rocprim17ROCPRIM_400000_NS6detail17trampoline_kernelINS0_14default_configENS1_38merge_sort_block_merge_config_selectorIiiEEZZNS1_27merge_sort_block_merge_implIS3_N6thrust23THRUST_200600_302600_NS6detail15normal_iteratorINS8_10device_ptrIiEEEESD_jNS1_19radix_merge_compareILb1ELb1EiNS0_19identity_decomposerEEEEE10hipError_tT0_T1_T2_jT3_P12ihipStream_tbPNSt15iterator_traitsISI_E10value_typeEPNSO_ISJ_E10value_typeEPSK_NS1_7vsmem_tEENKUlT_SI_SJ_SK_E_clISD_PiSD_S10_EESH_SX_SI_SJ_SK_EUlSX_E1_NS1_11comp_targetILNS1_3genE0ELNS1_11target_archE4294967295ELNS1_3gpuE0ELNS1_3repE0EEENS1_36merge_oddeven_config_static_selectorELNS0_4arch9wavefront6targetE1EEEvSJ_.private_seg_size, 0
	.set _ZN7rocprim17ROCPRIM_400000_NS6detail17trampoline_kernelINS0_14default_configENS1_38merge_sort_block_merge_config_selectorIiiEEZZNS1_27merge_sort_block_merge_implIS3_N6thrust23THRUST_200600_302600_NS6detail15normal_iteratorINS8_10device_ptrIiEEEESD_jNS1_19radix_merge_compareILb1ELb1EiNS0_19identity_decomposerEEEEE10hipError_tT0_T1_T2_jT3_P12ihipStream_tbPNSt15iterator_traitsISI_E10value_typeEPNSO_ISJ_E10value_typeEPSK_NS1_7vsmem_tEENKUlT_SI_SJ_SK_E_clISD_PiSD_S10_EESH_SX_SI_SJ_SK_EUlSX_E1_NS1_11comp_targetILNS1_3genE0ELNS1_11target_archE4294967295ELNS1_3gpuE0ELNS1_3repE0EEENS1_36merge_oddeven_config_static_selectorELNS0_4arch9wavefront6targetE1EEEvSJ_.uses_vcc, 1
	.set _ZN7rocprim17ROCPRIM_400000_NS6detail17trampoline_kernelINS0_14default_configENS1_38merge_sort_block_merge_config_selectorIiiEEZZNS1_27merge_sort_block_merge_implIS3_N6thrust23THRUST_200600_302600_NS6detail15normal_iteratorINS8_10device_ptrIiEEEESD_jNS1_19radix_merge_compareILb1ELb1EiNS0_19identity_decomposerEEEEE10hipError_tT0_T1_T2_jT3_P12ihipStream_tbPNSt15iterator_traitsISI_E10value_typeEPNSO_ISJ_E10value_typeEPSK_NS1_7vsmem_tEENKUlT_SI_SJ_SK_E_clISD_PiSD_S10_EESH_SX_SI_SJ_SK_EUlSX_E1_NS1_11comp_targetILNS1_3genE0ELNS1_11target_archE4294967295ELNS1_3gpuE0ELNS1_3repE0EEENS1_36merge_oddeven_config_static_selectorELNS0_4arch9wavefront6targetE1EEEvSJ_.uses_flat_scratch, 0
	.set _ZN7rocprim17ROCPRIM_400000_NS6detail17trampoline_kernelINS0_14default_configENS1_38merge_sort_block_merge_config_selectorIiiEEZZNS1_27merge_sort_block_merge_implIS3_N6thrust23THRUST_200600_302600_NS6detail15normal_iteratorINS8_10device_ptrIiEEEESD_jNS1_19radix_merge_compareILb1ELb1EiNS0_19identity_decomposerEEEEE10hipError_tT0_T1_T2_jT3_P12ihipStream_tbPNSt15iterator_traitsISI_E10value_typeEPNSO_ISJ_E10value_typeEPSK_NS1_7vsmem_tEENKUlT_SI_SJ_SK_E_clISD_PiSD_S10_EESH_SX_SI_SJ_SK_EUlSX_E1_NS1_11comp_targetILNS1_3genE0ELNS1_11target_archE4294967295ELNS1_3gpuE0ELNS1_3repE0EEENS1_36merge_oddeven_config_static_selectorELNS0_4arch9wavefront6targetE1EEEvSJ_.has_dyn_sized_stack, 0
	.set _ZN7rocprim17ROCPRIM_400000_NS6detail17trampoline_kernelINS0_14default_configENS1_38merge_sort_block_merge_config_selectorIiiEEZZNS1_27merge_sort_block_merge_implIS3_N6thrust23THRUST_200600_302600_NS6detail15normal_iteratorINS8_10device_ptrIiEEEESD_jNS1_19radix_merge_compareILb1ELb1EiNS0_19identity_decomposerEEEEE10hipError_tT0_T1_T2_jT3_P12ihipStream_tbPNSt15iterator_traitsISI_E10value_typeEPNSO_ISJ_E10value_typeEPSK_NS1_7vsmem_tEENKUlT_SI_SJ_SK_E_clISD_PiSD_S10_EESH_SX_SI_SJ_SK_EUlSX_E1_NS1_11comp_targetILNS1_3genE0ELNS1_11target_archE4294967295ELNS1_3gpuE0ELNS1_3repE0EEENS1_36merge_oddeven_config_static_selectorELNS0_4arch9wavefront6targetE1EEEvSJ_.has_recursion, 0
	.set _ZN7rocprim17ROCPRIM_400000_NS6detail17trampoline_kernelINS0_14default_configENS1_38merge_sort_block_merge_config_selectorIiiEEZZNS1_27merge_sort_block_merge_implIS3_N6thrust23THRUST_200600_302600_NS6detail15normal_iteratorINS8_10device_ptrIiEEEESD_jNS1_19radix_merge_compareILb1ELb1EiNS0_19identity_decomposerEEEEE10hipError_tT0_T1_T2_jT3_P12ihipStream_tbPNSt15iterator_traitsISI_E10value_typeEPNSO_ISJ_E10value_typeEPSK_NS1_7vsmem_tEENKUlT_SI_SJ_SK_E_clISD_PiSD_S10_EESH_SX_SI_SJ_SK_EUlSX_E1_NS1_11comp_targetILNS1_3genE0ELNS1_11target_archE4294967295ELNS1_3gpuE0ELNS1_3repE0EEENS1_36merge_oddeven_config_static_selectorELNS0_4arch9wavefront6targetE1EEEvSJ_.has_indirect_call, 0
	.section	.AMDGPU.csdata,"",@progbits
; Kernel info:
; codeLenInByte = 796
; TotalNumSgprs: 30
; NumVgprs: 11
; NumAgprs: 0
; TotalNumVgprs: 11
; ScratchSize: 0
; MemoryBound: 0
; FloatMode: 240
; IeeeMode: 1
; LDSByteSize: 0 bytes/workgroup (compile time only)
; SGPRBlocks: 3
; VGPRBlocks: 1
; NumSGPRsForWavesPerEU: 30
; NumVGPRsForWavesPerEU: 11
; AccumOffset: 12
; Occupancy: 8
; WaveLimiterHint : 0
; COMPUTE_PGM_RSRC2:SCRATCH_EN: 0
; COMPUTE_PGM_RSRC2:USER_SGPR: 2
; COMPUTE_PGM_RSRC2:TRAP_HANDLER: 0
; COMPUTE_PGM_RSRC2:TGID_X_EN: 1
; COMPUTE_PGM_RSRC2:TGID_Y_EN: 0
; COMPUTE_PGM_RSRC2:TGID_Z_EN: 0
; COMPUTE_PGM_RSRC2:TIDIG_COMP_CNT: 0
; COMPUTE_PGM_RSRC3_GFX90A:ACCUM_OFFSET: 2
; COMPUTE_PGM_RSRC3_GFX90A:TG_SPLIT: 0
	.section	.text._ZN7rocprim17ROCPRIM_400000_NS6detail17trampoline_kernelINS0_14default_configENS1_38merge_sort_block_merge_config_selectorIiiEEZZNS1_27merge_sort_block_merge_implIS3_N6thrust23THRUST_200600_302600_NS6detail15normal_iteratorINS8_10device_ptrIiEEEESD_jNS1_19radix_merge_compareILb1ELb1EiNS0_19identity_decomposerEEEEE10hipError_tT0_T1_T2_jT3_P12ihipStream_tbPNSt15iterator_traitsISI_E10value_typeEPNSO_ISJ_E10value_typeEPSK_NS1_7vsmem_tEENKUlT_SI_SJ_SK_E_clISD_PiSD_S10_EESH_SX_SI_SJ_SK_EUlSX_E1_NS1_11comp_targetILNS1_3genE10ELNS1_11target_archE1201ELNS1_3gpuE5ELNS1_3repE0EEENS1_36merge_oddeven_config_static_selectorELNS0_4arch9wavefront6targetE1EEEvSJ_,"axG",@progbits,_ZN7rocprim17ROCPRIM_400000_NS6detail17trampoline_kernelINS0_14default_configENS1_38merge_sort_block_merge_config_selectorIiiEEZZNS1_27merge_sort_block_merge_implIS3_N6thrust23THRUST_200600_302600_NS6detail15normal_iteratorINS8_10device_ptrIiEEEESD_jNS1_19radix_merge_compareILb1ELb1EiNS0_19identity_decomposerEEEEE10hipError_tT0_T1_T2_jT3_P12ihipStream_tbPNSt15iterator_traitsISI_E10value_typeEPNSO_ISJ_E10value_typeEPSK_NS1_7vsmem_tEENKUlT_SI_SJ_SK_E_clISD_PiSD_S10_EESH_SX_SI_SJ_SK_EUlSX_E1_NS1_11comp_targetILNS1_3genE10ELNS1_11target_archE1201ELNS1_3gpuE5ELNS1_3repE0EEENS1_36merge_oddeven_config_static_selectorELNS0_4arch9wavefront6targetE1EEEvSJ_,comdat
	.protected	_ZN7rocprim17ROCPRIM_400000_NS6detail17trampoline_kernelINS0_14default_configENS1_38merge_sort_block_merge_config_selectorIiiEEZZNS1_27merge_sort_block_merge_implIS3_N6thrust23THRUST_200600_302600_NS6detail15normal_iteratorINS8_10device_ptrIiEEEESD_jNS1_19radix_merge_compareILb1ELb1EiNS0_19identity_decomposerEEEEE10hipError_tT0_T1_T2_jT3_P12ihipStream_tbPNSt15iterator_traitsISI_E10value_typeEPNSO_ISJ_E10value_typeEPSK_NS1_7vsmem_tEENKUlT_SI_SJ_SK_E_clISD_PiSD_S10_EESH_SX_SI_SJ_SK_EUlSX_E1_NS1_11comp_targetILNS1_3genE10ELNS1_11target_archE1201ELNS1_3gpuE5ELNS1_3repE0EEENS1_36merge_oddeven_config_static_selectorELNS0_4arch9wavefront6targetE1EEEvSJ_ ; -- Begin function _ZN7rocprim17ROCPRIM_400000_NS6detail17trampoline_kernelINS0_14default_configENS1_38merge_sort_block_merge_config_selectorIiiEEZZNS1_27merge_sort_block_merge_implIS3_N6thrust23THRUST_200600_302600_NS6detail15normal_iteratorINS8_10device_ptrIiEEEESD_jNS1_19radix_merge_compareILb1ELb1EiNS0_19identity_decomposerEEEEE10hipError_tT0_T1_T2_jT3_P12ihipStream_tbPNSt15iterator_traitsISI_E10value_typeEPNSO_ISJ_E10value_typeEPSK_NS1_7vsmem_tEENKUlT_SI_SJ_SK_E_clISD_PiSD_S10_EESH_SX_SI_SJ_SK_EUlSX_E1_NS1_11comp_targetILNS1_3genE10ELNS1_11target_archE1201ELNS1_3gpuE5ELNS1_3repE0EEENS1_36merge_oddeven_config_static_selectorELNS0_4arch9wavefront6targetE1EEEvSJ_
	.globl	_ZN7rocprim17ROCPRIM_400000_NS6detail17trampoline_kernelINS0_14default_configENS1_38merge_sort_block_merge_config_selectorIiiEEZZNS1_27merge_sort_block_merge_implIS3_N6thrust23THRUST_200600_302600_NS6detail15normal_iteratorINS8_10device_ptrIiEEEESD_jNS1_19radix_merge_compareILb1ELb1EiNS0_19identity_decomposerEEEEE10hipError_tT0_T1_T2_jT3_P12ihipStream_tbPNSt15iterator_traitsISI_E10value_typeEPNSO_ISJ_E10value_typeEPSK_NS1_7vsmem_tEENKUlT_SI_SJ_SK_E_clISD_PiSD_S10_EESH_SX_SI_SJ_SK_EUlSX_E1_NS1_11comp_targetILNS1_3genE10ELNS1_11target_archE1201ELNS1_3gpuE5ELNS1_3repE0EEENS1_36merge_oddeven_config_static_selectorELNS0_4arch9wavefront6targetE1EEEvSJ_
	.p2align	8
	.type	_ZN7rocprim17ROCPRIM_400000_NS6detail17trampoline_kernelINS0_14default_configENS1_38merge_sort_block_merge_config_selectorIiiEEZZNS1_27merge_sort_block_merge_implIS3_N6thrust23THRUST_200600_302600_NS6detail15normal_iteratorINS8_10device_ptrIiEEEESD_jNS1_19radix_merge_compareILb1ELb1EiNS0_19identity_decomposerEEEEE10hipError_tT0_T1_T2_jT3_P12ihipStream_tbPNSt15iterator_traitsISI_E10value_typeEPNSO_ISJ_E10value_typeEPSK_NS1_7vsmem_tEENKUlT_SI_SJ_SK_E_clISD_PiSD_S10_EESH_SX_SI_SJ_SK_EUlSX_E1_NS1_11comp_targetILNS1_3genE10ELNS1_11target_archE1201ELNS1_3gpuE5ELNS1_3repE0EEENS1_36merge_oddeven_config_static_selectorELNS0_4arch9wavefront6targetE1EEEvSJ_,@function
_ZN7rocprim17ROCPRIM_400000_NS6detail17trampoline_kernelINS0_14default_configENS1_38merge_sort_block_merge_config_selectorIiiEEZZNS1_27merge_sort_block_merge_implIS3_N6thrust23THRUST_200600_302600_NS6detail15normal_iteratorINS8_10device_ptrIiEEEESD_jNS1_19radix_merge_compareILb1ELb1EiNS0_19identity_decomposerEEEEE10hipError_tT0_T1_T2_jT3_P12ihipStream_tbPNSt15iterator_traitsISI_E10value_typeEPNSO_ISJ_E10value_typeEPSK_NS1_7vsmem_tEENKUlT_SI_SJ_SK_E_clISD_PiSD_S10_EESH_SX_SI_SJ_SK_EUlSX_E1_NS1_11comp_targetILNS1_3genE10ELNS1_11target_archE1201ELNS1_3gpuE5ELNS1_3repE0EEENS1_36merge_oddeven_config_static_selectorELNS0_4arch9wavefront6targetE1EEEvSJ_: ; @_ZN7rocprim17ROCPRIM_400000_NS6detail17trampoline_kernelINS0_14default_configENS1_38merge_sort_block_merge_config_selectorIiiEEZZNS1_27merge_sort_block_merge_implIS3_N6thrust23THRUST_200600_302600_NS6detail15normal_iteratorINS8_10device_ptrIiEEEESD_jNS1_19radix_merge_compareILb1ELb1EiNS0_19identity_decomposerEEEEE10hipError_tT0_T1_T2_jT3_P12ihipStream_tbPNSt15iterator_traitsISI_E10value_typeEPNSO_ISJ_E10value_typeEPSK_NS1_7vsmem_tEENKUlT_SI_SJ_SK_E_clISD_PiSD_S10_EESH_SX_SI_SJ_SK_EUlSX_E1_NS1_11comp_targetILNS1_3genE10ELNS1_11target_archE1201ELNS1_3gpuE5ELNS1_3repE0EEENS1_36merge_oddeven_config_static_selectorELNS0_4arch9wavefront6targetE1EEEvSJ_
; %bb.0:
	.section	.rodata,"a",@progbits
	.p2align	6, 0x0
	.amdhsa_kernel _ZN7rocprim17ROCPRIM_400000_NS6detail17trampoline_kernelINS0_14default_configENS1_38merge_sort_block_merge_config_selectorIiiEEZZNS1_27merge_sort_block_merge_implIS3_N6thrust23THRUST_200600_302600_NS6detail15normal_iteratorINS8_10device_ptrIiEEEESD_jNS1_19radix_merge_compareILb1ELb1EiNS0_19identity_decomposerEEEEE10hipError_tT0_T1_T2_jT3_P12ihipStream_tbPNSt15iterator_traitsISI_E10value_typeEPNSO_ISJ_E10value_typeEPSK_NS1_7vsmem_tEENKUlT_SI_SJ_SK_E_clISD_PiSD_S10_EESH_SX_SI_SJ_SK_EUlSX_E1_NS1_11comp_targetILNS1_3genE10ELNS1_11target_archE1201ELNS1_3gpuE5ELNS1_3repE0EEENS1_36merge_oddeven_config_static_selectorELNS0_4arch9wavefront6targetE1EEEvSJ_
		.amdhsa_group_segment_fixed_size 0
		.amdhsa_private_segment_fixed_size 0
		.amdhsa_kernarg_size 48
		.amdhsa_user_sgpr_count 2
		.amdhsa_user_sgpr_dispatch_ptr 0
		.amdhsa_user_sgpr_queue_ptr 0
		.amdhsa_user_sgpr_kernarg_segment_ptr 1
		.amdhsa_user_sgpr_dispatch_id 0
		.amdhsa_user_sgpr_kernarg_preload_length 0
		.amdhsa_user_sgpr_kernarg_preload_offset 0
		.amdhsa_user_sgpr_private_segment_size 0
		.amdhsa_uses_dynamic_stack 0
		.amdhsa_enable_private_segment 0
		.amdhsa_system_sgpr_workgroup_id_x 1
		.amdhsa_system_sgpr_workgroup_id_y 0
		.amdhsa_system_sgpr_workgroup_id_z 0
		.amdhsa_system_sgpr_workgroup_info 0
		.amdhsa_system_vgpr_workitem_id 0
		.amdhsa_next_free_vgpr 1
		.amdhsa_next_free_sgpr 0
		.amdhsa_accum_offset 4
		.amdhsa_reserve_vcc 0
		.amdhsa_float_round_mode_32 0
		.amdhsa_float_round_mode_16_64 0
		.amdhsa_float_denorm_mode_32 3
		.amdhsa_float_denorm_mode_16_64 3
		.amdhsa_dx10_clamp 1
		.amdhsa_ieee_mode 1
		.amdhsa_fp16_overflow 0
		.amdhsa_tg_split 0
		.amdhsa_exception_fp_ieee_invalid_op 0
		.amdhsa_exception_fp_denorm_src 0
		.amdhsa_exception_fp_ieee_div_zero 0
		.amdhsa_exception_fp_ieee_overflow 0
		.amdhsa_exception_fp_ieee_underflow 0
		.amdhsa_exception_fp_ieee_inexact 0
		.amdhsa_exception_int_div_zero 0
	.end_amdhsa_kernel
	.section	.text._ZN7rocprim17ROCPRIM_400000_NS6detail17trampoline_kernelINS0_14default_configENS1_38merge_sort_block_merge_config_selectorIiiEEZZNS1_27merge_sort_block_merge_implIS3_N6thrust23THRUST_200600_302600_NS6detail15normal_iteratorINS8_10device_ptrIiEEEESD_jNS1_19radix_merge_compareILb1ELb1EiNS0_19identity_decomposerEEEEE10hipError_tT0_T1_T2_jT3_P12ihipStream_tbPNSt15iterator_traitsISI_E10value_typeEPNSO_ISJ_E10value_typeEPSK_NS1_7vsmem_tEENKUlT_SI_SJ_SK_E_clISD_PiSD_S10_EESH_SX_SI_SJ_SK_EUlSX_E1_NS1_11comp_targetILNS1_3genE10ELNS1_11target_archE1201ELNS1_3gpuE5ELNS1_3repE0EEENS1_36merge_oddeven_config_static_selectorELNS0_4arch9wavefront6targetE1EEEvSJ_,"axG",@progbits,_ZN7rocprim17ROCPRIM_400000_NS6detail17trampoline_kernelINS0_14default_configENS1_38merge_sort_block_merge_config_selectorIiiEEZZNS1_27merge_sort_block_merge_implIS3_N6thrust23THRUST_200600_302600_NS6detail15normal_iteratorINS8_10device_ptrIiEEEESD_jNS1_19radix_merge_compareILb1ELb1EiNS0_19identity_decomposerEEEEE10hipError_tT0_T1_T2_jT3_P12ihipStream_tbPNSt15iterator_traitsISI_E10value_typeEPNSO_ISJ_E10value_typeEPSK_NS1_7vsmem_tEENKUlT_SI_SJ_SK_E_clISD_PiSD_S10_EESH_SX_SI_SJ_SK_EUlSX_E1_NS1_11comp_targetILNS1_3genE10ELNS1_11target_archE1201ELNS1_3gpuE5ELNS1_3repE0EEENS1_36merge_oddeven_config_static_selectorELNS0_4arch9wavefront6targetE1EEEvSJ_,comdat
.Lfunc_end1812:
	.size	_ZN7rocprim17ROCPRIM_400000_NS6detail17trampoline_kernelINS0_14default_configENS1_38merge_sort_block_merge_config_selectorIiiEEZZNS1_27merge_sort_block_merge_implIS3_N6thrust23THRUST_200600_302600_NS6detail15normal_iteratorINS8_10device_ptrIiEEEESD_jNS1_19radix_merge_compareILb1ELb1EiNS0_19identity_decomposerEEEEE10hipError_tT0_T1_T2_jT3_P12ihipStream_tbPNSt15iterator_traitsISI_E10value_typeEPNSO_ISJ_E10value_typeEPSK_NS1_7vsmem_tEENKUlT_SI_SJ_SK_E_clISD_PiSD_S10_EESH_SX_SI_SJ_SK_EUlSX_E1_NS1_11comp_targetILNS1_3genE10ELNS1_11target_archE1201ELNS1_3gpuE5ELNS1_3repE0EEENS1_36merge_oddeven_config_static_selectorELNS0_4arch9wavefront6targetE1EEEvSJ_, .Lfunc_end1812-_ZN7rocprim17ROCPRIM_400000_NS6detail17trampoline_kernelINS0_14default_configENS1_38merge_sort_block_merge_config_selectorIiiEEZZNS1_27merge_sort_block_merge_implIS3_N6thrust23THRUST_200600_302600_NS6detail15normal_iteratorINS8_10device_ptrIiEEEESD_jNS1_19radix_merge_compareILb1ELb1EiNS0_19identity_decomposerEEEEE10hipError_tT0_T1_T2_jT3_P12ihipStream_tbPNSt15iterator_traitsISI_E10value_typeEPNSO_ISJ_E10value_typeEPSK_NS1_7vsmem_tEENKUlT_SI_SJ_SK_E_clISD_PiSD_S10_EESH_SX_SI_SJ_SK_EUlSX_E1_NS1_11comp_targetILNS1_3genE10ELNS1_11target_archE1201ELNS1_3gpuE5ELNS1_3repE0EEENS1_36merge_oddeven_config_static_selectorELNS0_4arch9wavefront6targetE1EEEvSJ_
                                        ; -- End function
	.set _ZN7rocprim17ROCPRIM_400000_NS6detail17trampoline_kernelINS0_14default_configENS1_38merge_sort_block_merge_config_selectorIiiEEZZNS1_27merge_sort_block_merge_implIS3_N6thrust23THRUST_200600_302600_NS6detail15normal_iteratorINS8_10device_ptrIiEEEESD_jNS1_19radix_merge_compareILb1ELb1EiNS0_19identity_decomposerEEEEE10hipError_tT0_T1_T2_jT3_P12ihipStream_tbPNSt15iterator_traitsISI_E10value_typeEPNSO_ISJ_E10value_typeEPSK_NS1_7vsmem_tEENKUlT_SI_SJ_SK_E_clISD_PiSD_S10_EESH_SX_SI_SJ_SK_EUlSX_E1_NS1_11comp_targetILNS1_3genE10ELNS1_11target_archE1201ELNS1_3gpuE5ELNS1_3repE0EEENS1_36merge_oddeven_config_static_selectorELNS0_4arch9wavefront6targetE1EEEvSJ_.num_vgpr, 0
	.set _ZN7rocprim17ROCPRIM_400000_NS6detail17trampoline_kernelINS0_14default_configENS1_38merge_sort_block_merge_config_selectorIiiEEZZNS1_27merge_sort_block_merge_implIS3_N6thrust23THRUST_200600_302600_NS6detail15normal_iteratorINS8_10device_ptrIiEEEESD_jNS1_19radix_merge_compareILb1ELb1EiNS0_19identity_decomposerEEEEE10hipError_tT0_T1_T2_jT3_P12ihipStream_tbPNSt15iterator_traitsISI_E10value_typeEPNSO_ISJ_E10value_typeEPSK_NS1_7vsmem_tEENKUlT_SI_SJ_SK_E_clISD_PiSD_S10_EESH_SX_SI_SJ_SK_EUlSX_E1_NS1_11comp_targetILNS1_3genE10ELNS1_11target_archE1201ELNS1_3gpuE5ELNS1_3repE0EEENS1_36merge_oddeven_config_static_selectorELNS0_4arch9wavefront6targetE1EEEvSJ_.num_agpr, 0
	.set _ZN7rocprim17ROCPRIM_400000_NS6detail17trampoline_kernelINS0_14default_configENS1_38merge_sort_block_merge_config_selectorIiiEEZZNS1_27merge_sort_block_merge_implIS3_N6thrust23THRUST_200600_302600_NS6detail15normal_iteratorINS8_10device_ptrIiEEEESD_jNS1_19radix_merge_compareILb1ELb1EiNS0_19identity_decomposerEEEEE10hipError_tT0_T1_T2_jT3_P12ihipStream_tbPNSt15iterator_traitsISI_E10value_typeEPNSO_ISJ_E10value_typeEPSK_NS1_7vsmem_tEENKUlT_SI_SJ_SK_E_clISD_PiSD_S10_EESH_SX_SI_SJ_SK_EUlSX_E1_NS1_11comp_targetILNS1_3genE10ELNS1_11target_archE1201ELNS1_3gpuE5ELNS1_3repE0EEENS1_36merge_oddeven_config_static_selectorELNS0_4arch9wavefront6targetE1EEEvSJ_.numbered_sgpr, 0
	.set _ZN7rocprim17ROCPRIM_400000_NS6detail17trampoline_kernelINS0_14default_configENS1_38merge_sort_block_merge_config_selectorIiiEEZZNS1_27merge_sort_block_merge_implIS3_N6thrust23THRUST_200600_302600_NS6detail15normal_iteratorINS8_10device_ptrIiEEEESD_jNS1_19radix_merge_compareILb1ELb1EiNS0_19identity_decomposerEEEEE10hipError_tT0_T1_T2_jT3_P12ihipStream_tbPNSt15iterator_traitsISI_E10value_typeEPNSO_ISJ_E10value_typeEPSK_NS1_7vsmem_tEENKUlT_SI_SJ_SK_E_clISD_PiSD_S10_EESH_SX_SI_SJ_SK_EUlSX_E1_NS1_11comp_targetILNS1_3genE10ELNS1_11target_archE1201ELNS1_3gpuE5ELNS1_3repE0EEENS1_36merge_oddeven_config_static_selectorELNS0_4arch9wavefront6targetE1EEEvSJ_.num_named_barrier, 0
	.set _ZN7rocprim17ROCPRIM_400000_NS6detail17trampoline_kernelINS0_14default_configENS1_38merge_sort_block_merge_config_selectorIiiEEZZNS1_27merge_sort_block_merge_implIS3_N6thrust23THRUST_200600_302600_NS6detail15normal_iteratorINS8_10device_ptrIiEEEESD_jNS1_19radix_merge_compareILb1ELb1EiNS0_19identity_decomposerEEEEE10hipError_tT0_T1_T2_jT3_P12ihipStream_tbPNSt15iterator_traitsISI_E10value_typeEPNSO_ISJ_E10value_typeEPSK_NS1_7vsmem_tEENKUlT_SI_SJ_SK_E_clISD_PiSD_S10_EESH_SX_SI_SJ_SK_EUlSX_E1_NS1_11comp_targetILNS1_3genE10ELNS1_11target_archE1201ELNS1_3gpuE5ELNS1_3repE0EEENS1_36merge_oddeven_config_static_selectorELNS0_4arch9wavefront6targetE1EEEvSJ_.private_seg_size, 0
	.set _ZN7rocprim17ROCPRIM_400000_NS6detail17trampoline_kernelINS0_14default_configENS1_38merge_sort_block_merge_config_selectorIiiEEZZNS1_27merge_sort_block_merge_implIS3_N6thrust23THRUST_200600_302600_NS6detail15normal_iteratorINS8_10device_ptrIiEEEESD_jNS1_19radix_merge_compareILb1ELb1EiNS0_19identity_decomposerEEEEE10hipError_tT0_T1_T2_jT3_P12ihipStream_tbPNSt15iterator_traitsISI_E10value_typeEPNSO_ISJ_E10value_typeEPSK_NS1_7vsmem_tEENKUlT_SI_SJ_SK_E_clISD_PiSD_S10_EESH_SX_SI_SJ_SK_EUlSX_E1_NS1_11comp_targetILNS1_3genE10ELNS1_11target_archE1201ELNS1_3gpuE5ELNS1_3repE0EEENS1_36merge_oddeven_config_static_selectorELNS0_4arch9wavefront6targetE1EEEvSJ_.uses_vcc, 0
	.set _ZN7rocprim17ROCPRIM_400000_NS6detail17trampoline_kernelINS0_14default_configENS1_38merge_sort_block_merge_config_selectorIiiEEZZNS1_27merge_sort_block_merge_implIS3_N6thrust23THRUST_200600_302600_NS6detail15normal_iteratorINS8_10device_ptrIiEEEESD_jNS1_19radix_merge_compareILb1ELb1EiNS0_19identity_decomposerEEEEE10hipError_tT0_T1_T2_jT3_P12ihipStream_tbPNSt15iterator_traitsISI_E10value_typeEPNSO_ISJ_E10value_typeEPSK_NS1_7vsmem_tEENKUlT_SI_SJ_SK_E_clISD_PiSD_S10_EESH_SX_SI_SJ_SK_EUlSX_E1_NS1_11comp_targetILNS1_3genE10ELNS1_11target_archE1201ELNS1_3gpuE5ELNS1_3repE0EEENS1_36merge_oddeven_config_static_selectorELNS0_4arch9wavefront6targetE1EEEvSJ_.uses_flat_scratch, 0
	.set _ZN7rocprim17ROCPRIM_400000_NS6detail17trampoline_kernelINS0_14default_configENS1_38merge_sort_block_merge_config_selectorIiiEEZZNS1_27merge_sort_block_merge_implIS3_N6thrust23THRUST_200600_302600_NS6detail15normal_iteratorINS8_10device_ptrIiEEEESD_jNS1_19radix_merge_compareILb1ELb1EiNS0_19identity_decomposerEEEEE10hipError_tT0_T1_T2_jT3_P12ihipStream_tbPNSt15iterator_traitsISI_E10value_typeEPNSO_ISJ_E10value_typeEPSK_NS1_7vsmem_tEENKUlT_SI_SJ_SK_E_clISD_PiSD_S10_EESH_SX_SI_SJ_SK_EUlSX_E1_NS1_11comp_targetILNS1_3genE10ELNS1_11target_archE1201ELNS1_3gpuE5ELNS1_3repE0EEENS1_36merge_oddeven_config_static_selectorELNS0_4arch9wavefront6targetE1EEEvSJ_.has_dyn_sized_stack, 0
	.set _ZN7rocprim17ROCPRIM_400000_NS6detail17trampoline_kernelINS0_14default_configENS1_38merge_sort_block_merge_config_selectorIiiEEZZNS1_27merge_sort_block_merge_implIS3_N6thrust23THRUST_200600_302600_NS6detail15normal_iteratorINS8_10device_ptrIiEEEESD_jNS1_19radix_merge_compareILb1ELb1EiNS0_19identity_decomposerEEEEE10hipError_tT0_T1_T2_jT3_P12ihipStream_tbPNSt15iterator_traitsISI_E10value_typeEPNSO_ISJ_E10value_typeEPSK_NS1_7vsmem_tEENKUlT_SI_SJ_SK_E_clISD_PiSD_S10_EESH_SX_SI_SJ_SK_EUlSX_E1_NS1_11comp_targetILNS1_3genE10ELNS1_11target_archE1201ELNS1_3gpuE5ELNS1_3repE0EEENS1_36merge_oddeven_config_static_selectorELNS0_4arch9wavefront6targetE1EEEvSJ_.has_recursion, 0
	.set _ZN7rocprim17ROCPRIM_400000_NS6detail17trampoline_kernelINS0_14default_configENS1_38merge_sort_block_merge_config_selectorIiiEEZZNS1_27merge_sort_block_merge_implIS3_N6thrust23THRUST_200600_302600_NS6detail15normal_iteratorINS8_10device_ptrIiEEEESD_jNS1_19radix_merge_compareILb1ELb1EiNS0_19identity_decomposerEEEEE10hipError_tT0_T1_T2_jT3_P12ihipStream_tbPNSt15iterator_traitsISI_E10value_typeEPNSO_ISJ_E10value_typeEPSK_NS1_7vsmem_tEENKUlT_SI_SJ_SK_E_clISD_PiSD_S10_EESH_SX_SI_SJ_SK_EUlSX_E1_NS1_11comp_targetILNS1_3genE10ELNS1_11target_archE1201ELNS1_3gpuE5ELNS1_3repE0EEENS1_36merge_oddeven_config_static_selectorELNS0_4arch9wavefront6targetE1EEEvSJ_.has_indirect_call, 0
	.section	.AMDGPU.csdata,"",@progbits
; Kernel info:
; codeLenInByte = 0
; TotalNumSgprs: 6
; NumVgprs: 0
; NumAgprs: 0
; TotalNumVgprs: 0
; ScratchSize: 0
; MemoryBound: 0
; FloatMode: 240
; IeeeMode: 1
; LDSByteSize: 0 bytes/workgroup (compile time only)
; SGPRBlocks: 0
; VGPRBlocks: 0
; NumSGPRsForWavesPerEU: 6
; NumVGPRsForWavesPerEU: 1
; AccumOffset: 4
; Occupancy: 8
; WaveLimiterHint : 0
; COMPUTE_PGM_RSRC2:SCRATCH_EN: 0
; COMPUTE_PGM_RSRC2:USER_SGPR: 2
; COMPUTE_PGM_RSRC2:TRAP_HANDLER: 0
; COMPUTE_PGM_RSRC2:TGID_X_EN: 1
; COMPUTE_PGM_RSRC2:TGID_Y_EN: 0
; COMPUTE_PGM_RSRC2:TGID_Z_EN: 0
; COMPUTE_PGM_RSRC2:TIDIG_COMP_CNT: 0
; COMPUTE_PGM_RSRC3_GFX90A:ACCUM_OFFSET: 0
; COMPUTE_PGM_RSRC3_GFX90A:TG_SPLIT: 0
	.section	.text._ZN7rocprim17ROCPRIM_400000_NS6detail17trampoline_kernelINS0_14default_configENS1_38merge_sort_block_merge_config_selectorIiiEEZZNS1_27merge_sort_block_merge_implIS3_N6thrust23THRUST_200600_302600_NS6detail15normal_iteratorINS8_10device_ptrIiEEEESD_jNS1_19radix_merge_compareILb1ELb1EiNS0_19identity_decomposerEEEEE10hipError_tT0_T1_T2_jT3_P12ihipStream_tbPNSt15iterator_traitsISI_E10value_typeEPNSO_ISJ_E10value_typeEPSK_NS1_7vsmem_tEENKUlT_SI_SJ_SK_E_clISD_PiSD_S10_EESH_SX_SI_SJ_SK_EUlSX_E1_NS1_11comp_targetILNS1_3genE5ELNS1_11target_archE942ELNS1_3gpuE9ELNS1_3repE0EEENS1_36merge_oddeven_config_static_selectorELNS0_4arch9wavefront6targetE1EEEvSJ_,"axG",@progbits,_ZN7rocprim17ROCPRIM_400000_NS6detail17trampoline_kernelINS0_14default_configENS1_38merge_sort_block_merge_config_selectorIiiEEZZNS1_27merge_sort_block_merge_implIS3_N6thrust23THRUST_200600_302600_NS6detail15normal_iteratorINS8_10device_ptrIiEEEESD_jNS1_19radix_merge_compareILb1ELb1EiNS0_19identity_decomposerEEEEE10hipError_tT0_T1_T2_jT3_P12ihipStream_tbPNSt15iterator_traitsISI_E10value_typeEPNSO_ISJ_E10value_typeEPSK_NS1_7vsmem_tEENKUlT_SI_SJ_SK_E_clISD_PiSD_S10_EESH_SX_SI_SJ_SK_EUlSX_E1_NS1_11comp_targetILNS1_3genE5ELNS1_11target_archE942ELNS1_3gpuE9ELNS1_3repE0EEENS1_36merge_oddeven_config_static_selectorELNS0_4arch9wavefront6targetE1EEEvSJ_,comdat
	.protected	_ZN7rocprim17ROCPRIM_400000_NS6detail17trampoline_kernelINS0_14default_configENS1_38merge_sort_block_merge_config_selectorIiiEEZZNS1_27merge_sort_block_merge_implIS3_N6thrust23THRUST_200600_302600_NS6detail15normal_iteratorINS8_10device_ptrIiEEEESD_jNS1_19radix_merge_compareILb1ELb1EiNS0_19identity_decomposerEEEEE10hipError_tT0_T1_T2_jT3_P12ihipStream_tbPNSt15iterator_traitsISI_E10value_typeEPNSO_ISJ_E10value_typeEPSK_NS1_7vsmem_tEENKUlT_SI_SJ_SK_E_clISD_PiSD_S10_EESH_SX_SI_SJ_SK_EUlSX_E1_NS1_11comp_targetILNS1_3genE5ELNS1_11target_archE942ELNS1_3gpuE9ELNS1_3repE0EEENS1_36merge_oddeven_config_static_selectorELNS0_4arch9wavefront6targetE1EEEvSJ_ ; -- Begin function _ZN7rocprim17ROCPRIM_400000_NS6detail17trampoline_kernelINS0_14default_configENS1_38merge_sort_block_merge_config_selectorIiiEEZZNS1_27merge_sort_block_merge_implIS3_N6thrust23THRUST_200600_302600_NS6detail15normal_iteratorINS8_10device_ptrIiEEEESD_jNS1_19radix_merge_compareILb1ELb1EiNS0_19identity_decomposerEEEEE10hipError_tT0_T1_T2_jT3_P12ihipStream_tbPNSt15iterator_traitsISI_E10value_typeEPNSO_ISJ_E10value_typeEPSK_NS1_7vsmem_tEENKUlT_SI_SJ_SK_E_clISD_PiSD_S10_EESH_SX_SI_SJ_SK_EUlSX_E1_NS1_11comp_targetILNS1_3genE5ELNS1_11target_archE942ELNS1_3gpuE9ELNS1_3repE0EEENS1_36merge_oddeven_config_static_selectorELNS0_4arch9wavefront6targetE1EEEvSJ_
	.globl	_ZN7rocprim17ROCPRIM_400000_NS6detail17trampoline_kernelINS0_14default_configENS1_38merge_sort_block_merge_config_selectorIiiEEZZNS1_27merge_sort_block_merge_implIS3_N6thrust23THRUST_200600_302600_NS6detail15normal_iteratorINS8_10device_ptrIiEEEESD_jNS1_19radix_merge_compareILb1ELb1EiNS0_19identity_decomposerEEEEE10hipError_tT0_T1_T2_jT3_P12ihipStream_tbPNSt15iterator_traitsISI_E10value_typeEPNSO_ISJ_E10value_typeEPSK_NS1_7vsmem_tEENKUlT_SI_SJ_SK_E_clISD_PiSD_S10_EESH_SX_SI_SJ_SK_EUlSX_E1_NS1_11comp_targetILNS1_3genE5ELNS1_11target_archE942ELNS1_3gpuE9ELNS1_3repE0EEENS1_36merge_oddeven_config_static_selectorELNS0_4arch9wavefront6targetE1EEEvSJ_
	.p2align	8
	.type	_ZN7rocprim17ROCPRIM_400000_NS6detail17trampoline_kernelINS0_14default_configENS1_38merge_sort_block_merge_config_selectorIiiEEZZNS1_27merge_sort_block_merge_implIS3_N6thrust23THRUST_200600_302600_NS6detail15normal_iteratorINS8_10device_ptrIiEEEESD_jNS1_19radix_merge_compareILb1ELb1EiNS0_19identity_decomposerEEEEE10hipError_tT0_T1_T2_jT3_P12ihipStream_tbPNSt15iterator_traitsISI_E10value_typeEPNSO_ISJ_E10value_typeEPSK_NS1_7vsmem_tEENKUlT_SI_SJ_SK_E_clISD_PiSD_S10_EESH_SX_SI_SJ_SK_EUlSX_E1_NS1_11comp_targetILNS1_3genE5ELNS1_11target_archE942ELNS1_3gpuE9ELNS1_3repE0EEENS1_36merge_oddeven_config_static_selectorELNS0_4arch9wavefront6targetE1EEEvSJ_,@function
_ZN7rocprim17ROCPRIM_400000_NS6detail17trampoline_kernelINS0_14default_configENS1_38merge_sort_block_merge_config_selectorIiiEEZZNS1_27merge_sort_block_merge_implIS3_N6thrust23THRUST_200600_302600_NS6detail15normal_iteratorINS8_10device_ptrIiEEEESD_jNS1_19radix_merge_compareILb1ELb1EiNS0_19identity_decomposerEEEEE10hipError_tT0_T1_T2_jT3_P12ihipStream_tbPNSt15iterator_traitsISI_E10value_typeEPNSO_ISJ_E10value_typeEPSK_NS1_7vsmem_tEENKUlT_SI_SJ_SK_E_clISD_PiSD_S10_EESH_SX_SI_SJ_SK_EUlSX_E1_NS1_11comp_targetILNS1_3genE5ELNS1_11target_archE942ELNS1_3gpuE9ELNS1_3repE0EEENS1_36merge_oddeven_config_static_selectorELNS0_4arch9wavefront6targetE1EEEvSJ_: ; @_ZN7rocprim17ROCPRIM_400000_NS6detail17trampoline_kernelINS0_14default_configENS1_38merge_sort_block_merge_config_selectorIiiEEZZNS1_27merge_sort_block_merge_implIS3_N6thrust23THRUST_200600_302600_NS6detail15normal_iteratorINS8_10device_ptrIiEEEESD_jNS1_19radix_merge_compareILb1ELb1EiNS0_19identity_decomposerEEEEE10hipError_tT0_T1_T2_jT3_P12ihipStream_tbPNSt15iterator_traitsISI_E10value_typeEPNSO_ISJ_E10value_typeEPSK_NS1_7vsmem_tEENKUlT_SI_SJ_SK_E_clISD_PiSD_S10_EESH_SX_SI_SJ_SK_EUlSX_E1_NS1_11comp_targetILNS1_3genE5ELNS1_11target_archE942ELNS1_3gpuE9ELNS1_3repE0EEENS1_36merge_oddeven_config_static_selectorELNS0_4arch9wavefront6targetE1EEEvSJ_
; %bb.0:
	.section	.rodata,"a",@progbits
	.p2align	6, 0x0
	.amdhsa_kernel _ZN7rocprim17ROCPRIM_400000_NS6detail17trampoline_kernelINS0_14default_configENS1_38merge_sort_block_merge_config_selectorIiiEEZZNS1_27merge_sort_block_merge_implIS3_N6thrust23THRUST_200600_302600_NS6detail15normal_iteratorINS8_10device_ptrIiEEEESD_jNS1_19radix_merge_compareILb1ELb1EiNS0_19identity_decomposerEEEEE10hipError_tT0_T1_T2_jT3_P12ihipStream_tbPNSt15iterator_traitsISI_E10value_typeEPNSO_ISJ_E10value_typeEPSK_NS1_7vsmem_tEENKUlT_SI_SJ_SK_E_clISD_PiSD_S10_EESH_SX_SI_SJ_SK_EUlSX_E1_NS1_11comp_targetILNS1_3genE5ELNS1_11target_archE942ELNS1_3gpuE9ELNS1_3repE0EEENS1_36merge_oddeven_config_static_selectorELNS0_4arch9wavefront6targetE1EEEvSJ_
		.amdhsa_group_segment_fixed_size 0
		.amdhsa_private_segment_fixed_size 0
		.amdhsa_kernarg_size 48
		.amdhsa_user_sgpr_count 2
		.amdhsa_user_sgpr_dispatch_ptr 0
		.amdhsa_user_sgpr_queue_ptr 0
		.amdhsa_user_sgpr_kernarg_segment_ptr 1
		.amdhsa_user_sgpr_dispatch_id 0
		.amdhsa_user_sgpr_kernarg_preload_length 0
		.amdhsa_user_sgpr_kernarg_preload_offset 0
		.amdhsa_user_sgpr_private_segment_size 0
		.amdhsa_uses_dynamic_stack 0
		.amdhsa_enable_private_segment 0
		.amdhsa_system_sgpr_workgroup_id_x 1
		.amdhsa_system_sgpr_workgroup_id_y 0
		.amdhsa_system_sgpr_workgroup_id_z 0
		.amdhsa_system_sgpr_workgroup_info 0
		.amdhsa_system_vgpr_workitem_id 0
		.amdhsa_next_free_vgpr 1
		.amdhsa_next_free_sgpr 0
		.amdhsa_accum_offset 4
		.amdhsa_reserve_vcc 0
		.amdhsa_float_round_mode_32 0
		.amdhsa_float_round_mode_16_64 0
		.amdhsa_float_denorm_mode_32 3
		.amdhsa_float_denorm_mode_16_64 3
		.amdhsa_dx10_clamp 1
		.amdhsa_ieee_mode 1
		.amdhsa_fp16_overflow 0
		.amdhsa_tg_split 0
		.amdhsa_exception_fp_ieee_invalid_op 0
		.amdhsa_exception_fp_denorm_src 0
		.amdhsa_exception_fp_ieee_div_zero 0
		.amdhsa_exception_fp_ieee_overflow 0
		.amdhsa_exception_fp_ieee_underflow 0
		.amdhsa_exception_fp_ieee_inexact 0
		.amdhsa_exception_int_div_zero 0
	.end_amdhsa_kernel
	.section	.text._ZN7rocprim17ROCPRIM_400000_NS6detail17trampoline_kernelINS0_14default_configENS1_38merge_sort_block_merge_config_selectorIiiEEZZNS1_27merge_sort_block_merge_implIS3_N6thrust23THRUST_200600_302600_NS6detail15normal_iteratorINS8_10device_ptrIiEEEESD_jNS1_19radix_merge_compareILb1ELb1EiNS0_19identity_decomposerEEEEE10hipError_tT0_T1_T2_jT3_P12ihipStream_tbPNSt15iterator_traitsISI_E10value_typeEPNSO_ISJ_E10value_typeEPSK_NS1_7vsmem_tEENKUlT_SI_SJ_SK_E_clISD_PiSD_S10_EESH_SX_SI_SJ_SK_EUlSX_E1_NS1_11comp_targetILNS1_3genE5ELNS1_11target_archE942ELNS1_3gpuE9ELNS1_3repE0EEENS1_36merge_oddeven_config_static_selectorELNS0_4arch9wavefront6targetE1EEEvSJ_,"axG",@progbits,_ZN7rocprim17ROCPRIM_400000_NS6detail17trampoline_kernelINS0_14default_configENS1_38merge_sort_block_merge_config_selectorIiiEEZZNS1_27merge_sort_block_merge_implIS3_N6thrust23THRUST_200600_302600_NS6detail15normal_iteratorINS8_10device_ptrIiEEEESD_jNS1_19radix_merge_compareILb1ELb1EiNS0_19identity_decomposerEEEEE10hipError_tT0_T1_T2_jT3_P12ihipStream_tbPNSt15iterator_traitsISI_E10value_typeEPNSO_ISJ_E10value_typeEPSK_NS1_7vsmem_tEENKUlT_SI_SJ_SK_E_clISD_PiSD_S10_EESH_SX_SI_SJ_SK_EUlSX_E1_NS1_11comp_targetILNS1_3genE5ELNS1_11target_archE942ELNS1_3gpuE9ELNS1_3repE0EEENS1_36merge_oddeven_config_static_selectorELNS0_4arch9wavefront6targetE1EEEvSJ_,comdat
.Lfunc_end1813:
	.size	_ZN7rocprim17ROCPRIM_400000_NS6detail17trampoline_kernelINS0_14default_configENS1_38merge_sort_block_merge_config_selectorIiiEEZZNS1_27merge_sort_block_merge_implIS3_N6thrust23THRUST_200600_302600_NS6detail15normal_iteratorINS8_10device_ptrIiEEEESD_jNS1_19radix_merge_compareILb1ELb1EiNS0_19identity_decomposerEEEEE10hipError_tT0_T1_T2_jT3_P12ihipStream_tbPNSt15iterator_traitsISI_E10value_typeEPNSO_ISJ_E10value_typeEPSK_NS1_7vsmem_tEENKUlT_SI_SJ_SK_E_clISD_PiSD_S10_EESH_SX_SI_SJ_SK_EUlSX_E1_NS1_11comp_targetILNS1_3genE5ELNS1_11target_archE942ELNS1_3gpuE9ELNS1_3repE0EEENS1_36merge_oddeven_config_static_selectorELNS0_4arch9wavefront6targetE1EEEvSJ_, .Lfunc_end1813-_ZN7rocprim17ROCPRIM_400000_NS6detail17trampoline_kernelINS0_14default_configENS1_38merge_sort_block_merge_config_selectorIiiEEZZNS1_27merge_sort_block_merge_implIS3_N6thrust23THRUST_200600_302600_NS6detail15normal_iteratorINS8_10device_ptrIiEEEESD_jNS1_19radix_merge_compareILb1ELb1EiNS0_19identity_decomposerEEEEE10hipError_tT0_T1_T2_jT3_P12ihipStream_tbPNSt15iterator_traitsISI_E10value_typeEPNSO_ISJ_E10value_typeEPSK_NS1_7vsmem_tEENKUlT_SI_SJ_SK_E_clISD_PiSD_S10_EESH_SX_SI_SJ_SK_EUlSX_E1_NS1_11comp_targetILNS1_3genE5ELNS1_11target_archE942ELNS1_3gpuE9ELNS1_3repE0EEENS1_36merge_oddeven_config_static_selectorELNS0_4arch9wavefront6targetE1EEEvSJ_
                                        ; -- End function
	.set _ZN7rocprim17ROCPRIM_400000_NS6detail17trampoline_kernelINS0_14default_configENS1_38merge_sort_block_merge_config_selectorIiiEEZZNS1_27merge_sort_block_merge_implIS3_N6thrust23THRUST_200600_302600_NS6detail15normal_iteratorINS8_10device_ptrIiEEEESD_jNS1_19radix_merge_compareILb1ELb1EiNS0_19identity_decomposerEEEEE10hipError_tT0_T1_T2_jT3_P12ihipStream_tbPNSt15iterator_traitsISI_E10value_typeEPNSO_ISJ_E10value_typeEPSK_NS1_7vsmem_tEENKUlT_SI_SJ_SK_E_clISD_PiSD_S10_EESH_SX_SI_SJ_SK_EUlSX_E1_NS1_11comp_targetILNS1_3genE5ELNS1_11target_archE942ELNS1_3gpuE9ELNS1_3repE0EEENS1_36merge_oddeven_config_static_selectorELNS0_4arch9wavefront6targetE1EEEvSJ_.num_vgpr, 0
	.set _ZN7rocprim17ROCPRIM_400000_NS6detail17trampoline_kernelINS0_14default_configENS1_38merge_sort_block_merge_config_selectorIiiEEZZNS1_27merge_sort_block_merge_implIS3_N6thrust23THRUST_200600_302600_NS6detail15normal_iteratorINS8_10device_ptrIiEEEESD_jNS1_19radix_merge_compareILb1ELb1EiNS0_19identity_decomposerEEEEE10hipError_tT0_T1_T2_jT3_P12ihipStream_tbPNSt15iterator_traitsISI_E10value_typeEPNSO_ISJ_E10value_typeEPSK_NS1_7vsmem_tEENKUlT_SI_SJ_SK_E_clISD_PiSD_S10_EESH_SX_SI_SJ_SK_EUlSX_E1_NS1_11comp_targetILNS1_3genE5ELNS1_11target_archE942ELNS1_3gpuE9ELNS1_3repE0EEENS1_36merge_oddeven_config_static_selectorELNS0_4arch9wavefront6targetE1EEEvSJ_.num_agpr, 0
	.set _ZN7rocprim17ROCPRIM_400000_NS6detail17trampoline_kernelINS0_14default_configENS1_38merge_sort_block_merge_config_selectorIiiEEZZNS1_27merge_sort_block_merge_implIS3_N6thrust23THRUST_200600_302600_NS6detail15normal_iteratorINS8_10device_ptrIiEEEESD_jNS1_19radix_merge_compareILb1ELb1EiNS0_19identity_decomposerEEEEE10hipError_tT0_T1_T2_jT3_P12ihipStream_tbPNSt15iterator_traitsISI_E10value_typeEPNSO_ISJ_E10value_typeEPSK_NS1_7vsmem_tEENKUlT_SI_SJ_SK_E_clISD_PiSD_S10_EESH_SX_SI_SJ_SK_EUlSX_E1_NS1_11comp_targetILNS1_3genE5ELNS1_11target_archE942ELNS1_3gpuE9ELNS1_3repE0EEENS1_36merge_oddeven_config_static_selectorELNS0_4arch9wavefront6targetE1EEEvSJ_.numbered_sgpr, 0
	.set _ZN7rocprim17ROCPRIM_400000_NS6detail17trampoline_kernelINS0_14default_configENS1_38merge_sort_block_merge_config_selectorIiiEEZZNS1_27merge_sort_block_merge_implIS3_N6thrust23THRUST_200600_302600_NS6detail15normal_iteratorINS8_10device_ptrIiEEEESD_jNS1_19radix_merge_compareILb1ELb1EiNS0_19identity_decomposerEEEEE10hipError_tT0_T1_T2_jT3_P12ihipStream_tbPNSt15iterator_traitsISI_E10value_typeEPNSO_ISJ_E10value_typeEPSK_NS1_7vsmem_tEENKUlT_SI_SJ_SK_E_clISD_PiSD_S10_EESH_SX_SI_SJ_SK_EUlSX_E1_NS1_11comp_targetILNS1_3genE5ELNS1_11target_archE942ELNS1_3gpuE9ELNS1_3repE0EEENS1_36merge_oddeven_config_static_selectorELNS0_4arch9wavefront6targetE1EEEvSJ_.num_named_barrier, 0
	.set _ZN7rocprim17ROCPRIM_400000_NS6detail17trampoline_kernelINS0_14default_configENS1_38merge_sort_block_merge_config_selectorIiiEEZZNS1_27merge_sort_block_merge_implIS3_N6thrust23THRUST_200600_302600_NS6detail15normal_iteratorINS8_10device_ptrIiEEEESD_jNS1_19radix_merge_compareILb1ELb1EiNS0_19identity_decomposerEEEEE10hipError_tT0_T1_T2_jT3_P12ihipStream_tbPNSt15iterator_traitsISI_E10value_typeEPNSO_ISJ_E10value_typeEPSK_NS1_7vsmem_tEENKUlT_SI_SJ_SK_E_clISD_PiSD_S10_EESH_SX_SI_SJ_SK_EUlSX_E1_NS1_11comp_targetILNS1_3genE5ELNS1_11target_archE942ELNS1_3gpuE9ELNS1_3repE0EEENS1_36merge_oddeven_config_static_selectorELNS0_4arch9wavefront6targetE1EEEvSJ_.private_seg_size, 0
	.set _ZN7rocprim17ROCPRIM_400000_NS6detail17trampoline_kernelINS0_14default_configENS1_38merge_sort_block_merge_config_selectorIiiEEZZNS1_27merge_sort_block_merge_implIS3_N6thrust23THRUST_200600_302600_NS6detail15normal_iteratorINS8_10device_ptrIiEEEESD_jNS1_19radix_merge_compareILb1ELb1EiNS0_19identity_decomposerEEEEE10hipError_tT0_T1_T2_jT3_P12ihipStream_tbPNSt15iterator_traitsISI_E10value_typeEPNSO_ISJ_E10value_typeEPSK_NS1_7vsmem_tEENKUlT_SI_SJ_SK_E_clISD_PiSD_S10_EESH_SX_SI_SJ_SK_EUlSX_E1_NS1_11comp_targetILNS1_3genE5ELNS1_11target_archE942ELNS1_3gpuE9ELNS1_3repE0EEENS1_36merge_oddeven_config_static_selectorELNS0_4arch9wavefront6targetE1EEEvSJ_.uses_vcc, 0
	.set _ZN7rocprim17ROCPRIM_400000_NS6detail17trampoline_kernelINS0_14default_configENS1_38merge_sort_block_merge_config_selectorIiiEEZZNS1_27merge_sort_block_merge_implIS3_N6thrust23THRUST_200600_302600_NS6detail15normal_iteratorINS8_10device_ptrIiEEEESD_jNS1_19radix_merge_compareILb1ELb1EiNS0_19identity_decomposerEEEEE10hipError_tT0_T1_T2_jT3_P12ihipStream_tbPNSt15iterator_traitsISI_E10value_typeEPNSO_ISJ_E10value_typeEPSK_NS1_7vsmem_tEENKUlT_SI_SJ_SK_E_clISD_PiSD_S10_EESH_SX_SI_SJ_SK_EUlSX_E1_NS1_11comp_targetILNS1_3genE5ELNS1_11target_archE942ELNS1_3gpuE9ELNS1_3repE0EEENS1_36merge_oddeven_config_static_selectorELNS0_4arch9wavefront6targetE1EEEvSJ_.uses_flat_scratch, 0
	.set _ZN7rocprim17ROCPRIM_400000_NS6detail17trampoline_kernelINS0_14default_configENS1_38merge_sort_block_merge_config_selectorIiiEEZZNS1_27merge_sort_block_merge_implIS3_N6thrust23THRUST_200600_302600_NS6detail15normal_iteratorINS8_10device_ptrIiEEEESD_jNS1_19radix_merge_compareILb1ELb1EiNS0_19identity_decomposerEEEEE10hipError_tT0_T1_T2_jT3_P12ihipStream_tbPNSt15iterator_traitsISI_E10value_typeEPNSO_ISJ_E10value_typeEPSK_NS1_7vsmem_tEENKUlT_SI_SJ_SK_E_clISD_PiSD_S10_EESH_SX_SI_SJ_SK_EUlSX_E1_NS1_11comp_targetILNS1_3genE5ELNS1_11target_archE942ELNS1_3gpuE9ELNS1_3repE0EEENS1_36merge_oddeven_config_static_selectorELNS0_4arch9wavefront6targetE1EEEvSJ_.has_dyn_sized_stack, 0
	.set _ZN7rocprim17ROCPRIM_400000_NS6detail17trampoline_kernelINS0_14default_configENS1_38merge_sort_block_merge_config_selectorIiiEEZZNS1_27merge_sort_block_merge_implIS3_N6thrust23THRUST_200600_302600_NS6detail15normal_iteratorINS8_10device_ptrIiEEEESD_jNS1_19radix_merge_compareILb1ELb1EiNS0_19identity_decomposerEEEEE10hipError_tT0_T1_T2_jT3_P12ihipStream_tbPNSt15iterator_traitsISI_E10value_typeEPNSO_ISJ_E10value_typeEPSK_NS1_7vsmem_tEENKUlT_SI_SJ_SK_E_clISD_PiSD_S10_EESH_SX_SI_SJ_SK_EUlSX_E1_NS1_11comp_targetILNS1_3genE5ELNS1_11target_archE942ELNS1_3gpuE9ELNS1_3repE0EEENS1_36merge_oddeven_config_static_selectorELNS0_4arch9wavefront6targetE1EEEvSJ_.has_recursion, 0
	.set _ZN7rocprim17ROCPRIM_400000_NS6detail17trampoline_kernelINS0_14default_configENS1_38merge_sort_block_merge_config_selectorIiiEEZZNS1_27merge_sort_block_merge_implIS3_N6thrust23THRUST_200600_302600_NS6detail15normal_iteratorINS8_10device_ptrIiEEEESD_jNS1_19radix_merge_compareILb1ELb1EiNS0_19identity_decomposerEEEEE10hipError_tT0_T1_T2_jT3_P12ihipStream_tbPNSt15iterator_traitsISI_E10value_typeEPNSO_ISJ_E10value_typeEPSK_NS1_7vsmem_tEENKUlT_SI_SJ_SK_E_clISD_PiSD_S10_EESH_SX_SI_SJ_SK_EUlSX_E1_NS1_11comp_targetILNS1_3genE5ELNS1_11target_archE942ELNS1_3gpuE9ELNS1_3repE0EEENS1_36merge_oddeven_config_static_selectorELNS0_4arch9wavefront6targetE1EEEvSJ_.has_indirect_call, 0
	.section	.AMDGPU.csdata,"",@progbits
; Kernel info:
; codeLenInByte = 0
; TotalNumSgprs: 6
; NumVgprs: 0
; NumAgprs: 0
; TotalNumVgprs: 0
; ScratchSize: 0
; MemoryBound: 0
; FloatMode: 240
; IeeeMode: 1
; LDSByteSize: 0 bytes/workgroup (compile time only)
; SGPRBlocks: 0
; VGPRBlocks: 0
; NumSGPRsForWavesPerEU: 6
; NumVGPRsForWavesPerEU: 1
; AccumOffset: 4
; Occupancy: 8
; WaveLimiterHint : 0
; COMPUTE_PGM_RSRC2:SCRATCH_EN: 0
; COMPUTE_PGM_RSRC2:USER_SGPR: 2
; COMPUTE_PGM_RSRC2:TRAP_HANDLER: 0
; COMPUTE_PGM_RSRC2:TGID_X_EN: 1
; COMPUTE_PGM_RSRC2:TGID_Y_EN: 0
; COMPUTE_PGM_RSRC2:TGID_Z_EN: 0
; COMPUTE_PGM_RSRC2:TIDIG_COMP_CNT: 0
; COMPUTE_PGM_RSRC3_GFX90A:ACCUM_OFFSET: 0
; COMPUTE_PGM_RSRC3_GFX90A:TG_SPLIT: 0
	.section	.text._ZN7rocprim17ROCPRIM_400000_NS6detail17trampoline_kernelINS0_14default_configENS1_38merge_sort_block_merge_config_selectorIiiEEZZNS1_27merge_sort_block_merge_implIS3_N6thrust23THRUST_200600_302600_NS6detail15normal_iteratorINS8_10device_ptrIiEEEESD_jNS1_19radix_merge_compareILb1ELb1EiNS0_19identity_decomposerEEEEE10hipError_tT0_T1_T2_jT3_P12ihipStream_tbPNSt15iterator_traitsISI_E10value_typeEPNSO_ISJ_E10value_typeEPSK_NS1_7vsmem_tEENKUlT_SI_SJ_SK_E_clISD_PiSD_S10_EESH_SX_SI_SJ_SK_EUlSX_E1_NS1_11comp_targetILNS1_3genE4ELNS1_11target_archE910ELNS1_3gpuE8ELNS1_3repE0EEENS1_36merge_oddeven_config_static_selectorELNS0_4arch9wavefront6targetE1EEEvSJ_,"axG",@progbits,_ZN7rocprim17ROCPRIM_400000_NS6detail17trampoline_kernelINS0_14default_configENS1_38merge_sort_block_merge_config_selectorIiiEEZZNS1_27merge_sort_block_merge_implIS3_N6thrust23THRUST_200600_302600_NS6detail15normal_iteratorINS8_10device_ptrIiEEEESD_jNS1_19radix_merge_compareILb1ELb1EiNS0_19identity_decomposerEEEEE10hipError_tT0_T1_T2_jT3_P12ihipStream_tbPNSt15iterator_traitsISI_E10value_typeEPNSO_ISJ_E10value_typeEPSK_NS1_7vsmem_tEENKUlT_SI_SJ_SK_E_clISD_PiSD_S10_EESH_SX_SI_SJ_SK_EUlSX_E1_NS1_11comp_targetILNS1_3genE4ELNS1_11target_archE910ELNS1_3gpuE8ELNS1_3repE0EEENS1_36merge_oddeven_config_static_selectorELNS0_4arch9wavefront6targetE1EEEvSJ_,comdat
	.protected	_ZN7rocprim17ROCPRIM_400000_NS6detail17trampoline_kernelINS0_14default_configENS1_38merge_sort_block_merge_config_selectorIiiEEZZNS1_27merge_sort_block_merge_implIS3_N6thrust23THRUST_200600_302600_NS6detail15normal_iteratorINS8_10device_ptrIiEEEESD_jNS1_19radix_merge_compareILb1ELb1EiNS0_19identity_decomposerEEEEE10hipError_tT0_T1_T2_jT3_P12ihipStream_tbPNSt15iterator_traitsISI_E10value_typeEPNSO_ISJ_E10value_typeEPSK_NS1_7vsmem_tEENKUlT_SI_SJ_SK_E_clISD_PiSD_S10_EESH_SX_SI_SJ_SK_EUlSX_E1_NS1_11comp_targetILNS1_3genE4ELNS1_11target_archE910ELNS1_3gpuE8ELNS1_3repE0EEENS1_36merge_oddeven_config_static_selectorELNS0_4arch9wavefront6targetE1EEEvSJ_ ; -- Begin function _ZN7rocprim17ROCPRIM_400000_NS6detail17trampoline_kernelINS0_14default_configENS1_38merge_sort_block_merge_config_selectorIiiEEZZNS1_27merge_sort_block_merge_implIS3_N6thrust23THRUST_200600_302600_NS6detail15normal_iteratorINS8_10device_ptrIiEEEESD_jNS1_19radix_merge_compareILb1ELb1EiNS0_19identity_decomposerEEEEE10hipError_tT0_T1_T2_jT3_P12ihipStream_tbPNSt15iterator_traitsISI_E10value_typeEPNSO_ISJ_E10value_typeEPSK_NS1_7vsmem_tEENKUlT_SI_SJ_SK_E_clISD_PiSD_S10_EESH_SX_SI_SJ_SK_EUlSX_E1_NS1_11comp_targetILNS1_3genE4ELNS1_11target_archE910ELNS1_3gpuE8ELNS1_3repE0EEENS1_36merge_oddeven_config_static_selectorELNS0_4arch9wavefront6targetE1EEEvSJ_
	.globl	_ZN7rocprim17ROCPRIM_400000_NS6detail17trampoline_kernelINS0_14default_configENS1_38merge_sort_block_merge_config_selectorIiiEEZZNS1_27merge_sort_block_merge_implIS3_N6thrust23THRUST_200600_302600_NS6detail15normal_iteratorINS8_10device_ptrIiEEEESD_jNS1_19radix_merge_compareILb1ELb1EiNS0_19identity_decomposerEEEEE10hipError_tT0_T1_T2_jT3_P12ihipStream_tbPNSt15iterator_traitsISI_E10value_typeEPNSO_ISJ_E10value_typeEPSK_NS1_7vsmem_tEENKUlT_SI_SJ_SK_E_clISD_PiSD_S10_EESH_SX_SI_SJ_SK_EUlSX_E1_NS1_11comp_targetILNS1_3genE4ELNS1_11target_archE910ELNS1_3gpuE8ELNS1_3repE0EEENS1_36merge_oddeven_config_static_selectorELNS0_4arch9wavefront6targetE1EEEvSJ_
	.p2align	8
	.type	_ZN7rocprim17ROCPRIM_400000_NS6detail17trampoline_kernelINS0_14default_configENS1_38merge_sort_block_merge_config_selectorIiiEEZZNS1_27merge_sort_block_merge_implIS3_N6thrust23THRUST_200600_302600_NS6detail15normal_iteratorINS8_10device_ptrIiEEEESD_jNS1_19radix_merge_compareILb1ELb1EiNS0_19identity_decomposerEEEEE10hipError_tT0_T1_T2_jT3_P12ihipStream_tbPNSt15iterator_traitsISI_E10value_typeEPNSO_ISJ_E10value_typeEPSK_NS1_7vsmem_tEENKUlT_SI_SJ_SK_E_clISD_PiSD_S10_EESH_SX_SI_SJ_SK_EUlSX_E1_NS1_11comp_targetILNS1_3genE4ELNS1_11target_archE910ELNS1_3gpuE8ELNS1_3repE0EEENS1_36merge_oddeven_config_static_selectorELNS0_4arch9wavefront6targetE1EEEvSJ_,@function
_ZN7rocprim17ROCPRIM_400000_NS6detail17trampoline_kernelINS0_14default_configENS1_38merge_sort_block_merge_config_selectorIiiEEZZNS1_27merge_sort_block_merge_implIS3_N6thrust23THRUST_200600_302600_NS6detail15normal_iteratorINS8_10device_ptrIiEEEESD_jNS1_19radix_merge_compareILb1ELb1EiNS0_19identity_decomposerEEEEE10hipError_tT0_T1_T2_jT3_P12ihipStream_tbPNSt15iterator_traitsISI_E10value_typeEPNSO_ISJ_E10value_typeEPSK_NS1_7vsmem_tEENKUlT_SI_SJ_SK_E_clISD_PiSD_S10_EESH_SX_SI_SJ_SK_EUlSX_E1_NS1_11comp_targetILNS1_3genE4ELNS1_11target_archE910ELNS1_3gpuE8ELNS1_3repE0EEENS1_36merge_oddeven_config_static_selectorELNS0_4arch9wavefront6targetE1EEEvSJ_: ; @_ZN7rocprim17ROCPRIM_400000_NS6detail17trampoline_kernelINS0_14default_configENS1_38merge_sort_block_merge_config_selectorIiiEEZZNS1_27merge_sort_block_merge_implIS3_N6thrust23THRUST_200600_302600_NS6detail15normal_iteratorINS8_10device_ptrIiEEEESD_jNS1_19radix_merge_compareILb1ELb1EiNS0_19identity_decomposerEEEEE10hipError_tT0_T1_T2_jT3_P12ihipStream_tbPNSt15iterator_traitsISI_E10value_typeEPNSO_ISJ_E10value_typeEPSK_NS1_7vsmem_tEENKUlT_SI_SJ_SK_E_clISD_PiSD_S10_EESH_SX_SI_SJ_SK_EUlSX_E1_NS1_11comp_targetILNS1_3genE4ELNS1_11target_archE910ELNS1_3gpuE8ELNS1_3repE0EEENS1_36merge_oddeven_config_static_selectorELNS0_4arch9wavefront6targetE1EEEvSJ_
; %bb.0:
	.section	.rodata,"a",@progbits
	.p2align	6, 0x0
	.amdhsa_kernel _ZN7rocprim17ROCPRIM_400000_NS6detail17trampoline_kernelINS0_14default_configENS1_38merge_sort_block_merge_config_selectorIiiEEZZNS1_27merge_sort_block_merge_implIS3_N6thrust23THRUST_200600_302600_NS6detail15normal_iteratorINS8_10device_ptrIiEEEESD_jNS1_19radix_merge_compareILb1ELb1EiNS0_19identity_decomposerEEEEE10hipError_tT0_T1_T2_jT3_P12ihipStream_tbPNSt15iterator_traitsISI_E10value_typeEPNSO_ISJ_E10value_typeEPSK_NS1_7vsmem_tEENKUlT_SI_SJ_SK_E_clISD_PiSD_S10_EESH_SX_SI_SJ_SK_EUlSX_E1_NS1_11comp_targetILNS1_3genE4ELNS1_11target_archE910ELNS1_3gpuE8ELNS1_3repE0EEENS1_36merge_oddeven_config_static_selectorELNS0_4arch9wavefront6targetE1EEEvSJ_
		.amdhsa_group_segment_fixed_size 0
		.amdhsa_private_segment_fixed_size 0
		.amdhsa_kernarg_size 48
		.amdhsa_user_sgpr_count 2
		.amdhsa_user_sgpr_dispatch_ptr 0
		.amdhsa_user_sgpr_queue_ptr 0
		.amdhsa_user_sgpr_kernarg_segment_ptr 1
		.amdhsa_user_sgpr_dispatch_id 0
		.amdhsa_user_sgpr_kernarg_preload_length 0
		.amdhsa_user_sgpr_kernarg_preload_offset 0
		.amdhsa_user_sgpr_private_segment_size 0
		.amdhsa_uses_dynamic_stack 0
		.amdhsa_enable_private_segment 0
		.amdhsa_system_sgpr_workgroup_id_x 1
		.amdhsa_system_sgpr_workgroup_id_y 0
		.amdhsa_system_sgpr_workgroup_id_z 0
		.amdhsa_system_sgpr_workgroup_info 0
		.amdhsa_system_vgpr_workitem_id 0
		.amdhsa_next_free_vgpr 1
		.amdhsa_next_free_sgpr 0
		.amdhsa_accum_offset 4
		.amdhsa_reserve_vcc 0
		.amdhsa_float_round_mode_32 0
		.amdhsa_float_round_mode_16_64 0
		.amdhsa_float_denorm_mode_32 3
		.amdhsa_float_denorm_mode_16_64 3
		.amdhsa_dx10_clamp 1
		.amdhsa_ieee_mode 1
		.amdhsa_fp16_overflow 0
		.amdhsa_tg_split 0
		.amdhsa_exception_fp_ieee_invalid_op 0
		.amdhsa_exception_fp_denorm_src 0
		.amdhsa_exception_fp_ieee_div_zero 0
		.amdhsa_exception_fp_ieee_overflow 0
		.amdhsa_exception_fp_ieee_underflow 0
		.amdhsa_exception_fp_ieee_inexact 0
		.amdhsa_exception_int_div_zero 0
	.end_amdhsa_kernel
	.section	.text._ZN7rocprim17ROCPRIM_400000_NS6detail17trampoline_kernelINS0_14default_configENS1_38merge_sort_block_merge_config_selectorIiiEEZZNS1_27merge_sort_block_merge_implIS3_N6thrust23THRUST_200600_302600_NS6detail15normal_iteratorINS8_10device_ptrIiEEEESD_jNS1_19radix_merge_compareILb1ELb1EiNS0_19identity_decomposerEEEEE10hipError_tT0_T1_T2_jT3_P12ihipStream_tbPNSt15iterator_traitsISI_E10value_typeEPNSO_ISJ_E10value_typeEPSK_NS1_7vsmem_tEENKUlT_SI_SJ_SK_E_clISD_PiSD_S10_EESH_SX_SI_SJ_SK_EUlSX_E1_NS1_11comp_targetILNS1_3genE4ELNS1_11target_archE910ELNS1_3gpuE8ELNS1_3repE0EEENS1_36merge_oddeven_config_static_selectorELNS0_4arch9wavefront6targetE1EEEvSJ_,"axG",@progbits,_ZN7rocprim17ROCPRIM_400000_NS6detail17trampoline_kernelINS0_14default_configENS1_38merge_sort_block_merge_config_selectorIiiEEZZNS1_27merge_sort_block_merge_implIS3_N6thrust23THRUST_200600_302600_NS6detail15normal_iteratorINS8_10device_ptrIiEEEESD_jNS1_19radix_merge_compareILb1ELb1EiNS0_19identity_decomposerEEEEE10hipError_tT0_T1_T2_jT3_P12ihipStream_tbPNSt15iterator_traitsISI_E10value_typeEPNSO_ISJ_E10value_typeEPSK_NS1_7vsmem_tEENKUlT_SI_SJ_SK_E_clISD_PiSD_S10_EESH_SX_SI_SJ_SK_EUlSX_E1_NS1_11comp_targetILNS1_3genE4ELNS1_11target_archE910ELNS1_3gpuE8ELNS1_3repE0EEENS1_36merge_oddeven_config_static_selectorELNS0_4arch9wavefront6targetE1EEEvSJ_,comdat
.Lfunc_end1814:
	.size	_ZN7rocprim17ROCPRIM_400000_NS6detail17trampoline_kernelINS0_14default_configENS1_38merge_sort_block_merge_config_selectorIiiEEZZNS1_27merge_sort_block_merge_implIS3_N6thrust23THRUST_200600_302600_NS6detail15normal_iteratorINS8_10device_ptrIiEEEESD_jNS1_19radix_merge_compareILb1ELb1EiNS0_19identity_decomposerEEEEE10hipError_tT0_T1_T2_jT3_P12ihipStream_tbPNSt15iterator_traitsISI_E10value_typeEPNSO_ISJ_E10value_typeEPSK_NS1_7vsmem_tEENKUlT_SI_SJ_SK_E_clISD_PiSD_S10_EESH_SX_SI_SJ_SK_EUlSX_E1_NS1_11comp_targetILNS1_3genE4ELNS1_11target_archE910ELNS1_3gpuE8ELNS1_3repE0EEENS1_36merge_oddeven_config_static_selectorELNS0_4arch9wavefront6targetE1EEEvSJ_, .Lfunc_end1814-_ZN7rocprim17ROCPRIM_400000_NS6detail17trampoline_kernelINS0_14default_configENS1_38merge_sort_block_merge_config_selectorIiiEEZZNS1_27merge_sort_block_merge_implIS3_N6thrust23THRUST_200600_302600_NS6detail15normal_iteratorINS8_10device_ptrIiEEEESD_jNS1_19radix_merge_compareILb1ELb1EiNS0_19identity_decomposerEEEEE10hipError_tT0_T1_T2_jT3_P12ihipStream_tbPNSt15iterator_traitsISI_E10value_typeEPNSO_ISJ_E10value_typeEPSK_NS1_7vsmem_tEENKUlT_SI_SJ_SK_E_clISD_PiSD_S10_EESH_SX_SI_SJ_SK_EUlSX_E1_NS1_11comp_targetILNS1_3genE4ELNS1_11target_archE910ELNS1_3gpuE8ELNS1_3repE0EEENS1_36merge_oddeven_config_static_selectorELNS0_4arch9wavefront6targetE1EEEvSJ_
                                        ; -- End function
	.set _ZN7rocprim17ROCPRIM_400000_NS6detail17trampoline_kernelINS0_14default_configENS1_38merge_sort_block_merge_config_selectorIiiEEZZNS1_27merge_sort_block_merge_implIS3_N6thrust23THRUST_200600_302600_NS6detail15normal_iteratorINS8_10device_ptrIiEEEESD_jNS1_19radix_merge_compareILb1ELb1EiNS0_19identity_decomposerEEEEE10hipError_tT0_T1_T2_jT3_P12ihipStream_tbPNSt15iterator_traitsISI_E10value_typeEPNSO_ISJ_E10value_typeEPSK_NS1_7vsmem_tEENKUlT_SI_SJ_SK_E_clISD_PiSD_S10_EESH_SX_SI_SJ_SK_EUlSX_E1_NS1_11comp_targetILNS1_3genE4ELNS1_11target_archE910ELNS1_3gpuE8ELNS1_3repE0EEENS1_36merge_oddeven_config_static_selectorELNS0_4arch9wavefront6targetE1EEEvSJ_.num_vgpr, 0
	.set _ZN7rocprim17ROCPRIM_400000_NS6detail17trampoline_kernelINS0_14default_configENS1_38merge_sort_block_merge_config_selectorIiiEEZZNS1_27merge_sort_block_merge_implIS3_N6thrust23THRUST_200600_302600_NS6detail15normal_iteratorINS8_10device_ptrIiEEEESD_jNS1_19radix_merge_compareILb1ELb1EiNS0_19identity_decomposerEEEEE10hipError_tT0_T1_T2_jT3_P12ihipStream_tbPNSt15iterator_traitsISI_E10value_typeEPNSO_ISJ_E10value_typeEPSK_NS1_7vsmem_tEENKUlT_SI_SJ_SK_E_clISD_PiSD_S10_EESH_SX_SI_SJ_SK_EUlSX_E1_NS1_11comp_targetILNS1_3genE4ELNS1_11target_archE910ELNS1_3gpuE8ELNS1_3repE0EEENS1_36merge_oddeven_config_static_selectorELNS0_4arch9wavefront6targetE1EEEvSJ_.num_agpr, 0
	.set _ZN7rocprim17ROCPRIM_400000_NS6detail17trampoline_kernelINS0_14default_configENS1_38merge_sort_block_merge_config_selectorIiiEEZZNS1_27merge_sort_block_merge_implIS3_N6thrust23THRUST_200600_302600_NS6detail15normal_iteratorINS8_10device_ptrIiEEEESD_jNS1_19radix_merge_compareILb1ELb1EiNS0_19identity_decomposerEEEEE10hipError_tT0_T1_T2_jT3_P12ihipStream_tbPNSt15iterator_traitsISI_E10value_typeEPNSO_ISJ_E10value_typeEPSK_NS1_7vsmem_tEENKUlT_SI_SJ_SK_E_clISD_PiSD_S10_EESH_SX_SI_SJ_SK_EUlSX_E1_NS1_11comp_targetILNS1_3genE4ELNS1_11target_archE910ELNS1_3gpuE8ELNS1_3repE0EEENS1_36merge_oddeven_config_static_selectorELNS0_4arch9wavefront6targetE1EEEvSJ_.numbered_sgpr, 0
	.set _ZN7rocprim17ROCPRIM_400000_NS6detail17trampoline_kernelINS0_14default_configENS1_38merge_sort_block_merge_config_selectorIiiEEZZNS1_27merge_sort_block_merge_implIS3_N6thrust23THRUST_200600_302600_NS6detail15normal_iteratorINS8_10device_ptrIiEEEESD_jNS1_19radix_merge_compareILb1ELb1EiNS0_19identity_decomposerEEEEE10hipError_tT0_T1_T2_jT3_P12ihipStream_tbPNSt15iterator_traitsISI_E10value_typeEPNSO_ISJ_E10value_typeEPSK_NS1_7vsmem_tEENKUlT_SI_SJ_SK_E_clISD_PiSD_S10_EESH_SX_SI_SJ_SK_EUlSX_E1_NS1_11comp_targetILNS1_3genE4ELNS1_11target_archE910ELNS1_3gpuE8ELNS1_3repE0EEENS1_36merge_oddeven_config_static_selectorELNS0_4arch9wavefront6targetE1EEEvSJ_.num_named_barrier, 0
	.set _ZN7rocprim17ROCPRIM_400000_NS6detail17trampoline_kernelINS0_14default_configENS1_38merge_sort_block_merge_config_selectorIiiEEZZNS1_27merge_sort_block_merge_implIS3_N6thrust23THRUST_200600_302600_NS6detail15normal_iteratorINS8_10device_ptrIiEEEESD_jNS1_19radix_merge_compareILb1ELb1EiNS0_19identity_decomposerEEEEE10hipError_tT0_T1_T2_jT3_P12ihipStream_tbPNSt15iterator_traitsISI_E10value_typeEPNSO_ISJ_E10value_typeEPSK_NS1_7vsmem_tEENKUlT_SI_SJ_SK_E_clISD_PiSD_S10_EESH_SX_SI_SJ_SK_EUlSX_E1_NS1_11comp_targetILNS1_3genE4ELNS1_11target_archE910ELNS1_3gpuE8ELNS1_3repE0EEENS1_36merge_oddeven_config_static_selectorELNS0_4arch9wavefront6targetE1EEEvSJ_.private_seg_size, 0
	.set _ZN7rocprim17ROCPRIM_400000_NS6detail17trampoline_kernelINS0_14default_configENS1_38merge_sort_block_merge_config_selectorIiiEEZZNS1_27merge_sort_block_merge_implIS3_N6thrust23THRUST_200600_302600_NS6detail15normal_iteratorINS8_10device_ptrIiEEEESD_jNS1_19radix_merge_compareILb1ELb1EiNS0_19identity_decomposerEEEEE10hipError_tT0_T1_T2_jT3_P12ihipStream_tbPNSt15iterator_traitsISI_E10value_typeEPNSO_ISJ_E10value_typeEPSK_NS1_7vsmem_tEENKUlT_SI_SJ_SK_E_clISD_PiSD_S10_EESH_SX_SI_SJ_SK_EUlSX_E1_NS1_11comp_targetILNS1_3genE4ELNS1_11target_archE910ELNS1_3gpuE8ELNS1_3repE0EEENS1_36merge_oddeven_config_static_selectorELNS0_4arch9wavefront6targetE1EEEvSJ_.uses_vcc, 0
	.set _ZN7rocprim17ROCPRIM_400000_NS6detail17trampoline_kernelINS0_14default_configENS1_38merge_sort_block_merge_config_selectorIiiEEZZNS1_27merge_sort_block_merge_implIS3_N6thrust23THRUST_200600_302600_NS6detail15normal_iteratorINS8_10device_ptrIiEEEESD_jNS1_19radix_merge_compareILb1ELb1EiNS0_19identity_decomposerEEEEE10hipError_tT0_T1_T2_jT3_P12ihipStream_tbPNSt15iterator_traitsISI_E10value_typeEPNSO_ISJ_E10value_typeEPSK_NS1_7vsmem_tEENKUlT_SI_SJ_SK_E_clISD_PiSD_S10_EESH_SX_SI_SJ_SK_EUlSX_E1_NS1_11comp_targetILNS1_3genE4ELNS1_11target_archE910ELNS1_3gpuE8ELNS1_3repE0EEENS1_36merge_oddeven_config_static_selectorELNS0_4arch9wavefront6targetE1EEEvSJ_.uses_flat_scratch, 0
	.set _ZN7rocprim17ROCPRIM_400000_NS6detail17trampoline_kernelINS0_14default_configENS1_38merge_sort_block_merge_config_selectorIiiEEZZNS1_27merge_sort_block_merge_implIS3_N6thrust23THRUST_200600_302600_NS6detail15normal_iteratorINS8_10device_ptrIiEEEESD_jNS1_19radix_merge_compareILb1ELb1EiNS0_19identity_decomposerEEEEE10hipError_tT0_T1_T2_jT3_P12ihipStream_tbPNSt15iterator_traitsISI_E10value_typeEPNSO_ISJ_E10value_typeEPSK_NS1_7vsmem_tEENKUlT_SI_SJ_SK_E_clISD_PiSD_S10_EESH_SX_SI_SJ_SK_EUlSX_E1_NS1_11comp_targetILNS1_3genE4ELNS1_11target_archE910ELNS1_3gpuE8ELNS1_3repE0EEENS1_36merge_oddeven_config_static_selectorELNS0_4arch9wavefront6targetE1EEEvSJ_.has_dyn_sized_stack, 0
	.set _ZN7rocprim17ROCPRIM_400000_NS6detail17trampoline_kernelINS0_14default_configENS1_38merge_sort_block_merge_config_selectorIiiEEZZNS1_27merge_sort_block_merge_implIS3_N6thrust23THRUST_200600_302600_NS6detail15normal_iteratorINS8_10device_ptrIiEEEESD_jNS1_19radix_merge_compareILb1ELb1EiNS0_19identity_decomposerEEEEE10hipError_tT0_T1_T2_jT3_P12ihipStream_tbPNSt15iterator_traitsISI_E10value_typeEPNSO_ISJ_E10value_typeEPSK_NS1_7vsmem_tEENKUlT_SI_SJ_SK_E_clISD_PiSD_S10_EESH_SX_SI_SJ_SK_EUlSX_E1_NS1_11comp_targetILNS1_3genE4ELNS1_11target_archE910ELNS1_3gpuE8ELNS1_3repE0EEENS1_36merge_oddeven_config_static_selectorELNS0_4arch9wavefront6targetE1EEEvSJ_.has_recursion, 0
	.set _ZN7rocprim17ROCPRIM_400000_NS6detail17trampoline_kernelINS0_14default_configENS1_38merge_sort_block_merge_config_selectorIiiEEZZNS1_27merge_sort_block_merge_implIS3_N6thrust23THRUST_200600_302600_NS6detail15normal_iteratorINS8_10device_ptrIiEEEESD_jNS1_19radix_merge_compareILb1ELb1EiNS0_19identity_decomposerEEEEE10hipError_tT0_T1_T2_jT3_P12ihipStream_tbPNSt15iterator_traitsISI_E10value_typeEPNSO_ISJ_E10value_typeEPSK_NS1_7vsmem_tEENKUlT_SI_SJ_SK_E_clISD_PiSD_S10_EESH_SX_SI_SJ_SK_EUlSX_E1_NS1_11comp_targetILNS1_3genE4ELNS1_11target_archE910ELNS1_3gpuE8ELNS1_3repE0EEENS1_36merge_oddeven_config_static_selectorELNS0_4arch9wavefront6targetE1EEEvSJ_.has_indirect_call, 0
	.section	.AMDGPU.csdata,"",@progbits
; Kernel info:
; codeLenInByte = 0
; TotalNumSgprs: 6
; NumVgprs: 0
; NumAgprs: 0
; TotalNumVgprs: 0
; ScratchSize: 0
; MemoryBound: 0
; FloatMode: 240
; IeeeMode: 1
; LDSByteSize: 0 bytes/workgroup (compile time only)
; SGPRBlocks: 0
; VGPRBlocks: 0
; NumSGPRsForWavesPerEU: 6
; NumVGPRsForWavesPerEU: 1
; AccumOffset: 4
; Occupancy: 8
; WaveLimiterHint : 0
; COMPUTE_PGM_RSRC2:SCRATCH_EN: 0
; COMPUTE_PGM_RSRC2:USER_SGPR: 2
; COMPUTE_PGM_RSRC2:TRAP_HANDLER: 0
; COMPUTE_PGM_RSRC2:TGID_X_EN: 1
; COMPUTE_PGM_RSRC2:TGID_Y_EN: 0
; COMPUTE_PGM_RSRC2:TGID_Z_EN: 0
; COMPUTE_PGM_RSRC2:TIDIG_COMP_CNT: 0
; COMPUTE_PGM_RSRC3_GFX90A:ACCUM_OFFSET: 0
; COMPUTE_PGM_RSRC3_GFX90A:TG_SPLIT: 0
	.section	.text._ZN7rocprim17ROCPRIM_400000_NS6detail17trampoline_kernelINS0_14default_configENS1_38merge_sort_block_merge_config_selectorIiiEEZZNS1_27merge_sort_block_merge_implIS3_N6thrust23THRUST_200600_302600_NS6detail15normal_iteratorINS8_10device_ptrIiEEEESD_jNS1_19radix_merge_compareILb1ELb1EiNS0_19identity_decomposerEEEEE10hipError_tT0_T1_T2_jT3_P12ihipStream_tbPNSt15iterator_traitsISI_E10value_typeEPNSO_ISJ_E10value_typeEPSK_NS1_7vsmem_tEENKUlT_SI_SJ_SK_E_clISD_PiSD_S10_EESH_SX_SI_SJ_SK_EUlSX_E1_NS1_11comp_targetILNS1_3genE3ELNS1_11target_archE908ELNS1_3gpuE7ELNS1_3repE0EEENS1_36merge_oddeven_config_static_selectorELNS0_4arch9wavefront6targetE1EEEvSJ_,"axG",@progbits,_ZN7rocprim17ROCPRIM_400000_NS6detail17trampoline_kernelINS0_14default_configENS1_38merge_sort_block_merge_config_selectorIiiEEZZNS1_27merge_sort_block_merge_implIS3_N6thrust23THRUST_200600_302600_NS6detail15normal_iteratorINS8_10device_ptrIiEEEESD_jNS1_19radix_merge_compareILb1ELb1EiNS0_19identity_decomposerEEEEE10hipError_tT0_T1_T2_jT3_P12ihipStream_tbPNSt15iterator_traitsISI_E10value_typeEPNSO_ISJ_E10value_typeEPSK_NS1_7vsmem_tEENKUlT_SI_SJ_SK_E_clISD_PiSD_S10_EESH_SX_SI_SJ_SK_EUlSX_E1_NS1_11comp_targetILNS1_3genE3ELNS1_11target_archE908ELNS1_3gpuE7ELNS1_3repE0EEENS1_36merge_oddeven_config_static_selectorELNS0_4arch9wavefront6targetE1EEEvSJ_,comdat
	.protected	_ZN7rocprim17ROCPRIM_400000_NS6detail17trampoline_kernelINS0_14default_configENS1_38merge_sort_block_merge_config_selectorIiiEEZZNS1_27merge_sort_block_merge_implIS3_N6thrust23THRUST_200600_302600_NS6detail15normal_iteratorINS8_10device_ptrIiEEEESD_jNS1_19radix_merge_compareILb1ELb1EiNS0_19identity_decomposerEEEEE10hipError_tT0_T1_T2_jT3_P12ihipStream_tbPNSt15iterator_traitsISI_E10value_typeEPNSO_ISJ_E10value_typeEPSK_NS1_7vsmem_tEENKUlT_SI_SJ_SK_E_clISD_PiSD_S10_EESH_SX_SI_SJ_SK_EUlSX_E1_NS1_11comp_targetILNS1_3genE3ELNS1_11target_archE908ELNS1_3gpuE7ELNS1_3repE0EEENS1_36merge_oddeven_config_static_selectorELNS0_4arch9wavefront6targetE1EEEvSJ_ ; -- Begin function _ZN7rocprim17ROCPRIM_400000_NS6detail17trampoline_kernelINS0_14default_configENS1_38merge_sort_block_merge_config_selectorIiiEEZZNS1_27merge_sort_block_merge_implIS3_N6thrust23THRUST_200600_302600_NS6detail15normal_iteratorINS8_10device_ptrIiEEEESD_jNS1_19radix_merge_compareILb1ELb1EiNS0_19identity_decomposerEEEEE10hipError_tT0_T1_T2_jT3_P12ihipStream_tbPNSt15iterator_traitsISI_E10value_typeEPNSO_ISJ_E10value_typeEPSK_NS1_7vsmem_tEENKUlT_SI_SJ_SK_E_clISD_PiSD_S10_EESH_SX_SI_SJ_SK_EUlSX_E1_NS1_11comp_targetILNS1_3genE3ELNS1_11target_archE908ELNS1_3gpuE7ELNS1_3repE0EEENS1_36merge_oddeven_config_static_selectorELNS0_4arch9wavefront6targetE1EEEvSJ_
	.globl	_ZN7rocprim17ROCPRIM_400000_NS6detail17trampoline_kernelINS0_14default_configENS1_38merge_sort_block_merge_config_selectorIiiEEZZNS1_27merge_sort_block_merge_implIS3_N6thrust23THRUST_200600_302600_NS6detail15normal_iteratorINS8_10device_ptrIiEEEESD_jNS1_19radix_merge_compareILb1ELb1EiNS0_19identity_decomposerEEEEE10hipError_tT0_T1_T2_jT3_P12ihipStream_tbPNSt15iterator_traitsISI_E10value_typeEPNSO_ISJ_E10value_typeEPSK_NS1_7vsmem_tEENKUlT_SI_SJ_SK_E_clISD_PiSD_S10_EESH_SX_SI_SJ_SK_EUlSX_E1_NS1_11comp_targetILNS1_3genE3ELNS1_11target_archE908ELNS1_3gpuE7ELNS1_3repE0EEENS1_36merge_oddeven_config_static_selectorELNS0_4arch9wavefront6targetE1EEEvSJ_
	.p2align	8
	.type	_ZN7rocprim17ROCPRIM_400000_NS6detail17trampoline_kernelINS0_14default_configENS1_38merge_sort_block_merge_config_selectorIiiEEZZNS1_27merge_sort_block_merge_implIS3_N6thrust23THRUST_200600_302600_NS6detail15normal_iteratorINS8_10device_ptrIiEEEESD_jNS1_19radix_merge_compareILb1ELb1EiNS0_19identity_decomposerEEEEE10hipError_tT0_T1_T2_jT3_P12ihipStream_tbPNSt15iterator_traitsISI_E10value_typeEPNSO_ISJ_E10value_typeEPSK_NS1_7vsmem_tEENKUlT_SI_SJ_SK_E_clISD_PiSD_S10_EESH_SX_SI_SJ_SK_EUlSX_E1_NS1_11comp_targetILNS1_3genE3ELNS1_11target_archE908ELNS1_3gpuE7ELNS1_3repE0EEENS1_36merge_oddeven_config_static_selectorELNS0_4arch9wavefront6targetE1EEEvSJ_,@function
_ZN7rocprim17ROCPRIM_400000_NS6detail17trampoline_kernelINS0_14default_configENS1_38merge_sort_block_merge_config_selectorIiiEEZZNS1_27merge_sort_block_merge_implIS3_N6thrust23THRUST_200600_302600_NS6detail15normal_iteratorINS8_10device_ptrIiEEEESD_jNS1_19radix_merge_compareILb1ELb1EiNS0_19identity_decomposerEEEEE10hipError_tT0_T1_T2_jT3_P12ihipStream_tbPNSt15iterator_traitsISI_E10value_typeEPNSO_ISJ_E10value_typeEPSK_NS1_7vsmem_tEENKUlT_SI_SJ_SK_E_clISD_PiSD_S10_EESH_SX_SI_SJ_SK_EUlSX_E1_NS1_11comp_targetILNS1_3genE3ELNS1_11target_archE908ELNS1_3gpuE7ELNS1_3repE0EEENS1_36merge_oddeven_config_static_selectorELNS0_4arch9wavefront6targetE1EEEvSJ_: ; @_ZN7rocprim17ROCPRIM_400000_NS6detail17trampoline_kernelINS0_14default_configENS1_38merge_sort_block_merge_config_selectorIiiEEZZNS1_27merge_sort_block_merge_implIS3_N6thrust23THRUST_200600_302600_NS6detail15normal_iteratorINS8_10device_ptrIiEEEESD_jNS1_19radix_merge_compareILb1ELb1EiNS0_19identity_decomposerEEEEE10hipError_tT0_T1_T2_jT3_P12ihipStream_tbPNSt15iterator_traitsISI_E10value_typeEPNSO_ISJ_E10value_typeEPSK_NS1_7vsmem_tEENKUlT_SI_SJ_SK_E_clISD_PiSD_S10_EESH_SX_SI_SJ_SK_EUlSX_E1_NS1_11comp_targetILNS1_3genE3ELNS1_11target_archE908ELNS1_3gpuE7ELNS1_3repE0EEENS1_36merge_oddeven_config_static_selectorELNS0_4arch9wavefront6targetE1EEEvSJ_
; %bb.0:
	.section	.rodata,"a",@progbits
	.p2align	6, 0x0
	.amdhsa_kernel _ZN7rocprim17ROCPRIM_400000_NS6detail17trampoline_kernelINS0_14default_configENS1_38merge_sort_block_merge_config_selectorIiiEEZZNS1_27merge_sort_block_merge_implIS3_N6thrust23THRUST_200600_302600_NS6detail15normal_iteratorINS8_10device_ptrIiEEEESD_jNS1_19radix_merge_compareILb1ELb1EiNS0_19identity_decomposerEEEEE10hipError_tT0_T1_T2_jT3_P12ihipStream_tbPNSt15iterator_traitsISI_E10value_typeEPNSO_ISJ_E10value_typeEPSK_NS1_7vsmem_tEENKUlT_SI_SJ_SK_E_clISD_PiSD_S10_EESH_SX_SI_SJ_SK_EUlSX_E1_NS1_11comp_targetILNS1_3genE3ELNS1_11target_archE908ELNS1_3gpuE7ELNS1_3repE0EEENS1_36merge_oddeven_config_static_selectorELNS0_4arch9wavefront6targetE1EEEvSJ_
		.amdhsa_group_segment_fixed_size 0
		.amdhsa_private_segment_fixed_size 0
		.amdhsa_kernarg_size 48
		.amdhsa_user_sgpr_count 2
		.amdhsa_user_sgpr_dispatch_ptr 0
		.amdhsa_user_sgpr_queue_ptr 0
		.amdhsa_user_sgpr_kernarg_segment_ptr 1
		.amdhsa_user_sgpr_dispatch_id 0
		.amdhsa_user_sgpr_kernarg_preload_length 0
		.amdhsa_user_sgpr_kernarg_preload_offset 0
		.amdhsa_user_sgpr_private_segment_size 0
		.amdhsa_uses_dynamic_stack 0
		.amdhsa_enable_private_segment 0
		.amdhsa_system_sgpr_workgroup_id_x 1
		.amdhsa_system_sgpr_workgroup_id_y 0
		.amdhsa_system_sgpr_workgroup_id_z 0
		.amdhsa_system_sgpr_workgroup_info 0
		.amdhsa_system_vgpr_workitem_id 0
		.amdhsa_next_free_vgpr 1
		.amdhsa_next_free_sgpr 0
		.amdhsa_accum_offset 4
		.amdhsa_reserve_vcc 0
		.amdhsa_float_round_mode_32 0
		.amdhsa_float_round_mode_16_64 0
		.amdhsa_float_denorm_mode_32 3
		.amdhsa_float_denorm_mode_16_64 3
		.amdhsa_dx10_clamp 1
		.amdhsa_ieee_mode 1
		.amdhsa_fp16_overflow 0
		.amdhsa_tg_split 0
		.amdhsa_exception_fp_ieee_invalid_op 0
		.amdhsa_exception_fp_denorm_src 0
		.amdhsa_exception_fp_ieee_div_zero 0
		.amdhsa_exception_fp_ieee_overflow 0
		.amdhsa_exception_fp_ieee_underflow 0
		.amdhsa_exception_fp_ieee_inexact 0
		.amdhsa_exception_int_div_zero 0
	.end_amdhsa_kernel
	.section	.text._ZN7rocprim17ROCPRIM_400000_NS6detail17trampoline_kernelINS0_14default_configENS1_38merge_sort_block_merge_config_selectorIiiEEZZNS1_27merge_sort_block_merge_implIS3_N6thrust23THRUST_200600_302600_NS6detail15normal_iteratorINS8_10device_ptrIiEEEESD_jNS1_19radix_merge_compareILb1ELb1EiNS0_19identity_decomposerEEEEE10hipError_tT0_T1_T2_jT3_P12ihipStream_tbPNSt15iterator_traitsISI_E10value_typeEPNSO_ISJ_E10value_typeEPSK_NS1_7vsmem_tEENKUlT_SI_SJ_SK_E_clISD_PiSD_S10_EESH_SX_SI_SJ_SK_EUlSX_E1_NS1_11comp_targetILNS1_3genE3ELNS1_11target_archE908ELNS1_3gpuE7ELNS1_3repE0EEENS1_36merge_oddeven_config_static_selectorELNS0_4arch9wavefront6targetE1EEEvSJ_,"axG",@progbits,_ZN7rocprim17ROCPRIM_400000_NS6detail17trampoline_kernelINS0_14default_configENS1_38merge_sort_block_merge_config_selectorIiiEEZZNS1_27merge_sort_block_merge_implIS3_N6thrust23THRUST_200600_302600_NS6detail15normal_iteratorINS8_10device_ptrIiEEEESD_jNS1_19radix_merge_compareILb1ELb1EiNS0_19identity_decomposerEEEEE10hipError_tT0_T1_T2_jT3_P12ihipStream_tbPNSt15iterator_traitsISI_E10value_typeEPNSO_ISJ_E10value_typeEPSK_NS1_7vsmem_tEENKUlT_SI_SJ_SK_E_clISD_PiSD_S10_EESH_SX_SI_SJ_SK_EUlSX_E1_NS1_11comp_targetILNS1_3genE3ELNS1_11target_archE908ELNS1_3gpuE7ELNS1_3repE0EEENS1_36merge_oddeven_config_static_selectorELNS0_4arch9wavefront6targetE1EEEvSJ_,comdat
.Lfunc_end1815:
	.size	_ZN7rocprim17ROCPRIM_400000_NS6detail17trampoline_kernelINS0_14default_configENS1_38merge_sort_block_merge_config_selectorIiiEEZZNS1_27merge_sort_block_merge_implIS3_N6thrust23THRUST_200600_302600_NS6detail15normal_iteratorINS8_10device_ptrIiEEEESD_jNS1_19radix_merge_compareILb1ELb1EiNS0_19identity_decomposerEEEEE10hipError_tT0_T1_T2_jT3_P12ihipStream_tbPNSt15iterator_traitsISI_E10value_typeEPNSO_ISJ_E10value_typeEPSK_NS1_7vsmem_tEENKUlT_SI_SJ_SK_E_clISD_PiSD_S10_EESH_SX_SI_SJ_SK_EUlSX_E1_NS1_11comp_targetILNS1_3genE3ELNS1_11target_archE908ELNS1_3gpuE7ELNS1_3repE0EEENS1_36merge_oddeven_config_static_selectorELNS0_4arch9wavefront6targetE1EEEvSJ_, .Lfunc_end1815-_ZN7rocprim17ROCPRIM_400000_NS6detail17trampoline_kernelINS0_14default_configENS1_38merge_sort_block_merge_config_selectorIiiEEZZNS1_27merge_sort_block_merge_implIS3_N6thrust23THRUST_200600_302600_NS6detail15normal_iteratorINS8_10device_ptrIiEEEESD_jNS1_19radix_merge_compareILb1ELb1EiNS0_19identity_decomposerEEEEE10hipError_tT0_T1_T2_jT3_P12ihipStream_tbPNSt15iterator_traitsISI_E10value_typeEPNSO_ISJ_E10value_typeEPSK_NS1_7vsmem_tEENKUlT_SI_SJ_SK_E_clISD_PiSD_S10_EESH_SX_SI_SJ_SK_EUlSX_E1_NS1_11comp_targetILNS1_3genE3ELNS1_11target_archE908ELNS1_3gpuE7ELNS1_3repE0EEENS1_36merge_oddeven_config_static_selectorELNS0_4arch9wavefront6targetE1EEEvSJ_
                                        ; -- End function
	.set _ZN7rocprim17ROCPRIM_400000_NS6detail17trampoline_kernelINS0_14default_configENS1_38merge_sort_block_merge_config_selectorIiiEEZZNS1_27merge_sort_block_merge_implIS3_N6thrust23THRUST_200600_302600_NS6detail15normal_iteratorINS8_10device_ptrIiEEEESD_jNS1_19radix_merge_compareILb1ELb1EiNS0_19identity_decomposerEEEEE10hipError_tT0_T1_T2_jT3_P12ihipStream_tbPNSt15iterator_traitsISI_E10value_typeEPNSO_ISJ_E10value_typeEPSK_NS1_7vsmem_tEENKUlT_SI_SJ_SK_E_clISD_PiSD_S10_EESH_SX_SI_SJ_SK_EUlSX_E1_NS1_11comp_targetILNS1_3genE3ELNS1_11target_archE908ELNS1_3gpuE7ELNS1_3repE0EEENS1_36merge_oddeven_config_static_selectorELNS0_4arch9wavefront6targetE1EEEvSJ_.num_vgpr, 0
	.set _ZN7rocprim17ROCPRIM_400000_NS6detail17trampoline_kernelINS0_14default_configENS1_38merge_sort_block_merge_config_selectorIiiEEZZNS1_27merge_sort_block_merge_implIS3_N6thrust23THRUST_200600_302600_NS6detail15normal_iteratorINS8_10device_ptrIiEEEESD_jNS1_19radix_merge_compareILb1ELb1EiNS0_19identity_decomposerEEEEE10hipError_tT0_T1_T2_jT3_P12ihipStream_tbPNSt15iterator_traitsISI_E10value_typeEPNSO_ISJ_E10value_typeEPSK_NS1_7vsmem_tEENKUlT_SI_SJ_SK_E_clISD_PiSD_S10_EESH_SX_SI_SJ_SK_EUlSX_E1_NS1_11comp_targetILNS1_3genE3ELNS1_11target_archE908ELNS1_3gpuE7ELNS1_3repE0EEENS1_36merge_oddeven_config_static_selectorELNS0_4arch9wavefront6targetE1EEEvSJ_.num_agpr, 0
	.set _ZN7rocprim17ROCPRIM_400000_NS6detail17trampoline_kernelINS0_14default_configENS1_38merge_sort_block_merge_config_selectorIiiEEZZNS1_27merge_sort_block_merge_implIS3_N6thrust23THRUST_200600_302600_NS6detail15normal_iteratorINS8_10device_ptrIiEEEESD_jNS1_19radix_merge_compareILb1ELb1EiNS0_19identity_decomposerEEEEE10hipError_tT0_T1_T2_jT3_P12ihipStream_tbPNSt15iterator_traitsISI_E10value_typeEPNSO_ISJ_E10value_typeEPSK_NS1_7vsmem_tEENKUlT_SI_SJ_SK_E_clISD_PiSD_S10_EESH_SX_SI_SJ_SK_EUlSX_E1_NS1_11comp_targetILNS1_3genE3ELNS1_11target_archE908ELNS1_3gpuE7ELNS1_3repE0EEENS1_36merge_oddeven_config_static_selectorELNS0_4arch9wavefront6targetE1EEEvSJ_.numbered_sgpr, 0
	.set _ZN7rocprim17ROCPRIM_400000_NS6detail17trampoline_kernelINS0_14default_configENS1_38merge_sort_block_merge_config_selectorIiiEEZZNS1_27merge_sort_block_merge_implIS3_N6thrust23THRUST_200600_302600_NS6detail15normal_iteratorINS8_10device_ptrIiEEEESD_jNS1_19radix_merge_compareILb1ELb1EiNS0_19identity_decomposerEEEEE10hipError_tT0_T1_T2_jT3_P12ihipStream_tbPNSt15iterator_traitsISI_E10value_typeEPNSO_ISJ_E10value_typeEPSK_NS1_7vsmem_tEENKUlT_SI_SJ_SK_E_clISD_PiSD_S10_EESH_SX_SI_SJ_SK_EUlSX_E1_NS1_11comp_targetILNS1_3genE3ELNS1_11target_archE908ELNS1_3gpuE7ELNS1_3repE0EEENS1_36merge_oddeven_config_static_selectorELNS0_4arch9wavefront6targetE1EEEvSJ_.num_named_barrier, 0
	.set _ZN7rocprim17ROCPRIM_400000_NS6detail17trampoline_kernelINS0_14default_configENS1_38merge_sort_block_merge_config_selectorIiiEEZZNS1_27merge_sort_block_merge_implIS3_N6thrust23THRUST_200600_302600_NS6detail15normal_iteratorINS8_10device_ptrIiEEEESD_jNS1_19radix_merge_compareILb1ELb1EiNS0_19identity_decomposerEEEEE10hipError_tT0_T1_T2_jT3_P12ihipStream_tbPNSt15iterator_traitsISI_E10value_typeEPNSO_ISJ_E10value_typeEPSK_NS1_7vsmem_tEENKUlT_SI_SJ_SK_E_clISD_PiSD_S10_EESH_SX_SI_SJ_SK_EUlSX_E1_NS1_11comp_targetILNS1_3genE3ELNS1_11target_archE908ELNS1_3gpuE7ELNS1_3repE0EEENS1_36merge_oddeven_config_static_selectorELNS0_4arch9wavefront6targetE1EEEvSJ_.private_seg_size, 0
	.set _ZN7rocprim17ROCPRIM_400000_NS6detail17trampoline_kernelINS0_14default_configENS1_38merge_sort_block_merge_config_selectorIiiEEZZNS1_27merge_sort_block_merge_implIS3_N6thrust23THRUST_200600_302600_NS6detail15normal_iteratorINS8_10device_ptrIiEEEESD_jNS1_19radix_merge_compareILb1ELb1EiNS0_19identity_decomposerEEEEE10hipError_tT0_T1_T2_jT3_P12ihipStream_tbPNSt15iterator_traitsISI_E10value_typeEPNSO_ISJ_E10value_typeEPSK_NS1_7vsmem_tEENKUlT_SI_SJ_SK_E_clISD_PiSD_S10_EESH_SX_SI_SJ_SK_EUlSX_E1_NS1_11comp_targetILNS1_3genE3ELNS1_11target_archE908ELNS1_3gpuE7ELNS1_3repE0EEENS1_36merge_oddeven_config_static_selectorELNS0_4arch9wavefront6targetE1EEEvSJ_.uses_vcc, 0
	.set _ZN7rocprim17ROCPRIM_400000_NS6detail17trampoline_kernelINS0_14default_configENS1_38merge_sort_block_merge_config_selectorIiiEEZZNS1_27merge_sort_block_merge_implIS3_N6thrust23THRUST_200600_302600_NS6detail15normal_iteratorINS8_10device_ptrIiEEEESD_jNS1_19radix_merge_compareILb1ELb1EiNS0_19identity_decomposerEEEEE10hipError_tT0_T1_T2_jT3_P12ihipStream_tbPNSt15iterator_traitsISI_E10value_typeEPNSO_ISJ_E10value_typeEPSK_NS1_7vsmem_tEENKUlT_SI_SJ_SK_E_clISD_PiSD_S10_EESH_SX_SI_SJ_SK_EUlSX_E1_NS1_11comp_targetILNS1_3genE3ELNS1_11target_archE908ELNS1_3gpuE7ELNS1_3repE0EEENS1_36merge_oddeven_config_static_selectorELNS0_4arch9wavefront6targetE1EEEvSJ_.uses_flat_scratch, 0
	.set _ZN7rocprim17ROCPRIM_400000_NS6detail17trampoline_kernelINS0_14default_configENS1_38merge_sort_block_merge_config_selectorIiiEEZZNS1_27merge_sort_block_merge_implIS3_N6thrust23THRUST_200600_302600_NS6detail15normal_iteratorINS8_10device_ptrIiEEEESD_jNS1_19radix_merge_compareILb1ELb1EiNS0_19identity_decomposerEEEEE10hipError_tT0_T1_T2_jT3_P12ihipStream_tbPNSt15iterator_traitsISI_E10value_typeEPNSO_ISJ_E10value_typeEPSK_NS1_7vsmem_tEENKUlT_SI_SJ_SK_E_clISD_PiSD_S10_EESH_SX_SI_SJ_SK_EUlSX_E1_NS1_11comp_targetILNS1_3genE3ELNS1_11target_archE908ELNS1_3gpuE7ELNS1_3repE0EEENS1_36merge_oddeven_config_static_selectorELNS0_4arch9wavefront6targetE1EEEvSJ_.has_dyn_sized_stack, 0
	.set _ZN7rocprim17ROCPRIM_400000_NS6detail17trampoline_kernelINS0_14default_configENS1_38merge_sort_block_merge_config_selectorIiiEEZZNS1_27merge_sort_block_merge_implIS3_N6thrust23THRUST_200600_302600_NS6detail15normal_iteratorINS8_10device_ptrIiEEEESD_jNS1_19radix_merge_compareILb1ELb1EiNS0_19identity_decomposerEEEEE10hipError_tT0_T1_T2_jT3_P12ihipStream_tbPNSt15iterator_traitsISI_E10value_typeEPNSO_ISJ_E10value_typeEPSK_NS1_7vsmem_tEENKUlT_SI_SJ_SK_E_clISD_PiSD_S10_EESH_SX_SI_SJ_SK_EUlSX_E1_NS1_11comp_targetILNS1_3genE3ELNS1_11target_archE908ELNS1_3gpuE7ELNS1_3repE0EEENS1_36merge_oddeven_config_static_selectorELNS0_4arch9wavefront6targetE1EEEvSJ_.has_recursion, 0
	.set _ZN7rocprim17ROCPRIM_400000_NS6detail17trampoline_kernelINS0_14default_configENS1_38merge_sort_block_merge_config_selectorIiiEEZZNS1_27merge_sort_block_merge_implIS3_N6thrust23THRUST_200600_302600_NS6detail15normal_iteratorINS8_10device_ptrIiEEEESD_jNS1_19radix_merge_compareILb1ELb1EiNS0_19identity_decomposerEEEEE10hipError_tT0_T1_T2_jT3_P12ihipStream_tbPNSt15iterator_traitsISI_E10value_typeEPNSO_ISJ_E10value_typeEPSK_NS1_7vsmem_tEENKUlT_SI_SJ_SK_E_clISD_PiSD_S10_EESH_SX_SI_SJ_SK_EUlSX_E1_NS1_11comp_targetILNS1_3genE3ELNS1_11target_archE908ELNS1_3gpuE7ELNS1_3repE0EEENS1_36merge_oddeven_config_static_selectorELNS0_4arch9wavefront6targetE1EEEvSJ_.has_indirect_call, 0
	.section	.AMDGPU.csdata,"",@progbits
; Kernel info:
; codeLenInByte = 0
; TotalNumSgprs: 6
; NumVgprs: 0
; NumAgprs: 0
; TotalNumVgprs: 0
; ScratchSize: 0
; MemoryBound: 0
; FloatMode: 240
; IeeeMode: 1
; LDSByteSize: 0 bytes/workgroup (compile time only)
; SGPRBlocks: 0
; VGPRBlocks: 0
; NumSGPRsForWavesPerEU: 6
; NumVGPRsForWavesPerEU: 1
; AccumOffset: 4
; Occupancy: 8
; WaveLimiterHint : 0
; COMPUTE_PGM_RSRC2:SCRATCH_EN: 0
; COMPUTE_PGM_RSRC2:USER_SGPR: 2
; COMPUTE_PGM_RSRC2:TRAP_HANDLER: 0
; COMPUTE_PGM_RSRC2:TGID_X_EN: 1
; COMPUTE_PGM_RSRC2:TGID_Y_EN: 0
; COMPUTE_PGM_RSRC2:TGID_Z_EN: 0
; COMPUTE_PGM_RSRC2:TIDIG_COMP_CNT: 0
; COMPUTE_PGM_RSRC3_GFX90A:ACCUM_OFFSET: 0
; COMPUTE_PGM_RSRC3_GFX90A:TG_SPLIT: 0
	.section	.text._ZN7rocprim17ROCPRIM_400000_NS6detail17trampoline_kernelINS0_14default_configENS1_38merge_sort_block_merge_config_selectorIiiEEZZNS1_27merge_sort_block_merge_implIS3_N6thrust23THRUST_200600_302600_NS6detail15normal_iteratorINS8_10device_ptrIiEEEESD_jNS1_19radix_merge_compareILb1ELb1EiNS0_19identity_decomposerEEEEE10hipError_tT0_T1_T2_jT3_P12ihipStream_tbPNSt15iterator_traitsISI_E10value_typeEPNSO_ISJ_E10value_typeEPSK_NS1_7vsmem_tEENKUlT_SI_SJ_SK_E_clISD_PiSD_S10_EESH_SX_SI_SJ_SK_EUlSX_E1_NS1_11comp_targetILNS1_3genE2ELNS1_11target_archE906ELNS1_3gpuE6ELNS1_3repE0EEENS1_36merge_oddeven_config_static_selectorELNS0_4arch9wavefront6targetE1EEEvSJ_,"axG",@progbits,_ZN7rocprim17ROCPRIM_400000_NS6detail17trampoline_kernelINS0_14default_configENS1_38merge_sort_block_merge_config_selectorIiiEEZZNS1_27merge_sort_block_merge_implIS3_N6thrust23THRUST_200600_302600_NS6detail15normal_iteratorINS8_10device_ptrIiEEEESD_jNS1_19radix_merge_compareILb1ELb1EiNS0_19identity_decomposerEEEEE10hipError_tT0_T1_T2_jT3_P12ihipStream_tbPNSt15iterator_traitsISI_E10value_typeEPNSO_ISJ_E10value_typeEPSK_NS1_7vsmem_tEENKUlT_SI_SJ_SK_E_clISD_PiSD_S10_EESH_SX_SI_SJ_SK_EUlSX_E1_NS1_11comp_targetILNS1_3genE2ELNS1_11target_archE906ELNS1_3gpuE6ELNS1_3repE0EEENS1_36merge_oddeven_config_static_selectorELNS0_4arch9wavefront6targetE1EEEvSJ_,comdat
	.protected	_ZN7rocprim17ROCPRIM_400000_NS6detail17trampoline_kernelINS0_14default_configENS1_38merge_sort_block_merge_config_selectorIiiEEZZNS1_27merge_sort_block_merge_implIS3_N6thrust23THRUST_200600_302600_NS6detail15normal_iteratorINS8_10device_ptrIiEEEESD_jNS1_19radix_merge_compareILb1ELb1EiNS0_19identity_decomposerEEEEE10hipError_tT0_T1_T2_jT3_P12ihipStream_tbPNSt15iterator_traitsISI_E10value_typeEPNSO_ISJ_E10value_typeEPSK_NS1_7vsmem_tEENKUlT_SI_SJ_SK_E_clISD_PiSD_S10_EESH_SX_SI_SJ_SK_EUlSX_E1_NS1_11comp_targetILNS1_3genE2ELNS1_11target_archE906ELNS1_3gpuE6ELNS1_3repE0EEENS1_36merge_oddeven_config_static_selectorELNS0_4arch9wavefront6targetE1EEEvSJ_ ; -- Begin function _ZN7rocprim17ROCPRIM_400000_NS6detail17trampoline_kernelINS0_14default_configENS1_38merge_sort_block_merge_config_selectorIiiEEZZNS1_27merge_sort_block_merge_implIS3_N6thrust23THRUST_200600_302600_NS6detail15normal_iteratorINS8_10device_ptrIiEEEESD_jNS1_19radix_merge_compareILb1ELb1EiNS0_19identity_decomposerEEEEE10hipError_tT0_T1_T2_jT3_P12ihipStream_tbPNSt15iterator_traitsISI_E10value_typeEPNSO_ISJ_E10value_typeEPSK_NS1_7vsmem_tEENKUlT_SI_SJ_SK_E_clISD_PiSD_S10_EESH_SX_SI_SJ_SK_EUlSX_E1_NS1_11comp_targetILNS1_3genE2ELNS1_11target_archE906ELNS1_3gpuE6ELNS1_3repE0EEENS1_36merge_oddeven_config_static_selectorELNS0_4arch9wavefront6targetE1EEEvSJ_
	.globl	_ZN7rocprim17ROCPRIM_400000_NS6detail17trampoline_kernelINS0_14default_configENS1_38merge_sort_block_merge_config_selectorIiiEEZZNS1_27merge_sort_block_merge_implIS3_N6thrust23THRUST_200600_302600_NS6detail15normal_iteratorINS8_10device_ptrIiEEEESD_jNS1_19radix_merge_compareILb1ELb1EiNS0_19identity_decomposerEEEEE10hipError_tT0_T1_T2_jT3_P12ihipStream_tbPNSt15iterator_traitsISI_E10value_typeEPNSO_ISJ_E10value_typeEPSK_NS1_7vsmem_tEENKUlT_SI_SJ_SK_E_clISD_PiSD_S10_EESH_SX_SI_SJ_SK_EUlSX_E1_NS1_11comp_targetILNS1_3genE2ELNS1_11target_archE906ELNS1_3gpuE6ELNS1_3repE0EEENS1_36merge_oddeven_config_static_selectorELNS0_4arch9wavefront6targetE1EEEvSJ_
	.p2align	8
	.type	_ZN7rocprim17ROCPRIM_400000_NS6detail17trampoline_kernelINS0_14default_configENS1_38merge_sort_block_merge_config_selectorIiiEEZZNS1_27merge_sort_block_merge_implIS3_N6thrust23THRUST_200600_302600_NS6detail15normal_iteratorINS8_10device_ptrIiEEEESD_jNS1_19radix_merge_compareILb1ELb1EiNS0_19identity_decomposerEEEEE10hipError_tT0_T1_T2_jT3_P12ihipStream_tbPNSt15iterator_traitsISI_E10value_typeEPNSO_ISJ_E10value_typeEPSK_NS1_7vsmem_tEENKUlT_SI_SJ_SK_E_clISD_PiSD_S10_EESH_SX_SI_SJ_SK_EUlSX_E1_NS1_11comp_targetILNS1_3genE2ELNS1_11target_archE906ELNS1_3gpuE6ELNS1_3repE0EEENS1_36merge_oddeven_config_static_selectorELNS0_4arch9wavefront6targetE1EEEvSJ_,@function
_ZN7rocprim17ROCPRIM_400000_NS6detail17trampoline_kernelINS0_14default_configENS1_38merge_sort_block_merge_config_selectorIiiEEZZNS1_27merge_sort_block_merge_implIS3_N6thrust23THRUST_200600_302600_NS6detail15normal_iteratorINS8_10device_ptrIiEEEESD_jNS1_19radix_merge_compareILb1ELb1EiNS0_19identity_decomposerEEEEE10hipError_tT0_T1_T2_jT3_P12ihipStream_tbPNSt15iterator_traitsISI_E10value_typeEPNSO_ISJ_E10value_typeEPSK_NS1_7vsmem_tEENKUlT_SI_SJ_SK_E_clISD_PiSD_S10_EESH_SX_SI_SJ_SK_EUlSX_E1_NS1_11comp_targetILNS1_3genE2ELNS1_11target_archE906ELNS1_3gpuE6ELNS1_3repE0EEENS1_36merge_oddeven_config_static_selectorELNS0_4arch9wavefront6targetE1EEEvSJ_: ; @_ZN7rocprim17ROCPRIM_400000_NS6detail17trampoline_kernelINS0_14default_configENS1_38merge_sort_block_merge_config_selectorIiiEEZZNS1_27merge_sort_block_merge_implIS3_N6thrust23THRUST_200600_302600_NS6detail15normal_iteratorINS8_10device_ptrIiEEEESD_jNS1_19radix_merge_compareILb1ELb1EiNS0_19identity_decomposerEEEEE10hipError_tT0_T1_T2_jT3_P12ihipStream_tbPNSt15iterator_traitsISI_E10value_typeEPNSO_ISJ_E10value_typeEPSK_NS1_7vsmem_tEENKUlT_SI_SJ_SK_E_clISD_PiSD_S10_EESH_SX_SI_SJ_SK_EUlSX_E1_NS1_11comp_targetILNS1_3genE2ELNS1_11target_archE906ELNS1_3gpuE6ELNS1_3repE0EEENS1_36merge_oddeven_config_static_selectorELNS0_4arch9wavefront6targetE1EEEvSJ_
; %bb.0:
	.section	.rodata,"a",@progbits
	.p2align	6, 0x0
	.amdhsa_kernel _ZN7rocprim17ROCPRIM_400000_NS6detail17trampoline_kernelINS0_14default_configENS1_38merge_sort_block_merge_config_selectorIiiEEZZNS1_27merge_sort_block_merge_implIS3_N6thrust23THRUST_200600_302600_NS6detail15normal_iteratorINS8_10device_ptrIiEEEESD_jNS1_19radix_merge_compareILb1ELb1EiNS0_19identity_decomposerEEEEE10hipError_tT0_T1_T2_jT3_P12ihipStream_tbPNSt15iterator_traitsISI_E10value_typeEPNSO_ISJ_E10value_typeEPSK_NS1_7vsmem_tEENKUlT_SI_SJ_SK_E_clISD_PiSD_S10_EESH_SX_SI_SJ_SK_EUlSX_E1_NS1_11comp_targetILNS1_3genE2ELNS1_11target_archE906ELNS1_3gpuE6ELNS1_3repE0EEENS1_36merge_oddeven_config_static_selectorELNS0_4arch9wavefront6targetE1EEEvSJ_
		.amdhsa_group_segment_fixed_size 0
		.amdhsa_private_segment_fixed_size 0
		.amdhsa_kernarg_size 48
		.amdhsa_user_sgpr_count 2
		.amdhsa_user_sgpr_dispatch_ptr 0
		.amdhsa_user_sgpr_queue_ptr 0
		.amdhsa_user_sgpr_kernarg_segment_ptr 1
		.amdhsa_user_sgpr_dispatch_id 0
		.amdhsa_user_sgpr_kernarg_preload_length 0
		.amdhsa_user_sgpr_kernarg_preload_offset 0
		.amdhsa_user_sgpr_private_segment_size 0
		.amdhsa_uses_dynamic_stack 0
		.amdhsa_enable_private_segment 0
		.amdhsa_system_sgpr_workgroup_id_x 1
		.amdhsa_system_sgpr_workgroup_id_y 0
		.amdhsa_system_sgpr_workgroup_id_z 0
		.amdhsa_system_sgpr_workgroup_info 0
		.amdhsa_system_vgpr_workitem_id 0
		.amdhsa_next_free_vgpr 1
		.amdhsa_next_free_sgpr 0
		.amdhsa_accum_offset 4
		.amdhsa_reserve_vcc 0
		.amdhsa_float_round_mode_32 0
		.amdhsa_float_round_mode_16_64 0
		.amdhsa_float_denorm_mode_32 3
		.amdhsa_float_denorm_mode_16_64 3
		.amdhsa_dx10_clamp 1
		.amdhsa_ieee_mode 1
		.amdhsa_fp16_overflow 0
		.amdhsa_tg_split 0
		.amdhsa_exception_fp_ieee_invalid_op 0
		.amdhsa_exception_fp_denorm_src 0
		.amdhsa_exception_fp_ieee_div_zero 0
		.amdhsa_exception_fp_ieee_overflow 0
		.amdhsa_exception_fp_ieee_underflow 0
		.amdhsa_exception_fp_ieee_inexact 0
		.amdhsa_exception_int_div_zero 0
	.end_amdhsa_kernel
	.section	.text._ZN7rocprim17ROCPRIM_400000_NS6detail17trampoline_kernelINS0_14default_configENS1_38merge_sort_block_merge_config_selectorIiiEEZZNS1_27merge_sort_block_merge_implIS3_N6thrust23THRUST_200600_302600_NS6detail15normal_iteratorINS8_10device_ptrIiEEEESD_jNS1_19radix_merge_compareILb1ELb1EiNS0_19identity_decomposerEEEEE10hipError_tT0_T1_T2_jT3_P12ihipStream_tbPNSt15iterator_traitsISI_E10value_typeEPNSO_ISJ_E10value_typeEPSK_NS1_7vsmem_tEENKUlT_SI_SJ_SK_E_clISD_PiSD_S10_EESH_SX_SI_SJ_SK_EUlSX_E1_NS1_11comp_targetILNS1_3genE2ELNS1_11target_archE906ELNS1_3gpuE6ELNS1_3repE0EEENS1_36merge_oddeven_config_static_selectorELNS0_4arch9wavefront6targetE1EEEvSJ_,"axG",@progbits,_ZN7rocprim17ROCPRIM_400000_NS6detail17trampoline_kernelINS0_14default_configENS1_38merge_sort_block_merge_config_selectorIiiEEZZNS1_27merge_sort_block_merge_implIS3_N6thrust23THRUST_200600_302600_NS6detail15normal_iteratorINS8_10device_ptrIiEEEESD_jNS1_19radix_merge_compareILb1ELb1EiNS0_19identity_decomposerEEEEE10hipError_tT0_T1_T2_jT3_P12ihipStream_tbPNSt15iterator_traitsISI_E10value_typeEPNSO_ISJ_E10value_typeEPSK_NS1_7vsmem_tEENKUlT_SI_SJ_SK_E_clISD_PiSD_S10_EESH_SX_SI_SJ_SK_EUlSX_E1_NS1_11comp_targetILNS1_3genE2ELNS1_11target_archE906ELNS1_3gpuE6ELNS1_3repE0EEENS1_36merge_oddeven_config_static_selectorELNS0_4arch9wavefront6targetE1EEEvSJ_,comdat
.Lfunc_end1816:
	.size	_ZN7rocprim17ROCPRIM_400000_NS6detail17trampoline_kernelINS0_14default_configENS1_38merge_sort_block_merge_config_selectorIiiEEZZNS1_27merge_sort_block_merge_implIS3_N6thrust23THRUST_200600_302600_NS6detail15normal_iteratorINS8_10device_ptrIiEEEESD_jNS1_19radix_merge_compareILb1ELb1EiNS0_19identity_decomposerEEEEE10hipError_tT0_T1_T2_jT3_P12ihipStream_tbPNSt15iterator_traitsISI_E10value_typeEPNSO_ISJ_E10value_typeEPSK_NS1_7vsmem_tEENKUlT_SI_SJ_SK_E_clISD_PiSD_S10_EESH_SX_SI_SJ_SK_EUlSX_E1_NS1_11comp_targetILNS1_3genE2ELNS1_11target_archE906ELNS1_3gpuE6ELNS1_3repE0EEENS1_36merge_oddeven_config_static_selectorELNS0_4arch9wavefront6targetE1EEEvSJ_, .Lfunc_end1816-_ZN7rocprim17ROCPRIM_400000_NS6detail17trampoline_kernelINS0_14default_configENS1_38merge_sort_block_merge_config_selectorIiiEEZZNS1_27merge_sort_block_merge_implIS3_N6thrust23THRUST_200600_302600_NS6detail15normal_iteratorINS8_10device_ptrIiEEEESD_jNS1_19radix_merge_compareILb1ELb1EiNS0_19identity_decomposerEEEEE10hipError_tT0_T1_T2_jT3_P12ihipStream_tbPNSt15iterator_traitsISI_E10value_typeEPNSO_ISJ_E10value_typeEPSK_NS1_7vsmem_tEENKUlT_SI_SJ_SK_E_clISD_PiSD_S10_EESH_SX_SI_SJ_SK_EUlSX_E1_NS1_11comp_targetILNS1_3genE2ELNS1_11target_archE906ELNS1_3gpuE6ELNS1_3repE0EEENS1_36merge_oddeven_config_static_selectorELNS0_4arch9wavefront6targetE1EEEvSJ_
                                        ; -- End function
	.set _ZN7rocprim17ROCPRIM_400000_NS6detail17trampoline_kernelINS0_14default_configENS1_38merge_sort_block_merge_config_selectorIiiEEZZNS1_27merge_sort_block_merge_implIS3_N6thrust23THRUST_200600_302600_NS6detail15normal_iteratorINS8_10device_ptrIiEEEESD_jNS1_19radix_merge_compareILb1ELb1EiNS0_19identity_decomposerEEEEE10hipError_tT0_T1_T2_jT3_P12ihipStream_tbPNSt15iterator_traitsISI_E10value_typeEPNSO_ISJ_E10value_typeEPSK_NS1_7vsmem_tEENKUlT_SI_SJ_SK_E_clISD_PiSD_S10_EESH_SX_SI_SJ_SK_EUlSX_E1_NS1_11comp_targetILNS1_3genE2ELNS1_11target_archE906ELNS1_3gpuE6ELNS1_3repE0EEENS1_36merge_oddeven_config_static_selectorELNS0_4arch9wavefront6targetE1EEEvSJ_.num_vgpr, 0
	.set _ZN7rocprim17ROCPRIM_400000_NS6detail17trampoline_kernelINS0_14default_configENS1_38merge_sort_block_merge_config_selectorIiiEEZZNS1_27merge_sort_block_merge_implIS3_N6thrust23THRUST_200600_302600_NS6detail15normal_iteratorINS8_10device_ptrIiEEEESD_jNS1_19radix_merge_compareILb1ELb1EiNS0_19identity_decomposerEEEEE10hipError_tT0_T1_T2_jT3_P12ihipStream_tbPNSt15iterator_traitsISI_E10value_typeEPNSO_ISJ_E10value_typeEPSK_NS1_7vsmem_tEENKUlT_SI_SJ_SK_E_clISD_PiSD_S10_EESH_SX_SI_SJ_SK_EUlSX_E1_NS1_11comp_targetILNS1_3genE2ELNS1_11target_archE906ELNS1_3gpuE6ELNS1_3repE0EEENS1_36merge_oddeven_config_static_selectorELNS0_4arch9wavefront6targetE1EEEvSJ_.num_agpr, 0
	.set _ZN7rocprim17ROCPRIM_400000_NS6detail17trampoline_kernelINS0_14default_configENS1_38merge_sort_block_merge_config_selectorIiiEEZZNS1_27merge_sort_block_merge_implIS3_N6thrust23THRUST_200600_302600_NS6detail15normal_iteratorINS8_10device_ptrIiEEEESD_jNS1_19radix_merge_compareILb1ELb1EiNS0_19identity_decomposerEEEEE10hipError_tT0_T1_T2_jT3_P12ihipStream_tbPNSt15iterator_traitsISI_E10value_typeEPNSO_ISJ_E10value_typeEPSK_NS1_7vsmem_tEENKUlT_SI_SJ_SK_E_clISD_PiSD_S10_EESH_SX_SI_SJ_SK_EUlSX_E1_NS1_11comp_targetILNS1_3genE2ELNS1_11target_archE906ELNS1_3gpuE6ELNS1_3repE0EEENS1_36merge_oddeven_config_static_selectorELNS0_4arch9wavefront6targetE1EEEvSJ_.numbered_sgpr, 0
	.set _ZN7rocprim17ROCPRIM_400000_NS6detail17trampoline_kernelINS0_14default_configENS1_38merge_sort_block_merge_config_selectorIiiEEZZNS1_27merge_sort_block_merge_implIS3_N6thrust23THRUST_200600_302600_NS6detail15normal_iteratorINS8_10device_ptrIiEEEESD_jNS1_19radix_merge_compareILb1ELb1EiNS0_19identity_decomposerEEEEE10hipError_tT0_T1_T2_jT3_P12ihipStream_tbPNSt15iterator_traitsISI_E10value_typeEPNSO_ISJ_E10value_typeEPSK_NS1_7vsmem_tEENKUlT_SI_SJ_SK_E_clISD_PiSD_S10_EESH_SX_SI_SJ_SK_EUlSX_E1_NS1_11comp_targetILNS1_3genE2ELNS1_11target_archE906ELNS1_3gpuE6ELNS1_3repE0EEENS1_36merge_oddeven_config_static_selectorELNS0_4arch9wavefront6targetE1EEEvSJ_.num_named_barrier, 0
	.set _ZN7rocprim17ROCPRIM_400000_NS6detail17trampoline_kernelINS0_14default_configENS1_38merge_sort_block_merge_config_selectorIiiEEZZNS1_27merge_sort_block_merge_implIS3_N6thrust23THRUST_200600_302600_NS6detail15normal_iteratorINS8_10device_ptrIiEEEESD_jNS1_19radix_merge_compareILb1ELb1EiNS0_19identity_decomposerEEEEE10hipError_tT0_T1_T2_jT3_P12ihipStream_tbPNSt15iterator_traitsISI_E10value_typeEPNSO_ISJ_E10value_typeEPSK_NS1_7vsmem_tEENKUlT_SI_SJ_SK_E_clISD_PiSD_S10_EESH_SX_SI_SJ_SK_EUlSX_E1_NS1_11comp_targetILNS1_3genE2ELNS1_11target_archE906ELNS1_3gpuE6ELNS1_3repE0EEENS1_36merge_oddeven_config_static_selectorELNS0_4arch9wavefront6targetE1EEEvSJ_.private_seg_size, 0
	.set _ZN7rocprim17ROCPRIM_400000_NS6detail17trampoline_kernelINS0_14default_configENS1_38merge_sort_block_merge_config_selectorIiiEEZZNS1_27merge_sort_block_merge_implIS3_N6thrust23THRUST_200600_302600_NS6detail15normal_iteratorINS8_10device_ptrIiEEEESD_jNS1_19radix_merge_compareILb1ELb1EiNS0_19identity_decomposerEEEEE10hipError_tT0_T1_T2_jT3_P12ihipStream_tbPNSt15iterator_traitsISI_E10value_typeEPNSO_ISJ_E10value_typeEPSK_NS1_7vsmem_tEENKUlT_SI_SJ_SK_E_clISD_PiSD_S10_EESH_SX_SI_SJ_SK_EUlSX_E1_NS1_11comp_targetILNS1_3genE2ELNS1_11target_archE906ELNS1_3gpuE6ELNS1_3repE0EEENS1_36merge_oddeven_config_static_selectorELNS0_4arch9wavefront6targetE1EEEvSJ_.uses_vcc, 0
	.set _ZN7rocprim17ROCPRIM_400000_NS6detail17trampoline_kernelINS0_14default_configENS1_38merge_sort_block_merge_config_selectorIiiEEZZNS1_27merge_sort_block_merge_implIS3_N6thrust23THRUST_200600_302600_NS6detail15normal_iteratorINS8_10device_ptrIiEEEESD_jNS1_19radix_merge_compareILb1ELb1EiNS0_19identity_decomposerEEEEE10hipError_tT0_T1_T2_jT3_P12ihipStream_tbPNSt15iterator_traitsISI_E10value_typeEPNSO_ISJ_E10value_typeEPSK_NS1_7vsmem_tEENKUlT_SI_SJ_SK_E_clISD_PiSD_S10_EESH_SX_SI_SJ_SK_EUlSX_E1_NS1_11comp_targetILNS1_3genE2ELNS1_11target_archE906ELNS1_3gpuE6ELNS1_3repE0EEENS1_36merge_oddeven_config_static_selectorELNS0_4arch9wavefront6targetE1EEEvSJ_.uses_flat_scratch, 0
	.set _ZN7rocprim17ROCPRIM_400000_NS6detail17trampoline_kernelINS0_14default_configENS1_38merge_sort_block_merge_config_selectorIiiEEZZNS1_27merge_sort_block_merge_implIS3_N6thrust23THRUST_200600_302600_NS6detail15normal_iteratorINS8_10device_ptrIiEEEESD_jNS1_19radix_merge_compareILb1ELb1EiNS0_19identity_decomposerEEEEE10hipError_tT0_T1_T2_jT3_P12ihipStream_tbPNSt15iterator_traitsISI_E10value_typeEPNSO_ISJ_E10value_typeEPSK_NS1_7vsmem_tEENKUlT_SI_SJ_SK_E_clISD_PiSD_S10_EESH_SX_SI_SJ_SK_EUlSX_E1_NS1_11comp_targetILNS1_3genE2ELNS1_11target_archE906ELNS1_3gpuE6ELNS1_3repE0EEENS1_36merge_oddeven_config_static_selectorELNS0_4arch9wavefront6targetE1EEEvSJ_.has_dyn_sized_stack, 0
	.set _ZN7rocprim17ROCPRIM_400000_NS6detail17trampoline_kernelINS0_14default_configENS1_38merge_sort_block_merge_config_selectorIiiEEZZNS1_27merge_sort_block_merge_implIS3_N6thrust23THRUST_200600_302600_NS6detail15normal_iteratorINS8_10device_ptrIiEEEESD_jNS1_19radix_merge_compareILb1ELb1EiNS0_19identity_decomposerEEEEE10hipError_tT0_T1_T2_jT3_P12ihipStream_tbPNSt15iterator_traitsISI_E10value_typeEPNSO_ISJ_E10value_typeEPSK_NS1_7vsmem_tEENKUlT_SI_SJ_SK_E_clISD_PiSD_S10_EESH_SX_SI_SJ_SK_EUlSX_E1_NS1_11comp_targetILNS1_3genE2ELNS1_11target_archE906ELNS1_3gpuE6ELNS1_3repE0EEENS1_36merge_oddeven_config_static_selectorELNS0_4arch9wavefront6targetE1EEEvSJ_.has_recursion, 0
	.set _ZN7rocprim17ROCPRIM_400000_NS6detail17trampoline_kernelINS0_14default_configENS1_38merge_sort_block_merge_config_selectorIiiEEZZNS1_27merge_sort_block_merge_implIS3_N6thrust23THRUST_200600_302600_NS6detail15normal_iteratorINS8_10device_ptrIiEEEESD_jNS1_19radix_merge_compareILb1ELb1EiNS0_19identity_decomposerEEEEE10hipError_tT0_T1_T2_jT3_P12ihipStream_tbPNSt15iterator_traitsISI_E10value_typeEPNSO_ISJ_E10value_typeEPSK_NS1_7vsmem_tEENKUlT_SI_SJ_SK_E_clISD_PiSD_S10_EESH_SX_SI_SJ_SK_EUlSX_E1_NS1_11comp_targetILNS1_3genE2ELNS1_11target_archE906ELNS1_3gpuE6ELNS1_3repE0EEENS1_36merge_oddeven_config_static_selectorELNS0_4arch9wavefront6targetE1EEEvSJ_.has_indirect_call, 0
	.section	.AMDGPU.csdata,"",@progbits
; Kernel info:
; codeLenInByte = 0
; TotalNumSgprs: 6
; NumVgprs: 0
; NumAgprs: 0
; TotalNumVgprs: 0
; ScratchSize: 0
; MemoryBound: 0
; FloatMode: 240
; IeeeMode: 1
; LDSByteSize: 0 bytes/workgroup (compile time only)
; SGPRBlocks: 0
; VGPRBlocks: 0
; NumSGPRsForWavesPerEU: 6
; NumVGPRsForWavesPerEU: 1
; AccumOffset: 4
; Occupancy: 8
; WaveLimiterHint : 0
; COMPUTE_PGM_RSRC2:SCRATCH_EN: 0
; COMPUTE_PGM_RSRC2:USER_SGPR: 2
; COMPUTE_PGM_RSRC2:TRAP_HANDLER: 0
; COMPUTE_PGM_RSRC2:TGID_X_EN: 1
; COMPUTE_PGM_RSRC2:TGID_Y_EN: 0
; COMPUTE_PGM_RSRC2:TGID_Z_EN: 0
; COMPUTE_PGM_RSRC2:TIDIG_COMP_CNT: 0
; COMPUTE_PGM_RSRC3_GFX90A:ACCUM_OFFSET: 0
; COMPUTE_PGM_RSRC3_GFX90A:TG_SPLIT: 0
	.section	.text._ZN7rocprim17ROCPRIM_400000_NS6detail17trampoline_kernelINS0_14default_configENS1_38merge_sort_block_merge_config_selectorIiiEEZZNS1_27merge_sort_block_merge_implIS3_N6thrust23THRUST_200600_302600_NS6detail15normal_iteratorINS8_10device_ptrIiEEEESD_jNS1_19radix_merge_compareILb1ELb1EiNS0_19identity_decomposerEEEEE10hipError_tT0_T1_T2_jT3_P12ihipStream_tbPNSt15iterator_traitsISI_E10value_typeEPNSO_ISJ_E10value_typeEPSK_NS1_7vsmem_tEENKUlT_SI_SJ_SK_E_clISD_PiSD_S10_EESH_SX_SI_SJ_SK_EUlSX_E1_NS1_11comp_targetILNS1_3genE9ELNS1_11target_archE1100ELNS1_3gpuE3ELNS1_3repE0EEENS1_36merge_oddeven_config_static_selectorELNS0_4arch9wavefront6targetE1EEEvSJ_,"axG",@progbits,_ZN7rocprim17ROCPRIM_400000_NS6detail17trampoline_kernelINS0_14default_configENS1_38merge_sort_block_merge_config_selectorIiiEEZZNS1_27merge_sort_block_merge_implIS3_N6thrust23THRUST_200600_302600_NS6detail15normal_iteratorINS8_10device_ptrIiEEEESD_jNS1_19radix_merge_compareILb1ELb1EiNS0_19identity_decomposerEEEEE10hipError_tT0_T1_T2_jT3_P12ihipStream_tbPNSt15iterator_traitsISI_E10value_typeEPNSO_ISJ_E10value_typeEPSK_NS1_7vsmem_tEENKUlT_SI_SJ_SK_E_clISD_PiSD_S10_EESH_SX_SI_SJ_SK_EUlSX_E1_NS1_11comp_targetILNS1_3genE9ELNS1_11target_archE1100ELNS1_3gpuE3ELNS1_3repE0EEENS1_36merge_oddeven_config_static_selectorELNS0_4arch9wavefront6targetE1EEEvSJ_,comdat
	.protected	_ZN7rocprim17ROCPRIM_400000_NS6detail17trampoline_kernelINS0_14default_configENS1_38merge_sort_block_merge_config_selectorIiiEEZZNS1_27merge_sort_block_merge_implIS3_N6thrust23THRUST_200600_302600_NS6detail15normal_iteratorINS8_10device_ptrIiEEEESD_jNS1_19radix_merge_compareILb1ELb1EiNS0_19identity_decomposerEEEEE10hipError_tT0_T1_T2_jT3_P12ihipStream_tbPNSt15iterator_traitsISI_E10value_typeEPNSO_ISJ_E10value_typeEPSK_NS1_7vsmem_tEENKUlT_SI_SJ_SK_E_clISD_PiSD_S10_EESH_SX_SI_SJ_SK_EUlSX_E1_NS1_11comp_targetILNS1_3genE9ELNS1_11target_archE1100ELNS1_3gpuE3ELNS1_3repE0EEENS1_36merge_oddeven_config_static_selectorELNS0_4arch9wavefront6targetE1EEEvSJ_ ; -- Begin function _ZN7rocprim17ROCPRIM_400000_NS6detail17trampoline_kernelINS0_14default_configENS1_38merge_sort_block_merge_config_selectorIiiEEZZNS1_27merge_sort_block_merge_implIS3_N6thrust23THRUST_200600_302600_NS6detail15normal_iteratorINS8_10device_ptrIiEEEESD_jNS1_19radix_merge_compareILb1ELb1EiNS0_19identity_decomposerEEEEE10hipError_tT0_T1_T2_jT3_P12ihipStream_tbPNSt15iterator_traitsISI_E10value_typeEPNSO_ISJ_E10value_typeEPSK_NS1_7vsmem_tEENKUlT_SI_SJ_SK_E_clISD_PiSD_S10_EESH_SX_SI_SJ_SK_EUlSX_E1_NS1_11comp_targetILNS1_3genE9ELNS1_11target_archE1100ELNS1_3gpuE3ELNS1_3repE0EEENS1_36merge_oddeven_config_static_selectorELNS0_4arch9wavefront6targetE1EEEvSJ_
	.globl	_ZN7rocprim17ROCPRIM_400000_NS6detail17trampoline_kernelINS0_14default_configENS1_38merge_sort_block_merge_config_selectorIiiEEZZNS1_27merge_sort_block_merge_implIS3_N6thrust23THRUST_200600_302600_NS6detail15normal_iteratorINS8_10device_ptrIiEEEESD_jNS1_19radix_merge_compareILb1ELb1EiNS0_19identity_decomposerEEEEE10hipError_tT0_T1_T2_jT3_P12ihipStream_tbPNSt15iterator_traitsISI_E10value_typeEPNSO_ISJ_E10value_typeEPSK_NS1_7vsmem_tEENKUlT_SI_SJ_SK_E_clISD_PiSD_S10_EESH_SX_SI_SJ_SK_EUlSX_E1_NS1_11comp_targetILNS1_3genE9ELNS1_11target_archE1100ELNS1_3gpuE3ELNS1_3repE0EEENS1_36merge_oddeven_config_static_selectorELNS0_4arch9wavefront6targetE1EEEvSJ_
	.p2align	8
	.type	_ZN7rocprim17ROCPRIM_400000_NS6detail17trampoline_kernelINS0_14default_configENS1_38merge_sort_block_merge_config_selectorIiiEEZZNS1_27merge_sort_block_merge_implIS3_N6thrust23THRUST_200600_302600_NS6detail15normal_iteratorINS8_10device_ptrIiEEEESD_jNS1_19radix_merge_compareILb1ELb1EiNS0_19identity_decomposerEEEEE10hipError_tT0_T1_T2_jT3_P12ihipStream_tbPNSt15iterator_traitsISI_E10value_typeEPNSO_ISJ_E10value_typeEPSK_NS1_7vsmem_tEENKUlT_SI_SJ_SK_E_clISD_PiSD_S10_EESH_SX_SI_SJ_SK_EUlSX_E1_NS1_11comp_targetILNS1_3genE9ELNS1_11target_archE1100ELNS1_3gpuE3ELNS1_3repE0EEENS1_36merge_oddeven_config_static_selectorELNS0_4arch9wavefront6targetE1EEEvSJ_,@function
_ZN7rocprim17ROCPRIM_400000_NS6detail17trampoline_kernelINS0_14default_configENS1_38merge_sort_block_merge_config_selectorIiiEEZZNS1_27merge_sort_block_merge_implIS3_N6thrust23THRUST_200600_302600_NS6detail15normal_iteratorINS8_10device_ptrIiEEEESD_jNS1_19radix_merge_compareILb1ELb1EiNS0_19identity_decomposerEEEEE10hipError_tT0_T1_T2_jT3_P12ihipStream_tbPNSt15iterator_traitsISI_E10value_typeEPNSO_ISJ_E10value_typeEPSK_NS1_7vsmem_tEENKUlT_SI_SJ_SK_E_clISD_PiSD_S10_EESH_SX_SI_SJ_SK_EUlSX_E1_NS1_11comp_targetILNS1_3genE9ELNS1_11target_archE1100ELNS1_3gpuE3ELNS1_3repE0EEENS1_36merge_oddeven_config_static_selectorELNS0_4arch9wavefront6targetE1EEEvSJ_: ; @_ZN7rocprim17ROCPRIM_400000_NS6detail17trampoline_kernelINS0_14default_configENS1_38merge_sort_block_merge_config_selectorIiiEEZZNS1_27merge_sort_block_merge_implIS3_N6thrust23THRUST_200600_302600_NS6detail15normal_iteratorINS8_10device_ptrIiEEEESD_jNS1_19radix_merge_compareILb1ELb1EiNS0_19identity_decomposerEEEEE10hipError_tT0_T1_T2_jT3_P12ihipStream_tbPNSt15iterator_traitsISI_E10value_typeEPNSO_ISJ_E10value_typeEPSK_NS1_7vsmem_tEENKUlT_SI_SJ_SK_E_clISD_PiSD_S10_EESH_SX_SI_SJ_SK_EUlSX_E1_NS1_11comp_targetILNS1_3genE9ELNS1_11target_archE1100ELNS1_3gpuE3ELNS1_3repE0EEENS1_36merge_oddeven_config_static_selectorELNS0_4arch9wavefront6targetE1EEEvSJ_
; %bb.0:
	.section	.rodata,"a",@progbits
	.p2align	6, 0x0
	.amdhsa_kernel _ZN7rocprim17ROCPRIM_400000_NS6detail17trampoline_kernelINS0_14default_configENS1_38merge_sort_block_merge_config_selectorIiiEEZZNS1_27merge_sort_block_merge_implIS3_N6thrust23THRUST_200600_302600_NS6detail15normal_iteratorINS8_10device_ptrIiEEEESD_jNS1_19radix_merge_compareILb1ELb1EiNS0_19identity_decomposerEEEEE10hipError_tT0_T1_T2_jT3_P12ihipStream_tbPNSt15iterator_traitsISI_E10value_typeEPNSO_ISJ_E10value_typeEPSK_NS1_7vsmem_tEENKUlT_SI_SJ_SK_E_clISD_PiSD_S10_EESH_SX_SI_SJ_SK_EUlSX_E1_NS1_11comp_targetILNS1_3genE9ELNS1_11target_archE1100ELNS1_3gpuE3ELNS1_3repE0EEENS1_36merge_oddeven_config_static_selectorELNS0_4arch9wavefront6targetE1EEEvSJ_
		.amdhsa_group_segment_fixed_size 0
		.amdhsa_private_segment_fixed_size 0
		.amdhsa_kernarg_size 48
		.amdhsa_user_sgpr_count 2
		.amdhsa_user_sgpr_dispatch_ptr 0
		.amdhsa_user_sgpr_queue_ptr 0
		.amdhsa_user_sgpr_kernarg_segment_ptr 1
		.amdhsa_user_sgpr_dispatch_id 0
		.amdhsa_user_sgpr_kernarg_preload_length 0
		.amdhsa_user_sgpr_kernarg_preload_offset 0
		.amdhsa_user_sgpr_private_segment_size 0
		.amdhsa_uses_dynamic_stack 0
		.amdhsa_enable_private_segment 0
		.amdhsa_system_sgpr_workgroup_id_x 1
		.amdhsa_system_sgpr_workgroup_id_y 0
		.amdhsa_system_sgpr_workgroup_id_z 0
		.amdhsa_system_sgpr_workgroup_info 0
		.amdhsa_system_vgpr_workitem_id 0
		.amdhsa_next_free_vgpr 1
		.amdhsa_next_free_sgpr 0
		.amdhsa_accum_offset 4
		.amdhsa_reserve_vcc 0
		.amdhsa_float_round_mode_32 0
		.amdhsa_float_round_mode_16_64 0
		.amdhsa_float_denorm_mode_32 3
		.amdhsa_float_denorm_mode_16_64 3
		.amdhsa_dx10_clamp 1
		.amdhsa_ieee_mode 1
		.amdhsa_fp16_overflow 0
		.amdhsa_tg_split 0
		.amdhsa_exception_fp_ieee_invalid_op 0
		.amdhsa_exception_fp_denorm_src 0
		.amdhsa_exception_fp_ieee_div_zero 0
		.amdhsa_exception_fp_ieee_overflow 0
		.amdhsa_exception_fp_ieee_underflow 0
		.amdhsa_exception_fp_ieee_inexact 0
		.amdhsa_exception_int_div_zero 0
	.end_amdhsa_kernel
	.section	.text._ZN7rocprim17ROCPRIM_400000_NS6detail17trampoline_kernelINS0_14default_configENS1_38merge_sort_block_merge_config_selectorIiiEEZZNS1_27merge_sort_block_merge_implIS3_N6thrust23THRUST_200600_302600_NS6detail15normal_iteratorINS8_10device_ptrIiEEEESD_jNS1_19radix_merge_compareILb1ELb1EiNS0_19identity_decomposerEEEEE10hipError_tT0_T1_T2_jT3_P12ihipStream_tbPNSt15iterator_traitsISI_E10value_typeEPNSO_ISJ_E10value_typeEPSK_NS1_7vsmem_tEENKUlT_SI_SJ_SK_E_clISD_PiSD_S10_EESH_SX_SI_SJ_SK_EUlSX_E1_NS1_11comp_targetILNS1_3genE9ELNS1_11target_archE1100ELNS1_3gpuE3ELNS1_3repE0EEENS1_36merge_oddeven_config_static_selectorELNS0_4arch9wavefront6targetE1EEEvSJ_,"axG",@progbits,_ZN7rocprim17ROCPRIM_400000_NS6detail17trampoline_kernelINS0_14default_configENS1_38merge_sort_block_merge_config_selectorIiiEEZZNS1_27merge_sort_block_merge_implIS3_N6thrust23THRUST_200600_302600_NS6detail15normal_iteratorINS8_10device_ptrIiEEEESD_jNS1_19radix_merge_compareILb1ELb1EiNS0_19identity_decomposerEEEEE10hipError_tT0_T1_T2_jT3_P12ihipStream_tbPNSt15iterator_traitsISI_E10value_typeEPNSO_ISJ_E10value_typeEPSK_NS1_7vsmem_tEENKUlT_SI_SJ_SK_E_clISD_PiSD_S10_EESH_SX_SI_SJ_SK_EUlSX_E1_NS1_11comp_targetILNS1_3genE9ELNS1_11target_archE1100ELNS1_3gpuE3ELNS1_3repE0EEENS1_36merge_oddeven_config_static_selectorELNS0_4arch9wavefront6targetE1EEEvSJ_,comdat
.Lfunc_end1817:
	.size	_ZN7rocprim17ROCPRIM_400000_NS6detail17trampoline_kernelINS0_14default_configENS1_38merge_sort_block_merge_config_selectorIiiEEZZNS1_27merge_sort_block_merge_implIS3_N6thrust23THRUST_200600_302600_NS6detail15normal_iteratorINS8_10device_ptrIiEEEESD_jNS1_19radix_merge_compareILb1ELb1EiNS0_19identity_decomposerEEEEE10hipError_tT0_T1_T2_jT3_P12ihipStream_tbPNSt15iterator_traitsISI_E10value_typeEPNSO_ISJ_E10value_typeEPSK_NS1_7vsmem_tEENKUlT_SI_SJ_SK_E_clISD_PiSD_S10_EESH_SX_SI_SJ_SK_EUlSX_E1_NS1_11comp_targetILNS1_3genE9ELNS1_11target_archE1100ELNS1_3gpuE3ELNS1_3repE0EEENS1_36merge_oddeven_config_static_selectorELNS0_4arch9wavefront6targetE1EEEvSJ_, .Lfunc_end1817-_ZN7rocprim17ROCPRIM_400000_NS6detail17trampoline_kernelINS0_14default_configENS1_38merge_sort_block_merge_config_selectorIiiEEZZNS1_27merge_sort_block_merge_implIS3_N6thrust23THRUST_200600_302600_NS6detail15normal_iteratorINS8_10device_ptrIiEEEESD_jNS1_19radix_merge_compareILb1ELb1EiNS0_19identity_decomposerEEEEE10hipError_tT0_T1_T2_jT3_P12ihipStream_tbPNSt15iterator_traitsISI_E10value_typeEPNSO_ISJ_E10value_typeEPSK_NS1_7vsmem_tEENKUlT_SI_SJ_SK_E_clISD_PiSD_S10_EESH_SX_SI_SJ_SK_EUlSX_E1_NS1_11comp_targetILNS1_3genE9ELNS1_11target_archE1100ELNS1_3gpuE3ELNS1_3repE0EEENS1_36merge_oddeven_config_static_selectorELNS0_4arch9wavefront6targetE1EEEvSJ_
                                        ; -- End function
	.set _ZN7rocprim17ROCPRIM_400000_NS6detail17trampoline_kernelINS0_14default_configENS1_38merge_sort_block_merge_config_selectorIiiEEZZNS1_27merge_sort_block_merge_implIS3_N6thrust23THRUST_200600_302600_NS6detail15normal_iteratorINS8_10device_ptrIiEEEESD_jNS1_19radix_merge_compareILb1ELb1EiNS0_19identity_decomposerEEEEE10hipError_tT0_T1_T2_jT3_P12ihipStream_tbPNSt15iterator_traitsISI_E10value_typeEPNSO_ISJ_E10value_typeEPSK_NS1_7vsmem_tEENKUlT_SI_SJ_SK_E_clISD_PiSD_S10_EESH_SX_SI_SJ_SK_EUlSX_E1_NS1_11comp_targetILNS1_3genE9ELNS1_11target_archE1100ELNS1_3gpuE3ELNS1_3repE0EEENS1_36merge_oddeven_config_static_selectorELNS0_4arch9wavefront6targetE1EEEvSJ_.num_vgpr, 0
	.set _ZN7rocprim17ROCPRIM_400000_NS6detail17trampoline_kernelINS0_14default_configENS1_38merge_sort_block_merge_config_selectorIiiEEZZNS1_27merge_sort_block_merge_implIS3_N6thrust23THRUST_200600_302600_NS6detail15normal_iteratorINS8_10device_ptrIiEEEESD_jNS1_19radix_merge_compareILb1ELb1EiNS0_19identity_decomposerEEEEE10hipError_tT0_T1_T2_jT3_P12ihipStream_tbPNSt15iterator_traitsISI_E10value_typeEPNSO_ISJ_E10value_typeEPSK_NS1_7vsmem_tEENKUlT_SI_SJ_SK_E_clISD_PiSD_S10_EESH_SX_SI_SJ_SK_EUlSX_E1_NS1_11comp_targetILNS1_3genE9ELNS1_11target_archE1100ELNS1_3gpuE3ELNS1_3repE0EEENS1_36merge_oddeven_config_static_selectorELNS0_4arch9wavefront6targetE1EEEvSJ_.num_agpr, 0
	.set _ZN7rocprim17ROCPRIM_400000_NS6detail17trampoline_kernelINS0_14default_configENS1_38merge_sort_block_merge_config_selectorIiiEEZZNS1_27merge_sort_block_merge_implIS3_N6thrust23THRUST_200600_302600_NS6detail15normal_iteratorINS8_10device_ptrIiEEEESD_jNS1_19radix_merge_compareILb1ELb1EiNS0_19identity_decomposerEEEEE10hipError_tT0_T1_T2_jT3_P12ihipStream_tbPNSt15iterator_traitsISI_E10value_typeEPNSO_ISJ_E10value_typeEPSK_NS1_7vsmem_tEENKUlT_SI_SJ_SK_E_clISD_PiSD_S10_EESH_SX_SI_SJ_SK_EUlSX_E1_NS1_11comp_targetILNS1_3genE9ELNS1_11target_archE1100ELNS1_3gpuE3ELNS1_3repE0EEENS1_36merge_oddeven_config_static_selectorELNS0_4arch9wavefront6targetE1EEEvSJ_.numbered_sgpr, 0
	.set _ZN7rocprim17ROCPRIM_400000_NS6detail17trampoline_kernelINS0_14default_configENS1_38merge_sort_block_merge_config_selectorIiiEEZZNS1_27merge_sort_block_merge_implIS3_N6thrust23THRUST_200600_302600_NS6detail15normal_iteratorINS8_10device_ptrIiEEEESD_jNS1_19radix_merge_compareILb1ELb1EiNS0_19identity_decomposerEEEEE10hipError_tT0_T1_T2_jT3_P12ihipStream_tbPNSt15iterator_traitsISI_E10value_typeEPNSO_ISJ_E10value_typeEPSK_NS1_7vsmem_tEENKUlT_SI_SJ_SK_E_clISD_PiSD_S10_EESH_SX_SI_SJ_SK_EUlSX_E1_NS1_11comp_targetILNS1_3genE9ELNS1_11target_archE1100ELNS1_3gpuE3ELNS1_3repE0EEENS1_36merge_oddeven_config_static_selectorELNS0_4arch9wavefront6targetE1EEEvSJ_.num_named_barrier, 0
	.set _ZN7rocprim17ROCPRIM_400000_NS6detail17trampoline_kernelINS0_14default_configENS1_38merge_sort_block_merge_config_selectorIiiEEZZNS1_27merge_sort_block_merge_implIS3_N6thrust23THRUST_200600_302600_NS6detail15normal_iteratorINS8_10device_ptrIiEEEESD_jNS1_19radix_merge_compareILb1ELb1EiNS0_19identity_decomposerEEEEE10hipError_tT0_T1_T2_jT3_P12ihipStream_tbPNSt15iterator_traitsISI_E10value_typeEPNSO_ISJ_E10value_typeEPSK_NS1_7vsmem_tEENKUlT_SI_SJ_SK_E_clISD_PiSD_S10_EESH_SX_SI_SJ_SK_EUlSX_E1_NS1_11comp_targetILNS1_3genE9ELNS1_11target_archE1100ELNS1_3gpuE3ELNS1_3repE0EEENS1_36merge_oddeven_config_static_selectorELNS0_4arch9wavefront6targetE1EEEvSJ_.private_seg_size, 0
	.set _ZN7rocprim17ROCPRIM_400000_NS6detail17trampoline_kernelINS0_14default_configENS1_38merge_sort_block_merge_config_selectorIiiEEZZNS1_27merge_sort_block_merge_implIS3_N6thrust23THRUST_200600_302600_NS6detail15normal_iteratorINS8_10device_ptrIiEEEESD_jNS1_19radix_merge_compareILb1ELb1EiNS0_19identity_decomposerEEEEE10hipError_tT0_T1_T2_jT3_P12ihipStream_tbPNSt15iterator_traitsISI_E10value_typeEPNSO_ISJ_E10value_typeEPSK_NS1_7vsmem_tEENKUlT_SI_SJ_SK_E_clISD_PiSD_S10_EESH_SX_SI_SJ_SK_EUlSX_E1_NS1_11comp_targetILNS1_3genE9ELNS1_11target_archE1100ELNS1_3gpuE3ELNS1_3repE0EEENS1_36merge_oddeven_config_static_selectorELNS0_4arch9wavefront6targetE1EEEvSJ_.uses_vcc, 0
	.set _ZN7rocprim17ROCPRIM_400000_NS6detail17trampoline_kernelINS0_14default_configENS1_38merge_sort_block_merge_config_selectorIiiEEZZNS1_27merge_sort_block_merge_implIS3_N6thrust23THRUST_200600_302600_NS6detail15normal_iteratorINS8_10device_ptrIiEEEESD_jNS1_19radix_merge_compareILb1ELb1EiNS0_19identity_decomposerEEEEE10hipError_tT0_T1_T2_jT3_P12ihipStream_tbPNSt15iterator_traitsISI_E10value_typeEPNSO_ISJ_E10value_typeEPSK_NS1_7vsmem_tEENKUlT_SI_SJ_SK_E_clISD_PiSD_S10_EESH_SX_SI_SJ_SK_EUlSX_E1_NS1_11comp_targetILNS1_3genE9ELNS1_11target_archE1100ELNS1_3gpuE3ELNS1_3repE0EEENS1_36merge_oddeven_config_static_selectorELNS0_4arch9wavefront6targetE1EEEvSJ_.uses_flat_scratch, 0
	.set _ZN7rocprim17ROCPRIM_400000_NS6detail17trampoline_kernelINS0_14default_configENS1_38merge_sort_block_merge_config_selectorIiiEEZZNS1_27merge_sort_block_merge_implIS3_N6thrust23THRUST_200600_302600_NS6detail15normal_iteratorINS8_10device_ptrIiEEEESD_jNS1_19radix_merge_compareILb1ELb1EiNS0_19identity_decomposerEEEEE10hipError_tT0_T1_T2_jT3_P12ihipStream_tbPNSt15iterator_traitsISI_E10value_typeEPNSO_ISJ_E10value_typeEPSK_NS1_7vsmem_tEENKUlT_SI_SJ_SK_E_clISD_PiSD_S10_EESH_SX_SI_SJ_SK_EUlSX_E1_NS1_11comp_targetILNS1_3genE9ELNS1_11target_archE1100ELNS1_3gpuE3ELNS1_3repE0EEENS1_36merge_oddeven_config_static_selectorELNS0_4arch9wavefront6targetE1EEEvSJ_.has_dyn_sized_stack, 0
	.set _ZN7rocprim17ROCPRIM_400000_NS6detail17trampoline_kernelINS0_14default_configENS1_38merge_sort_block_merge_config_selectorIiiEEZZNS1_27merge_sort_block_merge_implIS3_N6thrust23THRUST_200600_302600_NS6detail15normal_iteratorINS8_10device_ptrIiEEEESD_jNS1_19radix_merge_compareILb1ELb1EiNS0_19identity_decomposerEEEEE10hipError_tT0_T1_T2_jT3_P12ihipStream_tbPNSt15iterator_traitsISI_E10value_typeEPNSO_ISJ_E10value_typeEPSK_NS1_7vsmem_tEENKUlT_SI_SJ_SK_E_clISD_PiSD_S10_EESH_SX_SI_SJ_SK_EUlSX_E1_NS1_11comp_targetILNS1_3genE9ELNS1_11target_archE1100ELNS1_3gpuE3ELNS1_3repE0EEENS1_36merge_oddeven_config_static_selectorELNS0_4arch9wavefront6targetE1EEEvSJ_.has_recursion, 0
	.set _ZN7rocprim17ROCPRIM_400000_NS6detail17trampoline_kernelINS0_14default_configENS1_38merge_sort_block_merge_config_selectorIiiEEZZNS1_27merge_sort_block_merge_implIS3_N6thrust23THRUST_200600_302600_NS6detail15normal_iteratorINS8_10device_ptrIiEEEESD_jNS1_19radix_merge_compareILb1ELb1EiNS0_19identity_decomposerEEEEE10hipError_tT0_T1_T2_jT3_P12ihipStream_tbPNSt15iterator_traitsISI_E10value_typeEPNSO_ISJ_E10value_typeEPSK_NS1_7vsmem_tEENKUlT_SI_SJ_SK_E_clISD_PiSD_S10_EESH_SX_SI_SJ_SK_EUlSX_E1_NS1_11comp_targetILNS1_3genE9ELNS1_11target_archE1100ELNS1_3gpuE3ELNS1_3repE0EEENS1_36merge_oddeven_config_static_selectorELNS0_4arch9wavefront6targetE1EEEvSJ_.has_indirect_call, 0
	.section	.AMDGPU.csdata,"",@progbits
; Kernel info:
; codeLenInByte = 0
; TotalNumSgprs: 6
; NumVgprs: 0
; NumAgprs: 0
; TotalNumVgprs: 0
; ScratchSize: 0
; MemoryBound: 0
; FloatMode: 240
; IeeeMode: 1
; LDSByteSize: 0 bytes/workgroup (compile time only)
; SGPRBlocks: 0
; VGPRBlocks: 0
; NumSGPRsForWavesPerEU: 6
; NumVGPRsForWavesPerEU: 1
; AccumOffset: 4
; Occupancy: 8
; WaveLimiterHint : 0
; COMPUTE_PGM_RSRC2:SCRATCH_EN: 0
; COMPUTE_PGM_RSRC2:USER_SGPR: 2
; COMPUTE_PGM_RSRC2:TRAP_HANDLER: 0
; COMPUTE_PGM_RSRC2:TGID_X_EN: 1
; COMPUTE_PGM_RSRC2:TGID_Y_EN: 0
; COMPUTE_PGM_RSRC2:TGID_Z_EN: 0
; COMPUTE_PGM_RSRC2:TIDIG_COMP_CNT: 0
; COMPUTE_PGM_RSRC3_GFX90A:ACCUM_OFFSET: 0
; COMPUTE_PGM_RSRC3_GFX90A:TG_SPLIT: 0
	.section	.text._ZN7rocprim17ROCPRIM_400000_NS6detail17trampoline_kernelINS0_14default_configENS1_38merge_sort_block_merge_config_selectorIiiEEZZNS1_27merge_sort_block_merge_implIS3_N6thrust23THRUST_200600_302600_NS6detail15normal_iteratorINS8_10device_ptrIiEEEESD_jNS1_19radix_merge_compareILb1ELb1EiNS0_19identity_decomposerEEEEE10hipError_tT0_T1_T2_jT3_P12ihipStream_tbPNSt15iterator_traitsISI_E10value_typeEPNSO_ISJ_E10value_typeEPSK_NS1_7vsmem_tEENKUlT_SI_SJ_SK_E_clISD_PiSD_S10_EESH_SX_SI_SJ_SK_EUlSX_E1_NS1_11comp_targetILNS1_3genE8ELNS1_11target_archE1030ELNS1_3gpuE2ELNS1_3repE0EEENS1_36merge_oddeven_config_static_selectorELNS0_4arch9wavefront6targetE1EEEvSJ_,"axG",@progbits,_ZN7rocprim17ROCPRIM_400000_NS6detail17trampoline_kernelINS0_14default_configENS1_38merge_sort_block_merge_config_selectorIiiEEZZNS1_27merge_sort_block_merge_implIS3_N6thrust23THRUST_200600_302600_NS6detail15normal_iteratorINS8_10device_ptrIiEEEESD_jNS1_19radix_merge_compareILb1ELb1EiNS0_19identity_decomposerEEEEE10hipError_tT0_T1_T2_jT3_P12ihipStream_tbPNSt15iterator_traitsISI_E10value_typeEPNSO_ISJ_E10value_typeEPSK_NS1_7vsmem_tEENKUlT_SI_SJ_SK_E_clISD_PiSD_S10_EESH_SX_SI_SJ_SK_EUlSX_E1_NS1_11comp_targetILNS1_3genE8ELNS1_11target_archE1030ELNS1_3gpuE2ELNS1_3repE0EEENS1_36merge_oddeven_config_static_selectorELNS0_4arch9wavefront6targetE1EEEvSJ_,comdat
	.protected	_ZN7rocprim17ROCPRIM_400000_NS6detail17trampoline_kernelINS0_14default_configENS1_38merge_sort_block_merge_config_selectorIiiEEZZNS1_27merge_sort_block_merge_implIS3_N6thrust23THRUST_200600_302600_NS6detail15normal_iteratorINS8_10device_ptrIiEEEESD_jNS1_19radix_merge_compareILb1ELb1EiNS0_19identity_decomposerEEEEE10hipError_tT0_T1_T2_jT3_P12ihipStream_tbPNSt15iterator_traitsISI_E10value_typeEPNSO_ISJ_E10value_typeEPSK_NS1_7vsmem_tEENKUlT_SI_SJ_SK_E_clISD_PiSD_S10_EESH_SX_SI_SJ_SK_EUlSX_E1_NS1_11comp_targetILNS1_3genE8ELNS1_11target_archE1030ELNS1_3gpuE2ELNS1_3repE0EEENS1_36merge_oddeven_config_static_selectorELNS0_4arch9wavefront6targetE1EEEvSJ_ ; -- Begin function _ZN7rocprim17ROCPRIM_400000_NS6detail17trampoline_kernelINS0_14default_configENS1_38merge_sort_block_merge_config_selectorIiiEEZZNS1_27merge_sort_block_merge_implIS3_N6thrust23THRUST_200600_302600_NS6detail15normal_iteratorINS8_10device_ptrIiEEEESD_jNS1_19radix_merge_compareILb1ELb1EiNS0_19identity_decomposerEEEEE10hipError_tT0_T1_T2_jT3_P12ihipStream_tbPNSt15iterator_traitsISI_E10value_typeEPNSO_ISJ_E10value_typeEPSK_NS1_7vsmem_tEENKUlT_SI_SJ_SK_E_clISD_PiSD_S10_EESH_SX_SI_SJ_SK_EUlSX_E1_NS1_11comp_targetILNS1_3genE8ELNS1_11target_archE1030ELNS1_3gpuE2ELNS1_3repE0EEENS1_36merge_oddeven_config_static_selectorELNS0_4arch9wavefront6targetE1EEEvSJ_
	.globl	_ZN7rocprim17ROCPRIM_400000_NS6detail17trampoline_kernelINS0_14default_configENS1_38merge_sort_block_merge_config_selectorIiiEEZZNS1_27merge_sort_block_merge_implIS3_N6thrust23THRUST_200600_302600_NS6detail15normal_iteratorINS8_10device_ptrIiEEEESD_jNS1_19radix_merge_compareILb1ELb1EiNS0_19identity_decomposerEEEEE10hipError_tT0_T1_T2_jT3_P12ihipStream_tbPNSt15iterator_traitsISI_E10value_typeEPNSO_ISJ_E10value_typeEPSK_NS1_7vsmem_tEENKUlT_SI_SJ_SK_E_clISD_PiSD_S10_EESH_SX_SI_SJ_SK_EUlSX_E1_NS1_11comp_targetILNS1_3genE8ELNS1_11target_archE1030ELNS1_3gpuE2ELNS1_3repE0EEENS1_36merge_oddeven_config_static_selectorELNS0_4arch9wavefront6targetE1EEEvSJ_
	.p2align	8
	.type	_ZN7rocprim17ROCPRIM_400000_NS6detail17trampoline_kernelINS0_14default_configENS1_38merge_sort_block_merge_config_selectorIiiEEZZNS1_27merge_sort_block_merge_implIS3_N6thrust23THRUST_200600_302600_NS6detail15normal_iteratorINS8_10device_ptrIiEEEESD_jNS1_19radix_merge_compareILb1ELb1EiNS0_19identity_decomposerEEEEE10hipError_tT0_T1_T2_jT3_P12ihipStream_tbPNSt15iterator_traitsISI_E10value_typeEPNSO_ISJ_E10value_typeEPSK_NS1_7vsmem_tEENKUlT_SI_SJ_SK_E_clISD_PiSD_S10_EESH_SX_SI_SJ_SK_EUlSX_E1_NS1_11comp_targetILNS1_3genE8ELNS1_11target_archE1030ELNS1_3gpuE2ELNS1_3repE0EEENS1_36merge_oddeven_config_static_selectorELNS0_4arch9wavefront6targetE1EEEvSJ_,@function
_ZN7rocprim17ROCPRIM_400000_NS6detail17trampoline_kernelINS0_14default_configENS1_38merge_sort_block_merge_config_selectorIiiEEZZNS1_27merge_sort_block_merge_implIS3_N6thrust23THRUST_200600_302600_NS6detail15normal_iteratorINS8_10device_ptrIiEEEESD_jNS1_19radix_merge_compareILb1ELb1EiNS0_19identity_decomposerEEEEE10hipError_tT0_T1_T2_jT3_P12ihipStream_tbPNSt15iterator_traitsISI_E10value_typeEPNSO_ISJ_E10value_typeEPSK_NS1_7vsmem_tEENKUlT_SI_SJ_SK_E_clISD_PiSD_S10_EESH_SX_SI_SJ_SK_EUlSX_E1_NS1_11comp_targetILNS1_3genE8ELNS1_11target_archE1030ELNS1_3gpuE2ELNS1_3repE0EEENS1_36merge_oddeven_config_static_selectorELNS0_4arch9wavefront6targetE1EEEvSJ_: ; @_ZN7rocprim17ROCPRIM_400000_NS6detail17trampoline_kernelINS0_14default_configENS1_38merge_sort_block_merge_config_selectorIiiEEZZNS1_27merge_sort_block_merge_implIS3_N6thrust23THRUST_200600_302600_NS6detail15normal_iteratorINS8_10device_ptrIiEEEESD_jNS1_19radix_merge_compareILb1ELb1EiNS0_19identity_decomposerEEEEE10hipError_tT0_T1_T2_jT3_P12ihipStream_tbPNSt15iterator_traitsISI_E10value_typeEPNSO_ISJ_E10value_typeEPSK_NS1_7vsmem_tEENKUlT_SI_SJ_SK_E_clISD_PiSD_S10_EESH_SX_SI_SJ_SK_EUlSX_E1_NS1_11comp_targetILNS1_3genE8ELNS1_11target_archE1030ELNS1_3gpuE2ELNS1_3repE0EEENS1_36merge_oddeven_config_static_selectorELNS0_4arch9wavefront6targetE1EEEvSJ_
; %bb.0:
	.section	.rodata,"a",@progbits
	.p2align	6, 0x0
	.amdhsa_kernel _ZN7rocprim17ROCPRIM_400000_NS6detail17trampoline_kernelINS0_14default_configENS1_38merge_sort_block_merge_config_selectorIiiEEZZNS1_27merge_sort_block_merge_implIS3_N6thrust23THRUST_200600_302600_NS6detail15normal_iteratorINS8_10device_ptrIiEEEESD_jNS1_19radix_merge_compareILb1ELb1EiNS0_19identity_decomposerEEEEE10hipError_tT0_T1_T2_jT3_P12ihipStream_tbPNSt15iterator_traitsISI_E10value_typeEPNSO_ISJ_E10value_typeEPSK_NS1_7vsmem_tEENKUlT_SI_SJ_SK_E_clISD_PiSD_S10_EESH_SX_SI_SJ_SK_EUlSX_E1_NS1_11comp_targetILNS1_3genE8ELNS1_11target_archE1030ELNS1_3gpuE2ELNS1_3repE0EEENS1_36merge_oddeven_config_static_selectorELNS0_4arch9wavefront6targetE1EEEvSJ_
		.amdhsa_group_segment_fixed_size 0
		.amdhsa_private_segment_fixed_size 0
		.amdhsa_kernarg_size 48
		.amdhsa_user_sgpr_count 2
		.amdhsa_user_sgpr_dispatch_ptr 0
		.amdhsa_user_sgpr_queue_ptr 0
		.amdhsa_user_sgpr_kernarg_segment_ptr 1
		.amdhsa_user_sgpr_dispatch_id 0
		.amdhsa_user_sgpr_kernarg_preload_length 0
		.amdhsa_user_sgpr_kernarg_preload_offset 0
		.amdhsa_user_sgpr_private_segment_size 0
		.amdhsa_uses_dynamic_stack 0
		.amdhsa_enable_private_segment 0
		.amdhsa_system_sgpr_workgroup_id_x 1
		.amdhsa_system_sgpr_workgroup_id_y 0
		.amdhsa_system_sgpr_workgroup_id_z 0
		.amdhsa_system_sgpr_workgroup_info 0
		.amdhsa_system_vgpr_workitem_id 0
		.amdhsa_next_free_vgpr 1
		.amdhsa_next_free_sgpr 0
		.amdhsa_accum_offset 4
		.amdhsa_reserve_vcc 0
		.amdhsa_float_round_mode_32 0
		.amdhsa_float_round_mode_16_64 0
		.amdhsa_float_denorm_mode_32 3
		.amdhsa_float_denorm_mode_16_64 3
		.amdhsa_dx10_clamp 1
		.amdhsa_ieee_mode 1
		.amdhsa_fp16_overflow 0
		.amdhsa_tg_split 0
		.amdhsa_exception_fp_ieee_invalid_op 0
		.amdhsa_exception_fp_denorm_src 0
		.amdhsa_exception_fp_ieee_div_zero 0
		.amdhsa_exception_fp_ieee_overflow 0
		.amdhsa_exception_fp_ieee_underflow 0
		.amdhsa_exception_fp_ieee_inexact 0
		.amdhsa_exception_int_div_zero 0
	.end_amdhsa_kernel
	.section	.text._ZN7rocprim17ROCPRIM_400000_NS6detail17trampoline_kernelINS0_14default_configENS1_38merge_sort_block_merge_config_selectorIiiEEZZNS1_27merge_sort_block_merge_implIS3_N6thrust23THRUST_200600_302600_NS6detail15normal_iteratorINS8_10device_ptrIiEEEESD_jNS1_19radix_merge_compareILb1ELb1EiNS0_19identity_decomposerEEEEE10hipError_tT0_T1_T2_jT3_P12ihipStream_tbPNSt15iterator_traitsISI_E10value_typeEPNSO_ISJ_E10value_typeEPSK_NS1_7vsmem_tEENKUlT_SI_SJ_SK_E_clISD_PiSD_S10_EESH_SX_SI_SJ_SK_EUlSX_E1_NS1_11comp_targetILNS1_3genE8ELNS1_11target_archE1030ELNS1_3gpuE2ELNS1_3repE0EEENS1_36merge_oddeven_config_static_selectorELNS0_4arch9wavefront6targetE1EEEvSJ_,"axG",@progbits,_ZN7rocprim17ROCPRIM_400000_NS6detail17trampoline_kernelINS0_14default_configENS1_38merge_sort_block_merge_config_selectorIiiEEZZNS1_27merge_sort_block_merge_implIS3_N6thrust23THRUST_200600_302600_NS6detail15normal_iteratorINS8_10device_ptrIiEEEESD_jNS1_19radix_merge_compareILb1ELb1EiNS0_19identity_decomposerEEEEE10hipError_tT0_T1_T2_jT3_P12ihipStream_tbPNSt15iterator_traitsISI_E10value_typeEPNSO_ISJ_E10value_typeEPSK_NS1_7vsmem_tEENKUlT_SI_SJ_SK_E_clISD_PiSD_S10_EESH_SX_SI_SJ_SK_EUlSX_E1_NS1_11comp_targetILNS1_3genE8ELNS1_11target_archE1030ELNS1_3gpuE2ELNS1_3repE0EEENS1_36merge_oddeven_config_static_selectorELNS0_4arch9wavefront6targetE1EEEvSJ_,comdat
.Lfunc_end1818:
	.size	_ZN7rocprim17ROCPRIM_400000_NS6detail17trampoline_kernelINS0_14default_configENS1_38merge_sort_block_merge_config_selectorIiiEEZZNS1_27merge_sort_block_merge_implIS3_N6thrust23THRUST_200600_302600_NS6detail15normal_iteratorINS8_10device_ptrIiEEEESD_jNS1_19radix_merge_compareILb1ELb1EiNS0_19identity_decomposerEEEEE10hipError_tT0_T1_T2_jT3_P12ihipStream_tbPNSt15iterator_traitsISI_E10value_typeEPNSO_ISJ_E10value_typeEPSK_NS1_7vsmem_tEENKUlT_SI_SJ_SK_E_clISD_PiSD_S10_EESH_SX_SI_SJ_SK_EUlSX_E1_NS1_11comp_targetILNS1_3genE8ELNS1_11target_archE1030ELNS1_3gpuE2ELNS1_3repE0EEENS1_36merge_oddeven_config_static_selectorELNS0_4arch9wavefront6targetE1EEEvSJ_, .Lfunc_end1818-_ZN7rocprim17ROCPRIM_400000_NS6detail17trampoline_kernelINS0_14default_configENS1_38merge_sort_block_merge_config_selectorIiiEEZZNS1_27merge_sort_block_merge_implIS3_N6thrust23THRUST_200600_302600_NS6detail15normal_iteratorINS8_10device_ptrIiEEEESD_jNS1_19radix_merge_compareILb1ELb1EiNS0_19identity_decomposerEEEEE10hipError_tT0_T1_T2_jT3_P12ihipStream_tbPNSt15iterator_traitsISI_E10value_typeEPNSO_ISJ_E10value_typeEPSK_NS1_7vsmem_tEENKUlT_SI_SJ_SK_E_clISD_PiSD_S10_EESH_SX_SI_SJ_SK_EUlSX_E1_NS1_11comp_targetILNS1_3genE8ELNS1_11target_archE1030ELNS1_3gpuE2ELNS1_3repE0EEENS1_36merge_oddeven_config_static_selectorELNS0_4arch9wavefront6targetE1EEEvSJ_
                                        ; -- End function
	.set _ZN7rocprim17ROCPRIM_400000_NS6detail17trampoline_kernelINS0_14default_configENS1_38merge_sort_block_merge_config_selectorIiiEEZZNS1_27merge_sort_block_merge_implIS3_N6thrust23THRUST_200600_302600_NS6detail15normal_iteratorINS8_10device_ptrIiEEEESD_jNS1_19radix_merge_compareILb1ELb1EiNS0_19identity_decomposerEEEEE10hipError_tT0_T1_T2_jT3_P12ihipStream_tbPNSt15iterator_traitsISI_E10value_typeEPNSO_ISJ_E10value_typeEPSK_NS1_7vsmem_tEENKUlT_SI_SJ_SK_E_clISD_PiSD_S10_EESH_SX_SI_SJ_SK_EUlSX_E1_NS1_11comp_targetILNS1_3genE8ELNS1_11target_archE1030ELNS1_3gpuE2ELNS1_3repE0EEENS1_36merge_oddeven_config_static_selectorELNS0_4arch9wavefront6targetE1EEEvSJ_.num_vgpr, 0
	.set _ZN7rocprim17ROCPRIM_400000_NS6detail17trampoline_kernelINS0_14default_configENS1_38merge_sort_block_merge_config_selectorIiiEEZZNS1_27merge_sort_block_merge_implIS3_N6thrust23THRUST_200600_302600_NS6detail15normal_iteratorINS8_10device_ptrIiEEEESD_jNS1_19radix_merge_compareILb1ELb1EiNS0_19identity_decomposerEEEEE10hipError_tT0_T1_T2_jT3_P12ihipStream_tbPNSt15iterator_traitsISI_E10value_typeEPNSO_ISJ_E10value_typeEPSK_NS1_7vsmem_tEENKUlT_SI_SJ_SK_E_clISD_PiSD_S10_EESH_SX_SI_SJ_SK_EUlSX_E1_NS1_11comp_targetILNS1_3genE8ELNS1_11target_archE1030ELNS1_3gpuE2ELNS1_3repE0EEENS1_36merge_oddeven_config_static_selectorELNS0_4arch9wavefront6targetE1EEEvSJ_.num_agpr, 0
	.set _ZN7rocprim17ROCPRIM_400000_NS6detail17trampoline_kernelINS0_14default_configENS1_38merge_sort_block_merge_config_selectorIiiEEZZNS1_27merge_sort_block_merge_implIS3_N6thrust23THRUST_200600_302600_NS6detail15normal_iteratorINS8_10device_ptrIiEEEESD_jNS1_19radix_merge_compareILb1ELb1EiNS0_19identity_decomposerEEEEE10hipError_tT0_T1_T2_jT3_P12ihipStream_tbPNSt15iterator_traitsISI_E10value_typeEPNSO_ISJ_E10value_typeEPSK_NS1_7vsmem_tEENKUlT_SI_SJ_SK_E_clISD_PiSD_S10_EESH_SX_SI_SJ_SK_EUlSX_E1_NS1_11comp_targetILNS1_3genE8ELNS1_11target_archE1030ELNS1_3gpuE2ELNS1_3repE0EEENS1_36merge_oddeven_config_static_selectorELNS0_4arch9wavefront6targetE1EEEvSJ_.numbered_sgpr, 0
	.set _ZN7rocprim17ROCPRIM_400000_NS6detail17trampoline_kernelINS0_14default_configENS1_38merge_sort_block_merge_config_selectorIiiEEZZNS1_27merge_sort_block_merge_implIS3_N6thrust23THRUST_200600_302600_NS6detail15normal_iteratorINS8_10device_ptrIiEEEESD_jNS1_19radix_merge_compareILb1ELb1EiNS0_19identity_decomposerEEEEE10hipError_tT0_T1_T2_jT3_P12ihipStream_tbPNSt15iterator_traitsISI_E10value_typeEPNSO_ISJ_E10value_typeEPSK_NS1_7vsmem_tEENKUlT_SI_SJ_SK_E_clISD_PiSD_S10_EESH_SX_SI_SJ_SK_EUlSX_E1_NS1_11comp_targetILNS1_3genE8ELNS1_11target_archE1030ELNS1_3gpuE2ELNS1_3repE0EEENS1_36merge_oddeven_config_static_selectorELNS0_4arch9wavefront6targetE1EEEvSJ_.num_named_barrier, 0
	.set _ZN7rocprim17ROCPRIM_400000_NS6detail17trampoline_kernelINS0_14default_configENS1_38merge_sort_block_merge_config_selectorIiiEEZZNS1_27merge_sort_block_merge_implIS3_N6thrust23THRUST_200600_302600_NS6detail15normal_iteratorINS8_10device_ptrIiEEEESD_jNS1_19radix_merge_compareILb1ELb1EiNS0_19identity_decomposerEEEEE10hipError_tT0_T1_T2_jT3_P12ihipStream_tbPNSt15iterator_traitsISI_E10value_typeEPNSO_ISJ_E10value_typeEPSK_NS1_7vsmem_tEENKUlT_SI_SJ_SK_E_clISD_PiSD_S10_EESH_SX_SI_SJ_SK_EUlSX_E1_NS1_11comp_targetILNS1_3genE8ELNS1_11target_archE1030ELNS1_3gpuE2ELNS1_3repE0EEENS1_36merge_oddeven_config_static_selectorELNS0_4arch9wavefront6targetE1EEEvSJ_.private_seg_size, 0
	.set _ZN7rocprim17ROCPRIM_400000_NS6detail17trampoline_kernelINS0_14default_configENS1_38merge_sort_block_merge_config_selectorIiiEEZZNS1_27merge_sort_block_merge_implIS3_N6thrust23THRUST_200600_302600_NS6detail15normal_iteratorINS8_10device_ptrIiEEEESD_jNS1_19radix_merge_compareILb1ELb1EiNS0_19identity_decomposerEEEEE10hipError_tT0_T1_T2_jT3_P12ihipStream_tbPNSt15iterator_traitsISI_E10value_typeEPNSO_ISJ_E10value_typeEPSK_NS1_7vsmem_tEENKUlT_SI_SJ_SK_E_clISD_PiSD_S10_EESH_SX_SI_SJ_SK_EUlSX_E1_NS1_11comp_targetILNS1_3genE8ELNS1_11target_archE1030ELNS1_3gpuE2ELNS1_3repE0EEENS1_36merge_oddeven_config_static_selectorELNS0_4arch9wavefront6targetE1EEEvSJ_.uses_vcc, 0
	.set _ZN7rocprim17ROCPRIM_400000_NS6detail17trampoline_kernelINS0_14default_configENS1_38merge_sort_block_merge_config_selectorIiiEEZZNS1_27merge_sort_block_merge_implIS3_N6thrust23THRUST_200600_302600_NS6detail15normal_iteratorINS8_10device_ptrIiEEEESD_jNS1_19radix_merge_compareILb1ELb1EiNS0_19identity_decomposerEEEEE10hipError_tT0_T1_T2_jT3_P12ihipStream_tbPNSt15iterator_traitsISI_E10value_typeEPNSO_ISJ_E10value_typeEPSK_NS1_7vsmem_tEENKUlT_SI_SJ_SK_E_clISD_PiSD_S10_EESH_SX_SI_SJ_SK_EUlSX_E1_NS1_11comp_targetILNS1_3genE8ELNS1_11target_archE1030ELNS1_3gpuE2ELNS1_3repE0EEENS1_36merge_oddeven_config_static_selectorELNS0_4arch9wavefront6targetE1EEEvSJ_.uses_flat_scratch, 0
	.set _ZN7rocprim17ROCPRIM_400000_NS6detail17trampoline_kernelINS0_14default_configENS1_38merge_sort_block_merge_config_selectorIiiEEZZNS1_27merge_sort_block_merge_implIS3_N6thrust23THRUST_200600_302600_NS6detail15normal_iteratorINS8_10device_ptrIiEEEESD_jNS1_19radix_merge_compareILb1ELb1EiNS0_19identity_decomposerEEEEE10hipError_tT0_T1_T2_jT3_P12ihipStream_tbPNSt15iterator_traitsISI_E10value_typeEPNSO_ISJ_E10value_typeEPSK_NS1_7vsmem_tEENKUlT_SI_SJ_SK_E_clISD_PiSD_S10_EESH_SX_SI_SJ_SK_EUlSX_E1_NS1_11comp_targetILNS1_3genE8ELNS1_11target_archE1030ELNS1_3gpuE2ELNS1_3repE0EEENS1_36merge_oddeven_config_static_selectorELNS0_4arch9wavefront6targetE1EEEvSJ_.has_dyn_sized_stack, 0
	.set _ZN7rocprim17ROCPRIM_400000_NS6detail17trampoline_kernelINS0_14default_configENS1_38merge_sort_block_merge_config_selectorIiiEEZZNS1_27merge_sort_block_merge_implIS3_N6thrust23THRUST_200600_302600_NS6detail15normal_iteratorINS8_10device_ptrIiEEEESD_jNS1_19radix_merge_compareILb1ELb1EiNS0_19identity_decomposerEEEEE10hipError_tT0_T1_T2_jT3_P12ihipStream_tbPNSt15iterator_traitsISI_E10value_typeEPNSO_ISJ_E10value_typeEPSK_NS1_7vsmem_tEENKUlT_SI_SJ_SK_E_clISD_PiSD_S10_EESH_SX_SI_SJ_SK_EUlSX_E1_NS1_11comp_targetILNS1_3genE8ELNS1_11target_archE1030ELNS1_3gpuE2ELNS1_3repE0EEENS1_36merge_oddeven_config_static_selectorELNS0_4arch9wavefront6targetE1EEEvSJ_.has_recursion, 0
	.set _ZN7rocprim17ROCPRIM_400000_NS6detail17trampoline_kernelINS0_14default_configENS1_38merge_sort_block_merge_config_selectorIiiEEZZNS1_27merge_sort_block_merge_implIS3_N6thrust23THRUST_200600_302600_NS6detail15normal_iteratorINS8_10device_ptrIiEEEESD_jNS1_19radix_merge_compareILb1ELb1EiNS0_19identity_decomposerEEEEE10hipError_tT0_T1_T2_jT3_P12ihipStream_tbPNSt15iterator_traitsISI_E10value_typeEPNSO_ISJ_E10value_typeEPSK_NS1_7vsmem_tEENKUlT_SI_SJ_SK_E_clISD_PiSD_S10_EESH_SX_SI_SJ_SK_EUlSX_E1_NS1_11comp_targetILNS1_3genE8ELNS1_11target_archE1030ELNS1_3gpuE2ELNS1_3repE0EEENS1_36merge_oddeven_config_static_selectorELNS0_4arch9wavefront6targetE1EEEvSJ_.has_indirect_call, 0
	.section	.AMDGPU.csdata,"",@progbits
; Kernel info:
; codeLenInByte = 0
; TotalNumSgprs: 6
; NumVgprs: 0
; NumAgprs: 0
; TotalNumVgprs: 0
; ScratchSize: 0
; MemoryBound: 0
; FloatMode: 240
; IeeeMode: 1
; LDSByteSize: 0 bytes/workgroup (compile time only)
; SGPRBlocks: 0
; VGPRBlocks: 0
; NumSGPRsForWavesPerEU: 6
; NumVGPRsForWavesPerEU: 1
; AccumOffset: 4
; Occupancy: 8
; WaveLimiterHint : 0
; COMPUTE_PGM_RSRC2:SCRATCH_EN: 0
; COMPUTE_PGM_RSRC2:USER_SGPR: 2
; COMPUTE_PGM_RSRC2:TRAP_HANDLER: 0
; COMPUTE_PGM_RSRC2:TGID_X_EN: 1
; COMPUTE_PGM_RSRC2:TGID_Y_EN: 0
; COMPUTE_PGM_RSRC2:TGID_Z_EN: 0
; COMPUTE_PGM_RSRC2:TIDIG_COMP_CNT: 0
; COMPUTE_PGM_RSRC3_GFX90A:ACCUM_OFFSET: 0
; COMPUTE_PGM_RSRC3_GFX90A:TG_SPLIT: 0
	.section	.text._ZN7rocprim17ROCPRIM_400000_NS6detail17trampoline_kernelINS0_14default_configENS1_35radix_sort_onesweep_config_selectorIiiEEZNS1_34radix_sort_onesweep_global_offsetsIS3_Lb1EN6thrust23THRUST_200600_302600_NS6detail15normal_iteratorINS8_10device_ptrIiEEEESD_jNS0_19identity_decomposerEEE10hipError_tT1_T2_PT3_SI_jT4_jjP12ihipStream_tbEUlT_E_NS1_11comp_targetILNS1_3genE0ELNS1_11target_archE4294967295ELNS1_3gpuE0ELNS1_3repE0EEENS1_52radix_sort_onesweep_histogram_config_static_selectorELNS0_4arch9wavefront6targetE1EEEvSG_,"axG",@progbits,_ZN7rocprim17ROCPRIM_400000_NS6detail17trampoline_kernelINS0_14default_configENS1_35radix_sort_onesweep_config_selectorIiiEEZNS1_34radix_sort_onesweep_global_offsetsIS3_Lb1EN6thrust23THRUST_200600_302600_NS6detail15normal_iteratorINS8_10device_ptrIiEEEESD_jNS0_19identity_decomposerEEE10hipError_tT1_T2_PT3_SI_jT4_jjP12ihipStream_tbEUlT_E_NS1_11comp_targetILNS1_3genE0ELNS1_11target_archE4294967295ELNS1_3gpuE0ELNS1_3repE0EEENS1_52radix_sort_onesweep_histogram_config_static_selectorELNS0_4arch9wavefront6targetE1EEEvSG_,comdat
	.protected	_ZN7rocprim17ROCPRIM_400000_NS6detail17trampoline_kernelINS0_14default_configENS1_35radix_sort_onesweep_config_selectorIiiEEZNS1_34radix_sort_onesweep_global_offsetsIS3_Lb1EN6thrust23THRUST_200600_302600_NS6detail15normal_iteratorINS8_10device_ptrIiEEEESD_jNS0_19identity_decomposerEEE10hipError_tT1_T2_PT3_SI_jT4_jjP12ihipStream_tbEUlT_E_NS1_11comp_targetILNS1_3genE0ELNS1_11target_archE4294967295ELNS1_3gpuE0ELNS1_3repE0EEENS1_52radix_sort_onesweep_histogram_config_static_selectorELNS0_4arch9wavefront6targetE1EEEvSG_ ; -- Begin function _ZN7rocprim17ROCPRIM_400000_NS6detail17trampoline_kernelINS0_14default_configENS1_35radix_sort_onesweep_config_selectorIiiEEZNS1_34radix_sort_onesweep_global_offsetsIS3_Lb1EN6thrust23THRUST_200600_302600_NS6detail15normal_iteratorINS8_10device_ptrIiEEEESD_jNS0_19identity_decomposerEEE10hipError_tT1_T2_PT3_SI_jT4_jjP12ihipStream_tbEUlT_E_NS1_11comp_targetILNS1_3genE0ELNS1_11target_archE4294967295ELNS1_3gpuE0ELNS1_3repE0EEENS1_52radix_sort_onesweep_histogram_config_static_selectorELNS0_4arch9wavefront6targetE1EEEvSG_
	.globl	_ZN7rocprim17ROCPRIM_400000_NS6detail17trampoline_kernelINS0_14default_configENS1_35radix_sort_onesweep_config_selectorIiiEEZNS1_34radix_sort_onesweep_global_offsetsIS3_Lb1EN6thrust23THRUST_200600_302600_NS6detail15normal_iteratorINS8_10device_ptrIiEEEESD_jNS0_19identity_decomposerEEE10hipError_tT1_T2_PT3_SI_jT4_jjP12ihipStream_tbEUlT_E_NS1_11comp_targetILNS1_3genE0ELNS1_11target_archE4294967295ELNS1_3gpuE0ELNS1_3repE0EEENS1_52radix_sort_onesweep_histogram_config_static_selectorELNS0_4arch9wavefront6targetE1EEEvSG_
	.p2align	8
	.type	_ZN7rocprim17ROCPRIM_400000_NS6detail17trampoline_kernelINS0_14default_configENS1_35radix_sort_onesweep_config_selectorIiiEEZNS1_34radix_sort_onesweep_global_offsetsIS3_Lb1EN6thrust23THRUST_200600_302600_NS6detail15normal_iteratorINS8_10device_ptrIiEEEESD_jNS0_19identity_decomposerEEE10hipError_tT1_T2_PT3_SI_jT4_jjP12ihipStream_tbEUlT_E_NS1_11comp_targetILNS1_3genE0ELNS1_11target_archE4294967295ELNS1_3gpuE0ELNS1_3repE0EEENS1_52radix_sort_onesweep_histogram_config_static_selectorELNS0_4arch9wavefront6targetE1EEEvSG_,@function
_ZN7rocprim17ROCPRIM_400000_NS6detail17trampoline_kernelINS0_14default_configENS1_35radix_sort_onesweep_config_selectorIiiEEZNS1_34radix_sort_onesweep_global_offsetsIS3_Lb1EN6thrust23THRUST_200600_302600_NS6detail15normal_iteratorINS8_10device_ptrIiEEEESD_jNS0_19identity_decomposerEEE10hipError_tT1_T2_PT3_SI_jT4_jjP12ihipStream_tbEUlT_E_NS1_11comp_targetILNS1_3genE0ELNS1_11target_archE4294967295ELNS1_3gpuE0ELNS1_3repE0EEENS1_52radix_sort_onesweep_histogram_config_static_selectorELNS0_4arch9wavefront6targetE1EEEvSG_: ; @_ZN7rocprim17ROCPRIM_400000_NS6detail17trampoline_kernelINS0_14default_configENS1_35radix_sort_onesweep_config_selectorIiiEEZNS1_34radix_sort_onesweep_global_offsetsIS3_Lb1EN6thrust23THRUST_200600_302600_NS6detail15normal_iteratorINS8_10device_ptrIiEEEESD_jNS0_19identity_decomposerEEE10hipError_tT1_T2_PT3_SI_jT4_jjP12ihipStream_tbEUlT_E_NS1_11comp_targetILNS1_3genE0ELNS1_11target_archE4294967295ELNS1_3gpuE0ELNS1_3repE0EEENS1_52radix_sort_onesweep_histogram_config_static_selectorELNS0_4arch9wavefront6targetE1EEEvSG_
; %bb.0:
	.section	.rodata,"a",@progbits
	.p2align	6, 0x0
	.amdhsa_kernel _ZN7rocprim17ROCPRIM_400000_NS6detail17trampoline_kernelINS0_14default_configENS1_35radix_sort_onesweep_config_selectorIiiEEZNS1_34radix_sort_onesweep_global_offsetsIS3_Lb1EN6thrust23THRUST_200600_302600_NS6detail15normal_iteratorINS8_10device_ptrIiEEEESD_jNS0_19identity_decomposerEEE10hipError_tT1_T2_PT3_SI_jT4_jjP12ihipStream_tbEUlT_E_NS1_11comp_targetILNS1_3genE0ELNS1_11target_archE4294967295ELNS1_3gpuE0ELNS1_3repE0EEENS1_52radix_sort_onesweep_histogram_config_static_selectorELNS0_4arch9wavefront6targetE1EEEvSG_
		.amdhsa_group_segment_fixed_size 0
		.amdhsa_private_segment_fixed_size 0
		.amdhsa_kernarg_size 40
		.amdhsa_user_sgpr_count 2
		.amdhsa_user_sgpr_dispatch_ptr 0
		.amdhsa_user_sgpr_queue_ptr 0
		.amdhsa_user_sgpr_kernarg_segment_ptr 1
		.amdhsa_user_sgpr_dispatch_id 0
		.amdhsa_user_sgpr_kernarg_preload_length 0
		.amdhsa_user_sgpr_kernarg_preload_offset 0
		.amdhsa_user_sgpr_private_segment_size 0
		.amdhsa_uses_dynamic_stack 0
		.amdhsa_enable_private_segment 0
		.amdhsa_system_sgpr_workgroup_id_x 1
		.amdhsa_system_sgpr_workgroup_id_y 0
		.amdhsa_system_sgpr_workgroup_id_z 0
		.amdhsa_system_sgpr_workgroup_info 0
		.amdhsa_system_vgpr_workitem_id 0
		.amdhsa_next_free_vgpr 1
		.amdhsa_next_free_sgpr 0
		.amdhsa_accum_offset 4
		.amdhsa_reserve_vcc 0
		.amdhsa_float_round_mode_32 0
		.amdhsa_float_round_mode_16_64 0
		.amdhsa_float_denorm_mode_32 3
		.amdhsa_float_denorm_mode_16_64 3
		.amdhsa_dx10_clamp 1
		.amdhsa_ieee_mode 1
		.amdhsa_fp16_overflow 0
		.amdhsa_tg_split 0
		.amdhsa_exception_fp_ieee_invalid_op 0
		.amdhsa_exception_fp_denorm_src 0
		.amdhsa_exception_fp_ieee_div_zero 0
		.amdhsa_exception_fp_ieee_overflow 0
		.amdhsa_exception_fp_ieee_underflow 0
		.amdhsa_exception_fp_ieee_inexact 0
		.amdhsa_exception_int_div_zero 0
	.end_amdhsa_kernel
	.section	.text._ZN7rocprim17ROCPRIM_400000_NS6detail17trampoline_kernelINS0_14default_configENS1_35radix_sort_onesweep_config_selectorIiiEEZNS1_34radix_sort_onesweep_global_offsetsIS3_Lb1EN6thrust23THRUST_200600_302600_NS6detail15normal_iteratorINS8_10device_ptrIiEEEESD_jNS0_19identity_decomposerEEE10hipError_tT1_T2_PT3_SI_jT4_jjP12ihipStream_tbEUlT_E_NS1_11comp_targetILNS1_3genE0ELNS1_11target_archE4294967295ELNS1_3gpuE0ELNS1_3repE0EEENS1_52radix_sort_onesweep_histogram_config_static_selectorELNS0_4arch9wavefront6targetE1EEEvSG_,"axG",@progbits,_ZN7rocprim17ROCPRIM_400000_NS6detail17trampoline_kernelINS0_14default_configENS1_35radix_sort_onesweep_config_selectorIiiEEZNS1_34radix_sort_onesweep_global_offsetsIS3_Lb1EN6thrust23THRUST_200600_302600_NS6detail15normal_iteratorINS8_10device_ptrIiEEEESD_jNS0_19identity_decomposerEEE10hipError_tT1_T2_PT3_SI_jT4_jjP12ihipStream_tbEUlT_E_NS1_11comp_targetILNS1_3genE0ELNS1_11target_archE4294967295ELNS1_3gpuE0ELNS1_3repE0EEENS1_52radix_sort_onesweep_histogram_config_static_selectorELNS0_4arch9wavefront6targetE1EEEvSG_,comdat
.Lfunc_end1819:
	.size	_ZN7rocprim17ROCPRIM_400000_NS6detail17trampoline_kernelINS0_14default_configENS1_35radix_sort_onesweep_config_selectorIiiEEZNS1_34radix_sort_onesweep_global_offsetsIS3_Lb1EN6thrust23THRUST_200600_302600_NS6detail15normal_iteratorINS8_10device_ptrIiEEEESD_jNS0_19identity_decomposerEEE10hipError_tT1_T2_PT3_SI_jT4_jjP12ihipStream_tbEUlT_E_NS1_11comp_targetILNS1_3genE0ELNS1_11target_archE4294967295ELNS1_3gpuE0ELNS1_3repE0EEENS1_52radix_sort_onesweep_histogram_config_static_selectorELNS0_4arch9wavefront6targetE1EEEvSG_, .Lfunc_end1819-_ZN7rocprim17ROCPRIM_400000_NS6detail17trampoline_kernelINS0_14default_configENS1_35radix_sort_onesweep_config_selectorIiiEEZNS1_34radix_sort_onesweep_global_offsetsIS3_Lb1EN6thrust23THRUST_200600_302600_NS6detail15normal_iteratorINS8_10device_ptrIiEEEESD_jNS0_19identity_decomposerEEE10hipError_tT1_T2_PT3_SI_jT4_jjP12ihipStream_tbEUlT_E_NS1_11comp_targetILNS1_3genE0ELNS1_11target_archE4294967295ELNS1_3gpuE0ELNS1_3repE0EEENS1_52radix_sort_onesweep_histogram_config_static_selectorELNS0_4arch9wavefront6targetE1EEEvSG_
                                        ; -- End function
	.set _ZN7rocprim17ROCPRIM_400000_NS6detail17trampoline_kernelINS0_14default_configENS1_35radix_sort_onesweep_config_selectorIiiEEZNS1_34radix_sort_onesweep_global_offsetsIS3_Lb1EN6thrust23THRUST_200600_302600_NS6detail15normal_iteratorINS8_10device_ptrIiEEEESD_jNS0_19identity_decomposerEEE10hipError_tT1_T2_PT3_SI_jT4_jjP12ihipStream_tbEUlT_E_NS1_11comp_targetILNS1_3genE0ELNS1_11target_archE4294967295ELNS1_3gpuE0ELNS1_3repE0EEENS1_52radix_sort_onesweep_histogram_config_static_selectorELNS0_4arch9wavefront6targetE1EEEvSG_.num_vgpr, 0
	.set _ZN7rocprim17ROCPRIM_400000_NS6detail17trampoline_kernelINS0_14default_configENS1_35radix_sort_onesweep_config_selectorIiiEEZNS1_34radix_sort_onesweep_global_offsetsIS3_Lb1EN6thrust23THRUST_200600_302600_NS6detail15normal_iteratorINS8_10device_ptrIiEEEESD_jNS0_19identity_decomposerEEE10hipError_tT1_T2_PT3_SI_jT4_jjP12ihipStream_tbEUlT_E_NS1_11comp_targetILNS1_3genE0ELNS1_11target_archE4294967295ELNS1_3gpuE0ELNS1_3repE0EEENS1_52radix_sort_onesweep_histogram_config_static_selectorELNS0_4arch9wavefront6targetE1EEEvSG_.num_agpr, 0
	.set _ZN7rocprim17ROCPRIM_400000_NS6detail17trampoline_kernelINS0_14default_configENS1_35radix_sort_onesweep_config_selectorIiiEEZNS1_34radix_sort_onesweep_global_offsetsIS3_Lb1EN6thrust23THRUST_200600_302600_NS6detail15normal_iteratorINS8_10device_ptrIiEEEESD_jNS0_19identity_decomposerEEE10hipError_tT1_T2_PT3_SI_jT4_jjP12ihipStream_tbEUlT_E_NS1_11comp_targetILNS1_3genE0ELNS1_11target_archE4294967295ELNS1_3gpuE0ELNS1_3repE0EEENS1_52radix_sort_onesweep_histogram_config_static_selectorELNS0_4arch9wavefront6targetE1EEEvSG_.numbered_sgpr, 0
	.set _ZN7rocprim17ROCPRIM_400000_NS6detail17trampoline_kernelINS0_14default_configENS1_35radix_sort_onesweep_config_selectorIiiEEZNS1_34radix_sort_onesweep_global_offsetsIS3_Lb1EN6thrust23THRUST_200600_302600_NS6detail15normal_iteratorINS8_10device_ptrIiEEEESD_jNS0_19identity_decomposerEEE10hipError_tT1_T2_PT3_SI_jT4_jjP12ihipStream_tbEUlT_E_NS1_11comp_targetILNS1_3genE0ELNS1_11target_archE4294967295ELNS1_3gpuE0ELNS1_3repE0EEENS1_52radix_sort_onesweep_histogram_config_static_selectorELNS0_4arch9wavefront6targetE1EEEvSG_.num_named_barrier, 0
	.set _ZN7rocprim17ROCPRIM_400000_NS6detail17trampoline_kernelINS0_14default_configENS1_35radix_sort_onesweep_config_selectorIiiEEZNS1_34radix_sort_onesweep_global_offsetsIS3_Lb1EN6thrust23THRUST_200600_302600_NS6detail15normal_iteratorINS8_10device_ptrIiEEEESD_jNS0_19identity_decomposerEEE10hipError_tT1_T2_PT3_SI_jT4_jjP12ihipStream_tbEUlT_E_NS1_11comp_targetILNS1_3genE0ELNS1_11target_archE4294967295ELNS1_3gpuE0ELNS1_3repE0EEENS1_52radix_sort_onesweep_histogram_config_static_selectorELNS0_4arch9wavefront6targetE1EEEvSG_.private_seg_size, 0
	.set _ZN7rocprim17ROCPRIM_400000_NS6detail17trampoline_kernelINS0_14default_configENS1_35radix_sort_onesweep_config_selectorIiiEEZNS1_34radix_sort_onesweep_global_offsetsIS3_Lb1EN6thrust23THRUST_200600_302600_NS6detail15normal_iteratorINS8_10device_ptrIiEEEESD_jNS0_19identity_decomposerEEE10hipError_tT1_T2_PT3_SI_jT4_jjP12ihipStream_tbEUlT_E_NS1_11comp_targetILNS1_3genE0ELNS1_11target_archE4294967295ELNS1_3gpuE0ELNS1_3repE0EEENS1_52radix_sort_onesweep_histogram_config_static_selectorELNS0_4arch9wavefront6targetE1EEEvSG_.uses_vcc, 0
	.set _ZN7rocprim17ROCPRIM_400000_NS6detail17trampoline_kernelINS0_14default_configENS1_35radix_sort_onesweep_config_selectorIiiEEZNS1_34radix_sort_onesweep_global_offsetsIS3_Lb1EN6thrust23THRUST_200600_302600_NS6detail15normal_iteratorINS8_10device_ptrIiEEEESD_jNS0_19identity_decomposerEEE10hipError_tT1_T2_PT3_SI_jT4_jjP12ihipStream_tbEUlT_E_NS1_11comp_targetILNS1_3genE0ELNS1_11target_archE4294967295ELNS1_3gpuE0ELNS1_3repE0EEENS1_52radix_sort_onesweep_histogram_config_static_selectorELNS0_4arch9wavefront6targetE1EEEvSG_.uses_flat_scratch, 0
	.set _ZN7rocprim17ROCPRIM_400000_NS6detail17trampoline_kernelINS0_14default_configENS1_35radix_sort_onesweep_config_selectorIiiEEZNS1_34radix_sort_onesweep_global_offsetsIS3_Lb1EN6thrust23THRUST_200600_302600_NS6detail15normal_iteratorINS8_10device_ptrIiEEEESD_jNS0_19identity_decomposerEEE10hipError_tT1_T2_PT3_SI_jT4_jjP12ihipStream_tbEUlT_E_NS1_11comp_targetILNS1_3genE0ELNS1_11target_archE4294967295ELNS1_3gpuE0ELNS1_3repE0EEENS1_52radix_sort_onesweep_histogram_config_static_selectorELNS0_4arch9wavefront6targetE1EEEvSG_.has_dyn_sized_stack, 0
	.set _ZN7rocprim17ROCPRIM_400000_NS6detail17trampoline_kernelINS0_14default_configENS1_35radix_sort_onesweep_config_selectorIiiEEZNS1_34radix_sort_onesweep_global_offsetsIS3_Lb1EN6thrust23THRUST_200600_302600_NS6detail15normal_iteratorINS8_10device_ptrIiEEEESD_jNS0_19identity_decomposerEEE10hipError_tT1_T2_PT3_SI_jT4_jjP12ihipStream_tbEUlT_E_NS1_11comp_targetILNS1_3genE0ELNS1_11target_archE4294967295ELNS1_3gpuE0ELNS1_3repE0EEENS1_52radix_sort_onesweep_histogram_config_static_selectorELNS0_4arch9wavefront6targetE1EEEvSG_.has_recursion, 0
	.set _ZN7rocprim17ROCPRIM_400000_NS6detail17trampoline_kernelINS0_14default_configENS1_35radix_sort_onesweep_config_selectorIiiEEZNS1_34radix_sort_onesweep_global_offsetsIS3_Lb1EN6thrust23THRUST_200600_302600_NS6detail15normal_iteratorINS8_10device_ptrIiEEEESD_jNS0_19identity_decomposerEEE10hipError_tT1_T2_PT3_SI_jT4_jjP12ihipStream_tbEUlT_E_NS1_11comp_targetILNS1_3genE0ELNS1_11target_archE4294967295ELNS1_3gpuE0ELNS1_3repE0EEENS1_52radix_sort_onesweep_histogram_config_static_selectorELNS0_4arch9wavefront6targetE1EEEvSG_.has_indirect_call, 0
	.section	.AMDGPU.csdata,"",@progbits
; Kernel info:
; codeLenInByte = 0
; TotalNumSgprs: 6
; NumVgprs: 0
; NumAgprs: 0
; TotalNumVgprs: 0
; ScratchSize: 0
; MemoryBound: 0
; FloatMode: 240
; IeeeMode: 1
; LDSByteSize: 0 bytes/workgroup (compile time only)
; SGPRBlocks: 0
; VGPRBlocks: 0
; NumSGPRsForWavesPerEU: 6
; NumVGPRsForWavesPerEU: 1
; AccumOffset: 4
; Occupancy: 8
; WaveLimiterHint : 0
; COMPUTE_PGM_RSRC2:SCRATCH_EN: 0
; COMPUTE_PGM_RSRC2:USER_SGPR: 2
; COMPUTE_PGM_RSRC2:TRAP_HANDLER: 0
; COMPUTE_PGM_RSRC2:TGID_X_EN: 1
; COMPUTE_PGM_RSRC2:TGID_Y_EN: 0
; COMPUTE_PGM_RSRC2:TGID_Z_EN: 0
; COMPUTE_PGM_RSRC2:TIDIG_COMP_CNT: 0
; COMPUTE_PGM_RSRC3_GFX90A:ACCUM_OFFSET: 0
; COMPUTE_PGM_RSRC3_GFX90A:TG_SPLIT: 0
	.section	.text._ZN7rocprim17ROCPRIM_400000_NS6detail17trampoline_kernelINS0_14default_configENS1_35radix_sort_onesweep_config_selectorIiiEEZNS1_34radix_sort_onesweep_global_offsetsIS3_Lb1EN6thrust23THRUST_200600_302600_NS6detail15normal_iteratorINS8_10device_ptrIiEEEESD_jNS0_19identity_decomposerEEE10hipError_tT1_T2_PT3_SI_jT4_jjP12ihipStream_tbEUlT_E_NS1_11comp_targetILNS1_3genE6ELNS1_11target_archE950ELNS1_3gpuE13ELNS1_3repE0EEENS1_52radix_sort_onesweep_histogram_config_static_selectorELNS0_4arch9wavefront6targetE1EEEvSG_,"axG",@progbits,_ZN7rocprim17ROCPRIM_400000_NS6detail17trampoline_kernelINS0_14default_configENS1_35radix_sort_onesweep_config_selectorIiiEEZNS1_34radix_sort_onesweep_global_offsetsIS3_Lb1EN6thrust23THRUST_200600_302600_NS6detail15normal_iteratorINS8_10device_ptrIiEEEESD_jNS0_19identity_decomposerEEE10hipError_tT1_T2_PT3_SI_jT4_jjP12ihipStream_tbEUlT_E_NS1_11comp_targetILNS1_3genE6ELNS1_11target_archE950ELNS1_3gpuE13ELNS1_3repE0EEENS1_52radix_sort_onesweep_histogram_config_static_selectorELNS0_4arch9wavefront6targetE1EEEvSG_,comdat
	.protected	_ZN7rocprim17ROCPRIM_400000_NS6detail17trampoline_kernelINS0_14default_configENS1_35radix_sort_onesweep_config_selectorIiiEEZNS1_34radix_sort_onesweep_global_offsetsIS3_Lb1EN6thrust23THRUST_200600_302600_NS6detail15normal_iteratorINS8_10device_ptrIiEEEESD_jNS0_19identity_decomposerEEE10hipError_tT1_T2_PT3_SI_jT4_jjP12ihipStream_tbEUlT_E_NS1_11comp_targetILNS1_3genE6ELNS1_11target_archE950ELNS1_3gpuE13ELNS1_3repE0EEENS1_52radix_sort_onesweep_histogram_config_static_selectorELNS0_4arch9wavefront6targetE1EEEvSG_ ; -- Begin function _ZN7rocprim17ROCPRIM_400000_NS6detail17trampoline_kernelINS0_14default_configENS1_35radix_sort_onesweep_config_selectorIiiEEZNS1_34radix_sort_onesweep_global_offsetsIS3_Lb1EN6thrust23THRUST_200600_302600_NS6detail15normal_iteratorINS8_10device_ptrIiEEEESD_jNS0_19identity_decomposerEEE10hipError_tT1_T2_PT3_SI_jT4_jjP12ihipStream_tbEUlT_E_NS1_11comp_targetILNS1_3genE6ELNS1_11target_archE950ELNS1_3gpuE13ELNS1_3repE0EEENS1_52radix_sort_onesweep_histogram_config_static_selectorELNS0_4arch9wavefront6targetE1EEEvSG_
	.globl	_ZN7rocprim17ROCPRIM_400000_NS6detail17trampoline_kernelINS0_14default_configENS1_35radix_sort_onesweep_config_selectorIiiEEZNS1_34radix_sort_onesweep_global_offsetsIS3_Lb1EN6thrust23THRUST_200600_302600_NS6detail15normal_iteratorINS8_10device_ptrIiEEEESD_jNS0_19identity_decomposerEEE10hipError_tT1_T2_PT3_SI_jT4_jjP12ihipStream_tbEUlT_E_NS1_11comp_targetILNS1_3genE6ELNS1_11target_archE950ELNS1_3gpuE13ELNS1_3repE0EEENS1_52radix_sort_onesweep_histogram_config_static_selectorELNS0_4arch9wavefront6targetE1EEEvSG_
	.p2align	8
	.type	_ZN7rocprim17ROCPRIM_400000_NS6detail17trampoline_kernelINS0_14default_configENS1_35radix_sort_onesweep_config_selectorIiiEEZNS1_34radix_sort_onesweep_global_offsetsIS3_Lb1EN6thrust23THRUST_200600_302600_NS6detail15normal_iteratorINS8_10device_ptrIiEEEESD_jNS0_19identity_decomposerEEE10hipError_tT1_T2_PT3_SI_jT4_jjP12ihipStream_tbEUlT_E_NS1_11comp_targetILNS1_3genE6ELNS1_11target_archE950ELNS1_3gpuE13ELNS1_3repE0EEENS1_52radix_sort_onesweep_histogram_config_static_selectorELNS0_4arch9wavefront6targetE1EEEvSG_,@function
_ZN7rocprim17ROCPRIM_400000_NS6detail17trampoline_kernelINS0_14default_configENS1_35radix_sort_onesweep_config_selectorIiiEEZNS1_34radix_sort_onesweep_global_offsetsIS3_Lb1EN6thrust23THRUST_200600_302600_NS6detail15normal_iteratorINS8_10device_ptrIiEEEESD_jNS0_19identity_decomposerEEE10hipError_tT1_T2_PT3_SI_jT4_jjP12ihipStream_tbEUlT_E_NS1_11comp_targetILNS1_3genE6ELNS1_11target_archE950ELNS1_3gpuE13ELNS1_3repE0EEENS1_52radix_sort_onesweep_histogram_config_static_selectorELNS0_4arch9wavefront6targetE1EEEvSG_: ; @_ZN7rocprim17ROCPRIM_400000_NS6detail17trampoline_kernelINS0_14default_configENS1_35radix_sort_onesweep_config_selectorIiiEEZNS1_34radix_sort_onesweep_global_offsetsIS3_Lb1EN6thrust23THRUST_200600_302600_NS6detail15normal_iteratorINS8_10device_ptrIiEEEESD_jNS0_19identity_decomposerEEE10hipError_tT1_T2_PT3_SI_jT4_jjP12ihipStream_tbEUlT_E_NS1_11comp_targetILNS1_3genE6ELNS1_11target_archE950ELNS1_3gpuE13ELNS1_3repE0EEENS1_52radix_sort_onesweep_histogram_config_static_selectorELNS0_4arch9wavefront6targetE1EEEvSG_
; %bb.0:
	s_load_dword s11, s[0:1], 0x14
	s_load_dwordx4 s[4:7], s[0:1], 0x0
	s_load_dwordx2 s[8:9], s[0:1], 0x1c
	s_lshl_b32 s10, s2, 14
	s_waitcnt lgkmcnt(0)
	s_cmp_ge_u32 s2, s11
	s_mov_b64 s[2:3], -1
	s_cbranch_scc0 .LBB1820_311
; %bb.1:
	s_load_dword s2, s[0:1], 0x10
	s_lshl_b32 s3, s11, 14
	s_mov_b32 s11, 0
	s_lshl_b64 s[0:1], s[10:11], 2
                                        ; implicit-def: $vgpr32
	s_waitcnt lgkmcnt(0)
	s_sub_i32 s11, s2, s3
	s_add_u32 s0, s4, s0
	s_addc_u32 s1, s5, s1
	v_cmp_gt_u32_e32 vcc, s11, v0
	s_and_saveexec_b64 s[2:3], vcc
	s_cbranch_execz .LBB1820_3
; %bb.2:
	v_lshlrev_b32_e32 v1, 2, v0
	global_load_dword v1, v1, s[0:1]
	s_waitcnt vmcnt(0)
	v_xor_b32_e32 v32, 0x7fffffff, v1
.LBB1820_3:
	s_or_b64 exec, exec, s[2:3]
	v_or_b32_e32 v33, 0x400, v0
	v_cmp_gt_u32_e32 vcc, s11, v33
                                        ; implicit-def: $vgpr31
	s_and_saveexec_b64 s[2:3], vcc
	s_cbranch_execz .LBB1820_5
; %bb.4:
	v_lshlrev_b32_e32 v1, 2, v33
	global_load_dword v1, v1, s[0:1]
	s_waitcnt vmcnt(0)
	v_xor_b32_e32 v31, 0x7fffffff, v1
.LBB1820_5:
	s_or_b64 exec, exec, s[2:3]
	v_or_b32_e32 v30, 0x800, v0
	v_cmp_gt_u32_e32 vcc, s11, v30
                                        ; implicit-def: $vgpr29
	s_and_saveexec_b64 s[2:3], vcc
	s_cbranch_execz .LBB1820_7
; %bb.6:
	v_lshlrev_b32_e32 v1, 2, v30
	global_load_dword v1, v1, s[0:1]
	s_waitcnt vmcnt(0)
	v_xor_b32_e32 v29, 0x7fffffff, v1
.LBB1820_7:
	s_or_b64 exec, exec, s[2:3]
	v_or_b32_e32 v28, 0xc00, v0
	v_cmp_gt_u32_e32 vcc, s11, v28
                                        ; implicit-def: $vgpr27
	s_and_saveexec_b64 s[2:3], vcc
	s_cbranch_execz .LBB1820_9
; %bb.8:
	v_lshlrev_b32_e32 v1, 2, v28
	global_load_dword v1, v1, s[0:1]
	s_waitcnt vmcnt(0)
	v_xor_b32_e32 v27, 0x7fffffff, v1
.LBB1820_9:
	s_or_b64 exec, exec, s[2:3]
	v_or_b32_e32 v26, 0x1000, v0
	v_cmp_gt_u32_e32 vcc, s11, v26
                                        ; implicit-def: $vgpr25
	s_and_saveexec_b64 s[2:3], vcc
	s_cbranch_execz .LBB1820_11
; %bb.10:
	v_lshlrev_b32_e32 v1, 2, v26
	global_load_dword v1, v1, s[0:1]
	s_waitcnt vmcnt(0)
	v_xor_b32_e32 v25, 0x7fffffff, v1
.LBB1820_11:
	s_or_b64 exec, exec, s[2:3]
	v_or_b32_e32 v24, 0x1400, v0
	v_cmp_gt_u32_e32 vcc, s11, v24
                                        ; implicit-def: $vgpr23
	s_and_saveexec_b64 s[2:3], vcc
	s_cbranch_execz .LBB1820_13
; %bb.12:
	v_lshlrev_b32_e32 v1, 2, v24
	global_load_dword v1, v1, s[0:1]
	s_waitcnt vmcnt(0)
	v_xor_b32_e32 v23, 0x7fffffff, v1
.LBB1820_13:
	s_or_b64 exec, exec, s[2:3]
	v_or_b32_e32 v22, 0x1800, v0
	v_cmp_gt_u32_e32 vcc, s11, v22
                                        ; implicit-def: $vgpr21
	s_and_saveexec_b64 s[2:3], vcc
	s_cbranch_execz .LBB1820_15
; %bb.14:
	v_lshlrev_b32_e32 v1, 2, v22
	global_load_dword v1, v1, s[0:1]
	s_waitcnt vmcnt(0)
	v_xor_b32_e32 v21, 0x7fffffff, v1
.LBB1820_15:
	s_or_b64 exec, exec, s[2:3]
	v_or_b32_e32 v20, 0x1c00, v0
	v_cmp_gt_u32_e32 vcc, s11, v20
                                        ; implicit-def: $vgpr19
	s_and_saveexec_b64 s[2:3], vcc
	s_cbranch_execz .LBB1820_17
; %bb.16:
	v_lshlrev_b32_e32 v1, 2, v20
	global_load_dword v1, v1, s[0:1]
	s_waitcnt vmcnt(0)
	v_xor_b32_e32 v19, 0x7fffffff, v1
.LBB1820_17:
	s_or_b64 exec, exec, s[2:3]
	v_or_b32_e32 v18, 0x2000, v0
	v_cmp_gt_u32_e32 vcc, s11, v18
                                        ; implicit-def: $vgpr17
	s_and_saveexec_b64 s[2:3], vcc
	s_cbranch_execz .LBB1820_19
; %bb.18:
	v_lshlrev_b32_e32 v1, 2, v18
	global_load_dword v1, v1, s[0:1]
	s_waitcnt vmcnt(0)
	v_xor_b32_e32 v17, 0x7fffffff, v1
.LBB1820_19:
	s_or_b64 exec, exec, s[2:3]
	v_or_b32_e32 v16, 0x2400, v0
	v_cmp_gt_u32_e32 vcc, s11, v16
                                        ; implicit-def: $vgpr15
	s_and_saveexec_b64 s[2:3], vcc
	s_cbranch_execz .LBB1820_21
; %bb.20:
	v_lshlrev_b32_e32 v1, 2, v16
	global_load_dword v1, v1, s[0:1]
	s_waitcnt vmcnt(0)
	v_xor_b32_e32 v15, 0x7fffffff, v1
.LBB1820_21:
	s_or_b64 exec, exec, s[2:3]
	v_or_b32_e32 v14, 0x2800, v0
	v_cmp_gt_u32_e32 vcc, s11, v14
                                        ; implicit-def: $vgpr13
	s_and_saveexec_b64 s[2:3], vcc
	s_cbranch_execz .LBB1820_23
; %bb.22:
	v_lshlrev_b32_e32 v1, 2, v14
	global_load_dword v1, v1, s[0:1]
	s_waitcnt vmcnt(0)
	v_xor_b32_e32 v13, 0x7fffffff, v1
.LBB1820_23:
	s_or_b64 exec, exec, s[2:3]
	v_or_b32_e32 v12, 0x2c00, v0
	v_cmp_gt_u32_e32 vcc, s11, v12
                                        ; implicit-def: $vgpr11
	s_and_saveexec_b64 s[2:3], vcc
	s_cbranch_execz .LBB1820_25
; %bb.24:
	v_lshlrev_b32_e32 v1, 2, v12
	global_load_dword v1, v1, s[0:1]
	s_waitcnt vmcnt(0)
	v_xor_b32_e32 v11, 0x7fffffff, v1
.LBB1820_25:
	s_or_b64 exec, exec, s[2:3]
	v_or_b32_e32 v10, 0x3000, v0
	v_cmp_gt_u32_e32 vcc, s11, v10
                                        ; implicit-def: $vgpr9
	s_and_saveexec_b64 s[2:3], vcc
	s_cbranch_execz .LBB1820_27
; %bb.26:
	v_lshlrev_b32_e32 v1, 2, v10
	global_load_dword v1, v1, s[0:1]
	s_waitcnt vmcnt(0)
	v_xor_b32_e32 v9, 0x7fffffff, v1
.LBB1820_27:
	s_or_b64 exec, exec, s[2:3]
	v_or_b32_e32 v8, 0x3400, v0
	v_cmp_gt_u32_e32 vcc, s11, v8
                                        ; implicit-def: $vgpr7
	s_and_saveexec_b64 s[2:3], vcc
	s_cbranch_execz .LBB1820_29
; %bb.28:
	v_lshlrev_b32_e32 v1, 2, v8
	global_load_dword v1, v1, s[0:1]
	s_waitcnt vmcnt(0)
	v_xor_b32_e32 v7, 0x7fffffff, v1
.LBB1820_29:
	s_or_b64 exec, exec, s[2:3]
	v_or_b32_e32 v6, 0x3800, v0
	v_cmp_gt_u32_e32 vcc, s11, v6
                                        ; implicit-def: $vgpr5
	s_and_saveexec_b64 s[2:3], vcc
	s_cbranch_execz .LBB1820_31
; %bb.30:
	v_lshlrev_b32_e32 v1, 2, v6
	global_load_dword v1, v1, s[0:1]
	s_waitcnt vmcnt(0)
	v_xor_b32_e32 v5, 0x7fffffff, v1
.LBB1820_31:
	s_or_b64 exec, exec, s[2:3]
	v_or_b32_e32 v4, 0x3c00, v0
	v_cmp_gt_u32_e32 vcc, s11, v4
                                        ; implicit-def: $vgpr2
	s_and_saveexec_b64 s[2:3], vcc
	s_cbranch_execz .LBB1820_33
; %bb.32:
	v_lshlrev_b32_e32 v1, 2, v4
	global_load_dword v1, v1, s[0:1]
	s_waitcnt vmcnt(0)
	v_xor_b32_e32 v2, 0x7fffffff, v1
.LBB1820_33:
	s_or_b64 exec, exec, s[2:3]
	s_cmp_ge_u32 s8, s9
	s_cselect_b64 s[2:3], -1, 0
	s_and_b64 s[0:1], s[2:3], exec
	v_lshlrev_b32_e32 v1, 2, v0
	v_mov_b32_e32 v34, 0
	v_cmp_le_u32_e32 vcc, s11, v0
	s_cselect_b32 s18, 8, 10
	v_and_b32_e32 v3, 3, v0
	ds_write2st64_b32 v1, v34, v34 offset1:16
	ds_write2st64_b32 v1, v34, v34 offset0:32 offset1:48
	s_nor_b64 s[12:13], s[2:3], vcc
	v_mov_b32_e32 v34, s18
	s_waitcnt lgkmcnt(0)
	s_barrier
	s_and_saveexec_b64 s[0:1], s[12:13]
	s_cbranch_execz .LBB1820_35
; %bb.34:
	s_sub_i32 s12, s9, s8
	s_min_u32 s12, s12, 8
	v_lshrrev_b32_e32 v34, s8, v32
	v_bfe_u32 v34, v34, 0, s12
	v_lshlrev_b32_e32 v35, 2, v3
	v_lshl_or_b32 v34, v34, 4, v35
	v_mov_b32_e32 v35, 1
	ds_add_u32 v34, v35
	v_mov_b32_e32 v34, 0
.LBB1820_35:
	s_or_b64 exec, exec, s[0:1]
	v_cmp_gt_i32_e64 s[0:1], 10, v34
	s_mov_b64 s[14:15], -1
	s_and_saveexec_b64 s[12:13], s[0:1]
; %bb.36:
	v_cmp_eq_u32_e64 s[0:1], 0, v34
	s_orn2_b64 s[14:15], s[0:1], exec
; %bb.37:
	s_or_b64 exec, exec, s[12:13]
	s_and_saveexec_b64 s[12:13], s[14:15]
	s_cbranch_execz .LBB1820_50
; %bb.38:
	s_add_i32 s14, s8, 8
	s_cmp_le_u32 s9, s14
	s_cselect_b64 s[0:1], -1, 0
	s_and_b64 s[16:17], s[0:1], exec
	s_cselect_b32 s15, 8, 10
	s_nor_b64 s[16:17], s[0:1], vcc
	v_mov_b32_e32 v34, s15
	s_and_saveexec_b64 s[0:1], s[16:17]
	s_cbranch_execz .LBB1820_40
; %bb.39:
	s_sub_i32 s15, s9, s14
	s_min_u32 s15, s15, 8
	v_lshrrev_b32_e32 v34, s14, v32
	v_bfe_u32 v34, v34, 0, s15
	v_lshlrev_b32_e32 v35, 2, v3
	v_lshl_or_b32 v34, v34, 4, v35
	v_mov_b32_e32 v35, 1
	ds_add_u32 v34, v35 offset:4096
	v_mov_b32_e32 v34, 0
.LBB1820_40:
	s_or_b64 exec, exec, s[0:1]
	v_cmp_gt_i32_e64 s[0:1], 10, v34
	s_mov_b64 s[14:15], -1
	s_and_saveexec_b64 s[16:17], s[0:1]
; %bb.41:
	v_cmp_eq_u32_e64 s[0:1], 0, v34
	s_orn2_b64 s[14:15], s[0:1], exec
; %bb.42:
	s_or_b64 exec, exec, s[16:17]
	s_and_b64 exec, exec, s[14:15]
	s_cbranch_execz .LBB1820_50
; %bb.43:
	s_add_i32 s14, s8, 16
	s_cmp_le_u32 s9, s14
	s_cselect_b64 s[0:1], -1, 0
	s_and_b64 s[16:17], s[0:1], exec
	s_cselect_b32 s15, 8, 10
	s_nor_b64 s[16:17], s[0:1], vcc
	v_mov_b32_e32 v34, s15
	s_and_saveexec_b64 s[0:1], s[16:17]
	s_cbranch_execz .LBB1820_45
; %bb.44:
	s_sub_i32 s15, s9, s14
	s_min_u32 s15, s15, 8
	v_lshrrev_b32_e32 v34, s14, v32
	v_bfe_u32 v34, v34, 0, s15
	v_lshlrev_b32_e32 v35, 2, v3
	v_lshl_or_b32 v34, v34, 4, v35
	v_mov_b32_e32 v35, 1
	ds_add_u32 v34, v35 offset:8192
	v_mov_b32_e32 v34, 0
.LBB1820_45:
	s_or_b64 exec, exec, s[0:1]
	v_cmp_gt_i32_e64 s[0:1], 10, v34
	s_mov_b64 s[14:15], -1
	s_and_saveexec_b64 s[16:17], s[0:1]
; %bb.46:
	v_cmp_eq_u32_e64 s[0:1], 0, v34
	s_orn2_b64 s[14:15], s[0:1], exec
; %bb.47:
	s_or_b64 exec, exec, s[16:17]
	s_and_b64 exec, exec, s[14:15]
	s_cbranch_execz .LBB1820_50
; %bb.48:
	s_add_i32 s0, s8, 24
	s_cmp_gt_u32 s9, s0
	s_cselect_b64 s[14:15], -1, 0
	s_xor_b64 s[16:17], vcc, -1
	s_and_b64 s[14:15], s[14:15], s[16:17]
	s_and_b64 exec, exec, s[14:15]
	s_cbranch_execz .LBB1820_50
; %bb.49:
	s_sub_i32 s1, s9, s0
	s_min_u32 s1, s1, 8
	v_lshrrev_b32_e32 v32, s0, v32
	v_bfe_u32 v32, v32, 0, s1
	v_lshlrev_b32_e32 v34, 2, v3
	v_lshl_or_b32 v32, v32, 4, v34
	v_mov_b32_e32 v34, 1
	ds_add_u32 v32, v34 offset:12288
.LBB1820_50:
	s_or_b64 exec, exec, s[12:13]
	v_cmp_le_u32_e32 vcc, s11, v33
	s_nor_b64 s[12:13], s[2:3], vcc
	v_mov_b32_e32 v32, s18
	s_and_saveexec_b64 s[0:1], s[12:13]
	s_cbranch_execz .LBB1820_52
; %bb.51:
	s_sub_i32 s12, s9, s8
	s_min_u32 s12, s12, 8
	v_lshrrev_b32_e32 v32, s8, v31
	v_bfe_u32 v32, v32, 0, s12
	v_lshlrev_b32_e32 v33, 2, v3
	v_lshl_or_b32 v32, v32, 4, v33
	v_mov_b32_e32 v33, 1
	ds_add_u32 v32, v33
	v_mov_b32_e32 v32, 0
.LBB1820_52:
	s_or_b64 exec, exec, s[0:1]
	v_cmp_gt_i32_e64 s[0:1], 10, v32
	s_mov_b64 s[14:15], -1
	s_and_saveexec_b64 s[12:13], s[0:1]
; %bb.53:
	v_cmp_eq_u32_e64 s[0:1], 0, v32
	s_orn2_b64 s[14:15], s[0:1], exec
; %bb.54:
	s_or_b64 exec, exec, s[12:13]
	s_and_saveexec_b64 s[12:13], s[14:15]
	s_cbranch_execz .LBB1820_67
; %bb.55:
	s_add_i32 s14, s8, 8
	s_cmp_le_u32 s9, s14
	s_cselect_b64 s[0:1], -1, 0
	s_and_b64 s[16:17], s[0:1], exec
	s_cselect_b32 s15, 8, 10
	s_nor_b64 s[16:17], s[0:1], vcc
	v_mov_b32_e32 v32, s15
	s_and_saveexec_b64 s[0:1], s[16:17]
	s_cbranch_execz .LBB1820_57
; %bb.56:
	s_sub_i32 s15, s9, s14
	s_min_u32 s15, s15, 8
	v_lshrrev_b32_e32 v32, s14, v31
	v_bfe_u32 v32, v32, 0, s15
	v_lshlrev_b32_e32 v33, 2, v3
	v_lshl_or_b32 v32, v32, 4, v33
	v_mov_b32_e32 v33, 1
	ds_add_u32 v32, v33 offset:4096
	v_mov_b32_e32 v32, 0
.LBB1820_57:
	s_or_b64 exec, exec, s[0:1]
	v_cmp_gt_i32_e64 s[0:1], 10, v32
	s_mov_b64 s[14:15], -1
	s_and_saveexec_b64 s[16:17], s[0:1]
; %bb.58:
	v_cmp_eq_u32_e64 s[0:1], 0, v32
	s_orn2_b64 s[14:15], s[0:1], exec
; %bb.59:
	s_or_b64 exec, exec, s[16:17]
	s_and_b64 exec, exec, s[14:15]
	s_cbranch_execz .LBB1820_67
; %bb.60:
	s_add_i32 s14, s8, 16
	s_cmp_le_u32 s9, s14
	s_cselect_b64 s[0:1], -1, 0
	s_and_b64 s[16:17], s[0:1], exec
	s_cselect_b32 s15, 8, 10
	s_nor_b64 s[16:17], s[0:1], vcc
	v_mov_b32_e32 v32, s15
	s_and_saveexec_b64 s[0:1], s[16:17]
	s_cbranch_execz .LBB1820_62
; %bb.61:
	s_sub_i32 s15, s9, s14
	s_min_u32 s15, s15, 8
	v_lshrrev_b32_e32 v32, s14, v31
	v_bfe_u32 v32, v32, 0, s15
	v_lshlrev_b32_e32 v33, 2, v3
	v_lshl_or_b32 v32, v32, 4, v33
	v_mov_b32_e32 v33, 1
	ds_add_u32 v32, v33 offset:8192
	v_mov_b32_e32 v32, 0
.LBB1820_62:
	s_or_b64 exec, exec, s[0:1]
	v_cmp_gt_i32_e64 s[0:1], 10, v32
	s_mov_b64 s[14:15], -1
	s_and_saveexec_b64 s[16:17], s[0:1]
; %bb.63:
	v_cmp_eq_u32_e64 s[0:1], 0, v32
	s_orn2_b64 s[14:15], s[0:1], exec
; %bb.64:
	s_or_b64 exec, exec, s[16:17]
	s_and_b64 exec, exec, s[14:15]
	s_cbranch_execz .LBB1820_67
; %bb.65:
	s_add_i32 s0, s8, 24
	s_cmp_gt_u32 s9, s0
	s_cselect_b64 s[14:15], -1, 0
	s_xor_b64 s[16:17], vcc, -1
	s_and_b64 s[14:15], s[14:15], s[16:17]
	s_and_b64 exec, exec, s[14:15]
	s_cbranch_execz .LBB1820_67
; %bb.66:
	s_sub_i32 s1, s9, s0
	s_min_u32 s1, s1, 8
	v_lshrrev_b32_e32 v31, s0, v31
	v_bfe_u32 v31, v31, 0, s1
	v_lshlrev_b32_e32 v32, 2, v3
	v_lshl_or_b32 v31, v31, 4, v32
	v_mov_b32_e32 v32, 1
	ds_add_u32 v31, v32 offset:12288
.LBB1820_67:
	s_or_b64 exec, exec, s[12:13]
	v_cmp_le_u32_e32 vcc, s11, v30
	s_nor_b64 s[12:13], s[2:3], vcc
	v_mov_b32_e32 v30, s18
	s_and_saveexec_b64 s[0:1], s[12:13]
	s_cbranch_execz .LBB1820_69
; %bb.68:
	s_sub_i32 s12, s9, s8
	s_min_u32 s12, s12, 8
	v_lshrrev_b32_e32 v30, s8, v29
	v_bfe_u32 v30, v30, 0, s12
	v_lshlrev_b32_e32 v31, 2, v3
	v_lshl_or_b32 v30, v30, 4, v31
	v_mov_b32_e32 v31, 1
	ds_add_u32 v30, v31
	v_mov_b32_e32 v30, 0
.LBB1820_69:
	s_or_b64 exec, exec, s[0:1]
	v_cmp_gt_i32_e64 s[0:1], 10, v30
	s_mov_b64 s[14:15], -1
	s_and_saveexec_b64 s[12:13], s[0:1]
; %bb.70:
	v_cmp_eq_u32_e64 s[0:1], 0, v30
	s_orn2_b64 s[14:15], s[0:1], exec
; %bb.71:
	s_or_b64 exec, exec, s[12:13]
	s_and_saveexec_b64 s[12:13], s[14:15]
	s_cbranch_execz .LBB1820_84
; %bb.72:
	s_add_i32 s14, s8, 8
	s_cmp_le_u32 s9, s14
	s_cselect_b64 s[0:1], -1, 0
	s_and_b64 s[16:17], s[0:1], exec
	s_cselect_b32 s15, 8, 10
	s_nor_b64 s[16:17], s[0:1], vcc
	v_mov_b32_e32 v30, s15
	s_and_saveexec_b64 s[0:1], s[16:17]
	s_cbranch_execz .LBB1820_74
; %bb.73:
	s_sub_i32 s15, s9, s14
	s_min_u32 s15, s15, 8
	v_lshrrev_b32_e32 v30, s14, v29
	v_bfe_u32 v30, v30, 0, s15
	v_lshlrev_b32_e32 v31, 2, v3
	v_lshl_or_b32 v30, v30, 4, v31
	v_mov_b32_e32 v31, 1
	ds_add_u32 v30, v31 offset:4096
	v_mov_b32_e32 v30, 0
.LBB1820_74:
	s_or_b64 exec, exec, s[0:1]
	v_cmp_gt_i32_e64 s[0:1], 10, v30
	s_mov_b64 s[14:15], -1
	s_and_saveexec_b64 s[16:17], s[0:1]
; %bb.75:
	v_cmp_eq_u32_e64 s[0:1], 0, v30
	s_orn2_b64 s[14:15], s[0:1], exec
; %bb.76:
	s_or_b64 exec, exec, s[16:17]
	s_and_b64 exec, exec, s[14:15]
	s_cbranch_execz .LBB1820_84
; %bb.77:
	s_add_i32 s14, s8, 16
	s_cmp_le_u32 s9, s14
	s_cselect_b64 s[0:1], -1, 0
	s_and_b64 s[16:17], s[0:1], exec
	s_cselect_b32 s15, 8, 10
	s_nor_b64 s[16:17], s[0:1], vcc
	v_mov_b32_e32 v30, s15
	s_and_saveexec_b64 s[0:1], s[16:17]
	s_cbranch_execz .LBB1820_79
; %bb.78:
	s_sub_i32 s15, s9, s14
	s_min_u32 s15, s15, 8
	v_lshrrev_b32_e32 v30, s14, v29
	v_bfe_u32 v30, v30, 0, s15
	v_lshlrev_b32_e32 v31, 2, v3
	v_lshl_or_b32 v30, v30, 4, v31
	v_mov_b32_e32 v31, 1
	ds_add_u32 v30, v31 offset:8192
	v_mov_b32_e32 v30, 0
.LBB1820_79:
	s_or_b64 exec, exec, s[0:1]
	v_cmp_gt_i32_e64 s[0:1], 10, v30
	s_mov_b64 s[14:15], -1
	s_and_saveexec_b64 s[16:17], s[0:1]
; %bb.80:
	v_cmp_eq_u32_e64 s[0:1], 0, v30
	s_orn2_b64 s[14:15], s[0:1], exec
; %bb.81:
	s_or_b64 exec, exec, s[16:17]
	s_and_b64 exec, exec, s[14:15]
	s_cbranch_execz .LBB1820_84
; %bb.82:
	s_add_i32 s0, s8, 24
	s_cmp_gt_u32 s9, s0
	s_cselect_b64 s[14:15], -1, 0
	s_xor_b64 s[16:17], vcc, -1
	s_and_b64 s[14:15], s[14:15], s[16:17]
	s_and_b64 exec, exec, s[14:15]
	s_cbranch_execz .LBB1820_84
; %bb.83:
	s_sub_i32 s1, s9, s0
	s_min_u32 s1, s1, 8
	v_lshrrev_b32_e32 v29, s0, v29
	v_bfe_u32 v29, v29, 0, s1
	v_lshlrev_b32_e32 v30, 2, v3
	v_lshl_or_b32 v29, v29, 4, v30
	v_mov_b32_e32 v30, 1
	ds_add_u32 v29, v30 offset:12288
.LBB1820_84:
	s_or_b64 exec, exec, s[12:13]
	v_cmp_le_u32_e32 vcc, s11, v28
	s_nor_b64 s[12:13], s[2:3], vcc
	v_mov_b32_e32 v28, s18
	s_and_saveexec_b64 s[0:1], s[12:13]
	s_cbranch_execz .LBB1820_86
; %bb.85:
	s_sub_i32 s12, s9, s8
	s_min_u32 s12, s12, 8
	v_lshrrev_b32_e32 v28, s8, v27
	v_bfe_u32 v28, v28, 0, s12
	v_lshlrev_b32_e32 v29, 2, v3
	v_lshl_or_b32 v28, v28, 4, v29
	v_mov_b32_e32 v29, 1
	ds_add_u32 v28, v29
	v_mov_b32_e32 v28, 0
.LBB1820_86:
	s_or_b64 exec, exec, s[0:1]
	v_cmp_gt_i32_e64 s[0:1], 10, v28
	s_mov_b64 s[14:15], -1
	s_and_saveexec_b64 s[12:13], s[0:1]
; %bb.87:
	v_cmp_eq_u32_e64 s[0:1], 0, v28
	s_orn2_b64 s[14:15], s[0:1], exec
; %bb.88:
	s_or_b64 exec, exec, s[12:13]
	s_and_saveexec_b64 s[12:13], s[14:15]
	s_cbranch_execz .LBB1820_101
; %bb.89:
	s_add_i32 s14, s8, 8
	s_cmp_le_u32 s9, s14
	s_cselect_b64 s[0:1], -1, 0
	s_and_b64 s[16:17], s[0:1], exec
	s_cselect_b32 s15, 8, 10
	s_nor_b64 s[16:17], s[0:1], vcc
	v_mov_b32_e32 v28, s15
	s_and_saveexec_b64 s[0:1], s[16:17]
	s_cbranch_execz .LBB1820_91
; %bb.90:
	s_sub_i32 s15, s9, s14
	s_min_u32 s15, s15, 8
	v_lshrrev_b32_e32 v28, s14, v27
	v_bfe_u32 v28, v28, 0, s15
	v_lshlrev_b32_e32 v29, 2, v3
	v_lshl_or_b32 v28, v28, 4, v29
	v_mov_b32_e32 v29, 1
	ds_add_u32 v28, v29 offset:4096
	v_mov_b32_e32 v28, 0
.LBB1820_91:
	s_or_b64 exec, exec, s[0:1]
	v_cmp_gt_i32_e64 s[0:1], 10, v28
	s_mov_b64 s[14:15], -1
	s_and_saveexec_b64 s[16:17], s[0:1]
; %bb.92:
	v_cmp_eq_u32_e64 s[0:1], 0, v28
	s_orn2_b64 s[14:15], s[0:1], exec
; %bb.93:
	s_or_b64 exec, exec, s[16:17]
	s_and_b64 exec, exec, s[14:15]
	s_cbranch_execz .LBB1820_101
; %bb.94:
	s_add_i32 s14, s8, 16
	s_cmp_le_u32 s9, s14
	s_cselect_b64 s[0:1], -1, 0
	s_and_b64 s[16:17], s[0:1], exec
	s_cselect_b32 s15, 8, 10
	s_nor_b64 s[16:17], s[0:1], vcc
	v_mov_b32_e32 v28, s15
	s_and_saveexec_b64 s[0:1], s[16:17]
	s_cbranch_execz .LBB1820_96
; %bb.95:
	s_sub_i32 s15, s9, s14
	s_min_u32 s15, s15, 8
	v_lshrrev_b32_e32 v28, s14, v27
	v_bfe_u32 v28, v28, 0, s15
	v_lshlrev_b32_e32 v29, 2, v3
	v_lshl_or_b32 v28, v28, 4, v29
	v_mov_b32_e32 v29, 1
	ds_add_u32 v28, v29 offset:8192
	v_mov_b32_e32 v28, 0
.LBB1820_96:
	s_or_b64 exec, exec, s[0:1]
	v_cmp_gt_i32_e64 s[0:1], 10, v28
	s_mov_b64 s[14:15], -1
	s_and_saveexec_b64 s[16:17], s[0:1]
; %bb.97:
	v_cmp_eq_u32_e64 s[0:1], 0, v28
	s_orn2_b64 s[14:15], s[0:1], exec
; %bb.98:
	s_or_b64 exec, exec, s[16:17]
	s_and_b64 exec, exec, s[14:15]
	s_cbranch_execz .LBB1820_101
; %bb.99:
	s_add_i32 s0, s8, 24
	s_cmp_gt_u32 s9, s0
	s_cselect_b64 s[14:15], -1, 0
	s_xor_b64 s[16:17], vcc, -1
	s_and_b64 s[14:15], s[14:15], s[16:17]
	s_and_b64 exec, exec, s[14:15]
	s_cbranch_execz .LBB1820_101
; %bb.100:
	s_sub_i32 s1, s9, s0
	s_min_u32 s1, s1, 8
	v_lshrrev_b32_e32 v27, s0, v27
	v_bfe_u32 v27, v27, 0, s1
	v_lshlrev_b32_e32 v28, 2, v3
	v_lshl_or_b32 v27, v27, 4, v28
	v_mov_b32_e32 v28, 1
	ds_add_u32 v27, v28 offset:12288
.LBB1820_101:
	s_or_b64 exec, exec, s[12:13]
	v_cmp_le_u32_e32 vcc, s11, v26
	s_nor_b64 s[12:13], s[2:3], vcc
	v_mov_b32_e32 v26, s18
	s_and_saveexec_b64 s[0:1], s[12:13]
	s_cbranch_execz .LBB1820_103
; %bb.102:
	s_sub_i32 s12, s9, s8
	s_min_u32 s12, s12, 8
	v_lshrrev_b32_e32 v26, s8, v25
	v_bfe_u32 v26, v26, 0, s12
	v_lshlrev_b32_e32 v27, 2, v3
	v_lshl_or_b32 v26, v26, 4, v27
	v_mov_b32_e32 v27, 1
	ds_add_u32 v26, v27
	v_mov_b32_e32 v26, 0
.LBB1820_103:
	s_or_b64 exec, exec, s[0:1]
	v_cmp_gt_i32_e64 s[0:1], 10, v26
	s_mov_b64 s[14:15], -1
	s_and_saveexec_b64 s[12:13], s[0:1]
; %bb.104:
	v_cmp_eq_u32_e64 s[0:1], 0, v26
	s_orn2_b64 s[14:15], s[0:1], exec
; %bb.105:
	s_or_b64 exec, exec, s[12:13]
	s_and_saveexec_b64 s[12:13], s[14:15]
	s_cbranch_execz .LBB1820_118
; %bb.106:
	s_add_i32 s14, s8, 8
	s_cmp_le_u32 s9, s14
	s_cselect_b64 s[0:1], -1, 0
	s_and_b64 s[16:17], s[0:1], exec
	s_cselect_b32 s15, 8, 10
	s_nor_b64 s[16:17], s[0:1], vcc
	v_mov_b32_e32 v26, s15
	s_and_saveexec_b64 s[0:1], s[16:17]
	s_cbranch_execz .LBB1820_108
; %bb.107:
	s_sub_i32 s15, s9, s14
	s_min_u32 s15, s15, 8
	v_lshrrev_b32_e32 v26, s14, v25
	v_bfe_u32 v26, v26, 0, s15
	v_lshlrev_b32_e32 v27, 2, v3
	v_lshl_or_b32 v26, v26, 4, v27
	v_mov_b32_e32 v27, 1
	ds_add_u32 v26, v27 offset:4096
	v_mov_b32_e32 v26, 0
.LBB1820_108:
	s_or_b64 exec, exec, s[0:1]
	v_cmp_gt_i32_e64 s[0:1], 10, v26
	s_mov_b64 s[14:15], -1
	s_and_saveexec_b64 s[16:17], s[0:1]
; %bb.109:
	v_cmp_eq_u32_e64 s[0:1], 0, v26
	s_orn2_b64 s[14:15], s[0:1], exec
; %bb.110:
	s_or_b64 exec, exec, s[16:17]
	s_and_b64 exec, exec, s[14:15]
	s_cbranch_execz .LBB1820_118
; %bb.111:
	s_add_i32 s14, s8, 16
	s_cmp_le_u32 s9, s14
	s_cselect_b64 s[0:1], -1, 0
	s_and_b64 s[16:17], s[0:1], exec
	s_cselect_b32 s15, 8, 10
	s_nor_b64 s[16:17], s[0:1], vcc
	v_mov_b32_e32 v26, s15
	s_and_saveexec_b64 s[0:1], s[16:17]
	s_cbranch_execz .LBB1820_113
; %bb.112:
	s_sub_i32 s15, s9, s14
	s_min_u32 s15, s15, 8
	v_lshrrev_b32_e32 v26, s14, v25
	v_bfe_u32 v26, v26, 0, s15
	v_lshlrev_b32_e32 v27, 2, v3
	v_lshl_or_b32 v26, v26, 4, v27
	v_mov_b32_e32 v27, 1
	ds_add_u32 v26, v27 offset:8192
	v_mov_b32_e32 v26, 0
.LBB1820_113:
	s_or_b64 exec, exec, s[0:1]
	v_cmp_gt_i32_e64 s[0:1], 10, v26
	s_mov_b64 s[14:15], -1
	s_and_saveexec_b64 s[16:17], s[0:1]
; %bb.114:
	v_cmp_eq_u32_e64 s[0:1], 0, v26
	s_orn2_b64 s[14:15], s[0:1], exec
; %bb.115:
	s_or_b64 exec, exec, s[16:17]
	s_and_b64 exec, exec, s[14:15]
	s_cbranch_execz .LBB1820_118
; %bb.116:
	s_add_i32 s0, s8, 24
	s_cmp_gt_u32 s9, s0
	s_cselect_b64 s[14:15], -1, 0
	s_xor_b64 s[16:17], vcc, -1
	s_and_b64 s[14:15], s[14:15], s[16:17]
	s_and_b64 exec, exec, s[14:15]
	s_cbranch_execz .LBB1820_118
; %bb.117:
	s_sub_i32 s1, s9, s0
	s_min_u32 s1, s1, 8
	v_lshrrev_b32_e32 v25, s0, v25
	v_bfe_u32 v25, v25, 0, s1
	v_lshlrev_b32_e32 v26, 2, v3
	v_lshl_or_b32 v25, v25, 4, v26
	v_mov_b32_e32 v26, 1
	ds_add_u32 v25, v26 offset:12288
.LBB1820_118:
	s_or_b64 exec, exec, s[12:13]
	v_cmp_le_u32_e32 vcc, s11, v24
	s_nor_b64 s[12:13], s[2:3], vcc
	v_mov_b32_e32 v24, s18
	s_and_saveexec_b64 s[0:1], s[12:13]
	s_cbranch_execz .LBB1820_120
; %bb.119:
	s_sub_i32 s12, s9, s8
	s_min_u32 s12, s12, 8
	v_lshrrev_b32_e32 v24, s8, v23
	v_bfe_u32 v24, v24, 0, s12
	v_lshlrev_b32_e32 v25, 2, v3
	v_lshl_or_b32 v24, v24, 4, v25
	v_mov_b32_e32 v25, 1
	ds_add_u32 v24, v25
	v_mov_b32_e32 v24, 0
.LBB1820_120:
	s_or_b64 exec, exec, s[0:1]
	v_cmp_gt_i32_e64 s[0:1], 10, v24
	s_mov_b64 s[14:15], -1
	s_and_saveexec_b64 s[12:13], s[0:1]
; %bb.121:
	v_cmp_eq_u32_e64 s[0:1], 0, v24
	s_orn2_b64 s[14:15], s[0:1], exec
; %bb.122:
	s_or_b64 exec, exec, s[12:13]
	s_and_saveexec_b64 s[12:13], s[14:15]
	s_cbranch_execz .LBB1820_135
; %bb.123:
	s_add_i32 s14, s8, 8
	s_cmp_le_u32 s9, s14
	s_cselect_b64 s[0:1], -1, 0
	s_and_b64 s[16:17], s[0:1], exec
	s_cselect_b32 s15, 8, 10
	s_nor_b64 s[16:17], s[0:1], vcc
	v_mov_b32_e32 v24, s15
	s_and_saveexec_b64 s[0:1], s[16:17]
	s_cbranch_execz .LBB1820_125
; %bb.124:
	s_sub_i32 s15, s9, s14
	s_min_u32 s15, s15, 8
	v_lshrrev_b32_e32 v24, s14, v23
	v_bfe_u32 v24, v24, 0, s15
	v_lshlrev_b32_e32 v25, 2, v3
	v_lshl_or_b32 v24, v24, 4, v25
	v_mov_b32_e32 v25, 1
	ds_add_u32 v24, v25 offset:4096
	v_mov_b32_e32 v24, 0
.LBB1820_125:
	s_or_b64 exec, exec, s[0:1]
	v_cmp_gt_i32_e64 s[0:1], 10, v24
	s_mov_b64 s[14:15], -1
	s_and_saveexec_b64 s[16:17], s[0:1]
; %bb.126:
	v_cmp_eq_u32_e64 s[0:1], 0, v24
	s_orn2_b64 s[14:15], s[0:1], exec
; %bb.127:
	s_or_b64 exec, exec, s[16:17]
	s_and_b64 exec, exec, s[14:15]
	s_cbranch_execz .LBB1820_135
; %bb.128:
	s_add_i32 s14, s8, 16
	s_cmp_le_u32 s9, s14
	s_cselect_b64 s[0:1], -1, 0
	s_and_b64 s[16:17], s[0:1], exec
	s_cselect_b32 s15, 8, 10
	s_nor_b64 s[16:17], s[0:1], vcc
	v_mov_b32_e32 v24, s15
	s_and_saveexec_b64 s[0:1], s[16:17]
	s_cbranch_execz .LBB1820_130
; %bb.129:
	s_sub_i32 s15, s9, s14
	s_min_u32 s15, s15, 8
	v_lshrrev_b32_e32 v24, s14, v23
	v_bfe_u32 v24, v24, 0, s15
	v_lshlrev_b32_e32 v25, 2, v3
	v_lshl_or_b32 v24, v24, 4, v25
	v_mov_b32_e32 v25, 1
	ds_add_u32 v24, v25 offset:8192
	v_mov_b32_e32 v24, 0
.LBB1820_130:
	s_or_b64 exec, exec, s[0:1]
	v_cmp_gt_i32_e64 s[0:1], 10, v24
	s_mov_b64 s[14:15], -1
	s_and_saveexec_b64 s[16:17], s[0:1]
; %bb.131:
	v_cmp_eq_u32_e64 s[0:1], 0, v24
	s_orn2_b64 s[14:15], s[0:1], exec
; %bb.132:
	s_or_b64 exec, exec, s[16:17]
	s_and_b64 exec, exec, s[14:15]
	s_cbranch_execz .LBB1820_135
; %bb.133:
	s_add_i32 s0, s8, 24
	s_cmp_gt_u32 s9, s0
	s_cselect_b64 s[14:15], -1, 0
	s_xor_b64 s[16:17], vcc, -1
	s_and_b64 s[14:15], s[14:15], s[16:17]
	s_and_b64 exec, exec, s[14:15]
	s_cbranch_execz .LBB1820_135
; %bb.134:
	s_sub_i32 s1, s9, s0
	s_min_u32 s1, s1, 8
	v_lshrrev_b32_e32 v23, s0, v23
	v_bfe_u32 v23, v23, 0, s1
	v_lshlrev_b32_e32 v24, 2, v3
	v_lshl_or_b32 v23, v23, 4, v24
	v_mov_b32_e32 v24, 1
	ds_add_u32 v23, v24 offset:12288
.LBB1820_135:
	s_or_b64 exec, exec, s[12:13]
	v_cmp_le_u32_e32 vcc, s11, v22
	s_nor_b64 s[12:13], s[2:3], vcc
	v_mov_b32_e32 v22, s18
	s_and_saveexec_b64 s[0:1], s[12:13]
	s_cbranch_execz .LBB1820_137
; %bb.136:
	s_sub_i32 s12, s9, s8
	s_min_u32 s12, s12, 8
	v_lshrrev_b32_e32 v22, s8, v21
	v_bfe_u32 v22, v22, 0, s12
	v_lshlrev_b32_e32 v23, 2, v3
	v_lshl_or_b32 v22, v22, 4, v23
	v_mov_b32_e32 v23, 1
	ds_add_u32 v22, v23
	v_mov_b32_e32 v22, 0
.LBB1820_137:
	s_or_b64 exec, exec, s[0:1]
	v_cmp_gt_i32_e64 s[0:1], 10, v22
	s_mov_b64 s[14:15], -1
	s_and_saveexec_b64 s[12:13], s[0:1]
; %bb.138:
	v_cmp_eq_u32_e64 s[0:1], 0, v22
	s_orn2_b64 s[14:15], s[0:1], exec
; %bb.139:
	s_or_b64 exec, exec, s[12:13]
	s_and_saveexec_b64 s[12:13], s[14:15]
	s_cbranch_execz .LBB1820_152
; %bb.140:
	s_add_i32 s14, s8, 8
	s_cmp_le_u32 s9, s14
	s_cselect_b64 s[0:1], -1, 0
	s_and_b64 s[16:17], s[0:1], exec
	s_cselect_b32 s15, 8, 10
	s_nor_b64 s[16:17], s[0:1], vcc
	v_mov_b32_e32 v22, s15
	s_and_saveexec_b64 s[0:1], s[16:17]
	s_cbranch_execz .LBB1820_142
; %bb.141:
	s_sub_i32 s15, s9, s14
	s_min_u32 s15, s15, 8
	v_lshrrev_b32_e32 v22, s14, v21
	v_bfe_u32 v22, v22, 0, s15
	v_lshlrev_b32_e32 v23, 2, v3
	v_lshl_or_b32 v22, v22, 4, v23
	v_mov_b32_e32 v23, 1
	ds_add_u32 v22, v23 offset:4096
	v_mov_b32_e32 v22, 0
.LBB1820_142:
	s_or_b64 exec, exec, s[0:1]
	v_cmp_gt_i32_e64 s[0:1], 10, v22
	s_mov_b64 s[14:15], -1
	s_and_saveexec_b64 s[16:17], s[0:1]
; %bb.143:
	v_cmp_eq_u32_e64 s[0:1], 0, v22
	s_orn2_b64 s[14:15], s[0:1], exec
; %bb.144:
	s_or_b64 exec, exec, s[16:17]
	s_and_b64 exec, exec, s[14:15]
	s_cbranch_execz .LBB1820_152
; %bb.145:
	s_add_i32 s14, s8, 16
	s_cmp_le_u32 s9, s14
	s_cselect_b64 s[0:1], -1, 0
	s_and_b64 s[16:17], s[0:1], exec
	s_cselect_b32 s15, 8, 10
	s_nor_b64 s[16:17], s[0:1], vcc
	v_mov_b32_e32 v22, s15
	s_and_saveexec_b64 s[0:1], s[16:17]
	s_cbranch_execz .LBB1820_147
; %bb.146:
	s_sub_i32 s15, s9, s14
	s_min_u32 s15, s15, 8
	v_lshrrev_b32_e32 v22, s14, v21
	v_bfe_u32 v22, v22, 0, s15
	v_lshlrev_b32_e32 v23, 2, v3
	v_lshl_or_b32 v22, v22, 4, v23
	v_mov_b32_e32 v23, 1
	ds_add_u32 v22, v23 offset:8192
	v_mov_b32_e32 v22, 0
.LBB1820_147:
	s_or_b64 exec, exec, s[0:1]
	v_cmp_gt_i32_e64 s[0:1], 10, v22
	s_mov_b64 s[14:15], -1
	s_and_saveexec_b64 s[16:17], s[0:1]
; %bb.148:
	v_cmp_eq_u32_e64 s[0:1], 0, v22
	s_orn2_b64 s[14:15], s[0:1], exec
; %bb.149:
	s_or_b64 exec, exec, s[16:17]
	s_and_b64 exec, exec, s[14:15]
	s_cbranch_execz .LBB1820_152
; %bb.150:
	s_add_i32 s0, s8, 24
	s_cmp_gt_u32 s9, s0
	s_cselect_b64 s[14:15], -1, 0
	s_xor_b64 s[16:17], vcc, -1
	s_and_b64 s[14:15], s[14:15], s[16:17]
	s_and_b64 exec, exec, s[14:15]
	s_cbranch_execz .LBB1820_152
; %bb.151:
	s_sub_i32 s1, s9, s0
	s_min_u32 s1, s1, 8
	v_lshrrev_b32_e32 v21, s0, v21
	v_bfe_u32 v21, v21, 0, s1
	v_lshlrev_b32_e32 v22, 2, v3
	v_lshl_or_b32 v21, v21, 4, v22
	v_mov_b32_e32 v22, 1
	ds_add_u32 v21, v22 offset:12288
.LBB1820_152:
	s_or_b64 exec, exec, s[12:13]
	v_cmp_le_u32_e32 vcc, s11, v20
	s_nor_b64 s[12:13], s[2:3], vcc
	v_mov_b32_e32 v20, s18
	s_and_saveexec_b64 s[0:1], s[12:13]
	s_cbranch_execz .LBB1820_154
; %bb.153:
	s_sub_i32 s12, s9, s8
	s_min_u32 s12, s12, 8
	v_lshrrev_b32_e32 v20, s8, v19
	v_bfe_u32 v20, v20, 0, s12
	v_lshlrev_b32_e32 v21, 2, v3
	v_lshl_or_b32 v20, v20, 4, v21
	v_mov_b32_e32 v21, 1
	ds_add_u32 v20, v21
	v_mov_b32_e32 v20, 0
.LBB1820_154:
	s_or_b64 exec, exec, s[0:1]
	v_cmp_gt_i32_e64 s[0:1], 10, v20
	s_mov_b64 s[14:15], -1
	s_and_saveexec_b64 s[12:13], s[0:1]
; %bb.155:
	v_cmp_eq_u32_e64 s[0:1], 0, v20
	s_orn2_b64 s[14:15], s[0:1], exec
; %bb.156:
	s_or_b64 exec, exec, s[12:13]
	s_and_saveexec_b64 s[12:13], s[14:15]
	s_cbranch_execz .LBB1820_169
; %bb.157:
	s_add_i32 s14, s8, 8
	s_cmp_le_u32 s9, s14
	s_cselect_b64 s[0:1], -1, 0
	s_and_b64 s[16:17], s[0:1], exec
	s_cselect_b32 s15, 8, 10
	s_nor_b64 s[16:17], s[0:1], vcc
	v_mov_b32_e32 v20, s15
	s_and_saveexec_b64 s[0:1], s[16:17]
	s_cbranch_execz .LBB1820_159
; %bb.158:
	s_sub_i32 s15, s9, s14
	s_min_u32 s15, s15, 8
	v_lshrrev_b32_e32 v20, s14, v19
	v_bfe_u32 v20, v20, 0, s15
	v_lshlrev_b32_e32 v21, 2, v3
	v_lshl_or_b32 v20, v20, 4, v21
	v_mov_b32_e32 v21, 1
	ds_add_u32 v20, v21 offset:4096
	v_mov_b32_e32 v20, 0
.LBB1820_159:
	s_or_b64 exec, exec, s[0:1]
	v_cmp_gt_i32_e64 s[0:1], 10, v20
	s_mov_b64 s[14:15], -1
	s_and_saveexec_b64 s[16:17], s[0:1]
; %bb.160:
	v_cmp_eq_u32_e64 s[0:1], 0, v20
	s_orn2_b64 s[14:15], s[0:1], exec
; %bb.161:
	s_or_b64 exec, exec, s[16:17]
	s_and_b64 exec, exec, s[14:15]
	s_cbranch_execz .LBB1820_169
; %bb.162:
	s_add_i32 s14, s8, 16
	s_cmp_le_u32 s9, s14
	s_cselect_b64 s[0:1], -1, 0
	s_and_b64 s[16:17], s[0:1], exec
	s_cselect_b32 s15, 8, 10
	s_nor_b64 s[16:17], s[0:1], vcc
	v_mov_b32_e32 v20, s15
	s_and_saveexec_b64 s[0:1], s[16:17]
	s_cbranch_execz .LBB1820_164
; %bb.163:
	s_sub_i32 s15, s9, s14
	s_min_u32 s15, s15, 8
	v_lshrrev_b32_e32 v20, s14, v19
	v_bfe_u32 v20, v20, 0, s15
	v_lshlrev_b32_e32 v21, 2, v3
	v_lshl_or_b32 v20, v20, 4, v21
	v_mov_b32_e32 v21, 1
	ds_add_u32 v20, v21 offset:8192
	v_mov_b32_e32 v20, 0
.LBB1820_164:
	s_or_b64 exec, exec, s[0:1]
	v_cmp_gt_i32_e64 s[0:1], 10, v20
	s_mov_b64 s[14:15], -1
	s_and_saveexec_b64 s[16:17], s[0:1]
; %bb.165:
	v_cmp_eq_u32_e64 s[0:1], 0, v20
	s_orn2_b64 s[14:15], s[0:1], exec
; %bb.166:
	s_or_b64 exec, exec, s[16:17]
	s_and_b64 exec, exec, s[14:15]
	s_cbranch_execz .LBB1820_169
; %bb.167:
	s_add_i32 s0, s8, 24
	s_cmp_gt_u32 s9, s0
	s_cselect_b64 s[14:15], -1, 0
	s_xor_b64 s[16:17], vcc, -1
	s_and_b64 s[14:15], s[14:15], s[16:17]
	s_and_b64 exec, exec, s[14:15]
	s_cbranch_execz .LBB1820_169
; %bb.168:
	s_sub_i32 s1, s9, s0
	s_min_u32 s1, s1, 8
	v_lshrrev_b32_e32 v19, s0, v19
	v_bfe_u32 v19, v19, 0, s1
	v_lshlrev_b32_e32 v20, 2, v3
	v_lshl_or_b32 v19, v19, 4, v20
	v_mov_b32_e32 v20, 1
	ds_add_u32 v19, v20 offset:12288
.LBB1820_169:
	s_or_b64 exec, exec, s[12:13]
	v_cmp_le_u32_e32 vcc, s11, v18
	s_nor_b64 s[12:13], s[2:3], vcc
	v_mov_b32_e32 v18, s18
	s_and_saveexec_b64 s[0:1], s[12:13]
	s_cbranch_execz .LBB1820_171
; %bb.170:
	s_sub_i32 s12, s9, s8
	s_min_u32 s12, s12, 8
	v_lshrrev_b32_e32 v18, s8, v17
	v_bfe_u32 v18, v18, 0, s12
	v_lshlrev_b32_e32 v19, 2, v3
	v_lshl_or_b32 v18, v18, 4, v19
	v_mov_b32_e32 v19, 1
	ds_add_u32 v18, v19
	v_mov_b32_e32 v18, 0
.LBB1820_171:
	s_or_b64 exec, exec, s[0:1]
	v_cmp_gt_i32_e64 s[0:1], 10, v18
	s_mov_b64 s[14:15], -1
	s_and_saveexec_b64 s[12:13], s[0:1]
; %bb.172:
	v_cmp_eq_u32_e64 s[0:1], 0, v18
	s_orn2_b64 s[14:15], s[0:1], exec
; %bb.173:
	s_or_b64 exec, exec, s[12:13]
	s_and_saveexec_b64 s[12:13], s[14:15]
	s_cbranch_execz .LBB1820_186
; %bb.174:
	s_add_i32 s14, s8, 8
	s_cmp_le_u32 s9, s14
	s_cselect_b64 s[0:1], -1, 0
	s_and_b64 s[16:17], s[0:1], exec
	s_cselect_b32 s15, 8, 10
	s_nor_b64 s[16:17], s[0:1], vcc
	v_mov_b32_e32 v18, s15
	s_and_saveexec_b64 s[0:1], s[16:17]
	s_cbranch_execz .LBB1820_176
; %bb.175:
	s_sub_i32 s15, s9, s14
	s_min_u32 s15, s15, 8
	v_lshrrev_b32_e32 v18, s14, v17
	v_bfe_u32 v18, v18, 0, s15
	v_lshlrev_b32_e32 v19, 2, v3
	v_lshl_or_b32 v18, v18, 4, v19
	v_mov_b32_e32 v19, 1
	ds_add_u32 v18, v19 offset:4096
	v_mov_b32_e32 v18, 0
.LBB1820_176:
	s_or_b64 exec, exec, s[0:1]
	v_cmp_gt_i32_e64 s[0:1], 10, v18
	s_mov_b64 s[14:15], -1
	s_and_saveexec_b64 s[16:17], s[0:1]
; %bb.177:
	v_cmp_eq_u32_e64 s[0:1], 0, v18
	s_orn2_b64 s[14:15], s[0:1], exec
; %bb.178:
	s_or_b64 exec, exec, s[16:17]
	s_and_b64 exec, exec, s[14:15]
	s_cbranch_execz .LBB1820_186
; %bb.179:
	s_add_i32 s14, s8, 16
	s_cmp_le_u32 s9, s14
	s_cselect_b64 s[0:1], -1, 0
	s_and_b64 s[16:17], s[0:1], exec
	s_cselect_b32 s15, 8, 10
	s_nor_b64 s[16:17], s[0:1], vcc
	v_mov_b32_e32 v18, s15
	s_and_saveexec_b64 s[0:1], s[16:17]
	s_cbranch_execz .LBB1820_181
; %bb.180:
	s_sub_i32 s15, s9, s14
	s_min_u32 s15, s15, 8
	v_lshrrev_b32_e32 v18, s14, v17
	v_bfe_u32 v18, v18, 0, s15
	v_lshlrev_b32_e32 v19, 2, v3
	v_lshl_or_b32 v18, v18, 4, v19
	v_mov_b32_e32 v19, 1
	ds_add_u32 v18, v19 offset:8192
	v_mov_b32_e32 v18, 0
.LBB1820_181:
	s_or_b64 exec, exec, s[0:1]
	v_cmp_gt_i32_e64 s[0:1], 10, v18
	s_mov_b64 s[14:15], -1
	s_and_saveexec_b64 s[16:17], s[0:1]
; %bb.182:
	v_cmp_eq_u32_e64 s[0:1], 0, v18
	s_orn2_b64 s[14:15], s[0:1], exec
; %bb.183:
	s_or_b64 exec, exec, s[16:17]
	s_and_b64 exec, exec, s[14:15]
	s_cbranch_execz .LBB1820_186
; %bb.184:
	s_add_i32 s0, s8, 24
	s_cmp_gt_u32 s9, s0
	s_cselect_b64 s[14:15], -1, 0
	s_xor_b64 s[16:17], vcc, -1
	s_and_b64 s[14:15], s[14:15], s[16:17]
	s_and_b64 exec, exec, s[14:15]
	s_cbranch_execz .LBB1820_186
; %bb.185:
	s_sub_i32 s1, s9, s0
	s_min_u32 s1, s1, 8
	v_lshrrev_b32_e32 v17, s0, v17
	v_bfe_u32 v17, v17, 0, s1
	v_lshlrev_b32_e32 v18, 2, v3
	v_lshl_or_b32 v17, v17, 4, v18
	v_mov_b32_e32 v18, 1
	ds_add_u32 v17, v18 offset:12288
.LBB1820_186:
	s_or_b64 exec, exec, s[12:13]
	v_cmp_le_u32_e32 vcc, s11, v16
	s_nor_b64 s[12:13], s[2:3], vcc
	v_mov_b32_e32 v16, s18
	s_and_saveexec_b64 s[0:1], s[12:13]
	s_cbranch_execz .LBB1820_188
; %bb.187:
	s_sub_i32 s12, s9, s8
	s_min_u32 s12, s12, 8
	v_lshrrev_b32_e32 v16, s8, v15
	v_bfe_u32 v16, v16, 0, s12
	v_lshlrev_b32_e32 v17, 2, v3
	v_lshl_or_b32 v16, v16, 4, v17
	v_mov_b32_e32 v17, 1
	ds_add_u32 v16, v17
	v_mov_b32_e32 v16, 0
.LBB1820_188:
	s_or_b64 exec, exec, s[0:1]
	v_cmp_gt_i32_e64 s[0:1], 10, v16
	s_mov_b64 s[14:15], -1
	s_and_saveexec_b64 s[12:13], s[0:1]
; %bb.189:
	v_cmp_eq_u32_e64 s[0:1], 0, v16
	s_orn2_b64 s[14:15], s[0:1], exec
; %bb.190:
	s_or_b64 exec, exec, s[12:13]
	s_and_saveexec_b64 s[12:13], s[14:15]
	s_cbranch_execz .LBB1820_203
; %bb.191:
	s_add_i32 s14, s8, 8
	s_cmp_le_u32 s9, s14
	s_cselect_b64 s[0:1], -1, 0
	s_and_b64 s[16:17], s[0:1], exec
	s_cselect_b32 s15, 8, 10
	s_nor_b64 s[16:17], s[0:1], vcc
	v_mov_b32_e32 v16, s15
	s_and_saveexec_b64 s[0:1], s[16:17]
	s_cbranch_execz .LBB1820_193
; %bb.192:
	s_sub_i32 s15, s9, s14
	s_min_u32 s15, s15, 8
	v_lshrrev_b32_e32 v16, s14, v15
	v_bfe_u32 v16, v16, 0, s15
	v_lshlrev_b32_e32 v17, 2, v3
	v_lshl_or_b32 v16, v16, 4, v17
	v_mov_b32_e32 v17, 1
	ds_add_u32 v16, v17 offset:4096
	v_mov_b32_e32 v16, 0
.LBB1820_193:
	s_or_b64 exec, exec, s[0:1]
	v_cmp_gt_i32_e64 s[0:1], 10, v16
	s_mov_b64 s[14:15], -1
	s_and_saveexec_b64 s[16:17], s[0:1]
; %bb.194:
	v_cmp_eq_u32_e64 s[0:1], 0, v16
	s_orn2_b64 s[14:15], s[0:1], exec
; %bb.195:
	s_or_b64 exec, exec, s[16:17]
	s_and_b64 exec, exec, s[14:15]
	s_cbranch_execz .LBB1820_203
; %bb.196:
	s_add_i32 s14, s8, 16
	s_cmp_le_u32 s9, s14
	s_cselect_b64 s[0:1], -1, 0
	s_and_b64 s[16:17], s[0:1], exec
	s_cselect_b32 s15, 8, 10
	s_nor_b64 s[16:17], s[0:1], vcc
	v_mov_b32_e32 v16, s15
	s_and_saveexec_b64 s[0:1], s[16:17]
	s_cbranch_execz .LBB1820_198
; %bb.197:
	s_sub_i32 s15, s9, s14
	s_min_u32 s15, s15, 8
	v_lshrrev_b32_e32 v16, s14, v15
	v_bfe_u32 v16, v16, 0, s15
	v_lshlrev_b32_e32 v17, 2, v3
	v_lshl_or_b32 v16, v16, 4, v17
	v_mov_b32_e32 v17, 1
	ds_add_u32 v16, v17 offset:8192
	v_mov_b32_e32 v16, 0
.LBB1820_198:
	s_or_b64 exec, exec, s[0:1]
	v_cmp_gt_i32_e64 s[0:1], 10, v16
	s_mov_b64 s[14:15], -1
	s_and_saveexec_b64 s[16:17], s[0:1]
; %bb.199:
	v_cmp_eq_u32_e64 s[0:1], 0, v16
	s_orn2_b64 s[14:15], s[0:1], exec
; %bb.200:
	s_or_b64 exec, exec, s[16:17]
	s_and_b64 exec, exec, s[14:15]
	s_cbranch_execz .LBB1820_203
; %bb.201:
	s_add_i32 s0, s8, 24
	s_cmp_gt_u32 s9, s0
	s_cselect_b64 s[14:15], -1, 0
	s_xor_b64 s[16:17], vcc, -1
	s_and_b64 s[14:15], s[14:15], s[16:17]
	s_and_b64 exec, exec, s[14:15]
	s_cbranch_execz .LBB1820_203
; %bb.202:
	s_sub_i32 s1, s9, s0
	s_min_u32 s1, s1, 8
	v_lshrrev_b32_e32 v15, s0, v15
	v_bfe_u32 v15, v15, 0, s1
	v_lshlrev_b32_e32 v16, 2, v3
	v_lshl_or_b32 v15, v15, 4, v16
	v_mov_b32_e32 v16, 1
	ds_add_u32 v15, v16 offset:12288
.LBB1820_203:
	s_or_b64 exec, exec, s[12:13]
	v_cmp_le_u32_e32 vcc, s11, v14
	s_nor_b64 s[12:13], s[2:3], vcc
	v_mov_b32_e32 v14, s18
	s_and_saveexec_b64 s[0:1], s[12:13]
	s_cbranch_execz .LBB1820_205
; %bb.204:
	s_sub_i32 s12, s9, s8
	s_min_u32 s12, s12, 8
	v_lshrrev_b32_e32 v14, s8, v13
	v_bfe_u32 v14, v14, 0, s12
	v_lshlrev_b32_e32 v15, 2, v3
	v_lshl_or_b32 v14, v14, 4, v15
	v_mov_b32_e32 v15, 1
	ds_add_u32 v14, v15
	v_mov_b32_e32 v14, 0
.LBB1820_205:
	s_or_b64 exec, exec, s[0:1]
	v_cmp_gt_i32_e64 s[0:1], 10, v14
	s_mov_b64 s[14:15], -1
	s_and_saveexec_b64 s[12:13], s[0:1]
; %bb.206:
	v_cmp_eq_u32_e64 s[0:1], 0, v14
	s_orn2_b64 s[14:15], s[0:1], exec
; %bb.207:
	s_or_b64 exec, exec, s[12:13]
	s_and_saveexec_b64 s[12:13], s[14:15]
	s_cbranch_execz .LBB1820_220
; %bb.208:
	s_add_i32 s14, s8, 8
	s_cmp_le_u32 s9, s14
	s_cselect_b64 s[0:1], -1, 0
	s_and_b64 s[16:17], s[0:1], exec
	s_cselect_b32 s15, 8, 10
	s_nor_b64 s[16:17], s[0:1], vcc
	v_mov_b32_e32 v14, s15
	s_and_saveexec_b64 s[0:1], s[16:17]
	s_cbranch_execz .LBB1820_210
; %bb.209:
	s_sub_i32 s15, s9, s14
	s_min_u32 s15, s15, 8
	v_lshrrev_b32_e32 v14, s14, v13
	v_bfe_u32 v14, v14, 0, s15
	v_lshlrev_b32_e32 v15, 2, v3
	v_lshl_or_b32 v14, v14, 4, v15
	v_mov_b32_e32 v15, 1
	ds_add_u32 v14, v15 offset:4096
	v_mov_b32_e32 v14, 0
.LBB1820_210:
	s_or_b64 exec, exec, s[0:1]
	v_cmp_gt_i32_e64 s[0:1], 10, v14
	s_mov_b64 s[14:15], -1
	s_and_saveexec_b64 s[16:17], s[0:1]
; %bb.211:
	v_cmp_eq_u32_e64 s[0:1], 0, v14
	s_orn2_b64 s[14:15], s[0:1], exec
; %bb.212:
	s_or_b64 exec, exec, s[16:17]
	s_and_b64 exec, exec, s[14:15]
	s_cbranch_execz .LBB1820_220
; %bb.213:
	s_add_i32 s14, s8, 16
	s_cmp_le_u32 s9, s14
	s_cselect_b64 s[0:1], -1, 0
	s_and_b64 s[16:17], s[0:1], exec
	s_cselect_b32 s15, 8, 10
	s_nor_b64 s[16:17], s[0:1], vcc
	v_mov_b32_e32 v14, s15
	s_and_saveexec_b64 s[0:1], s[16:17]
	s_cbranch_execz .LBB1820_215
; %bb.214:
	s_sub_i32 s15, s9, s14
	s_min_u32 s15, s15, 8
	v_lshrrev_b32_e32 v14, s14, v13
	v_bfe_u32 v14, v14, 0, s15
	v_lshlrev_b32_e32 v15, 2, v3
	v_lshl_or_b32 v14, v14, 4, v15
	v_mov_b32_e32 v15, 1
	ds_add_u32 v14, v15 offset:8192
	v_mov_b32_e32 v14, 0
.LBB1820_215:
	s_or_b64 exec, exec, s[0:1]
	v_cmp_gt_i32_e64 s[0:1], 10, v14
	s_mov_b64 s[14:15], -1
	s_and_saveexec_b64 s[16:17], s[0:1]
; %bb.216:
	v_cmp_eq_u32_e64 s[0:1], 0, v14
	s_orn2_b64 s[14:15], s[0:1], exec
; %bb.217:
	s_or_b64 exec, exec, s[16:17]
	s_and_b64 exec, exec, s[14:15]
	s_cbranch_execz .LBB1820_220
; %bb.218:
	s_add_i32 s0, s8, 24
	s_cmp_gt_u32 s9, s0
	s_cselect_b64 s[14:15], -1, 0
	s_xor_b64 s[16:17], vcc, -1
	s_and_b64 s[14:15], s[14:15], s[16:17]
	s_and_b64 exec, exec, s[14:15]
	s_cbranch_execz .LBB1820_220
; %bb.219:
	s_sub_i32 s1, s9, s0
	s_min_u32 s1, s1, 8
	v_lshrrev_b32_e32 v13, s0, v13
	v_bfe_u32 v13, v13, 0, s1
	v_lshlrev_b32_e32 v14, 2, v3
	v_lshl_or_b32 v13, v13, 4, v14
	v_mov_b32_e32 v14, 1
	ds_add_u32 v13, v14 offset:12288
.LBB1820_220:
	s_or_b64 exec, exec, s[12:13]
	v_cmp_le_u32_e32 vcc, s11, v12
	s_nor_b64 s[12:13], s[2:3], vcc
	v_mov_b32_e32 v12, s18
	s_and_saveexec_b64 s[0:1], s[12:13]
	s_cbranch_execz .LBB1820_222
; %bb.221:
	s_sub_i32 s12, s9, s8
	s_min_u32 s12, s12, 8
	v_lshrrev_b32_e32 v12, s8, v11
	v_bfe_u32 v12, v12, 0, s12
	v_lshlrev_b32_e32 v13, 2, v3
	v_lshl_or_b32 v12, v12, 4, v13
	v_mov_b32_e32 v13, 1
	ds_add_u32 v12, v13
	v_mov_b32_e32 v12, 0
.LBB1820_222:
	s_or_b64 exec, exec, s[0:1]
	v_cmp_gt_i32_e64 s[0:1], 10, v12
	s_mov_b64 s[14:15], -1
	s_and_saveexec_b64 s[12:13], s[0:1]
; %bb.223:
	v_cmp_eq_u32_e64 s[0:1], 0, v12
	s_orn2_b64 s[14:15], s[0:1], exec
; %bb.224:
	s_or_b64 exec, exec, s[12:13]
	s_and_saveexec_b64 s[12:13], s[14:15]
	s_cbranch_execz .LBB1820_237
; %bb.225:
	s_add_i32 s14, s8, 8
	s_cmp_le_u32 s9, s14
	s_cselect_b64 s[0:1], -1, 0
	s_and_b64 s[16:17], s[0:1], exec
	s_cselect_b32 s15, 8, 10
	s_nor_b64 s[16:17], s[0:1], vcc
	v_mov_b32_e32 v12, s15
	s_and_saveexec_b64 s[0:1], s[16:17]
	s_cbranch_execz .LBB1820_227
; %bb.226:
	s_sub_i32 s15, s9, s14
	s_min_u32 s15, s15, 8
	v_lshrrev_b32_e32 v12, s14, v11
	v_bfe_u32 v12, v12, 0, s15
	v_lshlrev_b32_e32 v13, 2, v3
	v_lshl_or_b32 v12, v12, 4, v13
	v_mov_b32_e32 v13, 1
	ds_add_u32 v12, v13 offset:4096
	v_mov_b32_e32 v12, 0
.LBB1820_227:
	s_or_b64 exec, exec, s[0:1]
	v_cmp_gt_i32_e64 s[0:1], 10, v12
	s_mov_b64 s[14:15], -1
	s_and_saveexec_b64 s[16:17], s[0:1]
; %bb.228:
	v_cmp_eq_u32_e64 s[0:1], 0, v12
	s_orn2_b64 s[14:15], s[0:1], exec
; %bb.229:
	s_or_b64 exec, exec, s[16:17]
	s_and_b64 exec, exec, s[14:15]
	s_cbranch_execz .LBB1820_237
; %bb.230:
	s_add_i32 s14, s8, 16
	s_cmp_le_u32 s9, s14
	s_cselect_b64 s[0:1], -1, 0
	s_and_b64 s[16:17], s[0:1], exec
	s_cselect_b32 s15, 8, 10
	s_nor_b64 s[16:17], s[0:1], vcc
	v_mov_b32_e32 v12, s15
	s_and_saveexec_b64 s[0:1], s[16:17]
	s_cbranch_execz .LBB1820_232
; %bb.231:
	s_sub_i32 s15, s9, s14
	s_min_u32 s15, s15, 8
	v_lshrrev_b32_e32 v12, s14, v11
	v_bfe_u32 v12, v12, 0, s15
	v_lshlrev_b32_e32 v13, 2, v3
	v_lshl_or_b32 v12, v12, 4, v13
	v_mov_b32_e32 v13, 1
	ds_add_u32 v12, v13 offset:8192
	v_mov_b32_e32 v12, 0
.LBB1820_232:
	s_or_b64 exec, exec, s[0:1]
	v_cmp_gt_i32_e64 s[0:1], 10, v12
	s_mov_b64 s[14:15], -1
	s_and_saveexec_b64 s[16:17], s[0:1]
; %bb.233:
	v_cmp_eq_u32_e64 s[0:1], 0, v12
	s_orn2_b64 s[14:15], s[0:1], exec
; %bb.234:
	s_or_b64 exec, exec, s[16:17]
	s_and_b64 exec, exec, s[14:15]
	s_cbranch_execz .LBB1820_237
; %bb.235:
	s_add_i32 s0, s8, 24
	s_cmp_gt_u32 s9, s0
	s_cselect_b64 s[14:15], -1, 0
	s_xor_b64 s[16:17], vcc, -1
	s_and_b64 s[14:15], s[14:15], s[16:17]
	s_and_b64 exec, exec, s[14:15]
	s_cbranch_execz .LBB1820_237
; %bb.236:
	s_sub_i32 s1, s9, s0
	s_min_u32 s1, s1, 8
	v_lshrrev_b32_e32 v11, s0, v11
	v_bfe_u32 v11, v11, 0, s1
	v_lshlrev_b32_e32 v12, 2, v3
	v_lshl_or_b32 v11, v11, 4, v12
	v_mov_b32_e32 v12, 1
	ds_add_u32 v11, v12 offset:12288
.LBB1820_237:
	s_or_b64 exec, exec, s[12:13]
	v_cmp_le_u32_e32 vcc, s11, v10
	s_nor_b64 s[12:13], s[2:3], vcc
	v_mov_b32_e32 v10, s18
	s_and_saveexec_b64 s[0:1], s[12:13]
	s_cbranch_execz .LBB1820_239
; %bb.238:
	s_sub_i32 s12, s9, s8
	s_min_u32 s12, s12, 8
	v_lshrrev_b32_e32 v10, s8, v9
	v_bfe_u32 v10, v10, 0, s12
	v_lshlrev_b32_e32 v11, 2, v3
	v_lshl_or_b32 v10, v10, 4, v11
	v_mov_b32_e32 v11, 1
	ds_add_u32 v10, v11
	v_mov_b32_e32 v10, 0
.LBB1820_239:
	s_or_b64 exec, exec, s[0:1]
	v_cmp_gt_i32_e64 s[0:1], 10, v10
	s_mov_b64 s[14:15], -1
	s_and_saveexec_b64 s[12:13], s[0:1]
; %bb.240:
	v_cmp_eq_u32_e64 s[0:1], 0, v10
	s_orn2_b64 s[14:15], s[0:1], exec
; %bb.241:
	s_or_b64 exec, exec, s[12:13]
	s_and_saveexec_b64 s[12:13], s[14:15]
	s_cbranch_execz .LBB1820_254
; %bb.242:
	s_add_i32 s14, s8, 8
	s_cmp_le_u32 s9, s14
	s_cselect_b64 s[0:1], -1, 0
	s_and_b64 s[16:17], s[0:1], exec
	s_cselect_b32 s15, 8, 10
	s_nor_b64 s[16:17], s[0:1], vcc
	v_mov_b32_e32 v10, s15
	s_and_saveexec_b64 s[0:1], s[16:17]
	s_cbranch_execz .LBB1820_244
; %bb.243:
	s_sub_i32 s15, s9, s14
	s_min_u32 s15, s15, 8
	v_lshrrev_b32_e32 v10, s14, v9
	v_bfe_u32 v10, v10, 0, s15
	v_lshlrev_b32_e32 v11, 2, v3
	v_lshl_or_b32 v10, v10, 4, v11
	v_mov_b32_e32 v11, 1
	ds_add_u32 v10, v11 offset:4096
	v_mov_b32_e32 v10, 0
.LBB1820_244:
	s_or_b64 exec, exec, s[0:1]
	v_cmp_gt_i32_e64 s[0:1], 10, v10
	s_mov_b64 s[14:15], -1
	s_and_saveexec_b64 s[16:17], s[0:1]
; %bb.245:
	v_cmp_eq_u32_e64 s[0:1], 0, v10
	s_orn2_b64 s[14:15], s[0:1], exec
; %bb.246:
	s_or_b64 exec, exec, s[16:17]
	s_and_b64 exec, exec, s[14:15]
	s_cbranch_execz .LBB1820_254
; %bb.247:
	s_add_i32 s14, s8, 16
	s_cmp_le_u32 s9, s14
	s_cselect_b64 s[0:1], -1, 0
	s_and_b64 s[16:17], s[0:1], exec
	s_cselect_b32 s15, 8, 10
	s_nor_b64 s[16:17], s[0:1], vcc
	v_mov_b32_e32 v10, s15
	s_and_saveexec_b64 s[0:1], s[16:17]
	s_cbranch_execz .LBB1820_249
; %bb.248:
	s_sub_i32 s15, s9, s14
	s_min_u32 s15, s15, 8
	v_lshrrev_b32_e32 v10, s14, v9
	v_bfe_u32 v10, v10, 0, s15
	v_lshlrev_b32_e32 v11, 2, v3
	v_lshl_or_b32 v10, v10, 4, v11
	v_mov_b32_e32 v11, 1
	ds_add_u32 v10, v11 offset:8192
	v_mov_b32_e32 v10, 0
.LBB1820_249:
	s_or_b64 exec, exec, s[0:1]
	v_cmp_gt_i32_e64 s[0:1], 10, v10
	s_mov_b64 s[14:15], -1
	s_and_saveexec_b64 s[16:17], s[0:1]
; %bb.250:
	v_cmp_eq_u32_e64 s[0:1], 0, v10
	s_orn2_b64 s[14:15], s[0:1], exec
; %bb.251:
	s_or_b64 exec, exec, s[16:17]
	s_and_b64 exec, exec, s[14:15]
	s_cbranch_execz .LBB1820_254
; %bb.252:
	s_add_i32 s0, s8, 24
	s_cmp_gt_u32 s9, s0
	s_cselect_b64 s[14:15], -1, 0
	s_xor_b64 s[16:17], vcc, -1
	s_and_b64 s[14:15], s[14:15], s[16:17]
	s_and_b64 exec, exec, s[14:15]
	s_cbranch_execz .LBB1820_254
; %bb.253:
	s_sub_i32 s1, s9, s0
	s_min_u32 s1, s1, 8
	v_lshrrev_b32_e32 v9, s0, v9
	v_bfe_u32 v9, v9, 0, s1
	v_lshlrev_b32_e32 v10, 2, v3
	v_lshl_or_b32 v9, v9, 4, v10
	v_mov_b32_e32 v10, 1
	ds_add_u32 v9, v10 offset:12288
.LBB1820_254:
	s_or_b64 exec, exec, s[12:13]
	v_cmp_le_u32_e32 vcc, s11, v8
	s_nor_b64 s[12:13], s[2:3], vcc
	v_mov_b32_e32 v8, s18
	s_and_saveexec_b64 s[0:1], s[12:13]
	s_cbranch_execz .LBB1820_256
; %bb.255:
	s_sub_i32 s12, s9, s8
	s_min_u32 s12, s12, 8
	v_lshrrev_b32_e32 v8, s8, v7
	v_bfe_u32 v8, v8, 0, s12
	v_lshlrev_b32_e32 v9, 2, v3
	v_lshl_or_b32 v8, v8, 4, v9
	v_mov_b32_e32 v9, 1
	ds_add_u32 v8, v9
	v_mov_b32_e32 v8, 0
.LBB1820_256:
	s_or_b64 exec, exec, s[0:1]
	v_cmp_gt_i32_e64 s[0:1], 10, v8
	s_mov_b64 s[14:15], -1
	s_and_saveexec_b64 s[12:13], s[0:1]
; %bb.257:
	v_cmp_eq_u32_e64 s[0:1], 0, v8
	s_orn2_b64 s[14:15], s[0:1], exec
; %bb.258:
	s_or_b64 exec, exec, s[12:13]
	s_and_saveexec_b64 s[12:13], s[14:15]
	s_cbranch_execz .LBB1820_271
; %bb.259:
	s_add_i32 s14, s8, 8
	s_cmp_le_u32 s9, s14
	s_cselect_b64 s[0:1], -1, 0
	s_and_b64 s[16:17], s[0:1], exec
	s_cselect_b32 s15, 8, 10
	s_nor_b64 s[16:17], s[0:1], vcc
	v_mov_b32_e32 v8, s15
	s_and_saveexec_b64 s[0:1], s[16:17]
	s_cbranch_execz .LBB1820_261
; %bb.260:
	s_sub_i32 s15, s9, s14
	s_min_u32 s15, s15, 8
	v_lshrrev_b32_e32 v8, s14, v7
	v_bfe_u32 v8, v8, 0, s15
	v_lshlrev_b32_e32 v9, 2, v3
	v_lshl_or_b32 v8, v8, 4, v9
	v_mov_b32_e32 v9, 1
	ds_add_u32 v8, v9 offset:4096
	v_mov_b32_e32 v8, 0
.LBB1820_261:
	s_or_b64 exec, exec, s[0:1]
	v_cmp_gt_i32_e64 s[0:1], 10, v8
	s_mov_b64 s[14:15], -1
	s_and_saveexec_b64 s[16:17], s[0:1]
; %bb.262:
	v_cmp_eq_u32_e64 s[0:1], 0, v8
	s_orn2_b64 s[14:15], s[0:1], exec
; %bb.263:
	s_or_b64 exec, exec, s[16:17]
	s_and_b64 exec, exec, s[14:15]
	s_cbranch_execz .LBB1820_271
; %bb.264:
	s_add_i32 s14, s8, 16
	s_cmp_le_u32 s9, s14
	s_cselect_b64 s[0:1], -1, 0
	s_and_b64 s[16:17], s[0:1], exec
	s_cselect_b32 s15, 8, 10
	s_nor_b64 s[16:17], s[0:1], vcc
	v_mov_b32_e32 v8, s15
	s_and_saveexec_b64 s[0:1], s[16:17]
	s_cbranch_execz .LBB1820_266
; %bb.265:
	s_sub_i32 s15, s9, s14
	s_min_u32 s15, s15, 8
	v_lshrrev_b32_e32 v8, s14, v7
	v_bfe_u32 v8, v8, 0, s15
	v_lshlrev_b32_e32 v9, 2, v3
	v_lshl_or_b32 v8, v8, 4, v9
	v_mov_b32_e32 v9, 1
	ds_add_u32 v8, v9 offset:8192
	v_mov_b32_e32 v8, 0
.LBB1820_266:
	s_or_b64 exec, exec, s[0:1]
	v_cmp_gt_i32_e64 s[0:1], 10, v8
	s_mov_b64 s[14:15], -1
	s_and_saveexec_b64 s[16:17], s[0:1]
; %bb.267:
	v_cmp_eq_u32_e64 s[0:1], 0, v8
	s_orn2_b64 s[14:15], s[0:1], exec
; %bb.268:
	s_or_b64 exec, exec, s[16:17]
	s_and_b64 exec, exec, s[14:15]
	s_cbranch_execz .LBB1820_271
; %bb.269:
	s_add_i32 s0, s8, 24
	s_cmp_gt_u32 s9, s0
	s_cselect_b64 s[14:15], -1, 0
	s_xor_b64 s[16:17], vcc, -1
	s_and_b64 s[14:15], s[14:15], s[16:17]
	s_and_b64 exec, exec, s[14:15]
	s_cbranch_execz .LBB1820_271
; %bb.270:
	s_sub_i32 s1, s9, s0
	s_min_u32 s1, s1, 8
	v_lshrrev_b32_e32 v7, s0, v7
	v_bfe_u32 v7, v7, 0, s1
	v_lshlrev_b32_e32 v8, 2, v3
	v_lshl_or_b32 v7, v7, 4, v8
	v_mov_b32_e32 v8, 1
	ds_add_u32 v7, v8 offset:12288
.LBB1820_271:
	s_or_b64 exec, exec, s[12:13]
	v_cmp_le_u32_e32 vcc, s11, v6
	s_nor_b64 s[12:13], s[2:3], vcc
	v_mov_b32_e32 v6, s18
	s_and_saveexec_b64 s[0:1], s[12:13]
	s_cbranch_execz .LBB1820_273
; %bb.272:
	s_sub_i32 s12, s9, s8
	s_min_u32 s12, s12, 8
	v_lshrrev_b32_e32 v6, s8, v5
	v_bfe_u32 v6, v6, 0, s12
	v_lshlrev_b32_e32 v7, 2, v3
	v_lshl_or_b32 v6, v6, 4, v7
	v_mov_b32_e32 v7, 1
	ds_add_u32 v6, v7
	v_mov_b32_e32 v6, 0
.LBB1820_273:
	s_or_b64 exec, exec, s[0:1]
	v_cmp_gt_i32_e64 s[0:1], 10, v6
	s_mov_b64 s[14:15], -1
	s_and_saveexec_b64 s[12:13], s[0:1]
; %bb.274:
	v_cmp_eq_u32_e64 s[0:1], 0, v6
	s_orn2_b64 s[14:15], s[0:1], exec
; %bb.275:
	s_or_b64 exec, exec, s[12:13]
	s_and_saveexec_b64 s[12:13], s[14:15]
	s_cbranch_execz .LBB1820_288
; %bb.276:
	s_add_i32 s14, s8, 8
	s_cmp_le_u32 s9, s14
	s_cselect_b64 s[0:1], -1, 0
	s_and_b64 s[16:17], s[0:1], exec
	s_cselect_b32 s15, 8, 10
	s_nor_b64 s[16:17], s[0:1], vcc
	v_mov_b32_e32 v6, s15
	s_and_saveexec_b64 s[0:1], s[16:17]
	s_cbranch_execz .LBB1820_278
; %bb.277:
	s_sub_i32 s15, s9, s14
	s_min_u32 s15, s15, 8
	v_lshrrev_b32_e32 v6, s14, v5
	v_bfe_u32 v6, v6, 0, s15
	v_lshlrev_b32_e32 v7, 2, v3
	v_lshl_or_b32 v6, v6, 4, v7
	v_mov_b32_e32 v7, 1
	ds_add_u32 v6, v7 offset:4096
	v_mov_b32_e32 v6, 0
.LBB1820_278:
	s_or_b64 exec, exec, s[0:1]
	v_cmp_gt_i32_e64 s[0:1], 10, v6
	s_mov_b64 s[14:15], -1
	s_and_saveexec_b64 s[16:17], s[0:1]
; %bb.279:
	v_cmp_eq_u32_e64 s[0:1], 0, v6
	s_orn2_b64 s[14:15], s[0:1], exec
; %bb.280:
	s_or_b64 exec, exec, s[16:17]
	s_and_b64 exec, exec, s[14:15]
	s_cbranch_execz .LBB1820_288
; %bb.281:
	s_add_i32 s14, s8, 16
	s_cmp_le_u32 s9, s14
	s_cselect_b64 s[0:1], -1, 0
	s_and_b64 s[16:17], s[0:1], exec
	s_cselect_b32 s15, 8, 10
	s_nor_b64 s[16:17], s[0:1], vcc
	v_mov_b32_e32 v6, s15
	s_and_saveexec_b64 s[0:1], s[16:17]
	s_cbranch_execz .LBB1820_283
; %bb.282:
	s_sub_i32 s15, s9, s14
	s_min_u32 s15, s15, 8
	v_lshrrev_b32_e32 v6, s14, v5
	v_bfe_u32 v6, v6, 0, s15
	v_lshlrev_b32_e32 v7, 2, v3
	v_lshl_or_b32 v6, v6, 4, v7
	v_mov_b32_e32 v7, 1
	ds_add_u32 v6, v7 offset:8192
	v_mov_b32_e32 v6, 0
.LBB1820_283:
	s_or_b64 exec, exec, s[0:1]
	v_cmp_gt_i32_e64 s[0:1], 10, v6
	s_mov_b64 s[14:15], -1
	s_and_saveexec_b64 s[16:17], s[0:1]
; %bb.284:
	v_cmp_eq_u32_e64 s[0:1], 0, v6
	s_orn2_b64 s[14:15], s[0:1], exec
; %bb.285:
	s_or_b64 exec, exec, s[16:17]
	s_and_b64 exec, exec, s[14:15]
	s_cbranch_execz .LBB1820_288
; %bb.286:
	s_add_i32 s0, s8, 24
	s_cmp_gt_u32 s9, s0
	s_cselect_b64 s[14:15], -1, 0
	s_xor_b64 s[16:17], vcc, -1
	s_and_b64 s[14:15], s[14:15], s[16:17]
	s_and_b64 exec, exec, s[14:15]
	s_cbranch_execz .LBB1820_288
; %bb.287:
	s_sub_i32 s1, s9, s0
	s_min_u32 s1, s1, 8
	v_lshrrev_b32_e32 v5, s0, v5
	v_bfe_u32 v5, v5, 0, s1
	v_lshlrev_b32_e32 v6, 2, v3
	v_lshl_or_b32 v5, v5, 4, v6
	v_mov_b32_e32 v6, 1
	ds_add_u32 v5, v6 offset:12288
.LBB1820_288:
	s_or_b64 exec, exec, s[12:13]
	v_cmp_le_u32_e32 vcc, s11, v4
	s_nor_b64 s[2:3], s[2:3], vcc
	v_mov_b32_e32 v4, s18
	s_and_saveexec_b64 s[0:1], s[2:3]
	s_cbranch_execz .LBB1820_290
; %bb.289:
	s_sub_i32 s2, s9, s8
	s_min_u32 s2, s2, 8
	v_lshrrev_b32_e32 v4, s8, v2
	v_bfe_u32 v4, v4, 0, s2
	v_lshlrev_b32_e32 v5, 2, v3
	v_lshl_or_b32 v4, v4, 4, v5
	v_mov_b32_e32 v5, 1
	ds_add_u32 v4, v5
	v_mov_b32_e32 v4, 0
.LBB1820_290:
	s_or_b64 exec, exec, s[0:1]
	v_cmp_gt_i32_e64 s[0:1], 10, v4
	s_mov_b64 s[12:13], -1
	s_and_saveexec_b64 s[2:3], s[0:1]
; %bb.291:
	v_cmp_eq_u32_e64 s[0:1], 0, v4
	s_orn2_b64 s[12:13], s[0:1], exec
; %bb.292:
	s_or_b64 exec, exec, s[2:3]
	s_and_saveexec_b64 s[2:3], s[12:13]
	s_cbranch_execz .LBB1820_305
; %bb.293:
	s_add_i32 s11, s8, 8
	s_cmp_le_u32 s9, s11
	s_cselect_b64 s[0:1], -1, 0
	s_and_b64 s[12:13], s[0:1], exec
	s_cselect_b32 s14, 8, 10
	s_nor_b64 s[12:13], s[0:1], vcc
	v_mov_b32_e32 v4, s14
	s_and_saveexec_b64 s[0:1], s[12:13]
	s_cbranch_execz .LBB1820_295
; %bb.294:
	s_sub_i32 s12, s9, s11
	s_min_u32 s12, s12, 8
	v_lshrrev_b32_e32 v4, s11, v2
	v_bfe_u32 v4, v4, 0, s12
	v_lshlrev_b32_e32 v5, 2, v3
	v_lshl_or_b32 v4, v4, 4, v5
	v_mov_b32_e32 v5, 1
	ds_add_u32 v4, v5 offset:4096
	v_mov_b32_e32 v4, 0
.LBB1820_295:
	s_or_b64 exec, exec, s[0:1]
	v_cmp_gt_i32_e64 s[0:1], 10, v4
	s_mov_b64 s[12:13], -1
	s_and_saveexec_b64 s[14:15], s[0:1]
; %bb.296:
	v_cmp_eq_u32_e64 s[0:1], 0, v4
	s_orn2_b64 s[12:13], s[0:1], exec
; %bb.297:
	s_or_b64 exec, exec, s[14:15]
	s_and_b64 exec, exec, s[12:13]
	s_cbranch_execz .LBB1820_305
; %bb.298:
	s_add_i32 s11, s8, 16
	s_cmp_le_u32 s9, s11
	s_cselect_b64 s[0:1], -1, 0
	s_and_b64 s[12:13], s[0:1], exec
	s_cselect_b32 s14, 8, 10
	s_nor_b64 s[12:13], s[0:1], vcc
	v_mov_b32_e32 v4, s14
	s_and_saveexec_b64 s[0:1], s[12:13]
	s_cbranch_execz .LBB1820_300
; %bb.299:
	s_sub_i32 s12, s9, s11
	s_min_u32 s12, s12, 8
	v_lshrrev_b32_e32 v4, s11, v2
	v_bfe_u32 v4, v4, 0, s12
	v_lshlrev_b32_e32 v5, 2, v3
	v_lshl_or_b32 v4, v4, 4, v5
	v_mov_b32_e32 v5, 1
	ds_add_u32 v4, v5 offset:8192
	v_mov_b32_e32 v4, 0
.LBB1820_300:
	s_or_b64 exec, exec, s[0:1]
	v_cmp_gt_i32_e64 s[0:1], 10, v4
	s_mov_b64 s[12:13], -1
	s_and_saveexec_b64 s[14:15], s[0:1]
; %bb.301:
	v_cmp_eq_u32_e64 s[0:1], 0, v4
	s_orn2_b64 s[12:13], s[0:1], exec
; %bb.302:
	s_or_b64 exec, exec, s[14:15]
	s_and_b64 exec, exec, s[12:13]
	s_cbranch_execz .LBB1820_305
; %bb.303:
	s_add_i32 s0, s8, 24
	s_cmp_gt_u32 s9, s0
	s_cselect_b64 s[12:13], -1, 0
	s_xor_b64 s[14:15], vcc, -1
	s_and_b64 s[12:13], s[12:13], s[14:15]
	s_and_b64 exec, exec, s[12:13]
	s_cbranch_execz .LBB1820_305
; %bb.304:
	s_sub_i32 s1, s9, s0
	s_min_u32 s1, s1, 8
	v_lshrrev_b32_e32 v2, s0, v2
	v_bfe_u32 v2, v2, 0, s1
	v_lshlrev_b32_e32 v3, 2, v3
	v_lshl_or_b32 v2, v2, 4, v3
	v_mov_b32_e32 v3, 1
	ds_add_u32 v2, v3 offset:12288
.LBB1820_305:
	s_or_b64 exec, exec, s[2:3]
	s_cmp_lt_u32 s8, s9
	s_waitcnt lgkmcnt(0)
	s_barrier
	s_cbranch_scc0 .LBB1820_310
; %bb.306:
	s_movk_i32 s0, 0x100
	v_cmp_gt_u32_e32 vcc, s0, v0
	v_mad_u32_u24 v1, v0, 12, v1
	v_mov_b32_e32 v3, 0
	v_mov_b32_e32 v2, v0
	s_mov_b32 s2, s8
	s_branch .LBB1820_308
.LBB1820_307:                           ;   in Loop: Header=BB1820_308 Depth=1
	s_or_b64 exec, exec, s[0:1]
	s_add_i32 s2, s2, 8
	v_add_u32_e32 v2, 0x100, v2
	s_cmp_lt_u32 s2, s9
	v_add_u32_e32 v1, 0x1000, v1
	s_cbranch_scc0 .LBB1820_310
.LBB1820_308:                           ; =>This Inner Loop Header: Depth=1
	s_and_saveexec_b64 s[0:1], vcc
	s_cbranch_execz .LBB1820_307
; %bb.309:                              ;   in Loop: Header=BB1820_308 Depth=1
	ds_read2_b32 v[4:5], v1 offset1:1
	ds_read2_b32 v[6:7], v1 offset0:2 offset1:3
	s_waitcnt lgkmcnt(1)
	v_add_u32_e32 v4, v5, v4
	s_waitcnt lgkmcnt(0)
	v_add3_u32 v6, v4, v6, v7
	v_lshl_add_u64 v[4:5], v[2:3], 2, s[6:7]
	global_atomic_add v[4:5], v6, off
	s_branch .LBB1820_307
.LBB1820_310:
	s_mov_b64 s[2:3], 0
.LBB1820_311:
	s_and_b64 vcc, exec, s[2:3]
	s_cbranch_vccz .LBB1820_419
; %bb.312:
	s_cmp_eq_u32 s8, 0
	s_cselect_b64 s[0:1], -1, 0
	s_cmp_eq_u32 s9, 32
	s_mov_b32 s11, 0
	s_cselect_b64 s[2:3], -1, 0
	s_and_b64 s[2:3], s[0:1], s[2:3]
	s_lshl_b64 s[0:1], s[10:11], 2
	s_add_u32 s0, s4, s0
	s_addc_u32 s1, s5, s1
	v_mov_b32_e32 v3, 0
	v_lshlrev_b32_e32 v2, 2, v0
	v_lshl_add_u64 v[4:5], s[0:1], 0, v[2:3]
	s_movk_i32 s4, 0x2000
	v_add_co_u32_e32 v22, vcc, s4, v4
	s_movk_i32 s4, 0x4000
	s_nop 0
	v_addc_co_u32_e32 v23, vcc, 0, v5, vcc
	v_add_co_u32_e32 v24, vcc, s4, v4
	s_movk_i32 s4, 0x6000
	s_nop 0
	v_addc_co_u32_e32 v25, vcc, 0, v5, vcc
	v_add_co_u32_e32 v14, vcc, s4, v4
	s_mov_b32 s4, 0x8000
	s_nop 0
	v_addc_co_u32_e32 v15, vcc, 0, v5, vcc
	v_add_co_u32_e32 v16, vcc, s4, v4
	s_mov_b32 s4, 0xa000
	;; [unrolled: 4-line block ×4, first 2 shown]
	s_nop 0
	v_addc_co_u32_e32 v21, vcc, 0, v5, vcc
	v_add_co_u32_e32 v26, vcc, s4, v4
	global_load_dword v1, v[14:15], off offset:-4096
	global_load_dword v6, v[14:15], off
	global_load_dword v7, v[16:17], off offset:-4096
	global_load_dword v8, v[16:17], off
	;; [unrolled: 2-line block ×4, first 2 shown]
	v_addc_co_u32_e32 v27, vcc, 0, v5, vcc
	v_add_co_u32_e32 v28, vcc, 0xe000, v4
	s_nop 1
	v_addc_co_u32_e32 v29, vcc, 0, v5, vcc
	v_add_co_u32_e32 v4, vcc, 0xf000, v4
	s_nop 1
	v_addc_co_u32_e32 v5, vcc, 0, v5, vcc
	global_load_dword v16, v2, s[0:1]
	global_load_dword v17, v[22:23], off offset:-4096
	global_load_dword v18, v[22:23], off
	global_load_dword v19, v[24:25], off offset:-4096
	global_load_dword v20, v[24:25], off
	global_load_dword v13, v[26:27], off
	;; [unrolled: 1-line block ×4, first 2 shown]
	s_mov_b64 s[0:1], -1
	s_and_b64 vcc, exec, s[2:3]
	s_cbranch_vccnz .LBB1820_416
; %bb.313:
	s_cmp_lt_u32 s8, s9
	s_cselect_b64 s[0:1], -1, 0
	s_and_b64 vcc, exec, s[0:1]
	ds_write2st64_b32 v2, v3, v3 offset1:16
	ds_write2st64_b32 v2, v3, v3 offset0:32 offset1:48
	s_waitcnt lgkmcnt(0)
	s_barrier
	s_cbranch_vccz .LBB1820_410
; %bb.314:
	s_sub_i32 s2, s9, s8
	s_waitcnt vmcnt(7)
	v_xor_b32_e32 v21, 0x7fffffff, v16
	s_min_u32 s2, s2, 8
	v_and_b32_e32 v3, 3, v0
	s_lshl_b32 s2, -1, s2
	v_lshrrev_b32_e32 v4, s8, v21
	v_bitop3_b32 v22, v4, s2, v4 bitop3:0x30
	v_lshlrev_b32_e32 v4, 2, v3
	v_lshl_or_b32 v22, v22, 4, v4
	v_mov_b32_e32 v23, 1
	s_not_b32 s13, s2
	ds_add_u32 v22, v23
	s_add_i32 s12, s8, 8
	s_waitcnt vmcnt(6)
	v_xor_b32_e32 v5, 0x7fffffff, v17
	s_cmp_le_u32 s9, s12
	s_cselect_b64 s[2:3], -1, 0
	v_lshrrev_b32_e32 v22, s8, v5
	s_and_b64 vcc, exec, s[2:3]
	v_and_b32_e32 v22, s13, v22
	s_cbranch_vccz .LBB1820_316
; %bb.315:
	v_lshlrev_b32_e32 v23, 4, v22
	s_mov_b64 s[4:5], -1
	s_cbranch_execz .LBB1820_317
	s_branch .LBB1820_324
.LBB1820_316:
	s_mov_b64 s[4:5], 0
                                        ; implicit-def: $vgpr23
.LBB1820_317:
	s_sub_i32 s10, s9, s12
	s_min_u32 s10, s10, 8
	s_lshl_b32 s10, -1, s10
	v_lshrrev_b32_e32 v23, s12, v21
	v_bitop3_b32 v23, v23, s10, v23 bitop3:0x30
	v_lshl_or_b32 v24, v23, 4, v4
	v_mov_b32_e32 v23, 1
	ds_add_u32 v24, v23 offset:4096
	s_not_b32 s15, s10
	s_add_i32 s14, s8, 16
	s_cmp_gt_u32 s9, s14
	s_cselect_b64 s[10:11], -1, 0
	s_cmp_le_u32 s9, s14
	s_cbranch_scc1 .LBB1820_320
; %bb.318:
	s_sub_i32 s16, s9, s14
	s_min_u32 s16, s16, 8
	v_lshrrev_b32_e32 v24, s14, v21
	v_bfe_u32 v24, v24, 0, s16
	v_lshl_or_b32 v24, v24, 4, v4
	ds_add_u32 v24, v23 offset:8192
	s_add_i32 s16, s8, 24
	s_cmp_le_u32 s9, s16
	s_cbranch_scc1 .LBB1820_320
; %bb.319:
	s_sub_i32 s17, s9, s16
	s_min_u32 s17, s17, 8
	v_lshrrev_b32_e32 v21, s16, v21
	v_bfe_u32 v21, v21, 0, s17
	v_lshl_or_b32 v21, v21, 4, v4
	v_mov_b32_e32 v24, 1
	ds_add_u32 v21, v24 offset:12288
.LBB1820_320:
	v_lshl_or_b32 v21, v22, 4, v4
	ds_add_u32 v21, v23
	v_lshrrev_b32_e32 v21, s12, v5
	v_and_b32_e32 v21, s15, v21
	v_lshl_or_b32 v21, v21, 4, v4
	ds_add_u32 v21, v23 offset:4096
	s_andn2_b64 vcc, exec, s[10:11]
	s_cbranch_vccnz .LBB1820_323
; %bb.321:
	s_sub_i32 s10, s9, s14
	s_min_u32 s10, s10, 8
	v_lshrrev_b32_e32 v21, s14, v5
	v_bfe_u32 v21, v21, 0, s10
	v_lshl_or_b32 v21, v21, 4, v4
	v_mov_b32_e32 v22, 1
	ds_add_u32 v21, v22 offset:8192
	s_add_i32 s10, s8, 24
	s_cmp_gt_u32 s9, s10
                                        ; implicit-def: $vgpr23
	s_cbranch_scc0 .LBB1820_324
; %bb.322:
	s_sub_i32 s4, s9, s10
	s_min_u32 s4, s4, 8
	v_lshrrev_b32_e32 v5, s10, v5
	v_bfe_u32 v5, v5, 0, s4
	v_mov_b32_e32 v21, 0x3000
	v_lshl_add_u32 v23, v5, 4, v21
	s_mov_b64 s[4:5], -1
	s_branch .LBB1820_324
.LBB1820_323:
                                        ; implicit-def: $vgpr23
.LBB1820_324:
	s_and_b64 vcc, exec, s[4:5]
	s_cbranch_vccz .LBB1820_326
; %bb.325:
	v_lshl_add_u32 v5, v3, 2, v23
	v_mov_b32_e32 v21, 1
	ds_add_u32 v5, v21
.LBB1820_326:
	s_waitcnt vmcnt(5)
	v_xor_b32_e32 v21, 0x7fffffff, v18
	v_lshrrev_b32_e32 v22, s8, v21
	v_and_b32_e32 v22, s13, v22
	v_lshl_or_b32 v22, v22, 4, v4
	v_mov_b32_e32 v23, 1
	ds_add_u32 v22, v23
	s_waitcnt vmcnt(4)
	v_xor_b32_e32 v5, 0x7fffffff, v19
	v_lshrrev_b32_e32 v22, s8, v5
	s_and_b64 vcc, exec, s[2:3]
	v_and_b32_e32 v22, s13, v22
	s_cbranch_vccz .LBB1820_328
; %bb.327:
	v_lshlrev_b32_e32 v23, 4, v22
	s_mov_b64 s[4:5], -1
	s_cbranch_execz .LBB1820_329
	s_branch .LBB1820_336
.LBB1820_328:
	s_mov_b64 s[4:5], 0
                                        ; implicit-def: $vgpr23
.LBB1820_329:
	s_sub_i32 s10, s9, s12
	s_min_u32 s10, s10, 8
	s_lshl_b32 s10, -1, s10
	v_lshrrev_b32_e32 v23, s12, v21
	v_bitop3_b32 v23, v23, s10, v23 bitop3:0x30
	v_lshl_or_b32 v24, v23, 4, v4
	v_mov_b32_e32 v23, 1
	ds_add_u32 v24, v23 offset:4096
	s_not_b32 s15, s10
	s_add_i32 s14, s8, 16
	s_cmp_gt_u32 s9, s14
	s_cselect_b64 s[10:11], -1, 0
	s_cmp_le_u32 s9, s14
	s_cbranch_scc1 .LBB1820_332
; %bb.330:
	s_sub_i32 s16, s9, s14
	s_min_u32 s16, s16, 8
	v_lshrrev_b32_e32 v24, s14, v21
	v_bfe_u32 v24, v24, 0, s16
	v_lshl_or_b32 v24, v24, 4, v4
	ds_add_u32 v24, v23 offset:8192
	s_add_i32 s16, s8, 24
	s_cmp_le_u32 s9, s16
	s_cbranch_scc1 .LBB1820_332
; %bb.331:
	s_sub_i32 s17, s9, s16
	s_min_u32 s17, s17, 8
	v_lshrrev_b32_e32 v21, s16, v21
	v_bfe_u32 v21, v21, 0, s17
	v_lshl_or_b32 v21, v21, 4, v4
	v_mov_b32_e32 v24, 1
	ds_add_u32 v21, v24 offset:12288
.LBB1820_332:
	v_lshl_or_b32 v21, v22, 4, v4
	ds_add_u32 v21, v23
	v_lshrrev_b32_e32 v21, s12, v5
	v_and_b32_e32 v21, s15, v21
	v_lshl_or_b32 v21, v21, 4, v4
	ds_add_u32 v21, v23 offset:4096
	s_andn2_b64 vcc, exec, s[10:11]
	s_cbranch_vccnz .LBB1820_335
; %bb.333:
	s_sub_i32 s10, s9, s14
	s_min_u32 s10, s10, 8
	v_lshrrev_b32_e32 v21, s14, v5
	v_bfe_u32 v21, v21, 0, s10
	v_lshl_or_b32 v21, v21, 4, v4
	v_mov_b32_e32 v22, 1
	ds_add_u32 v21, v22 offset:8192
	s_add_i32 s10, s8, 24
	s_cmp_gt_u32 s9, s10
                                        ; implicit-def: $vgpr23
	s_cbranch_scc0 .LBB1820_336
; %bb.334:
	s_sub_i32 s4, s9, s10
	s_min_u32 s4, s4, 8
	v_lshrrev_b32_e32 v5, s10, v5
	v_bfe_u32 v5, v5, 0, s4
	v_mov_b32_e32 v21, 0x3000
	v_lshl_add_u32 v23, v5, 4, v21
	s_mov_b64 s[4:5], -1
	s_branch .LBB1820_336
.LBB1820_335:
                                        ; implicit-def: $vgpr23
.LBB1820_336:
	s_and_b64 vcc, exec, s[4:5]
	s_cbranch_vccz .LBB1820_338
; %bb.337:
	v_lshl_add_u32 v5, v3, 2, v23
	v_mov_b32_e32 v21, 1
	ds_add_u32 v5, v21
.LBB1820_338:
	s_waitcnt vmcnt(3)
	v_xor_b32_e32 v21, 0x7fffffff, v20
	v_lshrrev_b32_e32 v22, s8, v21
	v_and_b32_e32 v22, s13, v22
	v_lshl_or_b32 v22, v22, 4, v4
	v_mov_b32_e32 v23, 1
	ds_add_u32 v22, v23
	v_xor_b32_e32 v5, 0x7fffffff, v1
	v_lshrrev_b32_e32 v22, s8, v5
	s_and_b64 vcc, exec, s[2:3]
	v_and_b32_e32 v22, s13, v22
	s_cbranch_vccz .LBB1820_340
; %bb.339:
	v_lshlrev_b32_e32 v23, 4, v22
	s_mov_b64 s[4:5], -1
	s_cbranch_execz .LBB1820_341
	s_branch .LBB1820_348
.LBB1820_340:
	s_mov_b64 s[4:5], 0
                                        ; implicit-def: $vgpr23
.LBB1820_341:
	s_sub_i32 s10, s9, s12
	s_min_u32 s10, s10, 8
	s_lshl_b32 s10, -1, s10
	v_lshrrev_b32_e32 v23, s12, v21
	v_bitop3_b32 v23, v23, s10, v23 bitop3:0x30
	v_lshl_or_b32 v24, v23, 4, v4
	v_mov_b32_e32 v23, 1
	ds_add_u32 v24, v23 offset:4096
	s_not_b32 s15, s10
	s_add_i32 s14, s8, 16
	s_cmp_gt_u32 s9, s14
	s_cselect_b64 s[10:11], -1, 0
	s_cmp_le_u32 s9, s14
	s_cbranch_scc1 .LBB1820_344
; %bb.342:
	s_sub_i32 s16, s9, s14
	s_min_u32 s16, s16, 8
	v_lshrrev_b32_e32 v24, s14, v21
	v_bfe_u32 v24, v24, 0, s16
	v_lshl_or_b32 v24, v24, 4, v4
	ds_add_u32 v24, v23 offset:8192
	s_add_i32 s16, s8, 24
	s_cmp_le_u32 s9, s16
	s_cbranch_scc1 .LBB1820_344
; %bb.343:
	s_sub_i32 s17, s9, s16
	s_min_u32 s17, s17, 8
	v_lshrrev_b32_e32 v21, s16, v21
	v_bfe_u32 v21, v21, 0, s17
	v_lshl_or_b32 v21, v21, 4, v4
	v_mov_b32_e32 v24, 1
	ds_add_u32 v21, v24 offset:12288
.LBB1820_344:
	v_lshl_or_b32 v21, v22, 4, v4
	ds_add_u32 v21, v23
	v_lshrrev_b32_e32 v21, s12, v5
	v_and_b32_e32 v21, s15, v21
	v_lshl_or_b32 v21, v21, 4, v4
	ds_add_u32 v21, v23 offset:4096
	s_andn2_b64 vcc, exec, s[10:11]
	s_cbranch_vccnz .LBB1820_347
; %bb.345:
	s_sub_i32 s10, s9, s14
	s_min_u32 s10, s10, 8
	v_lshrrev_b32_e32 v21, s14, v5
	v_bfe_u32 v21, v21, 0, s10
	v_lshl_or_b32 v21, v21, 4, v4
	v_mov_b32_e32 v22, 1
	ds_add_u32 v21, v22 offset:8192
	s_add_i32 s10, s8, 24
	s_cmp_gt_u32 s9, s10
                                        ; implicit-def: $vgpr23
	s_cbranch_scc0 .LBB1820_348
; %bb.346:
	s_sub_i32 s4, s9, s10
	s_min_u32 s4, s4, 8
	v_lshrrev_b32_e32 v5, s10, v5
	v_bfe_u32 v5, v5, 0, s4
	v_mov_b32_e32 v21, 0x3000
	v_lshl_add_u32 v23, v5, 4, v21
	s_mov_b64 s[4:5], -1
	s_branch .LBB1820_348
.LBB1820_347:
                                        ; implicit-def: $vgpr23
.LBB1820_348:
	s_and_b64 vcc, exec, s[4:5]
	s_cbranch_vccz .LBB1820_350
; %bb.349:
	v_lshl_add_u32 v5, v3, 2, v23
	v_mov_b32_e32 v21, 1
	ds_add_u32 v5, v21
.LBB1820_350:
	v_xor_b32_e32 v21, 0x7fffffff, v6
	v_lshrrev_b32_e32 v22, s8, v21
	v_and_b32_e32 v22, s13, v22
	v_lshl_or_b32 v22, v22, 4, v4
	v_mov_b32_e32 v23, 1
	ds_add_u32 v22, v23
	v_xor_b32_e32 v5, 0x7fffffff, v7
	v_lshrrev_b32_e32 v22, s8, v5
	s_and_b64 vcc, exec, s[2:3]
	v_and_b32_e32 v22, s13, v22
	s_cbranch_vccz .LBB1820_352
; %bb.351:
	v_lshlrev_b32_e32 v23, 4, v22
	s_mov_b64 s[4:5], -1
	s_cbranch_execz .LBB1820_353
	s_branch .LBB1820_360
.LBB1820_352:
	s_mov_b64 s[4:5], 0
                                        ; implicit-def: $vgpr23
.LBB1820_353:
	s_sub_i32 s10, s9, s12
	s_min_u32 s10, s10, 8
	s_lshl_b32 s10, -1, s10
	v_lshrrev_b32_e32 v23, s12, v21
	v_bitop3_b32 v23, v23, s10, v23 bitop3:0x30
	v_lshl_or_b32 v24, v23, 4, v4
	v_mov_b32_e32 v23, 1
	ds_add_u32 v24, v23 offset:4096
	s_not_b32 s15, s10
	s_add_i32 s14, s8, 16
	s_cmp_gt_u32 s9, s14
	s_cselect_b64 s[10:11], -1, 0
	s_cmp_le_u32 s9, s14
	s_cbranch_scc1 .LBB1820_356
; %bb.354:
	s_sub_i32 s16, s9, s14
	s_min_u32 s16, s16, 8
	v_lshrrev_b32_e32 v24, s14, v21
	v_bfe_u32 v24, v24, 0, s16
	v_lshl_or_b32 v24, v24, 4, v4
	ds_add_u32 v24, v23 offset:8192
	s_add_i32 s16, s8, 24
	s_cmp_le_u32 s9, s16
	s_cbranch_scc1 .LBB1820_356
; %bb.355:
	s_sub_i32 s17, s9, s16
	s_min_u32 s17, s17, 8
	v_lshrrev_b32_e32 v21, s16, v21
	v_bfe_u32 v21, v21, 0, s17
	v_lshl_or_b32 v21, v21, 4, v4
	v_mov_b32_e32 v24, 1
	ds_add_u32 v21, v24 offset:12288
.LBB1820_356:
	v_lshl_or_b32 v21, v22, 4, v4
	ds_add_u32 v21, v23
	v_lshrrev_b32_e32 v21, s12, v5
	v_and_b32_e32 v21, s15, v21
	v_lshl_or_b32 v21, v21, 4, v4
	ds_add_u32 v21, v23 offset:4096
	s_andn2_b64 vcc, exec, s[10:11]
	s_cbranch_vccnz .LBB1820_359
; %bb.357:
	s_sub_i32 s10, s9, s14
	s_min_u32 s10, s10, 8
	v_lshrrev_b32_e32 v21, s14, v5
	v_bfe_u32 v21, v21, 0, s10
	v_lshl_or_b32 v21, v21, 4, v4
	v_mov_b32_e32 v22, 1
	ds_add_u32 v21, v22 offset:8192
	s_add_i32 s10, s8, 24
	s_cmp_gt_u32 s9, s10
                                        ; implicit-def: $vgpr23
	s_cbranch_scc0 .LBB1820_360
; %bb.358:
	s_sub_i32 s4, s9, s10
	s_min_u32 s4, s4, 8
	v_lshrrev_b32_e32 v5, s10, v5
	v_bfe_u32 v5, v5, 0, s4
	v_mov_b32_e32 v21, 0x3000
	v_lshl_add_u32 v23, v5, 4, v21
	s_mov_b64 s[4:5], -1
	s_branch .LBB1820_360
.LBB1820_359:
                                        ; implicit-def: $vgpr23
.LBB1820_360:
	s_and_b64 vcc, exec, s[4:5]
	s_cbranch_vccz .LBB1820_362
; %bb.361:
	v_lshl_add_u32 v5, v3, 2, v23
	v_mov_b32_e32 v21, 1
	ds_add_u32 v5, v21
.LBB1820_362:
	v_xor_b32_e32 v21, 0x7fffffff, v8
	v_lshrrev_b32_e32 v22, s8, v21
	v_and_b32_e32 v22, s13, v22
	v_lshl_or_b32 v22, v22, 4, v4
	v_mov_b32_e32 v23, 1
	ds_add_u32 v22, v23
	v_xor_b32_e32 v5, 0x7fffffff, v9
	v_lshrrev_b32_e32 v22, s8, v5
	s_and_b64 vcc, exec, s[2:3]
	v_and_b32_e32 v22, s13, v22
	s_cbranch_vccz .LBB1820_364
; %bb.363:
	v_lshlrev_b32_e32 v23, 4, v22
	s_mov_b64 s[4:5], -1
	s_cbranch_execz .LBB1820_365
	s_branch .LBB1820_372
.LBB1820_364:
	s_mov_b64 s[4:5], 0
                                        ; implicit-def: $vgpr23
.LBB1820_365:
	s_sub_i32 s10, s9, s12
	s_min_u32 s10, s10, 8
	s_lshl_b32 s10, -1, s10
	v_lshrrev_b32_e32 v23, s12, v21
	v_bitop3_b32 v23, v23, s10, v23 bitop3:0x30
	v_lshl_or_b32 v24, v23, 4, v4
	v_mov_b32_e32 v23, 1
	ds_add_u32 v24, v23 offset:4096
	s_not_b32 s15, s10
	s_add_i32 s14, s8, 16
	s_cmp_gt_u32 s9, s14
	s_cselect_b64 s[10:11], -1, 0
	s_cmp_le_u32 s9, s14
	s_cbranch_scc1 .LBB1820_368
; %bb.366:
	s_sub_i32 s16, s9, s14
	s_min_u32 s16, s16, 8
	v_lshrrev_b32_e32 v24, s14, v21
	v_bfe_u32 v24, v24, 0, s16
	v_lshl_or_b32 v24, v24, 4, v4
	ds_add_u32 v24, v23 offset:8192
	s_add_i32 s16, s8, 24
	s_cmp_le_u32 s9, s16
	s_cbranch_scc1 .LBB1820_368
; %bb.367:
	s_sub_i32 s17, s9, s16
	s_min_u32 s17, s17, 8
	v_lshrrev_b32_e32 v21, s16, v21
	v_bfe_u32 v21, v21, 0, s17
	v_lshl_or_b32 v21, v21, 4, v4
	v_mov_b32_e32 v24, 1
	ds_add_u32 v21, v24 offset:12288
.LBB1820_368:
	v_lshl_or_b32 v21, v22, 4, v4
	ds_add_u32 v21, v23
	v_lshrrev_b32_e32 v21, s12, v5
	v_and_b32_e32 v21, s15, v21
	v_lshl_or_b32 v21, v21, 4, v4
	ds_add_u32 v21, v23 offset:4096
	s_andn2_b64 vcc, exec, s[10:11]
	s_cbranch_vccnz .LBB1820_371
; %bb.369:
	s_sub_i32 s10, s9, s14
	s_min_u32 s10, s10, 8
	v_lshrrev_b32_e32 v21, s14, v5
	v_bfe_u32 v21, v21, 0, s10
	v_lshl_or_b32 v21, v21, 4, v4
	v_mov_b32_e32 v22, 1
	ds_add_u32 v21, v22 offset:8192
	s_add_i32 s10, s8, 24
	s_cmp_gt_u32 s9, s10
                                        ; implicit-def: $vgpr23
	s_cbranch_scc0 .LBB1820_372
; %bb.370:
	s_sub_i32 s4, s9, s10
	s_min_u32 s4, s4, 8
	v_lshrrev_b32_e32 v5, s10, v5
	v_bfe_u32 v5, v5, 0, s4
	v_mov_b32_e32 v21, 0x3000
	v_lshl_add_u32 v23, v5, 4, v21
	s_mov_b64 s[4:5], -1
	s_branch .LBB1820_372
.LBB1820_371:
                                        ; implicit-def: $vgpr23
.LBB1820_372:
	s_and_b64 vcc, exec, s[4:5]
	s_cbranch_vccz .LBB1820_374
; %bb.373:
	v_lshl_add_u32 v5, v3, 2, v23
	v_mov_b32_e32 v21, 1
	ds_add_u32 v5, v21
.LBB1820_374:
	v_xor_b32_e32 v21, 0x7fffffff, v10
	v_lshrrev_b32_e32 v22, s8, v21
	v_and_b32_e32 v22, s13, v22
	v_lshl_or_b32 v22, v22, 4, v4
	v_mov_b32_e32 v23, 1
	ds_add_u32 v22, v23
	v_xor_b32_e32 v5, 0x7fffffff, v11
	v_lshrrev_b32_e32 v22, s8, v5
	s_and_b64 vcc, exec, s[2:3]
	v_and_b32_e32 v22, s13, v22
	s_cbranch_vccz .LBB1820_376
; %bb.375:
	v_lshlrev_b32_e32 v23, 4, v22
	s_mov_b64 s[4:5], -1
	s_cbranch_execz .LBB1820_377
	s_branch .LBB1820_384
.LBB1820_376:
	s_mov_b64 s[4:5], 0
                                        ; implicit-def: $vgpr23
.LBB1820_377:
	s_sub_i32 s10, s9, s12
	s_min_u32 s10, s10, 8
	s_lshl_b32 s10, -1, s10
	v_lshrrev_b32_e32 v23, s12, v21
	v_bitop3_b32 v23, v23, s10, v23 bitop3:0x30
	v_lshl_or_b32 v24, v23, 4, v4
	v_mov_b32_e32 v23, 1
	ds_add_u32 v24, v23 offset:4096
	s_not_b32 s15, s10
	s_add_i32 s14, s8, 16
	s_cmp_gt_u32 s9, s14
	s_cselect_b64 s[10:11], -1, 0
	s_cmp_le_u32 s9, s14
	s_cbranch_scc1 .LBB1820_380
; %bb.378:
	s_sub_i32 s16, s9, s14
	s_min_u32 s16, s16, 8
	v_lshrrev_b32_e32 v24, s14, v21
	v_bfe_u32 v24, v24, 0, s16
	v_lshl_or_b32 v24, v24, 4, v4
	ds_add_u32 v24, v23 offset:8192
	s_add_i32 s16, s8, 24
	s_cmp_le_u32 s9, s16
	s_cbranch_scc1 .LBB1820_380
; %bb.379:
	s_sub_i32 s17, s9, s16
	s_min_u32 s17, s17, 8
	v_lshrrev_b32_e32 v21, s16, v21
	v_bfe_u32 v21, v21, 0, s17
	v_lshl_or_b32 v21, v21, 4, v4
	v_mov_b32_e32 v24, 1
	ds_add_u32 v21, v24 offset:12288
.LBB1820_380:
	v_lshl_or_b32 v21, v22, 4, v4
	ds_add_u32 v21, v23
	v_lshrrev_b32_e32 v21, s12, v5
	v_and_b32_e32 v21, s15, v21
	v_lshl_or_b32 v21, v21, 4, v4
	ds_add_u32 v21, v23 offset:4096
	s_andn2_b64 vcc, exec, s[10:11]
	s_cbranch_vccnz .LBB1820_383
; %bb.381:
	s_sub_i32 s10, s9, s14
	s_min_u32 s10, s10, 8
	v_lshrrev_b32_e32 v21, s14, v5
	v_bfe_u32 v21, v21, 0, s10
	v_lshl_or_b32 v21, v21, 4, v4
	v_mov_b32_e32 v22, 1
	ds_add_u32 v21, v22 offset:8192
	s_add_i32 s10, s8, 24
	s_cmp_gt_u32 s9, s10
                                        ; implicit-def: $vgpr23
	s_cbranch_scc0 .LBB1820_384
; %bb.382:
	s_sub_i32 s4, s9, s10
	s_min_u32 s4, s4, 8
	v_lshrrev_b32_e32 v5, s10, v5
	v_bfe_u32 v5, v5, 0, s4
	v_mov_b32_e32 v21, 0x3000
	v_lshl_add_u32 v23, v5, 4, v21
	s_mov_b64 s[4:5], -1
	s_branch .LBB1820_384
.LBB1820_383:
                                        ; implicit-def: $vgpr23
.LBB1820_384:
	s_and_b64 vcc, exec, s[4:5]
	s_cbranch_vccz .LBB1820_386
; %bb.385:
	v_lshl_add_u32 v5, v3, 2, v23
	v_mov_b32_e32 v21, 1
	ds_add_u32 v5, v21
.LBB1820_386:
	v_xor_b32_e32 v21, 0x7fffffff, v12
	v_lshrrev_b32_e32 v22, s8, v21
	v_and_b32_e32 v22, s13, v22
	v_lshl_or_b32 v22, v22, 4, v4
	v_mov_b32_e32 v23, 1
	ds_add_u32 v22, v23
	s_waitcnt vmcnt(2)
	v_xor_b32_e32 v5, 0x7fffffff, v13
	v_lshrrev_b32_e32 v22, s8, v5
	s_and_b64 vcc, exec, s[2:3]
	v_and_b32_e32 v22, s13, v22
	s_cbranch_vccz .LBB1820_388
; %bb.387:
	v_lshlrev_b32_e32 v23, 4, v22
	s_mov_b64 s[4:5], -1
	s_cbranch_execz .LBB1820_389
	s_branch .LBB1820_396
.LBB1820_388:
	s_mov_b64 s[4:5], 0
                                        ; implicit-def: $vgpr23
.LBB1820_389:
	s_sub_i32 s10, s9, s12
	s_min_u32 s10, s10, 8
	s_lshl_b32 s10, -1, s10
	v_lshrrev_b32_e32 v23, s12, v21
	v_bitop3_b32 v23, v23, s10, v23 bitop3:0x30
	v_lshl_or_b32 v24, v23, 4, v4
	v_mov_b32_e32 v23, 1
	ds_add_u32 v24, v23 offset:4096
	s_not_b32 s15, s10
	s_add_i32 s14, s8, 16
	s_cmp_gt_u32 s9, s14
	s_cselect_b64 s[10:11], -1, 0
	s_cmp_le_u32 s9, s14
	s_cbranch_scc1 .LBB1820_392
; %bb.390:
	s_sub_i32 s16, s9, s14
	s_min_u32 s16, s16, 8
	v_lshrrev_b32_e32 v24, s14, v21
	v_bfe_u32 v24, v24, 0, s16
	v_lshl_or_b32 v24, v24, 4, v4
	ds_add_u32 v24, v23 offset:8192
	s_add_i32 s16, s8, 24
	s_cmp_le_u32 s9, s16
	s_cbranch_scc1 .LBB1820_392
; %bb.391:
	s_sub_i32 s17, s9, s16
	s_min_u32 s17, s17, 8
	v_lshrrev_b32_e32 v21, s16, v21
	v_bfe_u32 v21, v21, 0, s17
	v_lshl_or_b32 v21, v21, 4, v4
	v_mov_b32_e32 v24, 1
	ds_add_u32 v21, v24 offset:12288
.LBB1820_392:
	v_lshl_or_b32 v21, v22, 4, v4
	ds_add_u32 v21, v23
	v_lshrrev_b32_e32 v21, s12, v5
	v_and_b32_e32 v21, s15, v21
	v_lshl_or_b32 v21, v21, 4, v4
	ds_add_u32 v21, v23 offset:4096
	s_andn2_b64 vcc, exec, s[10:11]
	s_cbranch_vccnz .LBB1820_395
; %bb.393:
	s_sub_i32 s10, s9, s14
	s_min_u32 s10, s10, 8
	v_lshrrev_b32_e32 v21, s14, v5
	v_bfe_u32 v21, v21, 0, s10
	v_lshl_or_b32 v21, v21, 4, v4
	v_mov_b32_e32 v22, 1
	ds_add_u32 v21, v22 offset:8192
	s_add_i32 s10, s8, 24
	s_cmp_gt_u32 s9, s10
                                        ; implicit-def: $vgpr23
	s_cbranch_scc0 .LBB1820_396
; %bb.394:
	s_sub_i32 s4, s9, s10
	s_min_u32 s4, s4, 8
	v_lshrrev_b32_e32 v5, s10, v5
	v_bfe_u32 v5, v5, 0, s4
	v_mov_b32_e32 v21, 0x3000
	v_lshl_add_u32 v23, v5, 4, v21
	s_mov_b64 s[4:5], -1
	s_branch .LBB1820_396
.LBB1820_395:
                                        ; implicit-def: $vgpr23
.LBB1820_396:
	s_and_b64 vcc, exec, s[4:5]
	s_cbranch_vccz .LBB1820_398
; %bb.397:
	v_lshl_add_u32 v5, v3, 2, v23
	v_mov_b32_e32 v21, 1
	ds_add_u32 v5, v21
.LBB1820_398:
	s_waitcnt vmcnt(1)
	v_xor_b32_e32 v21, 0x7fffffff, v14
	v_lshrrev_b32_e32 v22, s8, v21
	v_and_b32_e32 v22, s13, v22
	v_lshl_or_b32 v22, v22, 4, v4
	v_mov_b32_e32 v23, 1
	ds_add_u32 v22, v23
	s_waitcnt vmcnt(0)
	v_xor_b32_e32 v5, 0x7fffffff, v15
	v_lshrrev_b32_e32 v22, s8, v5
	s_and_b64 vcc, exec, s[2:3]
	v_and_b32_e32 v22, s13, v22
	s_cbranch_vccz .LBB1820_400
; %bb.399:
	v_lshlrev_b32_e32 v23, 4, v22
	s_mov_b64 s[2:3], -1
	s_cbranch_execz .LBB1820_401
	s_branch .LBB1820_408
.LBB1820_400:
	s_mov_b64 s[2:3], 0
                                        ; implicit-def: $vgpr23
.LBB1820_401:
	s_sub_i32 s4, s9, s12
	s_min_u32 s4, s4, 8
	s_lshl_b32 s4, -1, s4
	v_lshrrev_b32_e32 v23, s12, v21
	v_bitop3_b32 v23, v23, s4, v23 bitop3:0x30
	v_lshl_or_b32 v24, v23, 4, v4
	v_mov_b32_e32 v23, 1
	ds_add_u32 v24, v23 offset:4096
	s_not_b32 s11, s4
	s_add_i32 s10, s8, 16
	s_cmp_gt_u32 s9, s10
	s_cselect_b64 s[4:5], -1, 0
	s_cmp_le_u32 s9, s10
	s_cbranch_scc1 .LBB1820_404
; %bb.402:
	s_sub_i32 s13, s9, s10
	s_min_u32 s13, s13, 8
	v_lshrrev_b32_e32 v24, s10, v21
	v_bfe_u32 v24, v24, 0, s13
	v_lshl_or_b32 v24, v24, 4, v4
	ds_add_u32 v24, v23 offset:8192
	s_add_i32 s13, s8, 24
	s_cmp_le_u32 s9, s13
	s_cbranch_scc1 .LBB1820_404
; %bb.403:
	s_sub_i32 s14, s9, s13
	s_min_u32 s14, s14, 8
	v_lshrrev_b32_e32 v21, s13, v21
	v_bfe_u32 v21, v21, 0, s14
	v_lshl_or_b32 v21, v21, 4, v4
	v_mov_b32_e32 v24, 1
	ds_add_u32 v21, v24 offset:12288
.LBB1820_404:
	v_lshl_or_b32 v21, v22, 4, v4
	ds_add_u32 v21, v23
	v_lshrrev_b32_e32 v21, s12, v5
	v_and_b32_e32 v21, s11, v21
	v_lshl_or_b32 v21, v21, 4, v4
	ds_add_u32 v21, v23 offset:4096
	s_andn2_b64 vcc, exec, s[4:5]
	s_cbranch_vccnz .LBB1820_407
; %bb.405:
	s_sub_i32 s4, s9, s10
	s_min_u32 s4, s4, 8
	v_lshrrev_b32_e32 v21, s10, v5
	v_bfe_u32 v21, v21, 0, s4
	v_lshl_or_b32 v4, v21, 4, v4
	v_mov_b32_e32 v21, 1
	ds_add_u32 v4, v21 offset:8192
	s_add_i32 s4, s8, 24
	s_cmp_gt_u32 s9, s4
                                        ; implicit-def: $vgpr23
	s_cbranch_scc0 .LBB1820_408
; %bb.406:
	s_sub_i32 s2, s9, s4
	s_min_u32 s2, s2, 8
	v_lshrrev_b32_e32 v4, s4, v5
	v_bfe_u32 v4, v4, 0, s2
	v_mov_b32_e32 v5, 0x3000
	v_lshl_add_u32 v23, v4, 4, v5
	s_mov_b64 s[2:3], -1
	s_branch .LBB1820_408
.LBB1820_407:
                                        ; implicit-def: $vgpr23
.LBB1820_408:
	s_and_b64 vcc, exec, s[2:3]
	s_cbranch_vccz .LBB1820_410
; %bb.409:
	v_lshl_add_u32 v3, v3, 2, v23
	v_mov_b32_e32 v4, 1
	ds_add_u32 v3, v4
.LBB1820_410:
	s_and_b64 vcc, exec, s[0:1]
	s_waitcnt lgkmcnt(0)
	s_barrier
	s_cbranch_vccz .LBB1820_415
; %bb.411:
	s_movk_i32 s0, 0x100
	v_cmp_gt_u32_e32 vcc, s0, v0
	v_lshlrev_b32_e32 v3, 4, v0
	v_mov_b32_e32 v5, 0
	v_mov_b32_e32 v4, v0
	s_branch .LBB1820_413
.LBB1820_412:                           ;   in Loop: Header=BB1820_413 Depth=1
	s_or_b64 exec, exec, s[0:1]
	s_add_i32 s8, s8, 8
	v_add_u32_e32 v4, 0x100, v4
	s_cmp_ge_u32 s8, s9
	v_add_u32_e32 v3, 0x1000, v3
	s_cbranch_scc1 .LBB1820_415
.LBB1820_413:                           ; =>This Inner Loop Header: Depth=1
	s_and_saveexec_b64 s[0:1], vcc
	s_cbranch_execz .LBB1820_412
; %bb.414:                              ;   in Loop: Header=BB1820_413 Depth=1
	ds_read2_b32 v[22:23], v3 offset1:1
	ds_read2_b32 v[24:25], v3 offset0:2 offset1:3
	s_waitcnt lgkmcnt(1)
	v_add_u32_e32 v21, v23, v22
	s_waitcnt lgkmcnt(0)
	v_add3_u32 v21, v21, v24, v25
	v_lshl_add_u64 v[22:23], v[4:5], 2, s[6:7]
	global_atomic_add v[22:23], v21, off
	s_branch .LBB1820_412
.LBB1820_415:
	s_mov_b64 s[0:1], 0
.LBB1820_416:
	s_and_b64 vcc, exec, s[0:1]
	s_cbranch_vccz .LBB1820_419
; %bb.417:
	v_mov_b32_e32 v3, 0
	ds_write2st64_b32 v2, v3, v3 offset1:16
	ds_write2st64_b32 v2, v3, v3 offset0:32 offset1:48
	s_waitcnt vmcnt(7)
	v_xor_b32_e32 v3, 0x7fffffff, v16
	s_waitcnt vmcnt(5)
	v_xor_b32_e32 v5, 0x7fffffff, v18
	v_and_b32_e32 v18, 3, v0
	s_waitcnt vmcnt(4)
	v_xor_b32_e32 v16, 0x7fffffff, v19
	v_lshlrev_b32_e32 v19, 4, v3
	v_lshlrev_b32_e32 v18, 2, v18
	s_movk_i32 s0, 0xff0
	v_xor_b32_e32 v4, 0x7fffffff, v17
	s_waitcnt vmcnt(3)
	v_xor_b32_e32 v17, 0x7fffffff, v20
	v_and_or_b32 v19, v19, s0, v18
	v_mov_b32_e32 v20, 1
	s_waitcnt lgkmcnt(0)
	s_barrier
	ds_add_u32 v19, v20
	v_bfe_u32 v19, v3, 8, 8
	v_lshl_or_b32 v19, v19, 4, v18
	ds_add_u32 v19, v20 offset:4096
	v_bfe_u32 v19, v3, 16, 8
	v_lshl_or_b32 v19, v19, 4, v18
	v_lshrrev_b32_e32 v3, 24, v3
	ds_add_u32 v19, v20 offset:8192
	v_lshl_or_b32 v3, v3, 4, v18
	ds_add_u32 v3, v20 offset:12288
	v_lshlrev_b32_e32 v3, 4, v4
	v_and_or_b32 v3, v3, s0, v18
	ds_add_u32 v3, v20
	v_bfe_u32 v3, v4, 8, 8
	v_lshl_or_b32 v3, v3, 4, v18
	ds_add_u32 v3, v20 offset:4096
	v_bfe_u32 v3, v4, 16, 8
	v_lshl_or_b32 v3, v3, 4, v18
	ds_add_u32 v3, v20 offset:8192
	v_lshrrev_b32_e32 v3, 24, v4
	v_lshl_or_b32 v3, v3, 4, v18
	ds_add_u32 v3, v20 offset:12288
	v_lshlrev_b32_e32 v3, 4, v5
	v_and_or_b32 v3, v3, s0, v18
	ds_add_u32 v3, v20
	v_bfe_u32 v3, v5, 8, 8
	v_lshl_or_b32 v3, v3, 4, v18
	ds_add_u32 v3, v20 offset:4096
	v_bfe_u32 v3, v5, 16, 8
	v_lshl_or_b32 v3, v3, 4, v18
	ds_add_u32 v3, v20 offset:8192
	v_lshrrev_b32_e32 v3, 24, v5
	;; [unrolled: 12-line block ×4, first 2 shown]
	v_xor_b32_e32 v1, 0x7fffffff, v1
	v_lshl_or_b32 v3, v3, 4, v18
	ds_add_u32 v3, v20 offset:12288
	v_lshlrev_b32_e32 v3, 4, v1
	v_and_or_b32 v3, v3, s0, v18
	ds_add_u32 v3, v20
	v_bfe_u32 v3, v1, 8, 8
	v_lshl_or_b32 v3, v3, 4, v18
	ds_add_u32 v3, v20 offset:4096
	v_bfe_u32 v3, v1, 16, 8
	v_lshl_or_b32 v3, v3, 4, v18
	v_lshrrev_b32_e32 v1, 24, v1
	v_xor_b32_e32 v6, 0x7fffffff, v6
	ds_add_u32 v3, v20 offset:8192
	v_lshl_or_b32 v1, v1, 4, v18
	ds_add_u32 v1, v20 offset:12288
	v_lshlrev_b32_e32 v1, 4, v6
	v_and_or_b32 v1, v1, s0, v18
	ds_add_u32 v1, v20
	v_bfe_u32 v1, v6, 8, 8
	v_lshl_or_b32 v1, v1, 4, v18
	ds_add_u32 v1, v20 offset:4096
	v_bfe_u32 v1, v6, 16, 8
	v_lshl_or_b32 v1, v1, 4, v18
	ds_add_u32 v1, v20 offset:8192
	v_lshrrev_b32_e32 v1, 24, v6
	v_xor_b32_e32 v7, 0x7fffffff, v7
	v_lshl_or_b32 v1, v1, 4, v18
	ds_add_u32 v1, v20 offset:12288
	v_lshlrev_b32_e32 v1, 4, v7
	v_and_or_b32 v1, v1, s0, v18
	ds_add_u32 v1, v20
	v_bfe_u32 v1, v7, 8, 8
	v_lshl_or_b32 v1, v1, 4, v18
	ds_add_u32 v1, v20 offset:4096
	v_bfe_u32 v1, v7, 16, 8
	v_lshl_or_b32 v1, v1, 4, v18
	ds_add_u32 v1, v20 offset:8192
	v_lshrrev_b32_e32 v1, 24, v7
	v_xor_b32_e32 v8, 0x7fffffff, v8
	;; [unrolled: 13-line block ×6, first 2 shown]
	v_lshl_or_b32 v1, v1, 4, v18
	ds_add_u32 v1, v20 offset:12288
	v_lshlrev_b32_e32 v1, 4, v12
	v_and_or_b32 v1, v1, s0, v18
	ds_add_u32 v1, v20
	v_bfe_u32 v1, v12, 8, 8
	v_lshl_or_b32 v1, v1, 4, v18
	ds_add_u32 v1, v20 offset:4096
	v_bfe_u32 v1, v12, 16, 8
	v_lshl_or_b32 v1, v1, 4, v18
	ds_add_u32 v1, v20 offset:8192
	v_lshrrev_b32_e32 v1, 24, v12
	s_waitcnt vmcnt(2)
	v_xor_b32_e32 v13, 0x7fffffff, v13
	v_lshl_or_b32 v1, v1, 4, v18
	ds_add_u32 v1, v20 offset:12288
	v_lshlrev_b32_e32 v1, 4, v13
	v_and_or_b32 v1, v1, s0, v18
	ds_add_u32 v1, v20
	v_bfe_u32 v1, v13, 8, 8
	v_lshl_or_b32 v1, v1, 4, v18
	ds_add_u32 v1, v20 offset:4096
	v_bfe_u32 v1, v13, 16, 8
	v_lshl_or_b32 v1, v1, 4, v18
	ds_add_u32 v1, v20 offset:8192
	v_lshrrev_b32_e32 v1, 24, v13
	s_waitcnt vmcnt(1)
	v_xor_b32_e32 v14, 0x7fffffff, v14
	;; [unrolled: 14-line block ×3, first 2 shown]
	v_lshl_or_b32 v1, v1, 4, v18
	ds_add_u32 v1, v20 offset:12288
	v_lshlrev_b32_e32 v1, 4, v15
	v_and_or_b32 v1, v1, s0, v18
	ds_add_u32 v1, v20
	v_bfe_u32 v1, v15, 8, 8
	v_lshl_or_b32 v1, v1, 4, v18
	ds_add_u32 v1, v20 offset:4096
	v_bfe_u32 v1, v15, 16, 8
	v_lshl_or_b32 v1, v1, 4, v18
	ds_add_u32 v1, v20 offset:8192
	v_lshrrev_b32_e32 v1, 24, v15
	v_lshl_or_b32 v1, v1, 4, v18
	ds_add_u32 v1, v20 offset:12288
	s_movk_i32 s0, 0x100
	v_cmp_gt_u32_e32 vcc, s0, v0
	s_waitcnt lgkmcnt(0)
	s_barrier
	s_and_saveexec_b64 s[0:1], vcc
	s_cbranch_execz .LBB1820_419
; %bb.418:
	v_lshlrev_b32_e32 v3, 4, v0
	ds_read2_b32 v[0:1], v3 offset1:1
	ds_read2_b32 v[4:5], v3 offset0:2 offset1:3
	v_add_u32_e32 v6, 0x1000, v3
	v_add_u32_e32 v7, 0x1008, v3
	s_waitcnt lgkmcnt(1)
	v_add_u32_e32 v0, v1, v0
	s_waitcnt lgkmcnt(0)
	v_add3_u32 v0, v0, v4, v5
	global_atomic_add v2, v0, s[6:7]
	ds_read2_b32 v[0:1], v6 offset1:1
	ds_read2_b32 v[4:5], v7 offset1:1
	v_add_u32_e32 v6, 0x2000, v3
	v_add_u32_e32 v7, 0x2008, v3
	s_waitcnt lgkmcnt(1)
	v_add_u32_e32 v0, v1, v0
	s_waitcnt lgkmcnt(0)
	v_add3_u32 v0, v0, v4, v5
	global_atomic_add v2, v0, s[6:7] offset:1024
	ds_read2_b32 v[0:1], v6 offset1:1
	ds_read2_b32 v[4:5], v7 offset1:1
	v_add_u32_e32 v6, 0x3000, v3
	v_add_u32_e32 v3, 0x3008, v3
	s_waitcnt lgkmcnt(1)
	v_add_u32_e32 v0, v1, v0
	s_waitcnt lgkmcnt(0)
	v_add3_u32 v0, v0, v4, v5
	global_atomic_add v2, v0, s[6:7] offset:2048
	ds_read2_b32 v[0:1], v6 offset1:1
	ds_read2_b32 v[4:5], v3 offset1:1
	s_waitcnt lgkmcnt(1)
	v_add_u32_e32 v0, v1, v0
	s_waitcnt lgkmcnt(0)
	v_add3_u32 v0, v0, v4, v5
	global_atomic_add v2, v0, s[6:7] offset:3072
.LBB1820_419:
	s_endpgm
	.section	.rodata,"a",@progbits
	.p2align	6, 0x0
	.amdhsa_kernel _ZN7rocprim17ROCPRIM_400000_NS6detail17trampoline_kernelINS0_14default_configENS1_35radix_sort_onesweep_config_selectorIiiEEZNS1_34radix_sort_onesweep_global_offsetsIS3_Lb1EN6thrust23THRUST_200600_302600_NS6detail15normal_iteratorINS8_10device_ptrIiEEEESD_jNS0_19identity_decomposerEEE10hipError_tT1_T2_PT3_SI_jT4_jjP12ihipStream_tbEUlT_E_NS1_11comp_targetILNS1_3genE6ELNS1_11target_archE950ELNS1_3gpuE13ELNS1_3repE0EEENS1_52radix_sort_onesweep_histogram_config_static_selectorELNS0_4arch9wavefront6targetE1EEEvSG_
		.amdhsa_group_segment_fixed_size 16384
		.amdhsa_private_segment_fixed_size 0
		.amdhsa_kernarg_size 40
		.amdhsa_user_sgpr_count 2
		.amdhsa_user_sgpr_dispatch_ptr 0
		.amdhsa_user_sgpr_queue_ptr 0
		.amdhsa_user_sgpr_kernarg_segment_ptr 1
		.amdhsa_user_sgpr_dispatch_id 0
		.amdhsa_user_sgpr_kernarg_preload_length 0
		.amdhsa_user_sgpr_kernarg_preload_offset 0
		.amdhsa_user_sgpr_private_segment_size 0
		.amdhsa_uses_dynamic_stack 0
		.amdhsa_enable_private_segment 0
		.amdhsa_system_sgpr_workgroup_id_x 1
		.amdhsa_system_sgpr_workgroup_id_y 0
		.amdhsa_system_sgpr_workgroup_id_z 0
		.amdhsa_system_sgpr_workgroup_info 0
		.amdhsa_system_vgpr_workitem_id 0
		.amdhsa_next_free_vgpr 36
		.amdhsa_next_free_sgpr 19
		.amdhsa_accum_offset 36
		.amdhsa_reserve_vcc 1
		.amdhsa_float_round_mode_32 0
		.amdhsa_float_round_mode_16_64 0
		.amdhsa_float_denorm_mode_32 3
		.amdhsa_float_denorm_mode_16_64 3
		.amdhsa_dx10_clamp 1
		.amdhsa_ieee_mode 1
		.amdhsa_fp16_overflow 0
		.amdhsa_tg_split 0
		.amdhsa_exception_fp_ieee_invalid_op 0
		.amdhsa_exception_fp_denorm_src 0
		.amdhsa_exception_fp_ieee_div_zero 0
		.amdhsa_exception_fp_ieee_overflow 0
		.amdhsa_exception_fp_ieee_underflow 0
		.amdhsa_exception_fp_ieee_inexact 0
		.amdhsa_exception_int_div_zero 0
	.end_amdhsa_kernel
	.section	.text._ZN7rocprim17ROCPRIM_400000_NS6detail17trampoline_kernelINS0_14default_configENS1_35radix_sort_onesweep_config_selectorIiiEEZNS1_34radix_sort_onesweep_global_offsetsIS3_Lb1EN6thrust23THRUST_200600_302600_NS6detail15normal_iteratorINS8_10device_ptrIiEEEESD_jNS0_19identity_decomposerEEE10hipError_tT1_T2_PT3_SI_jT4_jjP12ihipStream_tbEUlT_E_NS1_11comp_targetILNS1_3genE6ELNS1_11target_archE950ELNS1_3gpuE13ELNS1_3repE0EEENS1_52radix_sort_onesweep_histogram_config_static_selectorELNS0_4arch9wavefront6targetE1EEEvSG_,"axG",@progbits,_ZN7rocprim17ROCPRIM_400000_NS6detail17trampoline_kernelINS0_14default_configENS1_35radix_sort_onesweep_config_selectorIiiEEZNS1_34radix_sort_onesweep_global_offsetsIS3_Lb1EN6thrust23THRUST_200600_302600_NS6detail15normal_iteratorINS8_10device_ptrIiEEEESD_jNS0_19identity_decomposerEEE10hipError_tT1_T2_PT3_SI_jT4_jjP12ihipStream_tbEUlT_E_NS1_11comp_targetILNS1_3genE6ELNS1_11target_archE950ELNS1_3gpuE13ELNS1_3repE0EEENS1_52radix_sort_onesweep_histogram_config_static_selectorELNS0_4arch9wavefront6targetE1EEEvSG_,comdat
.Lfunc_end1820:
	.size	_ZN7rocprim17ROCPRIM_400000_NS6detail17trampoline_kernelINS0_14default_configENS1_35radix_sort_onesweep_config_selectorIiiEEZNS1_34radix_sort_onesweep_global_offsetsIS3_Lb1EN6thrust23THRUST_200600_302600_NS6detail15normal_iteratorINS8_10device_ptrIiEEEESD_jNS0_19identity_decomposerEEE10hipError_tT1_T2_PT3_SI_jT4_jjP12ihipStream_tbEUlT_E_NS1_11comp_targetILNS1_3genE6ELNS1_11target_archE950ELNS1_3gpuE13ELNS1_3repE0EEENS1_52radix_sort_onesweep_histogram_config_static_selectorELNS0_4arch9wavefront6targetE1EEEvSG_, .Lfunc_end1820-_ZN7rocprim17ROCPRIM_400000_NS6detail17trampoline_kernelINS0_14default_configENS1_35radix_sort_onesweep_config_selectorIiiEEZNS1_34radix_sort_onesweep_global_offsetsIS3_Lb1EN6thrust23THRUST_200600_302600_NS6detail15normal_iteratorINS8_10device_ptrIiEEEESD_jNS0_19identity_decomposerEEE10hipError_tT1_T2_PT3_SI_jT4_jjP12ihipStream_tbEUlT_E_NS1_11comp_targetILNS1_3genE6ELNS1_11target_archE950ELNS1_3gpuE13ELNS1_3repE0EEENS1_52radix_sort_onesweep_histogram_config_static_selectorELNS0_4arch9wavefront6targetE1EEEvSG_
                                        ; -- End function
	.set _ZN7rocprim17ROCPRIM_400000_NS6detail17trampoline_kernelINS0_14default_configENS1_35radix_sort_onesweep_config_selectorIiiEEZNS1_34radix_sort_onesweep_global_offsetsIS3_Lb1EN6thrust23THRUST_200600_302600_NS6detail15normal_iteratorINS8_10device_ptrIiEEEESD_jNS0_19identity_decomposerEEE10hipError_tT1_T2_PT3_SI_jT4_jjP12ihipStream_tbEUlT_E_NS1_11comp_targetILNS1_3genE6ELNS1_11target_archE950ELNS1_3gpuE13ELNS1_3repE0EEENS1_52radix_sort_onesweep_histogram_config_static_selectorELNS0_4arch9wavefront6targetE1EEEvSG_.num_vgpr, 36
	.set _ZN7rocprim17ROCPRIM_400000_NS6detail17trampoline_kernelINS0_14default_configENS1_35radix_sort_onesweep_config_selectorIiiEEZNS1_34radix_sort_onesweep_global_offsetsIS3_Lb1EN6thrust23THRUST_200600_302600_NS6detail15normal_iteratorINS8_10device_ptrIiEEEESD_jNS0_19identity_decomposerEEE10hipError_tT1_T2_PT3_SI_jT4_jjP12ihipStream_tbEUlT_E_NS1_11comp_targetILNS1_3genE6ELNS1_11target_archE950ELNS1_3gpuE13ELNS1_3repE0EEENS1_52radix_sort_onesweep_histogram_config_static_selectorELNS0_4arch9wavefront6targetE1EEEvSG_.num_agpr, 0
	.set _ZN7rocprim17ROCPRIM_400000_NS6detail17trampoline_kernelINS0_14default_configENS1_35radix_sort_onesweep_config_selectorIiiEEZNS1_34radix_sort_onesweep_global_offsetsIS3_Lb1EN6thrust23THRUST_200600_302600_NS6detail15normal_iteratorINS8_10device_ptrIiEEEESD_jNS0_19identity_decomposerEEE10hipError_tT1_T2_PT3_SI_jT4_jjP12ihipStream_tbEUlT_E_NS1_11comp_targetILNS1_3genE6ELNS1_11target_archE950ELNS1_3gpuE13ELNS1_3repE0EEENS1_52radix_sort_onesweep_histogram_config_static_selectorELNS0_4arch9wavefront6targetE1EEEvSG_.numbered_sgpr, 19
	.set _ZN7rocprim17ROCPRIM_400000_NS6detail17trampoline_kernelINS0_14default_configENS1_35radix_sort_onesweep_config_selectorIiiEEZNS1_34radix_sort_onesweep_global_offsetsIS3_Lb1EN6thrust23THRUST_200600_302600_NS6detail15normal_iteratorINS8_10device_ptrIiEEEESD_jNS0_19identity_decomposerEEE10hipError_tT1_T2_PT3_SI_jT4_jjP12ihipStream_tbEUlT_E_NS1_11comp_targetILNS1_3genE6ELNS1_11target_archE950ELNS1_3gpuE13ELNS1_3repE0EEENS1_52radix_sort_onesweep_histogram_config_static_selectorELNS0_4arch9wavefront6targetE1EEEvSG_.num_named_barrier, 0
	.set _ZN7rocprim17ROCPRIM_400000_NS6detail17trampoline_kernelINS0_14default_configENS1_35radix_sort_onesweep_config_selectorIiiEEZNS1_34radix_sort_onesweep_global_offsetsIS3_Lb1EN6thrust23THRUST_200600_302600_NS6detail15normal_iteratorINS8_10device_ptrIiEEEESD_jNS0_19identity_decomposerEEE10hipError_tT1_T2_PT3_SI_jT4_jjP12ihipStream_tbEUlT_E_NS1_11comp_targetILNS1_3genE6ELNS1_11target_archE950ELNS1_3gpuE13ELNS1_3repE0EEENS1_52radix_sort_onesweep_histogram_config_static_selectorELNS0_4arch9wavefront6targetE1EEEvSG_.private_seg_size, 0
	.set _ZN7rocprim17ROCPRIM_400000_NS6detail17trampoline_kernelINS0_14default_configENS1_35radix_sort_onesweep_config_selectorIiiEEZNS1_34radix_sort_onesweep_global_offsetsIS3_Lb1EN6thrust23THRUST_200600_302600_NS6detail15normal_iteratorINS8_10device_ptrIiEEEESD_jNS0_19identity_decomposerEEE10hipError_tT1_T2_PT3_SI_jT4_jjP12ihipStream_tbEUlT_E_NS1_11comp_targetILNS1_3genE6ELNS1_11target_archE950ELNS1_3gpuE13ELNS1_3repE0EEENS1_52radix_sort_onesweep_histogram_config_static_selectorELNS0_4arch9wavefront6targetE1EEEvSG_.uses_vcc, 1
	.set _ZN7rocprim17ROCPRIM_400000_NS6detail17trampoline_kernelINS0_14default_configENS1_35radix_sort_onesweep_config_selectorIiiEEZNS1_34radix_sort_onesweep_global_offsetsIS3_Lb1EN6thrust23THRUST_200600_302600_NS6detail15normal_iteratorINS8_10device_ptrIiEEEESD_jNS0_19identity_decomposerEEE10hipError_tT1_T2_PT3_SI_jT4_jjP12ihipStream_tbEUlT_E_NS1_11comp_targetILNS1_3genE6ELNS1_11target_archE950ELNS1_3gpuE13ELNS1_3repE0EEENS1_52radix_sort_onesweep_histogram_config_static_selectorELNS0_4arch9wavefront6targetE1EEEvSG_.uses_flat_scratch, 0
	.set _ZN7rocprim17ROCPRIM_400000_NS6detail17trampoline_kernelINS0_14default_configENS1_35radix_sort_onesweep_config_selectorIiiEEZNS1_34radix_sort_onesweep_global_offsetsIS3_Lb1EN6thrust23THRUST_200600_302600_NS6detail15normal_iteratorINS8_10device_ptrIiEEEESD_jNS0_19identity_decomposerEEE10hipError_tT1_T2_PT3_SI_jT4_jjP12ihipStream_tbEUlT_E_NS1_11comp_targetILNS1_3genE6ELNS1_11target_archE950ELNS1_3gpuE13ELNS1_3repE0EEENS1_52radix_sort_onesweep_histogram_config_static_selectorELNS0_4arch9wavefront6targetE1EEEvSG_.has_dyn_sized_stack, 0
	.set _ZN7rocprim17ROCPRIM_400000_NS6detail17trampoline_kernelINS0_14default_configENS1_35radix_sort_onesweep_config_selectorIiiEEZNS1_34radix_sort_onesweep_global_offsetsIS3_Lb1EN6thrust23THRUST_200600_302600_NS6detail15normal_iteratorINS8_10device_ptrIiEEEESD_jNS0_19identity_decomposerEEE10hipError_tT1_T2_PT3_SI_jT4_jjP12ihipStream_tbEUlT_E_NS1_11comp_targetILNS1_3genE6ELNS1_11target_archE950ELNS1_3gpuE13ELNS1_3repE0EEENS1_52radix_sort_onesweep_histogram_config_static_selectorELNS0_4arch9wavefront6targetE1EEEvSG_.has_recursion, 0
	.set _ZN7rocprim17ROCPRIM_400000_NS6detail17trampoline_kernelINS0_14default_configENS1_35radix_sort_onesweep_config_selectorIiiEEZNS1_34radix_sort_onesweep_global_offsetsIS3_Lb1EN6thrust23THRUST_200600_302600_NS6detail15normal_iteratorINS8_10device_ptrIiEEEESD_jNS0_19identity_decomposerEEE10hipError_tT1_T2_PT3_SI_jT4_jjP12ihipStream_tbEUlT_E_NS1_11comp_targetILNS1_3genE6ELNS1_11target_archE950ELNS1_3gpuE13ELNS1_3repE0EEENS1_52radix_sort_onesweep_histogram_config_static_selectorELNS0_4arch9wavefront6targetE1EEEvSG_.has_indirect_call, 0
	.section	.AMDGPU.csdata,"",@progbits
; Kernel info:
; codeLenInByte = 13888
; TotalNumSgprs: 25
; NumVgprs: 36
; NumAgprs: 0
; TotalNumVgprs: 36
; ScratchSize: 0
; MemoryBound: 0
; FloatMode: 240
; IeeeMode: 1
; LDSByteSize: 16384 bytes/workgroup (compile time only)
; SGPRBlocks: 3
; VGPRBlocks: 4
; NumSGPRsForWavesPerEU: 25
; NumVGPRsForWavesPerEU: 36
; AccumOffset: 36
; Occupancy: 8
; WaveLimiterHint : 1
; COMPUTE_PGM_RSRC2:SCRATCH_EN: 0
; COMPUTE_PGM_RSRC2:USER_SGPR: 2
; COMPUTE_PGM_RSRC2:TRAP_HANDLER: 0
; COMPUTE_PGM_RSRC2:TGID_X_EN: 1
; COMPUTE_PGM_RSRC2:TGID_Y_EN: 0
; COMPUTE_PGM_RSRC2:TGID_Z_EN: 0
; COMPUTE_PGM_RSRC2:TIDIG_COMP_CNT: 0
; COMPUTE_PGM_RSRC3_GFX90A:ACCUM_OFFSET: 8
; COMPUTE_PGM_RSRC3_GFX90A:TG_SPLIT: 0
	.section	.text._ZN7rocprim17ROCPRIM_400000_NS6detail17trampoline_kernelINS0_14default_configENS1_35radix_sort_onesweep_config_selectorIiiEEZNS1_34radix_sort_onesweep_global_offsetsIS3_Lb1EN6thrust23THRUST_200600_302600_NS6detail15normal_iteratorINS8_10device_ptrIiEEEESD_jNS0_19identity_decomposerEEE10hipError_tT1_T2_PT3_SI_jT4_jjP12ihipStream_tbEUlT_E_NS1_11comp_targetILNS1_3genE5ELNS1_11target_archE942ELNS1_3gpuE9ELNS1_3repE0EEENS1_52radix_sort_onesweep_histogram_config_static_selectorELNS0_4arch9wavefront6targetE1EEEvSG_,"axG",@progbits,_ZN7rocprim17ROCPRIM_400000_NS6detail17trampoline_kernelINS0_14default_configENS1_35radix_sort_onesweep_config_selectorIiiEEZNS1_34radix_sort_onesweep_global_offsetsIS3_Lb1EN6thrust23THRUST_200600_302600_NS6detail15normal_iteratorINS8_10device_ptrIiEEEESD_jNS0_19identity_decomposerEEE10hipError_tT1_T2_PT3_SI_jT4_jjP12ihipStream_tbEUlT_E_NS1_11comp_targetILNS1_3genE5ELNS1_11target_archE942ELNS1_3gpuE9ELNS1_3repE0EEENS1_52radix_sort_onesweep_histogram_config_static_selectorELNS0_4arch9wavefront6targetE1EEEvSG_,comdat
	.protected	_ZN7rocprim17ROCPRIM_400000_NS6detail17trampoline_kernelINS0_14default_configENS1_35radix_sort_onesweep_config_selectorIiiEEZNS1_34radix_sort_onesweep_global_offsetsIS3_Lb1EN6thrust23THRUST_200600_302600_NS6detail15normal_iteratorINS8_10device_ptrIiEEEESD_jNS0_19identity_decomposerEEE10hipError_tT1_T2_PT3_SI_jT4_jjP12ihipStream_tbEUlT_E_NS1_11comp_targetILNS1_3genE5ELNS1_11target_archE942ELNS1_3gpuE9ELNS1_3repE0EEENS1_52radix_sort_onesweep_histogram_config_static_selectorELNS0_4arch9wavefront6targetE1EEEvSG_ ; -- Begin function _ZN7rocprim17ROCPRIM_400000_NS6detail17trampoline_kernelINS0_14default_configENS1_35radix_sort_onesweep_config_selectorIiiEEZNS1_34radix_sort_onesweep_global_offsetsIS3_Lb1EN6thrust23THRUST_200600_302600_NS6detail15normal_iteratorINS8_10device_ptrIiEEEESD_jNS0_19identity_decomposerEEE10hipError_tT1_T2_PT3_SI_jT4_jjP12ihipStream_tbEUlT_E_NS1_11comp_targetILNS1_3genE5ELNS1_11target_archE942ELNS1_3gpuE9ELNS1_3repE0EEENS1_52radix_sort_onesweep_histogram_config_static_selectorELNS0_4arch9wavefront6targetE1EEEvSG_
	.globl	_ZN7rocprim17ROCPRIM_400000_NS6detail17trampoline_kernelINS0_14default_configENS1_35radix_sort_onesweep_config_selectorIiiEEZNS1_34radix_sort_onesweep_global_offsetsIS3_Lb1EN6thrust23THRUST_200600_302600_NS6detail15normal_iteratorINS8_10device_ptrIiEEEESD_jNS0_19identity_decomposerEEE10hipError_tT1_T2_PT3_SI_jT4_jjP12ihipStream_tbEUlT_E_NS1_11comp_targetILNS1_3genE5ELNS1_11target_archE942ELNS1_3gpuE9ELNS1_3repE0EEENS1_52radix_sort_onesweep_histogram_config_static_selectorELNS0_4arch9wavefront6targetE1EEEvSG_
	.p2align	8
	.type	_ZN7rocprim17ROCPRIM_400000_NS6detail17trampoline_kernelINS0_14default_configENS1_35radix_sort_onesweep_config_selectorIiiEEZNS1_34radix_sort_onesweep_global_offsetsIS3_Lb1EN6thrust23THRUST_200600_302600_NS6detail15normal_iteratorINS8_10device_ptrIiEEEESD_jNS0_19identity_decomposerEEE10hipError_tT1_T2_PT3_SI_jT4_jjP12ihipStream_tbEUlT_E_NS1_11comp_targetILNS1_3genE5ELNS1_11target_archE942ELNS1_3gpuE9ELNS1_3repE0EEENS1_52radix_sort_onesweep_histogram_config_static_selectorELNS0_4arch9wavefront6targetE1EEEvSG_,@function
_ZN7rocprim17ROCPRIM_400000_NS6detail17trampoline_kernelINS0_14default_configENS1_35radix_sort_onesweep_config_selectorIiiEEZNS1_34radix_sort_onesweep_global_offsetsIS3_Lb1EN6thrust23THRUST_200600_302600_NS6detail15normal_iteratorINS8_10device_ptrIiEEEESD_jNS0_19identity_decomposerEEE10hipError_tT1_T2_PT3_SI_jT4_jjP12ihipStream_tbEUlT_E_NS1_11comp_targetILNS1_3genE5ELNS1_11target_archE942ELNS1_3gpuE9ELNS1_3repE0EEENS1_52radix_sort_onesweep_histogram_config_static_selectorELNS0_4arch9wavefront6targetE1EEEvSG_: ; @_ZN7rocprim17ROCPRIM_400000_NS6detail17trampoline_kernelINS0_14default_configENS1_35radix_sort_onesweep_config_selectorIiiEEZNS1_34radix_sort_onesweep_global_offsetsIS3_Lb1EN6thrust23THRUST_200600_302600_NS6detail15normal_iteratorINS8_10device_ptrIiEEEESD_jNS0_19identity_decomposerEEE10hipError_tT1_T2_PT3_SI_jT4_jjP12ihipStream_tbEUlT_E_NS1_11comp_targetILNS1_3genE5ELNS1_11target_archE942ELNS1_3gpuE9ELNS1_3repE0EEENS1_52radix_sort_onesweep_histogram_config_static_selectorELNS0_4arch9wavefront6targetE1EEEvSG_
; %bb.0:
	.section	.rodata,"a",@progbits
	.p2align	6, 0x0
	.amdhsa_kernel _ZN7rocprim17ROCPRIM_400000_NS6detail17trampoline_kernelINS0_14default_configENS1_35radix_sort_onesweep_config_selectorIiiEEZNS1_34radix_sort_onesweep_global_offsetsIS3_Lb1EN6thrust23THRUST_200600_302600_NS6detail15normal_iteratorINS8_10device_ptrIiEEEESD_jNS0_19identity_decomposerEEE10hipError_tT1_T2_PT3_SI_jT4_jjP12ihipStream_tbEUlT_E_NS1_11comp_targetILNS1_3genE5ELNS1_11target_archE942ELNS1_3gpuE9ELNS1_3repE0EEENS1_52radix_sort_onesweep_histogram_config_static_selectorELNS0_4arch9wavefront6targetE1EEEvSG_
		.amdhsa_group_segment_fixed_size 0
		.amdhsa_private_segment_fixed_size 0
		.amdhsa_kernarg_size 40
		.amdhsa_user_sgpr_count 2
		.amdhsa_user_sgpr_dispatch_ptr 0
		.amdhsa_user_sgpr_queue_ptr 0
		.amdhsa_user_sgpr_kernarg_segment_ptr 1
		.amdhsa_user_sgpr_dispatch_id 0
		.amdhsa_user_sgpr_kernarg_preload_length 0
		.amdhsa_user_sgpr_kernarg_preload_offset 0
		.amdhsa_user_sgpr_private_segment_size 0
		.amdhsa_uses_dynamic_stack 0
		.amdhsa_enable_private_segment 0
		.amdhsa_system_sgpr_workgroup_id_x 1
		.amdhsa_system_sgpr_workgroup_id_y 0
		.amdhsa_system_sgpr_workgroup_id_z 0
		.amdhsa_system_sgpr_workgroup_info 0
		.amdhsa_system_vgpr_workitem_id 0
		.amdhsa_next_free_vgpr 1
		.amdhsa_next_free_sgpr 0
		.amdhsa_accum_offset 4
		.amdhsa_reserve_vcc 0
		.amdhsa_float_round_mode_32 0
		.amdhsa_float_round_mode_16_64 0
		.amdhsa_float_denorm_mode_32 3
		.amdhsa_float_denorm_mode_16_64 3
		.amdhsa_dx10_clamp 1
		.amdhsa_ieee_mode 1
		.amdhsa_fp16_overflow 0
		.amdhsa_tg_split 0
		.amdhsa_exception_fp_ieee_invalid_op 0
		.amdhsa_exception_fp_denorm_src 0
		.amdhsa_exception_fp_ieee_div_zero 0
		.amdhsa_exception_fp_ieee_overflow 0
		.amdhsa_exception_fp_ieee_underflow 0
		.amdhsa_exception_fp_ieee_inexact 0
		.amdhsa_exception_int_div_zero 0
	.end_amdhsa_kernel
	.section	.text._ZN7rocprim17ROCPRIM_400000_NS6detail17trampoline_kernelINS0_14default_configENS1_35radix_sort_onesweep_config_selectorIiiEEZNS1_34radix_sort_onesweep_global_offsetsIS3_Lb1EN6thrust23THRUST_200600_302600_NS6detail15normal_iteratorINS8_10device_ptrIiEEEESD_jNS0_19identity_decomposerEEE10hipError_tT1_T2_PT3_SI_jT4_jjP12ihipStream_tbEUlT_E_NS1_11comp_targetILNS1_3genE5ELNS1_11target_archE942ELNS1_3gpuE9ELNS1_3repE0EEENS1_52radix_sort_onesweep_histogram_config_static_selectorELNS0_4arch9wavefront6targetE1EEEvSG_,"axG",@progbits,_ZN7rocprim17ROCPRIM_400000_NS6detail17trampoline_kernelINS0_14default_configENS1_35radix_sort_onesweep_config_selectorIiiEEZNS1_34radix_sort_onesweep_global_offsetsIS3_Lb1EN6thrust23THRUST_200600_302600_NS6detail15normal_iteratorINS8_10device_ptrIiEEEESD_jNS0_19identity_decomposerEEE10hipError_tT1_T2_PT3_SI_jT4_jjP12ihipStream_tbEUlT_E_NS1_11comp_targetILNS1_3genE5ELNS1_11target_archE942ELNS1_3gpuE9ELNS1_3repE0EEENS1_52radix_sort_onesweep_histogram_config_static_selectorELNS0_4arch9wavefront6targetE1EEEvSG_,comdat
.Lfunc_end1821:
	.size	_ZN7rocprim17ROCPRIM_400000_NS6detail17trampoline_kernelINS0_14default_configENS1_35radix_sort_onesweep_config_selectorIiiEEZNS1_34radix_sort_onesweep_global_offsetsIS3_Lb1EN6thrust23THRUST_200600_302600_NS6detail15normal_iteratorINS8_10device_ptrIiEEEESD_jNS0_19identity_decomposerEEE10hipError_tT1_T2_PT3_SI_jT4_jjP12ihipStream_tbEUlT_E_NS1_11comp_targetILNS1_3genE5ELNS1_11target_archE942ELNS1_3gpuE9ELNS1_3repE0EEENS1_52radix_sort_onesweep_histogram_config_static_selectorELNS0_4arch9wavefront6targetE1EEEvSG_, .Lfunc_end1821-_ZN7rocprim17ROCPRIM_400000_NS6detail17trampoline_kernelINS0_14default_configENS1_35radix_sort_onesweep_config_selectorIiiEEZNS1_34radix_sort_onesweep_global_offsetsIS3_Lb1EN6thrust23THRUST_200600_302600_NS6detail15normal_iteratorINS8_10device_ptrIiEEEESD_jNS0_19identity_decomposerEEE10hipError_tT1_T2_PT3_SI_jT4_jjP12ihipStream_tbEUlT_E_NS1_11comp_targetILNS1_3genE5ELNS1_11target_archE942ELNS1_3gpuE9ELNS1_3repE0EEENS1_52radix_sort_onesweep_histogram_config_static_selectorELNS0_4arch9wavefront6targetE1EEEvSG_
                                        ; -- End function
	.set _ZN7rocprim17ROCPRIM_400000_NS6detail17trampoline_kernelINS0_14default_configENS1_35radix_sort_onesweep_config_selectorIiiEEZNS1_34radix_sort_onesweep_global_offsetsIS3_Lb1EN6thrust23THRUST_200600_302600_NS6detail15normal_iteratorINS8_10device_ptrIiEEEESD_jNS0_19identity_decomposerEEE10hipError_tT1_T2_PT3_SI_jT4_jjP12ihipStream_tbEUlT_E_NS1_11comp_targetILNS1_3genE5ELNS1_11target_archE942ELNS1_3gpuE9ELNS1_3repE0EEENS1_52radix_sort_onesweep_histogram_config_static_selectorELNS0_4arch9wavefront6targetE1EEEvSG_.num_vgpr, 0
	.set _ZN7rocprim17ROCPRIM_400000_NS6detail17trampoline_kernelINS0_14default_configENS1_35radix_sort_onesweep_config_selectorIiiEEZNS1_34radix_sort_onesweep_global_offsetsIS3_Lb1EN6thrust23THRUST_200600_302600_NS6detail15normal_iteratorINS8_10device_ptrIiEEEESD_jNS0_19identity_decomposerEEE10hipError_tT1_T2_PT3_SI_jT4_jjP12ihipStream_tbEUlT_E_NS1_11comp_targetILNS1_3genE5ELNS1_11target_archE942ELNS1_3gpuE9ELNS1_3repE0EEENS1_52radix_sort_onesweep_histogram_config_static_selectorELNS0_4arch9wavefront6targetE1EEEvSG_.num_agpr, 0
	.set _ZN7rocprim17ROCPRIM_400000_NS6detail17trampoline_kernelINS0_14default_configENS1_35radix_sort_onesweep_config_selectorIiiEEZNS1_34radix_sort_onesweep_global_offsetsIS3_Lb1EN6thrust23THRUST_200600_302600_NS6detail15normal_iteratorINS8_10device_ptrIiEEEESD_jNS0_19identity_decomposerEEE10hipError_tT1_T2_PT3_SI_jT4_jjP12ihipStream_tbEUlT_E_NS1_11comp_targetILNS1_3genE5ELNS1_11target_archE942ELNS1_3gpuE9ELNS1_3repE0EEENS1_52radix_sort_onesweep_histogram_config_static_selectorELNS0_4arch9wavefront6targetE1EEEvSG_.numbered_sgpr, 0
	.set _ZN7rocprim17ROCPRIM_400000_NS6detail17trampoline_kernelINS0_14default_configENS1_35radix_sort_onesweep_config_selectorIiiEEZNS1_34radix_sort_onesweep_global_offsetsIS3_Lb1EN6thrust23THRUST_200600_302600_NS6detail15normal_iteratorINS8_10device_ptrIiEEEESD_jNS0_19identity_decomposerEEE10hipError_tT1_T2_PT3_SI_jT4_jjP12ihipStream_tbEUlT_E_NS1_11comp_targetILNS1_3genE5ELNS1_11target_archE942ELNS1_3gpuE9ELNS1_3repE0EEENS1_52radix_sort_onesweep_histogram_config_static_selectorELNS0_4arch9wavefront6targetE1EEEvSG_.num_named_barrier, 0
	.set _ZN7rocprim17ROCPRIM_400000_NS6detail17trampoline_kernelINS0_14default_configENS1_35radix_sort_onesweep_config_selectorIiiEEZNS1_34radix_sort_onesweep_global_offsetsIS3_Lb1EN6thrust23THRUST_200600_302600_NS6detail15normal_iteratorINS8_10device_ptrIiEEEESD_jNS0_19identity_decomposerEEE10hipError_tT1_T2_PT3_SI_jT4_jjP12ihipStream_tbEUlT_E_NS1_11comp_targetILNS1_3genE5ELNS1_11target_archE942ELNS1_3gpuE9ELNS1_3repE0EEENS1_52radix_sort_onesweep_histogram_config_static_selectorELNS0_4arch9wavefront6targetE1EEEvSG_.private_seg_size, 0
	.set _ZN7rocprim17ROCPRIM_400000_NS6detail17trampoline_kernelINS0_14default_configENS1_35radix_sort_onesweep_config_selectorIiiEEZNS1_34radix_sort_onesweep_global_offsetsIS3_Lb1EN6thrust23THRUST_200600_302600_NS6detail15normal_iteratorINS8_10device_ptrIiEEEESD_jNS0_19identity_decomposerEEE10hipError_tT1_T2_PT3_SI_jT4_jjP12ihipStream_tbEUlT_E_NS1_11comp_targetILNS1_3genE5ELNS1_11target_archE942ELNS1_3gpuE9ELNS1_3repE0EEENS1_52radix_sort_onesweep_histogram_config_static_selectorELNS0_4arch9wavefront6targetE1EEEvSG_.uses_vcc, 0
	.set _ZN7rocprim17ROCPRIM_400000_NS6detail17trampoline_kernelINS0_14default_configENS1_35radix_sort_onesweep_config_selectorIiiEEZNS1_34radix_sort_onesweep_global_offsetsIS3_Lb1EN6thrust23THRUST_200600_302600_NS6detail15normal_iteratorINS8_10device_ptrIiEEEESD_jNS0_19identity_decomposerEEE10hipError_tT1_T2_PT3_SI_jT4_jjP12ihipStream_tbEUlT_E_NS1_11comp_targetILNS1_3genE5ELNS1_11target_archE942ELNS1_3gpuE9ELNS1_3repE0EEENS1_52radix_sort_onesweep_histogram_config_static_selectorELNS0_4arch9wavefront6targetE1EEEvSG_.uses_flat_scratch, 0
	.set _ZN7rocprim17ROCPRIM_400000_NS6detail17trampoline_kernelINS0_14default_configENS1_35radix_sort_onesweep_config_selectorIiiEEZNS1_34radix_sort_onesweep_global_offsetsIS3_Lb1EN6thrust23THRUST_200600_302600_NS6detail15normal_iteratorINS8_10device_ptrIiEEEESD_jNS0_19identity_decomposerEEE10hipError_tT1_T2_PT3_SI_jT4_jjP12ihipStream_tbEUlT_E_NS1_11comp_targetILNS1_3genE5ELNS1_11target_archE942ELNS1_3gpuE9ELNS1_3repE0EEENS1_52radix_sort_onesweep_histogram_config_static_selectorELNS0_4arch9wavefront6targetE1EEEvSG_.has_dyn_sized_stack, 0
	.set _ZN7rocprim17ROCPRIM_400000_NS6detail17trampoline_kernelINS0_14default_configENS1_35radix_sort_onesweep_config_selectorIiiEEZNS1_34radix_sort_onesweep_global_offsetsIS3_Lb1EN6thrust23THRUST_200600_302600_NS6detail15normal_iteratorINS8_10device_ptrIiEEEESD_jNS0_19identity_decomposerEEE10hipError_tT1_T2_PT3_SI_jT4_jjP12ihipStream_tbEUlT_E_NS1_11comp_targetILNS1_3genE5ELNS1_11target_archE942ELNS1_3gpuE9ELNS1_3repE0EEENS1_52radix_sort_onesweep_histogram_config_static_selectorELNS0_4arch9wavefront6targetE1EEEvSG_.has_recursion, 0
	.set _ZN7rocprim17ROCPRIM_400000_NS6detail17trampoline_kernelINS0_14default_configENS1_35radix_sort_onesweep_config_selectorIiiEEZNS1_34radix_sort_onesweep_global_offsetsIS3_Lb1EN6thrust23THRUST_200600_302600_NS6detail15normal_iteratorINS8_10device_ptrIiEEEESD_jNS0_19identity_decomposerEEE10hipError_tT1_T2_PT3_SI_jT4_jjP12ihipStream_tbEUlT_E_NS1_11comp_targetILNS1_3genE5ELNS1_11target_archE942ELNS1_3gpuE9ELNS1_3repE0EEENS1_52radix_sort_onesweep_histogram_config_static_selectorELNS0_4arch9wavefront6targetE1EEEvSG_.has_indirect_call, 0
	.section	.AMDGPU.csdata,"",@progbits
; Kernel info:
; codeLenInByte = 0
; TotalNumSgprs: 6
; NumVgprs: 0
; NumAgprs: 0
; TotalNumVgprs: 0
; ScratchSize: 0
; MemoryBound: 0
; FloatMode: 240
; IeeeMode: 1
; LDSByteSize: 0 bytes/workgroup (compile time only)
; SGPRBlocks: 0
; VGPRBlocks: 0
; NumSGPRsForWavesPerEU: 6
; NumVGPRsForWavesPerEU: 1
; AccumOffset: 4
; Occupancy: 8
; WaveLimiterHint : 0
; COMPUTE_PGM_RSRC2:SCRATCH_EN: 0
; COMPUTE_PGM_RSRC2:USER_SGPR: 2
; COMPUTE_PGM_RSRC2:TRAP_HANDLER: 0
; COMPUTE_PGM_RSRC2:TGID_X_EN: 1
; COMPUTE_PGM_RSRC2:TGID_Y_EN: 0
; COMPUTE_PGM_RSRC2:TGID_Z_EN: 0
; COMPUTE_PGM_RSRC2:TIDIG_COMP_CNT: 0
; COMPUTE_PGM_RSRC3_GFX90A:ACCUM_OFFSET: 0
; COMPUTE_PGM_RSRC3_GFX90A:TG_SPLIT: 0
	.section	.text._ZN7rocprim17ROCPRIM_400000_NS6detail17trampoline_kernelINS0_14default_configENS1_35radix_sort_onesweep_config_selectorIiiEEZNS1_34radix_sort_onesweep_global_offsetsIS3_Lb1EN6thrust23THRUST_200600_302600_NS6detail15normal_iteratorINS8_10device_ptrIiEEEESD_jNS0_19identity_decomposerEEE10hipError_tT1_T2_PT3_SI_jT4_jjP12ihipStream_tbEUlT_E_NS1_11comp_targetILNS1_3genE2ELNS1_11target_archE906ELNS1_3gpuE6ELNS1_3repE0EEENS1_52radix_sort_onesweep_histogram_config_static_selectorELNS0_4arch9wavefront6targetE1EEEvSG_,"axG",@progbits,_ZN7rocprim17ROCPRIM_400000_NS6detail17trampoline_kernelINS0_14default_configENS1_35radix_sort_onesweep_config_selectorIiiEEZNS1_34radix_sort_onesweep_global_offsetsIS3_Lb1EN6thrust23THRUST_200600_302600_NS6detail15normal_iteratorINS8_10device_ptrIiEEEESD_jNS0_19identity_decomposerEEE10hipError_tT1_T2_PT3_SI_jT4_jjP12ihipStream_tbEUlT_E_NS1_11comp_targetILNS1_3genE2ELNS1_11target_archE906ELNS1_3gpuE6ELNS1_3repE0EEENS1_52radix_sort_onesweep_histogram_config_static_selectorELNS0_4arch9wavefront6targetE1EEEvSG_,comdat
	.protected	_ZN7rocprim17ROCPRIM_400000_NS6detail17trampoline_kernelINS0_14default_configENS1_35radix_sort_onesweep_config_selectorIiiEEZNS1_34radix_sort_onesweep_global_offsetsIS3_Lb1EN6thrust23THRUST_200600_302600_NS6detail15normal_iteratorINS8_10device_ptrIiEEEESD_jNS0_19identity_decomposerEEE10hipError_tT1_T2_PT3_SI_jT4_jjP12ihipStream_tbEUlT_E_NS1_11comp_targetILNS1_3genE2ELNS1_11target_archE906ELNS1_3gpuE6ELNS1_3repE0EEENS1_52radix_sort_onesweep_histogram_config_static_selectorELNS0_4arch9wavefront6targetE1EEEvSG_ ; -- Begin function _ZN7rocprim17ROCPRIM_400000_NS6detail17trampoline_kernelINS0_14default_configENS1_35radix_sort_onesweep_config_selectorIiiEEZNS1_34radix_sort_onesweep_global_offsetsIS3_Lb1EN6thrust23THRUST_200600_302600_NS6detail15normal_iteratorINS8_10device_ptrIiEEEESD_jNS0_19identity_decomposerEEE10hipError_tT1_T2_PT3_SI_jT4_jjP12ihipStream_tbEUlT_E_NS1_11comp_targetILNS1_3genE2ELNS1_11target_archE906ELNS1_3gpuE6ELNS1_3repE0EEENS1_52radix_sort_onesweep_histogram_config_static_selectorELNS0_4arch9wavefront6targetE1EEEvSG_
	.globl	_ZN7rocprim17ROCPRIM_400000_NS6detail17trampoline_kernelINS0_14default_configENS1_35radix_sort_onesweep_config_selectorIiiEEZNS1_34radix_sort_onesweep_global_offsetsIS3_Lb1EN6thrust23THRUST_200600_302600_NS6detail15normal_iteratorINS8_10device_ptrIiEEEESD_jNS0_19identity_decomposerEEE10hipError_tT1_T2_PT3_SI_jT4_jjP12ihipStream_tbEUlT_E_NS1_11comp_targetILNS1_3genE2ELNS1_11target_archE906ELNS1_3gpuE6ELNS1_3repE0EEENS1_52radix_sort_onesweep_histogram_config_static_selectorELNS0_4arch9wavefront6targetE1EEEvSG_
	.p2align	8
	.type	_ZN7rocprim17ROCPRIM_400000_NS6detail17trampoline_kernelINS0_14default_configENS1_35radix_sort_onesweep_config_selectorIiiEEZNS1_34radix_sort_onesweep_global_offsetsIS3_Lb1EN6thrust23THRUST_200600_302600_NS6detail15normal_iteratorINS8_10device_ptrIiEEEESD_jNS0_19identity_decomposerEEE10hipError_tT1_T2_PT3_SI_jT4_jjP12ihipStream_tbEUlT_E_NS1_11comp_targetILNS1_3genE2ELNS1_11target_archE906ELNS1_3gpuE6ELNS1_3repE0EEENS1_52radix_sort_onesweep_histogram_config_static_selectorELNS0_4arch9wavefront6targetE1EEEvSG_,@function
_ZN7rocprim17ROCPRIM_400000_NS6detail17trampoline_kernelINS0_14default_configENS1_35radix_sort_onesweep_config_selectorIiiEEZNS1_34radix_sort_onesweep_global_offsetsIS3_Lb1EN6thrust23THRUST_200600_302600_NS6detail15normal_iteratorINS8_10device_ptrIiEEEESD_jNS0_19identity_decomposerEEE10hipError_tT1_T2_PT3_SI_jT4_jjP12ihipStream_tbEUlT_E_NS1_11comp_targetILNS1_3genE2ELNS1_11target_archE906ELNS1_3gpuE6ELNS1_3repE0EEENS1_52radix_sort_onesweep_histogram_config_static_selectorELNS0_4arch9wavefront6targetE1EEEvSG_: ; @_ZN7rocprim17ROCPRIM_400000_NS6detail17trampoline_kernelINS0_14default_configENS1_35radix_sort_onesweep_config_selectorIiiEEZNS1_34radix_sort_onesweep_global_offsetsIS3_Lb1EN6thrust23THRUST_200600_302600_NS6detail15normal_iteratorINS8_10device_ptrIiEEEESD_jNS0_19identity_decomposerEEE10hipError_tT1_T2_PT3_SI_jT4_jjP12ihipStream_tbEUlT_E_NS1_11comp_targetILNS1_3genE2ELNS1_11target_archE906ELNS1_3gpuE6ELNS1_3repE0EEENS1_52radix_sort_onesweep_histogram_config_static_selectorELNS0_4arch9wavefront6targetE1EEEvSG_
; %bb.0:
	.section	.rodata,"a",@progbits
	.p2align	6, 0x0
	.amdhsa_kernel _ZN7rocprim17ROCPRIM_400000_NS6detail17trampoline_kernelINS0_14default_configENS1_35radix_sort_onesweep_config_selectorIiiEEZNS1_34radix_sort_onesweep_global_offsetsIS3_Lb1EN6thrust23THRUST_200600_302600_NS6detail15normal_iteratorINS8_10device_ptrIiEEEESD_jNS0_19identity_decomposerEEE10hipError_tT1_T2_PT3_SI_jT4_jjP12ihipStream_tbEUlT_E_NS1_11comp_targetILNS1_3genE2ELNS1_11target_archE906ELNS1_3gpuE6ELNS1_3repE0EEENS1_52radix_sort_onesweep_histogram_config_static_selectorELNS0_4arch9wavefront6targetE1EEEvSG_
		.amdhsa_group_segment_fixed_size 0
		.amdhsa_private_segment_fixed_size 0
		.amdhsa_kernarg_size 40
		.amdhsa_user_sgpr_count 2
		.amdhsa_user_sgpr_dispatch_ptr 0
		.amdhsa_user_sgpr_queue_ptr 0
		.amdhsa_user_sgpr_kernarg_segment_ptr 1
		.amdhsa_user_sgpr_dispatch_id 0
		.amdhsa_user_sgpr_kernarg_preload_length 0
		.amdhsa_user_sgpr_kernarg_preload_offset 0
		.amdhsa_user_sgpr_private_segment_size 0
		.amdhsa_uses_dynamic_stack 0
		.amdhsa_enable_private_segment 0
		.amdhsa_system_sgpr_workgroup_id_x 1
		.amdhsa_system_sgpr_workgroup_id_y 0
		.amdhsa_system_sgpr_workgroup_id_z 0
		.amdhsa_system_sgpr_workgroup_info 0
		.amdhsa_system_vgpr_workitem_id 0
		.amdhsa_next_free_vgpr 1
		.amdhsa_next_free_sgpr 0
		.amdhsa_accum_offset 4
		.amdhsa_reserve_vcc 0
		.amdhsa_float_round_mode_32 0
		.amdhsa_float_round_mode_16_64 0
		.amdhsa_float_denorm_mode_32 3
		.amdhsa_float_denorm_mode_16_64 3
		.amdhsa_dx10_clamp 1
		.amdhsa_ieee_mode 1
		.amdhsa_fp16_overflow 0
		.amdhsa_tg_split 0
		.amdhsa_exception_fp_ieee_invalid_op 0
		.amdhsa_exception_fp_denorm_src 0
		.amdhsa_exception_fp_ieee_div_zero 0
		.amdhsa_exception_fp_ieee_overflow 0
		.amdhsa_exception_fp_ieee_underflow 0
		.amdhsa_exception_fp_ieee_inexact 0
		.amdhsa_exception_int_div_zero 0
	.end_amdhsa_kernel
	.section	.text._ZN7rocprim17ROCPRIM_400000_NS6detail17trampoline_kernelINS0_14default_configENS1_35radix_sort_onesweep_config_selectorIiiEEZNS1_34radix_sort_onesweep_global_offsetsIS3_Lb1EN6thrust23THRUST_200600_302600_NS6detail15normal_iteratorINS8_10device_ptrIiEEEESD_jNS0_19identity_decomposerEEE10hipError_tT1_T2_PT3_SI_jT4_jjP12ihipStream_tbEUlT_E_NS1_11comp_targetILNS1_3genE2ELNS1_11target_archE906ELNS1_3gpuE6ELNS1_3repE0EEENS1_52radix_sort_onesweep_histogram_config_static_selectorELNS0_4arch9wavefront6targetE1EEEvSG_,"axG",@progbits,_ZN7rocprim17ROCPRIM_400000_NS6detail17trampoline_kernelINS0_14default_configENS1_35radix_sort_onesweep_config_selectorIiiEEZNS1_34radix_sort_onesweep_global_offsetsIS3_Lb1EN6thrust23THRUST_200600_302600_NS6detail15normal_iteratorINS8_10device_ptrIiEEEESD_jNS0_19identity_decomposerEEE10hipError_tT1_T2_PT3_SI_jT4_jjP12ihipStream_tbEUlT_E_NS1_11comp_targetILNS1_3genE2ELNS1_11target_archE906ELNS1_3gpuE6ELNS1_3repE0EEENS1_52radix_sort_onesweep_histogram_config_static_selectorELNS0_4arch9wavefront6targetE1EEEvSG_,comdat
.Lfunc_end1822:
	.size	_ZN7rocprim17ROCPRIM_400000_NS6detail17trampoline_kernelINS0_14default_configENS1_35radix_sort_onesweep_config_selectorIiiEEZNS1_34radix_sort_onesweep_global_offsetsIS3_Lb1EN6thrust23THRUST_200600_302600_NS6detail15normal_iteratorINS8_10device_ptrIiEEEESD_jNS0_19identity_decomposerEEE10hipError_tT1_T2_PT3_SI_jT4_jjP12ihipStream_tbEUlT_E_NS1_11comp_targetILNS1_3genE2ELNS1_11target_archE906ELNS1_3gpuE6ELNS1_3repE0EEENS1_52radix_sort_onesweep_histogram_config_static_selectorELNS0_4arch9wavefront6targetE1EEEvSG_, .Lfunc_end1822-_ZN7rocprim17ROCPRIM_400000_NS6detail17trampoline_kernelINS0_14default_configENS1_35radix_sort_onesweep_config_selectorIiiEEZNS1_34radix_sort_onesweep_global_offsetsIS3_Lb1EN6thrust23THRUST_200600_302600_NS6detail15normal_iteratorINS8_10device_ptrIiEEEESD_jNS0_19identity_decomposerEEE10hipError_tT1_T2_PT3_SI_jT4_jjP12ihipStream_tbEUlT_E_NS1_11comp_targetILNS1_3genE2ELNS1_11target_archE906ELNS1_3gpuE6ELNS1_3repE0EEENS1_52radix_sort_onesweep_histogram_config_static_selectorELNS0_4arch9wavefront6targetE1EEEvSG_
                                        ; -- End function
	.set _ZN7rocprim17ROCPRIM_400000_NS6detail17trampoline_kernelINS0_14default_configENS1_35radix_sort_onesweep_config_selectorIiiEEZNS1_34radix_sort_onesweep_global_offsetsIS3_Lb1EN6thrust23THRUST_200600_302600_NS6detail15normal_iteratorINS8_10device_ptrIiEEEESD_jNS0_19identity_decomposerEEE10hipError_tT1_T2_PT3_SI_jT4_jjP12ihipStream_tbEUlT_E_NS1_11comp_targetILNS1_3genE2ELNS1_11target_archE906ELNS1_3gpuE6ELNS1_3repE0EEENS1_52radix_sort_onesweep_histogram_config_static_selectorELNS0_4arch9wavefront6targetE1EEEvSG_.num_vgpr, 0
	.set _ZN7rocprim17ROCPRIM_400000_NS6detail17trampoline_kernelINS0_14default_configENS1_35radix_sort_onesweep_config_selectorIiiEEZNS1_34radix_sort_onesweep_global_offsetsIS3_Lb1EN6thrust23THRUST_200600_302600_NS6detail15normal_iteratorINS8_10device_ptrIiEEEESD_jNS0_19identity_decomposerEEE10hipError_tT1_T2_PT3_SI_jT4_jjP12ihipStream_tbEUlT_E_NS1_11comp_targetILNS1_3genE2ELNS1_11target_archE906ELNS1_3gpuE6ELNS1_3repE0EEENS1_52radix_sort_onesweep_histogram_config_static_selectorELNS0_4arch9wavefront6targetE1EEEvSG_.num_agpr, 0
	.set _ZN7rocprim17ROCPRIM_400000_NS6detail17trampoline_kernelINS0_14default_configENS1_35radix_sort_onesweep_config_selectorIiiEEZNS1_34radix_sort_onesweep_global_offsetsIS3_Lb1EN6thrust23THRUST_200600_302600_NS6detail15normal_iteratorINS8_10device_ptrIiEEEESD_jNS0_19identity_decomposerEEE10hipError_tT1_T2_PT3_SI_jT4_jjP12ihipStream_tbEUlT_E_NS1_11comp_targetILNS1_3genE2ELNS1_11target_archE906ELNS1_3gpuE6ELNS1_3repE0EEENS1_52radix_sort_onesweep_histogram_config_static_selectorELNS0_4arch9wavefront6targetE1EEEvSG_.numbered_sgpr, 0
	.set _ZN7rocprim17ROCPRIM_400000_NS6detail17trampoline_kernelINS0_14default_configENS1_35radix_sort_onesweep_config_selectorIiiEEZNS1_34radix_sort_onesweep_global_offsetsIS3_Lb1EN6thrust23THRUST_200600_302600_NS6detail15normal_iteratorINS8_10device_ptrIiEEEESD_jNS0_19identity_decomposerEEE10hipError_tT1_T2_PT3_SI_jT4_jjP12ihipStream_tbEUlT_E_NS1_11comp_targetILNS1_3genE2ELNS1_11target_archE906ELNS1_3gpuE6ELNS1_3repE0EEENS1_52radix_sort_onesweep_histogram_config_static_selectorELNS0_4arch9wavefront6targetE1EEEvSG_.num_named_barrier, 0
	.set _ZN7rocprim17ROCPRIM_400000_NS6detail17trampoline_kernelINS0_14default_configENS1_35radix_sort_onesweep_config_selectorIiiEEZNS1_34radix_sort_onesweep_global_offsetsIS3_Lb1EN6thrust23THRUST_200600_302600_NS6detail15normal_iteratorINS8_10device_ptrIiEEEESD_jNS0_19identity_decomposerEEE10hipError_tT1_T2_PT3_SI_jT4_jjP12ihipStream_tbEUlT_E_NS1_11comp_targetILNS1_3genE2ELNS1_11target_archE906ELNS1_3gpuE6ELNS1_3repE0EEENS1_52radix_sort_onesweep_histogram_config_static_selectorELNS0_4arch9wavefront6targetE1EEEvSG_.private_seg_size, 0
	.set _ZN7rocprim17ROCPRIM_400000_NS6detail17trampoline_kernelINS0_14default_configENS1_35radix_sort_onesweep_config_selectorIiiEEZNS1_34radix_sort_onesweep_global_offsetsIS3_Lb1EN6thrust23THRUST_200600_302600_NS6detail15normal_iteratorINS8_10device_ptrIiEEEESD_jNS0_19identity_decomposerEEE10hipError_tT1_T2_PT3_SI_jT4_jjP12ihipStream_tbEUlT_E_NS1_11comp_targetILNS1_3genE2ELNS1_11target_archE906ELNS1_3gpuE6ELNS1_3repE0EEENS1_52radix_sort_onesweep_histogram_config_static_selectorELNS0_4arch9wavefront6targetE1EEEvSG_.uses_vcc, 0
	.set _ZN7rocprim17ROCPRIM_400000_NS6detail17trampoline_kernelINS0_14default_configENS1_35radix_sort_onesweep_config_selectorIiiEEZNS1_34radix_sort_onesweep_global_offsetsIS3_Lb1EN6thrust23THRUST_200600_302600_NS6detail15normal_iteratorINS8_10device_ptrIiEEEESD_jNS0_19identity_decomposerEEE10hipError_tT1_T2_PT3_SI_jT4_jjP12ihipStream_tbEUlT_E_NS1_11comp_targetILNS1_3genE2ELNS1_11target_archE906ELNS1_3gpuE6ELNS1_3repE0EEENS1_52radix_sort_onesweep_histogram_config_static_selectorELNS0_4arch9wavefront6targetE1EEEvSG_.uses_flat_scratch, 0
	.set _ZN7rocprim17ROCPRIM_400000_NS6detail17trampoline_kernelINS0_14default_configENS1_35radix_sort_onesweep_config_selectorIiiEEZNS1_34radix_sort_onesweep_global_offsetsIS3_Lb1EN6thrust23THRUST_200600_302600_NS6detail15normal_iteratorINS8_10device_ptrIiEEEESD_jNS0_19identity_decomposerEEE10hipError_tT1_T2_PT3_SI_jT4_jjP12ihipStream_tbEUlT_E_NS1_11comp_targetILNS1_3genE2ELNS1_11target_archE906ELNS1_3gpuE6ELNS1_3repE0EEENS1_52radix_sort_onesweep_histogram_config_static_selectorELNS0_4arch9wavefront6targetE1EEEvSG_.has_dyn_sized_stack, 0
	.set _ZN7rocprim17ROCPRIM_400000_NS6detail17trampoline_kernelINS0_14default_configENS1_35radix_sort_onesweep_config_selectorIiiEEZNS1_34radix_sort_onesweep_global_offsetsIS3_Lb1EN6thrust23THRUST_200600_302600_NS6detail15normal_iteratorINS8_10device_ptrIiEEEESD_jNS0_19identity_decomposerEEE10hipError_tT1_T2_PT3_SI_jT4_jjP12ihipStream_tbEUlT_E_NS1_11comp_targetILNS1_3genE2ELNS1_11target_archE906ELNS1_3gpuE6ELNS1_3repE0EEENS1_52radix_sort_onesweep_histogram_config_static_selectorELNS0_4arch9wavefront6targetE1EEEvSG_.has_recursion, 0
	.set _ZN7rocprim17ROCPRIM_400000_NS6detail17trampoline_kernelINS0_14default_configENS1_35radix_sort_onesweep_config_selectorIiiEEZNS1_34radix_sort_onesweep_global_offsetsIS3_Lb1EN6thrust23THRUST_200600_302600_NS6detail15normal_iteratorINS8_10device_ptrIiEEEESD_jNS0_19identity_decomposerEEE10hipError_tT1_T2_PT3_SI_jT4_jjP12ihipStream_tbEUlT_E_NS1_11comp_targetILNS1_3genE2ELNS1_11target_archE906ELNS1_3gpuE6ELNS1_3repE0EEENS1_52radix_sort_onesweep_histogram_config_static_selectorELNS0_4arch9wavefront6targetE1EEEvSG_.has_indirect_call, 0
	.section	.AMDGPU.csdata,"",@progbits
; Kernel info:
; codeLenInByte = 0
; TotalNumSgprs: 6
; NumVgprs: 0
; NumAgprs: 0
; TotalNumVgprs: 0
; ScratchSize: 0
; MemoryBound: 0
; FloatMode: 240
; IeeeMode: 1
; LDSByteSize: 0 bytes/workgroup (compile time only)
; SGPRBlocks: 0
; VGPRBlocks: 0
; NumSGPRsForWavesPerEU: 6
; NumVGPRsForWavesPerEU: 1
; AccumOffset: 4
; Occupancy: 8
; WaveLimiterHint : 0
; COMPUTE_PGM_RSRC2:SCRATCH_EN: 0
; COMPUTE_PGM_RSRC2:USER_SGPR: 2
; COMPUTE_PGM_RSRC2:TRAP_HANDLER: 0
; COMPUTE_PGM_RSRC2:TGID_X_EN: 1
; COMPUTE_PGM_RSRC2:TGID_Y_EN: 0
; COMPUTE_PGM_RSRC2:TGID_Z_EN: 0
; COMPUTE_PGM_RSRC2:TIDIG_COMP_CNT: 0
; COMPUTE_PGM_RSRC3_GFX90A:ACCUM_OFFSET: 0
; COMPUTE_PGM_RSRC3_GFX90A:TG_SPLIT: 0
	.section	.text._ZN7rocprim17ROCPRIM_400000_NS6detail17trampoline_kernelINS0_14default_configENS1_35radix_sort_onesweep_config_selectorIiiEEZNS1_34radix_sort_onesweep_global_offsetsIS3_Lb1EN6thrust23THRUST_200600_302600_NS6detail15normal_iteratorINS8_10device_ptrIiEEEESD_jNS0_19identity_decomposerEEE10hipError_tT1_T2_PT3_SI_jT4_jjP12ihipStream_tbEUlT_E_NS1_11comp_targetILNS1_3genE4ELNS1_11target_archE910ELNS1_3gpuE8ELNS1_3repE0EEENS1_52radix_sort_onesweep_histogram_config_static_selectorELNS0_4arch9wavefront6targetE1EEEvSG_,"axG",@progbits,_ZN7rocprim17ROCPRIM_400000_NS6detail17trampoline_kernelINS0_14default_configENS1_35radix_sort_onesweep_config_selectorIiiEEZNS1_34radix_sort_onesweep_global_offsetsIS3_Lb1EN6thrust23THRUST_200600_302600_NS6detail15normal_iteratorINS8_10device_ptrIiEEEESD_jNS0_19identity_decomposerEEE10hipError_tT1_T2_PT3_SI_jT4_jjP12ihipStream_tbEUlT_E_NS1_11comp_targetILNS1_3genE4ELNS1_11target_archE910ELNS1_3gpuE8ELNS1_3repE0EEENS1_52radix_sort_onesweep_histogram_config_static_selectorELNS0_4arch9wavefront6targetE1EEEvSG_,comdat
	.protected	_ZN7rocprim17ROCPRIM_400000_NS6detail17trampoline_kernelINS0_14default_configENS1_35radix_sort_onesweep_config_selectorIiiEEZNS1_34radix_sort_onesweep_global_offsetsIS3_Lb1EN6thrust23THRUST_200600_302600_NS6detail15normal_iteratorINS8_10device_ptrIiEEEESD_jNS0_19identity_decomposerEEE10hipError_tT1_T2_PT3_SI_jT4_jjP12ihipStream_tbEUlT_E_NS1_11comp_targetILNS1_3genE4ELNS1_11target_archE910ELNS1_3gpuE8ELNS1_3repE0EEENS1_52radix_sort_onesweep_histogram_config_static_selectorELNS0_4arch9wavefront6targetE1EEEvSG_ ; -- Begin function _ZN7rocprim17ROCPRIM_400000_NS6detail17trampoline_kernelINS0_14default_configENS1_35radix_sort_onesweep_config_selectorIiiEEZNS1_34radix_sort_onesweep_global_offsetsIS3_Lb1EN6thrust23THRUST_200600_302600_NS6detail15normal_iteratorINS8_10device_ptrIiEEEESD_jNS0_19identity_decomposerEEE10hipError_tT1_T2_PT3_SI_jT4_jjP12ihipStream_tbEUlT_E_NS1_11comp_targetILNS1_3genE4ELNS1_11target_archE910ELNS1_3gpuE8ELNS1_3repE0EEENS1_52radix_sort_onesweep_histogram_config_static_selectorELNS0_4arch9wavefront6targetE1EEEvSG_
	.globl	_ZN7rocprim17ROCPRIM_400000_NS6detail17trampoline_kernelINS0_14default_configENS1_35radix_sort_onesweep_config_selectorIiiEEZNS1_34radix_sort_onesweep_global_offsetsIS3_Lb1EN6thrust23THRUST_200600_302600_NS6detail15normal_iteratorINS8_10device_ptrIiEEEESD_jNS0_19identity_decomposerEEE10hipError_tT1_T2_PT3_SI_jT4_jjP12ihipStream_tbEUlT_E_NS1_11comp_targetILNS1_3genE4ELNS1_11target_archE910ELNS1_3gpuE8ELNS1_3repE0EEENS1_52radix_sort_onesweep_histogram_config_static_selectorELNS0_4arch9wavefront6targetE1EEEvSG_
	.p2align	8
	.type	_ZN7rocprim17ROCPRIM_400000_NS6detail17trampoline_kernelINS0_14default_configENS1_35radix_sort_onesweep_config_selectorIiiEEZNS1_34radix_sort_onesweep_global_offsetsIS3_Lb1EN6thrust23THRUST_200600_302600_NS6detail15normal_iteratorINS8_10device_ptrIiEEEESD_jNS0_19identity_decomposerEEE10hipError_tT1_T2_PT3_SI_jT4_jjP12ihipStream_tbEUlT_E_NS1_11comp_targetILNS1_3genE4ELNS1_11target_archE910ELNS1_3gpuE8ELNS1_3repE0EEENS1_52radix_sort_onesweep_histogram_config_static_selectorELNS0_4arch9wavefront6targetE1EEEvSG_,@function
_ZN7rocprim17ROCPRIM_400000_NS6detail17trampoline_kernelINS0_14default_configENS1_35radix_sort_onesweep_config_selectorIiiEEZNS1_34radix_sort_onesweep_global_offsetsIS3_Lb1EN6thrust23THRUST_200600_302600_NS6detail15normal_iteratorINS8_10device_ptrIiEEEESD_jNS0_19identity_decomposerEEE10hipError_tT1_T2_PT3_SI_jT4_jjP12ihipStream_tbEUlT_E_NS1_11comp_targetILNS1_3genE4ELNS1_11target_archE910ELNS1_3gpuE8ELNS1_3repE0EEENS1_52radix_sort_onesweep_histogram_config_static_selectorELNS0_4arch9wavefront6targetE1EEEvSG_: ; @_ZN7rocprim17ROCPRIM_400000_NS6detail17trampoline_kernelINS0_14default_configENS1_35radix_sort_onesweep_config_selectorIiiEEZNS1_34radix_sort_onesweep_global_offsetsIS3_Lb1EN6thrust23THRUST_200600_302600_NS6detail15normal_iteratorINS8_10device_ptrIiEEEESD_jNS0_19identity_decomposerEEE10hipError_tT1_T2_PT3_SI_jT4_jjP12ihipStream_tbEUlT_E_NS1_11comp_targetILNS1_3genE4ELNS1_11target_archE910ELNS1_3gpuE8ELNS1_3repE0EEENS1_52radix_sort_onesweep_histogram_config_static_selectorELNS0_4arch9wavefront6targetE1EEEvSG_
; %bb.0:
	.section	.rodata,"a",@progbits
	.p2align	6, 0x0
	.amdhsa_kernel _ZN7rocprim17ROCPRIM_400000_NS6detail17trampoline_kernelINS0_14default_configENS1_35radix_sort_onesweep_config_selectorIiiEEZNS1_34radix_sort_onesweep_global_offsetsIS3_Lb1EN6thrust23THRUST_200600_302600_NS6detail15normal_iteratorINS8_10device_ptrIiEEEESD_jNS0_19identity_decomposerEEE10hipError_tT1_T2_PT3_SI_jT4_jjP12ihipStream_tbEUlT_E_NS1_11comp_targetILNS1_3genE4ELNS1_11target_archE910ELNS1_3gpuE8ELNS1_3repE0EEENS1_52radix_sort_onesweep_histogram_config_static_selectorELNS0_4arch9wavefront6targetE1EEEvSG_
		.amdhsa_group_segment_fixed_size 0
		.amdhsa_private_segment_fixed_size 0
		.amdhsa_kernarg_size 40
		.amdhsa_user_sgpr_count 2
		.amdhsa_user_sgpr_dispatch_ptr 0
		.amdhsa_user_sgpr_queue_ptr 0
		.amdhsa_user_sgpr_kernarg_segment_ptr 1
		.amdhsa_user_sgpr_dispatch_id 0
		.amdhsa_user_sgpr_kernarg_preload_length 0
		.amdhsa_user_sgpr_kernarg_preload_offset 0
		.amdhsa_user_sgpr_private_segment_size 0
		.amdhsa_uses_dynamic_stack 0
		.amdhsa_enable_private_segment 0
		.amdhsa_system_sgpr_workgroup_id_x 1
		.amdhsa_system_sgpr_workgroup_id_y 0
		.amdhsa_system_sgpr_workgroup_id_z 0
		.amdhsa_system_sgpr_workgroup_info 0
		.amdhsa_system_vgpr_workitem_id 0
		.amdhsa_next_free_vgpr 1
		.amdhsa_next_free_sgpr 0
		.amdhsa_accum_offset 4
		.amdhsa_reserve_vcc 0
		.amdhsa_float_round_mode_32 0
		.amdhsa_float_round_mode_16_64 0
		.amdhsa_float_denorm_mode_32 3
		.amdhsa_float_denorm_mode_16_64 3
		.amdhsa_dx10_clamp 1
		.amdhsa_ieee_mode 1
		.amdhsa_fp16_overflow 0
		.amdhsa_tg_split 0
		.amdhsa_exception_fp_ieee_invalid_op 0
		.amdhsa_exception_fp_denorm_src 0
		.amdhsa_exception_fp_ieee_div_zero 0
		.amdhsa_exception_fp_ieee_overflow 0
		.amdhsa_exception_fp_ieee_underflow 0
		.amdhsa_exception_fp_ieee_inexact 0
		.amdhsa_exception_int_div_zero 0
	.end_amdhsa_kernel
	.section	.text._ZN7rocprim17ROCPRIM_400000_NS6detail17trampoline_kernelINS0_14default_configENS1_35radix_sort_onesweep_config_selectorIiiEEZNS1_34radix_sort_onesweep_global_offsetsIS3_Lb1EN6thrust23THRUST_200600_302600_NS6detail15normal_iteratorINS8_10device_ptrIiEEEESD_jNS0_19identity_decomposerEEE10hipError_tT1_T2_PT3_SI_jT4_jjP12ihipStream_tbEUlT_E_NS1_11comp_targetILNS1_3genE4ELNS1_11target_archE910ELNS1_3gpuE8ELNS1_3repE0EEENS1_52radix_sort_onesweep_histogram_config_static_selectorELNS0_4arch9wavefront6targetE1EEEvSG_,"axG",@progbits,_ZN7rocprim17ROCPRIM_400000_NS6detail17trampoline_kernelINS0_14default_configENS1_35radix_sort_onesweep_config_selectorIiiEEZNS1_34radix_sort_onesweep_global_offsetsIS3_Lb1EN6thrust23THRUST_200600_302600_NS6detail15normal_iteratorINS8_10device_ptrIiEEEESD_jNS0_19identity_decomposerEEE10hipError_tT1_T2_PT3_SI_jT4_jjP12ihipStream_tbEUlT_E_NS1_11comp_targetILNS1_3genE4ELNS1_11target_archE910ELNS1_3gpuE8ELNS1_3repE0EEENS1_52radix_sort_onesweep_histogram_config_static_selectorELNS0_4arch9wavefront6targetE1EEEvSG_,comdat
.Lfunc_end1823:
	.size	_ZN7rocprim17ROCPRIM_400000_NS6detail17trampoline_kernelINS0_14default_configENS1_35radix_sort_onesweep_config_selectorIiiEEZNS1_34radix_sort_onesweep_global_offsetsIS3_Lb1EN6thrust23THRUST_200600_302600_NS6detail15normal_iteratorINS8_10device_ptrIiEEEESD_jNS0_19identity_decomposerEEE10hipError_tT1_T2_PT3_SI_jT4_jjP12ihipStream_tbEUlT_E_NS1_11comp_targetILNS1_3genE4ELNS1_11target_archE910ELNS1_3gpuE8ELNS1_3repE0EEENS1_52radix_sort_onesweep_histogram_config_static_selectorELNS0_4arch9wavefront6targetE1EEEvSG_, .Lfunc_end1823-_ZN7rocprim17ROCPRIM_400000_NS6detail17trampoline_kernelINS0_14default_configENS1_35radix_sort_onesweep_config_selectorIiiEEZNS1_34radix_sort_onesweep_global_offsetsIS3_Lb1EN6thrust23THRUST_200600_302600_NS6detail15normal_iteratorINS8_10device_ptrIiEEEESD_jNS0_19identity_decomposerEEE10hipError_tT1_T2_PT3_SI_jT4_jjP12ihipStream_tbEUlT_E_NS1_11comp_targetILNS1_3genE4ELNS1_11target_archE910ELNS1_3gpuE8ELNS1_3repE0EEENS1_52radix_sort_onesweep_histogram_config_static_selectorELNS0_4arch9wavefront6targetE1EEEvSG_
                                        ; -- End function
	.set _ZN7rocprim17ROCPRIM_400000_NS6detail17trampoline_kernelINS0_14default_configENS1_35radix_sort_onesweep_config_selectorIiiEEZNS1_34radix_sort_onesweep_global_offsetsIS3_Lb1EN6thrust23THRUST_200600_302600_NS6detail15normal_iteratorINS8_10device_ptrIiEEEESD_jNS0_19identity_decomposerEEE10hipError_tT1_T2_PT3_SI_jT4_jjP12ihipStream_tbEUlT_E_NS1_11comp_targetILNS1_3genE4ELNS1_11target_archE910ELNS1_3gpuE8ELNS1_3repE0EEENS1_52radix_sort_onesweep_histogram_config_static_selectorELNS0_4arch9wavefront6targetE1EEEvSG_.num_vgpr, 0
	.set _ZN7rocprim17ROCPRIM_400000_NS6detail17trampoline_kernelINS0_14default_configENS1_35radix_sort_onesweep_config_selectorIiiEEZNS1_34radix_sort_onesweep_global_offsetsIS3_Lb1EN6thrust23THRUST_200600_302600_NS6detail15normal_iteratorINS8_10device_ptrIiEEEESD_jNS0_19identity_decomposerEEE10hipError_tT1_T2_PT3_SI_jT4_jjP12ihipStream_tbEUlT_E_NS1_11comp_targetILNS1_3genE4ELNS1_11target_archE910ELNS1_3gpuE8ELNS1_3repE0EEENS1_52radix_sort_onesweep_histogram_config_static_selectorELNS0_4arch9wavefront6targetE1EEEvSG_.num_agpr, 0
	.set _ZN7rocprim17ROCPRIM_400000_NS6detail17trampoline_kernelINS0_14default_configENS1_35radix_sort_onesweep_config_selectorIiiEEZNS1_34radix_sort_onesweep_global_offsetsIS3_Lb1EN6thrust23THRUST_200600_302600_NS6detail15normal_iteratorINS8_10device_ptrIiEEEESD_jNS0_19identity_decomposerEEE10hipError_tT1_T2_PT3_SI_jT4_jjP12ihipStream_tbEUlT_E_NS1_11comp_targetILNS1_3genE4ELNS1_11target_archE910ELNS1_3gpuE8ELNS1_3repE0EEENS1_52radix_sort_onesweep_histogram_config_static_selectorELNS0_4arch9wavefront6targetE1EEEvSG_.numbered_sgpr, 0
	.set _ZN7rocprim17ROCPRIM_400000_NS6detail17trampoline_kernelINS0_14default_configENS1_35radix_sort_onesweep_config_selectorIiiEEZNS1_34radix_sort_onesweep_global_offsetsIS3_Lb1EN6thrust23THRUST_200600_302600_NS6detail15normal_iteratorINS8_10device_ptrIiEEEESD_jNS0_19identity_decomposerEEE10hipError_tT1_T2_PT3_SI_jT4_jjP12ihipStream_tbEUlT_E_NS1_11comp_targetILNS1_3genE4ELNS1_11target_archE910ELNS1_3gpuE8ELNS1_3repE0EEENS1_52radix_sort_onesweep_histogram_config_static_selectorELNS0_4arch9wavefront6targetE1EEEvSG_.num_named_barrier, 0
	.set _ZN7rocprim17ROCPRIM_400000_NS6detail17trampoline_kernelINS0_14default_configENS1_35radix_sort_onesweep_config_selectorIiiEEZNS1_34radix_sort_onesweep_global_offsetsIS3_Lb1EN6thrust23THRUST_200600_302600_NS6detail15normal_iteratorINS8_10device_ptrIiEEEESD_jNS0_19identity_decomposerEEE10hipError_tT1_T2_PT3_SI_jT4_jjP12ihipStream_tbEUlT_E_NS1_11comp_targetILNS1_3genE4ELNS1_11target_archE910ELNS1_3gpuE8ELNS1_3repE0EEENS1_52radix_sort_onesweep_histogram_config_static_selectorELNS0_4arch9wavefront6targetE1EEEvSG_.private_seg_size, 0
	.set _ZN7rocprim17ROCPRIM_400000_NS6detail17trampoline_kernelINS0_14default_configENS1_35radix_sort_onesweep_config_selectorIiiEEZNS1_34radix_sort_onesweep_global_offsetsIS3_Lb1EN6thrust23THRUST_200600_302600_NS6detail15normal_iteratorINS8_10device_ptrIiEEEESD_jNS0_19identity_decomposerEEE10hipError_tT1_T2_PT3_SI_jT4_jjP12ihipStream_tbEUlT_E_NS1_11comp_targetILNS1_3genE4ELNS1_11target_archE910ELNS1_3gpuE8ELNS1_3repE0EEENS1_52radix_sort_onesweep_histogram_config_static_selectorELNS0_4arch9wavefront6targetE1EEEvSG_.uses_vcc, 0
	.set _ZN7rocprim17ROCPRIM_400000_NS6detail17trampoline_kernelINS0_14default_configENS1_35radix_sort_onesweep_config_selectorIiiEEZNS1_34radix_sort_onesweep_global_offsetsIS3_Lb1EN6thrust23THRUST_200600_302600_NS6detail15normal_iteratorINS8_10device_ptrIiEEEESD_jNS0_19identity_decomposerEEE10hipError_tT1_T2_PT3_SI_jT4_jjP12ihipStream_tbEUlT_E_NS1_11comp_targetILNS1_3genE4ELNS1_11target_archE910ELNS1_3gpuE8ELNS1_3repE0EEENS1_52radix_sort_onesweep_histogram_config_static_selectorELNS0_4arch9wavefront6targetE1EEEvSG_.uses_flat_scratch, 0
	.set _ZN7rocprim17ROCPRIM_400000_NS6detail17trampoline_kernelINS0_14default_configENS1_35radix_sort_onesweep_config_selectorIiiEEZNS1_34radix_sort_onesweep_global_offsetsIS3_Lb1EN6thrust23THRUST_200600_302600_NS6detail15normal_iteratorINS8_10device_ptrIiEEEESD_jNS0_19identity_decomposerEEE10hipError_tT1_T2_PT3_SI_jT4_jjP12ihipStream_tbEUlT_E_NS1_11comp_targetILNS1_3genE4ELNS1_11target_archE910ELNS1_3gpuE8ELNS1_3repE0EEENS1_52radix_sort_onesweep_histogram_config_static_selectorELNS0_4arch9wavefront6targetE1EEEvSG_.has_dyn_sized_stack, 0
	.set _ZN7rocprim17ROCPRIM_400000_NS6detail17trampoline_kernelINS0_14default_configENS1_35radix_sort_onesweep_config_selectorIiiEEZNS1_34radix_sort_onesweep_global_offsetsIS3_Lb1EN6thrust23THRUST_200600_302600_NS6detail15normal_iteratorINS8_10device_ptrIiEEEESD_jNS0_19identity_decomposerEEE10hipError_tT1_T2_PT3_SI_jT4_jjP12ihipStream_tbEUlT_E_NS1_11comp_targetILNS1_3genE4ELNS1_11target_archE910ELNS1_3gpuE8ELNS1_3repE0EEENS1_52radix_sort_onesweep_histogram_config_static_selectorELNS0_4arch9wavefront6targetE1EEEvSG_.has_recursion, 0
	.set _ZN7rocprim17ROCPRIM_400000_NS6detail17trampoline_kernelINS0_14default_configENS1_35radix_sort_onesweep_config_selectorIiiEEZNS1_34radix_sort_onesweep_global_offsetsIS3_Lb1EN6thrust23THRUST_200600_302600_NS6detail15normal_iteratorINS8_10device_ptrIiEEEESD_jNS0_19identity_decomposerEEE10hipError_tT1_T2_PT3_SI_jT4_jjP12ihipStream_tbEUlT_E_NS1_11comp_targetILNS1_3genE4ELNS1_11target_archE910ELNS1_3gpuE8ELNS1_3repE0EEENS1_52radix_sort_onesweep_histogram_config_static_selectorELNS0_4arch9wavefront6targetE1EEEvSG_.has_indirect_call, 0
	.section	.AMDGPU.csdata,"",@progbits
; Kernel info:
; codeLenInByte = 0
; TotalNumSgprs: 6
; NumVgprs: 0
; NumAgprs: 0
; TotalNumVgprs: 0
; ScratchSize: 0
; MemoryBound: 0
; FloatMode: 240
; IeeeMode: 1
; LDSByteSize: 0 bytes/workgroup (compile time only)
; SGPRBlocks: 0
; VGPRBlocks: 0
; NumSGPRsForWavesPerEU: 6
; NumVGPRsForWavesPerEU: 1
; AccumOffset: 4
; Occupancy: 8
; WaveLimiterHint : 0
; COMPUTE_PGM_RSRC2:SCRATCH_EN: 0
; COMPUTE_PGM_RSRC2:USER_SGPR: 2
; COMPUTE_PGM_RSRC2:TRAP_HANDLER: 0
; COMPUTE_PGM_RSRC2:TGID_X_EN: 1
; COMPUTE_PGM_RSRC2:TGID_Y_EN: 0
; COMPUTE_PGM_RSRC2:TGID_Z_EN: 0
; COMPUTE_PGM_RSRC2:TIDIG_COMP_CNT: 0
; COMPUTE_PGM_RSRC3_GFX90A:ACCUM_OFFSET: 0
; COMPUTE_PGM_RSRC3_GFX90A:TG_SPLIT: 0
	.section	.text._ZN7rocprim17ROCPRIM_400000_NS6detail17trampoline_kernelINS0_14default_configENS1_35radix_sort_onesweep_config_selectorIiiEEZNS1_34radix_sort_onesweep_global_offsetsIS3_Lb1EN6thrust23THRUST_200600_302600_NS6detail15normal_iteratorINS8_10device_ptrIiEEEESD_jNS0_19identity_decomposerEEE10hipError_tT1_T2_PT3_SI_jT4_jjP12ihipStream_tbEUlT_E_NS1_11comp_targetILNS1_3genE3ELNS1_11target_archE908ELNS1_3gpuE7ELNS1_3repE0EEENS1_52radix_sort_onesweep_histogram_config_static_selectorELNS0_4arch9wavefront6targetE1EEEvSG_,"axG",@progbits,_ZN7rocprim17ROCPRIM_400000_NS6detail17trampoline_kernelINS0_14default_configENS1_35radix_sort_onesweep_config_selectorIiiEEZNS1_34radix_sort_onesweep_global_offsetsIS3_Lb1EN6thrust23THRUST_200600_302600_NS6detail15normal_iteratorINS8_10device_ptrIiEEEESD_jNS0_19identity_decomposerEEE10hipError_tT1_T2_PT3_SI_jT4_jjP12ihipStream_tbEUlT_E_NS1_11comp_targetILNS1_3genE3ELNS1_11target_archE908ELNS1_3gpuE7ELNS1_3repE0EEENS1_52radix_sort_onesweep_histogram_config_static_selectorELNS0_4arch9wavefront6targetE1EEEvSG_,comdat
	.protected	_ZN7rocprim17ROCPRIM_400000_NS6detail17trampoline_kernelINS0_14default_configENS1_35radix_sort_onesweep_config_selectorIiiEEZNS1_34radix_sort_onesweep_global_offsetsIS3_Lb1EN6thrust23THRUST_200600_302600_NS6detail15normal_iteratorINS8_10device_ptrIiEEEESD_jNS0_19identity_decomposerEEE10hipError_tT1_T2_PT3_SI_jT4_jjP12ihipStream_tbEUlT_E_NS1_11comp_targetILNS1_3genE3ELNS1_11target_archE908ELNS1_3gpuE7ELNS1_3repE0EEENS1_52radix_sort_onesweep_histogram_config_static_selectorELNS0_4arch9wavefront6targetE1EEEvSG_ ; -- Begin function _ZN7rocprim17ROCPRIM_400000_NS6detail17trampoline_kernelINS0_14default_configENS1_35radix_sort_onesweep_config_selectorIiiEEZNS1_34radix_sort_onesweep_global_offsetsIS3_Lb1EN6thrust23THRUST_200600_302600_NS6detail15normal_iteratorINS8_10device_ptrIiEEEESD_jNS0_19identity_decomposerEEE10hipError_tT1_T2_PT3_SI_jT4_jjP12ihipStream_tbEUlT_E_NS1_11comp_targetILNS1_3genE3ELNS1_11target_archE908ELNS1_3gpuE7ELNS1_3repE0EEENS1_52radix_sort_onesweep_histogram_config_static_selectorELNS0_4arch9wavefront6targetE1EEEvSG_
	.globl	_ZN7rocprim17ROCPRIM_400000_NS6detail17trampoline_kernelINS0_14default_configENS1_35radix_sort_onesweep_config_selectorIiiEEZNS1_34radix_sort_onesweep_global_offsetsIS3_Lb1EN6thrust23THRUST_200600_302600_NS6detail15normal_iteratorINS8_10device_ptrIiEEEESD_jNS0_19identity_decomposerEEE10hipError_tT1_T2_PT3_SI_jT4_jjP12ihipStream_tbEUlT_E_NS1_11comp_targetILNS1_3genE3ELNS1_11target_archE908ELNS1_3gpuE7ELNS1_3repE0EEENS1_52radix_sort_onesweep_histogram_config_static_selectorELNS0_4arch9wavefront6targetE1EEEvSG_
	.p2align	8
	.type	_ZN7rocprim17ROCPRIM_400000_NS6detail17trampoline_kernelINS0_14default_configENS1_35radix_sort_onesweep_config_selectorIiiEEZNS1_34radix_sort_onesweep_global_offsetsIS3_Lb1EN6thrust23THRUST_200600_302600_NS6detail15normal_iteratorINS8_10device_ptrIiEEEESD_jNS0_19identity_decomposerEEE10hipError_tT1_T2_PT3_SI_jT4_jjP12ihipStream_tbEUlT_E_NS1_11comp_targetILNS1_3genE3ELNS1_11target_archE908ELNS1_3gpuE7ELNS1_3repE0EEENS1_52radix_sort_onesweep_histogram_config_static_selectorELNS0_4arch9wavefront6targetE1EEEvSG_,@function
_ZN7rocprim17ROCPRIM_400000_NS6detail17trampoline_kernelINS0_14default_configENS1_35radix_sort_onesweep_config_selectorIiiEEZNS1_34radix_sort_onesweep_global_offsetsIS3_Lb1EN6thrust23THRUST_200600_302600_NS6detail15normal_iteratorINS8_10device_ptrIiEEEESD_jNS0_19identity_decomposerEEE10hipError_tT1_T2_PT3_SI_jT4_jjP12ihipStream_tbEUlT_E_NS1_11comp_targetILNS1_3genE3ELNS1_11target_archE908ELNS1_3gpuE7ELNS1_3repE0EEENS1_52radix_sort_onesweep_histogram_config_static_selectorELNS0_4arch9wavefront6targetE1EEEvSG_: ; @_ZN7rocprim17ROCPRIM_400000_NS6detail17trampoline_kernelINS0_14default_configENS1_35radix_sort_onesweep_config_selectorIiiEEZNS1_34radix_sort_onesweep_global_offsetsIS3_Lb1EN6thrust23THRUST_200600_302600_NS6detail15normal_iteratorINS8_10device_ptrIiEEEESD_jNS0_19identity_decomposerEEE10hipError_tT1_T2_PT3_SI_jT4_jjP12ihipStream_tbEUlT_E_NS1_11comp_targetILNS1_3genE3ELNS1_11target_archE908ELNS1_3gpuE7ELNS1_3repE0EEENS1_52radix_sort_onesweep_histogram_config_static_selectorELNS0_4arch9wavefront6targetE1EEEvSG_
; %bb.0:
	.section	.rodata,"a",@progbits
	.p2align	6, 0x0
	.amdhsa_kernel _ZN7rocprim17ROCPRIM_400000_NS6detail17trampoline_kernelINS0_14default_configENS1_35radix_sort_onesweep_config_selectorIiiEEZNS1_34radix_sort_onesweep_global_offsetsIS3_Lb1EN6thrust23THRUST_200600_302600_NS6detail15normal_iteratorINS8_10device_ptrIiEEEESD_jNS0_19identity_decomposerEEE10hipError_tT1_T2_PT3_SI_jT4_jjP12ihipStream_tbEUlT_E_NS1_11comp_targetILNS1_3genE3ELNS1_11target_archE908ELNS1_3gpuE7ELNS1_3repE0EEENS1_52radix_sort_onesweep_histogram_config_static_selectorELNS0_4arch9wavefront6targetE1EEEvSG_
		.amdhsa_group_segment_fixed_size 0
		.amdhsa_private_segment_fixed_size 0
		.amdhsa_kernarg_size 40
		.amdhsa_user_sgpr_count 2
		.amdhsa_user_sgpr_dispatch_ptr 0
		.amdhsa_user_sgpr_queue_ptr 0
		.amdhsa_user_sgpr_kernarg_segment_ptr 1
		.amdhsa_user_sgpr_dispatch_id 0
		.amdhsa_user_sgpr_kernarg_preload_length 0
		.amdhsa_user_sgpr_kernarg_preload_offset 0
		.amdhsa_user_sgpr_private_segment_size 0
		.amdhsa_uses_dynamic_stack 0
		.amdhsa_enable_private_segment 0
		.amdhsa_system_sgpr_workgroup_id_x 1
		.amdhsa_system_sgpr_workgroup_id_y 0
		.amdhsa_system_sgpr_workgroup_id_z 0
		.amdhsa_system_sgpr_workgroup_info 0
		.amdhsa_system_vgpr_workitem_id 0
		.amdhsa_next_free_vgpr 1
		.amdhsa_next_free_sgpr 0
		.amdhsa_accum_offset 4
		.amdhsa_reserve_vcc 0
		.amdhsa_float_round_mode_32 0
		.amdhsa_float_round_mode_16_64 0
		.amdhsa_float_denorm_mode_32 3
		.amdhsa_float_denorm_mode_16_64 3
		.amdhsa_dx10_clamp 1
		.amdhsa_ieee_mode 1
		.amdhsa_fp16_overflow 0
		.amdhsa_tg_split 0
		.amdhsa_exception_fp_ieee_invalid_op 0
		.amdhsa_exception_fp_denorm_src 0
		.amdhsa_exception_fp_ieee_div_zero 0
		.amdhsa_exception_fp_ieee_overflow 0
		.amdhsa_exception_fp_ieee_underflow 0
		.amdhsa_exception_fp_ieee_inexact 0
		.amdhsa_exception_int_div_zero 0
	.end_amdhsa_kernel
	.section	.text._ZN7rocprim17ROCPRIM_400000_NS6detail17trampoline_kernelINS0_14default_configENS1_35radix_sort_onesweep_config_selectorIiiEEZNS1_34radix_sort_onesweep_global_offsetsIS3_Lb1EN6thrust23THRUST_200600_302600_NS6detail15normal_iteratorINS8_10device_ptrIiEEEESD_jNS0_19identity_decomposerEEE10hipError_tT1_T2_PT3_SI_jT4_jjP12ihipStream_tbEUlT_E_NS1_11comp_targetILNS1_3genE3ELNS1_11target_archE908ELNS1_3gpuE7ELNS1_3repE0EEENS1_52radix_sort_onesweep_histogram_config_static_selectorELNS0_4arch9wavefront6targetE1EEEvSG_,"axG",@progbits,_ZN7rocprim17ROCPRIM_400000_NS6detail17trampoline_kernelINS0_14default_configENS1_35radix_sort_onesweep_config_selectorIiiEEZNS1_34radix_sort_onesweep_global_offsetsIS3_Lb1EN6thrust23THRUST_200600_302600_NS6detail15normal_iteratorINS8_10device_ptrIiEEEESD_jNS0_19identity_decomposerEEE10hipError_tT1_T2_PT3_SI_jT4_jjP12ihipStream_tbEUlT_E_NS1_11comp_targetILNS1_3genE3ELNS1_11target_archE908ELNS1_3gpuE7ELNS1_3repE0EEENS1_52radix_sort_onesweep_histogram_config_static_selectorELNS0_4arch9wavefront6targetE1EEEvSG_,comdat
.Lfunc_end1824:
	.size	_ZN7rocprim17ROCPRIM_400000_NS6detail17trampoline_kernelINS0_14default_configENS1_35radix_sort_onesweep_config_selectorIiiEEZNS1_34radix_sort_onesweep_global_offsetsIS3_Lb1EN6thrust23THRUST_200600_302600_NS6detail15normal_iteratorINS8_10device_ptrIiEEEESD_jNS0_19identity_decomposerEEE10hipError_tT1_T2_PT3_SI_jT4_jjP12ihipStream_tbEUlT_E_NS1_11comp_targetILNS1_3genE3ELNS1_11target_archE908ELNS1_3gpuE7ELNS1_3repE0EEENS1_52radix_sort_onesweep_histogram_config_static_selectorELNS0_4arch9wavefront6targetE1EEEvSG_, .Lfunc_end1824-_ZN7rocprim17ROCPRIM_400000_NS6detail17trampoline_kernelINS0_14default_configENS1_35radix_sort_onesweep_config_selectorIiiEEZNS1_34radix_sort_onesweep_global_offsetsIS3_Lb1EN6thrust23THRUST_200600_302600_NS6detail15normal_iteratorINS8_10device_ptrIiEEEESD_jNS0_19identity_decomposerEEE10hipError_tT1_T2_PT3_SI_jT4_jjP12ihipStream_tbEUlT_E_NS1_11comp_targetILNS1_3genE3ELNS1_11target_archE908ELNS1_3gpuE7ELNS1_3repE0EEENS1_52radix_sort_onesweep_histogram_config_static_selectorELNS0_4arch9wavefront6targetE1EEEvSG_
                                        ; -- End function
	.set _ZN7rocprim17ROCPRIM_400000_NS6detail17trampoline_kernelINS0_14default_configENS1_35radix_sort_onesweep_config_selectorIiiEEZNS1_34radix_sort_onesweep_global_offsetsIS3_Lb1EN6thrust23THRUST_200600_302600_NS6detail15normal_iteratorINS8_10device_ptrIiEEEESD_jNS0_19identity_decomposerEEE10hipError_tT1_T2_PT3_SI_jT4_jjP12ihipStream_tbEUlT_E_NS1_11comp_targetILNS1_3genE3ELNS1_11target_archE908ELNS1_3gpuE7ELNS1_3repE0EEENS1_52radix_sort_onesweep_histogram_config_static_selectorELNS0_4arch9wavefront6targetE1EEEvSG_.num_vgpr, 0
	.set _ZN7rocprim17ROCPRIM_400000_NS6detail17trampoline_kernelINS0_14default_configENS1_35radix_sort_onesweep_config_selectorIiiEEZNS1_34radix_sort_onesweep_global_offsetsIS3_Lb1EN6thrust23THRUST_200600_302600_NS6detail15normal_iteratorINS8_10device_ptrIiEEEESD_jNS0_19identity_decomposerEEE10hipError_tT1_T2_PT3_SI_jT4_jjP12ihipStream_tbEUlT_E_NS1_11comp_targetILNS1_3genE3ELNS1_11target_archE908ELNS1_3gpuE7ELNS1_3repE0EEENS1_52radix_sort_onesweep_histogram_config_static_selectorELNS0_4arch9wavefront6targetE1EEEvSG_.num_agpr, 0
	.set _ZN7rocprim17ROCPRIM_400000_NS6detail17trampoline_kernelINS0_14default_configENS1_35radix_sort_onesweep_config_selectorIiiEEZNS1_34radix_sort_onesweep_global_offsetsIS3_Lb1EN6thrust23THRUST_200600_302600_NS6detail15normal_iteratorINS8_10device_ptrIiEEEESD_jNS0_19identity_decomposerEEE10hipError_tT1_T2_PT3_SI_jT4_jjP12ihipStream_tbEUlT_E_NS1_11comp_targetILNS1_3genE3ELNS1_11target_archE908ELNS1_3gpuE7ELNS1_3repE0EEENS1_52radix_sort_onesweep_histogram_config_static_selectorELNS0_4arch9wavefront6targetE1EEEvSG_.numbered_sgpr, 0
	.set _ZN7rocprim17ROCPRIM_400000_NS6detail17trampoline_kernelINS0_14default_configENS1_35radix_sort_onesweep_config_selectorIiiEEZNS1_34radix_sort_onesweep_global_offsetsIS3_Lb1EN6thrust23THRUST_200600_302600_NS6detail15normal_iteratorINS8_10device_ptrIiEEEESD_jNS0_19identity_decomposerEEE10hipError_tT1_T2_PT3_SI_jT4_jjP12ihipStream_tbEUlT_E_NS1_11comp_targetILNS1_3genE3ELNS1_11target_archE908ELNS1_3gpuE7ELNS1_3repE0EEENS1_52radix_sort_onesweep_histogram_config_static_selectorELNS0_4arch9wavefront6targetE1EEEvSG_.num_named_barrier, 0
	.set _ZN7rocprim17ROCPRIM_400000_NS6detail17trampoline_kernelINS0_14default_configENS1_35radix_sort_onesweep_config_selectorIiiEEZNS1_34radix_sort_onesweep_global_offsetsIS3_Lb1EN6thrust23THRUST_200600_302600_NS6detail15normal_iteratorINS8_10device_ptrIiEEEESD_jNS0_19identity_decomposerEEE10hipError_tT1_T2_PT3_SI_jT4_jjP12ihipStream_tbEUlT_E_NS1_11comp_targetILNS1_3genE3ELNS1_11target_archE908ELNS1_3gpuE7ELNS1_3repE0EEENS1_52radix_sort_onesweep_histogram_config_static_selectorELNS0_4arch9wavefront6targetE1EEEvSG_.private_seg_size, 0
	.set _ZN7rocprim17ROCPRIM_400000_NS6detail17trampoline_kernelINS0_14default_configENS1_35radix_sort_onesweep_config_selectorIiiEEZNS1_34radix_sort_onesweep_global_offsetsIS3_Lb1EN6thrust23THRUST_200600_302600_NS6detail15normal_iteratorINS8_10device_ptrIiEEEESD_jNS0_19identity_decomposerEEE10hipError_tT1_T2_PT3_SI_jT4_jjP12ihipStream_tbEUlT_E_NS1_11comp_targetILNS1_3genE3ELNS1_11target_archE908ELNS1_3gpuE7ELNS1_3repE0EEENS1_52radix_sort_onesweep_histogram_config_static_selectorELNS0_4arch9wavefront6targetE1EEEvSG_.uses_vcc, 0
	.set _ZN7rocprim17ROCPRIM_400000_NS6detail17trampoline_kernelINS0_14default_configENS1_35radix_sort_onesweep_config_selectorIiiEEZNS1_34radix_sort_onesweep_global_offsetsIS3_Lb1EN6thrust23THRUST_200600_302600_NS6detail15normal_iteratorINS8_10device_ptrIiEEEESD_jNS0_19identity_decomposerEEE10hipError_tT1_T2_PT3_SI_jT4_jjP12ihipStream_tbEUlT_E_NS1_11comp_targetILNS1_3genE3ELNS1_11target_archE908ELNS1_3gpuE7ELNS1_3repE0EEENS1_52radix_sort_onesweep_histogram_config_static_selectorELNS0_4arch9wavefront6targetE1EEEvSG_.uses_flat_scratch, 0
	.set _ZN7rocprim17ROCPRIM_400000_NS6detail17trampoline_kernelINS0_14default_configENS1_35radix_sort_onesweep_config_selectorIiiEEZNS1_34radix_sort_onesweep_global_offsetsIS3_Lb1EN6thrust23THRUST_200600_302600_NS6detail15normal_iteratorINS8_10device_ptrIiEEEESD_jNS0_19identity_decomposerEEE10hipError_tT1_T2_PT3_SI_jT4_jjP12ihipStream_tbEUlT_E_NS1_11comp_targetILNS1_3genE3ELNS1_11target_archE908ELNS1_3gpuE7ELNS1_3repE0EEENS1_52radix_sort_onesweep_histogram_config_static_selectorELNS0_4arch9wavefront6targetE1EEEvSG_.has_dyn_sized_stack, 0
	.set _ZN7rocprim17ROCPRIM_400000_NS6detail17trampoline_kernelINS0_14default_configENS1_35radix_sort_onesweep_config_selectorIiiEEZNS1_34radix_sort_onesweep_global_offsetsIS3_Lb1EN6thrust23THRUST_200600_302600_NS6detail15normal_iteratorINS8_10device_ptrIiEEEESD_jNS0_19identity_decomposerEEE10hipError_tT1_T2_PT3_SI_jT4_jjP12ihipStream_tbEUlT_E_NS1_11comp_targetILNS1_3genE3ELNS1_11target_archE908ELNS1_3gpuE7ELNS1_3repE0EEENS1_52radix_sort_onesweep_histogram_config_static_selectorELNS0_4arch9wavefront6targetE1EEEvSG_.has_recursion, 0
	.set _ZN7rocprim17ROCPRIM_400000_NS6detail17trampoline_kernelINS0_14default_configENS1_35radix_sort_onesweep_config_selectorIiiEEZNS1_34radix_sort_onesweep_global_offsetsIS3_Lb1EN6thrust23THRUST_200600_302600_NS6detail15normal_iteratorINS8_10device_ptrIiEEEESD_jNS0_19identity_decomposerEEE10hipError_tT1_T2_PT3_SI_jT4_jjP12ihipStream_tbEUlT_E_NS1_11comp_targetILNS1_3genE3ELNS1_11target_archE908ELNS1_3gpuE7ELNS1_3repE0EEENS1_52radix_sort_onesweep_histogram_config_static_selectorELNS0_4arch9wavefront6targetE1EEEvSG_.has_indirect_call, 0
	.section	.AMDGPU.csdata,"",@progbits
; Kernel info:
; codeLenInByte = 0
; TotalNumSgprs: 6
; NumVgprs: 0
; NumAgprs: 0
; TotalNumVgprs: 0
; ScratchSize: 0
; MemoryBound: 0
; FloatMode: 240
; IeeeMode: 1
; LDSByteSize: 0 bytes/workgroup (compile time only)
; SGPRBlocks: 0
; VGPRBlocks: 0
; NumSGPRsForWavesPerEU: 6
; NumVGPRsForWavesPerEU: 1
; AccumOffset: 4
; Occupancy: 8
; WaveLimiterHint : 0
; COMPUTE_PGM_RSRC2:SCRATCH_EN: 0
; COMPUTE_PGM_RSRC2:USER_SGPR: 2
; COMPUTE_PGM_RSRC2:TRAP_HANDLER: 0
; COMPUTE_PGM_RSRC2:TGID_X_EN: 1
; COMPUTE_PGM_RSRC2:TGID_Y_EN: 0
; COMPUTE_PGM_RSRC2:TGID_Z_EN: 0
; COMPUTE_PGM_RSRC2:TIDIG_COMP_CNT: 0
; COMPUTE_PGM_RSRC3_GFX90A:ACCUM_OFFSET: 0
; COMPUTE_PGM_RSRC3_GFX90A:TG_SPLIT: 0
	.section	.text._ZN7rocprim17ROCPRIM_400000_NS6detail17trampoline_kernelINS0_14default_configENS1_35radix_sort_onesweep_config_selectorIiiEEZNS1_34radix_sort_onesweep_global_offsetsIS3_Lb1EN6thrust23THRUST_200600_302600_NS6detail15normal_iteratorINS8_10device_ptrIiEEEESD_jNS0_19identity_decomposerEEE10hipError_tT1_T2_PT3_SI_jT4_jjP12ihipStream_tbEUlT_E_NS1_11comp_targetILNS1_3genE10ELNS1_11target_archE1201ELNS1_3gpuE5ELNS1_3repE0EEENS1_52radix_sort_onesweep_histogram_config_static_selectorELNS0_4arch9wavefront6targetE1EEEvSG_,"axG",@progbits,_ZN7rocprim17ROCPRIM_400000_NS6detail17trampoline_kernelINS0_14default_configENS1_35radix_sort_onesweep_config_selectorIiiEEZNS1_34radix_sort_onesweep_global_offsetsIS3_Lb1EN6thrust23THRUST_200600_302600_NS6detail15normal_iteratorINS8_10device_ptrIiEEEESD_jNS0_19identity_decomposerEEE10hipError_tT1_T2_PT3_SI_jT4_jjP12ihipStream_tbEUlT_E_NS1_11comp_targetILNS1_3genE10ELNS1_11target_archE1201ELNS1_3gpuE5ELNS1_3repE0EEENS1_52radix_sort_onesweep_histogram_config_static_selectorELNS0_4arch9wavefront6targetE1EEEvSG_,comdat
	.protected	_ZN7rocprim17ROCPRIM_400000_NS6detail17trampoline_kernelINS0_14default_configENS1_35radix_sort_onesweep_config_selectorIiiEEZNS1_34radix_sort_onesweep_global_offsetsIS3_Lb1EN6thrust23THRUST_200600_302600_NS6detail15normal_iteratorINS8_10device_ptrIiEEEESD_jNS0_19identity_decomposerEEE10hipError_tT1_T2_PT3_SI_jT4_jjP12ihipStream_tbEUlT_E_NS1_11comp_targetILNS1_3genE10ELNS1_11target_archE1201ELNS1_3gpuE5ELNS1_3repE0EEENS1_52radix_sort_onesweep_histogram_config_static_selectorELNS0_4arch9wavefront6targetE1EEEvSG_ ; -- Begin function _ZN7rocprim17ROCPRIM_400000_NS6detail17trampoline_kernelINS0_14default_configENS1_35radix_sort_onesweep_config_selectorIiiEEZNS1_34radix_sort_onesweep_global_offsetsIS3_Lb1EN6thrust23THRUST_200600_302600_NS6detail15normal_iteratorINS8_10device_ptrIiEEEESD_jNS0_19identity_decomposerEEE10hipError_tT1_T2_PT3_SI_jT4_jjP12ihipStream_tbEUlT_E_NS1_11comp_targetILNS1_3genE10ELNS1_11target_archE1201ELNS1_3gpuE5ELNS1_3repE0EEENS1_52radix_sort_onesweep_histogram_config_static_selectorELNS0_4arch9wavefront6targetE1EEEvSG_
	.globl	_ZN7rocprim17ROCPRIM_400000_NS6detail17trampoline_kernelINS0_14default_configENS1_35radix_sort_onesweep_config_selectorIiiEEZNS1_34radix_sort_onesweep_global_offsetsIS3_Lb1EN6thrust23THRUST_200600_302600_NS6detail15normal_iteratorINS8_10device_ptrIiEEEESD_jNS0_19identity_decomposerEEE10hipError_tT1_T2_PT3_SI_jT4_jjP12ihipStream_tbEUlT_E_NS1_11comp_targetILNS1_3genE10ELNS1_11target_archE1201ELNS1_3gpuE5ELNS1_3repE0EEENS1_52radix_sort_onesweep_histogram_config_static_selectorELNS0_4arch9wavefront6targetE1EEEvSG_
	.p2align	8
	.type	_ZN7rocprim17ROCPRIM_400000_NS6detail17trampoline_kernelINS0_14default_configENS1_35radix_sort_onesweep_config_selectorIiiEEZNS1_34radix_sort_onesweep_global_offsetsIS3_Lb1EN6thrust23THRUST_200600_302600_NS6detail15normal_iteratorINS8_10device_ptrIiEEEESD_jNS0_19identity_decomposerEEE10hipError_tT1_T2_PT3_SI_jT4_jjP12ihipStream_tbEUlT_E_NS1_11comp_targetILNS1_3genE10ELNS1_11target_archE1201ELNS1_3gpuE5ELNS1_3repE0EEENS1_52radix_sort_onesweep_histogram_config_static_selectorELNS0_4arch9wavefront6targetE1EEEvSG_,@function
_ZN7rocprim17ROCPRIM_400000_NS6detail17trampoline_kernelINS0_14default_configENS1_35radix_sort_onesweep_config_selectorIiiEEZNS1_34radix_sort_onesweep_global_offsetsIS3_Lb1EN6thrust23THRUST_200600_302600_NS6detail15normal_iteratorINS8_10device_ptrIiEEEESD_jNS0_19identity_decomposerEEE10hipError_tT1_T2_PT3_SI_jT4_jjP12ihipStream_tbEUlT_E_NS1_11comp_targetILNS1_3genE10ELNS1_11target_archE1201ELNS1_3gpuE5ELNS1_3repE0EEENS1_52radix_sort_onesweep_histogram_config_static_selectorELNS0_4arch9wavefront6targetE1EEEvSG_: ; @_ZN7rocprim17ROCPRIM_400000_NS6detail17trampoline_kernelINS0_14default_configENS1_35radix_sort_onesweep_config_selectorIiiEEZNS1_34radix_sort_onesweep_global_offsetsIS3_Lb1EN6thrust23THRUST_200600_302600_NS6detail15normal_iteratorINS8_10device_ptrIiEEEESD_jNS0_19identity_decomposerEEE10hipError_tT1_T2_PT3_SI_jT4_jjP12ihipStream_tbEUlT_E_NS1_11comp_targetILNS1_3genE10ELNS1_11target_archE1201ELNS1_3gpuE5ELNS1_3repE0EEENS1_52radix_sort_onesweep_histogram_config_static_selectorELNS0_4arch9wavefront6targetE1EEEvSG_
; %bb.0:
	.section	.rodata,"a",@progbits
	.p2align	6, 0x0
	.amdhsa_kernel _ZN7rocprim17ROCPRIM_400000_NS6detail17trampoline_kernelINS0_14default_configENS1_35radix_sort_onesweep_config_selectorIiiEEZNS1_34radix_sort_onesweep_global_offsetsIS3_Lb1EN6thrust23THRUST_200600_302600_NS6detail15normal_iteratorINS8_10device_ptrIiEEEESD_jNS0_19identity_decomposerEEE10hipError_tT1_T2_PT3_SI_jT4_jjP12ihipStream_tbEUlT_E_NS1_11comp_targetILNS1_3genE10ELNS1_11target_archE1201ELNS1_3gpuE5ELNS1_3repE0EEENS1_52radix_sort_onesweep_histogram_config_static_selectorELNS0_4arch9wavefront6targetE1EEEvSG_
		.amdhsa_group_segment_fixed_size 0
		.amdhsa_private_segment_fixed_size 0
		.amdhsa_kernarg_size 40
		.amdhsa_user_sgpr_count 2
		.amdhsa_user_sgpr_dispatch_ptr 0
		.amdhsa_user_sgpr_queue_ptr 0
		.amdhsa_user_sgpr_kernarg_segment_ptr 1
		.amdhsa_user_sgpr_dispatch_id 0
		.amdhsa_user_sgpr_kernarg_preload_length 0
		.amdhsa_user_sgpr_kernarg_preload_offset 0
		.amdhsa_user_sgpr_private_segment_size 0
		.amdhsa_uses_dynamic_stack 0
		.amdhsa_enable_private_segment 0
		.amdhsa_system_sgpr_workgroup_id_x 1
		.amdhsa_system_sgpr_workgroup_id_y 0
		.amdhsa_system_sgpr_workgroup_id_z 0
		.amdhsa_system_sgpr_workgroup_info 0
		.amdhsa_system_vgpr_workitem_id 0
		.amdhsa_next_free_vgpr 1
		.amdhsa_next_free_sgpr 0
		.amdhsa_accum_offset 4
		.amdhsa_reserve_vcc 0
		.amdhsa_float_round_mode_32 0
		.amdhsa_float_round_mode_16_64 0
		.amdhsa_float_denorm_mode_32 3
		.amdhsa_float_denorm_mode_16_64 3
		.amdhsa_dx10_clamp 1
		.amdhsa_ieee_mode 1
		.amdhsa_fp16_overflow 0
		.amdhsa_tg_split 0
		.amdhsa_exception_fp_ieee_invalid_op 0
		.amdhsa_exception_fp_denorm_src 0
		.amdhsa_exception_fp_ieee_div_zero 0
		.amdhsa_exception_fp_ieee_overflow 0
		.amdhsa_exception_fp_ieee_underflow 0
		.amdhsa_exception_fp_ieee_inexact 0
		.amdhsa_exception_int_div_zero 0
	.end_amdhsa_kernel
	.section	.text._ZN7rocprim17ROCPRIM_400000_NS6detail17trampoline_kernelINS0_14default_configENS1_35radix_sort_onesweep_config_selectorIiiEEZNS1_34radix_sort_onesweep_global_offsetsIS3_Lb1EN6thrust23THRUST_200600_302600_NS6detail15normal_iteratorINS8_10device_ptrIiEEEESD_jNS0_19identity_decomposerEEE10hipError_tT1_T2_PT3_SI_jT4_jjP12ihipStream_tbEUlT_E_NS1_11comp_targetILNS1_3genE10ELNS1_11target_archE1201ELNS1_3gpuE5ELNS1_3repE0EEENS1_52radix_sort_onesweep_histogram_config_static_selectorELNS0_4arch9wavefront6targetE1EEEvSG_,"axG",@progbits,_ZN7rocprim17ROCPRIM_400000_NS6detail17trampoline_kernelINS0_14default_configENS1_35radix_sort_onesweep_config_selectorIiiEEZNS1_34radix_sort_onesweep_global_offsetsIS3_Lb1EN6thrust23THRUST_200600_302600_NS6detail15normal_iteratorINS8_10device_ptrIiEEEESD_jNS0_19identity_decomposerEEE10hipError_tT1_T2_PT3_SI_jT4_jjP12ihipStream_tbEUlT_E_NS1_11comp_targetILNS1_3genE10ELNS1_11target_archE1201ELNS1_3gpuE5ELNS1_3repE0EEENS1_52radix_sort_onesweep_histogram_config_static_selectorELNS0_4arch9wavefront6targetE1EEEvSG_,comdat
.Lfunc_end1825:
	.size	_ZN7rocprim17ROCPRIM_400000_NS6detail17trampoline_kernelINS0_14default_configENS1_35radix_sort_onesweep_config_selectorIiiEEZNS1_34radix_sort_onesweep_global_offsetsIS3_Lb1EN6thrust23THRUST_200600_302600_NS6detail15normal_iteratorINS8_10device_ptrIiEEEESD_jNS0_19identity_decomposerEEE10hipError_tT1_T2_PT3_SI_jT4_jjP12ihipStream_tbEUlT_E_NS1_11comp_targetILNS1_3genE10ELNS1_11target_archE1201ELNS1_3gpuE5ELNS1_3repE0EEENS1_52radix_sort_onesweep_histogram_config_static_selectorELNS0_4arch9wavefront6targetE1EEEvSG_, .Lfunc_end1825-_ZN7rocprim17ROCPRIM_400000_NS6detail17trampoline_kernelINS0_14default_configENS1_35radix_sort_onesweep_config_selectorIiiEEZNS1_34radix_sort_onesweep_global_offsetsIS3_Lb1EN6thrust23THRUST_200600_302600_NS6detail15normal_iteratorINS8_10device_ptrIiEEEESD_jNS0_19identity_decomposerEEE10hipError_tT1_T2_PT3_SI_jT4_jjP12ihipStream_tbEUlT_E_NS1_11comp_targetILNS1_3genE10ELNS1_11target_archE1201ELNS1_3gpuE5ELNS1_3repE0EEENS1_52radix_sort_onesweep_histogram_config_static_selectorELNS0_4arch9wavefront6targetE1EEEvSG_
                                        ; -- End function
	.set _ZN7rocprim17ROCPRIM_400000_NS6detail17trampoline_kernelINS0_14default_configENS1_35radix_sort_onesweep_config_selectorIiiEEZNS1_34radix_sort_onesweep_global_offsetsIS3_Lb1EN6thrust23THRUST_200600_302600_NS6detail15normal_iteratorINS8_10device_ptrIiEEEESD_jNS0_19identity_decomposerEEE10hipError_tT1_T2_PT3_SI_jT4_jjP12ihipStream_tbEUlT_E_NS1_11comp_targetILNS1_3genE10ELNS1_11target_archE1201ELNS1_3gpuE5ELNS1_3repE0EEENS1_52radix_sort_onesweep_histogram_config_static_selectorELNS0_4arch9wavefront6targetE1EEEvSG_.num_vgpr, 0
	.set _ZN7rocprim17ROCPRIM_400000_NS6detail17trampoline_kernelINS0_14default_configENS1_35radix_sort_onesweep_config_selectorIiiEEZNS1_34radix_sort_onesweep_global_offsetsIS3_Lb1EN6thrust23THRUST_200600_302600_NS6detail15normal_iteratorINS8_10device_ptrIiEEEESD_jNS0_19identity_decomposerEEE10hipError_tT1_T2_PT3_SI_jT4_jjP12ihipStream_tbEUlT_E_NS1_11comp_targetILNS1_3genE10ELNS1_11target_archE1201ELNS1_3gpuE5ELNS1_3repE0EEENS1_52radix_sort_onesweep_histogram_config_static_selectorELNS0_4arch9wavefront6targetE1EEEvSG_.num_agpr, 0
	.set _ZN7rocprim17ROCPRIM_400000_NS6detail17trampoline_kernelINS0_14default_configENS1_35radix_sort_onesweep_config_selectorIiiEEZNS1_34radix_sort_onesweep_global_offsetsIS3_Lb1EN6thrust23THRUST_200600_302600_NS6detail15normal_iteratorINS8_10device_ptrIiEEEESD_jNS0_19identity_decomposerEEE10hipError_tT1_T2_PT3_SI_jT4_jjP12ihipStream_tbEUlT_E_NS1_11comp_targetILNS1_3genE10ELNS1_11target_archE1201ELNS1_3gpuE5ELNS1_3repE0EEENS1_52radix_sort_onesweep_histogram_config_static_selectorELNS0_4arch9wavefront6targetE1EEEvSG_.numbered_sgpr, 0
	.set _ZN7rocprim17ROCPRIM_400000_NS6detail17trampoline_kernelINS0_14default_configENS1_35radix_sort_onesweep_config_selectorIiiEEZNS1_34radix_sort_onesweep_global_offsetsIS3_Lb1EN6thrust23THRUST_200600_302600_NS6detail15normal_iteratorINS8_10device_ptrIiEEEESD_jNS0_19identity_decomposerEEE10hipError_tT1_T2_PT3_SI_jT4_jjP12ihipStream_tbEUlT_E_NS1_11comp_targetILNS1_3genE10ELNS1_11target_archE1201ELNS1_3gpuE5ELNS1_3repE0EEENS1_52radix_sort_onesweep_histogram_config_static_selectorELNS0_4arch9wavefront6targetE1EEEvSG_.num_named_barrier, 0
	.set _ZN7rocprim17ROCPRIM_400000_NS6detail17trampoline_kernelINS0_14default_configENS1_35radix_sort_onesweep_config_selectorIiiEEZNS1_34radix_sort_onesweep_global_offsetsIS3_Lb1EN6thrust23THRUST_200600_302600_NS6detail15normal_iteratorINS8_10device_ptrIiEEEESD_jNS0_19identity_decomposerEEE10hipError_tT1_T2_PT3_SI_jT4_jjP12ihipStream_tbEUlT_E_NS1_11comp_targetILNS1_3genE10ELNS1_11target_archE1201ELNS1_3gpuE5ELNS1_3repE0EEENS1_52radix_sort_onesweep_histogram_config_static_selectorELNS0_4arch9wavefront6targetE1EEEvSG_.private_seg_size, 0
	.set _ZN7rocprim17ROCPRIM_400000_NS6detail17trampoline_kernelINS0_14default_configENS1_35radix_sort_onesweep_config_selectorIiiEEZNS1_34radix_sort_onesweep_global_offsetsIS3_Lb1EN6thrust23THRUST_200600_302600_NS6detail15normal_iteratorINS8_10device_ptrIiEEEESD_jNS0_19identity_decomposerEEE10hipError_tT1_T2_PT3_SI_jT4_jjP12ihipStream_tbEUlT_E_NS1_11comp_targetILNS1_3genE10ELNS1_11target_archE1201ELNS1_3gpuE5ELNS1_3repE0EEENS1_52radix_sort_onesweep_histogram_config_static_selectorELNS0_4arch9wavefront6targetE1EEEvSG_.uses_vcc, 0
	.set _ZN7rocprim17ROCPRIM_400000_NS6detail17trampoline_kernelINS0_14default_configENS1_35radix_sort_onesweep_config_selectorIiiEEZNS1_34radix_sort_onesweep_global_offsetsIS3_Lb1EN6thrust23THRUST_200600_302600_NS6detail15normal_iteratorINS8_10device_ptrIiEEEESD_jNS0_19identity_decomposerEEE10hipError_tT1_T2_PT3_SI_jT4_jjP12ihipStream_tbEUlT_E_NS1_11comp_targetILNS1_3genE10ELNS1_11target_archE1201ELNS1_3gpuE5ELNS1_3repE0EEENS1_52radix_sort_onesweep_histogram_config_static_selectorELNS0_4arch9wavefront6targetE1EEEvSG_.uses_flat_scratch, 0
	.set _ZN7rocprim17ROCPRIM_400000_NS6detail17trampoline_kernelINS0_14default_configENS1_35radix_sort_onesweep_config_selectorIiiEEZNS1_34radix_sort_onesweep_global_offsetsIS3_Lb1EN6thrust23THRUST_200600_302600_NS6detail15normal_iteratorINS8_10device_ptrIiEEEESD_jNS0_19identity_decomposerEEE10hipError_tT1_T2_PT3_SI_jT4_jjP12ihipStream_tbEUlT_E_NS1_11comp_targetILNS1_3genE10ELNS1_11target_archE1201ELNS1_3gpuE5ELNS1_3repE0EEENS1_52radix_sort_onesweep_histogram_config_static_selectorELNS0_4arch9wavefront6targetE1EEEvSG_.has_dyn_sized_stack, 0
	.set _ZN7rocprim17ROCPRIM_400000_NS6detail17trampoline_kernelINS0_14default_configENS1_35radix_sort_onesweep_config_selectorIiiEEZNS1_34radix_sort_onesweep_global_offsetsIS3_Lb1EN6thrust23THRUST_200600_302600_NS6detail15normal_iteratorINS8_10device_ptrIiEEEESD_jNS0_19identity_decomposerEEE10hipError_tT1_T2_PT3_SI_jT4_jjP12ihipStream_tbEUlT_E_NS1_11comp_targetILNS1_3genE10ELNS1_11target_archE1201ELNS1_3gpuE5ELNS1_3repE0EEENS1_52radix_sort_onesweep_histogram_config_static_selectorELNS0_4arch9wavefront6targetE1EEEvSG_.has_recursion, 0
	.set _ZN7rocprim17ROCPRIM_400000_NS6detail17trampoline_kernelINS0_14default_configENS1_35radix_sort_onesweep_config_selectorIiiEEZNS1_34radix_sort_onesweep_global_offsetsIS3_Lb1EN6thrust23THRUST_200600_302600_NS6detail15normal_iteratorINS8_10device_ptrIiEEEESD_jNS0_19identity_decomposerEEE10hipError_tT1_T2_PT3_SI_jT4_jjP12ihipStream_tbEUlT_E_NS1_11comp_targetILNS1_3genE10ELNS1_11target_archE1201ELNS1_3gpuE5ELNS1_3repE0EEENS1_52radix_sort_onesweep_histogram_config_static_selectorELNS0_4arch9wavefront6targetE1EEEvSG_.has_indirect_call, 0
	.section	.AMDGPU.csdata,"",@progbits
; Kernel info:
; codeLenInByte = 0
; TotalNumSgprs: 6
; NumVgprs: 0
; NumAgprs: 0
; TotalNumVgprs: 0
; ScratchSize: 0
; MemoryBound: 0
; FloatMode: 240
; IeeeMode: 1
; LDSByteSize: 0 bytes/workgroup (compile time only)
; SGPRBlocks: 0
; VGPRBlocks: 0
; NumSGPRsForWavesPerEU: 6
; NumVGPRsForWavesPerEU: 1
; AccumOffset: 4
; Occupancy: 8
; WaveLimiterHint : 0
; COMPUTE_PGM_RSRC2:SCRATCH_EN: 0
; COMPUTE_PGM_RSRC2:USER_SGPR: 2
; COMPUTE_PGM_RSRC2:TRAP_HANDLER: 0
; COMPUTE_PGM_RSRC2:TGID_X_EN: 1
; COMPUTE_PGM_RSRC2:TGID_Y_EN: 0
; COMPUTE_PGM_RSRC2:TGID_Z_EN: 0
; COMPUTE_PGM_RSRC2:TIDIG_COMP_CNT: 0
; COMPUTE_PGM_RSRC3_GFX90A:ACCUM_OFFSET: 0
; COMPUTE_PGM_RSRC3_GFX90A:TG_SPLIT: 0
	.section	.text._ZN7rocprim17ROCPRIM_400000_NS6detail17trampoline_kernelINS0_14default_configENS1_35radix_sort_onesweep_config_selectorIiiEEZNS1_34radix_sort_onesweep_global_offsetsIS3_Lb1EN6thrust23THRUST_200600_302600_NS6detail15normal_iteratorINS8_10device_ptrIiEEEESD_jNS0_19identity_decomposerEEE10hipError_tT1_T2_PT3_SI_jT4_jjP12ihipStream_tbEUlT_E_NS1_11comp_targetILNS1_3genE9ELNS1_11target_archE1100ELNS1_3gpuE3ELNS1_3repE0EEENS1_52radix_sort_onesweep_histogram_config_static_selectorELNS0_4arch9wavefront6targetE1EEEvSG_,"axG",@progbits,_ZN7rocprim17ROCPRIM_400000_NS6detail17trampoline_kernelINS0_14default_configENS1_35radix_sort_onesweep_config_selectorIiiEEZNS1_34radix_sort_onesweep_global_offsetsIS3_Lb1EN6thrust23THRUST_200600_302600_NS6detail15normal_iteratorINS8_10device_ptrIiEEEESD_jNS0_19identity_decomposerEEE10hipError_tT1_T2_PT3_SI_jT4_jjP12ihipStream_tbEUlT_E_NS1_11comp_targetILNS1_3genE9ELNS1_11target_archE1100ELNS1_3gpuE3ELNS1_3repE0EEENS1_52radix_sort_onesweep_histogram_config_static_selectorELNS0_4arch9wavefront6targetE1EEEvSG_,comdat
	.protected	_ZN7rocprim17ROCPRIM_400000_NS6detail17trampoline_kernelINS0_14default_configENS1_35radix_sort_onesweep_config_selectorIiiEEZNS1_34radix_sort_onesweep_global_offsetsIS3_Lb1EN6thrust23THRUST_200600_302600_NS6detail15normal_iteratorINS8_10device_ptrIiEEEESD_jNS0_19identity_decomposerEEE10hipError_tT1_T2_PT3_SI_jT4_jjP12ihipStream_tbEUlT_E_NS1_11comp_targetILNS1_3genE9ELNS1_11target_archE1100ELNS1_3gpuE3ELNS1_3repE0EEENS1_52radix_sort_onesweep_histogram_config_static_selectorELNS0_4arch9wavefront6targetE1EEEvSG_ ; -- Begin function _ZN7rocprim17ROCPRIM_400000_NS6detail17trampoline_kernelINS0_14default_configENS1_35radix_sort_onesweep_config_selectorIiiEEZNS1_34radix_sort_onesweep_global_offsetsIS3_Lb1EN6thrust23THRUST_200600_302600_NS6detail15normal_iteratorINS8_10device_ptrIiEEEESD_jNS0_19identity_decomposerEEE10hipError_tT1_T2_PT3_SI_jT4_jjP12ihipStream_tbEUlT_E_NS1_11comp_targetILNS1_3genE9ELNS1_11target_archE1100ELNS1_3gpuE3ELNS1_3repE0EEENS1_52radix_sort_onesweep_histogram_config_static_selectorELNS0_4arch9wavefront6targetE1EEEvSG_
	.globl	_ZN7rocprim17ROCPRIM_400000_NS6detail17trampoline_kernelINS0_14default_configENS1_35radix_sort_onesweep_config_selectorIiiEEZNS1_34radix_sort_onesweep_global_offsetsIS3_Lb1EN6thrust23THRUST_200600_302600_NS6detail15normal_iteratorINS8_10device_ptrIiEEEESD_jNS0_19identity_decomposerEEE10hipError_tT1_T2_PT3_SI_jT4_jjP12ihipStream_tbEUlT_E_NS1_11comp_targetILNS1_3genE9ELNS1_11target_archE1100ELNS1_3gpuE3ELNS1_3repE0EEENS1_52radix_sort_onesweep_histogram_config_static_selectorELNS0_4arch9wavefront6targetE1EEEvSG_
	.p2align	8
	.type	_ZN7rocprim17ROCPRIM_400000_NS6detail17trampoline_kernelINS0_14default_configENS1_35radix_sort_onesweep_config_selectorIiiEEZNS1_34radix_sort_onesweep_global_offsetsIS3_Lb1EN6thrust23THRUST_200600_302600_NS6detail15normal_iteratorINS8_10device_ptrIiEEEESD_jNS0_19identity_decomposerEEE10hipError_tT1_T2_PT3_SI_jT4_jjP12ihipStream_tbEUlT_E_NS1_11comp_targetILNS1_3genE9ELNS1_11target_archE1100ELNS1_3gpuE3ELNS1_3repE0EEENS1_52radix_sort_onesweep_histogram_config_static_selectorELNS0_4arch9wavefront6targetE1EEEvSG_,@function
_ZN7rocprim17ROCPRIM_400000_NS6detail17trampoline_kernelINS0_14default_configENS1_35radix_sort_onesweep_config_selectorIiiEEZNS1_34radix_sort_onesweep_global_offsetsIS3_Lb1EN6thrust23THRUST_200600_302600_NS6detail15normal_iteratorINS8_10device_ptrIiEEEESD_jNS0_19identity_decomposerEEE10hipError_tT1_T2_PT3_SI_jT4_jjP12ihipStream_tbEUlT_E_NS1_11comp_targetILNS1_3genE9ELNS1_11target_archE1100ELNS1_3gpuE3ELNS1_3repE0EEENS1_52radix_sort_onesweep_histogram_config_static_selectorELNS0_4arch9wavefront6targetE1EEEvSG_: ; @_ZN7rocprim17ROCPRIM_400000_NS6detail17trampoline_kernelINS0_14default_configENS1_35radix_sort_onesweep_config_selectorIiiEEZNS1_34radix_sort_onesweep_global_offsetsIS3_Lb1EN6thrust23THRUST_200600_302600_NS6detail15normal_iteratorINS8_10device_ptrIiEEEESD_jNS0_19identity_decomposerEEE10hipError_tT1_T2_PT3_SI_jT4_jjP12ihipStream_tbEUlT_E_NS1_11comp_targetILNS1_3genE9ELNS1_11target_archE1100ELNS1_3gpuE3ELNS1_3repE0EEENS1_52radix_sort_onesweep_histogram_config_static_selectorELNS0_4arch9wavefront6targetE1EEEvSG_
; %bb.0:
	.section	.rodata,"a",@progbits
	.p2align	6, 0x0
	.amdhsa_kernel _ZN7rocprim17ROCPRIM_400000_NS6detail17trampoline_kernelINS0_14default_configENS1_35radix_sort_onesweep_config_selectorIiiEEZNS1_34radix_sort_onesweep_global_offsetsIS3_Lb1EN6thrust23THRUST_200600_302600_NS6detail15normal_iteratorINS8_10device_ptrIiEEEESD_jNS0_19identity_decomposerEEE10hipError_tT1_T2_PT3_SI_jT4_jjP12ihipStream_tbEUlT_E_NS1_11comp_targetILNS1_3genE9ELNS1_11target_archE1100ELNS1_3gpuE3ELNS1_3repE0EEENS1_52radix_sort_onesweep_histogram_config_static_selectorELNS0_4arch9wavefront6targetE1EEEvSG_
		.amdhsa_group_segment_fixed_size 0
		.amdhsa_private_segment_fixed_size 0
		.amdhsa_kernarg_size 40
		.amdhsa_user_sgpr_count 2
		.amdhsa_user_sgpr_dispatch_ptr 0
		.amdhsa_user_sgpr_queue_ptr 0
		.amdhsa_user_sgpr_kernarg_segment_ptr 1
		.amdhsa_user_sgpr_dispatch_id 0
		.amdhsa_user_sgpr_kernarg_preload_length 0
		.amdhsa_user_sgpr_kernarg_preload_offset 0
		.amdhsa_user_sgpr_private_segment_size 0
		.amdhsa_uses_dynamic_stack 0
		.amdhsa_enable_private_segment 0
		.amdhsa_system_sgpr_workgroup_id_x 1
		.amdhsa_system_sgpr_workgroup_id_y 0
		.amdhsa_system_sgpr_workgroup_id_z 0
		.amdhsa_system_sgpr_workgroup_info 0
		.amdhsa_system_vgpr_workitem_id 0
		.amdhsa_next_free_vgpr 1
		.amdhsa_next_free_sgpr 0
		.amdhsa_accum_offset 4
		.amdhsa_reserve_vcc 0
		.amdhsa_float_round_mode_32 0
		.amdhsa_float_round_mode_16_64 0
		.amdhsa_float_denorm_mode_32 3
		.amdhsa_float_denorm_mode_16_64 3
		.amdhsa_dx10_clamp 1
		.amdhsa_ieee_mode 1
		.amdhsa_fp16_overflow 0
		.amdhsa_tg_split 0
		.amdhsa_exception_fp_ieee_invalid_op 0
		.amdhsa_exception_fp_denorm_src 0
		.amdhsa_exception_fp_ieee_div_zero 0
		.amdhsa_exception_fp_ieee_overflow 0
		.amdhsa_exception_fp_ieee_underflow 0
		.amdhsa_exception_fp_ieee_inexact 0
		.amdhsa_exception_int_div_zero 0
	.end_amdhsa_kernel
	.section	.text._ZN7rocprim17ROCPRIM_400000_NS6detail17trampoline_kernelINS0_14default_configENS1_35radix_sort_onesweep_config_selectorIiiEEZNS1_34radix_sort_onesweep_global_offsetsIS3_Lb1EN6thrust23THRUST_200600_302600_NS6detail15normal_iteratorINS8_10device_ptrIiEEEESD_jNS0_19identity_decomposerEEE10hipError_tT1_T2_PT3_SI_jT4_jjP12ihipStream_tbEUlT_E_NS1_11comp_targetILNS1_3genE9ELNS1_11target_archE1100ELNS1_3gpuE3ELNS1_3repE0EEENS1_52radix_sort_onesweep_histogram_config_static_selectorELNS0_4arch9wavefront6targetE1EEEvSG_,"axG",@progbits,_ZN7rocprim17ROCPRIM_400000_NS6detail17trampoline_kernelINS0_14default_configENS1_35radix_sort_onesweep_config_selectorIiiEEZNS1_34radix_sort_onesweep_global_offsetsIS3_Lb1EN6thrust23THRUST_200600_302600_NS6detail15normal_iteratorINS8_10device_ptrIiEEEESD_jNS0_19identity_decomposerEEE10hipError_tT1_T2_PT3_SI_jT4_jjP12ihipStream_tbEUlT_E_NS1_11comp_targetILNS1_3genE9ELNS1_11target_archE1100ELNS1_3gpuE3ELNS1_3repE0EEENS1_52radix_sort_onesweep_histogram_config_static_selectorELNS0_4arch9wavefront6targetE1EEEvSG_,comdat
.Lfunc_end1826:
	.size	_ZN7rocprim17ROCPRIM_400000_NS6detail17trampoline_kernelINS0_14default_configENS1_35radix_sort_onesweep_config_selectorIiiEEZNS1_34radix_sort_onesweep_global_offsetsIS3_Lb1EN6thrust23THRUST_200600_302600_NS6detail15normal_iteratorINS8_10device_ptrIiEEEESD_jNS0_19identity_decomposerEEE10hipError_tT1_T2_PT3_SI_jT4_jjP12ihipStream_tbEUlT_E_NS1_11comp_targetILNS1_3genE9ELNS1_11target_archE1100ELNS1_3gpuE3ELNS1_3repE0EEENS1_52radix_sort_onesweep_histogram_config_static_selectorELNS0_4arch9wavefront6targetE1EEEvSG_, .Lfunc_end1826-_ZN7rocprim17ROCPRIM_400000_NS6detail17trampoline_kernelINS0_14default_configENS1_35radix_sort_onesweep_config_selectorIiiEEZNS1_34radix_sort_onesweep_global_offsetsIS3_Lb1EN6thrust23THRUST_200600_302600_NS6detail15normal_iteratorINS8_10device_ptrIiEEEESD_jNS0_19identity_decomposerEEE10hipError_tT1_T2_PT3_SI_jT4_jjP12ihipStream_tbEUlT_E_NS1_11comp_targetILNS1_3genE9ELNS1_11target_archE1100ELNS1_3gpuE3ELNS1_3repE0EEENS1_52radix_sort_onesweep_histogram_config_static_selectorELNS0_4arch9wavefront6targetE1EEEvSG_
                                        ; -- End function
	.set _ZN7rocprim17ROCPRIM_400000_NS6detail17trampoline_kernelINS0_14default_configENS1_35radix_sort_onesweep_config_selectorIiiEEZNS1_34radix_sort_onesweep_global_offsetsIS3_Lb1EN6thrust23THRUST_200600_302600_NS6detail15normal_iteratorINS8_10device_ptrIiEEEESD_jNS0_19identity_decomposerEEE10hipError_tT1_T2_PT3_SI_jT4_jjP12ihipStream_tbEUlT_E_NS1_11comp_targetILNS1_3genE9ELNS1_11target_archE1100ELNS1_3gpuE3ELNS1_3repE0EEENS1_52radix_sort_onesweep_histogram_config_static_selectorELNS0_4arch9wavefront6targetE1EEEvSG_.num_vgpr, 0
	.set _ZN7rocprim17ROCPRIM_400000_NS6detail17trampoline_kernelINS0_14default_configENS1_35radix_sort_onesweep_config_selectorIiiEEZNS1_34radix_sort_onesweep_global_offsetsIS3_Lb1EN6thrust23THRUST_200600_302600_NS6detail15normal_iteratorINS8_10device_ptrIiEEEESD_jNS0_19identity_decomposerEEE10hipError_tT1_T2_PT3_SI_jT4_jjP12ihipStream_tbEUlT_E_NS1_11comp_targetILNS1_3genE9ELNS1_11target_archE1100ELNS1_3gpuE3ELNS1_3repE0EEENS1_52radix_sort_onesweep_histogram_config_static_selectorELNS0_4arch9wavefront6targetE1EEEvSG_.num_agpr, 0
	.set _ZN7rocprim17ROCPRIM_400000_NS6detail17trampoline_kernelINS0_14default_configENS1_35radix_sort_onesweep_config_selectorIiiEEZNS1_34radix_sort_onesweep_global_offsetsIS3_Lb1EN6thrust23THRUST_200600_302600_NS6detail15normal_iteratorINS8_10device_ptrIiEEEESD_jNS0_19identity_decomposerEEE10hipError_tT1_T2_PT3_SI_jT4_jjP12ihipStream_tbEUlT_E_NS1_11comp_targetILNS1_3genE9ELNS1_11target_archE1100ELNS1_3gpuE3ELNS1_3repE0EEENS1_52radix_sort_onesweep_histogram_config_static_selectorELNS0_4arch9wavefront6targetE1EEEvSG_.numbered_sgpr, 0
	.set _ZN7rocprim17ROCPRIM_400000_NS6detail17trampoline_kernelINS0_14default_configENS1_35radix_sort_onesweep_config_selectorIiiEEZNS1_34radix_sort_onesweep_global_offsetsIS3_Lb1EN6thrust23THRUST_200600_302600_NS6detail15normal_iteratorINS8_10device_ptrIiEEEESD_jNS0_19identity_decomposerEEE10hipError_tT1_T2_PT3_SI_jT4_jjP12ihipStream_tbEUlT_E_NS1_11comp_targetILNS1_3genE9ELNS1_11target_archE1100ELNS1_3gpuE3ELNS1_3repE0EEENS1_52radix_sort_onesweep_histogram_config_static_selectorELNS0_4arch9wavefront6targetE1EEEvSG_.num_named_barrier, 0
	.set _ZN7rocprim17ROCPRIM_400000_NS6detail17trampoline_kernelINS0_14default_configENS1_35radix_sort_onesweep_config_selectorIiiEEZNS1_34radix_sort_onesweep_global_offsetsIS3_Lb1EN6thrust23THRUST_200600_302600_NS6detail15normal_iteratorINS8_10device_ptrIiEEEESD_jNS0_19identity_decomposerEEE10hipError_tT1_T2_PT3_SI_jT4_jjP12ihipStream_tbEUlT_E_NS1_11comp_targetILNS1_3genE9ELNS1_11target_archE1100ELNS1_3gpuE3ELNS1_3repE0EEENS1_52radix_sort_onesweep_histogram_config_static_selectorELNS0_4arch9wavefront6targetE1EEEvSG_.private_seg_size, 0
	.set _ZN7rocprim17ROCPRIM_400000_NS6detail17trampoline_kernelINS0_14default_configENS1_35radix_sort_onesweep_config_selectorIiiEEZNS1_34radix_sort_onesweep_global_offsetsIS3_Lb1EN6thrust23THRUST_200600_302600_NS6detail15normal_iteratorINS8_10device_ptrIiEEEESD_jNS0_19identity_decomposerEEE10hipError_tT1_T2_PT3_SI_jT4_jjP12ihipStream_tbEUlT_E_NS1_11comp_targetILNS1_3genE9ELNS1_11target_archE1100ELNS1_3gpuE3ELNS1_3repE0EEENS1_52radix_sort_onesweep_histogram_config_static_selectorELNS0_4arch9wavefront6targetE1EEEvSG_.uses_vcc, 0
	.set _ZN7rocprim17ROCPRIM_400000_NS6detail17trampoline_kernelINS0_14default_configENS1_35radix_sort_onesweep_config_selectorIiiEEZNS1_34radix_sort_onesweep_global_offsetsIS3_Lb1EN6thrust23THRUST_200600_302600_NS6detail15normal_iteratorINS8_10device_ptrIiEEEESD_jNS0_19identity_decomposerEEE10hipError_tT1_T2_PT3_SI_jT4_jjP12ihipStream_tbEUlT_E_NS1_11comp_targetILNS1_3genE9ELNS1_11target_archE1100ELNS1_3gpuE3ELNS1_3repE0EEENS1_52radix_sort_onesweep_histogram_config_static_selectorELNS0_4arch9wavefront6targetE1EEEvSG_.uses_flat_scratch, 0
	.set _ZN7rocprim17ROCPRIM_400000_NS6detail17trampoline_kernelINS0_14default_configENS1_35radix_sort_onesweep_config_selectorIiiEEZNS1_34radix_sort_onesweep_global_offsetsIS3_Lb1EN6thrust23THRUST_200600_302600_NS6detail15normal_iteratorINS8_10device_ptrIiEEEESD_jNS0_19identity_decomposerEEE10hipError_tT1_T2_PT3_SI_jT4_jjP12ihipStream_tbEUlT_E_NS1_11comp_targetILNS1_3genE9ELNS1_11target_archE1100ELNS1_3gpuE3ELNS1_3repE0EEENS1_52radix_sort_onesweep_histogram_config_static_selectorELNS0_4arch9wavefront6targetE1EEEvSG_.has_dyn_sized_stack, 0
	.set _ZN7rocprim17ROCPRIM_400000_NS6detail17trampoline_kernelINS0_14default_configENS1_35radix_sort_onesweep_config_selectorIiiEEZNS1_34radix_sort_onesweep_global_offsetsIS3_Lb1EN6thrust23THRUST_200600_302600_NS6detail15normal_iteratorINS8_10device_ptrIiEEEESD_jNS0_19identity_decomposerEEE10hipError_tT1_T2_PT3_SI_jT4_jjP12ihipStream_tbEUlT_E_NS1_11comp_targetILNS1_3genE9ELNS1_11target_archE1100ELNS1_3gpuE3ELNS1_3repE0EEENS1_52radix_sort_onesweep_histogram_config_static_selectorELNS0_4arch9wavefront6targetE1EEEvSG_.has_recursion, 0
	.set _ZN7rocprim17ROCPRIM_400000_NS6detail17trampoline_kernelINS0_14default_configENS1_35radix_sort_onesweep_config_selectorIiiEEZNS1_34radix_sort_onesweep_global_offsetsIS3_Lb1EN6thrust23THRUST_200600_302600_NS6detail15normal_iteratorINS8_10device_ptrIiEEEESD_jNS0_19identity_decomposerEEE10hipError_tT1_T2_PT3_SI_jT4_jjP12ihipStream_tbEUlT_E_NS1_11comp_targetILNS1_3genE9ELNS1_11target_archE1100ELNS1_3gpuE3ELNS1_3repE0EEENS1_52radix_sort_onesweep_histogram_config_static_selectorELNS0_4arch9wavefront6targetE1EEEvSG_.has_indirect_call, 0
	.section	.AMDGPU.csdata,"",@progbits
; Kernel info:
; codeLenInByte = 0
; TotalNumSgprs: 6
; NumVgprs: 0
; NumAgprs: 0
; TotalNumVgprs: 0
; ScratchSize: 0
; MemoryBound: 0
; FloatMode: 240
; IeeeMode: 1
; LDSByteSize: 0 bytes/workgroup (compile time only)
; SGPRBlocks: 0
; VGPRBlocks: 0
; NumSGPRsForWavesPerEU: 6
; NumVGPRsForWavesPerEU: 1
; AccumOffset: 4
; Occupancy: 8
; WaveLimiterHint : 0
; COMPUTE_PGM_RSRC2:SCRATCH_EN: 0
; COMPUTE_PGM_RSRC2:USER_SGPR: 2
; COMPUTE_PGM_RSRC2:TRAP_HANDLER: 0
; COMPUTE_PGM_RSRC2:TGID_X_EN: 1
; COMPUTE_PGM_RSRC2:TGID_Y_EN: 0
; COMPUTE_PGM_RSRC2:TGID_Z_EN: 0
; COMPUTE_PGM_RSRC2:TIDIG_COMP_CNT: 0
; COMPUTE_PGM_RSRC3_GFX90A:ACCUM_OFFSET: 0
; COMPUTE_PGM_RSRC3_GFX90A:TG_SPLIT: 0
	.section	.text._ZN7rocprim17ROCPRIM_400000_NS6detail17trampoline_kernelINS0_14default_configENS1_35radix_sort_onesweep_config_selectorIiiEEZNS1_34radix_sort_onesweep_global_offsetsIS3_Lb1EN6thrust23THRUST_200600_302600_NS6detail15normal_iteratorINS8_10device_ptrIiEEEESD_jNS0_19identity_decomposerEEE10hipError_tT1_T2_PT3_SI_jT4_jjP12ihipStream_tbEUlT_E_NS1_11comp_targetILNS1_3genE8ELNS1_11target_archE1030ELNS1_3gpuE2ELNS1_3repE0EEENS1_52radix_sort_onesweep_histogram_config_static_selectorELNS0_4arch9wavefront6targetE1EEEvSG_,"axG",@progbits,_ZN7rocprim17ROCPRIM_400000_NS6detail17trampoline_kernelINS0_14default_configENS1_35radix_sort_onesweep_config_selectorIiiEEZNS1_34radix_sort_onesweep_global_offsetsIS3_Lb1EN6thrust23THRUST_200600_302600_NS6detail15normal_iteratorINS8_10device_ptrIiEEEESD_jNS0_19identity_decomposerEEE10hipError_tT1_T2_PT3_SI_jT4_jjP12ihipStream_tbEUlT_E_NS1_11comp_targetILNS1_3genE8ELNS1_11target_archE1030ELNS1_3gpuE2ELNS1_3repE0EEENS1_52radix_sort_onesweep_histogram_config_static_selectorELNS0_4arch9wavefront6targetE1EEEvSG_,comdat
	.protected	_ZN7rocprim17ROCPRIM_400000_NS6detail17trampoline_kernelINS0_14default_configENS1_35radix_sort_onesweep_config_selectorIiiEEZNS1_34radix_sort_onesweep_global_offsetsIS3_Lb1EN6thrust23THRUST_200600_302600_NS6detail15normal_iteratorINS8_10device_ptrIiEEEESD_jNS0_19identity_decomposerEEE10hipError_tT1_T2_PT3_SI_jT4_jjP12ihipStream_tbEUlT_E_NS1_11comp_targetILNS1_3genE8ELNS1_11target_archE1030ELNS1_3gpuE2ELNS1_3repE0EEENS1_52radix_sort_onesweep_histogram_config_static_selectorELNS0_4arch9wavefront6targetE1EEEvSG_ ; -- Begin function _ZN7rocprim17ROCPRIM_400000_NS6detail17trampoline_kernelINS0_14default_configENS1_35radix_sort_onesweep_config_selectorIiiEEZNS1_34radix_sort_onesweep_global_offsetsIS3_Lb1EN6thrust23THRUST_200600_302600_NS6detail15normal_iteratorINS8_10device_ptrIiEEEESD_jNS0_19identity_decomposerEEE10hipError_tT1_T2_PT3_SI_jT4_jjP12ihipStream_tbEUlT_E_NS1_11comp_targetILNS1_3genE8ELNS1_11target_archE1030ELNS1_3gpuE2ELNS1_3repE0EEENS1_52radix_sort_onesweep_histogram_config_static_selectorELNS0_4arch9wavefront6targetE1EEEvSG_
	.globl	_ZN7rocprim17ROCPRIM_400000_NS6detail17trampoline_kernelINS0_14default_configENS1_35radix_sort_onesweep_config_selectorIiiEEZNS1_34radix_sort_onesweep_global_offsetsIS3_Lb1EN6thrust23THRUST_200600_302600_NS6detail15normal_iteratorINS8_10device_ptrIiEEEESD_jNS0_19identity_decomposerEEE10hipError_tT1_T2_PT3_SI_jT4_jjP12ihipStream_tbEUlT_E_NS1_11comp_targetILNS1_3genE8ELNS1_11target_archE1030ELNS1_3gpuE2ELNS1_3repE0EEENS1_52radix_sort_onesweep_histogram_config_static_selectorELNS0_4arch9wavefront6targetE1EEEvSG_
	.p2align	8
	.type	_ZN7rocprim17ROCPRIM_400000_NS6detail17trampoline_kernelINS0_14default_configENS1_35radix_sort_onesweep_config_selectorIiiEEZNS1_34radix_sort_onesweep_global_offsetsIS3_Lb1EN6thrust23THRUST_200600_302600_NS6detail15normal_iteratorINS8_10device_ptrIiEEEESD_jNS0_19identity_decomposerEEE10hipError_tT1_T2_PT3_SI_jT4_jjP12ihipStream_tbEUlT_E_NS1_11comp_targetILNS1_3genE8ELNS1_11target_archE1030ELNS1_3gpuE2ELNS1_3repE0EEENS1_52radix_sort_onesweep_histogram_config_static_selectorELNS0_4arch9wavefront6targetE1EEEvSG_,@function
_ZN7rocprim17ROCPRIM_400000_NS6detail17trampoline_kernelINS0_14default_configENS1_35radix_sort_onesweep_config_selectorIiiEEZNS1_34radix_sort_onesweep_global_offsetsIS3_Lb1EN6thrust23THRUST_200600_302600_NS6detail15normal_iteratorINS8_10device_ptrIiEEEESD_jNS0_19identity_decomposerEEE10hipError_tT1_T2_PT3_SI_jT4_jjP12ihipStream_tbEUlT_E_NS1_11comp_targetILNS1_3genE8ELNS1_11target_archE1030ELNS1_3gpuE2ELNS1_3repE0EEENS1_52radix_sort_onesweep_histogram_config_static_selectorELNS0_4arch9wavefront6targetE1EEEvSG_: ; @_ZN7rocprim17ROCPRIM_400000_NS6detail17trampoline_kernelINS0_14default_configENS1_35radix_sort_onesweep_config_selectorIiiEEZNS1_34radix_sort_onesweep_global_offsetsIS3_Lb1EN6thrust23THRUST_200600_302600_NS6detail15normal_iteratorINS8_10device_ptrIiEEEESD_jNS0_19identity_decomposerEEE10hipError_tT1_T2_PT3_SI_jT4_jjP12ihipStream_tbEUlT_E_NS1_11comp_targetILNS1_3genE8ELNS1_11target_archE1030ELNS1_3gpuE2ELNS1_3repE0EEENS1_52radix_sort_onesweep_histogram_config_static_selectorELNS0_4arch9wavefront6targetE1EEEvSG_
; %bb.0:
	.section	.rodata,"a",@progbits
	.p2align	6, 0x0
	.amdhsa_kernel _ZN7rocprim17ROCPRIM_400000_NS6detail17trampoline_kernelINS0_14default_configENS1_35radix_sort_onesweep_config_selectorIiiEEZNS1_34radix_sort_onesweep_global_offsetsIS3_Lb1EN6thrust23THRUST_200600_302600_NS6detail15normal_iteratorINS8_10device_ptrIiEEEESD_jNS0_19identity_decomposerEEE10hipError_tT1_T2_PT3_SI_jT4_jjP12ihipStream_tbEUlT_E_NS1_11comp_targetILNS1_3genE8ELNS1_11target_archE1030ELNS1_3gpuE2ELNS1_3repE0EEENS1_52radix_sort_onesweep_histogram_config_static_selectorELNS0_4arch9wavefront6targetE1EEEvSG_
		.amdhsa_group_segment_fixed_size 0
		.amdhsa_private_segment_fixed_size 0
		.amdhsa_kernarg_size 40
		.amdhsa_user_sgpr_count 2
		.amdhsa_user_sgpr_dispatch_ptr 0
		.amdhsa_user_sgpr_queue_ptr 0
		.amdhsa_user_sgpr_kernarg_segment_ptr 1
		.amdhsa_user_sgpr_dispatch_id 0
		.amdhsa_user_sgpr_kernarg_preload_length 0
		.amdhsa_user_sgpr_kernarg_preload_offset 0
		.amdhsa_user_sgpr_private_segment_size 0
		.amdhsa_uses_dynamic_stack 0
		.amdhsa_enable_private_segment 0
		.amdhsa_system_sgpr_workgroup_id_x 1
		.amdhsa_system_sgpr_workgroup_id_y 0
		.amdhsa_system_sgpr_workgroup_id_z 0
		.amdhsa_system_sgpr_workgroup_info 0
		.amdhsa_system_vgpr_workitem_id 0
		.amdhsa_next_free_vgpr 1
		.amdhsa_next_free_sgpr 0
		.amdhsa_accum_offset 4
		.amdhsa_reserve_vcc 0
		.amdhsa_float_round_mode_32 0
		.amdhsa_float_round_mode_16_64 0
		.amdhsa_float_denorm_mode_32 3
		.amdhsa_float_denorm_mode_16_64 3
		.amdhsa_dx10_clamp 1
		.amdhsa_ieee_mode 1
		.amdhsa_fp16_overflow 0
		.amdhsa_tg_split 0
		.amdhsa_exception_fp_ieee_invalid_op 0
		.amdhsa_exception_fp_denorm_src 0
		.amdhsa_exception_fp_ieee_div_zero 0
		.amdhsa_exception_fp_ieee_overflow 0
		.amdhsa_exception_fp_ieee_underflow 0
		.amdhsa_exception_fp_ieee_inexact 0
		.amdhsa_exception_int_div_zero 0
	.end_amdhsa_kernel
	.section	.text._ZN7rocprim17ROCPRIM_400000_NS6detail17trampoline_kernelINS0_14default_configENS1_35radix_sort_onesweep_config_selectorIiiEEZNS1_34radix_sort_onesweep_global_offsetsIS3_Lb1EN6thrust23THRUST_200600_302600_NS6detail15normal_iteratorINS8_10device_ptrIiEEEESD_jNS0_19identity_decomposerEEE10hipError_tT1_T2_PT3_SI_jT4_jjP12ihipStream_tbEUlT_E_NS1_11comp_targetILNS1_3genE8ELNS1_11target_archE1030ELNS1_3gpuE2ELNS1_3repE0EEENS1_52radix_sort_onesweep_histogram_config_static_selectorELNS0_4arch9wavefront6targetE1EEEvSG_,"axG",@progbits,_ZN7rocprim17ROCPRIM_400000_NS6detail17trampoline_kernelINS0_14default_configENS1_35radix_sort_onesweep_config_selectorIiiEEZNS1_34radix_sort_onesweep_global_offsetsIS3_Lb1EN6thrust23THRUST_200600_302600_NS6detail15normal_iteratorINS8_10device_ptrIiEEEESD_jNS0_19identity_decomposerEEE10hipError_tT1_T2_PT3_SI_jT4_jjP12ihipStream_tbEUlT_E_NS1_11comp_targetILNS1_3genE8ELNS1_11target_archE1030ELNS1_3gpuE2ELNS1_3repE0EEENS1_52radix_sort_onesweep_histogram_config_static_selectorELNS0_4arch9wavefront6targetE1EEEvSG_,comdat
.Lfunc_end1827:
	.size	_ZN7rocprim17ROCPRIM_400000_NS6detail17trampoline_kernelINS0_14default_configENS1_35radix_sort_onesweep_config_selectorIiiEEZNS1_34radix_sort_onesweep_global_offsetsIS3_Lb1EN6thrust23THRUST_200600_302600_NS6detail15normal_iteratorINS8_10device_ptrIiEEEESD_jNS0_19identity_decomposerEEE10hipError_tT1_T2_PT3_SI_jT4_jjP12ihipStream_tbEUlT_E_NS1_11comp_targetILNS1_3genE8ELNS1_11target_archE1030ELNS1_3gpuE2ELNS1_3repE0EEENS1_52radix_sort_onesweep_histogram_config_static_selectorELNS0_4arch9wavefront6targetE1EEEvSG_, .Lfunc_end1827-_ZN7rocprim17ROCPRIM_400000_NS6detail17trampoline_kernelINS0_14default_configENS1_35radix_sort_onesweep_config_selectorIiiEEZNS1_34radix_sort_onesweep_global_offsetsIS3_Lb1EN6thrust23THRUST_200600_302600_NS6detail15normal_iteratorINS8_10device_ptrIiEEEESD_jNS0_19identity_decomposerEEE10hipError_tT1_T2_PT3_SI_jT4_jjP12ihipStream_tbEUlT_E_NS1_11comp_targetILNS1_3genE8ELNS1_11target_archE1030ELNS1_3gpuE2ELNS1_3repE0EEENS1_52radix_sort_onesweep_histogram_config_static_selectorELNS0_4arch9wavefront6targetE1EEEvSG_
                                        ; -- End function
	.set _ZN7rocprim17ROCPRIM_400000_NS6detail17trampoline_kernelINS0_14default_configENS1_35radix_sort_onesweep_config_selectorIiiEEZNS1_34radix_sort_onesweep_global_offsetsIS3_Lb1EN6thrust23THRUST_200600_302600_NS6detail15normal_iteratorINS8_10device_ptrIiEEEESD_jNS0_19identity_decomposerEEE10hipError_tT1_T2_PT3_SI_jT4_jjP12ihipStream_tbEUlT_E_NS1_11comp_targetILNS1_3genE8ELNS1_11target_archE1030ELNS1_3gpuE2ELNS1_3repE0EEENS1_52radix_sort_onesweep_histogram_config_static_selectorELNS0_4arch9wavefront6targetE1EEEvSG_.num_vgpr, 0
	.set _ZN7rocprim17ROCPRIM_400000_NS6detail17trampoline_kernelINS0_14default_configENS1_35radix_sort_onesweep_config_selectorIiiEEZNS1_34radix_sort_onesweep_global_offsetsIS3_Lb1EN6thrust23THRUST_200600_302600_NS6detail15normal_iteratorINS8_10device_ptrIiEEEESD_jNS0_19identity_decomposerEEE10hipError_tT1_T2_PT3_SI_jT4_jjP12ihipStream_tbEUlT_E_NS1_11comp_targetILNS1_3genE8ELNS1_11target_archE1030ELNS1_3gpuE2ELNS1_3repE0EEENS1_52radix_sort_onesweep_histogram_config_static_selectorELNS0_4arch9wavefront6targetE1EEEvSG_.num_agpr, 0
	.set _ZN7rocprim17ROCPRIM_400000_NS6detail17trampoline_kernelINS0_14default_configENS1_35radix_sort_onesweep_config_selectorIiiEEZNS1_34radix_sort_onesweep_global_offsetsIS3_Lb1EN6thrust23THRUST_200600_302600_NS6detail15normal_iteratorINS8_10device_ptrIiEEEESD_jNS0_19identity_decomposerEEE10hipError_tT1_T2_PT3_SI_jT4_jjP12ihipStream_tbEUlT_E_NS1_11comp_targetILNS1_3genE8ELNS1_11target_archE1030ELNS1_3gpuE2ELNS1_3repE0EEENS1_52radix_sort_onesweep_histogram_config_static_selectorELNS0_4arch9wavefront6targetE1EEEvSG_.numbered_sgpr, 0
	.set _ZN7rocprim17ROCPRIM_400000_NS6detail17trampoline_kernelINS0_14default_configENS1_35radix_sort_onesweep_config_selectorIiiEEZNS1_34radix_sort_onesweep_global_offsetsIS3_Lb1EN6thrust23THRUST_200600_302600_NS6detail15normal_iteratorINS8_10device_ptrIiEEEESD_jNS0_19identity_decomposerEEE10hipError_tT1_T2_PT3_SI_jT4_jjP12ihipStream_tbEUlT_E_NS1_11comp_targetILNS1_3genE8ELNS1_11target_archE1030ELNS1_3gpuE2ELNS1_3repE0EEENS1_52radix_sort_onesweep_histogram_config_static_selectorELNS0_4arch9wavefront6targetE1EEEvSG_.num_named_barrier, 0
	.set _ZN7rocprim17ROCPRIM_400000_NS6detail17trampoline_kernelINS0_14default_configENS1_35radix_sort_onesweep_config_selectorIiiEEZNS1_34radix_sort_onesweep_global_offsetsIS3_Lb1EN6thrust23THRUST_200600_302600_NS6detail15normal_iteratorINS8_10device_ptrIiEEEESD_jNS0_19identity_decomposerEEE10hipError_tT1_T2_PT3_SI_jT4_jjP12ihipStream_tbEUlT_E_NS1_11comp_targetILNS1_3genE8ELNS1_11target_archE1030ELNS1_3gpuE2ELNS1_3repE0EEENS1_52radix_sort_onesweep_histogram_config_static_selectorELNS0_4arch9wavefront6targetE1EEEvSG_.private_seg_size, 0
	.set _ZN7rocprim17ROCPRIM_400000_NS6detail17trampoline_kernelINS0_14default_configENS1_35radix_sort_onesweep_config_selectorIiiEEZNS1_34radix_sort_onesweep_global_offsetsIS3_Lb1EN6thrust23THRUST_200600_302600_NS6detail15normal_iteratorINS8_10device_ptrIiEEEESD_jNS0_19identity_decomposerEEE10hipError_tT1_T2_PT3_SI_jT4_jjP12ihipStream_tbEUlT_E_NS1_11comp_targetILNS1_3genE8ELNS1_11target_archE1030ELNS1_3gpuE2ELNS1_3repE0EEENS1_52radix_sort_onesweep_histogram_config_static_selectorELNS0_4arch9wavefront6targetE1EEEvSG_.uses_vcc, 0
	.set _ZN7rocprim17ROCPRIM_400000_NS6detail17trampoline_kernelINS0_14default_configENS1_35radix_sort_onesweep_config_selectorIiiEEZNS1_34radix_sort_onesweep_global_offsetsIS3_Lb1EN6thrust23THRUST_200600_302600_NS6detail15normal_iteratorINS8_10device_ptrIiEEEESD_jNS0_19identity_decomposerEEE10hipError_tT1_T2_PT3_SI_jT4_jjP12ihipStream_tbEUlT_E_NS1_11comp_targetILNS1_3genE8ELNS1_11target_archE1030ELNS1_3gpuE2ELNS1_3repE0EEENS1_52radix_sort_onesweep_histogram_config_static_selectorELNS0_4arch9wavefront6targetE1EEEvSG_.uses_flat_scratch, 0
	.set _ZN7rocprim17ROCPRIM_400000_NS6detail17trampoline_kernelINS0_14default_configENS1_35radix_sort_onesweep_config_selectorIiiEEZNS1_34radix_sort_onesweep_global_offsetsIS3_Lb1EN6thrust23THRUST_200600_302600_NS6detail15normal_iteratorINS8_10device_ptrIiEEEESD_jNS0_19identity_decomposerEEE10hipError_tT1_T2_PT3_SI_jT4_jjP12ihipStream_tbEUlT_E_NS1_11comp_targetILNS1_3genE8ELNS1_11target_archE1030ELNS1_3gpuE2ELNS1_3repE0EEENS1_52radix_sort_onesweep_histogram_config_static_selectorELNS0_4arch9wavefront6targetE1EEEvSG_.has_dyn_sized_stack, 0
	.set _ZN7rocprim17ROCPRIM_400000_NS6detail17trampoline_kernelINS0_14default_configENS1_35radix_sort_onesweep_config_selectorIiiEEZNS1_34radix_sort_onesweep_global_offsetsIS3_Lb1EN6thrust23THRUST_200600_302600_NS6detail15normal_iteratorINS8_10device_ptrIiEEEESD_jNS0_19identity_decomposerEEE10hipError_tT1_T2_PT3_SI_jT4_jjP12ihipStream_tbEUlT_E_NS1_11comp_targetILNS1_3genE8ELNS1_11target_archE1030ELNS1_3gpuE2ELNS1_3repE0EEENS1_52radix_sort_onesweep_histogram_config_static_selectorELNS0_4arch9wavefront6targetE1EEEvSG_.has_recursion, 0
	.set _ZN7rocprim17ROCPRIM_400000_NS6detail17trampoline_kernelINS0_14default_configENS1_35radix_sort_onesweep_config_selectorIiiEEZNS1_34radix_sort_onesweep_global_offsetsIS3_Lb1EN6thrust23THRUST_200600_302600_NS6detail15normal_iteratorINS8_10device_ptrIiEEEESD_jNS0_19identity_decomposerEEE10hipError_tT1_T2_PT3_SI_jT4_jjP12ihipStream_tbEUlT_E_NS1_11comp_targetILNS1_3genE8ELNS1_11target_archE1030ELNS1_3gpuE2ELNS1_3repE0EEENS1_52radix_sort_onesweep_histogram_config_static_selectorELNS0_4arch9wavefront6targetE1EEEvSG_.has_indirect_call, 0
	.section	.AMDGPU.csdata,"",@progbits
; Kernel info:
; codeLenInByte = 0
; TotalNumSgprs: 6
; NumVgprs: 0
; NumAgprs: 0
; TotalNumVgprs: 0
; ScratchSize: 0
; MemoryBound: 0
; FloatMode: 240
; IeeeMode: 1
; LDSByteSize: 0 bytes/workgroup (compile time only)
; SGPRBlocks: 0
; VGPRBlocks: 0
; NumSGPRsForWavesPerEU: 6
; NumVGPRsForWavesPerEU: 1
; AccumOffset: 4
; Occupancy: 8
; WaveLimiterHint : 0
; COMPUTE_PGM_RSRC2:SCRATCH_EN: 0
; COMPUTE_PGM_RSRC2:USER_SGPR: 2
; COMPUTE_PGM_RSRC2:TRAP_HANDLER: 0
; COMPUTE_PGM_RSRC2:TGID_X_EN: 1
; COMPUTE_PGM_RSRC2:TGID_Y_EN: 0
; COMPUTE_PGM_RSRC2:TGID_Z_EN: 0
; COMPUTE_PGM_RSRC2:TIDIG_COMP_CNT: 0
; COMPUTE_PGM_RSRC3_GFX90A:ACCUM_OFFSET: 0
; COMPUTE_PGM_RSRC3_GFX90A:TG_SPLIT: 0
	.section	.text._ZN7rocprim17ROCPRIM_400000_NS6detail17trampoline_kernelINS0_14default_configENS1_35radix_sort_onesweep_config_selectorIiiEEZNS1_34radix_sort_onesweep_global_offsetsIS3_Lb1EN6thrust23THRUST_200600_302600_NS6detail15normal_iteratorINS8_10device_ptrIiEEEESD_jNS0_19identity_decomposerEEE10hipError_tT1_T2_PT3_SI_jT4_jjP12ihipStream_tbEUlT_E0_NS1_11comp_targetILNS1_3genE0ELNS1_11target_archE4294967295ELNS1_3gpuE0ELNS1_3repE0EEENS1_52radix_sort_onesweep_histogram_config_static_selectorELNS0_4arch9wavefront6targetE1EEEvSG_,"axG",@progbits,_ZN7rocprim17ROCPRIM_400000_NS6detail17trampoline_kernelINS0_14default_configENS1_35radix_sort_onesweep_config_selectorIiiEEZNS1_34radix_sort_onesweep_global_offsetsIS3_Lb1EN6thrust23THRUST_200600_302600_NS6detail15normal_iteratorINS8_10device_ptrIiEEEESD_jNS0_19identity_decomposerEEE10hipError_tT1_T2_PT3_SI_jT4_jjP12ihipStream_tbEUlT_E0_NS1_11comp_targetILNS1_3genE0ELNS1_11target_archE4294967295ELNS1_3gpuE0ELNS1_3repE0EEENS1_52radix_sort_onesweep_histogram_config_static_selectorELNS0_4arch9wavefront6targetE1EEEvSG_,comdat
	.protected	_ZN7rocprim17ROCPRIM_400000_NS6detail17trampoline_kernelINS0_14default_configENS1_35radix_sort_onesweep_config_selectorIiiEEZNS1_34radix_sort_onesweep_global_offsetsIS3_Lb1EN6thrust23THRUST_200600_302600_NS6detail15normal_iteratorINS8_10device_ptrIiEEEESD_jNS0_19identity_decomposerEEE10hipError_tT1_T2_PT3_SI_jT4_jjP12ihipStream_tbEUlT_E0_NS1_11comp_targetILNS1_3genE0ELNS1_11target_archE4294967295ELNS1_3gpuE0ELNS1_3repE0EEENS1_52radix_sort_onesweep_histogram_config_static_selectorELNS0_4arch9wavefront6targetE1EEEvSG_ ; -- Begin function _ZN7rocprim17ROCPRIM_400000_NS6detail17trampoline_kernelINS0_14default_configENS1_35radix_sort_onesweep_config_selectorIiiEEZNS1_34radix_sort_onesweep_global_offsetsIS3_Lb1EN6thrust23THRUST_200600_302600_NS6detail15normal_iteratorINS8_10device_ptrIiEEEESD_jNS0_19identity_decomposerEEE10hipError_tT1_T2_PT3_SI_jT4_jjP12ihipStream_tbEUlT_E0_NS1_11comp_targetILNS1_3genE0ELNS1_11target_archE4294967295ELNS1_3gpuE0ELNS1_3repE0EEENS1_52radix_sort_onesweep_histogram_config_static_selectorELNS0_4arch9wavefront6targetE1EEEvSG_
	.globl	_ZN7rocprim17ROCPRIM_400000_NS6detail17trampoline_kernelINS0_14default_configENS1_35radix_sort_onesweep_config_selectorIiiEEZNS1_34radix_sort_onesweep_global_offsetsIS3_Lb1EN6thrust23THRUST_200600_302600_NS6detail15normal_iteratorINS8_10device_ptrIiEEEESD_jNS0_19identity_decomposerEEE10hipError_tT1_T2_PT3_SI_jT4_jjP12ihipStream_tbEUlT_E0_NS1_11comp_targetILNS1_3genE0ELNS1_11target_archE4294967295ELNS1_3gpuE0ELNS1_3repE0EEENS1_52radix_sort_onesweep_histogram_config_static_selectorELNS0_4arch9wavefront6targetE1EEEvSG_
	.p2align	8
	.type	_ZN7rocprim17ROCPRIM_400000_NS6detail17trampoline_kernelINS0_14default_configENS1_35radix_sort_onesweep_config_selectorIiiEEZNS1_34radix_sort_onesweep_global_offsetsIS3_Lb1EN6thrust23THRUST_200600_302600_NS6detail15normal_iteratorINS8_10device_ptrIiEEEESD_jNS0_19identity_decomposerEEE10hipError_tT1_T2_PT3_SI_jT4_jjP12ihipStream_tbEUlT_E0_NS1_11comp_targetILNS1_3genE0ELNS1_11target_archE4294967295ELNS1_3gpuE0ELNS1_3repE0EEENS1_52radix_sort_onesweep_histogram_config_static_selectorELNS0_4arch9wavefront6targetE1EEEvSG_,@function
_ZN7rocprim17ROCPRIM_400000_NS6detail17trampoline_kernelINS0_14default_configENS1_35radix_sort_onesweep_config_selectorIiiEEZNS1_34radix_sort_onesweep_global_offsetsIS3_Lb1EN6thrust23THRUST_200600_302600_NS6detail15normal_iteratorINS8_10device_ptrIiEEEESD_jNS0_19identity_decomposerEEE10hipError_tT1_T2_PT3_SI_jT4_jjP12ihipStream_tbEUlT_E0_NS1_11comp_targetILNS1_3genE0ELNS1_11target_archE4294967295ELNS1_3gpuE0ELNS1_3repE0EEENS1_52radix_sort_onesweep_histogram_config_static_selectorELNS0_4arch9wavefront6targetE1EEEvSG_: ; @_ZN7rocprim17ROCPRIM_400000_NS6detail17trampoline_kernelINS0_14default_configENS1_35radix_sort_onesweep_config_selectorIiiEEZNS1_34radix_sort_onesweep_global_offsetsIS3_Lb1EN6thrust23THRUST_200600_302600_NS6detail15normal_iteratorINS8_10device_ptrIiEEEESD_jNS0_19identity_decomposerEEE10hipError_tT1_T2_PT3_SI_jT4_jjP12ihipStream_tbEUlT_E0_NS1_11comp_targetILNS1_3genE0ELNS1_11target_archE4294967295ELNS1_3gpuE0ELNS1_3repE0EEENS1_52radix_sort_onesweep_histogram_config_static_selectorELNS0_4arch9wavefront6targetE1EEEvSG_
; %bb.0:
	.section	.rodata,"a",@progbits
	.p2align	6, 0x0
	.amdhsa_kernel _ZN7rocprim17ROCPRIM_400000_NS6detail17trampoline_kernelINS0_14default_configENS1_35radix_sort_onesweep_config_selectorIiiEEZNS1_34radix_sort_onesweep_global_offsetsIS3_Lb1EN6thrust23THRUST_200600_302600_NS6detail15normal_iteratorINS8_10device_ptrIiEEEESD_jNS0_19identity_decomposerEEE10hipError_tT1_T2_PT3_SI_jT4_jjP12ihipStream_tbEUlT_E0_NS1_11comp_targetILNS1_3genE0ELNS1_11target_archE4294967295ELNS1_3gpuE0ELNS1_3repE0EEENS1_52radix_sort_onesweep_histogram_config_static_selectorELNS0_4arch9wavefront6targetE1EEEvSG_
		.amdhsa_group_segment_fixed_size 0
		.amdhsa_private_segment_fixed_size 0
		.amdhsa_kernarg_size 8
		.amdhsa_user_sgpr_count 2
		.amdhsa_user_sgpr_dispatch_ptr 0
		.amdhsa_user_sgpr_queue_ptr 0
		.amdhsa_user_sgpr_kernarg_segment_ptr 1
		.amdhsa_user_sgpr_dispatch_id 0
		.amdhsa_user_sgpr_kernarg_preload_length 0
		.amdhsa_user_sgpr_kernarg_preload_offset 0
		.amdhsa_user_sgpr_private_segment_size 0
		.amdhsa_uses_dynamic_stack 0
		.amdhsa_enable_private_segment 0
		.amdhsa_system_sgpr_workgroup_id_x 1
		.amdhsa_system_sgpr_workgroup_id_y 0
		.amdhsa_system_sgpr_workgroup_id_z 0
		.amdhsa_system_sgpr_workgroup_info 0
		.amdhsa_system_vgpr_workitem_id 0
		.amdhsa_next_free_vgpr 1
		.amdhsa_next_free_sgpr 0
		.amdhsa_accum_offset 4
		.amdhsa_reserve_vcc 0
		.amdhsa_float_round_mode_32 0
		.amdhsa_float_round_mode_16_64 0
		.amdhsa_float_denorm_mode_32 3
		.amdhsa_float_denorm_mode_16_64 3
		.amdhsa_dx10_clamp 1
		.amdhsa_ieee_mode 1
		.amdhsa_fp16_overflow 0
		.amdhsa_tg_split 0
		.amdhsa_exception_fp_ieee_invalid_op 0
		.amdhsa_exception_fp_denorm_src 0
		.amdhsa_exception_fp_ieee_div_zero 0
		.amdhsa_exception_fp_ieee_overflow 0
		.amdhsa_exception_fp_ieee_underflow 0
		.amdhsa_exception_fp_ieee_inexact 0
		.amdhsa_exception_int_div_zero 0
	.end_amdhsa_kernel
	.section	.text._ZN7rocprim17ROCPRIM_400000_NS6detail17trampoline_kernelINS0_14default_configENS1_35radix_sort_onesweep_config_selectorIiiEEZNS1_34radix_sort_onesweep_global_offsetsIS3_Lb1EN6thrust23THRUST_200600_302600_NS6detail15normal_iteratorINS8_10device_ptrIiEEEESD_jNS0_19identity_decomposerEEE10hipError_tT1_T2_PT3_SI_jT4_jjP12ihipStream_tbEUlT_E0_NS1_11comp_targetILNS1_3genE0ELNS1_11target_archE4294967295ELNS1_3gpuE0ELNS1_3repE0EEENS1_52radix_sort_onesweep_histogram_config_static_selectorELNS0_4arch9wavefront6targetE1EEEvSG_,"axG",@progbits,_ZN7rocprim17ROCPRIM_400000_NS6detail17trampoline_kernelINS0_14default_configENS1_35radix_sort_onesweep_config_selectorIiiEEZNS1_34radix_sort_onesweep_global_offsetsIS3_Lb1EN6thrust23THRUST_200600_302600_NS6detail15normal_iteratorINS8_10device_ptrIiEEEESD_jNS0_19identity_decomposerEEE10hipError_tT1_T2_PT3_SI_jT4_jjP12ihipStream_tbEUlT_E0_NS1_11comp_targetILNS1_3genE0ELNS1_11target_archE4294967295ELNS1_3gpuE0ELNS1_3repE0EEENS1_52radix_sort_onesweep_histogram_config_static_selectorELNS0_4arch9wavefront6targetE1EEEvSG_,comdat
.Lfunc_end1828:
	.size	_ZN7rocprim17ROCPRIM_400000_NS6detail17trampoline_kernelINS0_14default_configENS1_35radix_sort_onesweep_config_selectorIiiEEZNS1_34radix_sort_onesweep_global_offsetsIS3_Lb1EN6thrust23THRUST_200600_302600_NS6detail15normal_iteratorINS8_10device_ptrIiEEEESD_jNS0_19identity_decomposerEEE10hipError_tT1_T2_PT3_SI_jT4_jjP12ihipStream_tbEUlT_E0_NS1_11comp_targetILNS1_3genE0ELNS1_11target_archE4294967295ELNS1_3gpuE0ELNS1_3repE0EEENS1_52radix_sort_onesweep_histogram_config_static_selectorELNS0_4arch9wavefront6targetE1EEEvSG_, .Lfunc_end1828-_ZN7rocprim17ROCPRIM_400000_NS6detail17trampoline_kernelINS0_14default_configENS1_35radix_sort_onesweep_config_selectorIiiEEZNS1_34radix_sort_onesweep_global_offsetsIS3_Lb1EN6thrust23THRUST_200600_302600_NS6detail15normal_iteratorINS8_10device_ptrIiEEEESD_jNS0_19identity_decomposerEEE10hipError_tT1_T2_PT3_SI_jT4_jjP12ihipStream_tbEUlT_E0_NS1_11comp_targetILNS1_3genE0ELNS1_11target_archE4294967295ELNS1_3gpuE0ELNS1_3repE0EEENS1_52radix_sort_onesweep_histogram_config_static_selectorELNS0_4arch9wavefront6targetE1EEEvSG_
                                        ; -- End function
	.set _ZN7rocprim17ROCPRIM_400000_NS6detail17trampoline_kernelINS0_14default_configENS1_35radix_sort_onesweep_config_selectorIiiEEZNS1_34radix_sort_onesweep_global_offsetsIS3_Lb1EN6thrust23THRUST_200600_302600_NS6detail15normal_iteratorINS8_10device_ptrIiEEEESD_jNS0_19identity_decomposerEEE10hipError_tT1_T2_PT3_SI_jT4_jjP12ihipStream_tbEUlT_E0_NS1_11comp_targetILNS1_3genE0ELNS1_11target_archE4294967295ELNS1_3gpuE0ELNS1_3repE0EEENS1_52radix_sort_onesweep_histogram_config_static_selectorELNS0_4arch9wavefront6targetE1EEEvSG_.num_vgpr, 0
	.set _ZN7rocprim17ROCPRIM_400000_NS6detail17trampoline_kernelINS0_14default_configENS1_35radix_sort_onesweep_config_selectorIiiEEZNS1_34radix_sort_onesweep_global_offsetsIS3_Lb1EN6thrust23THRUST_200600_302600_NS6detail15normal_iteratorINS8_10device_ptrIiEEEESD_jNS0_19identity_decomposerEEE10hipError_tT1_T2_PT3_SI_jT4_jjP12ihipStream_tbEUlT_E0_NS1_11comp_targetILNS1_3genE0ELNS1_11target_archE4294967295ELNS1_3gpuE0ELNS1_3repE0EEENS1_52radix_sort_onesweep_histogram_config_static_selectorELNS0_4arch9wavefront6targetE1EEEvSG_.num_agpr, 0
	.set _ZN7rocprim17ROCPRIM_400000_NS6detail17trampoline_kernelINS0_14default_configENS1_35radix_sort_onesweep_config_selectorIiiEEZNS1_34radix_sort_onesweep_global_offsetsIS3_Lb1EN6thrust23THRUST_200600_302600_NS6detail15normal_iteratorINS8_10device_ptrIiEEEESD_jNS0_19identity_decomposerEEE10hipError_tT1_T2_PT3_SI_jT4_jjP12ihipStream_tbEUlT_E0_NS1_11comp_targetILNS1_3genE0ELNS1_11target_archE4294967295ELNS1_3gpuE0ELNS1_3repE0EEENS1_52radix_sort_onesweep_histogram_config_static_selectorELNS0_4arch9wavefront6targetE1EEEvSG_.numbered_sgpr, 0
	.set _ZN7rocprim17ROCPRIM_400000_NS6detail17trampoline_kernelINS0_14default_configENS1_35radix_sort_onesweep_config_selectorIiiEEZNS1_34radix_sort_onesweep_global_offsetsIS3_Lb1EN6thrust23THRUST_200600_302600_NS6detail15normal_iteratorINS8_10device_ptrIiEEEESD_jNS0_19identity_decomposerEEE10hipError_tT1_T2_PT3_SI_jT4_jjP12ihipStream_tbEUlT_E0_NS1_11comp_targetILNS1_3genE0ELNS1_11target_archE4294967295ELNS1_3gpuE0ELNS1_3repE0EEENS1_52radix_sort_onesweep_histogram_config_static_selectorELNS0_4arch9wavefront6targetE1EEEvSG_.num_named_barrier, 0
	.set _ZN7rocprim17ROCPRIM_400000_NS6detail17trampoline_kernelINS0_14default_configENS1_35radix_sort_onesweep_config_selectorIiiEEZNS1_34radix_sort_onesweep_global_offsetsIS3_Lb1EN6thrust23THRUST_200600_302600_NS6detail15normal_iteratorINS8_10device_ptrIiEEEESD_jNS0_19identity_decomposerEEE10hipError_tT1_T2_PT3_SI_jT4_jjP12ihipStream_tbEUlT_E0_NS1_11comp_targetILNS1_3genE0ELNS1_11target_archE4294967295ELNS1_3gpuE0ELNS1_3repE0EEENS1_52radix_sort_onesweep_histogram_config_static_selectorELNS0_4arch9wavefront6targetE1EEEvSG_.private_seg_size, 0
	.set _ZN7rocprim17ROCPRIM_400000_NS6detail17trampoline_kernelINS0_14default_configENS1_35radix_sort_onesweep_config_selectorIiiEEZNS1_34radix_sort_onesweep_global_offsetsIS3_Lb1EN6thrust23THRUST_200600_302600_NS6detail15normal_iteratorINS8_10device_ptrIiEEEESD_jNS0_19identity_decomposerEEE10hipError_tT1_T2_PT3_SI_jT4_jjP12ihipStream_tbEUlT_E0_NS1_11comp_targetILNS1_3genE0ELNS1_11target_archE4294967295ELNS1_3gpuE0ELNS1_3repE0EEENS1_52radix_sort_onesweep_histogram_config_static_selectorELNS0_4arch9wavefront6targetE1EEEvSG_.uses_vcc, 0
	.set _ZN7rocprim17ROCPRIM_400000_NS6detail17trampoline_kernelINS0_14default_configENS1_35radix_sort_onesweep_config_selectorIiiEEZNS1_34radix_sort_onesweep_global_offsetsIS3_Lb1EN6thrust23THRUST_200600_302600_NS6detail15normal_iteratorINS8_10device_ptrIiEEEESD_jNS0_19identity_decomposerEEE10hipError_tT1_T2_PT3_SI_jT4_jjP12ihipStream_tbEUlT_E0_NS1_11comp_targetILNS1_3genE0ELNS1_11target_archE4294967295ELNS1_3gpuE0ELNS1_3repE0EEENS1_52radix_sort_onesweep_histogram_config_static_selectorELNS0_4arch9wavefront6targetE1EEEvSG_.uses_flat_scratch, 0
	.set _ZN7rocprim17ROCPRIM_400000_NS6detail17trampoline_kernelINS0_14default_configENS1_35radix_sort_onesweep_config_selectorIiiEEZNS1_34radix_sort_onesweep_global_offsetsIS3_Lb1EN6thrust23THRUST_200600_302600_NS6detail15normal_iteratorINS8_10device_ptrIiEEEESD_jNS0_19identity_decomposerEEE10hipError_tT1_T2_PT3_SI_jT4_jjP12ihipStream_tbEUlT_E0_NS1_11comp_targetILNS1_3genE0ELNS1_11target_archE4294967295ELNS1_3gpuE0ELNS1_3repE0EEENS1_52radix_sort_onesweep_histogram_config_static_selectorELNS0_4arch9wavefront6targetE1EEEvSG_.has_dyn_sized_stack, 0
	.set _ZN7rocprim17ROCPRIM_400000_NS6detail17trampoline_kernelINS0_14default_configENS1_35radix_sort_onesweep_config_selectorIiiEEZNS1_34radix_sort_onesweep_global_offsetsIS3_Lb1EN6thrust23THRUST_200600_302600_NS6detail15normal_iteratorINS8_10device_ptrIiEEEESD_jNS0_19identity_decomposerEEE10hipError_tT1_T2_PT3_SI_jT4_jjP12ihipStream_tbEUlT_E0_NS1_11comp_targetILNS1_3genE0ELNS1_11target_archE4294967295ELNS1_3gpuE0ELNS1_3repE0EEENS1_52radix_sort_onesweep_histogram_config_static_selectorELNS0_4arch9wavefront6targetE1EEEvSG_.has_recursion, 0
	.set _ZN7rocprim17ROCPRIM_400000_NS6detail17trampoline_kernelINS0_14default_configENS1_35radix_sort_onesweep_config_selectorIiiEEZNS1_34radix_sort_onesweep_global_offsetsIS3_Lb1EN6thrust23THRUST_200600_302600_NS6detail15normal_iteratorINS8_10device_ptrIiEEEESD_jNS0_19identity_decomposerEEE10hipError_tT1_T2_PT3_SI_jT4_jjP12ihipStream_tbEUlT_E0_NS1_11comp_targetILNS1_3genE0ELNS1_11target_archE4294967295ELNS1_3gpuE0ELNS1_3repE0EEENS1_52radix_sort_onesweep_histogram_config_static_selectorELNS0_4arch9wavefront6targetE1EEEvSG_.has_indirect_call, 0
	.section	.AMDGPU.csdata,"",@progbits
; Kernel info:
; codeLenInByte = 0
; TotalNumSgprs: 6
; NumVgprs: 0
; NumAgprs: 0
; TotalNumVgprs: 0
; ScratchSize: 0
; MemoryBound: 0
; FloatMode: 240
; IeeeMode: 1
; LDSByteSize: 0 bytes/workgroup (compile time only)
; SGPRBlocks: 0
; VGPRBlocks: 0
; NumSGPRsForWavesPerEU: 6
; NumVGPRsForWavesPerEU: 1
; AccumOffset: 4
; Occupancy: 8
; WaveLimiterHint : 0
; COMPUTE_PGM_RSRC2:SCRATCH_EN: 0
; COMPUTE_PGM_RSRC2:USER_SGPR: 2
; COMPUTE_PGM_RSRC2:TRAP_HANDLER: 0
; COMPUTE_PGM_RSRC2:TGID_X_EN: 1
; COMPUTE_PGM_RSRC2:TGID_Y_EN: 0
; COMPUTE_PGM_RSRC2:TGID_Z_EN: 0
; COMPUTE_PGM_RSRC2:TIDIG_COMP_CNT: 0
; COMPUTE_PGM_RSRC3_GFX90A:ACCUM_OFFSET: 0
; COMPUTE_PGM_RSRC3_GFX90A:TG_SPLIT: 0
	.section	.text._ZN7rocprim17ROCPRIM_400000_NS6detail17trampoline_kernelINS0_14default_configENS1_35radix_sort_onesweep_config_selectorIiiEEZNS1_34radix_sort_onesweep_global_offsetsIS3_Lb1EN6thrust23THRUST_200600_302600_NS6detail15normal_iteratorINS8_10device_ptrIiEEEESD_jNS0_19identity_decomposerEEE10hipError_tT1_T2_PT3_SI_jT4_jjP12ihipStream_tbEUlT_E0_NS1_11comp_targetILNS1_3genE6ELNS1_11target_archE950ELNS1_3gpuE13ELNS1_3repE0EEENS1_52radix_sort_onesweep_histogram_config_static_selectorELNS0_4arch9wavefront6targetE1EEEvSG_,"axG",@progbits,_ZN7rocprim17ROCPRIM_400000_NS6detail17trampoline_kernelINS0_14default_configENS1_35radix_sort_onesweep_config_selectorIiiEEZNS1_34radix_sort_onesweep_global_offsetsIS3_Lb1EN6thrust23THRUST_200600_302600_NS6detail15normal_iteratorINS8_10device_ptrIiEEEESD_jNS0_19identity_decomposerEEE10hipError_tT1_T2_PT3_SI_jT4_jjP12ihipStream_tbEUlT_E0_NS1_11comp_targetILNS1_3genE6ELNS1_11target_archE950ELNS1_3gpuE13ELNS1_3repE0EEENS1_52radix_sort_onesweep_histogram_config_static_selectorELNS0_4arch9wavefront6targetE1EEEvSG_,comdat
	.protected	_ZN7rocprim17ROCPRIM_400000_NS6detail17trampoline_kernelINS0_14default_configENS1_35radix_sort_onesweep_config_selectorIiiEEZNS1_34radix_sort_onesweep_global_offsetsIS3_Lb1EN6thrust23THRUST_200600_302600_NS6detail15normal_iteratorINS8_10device_ptrIiEEEESD_jNS0_19identity_decomposerEEE10hipError_tT1_T2_PT3_SI_jT4_jjP12ihipStream_tbEUlT_E0_NS1_11comp_targetILNS1_3genE6ELNS1_11target_archE950ELNS1_3gpuE13ELNS1_3repE0EEENS1_52radix_sort_onesweep_histogram_config_static_selectorELNS0_4arch9wavefront6targetE1EEEvSG_ ; -- Begin function _ZN7rocprim17ROCPRIM_400000_NS6detail17trampoline_kernelINS0_14default_configENS1_35radix_sort_onesweep_config_selectorIiiEEZNS1_34radix_sort_onesweep_global_offsetsIS3_Lb1EN6thrust23THRUST_200600_302600_NS6detail15normal_iteratorINS8_10device_ptrIiEEEESD_jNS0_19identity_decomposerEEE10hipError_tT1_T2_PT3_SI_jT4_jjP12ihipStream_tbEUlT_E0_NS1_11comp_targetILNS1_3genE6ELNS1_11target_archE950ELNS1_3gpuE13ELNS1_3repE0EEENS1_52radix_sort_onesweep_histogram_config_static_selectorELNS0_4arch9wavefront6targetE1EEEvSG_
	.globl	_ZN7rocprim17ROCPRIM_400000_NS6detail17trampoline_kernelINS0_14default_configENS1_35radix_sort_onesweep_config_selectorIiiEEZNS1_34radix_sort_onesweep_global_offsetsIS3_Lb1EN6thrust23THRUST_200600_302600_NS6detail15normal_iteratorINS8_10device_ptrIiEEEESD_jNS0_19identity_decomposerEEE10hipError_tT1_T2_PT3_SI_jT4_jjP12ihipStream_tbEUlT_E0_NS1_11comp_targetILNS1_3genE6ELNS1_11target_archE950ELNS1_3gpuE13ELNS1_3repE0EEENS1_52radix_sort_onesweep_histogram_config_static_selectorELNS0_4arch9wavefront6targetE1EEEvSG_
	.p2align	8
	.type	_ZN7rocprim17ROCPRIM_400000_NS6detail17trampoline_kernelINS0_14default_configENS1_35radix_sort_onesweep_config_selectorIiiEEZNS1_34radix_sort_onesweep_global_offsetsIS3_Lb1EN6thrust23THRUST_200600_302600_NS6detail15normal_iteratorINS8_10device_ptrIiEEEESD_jNS0_19identity_decomposerEEE10hipError_tT1_T2_PT3_SI_jT4_jjP12ihipStream_tbEUlT_E0_NS1_11comp_targetILNS1_3genE6ELNS1_11target_archE950ELNS1_3gpuE13ELNS1_3repE0EEENS1_52radix_sort_onesweep_histogram_config_static_selectorELNS0_4arch9wavefront6targetE1EEEvSG_,@function
_ZN7rocprim17ROCPRIM_400000_NS6detail17trampoline_kernelINS0_14default_configENS1_35radix_sort_onesweep_config_selectorIiiEEZNS1_34radix_sort_onesweep_global_offsetsIS3_Lb1EN6thrust23THRUST_200600_302600_NS6detail15normal_iteratorINS8_10device_ptrIiEEEESD_jNS0_19identity_decomposerEEE10hipError_tT1_T2_PT3_SI_jT4_jjP12ihipStream_tbEUlT_E0_NS1_11comp_targetILNS1_3genE6ELNS1_11target_archE950ELNS1_3gpuE13ELNS1_3repE0EEENS1_52radix_sort_onesweep_histogram_config_static_selectorELNS0_4arch9wavefront6targetE1EEEvSG_: ; @_ZN7rocprim17ROCPRIM_400000_NS6detail17trampoline_kernelINS0_14default_configENS1_35radix_sort_onesweep_config_selectorIiiEEZNS1_34radix_sort_onesweep_global_offsetsIS3_Lb1EN6thrust23THRUST_200600_302600_NS6detail15normal_iteratorINS8_10device_ptrIiEEEESD_jNS0_19identity_decomposerEEE10hipError_tT1_T2_PT3_SI_jT4_jjP12ihipStream_tbEUlT_E0_NS1_11comp_targetILNS1_3genE6ELNS1_11target_archE950ELNS1_3gpuE13ELNS1_3repE0EEENS1_52radix_sort_onesweep_histogram_config_static_selectorELNS0_4arch9wavefront6targetE1EEEvSG_
; %bb.0:
	s_load_dwordx2 s[0:1], s[0:1], 0x0
	s_lshl_b32 s2, s2, 8
	s_mov_b32 s3, 0
	s_lshl_b64 s[2:3], s[2:3], 2
	v_lshlrev_b32_e32 v1, 2, v0
	s_waitcnt lgkmcnt(0)
	s_add_u32 s10, s0, s2
	s_movk_i32 s0, 0x100
	s_addc_u32 s11, s1, s3
	v_cmp_gt_u32_e32 vcc, s0, v0
                                        ; implicit-def: $vgpr3
	s_and_saveexec_b64 s[0:1], vcc
	s_cbranch_execz .LBB1829_2
; %bb.1:
	global_load_dword v3, v1, s[10:11]
.LBB1829_2:
	s_or_b64 exec, exec, s[0:1]
	v_mbcnt_lo_u32_b32 v2, -1, 0
	v_mbcnt_hi_u32_b32 v2, -1, v2
	v_and_b32_e32 v4, 15, v2
	s_waitcnt vmcnt(0)
	v_mov_b32_dpp v5, v3 row_shr:1 row_mask:0xf bank_mask:0xf
	v_cmp_eq_u32_e64 s[0:1], 0, v4
	v_cmp_lt_u32_e64 s[2:3], 1, v4
	v_cmp_lt_u32_e64 s[4:5], 3, v4
	v_cndmask_b32_e64 v5, v5, 0, s[0:1]
	v_add_u32_e32 v3, v5, v3
	v_cmp_lt_u32_e64 s[6:7], 7, v4
	v_cmp_lt_u32_e64 s[8:9], 31, v2
	v_mov_b32_dpp v5, v3 row_shr:2 row_mask:0xf bank_mask:0xf
	v_cndmask_b32_e64 v5, 0, v5, s[2:3]
	v_add_u32_e32 v3, v3, v5
	s_nop 1
	v_mov_b32_dpp v5, v3 row_shr:4 row_mask:0xf bank_mask:0xf
	v_cndmask_b32_e64 v5, 0, v5, s[4:5]
	v_add_u32_e32 v3, v3, v5
	s_nop 1
	v_mov_b32_dpp v5, v3 row_shr:8 row_mask:0xf bank_mask:0xf
	v_cndmask_b32_e64 v4, 0, v5, s[6:7]
	v_add_u32_e32 v3, v3, v4
	v_bfe_i32 v5, v2, 4, 1
	s_nop 0
	v_mov_b32_dpp v4, v3 row_bcast:15 row_mask:0xf bank_mask:0xf
	v_and_b32_e32 v4, v5, v4
	v_add_u32_e32 v3, v3, v4
	v_and_b32_e32 v5, 63, v0
	s_nop 0
	v_mov_b32_dpp v4, v3 row_bcast:31 row_mask:0xf bank_mask:0xf
	v_cndmask_b32_e64 v4, 0, v4, s[8:9]
	v_add_u32_e32 v3, v3, v4
	v_lshrrev_b32_e32 v4, 6, v0
	v_cmp_eq_u32_e64 s[8:9], 63, v5
	s_and_saveexec_b64 s[12:13], s[8:9]
; %bb.3:
	v_lshlrev_b32_e32 v5, 2, v4
	ds_write_b32 v5, v3
; %bb.4:
	s_or_b64 exec, exec, s[12:13]
	v_cmp_gt_u32_e64 s[8:9], 16, v0
	s_waitcnt lgkmcnt(0)
	s_barrier
	s_and_saveexec_b64 s[12:13], s[8:9]
	s_cbranch_execz .LBB1829_6
; %bb.5:
	ds_read_b32 v5, v1
	s_waitcnt lgkmcnt(0)
	s_nop 0
	v_mov_b32_dpp v6, v5 row_shr:1 row_mask:0xf bank_mask:0xf
	v_cndmask_b32_e64 v6, v6, 0, s[0:1]
	v_add_u32_e32 v5, v6, v5
	s_nop 1
	v_mov_b32_dpp v6, v5 row_shr:2 row_mask:0xf bank_mask:0xf
	v_cndmask_b32_e64 v6, 0, v6, s[2:3]
	v_add_u32_e32 v5, v5, v6
	;; [unrolled: 4-line block ×4, first 2 shown]
	ds_write_b32 v1, v5
.LBB1829_6:
	s_or_b64 exec, exec, s[12:13]
	v_cmp_lt_u32_e64 s[0:1], 63, v0
	v_mov_b32_e32 v0, 0
	s_waitcnt lgkmcnt(0)
	s_barrier
	s_and_saveexec_b64 s[2:3], s[0:1]
; %bb.7:
	v_lshl_add_u32 v0, v4, 2, -4
	ds_read_b32 v0, v0
; %bb.8:
	s_or_b64 exec, exec, s[2:3]
	v_add_u32_e32 v4, -1, v2
	v_and_b32_e32 v5, 64, v2
	v_cmp_lt_i32_e64 s[0:1], v4, v5
	s_waitcnt lgkmcnt(0)
	v_add_u32_e32 v3, v0, v3
	v_cndmask_b32_e64 v4, v4, v2, s[0:1]
	v_lshlrev_b32_e32 v4, 2, v4
	ds_bpermute_b32 v3, v4, v3
	s_and_saveexec_b64 s[0:1], vcc
	s_cbranch_execz .LBB1829_10
; %bb.9:
	v_cmp_eq_u32_e32 vcc, 0, v2
	s_waitcnt lgkmcnt(0)
	s_nop 0
	v_cndmask_b32_e32 v0, v3, v0, vcc
	global_store_dword v1, v0, s[10:11]
.LBB1829_10:
	s_endpgm
	.section	.rodata,"a",@progbits
	.p2align	6, 0x0
	.amdhsa_kernel _ZN7rocprim17ROCPRIM_400000_NS6detail17trampoline_kernelINS0_14default_configENS1_35radix_sort_onesweep_config_selectorIiiEEZNS1_34radix_sort_onesweep_global_offsetsIS3_Lb1EN6thrust23THRUST_200600_302600_NS6detail15normal_iteratorINS8_10device_ptrIiEEEESD_jNS0_19identity_decomposerEEE10hipError_tT1_T2_PT3_SI_jT4_jjP12ihipStream_tbEUlT_E0_NS1_11comp_targetILNS1_3genE6ELNS1_11target_archE950ELNS1_3gpuE13ELNS1_3repE0EEENS1_52radix_sort_onesweep_histogram_config_static_selectorELNS0_4arch9wavefront6targetE1EEEvSG_
		.amdhsa_group_segment_fixed_size 64
		.amdhsa_private_segment_fixed_size 0
		.amdhsa_kernarg_size 8
		.amdhsa_user_sgpr_count 2
		.amdhsa_user_sgpr_dispatch_ptr 0
		.amdhsa_user_sgpr_queue_ptr 0
		.amdhsa_user_sgpr_kernarg_segment_ptr 1
		.amdhsa_user_sgpr_dispatch_id 0
		.amdhsa_user_sgpr_kernarg_preload_length 0
		.amdhsa_user_sgpr_kernarg_preload_offset 0
		.amdhsa_user_sgpr_private_segment_size 0
		.amdhsa_uses_dynamic_stack 0
		.amdhsa_enable_private_segment 0
		.amdhsa_system_sgpr_workgroup_id_x 1
		.amdhsa_system_sgpr_workgroup_id_y 0
		.amdhsa_system_sgpr_workgroup_id_z 0
		.amdhsa_system_sgpr_workgroup_info 0
		.amdhsa_system_vgpr_workitem_id 0
		.amdhsa_next_free_vgpr 7
		.amdhsa_next_free_sgpr 14
		.amdhsa_accum_offset 8
		.amdhsa_reserve_vcc 1
		.amdhsa_float_round_mode_32 0
		.amdhsa_float_round_mode_16_64 0
		.amdhsa_float_denorm_mode_32 3
		.amdhsa_float_denorm_mode_16_64 3
		.amdhsa_dx10_clamp 1
		.amdhsa_ieee_mode 1
		.amdhsa_fp16_overflow 0
		.amdhsa_tg_split 0
		.amdhsa_exception_fp_ieee_invalid_op 0
		.amdhsa_exception_fp_denorm_src 0
		.amdhsa_exception_fp_ieee_div_zero 0
		.amdhsa_exception_fp_ieee_overflow 0
		.amdhsa_exception_fp_ieee_underflow 0
		.amdhsa_exception_fp_ieee_inexact 0
		.amdhsa_exception_int_div_zero 0
	.end_amdhsa_kernel
	.section	.text._ZN7rocprim17ROCPRIM_400000_NS6detail17trampoline_kernelINS0_14default_configENS1_35radix_sort_onesweep_config_selectorIiiEEZNS1_34radix_sort_onesweep_global_offsetsIS3_Lb1EN6thrust23THRUST_200600_302600_NS6detail15normal_iteratorINS8_10device_ptrIiEEEESD_jNS0_19identity_decomposerEEE10hipError_tT1_T2_PT3_SI_jT4_jjP12ihipStream_tbEUlT_E0_NS1_11comp_targetILNS1_3genE6ELNS1_11target_archE950ELNS1_3gpuE13ELNS1_3repE0EEENS1_52radix_sort_onesweep_histogram_config_static_selectorELNS0_4arch9wavefront6targetE1EEEvSG_,"axG",@progbits,_ZN7rocprim17ROCPRIM_400000_NS6detail17trampoline_kernelINS0_14default_configENS1_35radix_sort_onesweep_config_selectorIiiEEZNS1_34radix_sort_onesweep_global_offsetsIS3_Lb1EN6thrust23THRUST_200600_302600_NS6detail15normal_iteratorINS8_10device_ptrIiEEEESD_jNS0_19identity_decomposerEEE10hipError_tT1_T2_PT3_SI_jT4_jjP12ihipStream_tbEUlT_E0_NS1_11comp_targetILNS1_3genE6ELNS1_11target_archE950ELNS1_3gpuE13ELNS1_3repE0EEENS1_52radix_sort_onesweep_histogram_config_static_selectorELNS0_4arch9wavefront6targetE1EEEvSG_,comdat
.Lfunc_end1829:
	.size	_ZN7rocprim17ROCPRIM_400000_NS6detail17trampoline_kernelINS0_14default_configENS1_35radix_sort_onesweep_config_selectorIiiEEZNS1_34radix_sort_onesweep_global_offsetsIS3_Lb1EN6thrust23THRUST_200600_302600_NS6detail15normal_iteratorINS8_10device_ptrIiEEEESD_jNS0_19identity_decomposerEEE10hipError_tT1_T2_PT3_SI_jT4_jjP12ihipStream_tbEUlT_E0_NS1_11comp_targetILNS1_3genE6ELNS1_11target_archE950ELNS1_3gpuE13ELNS1_3repE0EEENS1_52radix_sort_onesweep_histogram_config_static_selectorELNS0_4arch9wavefront6targetE1EEEvSG_, .Lfunc_end1829-_ZN7rocprim17ROCPRIM_400000_NS6detail17trampoline_kernelINS0_14default_configENS1_35radix_sort_onesweep_config_selectorIiiEEZNS1_34radix_sort_onesweep_global_offsetsIS3_Lb1EN6thrust23THRUST_200600_302600_NS6detail15normal_iteratorINS8_10device_ptrIiEEEESD_jNS0_19identity_decomposerEEE10hipError_tT1_T2_PT3_SI_jT4_jjP12ihipStream_tbEUlT_E0_NS1_11comp_targetILNS1_3genE6ELNS1_11target_archE950ELNS1_3gpuE13ELNS1_3repE0EEENS1_52radix_sort_onesweep_histogram_config_static_selectorELNS0_4arch9wavefront6targetE1EEEvSG_
                                        ; -- End function
	.set _ZN7rocprim17ROCPRIM_400000_NS6detail17trampoline_kernelINS0_14default_configENS1_35radix_sort_onesweep_config_selectorIiiEEZNS1_34radix_sort_onesweep_global_offsetsIS3_Lb1EN6thrust23THRUST_200600_302600_NS6detail15normal_iteratorINS8_10device_ptrIiEEEESD_jNS0_19identity_decomposerEEE10hipError_tT1_T2_PT3_SI_jT4_jjP12ihipStream_tbEUlT_E0_NS1_11comp_targetILNS1_3genE6ELNS1_11target_archE950ELNS1_3gpuE13ELNS1_3repE0EEENS1_52radix_sort_onesweep_histogram_config_static_selectorELNS0_4arch9wavefront6targetE1EEEvSG_.num_vgpr, 7
	.set _ZN7rocprim17ROCPRIM_400000_NS6detail17trampoline_kernelINS0_14default_configENS1_35radix_sort_onesweep_config_selectorIiiEEZNS1_34radix_sort_onesweep_global_offsetsIS3_Lb1EN6thrust23THRUST_200600_302600_NS6detail15normal_iteratorINS8_10device_ptrIiEEEESD_jNS0_19identity_decomposerEEE10hipError_tT1_T2_PT3_SI_jT4_jjP12ihipStream_tbEUlT_E0_NS1_11comp_targetILNS1_3genE6ELNS1_11target_archE950ELNS1_3gpuE13ELNS1_3repE0EEENS1_52radix_sort_onesweep_histogram_config_static_selectorELNS0_4arch9wavefront6targetE1EEEvSG_.num_agpr, 0
	.set _ZN7rocprim17ROCPRIM_400000_NS6detail17trampoline_kernelINS0_14default_configENS1_35radix_sort_onesweep_config_selectorIiiEEZNS1_34radix_sort_onesweep_global_offsetsIS3_Lb1EN6thrust23THRUST_200600_302600_NS6detail15normal_iteratorINS8_10device_ptrIiEEEESD_jNS0_19identity_decomposerEEE10hipError_tT1_T2_PT3_SI_jT4_jjP12ihipStream_tbEUlT_E0_NS1_11comp_targetILNS1_3genE6ELNS1_11target_archE950ELNS1_3gpuE13ELNS1_3repE0EEENS1_52radix_sort_onesweep_histogram_config_static_selectorELNS0_4arch9wavefront6targetE1EEEvSG_.numbered_sgpr, 14
	.set _ZN7rocprim17ROCPRIM_400000_NS6detail17trampoline_kernelINS0_14default_configENS1_35radix_sort_onesweep_config_selectorIiiEEZNS1_34radix_sort_onesweep_global_offsetsIS3_Lb1EN6thrust23THRUST_200600_302600_NS6detail15normal_iteratorINS8_10device_ptrIiEEEESD_jNS0_19identity_decomposerEEE10hipError_tT1_T2_PT3_SI_jT4_jjP12ihipStream_tbEUlT_E0_NS1_11comp_targetILNS1_3genE6ELNS1_11target_archE950ELNS1_3gpuE13ELNS1_3repE0EEENS1_52radix_sort_onesweep_histogram_config_static_selectorELNS0_4arch9wavefront6targetE1EEEvSG_.num_named_barrier, 0
	.set _ZN7rocprim17ROCPRIM_400000_NS6detail17trampoline_kernelINS0_14default_configENS1_35radix_sort_onesweep_config_selectorIiiEEZNS1_34radix_sort_onesweep_global_offsetsIS3_Lb1EN6thrust23THRUST_200600_302600_NS6detail15normal_iteratorINS8_10device_ptrIiEEEESD_jNS0_19identity_decomposerEEE10hipError_tT1_T2_PT3_SI_jT4_jjP12ihipStream_tbEUlT_E0_NS1_11comp_targetILNS1_3genE6ELNS1_11target_archE950ELNS1_3gpuE13ELNS1_3repE0EEENS1_52radix_sort_onesweep_histogram_config_static_selectorELNS0_4arch9wavefront6targetE1EEEvSG_.private_seg_size, 0
	.set _ZN7rocprim17ROCPRIM_400000_NS6detail17trampoline_kernelINS0_14default_configENS1_35radix_sort_onesweep_config_selectorIiiEEZNS1_34radix_sort_onesweep_global_offsetsIS3_Lb1EN6thrust23THRUST_200600_302600_NS6detail15normal_iteratorINS8_10device_ptrIiEEEESD_jNS0_19identity_decomposerEEE10hipError_tT1_T2_PT3_SI_jT4_jjP12ihipStream_tbEUlT_E0_NS1_11comp_targetILNS1_3genE6ELNS1_11target_archE950ELNS1_3gpuE13ELNS1_3repE0EEENS1_52radix_sort_onesweep_histogram_config_static_selectorELNS0_4arch9wavefront6targetE1EEEvSG_.uses_vcc, 1
	.set _ZN7rocprim17ROCPRIM_400000_NS6detail17trampoline_kernelINS0_14default_configENS1_35radix_sort_onesweep_config_selectorIiiEEZNS1_34radix_sort_onesweep_global_offsetsIS3_Lb1EN6thrust23THRUST_200600_302600_NS6detail15normal_iteratorINS8_10device_ptrIiEEEESD_jNS0_19identity_decomposerEEE10hipError_tT1_T2_PT3_SI_jT4_jjP12ihipStream_tbEUlT_E0_NS1_11comp_targetILNS1_3genE6ELNS1_11target_archE950ELNS1_3gpuE13ELNS1_3repE0EEENS1_52radix_sort_onesweep_histogram_config_static_selectorELNS0_4arch9wavefront6targetE1EEEvSG_.uses_flat_scratch, 0
	.set _ZN7rocprim17ROCPRIM_400000_NS6detail17trampoline_kernelINS0_14default_configENS1_35radix_sort_onesweep_config_selectorIiiEEZNS1_34radix_sort_onesweep_global_offsetsIS3_Lb1EN6thrust23THRUST_200600_302600_NS6detail15normal_iteratorINS8_10device_ptrIiEEEESD_jNS0_19identity_decomposerEEE10hipError_tT1_T2_PT3_SI_jT4_jjP12ihipStream_tbEUlT_E0_NS1_11comp_targetILNS1_3genE6ELNS1_11target_archE950ELNS1_3gpuE13ELNS1_3repE0EEENS1_52radix_sort_onesweep_histogram_config_static_selectorELNS0_4arch9wavefront6targetE1EEEvSG_.has_dyn_sized_stack, 0
	.set _ZN7rocprim17ROCPRIM_400000_NS6detail17trampoline_kernelINS0_14default_configENS1_35radix_sort_onesweep_config_selectorIiiEEZNS1_34radix_sort_onesweep_global_offsetsIS3_Lb1EN6thrust23THRUST_200600_302600_NS6detail15normal_iteratorINS8_10device_ptrIiEEEESD_jNS0_19identity_decomposerEEE10hipError_tT1_T2_PT3_SI_jT4_jjP12ihipStream_tbEUlT_E0_NS1_11comp_targetILNS1_3genE6ELNS1_11target_archE950ELNS1_3gpuE13ELNS1_3repE0EEENS1_52radix_sort_onesweep_histogram_config_static_selectorELNS0_4arch9wavefront6targetE1EEEvSG_.has_recursion, 0
	.set _ZN7rocprim17ROCPRIM_400000_NS6detail17trampoline_kernelINS0_14default_configENS1_35radix_sort_onesweep_config_selectorIiiEEZNS1_34radix_sort_onesweep_global_offsetsIS3_Lb1EN6thrust23THRUST_200600_302600_NS6detail15normal_iteratorINS8_10device_ptrIiEEEESD_jNS0_19identity_decomposerEEE10hipError_tT1_T2_PT3_SI_jT4_jjP12ihipStream_tbEUlT_E0_NS1_11comp_targetILNS1_3genE6ELNS1_11target_archE950ELNS1_3gpuE13ELNS1_3repE0EEENS1_52radix_sort_onesweep_histogram_config_static_selectorELNS0_4arch9wavefront6targetE1EEEvSG_.has_indirect_call, 0
	.section	.AMDGPU.csdata,"",@progbits
; Kernel info:
; codeLenInByte = 572
; TotalNumSgprs: 20
; NumVgprs: 7
; NumAgprs: 0
; TotalNumVgprs: 7
; ScratchSize: 0
; MemoryBound: 0
; FloatMode: 240
; IeeeMode: 1
; LDSByteSize: 64 bytes/workgroup (compile time only)
; SGPRBlocks: 2
; VGPRBlocks: 0
; NumSGPRsForWavesPerEU: 20
; NumVGPRsForWavesPerEU: 7
; AccumOffset: 8
; Occupancy: 8
; WaveLimiterHint : 0
; COMPUTE_PGM_RSRC2:SCRATCH_EN: 0
; COMPUTE_PGM_RSRC2:USER_SGPR: 2
; COMPUTE_PGM_RSRC2:TRAP_HANDLER: 0
; COMPUTE_PGM_RSRC2:TGID_X_EN: 1
; COMPUTE_PGM_RSRC2:TGID_Y_EN: 0
; COMPUTE_PGM_RSRC2:TGID_Z_EN: 0
; COMPUTE_PGM_RSRC2:TIDIG_COMP_CNT: 0
; COMPUTE_PGM_RSRC3_GFX90A:ACCUM_OFFSET: 1
; COMPUTE_PGM_RSRC3_GFX90A:TG_SPLIT: 0
	.section	.text._ZN7rocprim17ROCPRIM_400000_NS6detail17trampoline_kernelINS0_14default_configENS1_35radix_sort_onesweep_config_selectorIiiEEZNS1_34radix_sort_onesweep_global_offsetsIS3_Lb1EN6thrust23THRUST_200600_302600_NS6detail15normal_iteratorINS8_10device_ptrIiEEEESD_jNS0_19identity_decomposerEEE10hipError_tT1_T2_PT3_SI_jT4_jjP12ihipStream_tbEUlT_E0_NS1_11comp_targetILNS1_3genE5ELNS1_11target_archE942ELNS1_3gpuE9ELNS1_3repE0EEENS1_52radix_sort_onesweep_histogram_config_static_selectorELNS0_4arch9wavefront6targetE1EEEvSG_,"axG",@progbits,_ZN7rocprim17ROCPRIM_400000_NS6detail17trampoline_kernelINS0_14default_configENS1_35radix_sort_onesweep_config_selectorIiiEEZNS1_34radix_sort_onesweep_global_offsetsIS3_Lb1EN6thrust23THRUST_200600_302600_NS6detail15normal_iteratorINS8_10device_ptrIiEEEESD_jNS0_19identity_decomposerEEE10hipError_tT1_T2_PT3_SI_jT4_jjP12ihipStream_tbEUlT_E0_NS1_11comp_targetILNS1_3genE5ELNS1_11target_archE942ELNS1_3gpuE9ELNS1_3repE0EEENS1_52radix_sort_onesweep_histogram_config_static_selectorELNS0_4arch9wavefront6targetE1EEEvSG_,comdat
	.protected	_ZN7rocprim17ROCPRIM_400000_NS6detail17trampoline_kernelINS0_14default_configENS1_35radix_sort_onesweep_config_selectorIiiEEZNS1_34radix_sort_onesweep_global_offsetsIS3_Lb1EN6thrust23THRUST_200600_302600_NS6detail15normal_iteratorINS8_10device_ptrIiEEEESD_jNS0_19identity_decomposerEEE10hipError_tT1_T2_PT3_SI_jT4_jjP12ihipStream_tbEUlT_E0_NS1_11comp_targetILNS1_3genE5ELNS1_11target_archE942ELNS1_3gpuE9ELNS1_3repE0EEENS1_52radix_sort_onesweep_histogram_config_static_selectorELNS0_4arch9wavefront6targetE1EEEvSG_ ; -- Begin function _ZN7rocprim17ROCPRIM_400000_NS6detail17trampoline_kernelINS0_14default_configENS1_35radix_sort_onesweep_config_selectorIiiEEZNS1_34radix_sort_onesweep_global_offsetsIS3_Lb1EN6thrust23THRUST_200600_302600_NS6detail15normal_iteratorINS8_10device_ptrIiEEEESD_jNS0_19identity_decomposerEEE10hipError_tT1_T2_PT3_SI_jT4_jjP12ihipStream_tbEUlT_E0_NS1_11comp_targetILNS1_3genE5ELNS1_11target_archE942ELNS1_3gpuE9ELNS1_3repE0EEENS1_52radix_sort_onesweep_histogram_config_static_selectorELNS0_4arch9wavefront6targetE1EEEvSG_
	.globl	_ZN7rocprim17ROCPRIM_400000_NS6detail17trampoline_kernelINS0_14default_configENS1_35radix_sort_onesweep_config_selectorIiiEEZNS1_34radix_sort_onesweep_global_offsetsIS3_Lb1EN6thrust23THRUST_200600_302600_NS6detail15normal_iteratorINS8_10device_ptrIiEEEESD_jNS0_19identity_decomposerEEE10hipError_tT1_T2_PT3_SI_jT4_jjP12ihipStream_tbEUlT_E0_NS1_11comp_targetILNS1_3genE5ELNS1_11target_archE942ELNS1_3gpuE9ELNS1_3repE0EEENS1_52radix_sort_onesweep_histogram_config_static_selectorELNS0_4arch9wavefront6targetE1EEEvSG_
	.p2align	8
	.type	_ZN7rocprim17ROCPRIM_400000_NS6detail17trampoline_kernelINS0_14default_configENS1_35radix_sort_onesweep_config_selectorIiiEEZNS1_34radix_sort_onesweep_global_offsetsIS3_Lb1EN6thrust23THRUST_200600_302600_NS6detail15normal_iteratorINS8_10device_ptrIiEEEESD_jNS0_19identity_decomposerEEE10hipError_tT1_T2_PT3_SI_jT4_jjP12ihipStream_tbEUlT_E0_NS1_11comp_targetILNS1_3genE5ELNS1_11target_archE942ELNS1_3gpuE9ELNS1_3repE0EEENS1_52radix_sort_onesweep_histogram_config_static_selectorELNS0_4arch9wavefront6targetE1EEEvSG_,@function
_ZN7rocprim17ROCPRIM_400000_NS6detail17trampoline_kernelINS0_14default_configENS1_35radix_sort_onesweep_config_selectorIiiEEZNS1_34radix_sort_onesweep_global_offsetsIS3_Lb1EN6thrust23THRUST_200600_302600_NS6detail15normal_iteratorINS8_10device_ptrIiEEEESD_jNS0_19identity_decomposerEEE10hipError_tT1_T2_PT3_SI_jT4_jjP12ihipStream_tbEUlT_E0_NS1_11comp_targetILNS1_3genE5ELNS1_11target_archE942ELNS1_3gpuE9ELNS1_3repE0EEENS1_52radix_sort_onesweep_histogram_config_static_selectorELNS0_4arch9wavefront6targetE1EEEvSG_: ; @_ZN7rocprim17ROCPRIM_400000_NS6detail17trampoline_kernelINS0_14default_configENS1_35radix_sort_onesweep_config_selectorIiiEEZNS1_34radix_sort_onesweep_global_offsetsIS3_Lb1EN6thrust23THRUST_200600_302600_NS6detail15normal_iteratorINS8_10device_ptrIiEEEESD_jNS0_19identity_decomposerEEE10hipError_tT1_T2_PT3_SI_jT4_jjP12ihipStream_tbEUlT_E0_NS1_11comp_targetILNS1_3genE5ELNS1_11target_archE942ELNS1_3gpuE9ELNS1_3repE0EEENS1_52radix_sort_onesweep_histogram_config_static_selectorELNS0_4arch9wavefront6targetE1EEEvSG_
; %bb.0:
	.section	.rodata,"a",@progbits
	.p2align	6, 0x0
	.amdhsa_kernel _ZN7rocprim17ROCPRIM_400000_NS6detail17trampoline_kernelINS0_14default_configENS1_35radix_sort_onesweep_config_selectorIiiEEZNS1_34radix_sort_onesweep_global_offsetsIS3_Lb1EN6thrust23THRUST_200600_302600_NS6detail15normal_iteratorINS8_10device_ptrIiEEEESD_jNS0_19identity_decomposerEEE10hipError_tT1_T2_PT3_SI_jT4_jjP12ihipStream_tbEUlT_E0_NS1_11comp_targetILNS1_3genE5ELNS1_11target_archE942ELNS1_3gpuE9ELNS1_3repE0EEENS1_52radix_sort_onesweep_histogram_config_static_selectorELNS0_4arch9wavefront6targetE1EEEvSG_
		.amdhsa_group_segment_fixed_size 0
		.amdhsa_private_segment_fixed_size 0
		.amdhsa_kernarg_size 8
		.amdhsa_user_sgpr_count 2
		.amdhsa_user_sgpr_dispatch_ptr 0
		.amdhsa_user_sgpr_queue_ptr 0
		.amdhsa_user_sgpr_kernarg_segment_ptr 1
		.amdhsa_user_sgpr_dispatch_id 0
		.amdhsa_user_sgpr_kernarg_preload_length 0
		.amdhsa_user_sgpr_kernarg_preload_offset 0
		.amdhsa_user_sgpr_private_segment_size 0
		.amdhsa_uses_dynamic_stack 0
		.amdhsa_enable_private_segment 0
		.amdhsa_system_sgpr_workgroup_id_x 1
		.amdhsa_system_sgpr_workgroup_id_y 0
		.amdhsa_system_sgpr_workgroup_id_z 0
		.amdhsa_system_sgpr_workgroup_info 0
		.amdhsa_system_vgpr_workitem_id 0
		.amdhsa_next_free_vgpr 1
		.amdhsa_next_free_sgpr 0
		.amdhsa_accum_offset 4
		.amdhsa_reserve_vcc 0
		.amdhsa_float_round_mode_32 0
		.amdhsa_float_round_mode_16_64 0
		.amdhsa_float_denorm_mode_32 3
		.amdhsa_float_denorm_mode_16_64 3
		.amdhsa_dx10_clamp 1
		.amdhsa_ieee_mode 1
		.amdhsa_fp16_overflow 0
		.amdhsa_tg_split 0
		.amdhsa_exception_fp_ieee_invalid_op 0
		.amdhsa_exception_fp_denorm_src 0
		.amdhsa_exception_fp_ieee_div_zero 0
		.amdhsa_exception_fp_ieee_overflow 0
		.amdhsa_exception_fp_ieee_underflow 0
		.amdhsa_exception_fp_ieee_inexact 0
		.amdhsa_exception_int_div_zero 0
	.end_amdhsa_kernel
	.section	.text._ZN7rocprim17ROCPRIM_400000_NS6detail17trampoline_kernelINS0_14default_configENS1_35radix_sort_onesweep_config_selectorIiiEEZNS1_34radix_sort_onesweep_global_offsetsIS3_Lb1EN6thrust23THRUST_200600_302600_NS6detail15normal_iteratorINS8_10device_ptrIiEEEESD_jNS0_19identity_decomposerEEE10hipError_tT1_T2_PT3_SI_jT4_jjP12ihipStream_tbEUlT_E0_NS1_11comp_targetILNS1_3genE5ELNS1_11target_archE942ELNS1_3gpuE9ELNS1_3repE0EEENS1_52radix_sort_onesweep_histogram_config_static_selectorELNS0_4arch9wavefront6targetE1EEEvSG_,"axG",@progbits,_ZN7rocprim17ROCPRIM_400000_NS6detail17trampoline_kernelINS0_14default_configENS1_35radix_sort_onesweep_config_selectorIiiEEZNS1_34radix_sort_onesweep_global_offsetsIS3_Lb1EN6thrust23THRUST_200600_302600_NS6detail15normal_iteratorINS8_10device_ptrIiEEEESD_jNS0_19identity_decomposerEEE10hipError_tT1_T2_PT3_SI_jT4_jjP12ihipStream_tbEUlT_E0_NS1_11comp_targetILNS1_3genE5ELNS1_11target_archE942ELNS1_3gpuE9ELNS1_3repE0EEENS1_52radix_sort_onesweep_histogram_config_static_selectorELNS0_4arch9wavefront6targetE1EEEvSG_,comdat
.Lfunc_end1830:
	.size	_ZN7rocprim17ROCPRIM_400000_NS6detail17trampoline_kernelINS0_14default_configENS1_35radix_sort_onesweep_config_selectorIiiEEZNS1_34radix_sort_onesweep_global_offsetsIS3_Lb1EN6thrust23THRUST_200600_302600_NS6detail15normal_iteratorINS8_10device_ptrIiEEEESD_jNS0_19identity_decomposerEEE10hipError_tT1_T2_PT3_SI_jT4_jjP12ihipStream_tbEUlT_E0_NS1_11comp_targetILNS1_3genE5ELNS1_11target_archE942ELNS1_3gpuE9ELNS1_3repE0EEENS1_52radix_sort_onesweep_histogram_config_static_selectorELNS0_4arch9wavefront6targetE1EEEvSG_, .Lfunc_end1830-_ZN7rocprim17ROCPRIM_400000_NS6detail17trampoline_kernelINS0_14default_configENS1_35radix_sort_onesweep_config_selectorIiiEEZNS1_34radix_sort_onesweep_global_offsetsIS3_Lb1EN6thrust23THRUST_200600_302600_NS6detail15normal_iteratorINS8_10device_ptrIiEEEESD_jNS0_19identity_decomposerEEE10hipError_tT1_T2_PT3_SI_jT4_jjP12ihipStream_tbEUlT_E0_NS1_11comp_targetILNS1_3genE5ELNS1_11target_archE942ELNS1_3gpuE9ELNS1_3repE0EEENS1_52radix_sort_onesweep_histogram_config_static_selectorELNS0_4arch9wavefront6targetE1EEEvSG_
                                        ; -- End function
	.set _ZN7rocprim17ROCPRIM_400000_NS6detail17trampoline_kernelINS0_14default_configENS1_35radix_sort_onesweep_config_selectorIiiEEZNS1_34radix_sort_onesweep_global_offsetsIS3_Lb1EN6thrust23THRUST_200600_302600_NS6detail15normal_iteratorINS8_10device_ptrIiEEEESD_jNS0_19identity_decomposerEEE10hipError_tT1_T2_PT3_SI_jT4_jjP12ihipStream_tbEUlT_E0_NS1_11comp_targetILNS1_3genE5ELNS1_11target_archE942ELNS1_3gpuE9ELNS1_3repE0EEENS1_52radix_sort_onesweep_histogram_config_static_selectorELNS0_4arch9wavefront6targetE1EEEvSG_.num_vgpr, 0
	.set _ZN7rocprim17ROCPRIM_400000_NS6detail17trampoline_kernelINS0_14default_configENS1_35radix_sort_onesweep_config_selectorIiiEEZNS1_34radix_sort_onesweep_global_offsetsIS3_Lb1EN6thrust23THRUST_200600_302600_NS6detail15normal_iteratorINS8_10device_ptrIiEEEESD_jNS0_19identity_decomposerEEE10hipError_tT1_T2_PT3_SI_jT4_jjP12ihipStream_tbEUlT_E0_NS1_11comp_targetILNS1_3genE5ELNS1_11target_archE942ELNS1_3gpuE9ELNS1_3repE0EEENS1_52radix_sort_onesweep_histogram_config_static_selectorELNS0_4arch9wavefront6targetE1EEEvSG_.num_agpr, 0
	.set _ZN7rocprim17ROCPRIM_400000_NS6detail17trampoline_kernelINS0_14default_configENS1_35radix_sort_onesweep_config_selectorIiiEEZNS1_34radix_sort_onesweep_global_offsetsIS3_Lb1EN6thrust23THRUST_200600_302600_NS6detail15normal_iteratorINS8_10device_ptrIiEEEESD_jNS0_19identity_decomposerEEE10hipError_tT1_T2_PT3_SI_jT4_jjP12ihipStream_tbEUlT_E0_NS1_11comp_targetILNS1_3genE5ELNS1_11target_archE942ELNS1_3gpuE9ELNS1_3repE0EEENS1_52radix_sort_onesweep_histogram_config_static_selectorELNS0_4arch9wavefront6targetE1EEEvSG_.numbered_sgpr, 0
	.set _ZN7rocprim17ROCPRIM_400000_NS6detail17trampoline_kernelINS0_14default_configENS1_35radix_sort_onesweep_config_selectorIiiEEZNS1_34radix_sort_onesweep_global_offsetsIS3_Lb1EN6thrust23THRUST_200600_302600_NS6detail15normal_iteratorINS8_10device_ptrIiEEEESD_jNS0_19identity_decomposerEEE10hipError_tT1_T2_PT3_SI_jT4_jjP12ihipStream_tbEUlT_E0_NS1_11comp_targetILNS1_3genE5ELNS1_11target_archE942ELNS1_3gpuE9ELNS1_3repE0EEENS1_52radix_sort_onesweep_histogram_config_static_selectorELNS0_4arch9wavefront6targetE1EEEvSG_.num_named_barrier, 0
	.set _ZN7rocprim17ROCPRIM_400000_NS6detail17trampoline_kernelINS0_14default_configENS1_35radix_sort_onesweep_config_selectorIiiEEZNS1_34radix_sort_onesweep_global_offsetsIS3_Lb1EN6thrust23THRUST_200600_302600_NS6detail15normal_iteratorINS8_10device_ptrIiEEEESD_jNS0_19identity_decomposerEEE10hipError_tT1_T2_PT3_SI_jT4_jjP12ihipStream_tbEUlT_E0_NS1_11comp_targetILNS1_3genE5ELNS1_11target_archE942ELNS1_3gpuE9ELNS1_3repE0EEENS1_52radix_sort_onesweep_histogram_config_static_selectorELNS0_4arch9wavefront6targetE1EEEvSG_.private_seg_size, 0
	.set _ZN7rocprim17ROCPRIM_400000_NS6detail17trampoline_kernelINS0_14default_configENS1_35radix_sort_onesweep_config_selectorIiiEEZNS1_34radix_sort_onesweep_global_offsetsIS3_Lb1EN6thrust23THRUST_200600_302600_NS6detail15normal_iteratorINS8_10device_ptrIiEEEESD_jNS0_19identity_decomposerEEE10hipError_tT1_T2_PT3_SI_jT4_jjP12ihipStream_tbEUlT_E0_NS1_11comp_targetILNS1_3genE5ELNS1_11target_archE942ELNS1_3gpuE9ELNS1_3repE0EEENS1_52radix_sort_onesweep_histogram_config_static_selectorELNS0_4arch9wavefront6targetE1EEEvSG_.uses_vcc, 0
	.set _ZN7rocprim17ROCPRIM_400000_NS6detail17trampoline_kernelINS0_14default_configENS1_35radix_sort_onesweep_config_selectorIiiEEZNS1_34radix_sort_onesweep_global_offsetsIS3_Lb1EN6thrust23THRUST_200600_302600_NS6detail15normal_iteratorINS8_10device_ptrIiEEEESD_jNS0_19identity_decomposerEEE10hipError_tT1_T2_PT3_SI_jT4_jjP12ihipStream_tbEUlT_E0_NS1_11comp_targetILNS1_3genE5ELNS1_11target_archE942ELNS1_3gpuE9ELNS1_3repE0EEENS1_52radix_sort_onesweep_histogram_config_static_selectorELNS0_4arch9wavefront6targetE1EEEvSG_.uses_flat_scratch, 0
	.set _ZN7rocprim17ROCPRIM_400000_NS6detail17trampoline_kernelINS0_14default_configENS1_35radix_sort_onesweep_config_selectorIiiEEZNS1_34radix_sort_onesweep_global_offsetsIS3_Lb1EN6thrust23THRUST_200600_302600_NS6detail15normal_iteratorINS8_10device_ptrIiEEEESD_jNS0_19identity_decomposerEEE10hipError_tT1_T2_PT3_SI_jT4_jjP12ihipStream_tbEUlT_E0_NS1_11comp_targetILNS1_3genE5ELNS1_11target_archE942ELNS1_3gpuE9ELNS1_3repE0EEENS1_52radix_sort_onesweep_histogram_config_static_selectorELNS0_4arch9wavefront6targetE1EEEvSG_.has_dyn_sized_stack, 0
	.set _ZN7rocprim17ROCPRIM_400000_NS6detail17trampoline_kernelINS0_14default_configENS1_35radix_sort_onesweep_config_selectorIiiEEZNS1_34radix_sort_onesweep_global_offsetsIS3_Lb1EN6thrust23THRUST_200600_302600_NS6detail15normal_iteratorINS8_10device_ptrIiEEEESD_jNS0_19identity_decomposerEEE10hipError_tT1_T2_PT3_SI_jT4_jjP12ihipStream_tbEUlT_E0_NS1_11comp_targetILNS1_3genE5ELNS1_11target_archE942ELNS1_3gpuE9ELNS1_3repE0EEENS1_52radix_sort_onesweep_histogram_config_static_selectorELNS0_4arch9wavefront6targetE1EEEvSG_.has_recursion, 0
	.set _ZN7rocprim17ROCPRIM_400000_NS6detail17trampoline_kernelINS0_14default_configENS1_35radix_sort_onesweep_config_selectorIiiEEZNS1_34radix_sort_onesweep_global_offsetsIS3_Lb1EN6thrust23THRUST_200600_302600_NS6detail15normal_iteratorINS8_10device_ptrIiEEEESD_jNS0_19identity_decomposerEEE10hipError_tT1_T2_PT3_SI_jT4_jjP12ihipStream_tbEUlT_E0_NS1_11comp_targetILNS1_3genE5ELNS1_11target_archE942ELNS1_3gpuE9ELNS1_3repE0EEENS1_52radix_sort_onesweep_histogram_config_static_selectorELNS0_4arch9wavefront6targetE1EEEvSG_.has_indirect_call, 0
	.section	.AMDGPU.csdata,"",@progbits
; Kernel info:
; codeLenInByte = 0
; TotalNumSgprs: 6
; NumVgprs: 0
; NumAgprs: 0
; TotalNumVgprs: 0
; ScratchSize: 0
; MemoryBound: 0
; FloatMode: 240
; IeeeMode: 1
; LDSByteSize: 0 bytes/workgroup (compile time only)
; SGPRBlocks: 0
; VGPRBlocks: 0
; NumSGPRsForWavesPerEU: 6
; NumVGPRsForWavesPerEU: 1
; AccumOffset: 4
; Occupancy: 8
; WaveLimiterHint : 0
; COMPUTE_PGM_RSRC2:SCRATCH_EN: 0
; COMPUTE_PGM_RSRC2:USER_SGPR: 2
; COMPUTE_PGM_RSRC2:TRAP_HANDLER: 0
; COMPUTE_PGM_RSRC2:TGID_X_EN: 1
; COMPUTE_PGM_RSRC2:TGID_Y_EN: 0
; COMPUTE_PGM_RSRC2:TGID_Z_EN: 0
; COMPUTE_PGM_RSRC2:TIDIG_COMP_CNT: 0
; COMPUTE_PGM_RSRC3_GFX90A:ACCUM_OFFSET: 0
; COMPUTE_PGM_RSRC3_GFX90A:TG_SPLIT: 0
	.section	.text._ZN7rocprim17ROCPRIM_400000_NS6detail17trampoline_kernelINS0_14default_configENS1_35radix_sort_onesweep_config_selectorIiiEEZNS1_34radix_sort_onesweep_global_offsetsIS3_Lb1EN6thrust23THRUST_200600_302600_NS6detail15normal_iteratorINS8_10device_ptrIiEEEESD_jNS0_19identity_decomposerEEE10hipError_tT1_T2_PT3_SI_jT4_jjP12ihipStream_tbEUlT_E0_NS1_11comp_targetILNS1_3genE2ELNS1_11target_archE906ELNS1_3gpuE6ELNS1_3repE0EEENS1_52radix_sort_onesweep_histogram_config_static_selectorELNS0_4arch9wavefront6targetE1EEEvSG_,"axG",@progbits,_ZN7rocprim17ROCPRIM_400000_NS6detail17trampoline_kernelINS0_14default_configENS1_35radix_sort_onesweep_config_selectorIiiEEZNS1_34radix_sort_onesweep_global_offsetsIS3_Lb1EN6thrust23THRUST_200600_302600_NS6detail15normal_iteratorINS8_10device_ptrIiEEEESD_jNS0_19identity_decomposerEEE10hipError_tT1_T2_PT3_SI_jT4_jjP12ihipStream_tbEUlT_E0_NS1_11comp_targetILNS1_3genE2ELNS1_11target_archE906ELNS1_3gpuE6ELNS1_3repE0EEENS1_52radix_sort_onesweep_histogram_config_static_selectorELNS0_4arch9wavefront6targetE1EEEvSG_,comdat
	.protected	_ZN7rocprim17ROCPRIM_400000_NS6detail17trampoline_kernelINS0_14default_configENS1_35radix_sort_onesweep_config_selectorIiiEEZNS1_34radix_sort_onesweep_global_offsetsIS3_Lb1EN6thrust23THRUST_200600_302600_NS6detail15normal_iteratorINS8_10device_ptrIiEEEESD_jNS0_19identity_decomposerEEE10hipError_tT1_T2_PT3_SI_jT4_jjP12ihipStream_tbEUlT_E0_NS1_11comp_targetILNS1_3genE2ELNS1_11target_archE906ELNS1_3gpuE6ELNS1_3repE0EEENS1_52radix_sort_onesweep_histogram_config_static_selectorELNS0_4arch9wavefront6targetE1EEEvSG_ ; -- Begin function _ZN7rocprim17ROCPRIM_400000_NS6detail17trampoline_kernelINS0_14default_configENS1_35radix_sort_onesweep_config_selectorIiiEEZNS1_34radix_sort_onesweep_global_offsetsIS3_Lb1EN6thrust23THRUST_200600_302600_NS6detail15normal_iteratorINS8_10device_ptrIiEEEESD_jNS0_19identity_decomposerEEE10hipError_tT1_T2_PT3_SI_jT4_jjP12ihipStream_tbEUlT_E0_NS1_11comp_targetILNS1_3genE2ELNS1_11target_archE906ELNS1_3gpuE6ELNS1_3repE0EEENS1_52radix_sort_onesweep_histogram_config_static_selectorELNS0_4arch9wavefront6targetE1EEEvSG_
	.globl	_ZN7rocprim17ROCPRIM_400000_NS6detail17trampoline_kernelINS0_14default_configENS1_35radix_sort_onesweep_config_selectorIiiEEZNS1_34radix_sort_onesweep_global_offsetsIS3_Lb1EN6thrust23THRUST_200600_302600_NS6detail15normal_iteratorINS8_10device_ptrIiEEEESD_jNS0_19identity_decomposerEEE10hipError_tT1_T2_PT3_SI_jT4_jjP12ihipStream_tbEUlT_E0_NS1_11comp_targetILNS1_3genE2ELNS1_11target_archE906ELNS1_3gpuE6ELNS1_3repE0EEENS1_52radix_sort_onesweep_histogram_config_static_selectorELNS0_4arch9wavefront6targetE1EEEvSG_
	.p2align	8
	.type	_ZN7rocprim17ROCPRIM_400000_NS6detail17trampoline_kernelINS0_14default_configENS1_35radix_sort_onesweep_config_selectorIiiEEZNS1_34radix_sort_onesweep_global_offsetsIS3_Lb1EN6thrust23THRUST_200600_302600_NS6detail15normal_iteratorINS8_10device_ptrIiEEEESD_jNS0_19identity_decomposerEEE10hipError_tT1_T2_PT3_SI_jT4_jjP12ihipStream_tbEUlT_E0_NS1_11comp_targetILNS1_3genE2ELNS1_11target_archE906ELNS1_3gpuE6ELNS1_3repE0EEENS1_52radix_sort_onesweep_histogram_config_static_selectorELNS0_4arch9wavefront6targetE1EEEvSG_,@function
_ZN7rocprim17ROCPRIM_400000_NS6detail17trampoline_kernelINS0_14default_configENS1_35radix_sort_onesweep_config_selectorIiiEEZNS1_34radix_sort_onesweep_global_offsetsIS3_Lb1EN6thrust23THRUST_200600_302600_NS6detail15normal_iteratorINS8_10device_ptrIiEEEESD_jNS0_19identity_decomposerEEE10hipError_tT1_T2_PT3_SI_jT4_jjP12ihipStream_tbEUlT_E0_NS1_11comp_targetILNS1_3genE2ELNS1_11target_archE906ELNS1_3gpuE6ELNS1_3repE0EEENS1_52radix_sort_onesweep_histogram_config_static_selectorELNS0_4arch9wavefront6targetE1EEEvSG_: ; @_ZN7rocprim17ROCPRIM_400000_NS6detail17trampoline_kernelINS0_14default_configENS1_35radix_sort_onesweep_config_selectorIiiEEZNS1_34radix_sort_onesweep_global_offsetsIS3_Lb1EN6thrust23THRUST_200600_302600_NS6detail15normal_iteratorINS8_10device_ptrIiEEEESD_jNS0_19identity_decomposerEEE10hipError_tT1_T2_PT3_SI_jT4_jjP12ihipStream_tbEUlT_E0_NS1_11comp_targetILNS1_3genE2ELNS1_11target_archE906ELNS1_3gpuE6ELNS1_3repE0EEENS1_52radix_sort_onesweep_histogram_config_static_selectorELNS0_4arch9wavefront6targetE1EEEvSG_
; %bb.0:
	.section	.rodata,"a",@progbits
	.p2align	6, 0x0
	.amdhsa_kernel _ZN7rocprim17ROCPRIM_400000_NS6detail17trampoline_kernelINS0_14default_configENS1_35radix_sort_onesweep_config_selectorIiiEEZNS1_34radix_sort_onesweep_global_offsetsIS3_Lb1EN6thrust23THRUST_200600_302600_NS6detail15normal_iteratorINS8_10device_ptrIiEEEESD_jNS0_19identity_decomposerEEE10hipError_tT1_T2_PT3_SI_jT4_jjP12ihipStream_tbEUlT_E0_NS1_11comp_targetILNS1_3genE2ELNS1_11target_archE906ELNS1_3gpuE6ELNS1_3repE0EEENS1_52radix_sort_onesweep_histogram_config_static_selectorELNS0_4arch9wavefront6targetE1EEEvSG_
		.amdhsa_group_segment_fixed_size 0
		.amdhsa_private_segment_fixed_size 0
		.amdhsa_kernarg_size 8
		.amdhsa_user_sgpr_count 2
		.amdhsa_user_sgpr_dispatch_ptr 0
		.amdhsa_user_sgpr_queue_ptr 0
		.amdhsa_user_sgpr_kernarg_segment_ptr 1
		.amdhsa_user_sgpr_dispatch_id 0
		.amdhsa_user_sgpr_kernarg_preload_length 0
		.amdhsa_user_sgpr_kernarg_preload_offset 0
		.amdhsa_user_sgpr_private_segment_size 0
		.amdhsa_uses_dynamic_stack 0
		.amdhsa_enable_private_segment 0
		.amdhsa_system_sgpr_workgroup_id_x 1
		.amdhsa_system_sgpr_workgroup_id_y 0
		.amdhsa_system_sgpr_workgroup_id_z 0
		.amdhsa_system_sgpr_workgroup_info 0
		.amdhsa_system_vgpr_workitem_id 0
		.amdhsa_next_free_vgpr 1
		.amdhsa_next_free_sgpr 0
		.amdhsa_accum_offset 4
		.amdhsa_reserve_vcc 0
		.amdhsa_float_round_mode_32 0
		.amdhsa_float_round_mode_16_64 0
		.amdhsa_float_denorm_mode_32 3
		.amdhsa_float_denorm_mode_16_64 3
		.amdhsa_dx10_clamp 1
		.amdhsa_ieee_mode 1
		.amdhsa_fp16_overflow 0
		.amdhsa_tg_split 0
		.amdhsa_exception_fp_ieee_invalid_op 0
		.amdhsa_exception_fp_denorm_src 0
		.amdhsa_exception_fp_ieee_div_zero 0
		.amdhsa_exception_fp_ieee_overflow 0
		.amdhsa_exception_fp_ieee_underflow 0
		.amdhsa_exception_fp_ieee_inexact 0
		.amdhsa_exception_int_div_zero 0
	.end_amdhsa_kernel
	.section	.text._ZN7rocprim17ROCPRIM_400000_NS6detail17trampoline_kernelINS0_14default_configENS1_35radix_sort_onesweep_config_selectorIiiEEZNS1_34radix_sort_onesweep_global_offsetsIS3_Lb1EN6thrust23THRUST_200600_302600_NS6detail15normal_iteratorINS8_10device_ptrIiEEEESD_jNS0_19identity_decomposerEEE10hipError_tT1_T2_PT3_SI_jT4_jjP12ihipStream_tbEUlT_E0_NS1_11comp_targetILNS1_3genE2ELNS1_11target_archE906ELNS1_3gpuE6ELNS1_3repE0EEENS1_52radix_sort_onesweep_histogram_config_static_selectorELNS0_4arch9wavefront6targetE1EEEvSG_,"axG",@progbits,_ZN7rocprim17ROCPRIM_400000_NS6detail17trampoline_kernelINS0_14default_configENS1_35radix_sort_onesweep_config_selectorIiiEEZNS1_34radix_sort_onesweep_global_offsetsIS3_Lb1EN6thrust23THRUST_200600_302600_NS6detail15normal_iteratorINS8_10device_ptrIiEEEESD_jNS0_19identity_decomposerEEE10hipError_tT1_T2_PT3_SI_jT4_jjP12ihipStream_tbEUlT_E0_NS1_11comp_targetILNS1_3genE2ELNS1_11target_archE906ELNS1_3gpuE6ELNS1_3repE0EEENS1_52radix_sort_onesweep_histogram_config_static_selectorELNS0_4arch9wavefront6targetE1EEEvSG_,comdat
.Lfunc_end1831:
	.size	_ZN7rocprim17ROCPRIM_400000_NS6detail17trampoline_kernelINS0_14default_configENS1_35radix_sort_onesweep_config_selectorIiiEEZNS1_34radix_sort_onesweep_global_offsetsIS3_Lb1EN6thrust23THRUST_200600_302600_NS6detail15normal_iteratorINS8_10device_ptrIiEEEESD_jNS0_19identity_decomposerEEE10hipError_tT1_T2_PT3_SI_jT4_jjP12ihipStream_tbEUlT_E0_NS1_11comp_targetILNS1_3genE2ELNS1_11target_archE906ELNS1_3gpuE6ELNS1_3repE0EEENS1_52radix_sort_onesweep_histogram_config_static_selectorELNS0_4arch9wavefront6targetE1EEEvSG_, .Lfunc_end1831-_ZN7rocprim17ROCPRIM_400000_NS6detail17trampoline_kernelINS0_14default_configENS1_35radix_sort_onesweep_config_selectorIiiEEZNS1_34radix_sort_onesweep_global_offsetsIS3_Lb1EN6thrust23THRUST_200600_302600_NS6detail15normal_iteratorINS8_10device_ptrIiEEEESD_jNS0_19identity_decomposerEEE10hipError_tT1_T2_PT3_SI_jT4_jjP12ihipStream_tbEUlT_E0_NS1_11comp_targetILNS1_3genE2ELNS1_11target_archE906ELNS1_3gpuE6ELNS1_3repE0EEENS1_52radix_sort_onesweep_histogram_config_static_selectorELNS0_4arch9wavefront6targetE1EEEvSG_
                                        ; -- End function
	.set _ZN7rocprim17ROCPRIM_400000_NS6detail17trampoline_kernelINS0_14default_configENS1_35radix_sort_onesweep_config_selectorIiiEEZNS1_34radix_sort_onesweep_global_offsetsIS3_Lb1EN6thrust23THRUST_200600_302600_NS6detail15normal_iteratorINS8_10device_ptrIiEEEESD_jNS0_19identity_decomposerEEE10hipError_tT1_T2_PT3_SI_jT4_jjP12ihipStream_tbEUlT_E0_NS1_11comp_targetILNS1_3genE2ELNS1_11target_archE906ELNS1_3gpuE6ELNS1_3repE0EEENS1_52radix_sort_onesweep_histogram_config_static_selectorELNS0_4arch9wavefront6targetE1EEEvSG_.num_vgpr, 0
	.set _ZN7rocprim17ROCPRIM_400000_NS6detail17trampoline_kernelINS0_14default_configENS1_35radix_sort_onesweep_config_selectorIiiEEZNS1_34radix_sort_onesweep_global_offsetsIS3_Lb1EN6thrust23THRUST_200600_302600_NS6detail15normal_iteratorINS8_10device_ptrIiEEEESD_jNS0_19identity_decomposerEEE10hipError_tT1_T2_PT3_SI_jT4_jjP12ihipStream_tbEUlT_E0_NS1_11comp_targetILNS1_3genE2ELNS1_11target_archE906ELNS1_3gpuE6ELNS1_3repE0EEENS1_52radix_sort_onesweep_histogram_config_static_selectorELNS0_4arch9wavefront6targetE1EEEvSG_.num_agpr, 0
	.set _ZN7rocprim17ROCPRIM_400000_NS6detail17trampoline_kernelINS0_14default_configENS1_35radix_sort_onesweep_config_selectorIiiEEZNS1_34radix_sort_onesweep_global_offsetsIS3_Lb1EN6thrust23THRUST_200600_302600_NS6detail15normal_iteratorINS8_10device_ptrIiEEEESD_jNS0_19identity_decomposerEEE10hipError_tT1_T2_PT3_SI_jT4_jjP12ihipStream_tbEUlT_E0_NS1_11comp_targetILNS1_3genE2ELNS1_11target_archE906ELNS1_3gpuE6ELNS1_3repE0EEENS1_52radix_sort_onesweep_histogram_config_static_selectorELNS0_4arch9wavefront6targetE1EEEvSG_.numbered_sgpr, 0
	.set _ZN7rocprim17ROCPRIM_400000_NS6detail17trampoline_kernelINS0_14default_configENS1_35radix_sort_onesweep_config_selectorIiiEEZNS1_34radix_sort_onesweep_global_offsetsIS3_Lb1EN6thrust23THRUST_200600_302600_NS6detail15normal_iteratorINS8_10device_ptrIiEEEESD_jNS0_19identity_decomposerEEE10hipError_tT1_T2_PT3_SI_jT4_jjP12ihipStream_tbEUlT_E0_NS1_11comp_targetILNS1_3genE2ELNS1_11target_archE906ELNS1_3gpuE6ELNS1_3repE0EEENS1_52radix_sort_onesweep_histogram_config_static_selectorELNS0_4arch9wavefront6targetE1EEEvSG_.num_named_barrier, 0
	.set _ZN7rocprim17ROCPRIM_400000_NS6detail17trampoline_kernelINS0_14default_configENS1_35radix_sort_onesweep_config_selectorIiiEEZNS1_34radix_sort_onesweep_global_offsetsIS3_Lb1EN6thrust23THRUST_200600_302600_NS6detail15normal_iteratorINS8_10device_ptrIiEEEESD_jNS0_19identity_decomposerEEE10hipError_tT1_T2_PT3_SI_jT4_jjP12ihipStream_tbEUlT_E0_NS1_11comp_targetILNS1_3genE2ELNS1_11target_archE906ELNS1_3gpuE6ELNS1_3repE0EEENS1_52radix_sort_onesweep_histogram_config_static_selectorELNS0_4arch9wavefront6targetE1EEEvSG_.private_seg_size, 0
	.set _ZN7rocprim17ROCPRIM_400000_NS6detail17trampoline_kernelINS0_14default_configENS1_35radix_sort_onesweep_config_selectorIiiEEZNS1_34radix_sort_onesweep_global_offsetsIS3_Lb1EN6thrust23THRUST_200600_302600_NS6detail15normal_iteratorINS8_10device_ptrIiEEEESD_jNS0_19identity_decomposerEEE10hipError_tT1_T2_PT3_SI_jT4_jjP12ihipStream_tbEUlT_E0_NS1_11comp_targetILNS1_3genE2ELNS1_11target_archE906ELNS1_3gpuE6ELNS1_3repE0EEENS1_52radix_sort_onesweep_histogram_config_static_selectorELNS0_4arch9wavefront6targetE1EEEvSG_.uses_vcc, 0
	.set _ZN7rocprim17ROCPRIM_400000_NS6detail17trampoline_kernelINS0_14default_configENS1_35radix_sort_onesweep_config_selectorIiiEEZNS1_34radix_sort_onesweep_global_offsetsIS3_Lb1EN6thrust23THRUST_200600_302600_NS6detail15normal_iteratorINS8_10device_ptrIiEEEESD_jNS0_19identity_decomposerEEE10hipError_tT1_T2_PT3_SI_jT4_jjP12ihipStream_tbEUlT_E0_NS1_11comp_targetILNS1_3genE2ELNS1_11target_archE906ELNS1_3gpuE6ELNS1_3repE0EEENS1_52radix_sort_onesweep_histogram_config_static_selectorELNS0_4arch9wavefront6targetE1EEEvSG_.uses_flat_scratch, 0
	.set _ZN7rocprim17ROCPRIM_400000_NS6detail17trampoline_kernelINS0_14default_configENS1_35radix_sort_onesweep_config_selectorIiiEEZNS1_34radix_sort_onesweep_global_offsetsIS3_Lb1EN6thrust23THRUST_200600_302600_NS6detail15normal_iteratorINS8_10device_ptrIiEEEESD_jNS0_19identity_decomposerEEE10hipError_tT1_T2_PT3_SI_jT4_jjP12ihipStream_tbEUlT_E0_NS1_11comp_targetILNS1_3genE2ELNS1_11target_archE906ELNS1_3gpuE6ELNS1_3repE0EEENS1_52radix_sort_onesweep_histogram_config_static_selectorELNS0_4arch9wavefront6targetE1EEEvSG_.has_dyn_sized_stack, 0
	.set _ZN7rocprim17ROCPRIM_400000_NS6detail17trampoline_kernelINS0_14default_configENS1_35radix_sort_onesweep_config_selectorIiiEEZNS1_34radix_sort_onesweep_global_offsetsIS3_Lb1EN6thrust23THRUST_200600_302600_NS6detail15normal_iteratorINS8_10device_ptrIiEEEESD_jNS0_19identity_decomposerEEE10hipError_tT1_T2_PT3_SI_jT4_jjP12ihipStream_tbEUlT_E0_NS1_11comp_targetILNS1_3genE2ELNS1_11target_archE906ELNS1_3gpuE6ELNS1_3repE0EEENS1_52radix_sort_onesweep_histogram_config_static_selectorELNS0_4arch9wavefront6targetE1EEEvSG_.has_recursion, 0
	.set _ZN7rocprim17ROCPRIM_400000_NS6detail17trampoline_kernelINS0_14default_configENS1_35radix_sort_onesweep_config_selectorIiiEEZNS1_34radix_sort_onesweep_global_offsetsIS3_Lb1EN6thrust23THRUST_200600_302600_NS6detail15normal_iteratorINS8_10device_ptrIiEEEESD_jNS0_19identity_decomposerEEE10hipError_tT1_T2_PT3_SI_jT4_jjP12ihipStream_tbEUlT_E0_NS1_11comp_targetILNS1_3genE2ELNS1_11target_archE906ELNS1_3gpuE6ELNS1_3repE0EEENS1_52radix_sort_onesweep_histogram_config_static_selectorELNS0_4arch9wavefront6targetE1EEEvSG_.has_indirect_call, 0
	.section	.AMDGPU.csdata,"",@progbits
; Kernel info:
; codeLenInByte = 0
; TotalNumSgprs: 6
; NumVgprs: 0
; NumAgprs: 0
; TotalNumVgprs: 0
; ScratchSize: 0
; MemoryBound: 0
; FloatMode: 240
; IeeeMode: 1
; LDSByteSize: 0 bytes/workgroup (compile time only)
; SGPRBlocks: 0
; VGPRBlocks: 0
; NumSGPRsForWavesPerEU: 6
; NumVGPRsForWavesPerEU: 1
; AccumOffset: 4
; Occupancy: 8
; WaveLimiterHint : 0
; COMPUTE_PGM_RSRC2:SCRATCH_EN: 0
; COMPUTE_PGM_RSRC2:USER_SGPR: 2
; COMPUTE_PGM_RSRC2:TRAP_HANDLER: 0
; COMPUTE_PGM_RSRC2:TGID_X_EN: 1
; COMPUTE_PGM_RSRC2:TGID_Y_EN: 0
; COMPUTE_PGM_RSRC2:TGID_Z_EN: 0
; COMPUTE_PGM_RSRC2:TIDIG_COMP_CNT: 0
; COMPUTE_PGM_RSRC3_GFX90A:ACCUM_OFFSET: 0
; COMPUTE_PGM_RSRC3_GFX90A:TG_SPLIT: 0
	.section	.text._ZN7rocprim17ROCPRIM_400000_NS6detail17trampoline_kernelINS0_14default_configENS1_35radix_sort_onesweep_config_selectorIiiEEZNS1_34radix_sort_onesweep_global_offsetsIS3_Lb1EN6thrust23THRUST_200600_302600_NS6detail15normal_iteratorINS8_10device_ptrIiEEEESD_jNS0_19identity_decomposerEEE10hipError_tT1_T2_PT3_SI_jT4_jjP12ihipStream_tbEUlT_E0_NS1_11comp_targetILNS1_3genE4ELNS1_11target_archE910ELNS1_3gpuE8ELNS1_3repE0EEENS1_52radix_sort_onesweep_histogram_config_static_selectorELNS0_4arch9wavefront6targetE1EEEvSG_,"axG",@progbits,_ZN7rocprim17ROCPRIM_400000_NS6detail17trampoline_kernelINS0_14default_configENS1_35radix_sort_onesweep_config_selectorIiiEEZNS1_34radix_sort_onesweep_global_offsetsIS3_Lb1EN6thrust23THRUST_200600_302600_NS6detail15normal_iteratorINS8_10device_ptrIiEEEESD_jNS0_19identity_decomposerEEE10hipError_tT1_T2_PT3_SI_jT4_jjP12ihipStream_tbEUlT_E0_NS1_11comp_targetILNS1_3genE4ELNS1_11target_archE910ELNS1_3gpuE8ELNS1_3repE0EEENS1_52radix_sort_onesweep_histogram_config_static_selectorELNS0_4arch9wavefront6targetE1EEEvSG_,comdat
	.protected	_ZN7rocprim17ROCPRIM_400000_NS6detail17trampoline_kernelINS0_14default_configENS1_35radix_sort_onesweep_config_selectorIiiEEZNS1_34radix_sort_onesweep_global_offsetsIS3_Lb1EN6thrust23THRUST_200600_302600_NS6detail15normal_iteratorINS8_10device_ptrIiEEEESD_jNS0_19identity_decomposerEEE10hipError_tT1_T2_PT3_SI_jT4_jjP12ihipStream_tbEUlT_E0_NS1_11comp_targetILNS1_3genE4ELNS1_11target_archE910ELNS1_3gpuE8ELNS1_3repE0EEENS1_52radix_sort_onesweep_histogram_config_static_selectorELNS0_4arch9wavefront6targetE1EEEvSG_ ; -- Begin function _ZN7rocprim17ROCPRIM_400000_NS6detail17trampoline_kernelINS0_14default_configENS1_35radix_sort_onesweep_config_selectorIiiEEZNS1_34radix_sort_onesweep_global_offsetsIS3_Lb1EN6thrust23THRUST_200600_302600_NS6detail15normal_iteratorINS8_10device_ptrIiEEEESD_jNS0_19identity_decomposerEEE10hipError_tT1_T2_PT3_SI_jT4_jjP12ihipStream_tbEUlT_E0_NS1_11comp_targetILNS1_3genE4ELNS1_11target_archE910ELNS1_3gpuE8ELNS1_3repE0EEENS1_52radix_sort_onesweep_histogram_config_static_selectorELNS0_4arch9wavefront6targetE1EEEvSG_
	.globl	_ZN7rocprim17ROCPRIM_400000_NS6detail17trampoline_kernelINS0_14default_configENS1_35radix_sort_onesweep_config_selectorIiiEEZNS1_34radix_sort_onesweep_global_offsetsIS3_Lb1EN6thrust23THRUST_200600_302600_NS6detail15normal_iteratorINS8_10device_ptrIiEEEESD_jNS0_19identity_decomposerEEE10hipError_tT1_T2_PT3_SI_jT4_jjP12ihipStream_tbEUlT_E0_NS1_11comp_targetILNS1_3genE4ELNS1_11target_archE910ELNS1_3gpuE8ELNS1_3repE0EEENS1_52radix_sort_onesweep_histogram_config_static_selectorELNS0_4arch9wavefront6targetE1EEEvSG_
	.p2align	8
	.type	_ZN7rocprim17ROCPRIM_400000_NS6detail17trampoline_kernelINS0_14default_configENS1_35radix_sort_onesweep_config_selectorIiiEEZNS1_34radix_sort_onesweep_global_offsetsIS3_Lb1EN6thrust23THRUST_200600_302600_NS6detail15normal_iteratorINS8_10device_ptrIiEEEESD_jNS0_19identity_decomposerEEE10hipError_tT1_T2_PT3_SI_jT4_jjP12ihipStream_tbEUlT_E0_NS1_11comp_targetILNS1_3genE4ELNS1_11target_archE910ELNS1_3gpuE8ELNS1_3repE0EEENS1_52radix_sort_onesweep_histogram_config_static_selectorELNS0_4arch9wavefront6targetE1EEEvSG_,@function
_ZN7rocprim17ROCPRIM_400000_NS6detail17trampoline_kernelINS0_14default_configENS1_35radix_sort_onesweep_config_selectorIiiEEZNS1_34radix_sort_onesweep_global_offsetsIS3_Lb1EN6thrust23THRUST_200600_302600_NS6detail15normal_iteratorINS8_10device_ptrIiEEEESD_jNS0_19identity_decomposerEEE10hipError_tT1_T2_PT3_SI_jT4_jjP12ihipStream_tbEUlT_E0_NS1_11comp_targetILNS1_3genE4ELNS1_11target_archE910ELNS1_3gpuE8ELNS1_3repE0EEENS1_52radix_sort_onesweep_histogram_config_static_selectorELNS0_4arch9wavefront6targetE1EEEvSG_: ; @_ZN7rocprim17ROCPRIM_400000_NS6detail17trampoline_kernelINS0_14default_configENS1_35radix_sort_onesweep_config_selectorIiiEEZNS1_34radix_sort_onesweep_global_offsetsIS3_Lb1EN6thrust23THRUST_200600_302600_NS6detail15normal_iteratorINS8_10device_ptrIiEEEESD_jNS0_19identity_decomposerEEE10hipError_tT1_T2_PT3_SI_jT4_jjP12ihipStream_tbEUlT_E0_NS1_11comp_targetILNS1_3genE4ELNS1_11target_archE910ELNS1_3gpuE8ELNS1_3repE0EEENS1_52radix_sort_onesweep_histogram_config_static_selectorELNS0_4arch9wavefront6targetE1EEEvSG_
; %bb.0:
	.section	.rodata,"a",@progbits
	.p2align	6, 0x0
	.amdhsa_kernel _ZN7rocprim17ROCPRIM_400000_NS6detail17trampoline_kernelINS0_14default_configENS1_35radix_sort_onesweep_config_selectorIiiEEZNS1_34radix_sort_onesweep_global_offsetsIS3_Lb1EN6thrust23THRUST_200600_302600_NS6detail15normal_iteratorINS8_10device_ptrIiEEEESD_jNS0_19identity_decomposerEEE10hipError_tT1_T2_PT3_SI_jT4_jjP12ihipStream_tbEUlT_E0_NS1_11comp_targetILNS1_3genE4ELNS1_11target_archE910ELNS1_3gpuE8ELNS1_3repE0EEENS1_52radix_sort_onesweep_histogram_config_static_selectorELNS0_4arch9wavefront6targetE1EEEvSG_
		.amdhsa_group_segment_fixed_size 0
		.amdhsa_private_segment_fixed_size 0
		.amdhsa_kernarg_size 8
		.amdhsa_user_sgpr_count 2
		.amdhsa_user_sgpr_dispatch_ptr 0
		.amdhsa_user_sgpr_queue_ptr 0
		.amdhsa_user_sgpr_kernarg_segment_ptr 1
		.amdhsa_user_sgpr_dispatch_id 0
		.amdhsa_user_sgpr_kernarg_preload_length 0
		.amdhsa_user_sgpr_kernarg_preload_offset 0
		.amdhsa_user_sgpr_private_segment_size 0
		.amdhsa_uses_dynamic_stack 0
		.amdhsa_enable_private_segment 0
		.amdhsa_system_sgpr_workgroup_id_x 1
		.amdhsa_system_sgpr_workgroup_id_y 0
		.amdhsa_system_sgpr_workgroup_id_z 0
		.amdhsa_system_sgpr_workgroup_info 0
		.amdhsa_system_vgpr_workitem_id 0
		.amdhsa_next_free_vgpr 1
		.amdhsa_next_free_sgpr 0
		.amdhsa_accum_offset 4
		.amdhsa_reserve_vcc 0
		.amdhsa_float_round_mode_32 0
		.amdhsa_float_round_mode_16_64 0
		.amdhsa_float_denorm_mode_32 3
		.amdhsa_float_denorm_mode_16_64 3
		.amdhsa_dx10_clamp 1
		.amdhsa_ieee_mode 1
		.amdhsa_fp16_overflow 0
		.amdhsa_tg_split 0
		.amdhsa_exception_fp_ieee_invalid_op 0
		.amdhsa_exception_fp_denorm_src 0
		.amdhsa_exception_fp_ieee_div_zero 0
		.amdhsa_exception_fp_ieee_overflow 0
		.amdhsa_exception_fp_ieee_underflow 0
		.amdhsa_exception_fp_ieee_inexact 0
		.amdhsa_exception_int_div_zero 0
	.end_amdhsa_kernel
	.section	.text._ZN7rocprim17ROCPRIM_400000_NS6detail17trampoline_kernelINS0_14default_configENS1_35radix_sort_onesweep_config_selectorIiiEEZNS1_34radix_sort_onesweep_global_offsetsIS3_Lb1EN6thrust23THRUST_200600_302600_NS6detail15normal_iteratorINS8_10device_ptrIiEEEESD_jNS0_19identity_decomposerEEE10hipError_tT1_T2_PT3_SI_jT4_jjP12ihipStream_tbEUlT_E0_NS1_11comp_targetILNS1_3genE4ELNS1_11target_archE910ELNS1_3gpuE8ELNS1_3repE0EEENS1_52radix_sort_onesweep_histogram_config_static_selectorELNS0_4arch9wavefront6targetE1EEEvSG_,"axG",@progbits,_ZN7rocprim17ROCPRIM_400000_NS6detail17trampoline_kernelINS0_14default_configENS1_35radix_sort_onesweep_config_selectorIiiEEZNS1_34radix_sort_onesweep_global_offsetsIS3_Lb1EN6thrust23THRUST_200600_302600_NS6detail15normal_iteratorINS8_10device_ptrIiEEEESD_jNS0_19identity_decomposerEEE10hipError_tT1_T2_PT3_SI_jT4_jjP12ihipStream_tbEUlT_E0_NS1_11comp_targetILNS1_3genE4ELNS1_11target_archE910ELNS1_3gpuE8ELNS1_3repE0EEENS1_52radix_sort_onesweep_histogram_config_static_selectorELNS0_4arch9wavefront6targetE1EEEvSG_,comdat
.Lfunc_end1832:
	.size	_ZN7rocprim17ROCPRIM_400000_NS6detail17trampoline_kernelINS0_14default_configENS1_35radix_sort_onesweep_config_selectorIiiEEZNS1_34radix_sort_onesweep_global_offsetsIS3_Lb1EN6thrust23THRUST_200600_302600_NS6detail15normal_iteratorINS8_10device_ptrIiEEEESD_jNS0_19identity_decomposerEEE10hipError_tT1_T2_PT3_SI_jT4_jjP12ihipStream_tbEUlT_E0_NS1_11comp_targetILNS1_3genE4ELNS1_11target_archE910ELNS1_3gpuE8ELNS1_3repE0EEENS1_52radix_sort_onesweep_histogram_config_static_selectorELNS0_4arch9wavefront6targetE1EEEvSG_, .Lfunc_end1832-_ZN7rocprim17ROCPRIM_400000_NS6detail17trampoline_kernelINS0_14default_configENS1_35radix_sort_onesweep_config_selectorIiiEEZNS1_34radix_sort_onesweep_global_offsetsIS3_Lb1EN6thrust23THRUST_200600_302600_NS6detail15normal_iteratorINS8_10device_ptrIiEEEESD_jNS0_19identity_decomposerEEE10hipError_tT1_T2_PT3_SI_jT4_jjP12ihipStream_tbEUlT_E0_NS1_11comp_targetILNS1_3genE4ELNS1_11target_archE910ELNS1_3gpuE8ELNS1_3repE0EEENS1_52radix_sort_onesweep_histogram_config_static_selectorELNS0_4arch9wavefront6targetE1EEEvSG_
                                        ; -- End function
	.set _ZN7rocprim17ROCPRIM_400000_NS6detail17trampoline_kernelINS0_14default_configENS1_35radix_sort_onesweep_config_selectorIiiEEZNS1_34radix_sort_onesweep_global_offsetsIS3_Lb1EN6thrust23THRUST_200600_302600_NS6detail15normal_iteratorINS8_10device_ptrIiEEEESD_jNS0_19identity_decomposerEEE10hipError_tT1_T2_PT3_SI_jT4_jjP12ihipStream_tbEUlT_E0_NS1_11comp_targetILNS1_3genE4ELNS1_11target_archE910ELNS1_3gpuE8ELNS1_3repE0EEENS1_52radix_sort_onesweep_histogram_config_static_selectorELNS0_4arch9wavefront6targetE1EEEvSG_.num_vgpr, 0
	.set _ZN7rocprim17ROCPRIM_400000_NS6detail17trampoline_kernelINS0_14default_configENS1_35radix_sort_onesweep_config_selectorIiiEEZNS1_34radix_sort_onesweep_global_offsetsIS3_Lb1EN6thrust23THRUST_200600_302600_NS6detail15normal_iteratorINS8_10device_ptrIiEEEESD_jNS0_19identity_decomposerEEE10hipError_tT1_T2_PT3_SI_jT4_jjP12ihipStream_tbEUlT_E0_NS1_11comp_targetILNS1_3genE4ELNS1_11target_archE910ELNS1_3gpuE8ELNS1_3repE0EEENS1_52radix_sort_onesweep_histogram_config_static_selectorELNS0_4arch9wavefront6targetE1EEEvSG_.num_agpr, 0
	.set _ZN7rocprim17ROCPRIM_400000_NS6detail17trampoline_kernelINS0_14default_configENS1_35radix_sort_onesweep_config_selectorIiiEEZNS1_34radix_sort_onesweep_global_offsetsIS3_Lb1EN6thrust23THRUST_200600_302600_NS6detail15normal_iteratorINS8_10device_ptrIiEEEESD_jNS0_19identity_decomposerEEE10hipError_tT1_T2_PT3_SI_jT4_jjP12ihipStream_tbEUlT_E0_NS1_11comp_targetILNS1_3genE4ELNS1_11target_archE910ELNS1_3gpuE8ELNS1_3repE0EEENS1_52radix_sort_onesweep_histogram_config_static_selectorELNS0_4arch9wavefront6targetE1EEEvSG_.numbered_sgpr, 0
	.set _ZN7rocprim17ROCPRIM_400000_NS6detail17trampoline_kernelINS0_14default_configENS1_35radix_sort_onesweep_config_selectorIiiEEZNS1_34radix_sort_onesweep_global_offsetsIS3_Lb1EN6thrust23THRUST_200600_302600_NS6detail15normal_iteratorINS8_10device_ptrIiEEEESD_jNS0_19identity_decomposerEEE10hipError_tT1_T2_PT3_SI_jT4_jjP12ihipStream_tbEUlT_E0_NS1_11comp_targetILNS1_3genE4ELNS1_11target_archE910ELNS1_3gpuE8ELNS1_3repE0EEENS1_52radix_sort_onesweep_histogram_config_static_selectorELNS0_4arch9wavefront6targetE1EEEvSG_.num_named_barrier, 0
	.set _ZN7rocprim17ROCPRIM_400000_NS6detail17trampoline_kernelINS0_14default_configENS1_35radix_sort_onesweep_config_selectorIiiEEZNS1_34radix_sort_onesweep_global_offsetsIS3_Lb1EN6thrust23THRUST_200600_302600_NS6detail15normal_iteratorINS8_10device_ptrIiEEEESD_jNS0_19identity_decomposerEEE10hipError_tT1_T2_PT3_SI_jT4_jjP12ihipStream_tbEUlT_E0_NS1_11comp_targetILNS1_3genE4ELNS1_11target_archE910ELNS1_3gpuE8ELNS1_3repE0EEENS1_52radix_sort_onesweep_histogram_config_static_selectorELNS0_4arch9wavefront6targetE1EEEvSG_.private_seg_size, 0
	.set _ZN7rocprim17ROCPRIM_400000_NS6detail17trampoline_kernelINS0_14default_configENS1_35radix_sort_onesweep_config_selectorIiiEEZNS1_34radix_sort_onesweep_global_offsetsIS3_Lb1EN6thrust23THRUST_200600_302600_NS6detail15normal_iteratorINS8_10device_ptrIiEEEESD_jNS0_19identity_decomposerEEE10hipError_tT1_T2_PT3_SI_jT4_jjP12ihipStream_tbEUlT_E0_NS1_11comp_targetILNS1_3genE4ELNS1_11target_archE910ELNS1_3gpuE8ELNS1_3repE0EEENS1_52radix_sort_onesweep_histogram_config_static_selectorELNS0_4arch9wavefront6targetE1EEEvSG_.uses_vcc, 0
	.set _ZN7rocprim17ROCPRIM_400000_NS6detail17trampoline_kernelINS0_14default_configENS1_35radix_sort_onesweep_config_selectorIiiEEZNS1_34radix_sort_onesweep_global_offsetsIS3_Lb1EN6thrust23THRUST_200600_302600_NS6detail15normal_iteratorINS8_10device_ptrIiEEEESD_jNS0_19identity_decomposerEEE10hipError_tT1_T2_PT3_SI_jT4_jjP12ihipStream_tbEUlT_E0_NS1_11comp_targetILNS1_3genE4ELNS1_11target_archE910ELNS1_3gpuE8ELNS1_3repE0EEENS1_52radix_sort_onesweep_histogram_config_static_selectorELNS0_4arch9wavefront6targetE1EEEvSG_.uses_flat_scratch, 0
	.set _ZN7rocprim17ROCPRIM_400000_NS6detail17trampoline_kernelINS0_14default_configENS1_35radix_sort_onesweep_config_selectorIiiEEZNS1_34radix_sort_onesweep_global_offsetsIS3_Lb1EN6thrust23THRUST_200600_302600_NS6detail15normal_iteratorINS8_10device_ptrIiEEEESD_jNS0_19identity_decomposerEEE10hipError_tT1_T2_PT3_SI_jT4_jjP12ihipStream_tbEUlT_E0_NS1_11comp_targetILNS1_3genE4ELNS1_11target_archE910ELNS1_3gpuE8ELNS1_3repE0EEENS1_52radix_sort_onesweep_histogram_config_static_selectorELNS0_4arch9wavefront6targetE1EEEvSG_.has_dyn_sized_stack, 0
	.set _ZN7rocprim17ROCPRIM_400000_NS6detail17trampoline_kernelINS0_14default_configENS1_35radix_sort_onesweep_config_selectorIiiEEZNS1_34radix_sort_onesweep_global_offsetsIS3_Lb1EN6thrust23THRUST_200600_302600_NS6detail15normal_iteratorINS8_10device_ptrIiEEEESD_jNS0_19identity_decomposerEEE10hipError_tT1_T2_PT3_SI_jT4_jjP12ihipStream_tbEUlT_E0_NS1_11comp_targetILNS1_3genE4ELNS1_11target_archE910ELNS1_3gpuE8ELNS1_3repE0EEENS1_52radix_sort_onesweep_histogram_config_static_selectorELNS0_4arch9wavefront6targetE1EEEvSG_.has_recursion, 0
	.set _ZN7rocprim17ROCPRIM_400000_NS6detail17trampoline_kernelINS0_14default_configENS1_35radix_sort_onesweep_config_selectorIiiEEZNS1_34radix_sort_onesweep_global_offsetsIS3_Lb1EN6thrust23THRUST_200600_302600_NS6detail15normal_iteratorINS8_10device_ptrIiEEEESD_jNS0_19identity_decomposerEEE10hipError_tT1_T2_PT3_SI_jT4_jjP12ihipStream_tbEUlT_E0_NS1_11comp_targetILNS1_3genE4ELNS1_11target_archE910ELNS1_3gpuE8ELNS1_3repE0EEENS1_52radix_sort_onesweep_histogram_config_static_selectorELNS0_4arch9wavefront6targetE1EEEvSG_.has_indirect_call, 0
	.section	.AMDGPU.csdata,"",@progbits
; Kernel info:
; codeLenInByte = 0
; TotalNumSgprs: 6
; NumVgprs: 0
; NumAgprs: 0
; TotalNumVgprs: 0
; ScratchSize: 0
; MemoryBound: 0
; FloatMode: 240
; IeeeMode: 1
; LDSByteSize: 0 bytes/workgroup (compile time only)
; SGPRBlocks: 0
; VGPRBlocks: 0
; NumSGPRsForWavesPerEU: 6
; NumVGPRsForWavesPerEU: 1
; AccumOffset: 4
; Occupancy: 8
; WaveLimiterHint : 0
; COMPUTE_PGM_RSRC2:SCRATCH_EN: 0
; COMPUTE_PGM_RSRC2:USER_SGPR: 2
; COMPUTE_PGM_RSRC2:TRAP_HANDLER: 0
; COMPUTE_PGM_RSRC2:TGID_X_EN: 1
; COMPUTE_PGM_RSRC2:TGID_Y_EN: 0
; COMPUTE_PGM_RSRC2:TGID_Z_EN: 0
; COMPUTE_PGM_RSRC2:TIDIG_COMP_CNT: 0
; COMPUTE_PGM_RSRC3_GFX90A:ACCUM_OFFSET: 0
; COMPUTE_PGM_RSRC3_GFX90A:TG_SPLIT: 0
	.section	.text._ZN7rocprim17ROCPRIM_400000_NS6detail17trampoline_kernelINS0_14default_configENS1_35radix_sort_onesweep_config_selectorIiiEEZNS1_34radix_sort_onesweep_global_offsetsIS3_Lb1EN6thrust23THRUST_200600_302600_NS6detail15normal_iteratorINS8_10device_ptrIiEEEESD_jNS0_19identity_decomposerEEE10hipError_tT1_T2_PT3_SI_jT4_jjP12ihipStream_tbEUlT_E0_NS1_11comp_targetILNS1_3genE3ELNS1_11target_archE908ELNS1_3gpuE7ELNS1_3repE0EEENS1_52radix_sort_onesweep_histogram_config_static_selectorELNS0_4arch9wavefront6targetE1EEEvSG_,"axG",@progbits,_ZN7rocprim17ROCPRIM_400000_NS6detail17trampoline_kernelINS0_14default_configENS1_35radix_sort_onesweep_config_selectorIiiEEZNS1_34radix_sort_onesweep_global_offsetsIS3_Lb1EN6thrust23THRUST_200600_302600_NS6detail15normal_iteratorINS8_10device_ptrIiEEEESD_jNS0_19identity_decomposerEEE10hipError_tT1_T2_PT3_SI_jT4_jjP12ihipStream_tbEUlT_E0_NS1_11comp_targetILNS1_3genE3ELNS1_11target_archE908ELNS1_3gpuE7ELNS1_3repE0EEENS1_52radix_sort_onesweep_histogram_config_static_selectorELNS0_4arch9wavefront6targetE1EEEvSG_,comdat
	.protected	_ZN7rocprim17ROCPRIM_400000_NS6detail17trampoline_kernelINS0_14default_configENS1_35radix_sort_onesweep_config_selectorIiiEEZNS1_34radix_sort_onesweep_global_offsetsIS3_Lb1EN6thrust23THRUST_200600_302600_NS6detail15normal_iteratorINS8_10device_ptrIiEEEESD_jNS0_19identity_decomposerEEE10hipError_tT1_T2_PT3_SI_jT4_jjP12ihipStream_tbEUlT_E0_NS1_11comp_targetILNS1_3genE3ELNS1_11target_archE908ELNS1_3gpuE7ELNS1_3repE0EEENS1_52radix_sort_onesweep_histogram_config_static_selectorELNS0_4arch9wavefront6targetE1EEEvSG_ ; -- Begin function _ZN7rocprim17ROCPRIM_400000_NS6detail17trampoline_kernelINS0_14default_configENS1_35radix_sort_onesweep_config_selectorIiiEEZNS1_34radix_sort_onesweep_global_offsetsIS3_Lb1EN6thrust23THRUST_200600_302600_NS6detail15normal_iteratorINS8_10device_ptrIiEEEESD_jNS0_19identity_decomposerEEE10hipError_tT1_T2_PT3_SI_jT4_jjP12ihipStream_tbEUlT_E0_NS1_11comp_targetILNS1_3genE3ELNS1_11target_archE908ELNS1_3gpuE7ELNS1_3repE0EEENS1_52radix_sort_onesweep_histogram_config_static_selectorELNS0_4arch9wavefront6targetE1EEEvSG_
	.globl	_ZN7rocprim17ROCPRIM_400000_NS6detail17trampoline_kernelINS0_14default_configENS1_35radix_sort_onesweep_config_selectorIiiEEZNS1_34radix_sort_onesweep_global_offsetsIS3_Lb1EN6thrust23THRUST_200600_302600_NS6detail15normal_iteratorINS8_10device_ptrIiEEEESD_jNS0_19identity_decomposerEEE10hipError_tT1_T2_PT3_SI_jT4_jjP12ihipStream_tbEUlT_E0_NS1_11comp_targetILNS1_3genE3ELNS1_11target_archE908ELNS1_3gpuE7ELNS1_3repE0EEENS1_52radix_sort_onesweep_histogram_config_static_selectorELNS0_4arch9wavefront6targetE1EEEvSG_
	.p2align	8
	.type	_ZN7rocprim17ROCPRIM_400000_NS6detail17trampoline_kernelINS0_14default_configENS1_35radix_sort_onesweep_config_selectorIiiEEZNS1_34radix_sort_onesweep_global_offsetsIS3_Lb1EN6thrust23THRUST_200600_302600_NS6detail15normal_iteratorINS8_10device_ptrIiEEEESD_jNS0_19identity_decomposerEEE10hipError_tT1_T2_PT3_SI_jT4_jjP12ihipStream_tbEUlT_E0_NS1_11comp_targetILNS1_3genE3ELNS1_11target_archE908ELNS1_3gpuE7ELNS1_3repE0EEENS1_52radix_sort_onesweep_histogram_config_static_selectorELNS0_4arch9wavefront6targetE1EEEvSG_,@function
_ZN7rocprim17ROCPRIM_400000_NS6detail17trampoline_kernelINS0_14default_configENS1_35radix_sort_onesweep_config_selectorIiiEEZNS1_34radix_sort_onesweep_global_offsetsIS3_Lb1EN6thrust23THRUST_200600_302600_NS6detail15normal_iteratorINS8_10device_ptrIiEEEESD_jNS0_19identity_decomposerEEE10hipError_tT1_T2_PT3_SI_jT4_jjP12ihipStream_tbEUlT_E0_NS1_11comp_targetILNS1_3genE3ELNS1_11target_archE908ELNS1_3gpuE7ELNS1_3repE0EEENS1_52radix_sort_onesweep_histogram_config_static_selectorELNS0_4arch9wavefront6targetE1EEEvSG_: ; @_ZN7rocprim17ROCPRIM_400000_NS6detail17trampoline_kernelINS0_14default_configENS1_35radix_sort_onesweep_config_selectorIiiEEZNS1_34radix_sort_onesweep_global_offsetsIS3_Lb1EN6thrust23THRUST_200600_302600_NS6detail15normal_iteratorINS8_10device_ptrIiEEEESD_jNS0_19identity_decomposerEEE10hipError_tT1_T2_PT3_SI_jT4_jjP12ihipStream_tbEUlT_E0_NS1_11comp_targetILNS1_3genE3ELNS1_11target_archE908ELNS1_3gpuE7ELNS1_3repE0EEENS1_52radix_sort_onesweep_histogram_config_static_selectorELNS0_4arch9wavefront6targetE1EEEvSG_
; %bb.0:
	.section	.rodata,"a",@progbits
	.p2align	6, 0x0
	.amdhsa_kernel _ZN7rocprim17ROCPRIM_400000_NS6detail17trampoline_kernelINS0_14default_configENS1_35radix_sort_onesweep_config_selectorIiiEEZNS1_34radix_sort_onesweep_global_offsetsIS3_Lb1EN6thrust23THRUST_200600_302600_NS6detail15normal_iteratorINS8_10device_ptrIiEEEESD_jNS0_19identity_decomposerEEE10hipError_tT1_T2_PT3_SI_jT4_jjP12ihipStream_tbEUlT_E0_NS1_11comp_targetILNS1_3genE3ELNS1_11target_archE908ELNS1_3gpuE7ELNS1_3repE0EEENS1_52radix_sort_onesweep_histogram_config_static_selectorELNS0_4arch9wavefront6targetE1EEEvSG_
		.amdhsa_group_segment_fixed_size 0
		.amdhsa_private_segment_fixed_size 0
		.amdhsa_kernarg_size 8
		.amdhsa_user_sgpr_count 2
		.amdhsa_user_sgpr_dispatch_ptr 0
		.amdhsa_user_sgpr_queue_ptr 0
		.amdhsa_user_sgpr_kernarg_segment_ptr 1
		.amdhsa_user_sgpr_dispatch_id 0
		.amdhsa_user_sgpr_kernarg_preload_length 0
		.amdhsa_user_sgpr_kernarg_preload_offset 0
		.amdhsa_user_sgpr_private_segment_size 0
		.amdhsa_uses_dynamic_stack 0
		.amdhsa_enable_private_segment 0
		.amdhsa_system_sgpr_workgroup_id_x 1
		.amdhsa_system_sgpr_workgroup_id_y 0
		.amdhsa_system_sgpr_workgroup_id_z 0
		.amdhsa_system_sgpr_workgroup_info 0
		.amdhsa_system_vgpr_workitem_id 0
		.amdhsa_next_free_vgpr 1
		.amdhsa_next_free_sgpr 0
		.amdhsa_accum_offset 4
		.amdhsa_reserve_vcc 0
		.amdhsa_float_round_mode_32 0
		.amdhsa_float_round_mode_16_64 0
		.amdhsa_float_denorm_mode_32 3
		.amdhsa_float_denorm_mode_16_64 3
		.amdhsa_dx10_clamp 1
		.amdhsa_ieee_mode 1
		.amdhsa_fp16_overflow 0
		.amdhsa_tg_split 0
		.amdhsa_exception_fp_ieee_invalid_op 0
		.amdhsa_exception_fp_denorm_src 0
		.amdhsa_exception_fp_ieee_div_zero 0
		.amdhsa_exception_fp_ieee_overflow 0
		.amdhsa_exception_fp_ieee_underflow 0
		.amdhsa_exception_fp_ieee_inexact 0
		.amdhsa_exception_int_div_zero 0
	.end_amdhsa_kernel
	.section	.text._ZN7rocprim17ROCPRIM_400000_NS6detail17trampoline_kernelINS0_14default_configENS1_35radix_sort_onesweep_config_selectorIiiEEZNS1_34radix_sort_onesweep_global_offsetsIS3_Lb1EN6thrust23THRUST_200600_302600_NS6detail15normal_iteratorINS8_10device_ptrIiEEEESD_jNS0_19identity_decomposerEEE10hipError_tT1_T2_PT3_SI_jT4_jjP12ihipStream_tbEUlT_E0_NS1_11comp_targetILNS1_3genE3ELNS1_11target_archE908ELNS1_3gpuE7ELNS1_3repE0EEENS1_52radix_sort_onesweep_histogram_config_static_selectorELNS0_4arch9wavefront6targetE1EEEvSG_,"axG",@progbits,_ZN7rocprim17ROCPRIM_400000_NS6detail17trampoline_kernelINS0_14default_configENS1_35radix_sort_onesweep_config_selectorIiiEEZNS1_34radix_sort_onesweep_global_offsetsIS3_Lb1EN6thrust23THRUST_200600_302600_NS6detail15normal_iteratorINS8_10device_ptrIiEEEESD_jNS0_19identity_decomposerEEE10hipError_tT1_T2_PT3_SI_jT4_jjP12ihipStream_tbEUlT_E0_NS1_11comp_targetILNS1_3genE3ELNS1_11target_archE908ELNS1_3gpuE7ELNS1_3repE0EEENS1_52radix_sort_onesweep_histogram_config_static_selectorELNS0_4arch9wavefront6targetE1EEEvSG_,comdat
.Lfunc_end1833:
	.size	_ZN7rocprim17ROCPRIM_400000_NS6detail17trampoline_kernelINS0_14default_configENS1_35radix_sort_onesweep_config_selectorIiiEEZNS1_34radix_sort_onesweep_global_offsetsIS3_Lb1EN6thrust23THRUST_200600_302600_NS6detail15normal_iteratorINS8_10device_ptrIiEEEESD_jNS0_19identity_decomposerEEE10hipError_tT1_T2_PT3_SI_jT4_jjP12ihipStream_tbEUlT_E0_NS1_11comp_targetILNS1_3genE3ELNS1_11target_archE908ELNS1_3gpuE7ELNS1_3repE0EEENS1_52radix_sort_onesweep_histogram_config_static_selectorELNS0_4arch9wavefront6targetE1EEEvSG_, .Lfunc_end1833-_ZN7rocprim17ROCPRIM_400000_NS6detail17trampoline_kernelINS0_14default_configENS1_35radix_sort_onesweep_config_selectorIiiEEZNS1_34radix_sort_onesweep_global_offsetsIS3_Lb1EN6thrust23THRUST_200600_302600_NS6detail15normal_iteratorINS8_10device_ptrIiEEEESD_jNS0_19identity_decomposerEEE10hipError_tT1_T2_PT3_SI_jT4_jjP12ihipStream_tbEUlT_E0_NS1_11comp_targetILNS1_3genE3ELNS1_11target_archE908ELNS1_3gpuE7ELNS1_3repE0EEENS1_52radix_sort_onesweep_histogram_config_static_selectorELNS0_4arch9wavefront6targetE1EEEvSG_
                                        ; -- End function
	.set _ZN7rocprim17ROCPRIM_400000_NS6detail17trampoline_kernelINS0_14default_configENS1_35radix_sort_onesweep_config_selectorIiiEEZNS1_34radix_sort_onesweep_global_offsetsIS3_Lb1EN6thrust23THRUST_200600_302600_NS6detail15normal_iteratorINS8_10device_ptrIiEEEESD_jNS0_19identity_decomposerEEE10hipError_tT1_T2_PT3_SI_jT4_jjP12ihipStream_tbEUlT_E0_NS1_11comp_targetILNS1_3genE3ELNS1_11target_archE908ELNS1_3gpuE7ELNS1_3repE0EEENS1_52radix_sort_onesweep_histogram_config_static_selectorELNS0_4arch9wavefront6targetE1EEEvSG_.num_vgpr, 0
	.set _ZN7rocprim17ROCPRIM_400000_NS6detail17trampoline_kernelINS0_14default_configENS1_35radix_sort_onesweep_config_selectorIiiEEZNS1_34radix_sort_onesweep_global_offsetsIS3_Lb1EN6thrust23THRUST_200600_302600_NS6detail15normal_iteratorINS8_10device_ptrIiEEEESD_jNS0_19identity_decomposerEEE10hipError_tT1_T2_PT3_SI_jT4_jjP12ihipStream_tbEUlT_E0_NS1_11comp_targetILNS1_3genE3ELNS1_11target_archE908ELNS1_3gpuE7ELNS1_3repE0EEENS1_52radix_sort_onesweep_histogram_config_static_selectorELNS0_4arch9wavefront6targetE1EEEvSG_.num_agpr, 0
	.set _ZN7rocprim17ROCPRIM_400000_NS6detail17trampoline_kernelINS0_14default_configENS1_35radix_sort_onesweep_config_selectorIiiEEZNS1_34radix_sort_onesweep_global_offsetsIS3_Lb1EN6thrust23THRUST_200600_302600_NS6detail15normal_iteratorINS8_10device_ptrIiEEEESD_jNS0_19identity_decomposerEEE10hipError_tT1_T2_PT3_SI_jT4_jjP12ihipStream_tbEUlT_E0_NS1_11comp_targetILNS1_3genE3ELNS1_11target_archE908ELNS1_3gpuE7ELNS1_3repE0EEENS1_52radix_sort_onesweep_histogram_config_static_selectorELNS0_4arch9wavefront6targetE1EEEvSG_.numbered_sgpr, 0
	.set _ZN7rocprim17ROCPRIM_400000_NS6detail17trampoline_kernelINS0_14default_configENS1_35radix_sort_onesweep_config_selectorIiiEEZNS1_34radix_sort_onesweep_global_offsetsIS3_Lb1EN6thrust23THRUST_200600_302600_NS6detail15normal_iteratorINS8_10device_ptrIiEEEESD_jNS0_19identity_decomposerEEE10hipError_tT1_T2_PT3_SI_jT4_jjP12ihipStream_tbEUlT_E0_NS1_11comp_targetILNS1_3genE3ELNS1_11target_archE908ELNS1_3gpuE7ELNS1_3repE0EEENS1_52radix_sort_onesweep_histogram_config_static_selectorELNS0_4arch9wavefront6targetE1EEEvSG_.num_named_barrier, 0
	.set _ZN7rocprim17ROCPRIM_400000_NS6detail17trampoline_kernelINS0_14default_configENS1_35radix_sort_onesweep_config_selectorIiiEEZNS1_34radix_sort_onesweep_global_offsetsIS3_Lb1EN6thrust23THRUST_200600_302600_NS6detail15normal_iteratorINS8_10device_ptrIiEEEESD_jNS0_19identity_decomposerEEE10hipError_tT1_T2_PT3_SI_jT4_jjP12ihipStream_tbEUlT_E0_NS1_11comp_targetILNS1_3genE3ELNS1_11target_archE908ELNS1_3gpuE7ELNS1_3repE0EEENS1_52radix_sort_onesweep_histogram_config_static_selectorELNS0_4arch9wavefront6targetE1EEEvSG_.private_seg_size, 0
	.set _ZN7rocprim17ROCPRIM_400000_NS6detail17trampoline_kernelINS0_14default_configENS1_35radix_sort_onesweep_config_selectorIiiEEZNS1_34radix_sort_onesweep_global_offsetsIS3_Lb1EN6thrust23THRUST_200600_302600_NS6detail15normal_iteratorINS8_10device_ptrIiEEEESD_jNS0_19identity_decomposerEEE10hipError_tT1_T2_PT3_SI_jT4_jjP12ihipStream_tbEUlT_E0_NS1_11comp_targetILNS1_3genE3ELNS1_11target_archE908ELNS1_3gpuE7ELNS1_3repE0EEENS1_52radix_sort_onesweep_histogram_config_static_selectorELNS0_4arch9wavefront6targetE1EEEvSG_.uses_vcc, 0
	.set _ZN7rocprim17ROCPRIM_400000_NS6detail17trampoline_kernelINS0_14default_configENS1_35radix_sort_onesweep_config_selectorIiiEEZNS1_34radix_sort_onesweep_global_offsetsIS3_Lb1EN6thrust23THRUST_200600_302600_NS6detail15normal_iteratorINS8_10device_ptrIiEEEESD_jNS0_19identity_decomposerEEE10hipError_tT1_T2_PT3_SI_jT4_jjP12ihipStream_tbEUlT_E0_NS1_11comp_targetILNS1_3genE3ELNS1_11target_archE908ELNS1_3gpuE7ELNS1_3repE0EEENS1_52radix_sort_onesweep_histogram_config_static_selectorELNS0_4arch9wavefront6targetE1EEEvSG_.uses_flat_scratch, 0
	.set _ZN7rocprim17ROCPRIM_400000_NS6detail17trampoline_kernelINS0_14default_configENS1_35radix_sort_onesweep_config_selectorIiiEEZNS1_34radix_sort_onesweep_global_offsetsIS3_Lb1EN6thrust23THRUST_200600_302600_NS6detail15normal_iteratorINS8_10device_ptrIiEEEESD_jNS0_19identity_decomposerEEE10hipError_tT1_T2_PT3_SI_jT4_jjP12ihipStream_tbEUlT_E0_NS1_11comp_targetILNS1_3genE3ELNS1_11target_archE908ELNS1_3gpuE7ELNS1_3repE0EEENS1_52radix_sort_onesweep_histogram_config_static_selectorELNS0_4arch9wavefront6targetE1EEEvSG_.has_dyn_sized_stack, 0
	.set _ZN7rocprim17ROCPRIM_400000_NS6detail17trampoline_kernelINS0_14default_configENS1_35radix_sort_onesweep_config_selectorIiiEEZNS1_34radix_sort_onesweep_global_offsetsIS3_Lb1EN6thrust23THRUST_200600_302600_NS6detail15normal_iteratorINS8_10device_ptrIiEEEESD_jNS0_19identity_decomposerEEE10hipError_tT1_T2_PT3_SI_jT4_jjP12ihipStream_tbEUlT_E0_NS1_11comp_targetILNS1_3genE3ELNS1_11target_archE908ELNS1_3gpuE7ELNS1_3repE0EEENS1_52radix_sort_onesweep_histogram_config_static_selectorELNS0_4arch9wavefront6targetE1EEEvSG_.has_recursion, 0
	.set _ZN7rocprim17ROCPRIM_400000_NS6detail17trampoline_kernelINS0_14default_configENS1_35radix_sort_onesweep_config_selectorIiiEEZNS1_34radix_sort_onesweep_global_offsetsIS3_Lb1EN6thrust23THRUST_200600_302600_NS6detail15normal_iteratorINS8_10device_ptrIiEEEESD_jNS0_19identity_decomposerEEE10hipError_tT1_T2_PT3_SI_jT4_jjP12ihipStream_tbEUlT_E0_NS1_11comp_targetILNS1_3genE3ELNS1_11target_archE908ELNS1_3gpuE7ELNS1_3repE0EEENS1_52radix_sort_onesweep_histogram_config_static_selectorELNS0_4arch9wavefront6targetE1EEEvSG_.has_indirect_call, 0
	.section	.AMDGPU.csdata,"",@progbits
; Kernel info:
; codeLenInByte = 0
; TotalNumSgprs: 6
; NumVgprs: 0
; NumAgprs: 0
; TotalNumVgprs: 0
; ScratchSize: 0
; MemoryBound: 0
; FloatMode: 240
; IeeeMode: 1
; LDSByteSize: 0 bytes/workgroup (compile time only)
; SGPRBlocks: 0
; VGPRBlocks: 0
; NumSGPRsForWavesPerEU: 6
; NumVGPRsForWavesPerEU: 1
; AccumOffset: 4
; Occupancy: 8
; WaveLimiterHint : 0
; COMPUTE_PGM_RSRC2:SCRATCH_EN: 0
; COMPUTE_PGM_RSRC2:USER_SGPR: 2
; COMPUTE_PGM_RSRC2:TRAP_HANDLER: 0
; COMPUTE_PGM_RSRC2:TGID_X_EN: 1
; COMPUTE_PGM_RSRC2:TGID_Y_EN: 0
; COMPUTE_PGM_RSRC2:TGID_Z_EN: 0
; COMPUTE_PGM_RSRC2:TIDIG_COMP_CNT: 0
; COMPUTE_PGM_RSRC3_GFX90A:ACCUM_OFFSET: 0
; COMPUTE_PGM_RSRC3_GFX90A:TG_SPLIT: 0
	.section	.text._ZN7rocprim17ROCPRIM_400000_NS6detail17trampoline_kernelINS0_14default_configENS1_35radix_sort_onesweep_config_selectorIiiEEZNS1_34radix_sort_onesweep_global_offsetsIS3_Lb1EN6thrust23THRUST_200600_302600_NS6detail15normal_iteratorINS8_10device_ptrIiEEEESD_jNS0_19identity_decomposerEEE10hipError_tT1_T2_PT3_SI_jT4_jjP12ihipStream_tbEUlT_E0_NS1_11comp_targetILNS1_3genE10ELNS1_11target_archE1201ELNS1_3gpuE5ELNS1_3repE0EEENS1_52radix_sort_onesweep_histogram_config_static_selectorELNS0_4arch9wavefront6targetE1EEEvSG_,"axG",@progbits,_ZN7rocprim17ROCPRIM_400000_NS6detail17trampoline_kernelINS0_14default_configENS1_35radix_sort_onesweep_config_selectorIiiEEZNS1_34radix_sort_onesweep_global_offsetsIS3_Lb1EN6thrust23THRUST_200600_302600_NS6detail15normal_iteratorINS8_10device_ptrIiEEEESD_jNS0_19identity_decomposerEEE10hipError_tT1_T2_PT3_SI_jT4_jjP12ihipStream_tbEUlT_E0_NS1_11comp_targetILNS1_3genE10ELNS1_11target_archE1201ELNS1_3gpuE5ELNS1_3repE0EEENS1_52radix_sort_onesweep_histogram_config_static_selectorELNS0_4arch9wavefront6targetE1EEEvSG_,comdat
	.protected	_ZN7rocprim17ROCPRIM_400000_NS6detail17trampoline_kernelINS0_14default_configENS1_35radix_sort_onesweep_config_selectorIiiEEZNS1_34radix_sort_onesweep_global_offsetsIS3_Lb1EN6thrust23THRUST_200600_302600_NS6detail15normal_iteratorINS8_10device_ptrIiEEEESD_jNS0_19identity_decomposerEEE10hipError_tT1_T2_PT3_SI_jT4_jjP12ihipStream_tbEUlT_E0_NS1_11comp_targetILNS1_3genE10ELNS1_11target_archE1201ELNS1_3gpuE5ELNS1_3repE0EEENS1_52radix_sort_onesweep_histogram_config_static_selectorELNS0_4arch9wavefront6targetE1EEEvSG_ ; -- Begin function _ZN7rocprim17ROCPRIM_400000_NS6detail17trampoline_kernelINS0_14default_configENS1_35radix_sort_onesweep_config_selectorIiiEEZNS1_34radix_sort_onesweep_global_offsetsIS3_Lb1EN6thrust23THRUST_200600_302600_NS6detail15normal_iteratorINS8_10device_ptrIiEEEESD_jNS0_19identity_decomposerEEE10hipError_tT1_T2_PT3_SI_jT4_jjP12ihipStream_tbEUlT_E0_NS1_11comp_targetILNS1_3genE10ELNS1_11target_archE1201ELNS1_3gpuE5ELNS1_3repE0EEENS1_52radix_sort_onesweep_histogram_config_static_selectorELNS0_4arch9wavefront6targetE1EEEvSG_
	.globl	_ZN7rocprim17ROCPRIM_400000_NS6detail17trampoline_kernelINS0_14default_configENS1_35radix_sort_onesweep_config_selectorIiiEEZNS1_34radix_sort_onesweep_global_offsetsIS3_Lb1EN6thrust23THRUST_200600_302600_NS6detail15normal_iteratorINS8_10device_ptrIiEEEESD_jNS0_19identity_decomposerEEE10hipError_tT1_T2_PT3_SI_jT4_jjP12ihipStream_tbEUlT_E0_NS1_11comp_targetILNS1_3genE10ELNS1_11target_archE1201ELNS1_3gpuE5ELNS1_3repE0EEENS1_52radix_sort_onesweep_histogram_config_static_selectorELNS0_4arch9wavefront6targetE1EEEvSG_
	.p2align	8
	.type	_ZN7rocprim17ROCPRIM_400000_NS6detail17trampoline_kernelINS0_14default_configENS1_35radix_sort_onesweep_config_selectorIiiEEZNS1_34radix_sort_onesweep_global_offsetsIS3_Lb1EN6thrust23THRUST_200600_302600_NS6detail15normal_iteratorINS8_10device_ptrIiEEEESD_jNS0_19identity_decomposerEEE10hipError_tT1_T2_PT3_SI_jT4_jjP12ihipStream_tbEUlT_E0_NS1_11comp_targetILNS1_3genE10ELNS1_11target_archE1201ELNS1_3gpuE5ELNS1_3repE0EEENS1_52radix_sort_onesweep_histogram_config_static_selectorELNS0_4arch9wavefront6targetE1EEEvSG_,@function
_ZN7rocprim17ROCPRIM_400000_NS6detail17trampoline_kernelINS0_14default_configENS1_35radix_sort_onesweep_config_selectorIiiEEZNS1_34radix_sort_onesweep_global_offsetsIS3_Lb1EN6thrust23THRUST_200600_302600_NS6detail15normal_iteratorINS8_10device_ptrIiEEEESD_jNS0_19identity_decomposerEEE10hipError_tT1_T2_PT3_SI_jT4_jjP12ihipStream_tbEUlT_E0_NS1_11comp_targetILNS1_3genE10ELNS1_11target_archE1201ELNS1_3gpuE5ELNS1_3repE0EEENS1_52radix_sort_onesweep_histogram_config_static_selectorELNS0_4arch9wavefront6targetE1EEEvSG_: ; @_ZN7rocprim17ROCPRIM_400000_NS6detail17trampoline_kernelINS0_14default_configENS1_35radix_sort_onesweep_config_selectorIiiEEZNS1_34radix_sort_onesweep_global_offsetsIS3_Lb1EN6thrust23THRUST_200600_302600_NS6detail15normal_iteratorINS8_10device_ptrIiEEEESD_jNS0_19identity_decomposerEEE10hipError_tT1_T2_PT3_SI_jT4_jjP12ihipStream_tbEUlT_E0_NS1_11comp_targetILNS1_3genE10ELNS1_11target_archE1201ELNS1_3gpuE5ELNS1_3repE0EEENS1_52radix_sort_onesweep_histogram_config_static_selectorELNS0_4arch9wavefront6targetE1EEEvSG_
; %bb.0:
	.section	.rodata,"a",@progbits
	.p2align	6, 0x0
	.amdhsa_kernel _ZN7rocprim17ROCPRIM_400000_NS6detail17trampoline_kernelINS0_14default_configENS1_35radix_sort_onesweep_config_selectorIiiEEZNS1_34radix_sort_onesweep_global_offsetsIS3_Lb1EN6thrust23THRUST_200600_302600_NS6detail15normal_iteratorINS8_10device_ptrIiEEEESD_jNS0_19identity_decomposerEEE10hipError_tT1_T2_PT3_SI_jT4_jjP12ihipStream_tbEUlT_E0_NS1_11comp_targetILNS1_3genE10ELNS1_11target_archE1201ELNS1_3gpuE5ELNS1_3repE0EEENS1_52radix_sort_onesweep_histogram_config_static_selectorELNS0_4arch9wavefront6targetE1EEEvSG_
		.amdhsa_group_segment_fixed_size 0
		.amdhsa_private_segment_fixed_size 0
		.amdhsa_kernarg_size 8
		.amdhsa_user_sgpr_count 2
		.amdhsa_user_sgpr_dispatch_ptr 0
		.amdhsa_user_sgpr_queue_ptr 0
		.amdhsa_user_sgpr_kernarg_segment_ptr 1
		.amdhsa_user_sgpr_dispatch_id 0
		.amdhsa_user_sgpr_kernarg_preload_length 0
		.amdhsa_user_sgpr_kernarg_preload_offset 0
		.amdhsa_user_sgpr_private_segment_size 0
		.amdhsa_uses_dynamic_stack 0
		.amdhsa_enable_private_segment 0
		.amdhsa_system_sgpr_workgroup_id_x 1
		.amdhsa_system_sgpr_workgroup_id_y 0
		.amdhsa_system_sgpr_workgroup_id_z 0
		.amdhsa_system_sgpr_workgroup_info 0
		.amdhsa_system_vgpr_workitem_id 0
		.amdhsa_next_free_vgpr 1
		.amdhsa_next_free_sgpr 0
		.amdhsa_accum_offset 4
		.amdhsa_reserve_vcc 0
		.amdhsa_float_round_mode_32 0
		.amdhsa_float_round_mode_16_64 0
		.amdhsa_float_denorm_mode_32 3
		.amdhsa_float_denorm_mode_16_64 3
		.amdhsa_dx10_clamp 1
		.amdhsa_ieee_mode 1
		.amdhsa_fp16_overflow 0
		.amdhsa_tg_split 0
		.amdhsa_exception_fp_ieee_invalid_op 0
		.amdhsa_exception_fp_denorm_src 0
		.amdhsa_exception_fp_ieee_div_zero 0
		.amdhsa_exception_fp_ieee_overflow 0
		.amdhsa_exception_fp_ieee_underflow 0
		.amdhsa_exception_fp_ieee_inexact 0
		.amdhsa_exception_int_div_zero 0
	.end_amdhsa_kernel
	.section	.text._ZN7rocprim17ROCPRIM_400000_NS6detail17trampoline_kernelINS0_14default_configENS1_35radix_sort_onesweep_config_selectorIiiEEZNS1_34radix_sort_onesweep_global_offsetsIS3_Lb1EN6thrust23THRUST_200600_302600_NS6detail15normal_iteratorINS8_10device_ptrIiEEEESD_jNS0_19identity_decomposerEEE10hipError_tT1_T2_PT3_SI_jT4_jjP12ihipStream_tbEUlT_E0_NS1_11comp_targetILNS1_3genE10ELNS1_11target_archE1201ELNS1_3gpuE5ELNS1_3repE0EEENS1_52radix_sort_onesweep_histogram_config_static_selectorELNS0_4arch9wavefront6targetE1EEEvSG_,"axG",@progbits,_ZN7rocprim17ROCPRIM_400000_NS6detail17trampoline_kernelINS0_14default_configENS1_35radix_sort_onesweep_config_selectorIiiEEZNS1_34radix_sort_onesweep_global_offsetsIS3_Lb1EN6thrust23THRUST_200600_302600_NS6detail15normal_iteratorINS8_10device_ptrIiEEEESD_jNS0_19identity_decomposerEEE10hipError_tT1_T2_PT3_SI_jT4_jjP12ihipStream_tbEUlT_E0_NS1_11comp_targetILNS1_3genE10ELNS1_11target_archE1201ELNS1_3gpuE5ELNS1_3repE0EEENS1_52radix_sort_onesweep_histogram_config_static_selectorELNS0_4arch9wavefront6targetE1EEEvSG_,comdat
.Lfunc_end1834:
	.size	_ZN7rocprim17ROCPRIM_400000_NS6detail17trampoline_kernelINS0_14default_configENS1_35radix_sort_onesweep_config_selectorIiiEEZNS1_34radix_sort_onesweep_global_offsetsIS3_Lb1EN6thrust23THRUST_200600_302600_NS6detail15normal_iteratorINS8_10device_ptrIiEEEESD_jNS0_19identity_decomposerEEE10hipError_tT1_T2_PT3_SI_jT4_jjP12ihipStream_tbEUlT_E0_NS1_11comp_targetILNS1_3genE10ELNS1_11target_archE1201ELNS1_3gpuE5ELNS1_3repE0EEENS1_52radix_sort_onesweep_histogram_config_static_selectorELNS0_4arch9wavefront6targetE1EEEvSG_, .Lfunc_end1834-_ZN7rocprim17ROCPRIM_400000_NS6detail17trampoline_kernelINS0_14default_configENS1_35radix_sort_onesweep_config_selectorIiiEEZNS1_34radix_sort_onesweep_global_offsetsIS3_Lb1EN6thrust23THRUST_200600_302600_NS6detail15normal_iteratorINS8_10device_ptrIiEEEESD_jNS0_19identity_decomposerEEE10hipError_tT1_T2_PT3_SI_jT4_jjP12ihipStream_tbEUlT_E0_NS1_11comp_targetILNS1_3genE10ELNS1_11target_archE1201ELNS1_3gpuE5ELNS1_3repE0EEENS1_52radix_sort_onesweep_histogram_config_static_selectorELNS0_4arch9wavefront6targetE1EEEvSG_
                                        ; -- End function
	.set _ZN7rocprim17ROCPRIM_400000_NS6detail17trampoline_kernelINS0_14default_configENS1_35radix_sort_onesweep_config_selectorIiiEEZNS1_34radix_sort_onesweep_global_offsetsIS3_Lb1EN6thrust23THRUST_200600_302600_NS6detail15normal_iteratorINS8_10device_ptrIiEEEESD_jNS0_19identity_decomposerEEE10hipError_tT1_T2_PT3_SI_jT4_jjP12ihipStream_tbEUlT_E0_NS1_11comp_targetILNS1_3genE10ELNS1_11target_archE1201ELNS1_3gpuE5ELNS1_3repE0EEENS1_52radix_sort_onesweep_histogram_config_static_selectorELNS0_4arch9wavefront6targetE1EEEvSG_.num_vgpr, 0
	.set _ZN7rocprim17ROCPRIM_400000_NS6detail17trampoline_kernelINS0_14default_configENS1_35radix_sort_onesweep_config_selectorIiiEEZNS1_34radix_sort_onesweep_global_offsetsIS3_Lb1EN6thrust23THRUST_200600_302600_NS6detail15normal_iteratorINS8_10device_ptrIiEEEESD_jNS0_19identity_decomposerEEE10hipError_tT1_T2_PT3_SI_jT4_jjP12ihipStream_tbEUlT_E0_NS1_11comp_targetILNS1_3genE10ELNS1_11target_archE1201ELNS1_3gpuE5ELNS1_3repE0EEENS1_52radix_sort_onesweep_histogram_config_static_selectorELNS0_4arch9wavefront6targetE1EEEvSG_.num_agpr, 0
	.set _ZN7rocprim17ROCPRIM_400000_NS6detail17trampoline_kernelINS0_14default_configENS1_35radix_sort_onesweep_config_selectorIiiEEZNS1_34radix_sort_onesweep_global_offsetsIS3_Lb1EN6thrust23THRUST_200600_302600_NS6detail15normal_iteratorINS8_10device_ptrIiEEEESD_jNS0_19identity_decomposerEEE10hipError_tT1_T2_PT3_SI_jT4_jjP12ihipStream_tbEUlT_E0_NS1_11comp_targetILNS1_3genE10ELNS1_11target_archE1201ELNS1_3gpuE5ELNS1_3repE0EEENS1_52radix_sort_onesweep_histogram_config_static_selectorELNS0_4arch9wavefront6targetE1EEEvSG_.numbered_sgpr, 0
	.set _ZN7rocprim17ROCPRIM_400000_NS6detail17trampoline_kernelINS0_14default_configENS1_35radix_sort_onesweep_config_selectorIiiEEZNS1_34radix_sort_onesweep_global_offsetsIS3_Lb1EN6thrust23THRUST_200600_302600_NS6detail15normal_iteratorINS8_10device_ptrIiEEEESD_jNS0_19identity_decomposerEEE10hipError_tT1_T2_PT3_SI_jT4_jjP12ihipStream_tbEUlT_E0_NS1_11comp_targetILNS1_3genE10ELNS1_11target_archE1201ELNS1_3gpuE5ELNS1_3repE0EEENS1_52radix_sort_onesweep_histogram_config_static_selectorELNS0_4arch9wavefront6targetE1EEEvSG_.num_named_barrier, 0
	.set _ZN7rocprim17ROCPRIM_400000_NS6detail17trampoline_kernelINS0_14default_configENS1_35radix_sort_onesweep_config_selectorIiiEEZNS1_34radix_sort_onesweep_global_offsetsIS3_Lb1EN6thrust23THRUST_200600_302600_NS6detail15normal_iteratorINS8_10device_ptrIiEEEESD_jNS0_19identity_decomposerEEE10hipError_tT1_T2_PT3_SI_jT4_jjP12ihipStream_tbEUlT_E0_NS1_11comp_targetILNS1_3genE10ELNS1_11target_archE1201ELNS1_3gpuE5ELNS1_3repE0EEENS1_52radix_sort_onesweep_histogram_config_static_selectorELNS0_4arch9wavefront6targetE1EEEvSG_.private_seg_size, 0
	.set _ZN7rocprim17ROCPRIM_400000_NS6detail17trampoline_kernelINS0_14default_configENS1_35radix_sort_onesweep_config_selectorIiiEEZNS1_34radix_sort_onesweep_global_offsetsIS3_Lb1EN6thrust23THRUST_200600_302600_NS6detail15normal_iteratorINS8_10device_ptrIiEEEESD_jNS0_19identity_decomposerEEE10hipError_tT1_T2_PT3_SI_jT4_jjP12ihipStream_tbEUlT_E0_NS1_11comp_targetILNS1_3genE10ELNS1_11target_archE1201ELNS1_3gpuE5ELNS1_3repE0EEENS1_52radix_sort_onesweep_histogram_config_static_selectorELNS0_4arch9wavefront6targetE1EEEvSG_.uses_vcc, 0
	.set _ZN7rocprim17ROCPRIM_400000_NS6detail17trampoline_kernelINS0_14default_configENS1_35radix_sort_onesweep_config_selectorIiiEEZNS1_34radix_sort_onesweep_global_offsetsIS3_Lb1EN6thrust23THRUST_200600_302600_NS6detail15normal_iteratorINS8_10device_ptrIiEEEESD_jNS0_19identity_decomposerEEE10hipError_tT1_T2_PT3_SI_jT4_jjP12ihipStream_tbEUlT_E0_NS1_11comp_targetILNS1_3genE10ELNS1_11target_archE1201ELNS1_3gpuE5ELNS1_3repE0EEENS1_52radix_sort_onesweep_histogram_config_static_selectorELNS0_4arch9wavefront6targetE1EEEvSG_.uses_flat_scratch, 0
	.set _ZN7rocprim17ROCPRIM_400000_NS6detail17trampoline_kernelINS0_14default_configENS1_35radix_sort_onesweep_config_selectorIiiEEZNS1_34radix_sort_onesweep_global_offsetsIS3_Lb1EN6thrust23THRUST_200600_302600_NS6detail15normal_iteratorINS8_10device_ptrIiEEEESD_jNS0_19identity_decomposerEEE10hipError_tT1_T2_PT3_SI_jT4_jjP12ihipStream_tbEUlT_E0_NS1_11comp_targetILNS1_3genE10ELNS1_11target_archE1201ELNS1_3gpuE5ELNS1_3repE0EEENS1_52radix_sort_onesweep_histogram_config_static_selectorELNS0_4arch9wavefront6targetE1EEEvSG_.has_dyn_sized_stack, 0
	.set _ZN7rocprim17ROCPRIM_400000_NS6detail17trampoline_kernelINS0_14default_configENS1_35radix_sort_onesweep_config_selectorIiiEEZNS1_34radix_sort_onesweep_global_offsetsIS3_Lb1EN6thrust23THRUST_200600_302600_NS6detail15normal_iteratorINS8_10device_ptrIiEEEESD_jNS0_19identity_decomposerEEE10hipError_tT1_T2_PT3_SI_jT4_jjP12ihipStream_tbEUlT_E0_NS1_11comp_targetILNS1_3genE10ELNS1_11target_archE1201ELNS1_3gpuE5ELNS1_3repE0EEENS1_52radix_sort_onesweep_histogram_config_static_selectorELNS0_4arch9wavefront6targetE1EEEvSG_.has_recursion, 0
	.set _ZN7rocprim17ROCPRIM_400000_NS6detail17trampoline_kernelINS0_14default_configENS1_35radix_sort_onesweep_config_selectorIiiEEZNS1_34radix_sort_onesweep_global_offsetsIS3_Lb1EN6thrust23THRUST_200600_302600_NS6detail15normal_iteratorINS8_10device_ptrIiEEEESD_jNS0_19identity_decomposerEEE10hipError_tT1_T2_PT3_SI_jT4_jjP12ihipStream_tbEUlT_E0_NS1_11comp_targetILNS1_3genE10ELNS1_11target_archE1201ELNS1_3gpuE5ELNS1_3repE0EEENS1_52radix_sort_onesweep_histogram_config_static_selectorELNS0_4arch9wavefront6targetE1EEEvSG_.has_indirect_call, 0
	.section	.AMDGPU.csdata,"",@progbits
; Kernel info:
; codeLenInByte = 0
; TotalNumSgprs: 6
; NumVgprs: 0
; NumAgprs: 0
; TotalNumVgprs: 0
; ScratchSize: 0
; MemoryBound: 0
; FloatMode: 240
; IeeeMode: 1
; LDSByteSize: 0 bytes/workgroup (compile time only)
; SGPRBlocks: 0
; VGPRBlocks: 0
; NumSGPRsForWavesPerEU: 6
; NumVGPRsForWavesPerEU: 1
; AccumOffset: 4
; Occupancy: 8
; WaveLimiterHint : 0
; COMPUTE_PGM_RSRC2:SCRATCH_EN: 0
; COMPUTE_PGM_RSRC2:USER_SGPR: 2
; COMPUTE_PGM_RSRC2:TRAP_HANDLER: 0
; COMPUTE_PGM_RSRC2:TGID_X_EN: 1
; COMPUTE_PGM_RSRC2:TGID_Y_EN: 0
; COMPUTE_PGM_RSRC2:TGID_Z_EN: 0
; COMPUTE_PGM_RSRC2:TIDIG_COMP_CNT: 0
; COMPUTE_PGM_RSRC3_GFX90A:ACCUM_OFFSET: 0
; COMPUTE_PGM_RSRC3_GFX90A:TG_SPLIT: 0
	.section	.text._ZN7rocprim17ROCPRIM_400000_NS6detail17trampoline_kernelINS0_14default_configENS1_35radix_sort_onesweep_config_selectorIiiEEZNS1_34radix_sort_onesweep_global_offsetsIS3_Lb1EN6thrust23THRUST_200600_302600_NS6detail15normal_iteratorINS8_10device_ptrIiEEEESD_jNS0_19identity_decomposerEEE10hipError_tT1_T2_PT3_SI_jT4_jjP12ihipStream_tbEUlT_E0_NS1_11comp_targetILNS1_3genE9ELNS1_11target_archE1100ELNS1_3gpuE3ELNS1_3repE0EEENS1_52radix_sort_onesweep_histogram_config_static_selectorELNS0_4arch9wavefront6targetE1EEEvSG_,"axG",@progbits,_ZN7rocprim17ROCPRIM_400000_NS6detail17trampoline_kernelINS0_14default_configENS1_35radix_sort_onesweep_config_selectorIiiEEZNS1_34radix_sort_onesweep_global_offsetsIS3_Lb1EN6thrust23THRUST_200600_302600_NS6detail15normal_iteratorINS8_10device_ptrIiEEEESD_jNS0_19identity_decomposerEEE10hipError_tT1_T2_PT3_SI_jT4_jjP12ihipStream_tbEUlT_E0_NS1_11comp_targetILNS1_3genE9ELNS1_11target_archE1100ELNS1_3gpuE3ELNS1_3repE0EEENS1_52radix_sort_onesweep_histogram_config_static_selectorELNS0_4arch9wavefront6targetE1EEEvSG_,comdat
	.protected	_ZN7rocprim17ROCPRIM_400000_NS6detail17trampoline_kernelINS0_14default_configENS1_35radix_sort_onesweep_config_selectorIiiEEZNS1_34radix_sort_onesweep_global_offsetsIS3_Lb1EN6thrust23THRUST_200600_302600_NS6detail15normal_iteratorINS8_10device_ptrIiEEEESD_jNS0_19identity_decomposerEEE10hipError_tT1_T2_PT3_SI_jT4_jjP12ihipStream_tbEUlT_E0_NS1_11comp_targetILNS1_3genE9ELNS1_11target_archE1100ELNS1_3gpuE3ELNS1_3repE0EEENS1_52radix_sort_onesweep_histogram_config_static_selectorELNS0_4arch9wavefront6targetE1EEEvSG_ ; -- Begin function _ZN7rocprim17ROCPRIM_400000_NS6detail17trampoline_kernelINS0_14default_configENS1_35radix_sort_onesweep_config_selectorIiiEEZNS1_34radix_sort_onesweep_global_offsetsIS3_Lb1EN6thrust23THRUST_200600_302600_NS6detail15normal_iteratorINS8_10device_ptrIiEEEESD_jNS0_19identity_decomposerEEE10hipError_tT1_T2_PT3_SI_jT4_jjP12ihipStream_tbEUlT_E0_NS1_11comp_targetILNS1_3genE9ELNS1_11target_archE1100ELNS1_3gpuE3ELNS1_3repE0EEENS1_52radix_sort_onesweep_histogram_config_static_selectorELNS0_4arch9wavefront6targetE1EEEvSG_
	.globl	_ZN7rocprim17ROCPRIM_400000_NS6detail17trampoline_kernelINS0_14default_configENS1_35radix_sort_onesweep_config_selectorIiiEEZNS1_34radix_sort_onesweep_global_offsetsIS3_Lb1EN6thrust23THRUST_200600_302600_NS6detail15normal_iteratorINS8_10device_ptrIiEEEESD_jNS0_19identity_decomposerEEE10hipError_tT1_T2_PT3_SI_jT4_jjP12ihipStream_tbEUlT_E0_NS1_11comp_targetILNS1_3genE9ELNS1_11target_archE1100ELNS1_3gpuE3ELNS1_3repE0EEENS1_52radix_sort_onesweep_histogram_config_static_selectorELNS0_4arch9wavefront6targetE1EEEvSG_
	.p2align	8
	.type	_ZN7rocprim17ROCPRIM_400000_NS6detail17trampoline_kernelINS0_14default_configENS1_35radix_sort_onesweep_config_selectorIiiEEZNS1_34radix_sort_onesweep_global_offsetsIS3_Lb1EN6thrust23THRUST_200600_302600_NS6detail15normal_iteratorINS8_10device_ptrIiEEEESD_jNS0_19identity_decomposerEEE10hipError_tT1_T2_PT3_SI_jT4_jjP12ihipStream_tbEUlT_E0_NS1_11comp_targetILNS1_3genE9ELNS1_11target_archE1100ELNS1_3gpuE3ELNS1_3repE0EEENS1_52radix_sort_onesweep_histogram_config_static_selectorELNS0_4arch9wavefront6targetE1EEEvSG_,@function
_ZN7rocprim17ROCPRIM_400000_NS6detail17trampoline_kernelINS0_14default_configENS1_35radix_sort_onesweep_config_selectorIiiEEZNS1_34radix_sort_onesweep_global_offsetsIS3_Lb1EN6thrust23THRUST_200600_302600_NS6detail15normal_iteratorINS8_10device_ptrIiEEEESD_jNS0_19identity_decomposerEEE10hipError_tT1_T2_PT3_SI_jT4_jjP12ihipStream_tbEUlT_E0_NS1_11comp_targetILNS1_3genE9ELNS1_11target_archE1100ELNS1_3gpuE3ELNS1_3repE0EEENS1_52radix_sort_onesweep_histogram_config_static_selectorELNS0_4arch9wavefront6targetE1EEEvSG_: ; @_ZN7rocprim17ROCPRIM_400000_NS6detail17trampoline_kernelINS0_14default_configENS1_35radix_sort_onesweep_config_selectorIiiEEZNS1_34radix_sort_onesweep_global_offsetsIS3_Lb1EN6thrust23THRUST_200600_302600_NS6detail15normal_iteratorINS8_10device_ptrIiEEEESD_jNS0_19identity_decomposerEEE10hipError_tT1_T2_PT3_SI_jT4_jjP12ihipStream_tbEUlT_E0_NS1_11comp_targetILNS1_3genE9ELNS1_11target_archE1100ELNS1_3gpuE3ELNS1_3repE0EEENS1_52radix_sort_onesweep_histogram_config_static_selectorELNS0_4arch9wavefront6targetE1EEEvSG_
; %bb.0:
	.section	.rodata,"a",@progbits
	.p2align	6, 0x0
	.amdhsa_kernel _ZN7rocprim17ROCPRIM_400000_NS6detail17trampoline_kernelINS0_14default_configENS1_35radix_sort_onesweep_config_selectorIiiEEZNS1_34radix_sort_onesweep_global_offsetsIS3_Lb1EN6thrust23THRUST_200600_302600_NS6detail15normal_iteratorINS8_10device_ptrIiEEEESD_jNS0_19identity_decomposerEEE10hipError_tT1_T2_PT3_SI_jT4_jjP12ihipStream_tbEUlT_E0_NS1_11comp_targetILNS1_3genE9ELNS1_11target_archE1100ELNS1_3gpuE3ELNS1_3repE0EEENS1_52radix_sort_onesweep_histogram_config_static_selectorELNS0_4arch9wavefront6targetE1EEEvSG_
		.amdhsa_group_segment_fixed_size 0
		.amdhsa_private_segment_fixed_size 0
		.amdhsa_kernarg_size 8
		.amdhsa_user_sgpr_count 2
		.amdhsa_user_sgpr_dispatch_ptr 0
		.amdhsa_user_sgpr_queue_ptr 0
		.amdhsa_user_sgpr_kernarg_segment_ptr 1
		.amdhsa_user_sgpr_dispatch_id 0
		.amdhsa_user_sgpr_kernarg_preload_length 0
		.amdhsa_user_sgpr_kernarg_preload_offset 0
		.amdhsa_user_sgpr_private_segment_size 0
		.amdhsa_uses_dynamic_stack 0
		.amdhsa_enable_private_segment 0
		.amdhsa_system_sgpr_workgroup_id_x 1
		.amdhsa_system_sgpr_workgroup_id_y 0
		.amdhsa_system_sgpr_workgroup_id_z 0
		.amdhsa_system_sgpr_workgroup_info 0
		.amdhsa_system_vgpr_workitem_id 0
		.amdhsa_next_free_vgpr 1
		.amdhsa_next_free_sgpr 0
		.amdhsa_accum_offset 4
		.amdhsa_reserve_vcc 0
		.amdhsa_float_round_mode_32 0
		.amdhsa_float_round_mode_16_64 0
		.amdhsa_float_denorm_mode_32 3
		.amdhsa_float_denorm_mode_16_64 3
		.amdhsa_dx10_clamp 1
		.amdhsa_ieee_mode 1
		.amdhsa_fp16_overflow 0
		.amdhsa_tg_split 0
		.amdhsa_exception_fp_ieee_invalid_op 0
		.amdhsa_exception_fp_denorm_src 0
		.amdhsa_exception_fp_ieee_div_zero 0
		.amdhsa_exception_fp_ieee_overflow 0
		.amdhsa_exception_fp_ieee_underflow 0
		.amdhsa_exception_fp_ieee_inexact 0
		.amdhsa_exception_int_div_zero 0
	.end_amdhsa_kernel
	.section	.text._ZN7rocprim17ROCPRIM_400000_NS6detail17trampoline_kernelINS0_14default_configENS1_35radix_sort_onesweep_config_selectorIiiEEZNS1_34radix_sort_onesweep_global_offsetsIS3_Lb1EN6thrust23THRUST_200600_302600_NS6detail15normal_iteratorINS8_10device_ptrIiEEEESD_jNS0_19identity_decomposerEEE10hipError_tT1_T2_PT3_SI_jT4_jjP12ihipStream_tbEUlT_E0_NS1_11comp_targetILNS1_3genE9ELNS1_11target_archE1100ELNS1_3gpuE3ELNS1_3repE0EEENS1_52radix_sort_onesweep_histogram_config_static_selectorELNS0_4arch9wavefront6targetE1EEEvSG_,"axG",@progbits,_ZN7rocprim17ROCPRIM_400000_NS6detail17trampoline_kernelINS0_14default_configENS1_35radix_sort_onesweep_config_selectorIiiEEZNS1_34radix_sort_onesweep_global_offsetsIS3_Lb1EN6thrust23THRUST_200600_302600_NS6detail15normal_iteratorINS8_10device_ptrIiEEEESD_jNS0_19identity_decomposerEEE10hipError_tT1_T2_PT3_SI_jT4_jjP12ihipStream_tbEUlT_E0_NS1_11comp_targetILNS1_3genE9ELNS1_11target_archE1100ELNS1_3gpuE3ELNS1_3repE0EEENS1_52radix_sort_onesweep_histogram_config_static_selectorELNS0_4arch9wavefront6targetE1EEEvSG_,comdat
.Lfunc_end1835:
	.size	_ZN7rocprim17ROCPRIM_400000_NS6detail17trampoline_kernelINS0_14default_configENS1_35radix_sort_onesweep_config_selectorIiiEEZNS1_34radix_sort_onesweep_global_offsetsIS3_Lb1EN6thrust23THRUST_200600_302600_NS6detail15normal_iteratorINS8_10device_ptrIiEEEESD_jNS0_19identity_decomposerEEE10hipError_tT1_T2_PT3_SI_jT4_jjP12ihipStream_tbEUlT_E0_NS1_11comp_targetILNS1_3genE9ELNS1_11target_archE1100ELNS1_3gpuE3ELNS1_3repE0EEENS1_52radix_sort_onesweep_histogram_config_static_selectorELNS0_4arch9wavefront6targetE1EEEvSG_, .Lfunc_end1835-_ZN7rocprim17ROCPRIM_400000_NS6detail17trampoline_kernelINS0_14default_configENS1_35radix_sort_onesweep_config_selectorIiiEEZNS1_34radix_sort_onesweep_global_offsetsIS3_Lb1EN6thrust23THRUST_200600_302600_NS6detail15normal_iteratorINS8_10device_ptrIiEEEESD_jNS0_19identity_decomposerEEE10hipError_tT1_T2_PT3_SI_jT4_jjP12ihipStream_tbEUlT_E0_NS1_11comp_targetILNS1_3genE9ELNS1_11target_archE1100ELNS1_3gpuE3ELNS1_3repE0EEENS1_52radix_sort_onesweep_histogram_config_static_selectorELNS0_4arch9wavefront6targetE1EEEvSG_
                                        ; -- End function
	.set _ZN7rocprim17ROCPRIM_400000_NS6detail17trampoline_kernelINS0_14default_configENS1_35radix_sort_onesweep_config_selectorIiiEEZNS1_34radix_sort_onesweep_global_offsetsIS3_Lb1EN6thrust23THRUST_200600_302600_NS6detail15normal_iteratorINS8_10device_ptrIiEEEESD_jNS0_19identity_decomposerEEE10hipError_tT1_T2_PT3_SI_jT4_jjP12ihipStream_tbEUlT_E0_NS1_11comp_targetILNS1_3genE9ELNS1_11target_archE1100ELNS1_3gpuE3ELNS1_3repE0EEENS1_52radix_sort_onesweep_histogram_config_static_selectorELNS0_4arch9wavefront6targetE1EEEvSG_.num_vgpr, 0
	.set _ZN7rocprim17ROCPRIM_400000_NS6detail17trampoline_kernelINS0_14default_configENS1_35radix_sort_onesweep_config_selectorIiiEEZNS1_34radix_sort_onesweep_global_offsetsIS3_Lb1EN6thrust23THRUST_200600_302600_NS6detail15normal_iteratorINS8_10device_ptrIiEEEESD_jNS0_19identity_decomposerEEE10hipError_tT1_T2_PT3_SI_jT4_jjP12ihipStream_tbEUlT_E0_NS1_11comp_targetILNS1_3genE9ELNS1_11target_archE1100ELNS1_3gpuE3ELNS1_3repE0EEENS1_52radix_sort_onesweep_histogram_config_static_selectorELNS0_4arch9wavefront6targetE1EEEvSG_.num_agpr, 0
	.set _ZN7rocprim17ROCPRIM_400000_NS6detail17trampoline_kernelINS0_14default_configENS1_35radix_sort_onesweep_config_selectorIiiEEZNS1_34radix_sort_onesweep_global_offsetsIS3_Lb1EN6thrust23THRUST_200600_302600_NS6detail15normal_iteratorINS8_10device_ptrIiEEEESD_jNS0_19identity_decomposerEEE10hipError_tT1_T2_PT3_SI_jT4_jjP12ihipStream_tbEUlT_E0_NS1_11comp_targetILNS1_3genE9ELNS1_11target_archE1100ELNS1_3gpuE3ELNS1_3repE0EEENS1_52radix_sort_onesweep_histogram_config_static_selectorELNS0_4arch9wavefront6targetE1EEEvSG_.numbered_sgpr, 0
	.set _ZN7rocprim17ROCPRIM_400000_NS6detail17trampoline_kernelINS0_14default_configENS1_35radix_sort_onesweep_config_selectorIiiEEZNS1_34radix_sort_onesweep_global_offsetsIS3_Lb1EN6thrust23THRUST_200600_302600_NS6detail15normal_iteratorINS8_10device_ptrIiEEEESD_jNS0_19identity_decomposerEEE10hipError_tT1_T2_PT3_SI_jT4_jjP12ihipStream_tbEUlT_E0_NS1_11comp_targetILNS1_3genE9ELNS1_11target_archE1100ELNS1_3gpuE3ELNS1_3repE0EEENS1_52radix_sort_onesweep_histogram_config_static_selectorELNS0_4arch9wavefront6targetE1EEEvSG_.num_named_barrier, 0
	.set _ZN7rocprim17ROCPRIM_400000_NS6detail17trampoline_kernelINS0_14default_configENS1_35radix_sort_onesweep_config_selectorIiiEEZNS1_34radix_sort_onesweep_global_offsetsIS3_Lb1EN6thrust23THRUST_200600_302600_NS6detail15normal_iteratorINS8_10device_ptrIiEEEESD_jNS0_19identity_decomposerEEE10hipError_tT1_T2_PT3_SI_jT4_jjP12ihipStream_tbEUlT_E0_NS1_11comp_targetILNS1_3genE9ELNS1_11target_archE1100ELNS1_3gpuE3ELNS1_3repE0EEENS1_52radix_sort_onesweep_histogram_config_static_selectorELNS0_4arch9wavefront6targetE1EEEvSG_.private_seg_size, 0
	.set _ZN7rocprim17ROCPRIM_400000_NS6detail17trampoline_kernelINS0_14default_configENS1_35radix_sort_onesweep_config_selectorIiiEEZNS1_34radix_sort_onesweep_global_offsetsIS3_Lb1EN6thrust23THRUST_200600_302600_NS6detail15normal_iteratorINS8_10device_ptrIiEEEESD_jNS0_19identity_decomposerEEE10hipError_tT1_T2_PT3_SI_jT4_jjP12ihipStream_tbEUlT_E0_NS1_11comp_targetILNS1_3genE9ELNS1_11target_archE1100ELNS1_3gpuE3ELNS1_3repE0EEENS1_52radix_sort_onesweep_histogram_config_static_selectorELNS0_4arch9wavefront6targetE1EEEvSG_.uses_vcc, 0
	.set _ZN7rocprim17ROCPRIM_400000_NS6detail17trampoline_kernelINS0_14default_configENS1_35radix_sort_onesweep_config_selectorIiiEEZNS1_34radix_sort_onesweep_global_offsetsIS3_Lb1EN6thrust23THRUST_200600_302600_NS6detail15normal_iteratorINS8_10device_ptrIiEEEESD_jNS0_19identity_decomposerEEE10hipError_tT1_T2_PT3_SI_jT4_jjP12ihipStream_tbEUlT_E0_NS1_11comp_targetILNS1_3genE9ELNS1_11target_archE1100ELNS1_3gpuE3ELNS1_3repE0EEENS1_52radix_sort_onesweep_histogram_config_static_selectorELNS0_4arch9wavefront6targetE1EEEvSG_.uses_flat_scratch, 0
	.set _ZN7rocprim17ROCPRIM_400000_NS6detail17trampoline_kernelINS0_14default_configENS1_35radix_sort_onesweep_config_selectorIiiEEZNS1_34radix_sort_onesweep_global_offsetsIS3_Lb1EN6thrust23THRUST_200600_302600_NS6detail15normal_iteratorINS8_10device_ptrIiEEEESD_jNS0_19identity_decomposerEEE10hipError_tT1_T2_PT3_SI_jT4_jjP12ihipStream_tbEUlT_E0_NS1_11comp_targetILNS1_3genE9ELNS1_11target_archE1100ELNS1_3gpuE3ELNS1_3repE0EEENS1_52radix_sort_onesweep_histogram_config_static_selectorELNS0_4arch9wavefront6targetE1EEEvSG_.has_dyn_sized_stack, 0
	.set _ZN7rocprim17ROCPRIM_400000_NS6detail17trampoline_kernelINS0_14default_configENS1_35radix_sort_onesweep_config_selectorIiiEEZNS1_34radix_sort_onesweep_global_offsetsIS3_Lb1EN6thrust23THRUST_200600_302600_NS6detail15normal_iteratorINS8_10device_ptrIiEEEESD_jNS0_19identity_decomposerEEE10hipError_tT1_T2_PT3_SI_jT4_jjP12ihipStream_tbEUlT_E0_NS1_11comp_targetILNS1_3genE9ELNS1_11target_archE1100ELNS1_3gpuE3ELNS1_3repE0EEENS1_52radix_sort_onesweep_histogram_config_static_selectorELNS0_4arch9wavefront6targetE1EEEvSG_.has_recursion, 0
	.set _ZN7rocprim17ROCPRIM_400000_NS6detail17trampoline_kernelINS0_14default_configENS1_35radix_sort_onesweep_config_selectorIiiEEZNS1_34radix_sort_onesweep_global_offsetsIS3_Lb1EN6thrust23THRUST_200600_302600_NS6detail15normal_iteratorINS8_10device_ptrIiEEEESD_jNS0_19identity_decomposerEEE10hipError_tT1_T2_PT3_SI_jT4_jjP12ihipStream_tbEUlT_E0_NS1_11comp_targetILNS1_3genE9ELNS1_11target_archE1100ELNS1_3gpuE3ELNS1_3repE0EEENS1_52radix_sort_onesweep_histogram_config_static_selectorELNS0_4arch9wavefront6targetE1EEEvSG_.has_indirect_call, 0
	.section	.AMDGPU.csdata,"",@progbits
; Kernel info:
; codeLenInByte = 0
; TotalNumSgprs: 6
; NumVgprs: 0
; NumAgprs: 0
; TotalNumVgprs: 0
; ScratchSize: 0
; MemoryBound: 0
; FloatMode: 240
; IeeeMode: 1
; LDSByteSize: 0 bytes/workgroup (compile time only)
; SGPRBlocks: 0
; VGPRBlocks: 0
; NumSGPRsForWavesPerEU: 6
; NumVGPRsForWavesPerEU: 1
; AccumOffset: 4
; Occupancy: 8
; WaveLimiterHint : 0
; COMPUTE_PGM_RSRC2:SCRATCH_EN: 0
; COMPUTE_PGM_RSRC2:USER_SGPR: 2
; COMPUTE_PGM_RSRC2:TRAP_HANDLER: 0
; COMPUTE_PGM_RSRC2:TGID_X_EN: 1
; COMPUTE_PGM_RSRC2:TGID_Y_EN: 0
; COMPUTE_PGM_RSRC2:TGID_Z_EN: 0
; COMPUTE_PGM_RSRC2:TIDIG_COMP_CNT: 0
; COMPUTE_PGM_RSRC3_GFX90A:ACCUM_OFFSET: 0
; COMPUTE_PGM_RSRC3_GFX90A:TG_SPLIT: 0
	.section	.text._ZN7rocprim17ROCPRIM_400000_NS6detail17trampoline_kernelINS0_14default_configENS1_35radix_sort_onesweep_config_selectorIiiEEZNS1_34radix_sort_onesweep_global_offsetsIS3_Lb1EN6thrust23THRUST_200600_302600_NS6detail15normal_iteratorINS8_10device_ptrIiEEEESD_jNS0_19identity_decomposerEEE10hipError_tT1_T2_PT3_SI_jT4_jjP12ihipStream_tbEUlT_E0_NS1_11comp_targetILNS1_3genE8ELNS1_11target_archE1030ELNS1_3gpuE2ELNS1_3repE0EEENS1_52radix_sort_onesweep_histogram_config_static_selectorELNS0_4arch9wavefront6targetE1EEEvSG_,"axG",@progbits,_ZN7rocprim17ROCPRIM_400000_NS6detail17trampoline_kernelINS0_14default_configENS1_35radix_sort_onesweep_config_selectorIiiEEZNS1_34radix_sort_onesweep_global_offsetsIS3_Lb1EN6thrust23THRUST_200600_302600_NS6detail15normal_iteratorINS8_10device_ptrIiEEEESD_jNS0_19identity_decomposerEEE10hipError_tT1_T2_PT3_SI_jT4_jjP12ihipStream_tbEUlT_E0_NS1_11comp_targetILNS1_3genE8ELNS1_11target_archE1030ELNS1_3gpuE2ELNS1_3repE0EEENS1_52radix_sort_onesweep_histogram_config_static_selectorELNS0_4arch9wavefront6targetE1EEEvSG_,comdat
	.protected	_ZN7rocprim17ROCPRIM_400000_NS6detail17trampoline_kernelINS0_14default_configENS1_35radix_sort_onesweep_config_selectorIiiEEZNS1_34radix_sort_onesweep_global_offsetsIS3_Lb1EN6thrust23THRUST_200600_302600_NS6detail15normal_iteratorINS8_10device_ptrIiEEEESD_jNS0_19identity_decomposerEEE10hipError_tT1_T2_PT3_SI_jT4_jjP12ihipStream_tbEUlT_E0_NS1_11comp_targetILNS1_3genE8ELNS1_11target_archE1030ELNS1_3gpuE2ELNS1_3repE0EEENS1_52radix_sort_onesweep_histogram_config_static_selectorELNS0_4arch9wavefront6targetE1EEEvSG_ ; -- Begin function _ZN7rocprim17ROCPRIM_400000_NS6detail17trampoline_kernelINS0_14default_configENS1_35radix_sort_onesweep_config_selectorIiiEEZNS1_34radix_sort_onesweep_global_offsetsIS3_Lb1EN6thrust23THRUST_200600_302600_NS6detail15normal_iteratorINS8_10device_ptrIiEEEESD_jNS0_19identity_decomposerEEE10hipError_tT1_T2_PT3_SI_jT4_jjP12ihipStream_tbEUlT_E0_NS1_11comp_targetILNS1_3genE8ELNS1_11target_archE1030ELNS1_3gpuE2ELNS1_3repE0EEENS1_52radix_sort_onesweep_histogram_config_static_selectorELNS0_4arch9wavefront6targetE1EEEvSG_
	.globl	_ZN7rocprim17ROCPRIM_400000_NS6detail17trampoline_kernelINS0_14default_configENS1_35radix_sort_onesweep_config_selectorIiiEEZNS1_34radix_sort_onesweep_global_offsetsIS3_Lb1EN6thrust23THRUST_200600_302600_NS6detail15normal_iteratorINS8_10device_ptrIiEEEESD_jNS0_19identity_decomposerEEE10hipError_tT1_T2_PT3_SI_jT4_jjP12ihipStream_tbEUlT_E0_NS1_11comp_targetILNS1_3genE8ELNS1_11target_archE1030ELNS1_3gpuE2ELNS1_3repE0EEENS1_52radix_sort_onesweep_histogram_config_static_selectorELNS0_4arch9wavefront6targetE1EEEvSG_
	.p2align	8
	.type	_ZN7rocprim17ROCPRIM_400000_NS6detail17trampoline_kernelINS0_14default_configENS1_35radix_sort_onesweep_config_selectorIiiEEZNS1_34radix_sort_onesweep_global_offsetsIS3_Lb1EN6thrust23THRUST_200600_302600_NS6detail15normal_iteratorINS8_10device_ptrIiEEEESD_jNS0_19identity_decomposerEEE10hipError_tT1_T2_PT3_SI_jT4_jjP12ihipStream_tbEUlT_E0_NS1_11comp_targetILNS1_3genE8ELNS1_11target_archE1030ELNS1_3gpuE2ELNS1_3repE0EEENS1_52radix_sort_onesweep_histogram_config_static_selectorELNS0_4arch9wavefront6targetE1EEEvSG_,@function
_ZN7rocprim17ROCPRIM_400000_NS6detail17trampoline_kernelINS0_14default_configENS1_35radix_sort_onesweep_config_selectorIiiEEZNS1_34radix_sort_onesweep_global_offsetsIS3_Lb1EN6thrust23THRUST_200600_302600_NS6detail15normal_iteratorINS8_10device_ptrIiEEEESD_jNS0_19identity_decomposerEEE10hipError_tT1_T2_PT3_SI_jT4_jjP12ihipStream_tbEUlT_E0_NS1_11comp_targetILNS1_3genE8ELNS1_11target_archE1030ELNS1_3gpuE2ELNS1_3repE0EEENS1_52radix_sort_onesweep_histogram_config_static_selectorELNS0_4arch9wavefront6targetE1EEEvSG_: ; @_ZN7rocprim17ROCPRIM_400000_NS6detail17trampoline_kernelINS0_14default_configENS1_35radix_sort_onesweep_config_selectorIiiEEZNS1_34radix_sort_onesweep_global_offsetsIS3_Lb1EN6thrust23THRUST_200600_302600_NS6detail15normal_iteratorINS8_10device_ptrIiEEEESD_jNS0_19identity_decomposerEEE10hipError_tT1_T2_PT3_SI_jT4_jjP12ihipStream_tbEUlT_E0_NS1_11comp_targetILNS1_3genE8ELNS1_11target_archE1030ELNS1_3gpuE2ELNS1_3repE0EEENS1_52radix_sort_onesweep_histogram_config_static_selectorELNS0_4arch9wavefront6targetE1EEEvSG_
; %bb.0:
	.section	.rodata,"a",@progbits
	.p2align	6, 0x0
	.amdhsa_kernel _ZN7rocprim17ROCPRIM_400000_NS6detail17trampoline_kernelINS0_14default_configENS1_35radix_sort_onesweep_config_selectorIiiEEZNS1_34radix_sort_onesweep_global_offsetsIS3_Lb1EN6thrust23THRUST_200600_302600_NS6detail15normal_iteratorINS8_10device_ptrIiEEEESD_jNS0_19identity_decomposerEEE10hipError_tT1_T2_PT3_SI_jT4_jjP12ihipStream_tbEUlT_E0_NS1_11comp_targetILNS1_3genE8ELNS1_11target_archE1030ELNS1_3gpuE2ELNS1_3repE0EEENS1_52radix_sort_onesweep_histogram_config_static_selectorELNS0_4arch9wavefront6targetE1EEEvSG_
		.amdhsa_group_segment_fixed_size 0
		.amdhsa_private_segment_fixed_size 0
		.amdhsa_kernarg_size 8
		.amdhsa_user_sgpr_count 2
		.amdhsa_user_sgpr_dispatch_ptr 0
		.amdhsa_user_sgpr_queue_ptr 0
		.amdhsa_user_sgpr_kernarg_segment_ptr 1
		.amdhsa_user_sgpr_dispatch_id 0
		.amdhsa_user_sgpr_kernarg_preload_length 0
		.amdhsa_user_sgpr_kernarg_preload_offset 0
		.amdhsa_user_sgpr_private_segment_size 0
		.amdhsa_uses_dynamic_stack 0
		.amdhsa_enable_private_segment 0
		.amdhsa_system_sgpr_workgroup_id_x 1
		.amdhsa_system_sgpr_workgroup_id_y 0
		.amdhsa_system_sgpr_workgroup_id_z 0
		.amdhsa_system_sgpr_workgroup_info 0
		.amdhsa_system_vgpr_workitem_id 0
		.amdhsa_next_free_vgpr 1
		.amdhsa_next_free_sgpr 0
		.amdhsa_accum_offset 4
		.amdhsa_reserve_vcc 0
		.amdhsa_float_round_mode_32 0
		.amdhsa_float_round_mode_16_64 0
		.amdhsa_float_denorm_mode_32 3
		.amdhsa_float_denorm_mode_16_64 3
		.amdhsa_dx10_clamp 1
		.amdhsa_ieee_mode 1
		.amdhsa_fp16_overflow 0
		.amdhsa_tg_split 0
		.amdhsa_exception_fp_ieee_invalid_op 0
		.amdhsa_exception_fp_denorm_src 0
		.amdhsa_exception_fp_ieee_div_zero 0
		.amdhsa_exception_fp_ieee_overflow 0
		.amdhsa_exception_fp_ieee_underflow 0
		.amdhsa_exception_fp_ieee_inexact 0
		.amdhsa_exception_int_div_zero 0
	.end_amdhsa_kernel
	.section	.text._ZN7rocprim17ROCPRIM_400000_NS6detail17trampoline_kernelINS0_14default_configENS1_35radix_sort_onesweep_config_selectorIiiEEZNS1_34radix_sort_onesweep_global_offsetsIS3_Lb1EN6thrust23THRUST_200600_302600_NS6detail15normal_iteratorINS8_10device_ptrIiEEEESD_jNS0_19identity_decomposerEEE10hipError_tT1_T2_PT3_SI_jT4_jjP12ihipStream_tbEUlT_E0_NS1_11comp_targetILNS1_3genE8ELNS1_11target_archE1030ELNS1_3gpuE2ELNS1_3repE0EEENS1_52radix_sort_onesweep_histogram_config_static_selectorELNS0_4arch9wavefront6targetE1EEEvSG_,"axG",@progbits,_ZN7rocprim17ROCPRIM_400000_NS6detail17trampoline_kernelINS0_14default_configENS1_35radix_sort_onesweep_config_selectorIiiEEZNS1_34radix_sort_onesweep_global_offsetsIS3_Lb1EN6thrust23THRUST_200600_302600_NS6detail15normal_iteratorINS8_10device_ptrIiEEEESD_jNS0_19identity_decomposerEEE10hipError_tT1_T2_PT3_SI_jT4_jjP12ihipStream_tbEUlT_E0_NS1_11comp_targetILNS1_3genE8ELNS1_11target_archE1030ELNS1_3gpuE2ELNS1_3repE0EEENS1_52radix_sort_onesweep_histogram_config_static_selectorELNS0_4arch9wavefront6targetE1EEEvSG_,comdat
.Lfunc_end1836:
	.size	_ZN7rocprim17ROCPRIM_400000_NS6detail17trampoline_kernelINS0_14default_configENS1_35radix_sort_onesweep_config_selectorIiiEEZNS1_34radix_sort_onesweep_global_offsetsIS3_Lb1EN6thrust23THRUST_200600_302600_NS6detail15normal_iteratorINS8_10device_ptrIiEEEESD_jNS0_19identity_decomposerEEE10hipError_tT1_T2_PT3_SI_jT4_jjP12ihipStream_tbEUlT_E0_NS1_11comp_targetILNS1_3genE8ELNS1_11target_archE1030ELNS1_3gpuE2ELNS1_3repE0EEENS1_52radix_sort_onesweep_histogram_config_static_selectorELNS0_4arch9wavefront6targetE1EEEvSG_, .Lfunc_end1836-_ZN7rocprim17ROCPRIM_400000_NS6detail17trampoline_kernelINS0_14default_configENS1_35radix_sort_onesweep_config_selectorIiiEEZNS1_34radix_sort_onesweep_global_offsetsIS3_Lb1EN6thrust23THRUST_200600_302600_NS6detail15normal_iteratorINS8_10device_ptrIiEEEESD_jNS0_19identity_decomposerEEE10hipError_tT1_T2_PT3_SI_jT4_jjP12ihipStream_tbEUlT_E0_NS1_11comp_targetILNS1_3genE8ELNS1_11target_archE1030ELNS1_3gpuE2ELNS1_3repE0EEENS1_52radix_sort_onesweep_histogram_config_static_selectorELNS0_4arch9wavefront6targetE1EEEvSG_
                                        ; -- End function
	.set _ZN7rocprim17ROCPRIM_400000_NS6detail17trampoline_kernelINS0_14default_configENS1_35radix_sort_onesweep_config_selectorIiiEEZNS1_34radix_sort_onesweep_global_offsetsIS3_Lb1EN6thrust23THRUST_200600_302600_NS6detail15normal_iteratorINS8_10device_ptrIiEEEESD_jNS0_19identity_decomposerEEE10hipError_tT1_T2_PT3_SI_jT4_jjP12ihipStream_tbEUlT_E0_NS1_11comp_targetILNS1_3genE8ELNS1_11target_archE1030ELNS1_3gpuE2ELNS1_3repE0EEENS1_52radix_sort_onesweep_histogram_config_static_selectorELNS0_4arch9wavefront6targetE1EEEvSG_.num_vgpr, 0
	.set _ZN7rocprim17ROCPRIM_400000_NS6detail17trampoline_kernelINS0_14default_configENS1_35radix_sort_onesweep_config_selectorIiiEEZNS1_34radix_sort_onesweep_global_offsetsIS3_Lb1EN6thrust23THRUST_200600_302600_NS6detail15normal_iteratorINS8_10device_ptrIiEEEESD_jNS0_19identity_decomposerEEE10hipError_tT1_T2_PT3_SI_jT4_jjP12ihipStream_tbEUlT_E0_NS1_11comp_targetILNS1_3genE8ELNS1_11target_archE1030ELNS1_3gpuE2ELNS1_3repE0EEENS1_52radix_sort_onesweep_histogram_config_static_selectorELNS0_4arch9wavefront6targetE1EEEvSG_.num_agpr, 0
	.set _ZN7rocprim17ROCPRIM_400000_NS6detail17trampoline_kernelINS0_14default_configENS1_35radix_sort_onesweep_config_selectorIiiEEZNS1_34radix_sort_onesweep_global_offsetsIS3_Lb1EN6thrust23THRUST_200600_302600_NS6detail15normal_iteratorINS8_10device_ptrIiEEEESD_jNS0_19identity_decomposerEEE10hipError_tT1_T2_PT3_SI_jT4_jjP12ihipStream_tbEUlT_E0_NS1_11comp_targetILNS1_3genE8ELNS1_11target_archE1030ELNS1_3gpuE2ELNS1_3repE0EEENS1_52radix_sort_onesweep_histogram_config_static_selectorELNS0_4arch9wavefront6targetE1EEEvSG_.numbered_sgpr, 0
	.set _ZN7rocprim17ROCPRIM_400000_NS6detail17trampoline_kernelINS0_14default_configENS1_35radix_sort_onesweep_config_selectorIiiEEZNS1_34radix_sort_onesweep_global_offsetsIS3_Lb1EN6thrust23THRUST_200600_302600_NS6detail15normal_iteratorINS8_10device_ptrIiEEEESD_jNS0_19identity_decomposerEEE10hipError_tT1_T2_PT3_SI_jT4_jjP12ihipStream_tbEUlT_E0_NS1_11comp_targetILNS1_3genE8ELNS1_11target_archE1030ELNS1_3gpuE2ELNS1_3repE0EEENS1_52radix_sort_onesweep_histogram_config_static_selectorELNS0_4arch9wavefront6targetE1EEEvSG_.num_named_barrier, 0
	.set _ZN7rocprim17ROCPRIM_400000_NS6detail17trampoline_kernelINS0_14default_configENS1_35radix_sort_onesweep_config_selectorIiiEEZNS1_34radix_sort_onesweep_global_offsetsIS3_Lb1EN6thrust23THRUST_200600_302600_NS6detail15normal_iteratorINS8_10device_ptrIiEEEESD_jNS0_19identity_decomposerEEE10hipError_tT1_T2_PT3_SI_jT4_jjP12ihipStream_tbEUlT_E0_NS1_11comp_targetILNS1_3genE8ELNS1_11target_archE1030ELNS1_3gpuE2ELNS1_3repE0EEENS1_52radix_sort_onesweep_histogram_config_static_selectorELNS0_4arch9wavefront6targetE1EEEvSG_.private_seg_size, 0
	.set _ZN7rocprim17ROCPRIM_400000_NS6detail17trampoline_kernelINS0_14default_configENS1_35radix_sort_onesweep_config_selectorIiiEEZNS1_34radix_sort_onesweep_global_offsetsIS3_Lb1EN6thrust23THRUST_200600_302600_NS6detail15normal_iteratorINS8_10device_ptrIiEEEESD_jNS0_19identity_decomposerEEE10hipError_tT1_T2_PT3_SI_jT4_jjP12ihipStream_tbEUlT_E0_NS1_11comp_targetILNS1_3genE8ELNS1_11target_archE1030ELNS1_3gpuE2ELNS1_3repE0EEENS1_52radix_sort_onesweep_histogram_config_static_selectorELNS0_4arch9wavefront6targetE1EEEvSG_.uses_vcc, 0
	.set _ZN7rocprim17ROCPRIM_400000_NS6detail17trampoline_kernelINS0_14default_configENS1_35radix_sort_onesweep_config_selectorIiiEEZNS1_34radix_sort_onesweep_global_offsetsIS3_Lb1EN6thrust23THRUST_200600_302600_NS6detail15normal_iteratorINS8_10device_ptrIiEEEESD_jNS0_19identity_decomposerEEE10hipError_tT1_T2_PT3_SI_jT4_jjP12ihipStream_tbEUlT_E0_NS1_11comp_targetILNS1_3genE8ELNS1_11target_archE1030ELNS1_3gpuE2ELNS1_3repE0EEENS1_52radix_sort_onesweep_histogram_config_static_selectorELNS0_4arch9wavefront6targetE1EEEvSG_.uses_flat_scratch, 0
	.set _ZN7rocprim17ROCPRIM_400000_NS6detail17trampoline_kernelINS0_14default_configENS1_35radix_sort_onesweep_config_selectorIiiEEZNS1_34radix_sort_onesweep_global_offsetsIS3_Lb1EN6thrust23THRUST_200600_302600_NS6detail15normal_iteratorINS8_10device_ptrIiEEEESD_jNS0_19identity_decomposerEEE10hipError_tT1_T2_PT3_SI_jT4_jjP12ihipStream_tbEUlT_E0_NS1_11comp_targetILNS1_3genE8ELNS1_11target_archE1030ELNS1_3gpuE2ELNS1_3repE0EEENS1_52radix_sort_onesweep_histogram_config_static_selectorELNS0_4arch9wavefront6targetE1EEEvSG_.has_dyn_sized_stack, 0
	.set _ZN7rocprim17ROCPRIM_400000_NS6detail17trampoline_kernelINS0_14default_configENS1_35radix_sort_onesweep_config_selectorIiiEEZNS1_34radix_sort_onesweep_global_offsetsIS3_Lb1EN6thrust23THRUST_200600_302600_NS6detail15normal_iteratorINS8_10device_ptrIiEEEESD_jNS0_19identity_decomposerEEE10hipError_tT1_T2_PT3_SI_jT4_jjP12ihipStream_tbEUlT_E0_NS1_11comp_targetILNS1_3genE8ELNS1_11target_archE1030ELNS1_3gpuE2ELNS1_3repE0EEENS1_52radix_sort_onesweep_histogram_config_static_selectorELNS0_4arch9wavefront6targetE1EEEvSG_.has_recursion, 0
	.set _ZN7rocprim17ROCPRIM_400000_NS6detail17trampoline_kernelINS0_14default_configENS1_35radix_sort_onesweep_config_selectorIiiEEZNS1_34radix_sort_onesweep_global_offsetsIS3_Lb1EN6thrust23THRUST_200600_302600_NS6detail15normal_iteratorINS8_10device_ptrIiEEEESD_jNS0_19identity_decomposerEEE10hipError_tT1_T2_PT3_SI_jT4_jjP12ihipStream_tbEUlT_E0_NS1_11comp_targetILNS1_3genE8ELNS1_11target_archE1030ELNS1_3gpuE2ELNS1_3repE0EEENS1_52radix_sort_onesweep_histogram_config_static_selectorELNS0_4arch9wavefront6targetE1EEEvSG_.has_indirect_call, 0
	.section	.AMDGPU.csdata,"",@progbits
; Kernel info:
; codeLenInByte = 0
; TotalNumSgprs: 6
; NumVgprs: 0
; NumAgprs: 0
; TotalNumVgprs: 0
; ScratchSize: 0
; MemoryBound: 0
; FloatMode: 240
; IeeeMode: 1
; LDSByteSize: 0 bytes/workgroup (compile time only)
; SGPRBlocks: 0
; VGPRBlocks: 0
; NumSGPRsForWavesPerEU: 6
; NumVGPRsForWavesPerEU: 1
; AccumOffset: 4
; Occupancy: 8
; WaveLimiterHint : 0
; COMPUTE_PGM_RSRC2:SCRATCH_EN: 0
; COMPUTE_PGM_RSRC2:USER_SGPR: 2
; COMPUTE_PGM_RSRC2:TRAP_HANDLER: 0
; COMPUTE_PGM_RSRC2:TGID_X_EN: 1
; COMPUTE_PGM_RSRC2:TGID_Y_EN: 0
; COMPUTE_PGM_RSRC2:TGID_Z_EN: 0
; COMPUTE_PGM_RSRC2:TIDIG_COMP_CNT: 0
; COMPUTE_PGM_RSRC3_GFX90A:ACCUM_OFFSET: 0
; COMPUTE_PGM_RSRC3_GFX90A:TG_SPLIT: 0
	.section	.text._ZN7rocprim17ROCPRIM_400000_NS6detail17trampoline_kernelINS0_14default_configENS1_35radix_sort_onesweep_config_selectorIiiEEZZNS1_29radix_sort_onesweep_iterationIS3_Lb1EN6thrust23THRUST_200600_302600_NS6detail15normal_iteratorINS8_10device_ptrIiEEEESD_SD_SD_jNS0_19identity_decomposerENS1_16block_id_wrapperIjLb1EEEEE10hipError_tT1_PNSt15iterator_traitsISI_E10value_typeET2_T3_PNSJ_ISO_E10value_typeET4_T5_PST_SU_PNS1_23onesweep_lookback_stateEbbT6_jjT7_P12ihipStream_tbENKUlT_T0_SI_SN_E_clISD_SD_SD_SD_EEDaS11_S12_SI_SN_EUlS11_E_NS1_11comp_targetILNS1_3genE0ELNS1_11target_archE4294967295ELNS1_3gpuE0ELNS1_3repE0EEENS1_47radix_sort_onesweep_sort_config_static_selectorELNS0_4arch9wavefront6targetE1EEEvSI_,"axG",@progbits,_ZN7rocprim17ROCPRIM_400000_NS6detail17trampoline_kernelINS0_14default_configENS1_35radix_sort_onesweep_config_selectorIiiEEZZNS1_29radix_sort_onesweep_iterationIS3_Lb1EN6thrust23THRUST_200600_302600_NS6detail15normal_iteratorINS8_10device_ptrIiEEEESD_SD_SD_jNS0_19identity_decomposerENS1_16block_id_wrapperIjLb1EEEEE10hipError_tT1_PNSt15iterator_traitsISI_E10value_typeET2_T3_PNSJ_ISO_E10value_typeET4_T5_PST_SU_PNS1_23onesweep_lookback_stateEbbT6_jjT7_P12ihipStream_tbENKUlT_T0_SI_SN_E_clISD_SD_SD_SD_EEDaS11_S12_SI_SN_EUlS11_E_NS1_11comp_targetILNS1_3genE0ELNS1_11target_archE4294967295ELNS1_3gpuE0ELNS1_3repE0EEENS1_47radix_sort_onesweep_sort_config_static_selectorELNS0_4arch9wavefront6targetE1EEEvSI_,comdat
	.protected	_ZN7rocprim17ROCPRIM_400000_NS6detail17trampoline_kernelINS0_14default_configENS1_35radix_sort_onesweep_config_selectorIiiEEZZNS1_29radix_sort_onesweep_iterationIS3_Lb1EN6thrust23THRUST_200600_302600_NS6detail15normal_iteratorINS8_10device_ptrIiEEEESD_SD_SD_jNS0_19identity_decomposerENS1_16block_id_wrapperIjLb1EEEEE10hipError_tT1_PNSt15iterator_traitsISI_E10value_typeET2_T3_PNSJ_ISO_E10value_typeET4_T5_PST_SU_PNS1_23onesweep_lookback_stateEbbT6_jjT7_P12ihipStream_tbENKUlT_T0_SI_SN_E_clISD_SD_SD_SD_EEDaS11_S12_SI_SN_EUlS11_E_NS1_11comp_targetILNS1_3genE0ELNS1_11target_archE4294967295ELNS1_3gpuE0ELNS1_3repE0EEENS1_47radix_sort_onesweep_sort_config_static_selectorELNS0_4arch9wavefront6targetE1EEEvSI_ ; -- Begin function _ZN7rocprim17ROCPRIM_400000_NS6detail17trampoline_kernelINS0_14default_configENS1_35radix_sort_onesweep_config_selectorIiiEEZZNS1_29radix_sort_onesweep_iterationIS3_Lb1EN6thrust23THRUST_200600_302600_NS6detail15normal_iteratorINS8_10device_ptrIiEEEESD_SD_SD_jNS0_19identity_decomposerENS1_16block_id_wrapperIjLb1EEEEE10hipError_tT1_PNSt15iterator_traitsISI_E10value_typeET2_T3_PNSJ_ISO_E10value_typeET4_T5_PST_SU_PNS1_23onesweep_lookback_stateEbbT6_jjT7_P12ihipStream_tbENKUlT_T0_SI_SN_E_clISD_SD_SD_SD_EEDaS11_S12_SI_SN_EUlS11_E_NS1_11comp_targetILNS1_3genE0ELNS1_11target_archE4294967295ELNS1_3gpuE0ELNS1_3repE0EEENS1_47radix_sort_onesweep_sort_config_static_selectorELNS0_4arch9wavefront6targetE1EEEvSI_
	.globl	_ZN7rocprim17ROCPRIM_400000_NS6detail17trampoline_kernelINS0_14default_configENS1_35radix_sort_onesweep_config_selectorIiiEEZZNS1_29radix_sort_onesweep_iterationIS3_Lb1EN6thrust23THRUST_200600_302600_NS6detail15normal_iteratorINS8_10device_ptrIiEEEESD_SD_SD_jNS0_19identity_decomposerENS1_16block_id_wrapperIjLb1EEEEE10hipError_tT1_PNSt15iterator_traitsISI_E10value_typeET2_T3_PNSJ_ISO_E10value_typeET4_T5_PST_SU_PNS1_23onesweep_lookback_stateEbbT6_jjT7_P12ihipStream_tbENKUlT_T0_SI_SN_E_clISD_SD_SD_SD_EEDaS11_S12_SI_SN_EUlS11_E_NS1_11comp_targetILNS1_3genE0ELNS1_11target_archE4294967295ELNS1_3gpuE0ELNS1_3repE0EEENS1_47radix_sort_onesweep_sort_config_static_selectorELNS0_4arch9wavefront6targetE1EEEvSI_
	.p2align	8
	.type	_ZN7rocprim17ROCPRIM_400000_NS6detail17trampoline_kernelINS0_14default_configENS1_35radix_sort_onesweep_config_selectorIiiEEZZNS1_29radix_sort_onesweep_iterationIS3_Lb1EN6thrust23THRUST_200600_302600_NS6detail15normal_iteratorINS8_10device_ptrIiEEEESD_SD_SD_jNS0_19identity_decomposerENS1_16block_id_wrapperIjLb1EEEEE10hipError_tT1_PNSt15iterator_traitsISI_E10value_typeET2_T3_PNSJ_ISO_E10value_typeET4_T5_PST_SU_PNS1_23onesweep_lookback_stateEbbT6_jjT7_P12ihipStream_tbENKUlT_T0_SI_SN_E_clISD_SD_SD_SD_EEDaS11_S12_SI_SN_EUlS11_E_NS1_11comp_targetILNS1_3genE0ELNS1_11target_archE4294967295ELNS1_3gpuE0ELNS1_3repE0EEENS1_47radix_sort_onesweep_sort_config_static_selectorELNS0_4arch9wavefront6targetE1EEEvSI_,@function
_ZN7rocprim17ROCPRIM_400000_NS6detail17trampoline_kernelINS0_14default_configENS1_35radix_sort_onesweep_config_selectorIiiEEZZNS1_29radix_sort_onesweep_iterationIS3_Lb1EN6thrust23THRUST_200600_302600_NS6detail15normal_iteratorINS8_10device_ptrIiEEEESD_SD_SD_jNS0_19identity_decomposerENS1_16block_id_wrapperIjLb1EEEEE10hipError_tT1_PNSt15iterator_traitsISI_E10value_typeET2_T3_PNSJ_ISO_E10value_typeET4_T5_PST_SU_PNS1_23onesweep_lookback_stateEbbT6_jjT7_P12ihipStream_tbENKUlT_T0_SI_SN_E_clISD_SD_SD_SD_EEDaS11_S12_SI_SN_EUlS11_E_NS1_11comp_targetILNS1_3genE0ELNS1_11target_archE4294967295ELNS1_3gpuE0ELNS1_3repE0EEENS1_47radix_sort_onesweep_sort_config_static_selectorELNS0_4arch9wavefront6targetE1EEEvSI_: ; @_ZN7rocprim17ROCPRIM_400000_NS6detail17trampoline_kernelINS0_14default_configENS1_35radix_sort_onesweep_config_selectorIiiEEZZNS1_29radix_sort_onesweep_iterationIS3_Lb1EN6thrust23THRUST_200600_302600_NS6detail15normal_iteratorINS8_10device_ptrIiEEEESD_SD_SD_jNS0_19identity_decomposerENS1_16block_id_wrapperIjLb1EEEEE10hipError_tT1_PNSt15iterator_traitsISI_E10value_typeET2_T3_PNSJ_ISO_E10value_typeET4_T5_PST_SU_PNS1_23onesweep_lookback_stateEbbT6_jjT7_P12ihipStream_tbENKUlT_T0_SI_SN_E_clISD_SD_SD_SD_EEDaS11_S12_SI_SN_EUlS11_E_NS1_11comp_targetILNS1_3genE0ELNS1_11target_archE4294967295ELNS1_3gpuE0ELNS1_3repE0EEENS1_47radix_sort_onesweep_sort_config_static_selectorELNS0_4arch9wavefront6targetE1EEEvSI_
; %bb.0:
	.section	.rodata,"a",@progbits
	.p2align	6, 0x0
	.amdhsa_kernel _ZN7rocprim17ROCPRIM_400000_NS6detail17trampoline_kernelINS0_14default_configENS1_35radix_sort_onesweep_config_selectorIiiEEZZNS1_29radix_sort_onesweep_iterationIS3_Lb1EN6thrust23THRUST_200600_302600_NS6detail15normal_iteratorINS8_10device_ptrIiEEEESD_SD_SD_jNS0_19identity_decomposerENS1_16block_id_wrapperIjLb1EEEEE10hipError_tT1_PNSt15iterator_traitsISI_E10value_typeET2_T3_PNSJ_ISO_E10value_typeET4_T5_PST_SU_PNS1_23onesweep_lookback_stateEbbT6_jjT7_P12ihipStream_tbENKUlT_T0_SI_SN_E_clISD_SD_SD_SD_EEDaS11_S12_SI_SN_EUlS11_E_NS1_11comp_targetILNS1_3genE0ELNS1_11target_archE4294967295ELNS1_3gpuE0ELNS1_3repE0EEENS1_47radix_sort_onesweep_sort_config_static_selectorELNS0_4arch9wavefront6targetE1EEEvSI_
		.amdhsa_group_segment_fixed_size 0
		.amdhsa_private_segment_fixed_size 0
		.amdhsa_kernarg_size 88
		.amdhsa_user_sgpr_count 2
		.amdhsa_user_sgpr_dispatch_ptr 0
		.amdhsa_user_sgpr_queue_ptr 0
		.amdhsa_user_sgpr_kernarg_segment_ptr 1
		.amdhsa_user_sgpr_dispatch_id 0
		.amdhsa_user_sgpr_kernarg_preload_length 0
		.amdhsa_user_sgpr_kernarg_preload_offset 0
		.amdhsa_user_sgpr_private_segment_size 0
		.amdhsa_uses_dynamic_stack 0
		.amdhsa_enable_private_segment 0
		.amdhsa_system_sgpr_workgroup_id_x 1
		.amdhsa_system_sgpr_workgroup_id_y 0
		.amdhsa_system_sgpr_workgroup_id_z 0
		.amdhsa_system_sgpr_workgroup_info 0
		.amdhsa_system_vgpr_workitem_id 0
		.amdhsa_next_free_vgpr 1
		.amdhsa_next_free_sgpr 0
		.amdhsa_accum_offset 4
		.amdhsa_reserve_vcc 0
		.amdhsa_float_round_mode_32 0
		.amdhsa_float_round_mode_16_64 0
		.amdhsa_float_denorm_mode_32 3
		.amdhsa_float_denorm_mode_16_64 3
		.amdhsa_dx10_clamp 1
		.amdhsa_ieee_mode 1
		.amdhsa_fp16_overflow 0
		.amdhsa_tg_split 0
		.amdhsa_exception_fp_ieee_invalid_op 0
		.amdhsa_exception_fp_denorm_src 0
		.amdhsa_exception_fp_ieee_div_zero 0
		.amdhsa_exception_fp_ieee_overflow 0
		.amdhsa_exception_fp_ieee_underflow 0
		.amdhsa_exception_fp_ieee_inexact 0
		.amdhsa_exception_int_div_zero 0
	.end_amdhsa_kernel
	.section	.text._ZN7rocprim17ROCPRIM_400000_NS6detail17trampoline_kernelINS0_14default_configENS1_35radix_sort_onesweep_config_selectorIiiEEZZNS1_29radix_sort_onesweep_iterationIS3_Lb1EN6thrust23THRUST_200600_302600_NS6detail15normal_iteratorINS8_10device_ptrIiEEEESD_SD_SD_jNS0_19identity_decomposerENS1_16block_id_wrapperIjLb1EEEEE10hipError_tT1_PNSt15iterator_traitsISI_E10value_typeET2_T3_PNSJ_ISO_E10value_typeET4_T5_PST_SU_PNS1_23onesweep_lookback_stateEbbT6_jjT7_P12ihipStream_tbENKUlT_T0_SI_SN_E_clISD_SD_SD_SD_EEDaS11_S12_SI_SN_EUlS11_E_NS1_11comp_targetILNS1_3genE0ELNS1_11target_archE4294967295ELNS1_3gpuE0ELNS1_3repE0EEENS1_47radix_sort_onesweep_sort_config_static_selectorELNS0_4arch9wavefront6targetE1EEEvSI_,"axG",@progbits,_ZN7rocprim17ROCPRIM_400000_NS6detail17trampoline_kernelINS0_14default_configENS1_35radix_sort_onesweep_config_selectorIiiEEZZNS1_29radix_sort_onesweep_iterationIS3_Lb1EN6thrust23THRUST_200600_302600_NS6detail15normal_iteratorINS8_10device_ptrIiEEEESD_SD_SD_jNS0_19identity_decomposerENS1_16block_id_wrapperIjLb1EEEEE10hipError_tT1_PNSt15iterator_traitsISI_E10value_typeET2_T3_PNSJ_ISO_E10value_typeET4_T5_PST_SU_PNS1_23onesweep_lookback_stateEbbT6_jjT7_P12ihipStream_tbENKUlT_T0_SI_SN_E_clISD_SD_SD_SD_EEDaS11_S12_SI_SN_EUlS11_E_NS1_11comp_targetILNS1_3genE0ELNS1_11target_archE4294967295ELNS1_3gpuE0ELNS1_3repE0EEENS1_47radix_sort_onesweep_sort_config_static_selectorELNS0_4arch9wavefront6targetE1EEEvSI_,comdat
.Lfunc_end1837:
	.size	_ZN7rocprim17ROCPRIM_400000_NS6detail17trampoline_kernelINS0_14default_configENS1_35radix_sort_onesweep_config_selectorIiiEEZZNS1_29radix_sort_onesweep_iterationIS3_Lb1EN6thrust23THRUST_200600_302600_NS6detail15normal_iteratorINS8_10device_ptrIiEEEESD_SD_SD_jNS0_19identity_decomposerENS1_16block_id_wrapperIjLb1EEEEE10hipError_tT1_PNSt15iterator_traitsISI_E10value_typeET2_T3_PNSJ_ISO_E10value_typeET4_T5_PST_SU_PNS1_23onesweep_lookback_stateEbbT6_jjT7_P12ihipStream_tbENKUlT_T0_SI_SN_E_clISD_SD_SD_SD_EEDaS11_S12_SI_SN_EUlS11_E_NS1_11comp_targetILNS1_3genE0ELNS1_11target_archE4294967295ELNS1_3gpuE0ELNS1_3repE0EEENS1_47radix_sort_onesweep_sort_config_static_selectorELNS0_4arch9wavefront6targetE1EEEvSI_, .Lfunc_end1837-_ZN7rocprim17ROCPRIM_400000_NS6detail17trampoline_kernelINS0_14default_configENS1_35radix_sort_onesweep_config_selectorIiiEEZZNS1_29radix_sort_onesweep_iterationIS3_Lb1EN6thrust23THRUST_200600_302600_NS6detail15normal_iteratorINS8_10device_ptrIiEEEESD_SD_SD_jNS0_19identity_decomposerENS1_16block_id_wrapperIjLb1EEEEE10hipError_tT1_PNSt15iterator_traitsISI_E10value_typeET2_T3_PNSJ_ISO_E10value_typeET4_T5_PST_SU_PNS1_23onesweep_lookback_stateEbbT6_jjT7_P12ihipStream_tbENKUlT_T0_SI_SN_E_clISD_SD_SD_SD_EEDaS11_S12_SI_SN_EUlS11_E_NS1_11comp_targetILNS1_3genE0ELNS1_11target_archE4294967295ELNS1_3gpuE0ELNS1_3repE0EEENS1_47radix_sort_onesweep_sort_config_static_selectorELNS0_4arch9wavefront6targetE1EEEvSI_
                                        ; -- End function
	.set _ZN7rocprim17ROCPRIM_400000_NS6detail17trampoline_kernelINS0_14default_configENS1_35radix_sort_onesweep_config_selectorIiiEEZZNS1_29radix_sort_onesweep_iterationIS3_Lb1EN6thrust23THRUST_200600_302600_NS6detail15normal_iteratorINS8_10device_ptrIiEEEESD_SD_SD_jNS0_19identity_decomposerENS1_16block_id_wrapperIjLb1EEEEE10hipError_tT1_PNSt15iterator_traitsISI_E10value_typeET2_T3_PNSJ_ISO_E10value_typeET4_T5_PST_SU_PNS1_23onesweep_lookback_stateEbbT6_jjT7_P12ihipStream_tbENKUlT_T0_SI_SN_E_clISD_SD_SD_SD_EEDaS11_S12_SI_SN_EUlS11_E_NS1_11comp_targetILNS1_3genE0ELNS1_11target_archE4294967295ELNS1_3gpuE0ELNS1_3repE0EEENS1_47radix_sort_onesweep_sort_config_static_selectorELNS0_4arch9wavefront6targetE1EEEvSI_.num_vgpr, 0
	.set _ZN7rocprim17ROCPRIM_400000_NS6detail17trampoline_kernelINS0_14default_configENS1_35radix_sort_onesweep_config_selectorIiiEEZZNS1_29radix_sort_onesweep_iterationIS3_Lb1EN6thrust23THRUST_200600_302600_NS6detail15normal_iteratorINS8_10device_ptrIiEEEESD_SD_SD_jNS0_19identity_decomposerENS1_16block_id_wrapperIjLb1EEEEE10hipError_tT1_PNSt15iterator_traitsISI_E10value_typeET2_T3_PNSJ_ISO_E10value_typeET4_T5_PST_SU_PNS1_23onesweep_lookback_stateEbbT6_jjT7_P12ihipStream_tbENKUlT_T0_SI_SN_E_clISD_SD_SD_SD_EEDaS11_S12_SI_SN_EUlS11_E_NS1_11comp_targetILNS1_3genE0ELNS1_11target_archE4294967295ELNS1_3gpuE0ELNS1_3repE0EEENS1_47radix_sort_onesweep_sort_config_static_selectorELNS0_4arch9wavefront6targetE1EEEvSI_.num_agpr, 0
	.set _ZN7rocprim17ROCPRIM_400000_NS6detail17trampoline_kernelINS0_14default_configENS1_35radix_sort_onesweep_config_selectorIiiEEZZNS1_29radix_sort_onesweep_iterationIS3_Lb1EN6thrust23THRUST_200600_302600_NS6detail15normal_iteratorINS8_10device_ptrIiEEEESD_SD_SD_jNS0_19identity_decomposerENS1_16block_id_wrapperIjLb1EEEEE10hipError_tT1_PNSt15iterator_traitsISI_E10value_typeET2_T3_PNSJ_ISO_E10value_typeET4_T5_PST_SU_PNS1_23onesweep_lookback_stateEbbT6_jjT7_P12ihipStream_tbENKUlT_T0_SI_SN_E_clISD_SD_SD_SD_EEDaS11_S12_SI_SN_EUlS11_E_NS1_11comp_targetILNS1_3genE0ELNS1_11target_archE4294967295ELNS1_3gpuE0ELNS1_3repE0EEENS1_47radix_sort_onesweep_sort_config_static_selectorELNS0_4arch9wavefront6targetE1EEEvSI_.numbered_sgpr, 0
	.set _ZN7rocprim17ROCPRIM_400000_NS6detail17trampoline_kernelINS0_14default_configENS1_35radix_sort_onesweep_config_selectorIiiEEZZNS1_29radix_sort_onesweep_iterationIS3_Lb1EN6thrust23THRUST_200600_302600_NS6detail15normal_iteratorINS8_10device_ptrIiEEEESD_SD_SD_jNS0_19identity_decomposerENS1_16block_id_wrapperIjLb1EEEEE10hipError_tT1_PNSt15iterator_traitsISI_E10value_typeET2_T3_PNSJ_ISO_E10value_typeET4_T5_PST_SU_PNS1_23onesweep_lookback_stateEbbT6_jjT7_P12ihipStream_tbENKUlT_T0_SI_SN_E_clISD_SD_SD_SD_EEDaS11_S12_SI_SN_EUlS11_E_NS1_11comp_targetILNS1_3genE0ELNS1_11target_archE4294967295ELNS1_3gpuE0ELNS1_3repE0EEENS1_47radix_sort_onesweep_sort_config_static_selectorELNS0_4arch9wavefront6targetE1EEEvSI_.num_named_barrier, 0
	.set _ZN7rocprim17ROCPRIM_400000_NS6detail17trampoline_kernelINS0_14default_configENS1_35radix_sort_onesweep_config_selectorIiiEEZZNS1_29radix_sort_onesweep_iterationIS3_Lb1EN6thrust23THRUST_200600_302600_NS6detail15normal_iteratorINS8_10device_ptrIiEEEESD_SD_SD_jNS0_19identity_decomposerENS1_16block_id_wrapperIjLb1EEEEE10hipError_tT1_PNSt15iterator_traitsISI_E10value_typeET2_T3_PNSJ_ISO_E10value_typeET4_T5_PST_SU_PNS1_23onesweep_lookback_stateEbbT6_jjT7_P12ihipStream_tbENKUlT_T0_SI_SN_E_clISD_SD_SD_SD_EEDaS11_S12_SI_SN_EUlS11_E_NS1_11comp_targetILNS1_3genE0ELNS1_11target_archE4294967295ELNS1_3gpuE0ELNS1_3repE0EEENS1_47radix_sort_onesweep_sort_config_static_selectorELNS0_4arch9wavefront6targetE1EEEvSI_.private_seg_size, 0
	.set _ZN7rocprim17ROCPRIM_400000_NS6detail17trampoline_kernelINS0_14default_configENS1_35radix_sort_onesweep_config_selectorIiiEEZZNS1_29radix_sort_onesweep_iterationIS3_Lb1EN6thrust23THRUST_200600_302600_NS6detail15normal_iteratorINS8_10device_ptrIiEEEESD_SD_SD_jNS0_19identity_decomposerENS1_16block_id_wrapperIjLb1EEEEE10hipError_tT1_PNSt15iterator_traitsISI_E10value_typeET2_T3_PNSJ_ISO_E10value_typeET4_T5_PST_SU_PNS1_23onesweep_lookback_stateEbbT6_jjT7_P12ihipStream_tbENKUlT_T0_SI_SN_E_clISD_SD_SD_SD_EEDaS11_S12_SI_SN_EUlS11_E_NS1_11comp_targetILNS1_3genE0ELNS1_11target_archE4294967295ELNS1_3gpuE0ELNS1_3repE0EEENS1_47radix_sort_onesweep_sort_config_static_selectorELNS0_4arch9wavefront6targetE1EEEvSI_.uses_vcc, 0
	.set _ZN7rocprim17ROCPRIM_400000_NS6detail17trampoline_kernelINS0_14default_configENS1_35radix_sort_onesweep_config_selectorIiiEEZZNS1_29radix_sort_onesweep_iterationIS3_Lb1EN6thrust23THRUST_200600_302600_NS6detail15normal_iteratorINS8_10device_ptrIiEEEESD_SD_SD_jNS0_19identity_decomposerENS1_16block_id_wrapperIjLb1EEEEE10hipError_tT1_PNSt15iterator_traitsISI_E10value_typeET2_T3_PNSJ_ISO_E10value_typeET4_T5_PST_SU_PNS1_23onesweep_lookback_stateEbbT6_jjT7_P12ihipStream_tbENKUlT_T0_SI_SN_E_clISD_SD_SD_SD_EEDaS11_S12_SI_SN_EUlS11_E_NS1_11comp_targetILNS1_3genE0ELNS1_11target_archE4294967295ELNS1_3gpuE0ELNS1_3repE0EEENS1_47radix_sort_onesweep_sort_config_static_selectorELNS0_4arch9wavefront6targetE1EEEvSI_.uses_flat_scratch, 0
	.set _ZN7rocprim17ROCPRIM_400000_NS6detail17trampoline_kernelINS0_14default_configENS1_35radix_sort_onesweep_config_selectorIiiEEZZNS1_29radix_sort_onesweep_iterationIS3_Lb1EN6thrust23THRUST_200600_302600_NS6detail15normal_iteratorINS8_10device_ptrIiEEEESD_SD_SD_jNS0_19identity_decomposerENS1_16block_id_wrapperIjLb1EEEEE10hipError_tT1_PNSt15iterator_traitsISI_E10value_typeET2_T3_PNSJ_ISO_E10value_typeET4_T5_PST_SU_PNS1_23onesweep_lookback_stateEbbT6_jjT7_P12ihipStream_tbENKUlT_T0_SI_SN_E_clISD_SD_SD_SD_EEDaS11_S12_SI_SN_EUlS11_E_NS1_11comp_targetILNS1_3genE0ELNS1_11target_archE4294967295ELNS1_3gpuE0ELNS1_3repE0EEENS1_47radix_sort_onesweep_sort_config_static_selectorELNS0_4arch9wavefront6targetE1EEEvSI_.has_dyn_sized_stack, 0
	.set _ZN7rocprim17ROCPRIM_400000_NS6detail17trampoline_kernelINS0_14default_configENS1_35radix_sort_onesweep_config_selectorIiiEEZZNS1_29radix_sort_onesweep_iterationIS3_Lb1EN6thrust23THRUST_200600_302600_NS6detail15normal_iteratorINS8_10device_ptrIiEEEESD_SD_SD_jNS0_19identity_decomposerENS1_16block_id_wrapperIjLb1EEEEE10hipError_tT1_PNSt15iterator_traitsISI_E10value_typeET2_T3_PNSJ_ISO_E10value_typeET4_T5_PST_SU_PNS1_23onesweep_lookback_stateEbbT6_jjT7_P12ihipStream_tbENKUlT_T0_SI_SN_E_clISD_SD_SD_SD_EEDaS11_S12_SI_SN_EUlS11_E_NS1_11comp_targetILNS1_3genE0ELNS1_11target_archE4294967295ELNS1_3gpuE0ELNS1_3repE0EEENS1_47radix_sort_onesweep_sort_config_static_selectorELNS0_4arch9wavefront6targetE1EEEvSI_.has_recursion, 0
	.set _ZN7rocprim17ROCPRIM_400000_NS6detail17trampoline_kernelINS0_14default_configENS1_35radix_sort_onesweep_config_selectorIiiEEZZNS1_29radix_sort_onesweep_iterationIS3_Lb1EN6thrust23THRUST_200600_302600_NS6detail15normal_iteratorINS8_10device_ptrIiEEEESD_SD_SD_jNS0_19identity_decomposerENS1_16block_id_wrapperIjLb1EEEEE10hipError_tT1_PNSt15iterator_traitsISI_E10value_typeET2_T3_PNSJ_ISO_E10value_typeET4_T5_PST_SU_PNS1_23onesweep_lookback_stateEbbT6_jjT7_P12ihipStream_tbENKUlT_T0_SI_SN_E_clISD_SD_SD_SD_EEDaS11_S12_SI_SN_EUlS11_E_NS1_11comp_targetILNS1_3genE0ELNS1_11target_archE4294967295ELNS1_3gpuE0ELNS1_3repE0EEENS1_47radix_sort_onesweep_sort_config_static_selectorELNS0_4arch9wavefront6targetE1EEEvSI_.has_indirect_call, 0
	.section	.AMDGPU.csdata,"",@progbits
; Kernel info:
; codeLenInByte = 0
; TotalNumSgprs: 6
; NumVgprs: 0
; NumAgprs: 0
; TotalNumVgprs: 0
; ScratchSize: 0
; MemoryBound: 0
; FloatMode: 240
; IeeeMode: 1
; LDSByteSize: 0 bytes/workgroup (compile time only)
; SGPRBlocks: 0
; VGPRBlocks: 0
; NumSGPRsForWavesPerEU: 6
; NumVGPRsForWavesPerEU: 1
; AccumOffset: 4
; Occupancy: 8
; WaveLimiterHint : 0
; COMPUTE_PGM_RSRC2:SCRATCH_EN: 0
; COMPUTE_PGM_RSRC2:USER_SGPR: 2
; COMPUTE_PGM_RSRC2:TRAP_HANDLER: 0
; COMPUTE_PGM_RSRC2:TGID_X_EN: 1
; COMPUTE_PGM_RSRC2:TGID_Y_EN: 0
; COMPUTE_PGM_RSRC2:TGID_Z_EN: 0
; COMPUTE_PGM_RSRC2:TIDIG_COMP_CNT: 0
; COMPUTE_PGM_RSRC3_GFX90A:ACCUM_OFFSET: 0
; COMPUTE_PGM_RSRC3_GFX90A:TG_SPLIT: 0
	.section	.text._ZN7rocprim17ROCPRIM_400000_NS6detail17trampoline_kernelINS0_14default_configENS1_35radix_sort_onesweep_config_selectorIiiEEZZNS1_29radix_sort_onesweep_iterationIS3_Lb1EN6thrust23THRUST_200600_302600_NS6detail15normal_iteratorINS8_10device_ptrIiEEEESD_SD_SD_jNS0_19identity_decomposerENS1_16block_id_wrapperIjLb1EEEEE10hipError_tT1_PNSt15iterator_traitsISI_E10value_typeET2_T3_PNSJ_ISO_E10value_typeET4_T5_PST_SU_PNS1_23onesweep_lookback_stateEbbT6_jjT7_P12ihipStream_tbENKUlT_T0_SI_SN_E_clISD_SD_SD_SD_EEDaS11_S12_SI_SN_EUlS11_E_NS1_11comp_targetILNS1_3genE6ELNS1_11target_archE950ELNS1_3gpuE13ELNS1_3repE0EEENS1_47radix_sort_onesweep_sort_config_static_selectorELNS0_4arch9wavefront6targetE1EEEvSI_,"axG",@progbits,_ZN7rocprim17ROCPRIM_400000_NS6detail17trampoline_kernelINS0_14default_configENS1_35radix_sort_onesweep_config_selectorIiiEEZZNS1_29radix_sort_onesweep_iterationIS3_Lb1EN6thrust23THRUST_200600_302600_NS6detail15normal_iteratorINS8_10device_ptrIiEEEESD_SD_SD_jNS0_19identity_decomposerENS1_16block_id_wrapperIjLb1EEEEE10hipError_tT1_PNSt15iterator_traitsISI_E10value_typeET2_T3_PNSJ_ISO_E10value_typeET4_T5_PST_SU_PNS1_23onesweep_lookback_stateEbbT6_jjT7_P12ihipStream_tbENKUlT_T0_SI_SN_E_clISD_SD_SD_SD_EEDaS11_S12_SI_SN_EUlS11_E_NS1_11comp_targetILNS1_3genE6ELNS1_11target_archE950ELNS1_3gpuE13ELNS1_3repE0EEENS1_47radix_sort_onesweep_sort_config_static_selectorELNS0_4arch9wavefront6targetE1EEEvSI_,comdat
	.protected	_ZN7rocprim17ROCPRIM_400000_NS6detail17trampoline_kernelINS0_14default_configENS1_35radix_sort_onesweep_config_selectorIiiEEZZNS1_29radix_sort_onesweep_iterationIS3_Lb1EN6thrust23THRUST_200600_302600_NS6detail15normal_iteratorINS8_10device_ptrIiEEEESD_SD_SD_jNS0_19identity_decomposerENS1_16block_id_wrapperIjLb1EEEEE10hipError_tT1_PNSt15iterator_traitsISI_E10value_typeET2_T3_PNSJ_ISO_E10value_typeET4_T5_PST_SU_PNS1_23onesweep_lookback_stateEbbT6_jjT7_P12ihipStream_tbENKUlT_T0_SI_SN_E_clISD_SD_SD_SD_EEDaS11_S12_SI_SN_EUlS11_E_NS1_11comp_targetILNS1_3genE6ELNS1_11target_archE950ELNS1_3gpuE13ELNS1_3repE0EEENS1_47radix_sort_onesweep_sort_config_static_selectorELNS0_4arch9wavefront6targetE1EEEvSI_ ; -- Begin function _ZN7rocprim17ROCPRIM_400000_NS6detail17trampoline_kernelINS0_14default_configENS1_35radix_sort_onesweep_config_selectorIiiEEZZNS1_29radix_sort_onesweep_iterationIS3_Lb1EN6thrust23THRUST_200600_302600_NS6detail15normal_iteratorINS8_10device_ptrIiEEEESD_SD_SD_jNS0_19identity_decomposerENS1_16block_id_wrapperIjLb1EEEEE10hipError_tT1_PNSt15iterator_traitsISI_E10value_typeET2_T3_PNSJ_ISO_E10value_typeET4_T5_PST_SU_PNS1_23onesweep_lookback_stateEbbT6_jjT7_P12ihipStream_tbENKUlT_T0_SI_SN_E_clISD_SD_SD_SD_EEDaS11_S12_SI_SN_EUlS11_E_NS1_11comp_targetILNS1_3genE6ELNS1_11target_archE950ELNS1_3gpuE13ELNS1_3repE0EEENS1_47radix_sort_onesweep_sort_config_static_selectorELNS0_4arch9wavefront6targetE1EEEvSI_
	.globl	_ZN7rocprim17ROCPRIM_400000_NS6detail17trampoline_kernelINS0_14default_configENS1_35radix_sort_onesweep_config_selectorIiiEEZZNS1_29radix_sort_onesweep_iterationIS3_Lb1EN6thrust23THRUST_200600_302600_NS6detail15normal_iteratorINS8_10device_ptrIiEEEESD_SD_SD_jNS0_19identity_decomposerENS1_16block_id_wrapperIjLb1EEEEE10hipError_tT1_PNSt15iterator_traitsISI_E10value_typeET2_T3_PNSJ_ISO_E10value_typeET4_T5_PST_SU_PNS1_23onesweep_lookback_stateEbbT6_jjT7_P12ihipStream_tbENKUlT_T0_SI_SN_E_clISD_SD_SD_SD_EEDaS11_S12_SI_SN_EUlS11_E_NS1_11comp_targetILNS1_3genE6ELNS1_11target_archE950ELNS1_3gpuE13ELNS1_3repE0EEENS1_47radix_sort_onesweep_sort_config_static_selectorELNS0_4arch9wavefront6targetE1EEEvSI_
	.p2align	8
	.type	_ZN7rocprim17ROCPRIM_400000_NS6detail17trampoline_kernelINS0_14default_configENS1_35radix_sort_onesweep_config_selectorIiiEEZZNS1_29radix_sort_onesweep_iterationIS3_Lb1EN6thrust23THRUST_200600_302600_NS6detail15normal_iteratorINS8_10device_ptrIiEEEESD_SD_SD_jNS0_19identity_decomposerENS1_16block_id_wrapperIjLb1EEEEE10hipError_tT1_PNSt15iterator_traitsISI_E10value_typeET2_T3_PNSJ_ISO_E10value_typeET4_T5_PST_SU_PNS1_23onesweep_lookback_stateEbbT6_jjT7_P12ihipStream_tbENKUlT_T0_SI_SN_E_clISD_SD_SD_SD_EEDaS11_S12_SI_SN_EUlS11_E_NS1_11comp_targetILNS1_3genE6ELNS1_11target_archE950ELNS1_3gpuE13ELNS1_3repE0EEENS1_47radix_sort_onesweep_sort_config_static_selectorELNS0_4arch9wavefront6targetE1EEEvSI_,@function
_ZN7rocprim17ROCPRIM_400000_NS6detail17trampoline_kernelINS0_14default_configENS1_35radix_sort_onesweep_config_selectorIiiEEZZNS1_29radix_sort_onesweep_iterationIS3_Lb1EN6thrust23THRUST_200600_302600_NS6detail15normal_iteratorINS8_10device_ptrIiEEEESD_SD_SD_jNS0_19identity_decomposerENS1_16block_id_wrapperIjLb1EEEEE10hipError_tT1_PNSt15iterator_traitsISI_E10value_typeET2_T3_PNSJ_ISO_E10value_typeET4_T5_PST_SU_PNS1_23onesweep_lookback_stateEbbT6_jjT7_P12ihipStream_tbENKUlT_T0_SI_SN_E_clISD_SD_SD_SD_EEDaS11_S12_SI_SN_EUlS11_E_NS1_11comp_targetILNS1_3genE6ELNS1_11target_archE950ELNS1_3gpuE13ELNS1_3repE0EEENS1_47radix_sort_onesweep_sort_config_static_selectorELNS0_4arch9wavefront6targetE1EEEvSI_: ; @_ZN7rocprim17ROCPRIM_400000_NS6detail17trampoline_kernelINS0_14default_configENS1_35radix_sort_onesweep_config_selectorIiiEEZZNS1_29radix_sort_onesweep_iterationIS3_Lb1EN6thrust23THRUST_200600_302600_NS6detail15normal_iteratorINS8_10device_ptrIiEEEESD_SD_SD_jNS0_19identity_decomposerENS1_16block_id_wrapperIjLb1EEEEE10hipError_tT1_PNSt15iterator_traitsISI_E10value_typeET2_T3_PNSJ_ISO_E10value_typeET4_T5_PST_SU_PNS1_23onesweep_lookback_stateEbbT6_jjT7_P12ihipStream_tbENKUlT_T0_SI_SN_E_clISD_SD_SD_SD_EEDaS11_S12_SI_SN_EUlS11_E_NS1_11comp_targetILNS1_3genE6ELNS1_11target_archE950ELNS1_3gpuE13ELNS1_3repE0EEENS1_47radix_sort_onesweep_sort_config_static_selectorELNS0_4arch9wavefront6targetE1EEEvSI_
; %bb.0:
	s_load_dwordx4 s[60:63], s[0:1], 0x28
	s_load_dwordx2 s[68:69], s[0:1], 0x38
	s_load_dwordx4 s[64:67], s[0:1], 0x44
	v_and_b32_e32 v2, 0x3ff, v0
	v_cmp_eq_u32_e64 s[44:45], 0, v2
	s_and_saveexec_b64 s[4:5], s[44:45]
	s_cbranch_execz .LBB1838_4
; %bb.1:
	s_mov_b64 s[8:9], exec
	v_mbcnt_lo_u32_b32 v1, s8, 0
	v_mbcnt_hi_u32_b32 v1, s9, v1
	v_cmp_eq_u32_e32 vcc, 0, v1
                                        ; implicit-def: $vgpr3
	s_and_saveexec_b64 s[6:7], vcc
	s_cbranch_execz .LBB1838_3
; %bb.2:
	s_load_dwordx2 s[10:11], s[0:1], 0x50
	s_bcnt1_i32_b64 s3, s[8:9]
	v_mov_b32_e32 v3, 0
	v_mov_b32_e32 v4, s3
	s_waitcnt lgkmcnt(0)
	global_atomic_add v3, v3, v4, s[10:11] sc0
.LBB1838_3:
	s_or_b64 exec, exec, s[6:7]
	s_waitcnt vmcnt(0)
	v_readfirstlane_b32 s3, v3
	v_mov_b32_e32 v3, 0
	s_nop 0
	v_add_u32_e32 v1, s3, v1
	ds_write_b32 v3, v1 offset:20544
.LBB1838_4:
	s_or_b64 exec, exec, s[4:5]
	v_mov_b32_e32 v5, 0
	s_load_dwordx8 s[52:59], s[0:1], 0x0
	s_load_dword s3, s[0:1], 0x20
	s_waitcnt lgkmcnt(0)
	s_barrier
	ds_read_b32 v1, v5 offset:20544
	s_mov_b64 s[4:5], -1
	v_mbcnt_lo_u32_b32 v3, -1, 0
	s_waitcnt lgkmcnt(0)
	s_barrier
	v_cmp_le_u32_e32 vcc, s66, v1
	v_readfirstlane_b32 s33, v1
	v_lshlrev_b32_e32 v1, 4, v2
	s_cbranch_vccz .LBB1838_208
; %bb.5:
	s_lshl_b32 s4, s66, 14
	s_sub_i32 s3, s3, s4
	s_lshl_b32 s4, s33, 14
	s_mov_b32 s5, 0
	s_lshl_b64 s[66:67], s[4:5], 2
	v_mbcnt_hi_u32_b32 v12, -1, v3
	s_add_u32 s4, s52, s66
	v_and_b32_e32 v10, 63, v12
	s_addc_u32 s5, s53, s67
	v_and_b32_e32 v11, 0x3c00, v1
	v_lshlrev_b32_e32 v4, 2, v10
	v_lshl_add_u64 v[8:9], s[4:5], 0, v[4:5]
	v_lshlrev_b32_e32 v6, 2, v11
	v_mov_b32_e32 v7, v5
	v_or_b32_e32 v10, v10, v11
	v_mov_b32_e32 v14, -1
	v_lshl_add_u64 v[8:9], v[8:9], 0, v[6:7]
	v_cmp_gt_u32_e32 vcc, s3, v10
	v_mov_b32_e32 v5, -1
	s_and_saveexec_b64 s[4:5], vcc
	s_cbranch_execz .LBB1838_7
; %bb.6:
	global_load_dword v5, v[8:9], off
	s_waitcnt vmcnt(0)
	v_xor_b32_e32 v5, 0x7fffffff, v5
.LBB1838_7:
	s_or_b64 exec, exec, s[4:5]
	v_or_b32_e32 v7, 64, v10
	v_cmp_gt_u32_e64 s[4:5], s3, v7
	s_and_saveexec_b64 s[6:7], s[4:5]
	s_cbranch_execz .LBB1838_9
; %bb.8:
	global_load_dword v7, v[8:9], off offset:256
	s_waitcnt vmcnt(0)
	v_xor_b32_e32 v14, 0x7fffffff, v7
.LBB1838_9:
	s_or_b64 exec, exec, s[6:7]
	v_or_b32_e32 v7, 0x80, v10
	v_cmp_gt_u32_e64 s[6:7], s3, v7
	v_mov_b32_e32 v7, -1
	v_mov_b32_e32 v15, -1
	s_and_saveexec_b64 s[8:9], s[6:7]
	s_cbranch_execz .LBB1838_11
; %bb.10:
	global_load_dword v11, v[8:9], off offset:512
	s_waitcnt vmcnt(0)
	v_xor_b32_e32 v15, 0x7fffffff, v11
.LBB1838_11:
	s_or_b64 exec, exec, s[8:9]
	v_or_b32_e32 v11, 0xc0, v10
	v_cmp_gt_u32_e64 s[8:9], s3, v11
	s_and_saveexec_b64 s[10:11], s[8:9]
	s_cbranch_execz .LBB1838_13
; %bb.12:
	global_load_dword v7, v[8:9], off offset:768
	s_waitcnt vmcnt(0)
	v_xor_b32_e32 v7, 0x7fffffff, v7
.LBB1838_13:
	s_or_b64 exec, exec, s[10:11]
	v_or_b32_e32 v11, 0x100, v10
	v_cmp_gt_u32_e64 s[10:11], s3, v11
	v_mov_b32_e32 v16, -1
	v_mov_b32_e32 v17, -1
	s_and_saveexec_b64 s[12:13], s[10:11]
	s_cbranch_execz .LBB1838_15
; %bb.14:
	global_load_dword v11, v[8:9], off offset:1024
	s_waitcnt vmcnt(0)
	v_xor_b32_e32 v17, 0x7fffffff, v11
.LBB1838_15:
	;; [unrolled: 22-line block ×7, first 2 shown]
	s_or_b64 exec, exec, s[34:35]
	v_or_b32_e32 v10, 0x3c0, v10
	v_cmp_gt_u32_e64 s[34:35], s3, v10
	s_and_saveexec_b64 s[36:37], s[34:35]
	s_cbranch_execz .LBB1838_37
; %bb.36:
	global_load_dword v8, v[8:9], off offset:3840
	s_waitcnt vmcnt(0)
	v_xor_b32_e32 v26, 0x7fffffff, v8
.LBB1838_37:
	s_or_b64 exec, exec, s[36:37]
	s_load_dword s36, s[0:1], 0x64
	s_load_dword s70, s[0:1], 0x58
	s_add_u32 s37, s0, 0x58
	s_addc_u32 s38, s1, 0
	v_mov_b32_e32 v9, 0
	s_waitcnt lgkmcnt(0)
	s_lshr_b32 s39, s36, 16
	s_cmp_lt_u32 s2, s70
	s_cselect_b32 s36, 12, 18
	s_add_u32 s36, s37, s36
	s_addc_u32 s37, s38, 0
	global_load_ushort v40, v9, s[36:37]
	v_lshrrev_b32_e32 v29, s64, v5
	s_lshl_b32 s36, -1, s65
	v_bfe_u32 v8, v0, 10, 10
	v_bfe_u32 v11, v0, 20, 10
	v_bitop3_b32 v38, v29, s36, v29 bitop3:0x30
	s_movk_i32 s72, 0x44
	v_mad_u32_u24 v42, v11, s39, v8
	v_and_b32_e32 v8, 1, v38
	v_lshlrev_b32_e32 v11, 30, v38
	v_mov_b32_e32 v10, v9
	v_mov_b32_e32 v30, v9
	s_not_b32 s71, s36
	v_mul_lo_u32 v43, v38, s72
	v_lshlrev_b32_e32 v29, 29, v38
	v_lshlrev_b32_e32 v31, 28, v38
	;; [unrolled: 1-line block ×6, first 2 shown]
	v_lshl_add_u64 v[38:39], v[8:9], 0, -1
	v_cmp_ne_u32_e64 s[36:37], 0, v8
	v_not_b32_e32 v8, v11
	v_mov_b32_e32 v28, v9
	v_mov_b32_e32 v32, v9
	v_cmp_gt_i64_e64 s[38:39], 0, v[10:11]
	v_not_b32_e32 v10, v29
	v_cmp_gt_i64_e64 s[42:43], 0, v[30:31]
	v_not_b32_e32 v11, v31
	v_xor_b32_e32 v31, s37, v39
	v_ashrrev_i32_e32 v8, 31, v8
	v_mov_b32_e32 v34, v9
	v_cmp_gt_i64_e64 s[40:41], 0, v[28:29]
	v_cmp_gt_i64_e64 s[46:47], 0, v[32:33]
	v_not_b32_e32 v28, v33
	v_xor_b32_e32 v32, s36, v38
	v_ashrrev_i32_e32 v10, 31, v10
	v_and_b32_e32 v31, exec_hi, v31
	v_xor_b32_e32 v33, s39, v8
	v_cmp_gt_i64_e64 s[48:49], 0, v[34:35]
	v_ashrrev_i32_e32 v11, 31, v11
	v_and_b32_e32 v32, exec_lo, v32
	v_xor_b32_e32 v8, s38, v8
	v_xor_b32_e32 v34, s41, v10
	v_and_b32_e32 v31, v31, v33
	v_mov_b32_e32 v36, v9
	v_not_b32_e32 v29, v35
	v_ashrrev_i32_e32 v28, 31, v28
	v_xor_b32_e32 v10, s40, v10
	v_xor_b32_e32 v35, s43, v11
	v_and_b32_e32 v8, v32, v8
	v_and_b32_e32 v31, v31, v34
	v_cmp_gt_i64_e64 s[50:51], 0, v[36:37]
	v_not_b32_e32 v30, v37
	v_ashrrev_i32_e32 v29, 31, v29
	v_xor_b32_e32 v36, s47, v28
	v_and_b32_e32 v8, v8, v10
	v_and_b32_e32 v10, v31, v35
	v_ashrrev_i32_e32 v30, 31, v30
	v_xor_b32_e32 v11, s42, v11
	v_xor_b32_e32 v37, s49, v29
	v_and_b32_e32 v10, v10, v36
	v_xor_b32_e32 v28, s46, v28
	v_xor_b32_e32 v38, s51, v30
	v_and_b32_e32 v8, v8, v11
	v_and_b32_e32 v10, v10, v37
	;; [unrolled: 1-line block ×4, first 2 shown]
	v_xor_b32_e32 v29, s48, v29
	v_xor_b32_e32 v30, s50, v30
	v_and_b32_e32 v8, v8, v29
	v_and_b32_e32 v8, v8, v30
	v_mul_u32_u24_e32 v13, 20, v2
	ds_write2_b32 v13, v9, v9 offset0:16 offset1:17
	ds_write2_b32 v13, v9, v9 offset0:18 offset1:19
	ds_write_b32 v13, v9 offset:80
	s_waitcnt lgkmcnt(0)
	s_barrier
	s_waitcnt vmcnt(0)
	; wave barrier
	v_mad_u64_u32 v[10:11], s[36:37], v42, v40, v[2:3]
	v_lshrrev_b32_e32 v39, 6, v10
	v_mov_b32_e32 v40, v9
	v_not_b32_e32 v10, v41
	v_cmp_gt_i64_e64 s[36:37], 0, v[40:41]
	v_ashrrev_i32_e32 v10, 31, v10
	v_lshl_add_u32 v32, v39, 2, v43
	v_xor_b32_e32 v11, s37, v10
	v_xor_b32_e32 v10, s36, v10
	v_and_b32_e32 v10, v8, v10
	v_and_b32_e32 v11, v28, v11
	v_mbcnt_lo_u32_b32 v8, v10, 0
	v_mbcnt_hi_u32_b32 v29, v11, v8
	v_cmp_eq_u32_e64 s[36:37], 0, v29
	v_cmp_ne_u64_e64 s[38:39], 0, v[10:11]
	s_and_b64 s[38:39], s[38:39], s[36:37]
	s_and_saveexec_b64 s[36:37], s[38:39]
; %bb.38:
	v_bcnt_u32_b32 v8, v10, 0
	v_bcnt_u32_b32 v8, v11, v8
	ds_write_b32 v32, v8 offset:64
; %bb.39:
	s_or_b64 exec, exec, s[36:37]
	v_lshrrev_b32_e32 v8, s64, v14
	v_and_b32_e32 v30, s71, v8
	v_mul_lo_u32 v8, v30, s72
	v_lshl_add_u32 v34, v39, 2, v8
	v_and_b32_e32 v8, 1, v30
	v_lshl_add_u64 v[10:11], v[8:9], 0, -1
	v_cmp_ne_u32_e64 s[36:37], 0, v8
	; wave barrier
	s_nop 1
	v_xor_b32_e32 v10, s36, v10
	v_xor_b32_e32 v8, s37, v11
	v_and_b32_e32 v31, exec_lo, v10
	v_lshlrev_b32_e32 v11, 30, v30
	v_mov_b32_e32 v10, v9
	v_cmp_gt_i64_e64 s[36:37], 0, v[10:11]
	v_not_b32_e32 v10, v11
	v_ashrrev_i32_e32 v10, 31, v10
	v_and_b32_e32 v8, exec_hi, v8
	v_xor_b32_e32 v11, s37, v10
	v_xor_b32_e32 v10, s36, v10
	v_and_b32_e32 v8, v8, v11
	v_and_b32_e32 v31, v31, v10
	v_lshlrev_b32_e32 v11, 29, v30
	v_mov_b32_e32 v10, v9
	v_cmp_gt_i64_e64 s[36:37], 0, v[10:11]
	v_not_b32_e32 v10, v11
	v_ashrrev_i32_e32 v10, 31, v10
	v_xor_b32_e32 v11, s37, v10
	v_xor_b32_e32 v10, s36, v10
	v_and_b32_e32 v8, v8, v11
	v_and_b32_e32 v31, v31, v10
	v_lshlrev_b32_e32 v11, 28, v30
	v_mov_b32_e32 v10, v9
	v_cmp_gt_i64_e64 s[36:37], 0, v[10:11]
	v_not_b32_e32 v10, v11
	v_ashrrev_i32_e32 v10, 31, v10
	;; [unrolled: 9-line block ×5, first 2 shown]
	v_xor_b32_e32 v11, s37, v10
	v_xor_b32_e32 v10, s36, v10
	v_and_b32_e32 v8, v8, v11
	v_lshlrev_b32_e32 v11, 24, v30
	v_and_b32_e32 v31, v31, v10
	v_mov_b32_e32 v10, v9
	v_not_b32_e32 v9, v11
	v_cmp_gt_i64_e64 s[36:37], 0, v[10:11]
	v_ashrrev_i32_e32 v9, 31, v9
	ds_read_b32 v28, v34 offset:64
	v_xor_b32_e32 v10, s37, v9
	v_xor_b32_e32 v11, s36, v9
	v_and_b32_e32 v9, v8, v10
	v_and_b32_e32 v8, v31, v11
	v_mbcnt_lo_u32_b32 v10, v8, 0
	v_mbcnt_hi_u32_b32 v30, v9, v10
	v_cmp_eq_u32_e64 s[36:37], 0, v30
	v_cmp_ne_u64_e64 s[38:39], 0, v[8:9]
	s_and_b64 s[38:39], s[38:39], s[36:37]
	; wave barrier
	s_and_saveexec_b64 s[36:37], s[38:39]
	s_cbranch_execz .LBB1838_41
; %bb.40:
	v_bcnt_u32_b32 v8, v8, 0
	v_bcnt_u32_b32 v8, v9, v8
	s_waitcnt lgkmcnt(0)
	v_add_u32_e32 v8, v28, v8
	ds_write_b32 v34, v8 offset:64
.LBB1838_41:
	s_or_b64 exec, exec, s[36:37]
	v_lshrrev_b32_e32 v8, s64, v15
	v_and_b32_e32 v33, s71, v8
	s_movk_i32 s40, 0x44
	v_mul_lo_u32 v8, v33, s40
	v_lshl_add_u32 v37, v39, 2, v8
	v_and_b32_e32 v8, 1, v33
	v_mov_b32_e32 v9, 0
	v_lshl_add_u64 v[10:11], v[8:9], 0, -1
	v_cmp_ne_u32_e64 s[36:37], 0, v8
	; wave barrier
	s_nop 1
	v_xor_b32_e32 v10, s36, v10
	v_xor_b32_e32 v8, s37, v11
	v_and_b32_e32 v35, exec_lo, v10
	v_lshlrev_b32_e32 v11, 30, v33
	v_mov_b32_e32 v10, v9
	v_cmp_gt_i64_e64 s[36:37], 0, v[10:11]
	v_not_b32_e32 v10, v11
	v_ashrrev_i32_e32 v10, 31, v10
	v_and_b32_e32 v8, exec_hi, v8
	v_xor_b32_e32 v11, s37, v10
	v_xor_b32_e32 v10, s36, v10
	v_and_b32_e32 v8, v8, v11
	v_and_b32_e32 v35, v35, v10
	v_lshlrev_b32_e32 v11, 29, v33
	v_mov_b32_e32 v10, v9
	v_cmp_gt_i64_e64 s[36:37], 0, v[10:11]
	v_not_b32_e32 v10, v11
	v_ashrrev_i32_e32 v10, 31, v10
	v_xor_b32_e32 v11, s37, v10
	v_xor_b32_e32 v10, s36, v10
	v_and_b32_e32 v8, v8, v11
	v_and_b32_e32 v35, v35, v10
	v_lshlrev_b32_e32 v11, 28, v33
	v_mov_b32_e32 v10, v9
	v_cmp_gt_i64_e64 s[36:37], 0, v[10:11]
	v_not_b32_e32 v10, v11
	v_ashrrev_i32_e32 v10, 31, v10
	v_xor_b32_e32 v11, s37, v10
	v_xor_b32_e32 v10, s36, v10
	v_and_b32_e32 v8, v8, v11
	v_and_b32_e32 v35, v35, v10
	v_lshlrev_b32_e32 v11, 27, v33
	v_mov_b32_e32 v10, v9
	v_cmp_gt_i64_e64 s[36:37], 0, v[10:11]
	v_not_b32_e32 v10, v11
	v_ashrrev_i32_e32 v10, 31, v10
	v_xor_b32_e32 v11, s37, v10
	v_xor_b32_e32 v10, s36, v10
	v_and_b32_e32 v8, v8, v11
	v_and_b32_e32 v35, v35, v10
	v_lshlrev_b32_e32 v11, 26, v33
	v_mov_b32_e32 v10, v9
	v_cmp_gt_i64_e64 s[36:37], 0, v[10:11]
	v_not_b32_e32 v10, v11
	v_ashrrev_i32_e32 v10, 31, v10
	v_xor_b32_e32 v11, s37, v10
	v_xor_b32_e32 v10, s36, v10
	v_and_b32_e32 v8, v8, v11
	v_and_b32_e32 v35, v35, v10
	v_lshlrev_b32_e32 v11, 25, v33
	v_mov_b32_e32 v10, v9
	v_cmp_gt_i64_e64 s[36:37], 0, v[10:11]
	v_not_b32_e32 v10, v11
	v_ashrrev_i32_e32 v10, 31, v10
	v_xor_b32_e32 v11, s37, v10
	v_xor_b32_e32 v10, s36, v10
	v_and_b32_e32 v8, v8, v11
	v_and_b32_e32 v35, v35, v10
	v_lshlrev_b32_e32 v11, 24, v33
	v_mov_b32_e32 v10, v9
	v_cmp_gt_i64_e64 s[36:37], 0, v[10:11]
	v_not_b32_e32 v10, v11
	v_ashrrev_i32_e32 v10, 31, v10
	v_xor_b32_e32 v11, s37, v10
	v_xor_b32_e32 v10, s36, v10
	ds_read_b32 v31, v37 offset:64
	v_and_b32_e32 v10, v35, v10
	v_and_b32_e32 v11, v8, v11
	v_mbcnt_lo_u32_b32 v8, v10, 0
	v_mbcnt_hi_u32_b32 v33, v11, v8
	v_cmp_eq_u32_e64 s[36:37], 0, v33
	v_cmp_ne_u64_e64 s[38:39], 0, v[10:11]
	s_and_b64 s[38:39], s[38:39], s[36:37]
	; wave barrier
	s_and_saveexec_b64 s[36:37], s[38:39]
	s_cbranch_execz .LBB1838_43
; %bb.42:
	v_bcnt_u32_b32 v8, v10, 0
	v_bcnt_u32_b32 v8, v11, v8
	s_waitcnt lgkmcnt(0)
	v_add_u32_e32 v8, v31, v8
	ds_write_b32 v37, v8 offset:64
.LBB1838_43:
	s_or_b64 exec, exec, s[36:37]
	v_lshrrev_b32_e32 v8, s64, v7
	v_and_b32_e32 v36, s71, v8
	v_mul_lo_u32 v8, v36, s40
	v_lshl_add_u32 v41, v39, 2, v8
	v_and_b32_e32 v8, 1, v36
	v_lshl_add_u64 v[10:11], v[8:9], 0, -1
	v_cmp_ne_u32_e64 s[36:37], 0, v8
	; wave barrier
	s_nop 1
	v_xor_b32_e32 v10, s36, v10
	v_xor_b32_e32 v8, s37, v11
	v_and_b32_e32 v38, exec_lo, v10
	v_lshlrev_b32_e32 v11, 30, v36
	v_mov_b32_e32 v10, v9
	v_cmp_gt_i64_e64 s[36:37], 0, v[10:11]
	v_not_b32_e32 v10, v11
	v_ashrrev_i32_e32 v10, 31, v10
	v_and_b32_e32 v8, exec_hi, v8
	v_xor_b32_e32 v11, s37, v10
	v_xor_b32_e32 v10, s36, v10
	v_and_b32_e32 v8, v8, v11
	v_and_b32_e32 v38, v38, v10
	v_lshlrev_b32_e32 v11, 29, v36
	v_mov_b32_e32 v10, v9
	v_cmp_gt_i64_e64 s[36:37], 0, v[10:11]
	v_not_b32_e32 v10, v11
	v_ashrrev_i32_e32 v10, 31, v10
	v_xor_b32_e32 v11, s37, v10
	v_xor_b32_e32 v10, s36, v10
	v_and_b32_e32 v8, v8, v11
	v_and_b32_e32 v38, v38, v10
	v_lshlrev_b32_e32 v11, 28, v36
	v_mov_b32_e32 v10, v9
	v_cmp_gt_i64_e64 s[36:37], 0, v[10:11]
	v_not_b32_e32 v10, v11
	v_ashrrev_i32_e32 v10, 31, v10
	;; [unrolled: 9-line block ×5, first 2 shown]
	v_xor_b32_e32 v11, s37, v10
	v_xor_b32_e32 v10, s36, v10
	v_and_b32_e32 v8, v8, v11
	v_lshlrev_b32_e32 v11, 24, v36
	v_and_b32_e32 v38, v38, v10
	v_mov_b32_e32 v10, v9
	v_not_b32_e32 v9, v11
	v_cmp_gt_i64_e64 s[36:37], 0, v[10:11]
	v_ashrrev_i32_e32 v9, 31, v9
	ds_read_b32 v35, v41 offset:64
	v_xor_b32_e32 v10, s37, v9
	v_xor_b32_e32 v11, s36, v9
	v_and_b32_e32 v9, v8, v10
	v_and_b32_e32 v8, v38, v11
	v_mbcnt_lo_u32_b32 v10, v8, 0
	v_mbcnt_hi_u32_b32 v36, v9, v10
	v_cmp_eq_u32_e64 s[36:37], 0, v36
	v_cmp_ne_u64_e64 s[38:39], 0, v[8:9]
	s_and_b64 s[38:39], s[38:39], s[36:37]
	; wave barrier
	s_and_saveexec_b64 s[36:37], s[38:39]
	s_cbranch_execz .LBB1838_45
; %bb.44:
	v_bcnt_u32_b32 v8, v8, 0
	v_bcnt_u32_b32 v8, v9, v8
	s_waitcnt lgkmcnt(0)
	v_add_u32_e32 v8, v35, v8
	ds_write_b32 v41, v8 offset:64
.LBB1838_45:
	s_or_b64 exec, exec, s[36:37]
	v_lshrrev_b32_e32 v8, s64, v17
	v_and_b32_e32 v40, s71, v8
	v_mul_lo_u32 v8, v40, s40
	v_lshl_add_u32 v44, v39, 2, v8
	v_and_b32_e32 v8, 1, v40
	v_mov_b32_e32 v9, 0
	v_lshl_add_u64 v[10:11], v[8:9], 0, -1
	v_cmp_ne_u32_e64 s[36:37], 0, v8
	; wave barrier
	s_nop 1
	v_xor_b32_e32 v10, s36, v10
	v_xor_b32_e32 v8, s37, v11
	v_and_b32_e32 v42, exec_lo, v10
	v_lshlrev_b32_e32 v11, 30, v40
	v_mov_b32_e32 v10, v9
	v_cmp_gt_i64_e64 s[36:37], 0, v[10:11]
	v_not_b32_e32 v10, v11
	v_ashrrev_i32_e32 v10, 31, v10
	v_and_b32_e32 v8, exec_hi, v8
	v_xor_b32_e32 v11, s37, v10
	v_xor_b32_e32 v10, s36, v10
	v_and_b32_e32 v8, v8, v11
	v_and_b32_e32 v42, v42, v10
	v_lshlrev_b32_e32 v11, 29, v40
	v_mov_b32_e32 v10, v9
	v_cmp_gt_i64_e64 s[36:37], 0, v[10:11]
	v_not_b32_e32 v10, v11
	v_ashrrev_i32_e32 v10, 31, v10
	v_xor_b32_e32 v11, s37, v10
	v_xor_b32_e32 v10, s36, v10
	v_and_b32_e32 v8, v8, v11
	v_and_b32_e32 v42, v42, v10
	v_lshlrev_b32_e32 v11, 28, v40
	v_mov_b32_e32 v10, v9
	v_cmp_gt_i64_e64 s[36:37], 0, v[10:11]
	v_not_b32_e32 v10, v11
	v_ashrrev_i32_e32 v10, 31, v10
	;; [unrolled: 9-line block ×6, first 2 shown]
	v_xor_b32_e32 v11, s37, v10
	v_xor_b32_e32 v10, s36, v10
	ds_read_b32 v38, v44 offset:64
	v_and_b32_e32 v10, v42, v10
	v_and_b32_e32 v11, v8, v11
	v_mbcnt_lo_u32_b32 v8, v10, 0
	v_mbcnt_hi_u32_b32 v40, v11, v8
	v_cmp_eq_u32_e64 s[36:37], 0, v40
	v_cmp_ne_u64_e64 s[38:39], 0, v[10:11]
	s_and_b64 s[38:39], s[38:39], s[36:37]
	; wave barrier
	s_and_saveexec_b64 s[36:37], s[38:39]
	s_cbranch_execz .LBB1838_47
; %bb.46:
	v_bcnt_u32_b32 v8, v10, 0
	v_bcnt_u32_b32 v8, v11, v8
	s_waitcnt lgkmcnt(0)
	v_add_u32_e32 v8, v38, v8
	ds_write_b32 v44, v8 offset:64
.LBB1838_47:
	s_or_b64 exec, exec, s[36:37]
	v_lshrrev_b32_e32 v8, s64, v16
	v_and_b32_e32 v43, s71, v8
	v_mul_lo_u32 v8, v43, s40
	v_lshl_add_u32 v46, v39, 2, v8
	v_and_b32_e32 v8, 1, v43
	v_lshl_add_u64 v[10:11], v[8:9], 0, -1
	v_cmp_ne_u32_e64 s[36:37], 0, v8
	; wave barrier
	s_nop 1
	v_xor_b32_e32 v10, s36, v10
	v_xor_b32_e32 v8, s37, v11
	v_and_b32_e32 v45, exec_lo, v10
	v_lshlrev_b32_e32 v11, 30, v43
	v_mov_b32_e32 v10, v9
	v_cmp_gt_i64_e64 s[36:37], 0, v[10:11]
	v_not_b32_e32 v10, v11
	v_ashrrev_i32_e32 v10, 31, v10
	v_and_b32_e32 v8, exec_hi, v8
	v_xor_b32_e32 v11, s37, v10
	v_xor_b32_e32 v10, s36, v10
	v_and_b32_e32 v8, v8, v11
	v_and_b32_e32 v45, v45, v10
	v_lshlrev_b32_e32 v11, 29, v43
	v_mov_b32_e32 v10, v9
	v_cmp_gt_i64_e64 s[36:37], 0, v[10:11]
	v_not_b32_e32 v10, v11
	v_ashrrev_i32_e32 v10, 31, v10
	v_xor_b32_e32 v11, s37, v10
	v_xor_b32_e32 v10, s36, v10
	v_and_b32_e32 v8, v8, v11
	v_and_b32_e32 v45, v45, v10
	v_lshlrev_b32_e32 v11, 28, v43
	v_mov_b32_e32 v10, v9
	v_cmp_gt_i64_e64 s[36:37], 0, v[10:11]
	v_not_b32_e32 v10, v11
	v_ashrrev_i32_e32 v10, 31, v10
	v_xor_b32_e32 v11, s37, v10
	v_xor_b32_e32 v10, s36, v10
	v_and_b32_e32 v8, v8, v11
	v_and_b32_e32 v45, v45, v10
	v_lshlrev_b32_e32 v11, 27, v43
	v_mov_b32_e32 v10, v9
	v_cmp_gt_i64_e64 s[36:37], 0, v[10:11]
	v_not_b32_e32 v10, v11
	v_ashrrev_i32_e32 v10, 31, v10
	v_xor_b32_e32 v11, s37, v10
	v_xor_b32_e32 v10, s36, v10
	v_and_b32_e32 v8, v8, v11
	v_and_b32_e32 v45, v45, v10
	v_lshlrev_b32_e32 v11, 26, v43
	v_mov_b32_e32 v10, v9
	v_cmp_gt_i64_e64 s[36:37], 0, v[10:11]
	v_not_b32_e32 v10, v11
	v_ashrrev_i32_e32 v10, 31, v10
	v_xor_b32_e32 v11, s37, v10
	v_xor_b32_e32 v10, s36, v10
	v_and_b32_e32 v8, v8, v11
	v_and_b32_e32 v45, v45, v10
	v_lshlrev_b32_e32 v11, 25, v43
	v_mov_b32_e32 v10, v9
	v_cmp_gt_i64_e64 s[36:37], 0, v[10:11]
	v_not_b32_e32 v10, v11
	v_ashrrev_i32_e32 v10, 31, v10
	v_xor_b32_e32 v11, s37, v10
	v_xor_b32_e32 v10, s36, v10
	v_and_b32_e32 v8, v8, v11
	v_lshlrev_b32_e32 v11, 24, v43
	v_and_b32_e32 v45, v45, v10
	v_mov_b32_e32 v10, v9
	v_not_b32_e32 v9, v11
	v_cmp_gt_i64_e64 s[36:37], 0, v[10:11]
	v_ashrrev_i32_e32 v9, 31, v9
	ds_read_b32 v42, v46 offset:64
	v_xor_b32_e32 v10, s37, v9
	v_xor_b32_e32 v11, s36, v9
	v_and_b32_e32 v9, v8, v10
	v_and_b32_e32 v8, v45, v11
	v_mbcnt_lo_u32_b32 v10, v8, 0
	v_mbcnt_hi_u32_b32 v43, v9, v10
	v_cmp_eq_u32_e64 s[36:37], 0, v43
	v_cmp_ne_u64_e64 s[38:39], 0, v[8:9]
	s_and_b64 s[38:39], s[38:39], s[36:37]
	; wave barrier
	s_and_saveexec_b64 s[36:37], s[38:39]
	s_cbranch_execz .LBB1838_49
; %bb.48:
	v_bcnt_u32_b32 v8, v8, 0
	v_bcnt_u32_b32 v8, v9, v8
	s_waitcnt lgkmcnt(0)
	v_add_u32_e32 v8, v42, v8
	ds_write_b32 v46, v8 offset:64
.LBB1838_49:
	s_or_b64 exec, exec, s[36:37]
	v_lshrrev_b32_e32 v8, s64, v19
	v_and_b32_e32 v47, s71, v8
	v_mul_lo_u32 v8, v47, s40
	v_lshl_add_u32 v49, v39, 2, v8
	v_and_b32_e32 v8, 1, v47
	v_mov_b32_e32 v9, 0
	v_lshl_add_u64 v[10:11], v[8:9], 0, -1
	v_cmp_ne_u32_e64 s[36:37], 0, v8
	; wave barrier
	s_nop 1
	v_xor_b32_e32 v10, s36, v10
	v_xor_b32_e32 v8, s37, v11
	v_and_b32_e32 v48, exec_lo, v10
	v_lshlrev_b32_e32 v11, 30, v47
	v_mov_b32_e32 v10, v9
	v_cmp_gt_i64_e64 s[36:37], 0, v[10:11]
	v_not_b32_e32 v10, v11
	v_ashrrev_i32_e32 v10, 31, v10
	v_and_b32_e32 v8, exec_hi, v8
	v_xor_b32_e32 v11, s37, v10
	v_xor_b32_e32 v10, s36, v10
	v_and_b32_e32 v8, v8, v11
	v_and_b32_e32 v48, v48, v10
	v_lshlrev_b32_e32 v11, 29, v47
	v_mov_b32_e32 v10, v9
	v_cmp_gt_i64_e64 s[36:37], 0, v[10:11]
	v_not_b32_e32 v10, v11
	v_ashrrev_i32_e32 v10, 31, v10
	v_xor_b32_e32 v11, s37, v10
	v_xor_b32_e32 v10, s36, v10
	v_and_b32_e32 v8, v8, v11
	v_and_b32_e32 v48, v48, v10
	v_lshlrev_b32_e32 v11, 28, v47
	v_mov_b32_e32 v10, v9
	v_cmp_gt_i64_e64 s[36:37], 0, v[10:11]
	v_not_b32_e32 v10, v11
	v_ashrrev_i32_e32 v10, 31, v10
	;; [unrolled: 9-line block ×6, first 2 shown]
	v_xor_b32_e32 v11, s37, v10
	v_xor_b32_e32 v10, s36, v10
	ds_read_b32 v45, v49 offset:64
	v_and_b32_e32 v10, v48, v10
	v_and_b32_e32 v11, v8, v11
	v_mbcnt_lo_u32_b32 v8, v10, 0
	v_mbcnt_hi_u32_b32 v47, v11, v8
	v_cmp_eq_u32_e64 s[36:37], 0, v47
	v_cmp_ne_u64_e64 s[38:39], 0, v[10:11]
	s_and_b64 s[38:39], s[38:39], s[36:37]
	; wave barrier
	s_and_saveexec_b64 s[36:37], s[38:39]
	s_cbranch_execz .LBB1838_51
; %bb.50:
	v_bcnt_u32_b32 v8, v10, 0
	v_bcnt_u32_b32 v8, v11, v8
	s_waitcnt lgkmcnt(0)
	v_add_u32_e32 v8, v45, v8
	ds_write_b32 v49, v8 offset:64
.LBB1838_51:
	s_or_b64 exec, exec, s[36:37]
	v_lshrrev_b32_e32 v8, s64, v18
	v_and_b32_e32 v50, s71, v8
	v_mul_lo_u32 v8, v50, s40
	v_lshl_add_u32 v52, v39, 2, v8
	v_and_b32_e32 v8, 1, v50
	v_lshl_add_u64 v[10:11], v[8:9], 0, -1
	v_cmp_ne_u32_e64 s[36:37], 0, v8
	; wave barrier
	s_nop 1
	v_xor_b32_e32 v10, s36, v10
	v_xor_b32_e32 v8, s37, v11
	v_and_b32_e32 v51, exec_lo, v10
	v_lshlrev_b32_e32 v11, 30, v50
	v_mov_b32_e32 v10, v9
	v_cmp_gt_i64_e64 s[36:37], 0, v[10:11]
	v_not_b32_e32 v10, v11
	v_ashrrev_i32_e32 v10, 31, v10
	v_and_b32_e32 v8, exec_hi, v8
	v_xor_b32_e32 v11, s37, v10
	v_xor_b32_e32 v10, s36, v10
	v_and_b32_e32 v8, v8, v11
	v_and_b32_e32 v51, v51, v10
	v_lshlrev_b32_e32 v11, 29, v50
	v_mov_b32_e32 v10, v9
	v_cmp_gt_i64_e64 s[36:37], 0, v[10:11]
	v_not_b32_e32 v10, v11
	v_ashrrev_i32_e32 v10, 31, v10
	v_xor_b32_e32 v11, s37, v10
	v_xor_b32_e32 v10, s36, v10
	v_and_b32_e32 v8, v8, v11
	v_and_b32_e32 v51, v51, v10
	v_lshlrev_b32_e32 v11, 28, v50
	v_mov_b32_e32 v10, v9
	v_cmp_gt_i64_e64 s[36:37], 0, v[10:11]
	v_not_b32_e32 v10, v11
	v_ashrrev_i32_e32 v10, 31, v10
	;; [unrolled: 9-line block ×5, first 2 shown]
	v_xor_b32_e32 v11, s37, v10
	v_xor_b32_e32 v10, s36, v10
	v_and_b32_e32 v8, v8, v11
	v_lshlrev_b32_e32 v11, 24, v50
	v_and_b32_e32 v51, v51, v10
	v_mov_b32_e32 v10, v9
	v_not_b32_e32 v9, v11
	v_cmp_gt_i64_e64 s[36:37], 0, v[10:11]
	v_ashrrev_i32_e32 v9, 31, v9
	ds_read_b32 v48, v52 offset:64
	v_xor_b32_e32 v10, s37, v9
	v_xor_b32_e32 v11, s36, v9
	v_and_b32_e32 v9, v8, v10
	v_and_b32_e32 v8, v51, v11
	v_mbcnt_lo_u32_b32 v10, v8, 0
	v_mbcnt_hi_u32_b32 v50, v9, v10
	v_cmp_eq_u32_e64 s[36:37], 0, v50
	v_cmp_ne_u64_e64 s[38:39], 0, v[8:9]
	s_and_b64 s[38:39], s[38:39], s[36:37]
	; wave barrier
	s_and_saveexec_b64 s[36:37], s[38:39]
	s_cbranch_execz .LBB1838_53
; %bb.52:
	v_bcnt_u32_b32 v8, v8, 0
	v_bcnt_u32_b32 v8, v9, v8
	s_waitcnt lgkmcnt(0)
	v_add_u32_e32 v8, v48, v8
	ds_write_b32 v52, v8 offset:64
.LBB1838_53:
	s_or_b64 exec, exec, s[36:37]
	v_lshrrev_b32_e32 v8, s64, v21
	v_and_b32_e32 v53, s71, v8
	v_mul_lo_u32 v8, v53, s40
	v_lshl_add_u32 v55, v39, 2, v8
	v_and_b32_e32 v8, 1, v53
	v_mov_b32_e32 v9, 0
	v_lshl_add_u64 v[10:11], v[8:9], 0, -1
	v_cmp_ne_u32_e64 s[36:37], 0, v8
	; wave barrier
	s_nop 1
	v_xor_b32_e32 v10, s36, v10
	v_xor_b32_e32 v8, s37, v11
	v_and_b32_e32 v54, exec_lo, v10
	v_lshlrev_b32_e32 v11, 30, v53
	v_mov_b32_e32 v10, v9
	v_cmp_gt_i64_e64 s[36:37], 0, v[10:11]
	v_not_b32_e32 v10, v11
	v_ashrrev_i32_e32 v10, 31, v10
	v_and_b32_e32 v8, exec_hi, v8
	v_xor_b32_e32 v11, s37, v10
	v_xor_b32_e32 v10, s36, v10
	v_and_b32_e32 v8, v8, v11
	v_and_b32_e32 v54, v54, v10
	v_lshlrev_b32_e32 v11, 29, v53
	v_mov_b32_e32 v10, v9
	v_cmp_gt_i64_e64 s[36:37], 0, v[10:11]
	v_not_b32_e32 v10, v11
	v_ashrrev_i32_e32 v10, 31, v10
	v_xor_b32_e32 v11, s37, v10
	v_xor_b32_e32 v10, s36, v10
	v_and_b32_e32 v8, v8, v11
	v_and_b32_e32 v54, v54, v10
	v_lshlrev_b32_e32 v11, 28, v53
	v_mov_b32_e32 v10, v9
	v_cmp_gt_i64_e64 s[36:37], 0, v[10:11]
	v_not_b32_e32 v10, v11
	v_ashrrev_i32_e32 v10, 31, v10
	v_xor_b32_e32 v11, s37, v10
	v_xor_b32_e32 v10, s36, v10
	v_and_b32_e32 v8, v8, v11
	v_and_b32_e32 v54, v54, v10
	v_lshlrev_b32_e32 v11, 27, v53
	v_mov_b32_e32 v10, v9
	v_cmp_gt_i64_e64 s[36:37], 0, v[10:11]
	v_not_b32_e32 v10, v11
	v_ashrrev_i32_e32 v10, 31, v10
	v_xor_b32_e32 v11, s37, v10
	v_xor_b32_e32 v10, s36, v10
	v_and_b32_e32 v8, v8, v11
	v_and_b32_e32 v54, v54, v10
	v_lshlrev_b32_e32 v11, 26, v53
	v_mov_b32_e32 v10, v9
	v_cmp_gt_i64_e64 s[36:37], 0, v[10:11]
	v_not_b32_e32 v10, v11
	v_ashrrev_i32_e32 v10, 31, v10
	v_xor_b32_e32 v11, s37, v10
	v_xor_b32_e32 v10, s36, v10
	v_and_b32_e32 v8, v8, v11
	v_and_b32_e32 v54, v54, v10
	v_lshlrev_b32_e32 v11, 25, v53
	v_mov_b32_e32 v10, v9
	v_cmp_gt_i64_e64 s[36:37], 0, v[10:11]
	v_not_b32_e32 v10, v11
	v_ashrrev_i32_e32 v10, 31, v10
	v_xor_b32_e32 v11, s37, v10
	v_xor_b32_e32 v10, s36, v10
	v_and_b32_e32 v8, v8, v11
	v_and_b32_e32 v54, v54, v10
	v_lshlrev_b32_e32 v11, 24, v53
	v_mov_b32_e32 v10, v9
	v_cmp_gt_i64_e64 s[36:37], 0, v[10:11]
	v_not_b32_e32 v10, v11
	v_ashrrev_i32_e32 v10, 31, v10
	v_xor_b32_e32 v11, s37, v10
	v_xor_b32_e32 v10, s36, v10
	ds_read_b32 v51, v55 offset:64
	v_and_b32_e32 v10, v54, v10
	v_and_b32_e32 v11, v8, v11
	v_mbcnt_lo_u32_b32 v8, v10, 0
	v_mbcnt_hi_u32_b32 v53, v11, v8
	v_cmp_eq_u32_e64 s[36:37], 0, v53
	v_cmp_ne_u64_e64 s[38:39], 0, v[10:11]
	s_and_b64 s[38:39], s[38:39], s[36:37]
	; wave barrier
	s_and_saveexec_b64 s[36:37], s[38:39]
	s_cbranch_execz .LBB1838_55
; %bb.54:
	v_bcnt_u32_b32 v8, v10, 0
	v_bcnt_u32_b32 v8, v11, v8
	s_waitcnt lgkmcnt(0)
	v_add_u32_e32 v8, v51, v8
	ds_write_b32 v55, v8 offset:64
.LBB1838_55:
	s_or_b64 exec, exec, s[36:37]
	v_lshrrev_b32_e32 v8, s64, v20
	v_and_b32_e32 v56, s71, v8
	v_mul_lo_u32 v8, v56, s40
	v_lshl_add_u32 v58, v39, 2, v8
	v_and_b32_e32 v8, 1, v56
	v_lshl_add_u64 v[10:11], v[8:9], 0, -1
	v_cmp_ne_u32_e64 s[36:37], 0, v8
	; wave barrier
	s_nop 1
	v_xor_b32_e32 v10, s36, v10
	v_xor_b32_e32 v8, s37, v11
	v_and_b32_e32 v57, exec_lo, v10
	v_lshlrev_b32_e32 v11, 30, v56
	v_mov_b32_e32 v10, v9
	v_cmp_gt_i64_e64 s[36:37], 0, v[10:11]
	v_not_b32_e32 v10, v11
	v_ashrrev_i32_e32 v10, 31, v10
	v_and_b32_e32 v8, exec_hi, v8
	v_xor_b32_e32 v11, s37, v10
	v_xor_b32_e32 v10, s36, v10
	v_and_b32_e32 v8, v8, v11
	v_and_b32_e32 v57, v57, v10
	v_lshlrev_b32_e32 v11, 29, v56
	v_mov_b32_e32 v10, v9
	v_cmp_gt_i64_e64 s[36:37], 0, v[10:11]
	v_not_b32_e32 v10, v11
	v_ashrrev_i32_e32 v10, 31, v10
	v_xor_b32_e32 v11, s37, v10
	v_xor_b32_e32 v10, s36, v10
	v_and_b32_e32 v8, v8, v11
	v_and_b32_e32 v57, v57, v10
	v_lshlrev_b32_e32 v11, 28, v56
	v_mov_b32_e32 v10, v9
	v_cmp_gt_i64_e64 s[36:37], 0, v[10:11]
	v_not_b32_e32 v10, v11
	v_ashrrev_i32_e32 v10, 31, v10
	;; [unrolled: 9-line block ×5, first 2 shown]
	v_xor_b32_e32 v11, s37, v10
	v_xor_b32_e32 v10, s36, v10
	v_and_b32_e32 v8, v8, v11
	v_lshlrev_b32_e32 v11, 24, v56
	v_and_b32_e32 v57, v57, v10
	v_mov_b32_e32 v10, v9
	v_not_b32_e32 v9, v11
	v_cmp_gt_i64_e64 s[36:37], 0, v[10:11]
	v_ashrrev_i32_e32 v9, 31, v9
	ds_read_b32 v54, v58 offset:64
	v_xor_b32_e32 v10, s37, v9
	v_xor_b32_e32 v11, s36, v9
	v_and_b32_e32 v9, v8, v10
	v_and_b32_e32 v8, v57, v11
	v_mbcnt_lo_u32_b32 v10, v8, 0
	v_mbcnt_hi_u32_b32 v56, v9, v10
	v_cmp_eq_u32_e64 s[36:37], 0, v56
	v_cmp_ne_u64_e64 s[38:39], 0, v[8:9]
	s_and_b64 s[38:39], s[38:39], s[36:37]
	; wave barrier
	s_and_saveexec_b64 s[36:37], s[38:39]
	s_cbranch_execz .LBB1838_57
; %bb.56:
	v_bcnt_u32_b32 v8, v8, 0
	v_bcnt_u32_b32 v8, v9, v8
	s_waitcnt lgkmcnt(0)
	v_add_u32_e32 v8, v54, v8
	ds_write_b32 v58, v8 offset:64
.LBB1838_57:
	s_or_b64 exec, exec, s[36:37]
	v_lshrrev_b32_e32 v8, s64, v23
	v_and_b32_e32 v59, s71, v8
	v_mul_lo_u32 v8, v59, s40
	v_lshl_add_u32 v61, v39, 2, v8
	v_and_b32_e32 v8, 1, v59
	v_mov_b32_e32 v9, 0
	v_lshl_add_u64 v[10:11], v[8:9], 0, -1
	v_cmp_ne_u32_e64 s[36:37], 0, v8
	; wave barrier
	s_nop 1
	v_xor_b32_e32 v10, s36, v10
	v_xor_b32_e32 v8, s37, v11
	v_and_b32_e32 v60, exec_lo, v10
	v_lshlrev_b32_e32 v11, 30, v59
	v_mov_b32_e32 v10, v9
	v_cmp_gt_i64_e64 s[36:37], 0, v[10:11]
	v_not_b32_e32 v10, v11
	v_ashrrev_i32_e32 v10, 31, v10
	v_and_b32_e32 v8, exec_hi, v8
	v_xor_b32_e32 v11, s37, v10
	v_xor_b32_e32 v10, s36, v10
	v_and_b32_e32 v8, v8, v11
	v_and_b32_e32 v60, v60, v10
	v_lshlrev_b32_e32 v11, 29, v59
	v_mov_b32_e32 v10, v9
	v_cmp_gt_i64_e64 s[36:37], 0, v[10:11]
	v_not_b32_e32 v10, v11
	v_ashrrev_i32_e32 v10, 31, v10
	v_xor_b32_e32 v11, s37, v10
	v_xor_b32_e32 v10, s36, v10
	v_and_b32_e32 v8, v8, v11
	v_and_b32_e32 v60, v60, v10
	v_lshlrev_b32_e32 v11, 28, v59
	v_mov_b32_e32 v10, v9
	v_cmp_gt_i64_e64 s[36:37], 0, v[10:11]
	v_not_b32_e32 v10, v11
	v_ashrrev_i32_e32 v10, 31, v10
	;; [unrolled: 9-line block ×6, first 2 shown]
	v_xor_b32_e32 v11, s37, v10
	v_xor_b32_e32 v10, s36, v10
	ds_read_b32 v57, v61 offset:64
	v_and_b32_e32 v10, v60, v10
	v_and_b32_e32 v11, v8, v11
	v_mbcnt_lo_u32_b32 v8, v10, 0
	v_mbcnt_hi_u32_b32 v59, v11, v8
	v_cmp_eq_u32_e64 s[36:37], 0, v59
	v_cmp_ne_u64_e64 s[38:39], 0, v[10:11]
	s_and_b64 s[38:39], s[38:39], s[36:37]
	; wave barrier
	s_and_saveexec_b64 s[36:37], s[38:39]
	s_cbranch_execz .LBB1838_59
; %bb.58:
	v_bcnt_u32_b32 v8, v10, 0
	v_bcnt_u32_b32 v8, v11, v8
	s_waitcnt lgkmcnt(0)
	v_add_u32_e32 v8, v57, v8
	ds_write_b32 v61, v8 offset:64
.LBB1838_59:
	s_or_b64 exec, exec, s[36:37]
	v_lshrrev_b32_e32 v8, s64, v22
	v_and_b32_e32 v62, s71, v8
	v_mul_lo_u32 v8, v62, s40
	v_lshl_add_u32 v64, v39, 2, v8
	v_and_b32_e32 v8, 1, v62
	v_lshl_add_u64 v[10:11], v[8:9], 0, -1
	v_cmp_ne_u32_e64 s[36:37], 0, v8
	; wave barrier
	s_nop 1
	v_xor_b32_e32 v10, s36, v10
	v_xor_b32_e32 v8, s37, v11
	v_and_b32_e32 v63, exec_lo, v10
	v_lshlrev_b32_e32 v11, 30, v62
	v_mov_b32_e32 v10, v9
	v_cmp_gt_i64_e64 s[36:37], 0, v[10:11]
	v_not_b32_e32 v10, v11
	v_ashrrev_i32_e32 v10, 31, v10
	v_and_b32_e32 v8, exec_hi, v8
	v_xor_b32_e32 v11, s37, v10
	v_xor_b32_e32 v10, s36, v10
	v_and_b32_e32 v8, v8, v11
	v_and_b32_e32 v63, v63, v10
	v_lshlrev_b32_e32 v11, 29, v62
	v_mov_b32_e32 v10, v9
	v_cmp_gt_i64_e64 s[36:37], 0, v[10:11]
	v_not_b32_e32 v10, v11
	v_ashrrev_i32_e32 v10, 31, v10
	v_xor_b32_e32 v11, s37, v10
	v_xor_b32_e32 v10, s36, v10
	v_and_b32_e32 v8, v8, v11
	v_and_b32_e32 v63, v63, v10
	v_lshlrev_b32_e32 v11, 28, v62
	v_mov_b32_e32 v10, v9
	v_cmp_gt_i64_e64 s[36:37], 0, v[10:11]
	v_not_b32_e32 v10, v11
	v_ashrrev_i32_e32 v10, 31, v10
	;; [unrolled: 9-line block ×5, first 2 shown]
	v_xor_b32_e32 v11, s37, v10
	v_xor_b32_e32 v10, s36, v10
	v_and_b32_e32 v8, v8, v11
	v_lshlrev_b32_e32 v11, 24, v62
	v_and_b32_e32 v63, v63, v10
	v_mov_b32_e32 v10, v9
	v_not_b32_e32 v9, v11
	v_cmp_gt_i64_e64 s[36:37], 0, v[10:11]
	v_ashrrev_i32_e32 v9, 31, v9
	ds_read_b32 v60, v64 offset:64
	v_xor_b32_e32 v10, s37, v9
	v_xor_b32_e32 v11, s36, v9
	v_and_b32_e32 v9, v8, v10
	v_and_b32_e32 v8, v63, v11
	v_mbcnt_lo_u32_b32 v10, v8, 0
	v_mbcnt_hi_u32_b32 v62, v9, v10
	v_cmp_eq_u32_e64 s[36:37], 0, v62
	v_cmp_ne_u64_e64 s[38:39], 0, v[8:9]
	s_and_b64 s[38:39], s[38:39], s[36:37]
	; wave barrier
	s_and_saveexec_b64 s[36:37], s[38:39]
	s_cbranch_execz .LBB1838_61
; %bb.60:
	v_bcnt_u32_b32 v8, v8, 0
	v_bcnt_u32_b32 v8, v9, v8
	s_waitcnt lgkmcnt(0)
	v_add_u32_e32 v8, v60, v8
	ds_write_b32 v64, v8 offset:64
.LBB1838_61:
	s_or_b64 exec, exec, s[36:37]
	v_lshrrev_b32_e32 v8, s64, v25
	v_and_b32_e32 v65, s71, v8
	v_mul_lo_u32 v8, v65, s40
	v_lshl_add_u32 v67, v39, 2, v8
	v_and_b32_e32 v8, 1, v65
	v_mov_b32_e32 v9, 0
	v_lshl_add_u64 v[10:11], v[8:9], 0, -1
	v_cmp_ne_u32_e64 s[36:37], 0, v8
	; wave barrier
	s_nop 1
	v_xor_b32_e32 v10, s36, v10
	v_xor_b32_e32 v8, s37, v11
	v_and_b32_e32 v66, exec_lo, v10
	v_lshlrev_b32_e32 v11, 30, v65
	v_mov_b32_e32 v10, v9
	v_cmp_gt_i64_e64 s[36:37], 0, v[10:11]
	v_not_b32_e32 v10, v11
	v_ashrrev_i32_e32 v10, 31, v10
	v_and_b32_e32 v8, exec_hi, v8
	v_xor_b32_e32 v11, s37, v10
	v_xor_b32_e32 v10, s36, v10
	v_and_b32_e32 v8, v8, v11
	v_and_b32_e32 v66, v66, v10
	v_lshlrev_b32_e32 v11, 29, v65
	v_mov_b32_e32 v10, v9
	v_cmp_gt_i64_e64 s[36:37], 0, v[10:11]
	v_not_b32_e32 v10, v11
	v_ashrrev_i32_e32 v10, 31, v10
	v_xor_b32_e32 v11, s37, v10
	v_xor_b32_e32 v10, s36, v10
	v_and_b32_e32 v8, v8, v11
	v_and_b32_e32 v66, v66, v10
	v_lshlrev_b32_e32 v11, 28, v65
	v_mov_b32_e32 v10, v9
	v_cmp_gt_i64_e64 s[36:37], 0, v[10:11]
	v_not_b32_e32 v10, v11
	v_ashrrev_i32_e32 v10, 31, v10
	;; [unrolled: 9-line block ×6, first 2 shown]
	v_xor_b32_e32 v11, s37, v10
	v_xor_b32_e32 v10, s36, v10
	ds_read_b32 v63, v67 offset:64
	v_and_b32_e32 v10, v66, v10
	v_and_b32_e32 v11, v8, v11
	v_mbcnt_lo_u32_b32 v8, v10, 0
	v_mbcnt_hi_u32_b32 v65, v11, v8
	v_cmp_eq_u32_e64 s[36:37], 0, v65
	v_cmp_ne_u64_e64 s[38:39], 0, v[10:11]
	s_and_b64 s[38:39], s[38:39], s[36:37]
	; wave barrier
	s_and_saveexec_b64 s[36:37], s[38:39]
	s_cbranch_execz .LBB1838_63
; %bb.62:
	v_bcnt_u32_b32 v8, v10, 0
	v_bcnt_u32_b32 v8, v11, v8
	s_waitcnt lgkmcnt(0)
	v_add_u32_e32 v8, v63, v8
	ds_write_b32 v67, v8 offset:64
.LBB1838_63:
	s_or_b64 exec, exec, s[36:37]
	v_lshrrev_b32_e32 v8, s64, v24
	v_and_b32_e32 v68, s71, v8
	v_mul_lo_u32 v8, v68, s40
	v_lshl_add_u32 v70, v39, 2, v8
	v_and_b32_e32 v8, 1, v68
	v_lshl_add_u64 v[10:11], v[8:9], 0, -1
	v_cmp_ne_u32_e64 s[36:37], 0, v8
	; wave barrier
	s_nop 1
	v_xor_b32_e32 v10, s36, v10
	v_xor_b32_e32 v8, s37, v11
	v_and_b32_e32 v69, exec_lo, v10
	v_lshlrev_b32_e32 v11, 30, v68
	v_mov_b32_e32 v10, v9
	v_cmp_gt_i64_e64 s[36:37], 0, v[10:11]
	v_not_b32_e32 v10, v11
	v_ashrrev_i32_e32 v10, 31, v10
	v_and_b32_e32 v8, exec_hi, v8
	v_xor_b32_e32 v11, s37, v10
	v_xor_b32_e32 v10, s36, v10
	v_and_b32_e32 v8, v8, v11
	v_and_b32_e32 v69, v69, v10
	v_lshlrev_b32_e32 v11, 29, v68
	v_mov_b32_e32 v10, v9
	v_cmp_gt_i64_e64 s[36:37], 0, v[10:11]
	v_not_b32_e32 v10, v11
	v_ashrrev_i32_e32 v10, 31, v10
	v_xor_b32_e32 v11, s37, v10
	v_xor_b32_e32 v10, s36, v10
	v_and_b32_e32 v8, v8, v11
	v_and_b32_e32 v69, v69, v10
	v_lshlrev_b32_e32 v11, 28, v68
	v_mov_b32_e32 v10, v9
	v_cmp_gt_i64_e64 s[36:37], 0, v[10:11]
	v_not_b32_e32 v10, v11
	v_ashrrev_i32_e32 v10, 31, v10
	;; [unrolled: 9-line block ×5, first 2 shown]
	v_xor_b32_e32 v11, s37, v10
	v_xor_b32_e32 v10, s36, v10
	v_and_b32_e32 v8, v8, v11
	v_lshlrev_b32_e32 v11, 24, v68
	v_and_b32_e32 v69, v69, v10
	v_mov_b32_e32 v10, v9
	v_not_b32_e32 v9, v11
	v_cmp_gt_i64_e64 s[36:37], 0, v[10:11]
	v_ashrrev_i32_e32 v9, 31, v9
	ds_read_b32 v66, v70 offset:64
	v_xor_b32_e32 v10, s37, v9
	v_xor_b32_e32 v11, s36, v9
	v_and_b32_e32 v9, v8, v10
	v_and_b32_e32 v8, v69, v11
	v_mbcnt_lo_u32_b32 v10, v8, 0
	v_mbcnt_hi_u32_b32 v68, v9, v10
	v_cmp_eq_u32_e64 s[36:37], 0, v68
	v_cmp_ne_u64_e64 s[38:39], 0, v[8:9]
	s_and_b64 s[38:39], s[38:39], s[36:37]
	; wave barrier
	s_and_saveexec_b64 s[36:37], s[38:39]
	s_cbranch_execz .LBB1838_65
; %bb.64:
	v_bcnt_u32_b32 v8, v8, 0
	v_bcnt_u32_b32 v8, v9, v8
	s_waitcnt lgkmcnt(0)
	v_add_u32_e32 v8, v66, v8
	ds_write_b32 v70, v8 offset:64
.LBB1838_65:
	s_or_b64 exec, exec, s[36:37]
	v_lshrrev_b32_e32 v8, s64, v27
	v_and_b32_e32 v71, s71, v8
	v_mul_lo_u32 v8, v71, s40
	v_lshl_add_u32 v72, v39, 2, v8
	v_and_b32_e32 v8, 1, v71
	v_mov_b32_e32 v9, 0
	v_lshl_add_u64 v[10:11], v[8:9], 0, -1
	v_cmp_ne_u32_e64 s[36:37], 0, v8
	; wave barrier
	s_nop 1
	v_xor_b32_e32 v10, s36, v10
	v_xor_b32_e32 v8, s37, v11
	v_and_b32_e32 v73, exec_lo, v10
	v_lshlrev_b32_e32 v11, 30, v71
	v_mov_b32_e32 v10, v9
	v_cmp_gt_i64_e64 s[36:37], 0, v[10:11]
	v_not_b32_e32 v10, v11
	v_ashrrev_i32_e32 v10, 31, v10
	v_and_b32_e32 v8, exec_hi, v8
	v_xor_b32_e32 v11, s37, v10
	v_xor_b32_e32 v10, s36, v10
	v_and_b32_e32 v8, v8, v11
	v_and_b32_e32 v73, v73, v10
	v_lshlrev_b32_e32 v11, 29, v71
	v_mov_b32_e32 v10, v9
	v_cmp_gt_i64_e64 s[36:37], 0, v[10:11]
	v_not_b32_e32 v10, v11
	v_ashrrev_i32_e32 v10, 31, v10
	v_xor_b32_e32 v11, s37, v10
	v_xor_b32_e32 v10, s36, v10
	v_and_b32_e32 v8, v8, v11
	v_and_b32_e32 v73, v73, v10
	v_lshlrev_b32_e32 v11, 28, v71
	v_mov_b32_e32 v10, v9
	v_cmp_gt_i64_e64 s[36:37], 0, v[10:11]
	v_not_b32_e32 v10, v11
	v_ashrrev_i32_e32 v10, 31, v10
	;; [unrolled: 9-line block ×6, first 2 shown]
	v_xor_b32_e32 v11, s37, v10
	v_xor_b32_e32 v10, s36, v10
	ds_read_b32 v69, v72 offset:64
	v_and_b32_e32 v10, v73, v10
	v_and_b32_e32 v11, v8, v11
	v_mbcnt_lo_u32_b32 v8, v10, 0
	v_mbcnt_hi_u32_b32 v71, v11, v8
	v_cmp_eq_u32_e64 s[36:37], 0, v71
	v_cmp_ne_u64_e64 s[38:39], 0, v[10:11]
	s_and_b64 s[38:39], s[38:39], s[36:37]
	; wave barrier
	s_and_saveexec_b64 s[36:37], s[38:39]
	s_cbranch_execz .LBB1838_67
; %bb.66:
	v_bcnt_u32_b32 v8, v10, 0
	v_bcnt_u32_b32 v8, v11, v8
	s_waitcnt lgkmcnt(0)
	v_add_u32_e32 v8, v69, v8
	ds_write_b32 v72, v8 offset:64
.LBB1838_67:
	s_or_b64 exec, exec, s[36:37]
	v_lshrrev_b32_e32 v8, s64, v26
	v_and_b32_e32 v73, s71, v8
	v_mul_lo_u32 v8, v73, s40
	v_lshl_add_u32 v74, v39, 2, v8
	v_and_b32_e32 v8, 1, v73
	v_lshl_add_u64 v[10:11], v[8:9], 0, -1
	v_cmp_ne_u32_e64 s[36:37], 0, v8
	; wave barrier
	s_nop 1
	v_xor_b32_e32 v10, s36, v10
	v_xor_b32_e32 v8, s37, v11
	v_and_b32_e32 v75, exec_lo, v10
	v_lshlrev_b32_e32 v11, 30, v73
	v_mov_b32_e32 v10, v9
	v_cmp_gt_i64_e64 s[36:37], 0, v[10:11]
	v_not_b32_e32 v10, v11
	v_ashrrev_i32_e32 v10, 31, v10
	v_and_b32_e32 v8, exec_hi, v8
	v_xor_b32_e32 v11, s37, v10
	v_xor_b32_e32 v10, s36, v10
	v_and_b32_e32 v8, v8, v11
	v_and_b32_e32 v75, v75, v10
	v_lshlrev_b32_e32 v11, 29, v73
	v_mov_b32_e32 v10, v9
	v_cmp_gt_i64_e64 s[36:37], 0, v[10:11]
	v_not_b32_e32 v10, v11
	v_ashrrev_i32_e32 v10, 31, v10
	v_xor_b32_e32 v11, s37, v10
	v_xor_b32_e32 v10, s36, v10
	v_and_b32_e32 v8, v8, v11
	v_and_b32_e32 v75, v75, v10
	v_lshlrev_b32_e32 v11, 28, v73
	v_mov_b32_e32 v10, v9
	v_cmp_gt_i64_e64 s[36:37], 0, v[10:11]
	v_not_b32_e32 v10, v11
	v_ashrrev_i32_e32 v10, 31, v10
	;; [unrolled: 9-line block ×5, first 2 shown]
	v_xor_b32_e32 v11, s37, v10
	v_xor_b32_e32 v10, s36, v10
	v_and_b32_e32 v8, v8, v11
	v_lshlrev_b32_e32 v11, 24, v73
	v_and_b32_e32 v75, v75, v10
	v_mov_b32_e32 v10, v9
	v_not_b32_e32 v9, v11
	v_cmp_gt_i64_e64 s[36:37], 0, v[10:11]
	v_ashrrev_i32_e32 v9, 31, v9
	ds_read_b32 v39, v74 offset:64
	v_xor_b32_e32 v10, s37, v9
	v_xor_b32_e32 v11, s36, v9
	v_and_b32_e32 v9, v8, v10
	v_and_b32_e32 v8, v75, v11
	v_mbcnt_lo_u32_b32 v10, v8, 0
	v_mbcnt_hi_u32_b32 v73, v9, v10
	v_cmp_eq_u32_e64 s[36:37], 0, v73
	v_cmp_ne_u64_e64 s[38:39], 0, v[8:9]
	s_and_b64 s[38:39], s[38:39], s[36:37]
	; wave barrier
	s_and_saveexec_b64 s[36:37], s[38:39]
	s_cbranch_execz .LBB1838_69
; %bb.68:
	v_bcnt_u32_b32 v8, v8, 0
	v_bcnt_u32_b32 v8, v9, v8
	s_waitcnt lgkmcnt(0)
	v_add_u32_e32 v8, v39, v8
	ds_write_b32 v74, v8 offset:64
.LBB1838_69:
	s_or_b64 exec, exec, s[36:37]
	; wave barrier
	s_waitcnt lgkmcnt(0)
	s_barrier
	ds_read2_b32 v[10:11], v13 offset0:16 offset1:17
	ds_read2_b32 v[8:9], v13 offset0:18 offset1:19
	ds_read_b32 v75, v13 offset:80
	v_cmp_lt_u32_e64 s[46:47], 31, v12
	s_waitcnt lgkmcnt(1)
	v_add3_u32 v76, v11, v10, v8
	s_waitcnt lgkmcnt(0)
	v_add3_u32 v75, v76, v9, v75
	v_and_b32_e32 v76, 15, v12
	v_cmp_eq_u32_e64 s[36:37], 0, v76
	v_mov_b32_dpp v77, v75 row_shr:1 row_mask:0xf bank_mask:0xf
	v_cmp_lt_u32_e64 s[38:39], 1, v76
	v_cndmask_b32_e64 v77, v77, 0, s[36:37]
	v_add_u32_e32 v75, v77, v75
	v_cmp_lt_u32_e64 s[40:41], 3, v76
	v_cmp_lt_u32_e64 s[42:43], 7, v76
	v_mov_b32_dpp v77, v75 row_shr:2 row_mask:0xf bank_mask:0xf
	v_cndmask_b32_e64 v77, 0, v77, s[38:39]
	v_add_u32_e32 v75, v75, v77
	s_nop 1
	v_mov_b32_dpp v77, v75 row_shr:4 row_mask:0xf bank_mask:0xf
	v_cndmask_b32_e64 v77, 0, v77, s[40:41]
	v_add_u32_e32 v75, v75, v77
	s_nop 1
	v_mov_b32_dpp v77, v75 row_shr:8 row_mask:0xf bank_mask:0xf
	v_cndmask_b32_e64 v76, 0, v77, s[42:43]
	v_add_u32_e32 v75, v75, v76
	v_bfe_i32 v77, v12, 4, 1
	s_nop 0
	v_mov_b32_dpp v76, v75 row_bcast:15 row_mask:0xf bank_mask:0xf
	v_and_b32_e32 v76, v77, v76
	v_add_u32_e32 v75, v75, v76
	v_and_b32_e32 v77, 63, v2
	s_nop 0
	v_mov_b32_dpp v76, v75 row_bcast:31 row_mask:0xf bank_mask:0xf
	v_cndmask_b32_e64 v76, 0, v76, s[46:47]
	v_add_u32_e32 v75, v75, v76
	v_lshrrev_b32_e32 v76, 6, v2
	v_cmp_eq_u32_e64 s[46:47], 63, v77
	s_and_saveexec_b64 s[48:49], s[46:47]
; %bb.70:
	v_lshlrev_b32_e32 v77, 2, v76
	ds_write_b32 v77, v75
; %bb.71:
	s_or_b64 exec, exec, s[48:49]
	v_cmp_gt_u32_e64 s[46:47], 16, v2
	s_waitcnt lgkmcnt(0)
	s_barrier
	s_and_saveexec_b64 s[48:49], s[46:47]
	s_cbranch_execz .LBB1838_73
; %bb.72:
	v_lshlrev_b32_e32 v77, 2, v2
	ds_read_b32 v78, v77
	s_waitcnt lgkmcnt(0)
	s_nop 0
	v_mov_b32_dpp v79, v78 row_shr:1 row_mask:0xf bank_mask:0xf
	v_cndmask_b32_e64 v79, v79, 0, s[36:37]
	v_add_u32_e32 v78, v79, v78
	s_nop 1
	v_mov_b32_dpp v79, v78 row_shr:2 row_mask:0xf bank_mask:0xf
	v_cndmask_b32_e64 v79, 0, v79, s[38:39]
	v_add_u32_e32 v78, v78, v79
	;; [unrolled: 4-line block ×4, first 2 shown]
	ds_write_b32 v77, v78
.LBB1838_73:
	s_or_b64 exec, exec, s[48:49]
	v_cmp_lt_u32_e64 s[36:37], 63, v2
	v_mov_b32_e32 v77, 0
	s_waitcnt lgkmcnt(0)
	s_barrier
	s_and_saveexec_b64 s[38:39], s[36:37]
; %bb.74:
	v_lshl_add_u32 v76, v76, 2, -4
	ds_read_b32 v77, v76
; %bb.75:
	s_or_b64 exec, exec, s[38:39]
	v_subrev_co_u32_e64 v76, s[36:37], 1, v12
	v_and_b32_e32 v78, 64, v12
	v_cmp_lt_i32_e64 s[38:39], v76, v78
	s_waitcnt lgkmcnt(0)
	v_add_u32_e32 v75, v77, v75
	s_movk_i32 s40, 0x100
	v_cndmask_b32_e64 v12, v76, v12, s[38:39]
	v_lshlrev_b32_e32 v12, 2, v12
	ds_bpermute_b32 v12, v12, v75
	v_cmp_gt_u32_e64 s[38:39], s40, v2
	s_waitcnt lgkmcnt(0)
	v_cndmask_b32_e64 v12, v12, v77, s[36:37]
	v_cndmask_b32_e64 v12, v12, 0, s[44:45]
	v_add_u32_e32 v10, v12, v10
	v_add_u32_e32 v11, v10, v11
	;; [unrolled: 1-line block ×4, first 2 shown]
	ds_write2_b32 v13, v12, v10 offset0:16 offset1:17
	ds_write2_b32 v13, v11, v8 offset0:18 offset1:19
	ds_write_b32 v13, v9 offset:80
	s_waitcnt lgkmcnt(0)
	s_barrier
	ds_read_b32 v84, v32 offset:64
	ds_read_b32 v75, v34 offset:64
	;; [unrolled: 1-line block ×16, first 2 shown]
	s_movk_i32 s36, 0xff
	v_cmp_lt_u32_e64 s[36:37], s36, v2
                                        ; implicit-def: $vgpr32
                                        ; implicit-def: $vgpr34
	s_and_saveexec_b64 s[42:43], s[38:39]
	s_cbranch_execz .LBB1838_79
; %bb.76:
	v_mul_u32_u24_e32 v8, 0x44, v2
	ds_read_b32 v32, v8 offset:64
	v_add_u32_e32 v9, 1, v2
	v_cmp_ne_u32_e64 s[40:41], s40, v9
	v_mov_b32_e32 v8, 0x4000
	s_and_saveexec_b64 s[46:47], s[40:41]
; %bb.77:
	v_mul_u32_u24_e32 v8, 0x44, v9
	ds_read_b32 v8, v8 offset:64
; %bb.78:
	s_or_b64 exec, exec, s[46:47]
	s_waitcnt lgkmcnt(0)
	v_sub_u32_e32 v34, v8, v32
.LBB1838_79:
	s_or_b64 exec, exec, s[42:43]
	v_mov_b32_e32 v9, 0
	v_lshlrev_b32_e32 v37, 2, v2
	s_waitcnt lgkmcnt(0)
	s_barrier
	s_and_saveexec_b64 s[40:41], s[38:39]
	s_cbranch_execz .LBB1838_89
; %bb.80:
	v_lshl_add_u32 v8, s33, 8, v2
	v_lshl_add_u64 v[10:11], v[8:9], 2, s[68:69]
	v_or_b32_e32 v8, 2.0, v34
	s_mov_b64 s[42:43], 0
	s_brev_b32 s50, -4
	s_mov_b32 s51, s33
	v_mov_b32_e32 v55, 0
	global_store_dword v[10:11], v8, off sc1
                                        ; implicit-def: $sgpr38_sgpr39
	s_branch .LBB1838_83
.LBB1838_81:                            ;   in Loop: Header=BB1838_83 Depth=1
	s_or_b64 exec, exec, s[48:49]
.LBB1838_82:                            ;   in Loop: Header=BB1838_83 Depth=1
	s_or_b64 exec, exec, s[46:47]
	v_and_b32_e32 v12, 0x3fffffff, v8
	v_add_u32_e32 v55, v12, v55
	v_cmp_gt_i32_e64 s[38:39], -2.0, v8
	s_and_b64 s[46:47], exec, s[38:39]
	s_or_b64 s[42:43], s[46:47], s[42:43]
	s_andn2_b64 exec, exec, s[42:43]
	s_cbranch_execz .LBB1838_88
.LBB1838_83:                            ; =>This Loop Header: Depth=1
                                        ;     Child Loop BB1838_86 Depth 2
	s_or_b64 s[38:39], s[38:39], exec
	s_cmp_eq_u32 s51, 0
	s_cbranch_scc1 .LBB1838_87
; %bb.84:                               ;   in Loop: Header=BB1838_83 Depth=1
	s_add_i32 s51, s51, -1
	v_lshl_or_b32 v8, s51, 8, v2
	v_lshl_add_u64 v[12:13], v[8:9], 2, s[68:69]
	global_load_dword v8, v[12:13], off sc1
	s_waitcnt vmcnt(0)
	v_cmp_gt_u32_e64 s[38:39], 2.0, v8
	s_and_saveexec_b64 s[46:47], s[38:39]
	s_cbranch_execz .LBB1838_82
; %bb.85:                               ;   in Loop: Header=BB1838_83 Depth=1
	s_mov_b64 s[48:49], 0
.LBB1838_86:                            ;   Parent Loop BB1838_83 Depth=1
                                        ; =>  This Inner Loop Header: Depth=2
	global_load_dword v8, v[12:13], off sc1
	s_waitcnt vmcnt(0)
	v_cmp_lt_u32_e64 s[38:39], s50, v8
	s_or_b64 s[48:49], s[38:39], s[48:49]
	s_andn2_b64 exec, exec, s[48:49]
	s_cbranch_execnz .LBB1838_86
	s_branch .LBB1838_81
.LBB1838_87:                            ;   in Loop: Header=BB1838_83 Depth=1
                                        ; implicit-def: $sgpr51
	s_and_b64 s[46:47], exec, s[38:39]
	s_or_b64 s[42:43], s[46:47], s[42:43]
	s_andn2_b64 exec, exec, s[42:43]
	s_cbranch_execnz .LBB1838_83
.LBB1838_88:
	s_or_b64 exec, exec, s[42:43]
	v_add_u32_e32 v8, v55, v34
	v_or_b32_e32 v8, 0x80000000, v8
	global_store_dword v[10:11], v8, off sc1
	global_load_dword v8, v37, s[60:61]
	v_sub_u32_e32 v9, v55, v32
	s_waitcnt vmcnt(0)
	v_add_u32_e32 v8, v9, v8
	ds_write_b32 v37, v8
.LBB1838_89:
	s_or_b64 exec, exec, s[40:41]
	v_add_u32_e32 v10, v84, v29
	v_add3_u32 v8, v30, v28, v75
	v_add3_u32 v9, v33, v31, v76
	;; [unrolled: 1-line block ×15, first 2 shown]
	v_mov_b32_e32 v88, 0x400
	s_movk_i32 s42, 0x400
	v_lshl_add_u32 v11, v11, 2, v88
	v_add3_u32 v12, v73, v49, v39
	v_lshl_add_u32 v13, v13, 2, v88
	v_add3_u32 v29, v71, v44, v69
	;; [unrolled: 2-line block ×15, first 2 shown]
	v_lshl_add_u32 v30, v10, 2, v88
	s_mov_b32 s43, 0
	s_mov_b32 s46, 0
	s_movk_i32 s47, 0x1000
	v_mov_b32_e32 v9, 0
	s_movk_i32 s48, 0x800
	s_movk_i32 s49, 0xc00
	v_mov_b32_e32 v59, v2
	s_mov_b32 s50, 0
	s_branch .LBB1838_91
.LBB1838_90:                            ;   in Loop: Header=BB1838_91 Depth=1
	s_or_b64 exec, exec, s[40:41]
	s_addk_i32 s50, 0xc000
	s_add_i32 s43, s43, 16
	s_addk_i32 s46, 0xf000
	s_cmp_eq_u32 s50, 0xffff0000
	v_add_u32_e32 v59, 0x1000, v59
	s_barrier
	s_cbranch_scc1 .LBB1838_131
.LBB1838_91:                            ; =>This Inner Loop Header: Depth=1
	v_add_u32_e32 v8, s46, v10
	v_cmp_gt_u32_e64 s[38:39], s47, v8
	s_and_saveexec_b64 s[40:41], s[38:39]
; %bb.92:                               ;   in Loop: Header=BB1838_91 Depth=1
	v_add_u32_e32 v8, s50, v30
	ds_write_b32 v8, v5
; %bb.93:                               ;   in Loop: Header=BB1838_91 Depth=1
	s_or_b64 exec, exec, s[40:41]
	v_add_u32_e32 v8, s46, v28
	v_cmp_gt_u32_e64 s[38:39], s47, v8
	s_and_saveexec_b64 s[40:41], s[38:39]
; %bb.94:                               ;   in Loop: Header=BB1838_91 Depth=1
	v_add_u32_e32 v8, s50, v33
	ds_write_b32 v8, v14
; %bb.95:                               ;   in Loop: Header=BB1838_91 Depth=1
	s_or_b64 exec, exec, s[40:41]
	v_add_u32_e32 v8, s46, v31
	v_cmp_gt_u32_e64 s[38:39], s47, v8
	s_and_saveexec_b64 s[40:41], s[38:39]
; %bb.96:                               ;   in Loop: Header=BB1838_91 Depth=1
	v_add_u32_e32 v8, s50, v36
	ds_write_b32 v8, v15
; %bb.97:                               ;   in Loop: Header=BB1838_91 Depth=1
	s_or_b64 exec, exec, s[40:41]
	v_add_u32_e32 v8, s46, v35
	v_cmp_gt_u32_e64 s[38:39], s47, v8
	s_and_saveexec_b64 s[40:41], s[38:39]
; %bb.98:                               ;   in Loop: Header=BB1838_91 Depth=1
	v_add_u32_e32 v8, s50, v40
	ds_write_b32 v8, v7
; %bb.99:                               ;   in Loop: Header=BB1838_91 Depth=1
	s_or_b64 exec, exec, s[40:41]
	v_add_u32_e32 v8, s46, v38
	v_cmp_gt_u32_e64 s[38:39], s47, v8
	s_and_saveexec_b64 s[40:41], s[38:39]
; %bb.100:                              ;   in Loop: Header=BB1838_91 Depth=1
	v_add_u32_e32 v8, s50, v43
	ds_write_b32 v8, v17
; %bb.101:                              ;   in Loop: Header=BB1838_91 Depth=1
	s_or_b64 exec, exec, s[40:41]
	v_add_u32_e32 v8, s46, v42
	v_cmp_gt_u32_e64 s[38:39], s47, v8
	s_and_saveexec_b64 s[40:41], s[38:39]
; %bb.102:                              ;   in Loop: Header=BB1838_91 Depth=1
	v_add_u32_e32 v8, s50, v47
	ds_write_b32 v8, v16
; %bb.103:                              ;   in Loop: Header=BB1838_91 Depth=1
	s_or_b64 exec, exec, s[40:41]
	;; [unrolled: 8-line block ×12, first 2 shown]
	v_cmp_gt_u32_e64 s[38:39], s3, v59
	s_waitcnt lgkmcnt(0)
	s_barrier
	s_and_saveexec_b64 s[40:41], s[38:39]
	s_cbranch_execz .LBB1838_125
; %bb.124:                              ;   in Loop: Header=BB1838_91 Depth=1
	ds_read_b32 v8, v37 offset:1024
	s_waitcnt lgkmcnt(0)
	v_lshrrev_b32_e32 v60, s64, v8
	v_and_b32_e32 v62, s71, v60
	v_lshlrev_b32_e32 v60, 2, v62
	ds_read_b32 v60, v60
	v_xor_b32_e32 v63, 0x7fffffff, v8
	s_waitcnt lgkmcnt(0)
	v_add_u32_e32 v8, v59, v60
	v_lshl_add_u64 v[60:61], v[8:9], 2, s[54:55]
	global_store_dword v[60:61], v63, off
	scratch_store_dword off, v62, s43
.LBB1838_125:                           ;   in Loop: Header=BB1838_91 Depth=1
	s_or_b64 exec, exec, s[40:41]
	v_add_u32_e32 v8, 0x400, v59
	v_cmp_gt_u32_e64 s[38:39], s3, v8
	s_and_saveexec_b64 s[40:41], s[38:39]
	s_cbranch_execz .LBB1838_127
; %bb.126:                              ;   in Loop: Header=BB1838_91 Depth=1
	ds_read_b32 v8, v37 offset:5120
	s_add_i32 s38, s43, 4
	s_waitcnt lgkmcnt(0)
	v_lshrrev_b32_e32 v60, s64, v8
	v_and_b32_e32 v62, s71, v60
	v_lshlrev_b32_e32 v60, 2, v62
	ds_read_b32 v60, v60
	v_xor_b32_e32 v63, 0x7fffffff, v8
	s_waitcnt lgkmcnt(0)
	v_add3_u32 v8, v59, v60, s42
	v_lshl_add_u64 v[60:61], v[8:9], 2, s[54:55]
	global_store_dword v[60:61], v63, off
	scratch_store_dword off, v62, s38
.LBB1838_127:                           ;   in Loop: Header=BB1838_91 Depth=1
	s_or_b64 exec, exec, s[40:41]
	v_add_u32_e32 v8, 0x800, v59
	v_cmp_gt_u32_e64 s[38:39], s3, v8
	s_and_saveexec_b64 s[40:41], s[38:39]
	s_cbranch_execz .LBB1838_129
; %bb.128:                              ;   in Loop: Header=BB1838_91 Depth=1
	ds_read_b32 v8, v37 offset:9216
	s_add_i32 s38, s43, 8
	s_waitcnt lgkmcnt(0)
	v_lshrrev_b32_e32 v60, s64, v8
	v_and_b32_e32 v62, s71, v60
	v_lshlrev_b32_e32 v60, 2, v62
	ds_read_b32 v60, v60
	v_xor_b32_e32 v63, 0x7fffffff, v8
	s_waitcnt lgkmcnt(0)
	v_add3_u32 v8, v59, v60, s48
	v_lshl_add_u64 v[60:61], v[8:9], 2, s[54:55]
	global_store_dword v[60:61], v63, off
	scratch_store_dword off, v62, s38
.LBB1838_129:                           ;   in Loop: Header=BB1838_91 Depth=1
	s_or_b64 exec, exec, s[40:41]
	v_add_u32_e32 v8, 0xc00, v59
	v_cmp_gt_u32_e64 s[38:39], s3, v8
	s_and_saveexec_b64 s[40:41], s[38:39]
	s_cbranch_execz .LBB1838_90
; %bb.130:                              ;   in Loop: Header=BB1838_91 Depth=1
	ds_read_b32 v8, v37 offset:13312
	s_add_i32 s38, s43, 12
	s_waitcnt lgkmcnt(0)
	v_lshrrev_b32_e32 v60, s64, v8
	v_and_b32_e32 v62, s71, v60
	v_lshlrev_b32_e32 v60, 2, v62
	ds_read_b32 v60, v60
	v_xor_b32_e32 v63, 0x7fffffff, v8
	s_waitcnt lgkmcnt(0)
	v_add3_u32 v8, v59, v60, s49
	v_lshl_add_u64 v[60:61], v[8:9], 2, s[54:55]
	global_store_dword v[60:61], v63, off
	scratch_store_dword off, v62, s38
	s_branch .LBB1838_90
.LBB1838_131:
	s_add_u32 s38, s56, s66
	s_addc_u32 s39, s57, s67
	v_mov_b32_e32 v5, 0
	v_lshl_add_u64 v[8:9], s[38:39], 0, v[4:5]
	v_mov_b32_e32 v7, v5
	v_lshl_add_u64 v[4:5], v[8:9], 0, v[6:7]
                                        ; implicit-def: $vgpr6
	s_and_saveexec_b64 s[38:39], vcc
	s_cbranch_execz .LBB1838_147
; %bb.132:
	global_load_dword v6, v[4:5], off
	s_or_b64 exec, exec, s[38:39]
                                        ; implicit-def: $vgpr7
	s_and_saveexec_b64 s[38:39], s[4:5]
	s_cbranch_execnz .LBB1838_148
.LBB1838_133:
	s_or_b64 exec, exec, s[38:39]
                                        ; implicit-def: $vgpr8
	s_and_saveexec_b64 s[4:5], s[6:7]
	s_cbranch_execz .LBB1838_149
.LBB1838_134:
	global_load_dword v8, v[4:5], off offset:512
	s_or_b64 exec, exec, s[4:5]
                                        ; implicit-def: $vgpr9
	s_and_saveexec_b64 s[4:5], s[8:9]
	s_cbranch_execnz .LBB1838_150
.LBB1838_135:
	s_or_b64 exec, exec, s[4:5]
                                        ; implicit-def: $vgpr14
	s_and_saveexec_b64 s[4:5], s[10:11]
	s_cbranch_execz .LBB1838_151
.LBB1838_136:
	global_load_dword v14, v[4:5], off offset:1024
	s_or_b64 exec, exec, s[4:5]
                                        ; implicit-def: $vgpr15
	s_and_saveexec_b64 s[4:5], s[12:13]
	s_cbranch_execnz .LBB1838_152
.LBB1838_137:
	s_or_b64 exec, exec, s[4:5]
                                        ; implicit-def: $vgpr16
	s_and_saveexec_b64 s[4:5], s[14:15]
	s_cbranch_execz .LBB1838_153
.LBB1838_138:
	global_load_dword v16, v[4:5], off offset:1536
	s_or_b64 exec, exec, s[4:5]
                                        ; implicit-def: $vgpr17
	s_and_saveexec_b64 s[4:5], s[16:17]
	s_cbranch_execnz .LBB1838_154
.LBB1838_139:
	s_or_b64 exec, exec, s[4:5]
                                        ; implicit-def: $vgpr18
	s_and_saveexec_b64 s[4:5], s[18:19]
	s_cbranch_execz .LBB1838_155
.LBB1838_140:
	global_load_dword v18, v[4:5], off offset:2048
	s_or_b64 exec, exec, s[4:5]
                                        ; implicit-def: $vgpr19
	s_and_saveexec_b64 s[4:5], s[20:21]
	s_cbranch_execnz .LBB1838_156
.LBB1838_141:
	s_or_b64 exec, exec, s[4:5]
                                        ; implicit-def: $vgpr20
	s_and_saveexec_b64 s[4:5], s[22:23]
	s_cbranch_execz .LBB1838_157
.LBB1838_142:
	global_load_dword v20, v[4:5], off offset:2560
	s_or_b64 exec, exec, s[4:5]
                                        ; implicit-def: $vgpr21
	s_and_saveexec_b64 s[4:5], s[24:25]
	s_cbranch_execnz .LBB1838_158
.LBB1838_143:
	s_or_b64 exec, exec, s[4:5]
                                        ; implicit-def: $vgpr22
	s_and_saveexec_b64 s[4:5], s[26:27]
	s_cbranch_execz .LBB1838_159
.LBB1838_144:
	global_load_dword v22, v[4:5], off offset:3072
	s_or_b64 exec, exec, s[4:5]
                                        ; implicit-def: $vgpr23
	s_and_saveexec_b64 s[4:5], s[28:29]
	s_cbranch_execnz .LBB1838_160
.LBB1838_145:
	s_or_b64 exec, exec, s[4:5]
                                        ; implicit-def: $vgpr24
	s_and_saveexec_b64 s[4:5], s[30:31]
	s_cbranch_execz .LBB1838_161
.LBB1838_146:
	global_load_dword v24, v[4:5], off offset:3584
	s_or_b64 exec, exec, s[4:5]
                                        ; implicit-def: $vgpr25
	s_and_saveexec_b64 s[4:5], s[34:35]
	s_cbranch_execnz .LBB1838_162
	s_branch .LBB1838_163
.LBB1838_147:
	s_or_b64 exec, exec, s[38:39]
                                        ; implicit-def: $vgpr7
	s_and_saveexec_b64 s[38:39], s[4:5]
	s_cbranch_execz .LBB1838_133
.LBB1838_148:
	global_load_dword v7, v[4:5], off offset:256
	s_or_b64 exec, exec, s[38:39]
                                        ; implicit-def: $vgpr8
	s_and_saveexec_b64 s[4:5], s[6:7]
	s_cbranch_execnz .LBB1838_134
.LBB1838_149:
	s_or_b64 exec, exec, s[4:5]
                                        ; implicit-def: $vgpr9
	s_and_saveexec_b64 s[4:5], s[8:9]
	s_cbranch_execz .LBB1838_135
.LBB1838_150:
	global_load_dword v9, v[4:5], off offset:768
	s_or_b64 exec, exec, s[4:5]
                                        ; implicit-def: $vgpr14
	s_and_saveexec_b64 s[4:5], s[10:11]
	s_cbranch_execnz .LBB1838_136
.LBB1838_151:
	s_or_b64 exec, exec, s[4:5]
                                        ; implicit-def: $vgpr15
	s_and_saveexec_b64 s[4:5], s[12:13]
	s_cbranch_execz .LBB1838_137
.LBB1838_152:
	global_load_dword v15, v[4:5], off offset:1280
	s_or_b64 exec, exec, s[4:5]
                                        ; implicit-def: $vgpr16
	s_and_saveexec_b64 s[4:5], s[14:15]
	s_cbranch_execnz .LBB1838_138
.LBB1838_153:
	s_or_b64 exec, exec, s[4:5]
                                        ; implicit-def: $vgpr17
	s_and_saveexec_b64 s[4:5], s[16:17]
	s_cbranch_execz .LBB1838_139
.LBB1838_154:
	global_load_dword v17, v[4:5], off offset:1792
	s_or_b64 exec, exec, s[4:5]
                                        ; implicit-def: $vgpr18
	s_and_saveexec_b64 s[4:5], s[18:19]
	s_cbranch_execnz .LBB1838_140
.LBB1838_155:
	s_or_b64 exec, exec, s[4:5]
                                        ; implicit-def: $vgpr19
	s_and_saveexec_b64 s[4:5], s[20:21]
	s_cbranch_execz .LBB1838_141
.LBB1838_156:
	global_load_dword v19, v[4:5], off offset:2304
	s_or_b64 exec, exec, s[4:5]
                                        ; implicit-def: $vgpr20
	s_and_saveexec_b64 s[4:5], s[22:23]
	s_cbranch_execnz .LBB1838_142
.LBB1838_157:
	s_or_b64 exec, exec, s[4:5]
                                        ; implicit-def: $vgpr21
	s_and_saveexec_b64 s[4:5], s[24:25]
	s_cbranch_execz .LBB1838_143
.LBB1838_158:
	global_load_dword v21, v[4:5], off offset:2816
	s_or_b64 exec, exec, s[4:5]
                                        ; implicit-def: $vgpr22
	s_and_saveexec_b64 s[4:5], s[26:27]
	s_cbranch_execnz .LBB1838_144
.LBB1838_159:
	s_or_b64 exec, exec, s[4:5]
                                        ; implicit-def: $vgpr23
	s_and_saveexec_b64 s[4:5], s[28:29]
	s_cbranch_execz .LBB1838_145
.LBB1838_160:
	global_load_dword v23, v[4:5], off offset:3328
	s_or_b64 exec, exec, s[4:5]
                                        ; implicit-def: $vgpr24
	s_and_saveexec_b64 s[4:5], s[30:31]
	s_cbranch_execnz .LBB1838_146
.LBB1838_161:
	s_or_b64 exec, exec, s[4:5]
                                        ; implicit-def: $vgpr25
	s_and_saveexec_b64 s[4:5], s[34:35]
	s_cbranch_execz .LBB1838_163
.LBB1838_162:
	global_load_dword v25, v[4:5], off offset:3840
.LBB1838_163:
	s_or_b64 exec, exec, s[4:5]
	s_mov_b32 s6, 0
	s_mov_b32 s7, 0
	s_movk_i32 s8, 0x1000
	v_mov_b32_e32 v5, 0
	s_movk_i32 s9, 0x400
	s_movk_i32 s10, 0x800
	;; [unrolled: 1-line block ×3, first 2 shown]
	s_mov_b32 s12, 0
	v_mov_b32_e32 v26, v2
	s_branch .LBB1838_165
.LBB1838_164:                           ;   in Loop: Header=BB1838_165 Depth=1
	s_or_b64 exec, exec, s[4:5]
	s_addk_i32 s12, 0xc000
	s_addk_i32 s7, 0xf000
	s_add_i32 s6, s6, 16
	s_cmp_eq_u32 s12, 0xffff0000
	v_add_u32_e32 v26, 0x1000, v26
	s_barrier
	s_cbranch_scc1 .LBB1838_205
.LBB1838_165:                           ; =>This Inner Loop Header: Depth=1
	v_add_u32_e32 v4, s7, v10
	v_cmp_gt_u32_e32 vcc, s8, v4
	s_and_saveexec_b64 s[4:5], vcc
	s_cbranch_execz .LBB1838_167
; %bb.166:                              ;   in Loop: Header=BB1838_165 Depth=1
	v_add_u32_e32 v4, s12, v30
	s_waitcnt vmcnt(0)
	ds_write_b32 v4, v6
.LBB1838_167:                           ;   in Loop: Header=BB1838_165 Depth=1
	s_or_b64 exec, exec, s[4:5]
	v_add_u32_e32 v4, s7, v28
	v_cmp_gt_u32_e32 vcc, s8, v4
	s_and_saveexec_b64 s[4:5], vcc
	s_cbranch_execz .LBB1838_169
; %bb.168:                              ;   in Loop: Header=BB1838_165 Depth=1
	v_add_u32_e32 v4, s12, v33
	s_waitcnt vmcnt(0)
	ds_write_b32 v4, v7
.LBB1838_169:                           ;   in Loop: Header=BB1838_165 Depth=1
	s_or_b64 exec, exec, s[4:5]
	;; [unrolled: 10-line block ×16, first 2 shown]
	v_cmp_gt_u32_e32 vcc, s3, v26
	s_waitcnt lgkmcnt(0)
	s_barrier
	s_and_saveexec_b64 s[4:5], vcc
	s_cbranch_execz .LBB1838_199
; %bb.198:                              ;   in Loop: Header=BB1838_165 Depth=1
	scratch_load_dword v4, off, s6
	s_waitcnt vmcnt(0)
	v_lshlrev_b32_e32 v4, 2, v4
	ds_read_b32 v4, v4
	ds_read_b32 v27, v37 offset:1024
	s_waitcnt lgkmcnt(1)
	v_add_u32_e32 v4, v26, v4
	v_lshl_add_u64 v[60:61], v[4:5], 2, s[58:59]
	s_waitcnt lgkmcnt(0)
	global_store_dword v[60:61], v27, off
.LBB1838_199:                           ;   in Loop: Header=BB1838_165 Depth=1
	s_or_b64 exec, exec, s[4:5]
	v_add_u32_e32 v4, 0x400, v26
	v_cmp_gt_u32_e32 vcc, s3, v4
	s_and_saveexec_b64 s[4:5], vcc
	s_cbranch_execz .LBB1838_201
; %bb.200:                              ;   in Loop: Header=BB1838_165 Depth=1
	s_add_i32 s13, s6, 4
	scratch_load_dword v4, off, s13
	s_waitcnt vmcnt(0)
	v_lshlrev_b32_e32 v4, 2, v4
	ds_read_b32 v4, v4
	ds_read_b32 v27, v37 offset:5120
	s_waitcnt lgkmcnt(1)
	v_add3_u32 v4, v26, v4, s9
	v_lshl_add_u64 v[60:61], v[4:5], 2, s[58:59]
	s_waitcnt lgkmcnt(0)
	global_store_dword v[60:61], v27, off
.LBB1838_201:                           ;   in Loop: Header=BB1838_165 Depth=1
	s_or_b64 exec, exec, s[4:5]
	v_add_u32_e32 v4, 0x800, v26
	v_cmp_gt_u32_e32 vcc, s3, v4
	s_and_saveexec_b64 s[4:5], vcc
	s_cbranch_execz .LBB1838_203
; %bb.202:                              ;   in Loop: Header=BB1838_165 Depth=1
	s_add_i32 s13, s6, 8
	scratch_load_dword v4, off, s13
	s_waitcnt vmcnt(0)
	v_lshlrev_b32_e32 v4, 2, v4
	ds_read_b32 v4, v4
	ds_read_b32 v27, v37 offset:9216
	s_waitcnt lgkmcnt(1)
	v_add3_u32 v4, v26, v4, s10
	v_lshl_add_u64 v[60:61], v[4:5], 2, s[58:59]
	s_waitcnt lgkmcnt(0)
	global_store_dword v[60:61], v27, off
.LBB1838_203:                           ;   in Loop: Header=BB1838_165 Depth=1
	s_or_b64 exec, exec, s[4:5]
	v_add_u32_e32 v4, 0xc00, v26
	v_cmp_gt_u32_e32 vcc, s3, v4
	s_and_saveexec_b64 s[4:5], vcc
	s_cbranch_execz .LBB1838_164
; %bb.204:                              ;   in Loop: Header=BB1838_165 Depth=1
	s_add_i32 s13, s6, 12
	scratch_load_dword v4, off, s13
	s_waitcnt vmcnt(0)
	v_lshlrev_b32_e32 v4, 2, v4
	ds_read_b32 v4, v4
	ds_read_b32 v27, v37 offset:13312
	s_waitcnt lgkmcnt(1)
	v_add3_u32 v4, v26, v4, s11
	v_lshl_add_u64 v[60:61], v[4:5], 2, s[58:59]
	s_waitcnt lgkmcnt(0)
	global_store_dword v[60:61], v27, off
	s_branch .LBB1838_164
.LBB1838_205:
	s_add_i32 s70, s70, -1
	s_cmp_eq_u32 s33, s70
	s_cselect_b64 s[4:5], -1, 0
	s_xor_b64 s[6:7], s[36:37], -1
	s_and_b64 s[6:7], s[6:7], s[4:5]
	s_and_saveexec_b64 s[4:5], s[6:7]
	s_cbranch_execz .LBB1838_207
; %bb.206:
	ds_read_b32 v4, v37
	s_waitcnt lgkmcnt(0)
	v_add3_u32 v4, v32, v34, v4
	global_store_dword v37, v4, s[62:63]
.LBB1838_207:
	s_or_b64 exec, exec, s[4:5]
	s_mov_b64 s[4:5], 0
.LBB1838_208:
	s_and_b64 vcc, exec, s[4:5]
	s_cbranch_vccz .LBB1838_331
; %bb.209:
	s_lshl_b32 s4, s33, 14
	s_mov_b32 s5, 0
	s_load_dword s12, s[0:1], 0x58
	s_load_dword s3, s[0:1], 0x64
	s_lshl_b64 s[8:9], s[4:5], 2
	v_mbcnt_hi_u32_b32 v10, -1, v3
	s_add_u32 s4, s52, s8
	v_and_b32_e32 v3, 63, v10
	s_waitcnt vmcnt(0)
	v_and_b32_e32 v6, 0x3c00, v1
	v_mov_b32_e32 v1, 0
	s_addc_u32 s5, s53, s9
	v_lshlrev_b32_e32 v4, 2, v3
	v_mov_b32_e32 v5, v1
	v_lshl_add_u64 v[8:9], s[4:5], 0, v[4:5]
	v_lshlrev_b32_e32 v6, 2, v6
	v_mov_b32_e32 v7, v1
	s_add_u32 s0, s0, 0x58
	v_lshl_add_u64 v[8:9], v[8:9], 0, v[6:7]
	s_addc_u32 s1, s1, 0
	s_waitcnt lgkmcnt(0)
	s_lshr_b32 s3, s3, 16
	global_load_dword v3, v[8:9], off
	s_cmp_lt_u32 s2, s12
	s_cselect_b32 s2, 12, 18
	s_add_u32 s0, s0, s2
	s_addc_u32 s1, s1, 0
	global_load_ushort v13, v1, s[0:1]
	v_mul_u32_u24_e32 v11, 20, v2
	ds_write2_b32 v11, v1, v1 offset0:16 offset1:17
	ds_write2_b32 v11, v1, v1 offset0:18 offset1:19
	ds_write_b32 v11, v1 offset:80
	global_load_dword v5, v[8:9], off offset:256
	global_load_dword v7, v[8:9], off offset:512
	;; [unrolled: 1-line block ×15, first 2 shown]
	v_bfe_u32 v14, v0, 10, 10
	v_bfe_u32 v0, v0, 20, 10
	v_mad_u32_u24 v8, v0, s3, v14
	s_lshl_b32 s0, -1, s65
	v_mov_b32_e32 v16, v1
	v_mov_b32_e32 v26, v1
	s_not_b32 s13, s0
	v_mov_b32_e32 v20, v1
	s_movk_i32 s6, 0x44
	s_waitcnt lgkmcnt(0)
	s_barrier
	s_waitcnt vmcnt(16)
	; wave barrier
	v_xor_b32_e32 v3, 0x7fffffff, v3
	v_lshrrev_b32_e32 v0, s64, v3
	v_bitop3_b32 v14, v0, s0, v0 bitop3:0x30
	v_and_b32_e32 v0, 1, v14
	v_lshlrev_b32_e32 v17, 30, v14
	v_lshlrev_b32_e32 v21, 29, v14
	;; [unrolled: 1-line block ×3, first 2 shown]
	s_waitcnt vmcnt(15)
	v_mad_u64_u32 v[8:9], s[0:1], v8, v13, v[2:3]
	v_lshl_add_u64 v[32:33], v[0:1], 0, -1
	v_cmp_ne_u32_e32 vcc, 0, v0
	v_not_b32_e32 v0, v17
	v_cmp_gt_i64_e64 s[0:1], 0, v[16:17]
	v_not_b32_e32 v9, v21
	v_cmp_gt_i64_e64 s[4:5], 0, v[26:27]
	v_not_b32_e32 v13, v27
	v_lshrrev_b32_e32 v27, 6, v8
	v_xor_b32_e32 v8, vcc_hi, v33
	v_ashrrev_i32_e32 v0, 31, v0
	v_cmp_gt_i64_e64 s[2:3], 0, v[20:21]
	v_xor_b32_e32 v16, vcc_lo, v32
	v_ashrrev_i32_e32 v9, 31, v9
	v_and_b32_e32 v8, exec_hi, v8
	v_xor_b32_e32 v17, s1, v0
	v_ashrrev_i32_e32 v13, 31, v13
	v_and_b32_e32 v16, exec_lo, v16
	v_xor_b32_e32 v0, s0, v0
	v_xor_b32_e32 v20, s3, v9
	v_and_b32_e32 v8, v8, v17
	v_xor_b32_e32 v9, s2, v9
	v_xor_b32_e32 v21, s5, v13
	v_and_b32_e32 v0, v16, v0
	v_and_b32_e32 v8, v8, v20
	;; [unrolled: 1-line block ×4, first 2 shown]
	v_lshlrev_b32_e32 v9, 27, v14
	v_mov_b32_e32 v8, v1
	v_cmp_gt_i64_e32 vcc, 0, v[8:9]
	v_not_b32_e32 v8, v9
	v_xor_b32_e32 v13, s4, v13
	v_ashrrev_i32_e32 v8, 31, v8
	v_and_b32_e32 v0, v0, v13
	v_xor_b32_e32 v9, vcc_hi, v8
	v_xor_b32_e32 v8, vcc_lo, v8
	v_and_b32_e32 v13, v16, v9
	v_and_b32_e32 v0, v0, v8
	v_lshlrev_b32_e32 v9, 26, v14
	v_mov_b32_e32 v8, v1
	v_cmp_gt_i64_e32 vcc, 0, v[8:9]
	v_not_b32_e32 v8, v9
	v_ashrrev_i32_e32 v8, 31, v8
	v_xor_b32_e32 v9, vcc_hi, v8
	v_xor_b32_e32 v8, vcc_lo, v8
	v_and_b32_e32 v13, v13, v9
	v_and_b32_e32 v0, v0, v8
	v_lshlrev_b32_e32 v9, 25, v14
	v_mov_b32_e32 v8, v1
	v_cmp_gt_i64_e32 vcc, 0, v[8:9]
	v_not_b32_e32 v8, v9
	v_ashrrev_i32_e32 v8, 31, v8
	;; [unrolled: 9-line block ×3, first 2 shown]
	v_xor_b32_e32 v9, vcc_hi, v8
	v_xor_b32_e32 v8, vcc_lo, v8
	v_and_b32_e32 v8, v0, v8
	v_and_b32_e32 v9, v13, v9
	v_mbcnt_lo_u32_b32 v0, v8, 0
	v_mul_lo_u32 v18, v14, s6
	v_mbcnt_hi_u32_b32 v14, v9, v0
	v_cmp_eq_u32_e32 vcc, 0, v14
	v_cmp_ne_u64_e64 s[0:1], 0, v[8:9]
	v_lshl_add_u32 v18, v27, 2, v18
	s_and_b64 s[2:3], s[0:1], vcc
	s_and_saveexec_b64 s[0:1], s[2:3]
; %bb.210:
	v_bcnt_u32_b32 v0, v8, 0
	v_bcnt_u32_b32 v0, v9, v0
	ds_write_b32 v18, v0 offset:64
; %bb.211:
	s_or_b64 exec, exec, s[0:1]
	s_waitcnt vmcnt(14)
	v_xor_b32_e32 v5, 0x7fffffff, v5
	v_lshrrev_b32_e32 v0, s64, v5
	v_and_b32_e32 v16, s13, v0
	v_mul_lo_u32 v0, v16, s6
	v_lshl_add_u32 v21, v27, 2, v0
	v_and_b32_e32 v0, 1, v16
	v_lshl_add_u64 v[8:9], v[0:1], 0, -1
	v_cmp_ne_u32_e32 vcc, 0, v0
	; wave barrier
	s_nop 1
	v_xor_b32_e32 v8, vcc_lo, v8
	v_xor_b32_e32 v0, vcc_hi, v9
	v_and_b32_e32 v17, exec_lo, v8
	v_lshlrev_b32_e32 v9, 30, v16
	v_mov_b32_e32 v8, v1
	v_cmp_gt_i64_e32 vcc, 0, v[8:9]
	v_not_b32_e32 v8, v9
	v_ashrrev_i32_e32 v8, 31, v8
	v_and_b32_e32 v0, exec_hi, v0
	v_xor_b32_e32 v9, vcc_hi, v8
	v_xor_b32_e32 v8, vcc_lo, v8
	v_and_b32_e32 v0, v0, v9
	v_and_b32_e32 v17, v17, v8
	v_lshlrev_b32_e32 v9, 29, v16
	v_mov_b32_e32 v8, v1
	v_cmp_gt_i64_e32 vcc, 0, v[8:9]
	v_not_b32_e32 v8, v9
	v_ashrrev_i32_e32 v8, 31, v8
	v_xor_b32_e32 v9, vcc_hi, v8
	v_xor_b32_e32 v8, vcc_lo, v8
	v_and_b32_e32 v0, v0, v9
	v_and_b32_e32 v17, v17, v8
	v_lshlrev_b32_e32 v9, 28, v16
	v_mov_b32_e32 v8, v1
	v_cmp_gt_i64_e32 vcc, 0, v[8:9]
	v_not_b32_e32 v8, v9
	v_ashrrev_i32_e32 v8, 31, v8
	;; [unrolled: 9-line block ×5, first 2 shown]
	v_xor_b32_e32 v9, vcc_hi, v8
	v_xor_b32_e32 v8, vcc_lo, v8
	v_and_b32_e32 v0, v0, v9
	v_lshlrev_b32_e32 v9, 24, v16
	v_and_b32_e32 v17, v17, v8
	v_mov_b32_e32 v8, v1
	v_not_b32_e32 v1, v9
	v_cmp_gt_i64_e32 vcc, 0, v[8:9]
	v_ashrrev_i32_e32 v1, 31, v1
	ds_read_b32 v13, v21 offset:64
	v_xor_b32_e32 v8, vcc_hi, v1
	v_xor_b32_e32 v9, vcc_lo, v1
	v_and_b32_e32 v1, v0, v8
	v_and_b32_e32 v0, v17, v9
	v_mbcnt_lo_u32_b32 v8, v0, 0
	v_mbcnt_hi_u32_b32 v16, v1, v8
	v_cmp_eq_u32_e32 vcc, 0, v16
	v_cmp_ne_u64_e64 s[0:1], 0, v[0:1]
	s_and_b64 s[2:3], s[0:1], vcc
	; wave barrier
	s_and_saveexec_b64 s[0:1], s[2:3]
	s_cbranch_execz .LBB1838_213
; %bb.212:
	v_bcnt_u32_b32 v0, v0, 0
	v_bcnt_u32_b32 v0, v1, v0
	s_waitcnt lgkmcnt(0)
	v_add_u32_e32 v0, v13, v0
	ds_write_b32 v21, v0 offset:64
.LBB1838_213:
	s_or_b64 exec, exec, s[0:1]
	s_waitcnt vmcnt(13)
	v_xor_b32_e32 v7, 0x7fffffff, v7
	v_lshrrev_b32_e32 v0, s64, v7
	v_and_b32_e32 v20, s13, v0
	s_movk_i32 s2, 0x44
	v_mul_lo_u32 v0, v20, s2
	v_lshl_add_u32 v26, v27, 2, v0
	v_and_b32_e32 v0, 1, v20
	v_mov_b32_e32 v1, 0
	v_lshl_add_u64 v[8:9], v[0:1], 0, -1
	v_cmp_ne_u32_e32 vcc, 0, v0
	; wave barrier
	s_nop 1
	v_xor_b32_e32 v8, vcc_lo, v8
	v_xor_b32_e32 v0, vcc_hi, v9
	v_and_b32_e32 v22, exec_lo, v8
	v_lshlrev_b32_e32 v9, 30, v20
	v_mov_b32_e32 v8, v1
	v_cmp_gt_i64_e32 vcc, 0, v[8:9]
	v_not_b32_e32 v8, v9
	v_ashrrev_i32_e32 v8, 31, v8
	v_and_b32_e32 v0, exec_hi, v0
	v_xor_b32_e32 v9, vcc_hi, v8
	v_xor_b32_e32 v8, vcc_lo, v8
	v_and_b32_e32 v0, v0, v9
	v_and_b32_e32 v22, v22, v8
	v_lshlrev_b32_e32 v9, 29, v20
	v_mov_b32_e32 v8, v1
	v_cmp_gt_i64_e32 vcc, 0, v[8:9]
	v_not_b32_e32 v8, v9
	v_ashrrev_i32_e32 v8, 31, v8
	v_xor_b32_e32 v9, vcc_hi, v8
	v_xor_b32_e32 v8, vcc_lo, v8
	v_and_b32_e32 v0, v0, v9
	v_and_b32_e32 v22, v22, v8
	v_lshlrev_b32_e32 v9, 28, v20
	v_mov_b32_e32 v8, v1
	v_cmp_gt_i64_e32 vcc, 0, v[8:9]
	v_not_b32_e32 v8, v9
	v_ashrrev_i32_e32 v8, 31, v8
	;; [unrolled: 9-line block ×6, first 2 shown]
	v_xor_b32_e32 v9, vcc_hi, v8
	v_xor_b32_e32 v8, vcc_lo, v8
	ds_read_b32 v17, v26 offset:64
	v_and_b32_e32 v8, v22, v8
	v_and_b32_e32 v9, v0, v9
	v_mbcnt_lo_u32_b32 v0, v8, 0
	v_mbcnt_hi_u32_b32 v20, v9, v0
	v_cmp_eq_u32_e32 vcc, 0, v20
	v_cmp_ne_u64_e64 s[0:1], 0, v[8:9]
	s_and_b64 s[4:5], s[0:1], vcc
	; wave barrier
	s_and_saveexec_b64 s[0:1], s[4:5]
	s_cbranch_execz .LBB1838_215
; %bb.214:
	v_bcnt_u32_b32 v0, v8, 0
	v_bcnt_u32_b32 v0, v9, v0
	s_waitcnt lgkmcnt(0)
	v_add_u32_e32 v0, v17, v0
	ds_write_b32 v26, v0 offset:64
.LBB1838_215:
	s_or_b64 exec, exec, s[0:1]
	s_waitcnt vmcnt(12)
	v_xor_b32_e32 v12, 0x7fffffff, v12
	v_lshrrev_b32_e32 v0, s64, v12
	v_and_b32_e32 v24, s13, v0
	v_mul_lo_u32 v0, v24, s2
	v_lshl_add_u32 v32, v27, 2, v0
	v_and_b32_e32 v0, 1, v24
	v_lshl_add_u64 v[8:9], v[0:1], 0, -1
	v_cmp_ne_u32_e32 vcc, 0, v0
	; wave barrier
	s_nop 1
	v_xor_b32_e32 v8, vcc_lo, v8
	v_xor_b32_e32 v0, vcc_hi, v9
	v_and_b32_e32 v28, exec_lo, v8
	v_lshlrev_b32_e32 v9, 30, v24
	v_mov_b32_e32 v8, v1
	v_cmp_gt_i64_e32 vcc, 0, v[8:9]
	v_not_b32_e32 v8, v9
	v_ashrrev_i32_e32 v8, 31, v8
	v_and_b32_e32 v0, exec_hi, v0
	v_xor_b32_e32 v9, vcc_hi, v8
	v_xor_b32_e32 v8, vcc_lo, v8
	v_and_b32_e32 v0, v0, v9
	v_and_b32_e32 v28, v28, v8
	v_lshlrev_b32_e32 v9, 29, v24
	v_mov_b32_e32 v8, v1
	v_cmp_gt_i64_e32 vcc, 0, v[8:9]
	v_not_b32_e32 v8, v9
	v_ashrrev_i32_e32 v8, 31, v8
	v_xor_b32_e32 v9, vcc_hi, v8
	v_xor_b32_e32 v8, vcc_lo, v8
	v_and_b32_e32 v0, v0, v9
	v_and_b32_e32 v28, v28, v8
	v_lshlrev_b32_e32 v9, 28, v24
	v_mov_b32_e32 v8, v1
	v_cmp_gt_i64_e32 vcc, 0, v[8:9]
	v_not_b32_e32 v8, v9
	v_ashrrev_i32_e32 v8, 31, v8
	;; [unrolled: 9-line block ×5, first 2 shown]
	v_xor_b32_e32 v9, vcc_hi, v8
	v_xor_b32_e32 v8, vcc_lo, v8
	v_and_b32_e32 v0, v0, v9
	v_lshlrev_b32_e32 v9, 24, v24
	v_and_b32_e32 v28, v28, v8
	v_mov_b32_e32 v8, v1
	v_not_b32_e32 v1, v9
	v_cmp_gt_i64_e32 vcc, 0, v[8:9]
	v_ashrrev_i32_e32 v1, 31, v1
	ds_read_b32 v22, v32 offset:64
	v_xor_b32_e32 v8, vcc_hi, v1
	v_xor_b32_e32 v9, vcc_lo, v1
	v_and_b32_e32 v1, v0, v8
	v_and_b32_e32 v0, v28, v9
	v_mbcnt_lo_u32_b32 v8, v0, 0
	v_mbcnt_hi_u32_b32 v24, v1, v8
	v_cmp_eq_u32_e32 vcc, 0, v24
	v_cmp_ne_u64_e64 s[0:1], 0, v[0:1]
	s_and_b64 s[2:3], s[0:1], vcc
	; wave barrier
	s_and_saveexec_b64 s[0:1], s[2:3]
	s_cbranch_execz .LBB1838_217
; %bb.216:
	v_bcnt_u32_b32 v0, v0, 0
	v_bcnt_u32_b32 v0, v1, v0
	s_waitcnt lgkmcnt(0)
	v_add_u32_e32 v0, v22, v0
	ds_write_b32 v32, v0 offset:64
.LBB1838_217:
	s_or_b64 exec, exec, s[0:1]
	s_waitcnt vmcnt(11)
	v_xor_b32_e32 v15, 0x7fffffff, v15
	v_lshrrev_b32_e32 v0, s64, v15
	v_and_b32_e32 v30, s13, v0
	s_movk_i32 s2, 0x44
	v_mul_lo_u32 v0, v30, s2
	v_lshl_add_u32 v37, v27, 2, v0
	v_and_b32_e32 v0, 1, v30
	v_mov_b32_e32 v1, 0
	v_lshl_add_u64 v[8:9], v[0:1], 0, -1
	v_cmp_ne_u32_e32 vcc, 0, v0
	; wave barrier
	s_nop 1
	v_xor_b32_e32 v8, vcc_lo, v8
	v_xor_b32_e32 v0, vcc_hi, v9
	v_and_b32_e32 v33, exec_lo, v8
	v_lshlrev_b32_e32 v9, 30, v30
	v_mov_b32_e32 v8, v1
	v_cmp_gt_i64_e32 vcc, 0, v[8:9]
	v_not_b32_e32 v8, v9
	v_ashrrev_i32_e32 v8, 31, v8
	v_and_b32_e32 v0, exec_hi, v0
	v_xor_b32_e32 v9, vcc_hi, v8
	v_xor_b32_e32 v8, vcc_lo, v8
	v_and_b32_e32 v0, v0, v9
	v_and_b32_e32 v33, v33, v8
	v_lshlrev_b32_e32 v9, 29, v30
	v_mov_b32_e32 v8, v1
	v_cmp_gt_i64_e32 vcc, 0, v[8:9]
	v_not_b32_e32 v8, v9
	v_ashrrev_i32_e32 v8, 31, v8
	v_xor_b32_e32 v9, vcc_hi, v8
	v_xor_b32_e32 v8, vcc_lo, v8
	v_and_b32_e32 v0, v0, v9
	v_and_b32_e32 v33, v33, v8
	v_lshlrev_b32_e32 v9, 28, v30
	v_mov_b32_e32 v8, v1
	v_cmp_gt_i64_e32 vcc, 0, v[8:9]
	v_not_b32_e32 v8, v9
	v_ashrrev_i32_e32 v8, 31, v8
	;; [unrolled: 9-line block ×6, first 2 shown]
	v_xor_b32_e32 v9, vcc_hi, v8
	v_xor_b32_e32 v8, vcc_lo, v8
	ds_read_b32 v28, v37 offset:64
	v_and_b32_e32 v8, v33, v8
	v_and_b32_e32 v9, v0, v9
	v_mbcnt_lo_u32_b32 v0, v8, 0
	v_mbcnt_hi_u32_b32 v30, v9, v0
	v_cmp_eq_u32_e32 vcc, 0, v30
	v_cmp_ne_u64_e64 s[0:1], 0, v[8:9]
	s_and_b64 s[4:5], s[0:1], vcc
	; wave barrier
	s_and_saveexec_b64 s[0:1], s[4:5]
	s_cbranch_execz .LBB1838_219
; %bb.218:
	v_bcnt_u32_b32 v0, v8, 0
	v_bcnt_u32_b32 v0, v9, v0
	s_waitcnt lgkmcnt(0)
	v_add_u32_e32 v0, v28, v0
	ds_write_b32 v37, v0 offset:64
.LBB1838_219:
	s_or_b64 exec, exec, s[0:1]
	s_waitcnt vmcnt(10)
	v_xor_b32_e32 v19, 0x7fffffff, v19
	v_lshrrev_b32_e32 v0, s64, v19
	v_and_b32_e32 v35, s13, v0
	v_mul_lo_u32 v0, v35, s2
	v_lshl_add_u32 v41, v27, 2, v0
	v_and_b32_e32 v0, 1, v35
	v_lshl_add_u64 v[8:9], v[0:1], 0, -1
	v_cmp_ne_u32_e32 vcc, 0, v0
	; wave barrier
	s_nop 1
	v_xor_b32_e32 v8, vcc_lo, v8
	v_xor_b32_e32 v0, vcc_hi, v9
	v_and_b32_e32 v38, exec_lo, v8
	v_lshlrev_b32_e32 v9, 30, v35
	v_mov_b32_e32 v8, v1
	v_cmp_gt_i64_e32 vcc, 0, v[8:9]
	v_not_b32_e32 v8, v9
	v_ashrrev_i32_e32 v8, 31, v8
	v_and_b32_e32 v0, exec_hi, v0
	v_xor_b32_e32 v9, vcc_hi, v8
	v_xor_b32_e32 v8, vcc_lo, v8
	v_and_b32_e32 v0, v0, v9
	v_and_b32_e32 v38, v38, v8
	v_lshlrev_b32_e32 v9, 29, v35
	v_mov_b32_e32 v8, v1
	v_cmp_gt_i64_e32 vcc, 0, v[8:9]
	v_not_b32_e32 v8, v9
	v_ashrrev_i32_e32 v8, 31, v8
	v_xor_b32_e32 v9, vcc_hi, v8
	v_xor_b32_e32 v8, vcc_lo, v8
	v_and_b32_e32 v0, v0, v9
	v_and_b32_e32 v38, v38, v8
	v_lshlrev_b32_e32 v9, 28, v35
	v_mov_b32_e32 v8, v1
	v_cmp_gt_i64_e32 vcc, 0, v[8:9]
	v_not_b32_e32 v8, v9
	v_ashrrev_i32_e32 v8, 31, v8
	;; [unrolled: 9-line block ×5, first 2 shown]
	v_xor_b32_e32 v9, vcc_hi, v8
	v_xor_b32_e32 v8, vcc_lo, v8
	v_and_b32_e32 v0, v0, v9
	v_lshlrev_b32_e32 v9, 24, v35
	v_and_b32_e32 v38, v38, v8
	v_mov_b32_e32 v8, v1
	v_not_b32_e32 v1, v9
	v_cmp_gt_i64_e32 vcc, 0, v[8:9]
	v_ashrrev_i32_e32 v1, 31, v1
	ds_read_b32 v33, v41 offset:64
	v_xor_b32_e32 v8, vcc_hi, v1
	v_xor_b32_e32 v9, vcc_lo, v1
	v_and_b32_e32 v1, v0, v8
	v_and_b32_e32 v0, v38, v9
	v_mbcnt_lo_u32_b32 v8, v0, 0
	v_mbcnt_hi_u32_b32 v35, v1, v8
	v_cmp_eq_u32_e32 vcc, 0, v35
	v_cmp_ne_u64_e64 s[0:1], 0, v[0:1]
	s_and_b64 s[2:3], s[0:1], vcc
	; wave barrier
	s_and_saveexec_b64 s[0:1], s[2:3]
	s_cbranch_execz .LBB1838_221
; %bb.220:
	v_bcnt_u32_b32 v0, v0, 0
	v_bcnt_u32_b32 v0, v1, v0
	s_waitcnt lgkmcnt(0)
	v_add_u32_e32 v0, v33, v0
	ds_write_b32 v41, v0 offset:64
.LBB1838_221:
	s_or_b64 exec, exec, s[0:1]
	s_waitcnt vmcnt(9)
	v_xor_b32_e32 v23, 0x7fffffff, v23
	v_lshrrev_b32_e32 v0, s64, v23
	v_and_b32_e32 v42, s13, v0
	s_movk_i32 s2, 0x44
	v_mul_lo_u32 v0, v42, s2
	v_lshl_add_u32 v46, v27, 2, v0
	v_and_b32_e32 v0, 1, v42
	v_mov_b32_e32 v1, 0
	v_lshl_add_u64 v[8:9], v[0:1], 0, -1
	v_cmp_ne_u32_e32 vcc, 0, v0
	; wave barrier
	s_nop 1
	v_xor_b32_e32 v8, vcc_lo, v8
	v_xor_b32_e32 v0, vcc_hi, v9
	v_and_b32_e32 v43, exec_lo, v8
	v_lshlrev_b32_e32 v9, 30, v42
	v_mov_b32_e32 v8, v1
	v_cmp_gt_i64_e32 vcc, 0, v[8:9]
	v_not_b32_e32 v8, v9
	v_ashrrev_i32_e32 v8, 31, v8
	v_and_b32_e32 v0, exec_hi, v0
	v_xor_b32_e32 v9, vcc_hi, v8
	v_xor_b32_e32 v8, vcc_lo, v8
	v_and_b32_e32 v0, v0, v9
	v_and_b32_e32 v43, v43, v8
	v_lshlrev_b32_e32 v9, 29, v42
	v_mov_b32_e32 v8, v1
	v_cmp_gt_i64_e32 vcc, 0, v[8:9]
	v_not_b32_e32 v8, v9
	v_ashrrev_i32_e32 v8, 31, v8
	v_xor_b32_e32 v9, vcc_hi, v8
	v_xor_b32_e32 v8, vcc_lo, v8
	v_and_b32_e32 v0, v0, v9
	v_and_b32_e32 v43, v43, v8
	v_lshlrev_b32_e32 v9, 28, v42
	v_mov_b32_e32 v8, v1
	v_cmp_gt_i64_e32 vcc, 0, v[8:9]
	v_not_b32_e32 v8, v9
	v_ashrrev_i32_e32 v8, 31, v8
	;; [unrolled: 9-line block ×6, first 2 shown]
	v_xor_b32_e32 v9, vcc_hi, v8
	v_xor_b32_e32 v8, vcc_lo, v8
	ds_read_b32 v38, v46 offset:64
	v_and_b32_e32 v8, v43, v8
	v_and_b32_e32 v9, v0, v9
	v_mbcnt_lo_u32_b32 v0, v8, 0
	v_mbcnt_hi_u32_b32 v42, v9, v0
	v_cmp_eq_u32_e32 vcc, 0, v42
	v_cmp_ne_u64_e64 s[0:1], 0, v[8:9]
	s_and_b64 s[4:5], s[0:1], vcc
	; wave barrier
	s_and_saveexec_b64 s[0:1], s[4:5]
	s_cbranch_execz .LBB1838_223
; %bb.222:
	v_bcnt_u32_b32 v0, v8, 0
	v_bcnt_u32_b32 v0, v9, v0
	s_waitcnt lgkmcnt(0)
	v_add_u32_e32 v0, v38, v0
	ds_write_b32 v46, v0 offset:64
.LBB1838_223:
	s_or_b64 exec, exec, s[0:1]
	s_waitcnt vmcnt(8)
	v_xor_b32_e32 v29, 0x7fffffff, v29
	v_lshrrev_b32_e32 v0, s64, v29
	v_and_b32_e32 v47, s13, v0
	v_mul_lo_u32 v0, v47, s2
	v_lshl_add_u32 v49, v27, 2, v0
	v_and_b32_e32 v0, 1, v47
	v_lshl_add_u64 v[8:9], v[0:1], 0, -1
	v_cmp_ne_u32_e32 vcc, 0, v0
	; wave barrier
	s_nop 1
	v_xor_b32_e32 v8, vcc_lo, v8
	v_xor_b32_e32 v0, vcc_hi, v9
	v_and_b32_e32 v48, exec_lo, v8
	v_lshlrev_b32_e32 v9, 30, v47
	v_mov_b32_e32 v8, v1
	v_cmp_gt_i64_e32 vcc, 0, v[8:9]
	v_not_b32_e32 v8, v9
	v_ashrrev_i32_e32 v8, 31, v8
	v_and_b32_e32 v0, exec_hi, v0
	v_xor_b32_e32 v9, vcc_hi, v8
	v_xor_b32_e32 v8, vcc_lo, v8
	v_and_b32_e32 v0, v0, v9
	v_and_b32_e32 v48, v48, v8
	v_lshlrev_b32_e32 v9, 29, v47
	v_mov_b32_e32 v8, v1
	v_cmp_gt_i64_e32 vcc, 0, v[8:9]
	v_not_b32_e32 v8, v9
	v_ashrrev_i32_e32 v8, 31, v8
	v_xor_b32_e32 v9, vcc_hi, v8
	v_xor_b32_e32 v8, vcc_lo, v8
	v_and_b32_e32 v0, v0, v9
	v_and_b32_e32 v48, v48, v8
	v_lshlrev_b32_e32 v9, 28, v47
	v_mov_b32_e32 v8, v1
	v_cmp_gt_i64_e32 vcc, 0, v[8:9]
	v_not_b32_e32 v8, v9
	v_ashrrev_i32_e32 v8, 31, v8
	;; [unrolled: 9-line block ×5, first 2 shown]
	v_xor_b32_e32 v9, vcc_hi, v8
	v_xor_b32_e32 v8, vcc_lo, v8
	v_and_b32_e32 v0, v0, v9
	v_lshlrev_b32_e32 v9, 24, v47
	v_and_b32_e32 v48, v48, v8
	v_mov_b32_e32 v8, v1
	v_not_b32_e32 v1, v9
	v_cmp_gt_i64_e32 vcc, 0, v[8:9]
	v_ashrrev_i32_e32 v1, 31, v1
	ds_read_b32 v43, v49 offset:64
	v_xor_b32_e32 v8, vcc_hi, v1
	v_xor_b32_e32 v9, vcc_lo, v1
	v_and_b32_e32 v1, v0, v8
	v_and_b32_e32 v0, v48, v9
	v_mbcnt_lo_u32_b32 v8, v0, 0
	v_mbcnt_hi_u32_b32 v47, v1, v8
	v_cmp_eq_u32_e32 vcc, 0, v47
	v_cmp_ne_u64_e64 s[0:1], 0, v[0:1]
	s_and_b64 s[2:3], s[0:1], vcc
	; wave barrier
	s_and_saveexec_b64 s[0:1], s[2:3]
	s_cbranch_execz .LBB1838_225
; %bb.224:
	v_bcnt_u32_b32 v0, v0, 0
	v_bcnt_u32_b32 v0, v1, v0
	s_waitcnt lgkmcnt(0)
	v_add_u32_e32 v0, v43, v0
	ds_write_b32 v49, v0 offset:64
.LBB1838_225:
	s_or_b64 exec, exec, s[0:1]
	s_waitcnt vmcnt(7)
	v_xor_b32_e32 v34, 0x7fffffff, v34
	v_lshrrev_b32_e32 v0, s64, v34
	v_and_b32_e32 v50, s13, v0
	s_movk_i32 s2, 0x44
	v_mul_lo_u32 v0, v50, s2
	v_lshl_add_u32 v52, v27, 2, v0
	v_and_b32_e32 v0, 1, v50
	v_mov_b32_e32 v1, 0
	v_lshl_add_u64 v[8:9], v[0:1], 0, -1
	v_cmp_ne_u32_e32 vcc, 0, v0
	; wave barrier
	s_nop 1
	v_xor_b32_e32 v8, vcc_lo, v8
	v_xor_b32_e32 v0, vcc_hi, v9
	v_and_b32_e32 v51, exec_lo, v8
	v_lshlrev_b32_e32 v9, 30, v50
	v_mov_b32_e32 v8, v1
	v_cmp_gt_i64_e32 vcc, 0, v[8:9]
	v_not_b32_e32 v8, v9
	v_ashrrev_i32_e32 v8, 31, v8
	v_and_b32_e32 v0, exec_hi, v0
	v_xor_b32_e32 v9, vcc_hi, v8
	v_xor_b32_e32 v8, vcc_lo, v8
	v_and_b32_e32 v0, v0, v9
	v_and_b32_e32 v51, v51, v8
	v_lshlrev_b32_e32 v9, 29, v50
	v_mov_b32_e32 v8, v1
	v_cmp_gt_i64_e32 vcc, 0, v[8:9]
	v_not_b32_e32 v8, v9
	v_ashrrev_i32_e32 v8, 31, v8
	v_xor_b32_e32 v9, vcc_hi, v8
	v_xor_b32_e32 v8, vcc_lo, v8
	v_and_b32_e32 v0, v0, v9
	v_and_b32_e32 v51, v51, v8
	v_lshlrev_b32_e32 v9, 28, v50
	v_mov_b32_e32 v8, v1
	v_cmp_gt_i64_e32 vcc, 0, v[8:9]
	v_not_b32_e32 v8, v9
	v_ashrrev_i32_e32 v8, 31, v8
	;; [unrolled: 9-line block ×6, first 2 shown]
	v_xor_b32_e32 v9, vcc_hi, v8
	v_xor_b32_e32 v8, vcc_lo, v8
	ds_read_b32 v48, v52 offset:64
	v_and_b32_e32 v8, v51, v8
	v_and_b32_e32 v9, v0, v9
	v_mbcnt_lo_u32_b32 v0, v8, 0
	v_mbcnt_hi_u32_b32 v50, v9, v0
	v_cmp_eq_u32_e32 vcc, 0, v50
	v_cmp_ne_u64_e64 s[0:1], 0, v[8:9]
	s_and_b64 s[4:5], s[0:1], vcc
	; wave barrier
	s_and_saveexec_b64 s[0:1], s[4:5]
	s_cbranch_execz .LBB1838_227
; %bb.226:
	v_bcnt_u32_b32 v0, v8, 0
	v_bcnt_u32_b32 v0, v9, v0
	s_waitcnt lgkmcnt(0)
	v_add_u32_e32 v0, v48, v0
	ds_write_b32 v52, v0 offset:64
.LBB1838_227:
	s_or_b64 exec, exec, s[0:1]
	s_waitcnt vmcnt(6)
	v_xor_b32_e32 v39, 0x7fffffff, v39
	v_lshrrev_b32_e32 v0, s64, v39
	v_and_b32_e32 v53, s13, v0
	v_mul_lo_u32 v0, v53, s2
	v_lshl_add_u32 v55, v27, 2, v0
	v_and_b32_e32 v0, 1, v53
	v_lshl_add_u64 v[8:9], v[0:1], 0, -1
	v_cmp_ne_u32_e32 vcc, 0, v0
	; wave barrier
	s_nop 1
	v_xor_b32_e32 v8, vcc_lo, v8
	v_xor_b32_e32 v0, vcc_hi, v9
	v_and_b32_e32 v54, exec_lo, v8
	v_lshlrev_b32_e32 v9, 30, v53
	v_mov_b32_e32 v8, v1
	v_cmp_gt_i64_e32 vcc, 0, v[8:9]
	v_not_b32_e32 v8, v9
	v_ashrrev_i32_e32 v8, 31, v8
	v_and_b32_e32 v0, exec_hi, v0
	v_xor_b32_e32 v9, vcc_hi, v8
	v_xor_b32_e32 v8, vcc_lo, v8
	v_and_b32_e32 v0, v0, v9
	v_and_b32_e32 v54, v54, v8
	v_lshlrev_b32_e32 v9, 29, v53
	v_mov_b32_e32 v8, v1
	v_cmp_gt_i64_e32 vcc, 0, v[8:9]
	v_not_b32_e32 v8, v9
	v_ashrrev_i32_e32 v8, 31, v8
	v_xor_b32_e32 v9, vcc_hi, v8
	v_xor_b32_e32 v8, vcc_lo, v8
	v_and_b32_e32 v0, v0, v9
	v_and_b32_e32 v54, v54, v8
	v_lshlrev_b32_e32 v9, 28, v53
	v_mov_b32_e32 v8, v1
	v_cmp_gt_i64_e32 vcc, 0, v[8:9]
	v_not_b32_e32 v8, v9
	v_ashrrev_i32_e32 v8, 31, v8
	;; [unrolled: 9-line block ×5, first 2 shown]
	v_xor_b32_e32 v9, vcc_hi, v8
	v_xor_b32_e32 v8, vcc_lo, v8
	v_and_b32_e32 v0, v0, v9
	v_lshlrev_b32_e32 v9, 24, v53
	v_and_b32_e32 v54, v54, v8
	v_mov_b32_e32 v8, v1
	v_not_b32_e32 v1, v9
	v_cmp_gt_i64_e32 vcc, 0, v[8:9]
	v_ashrrev_i32_e32 v1, 31, v1
	ds_read_b32 v51, v55 offset:64
	v_xor_b32_e32 v8, vcc_hi, v1
	v_xor_b32_e32 v9, vcc_lo, v1
	v_and_b32_e32 v1, v0, v8
	v_and_b32_e32 v0, v54, v9
	v_mbcnt_lo_u32_b32 v8, v0, 0
	v_mbcnt_hi_u32_b32 v53, v1, v8
	v_cmp_eq_u32_e32 vcc, 0, v53
	v_cmp_ne_u64_e64 s[0:1], 0, v[0:1]
	s_and_b64 s[2:3], s[0:1], vcc
	; wave barrier
	s_and_saveexec_b64 s[0:1], s[2:3]
	s_cbranch_execz .LBB1838_229
; %bb.228:
	v_bcnt_u32_b32 v0, v0, 0
	v_bcnt_u32_b32 v0, v1, v0
	s_waitcnt lgkmcnt(0)
	v_add_u32_e32 v0, v51, v0
	ds_write_b32 v55, v0 offset:64
.LBB1838_229:
	s_or_b64 exec, exec, s[0:1]
	s_waitcnt vmcnt(5)
	v_xor_b32_e32 v44, 0x7fffffff, v44
	v_lshrrev_b32_e32 v0, s64, v44
	v_and_b32_e32 v56, s13, v0
	s_movk_i32 s2, 0x44
	v_mul_lo_u32 v0, v56, s2
	v_lshl_add_u32 v58, v27, 2, v0
	v_and_b32_e32 v0, 1, v56
	v_mov_b32_e32 v1, 0
	v_lshl_add_u64 v[8:9], v[0:1], 0, -1
	v_cmp_ne_u32_e32 vcc, 0, v0
	; wave barrier
	s_nop 1
	v_xor_b32_e32 v8, vcc_lo, v8
	v_xor_b32_e32 v0, vcc_hi, v9
	v_and_b32_e32 v57, exec_lo, v8
	v_lshlrev_b32_e32 v9, 30, v56
	v_mov_b32_e32 v8, v1
	v_cmp_gt_i64_e32 vcc, 0, v[8:9]
	v_not_b32_e32 v8, v9
	v_ashrrev_i32_e32 v8, 31, v8
	v_and_b32_e32 v0, exec_hi, v0
	v_xor_b32_e32 v9, vcc_hi, v8
	v_xor_b32_e32 v8, vcc_lo, v8
	v_and_b32_e32 v0, v0, v9
	v_and_b32_e32 v57, v57, v8
	v_lshlrev_b32_e32 v9, 29, v56
	v_mov_b32_e32 v8, v1
	v_cmp_gt_i64_e32 vcc, 0, v[8:9]
	v_not_b32_e32 v8, v9
	v_ashrrev_i32_e32 v8, 31, v8
	v_xor_b32_e32 v9, vcc_hi, v8
	v_xor_b32_e32 v8, vcc_lo, v8
	v_and_b32_e32 v0, v0, v9
	v_and_b32_e32 v57, v57, v8
	v_lshlrev_b32_e32 v9, 28, v56
	v_mov_b32_e32 v8, v1
	v_cmp_gt_i64_e32 vcc, 0, v[8:9]
	v_not_b32_e32 v8, v9
	v_ashrrev_i32_e32 v8, 31, v8
	;; [unrolled: 9-line block ×6, first 2 shown]
	v_xor_b32_e32 v9, vcc_hi, v8
	v_xor_b32_e32 v8, vcc_lo, v8
	ds_read_b32 v54, v58 offset:64
	v_and_b32_e32 v8, v57, v8
	v_and_b32_e32 v9, v0, v9
	v_mbcnt_lo_u32_b32 v0, v8, 0
	v_mbcnt_hi_u32_b32 v56, v9, v0
	v_cmp_eq_u32_e32 vcc, 0, v56
	v_cmp_ne_u64_e64 s[0:1], 0, v[8:9]
	s_and_b64 s[4:5], s[0:1], vcc
	; wave barrier
	s_and_saveexec_b64 s[0:1], s[4:5]
	s_cbranch_execz .LBB1838_231
; %bb.230:
	v_bcnt_u32_b32 v0, v8, 0
	v_bcnt_u32_b32 v0, v9, v0
	s_waitcnt lgkmcnt(0)
	v_add_u32_e32 v0, v54, v0
	ds_write_b32 v58, v0 offset:64
.LBB1838_231:
	s_or_b64 exec, exec, s[0:1]
	s_waitcnt vmcnt(4)
	v_xor_b32_e32 v45, 0x7fffffff, v45
	v_lshrrev_b32_e32 v0, s64, v45
	v_and_b32_e32 v59, s13, v0
	v_mul_lo_u32 v0, v59, s2
	v_lshl_add_u32 v62, v27, 2, v0
	v_and_b32_e32 v0, 1, v59
	v_lshl_add_u64 v[8:9], v[0:1], 0, -1
	v_cmp_ne_u32_e32 vcc, 0, v0
	; wave barrier
	s_nop 1
	v_xor_b32_e32 v8, vcc_lo, v8
	v_xor_b32_e32 v0, vcc_hi, v9
	v_and_b32_e32 v60, exec_lo, v8
	v_lshlrev_b32_e32 v9, 30, v59
	v_mov_b32_e32 v8, v1
	v_cmp_gt_i64_e32 vcc, 0, v[8:9]
	v_not_b32_e32 v8, v9
	v_ashrrev_i32_e32 v8, 31, v8
	v_and_b32_e32 v0, exec_hi, v0
	v_xor_b32_e32 v9, vcc_hi, v8
	v_xor_b32_e32 v8, vcc_lo, v8
	v_and_b32_e32 v0, v0, v9
	v_and_b32_e32 v60, v60, v8
	v_lshlrev_b32_e32 v9, 29, v59
	v_mov_b32_e32 v8, v1
	v_cmp_gt_i64_e32 vcc, 0, v[8:9]
	v_not_b32_e32 v8, v9
	v_ashrrev_i32_e32 v8, 31, v8
	v_xor_b32_e32 v9, vcc_hi, v8
	v_xor_b32_e32 v8, vcc_lo, v8
	v_and_b32_e32 v0, v0, v9
	v_and_b32_e32 v60, v60, v8
	v_lshlrev_b32_e32 v9, 28, v59
	v_mov_b32_e32 v8, v1
	v_cmp_gt_i64_e32 vcc, 0, v[8:9]
	v_not_b32_e32 v8, v9
	v_ashrrev_i32_e32 v8, 31, v8
	;; [unrolled: 9-line block ×5, first 2 shown]
	v_xor_b32_e32 v9, vcc_hi, v8
	v_xor_b32_e32 v8, vcc_lo, v8
	v_and_b32_e32 v0, v0, v9
	v_lshlrev_b32_e32 v9, 24, v59
	v_and_b32_e32 v60, v60, v8
	v_mov_b32_e32 v8, v1
	v_not_b32_e32 v1, v9
	v_cmp_gt_i64_e32 vcc, 0, v[8:9]
	v_ashrrev_i32_e32 v1, 31, v1
	ds_read_b32 v57, v62 offset:64
	v_xor_b32_e32 v8, vcc_hi, v1
	v_xor_b32_e32 v9, vcc_lo, v1
	v_and_b32_e32 v1, v0, v8
	v_and_b32_e32 v0, v60, v9
	v_mbcnt_lo_u32_b32 v8, v0, 0
	v_mbcnt_hi_u32_b32 v59, v1, v8
	v_cmp_eq_u32_e32 vcc, 0, v59
	v_cmp_ne_u64_e64 s[0:1], 0, v[0:1]
	s_and_b64 s[2:3], s[0:1], vcc
	; wave barrier
	s_and_saveexec_b64 s[0:1], s[2:3]
	s_cbranch_execz .LBB1838_233
; %bb.232:
	v_bcnt_u32_b32 v0, v0, 0
	v_bcnt_u32_b32 v0, v1, v0
	s_waitcnt lgkmcnt(0)
	v_add_u32_e32 v0, v57, v0
	ds_write_b32 v62, v0 offset:64
.LBB1838_233:
	s_or_b64 exec, exec, s[0:1]
	s_waitcnt vmcnt(3)
	v_xor_b32_e32 v40, 0x7fffffff, v40
	v_lshrrev_b32_e32 v0, s64, v40
	v_and_b32_e32 v61, s13, v0
	s_movk_i32 s2, 0x44
	v_mul_lo_u32 v0, v61, s2
	v_lshl_add_u32 v65, v27, 2, v0
	v_and_b32_e32 v0, 1, v61
	v_mov_b32_e32 v1, 0
	v_lshl_add_u64 v[8:9], v[0:1], 0, -1
	v_cmp_ne_u32_e32 vcc, 0, v0
	; wave barrier
	s_nop 1
	v_xor_b32_e32 v8, vcc_lo, v8
	v_xor_b32_e32 v0, vcc_hi, v9
	v_and_b32_e32 v63, exec_lo, v8
	v_lshlrev_b32_e32 v9, 30, v61
	v_mov_b32_e32 v8, v1
	v_cmp_gt_i64_e32 vcc, 0, v[8:9]
	v_not_b32_e32 v8, v9
	v_ashrrev_i32_e32 v8, 31, v8
	v_and_b32_e32 v0, exec_hi, v0
	v_xor_b32_e32 v9, vcc_hi, v8
	v_xor_b32_e32 v8, vcc_lo, v8
	v_and_b32_e32 v0, v0, v9
	v_and_b32_e32 v63, v63, v8
	v_lshlrev_b32_e32 v9, 29, v61
	v_mov_b32_e32 v8, v1
	v_cmp_gt_i64_e32 vcc, 0, v[8:9]
	v_not_b32_e32 v8, v9
	v_ashrrev_i32_e32 v8, 31, v8
	v_xor_b32_e32 v9, vcc_hi, v8
	v_xor_b32_e32 v8, vcc_lo, v8
	v_and_b32_e32 v0, v0, v9
	v_and_b32_e32 v63, v63, v8
	v_lshlrev_b32_e32 v9, 28, v61
	v_mov_b32_e32 v8, v1
	v_cmp_gt_i64_e32 vcc, 0, v[8:9]
	v_not_b32_e32 v8, v9
	v_ashrrev_i32_e32 v8, 31, v8
	;; [unrolled: 9-line block ×6, first 2 shown]
	v_xor_b32_e32 v9, vcc_hi, v8
	v_xor_b32_e32 v8, vcc_lo, v8
	ds_read_b32 v60, v65 offset:64
	v_and_b32_e32 v8, v63, v8
	v_and_b32_e32 v9, v0, v9
	v_mbcnt_lo_u32_b32 v0, v8, 0
	v_mbcnt_hi_u32_b32 v63, v9, v0
	v_cmp_eq_u32_e32 vcc, 0, v63
	v_cmp_ne_u64_e64 s[0:1], 0, v[8:9]
	s_and_b64 s[4:5], s[0:1], vcc
	; wave barrier
	s_and_saveexec_b64 s[0:1], s[4:5]
	s_cbranch_execz .LBB1838_235
; %bb.234:
	v_bcnt_u32_b32 v0, v8, 0
	v_bcnt_u32_b32 v0, v9, v0
	s_waitcnt lgkmcnt(0)
	v_add_u32_e32 v0, v60, v0
	ds_write_b32 v65, v0 offset:64
.LBB1838_235:
	s_or_b64 exec, exec, s[0:1]
	s_waitcnt vmcnt(2)
	v_xor_b32_e32 v36, 0x7fffffff, v36
	v_lshrrev_b32_e32 v0, s64, v36
	v_and_b32_e32 v61, s13, v0
	v_mul_lo_u32 v0, v61, s2
	v_lshl_add_u32 v68, v27, 2, v0
	v_and_b32_e32 v0, 1, v61
	v_lshl_add_u64 v[8:9], v[0:1], 0, -1
	v_cmp_ne_u32_e32 vcc, 0, v0
	; wave barrier
	s_nop 1
	v_xor_b32_e32 v8, vcc_lo, v8
	v_xor_b32_e32 v0, vcc_hi, v9
	v_and_b32_e32 v66, exec_lo, v8
	v_lshlrev_b32_e32 v9, 30, v61
	v_mov_b32_e32 v8, v1
	v_cmp_gt_i64_e32 vcc, 0, v[8:9]
	v_not_b32_e32 v8, v9
	v_ashrrev_i32_e32 v8, 31, v8
	v_and_b32_e32 v0, exec_hi, v0
	v_xor_b32_e32 v9, vcc_hi, v8
	v_xor_b32_e32 v8, vcc_lo, v8
	v_and_b32_e32 v0, v0, v9
	v_and_b32_e32 v66, v66, v8
	v_lshlrev_b32_e32 v9, 29, v61
	v_mov_b32_e32 v8, v1
	v_cmp_gt_i64_e32 vcc, 0, v[8:9]
	v_not_b32_e32 v8, v9
	v_ashrrev_i32_e32 v8, 31, v8
	v_xor_b32_e32 v9, vcc_hi, v8
	v_xor_b32_e32 v8, vcc_lo, v8
	v_and_b32_e32 v0, v0, v9
	v_and_b32_e32 v66, v66, v8
	v_lshlrev_b32_e32 v9, 28, v61
	v_mov_b32_e32 v8, v1
	v_cmp_gt_i64_e32 vcc, 0, v[8:9]
	v_not_b32_e32 v8, v9
	v_ashrrev_i32_e32 v8, 31, v8
	;; [unrolled: 9-line block ×5, first 2 shown]
	v_xor_b32_e32 v9, vcc_hi, v8
	v_xor_b32_e32 v8, vcc_lo, v8
	v_and_b32_e32 v0, v0, v9
	v_lshlrev_b32_e32 v9, 24, v61
	v_and_b32_e32 v66, v66, v8
	v_mov_b32_e32 v8, v1
	v_not_b32_e32 v1, v9
	v_cmp_gt_i64_e32 vcc, 0, v[8:9]
	v_ashrrev_i32_e32 v1, 31, v1
	ds_read_b32 v64, v68 offset:64
	v_xor_b32_e32 v8, vcc_hi, v1
	v_xor_b32_e32 v9, vcc_lo, v1
	v_and_b32_e32 v1, v0, v8
	v_and_b32_e32 v0, v66, v9
	v_mbcnt_lo_u32_b32 v8, v0, 0
	v_mbcnt_hi_u32_b32 v66, v1, v8
	v_cmp_eq_u32_e32 vcc, 0, v66
	v_cmp_ne_u64_e64 s[0:1], 0, v[0:1]
	s_and_b64 s[2:3], s[0:1], vcc
	; wave barrier
	s_and_saveexec_b64 s[0:1], s[2:3]
	s_cbranch_execz .LBB1838_237
; %bb.236:
	v_bcnt_u32_b32 v0, v0, 0
	v_bcnt_u32_b32 v0, v1, v0
	s_waitcnt lgkmcnt(0)
	v_add_u32_e32 v0, v64, v0
	ds_write_b32 v68, v0 offset:64
.LBB1838_237:
	s_or_b64 exec, exec, s[0:1]
	s_waitcnt vmcnt(1)
	v_xor_b32_e32 v31, 0x7fffffff, v31
	v_lshrrev_b32_e32 v0, s64, v31
	v_and_b32_e32 v61, s13, v0
	s_movk_i32 s2, 0x44
	v_mul_lo_u32 v0, v61, s2
	v_lshl_add_u32 v70, v27, 2, v0
	v_and_b32_e32 v0, 1, v61
	v_mov_b32_e32 v1, 0
	v_lshl_add_u64 v[8:9], v[0:1], 0, -1
	v_cmp_ne_u32_e32 vcc, 0, v0
	; wave barrier
	s_nop 1
	v_xor_b32_e32 v8, vcc_lo, v8
	v_xor_b32_e32 v0, vcc_hi, v9
	v_and_b32_e32 v69, exec_lo, v8
	v_lshlrev_b32_e32 v9, 30, v61
	v_mov_b32_e32 v8, v1
	v_cmp_gt_i64_e32 vcc, 0, v[8:9]
	v_not_b32_e32 v8, v9
	v_ashrrev_i32_e32 v8, 31, v8
	v_and_b32_e32 v0, exec_hi, v0
	v_xor_b32_e32 v9, vcc_hi, v8
	v_xor_b32_e32 v8, vcc_lo, v8
	v_and_b32_e32 v0, v0, v9
	v_and_b32_e32 v69, v69, v8
	v_lshlrev_b32_e32 v9, 29, v61
	v_mov_b32_e32 v8, v1
	v_cmp_gt_i64_e32 vcc, 0, v[8:9]
	v_not_b32_e32 v8, v9
	v_ashrrev_i32_e32 v8, 31, v8
	v_xor_b32_e32 v9, vcc_hi, v8
	v_xor_b32_e32 v8, vcc_lo, v8
	v_and_b32_e32 v0, v0, v9
	v_and_b32_e32 v69, v69, v8
	v_lshlrev_b32_e32 v9, 28, v61
	v_mov_b32_e32 v8, v1
	v_cmp_gt_i64_e32 vcc, 0, v[8:9]
	v_not_b32_e32 v8, v9
	v_ashrrev_i32_e32 v8, 31, v8
	;; [unrolled: 9-line block ×6, first 2 shown]
	v_xor_b32_e32 v9, vcc_hi, v8
	v_xor_b32_e32 v8, vcc_lo, v8
	ds_read_b32 v67, v70 offset:64
	v_and_b32_e32 v8, v69, v8
	v_and_b32_e32 v9, v0, v9
	v_mbcnt_lo_u32_b32 v0, v8, 0
	v_mbcnt_hi_u32_b32 v69, v9, v0
	v_cmp_eq_u32_e32 vcc, 0, v69
	v_cmp_ne_u64_e64 s[0:1], 0, v[8:9]
	s_and_b64 s[4:5], s[0:1], vcc
	; wave barrier
	s_and_saveexec_b64 s[0:1], s[4:5]
	s_cbranch_execz .LBB1838_239
; %bb.238:
	v_bcnt_u32_b32 v0, v8, 0
	v_bcnt_u32_b32 v0, v9, v0
	s_waitcnt lgkmcnt(0)
	v_add_u32_e32 v0, v67, v0
	ds_write_b32 v70, v0 offset:64
.LBB1838_239:
	s_or_b64 exec, exec, s[0:1]
	s_waitcnt vmcnt(0)
	v_xor_b32_e32 v61, 0x7fffffff, v25
	v_lshrrev_b32_e32 v0, s64, v61
	v_and_b32_e32 v25, s13, v0
	v_mul_lo_u32 v0, v25, s2
	v_lshl_add_u32 v72, v27, 2, v0
	v_and_b32_e32 v0, 1, v25
	v_lshl_add_u64 v[8:9], v[0:1], 0, -1
	v_cmp_ne_u32_e32 vcc, 0, v0
	; wave barrier
	s_nop 1
	v_xor_b32_e32 v8, vcc_lo, v8
	v_xor_b32_e32 v0, vcc_hi, v9
	v_and_b32_e32 v71, exec_lo, v8
	v_lshlrev_b32_e32 v9, 30, v25
	v_mov_b32_e32 v8, v1
	v_cmp_gt_i64_e32 vcc, 0, v[8:9]
	v_not_b32_e32 v8, v9
	v_ashrrev_i32_e32 v8, 31, v8
	v_and_b32_e32 v0, exec_hi, v0
	v_xor_b32_e32 v9, vcc_hi, v8
	v_xor_b32_e32 v8, vcc_lo, v8
	v_and_b32_e32 v0, v0, v9
	v_and_b32_e32 v71, v71, v8
	v_lshlrev_b32_e32 v9, 29, v25
	v_mov_b32_e32 v8, v1
	v_cmp_gt_i64_e32 vcc, 0, v[8:9]
	v_not_b32_e32 v8, v9
	v_ashrrev_i32_e32 v8, 31, v8
	v_xor_b32_e32 v9, vcc_hi, v8
	v_xor_b32_e32 v8, vcc_lo, v8
	v_and_b32_e32 v0, v0, v9
	v_and_b32_e32 v71, v71, v8
	v_lshlrev_b32_e32 v9, 28, v25
	v_mov_b32_e32 v8, v1
	v_cmp_gt_i64_e32 vcc, 0, v[8:9]
	v_not_b32_e32 v8, v9
	v_ashrrev_i32_e32 v8, 31, v8
	v_xor_b32_e32 v9, vcc_hi, v8
	v_xor_b32_e32 v8, vcc_lo, v8
	v_and_b32_e32 v0, v0, v9
	v_and_b32_e32 v71, v71, v8
	v_lshlrev_b32_e32 v9, 27, v25
	v_mov_b32_e32 v8, v1
	v_cmp_gt_i64_e32 vcc, 0, v[8:9]
	v_not_b32_e32 v8, v9
	v_ashrrev_i32_e32 v8, 31, v8
	v_xor_b32_e32 v9, vcc_hi, v8
	v_xor_b32_e32 v8, vcc_lo, v8
	v_and_b32_e32 v0, v0, v9
	v_and_b32_e32 v71, v71, v8
	v_lshlrev_b32_e32 v9, 26, v25
	v_mov_b32_e32 v8, v1
	v_cmp_gt_i64_e32 vcc, 0, v[8:9]
	v_not_b32_e32 v8, v9
	v_ashrrev_i32_e32 v8, 31, v8
	v_xor_b32_e32 v9, vcc_hi, v8
	v_xor_b32_e32 v8, vcc_lo, v8
	v_and_b32_e32 v0, v0, v9
	v_and_b32_e32 v71, v71, v8
	v_lshlrev_b32_e32 v9, 25, v25
	v_mov_b32_e32 v8, v1
	v_cmp_gt_i64_e32 vcc, 0, v[8:9]
	v_not_b32_e32 v8, v9
	v_ashrrev_i32_e32 v8, 31, v8
	v_xor_b32_e32 v9, vcc_hi, v8
	v_xor_b32_e32 v8, vcc_lo, v8
	v_and_b32_e32 v0, v0, v9
	v_lshlrev_b32_e32 v9, 24, v25
	v_and_b32_e32 v71, v71, v8
	v_mov_b32_e32 v8, v1
	v_not_b32_e32 v1, v9
	v_cmp_gt_i64_e32 vcc, 0, v[8:9]
	v_ashrrev_i32_e32 v1, 31, v1
	ds_read_b32 v27, v72 offset:64
	v_xor_b32_e32 v8, vcc_hi, v1
	v_xor_b32_e32 v9, vcc_lo, v1
	v_and_b32_e32 v1, v0, v8
	v_and_b32_e32 v0, v71, v9
	v_mbcnt_lo_u32_b32 v8, v0, 0
	v_mbcnt_hi_u32_b32 v71, v1, v8
	v_cmp_eq_u32_e32 vcc, 0, v71
	v_cmp_ne_u64_e64 s[0:1], 0, v[0:1]
	s_and_b64 s[2:3], s[0:1], vcc
	; wave barrier
	s_and_saveexec_b64 s[0:1], s[2:3]
	s_cbranch_execz .LBB1838_241
; %bb.240:
	v_bcnt_u32_b32 v0, v0, 0
	v_bcnt_u32_b32 v0, v1, v0
	s_waitcnt lgkmcnt(0)
	v_add_u32_e32 v0, v27, v0
	ds_write_b32 v72, v0 offset:64
.LBB1838_241:
	s_or_b64 exec, exec, s[0:1]
	; wave barrier
	s_waitcnt lgkmcnt(0)
	s_barrier
	ds_read2_b32 v[8:9], v11 offset0:16 offset1:17
	ds_read2_b32 v[0:1], v11 offset0:18 offset1:19
	ds_read_b32 v25, v11 offset:80
	v_cmp_lt_u32_e64 s[2:3], 31, v10
	s_waitcnt lgkmcnt(1)
	v_add3_u32 v73, v9, v8, v0
	s_waitcnt lgkmcnt(0)
	v_add3_u32 v25, v73, v1, v25
	v_and_b32_e32 v73, 15, v10
	v_cmp_eq_u32_e32 vcc, 0, v73
	v_mov_b32_dpp v74, v25 row_shr:1 row_mask:0xf bank_mask:0xf
	v_cmp_lt_u32_e64 s[0:1], 1, v73
	v_cndmask_b32_e64 v74, v74, 0, vcc
	v_add_u32_e32 v25, v74, v25
	v_cmp_lt_u32_e64 s[4:5], 3, v73
	v_cmp_lt_u32_e64 s[6:7], 7, v73
	v_mov_b32_dpp v74, v25 row_shr:2 row_mask:0xf bank_mask:0xf
	v_cndmask_b32_e64 v74, 0, v74, s[0:1]
	v_add_u32_e32 v25, v25, v74
	s_nop 1
	v_mov_b32_dpp v74, v25 row_shr:4 row_mask:0xf bank_mask:0xf
	v_cndmask_b32_e64 v74, 0, v74, s[4:5]
	v_add_u32_e32 v25, v25, v74
	s_nop 1
	v_mov_b32_dpp v74, v25 row_shr:8 row_mask:0xf bank_mask:0xf
	v_cndmask_b32_e64 v73, 0, v74, s[6:7]
	v_add_u32_e32 v25, v25, v73
	v_bfe_i32 v74, v10, 4, 1
	s_nop 0
	v_mov_b32_dpp v73, v25 row_bcast:15 row_mask:0xf bank_mask:0xf
	v_and_b32_e32 v73, v74, v73
	v_add_u32_e32 v25, v25, v73
	v_lshrrev_b32_e32 v74, 6, v2
	s_nop 0
	v_mov_b32_dpp v73, v25 row_bcast:31 row_mask:0xf bank_mask:0xf
	v_cndmask_b32_e64 v73, 0, v73, s[2:3]
	v_add_u32_e32 v73, v25, v73
	v_and_b32_e32 v25, 63, v2
	v_cmp_eq_u32_e64 s[2:3], 63, v25
	s_and_saveexec_b64 s[10:11], s[2:3]
; %bb.242:
	v_lshlrev_b32_e32 v25, 2, v74
	ds_write_b32 v25, v73
; %bb.243:
	s_or_b64 exec, exec, s[10:11]
	v_cmp_gt_u32_e64 s[2:3], 16, v2
	v_lshlrev_b32_e32 v25, 2, v2
	s_waitcnt lgkmcnt(0)
	s_barrier
	s_and_saveexec_b64 s[10:11], s[2:3]
	s_cbranch_execz .LBB1838_245
; %bb.244:
	ds_read_b32 v75, v25
	s_waitcnt lgkmcnt(0)
	s_nop 0
	v_mov_b32_dpp v76, v75 row_shr:1 row_mask:0xf bank_mask:0xf
	v_cndmask_b32_e64 v76, v76, 0, vcc
	v_add_u32_e32 v75, v76, v75
	s_nop 1
	v_mov_b32_dpp v76, v75 row_shr:2 row_mask:0xf bank_mask:0xf
	v_cndmask_b32_e64 v76, 0, v76, s[0:1]
	v_add_u32_e32 v75, v75, v76
	s_nop 1
	v_mov_b32_dpp v76, v75 row_shr:4 row_mask:0xf bank_mask:0xf
	v_cndmask_b32_e64 v76, 0, v76, s[4:5]
	;; [unrolled: 4-line block ×3, first 2 shown]
	v_add_u32_e32 v75, v75, v76
	ds_write_b32 v25, v75
.LBB1838_245:
	s_or_b64 exec, exec, s[10:11]
	v_cmp_lt_u32_e32 vcc, 63, v2
	v_mov_b32_e32 v75, 0
	s_waitcnt lgkmcnt(0)
	s_barrier
	s_and_saveexec_b64 s[0:1], vcc
; %bb.246:
	v_lshl_add_u32 v74, v74, 2, -4
	ds_read_b32 v75, v74
; %bb.247:
	s_or_b64 exec, exec, s[0:1]
	v_subrev_co_u32_e32 v74, vcc, 1, v10
	v_and_b32_e32 v76, 64, v10
	v_cmp_lt_i32_e64 s[0:1], v74, v76
	s_waitcnt lgkmcnt(0)
	v_add_u32_e32 v73, v75, v73
	s_movk_i32 s2, 0x100
	v_cndmask_b32_e64 v10, v74, v10, s[0:1]
	v_lshlrev_b32_e32 v10, 2, v10
	ds_bpermute_b32 v10, v10, v73
	s_movk_i32 s0, 0xff
	s_waitcnt lgkmcnt(0)
	v_cndmask_b32_e32 v10, v10, v75, vcc
	v_cndmask_b32_e64 v10, v10, 0, s[44:45]
	v_add_u32_e32 v8, v10, v8
	v_add_u32_e32 v9, v8, v9
	;; [unrolled: 1-line block ×4, first 2 shown]
	ds_write2_b32 v11, v10, v8 offset0:16 offset1:17
	ds_write2_b32 v11, v9, v0 offset0:18 offset1:19
	ds_write_b32 v11, v1 offset:80
	s_waitcnt lgkmcnt(0)
	s_barrier
	ds_read_b32 v81, v18 offset:64
	ds_read_b32 v73, v21 offset:64
	;; [unrolled: 1-line block ×16, first 2 shown]
	v_cmp_lt_u32_e32 vcc, s0, v2
	v_cmp_gt_u32_e64 s[0:1], s2, v2
                                        ; implicit-def: $vgpr18
                                        ; implicit-def: $vgpr21
	s_and_saveexec_b64 s[4:5], s[0:1]
	s_cbranch_execz .LBB1838_251
; %bb.248:
	v_mul_u32_u24_e32 v0, 0x44, v2
	ds_read_b32 v18, v0 offset:64
	v_add_u32_e32 v1, 1, v2
	v_cmp_ne_u32_e64 s[2:3], s2, v1
	v_mov_b32_e32 v0, 0x4000
	s_and_saveexec_b64 s[6:7], s[2:3]
; %bb.249:
	v_mul_u32_u24_e32 v0, 0x44, v1
	ds_read_b32 v0, v0 offset:64
; %bb.250:
	s_or_b64 exec, exec, s[6:7]
	s_waitcnt lgkmcnt(0)
	v_sub_u32_e32 v21, v0, v18
.LBB1838_251:
	s_or_b64 exec, exec, s[4:5]
	v_mov_b32_e32 v1, 0
	s_waitcnt lgkmcnt(0)
	s_barrier
	s_and_saveexec_b64 s[2:3], s[0:1]
	s_cbranch_execz .LBB1838_261
; %bb.252:
	v_lshl_add_u32 v0, s33, 8, v2
	v_lshl_add_u64 v[8:9], v[0:1], 2, s[68:69]
	v_or_b32_e32 v0, 2.0, v21
	s_mov_b64 s[4:5], 0
	s_brev_b32 s14, -4
	s_mov_b32 s15, s33
	v_mov_b32_e32 v49, 0
	global_store_dword v[8:9], v0, off sc1
                                        ; implicit-def: $sgpr0_sgpr1
	s_branch .LBB1838_255
.LBB1838_253:                           ;   in Loop: Header=BB1838_255 Depth=1
	s_or_b64 exec, exec, s[10:11]
.LBB1838_254:                           ;   in Loop: Header=BB1838_255 Depth=1
	s_or_b64 exec, exec, s[6:7]
	v_and_b32_e32 v10, 0x3fffffff, v0
	v_add_u32_e32 v49, v10, v49
	v_cmp_gt_i32_e64 s[0:1], -2.0, v0
	s_and_b64 s[6:7], exec, s[0:1]
	s_or_b64 s[4:5], s[6:7], s[4:5]
	s_andn2_b64 exec, exec, s[4:5]
	s_cbranch_execz .LBB1838_260
.LBB1838_255:                           ; =>This Loop Header: Depth=1
                                        ;     Child Loop BB1838_258 Depth 2
	s_or_b64 s[0:1], s[0:1], exec
	s_cmp_eq_u32 s15, 0
	s_cbranch_scc1 .LBB1838_259
; %bb.256:                              ;   in Loop: Header=BB1838_255 Depth=1
	s_add_i32 s15, s15, -1
	v_lshl_or_b32 v0, s15, 8, v2
	v_lshl_add_u64 v[10:11], v[0:1], 2, s[68:69]
	global_load_dword v0, v[10:11], off sc1
	s_waitcnt vmcnt(0)
	v_cmp_gt_u32_e64 s[0:1], 2.0, v0
	s_and_saveexec_b64 s[6:7], s[0:1]
	s_cbranch_execz .LBB1838_254
; %bb.257:                              ;   in Loop: Header=BB1838_255 Depth=1
	s_mov_b64 s[10:11], 0
.LBB1838_258:                           ;   Parent Loop BB1838_255 Depth=1
                                        ; =>  This Inner Loop Header: Depth=2
	global_load_dword v0, v[10:11], off sc1
	s_waitcnt vmcnt(0)
	v_cmp_lt_u32_e64 s[0:1], s14, v0
	s_or_b64 s[10:11], s[0:1], s[10:11]
	s_andn2_b64 exec, exec, s[10:11]
	s_cbranch_execnz .LBB1838_258
	s_branch .LBB1838_253
.LBB1838_259:                           ;   in Loop: Header=BB1838_255 Depth=1
                                        ; implicit-def: $sgpr15
	s_and_b64 s[6:7], exec, s[0:1]
	s_or_b64 s[4:5], s[6:7], s[4:5]
	s_andn2_b64 exec, exec, s[4:5]
	s_cbranch_execnz .LBB1838_255
.LBB1838_260:
	s_or_b64 exec, exec, s[4:5]
	v_add_u32_e32 v0, v49, v21
	v_or_b32_e32 v0, 0x80000000, v0
	global_store_dword v[8:9], v0, off sc1
	global_load_dword v0, v25, s[60:61]
	v_sub_u32_e32 v1, v49, v18
	s_waitcnt vmcnt(0)
	v_add_u32_e32 v0, v1, v0
	ds_write_b32 v25, v0
.LBB1838_261:
	s_or_b64 exec, exec, s[2:3]
	v_add_u32_e32 v8, v81, v14
	v_add3_u32 v0, v16, v13, v73
	v_add3_u32 v1, v20, v17, v74
	;; [unrolled: 1-line block ×15, first 2 shown]
	v_mov_b32_e32 v85, 0x400
	s_mov_b32 s4, s64
	s_mov_b32 s5, s13
	s_movk_i32 s6, 0x400
	v_lshl_add_u32 v9, v9, 2, v85
	v_add3_u32 v10, v71, v41, v27
	v_lshl_add_u32 v11, v11, 2, v85
	v_add3_u32 v14, v69, v26, v67
	;; [unrolled: 2-line block ×15, first 2 shown]
	v_lshl_add_u32 v16, v8, 2, v85
	s_mov_b32 s7, 0
	s_mov_b32 s10, 0
	s_movk_i32 s11, 0x1000
	v_mov_b32_e32 v1, 0
	s_movk_i32 s14, 0x800
	s_movk_i32 s15, 0xc00
	v_mov_b32_e32 v55, v2
	s_mov_b32 s16, 0
	s_branch .LBB1838_263
.LBB1838_262:                           ;   in Loop: Header=BB1838_263 Depth=1
	s_or_b64 exec, exec, s[2:3]
	s_waitcnt lgkmcnt(0)
	s_barrier
	ds_read2st64_b32 v[56:57], v25 offset0:4 offset1:20
	ds_read2st64_b32 v[62:63], v25 offset0:36 offset1:52
	s_addk_i32 s16, 0xc000
	s_addk_i32 s10, 0xf000
	s_waitcnt lgkmcnt(1)
	v_xor_b32_e32 v60, 0x7fffffff, v56
	v_lshrrev_b32_e32 v56, s64, v56
	v_lshrrev_b32_e32 v0, s4, v57
	v_and_b32_e32 v56, s13, v56
	v_xor_b32_e32 v66, 0x7fffffff, v57
	v_and_b32_e32 v57, s5, v0
	v_lshlrev_b32_e32 v0, 2, v56
	ds_read_b32 v0, v0
	s_waitcnt lgkmcnt(1)
	v_lshrrev_b32_e32 v58, s4, v63
	v_lshrrev_b32_e32 v65, s64, v62
	v_and_b32_e32 v59, s5, v58
	v_lshlrev_b32_e32 v64, 2, v57
	v_and_b32_e32 v58, s13, v65
	v_lshlrev_b32_e32 v67, 2, v59
	v_lshlrev_b32_e32 v65, 2, v58
	ds_read_b32 v68, v64
	ds_read_b32 v69, v65
	;; [unrolled: 1-line block ×3, first 2 shown]
	s_waitcnt lgkmcnt(3)
	v_add_u32_e32 v0, v55, v0
	v_lshl_add_u64 v[64:65], v[0:1], 2, s[54:55]
	s_waitcnt lgkmcnt(2)
	v_add3_u32 v0, v55, v68, s6
	global_store_dword v[64:65], v60, off
	v_lshl_add_u64 v[64:65], v[0:1], 2, s[54:55]
	s_waitcnt lgkmcnt(1)
	v_add3_u32 v0, v55, v69, s14
	global_store_dword v[64:65], v66, off
	v_xor_b32_e32 v60, 0x7fffffff, v62
	v_xor_b32_e32 v64, 0x7fffffff, v63
	v_lshl_add_u64 v[62:63], v[0:1], 2, s[54:55]
	s_waitcnt lgkmcnt(0)
	v_add3_u32 v0, v55, v67, s15
	global_store_dword v[62:63], v60, off
	v_lshl_add_u64 v[62:63], v[0:1], 2, s[54:55]
	global_store_dword v[62:63], v64, off
	scratch_store_dwordx4 off, v[56:59], s7
	s_add_i32 s7, s7, 16
	s_cmp_eq_u32 s16, 0xffff0000
	v_add_u32_e32 v55, 0x1000, v55
	s_barrier
	s_cbranch_scc1 .LBB1838_295
.LBB1838_263:                           ; =>This Inner Loop Header: Depth=1
	v_add_u32_e32 v0, s10, v8
	v_cmp_gt_u32_e64 s[0:1], s11, v0
	s_and_saveexec_b64 s[2:3], s[0:1]
; %bb.264:                              ;   in Loop: Header=BB1838_263 Depth=1
	v_add_u32_e32 v0, s16, v16
	ds_write_b32 v0, v3
; %bb.265:                              ;   in Loop: Header=BB1838_263 Depth=1
	s_or_b64 exec, exec, s[2:3]
	v_add_u32_e32 v0, s10, v13
	v_cmp_gt_u32_e64 s[0:1], s11, v0
	s_and_saveexec_b64 s[2:3], s[0:1]
; %bb.266:                              ;   in Loop: Header=BB1838_263 Depth=1
	v_add_u32_e32 v0, s16, v20
	ds_write_b32 v0, v5
; %bb.267:                              ;   in Loop: Header=BB1838_263 Depth=1
	s_or_b64 exec, exec, s[2:3]
	;; [unrolled: 8-line block ×15, first 2 shown]
	v_add_u32_e32 v0, s10, v10
	v_cmp_gt_u32_e64 s[0:1], s11, v0
	s_and_saveexec_b64 s[2:3], s[0:1]
	s_cbranch_execz .LBB1838_262
; %bb.294:                              ;   in Loop: Header=BB1838_263 Depth=1
	v_add_u32_e32 v0, s16, v9
	ds_write_b32 v0, v61
	s_branch .LBB1838_262
.LBB1838_295:
	s_add_u32 s0, s56, s8
	s_addc_u32 s1, s57, s9
	v_mov_b32_e32 v5, 0
	v_lshl_add_u64 v[0:1], s[0:1], 0, v[4:5]
	v_mov_b32_e32 v7, v5
	v_lshl_add_u64 v[44:45], v[0:1], 0, v[6:7]
	global_load_dword v0, v[44:45], off
	global_load_dword v1, v[44:45], off offset:256
	global_load_dword v3, v[44:45], off offset:512
	;; [unrolled: 1-line block ×14, first 2 shown]
	s_nop 0
	global_load_dword v44, v[44:45], off offset:3840
	s_mov_b32 s4, 0
	s_mov_b32 s5, 0
	s_movk_i32 s6, 0x1000
	s_movk_i32 s7, 0x400
	s_movk_i32 s8, 0x800
	s_movk_i32 s9, 0xc00
	s_mov_b32 s10, 0
	s_branch .LBB1838_297
.LBB1838_296:                           ;   in Loop: Header=BB1838_297 Depth=1
	s_or_b64 exec, exec, s[2:3]
	s_waitcnt lgkmcnt(0)
	s_barrier
	scratch_load_dwordx4 v[56:59], off, s4
	ds_read2st64_b32 v[60:61], v25 offset0:4 offset1:20
	ds_read2st64_b32 v[62:63], v25 offset0:36 offset1:52
	s_addk_i32 s10, 0xc000
	s_addk_i32 s5, 0xf000
	s_add_i32 s4, s4, 16
	s_cmp_eq_u32 s10, 0xffff0000
	s_waitcnt vmcnt(0)
	v_lshlrev_b32_e32 v4, 2, v56
	ds_read_b32 v4, v4
	v_lshlrev_b32_e32 v45, 2, v57
	v_lshlrev_b32_e32 v55, 2, v58
	;; [unrolled: 1-line block ×3, first 2 shown]
	ds_read_b32 v45, v45
	ds_read_b32 v55, v55
	;; [unrolled: 1-line block ×3, first 2 shown]
	s_waitcnt lgkmcnt(3)
	v_add_u32_e32 v4, v2, v4
	v_lshl_add_u64 v[56:57], v[4:5], 2, s[58:59]
	s_waitcnt lgkmcnt(2)
	v_add3_u32 v4, v2, v45, s7
	global_store_dword v[56:57], v60, off
	v_lshl_add_u64 v[56:57], v[4:5], 2, s[58:59]
	s_waitcnt lgkmcnt(1)
	v_add3_u32 v4, v2, v55, s8
	global_store_dword v[56:57], v61, off
	;; [unrolled: 4-line block ×3, first 2 shown]
	v_lshl_add_u64 v[56:57], v[4:5], 2, s[58:59]
	v_add_u32_e32 v2, 0x1000, v2
	global_store_dword v[56:57], v63, off
	s_barrier
	s_cbranch_scc1 .LBB1838_329
.LBB1838_297:                           ; =>This Inner Loop Header: Depth=1
	v_add_u32_e32 v4, s5, v8
	v_cmp_gt_u32_e64 s[0:1], s6, v4
	s_and_saveexec_b64 s[2:3], s[0:1]
	s_cbranch_execz .LBB1838_299
; %bb.298:                              ;   in Loop: Header=BB1838_297 Depth=1
	v_add_u32_e32 v4, s10, v16
	s_waitcnt vmcnt(15)
	ds_write_b32 v4, v0
.LBB1838_299:                           ;   in Loop: Header=BB1838_297 Depth=1
	s_or_b64 exec, exec, s[2:3]
	v_add_u32_e32 v4, s5, v13
	v_cmp_gt_u32_e64 s[0:1], s6, v4
	s_and_saveexec_b64 s[2:3], s[0:1]
	s_cbranch_execz .LBB1838_301
; %bb.300:                              ;   in Loop: Header=BB1838_297 Depth=1
	v_add_u32_e32 v4, s10, v20
	s_waitcnt vmcnt(14)
	ds_write_b32 v4, v1
.LBB1838_301:                           ;   in Loop: Header=BB1838_297 Depth=1
	s_or_b64 exec, exec, s[2:3]
	;; [unrolled: 10-line block ×15, first 2 shown]
	v_add_u32_e32 v4, s5, v10
	v_cmp_gt_u32_e64 s[0:1], s6, v4
	s_and_saveexec_b64 s[2:3], s[0:1]
	s_cbranch_execz .LBB1838_296
; %bb.328:                              ;   in Loop: Header=BB1838_297 Depth=1
	v_add_u32_e32 v4, s10, v9
	s_waitcnt vmcnt(0)
	ds_write_b32 v4, v44
	s_branch .LBB1838_296
.LBB1838_329:
	s_add_i32 s12, s12, -1
	s_cmp_eq_u32 s33, s12
	s_cselect_b64 s[0:1], -1, 0
	s_xor_b64 s[2:3], vcc, -1
	s_and_b64 s[0:1], s[2:3], s[0:1]
	s_and_saveexec_b64 s[2:3], s[0:1]
	s_cbranch_execz .LBB1838_331
; %bb.330:
	ds_read_b32 v0, v25
	s_waitcnt lgkmcnt(0)
	v_add3_u32 v0, v18, v21, v0
	global_store_dword v25, v0, s[62:63]
.LBB1838_331:
	s_endpgm
	.section	.rodata,"a",@progbits
	.p2align	6, 0x0
	.amdhsa_kernel _ZN7rocprim17ROCPRIM_400000_NS6detail17trampoline_kernelINS0_14default_configENS1_35radix_sort_onesweep_config_selectorIiiEEZZNS1_29radix_sort_onesweep_iterationIS3_Lb1EN6thrust23THRUST_200600_302600_NS6detail15normal_iteratorINS8_10device_ptrIiEEEESD_SD_SD_jNS0_19identity_decomposerENS1_16block_id_wrapperIjLb1EEEEE10hipError_tT1_PNSt15iterator_traitsISI_E10value_typeET2_T3_PNSJ_ISO_E10value_typeET4_T5_PST_SU_PNS1_23onesweep_lookback_stateEbbT6_jjT7_P12ihipStream_tbENKUlT_T0_SI_SN_E_clISD_SD_SD_SD_EEDaS11_S12_SI_SN_EUlS11_E_NS1_11comp_targetILNS1_3genE6ELNS1_11target_archE950ELNS1_3gpuE13ELNS1_3repE0EEENS1_47radix_sort_onesweep_sort_config_static_selectorELNS0_4arch9wavefront6targetE1EEEvSI_
		.amdhsa_group_segment_fixed_size 20552
		.amdhsa_private_segment_fixed_size 80
		.amdhsa_kernarg_size 344
		.amdhsa_user_sgpr_count 2
		.amdhsa_user_sgpr_dispatch_ptr 0
		.amdhsa_user_sgpr_queue_ptr 0
		.amdhsa_user_sgpr_kernarg_segment_ptr 1
		.amdhsa_user_sgpr_dispatch_id 0
		.amdhsa_user_sgpr_kernarg_preload_length 0
		.amdhsa_user_sgpr_kernarg_preload_offset 0
		.amdhsa_user_sgpr_private_segment_size 0
		.amdhsa_uses_dynamic_stack 0
		.amdhsa_enable_private_segment 1
		.amdhsa_system_sgpr_workgroup_id_x 1
		.amdhsa_system_sgpr_workgroup_id_y 0
		.amdhsa_system_sgpr_workgroup_id_z 0
		.amdhsa_system_sgpr_workgroup_info 0
		.amdhsa_system_vgpr_workitem_id 2
		.amdhsa_next_free_vgpr 89
		.amdhsa_next_free_sgpr 73
		.amdhsa_accum_offset 92
		.amdhsa_reserve_vcc 1
		.amdhsa_float_round_mode_32 0
		.amdhsa_float_round_mode_16_64 0
		.amdhsa_float_denorm_mode_32 3
		.amdhsa_float_denorm_mode_16_64 3
		.amdhsa_dx10_clamp 1
		.amdhsa_ieee_mode 1
		.amdhsa_fp16_overflow 0
		.amdhsa_tg_split 0
		.amdhsa_exception_fp_ieee_invalid_op 0
		.amdhsa_exception_fp_denorm_src 0
		.amdhsa_exception_fp_ieee_div_zero 0
		.amdhsa_exception_fp_ieee_overflow 0
		.amdhsa_exception_fp_ieee_underflow 0
		.amdhsa_exception_fp_ieee_inexact 0
		.amdhsa_exception_int_div_zero 0
	.end_amdhsa_kernel
	.section	.text._ZN7rocprim17ROCPRIM_400000_NS6detail17trampoline_kernelINS0_14default_configENS1_35radix_sort_onesweep_config_selectorIiiEEZZNS1_29radix_sort_onesweep_iterationIS3_Lb1EN6thrust23THRUST_200600_302600_NS6detail15normal_iteratorINS8_10device_ptrIiEEEESD_SD_SD_jNS0_19identity_decomposerENS1_16block_id_wrapperIjLb1EEEEE10hipError_tT1_PNSt15iterator_traitsISI_E10value_typeET2_T3_PNSJ_ISO_E10value_typeET4_T5_PST_SU_PNS1_23onesweep_lookback_stateEbbT6_jjT7_P12ihipStream_tbENKUlT_T0_SI_SN_E_clISD_SD_SD_SD_EEDaS11_S12_SI_SN_EUlS11_E_NS1_11comp_targetILNS1_3genE6ELNS1_11target_archE950ELNS1_3gpuE13ELNS1_3repE0EEENS1_47radix_sort_onesweep_sort_config_static_selectorELNS0_4arch9wavefront6targetE1EEEvSI_,"axG",@progbits,_ZN7rocprim17ROCPRIM_400000_NS6detail17trampoline_kernelINS0_14default_configENS1_35radix_sort_onesweep_config_selectorIiiEEZZNS1_29radix_sort_onesweep_iterationIS3_Lb1EN6thrust23THRUST_200600_302600_NS6detail15normal_iteratorINS8_10device_ptrIiEEEESD_SD_SD_jNS0_19identity_decomposerENS1_16block_id_wrapperIjLb1EEEEE10hipError_tT1_PNSt15iterator_traitsISI_E10value_typeET2_T3_PNSJ_ISO_E10value_typeET4_T5_PST_SU_PNS1_23onesweep_lookback_stateEbbT6_jjT7_P12ihipStream_tbENKUlT_T0_SI_SN_E_clISD_SD_SD_SD_EEDaS11_S12_SI_SN_EUlS11_E_NS1_11comp_targetILNS1_3genE6ELNS1_11target_archE950ELNS1_3gpuE13ELNS1_3repE0EEENS1_47radix_sort_onesweep_sort_config_static_selectorELNS0_4arch9wavefront6targetE1EEEvSI_,comdat
.Lfunc_end1838:
	.size	_ZN7rocprim17ROCPRIM_400000_NS6detail17trampoline_kernelINS0_14default_configENS1_35radix_sort_onesweep_config_selectorIiiEEZZNS1_29radix_sort_onesweep_iterationIS3_Lb1EN6thrust23THRUST_200600_302600_NS6detail15normal_iteratorINS8_10device_ptrIiEEEESD_SD_SD_jNS0_19identity_decomposerENS1_16block_id_wrapperIjLb1EEEEE10hipError_tT1_PNSt15iterator_traitsISI_E10value_typeET2_T3_PNSJ_ISO_E10value_typeET4_T5_PST_SU_PNS1_23onesweep_lookback_stateEbbT6_jjT7_P12ihipStream_tbENKUlT_T0_SI_SN_E_clISD_SD_SD_SD_EEDaS11_S12_SI_SN_EUlS11_E_NS1_11comp_targetILNS1_3genE6ELNS1_11target_archE950ELNS1_3gpuE13ELNS1_3repE0EEENS1_47radix_sort_onesweep_sort_config_static_selectorELNS0_4arch9wavefront6targetE1EEEvSI_, .Lfunc_end1838-_ZN7rocprim17ROCPRIM_400000_NS6detail17trampoline_kernelINS0_14default_configENS1_35radix_sort_onesweep_config_selectorIiiEEZZNS1_29radix_sort_onesweep_iterationIS3_Lb1EN6thrust23THRUST_200600_302600_NS6detail15normal_iteratorINS8_10device_ptrIiEEEESD_SD_SD_jNS0_19identity_decomposerENS1_16block_id_wrapperIjLb1EEEEE10hipError_tT1_PNSt15iterator_traitsISI_E10value_typeET2_T3_PNSJ_ISO_E10value_typeET4_T5_PST_SU_PNS1_23onesweep_lookback_stateEbbT6_jjT7_P12ihipStream_tbENKUlT_T0_SI_SN_E_clISD_SD_SD_SD_EEDaS11_S12_SI_SN_EUlS11_E_NS1_11comp_targetILNS1_3genE6ELNS1_11target_archE950ELNS1_3gpuE13ELNS1_3repE0EEENS1_47radix_sort_onesweep_sort_config_static_selectorELNS0_4arch9wavefront6targetE1EEEvSI_
                                        ; -- End function
	.set _ZN7rocprim17ROCPRIM_400000_NS6detail17trampoline_kernelINS0_14default_configENS1_35radix_sort_onesweep_config_selectorIiiEEZZNS1_29radix_sort_onesweep_iterationIS3_Lb1EN6thrust23THRUST_200600_302600_NS6detail15normal_iteratorINS8_10device_ptrIiEEEESD_SD_SD_jNS0_19identity_decomposerENS1_16block_id_wrapperIjLb1EEEEE10hipError_tT1_PNSt15iterator_traitsISI_E10value_typeET2_T3_PNSJ_ISO_E10value_typeET4_T5_PST_SU_PNS1_23onesweep_lookback_stateEbbT6_jjT7_P12ihipStream_tbENKUlT_T0_SI_SN_E_clISD_SD_SD_SD_EEDaS11_S12_SI_SN_EUlS11_E_NS1_11comp_targetILNS1_3genE6ELNS1_11target_archE950ELNS1_3gpuE13ELNS1_3repE0EEENS1_47radix_sort_onesweep_sort_config_static_selectorELNS0_4arch9wavefront6targetE1EEEvSI_.num_vgpr, 89
	.set _ZN7rocprim17ROCPRIM_400000_NS6detail17trampoline_kernelINS0_14default_configENS1_35radix_sort_onesweep_config_selectorIiiEEZZNS1_29radix_sort_onesweep_iterationIS3_Lb1EN6thrust23THRUST_200600_302600_NS6detail15normal_iteratorINS8_10device_ptrIiEEEESD_SD_SD_jNS0_19identity_decomposerENS1_16block_id_wrapperIjLb1EEEEE10hipError_tT1_PNSt15iterator_traitsISI_E10value_typeET2_T3_PNSJ_ISO_E10value_typeET4_T5_PST_SU_PNS1_23onesweep_lookback_stateEbbT6_jjT7_P12ihipStream_tbENKUlT_T0_SI_SN_E_clISD_SD_SD_SD_EEDaS11_S12_SI_SN_EUlS11_E_NS1_11comp_targetILNS1_3genE6ELNS1_11target_archE950ELNS1_3gpuE13ELNS1_3repE0EEENS1_47radix_sort_onesweep_sort_config_static_selectorELNS0_4arch9wavefront6targetE1EEEvSI_.num_agpr, 0
	.set _ZN7rocprim17ROCPRIM_400000_NS6detail17trampoline_kernelINS0_14default_configENS1_35radix_sort_onesweep_config_selectorIiiEEZZNS1_29radix_sort_onesweep_iterationIS3_Lb1EN6thrust23THRUST_200600_302600_NS6detail15normal_iteratorINS8_10device_ptrIiEEEESD_SD_SD_jNS0_19identity_decomposerENS1_16block_id_wrapperIjLb1EEEEE10hipError_tT1_PNSt15iterator_traitsISI_E10value_typeET2_T3_PNSJ_ISO_E10value_typeET4_T5_PST_SU_PNS1_23onesweep_lookback_stateEbbT6_jjT7_P12ihipStream_tbENKUlT_T0_SI_SN_E_clISD_SD_SD_SD_EEDaS11_S12_SI_SN_EUlS11_E_NS1_11comp_targetILNS1_3genE6ELNS1_11target_archE950ELNS1_3gpuE13ELNS1_3repE0EEENS1_47radix_sort_onesweep_sort_config_static_selectorELNS0_4arch9wavefront6targetE1EEEvSI_.numbered_sgpr, 73
	.set _ZN7rocprim17ROCPRIM_400000_NS6detail17trampoline_kernelINS0_14default_configENS1_35radix_sort_onesweep_config_selectorIiiEEZZNS1_29radix_sort_onesweep_iterationIS3_Lb1EN6thrust23THRUST_200600_302600_NS6detail15normal_iteratorINS8_10device_ptrIiEEEESD_SD_SD_jNS0_19identity_decomposerENS1_16block_id_wrapperIjLb1EEEEE10hipError_tT1_PNSt15iterator_traitsISI_E10value_typeET2_T3_PNSJ_ISO_E10value_typeET4_T5_PST_SU_PNS1_23onesweep_lookback_stateEbbT6_jjT7_P12ihipStream_tbENKUlT_T0_SI_SN_E_clISD_SD_SD_SD_EEDaS11_S12_SI_SN_EUlS11_E_NS1_11comp_targetILNS1_3genE6ELNS1_11target_archE950ELNS1_3gpuE13ELNS1_3repE0EEENS1_47radix_sort_onesweep_sort_config_static_selectorELNS0_4arch9wavefront6targetE1EEEvSI_.num_named_barrier, 0
	.set _ZN7rocprim17ROCPRIM_400000_NS6detail17trampoline_kernelINS0_14default_configENS1_35radix_sort_onesweep_config_selectorIiiEEZZNS1_29radix_sort_onesweep_iterationIS3_Lb1EN6thrust23THRUST_200600_302600_NS6detail15normal_iteratorINS8_10device_ptrIiEEEESD_SD_SD_jNS0_19identity_decomposerENS1_16block_id_wrapperIjLb1EEEEE10hipError_tT1_PNSt15iterator_traitsISI_E10value_typeET2_T3_PNSJ_ISO_E10value_typeET4_T5_PST_SU_PNS1_23onesweep_lookback_stateEbbT6_jjT7_P12ihipStream_tbENKUlT_T0_SI_SN_E_clISD_SD_SD_SD_EEDaS11_S12_SI_SN_EUlS11_E_NS1_11comp_targetILNS1_3genE6ELNS1_11target_archE950ELNS1_3gpuE13ELNS1_3repE0EEENS1_47radix_sort_onesweep_sort_config_static_selectorELNS0_4arch9wavefront6targetE1EEEvSI_.private_seg_size, 80
	.set _ZN7rocprim17ROCPRIM_400000_NS6detail17trampoline_kernelINS0_14default_configENS1_35radix_sort_onesweep_config_selectorIiiEEZZNS1_29radix_sort_onesweep_iterationIS3_Lb1EN6thrust23THRUST_200600_302600_NS6detail15normal_iteratorINS8_10device_ptrIiEEEESD_SD_SD_jNS0_19identity_decomposerENS1_16block_id_wrapperIjLb1EEEEE10hipError_tT1_PNSt15iterator_traitsISI_E10value_typeET2_T3_PNSJ_ISO_E10value_typeET4_T5_PST_SU_PNS1_23onesweep_lookback_stateEbbT6_jjT7_P12ihipStream_tbENKUlT_T0_SI_SN_E_clISD_SD_SD_SD_EEDaS11_S12_SI_SN_EUlS11_E_NS1_11comp_targetILNS1_3genE6ELNS1_11target_archE950ELNS1_3gpuE13ELNS1_3repE0EEENS1_47radix_sort_onesweep_sort_config_static_selectorELNS0_4arch9wavefront6targetE1EEEvSI_.uses_vcc, 1
	.set _ZN7rocprim17ROCPRIM_400000_NS6detail17trampoline_kernelINS0_14default_configENS1_35radix_sort_onesweep_config_selectorIiiEEZZNS1_29radix_sort_onesweep_iterationIS3_Lb1EN6thrust23THRUST_200600_302600_NS6detail15normal_iteratorINS8_10device_ptrIiEEEESD_SD_SD_jNS0_19identity_decomposerENS1_16block_id_wrapperIjLb1EEEEE10hipError_tT1_PNSt15iterator_traitsISI_E10value_typeET2_T3_PNSJ_ISO_E10value_typeET4_T5_PST_SU_PNS1_23onesweep_lookback_stateEbbT6_jjT7_P12ihipStream_tbENKUlT_T0_SI_SN_E_clISD_SD_SD_SD_EEDaS11_S12_SI_SN_EUlS11_E_NS1_11comp_targetILNS1_3genE6ELNS1_11target_archE950ELNS1_3gpuE13ELNS1_3repE0EEENS1_47radix_sort_onesweep_sort_config_static_selectorELNS0_4arch9wavefront6targetE1EEEvSI_.uses_flat_scratch, 0
	.set _ZN7rocprim17ROCPRIM_400000_NS6detail17trampoline_kernelINS0_14default_configENS1_35radix_sort_onesweep_config_selectorIiiEEZZNS1_29radix_sort_onesweep_iterationIS3_Lb1EN6thrust23THRUST_200600_302600_NS6detail15normal_iteratorINS8_10device_ptrIiEEEESD_SD_SD_jNS0_19identity_decomposerENS1_16block_id_wrapperIjLb1EEEEE10hipError_tT1_PNSt15iterator_traitsISI_E10value_typeET2_T3_PNSJ_ISO_E10value_typeET4_T5_PST_SU_PNS1_23onesweep_lookback_stateEbbT6_jjT7_P12ihipStream_tbENKUlT_T0_SI_SN_E_clISD_SD_SD_SD_EEDaS11_S12_SI_SN_EUlS11_E_NS1_11comp_targetILNS1_3genE6ELNS1_11target_archE950ELNS1_3gpuE13ELNS1_3repE0EEENS1_47radix_sort_onesweep_sort_config_static_selectorELNS0_4arch9wavefront6targetE1EEEvSI_.has_dyn_sized_stack, 0
	.set _ZN7rocprim17ROCPRIM_400000_NS6detail17trampoline_kernelINS0_14default_configENS1_35radix_sort_onesweep_config_selectorIiiEEZZNS1_29radix_sort_onesweep_iterationIS3_Lb1EN6thrust23THRUST_200600_302600_NS6detail15normal_iteratorINS8_10device_ptrIiEEEESD_SD_SD_jNS0_19identity_decomposerENS1_16block_id_wrapperIjLb1EEEEE10hipError_tT1_PNSt15iterator_traitsISI_E10value_typeET2_T3_PNSJ_ISO_E10value_typeET4_T5_PST_SU_PNS1_23onesweep_lookback_stateEbbT6_jjT7_P12ihipStream_tbENKUlT_T0_SI_SN_E_clISD_SD_SD_SD_EEDaS11_S12_SI_SN_EUlS11_E_NS1_11comp_targetILNS1_3genE6ELNS1_11target_archE950ELNS1_3gpuE13ELNS1_3repE0EEENS1_47radix_sort_onesweep_sort_config_static_selectorELNS0_4arch9wavefront6targetE1EEEvSI_.has_recursion, 0
	.set _ZN7rocprim17ROCPRIM_400000_NS6detail17trampoline_kernelINS0_14default_configENS1_35radix_sort_onesweep_config_selectorIiiEEZZNS1_29radix_sort_onesweep_iterationIS3_Lb1EN6thrust23THRUST_200600_302600_NS6detail15normal_iteratorINS8_10device_ptrIiEEEESD_SD_SD_jNS0_19identity_decomposerENS1_16block_id_wrapperIjLb1EEEEE10hipError_tT1_PNSt15iterator_traitsISI_E10value_typeET2_T3_PNSJ_ISO_E10value_typeET4_T5_PST_SU_PNS1_23onesweep_lookback_stateEbbT6_jjT7_P12ihipStream_tbENKUlT_T0_SI_SN_E_clISD_SD_SD_SD_EEDaS11_S12_SI_SN_EUlS11_E_NS1_11comp_targetILNS1_3genE6ELNS1_11target_archE950ELNS1_3gpuE13ELNS1_3repE0EEENS1_47radix_sort_onesweep_sort_config_static_selectorELNS0_4arch9wavefront6targetE1EEEvSI_.has_indirect_call, 0
	.section	.AMDGPU.csdata,"",@progbits
; Kernel info:
; codeLenInByte = 22700
; TotalNumSgprs: 79
; NumVgprs: 89
; NumAgprs: 0
; TotalNumVgprs: 89
; ScratchSize: 80
; MemoryBound: 0
; FloatMode: 240
; IeeeMode: 1
; LDSByteSize: 20552 bytes/workgroup (compile time only)
; SGPRBlocks: 9
; VGPRBlocks: 11
; NumSGPRsForWavesPerEU: 79
; NumVGPRsForWavesPerEU: 89
; AccumOffset: 92
; Occupancy: 5
; WaveLimiterHint : 1
; COMPUTE_PGM_RSRC2:SCRATCH_EN: 1
; COMPUTE_PGM_RSRC2:USER_SGPR: 2
; COMPUTE_PGM_RSRC2:TRAP_HANDLER: 0
; COMPUTE_PGM_RSRC2:TGID_X_EN: 1
; COMPUTE_PGM_RSRC2:TGID_Y_EN: 0
; COMPUTE_PGM_RSRC2:TGID_Z_EN: 0
; COMPUTE_PGM_RSRC2:TIDIG_COMP_CNT: 2
; COMPUTE_PGM_RSRC3_GFX90A:ACCUM_OFFSET: 22
; COMPUTE_PGM_RSRC3_GFX90A:TG_SPLIT: 0
	.section	.text._ZN7rocprim17ROCPRIM_400000_NS6detail17trampoline_kernelINS0_14default_configENS1_35radix_sort_onesweep_config_selectorIiiEEZZNS1_29radix_sort_onesweep_iterationIS3_Lb1EN6thrust23THRUST_200600_302600_NS6detail15normal_iteratorINS8_10device_ptrIiEEEESD_SD_SD_jNS0_19identity_decomposerENS1_16block_id_wrapperIjLb1EEEEE10hipError_tT1_PNSt15iterator_traitsISI_E10value_typeET2_T3_PNSJ_ISO_E10value_typeET4_T5_PST_SU_PNS1_23onesweep_lookback_stateEbbT6_jjT7_P12ihipStream_tbENKUlT_T0_SI_SN_E_clISD_SD_SD_SD_EEDaS11_S12_SI_SN_EUlS11_E_NS1_11comp_targetILNS1_3genE5ELNS1_11target_archE942ELNS1_3gpuE9ELNS1_3repE0EEENS1_47radix_sort_onesweep_sort_config_static_selectorELNS0_4arch9wavefront6targetE1EEEvSI_,"axG",@progbits,_ZN7rocprim17ROCPRIM_400000_NS6detail17trampoline_kernelINS0_14default_configENS1_35radix_sort_onesweep_config_selectorIiiEEZZNS1_29radix_sort_onesweep_iterationIS3_Lb1EN6thrust23THRUST_200600_302600_NS6detail15normal_iteratorINS8_10device_ptrIiEEEESD_SD_SD_jNS0_19identity_decomposerENS1_16block_id_wrapperIjLb1EEEEE10hipError_tT1_PNSt15iterator_traitsISI_E10value_typeET2_T3_PNSJ_ISO_E10value_typeET4_T5_PST_SU_PNS1_23onesweep_lookback_stateEbbT6_jjT7_P12ihipStream_tbENKUlT_T0_SI_SN_E_clISD_SD_SD_SD_EEDaS11_S12_SI_SN_EUlS11_E_NS1_11comp_targetILNS1_3genE5ELNS1_11target_archE942ELNS1_3gpuE9ELNS1_3repE0EEENS1_47radix_sort_onesweep_sort_config_static_selectorELNS0_4arch9wavefront6targetE1EEEvSI_,comdat
	.protected	_ZN7rocprim17ROCPRIM_400000_NS6detail17trampoline_kernelINS0_14default_configENS1_35radix_sort_onesweep_config_selectorIiiEEZZNS1_29radix_sort_onesweep_iterationIS3_Lb1EN6thrust23THRUST_200600_302600_NS6detail15normal_iteratorINS8_10device_ptrIiEEEESD_SD_SD_jNS0_19identity_decomposerENS1_16block_id_wrapperIjLb1EEEEE10hipError_tT1_PNSt15iterator_traitsISI_E10value_typeET2_T3_PNSJ_ISO_E10value_typeET4_T5_PST_SU_PNS1_23onesweep_lookback_stateEbbT6_jjT7_P12ihipStream_tbENKUlT_T0_SI_SN_E_clISD_SD_SD_SD_EEDaS11_S12_SI_SN_EUlS11_E_NS1_11comp_targetILNS1_3genE5ELNS1_11target_archE942ELNS1_3gpuE9ELNS1_3repE0EEENS1_47radix_sort_onesweep_sort_config_static_selectorELNS0_4arch9wavefront6targetE1EEEvSI_ ; -- Begin function _ZN7rocprim17ROCPRIM_400000_NS6detail17trampoline_kernelINS0_14default_configENS1_35radix_sort_onesweep_config_selectorIiiEEZZNS1_29radix_sort_onesweep_iterationIS3_Lb1EN6thrust23THRUST_200600_302600_NS6detail15normal_iteratorINS8_10device_ptrIiEEEESD_SD_SD_jNS0_19identity_decomposerENS1_16block_id_wrapperIjLb1EEEEE10hipError_tT1_PNSt15iterator_traitsISI_E10value_typeET2_T3_PNSJ_ISO_E10value_typeET4_T5_PST_SU_PNS1_23onesweep_lookback_stateEbbT6_jjT7_P12ihipStream_tbENKUlT_T0_SI_SN_E_clISD_SD_SD_SD_EEDaS11_S12_SI_SN_EUlS11_E_NS1_11comp_targetILNS1_3genE5ELNS1_11target_archE942ELNS1_3gpuE9ELNS1_3repE0EEENS1_47radix_sort_onesweep_sort_config_static_selectorELNS0_4arch9wavefront6targetE1EEEvSI_
	.globl	_ZN7rocprim17ROCPRIM_400000_NS6detail17trampoline_kernelINS0_14default_configENS1_35radix_sort_onesweep_config_selectorIiiEEZZNS1_29radix_sort_onesweep_iterationIS3_Lb1EN6thrust23THRUST_200600_302600_NS6detail15normal_iteratorINS8_10device_ptrIiEEEESD_SD_SD_jNS0_19identity_decomposerENS1_16block_id_wrapperIjLb1EEEEE10hipError_tT1_PNSt15iterator_traitsISI_E10value_typeET2_T3_PNSJ_ISO_E10value_typeET4_T5_PST_SU_PNS1_23onesweep_lookback_stateEbbT6_jjT7_P12ihipStream_tbENKUlT_T0_SI_SN_E_clISD_SD_SD_SD_EEDaS11_S12_SI_SN_EUlS11_E_NS1_11comp_targetILNS1_3genE5ELNS1_11target_archE942ELNS1_3gpuE9ELNS1_3repE0EEENS1_47radix_sort_onesweep_sort_config_static_selectorELNS0_4arch9wavefront6targetE1EEEvSI_
	.p2align	8
	.type	_ZN7rocprim17ROCPRIM_400000_NS6detail17trampoline_kernelINS0_14default_configENS1_35radix_sort_onesweep_config_selectorIiiEEZZNS1_29radix_sort_onesweep_iterationIS3_Lb1EN6thrust23THRUST_200600_302600_NS6detail15normal_iteratorINS8_10device_ptrIiEEEESD_SD_SD_jNS0_19identity_decomposerENS1_16block_id_wrapperIjLb1EEEEE10hipError_tT1_PNSt15iterator_traitsISI_E10value_typeET2_T3_PNSJ_ISO_E10value_typeET4_T5_PST_SU_PNS1_23onesweep_lookback_stateEbbT6_jjT7_P12ihipStream_tbENKUlT_T0_SI_SN_E_clISD_SD_SD_SD_EEDaS11_S12_SI_SN_EUlS11_E_NS1_11comp_targetILNS1_3genE5ELNS1_11target_archE942ELNS1_3gpuE9ELNS1_3repE0EEENS1_47radix_sort_onesweep_sort_config_static_selectorELNS0_4arch9wavefront6targetE1EEEvSI_,@function
_ZN7rocprim17ROCPRIM_400000_NS6detail17trampoline_kernelINS0_14default_configENS1_35radix_sort_onesweep_config_selectorIiiEEZZNS1_29radix_sort_onesweep_iterationIS3_Lb1EN6thrust23THRUST_200600_302600_NS6detail15normal_iteratorINS8_10device_ptrIiEEEESD_SD_SD_jNS0_19identity_decomposerENS1_16block_id_wrapperIjLb1EEEEE10hipError_tT1_PNSt15iterator_traitsISI_E10value_typeET2_T3_PNSJ_ISO_E10value_typeET4_T5_PST_SU_PNS1_23onesweep_lookback_stateEbbT6_jjT7_P12ihipStream_tbENKUlT_T0_SI_SN_E_clISD_SD_SD_SD_EEDaS11_S12_SI_SN_EUlS11_E_NS1_11comp_targetILNS1_3genE5ELNS1_11target_archE942ELNS1_3gpuE9ELNS1_3repE0EEENS1_47radix_sort_onesweep_sort_config_static_selectorELNS0_4arch9wavefront6targetE1EEEvSI_: ; @_ZN7rocprim17ROCPRIM_400000_NS6detail17trampoline_kernelINS0_14default_configENS1_35radix_sort_onesweep_config_selectorIiiEEZZNS1_29radix_sort_onesweep_iterationIS3_Lb1EN6thrust23THRUST_200600_302600_NS6detail15normal_iteratorINS8_10device_ptrIiEEEESD_SD_SD_jNS0_19identity_decomposerENS1_16block_id_wrapperIjLb1EEEEE10hipError_tT1_PNSt15iterator_traitsISI_E10value_typeET2_T3_PNSJ_ISO_E10value_typeET4_T5_PST_SU_PNS1_23onesweep_lookback_stateEbbT6_jjT7_P12ihipStream_tbENKUlT_T0_SI_SN_E_clISD_SD_SD_SD_EEDaS11_S12_SI_SN_EUlS11_E_NS1_11comp_targetILNS1_3genE5ELNS1_11target_archE942ELNS1_3gpuE9ELNS1_3repE0EEENS1_47radix_sort_onesweep_sort_config_static_selectorELNS0_4arch9wavefront6targetE1EEEvSI_
; %bb.0:
	.section	.rodata,"a",@progbits
	.p2align	6, 0x0
	.amdhsa_kernel _ZN7rocprim17ROCPRIM_400000_NS6detail17trampoline_kernelINS0_14default_configENS1_35radix_sort_onesweep_config_selectorIiiEEZZNS1_29radix_sort_onesweep_iterationIS3_Lb1EN6thrust23THRUST_200600_302600_NS6detail15normal_iteratorINS8_10device_ptrIiEEEESD_SD_SD_jNS0_19identity_decomposerENS1_16block_id_wrapperIjLb1EEEEE10hipError_tT1_PNSt15iterator_traitsISI_E10value_typeET2_T3_PNSJ_ISO_E10value_typeET4_T5_PST_SU_PNS1_23onesweep_lookback_stateEbbT6_jjT7_P12ihipStream_tbENKUlT_T0_SI_SN_E_clISD_SD_SD_SD_EEDaS11_S12_SI_SN_EUlS11_E_NS1_11comp_targetILNS1_3genE5ELNS1_11target_archE942ELNS1_3gpuE9ELNS1_3repE0EEENS1_47radix_sort_onesweep_sort_config_static_selectorELNS0_4arch9wavefront6targetE1EEEvSI_
		.amdhsa_group_segment_fixed_size 0
		.amdhsa_private_segment_fixed_size 0
		.amdhsa_kernarg_size 88
		.amdhsa_user_sgpr_count 2
		.amdhsa_user_sgpr_dispatch_ptr 0
		.amdhsa_user_sgpr_queue_ptr 0
		.amdhsa_user_sgpr_kernarg_segment_ptr 1
		.amdhsa_user_sgpr_dispatch_id 0
		.amdhsa_user_sgpr_kernarg_preload_length 0
		.amdhsa_user_sgpr_kernarg_preload_offset 0
		.amdhsa_user_sgpr_private_segment_size 0
		.amdhsa_uses_dynamic_stack 0
		.amdhsa_enable_private_segment 0
		.amdhsa_system_sgpr_workgroup_id_x 1
		.amdhsa_system_sgpr_workgroup_id_y 0
		.amdhsa_system_sgpr_workgroup_id_z 0
		.amdhsa_system_sgpr_workgroup_info 0
		.amdhsa_system_vgpr_workitem_id 0
		.amdhsa_next_free_vgpr 1
		.amdhsa_next_free_sgpr 0
		.amdhsa_accum_offset 4
		.amdhsa_reserve_vcc 0
		.amdhsa_float_round_mode_32 0
		.amdhsa_float_round_mode_16_64 0
		.amdhsa_float_denorm_mode_32 3
		.amdhsa_float_denorm_mode_16_64 3
		.amdhsa_dx10_clamp 1
		.amdhsa_ieee_mode 1
		.amdhsa_fp16_overflow 0
		.amdhsa_tg_split 0
		.amdhsa_exception_fp_ieee_invalid_op 0
		.amdhsa_exception_fp_denorm_src 0
		.amdhsa_exception_fp_ieee_div_zero 0
		.amdhsa_exception_fp_ieee_overflow 0
		.amdhsa_exception_fp_ieee_underflow 0
		.amdhsa_exception_fp_ieee_inexact 0
		.amdhsa_exception_int_div_zero 0
	.end_amdhsa_kernel
	.section	.text._ZN7rocprim17ROCPRIM_400000_NS6detail17trampoline_kernelINS0_14default_configENS1_35radix_sort_onesweep_config_selectorIiiEEZZNS1_29radix_sort_onesweep_iterationIS3_Lb1EN6thrust23THRUST_200600_302600_NS6detail15normal_iteratorINS8_10device_ptrIiEEEESD_SD_SD_jNS0_19identity_decomposerENS1_16block_id_wrapperIjLb1EEEEE10hipError_tT1_PNSt15iterator_traitsISI_E10value_typeET2_T3_PNSJ_ISO_E10value_typeET4_T5_PST_SU_PNS1_23onesweep_lookback_stateEbbT6_jjT7_P12ihipStream_tbENKUlT_T0_SI_SN_E_clISD_SD_SD_SD_EEDaS11_S12_SI_SN_EUlS11_E_NS1_11comp_targetILNS1_3genE5ELNS1_11target_archE942ELNS1_3gpuE9ELNS1_3repE0EEENS1_47radix_sort_onesweep_sort_config_static_selectorELNS0_4arch9wavefront6targetE1EEEvSI_,"axG",@progbits,_ZN7rocprim17ROCPRIM_400000_NS6detail17trampoline_kernelINS0_14default_configENS1_35radix_sort_onesweep_config_selectorIiiEEZZNS1_29radix_sort_onesweep_iterationIS3_Lb1EN6thrust23THRUST_200600_302600_NS6detail15normal_iteratorINS8_10device_ptrIiEEEESD_SD_SD_jNS0_19identity_decomposerENS1_16block_id_wrapperIjLb1EEEEE10hipError_tT1_PNSt15iterator_traitsISI_E10value_typeET2_T3_PNSJ_ISO_E10value_typeET4_T5_PST_SU_PNS1_23onesweep_lookback_stateEbbT6_jjT7_P12ihipStream_tbENKUlT_T0_SI_SN_E_clISD_SD_SD_SD_EEDaS11_S12_SI_SN_EUlS11_E_NS1_11comp_targetILNS1_3genE5ELNS1_11target_archE942ELNS1_3gpuE9ELNS1_3repE0EEENS1_47radix_sort_onesweep_sort_config_static_selectorELNS0_4arch9wavefront6targetE1EEEvSI_,comdat
.Lfunc_end1839:
	.size	_ZN7rocprim17ROCPRIM_400000_NS6detail17trampoline_kernelINS0_14default_configENS1_35radix_sort_onesweep_config_selectorIiiEEZZNS1_29radix_sort_onesweep_iterationIS3_Lb1EN6thrust23THRUST_200600_302600_NS6detail15normal_iteratorINS8_10device_ptrIiEEEESD_SD_SD_jNS0_19identity_decomposerENS1_16block_id_wrapperIjLb1EEEEE10hipError_tT1_PNSt15iterator_traitsISI_E10value_typeET2_T3_PNSJ_ISO_E10value_typeET4_T5_PST_SU_PNS1_23onesweep_lookback_stateEbbT6_jjT7_P12ihipStream_tbENKUlT_T0_SI_SN_E_clISD_SD_SD_SD_EEDaS11_S12_SI_SN_EUlS11_E_NS1_11comp_targetILNS1_3genE5ELNS1_11target_archE942ELNS1_3gpuE9ELNS1_3repE0EEENS1_47radix_sort_onesweep_sort_config_static_selectorELNS0_4arch9wavefront6targetE1EEEvSI_, .Lfunc_end1839-_ZN7rocprim17ROCPRIM_400000_NS6detail17trampoline_kernelINS0_14default_configENS1_35radix_sort_onesweep_config_selectorIiiEEZZNS1_29radix_sort_onesweep_iterationIS3_Lb1EN6thrust23THRUST_200600_302600_NS6detail15normal_iteratorINS8_10device_ptrIiEEEESD_SD_SD_jNS0_19identity_decomposerENS1_16block_id_wrapperIjLb1EEEEE10hipError_tT1_PNSt15iterator_traitsISI_E10value_typeET2_T3_PNSJ_ISO_E10value_typeET4_T5_PST_SU_PNS1_23onesweep_lookback_stateEbbT6_jjT7_P12ihipStream_tbENKUlT_T0_SI_SN_E_clISD_SD_SD_SD_EEDaS11_S12_SI_SN_EUlS11_E_NS1_11comp_targetILNS1_3genE5ELNS1_11target_archE942ELNS1_3gpuE9ELNS1_3repE0EEENS1_47radix_sort_onesweep_sort_config_static_selectorELNS0_4arch9wavefront6targetE1EEEvSI_
                                        ; -- End function
	.set _ZN7rocprim17ROCPRIM_400000_NS6detail17trampoline_kernelINS0_14default_configENS1_35radix_sort_onesweep_config_selectorIiiEEZZNS1_29radix_sort_onesweep_iterationIS3_Lb1EN6thrust23THRUST_200600_302600_NS6detail15normal_iteratorINS8_10device_ptrIiEEEESD_SD_SD_jNS0_19identity_decomposerENS1_16block_id_wrapperIjLb1EEEEE10hipError_tT1_PNSt15iterator_traitsISI_E10value_typeET2_T3_PNSJ_ISO_E10value_typeET4_T5_PST_SU_PNS1_23onesweep_lookback_stateEbbT6_jjT7_P12ihipStream_tbENKUlT_T0_SI_SN_E_clISD_SD_SD_SD_EEDaS11_S12_SI_SN_EUlS11_E_NS1_11comp_targetILNS1_3genE5ELNS1_11target_archE942ELNS1_3gpuE9ELNS1_3repE0EEENS1_47radix_sort_onesweep_sort_config_static_selectorELNS0_4arch9wavefront6targetE1EEEvSI_.num_vgpr, 0
	.set _ZN7rocprim17ROCPRIM_400000_NS6detail17trampoline_kernelINS0_14default_configENS1_35radix_sort_onesweep_config_selectorIiiEEZZNS1_29radix_sort_onesweep_iterationIS3_Lb1EN6thrust23THRUST_200600_302600_NS6detail15normal_iteratorINS8_10device_ptrIiEEEESD_SD_SD_jNS0_19identity_decomposerENS1_16block_id_wrapperIjLb1EEEEE10hipError_tT1_PNSt15iterator_traitsISI_E10value_typeET2_T3_PNSJ_ISO_E10value_typeET4_T5_PST_SU_PNS1_23onesweep_lookback_stateEbbT6_jjT7_P12ihipStream_tbENKUlT_T0_SI_SN_E_clISD_SD_SD_SD_EEDaS11_S12_SI_SN_EUlS11_E_NS1_11comp_targetILNS1_3genE5ELNS1_11target_archE942ELNS1_3gpuE9ELNS1_3repE0EEENS1_47radix_sort_onesweep_sort_config_static_selectorELNS0_4arch9wavefront6targetE1EEEvSI_.num_agpr, 0
	.set _ZN7rocprim17ROCPRIM_400000_NS6detail17trampoline_kernelINS0_14default_configENS1_35radix_sort_onesweep_config_selectorIiiEEZZNS1_29radix_sort_onesweep_iterationIS3_Lb1EN6thrust23THRUST_200600_302600_NS6detail15normal_iteratorINS8_10device_ptrIiEEEESD_SD_SD_jNS0_19identity_decomposerENS1_16block_id_wrapperIjLb1EEEEE10hipError_tT1_PNSt15iterator_traitsISI_E10value_typeET2_T3_PNSJ_ISO_E10value_typeET4_T5_PST_SU_PNS1_23onesweep_lookback_stateEbbT6_jjT7_P12ihipStream_tbENKUlT_T0_SI_SN_E_clISD_SD_SD_SD_EEDaS11_S12_SI_SN_EUlS11_E_NS1_11comp_targetILNS1_3genE5ELNS1_11target_archE942ELNS1_3gpuE9ELNS1_3repE0EEENS1_47radix_sort_onesweep_sort_config_static_selectorELNS0_4arch9wavefront6targetE1EEEvSI_.numbered_sgpr, 0
	.set _ZN7rocprim17ROCPRIM_400000_NS6detail17trampoline_kernelINS0_14default_configENS1_35radix_sort_onesweep_config_selectorIiiEEZZNS1_29radix_sort_onesweep_iterationIS3_Lb1EN6thrust23THRUST_200600_302600_NS6detail15normal_iteratorINS8_10device_ptrIiEEEESD_SD_SD_jNS0_19identity_decomposerENS1_16block_id_wrapperIjLb1EEEEE10hipError_tT1_PNSt15iterator_traitsISI_E10value_typeET2_T3_PNSJ_ISO_E10value_typeET4_T5_PST_SU_PNS1_23onesweep_lookback_stateEbbT6_jjT7_P12ihipStream_tbENKUlT_T0_SI_SN_E_clISD_SD_SD_SD_EEDaS11_S12_SI_SN_EUlS11_E_NS1_11comp_targetILNS1_3genE5ELNS1_11target_archE942ELNS1_3gpuE9ELNS1_3repE0EEENS1_47radix_sort_onesweep_sort_config_static_selectorELNS0_4arch9wavefront6targetE1EEEvSI_.num_named_barrier, 0
	.set _ZN7rocprim17ROCPRIM_400000_NS6detail17trampoline_kernelINS0_14default_configENS1_35radix_sort_onesweep_config_selectorIiiEEZZNS1_29radix_sort_onesweep_iterationIS3_Lb1EN6thrust23THRUST_200600_302600_NS6detail15normal_iteratorINS8_10device_ptrIiEEEESD_SD_SD_jNS0_19identity_decomposerENS1_16block_id_wrapperIjLb1EEEEE10hipError_tT1_PNSt15iterator_traitsISI_E10value_typeET2_T3_PNSJ_ISO_E10value_typeET4_T5_PST_SU_PNS1_23onesweep_lookback_stateEbbT6_jjT7_P12ihipStream_tbENKUlT_T0_SI_SN_E_clISD_SD_SD_SD_EEDaS11_S12_SI_SN_EUlS11_E_NS1_11comp_targetILNS1_3genE5ELNS1_11target_archE942ELNS1_3gpuE9ELNS1_3repE0EEENS1_47radix_sort_onesweep_sort_config_static_selectorELNS0_4arch9wavefront6targetE1EEEvSI_.private_seg_size, 0
	.set _ZN7rocprim17ROCPRIM_400000_NS6detail17trampoline_kernelINS0_14default_configENS1_35radix_sort_onesweep_config_selectorIiiEEZZNS1_29radix_sort_onesweep_iterationIS3_Lb1EN6thrust23THRUST_200600_302600_NS6detail15normal_iteratorINS8_10device_ptrIiEEEESD_SD_SD_jNS0_19identity_decomposerENS1_16block_id_wrapperIjLb1EEEEE10hipError_tT1_PNSt15iterator_traitsISI_E10value_typeET2_T3_PNSJ_ISO_E10value_typeET4_T5_PST_SU_PNS1_23onesweep_lookback_stateEbbT6_jjT7_P12ihipStream_tbENKUlT_T0_SI_SN_E_clISD_SD_SD_SD_EEDaS11_S12_SI_SN_EUlS11_E_NS1_11comp_targetILNS1_3genE5ELNS1_11target_archE942ELNS1_3gpuE9ELNS1_3repE0EEENS1_47radix_sort_onesweep_sort_config_static_selectorELNS0_4arch9wavefront6targetE1EEEvSI_.uses_vcc, 0
	.set _ZN7rocprim17ROCPRIM_400000_NS6detail17trampoline_kernelINS0_14default_configENS1_35radix_sort_onesweep_config_selectorIiiEEZZNS1_29radix_sort_onesweep_iterationIS3_Lb1EN6thrust23THRUST_200600_302600_NS6detail15normal_iteratorINS8_10device_ptrIiEEEESD_SD_SD_jNS0_19identity_decomposerENS1_16block_id_wrapperIjLb1EEEEE10hipError_tT1_PNSt15iterator_traitsISI_E10value_typeET2_T3_PNSJ_ISO_E10value_typeET4_T5_PST_SU_PNS1_23onesweep_lookback_stateEbbT6_jjT7_P12ihipStream_tbENKUlT_T0_SI_SN_E_clISD_SD_SD_SD_EEDaS11_S12_SI_SN_EUlS11_E_NS1_11comp_targetILNS1_3genE5ELNS1_11target_archE942ELNS1_3gpuE9ELNS1_3repE0EEENS1_47radix_sort_onesweep_sort_config_static_selectorELNS0_4arch9wavefront6targetE1EEEvSI_.uses_flat_scratch, 0
	.set _ZN7rocprim17ROCPRIM_400000_NS6detail17trampoline_kernelINS0_14default_configENS1_35radix_sort_onesweep_config_selectorIiiEEZZNS1_29radix_sort_onesweep_iterationIS3_Lb1EN6thrust23THRUST_200600_302600_NS6detail15normal_iteratorINS8_10device_ptrIiEEEESD_SD_SD_jNS0_19identity_decomposerENS1_16block_id_wrapperIjLb1EEEEE10hipError_tT1_PNSt15iterator_traitsISI_E10value_typeET2_T3_PNSJ_ISO_E10value_typeET4_T5_PST_SU_PNS1_23onesweep_lookback_stateEbbT6_jjT7_P12ihipStream_tbENKUlT_T0_SI_SN_E_clISD_SD_SD_SD_EEDaS11_S12_SI_SN_EUlS11_E_NS1_11comp_targetILNS1_3genE5ELNS1_11target_archE942ELNS1_3gpuE9ELNS1_3repE0EEENS1_47radix_sort_onesweep_sort_config_static_selectorELNS0_4arch9wavefront6targetE1EEEvSI_.has_dyn_sized_stack, 0
	.set _ZN7rocprim17ROCPRIM_400000_NS6detail17trampoline_kernelINS0_14default_configENS1_35radix_sort_onesweep_config_selectorIiiEEZZNS1_29radix_sort_onesweep_iterationIS3_Lb1EN6thrust23THRUST_200600_302600_NS6detail15normal_iteratorINS8_10device_ptrIiEEEESD_SD_SD_jNS0_19identity_decomposerENS1_16block_id_wrapperIjLb1EEEEE10hipError_tT1_PNSt15iterator_traitsISI_E10value_typeET2_T3_PNSJ_ISO_E10value_typeET4_T5_PST_SU_PNS1_23onesweep_lookback_stateEbbT6_jjT7_P12ihipStream_tbENKUlT_T0_SI_SN_E_clISD_SD_SD_SD_EEDaS11_S12_SI_SN_EUlS11_E_NS1_11comp_targetILNS1_3genE5ELNS1_11target_archE942ELNS1_3gpuE9ELNS1_3repE0EEENS1_47radix_sort_onesweep_sort_config_static_selectorELNS0_4arch9wavefront6targetE1EEEvSI_.has_recursion, 0
	.set _ZN7rocprim17ROCPRIM_400000_NS6detail17trampoline_kernelINS0_14default_configENS1_35radix_sort_onesweep_config_selectorIiiEEZZNS1_29radix_sort_onesweep_iterationIS3_Lb1EN6thrust23THRUST_200600_302600_NS6detail15normal_iteratorINS8_10device_ptrIiEEEESD_SD_SD_jNS0_19identity_decomposerENS1_16block_id_wrapperIjLb1EEEEE10hipError_tT1_PNSt15iterator_traitsISI_E10value_typeET2_T3_PNSJ_ISO_E10value_typeET4_T5_PST_SU_PNS1_23onesweep_lookback_stateEbbT6_jjT7_P12ihipStream_tbENKUlT_T0_SI_SN_E_clISD_SD_SD_SD_EEDaS11_S12_SI_SN_EUlS11_E_NS1_11comp_targetILNS1_3genE5ELNS1_11target_archE942ELNS1_3gpuE9ELNS1_3repE0EEENS1_47radix_sort_onesweep_sort_config_static_selectorELNS0_4arch9wavefront6targetE1EEEvSI_.has_indirect_call, 0
	.section	.AMDGPU.csdata,"",@progbits
; Kernel info:
; codeLenInByte = 0
; TotalNumSgprs: 6
; NumVgprs: 0
; NumAgprs: 0
; TotalNumVgprs: 0
; ScratchSize: 0
; MemoryBound: 0
; FloatMode: 240
; IeeeMode: 1
; LDSByteSize: 0 bytes/workgroup (compile time only)
; SGPRBlocks: 0
; VGPRBlocks: 0
; NumSGPRsForWavesPerEU: 6
; NumVGPRsForWavesPerEU: 1
; AccumOffset: 4
; Occupancy: 8
; WaveLimiterHint : 0
; COMPUTE_PGM_RSRC2:SCRATCH_EN: 0
; COMPUTE_PGM_RSRC2:USER_SGPR: 2
; COMPUTE_PGM_RSRC2:TRAP_HANDLER: 0
; COMPUTE_PGM_RSRC2:TGID_X_EN: 1
; COMPUTE_PGM_RSRC2:TGID_Y_EN: 0
; COMPUTE_PGM_RSRC2:TGID_Z_EN: 0
; COMPUTE_PGM_RSRC2:TIDIG_COMP_CNT: 0
; COMPUTE_PGM_RSRC3_GFX90A:ACCUM_OFFSET: 0
; COMPUTE_PGM_RSRC3_GFX90A:TG_SPLIT: 0
	.section	.text._ZN7rocprim17ROCPRIM_400000_NS6detail17trampoline_kernelINS0_14default_configENS1_35radix_sort_onesweep_config_selectorIiiEEZZNS1_29radix_sort_onesweep_iterationIS3_Lb1EN6thrust23THRUST_200600_302600_NS6detail15normal_iteratorINS8_10device_ptrIiEEEESD_SD_SD_jNS0_19identity_decomposerENS1_16block_id_wrapperIjLb1EEEEE10hipError_tT1_PNSt15iterator_traitsISI_E10value_typeET2_T3_PNSJ_ISO_E10value_typeET4_T5_PST_SU_PNS1_23onesweep_lookback_stateEbbT6_jjT7_P12ihipStream_tbENKUlT_T0_SI_SN_E_clISD_SD_SD_SD_EEDaS11_S12_SI_SN_EUlS11_E_NS1_11comp_targetILNS1_3genE2ELNS1_11target_archE906ELNS1_3gpuE6ELNS1_3repE0EEENS1_47radix_sort_onesweep_sort_config_static_selectorELNS0_4arch9wavefront6targetE1EEEvSI_,"axG",@progbits,_ZN7rocprim17ROCPRIM_400000_NS6detail17trampoline_kernelINS0_14default_configENS1_35radix_sort_onesweep_config_selectorIiiEEZZNS1_29radix_sort_onesweep_iterationIS3_Lb1EN6thrust23THRUST_200600_302600_NS6detail15normal_iteratorINS8_10device_ptrIiEEEESD_SD_SD_jNS0_19identity_decomposerENS1_16block_id_wrapperIjLb1EEEEE10hipError_tT1_PNSt15iterator_traitsISI_E10value_typeET2_T3_PNSJ_ISO_E10value_typeET4_T5_PST_SU_PNS1_23onesweep_lookback_stateEbbT6_jjT7_P12ihipStream_tbENKUlT_T0_SI_SN_E_clISD_SD_SD_SD_EEDaS11_S12_SI_SN_EUlS11_E_NS1_11comp_targetILNS1_3genE2ELNS1_11target_archE906ELNS1_3gpuE6ELNS1_3repE0EEENS1_47radix_sort_onesweep_sort_config_static_selectorELNS0_4arch9wavefront6targetE1EEEvSI_,comdat
	.protected	_ZN7rocprim17ROCPRIM_400000_NS6detail17trampoline_kernelINS0_14default_configENS1_35radix_sort_onesweep_config_selectorIiiEEZZNS1_29radix_sort_onesweep_iterationIS3_Lb1EN6thrust23THRUST_200600_302600_NS6detail15normal_iteratorINS8_10device_ptrIiEEEESD_SD_SD_jNS0_19identity_decomposerENS1_16block_id_wrapperIjLb1EEEEE10hipError_tT1_PNSt15iterator_traitsISI_E10value_typeET2_T3_PNSJ_ISO_E10value_typeET4_T5_PST_SU_PNS1_23onesweep_lookback_stateEbbT6_jjT7_P12ihipStream_tbENKUlT_T0_SI_SN_E_clISD_SD_SD_SD_EEDaS11_S12_SI_SN_EUlS11_E_NS1_11comp_targetILNS1_3genE2ELNS1_11target_archE906ELNS1_3gpuE6ELNS1_3repE0EEENS1_47radix_sort_onesweep_sort_config_static_selectorELNS0_4arch9wavefront6targetE1EEEvSI_ ; -- Begin function _ZN7rocprim17ROCPRIM_400000_NS6detail17trampoline_kernelINS0_14default_configENS1_35radix_sort_onesweep_config_selectorIiiEEZZNS1_29radix_sort_onesweep_iterationIS3_Lb1EN6thrust23THRUST_200600_302600_NS6detail15normal_iteratorINS8_10device_ptrIiEEEESD_SD_SD_jNS0_19identity_decomposerENS1_16block_id_wrapperIjLb1EEEEE10hipError_tT1_PNSt15iterator_traitsISI_E10value_typeET2_T3_PNSJ_ISO_E10value_typeET4_T5_PST_SU_PNS1_23onesweep_lookback_stateEbbT6_jjT7_P12ihipStream_tbENKUlT_T0_SI_SN_E_clISD_SD_SD_SD_EEDaS11_S12_SI_SN_EUlS11_E_NS1_11comp_targetILNS1_3genE2ELNS1_11target_archE906ELNS1_3gpuE6ELNS1_3repE0EEENS1_47radix_sort_onesweep_sort_config_static_selectorELNS0_4arch9wavefront6targetE1EEEvSI_
	.globl	_ZN7rocprim17ROCPRIM_400000_NS6detail17trampoline_kernelINS0_14default_configENS1_35radix_sort_onesweep_config_selectorIiiEEZZNS1_29radix_sort_onesweep_iterationIS3_Lb1EN6thrust23THRUST_200600_302600_NS6detail15normal_iteratorINS8_10device_ptrIiEEEESD_SD_SD_jNS0_19identity_decomposerENS1_16block_id_wrapperIjLb1EEEEE10hipError_tT1_PNSt15iterator_traitsISI_E10value_typeET2_T3_PNSJ_ISO_E10value_typeET4_T5_PST_SU_PNS1_23onesweep_lookback_stateEbbT6_jjT7_P12ihipStream_tbENKUlT_T0_SI_SN_E_clISD_SD_SD_SD_EEDaS11_S12_SI_SN_EUlS11_E_NS1_11comp_targetILNS1_3genE2ELNS1_11target_archE906ELNS1_3gpuE6ELNS1_3repE0EEENS1_47radix_sort_onesweep_sort_config_static_selectorELNS0_4arch9wavefront6targetE1EEEvSI_
	.p2align	8
	.type	_ZN7rocprim17ROCPRIM_400000_NS6detail17trampoline_kernelINS0_14default_configENS1_35radix_sort_onesweep_config_selectorIiiEEZZNS1_29radix_sort_onesweep_iterationIS3_Lb1EN6thrust23THRUST_200600_302600_NS6detail15normal_iteratorINS8_10device_ptrIiEEEESD_SD_SD_jNS0_19identity_decomposerENS1_16block_id_wrapperIjLb1EEEEE10hipError_tT1_PNSt15iterator_traitsISI_E10value_typeET2_T3_PNSJ_ISO_E10value_typeET4_T5_PST_SU_PNS1_23onesweep_lookback_stateEbbT6_jjT7_P12ihipStream_tbENKUlT_T0_SI_SN_E_clISD_SD_SD_SD_EEDaS11_S12_SI_SN_EUlS11_E_NS1_11comp_targetILNS1_3genE2ELNS1_11target_archE906ELNS1_3gpuE6ELNS1_3repE0EEENS1_47radix_sort_onesweep_sort_config_static_selectorELNS0_4arch9wavefront6targetE1EEEvSI_,@function
_ZN7rocprim17ROCPRIM_400000_NS6detail17trampoline_kernelINS0_14default_configENS1_35radix_sort_onesweep_config_selectorIiiEEZZNS1_29radix_sort_onesweep_iterationIS3_Lb1EN6thrust23THRUST_200600_302600_NS6detail15normal_iteratorINS8_10device_ptrIiEEEESD_SD_SD_jNS0_19identity_decomposerENS1_16block_id_wrapperIjLb1EEEEE10hipError_tT1_PNSt15iterator_traitsISI_E10value_typeET2_T3_PNSJ_ISO_E10value_typeET4_T5_PST_SU_PNS1_23onesweep_lookback_stateEbbT6_jjT7_P12ihipStream_tbENKUlT_T0_SI_SN_E_clISD_SD_SD_SD_EEDaS11_S12_SI_SN_EUlS11_E_NS1_11comp_targetILNS1_3genE2ELNS1_11target_archE906ELNS1_3gpuE6ELNS1_3repE0EEENS1_47radix_sort_onesweep_sort_config_static_selectorELNS0_4arch9wavefront6targetE1EEEvSI_: ; @_ZN7rocprim17ROCPRIM_400000_NS6detail17trampoline_kernelINS0_14default_configENS1_35radix_sort_onesweep_config_selectorIiiEEZZNS1_29radix_sort_onesweep_iterationIS3_Lb1EN6thrust23THRUST_200600_302600_NS6detail15normal_iteratorINS8_10device_ptrIiEEEESD_SD_SD_jNS0_19identity_decomposerENS1_16block_id_wrapperIjLb1EEEEE10hipError_tT1_PNSt15iterator_traitsISI_E10value_typeET2_T3_PNSJ_ISO_E10value_typeET4_T5_PST_SU_PNS1_23onesweep_lookback_stateEbbT6_jjT7_P12ihipStream_tbENKUlT_T0_SI_SN_E_clISD_SD_SD_SD_EEDaS11_S12_SI_SN_EUlS11_E_NS1_11comp_targetILNS1_3genE2ELNS1_11target_archE906ELNS1_3gpuE6ELNS1_3repE0EEENS1_47radix_sort_onesweep_sort_config_static_selectorELNS0_4arch9wavefront6targetE1EEEvSI_
; %bb.0:
	.section	.rodata,"a",@progbits
	.p2align	6, 0x0
	.amdhsa_kernel _ZN7rocprim17ROCPRIM_400000_NS6detail17trampoline_kernelINS0_14default_configENS1_35radix_sort_onesweep_config_selectorIiiEEZZNS1_29radix_sort_onesweep_iterationIS3_Lb1EN6thrust23THRUST_200600_302600_NS6detail15normal_iteratorINS8_10device_ptrIiEEEESD_SD_SD_jNS0_19identity_decomposerENS1_16block_id_wrapperIjLb1EEEEE10hipError_tT1_PNSt15iterator_traitsISI_E10value_typeET2_T3_PNSJ_ISO_E10value_typeET4_T5_PST_SU_PNS1_23onesweep_lookback_stateEbbT6_jjT7_P12ihipStream_tbENKUlT_T0_SI_SN_E_clISD_SD_SD_SD_EEDaS11_S12_SI_SN_EUlS11_E_NS1_11comp_targetILNS1_3genE2ELNS1_11target_archE906ELNS1_3gpuE6ELNS1_3repE0EEENS1_47radix_sort_onesweep_sort_config_static_selectorELNS0_4arch9wavefront6targetE1EEEvSI_
		.amdhsa_group_segment_fixed_size 0
		.amdhsa_private_segment_fixed_size 0
		.amdhsa_kernarg_size 88
		.amdhsa_user_sgpr_count 2
		.amdhsa_user_sgpr_dispatch_ptr 0
		.amdhsa_user_sgpr_queue_ptr 0
		.amdhsa_user_sgpr_kernarg_segment_ptr 1
		.amdhsa_user_sgpr_dispatch_id 0
		.amdhsa_user_sgpr_kernarg_preload_length 0
		.amdhsa_user_sgpr_kernarg_preload_offset 0
		.amdhsa_user_sgpr_private_segment_size 0
		.amdhsa_uses_dynamic_stack 0
		.amdhsa_enable_private_segment 0
		.amdhsa_system_sgpr_workgroup_id_x 1
		.amdhsa_system_sgpr_workgroup_id_y 0
		.amdhsa_system_sgpr_workgroup_id_z 0
		.amdhsa_system_sgpr_workgroup_info 0
		.amdhsa_system_vgpr_workitem_id 0
		.amdhsa_next_free_vgpr 1
		.amdhsa_next_free_sgpr 0
		.amdhsa_accum_offset 4
		.amdhsa_reserve_vcc 0
		.amdhsa_float_round_mode_32 0
		.amdhsa_float_round_mode_16_64 0
		.amdhsa_float_denorm_mode_32 3
		.amdhsa_float_denorm_mode_16_64 3
		.amdhsa_dx10_clamp 1
		.amdhsa_ieee_mode 1
		.amdhsa_fp16_overflow 0
		.amdhsa_tg_split 0
		.amdhsa_exception_fp_ieee_invalid_op 0
		.amdhsa_exception_fp_denorm_src 0
		.amdhsa_exception_fp_ieee_div_zero 0
		.amdhsa_exception_fp_ieee_overflow 0
		.amdhsa_exception_fp_ieee_underflow 0
		.amdhsa_exception_fp_ieee_inexact 0
		.amdhsa_exception_int_div_zero 0
	.end_amdhsa_kernel
	.section	.text._ZN7rocprim17ROCPRIM_400000_NS6detail17trampoline_kernelINS0_14default_configENS1_35radix_sort_onesweep_config_selectorIiiEEZZNS1_29radix_sort_onesweep_iterationIS3_Lb1EN6thrust23THRUST_200600_302600_NS6detail15normal_iteratorINS8_10device_ptrIiEEEESD_SD_SD_jNS0_19identity_decomposerENS1_16block_id_wrapperIjLb1EEEEE10hipError_tT1_PNSt15iterator_traitsISI_E10value_typeET2_T3_PNSJ_ISO_E10value_typeET4_T5_PST_SU_PNS1_23onesweep_lookback_stateEbbT6_jjT7_P12ihipStream_tbENKUlT_T0_SI_SN_E_clISD_SD_SD_SD_EEDaS11_S12_SI_SN_EUlS11_E_NS1_11comp_targetILNS1_3genE2ELNS1_11target_archE906ELNS1_3gpuE6ELNS1_3repE0EEENS1_47radix_sort_onesweep_sort_config_static_selectorELNS0_4arch9wavefront6targetE1EEEvSI_,"axG",@progbits,_ZN7rocprim17ROCPRIM_400000_NS6detail17trampoline_kernelINS0_14default_configENS1_35radix_sort_onesweep_config_selectorIiiEEZZNS1_29radix_sort_onesweep_iterationIS3_Lb1EN6thrust23THRUST_200600_302600_NS6detail15normal_iteratorINS8_10device_ptrIiEEEESD_SD_SD_jNS0_19identity_decomposerENS1_16block_id_wrapperIjLb1EEEEE10hipError_tT1_PNSt15iterator_traitsISI_E10value_typeET2_T3_PNSJ_ISO_E10value_typeET4_T5_PST_SU_PNS1_23onesweep_lookback_stateEbbT6_jjT7_P12ihipStream_tbENKUlT_T0_SI_SN_E_clISD_SD_SD_SD_EEDaS11_S12_SI_SN_EUlS11_E_NS1_11comp_targetILNS1_3genE2ELNS1_11target_archE906ELNS1_3gpuE6ELNS1_3repE0EEENS1_47radix_sort_onesweep_sort_config_static_selectorELNS0_4arch9wavefront6targetE1EEEvSI_,comdat
.Lfunc_end1840:
	.size	_ZN7rocprim17ROCPRIM_400000_NS6detail17trampoline_kernelINS0_14default_configENS1_35radix_sort_onesweep_config_selectorIiiEEZZNS1_29radix_sort_onesweep_iterationIS3_Lb1EN6thrust23THRUST_200600_302600_NS6detail15normal_iteratorINS8_10device_ptrIiEEEESD_SD_SD_jNS0_19identity_decomposerENS1_16block_id_wrapperIjLb1EEEEE10hipError_tT1_PNSt15iterator_traitsISI_E10value_typeET2_T3_PNSJ_ISO_E10value_typeET4_T5_PST_SU_PNS1_23onesweep_lookback_stateEbbT6_jjT7_P12ihipStream_tbENKUlT_T0_SI_SN_E_clISD_SD_SD_SD_EEDaS11_S12_SI_SN_EUlS11_E_NS1_11comp_targetILNS1_3genE2ELNS1_11target_archE906ELNS1_3gpuE6ELNS1_3repE0EEENS1_47radix_sort_onesweep_sort_config_static_selectorELNS0_4arch9wavefront6targetE1EEEvSI_, .Lfunc_end1840-_ZN7rocprim17ROCPRIM_400000_NS6detail17trampoline_kernelINS0_14default_configENS1_35radix_sort_onesweep_config_selectorIiiEEZZNS1_29radix_sort_onesweep_iterationIS3_Lb1EN6thrust23THRUST_200600_302600_NS6detail15normal_iteratorINS8_10device_ptrIiEEEESD_SD_SD_jNS0_19identity_decomposerENS1_16block_id_wrapperIjLb1EEEEE10hipError_tT1_PNSt15iterator_traitsISI_E10value_typeET2_T3_PNSJ_ISO_E10value_typeET4_T5_PST_SU_PNS1_23onesweep_lookback_stateEbbT6_jjT7_P12ihipStream_tbENKUlT_T0_SI_SN_E_clISD_SD_SD_SD_EEDaS11_S12_SI_SN_EUlS11_E_NS1_11comp_targetILNS1_3genE2ELNS1_11target_archE906ELNS1_3gpuE6ELNS1_3repE0EEENS1_47radix_sort_onesweep_sort_config_static_selectorELNS0_4arch9wavefront6targetE1EEEvSI_
                                        ; -- End function
	.set _ZN7rocprim17ROCPRIM_400000_NS6detail17trampoline_kernelINS0_14default_configENS1_35radix_sort_onesweep_config_selectorIiiEEZZNS1_29radix_sort_onesweep_iterationIS3_Lb1EN6thrust23THRUST_200600_302600_NS6detail15normal_iteratorINS8_10device_ptrIiEEEESD_SD_SD_jNS0_19identity_decomposerENS1_16block_id_wrapperIjLb1EEEEE10hipError_tT1_PNSt15iterator_traitsISI_E10value_typeET2_T3_PNSJ_ISO_E10value_typeET4_T5_PST_SU_PNS1_23onesweep_lookback_stateEbbT6_jjT7_P12ihipStream_tbENKUlT_T0_SI_SN_E_clISD_SD_SD_SD_EEDaS11_S12_SI_SN_EUlS11_E_NS1_11comp_targetILNS1_3genE2ELNS1_11target_archE906ELNS1_3gpuE6ELNS1_3repE0EEENS1_47radix_sort_onesweep_sort_config_static_selectorELNS0_4arch9wavefront6targetE1EEEvSI_.num_vgpr, 0
	.set _ZN7rocprim17ROCPRIM_400000_NS6detail17trampoline_kernelINS0_14default_configENS1_35radix_sort_onesweep_config_selectorIiiEEZZNS1_29radix_sort_onesweep_iterationIS3_Lb1EN6thrust23THRUST_200600_302600_NS6detail15normal_iteratorINS8_10device_ptrIiEEEESD_SD_SD_jNS0_19identity_decomposerENS1_16block_id_wrapperIjLb1EEEEE10hipError_tT1_PNSt15iterator_traitsISI_E10value_typeET2_T3_PNSJ_ISO_E10value_typeET4_T5_PST_SU_PNS1_23onesweep_lookback_stateEbbT6_jjT7_P12ihipStream_tbENKUlT_T0_SI_SN_E_clISD_SD_SD_SD_EEDaS11_S12_SI_SN_EUlS11_E_NS1_11comp_targetILNS1_3genE2ELNS1_11target_archE906ELNS1_3gpuE6ELNS1_3repE0EEENS1_47radix_sort_onesweep_sort_config_static_selectorELNS0_4arch9wavefront6targetE1EEEvSI_.num_agpr, 0
	.set _ZN7rocprim17ROCPRIM_400000_NS6detail17trampoline_kernelINS0_14default_configENS1_35radix_sort_onesweep_config_selectorIiiEEZZNS1_29radix_sort_onesweep_iterationIS3_Lb1EN6thrust23THRUST_200600_302600_NS6detail15normal_iteratorINS8_10device_ptrIiEEEESD_SD_SD_jNS0_19identity_decomposerENS1_16block_id_wrapperIjLb1EEEEE10hipError_tT1_PNSt15iterator_traitsISI_E10value_typeET2_T3_PNSJ_ISO_E10value_typeET4_T5_PST_SU_PNS1_23onesweep_lookback_stateEbbT6_jjT7_P12ihipStream_tbENKUlT_T0_SI_SN_E_clISD_SD_SD_SD_EEDaS11_S12_SI_SN_EUlS11_E_NS1_11comp_targetILNS1_3genE2ELNS1_11target_archE906ELNS1_3gpuE6ELNS1_3repE0EEENS1_47radix_sort_onesweep_sort_config_static_selectorELNS0_4arch9wavefront6targetE1EEEvSI_.numbered_sgpr, 0
	.set _ZN7rocprim17ROCPRIM_400000_NS6detail17trampoline_kernelINS0_14default_configENS1_35radix_sort_onesweep_config_selectorIiiEEZZNS1_29radix_sort_onesweep_iterationIS3_Lb1EN6thrust23THRUST_200600_302600_NS6detail15normal_iteratorINS8_10device_ptrIiEEEESD_SD_SD_jNS0_19identity_decomposerENS1_16block_id_wrapperIjLb1EEEEE10hipError_tT1_PNSt15iterator_traitsISI_E10value_typeET2_T3_PNSJ_ISO_E10value_typeET4_T5_PST_SU_PNS1_23onesweep_lookback_stateEbbT6_jjT7_P12ihipStream_tbENKUlT_T0_SI_SN_E_clISD_SD_SD_SD_EEDaS11_S12_SI_SN_EUlS11_E_NS1_11comp_targetILNS1_3genE2ELNS1_11target_archE906ELNS1_3gpuE6ELNS1_3repE0EEENS1_47radix_sort_onesweep_sort_config_static_selectorELNS0_4arch9wavefront6targetE1EEEvSI_.num_named_barrier, 0
	.set _ZN7rocprim17ROCPRIM_400000_NS6detail17trampoline_kernelINS0_14default_configENS1_35radix_sort_onesweep_config_selectorIiiEEZZNS1_29radix_sort_onesweep_iterationIS3_Lb1EN6thrust23THRUST_200600_302600_NS6detail15normal_iteratorINS8_10device_ptrIiEEEESD_SD_SD_jNS0_19identity_decomposerENS1_16block_id_wrapperIjLb1EEEEE10hipError_tT1_PNSt15iterator_traitsISI_E10value_typeET2_T3_PNSJ_ISO_E10value_typeET4_T5_PST_SU_PNS1_23onesweep_lookback_stateEbbT6_jjT7_P12ihipStream_tbENKUlT_T0_SI_SN_E_clISD_SD_SD_SD_EEDaS11_S12_SI_SN_EUlS11_E_NS1_11comp_targetILNS1_3genE2ELNS1_11target_archE906ELNS1_3gpuE6ELNS1_3repE0EEENS1_47radix_sort_onesweep_sort_config_static_selectorELNS0_4arch9wavefront6targetE1EEEvSI_.private_seg_size, 0
	.set _ZN7rocprim17ROCPRIM_400000_NS6detail17trampoline_kernelINS0_14default_configENS1_35radix_sort_onesweep_config_selectorIiiEEZZNS1_29radix_sort_onesweep_iterationIS3_Lb1EN6thrust23THRUST_200600_302600_NS6detail15normal_iteratorINS8_10device_ptrIiEEEESD_SD_SD_jNS0_19identity_decomposerENS1_16block_id_wrapperIjLb1EEEEE10hipError_tT1_PNSt15iterator_traitsISI_E10value_typeET2_T3_PNSJ_ISO_E10value_typeET4_T5_PST_SU_PNS1_23onesweep_lookback_stateEbbT6_jjT7_P12ihipStream_tbENKUlT_T0_SI_SN_E_clISD_SD_SD_SD_EEDaS11_S12_SI_SN_EUlS11_E_NS1_11comp_targetILNS1_3genE2ELNS1_11target_archE906ELNS1_3gpuE6ELNS1_3repE0EEENS1_47radix_sort_onesweep_sort_config_static_selectorELNS0_4arch9wavefront6targetE1EEEvSI_.uses_vcc, 0
	.set _ZN7rocprim17ROCPRIM_400000_NS6detail17trampoline_kernelINS0_14default_configENS1_35radix_sort_onesweep_config_selectorIiiEEZZNS1_29radix_sort_onesweep_iterationIS3_Lb1EN6thrust23THRUST_200600_302600_NS6detail15normal_iteratorINS8_10device_ptrIiEEEESD_SD_SD_jNS0_19identity_decomposerENS1_16block_id_wrapperIjLb1EEEEE10hipError_tT1_PNSt15iterator_traitsISI_E10value_typeET2_T3_PNSJ_ISO_E10value_typeET4_T5_PST_SU_PNS1_23onesweep_lookback_stateEbbT6_jjT7_P12ihipStream_tbENKUlT_T0_SI_SN_E_clISD_SD_SD_SD_EEDaS11_S12_SI_SN_EUlS11_E_NS1_11comp_targetILNS1_3genE2ELNS1_11target_archE906ELNS1_3gpuE6ELNS1_3repE0EEENS1_47radix_sort_onesweep_sort_config_static_selectorELNS0_4arch9wavefront6targetE1EEEvSI_.uses_flat_scratch, 0
	.set _ZN7rocprim17ROCPRIM_400000_NS6detail17trampoline_kernelINS0_14default_configENS1_35radix_sort_onesweep_config_selectorIiiEEZZNS1_29radix_sort_onesweep_iterationIS3_Lb1EN6thrust23THRUST_200600_302600_NS6detail15normal_iteratorINS8_10device_ptrIiEEEESD_SD_SD_jNS0_19identity_decomposerENS1_16block_id_wrapperIjLb1EEEEE10hipError_tT1_PNSt15iterator_traitsISI_E10value_typeET2_T3_PNSJ_ISO_E10value_typeET4_T5_PST_SU_PNS1_23onesweep_lookback_stateEbbT6_jjT7_P12ihipStream_tbENKUlT_T0_SI_SN_E_clISD_SD_SD_SD_EEDaS11_S12_SI_SN_EUlS11_E_NS1_11comp_targetILNS1_3genE2ELNS1_11target_archE906ELNS1_3gpuE6ELNS1_3repE0EEENS1_47radix_sort_onesweep_sort_config_static_selectorELNS0_4arch9wavefront6targetE1EEEvSI_.has_dyn_sized_stack, 0
	.set _ZN7rocprim17ROCPRIM_400000_NS6detail17trampoline_kernelINS0_14default_configENS1_35radix_sort_onesweep_config_selectorIiiEEZZNS1_29radix_sort_onesweep_iterationIS3_Lb1EN6thrust23THRUST_200600_302600_NS6detail15normal_iteratorINS8_10device_ptrIiEEEESD_SD_SD_jNS0_19identity_decomposerENS1_16block_id_wrapperIjLb1EEEEE10hipError_tT1_PNSt15iterator_traitsISI_E10value_typeET2_T3_PNSJ_ISO_E10value_typeET4_T5_PST_SU_PNS1_23onesweep_lookback_stateEbbT6_jjT7_P12ihipStream_tbENKUlT_T0_SI_SN_E_clISD_SD_SD_SD_EEDaS11_S12_SI_SN_EUlS11_E_NS1_11comp_targetILNS1_3genE2ELNS1_11target_archE906ELNS1_3gpuE6ELNS1_3repE0EEENS1_47radix_sort_onesweep_sort_config_static_selectorELNS0_4arch9wavefront6targetE1EEEvSI_.has_recursion, 0
	.set _ZN7rocprim17ROCPRIM_400000_NS6detail17trampoline_kernelINS0_14default_configENS1_35radix_sort_onesweep_config_selectorIiiEEZZNS1_29radix_sort_onesweep_iterationIS3_Lb1EN6thrust23THRUST_200600_302600_NS6detail15normal_iteratorINS8_10device_ptrIiEEEESD_SD_SD_jNS0_19identity_decomposerENS1_16block_id_wrapperIjLb1EEEEE10hipError_tT1_PNSt15iterator_traitsISI_E10value_typeET2_T3_PNSJ_ISO_E10value_typeET4_T5_PST_SU_PNS1_23onesweep_lookback_stateEbbT6_jjT7_P12ihipStream_tbENKUlT_T0_SI_SN_E_clISD_SD_SD_SD_EEDaS11_S12_SI_SN_EUlS11_E_NS1_11comp_targetILNS1_3genE2ELNS1_11target_archE906ELNS1_3gpuE6ELNS1_3repE0EEENS1_47radix_sort_onesweep_sort_config_static_selectorELNS0_4arch9wavefront6targetE1EEEvSI_.has_indirect_call, 0
	.section	.AMDGPU.csdata,"",@progbits
; Kernel info:
; codeLenInByte = 0
; TotalNumSgprs: 6
; NumVgprs: 0
; NumAgprs: 0
; TotalNumVgprs: 0
; ScratchSize: 0
; MemoryBound: 0
; FloatMode: 240
; IeeeMode: 1
; LDSByteSize: 0 bytes/workgroup (compile time only)
; SGPRBlocks: 0
; VGPRBlocks: 0
; NumSGPRsForWavesPerEU: 6
; NumVGPRsForWavesPerEU: 1
; AccumOffset: 4
; Occupancy: 8
; WaveLimiterHint : 0
; COMPUTE_PGM_RSRC2:SCRATCH_EN: 0
; COMPUTE_PGM_RSRC2:USER_SGPR: 2
; COMPUTE_PGM_RSRC2:TRAP_HANDLER: 0
; COMPUTE_PGM_RSRC2:TGID_X_EN: 1
; COMPUTE_PGM_RSRC2:TGID_Y_EN: 0
; COMPUTE_PGM_RSRC2:TGID_Z_EN: 0
; COMPUTE_PGM_RSRC2:TIDIG_COMP_CNT: 0
; COMPUTE_PGM_RSRC3_GFX90A:ACCUM_OFFSET: 0
; COMPUTE_PGM_RSRC3_GFX90A:TG_SPLIT: 0
	.section	.text._ZN7rocprim17ROCPRIM_400000_NS6detail17trampoline_kernelINS0_14default_configENS1_35radix_sort_onesweep_config_selectorIiiEEZZNS1_29radix_sort_onesweep_iterationIS3_Lb1EN6thrust23THRUST_200600_302600_NS6detail15normal_iteratorINS8_10device_ptrIiEEEESD_SD_SD_jNS0_19identity_decomposerENS1_16block_id_wrapperIjLb1EEEEE10hipError_tT1_PNSt15iterator_traitsISI_E10value_typeET2_T3_PNSJ_ISO_E10value_typeET4_T5_PST_SU_PNS1_23onesweep_lookback_stateEbbT6_jjT7_P12ihipStream_tbENKUlT_T0_SI_SN_E_clISD_SD_SD_SD_EEDaS11_S12_SI_SN_EUlS11_E_NS1_11comp_targetILNS1_3genE4ELNS1_11target_archE910ELNS1_3gpuE8ELNS1_3repE0EEENS1_47radix_sort_onesweep_sort_config_static_selectorELNS0_4arch9wavefront6targetE1EEEvSI_,"axG",@progbits,_ZN7rocprim17ROCPRIM_400000_NS6detail17trampoline_kernelINS0_14default_configENS1_35radix_sort_onesweep_config_selectorIiiEEZZNS1_29radix_sort_onesweep_iterationIS3_Lb1EN6thrust23THRUST_200600_302600_NS6detail15normal_iteratorINS8_10device_ptrIiEEEESD_SD_SD_jNS0_19identity_decomposerENS1_16block_id_wrapperIjLb1EEEEE10hipError_tT1_PNSt15iterator_traitsISI_E10value_typeET2_T3_PNSJ_ISO_E10value_typeET4_T5_PST_SU_PNS1_23onesweep_lookback_stateEbbT6_jjT7_P12ihipStream_tbENKUlT_T0_SI_SN_E_clISD_SD_SD_SD_EEDaS11_S12_SI_SN_EUlS11_E_NS1_11comp_targetILNS1_3genE4ELNS1_11target_archE910ELNS1_3gpuE8ELNS1_3repE0EEENS1_47radix_sort_onesweep_sort_config_static_selectorELNS0_4arch9wavefront6targetE1EEEvSI_,comdat
	.protected	_ZN7rocprim17ROCPRIM_400000_NS6detail17trampoline_kernelINS0_14default_configENS1_35radix_sort_onesweep_config_selectorIiiEEZZNS1_29radix_sort_onesweep_iterationIS3_Lb1EN6thrust23THRUST_200600_302600_NS6detail15normal_iteratorINS8_10device_ptrIiEEEESD_SD_SD_jNS0_19identity_decomposerENS1_16block_id_wrapperIjLb1EEEEE10hipError_tT1_PNSt15iterator_traitsISI_E10value_typeET2_T3_PNSJ_ISO_E10value_typeET4_T5_PST_SU_PNS1_23onesweep_lookback_stateEbbT6_jjT7_P12ihipStream_tbENKUlT_T0_SI_SN_E_clISD_SD_SD_SD_EEDaS11_S12_SI_SN_EUlS11_E_NS1_11comp_targetILNS1_3genE4ELNS1_11target_archE910ELNS1_3gpuE8ELNS1_3repE0EEENS1_47radix_sort_onesweep_sort_config_static_selectorELNS0_4arch9wavefront6targetE1EEEvSI_ ; -- Begin function _ZN7rocprim17ROCPRIM_400000_NS6detail17trampoline_kernelINS0_14default_configENS1_35radix_sort_onesweep_config_selectorIiiEEZZNS1_29radix_sort_onesweep_iterationIS3_Lb1EN6thrust23THRUST_200600_302600_NS6detail15normal_iteratorINS8_10device_ptrIiEEEESD_SD_SD_jNS0_19identity_decomposerENS1_16block_id_wrapperIjLb1EEEEE10hipError_tT1_PNSt15iterator_traitsISI_E10value_typeET2_T3_PNSJ_ISO_E10value_typeET4_T5_PST_SU_PNS1_23onesweep_lookback_stateEbbT6_jjT7_P12ihipStream_tbENKUlT_T0_SI_SN_E_clISD_SD_SD_SD_EEDaS11_S12_SI_SN_EUlS11_E_NS1_11comp_targetILNS1_3genE4ELNS1_11target_archE910ELNS1_3gpuE8ELNS1_3repE0EEENS1_47radix_sort_onesweep_sort_config_static_selectorELNS0_4arch9wavefront6targetE1EEEvSI_
	.globl	_ZN7rocprim17ROCPRIM_400000_NS6detail17trampoline_kernelINS0_14default_configENS1_35radix_sort_onesweep_config_selectorIiiEEZZNS1_29radix_sort_onesweep_iterationIS3_Lb1EN6thrust23THRUST_200600_302600_NS6detail15normal_iteratorINS8_10device_ptrIiEEEESD_SD_SD_jNS0_19identity_decomposerENS1_16block_id_wrapperIjLb1EEEEE10hipError_tT1_PNSt15iterator_traitsISI_E10value_typeET2_T3_PNSJ_ISO_E10value_typeET4_T5_PST_SU_PNS1_23onesweep_lookback_stateEbbT6_jjT7_P12ihipStream_tbENKUlT_T0_SI_SN_E_clISD_SD_SD_SD_EEDaS11_S12_SI_SN_EUlS11_E_NS1_11comp_targetILNS1_3genE4ELNS1_11target_archE910ELNS1_3gpuE8ELNS1_3repE0EEENS1_47radix_sort_onesweep_sort_config_static_selectorELNS0_4arch9wavefront6targetE1EEEvSI_
	.p2align	8
	.type	_ZN7rocprim17ROCPRIM_400000_NS6detail17trampoline_kernelINS0_14default_configENS1_35radix_sort_onesweep_config_selectorIiiEEZZNS1_29radix_sort_onesweep_iterationIS3_Lb1EN6thrust23THRUST_200600_302600_NS6detail15normal_iteratorINS8_10device_ptrIiEEEESD_SD_SD_jNS0_19identity_decomposerENS1_16block_id_wrapperIjLb1EEEEE10hipError_tT1_PNSt15iterator_traitsISI_E10value_typeET2_T3_PNSJ_ISO_E10value_typeET4_T5_PST_SU_PNS1_23onesweep_lookback_stateEbbT6_jjT7_P12ihipStream_tbENKUlT_T0_SI_SN_E_clISD_SD_SD_SD_EEDaS11_S12_SI_SN_EUlS11_E_NS1_11comp_targetILNS1_3genE4ELNS1_11target_archE910ELNS1_3gpuE8ELNS1_3repE0EEENS1_47radix_sort_onesweep_sort_config_static_selectorELNS0_4arch9wavefront6targetE1EEEvSI_,@function
_ZN7rocprim17ROCPRIM_400000_NS6detail17trampoline_kernelINS0_14default_configENS1_35radix_sort_onesweep_config_selectorIiiEEZZNS1_29radix_sort_onesweep_iterationIS3_Lb1EN6thrust23THRUST_200600_302600_NS6detail15normal_iteratorINS8_10device_ptrIiEEEESD_SD_SD_jNS0_19identity_decomposerENS1_16block_id_wrapperIjLb1EEEEE10hipError_tT1_PNSt15iterator_traitsISI_E10value_typeET2_T3_PNSJ_ISO_E10value_typeET4_T5_PST_SU_PNS1_23onesweep_lookback_stateEbbT6_jjT7_P12ihipStream_tbENKUlT_T0_SI_SN_E_clISD_SD_SD_SD_EEDaS11_S12_SI_SN_EUlS11_E_NS1_11comp_targetILNS1_3genE4ELNS1_11target_archE910ELNS1_3gpuE8ELNS1_3repE0EEENS1_47radix_sort_onesweep_sort_config_static_selectorELNS0_4arch9wavefront6targetE1EEEvSI_: ; @_ZN7rocprim17ROCPRIM_400000_NS6detail17trampoline_kernelINS0_14default_configENS1_35radix_sort_onesweep_config_selectorIiiEEZZNS1_29radix_sort_onesweep_iterationIS3_Lb1EN6thrust23THRUST_200600_302600_NS6detail15normal_iteratorINS8_10device_ptrIiEEEESD_SD_SD_jNS0_19identity_decomposerENS1_16block_id_wrapperIjLb1EEEEE10hipError_tT1_PNSt15iterator_traitsISI_E10value_typeET2_T3_PNSJ_ISO_E10value_typeET4_T5_PST_SU_PNS1_23onesweep_lookback_stateEbbT6_jjT7_P12ihipStream_tbENKUlT_T0_SI_SN_E_clISD_SD_SD_SD_EEDaS11_S12_SI_SN_EUlS11_E_NS1_11comp_targetILNS1_3genE4ELNS1_11target_archE910ELNS1_3gpuE8ELNS1_3repE0EEENS1_47radix_sort_onesweep_sort_config_static_selectorELNS0_4arch9wavefront6targetE1EEEvSI_
; %bb.0:
	.section	.rodata,"a",@progbits
	.p2align	6, 0x0
	.amdhsa_kernel _ZN7rocprim17ROCPRIM_400000_NS6detail17trampoline_kernelINS0_14default_configENS1_35radix_sort_onesweep_config_selectorIiiEEZZNS1_29radix_sort_onesweep_iterationIS3_Lb1EN6thrust23THRUST_200600_302600_NS6detail15normal_iteratorINS8_10device_ptrIiEEEESD_SD_SD_jNS0_19identity_decomposerENS1_16block_id_wrapperIjLb1EEEEE10hipError_tT1_PNSt15iterator_traitsISI_E10value_typeET2_T3_PNSJ_ISO_E10value_typeET4_T5_PST_SU_PNS1_23onesweep_lookback_stateEbbT6_jjT7_P12ihipStream_tbENKUlT_T0_SI_SN_E_clISD_SD_SD_SD_EEDaS11_S12_SI_SN_EUlS11_E_NS1_11comp_targetILNS1_3genE4ELNS1_11target_archE910ELNS1_3gpuE8ELNS1_3repE0EEENS1_47radix_sort_onesweep_sort_config_static_selectorELNS0_4arch9wavefront6targetE1EEEvSI_
		.amdhsa_group_segment_fixed_size 0
		.amdhsa_private_segment_fixed_size 0
		.amdhsa_kernarg_size 88
		.amdhsa_user_sgpr_count 2
		.amdhsa_user_sgpr_dispatch_ptr 0
		.amdhsa_user_sgpr_queue_ptr 0
		.amdhsa_user_sgpr_kernarg_segment_ptr 1
		.amdhsa_user_sgpr_dispatch_id 0
		.amdhsa_user_sgpr_kernarg_preload_length 0
		.amdhsa_user_sgpr_kernarg_preload_offset 0
		.amdhsa_user_sgpr_private_segment_size 0
		.amdhsa_uses_dynamic_stack 0
		.amdhsa_enable_private_segment 0
		.amdhsa_system_sgpr_workgroup_id_x 1
		.amdhsa_system_sgpr_workgroup_id_y 0
		.amdhsa_system_sgpr_workgroup_id_z 0
		.amdhsa_system_sgpr_workgroup_info 0
		.amdhsa_system_vgpr_workitem_id 0
		.amdhsa_next_free_vgpr 1
		.amdhsa_next_free_sgpr 0
		.amdhsa_accum_offset 4
		.amdhsa_reserve_vcc 0
		.amdhsa_float_round_mode_32 0
		.amdhsa_float_round_mode_16_64 0
		.amdhsa_float_denorm_mode_32 3
		.amdhsa_float_denorm_mode_16_64 3
		.amdhsa_dx10_clamp 1
		.amdhsa_ieee_mode 1
		.amdhsa_fp16_overflow 0
		.amdhsa_tg_split 0
		.amdhsa_exception_fp_ieee_invalid_op 0
		.amdhsa_exception_fp_denorm_src 0
		.amdhsa_exception_fp_ieee_div_zero 0
		.amdhsa_exception_fp_ieee_overflow 0
		.amdhsa_exception_fp_ieee_underflow 0
		.amdhsa_exception_fp_ieee_inexact 0
		.amdhsa_exception_int_div_zero 0
	.end_amdhsa_kernel
	.section	.text._ZN7rocprim17ROCPRIM_400000_NS6detail17trampoline_kernelINS0_14default_configENS1_35radix_sort_onesweep_config_selectorIiiEEZZNS1_29radix_sort_onesweep_iterationIS3_Lb1EN6thrust23THRUST_200600_302600_NS6detail15normal_iteratorINS8_10device_ptrIiEEEESD_SD_SD_jNS0_19identity_decomposerENS1_16block_id_wrapperIjLb1EEEEE10hipError_tT1_PNSt15iterator_traitsISI_E10value_typeET2_T3_PNSJ_ISO_E10value_typeET4_T5_PST_SU_PNS1_23onesweep_lookback_stateEbbT6_jjT7_P12ihipStream_tbENKUlT_T0_SI_SN_E_clISD_SD_SD_SD_EEDaS11_S12_SI_SN_EUlS11_E_NS1_11comp_targetILNS1_3genE4ELNS1_11target_archE910ELNS1_3gpuE8ELNS1_3repE0EEENS1_47radix_sort_onesweep_sort_config_static_selectorELNS0_4arch9wavefront6targetE1EEEvSI_,"axG",@progbits,_ZN7rocprim17ROCPRIM_400000_NS6detail17trampoline_kernelINS0_14default_configENS1_35radix_sort_onesweep_config_selectorIiiEEZZNS1_29radix_sort_onesweep_iterationIS3_Lb1EN6thrust23THRUST_200600_302600_NS6detail15normal_iteratorINS8_10device_ptrIiEEEESD_SD_SD_jNS0_19identity_decomposerENS1_16block_id_wrapperIjLb1EEEEE10hipError_tT1_PNSt15iterator_traitsISI_E10value_typeET2_T3_PNSJ_ISO_E10value_typeET4_T5_PST_SU_PNS1_23onesweep_lookback_stateEbbT6_jjT7_P12ihipStream_tbENKUlT_T0_SI_SN_E_clISD_SD_SD_SD_EEDaS11_S12_SI_SN_EUlS11_E_NS1_11comp_targetILNS1_3genE4ELNS1_11target_archE910ELNS1_3gpuE8ELNS1_3repE0EEENS1_47radix_sort_onesweep_sort_config_static_selectorELNS0_4arch9wavefront6targetE1EEEvSI_,comdat
.Lfunc_end1841:
	.size	_ZN7rocprim17ROCPRIM_400000_NS6detail17trampoline_kernelINS0_14default_configENS1_35radix_sort_onesweep_config_selectorIiiEEZZNS1_29radix_sort_onesweep_iterationIS3_Lb1EN6thrust23THRUST_200600_302600_NS6detail15normal_iteratorINS8_10device_ptrIiEEEESD_SD_SD_jNS0_19identity_decomposerENS1_16block_id_wrapperIjLb1EEEEE10hipError_tT1_PNSt15iterator_traitsISI_E10value_typeET2_T3_PNSJ_ISO_E10value_typeET4_T5_PST_SU_PNS1_23onesweep_lookback_stateEbbT6_jjT7_P12ihipStream_tbENKUlT_T0_SI_SN_E_clISD_SD_SD_SD_EEDaS11_S12_SI_SN_EUlS11_E_NS1_11comp_targetILNS1_3genE4ELNS1_11target_archE910ELNS1_3gpuE8ELNS1_3repE0EEENS1_47radix_sort_onesweep_sort_config_static_selectorELNS0_4arch9wavefront6targetE1EEEvSI_, .Lfunc_end1841-_ZN7rocprim17ROCPRIM_400000_NS6detail17trampoline_kernelINS0_14default_configENS1_35radix_sort_onesweep_config_selectorIiiEEZZNS1_29radix_sort_onesweep_iterationIS3_Lb1EN6thrust23THRUST_200600_302600_NS6detail15normal_iteratorINS8_10device_ptrIiEEEESD_SD_SD_jNS0_19identity_decomposerENS1_16block_id_wrapperIjLb1EEEEE10hipError_tT1_PNSt15iterator_traitsISI_E10value_typeET2_T3_PNSJ_ISO_E10value_typeET4_T5_PST_SU_PNS1_23onesweep_lookback_stateEbbT6_jjT7_P12ihipStream_tbENKUlT_T0_SI_SN_E_clISD_SD_SD_SD_EEDaS11_S12_SI_SN_EUlS11_E_NS1_11comp_targetILNS1_3genE4ELNS1_11target_archE910ELNS1_3gpuE8ELNS1_3repE0EEENS1_47radix_sort_onesweep_sort_config_static_selectorELNS0_4arch9wavefront6targetE1EEEvSI_
                                        ; -- End function
	.set _ZN7rocprim17ROCPRIM_400000_NS6detail17trampoline_kernelINS0_14default_configENS1_35radix_sort_onesweep_config_selectorIiiEEZZNS1_29radix_sort_onesweep_iterationIS3_Lb1EN6thrust23THRUST_200600_302600_NS6detail15normal_iteratorINS8_10device_ptrIiEEEESD_SD_SD_jNS0_19identity_decomposerENS1_16block_id_wrapperIjLb1EEEEE10hipError_tT1_PNSt15iterator_traitsISI_E10value_typeET2_T3_PNSJ_ISO_E10value_typeET4_T5_PST_SU_PNS1_23onesweep_lookback_stateEbbT6_jjT7_P12ihipStream_tbENKUlT_T0_SI_SN_E_clISD_SD_SD_SD_EEDaS11_S12_SI_SN_EUlS11_E_NS1_11comp_targetILNS1_3genE4ELNS1_11target_archE910ELNS1_3gpuE8ELNS1_3repE0EEENS1_47radix_sort_onesweep_sort_config_static_selectorELNS0_4arch9wavefront6targetE1EEEvSI_.num_vgpr, 0
	.set _ZN7rocprim17ROCPRIM_400000_NS6detail17trampoline_kernelINS0_14default_configENS1_35radix_sort_onesweep_config_selectorIiiEEZZNS1_29radix_sort_onesweep_iterationIS3_Lb1EN6thrust23THRUST_200600_302600_NS6detail15normal_iteratorINS8_10device_ptrIiEEEESD_SD_SD_jNS0_19identity_decomposerENS1_16block_id_wrapperIjLb1EEEEE10hipError_tT1_PNSt15iterator_traitsISI_E10value_typeET2_T3_PNSJ_ISO_E10value_typeET4_T5_PST_SU_PNS1_23onesweep_lookback_stateEbbT6_jjT7_P12ihipStream_tbENKUlT_T0_SI_SN_E_clISD_SD_SD_SD_EEDaS11_S12_SI_SN_EUlS11_E_NS1_11comp_targetILNS1_3genE4ELNS1_11target_archE910ELNS1_3gpuE8ELNS1_3repE0EEENS1_47radix_sort_onesweep_sort_config_static_selectorELNS0_4arch9wavefront6targetE1EEEvSI_.num_agpr, 0
	.set _ZN7rocprim17ROCPRIM_400000_NS6detail17trampoline_kernelINS0_14default_configENS1_35radix_sort_onesweep_config_selectorIiiEEZZNS1_29radix_sort_onesweep_iterationIS3_Lb1EN6thrust23THRUST_200600_302600_NS6detail15normal_iteratorINS8_10device_ptrIiEEEESD_SD_SD_jNS0_19identity_decomposerENS1_16block_id_wrapperIjLb1EEEEE10hipError_tT1_PNSt15iterator_traitsISI_E10value_typeET2_T3_PNSJ_ISO_E10value_typeET4_T5_PST_SU_PNS1_23onesweep_lookback_stateEbbT6_jjT7_P12ihipStream_tbENKUlT_T0_SI_SN_E_clISD_SD_SD_SD_EEDaS11_S12_SI_SN_EUlS11_E_NS1_11comp_targetILNS1_3genE4ELNS1_11target_archE910ELNS1_3gpuE8ELNS1_3repE0EEENS1_47radix_sort_onesweep_sort_config_static_selectorELNS0_4arch9wavefront6targetE1EEEvSI_.numbered_sgpr, 0
	.set _ZN7rocprim17ROCPRIM_400000_NS6detail17trampoline_kernelINS0_14default_configENS1_35radix_sort_onesweep_config_selectorIiiEEZZNS1_29radix_sort_onesweep_iterationIS3_Lb1EN6thrust23THRUST_200600_302600_NS6detail15normal_iteratorINS8_10device_ptrIiEEEESD_SD_SD_jNS0_19identity_decomposerENS1_16block_id_wrapperIjLb1EEEEE10hipError_tT1_PNSt15iterator_traitsISI_E10value_typeET2_T3_PNSJ_ISO_E10value_typeET4_T5_PST_SU_PNS1_23onesweep_lookback_stateEbbT6_jjT7_P12ihipStream_tbENKUlT_T0_SI_SN_E_clISD_SD_SD_SD_EEDaS11_S12_SI_SN_EUlS11_E_NS1_11comp_targetILNS1_3genE4ELNS1_11target_archE910ELNS1_3gpuE8ELNS1_3repE0EEENS1_47radix_sort_onesweep_sort_config_static_selectorELNS0_4arch9wavefront6targetE1EEEvSI_.num_named_barrier, 0
	.set _ZN7rocprim17ROCPRIM_400000_NS6detail17trampoline_kernelINS0_14default_configENS1_35radix_sort_onesweep_config_selectorIiiEEZZNS1_29radix_sort_onesweep_iterationIS3_Lb1EN6thrust23THRUST_200600_302600_NS6detail15normal_iteratorINS8_10device_ptrIiEEEESD_SD_SD_jNS0_19identity_decomposerENS1_16block_id_wrapperIjLb1EEEEE10hipError_tT1_PNSt15iterator_traitsISI_E10value_typeET2_T3_PNSJ_ISO_E10value_typeET4_T5_PST_SU_PNS1_23onesweep_lookback_stateEbbT6_jjT7_P12ihipStream_tbENKUlT_T0_SI_SN_E_clISD_SD_SD_SD_EEDaS11_S12_SI_SN_EUlS11_E_NS1_11comp_targetILNS1_3genE4ELNS1_11target_archE910ELNS1_3gpuE8ELNS1_3repE0EEENS1_47radix_sort_onesweep_sort_config_static_selectorELNS0_4arch9wavefront6targetE1EEEvSI_.private_seg_size, 0
	.set _ZN7rocprim17ROCPRIM_400000_NS6detail17trampoline_kernelINS0_14default_configENS1_35radix_sort_onesweep_config_selectorIiiEEZZNS1_29radix_sort_onesweep_iterationIS3_Lb1EN6thrust23THRUST_200600_302600_NS6detail15normal_iteratorINS8_10device_ptrIiEEEESD_SD_SD_jNS0_19identity_decomposerENS1_16block_id_wrapperIjLb1EEEEE10hipError_tT1_PNSt15iterator_traitsISI_E10value_typeET2_T3_PNSJ_ISO_E10value_typeET4_T5_PST_SU_PNS1_23onesweep_lookback_stateEbbT6_jjT7_P12ihipStream_tbENKUlT_T0_SI_SN_E_clISD_SD_SD_SD_EEDaS11_S12_SI_SN_EUlS11_E_NS1_11comp_targetILNS1_3genE4ELNS1_11target_archE910ELNS1_3gpuE8ELNS1_3repE0EEENS1_47radix_sort_onesweep_sort_config_static_selectorELNS0_4arch9wavefront6targetE1EEEvSI_.uses_vcc, 0
	.set _ZN7rocprim17ROCPRIM_400000_NS6detail17trampoline_kernelINS0_14default_configENS1_35radix_sort_onesweep_config_selectorIiiEEZZNS1_29radix_sort_onesweep_iterationIS3_Lb1EN6thrust23THRUST_200600_302600_NS6detail15normal_iteratorINS8_10device_ptrIiEEEESD_SD_SD_jNS0_19identity_decomposerENS1_16block_id_wrapperIjLb1EEEEE10hipError_tT1_PNSt15iterator_traitsISI_E10value_typeET2_T3_PNSJ_ISO_E10value_typeET4_T5_PST_SU_PNS1_23onesweep_lookback_stateEbbT6_jjT7_P12ihipStream_tbENKUlT_T0_SI_SN_E_clISD_SD_SD_SD_EEDaS11_S12_SI_SN_EUlS11_E_NS1_11comp_targetILNS1_3genE4ELNS1_11target_archE910ELNS1_3gpuE8ELNS1_3repE0EEENS1_47radix_sort_onesweep_sort_config_static_selectorELNS0_4arch9wavefront6targetE1EEEvSI_.uses_flat_scratch, 0
	.set _ZN7rocprim17ROCPRIM_400000_NS6detail17trampoline_kernelINS0_14default_configENS1_35radix_sort_onesweep_config_selectorIiiEEZZNS1_29radix_sort_onesweep_iterationIS3_Lb1EN6thrust23THRUST_200600_302600_NS6detail15normal_iteratorINS8_10device_ptrIiEEEESD_SD_SD_jNS0_19identity_decomposerENS1_16block_id_wrapperIjLb1EEEEE10hipError_tT1_PNSt15iterator_traitsISI_E10value_typeET2_T3_PNSJ_ISO_E10value_typeET4_T5_PST_SU_PNS1_23onesweep_lookback_stateEbbT6_jjT7_P12ihipStream_tbENKUlT_T0_SI_SN_E_clISD_SD_SD_SD_EEDaS11_S12_SI_SN_EUlS11_E_NS1_11comp_targetILNS1_3genE4ELNS1_11target_archE910ELNS1_3gpuE8ELNS1_3repE0EEENS1_47radix_sort_onesweep_sort_config_static_selectorELNS0_4arch9wavefront6targetE1EEEvSI_.has_dyn_sized_stack, 0
	.set _ZN7rocprim17ROCPRIM_400000_NS6detail17trampoline_kernelINS0_14default_configENS1_35radix_sort_onesweep_config_selectorIiiEEZZNS1_29radix_sort_onesweep_iterationIS3_Lb1EN6thrust23THRUST_200600_302600_NS6detail15normal_iteratorINS8_10device_ptrIiEEEESD_SD_SD_jNS0_19identity_decomposerENS1_16block_id_wrapperIjLb1EEEEE10hipError_tT1_PNSt15iterator_traitsISI_E10value_typeET2_T3_PNSJ_ISO_E10value_typeET4_T5_PST_SU_PNS1_23onesweep_lookback_stateEbbT6_jjT7_P12ihipStream_tbENKUlT_T0_SI_SN_E_clISD_SD_SD_SD_EEDaS11_S12_SI_SN_EUlS11_E_NS1_11comp_targetILNS1_3genE4ELNS1_11target_archE910ELNS1_3gpuE8ELNS1_3repE0EEENS1_47radix_sort_onesweep_sort_config_static_selectorELNS0_4arch9wavefront6targetE1EEEvSI_.has_recursion, 0
	.set _ZN7rocprim17ROCPRIM_400000_NS6detail17trampoline_kernelINS0_14default_configENS1_35radix_sort_onesweep_config_selectorIiiEEZZNS1_29radix_sort_onesweep_iterationIS3_Lb1EN6thrust23THRUST_200600_302600_NS6detail15normal_iteratorINS8_10device_ptrIiEEEESD_SD_SD_jNS0_19identity_decomposerENS1_16block_id_wrapperIjLb1EEEEE10hipError_tT1_PNSt15iterator_traitsISI_E10value_typeET2_T3_PNSJ_ISO_E10value_typeET4_T5_PST_SU_PNS1_23onesweep_lookback_stateEbbT6_jjT7_P12ihipStream_tbENKUlT_T0_SI_SN_E_clISD_SD_SD_SD_EEDaS11_S12_SI_SN_EUlS11_E_NS1_11comp_targetILNS1_3genE4ELNS1_11target_archE910ELNS1_3gpuE8ELNS1_3repE0EEENS1_47radix_sort_onesweep_sort_config_static_selectorELNS0_4arch9wavefront6targetE1EEEvSI_.has_indirect_call, 0
	.section	.AMDGPU.csdata,"",@progbits
; Kernel info:
; codeLenInByte = 0
; TotalNumSgprs: 6
; NumVgprs: 0
; NumAgprs: 0
; TotalNumVgprs: 0
; ScratchSize: 0
; MemoryBound: 0
; FloatMode: 240
; IeeeMode: 1
; LDSByteSize: 0 bytes/workgroup (compile time only)
; SGPRBlocks: 0
; VGPRBlocks: 0
; NumSGPRsForWavesPerEU: 6
; NumVGPRsForWavesPerEU: 1
; AccumOffset: 4
; Occupancy: 8
; WaveLimiterHint : 0
; COMPUTE_PGM_RSRC2:SCRATCH_EN: 0
; COMPUTE_PGM_RSRC2:USER_SGPR: 2
; COMPUTE_PGM_RSRC2:TRAP_HANDLER: 0
; COMPUTE_PGM_RSRC2:TGID_X_EN: 1
; COMPUTE_PGM_RSRC2:TGID_Y_EN: 0
; COMPUTE_PGM_RSRC2:TGID_Z_EN: 0
; COMPUTE_PGM_RSRC2:TIDIG_COMP_CNT: 0
; COMPUTE_PGM_RSRC3_GFX90A:ACCUM_OFFSET: 0
; COMPUTE_PGM_RSRC3_GFX90A:TG_SPLIT: 0
	.section	.text._ZN7rocprim17ROCPRIM_400000_NS6detail17trampoline_kernelINS0_14default_configENS1_35radix_sort_onesweep_config_selectorIiiEEZZNS1_29radix_sort_onesweep_iterationIS3_Lb1EN6thrust23THRUST_200600_302600_NS6detail15normal_iteratorINS8_10device_ptrIiEEEESD_SD_SD_jNS0_19identity_decomposerENS1_16block_id_wrapperIjLb1EEEEE10hipError_tT1_PNSt15iterator_traitsISI_E10value_typeET2_T3_PNSJ_ISO_E10value_typeET4_T5_PST_SU_PNS1_23onesweep_lookback_stateEbbT6_jjT7_P12ihipStream_tbENKUlT_T0_SI_SN_E_clISD_SD_SD_SD_EEDaS11_S12_SI_SN_EUlS11_E_NS1_11comp_targetILNS1_3genE3ELNS1_11target_archE908ELNS1_3gpuE7ELNS1_3repE0EEENS1_47radix_sort_onesweep_sort_config_static_selectorELNS0_4arch9wavefront6targetE1EEEvSI_,"axG",@progbits,_ZN7rocprim17ROCPRIM_400000_NS6detail17trampoline_kernelINS0_14default_configENS1_35radix_sort_onesweep_config_selectorIiiEEZZNS1_29radix_sort_onesweep_iterationIS3_Lb1EN6thrust23THRUST_200600_302600_NS6detail15normal_iteratorINS8_10device_ptrIiEEEESD_SD_SD_jNS0_19identity_decomposerENS1_16block_id_wrapperIjLb1EEEEE10hipError_tT1_PNSt15iterator_traitsISI_E10value_typeET2_T3_PNSJ_ISO_E10value_typeET4_T5_PST_SU_PNS1_23onesweep_lookback_stateEbbT6_jjT7_P12ihipStream_tbENKUlT_T0_SI_SN_E_clISD_SD_SD_SD_EEDaS11_S12_SI_SN_EUlS11_E_NS1_11comp_targetILNS1_3genE3ELNS1_11target_archE908ELNS1_3gpuE7ELNS1_3repE0EEENS1_47radix_sort_onesweep_sort_config_static_selectorELNS0_4arch9wavefront6targetE1EEEvSI_,comdat
	.protected	_ZN7rocprim17ROCPRIM_400000_NS6detail17trampoline_kernelINS0_14default_configENS1_35radix_sort_onesweep_config_selectorIiiEEZZNS1_29radix_sort_onesweep_iterationIS3_Lb1EN6thrust23THRUST_200600_302600_NS6detail15normal_iteratorINS8_10device_ptrIiEEEESD_SD_SD_jNS0_19identity_decomposerENS1_16block_id_wrapperIjLb1EEEEE10hipError_tT1_PNSt15iterator_traitsISI_E10value_typeET2_T3_PNSJ_ISO_E10value_typeET4_T5_PST_SU_PNS1_23onesweep_lookback_stateEbbT6_jjT7_P12ihipStream_tbENKUlT_T0_SI_SN_E_clISD_SD_SD_SD_EEDaS11_S12_SI_SN_EUlS11_E_NS1_11comp_targetILNS1_3genE3ELNS1_11target_archE908ELNS1_3gpuE7ELNS1_3repE0EEENS1_47radix_sort_onesweep_sort_config_static_selectorELNS0_4arch9wavefront6targetE1EEEvSI_ ; -- Begin function _ZN7rocprim17ROCPRIM_400000_NS6detail17trampoline_kernelINS0_14default_configENS1_35radix_sort_onesweep_config_selectorIiiEEZZNS1_29radix_sort_onesweep_iterationIS3_Lb1EN6thrust23THRUST_200600_302600_NS6detail15normal_iteratorINS8_10device_ptrIiEEEESD_SD_SD_jNS0_19identity_decomposerENS1_16block_id_wrapperIjLb1EEEEE10hipError_tT1_PNSt15iterator_traitsISI_E10value_typeET2_T3_PNSJ_ISO_E10value_typeET4_T5_PST_SU_PNS1_23onesweep_lookback_stateEbbT6_jjT7_P12ihipStream_tbENKUlT_T0_SI_SN_E_clISD_SD_SD_SD_EEDaS11_S12_SI_SN_EUlS11_E_NS1_11comp_targetILNS1_3genE3ELNS1_11target_archE908ELNS1_3gpuE7ELNS1_3repE0EEENS1_47radix_sort_onesweep_sort_config_static_selectorELNS0_4arch9wavefront6targetE1EEEvSI_
	.globl	_ZN7rocprim17ROCPRIM_400000_NS6detail17trampoline_kernelINS0_14default_configENS1_35radix_sort_onesweep_config_selectorIiiEEZZNS1_29radix_sort_onesweep_iterationIS3_Lb1EN6thrust23THRUST_200600_302600_NS6detail15normal_iteratorINS8_10device_ptrIiEEEESD_SD_SD_jNS0_19identity_decomposerENS1_16block_id_wrapperIjLb1EEEEE10hipError_tT1_PNSt15iterator_traitsISI_E10value_typeET2_T3_PNSJ_ISO_E10value_typeET4_T5_PST_SU_PNS1_23onesweep_lookback_stateEbbT6_jjT7_P12ihipStream_tbENKUlT_T0_SI_SN_E_clISD_SD_SD_SD_EEDaS11_S12_SI_SN_EUlS11_E_NS1_11comp_targetILNS1_3genE3ELNS1_11target_archE908ELNS1_3gpuE7ELNS1_3repE0EEENS1_47radix_sort_onesweep_sort_config_static_selectorELNS0_4arch9wavefront6targetE1EEEvSI_
	.p2align	8
	.type	_ZN7rocprim17ROCPRIM_400000_NS6detail17trampoline_kernelINS0_14default_configENS1_35radix_sort_onesweep_config_selectorIiiEEZZNS1_29radix_sort_onesweep_iterationIS3_Lb1EN6thrust23THRUST_200600_302600_NS6detail15normal_iteratorINS8_10device_ptrIiEEEESD_SD_SD_jNS0_19identity_decomposerENS1_16block_id_wrapperIjLb1EEEEE10hipError_tT1_PNSt15iterator_traitsISI_E10value_typeET2_T3_PNSJ_ISO_E10value_typeET4_T5_PST_SU_PNS1_23onesweep_lookback_stateEbbT6_jjT7_P12ihipStream_tbENKUlT_T0_SI_SN_E_clISD_SD_SD_SD_EEDaS11_S12_SI_SN_EUlS11_E_NS1_11comp_targetILNS1_3genE3ELNS1_11target_archE908ELNS1_3gpuE7ELNS1_3repE0EEENS1_47radix_sort_onesweep_sort_config_static_selectorELNS0_4arch9wavefront6targetE1EEEvSI_,@function
_ZN7rocprim17ROCPRIM_400000_NS6detail17trampoline_kernelINS0_14default_configENS1_35radix_sort_onesweep_config_selectorIiiEEZZNS1_29radix_sort_onesweep_iterationIS3_Lb1EN6thrust23THRUST_200600_302600_NS6detail15normal_iteratorINS8_10device_ptrIiEEEESD_SD_SD_jNS0_19identity_decomposerENS1_16block_id_wrapperIjLb1EEEEE10hipError_tT1_PNSt15iterator_traitsISI_E10value_typeET2_T3_PNSJ_ISO_E10value_typeET4_T5_PST_SU_PNS1_23onesweep_lookback_stateEbbT6_jjT7_P12ihipStream_tbENKUlT_T0_SI_SN_E_clISD_SD_SD_SD_EEDaS11_S12_SI_SN_EUlS11_E_NS1_11comp_targetILNS1_3genE3ELNS1_11target_archE908ELNS1_3gpuE7ELNS1_3repE0EEENS1_47radix_sort_onesweep_sort_config_static_selectorELNS0_4arch9wavefront6targetE1EEEvSI_: ; @_ZN7rocprim17ROCPRIM_400000_NS6detail17trampoline_kernelINS0_14default_configENS1_35radix_sort_onesweep_config_selectorIiiEEZZNS1_29radix_sort_onesweep_iterationIS3_Lb1EN6thrust23THRUST_200600_302600_NS6detail15normal_iteratorINS8_10device_ptrIiEEEESD_SD_SD_jNS0_19identity_decomposerENS1_16block_id_wrapperIjLb1EEEEE10hipError_tT1_PNSt15iterator_traitsISI_E10value_typeET2_T3_PNSJ_ISO_E10value_typeET4_T5_PST_SU_PNS1_23onesweep_lookback_stateEbbT6_jjT7_P12ihipStream_tbENKUlT_T0_SI_SN_E_clISD_SD_SD_SD_EEDaS11_S12_SI_SN_EUlS11_E_NS1_11comp_targetILNS1_3genE3ELNS1_11target_archE908ELNS1_3gpuE7ELNS1_3repE0EEENS1_47radix_sort_onesweep_sort_config_static_selectorELNS0_4arch9wavefront6targetE1EEEvSI_
; %bb.0:
	.section	.rodata,"a",@progbits
	.p2align	6, 0x0
	.amdhsa_kernel _ZN7rocprim17ROCPRIM_400000_NS6detail17trampoline_kernelINS0_14default_configENS1_35radix_sort_onesweep_config_selectorIiiEEZZNS1_29radix_sort_onesweep_iterationIS3_Lb1EN6thrust23THRUST_200600_302600_NS6detail15normal_iteratorINS8_10device_ptrIiEEEESD_SD_SD_jNS0_19identity_decomposerENS1_16block_id_wrapperIjLb1EEEEE10hipError_tT1_PNSt15iterator_traitsISI_E10value_typeET2_T3_PNSJ_ISO_E10value_typeET4_T5_PST_SU_PNS1_23onesweep_lookback_stateEbbT6_jjT7_P12ihipStream_tbENKUlT_T0_SI_SN_E_clISD_SD_SD_SD_EEDaS11_S12_SI_SN_EUlS11_E_NS1_11comp_targetILNS1_3genE3ELNS1_11target_archE908ELNS1_3gpuE7ELNS1_3repE0EEENS1_47radix_sort_onesweep_sort_config_static_selectorELNS0_4arch9wavefront6targetE1EEEvSI_
		.amdhsa_group_segment_fixed_size 0
		.amdhsa_private_segment_fixed_size 0
		.amdhsa_kernarg_size 88
		.amdhsa_user_sgpr_count 2
		.amdhsa_user_sgpr_dispatch_ptr 0
		.amdhsa_user_sgpr_queue_ptr 0
		.amdhsa_user_sgpr_kernarg_segment_ptr 1
		.amdhsa_user_sgpr_dispatch_id 0
		.amdhsa_user_sgpr_kernarg_preload_length 0
		.amdhsa_user_sgpr_kernarg_preload_offset 0
		.amdhsa_user_sgpr_private_segment_size 0
		.amdhsa_uses_dynamic_stack 0
		.amdhsa_enable_private_segment 0
		.amdhsa_system_sgpr_workgroup_id_x 1
		.amdhsa_system_sgpr_workgroup_id_y 0
		.amdhsa_system_sgpr_workgroup_id_z 0
		.amdhsa_system_sgpr_workgroup_info 0
		.amdhsa_system_vgpr_workitem_id 0
		.amdhsa_next_free_vgpr 1
		.amdhsa_next_free_sgpr 0
		.amdhsa_accum_offset 4
		.amdhsa_reserve_vcc 0
		.amdhsa_float_round_mode_32 0
		.amdhsa_float_round_mode_16_64 0
		.amdhsa_float_denorm_mode_32 3
		.amdhsa_float_denorm_mode_16_64 3
		.amdhsa_dx10_clamp 1
		.amdhsa_ieee_mode 1
		.amdhsa_fp16_overflow 0
		.amdhsa_tg_split 0
		.amdhsa_exception_fp_ieee_invalid_op 0
		.amdhsa_exception_fp_denorm_src 0
		.amdhsa_exception_fp_ieee_div_zero 0
		.amdhsa_exception_fp_ieee_overflow 0
		.amdhsa_exception_fp_ieee_underflow 0
		.amdhsa_exception_fp_ieee_inexact 0
		.amdhsa_exception_int_div_zero 0
	.end_amdhsa_kernel
	.section	.text._ZN7rocprim17ROCPRIM_400000_NS6detail17trampoline_kernelINS0_14default_configENS1_35radix_sort_onesweep_config_selectorIiiEEZZNS1_29radix_sort_onesweep_iterationIS3_Lb1EN6thrust23THRUST_200600_302600_NS6detail15normal_iteratorINS8_10device_ptrIiEEEESD_SD_SD_jNS0_19identity_decomposerENS1_16block_id_wrapperIjLb1EEEEE10hipError_tT1_PNSt15iterator_traitsISI_E10value_typeET2_T3_PNSJ_ISO_E10value_typeET4_T5_PST_SU_PNS1_23onesweep_lookback_stateEbbT6_jjT7_P12ihipStream_tbENKUlT_T0_SI_SN_E_clISD_SD_SD_SD_EEDaS11_S12_SI_SN_EUlS11_E_NS1_11comp_targetILNS1_3genE3ELNS1_11target_archE908ELNS1_3gpuE7ELNS1_3repE0EEENS1_47radix_sort_onesweep_sort_config_static_selectorELNS0_4arch9wavefront6targetE1EEEvSI_,"axG",@progbits,_ZN7rocprim17ROCPRIM_400000_NS6detail17trampoline_kernelINS0_14default_configENS1_35radix_sort_onesweep_config_selectorIiiEEZZNS1_29radix_sort_onesweep_iterationIS3_Lb1EN6thrust23THRUST_200600_302600_NS6detail15normal_iteratorINS8_10device_ptrIiEEEESD_SD_SD_jNS0_19identity_decomposerENS1_16block_id_wrapperIjLb1EEEEE10hipError_tT1_PNSt15iterator_traitsISI_E10value_typeET2_T3_PNSJ_ISO_E10value_typeET4_T5_PST_SU_PNS1_23onesweep_lookback_stateEbbT6_jjT7_P12ihipStream_tbENKUlT_T0_SI_SN_E_clISD_SD_SD_SD_EEDaS11_S12_SI_SN_EUlS11_E_NS1_11comp_targetILNS1_3genE3ELNS1_11target_archE908ELNS1_3gpuE7ELNS1_3repE0EEENS1_47radix_sort_onesweep_sort_config_static_selectorELNS0_4arch9wavefront6targetE1EEEvSI_,comdat
.Lfunc_end1842:
	.size	_ZN7rocprim17ROCPRIM_400000_NS6detail17trampoline_kernelINS0_14default_configENS1_35radix_sort_onesweep_config_selectorIiiEEZZNS1_29radix_sort_onesweep_iterationIS3_Lb1EN6thrust23THRUST_200600_302600_NS6detail15normal_iteratorINS8_10device_ptrIiEEEESD_SD_SD_jNS0_19identity_decomposerENS1_16block_id_wrapperIjLb1EEEEE10hipError_tT1_PNSt15iterator_traitsISI_E10value_typeET2_T3_PNSJ_ISO_E10value_typeET4_T5_PST_SU_PNS1_23onesweep_lookback_stateEbbT6_jjT7_P12ihipStream_tbENKUlT_T0_SI_SN_E_clISD_SD_SD_SD_EEDaS11_S12_SI_SN_EUlS11_E_NS1_11comp_targetILNS1_3genE3ELNS1_11target_archE908ELNS1_3gpuE7ELNS1_3repE0EEENS1_47radix_sort_onesweep_sort_config_static_selectorELNS0_4arch9wavefront6targetE1EEEvSI_, .Lfunc_end1842-_ZN7rocprim17ROCPRIM_400000_NS6detail17trampoline_kernelINS0_14default_configENS1_35radix_sort_onesweep_config_selectorIiiEEZZNS1_29radix_sort_onesweep_iterationIS3_Lb1EN6thrust23THRUST_200600_302600_NS6detail15normal_iteratorINS8_10device_ptrIiEEEESD_SD_SD_jNS0_19identity_decomposerENS1_16block_id_wrapperIjLb1EEEEE10hipError_tT1_PNSt15iterator_traitsISI_E10value_typeET2_T3_PNSJ_ISO_E10value_typeET4_T5_PST_SU_PNS1_23onesweep_lookback_stateEbbT6_jjT7_P12ihipStream_tbENKUlT_T0_SI_SN_E_clISD_SD_SD_SD_EEDaS11_S12_SI_SN_EUlS11_E_NS1_11comp_targetILNS1_3genE3ELNS1_11target_archE908ELNS1_3gpuE7ELNS1_3repE0EEENS1_47radix_sort_onesweep_sort_config_static_selectorELNS0_4arch9wavefront6targetE1EEEvSI_
                                        ; -- End function
	.set _ZN7rocprim17ROCPRIM_400000_NS6detail17trampoline_kernelINS0_14default_configENS1_35radix_sort_onesweep_config_selectorIiiEEZZNS1_29radix_sort_onesweep_iterationIS3_Lb1EN6thrust23THRUST_200600_302600_NS6detail15normal_iteratorINS8_10device_ptrIiEEEESD_SD_SD_jNS0_19identity_decomposerENS1_16block_id_wrapperIjLb1EEEEE10hipError_tT1_PNSt15iterator_traitsISI_E10value_typeET2_T3_PNSJ_ISO_E10value_typeET4_T5_PST_SU_PNS1_23onesweep_lookback_stateEbbT6_jjT7_P12ihipStream_tbENKUlT_T0_SI_SN_E_clISD_SD_SD_SD_EEDaS11_S12_SI_SN_EUlS11_E_NS1_11comp_targetILNS1_3genE3ELNS1_11target_archE908ELNS1_3gpuE7ELNS1_3repE0EEENS1_47radix_sort_onesweep_sort_config_static_selectorELNS0_4arch9wavefront6targetE1EEEvSI_.num_vgpr, 0
	.set _ZN7rocprim17ROCPRIM_400000_NS6detail17trampoline_kernelINS0_14default_configENS1_35radix_sort_onesweep_config_selectorIiiEEZZNS1_29radix_sort_onesweep_iterationIS3_Lb1EN6thrust23THRUST_200600_302600_NS6detail15normal_iteratorINS8_10device_ptrIiEEEESD_SD_SD_jNS0_19identity_decomposerENS1_16block_id_wrapperIjLb1EEEEE10hipError_tT1_PNSt15iterator_traitsISI_E10value_typeET2_T3_PNSJ_ISO_E10value_typeET4_T5_PST_SU_PNS1_23onesweep_lookback_stateEbbT6_jjT7_P12ihipStream_tbENKUlT_T0_SI_SN_E_clISD_SD_SD_SD_EEDaS11_S12_SI_SN_EUlS11_E_NS1_11comp_targetILNS1_3genE3ELNS1_11target_archE908ELNS1_3gpuE7ELNS1_3repE0EEENS1_47radix_sort_onesweep_sort_config_static_selectorELNS0_4arch9wavefront6targetE1EEEvSI_.num_agpr, 0
	.set _ZN7rocprim17ROCPRIM_400000_NS6detail17trampoline_kernelINS0_14default_configENS1_35radix_sort_onesweep_config_selectorIiiEEZZNS1_29radix_sort_onesweep_iterationIS3_Lb1EN6thrust23THRUST_200600_302600_NS6detail15normal_iteratorINS8_10device_ptrIiEEEESD_SD_SD_jNS0_19identity_decomposerENS1_16block_id_wrapperIjLb1EEEEE10hipError_tT1_PNSt15iterator_traitsISI_E10value_typeET2_T3_PNSJ_ISO_E10value_typeET4_T5_PST_SU_PNS1_23onesweep_lookback_stateEbbT6_jjT7_P12ihipStream_tbENKUlT_T0_SI_SN_E_clISD_SD_SD_SD_EEDaS11_S12_SI_SN_EUlS11_E_NS1_11comp_targetILNS1_3genE3ELNS1_11target_archE908ELNS1_3gpuE7ELNS1_3repE0EEENS1_47radix_sort_onesweep_sort_config_static_selectorELNS0_4arch9wavefront6targetE1EEEvSI_.numbered_sgpr, 0
	.set _ZN7rocprim17ROCPRIM_400000_NS6detail17trampoline_kernelINS0_14default_configENS1_35radix_sort_onesweep_config_selectorIiiEEZZNS1_29radix_sort_onesweep_iterationIS3_Lb1EN6thrust23THRUST_200600_302600_NS6detail15normal_iteratorINS8_10device_ptrIiEEEESD_SD_SD_jNS0_19identity_decomposerENS1_16block_id_wrapperIjLb1EEEEE10hipError_tT1_PNSt15iterator_traitsISI_E10value_typeET2_T3_PNSJ_ISO_E10value_typeET4_T5_PST_SU_PNS1_23onesweep_lookback_stateEbbT6_jjT7_P12ihipStream_tbENKUlT_T0_SI_SN_E_clISD_SD_SD_SD_EEDaS11_S12_SI_SN_EUlS11_E_NS1_11comp_targetILNS1_3genE3ELNS1_11target_archE908ELNS1_3gpuE7ELNS1_3repE0EEENS1_47radix_sort_onesweep_sort_config_static_selectorELNS0_4arch9wavefront6targetE1EEEvSI_.num_named_barrier, 0
	.set _ZN7rocprim17ROCPRIM_400000_NS6detail17trampoline_kernelINS0_14default_configENS1_35radix_sort_onesweep_config_selectorIiiEEZZNS1_29radix_sort_onesweep_iterationIS3_Lb1EN6thrust23THRUST_200600_302600_NS6detail15normal_iteratorINS8_10device_ptrIiEEEESD_SD_SD_jNS0_19identity_decomposerENS1_16block_id_wrapperIjLb1EEEEE10hipError_tT1_PNSt15iterator_traitsISI_E10value_typeET2_T3_PNSJ_ISO_E10value_typeET4_T5_PST_SU_PNS1_23onesweep_lookback_stateEbbT6_jjT7_P12ihipStream_tbENKUlT_T0_SI_SN_E_clISD_SD_SD_SD_EEDaS11_S12_SI_SN_EUlS11_E_NS1_11comp_targetILNS1_3genE3ELNS1_11target_archE908ELNS1_3gpuE7ELNS1_3repE0EEENS1_47radix_sort_onesweep_sort_config_static_selectorELNS0_4arch9wavefront6targetE1EEEvSI_.private_seg_size, 0
	.set _ZN7rocprim17ROCPRIM_400000_NS6detail17trampoline_kernelINS0_14default_configENS1_35radix_sort_onesweep_config_selectorIiiEEZZNS1_29radix_sort_onesweep_iterationIS3_Lb1EN6thrust23THRUST_200600_302600_NS6detail15normal_iteratorINS8_10device_ptrIiEEEESD_SD_SD_jNS0_19identity_decomposerENS1_16block_id_wrapperIjLb1EEEEE10hipError_tT1_PNSt15iterator_traitsISI_E10value_typeET2_T3_PNSJ_ISO_E10value_typeET4_T5_PST_SU_PNS1_23onesweep_lookback_stateEbbT6_jjT7_P12ihipStream_tbENKUlT_T0_SI_SN_E_clISD_SD_SD_SD_EEDaS11_S12_SI_SN_EUlS11_E_NS1_11comp_targetILNS1_3genE3ELNS1_11target_archE908ELNS1_3gpuE7ELNS1_3repE0EEENS1_47radix_sort_onesweep_sort_config_static_selectorELNS0_4arch9wavefront6targetE1EEEvSI_.uses_vcc, 0
	.set _ZN7rocprim17ROCPRIM_400000_NS6detail17trampoline_kernelINS0_14default_configENS1_35radix_sort_onesweep_config_selectorIiiEEZZNS1_29radix_sort_onesweep_iterationIS3_Lb1EN6thrust23THRUST_200600_302600_NS6detail15normal_iteratorINS8_10device_ptrIiEEEESD_SD_SD_jNS0_19identity_decomposerENS1_16block_id_wrapperIjLb1EEEEE10hipError_tT1_PNSt15iterator_traitsISI_E10value_typeET2_T3_PNSJ_ISO_E10value_typeET4_T5_PST_SU_PNS1_23onesweep_lookback_stateEbbT6_jjT7_P12ihipStream_tbENKUlT_T0_SI_SN_E_clISD_SD_SD_SD_EEDaS11_S12_SI_SN_EUlS11_E_NS1_11comp_targetILNS1_3genE3ELNS1_11target_archE908ELNS1_3gpuE7ELNS1_3repE0EEENS1_47radix_sort_onesweep_sort_config_static_selectorELNS0_4arch9wavefront6targetE1EEEvSI_.uses_flat_scratch, 0
	.set _ZN7rocprim17ROCPRIM_400000_NS6detail17trampoline_kernelINS0_14default_configENS1_35radix_sort_onesweep_config_selectorIiiEEZZNS1_29radix_sort_onesweep_iterationIS3_Lb1EN6thrust23THRUST_200600_302600_NS6detail15normal_iteratorINS8_10device_ptrIiEEEESD_SD_SD_jNS0_19identity_decomposerENS1_16block_id_wrapperIjLb1EEEEE10hipError_tT1_PNSt15iterator_traitsISI_E10value_typeET2_T3_PNSJ_ISO_E10value_typeET4_T5_PST_SU_PNS1_23onesweep_lookback_stateEbbT6_jjT7_P12ihipStream_tbENKUlT_T0_SI_SN_E_clISD_SD_SD_SD_EEDaS11_S12_SI_SN_EUlS11_E_NS1_11comp_targetILNS1_3genE3ELNS1_11target_archE908ELNS1_3gpuE7ELNS1_3repE0EEENS1_47radix_sort_onesweep_sort_config_static_selectorELNS0_4arch9wavefront6targetE1EEEvSI_.has_dyn_sized_stack, 0
	.set _ZN7rocprim17ROCPRIM_400000_NS6detail17trampoline_kernelINS0_14default_configENS1_35radix_sort_onesweep_config_selectorIiiEEZZNS1_29radix_sort_onesweep_iterationIS3_Lb1EN6thrust23THRUST_200600_302600_NS6detail15normal_iteratorINS8_10device_ptrIiEEEESD_SD_SD_jNS0_19identity_decomposerENS1_16block_id_wrapperIjLb1EEEEE10hipError_tT1_PNSt15iterator_traitsISI_E10value_typeET2_T3_PNSJ_ISO_E10value_typeET4_T5_PST_SU_PNS1_23onesweep_lookback_stateEbbT6_jjT7_P12ihipStream_tbENKUlT_T0_SI_SN_E_clISD_SD_SD_SD_EEDaS11_S12_SI_SN_EUlS11_E_NS1_11comp_targetILNS1_3genE3ELNS1_11target_archE908ELNS1_3gpuE7ELNS1_3repE0EEENS1_47radix_sort_onesweep_sort_config_static_selectorELNS0_4arch9wavefront6targetE1EEEvSI_.has_recursion, 0
	.set _ZN7rocprim17ROCPRIM_400000_NS6detail17trampoline_kernelINS0_14default_configENS1_35radix_sort_onesweep_config_selectorIiiEEZZNS1_29radix_sort_onesweep_iterationIS3_Lb1EN6thrust23THRUST_200600_302600_NS6detail15normal_iteratorINS8_10device_ptrIiEEEESD_SD_SD_jNS0_19identity_decomposerENS1_16block_id_wrapperIjLb1EEEEE10hipError_tT1_PNSt15iterator_traitsISI_E10value_typeET2_T3_PNSJ_ISO_E10value_typeET4_T5_PST_SU_PNS1_23onesweep_lookback_stateEbbT6_jjT7_P12ihipStream_tbENKUlT_T0_SI_SN_E_clISD_SD_SD_SD_EEDaS11_S12_SI_SN_EUlS11_E_NS1_11comp_targetILNS1_3genE3ELNS1_11target_archE908ELNS1_3gpuE7ELNS1_3repE0EEENS1_47radix_sort_onesweep_sort_config_static_selectorELNS0_4arch9wavefront6targetE1EEEvSI_.has_indirect_call, 0
	.section	.AMDGPU.csdata,"",@progbits
; Kernel info:
; codeLenInByte = 0
; TotalNumSgprs: 6
; NumVgprs: 0
; NumAgprs: 0
; TotalNumVgprs: 0
; ScratchSize: 0
; MemoryBound: 0
; FloatMode: 240
; IeeeMode: 1
; LDSByteSize: 0 bytes/workgroup (compile time only)
; SGPRBlocks: 0
; VGPRBlocks: 0
; NumSGPRsForWavesPerEU: 6
; NumVGPRsForWavesPerEU: 1
; AccumOffset: 4
; Occupancy: 8
; WaveLimiterHint : 0
; COMPUTE_PGM_RSRC2:SCRATCH_EN: 0
; COMPUTE_PGM_RSRC2:USER_SGPR: 2
; COMPUTE_PGM_RSRC2:TRAP_HANDLER: 0
; COMPUTE_PGM_RSRC2:TGID_X_EN: 1
; COMPUTE_PGM_RSRC2:TGID_Y_EN: 0
; COMPUTE_PGM_RSRC2:TGID_Z_EN: 0
; COMPUTE_PGM_RSRC2:TIDIG_COMP_CNT: 0
; COMPUTE_PGM_RSRC3_GFX90A:ACCUM_OFFSET: 0
; COMPUTE_PGM_RSRC3_GFX90A:TG_SPLIT: 0
	.section	.text._ZN7rocprim17ROCPRIM_400000_NS6detail17trampoline_kernelINS0_14default_configENS1_35radix_sort_onesweep_config_selectorIiiEEZZNS1_29radix_sort_onesweep_iterationIS3_Lb1EN6thrust23THRUST_200600_302600_NS6detail15normal_iteratorINS8_10device_ptrIiEEEESD_SD_SD_jNS0_19identity_decomposerENS1_16block_id_wrapperIjLb1EEEEE10hipError_tT1_PNSt15iterator_traitsISI_E10value_typeET2_T3_PNSJ_ISO_E10value_typeET4_T5_PST_SU_PNS1_23onesweep_lookback_stateEbbT6_jjT7_P12ihipStream_tbENKUlT_T0_SI_SN_E_clISD_SD_SD_SD_EEDaS11_S12_SI_SN_EUlS11_E_NS1_11comp_targetILNS1_3genE10ELNS1_11target_archE1201ELNS1_3gpuE5ELNS1_3repE0EEENS1_47radix_sort_onesweep_sort_config_static_selectorELNS0_4arch9wavefront6targetE1EEEvSI_,"axG",@progbits,_ZN7rocprim17ROCPRIM_400000_NS6detail17trampoline_kernelINS0_14default_configENS1_35radix_sort_onesweep_config_selectorIiiEEZZNS1_29radix_sort_onesweep_iterationIS3_Lb1EN6thrust23THRUST_200600_302600_NS6detail15normal_iteratorINS8_10device_ptrIiEEEESD_SD_SD_jNS0_19identity_decomposerENS1_16block_id_wrapperIjLb1EEEEE10hipError_tT1_PNSt15iterator_traitsISI_E10value_typeET2_T3_PNSJ_ISO_E10value_typeET4_T5_PST_SU_PNS1_23onesweep_lookback_stateEbbT6_jjT7_P12ihipStream_tbENKUlT_T0_SI_SN_E_clISD_SD_SD_SD_EEDaS11_S12_SI_SN_EUlS11_E_NS1_11comp_targetILNS1_3genE10ELNS1_11target_archE1201ELNS1_3gpuE5ELNS1_3repE0EEENS1_47radix_sort_onesweep_sort_config_static_selectorELNS0_4arch9wavefront6targetE1EEEvSI_,comdat
	.protected	_ZN7rocprim17ROCPRIM_400000_NS6detail17trampoline_kernelINS0_14default_configENS1_35radix_sort_onesweep_config_selectorIiiEEZZNS1_29radix_sort_onesweep_iterationIS3_Lb1EN6thrust23THRUST_200600_302600_NS6detail15normal_iteratorINS8_10device_ptrIiEEEESD_SD_SD_jNS0_19identity_decomposerENS1_16block_id_wrapperIjLb1EEEEE10hipError_tT1_PNSt15iterator_traitsISI_E10value_typeET2_T3_PNSJ_ISO_E10value_typeET4_T5_PST_SU_PNS1_23onesweep_lookback_stateEbbT6_jjT7_P12ihipStream_tbENKUlT_T0_SI_SN_E_clISD_SD_SD_SD_EEDaS11_S12_SI_SN_EUlS11_E_NS1_11comp_targetILNS1_3genE10ELNS1_11target_archE1201ELNS1_3gpuE5ELNS1_3repE0EEENS1_47radix_sort_onesweep_sort_config_static_selectorELNS0_4arch9wavefront6targetE1EEEvSI_ ; -- Begin function _ZN7rocprim17ROCPRIM_400000_NS6detail17trampoline_kernelINS0_14default_configENS1_35radix_sort_onesweep_config_selectorIiiEEZZNS1_29radix_sort_onesweep_iterationIS3_Lb1EN6thrust23THRUST_200600_302600_NS6detail15normal_iteratorINS8_10device_ptrIiEEEESD_SD_SD_jNS0_19identity_decomposerENS1_16block_id_wrapperIjLb1EEEEE10hipError_tT1_PNSt15iterator_traitsISI_E10value_typeET2_T3_PNSJ_ISO_E10value_typeET4_T5_PST_SU_PNS1_23onesweep_lookback_stateEbbT6_jjT7_P12ihipStream_tbENKUlT_T0_SI_SN_E_clISD_SD_SD_SD_EEDaS11_S12_SI_SN_EUlS11_E_NS1_11comp_targetILNS1_3genE10ELNS1_11target_archE1201ELNS1_3gpuE5ELNS1_3repE0EEENS1_47radix_sort_onesweep_sort_config_static_selectorELNS0_4arch9wavefront6targetE1EEEvSI_
	.globl	_ZN7rocprim17ROCPRIM_400000_NS6detail17trampoline_kernelINS0_14default_configENS1_35radix_sort_onesweep_config_selectorIiiEEZZNS1_29radix_sort_onesweep_iterationIS3_Lb1EN6thrust23THRUST_200600_302600_NS6detail15normal_iteratorINS8_10device_ptrIiEEEESD_SD_SD_jNS0_19identity_decomposerENS1_16block_id_wrapperIjLb1EEEEE10hipError_tT1_PNSt15iterator_traitsISI_E10value_typeET2_T3_PNSJ_ISO_E10value_typeET4_T5_PST_SU_PNS1_23onesweep_lookback_stateEbbT6_jjT7_P12ihipStream_tbENKUlT_T0_SI_SN_E_clISD_SD_SD_SD_EEDaS11_S12_SI_SN_EUlS11_E_NS1_11comp_targetILNS1_3genE10ELNS1_11target_archE1201ELNS1_3gpuE5ELNS1_3repE0EEENS1_47radix_sort_onesweep_sort_config_static_selectorELNS0_4arch9wavefront6targetE1EEEvSI_
	.p2align	8
	.type	_ZN7rocprim17ROCPRIM_400000_NS6detail17trampoline_kernelINS0_14default_configENS1_35radix_sort_onesweep_config_selectorIiiEEZZNS1_29radix_sort_onesweep_iterationIS3_Lb1EN6thrust23THRUST_200600_302600_NS6detail15normal_iteratorINS8_10device_ptrIiEEEESD_SD_SD_jNS0_19identity_decomposerENS1_16block_id_wrapperIjLb1EEEEE10hipError_tT1_PNSt15iterator_traitsISI_E10value_typeET2_T3_PNSJ_ISO_E10value_typeET4_T5_PST_SU_PNS1_23onesweep_lookback_stateEbbT6_jjT7_P12ihipStream_tbENKUlT_T0_SI_SN_E_clISD_SD_SD_SD_EEDaS11_S12_SI_SN_EUlS11_E_NS1_11comp_targetILNS1_3genE10ELNS1_11target_archE1201ELNS1_3gpuE5ELNS1_3repE0EEENS1_47radix_sort_onesweep_sort_config_static_selectorELNS0_4arch9wavefront6targetE1EEEvSI_,@function
_ZN7rocprim17ROCPRIM_400000_NS6detail17trampoline_kernelINS0_14default_configENS1_35radix_sort_onesweep_config_selectorIiiEEZZNS1_29radix_sort_onesweep_iterationIS3_Lb1EN6thrust23THRUST_200600_302600_NS6detail15normal_iteratorINS8_10device_ptrIiEEEESD_SD_SD_jNS0_19identity_decomposerENS1_16block_id_wrapperIjLb1EEEEE10hipError_tT1_PNSt15iterator_traitsISI_E10value_typeET2_T3_PNSJ_ISO_E10value_typeET4_T5_PST_SU_PNS1_23onesweep_lookback_stateEbbT6_jjT7_P12ihipStream_tbENKUlT_T0_SI_SN_E_clISD_SD_SD_SD_EEDaS11_S12_SI_SN_EUlS11_E_NS1_11comp_targetILNS1_3genE10ELNS1_11target_archE1201ELNS1_3gpuE5ELNS1_3repE0EEENS1_47radix_sort_onesweep_sort_config_static_selectorELNS0_4arch9wavefront6targetE1EEEvSI_: ; @_ZN7rocprim17ROCPRIM_400000_NS6detail17trampoline_kernelINS0_14default_configENS1_35radix_sort_onesweep_config_selectorIiiEEZZNS1_29radix_sort_onesweep_iterationIS3_Lb1EN6thrust23THRUST_200600_302600_NS6detail15normal_iteratorINS8_10device_ptrIiEEEESD_SD_SD_jNS0_19identity_decomposerENS1_16block_id_wrapperIjLb1EEEEE10hipError_tT1_PNSt15iterator_traitsISI_E10value_typeET2_T3_PNSJ_ISO_E10value_typeET4_T5_PST_SU_PNS1_23onesweep_lookback_stateEbbT6_jjT7_P12ihipStream_tbENKUlT_T0_SI_SN_E_clISD_SD_SD_SD_EEDaS11_S12_SI_SN_EUlS11_E_NS1_11comp_targetILNS1_3genE10ELNS1_11target_archE1201ELNS1_3gpuE5ELNS1_3repE0EEENS1_47radix_sort_onesweep_sort_config_static_selectorELNS0_4arch9wavefront6targetE1EEEvSI_
; %bb.0:
	.section	.rodata,"a",@progbits
	.p2align	6, 0x0
	.amdhsa_kernel _ZN7rocprim17ROCPRIM_400000_NS6detail17trampoline_kernelINS0_14default_configENS1_35radix_sort_onesweep_config_selectorIiiEEZZNS1_29radix_sort_onesweep_iterationIS3_Lb1EN6thrust23THRUST_200600_302600_NS6detail15normal_iteratorINS8_10device_ptrIiEEEESD_SD_SD_jNS0_19identity_decomposerENS1_16block_id_wrapperIjLb1EEEEE10hipError_tT1_PNSt15iterator_traitsISI_E10value_typeET2_T3_PNSJ_ISO_E10value_typeET4_T5_PST_SU_PNS1_23onesweep_lookback_stateEbbT6_jjT7_P12ihipStream_tbENKUlT_T0_SI_SN_E_clISD_SD_SD_SD_EEDaS11_S12_SI_SN_EUlS11_E_NS1_11comp_targetILNS1_3genE10ELNS1_11target_archE1201ELNS1_3gpuE5ELNS1_3repE0EEENS1_47radix_sort_onesweep_sort_config_static_selectorELNS0_4arch9wavefront6targetE1EEEvSI_
		.amdhsa_group_segment_fixed_size 0
		.amdhsa_private_segment_fixed_size 0
		.amdhsa_kernarg_size 88
		.amdhsa_user_sgpr_count 2
		.amdhsa_user_sgpr_dispatch_ptr 0
		.amdhsa_user_sgpr_queue_ptr 0
		.amdhsa_user_sgpr_kernarg_segment_ptr 1
		.amdhsa_user_sgpr_dispatch_id 0
		.amdhsa_user_sgpr_kernarg_preload_length 0
		.amdhsa_user_sgpr_kernarg_preload_offset 0
		.amdhsa_user_sgpr_private_segment_size 0
		.amdhsa_uses_dynamic_stack 0
		.amdhsa_enable_private_segment 0
		.amdhsa_system_sgpr_workgroup_id_x 1
		.amdhsa_system_sgpr_workgroup_id_y 0
		.amdhsa_system_sgpr_workgroup_id_z 0
		.amdhsa_system_sgpr_workgroup_info 0
		.amdhsa_system_vgpr_workitem_id 0
		.amdhsa_next_free_vgpr 1
		.amdhsa_next_free_sgpr 0
		.amdhsa_accum_offset 4
		.amdhsa_reserve_vcc 0
		.amdhsa_float_round_mode_32 0
		.amdhsa_float_round_mode_16_64 0
		.amdhsa_float_denorm_mode_32 3
		.amdhsa_float_denorm_mode_16_64 3
		.amdhsa_dx10_clamp 1
		.amdhsa_ieee_mode 1
		.amdhsa_fp16_overflow 0
		.amdhsa_tg_split 0
		.amdhsa_exception_fp_ieee_invalid_op 0
		.amdhsa_exception_fp_denorm_src 0
		.amdhsa_exception_fp_ieee_div_zero 0
		.amdhsa_exception_fp_ieee_overflow 0
		.amdhsa_exception_fp_ieee_underflow 0
		.amdhsa_exception_fp_ieee_inexact 0
		.amdhsa_exception_int_div_zero 0
	.end_amdhsa_kernel
	.section	.text._ZN7rocprim17ROCPRIM_400000_NS6detail17trampoline_kernelINS0_14default_configENS1_35radix_sort_onesweep_config_selectorIiiEEZZNS1_29radix_sort_onesweep_iterationIS3_Lb1EN6thrust23THRUST_200600_302600_NS6detail15normal_iteratorINS8_10device_ptrIiEEEESD_SD_SD_jNS0_19identity_decomposerENS1_16block_id_wrapperIjLb1EEEEE10hipError_tT1_PNSt15iterator_traitsISI_E10value_typeET2_T3_PNSJ_ISO_E10value_typeET4_T5_PST_SU_PNS1_23onesweep_lookback_stateEbbT6_jjT7_P12ihipStream_tbENKUlT_T0_SI_SN_E_clISD_SD_SD_SD_EEDaS11_S12_SI_SN_EUlS11_E_NS1_11comp_targetILNS1_3genE10ELNS1_11target_archE1201ELNS1_3gpuE5ELNS1_3repE0EEENS1_47radix_sort_onesweep_sort_config_static_selectorELNS0_4arch9wavefront6targetE1EEEvSI_,"axG",@progbits,_ZN7rocprim17ROCPRIM_400000_NS6detail17trampoline_kernelINS0_14default_configENS1_35radix_sort_onesweep_config_selectorIiiEEZZNS1_29radix_sort_onesweep_iterationIS3_Lb1EN6thrust23THRUST_200600_302600_NS6detail15normal_iteratorINS8_10device_ptrIiEEEESD_SD_SD_jNS0_19identity_decomposerENS1_16block_id_wrapperIjLb1EEEEE10hipError_tT1_PNSt15iterator_traitsISI_E10value_typeET2_T3_PNSJ_ISO_E10value_typeET4_T5_PST_SU_PNS1_23onesweep_lookback_stateEbbT6_jjT7_P12ihipStream_tbENKUlT_T0_SI_SN_E_clISD_SD_SD_SD_EEDaS11_S12_SI_SN_EUlS11_E_NS1_11comp_targetILNS1_3genE10ELNS1_11target_archE1201ELNS1_3gpuE5ELNS1_3repE0EEENS1_47radix_sort_onesweep_sort_config_static_selectorELNS0_4arch9wavefront6targetE1EEEvSI_,comdat
.Lfunc_end1843:
	.size	_ZN7rocprim17ROCPRIM_400000_NS6detail17trampoline_kernelINS0_14default_configENS1_35radix_sort_onesweep_config_selectorIiiEEZZNS1_29radix_sort_onesweep_iterationIS3_Lb1EN6thrust23THRUST_200600_302600_NS6detail15normal_iteratorINS8_10device_ptrIiEEEESD_SD_SD_jNS0_19identity_decomposerENS1_16block_id_wrapperIjLb1EEEEE10hipError_tT1_PNSt15iterator_traitsISI_E10value_typeET2_T3_PNSJ_ISO_E10value_typeET4_T5_PST_SU_PNS1_23onesweep_lookback_stateEbbT6_jjT7_P12ihipStream_tbENKUlT_T0_SI_SN_E_clISD_SD_SD_SD_EEDaS11_S12_SI_SN_EUlS11_E_NS1_11comp_targetILNS1_3genE10ELNS1_11target_archE1201ELNS1_3gpuE5ELNS1_3repE0EEENS1_47radix_sort_onesweep_sort_config_static_selectorELNS0_4arch9wavefront6targetE1EEEvSI_, .Lfunc_end1843-_ZN7rocprim17ROCPRIM_400000_NS6detail17trampoline_kernelINS0_14default_configENS1_35radix_sort_onesweep_config_selectorIiiEEZZNS1_29radix_sort_onesweep_iterationIS3_Lb1EN6thrust23THRUST_200600_302600_NS6detail15normal_iteratorINS8_10device_ptrIiEEEESD_SD_SD_jNS0_19identity_decomposerENS1_16block_id_wrapperIjLb1EEEEE10hipError_tT1_PNSt15iterator_traitsISI_E10value_typeET2_T3_PNSJ_ISO_E10value_typeET4_T5_PST_SU_PNS1_23onesweep_lookback_stateEbbT6_jjT7_P12ihipStream_tbENKUlT_T0_SI_SN_E_clISD_SD_SD_SD_EEDaS11_S12_SI_SN_EUlS11_E_NS1_11comp_targetILNS1_3genE10ELNS1_11target_archE1201ELNS1_3gpuE5ELNS1_3repE0EEENS1_47radix_sort_onesweep_sort_config_static_selectorELNS0_4arch9wavefront6targetE1EEEvSI_
                                        ; -- End function
	.set _ZN7rocprim17ROCPRIM_400000_NS6detail17trampoline_kernelINS0_14default_configENS1_35radix_sort_onesweep_config_selectorIiiEEZZNS1_29radix_sort_onesweep_iterationIS3_Lb1EN6thrust23THRUST_200600_302600_NS6detail15normal_iteratorINS8_10device_ptrIiEEEESD_SD_SD_jNS0_19identity_decomposerENS1_16block_id_wrapperIjLb1EEEEE10hipError_tT1_PNSt15iterator_traitsISI_E10value_typeET2_T3_PNSJ_ISO_E10value_typeET4_T5_PST_SU_PNS1_23onesweep_lookback_stateEbbT6_jjT7_P12ihipStream_tbENKUlT_T0_SI_SN_E_clISD_SD_SD_SD_EEDaS11_S12_SI_SN_EUlS11_E_NS1_11comp_targetILNS1_3genE10ELNS1_11target_archE1201ELNS1_3gpuE5ELNS1_3repE0EEENS1_47radix_sort_onesweep_sort_config_static_selectorELNS0_4arch9wavefront6targetE1EEEvSI_.num_vgpr, 0
	.set _ZN7rocprim17ROCPRIM_400000_NS6detail17trampoline_kernelINS0_14default_configENS1_35radix_sort_onesweep_config_selectorIiiEEZZNS1_29radix_sort_onesweep_iterationIS3_Lb1EN6thrust23THRUST_200600_302600_NS6detail15normal_iteratorINS8_10device_ptrIiEEEESD_SD_SD_jNS0_19identity_decomposerENS1_16block_id_wrapperIjLb1EEEEE10hipError_tT1_PNSt15iterator_traitsISI_E10value_typeET2_T3_PNSJ_ISO_E10value_typeET4_T5_PST_SU_PNS1_23onesweep_lookback_stateEbbT6_jjT7_P12ihipStream_tbENKUlT_T0_SI_SN_E_clISD_SD_SD_SD_EEDaS11_S12_SI_SN_EUlS11_E_NS1_11comp_targetILNS1_3genE10ELNS1_11target_archE1201ELNS1_3gpuE5ELNS1_3repE0EEENS1_47radix_sort_onesweep_sort_config_static_selectorELNS0_4arch9wavefront6targetE1EEEvSI_.num_agpr, 0
	.set _ZN7rocprim17ROCPRIM_400000_NS6detail17trampoline_kernelINS0_14default_configENS1_35radix_sort_onesweep_config_selectorIiiEEZZNS1_29radix_sort_onesweep_iterationIS3_Lb1EN6thrust23THRUST_200600_302600_NS6detail15normal_iteratorINS8_10device_ptrIiEEEESD_SD_SD_jNS0_19identity_decomposerENS1_16block_id_wrapperIjLb1EEEEE10hipError_tT1_PNSt15iterator_traitsISI_E10value_typeET2_T3_PNSJ_ISO_E10value_typeET4_T5_PST_SU_PNS1_23onesweep_lookback_stateEbbT6_jjT7_P12ihipStream_tbENKUlT_T0_SI_SN_E_clISD_SD_SD_SD_EEDaS11_S12_SI_SN_EUlS11_E_NS1_11comp_targetILNS1_3genE10ELNS1_11target_archE1201ELNS1_3gpuE5ELNS1_3repE0EEENS1_47radix_sort_onesweep_sort_config_static_selectorELNS0_4arch9wavefront6targetE1EEEvSI_.numbered_sgpr, 0
	.set _ZN7rocprim17ROCPRIM_400000_NS6detail17trampoline_kernelINS0_14default_configENS1_35radix_sort_onesweep_config_selectorIiiEEZZNS1_29radix_sort_onesweep_iterationIS3_Lb1EN6thrust23THRUST_200600_302600_NS6detail15normal_iteratorINS8_10device_ptrIiEEEESD_SD_SD_jNS0_19identity_decomposerENS1_16block_id_wrapperIjLb1EEEEE10hipError_tT1_PNSt15iterator_traitsISI_E10value_typeET2_T3_PNSJ_ISO_E10value_typeET4_T5_PST_SU_PNS1_23onesweep_lookback_stateEbbT6_jjT7_P12ihipStream_tbENKUlT_T0_SI_SN_E_clISD_SD_SD_SD_EEDaS11_S12_SI_SN_EUlS11_E_NS1_11comp_targetILNS1_3genE10ELNS1_11target_archE1201ELNS1_3gpuE5ELNS1_3repE0EEENS1_47radix_sort_onesweep_sort_config_static_selectorELNS0_4arch9wavefront6targetE1EEEvSI_.num_named_barrier, 0
	.set _ZN7rocprim17ROCPRIM_400000_NS6detail17trampoline_kernelINS0_14default_configENS1_35radix_sort_onesweep_config_selectorIiiEEZZNS1_29radix_sort_onesweep_iterationIS3_Lb1EN6thrust23THRUST_200600_302600_NS6detail15normal_iteratorINS8_10device_ptrIiEEEESD_SD_SD_jNS0_19identity_decomposerENS1_16block_id_wrapperIjLb1EEEEE10hipError_tT1_PNSt15iterator_traitsISI_E10value_typeET2_T3_PNSJ_ISO_E10value_typeET4_T5_PST_SU_PNS1_23onesweep_lookback_stateEbbT6_jjT7_P12ihipStream_tbENKUlT_T0_SI_SN_E_clISD_SD_SD_SD_EEDaS11_S12_SI_SN_EUlS11_E_NS1_11comp_targetILNS1_3genE10ELNS1_11target_archE1201ELNS1_3gpuE5ELNS1_3repE0EEENS1_47radix_sort_onesweep_sort_config_static_selectorELNS0_4arch9wavefront6targetE1EEEvSI_.private_seg_size, 0
	.set _ZN7rocprim17ROCPRIM_400000_NS6detail17trampoline_kernelINS0_14default_configENS1_35radix_sort_onesweep_config_selectorIiiEEZZNS1_29radix_sort_onesweep_iterationIS3_Lb1EN6thrust23THRUST_200600_302600_NS6detail15normal_iteratorINS8_10device_ptrIiEEEESD_SD_SD_jNS0_19identity_decomposerENS1_16block_id_wrapperIjLb1EEEEE10hipError_tT1_PNSt15iterator_traitsISI_E10value_typeET2_T3_PNSJ_ISO_E10value_typeET4_T5_PST_SU_PNS1_23onesweep_lookback_stateEbbT6_jjT7_P12ihipStream_tbENKUlT_T0_SI_SN_E_clISD_SD_SD_SD_EEDaS11_S12_SI_SN_EUlS11_E_NS1_11comp_targetILNS1_3genE10ELNS1_11target_archE1201ELNS1_3gpuE5ELNS1_3repE0EEENS1_47radix_sort_onesweep_sort_config_static_selectorELNS0_4arch9wavefront6targetE1EEEvSI_.uses_vcc, 0
	.set _ZN7rocprim17ROCPRIM_400000_NS6detail17trampoline_kernelINS0_14default_configENS1_35radix_sort_onesweep_config_selectorIiiEEZZNS1_29radix_sort_onesweep_iterationIS3_Lb1EN6thrust23THRUST_200600_302600_NS6detail15normal_iteratorINS8_10device_ptrIiEEEESD_SD_SD_jNS0_19identity_decomposerENS1_16block_id_wrapperIjLb1EEEEE10hipError_tT1_PNSt15iterator_traitsISI_E10value_typeET2_T3_PNSJ_ISO_E10value_typeET4_T5_PST_SU_PNS1_23onesweep_lookback_stateEbbT6_jjT7_P12ihipStream_tbENKUlT_T0_SI_SN_E_clISD_SD_SD_SD_EEDaS11_S12_SI_SN_EUlS11_E_NS1_11comp_targetILNS1_3genE10ELNS1_11target_archE1201ELNS1_3gpuE5ELNS1_3repE0EEENS1_47radix_sort_onesweep_sort_config_static_selectorELNS0_4arch9wavefront6targetE1EEEvSI_.uses_flat_scratch, 0
	.set _ZN7rocprim17ROCPRIM_400000_NS6detail17trampoline_kernelINS0_14default_configENS1_35radix_sort_onesweep_config_selectorIiiEEZZNS1_29radix_sort_onesweep_iterationIS3_Lb1EN6thrust23THRUST_200600_302600_NS6detail15normal_iteratorINS8_10device_ptrIiEEEESD_SD_SD_jNS0_19identity_decomposerENS1_16block_id_wrapperIjLb1EEEEE10hipError_tT1_PNSt15iterator_traitsISI_E10value_typeET2_T3_PNSJ_ISO_E10value_typeET4_T5_PST_SU_PNS1_23onesweep_lookback_stateEbbT6_jjT7_P12ihipStream_tbENKUlT_T0_SI_SN_E_clISD_SD_SD_SD_EEDaS11_S12_SI_SN_EUlS11_E_NS1_11comp_targetILNS1_3genE10ELNS1_11target_archE1201ELNS1_3gpuE5ELNS1_3repE0EEENS1_47radix_sort_onesweep_sort_config_static_selectorELNS0_4arch9wavefront6targetE1EEEvSI_.has_dyn_sized_stack, 0
	.set _ZN7rocprim17ROCPRIM_400000_NS6detail17trampoline_kernelINS0_14default_configENS1_35radix_sort_onesweep_config_selectorIiiEEZZNS1_29radix_sort_onesweep_iterationIS3_Lb1EN6thrust23THRUST_200600_302600_NS6detail15normal_iteratorINS8_10device_ptrIiEEEESD_SD_SD_jNS0_19identity_decomposerENS1_16block_id_wrapperIjLb1EEEEE10hipError_tT1_PNSt15iterator_traitsISI_E10value_typeET2_T3_PNSJ_ISO_E10value_typeET4_T5_PST_SU_PNS1_23onesweep_lookback_stateEbbT6_jjT7_P12ihipStream_tbENKUlT_T0_SI_SN_E_clISD_SD_SD_SD_EEDaS11_S12_SI_SN_EUlS11_E_NS1_11comp_targetILNS1_3genE10ELNS1_11target_archE1201ELNS1_3gpuE5ELNS1_3repE0EEENS1_47radix_sort_onesweep_sort_config_static_selectorELNS0_4arch9wavefront6targetE1EEEvSI_.has_recursion, 0
	.set _ZN7rocprim17ROCPRIM_400000_NS6detail17trampoline_kernelINS0_14default_configENS1_35radix_sort_onesweep_config_selectorIiiEEZZNS1_29radix_sort_onesweep_iterationIS3_Lb1EN6thrust23THRUST_200600_302600_NS6detail15normal_iteratorINS8_10device_ptrIiEEEESD_SD_SD_jNS0_19identity_decomposerENS1_16block_id_wrapperIjLb1EEEEE10hipError_tT1_PNSt15iterator_traitsISI_E10value_typeET2_T3_PNSJ_ISO_E10value_typeET4_T5_PST_SU_PNS1_23onesweep_lookback_stateEbbT6_jjT7_P12ihipStream_tbENKUlT_T0_SI_SN_E_clISD_SD_SD_SD_EEDaS11_S12_SI_SN_EUlS11_E_NS1_11comp_targetILNS1_3genE10ELNS1_11target_archE1201ELNS1_3gpuE5ELNS1_3repE0EEENS1_47radix_sort_onesweep_sort_config_static_selectorELNS0_4arch9wavefront6targetE1EEEvSI_.has_indirect_call, 0
	.section	.AMDGPU.csdata,"",@progbits
; Kernel info:
; codeLenInByte = 0
; TotalNumSgprs: 6
; NumVgprs: 0
; NumAgprs: 0
; TotalNumVgprs: 0
; ScratchSize: 0
; MemoryBound: 0
; FloatMode: 240
; IeeeMode: 1
; LDSByteSize: 0 bytes/workgroup (compile time only)
; SGPRBlocks: 0
; VGPRBlocks: 0
; NumSGPRsForWavesPerEU: 6
; NumVGPRsForWavesPerEU: 1
; AccumOffset: 4
; Occupancy: 8
; WaveLimiterHint : 0
; COMPUTE_PGM_RSRC2:SCRATCH_EN: 0
; COMPUTE_PGM_RSRC2:USER_SGPR: 2
; COMPUTE_PGM_RSRC2:TRAP_HANDLER: 0
; COMPUTE_PGM_RSRC2:TGID_X_EN: 1
; COMPUTE_PGM_RSRC2:TGID_Y_EN: 0
; COMPUTE_PGM_RSRC2:TGID_Z_EN: 0
; COMPUTE_PGM_RSRC2:TIDIG_COMP_CNT: 0
; COMPUTE_PGM_RSRC3_GFX90A:ACCUM_OFFSET: 0
; COMPUTE_PGM_RSRC3_GFX90A:TG_SPLIT: 0
	.section	.text._ZN7rocprim17ROCPRIM_400000_NS6detail17trampoline_kernelINS0_14default_configENS1_35radix_sort_onesweep_config_selectorIiiEEZZNS1_29radix_sort_onesweep_iterationIS3_Lb1EN6thrust23THRUST_200600_302600_NS6detail15normal_iteratorINS8_10device_ptrIiEEEESD_SD_SD_jNS0_19identity_decomposerENS1_16block_id_wrapperIjLb1EEEEE10hipError_tT1_PNSt15iterator_traitsISI_E10value_typeET2_T3_PNSJ_ISO_E10value_typeET4_T5_PST_SU_PNS1_23onesweep_lookback_stateEbbT6_jjT7_P12ihipStream_tbENKUlT_T0_SI_SN_E_clISD_SD_SD_SD_EEDaS11_S12_SI_SN_EUlS11_E_NS1_11comp_targetILNS1_3genE9ELNS1_11target_archE1100ELNS1_3gpuE3ELNS1_3repE0EEENS1_47radix_sort_onesweep_sort_config_static_selectorELNS0_4arch9wavefront6targetE1EEEvSI_,"axG",@progbits,_ZN7rocprim17ROCPRIM_400000_NS6detail17trampoline_kernelINS0_14default_configENS1_35radix_sort_onesweep_config_selectorIiiEEZZNS1_29radix_sort_onesweep_iterationIS3_Lb1EN6thrust23THRUST_200600_302600_NS6detail15normal_iteratorINS8_10device_ptrIiEEEESD_SD_SD_jNS0_19identity_decomposerENS1_16block_id_wrapperIjLb1EEEEE10hipError_tT1_PNSt15iterator_traitsISI_E10value_typeET2_T3_PNSJ_ISO_E10value_typeET4_T5_PST_SU_PNS1_23onesweep_lookback_stateEbbT6_jjT7_P12ihipStream_tbENKUlT_T0_SI_SN_E_clISD_SD_SD_SD_EEDaS11_S12_SI_SN_EUlS11_E_NS1_11comp_targetILNS1_3genE9ELNS1_11target_archE1100ELNS1_3gpuE3ELNS1_3repE0EEENS1_47radix_sort_onesweep_sort_config_static_selectorELNS0_4arch9wavefront6targetE1EEEvSI_,comdat
	.protected	_ZN7rocprim17ROCPRIM_400000_NS6detail17trampoline_kernelINS0_14default_configENS1_35radix_sort_onesweep_config_selectorIiiEEZZNS1_29radix_sort_onesweep_iterationIS3_Lb1EN6thrust23THRUST_200600_302600_NS6detail15normal_iteratorINS8_10device_ptrIiEEEESD_SD_SD_jNS0_19identity_decomposerENS1_16block_id_wrapperIjLb1EEEEE10hipError_tT1_PNSt15iterator_traitsISI_E10value_typeET2_T3_PNSJ_ISO_E10value_typeET4_T5_PST_SU_PNS1_23onesweep_lookback_stateEbbT6_jjT7_P12ihipStream_tbENKUlT_T0_SI_SN_E_clISD_SD_SD_SD_EEDaS11_S12_SI_SN_EUlS11_E_NS1_11comp_targetILNS1_3genE9ELNS1_11target_archE1100ELNS1_3gpuE3ELNS1_3repE0EEENS1_47radix_sort_onesweep_sort_config_static_selectorELNS0_4arch9wavefront6targetE1EEEvSI_ ; -- Begin function _ZN7rocprim17ROCPRIM_400000_NS6detail17trampoline_kernelINS0_14default_configENS1_35radix_sort_onesweep_config_selectorIiiEEZZNS1_29radix_sort_onesweep_iterationIS3_Lb1EN6thrust23THRUST_200600_302600_NS6detail15normal_iteratorINS8_10device_ptrIiEEEESD_SD_SD_jNS0_19identity_decomposerENS1_16block_id_wrapperIjLb1EEEEE10hipError_tT1_PNSt15iterator_traitsISI_E10value_typeET2_T3_PNSJ_ISO_E10value_typeET4_T5_PST_SU_PNS1_23onesweep_lookback_stateEbbT6_jjT7_P12ihipStream_tbENKUlT_T0_SI_SN_E_clISD_SD_SD_SD_EEDaS11_S12_SI_SN_EUlS11_E_NS1_11comp_targetILNS1_3genE9ELNS1_11target_archE1100ELNS1_3gpuE3ELNS1_3repE0EEENS1_47radix_sort_onesweep_sort_config_static_selectorELNS0_4arch9wavefront6targetE1EEEvSI_
	.globl	_ZN7rocprim17ROCPRIM_400000_NS6detail17trampoline_kernelINS0_14default_configENS1_35radix_sort_onesweep_config_selectorIiiEEZZNS1_29radix_sort_onesweep_iterationIS3_Lb1EN6thrust23THRUST_200600_302600_NS6detail15normal_iteratorINS8_10device_ptrIiEEEESD_SD_SD_jNS0_19identity_decomposerENS1_16block_id_wrapperIjLb1EEEEE10hipError_tT1_PNSt15iterator_traitsISI_E10value_typeET2_T3_PNSJ_ISO_E10value_typeET4_T5_PST_SU_PNS1_23onesweep_lookback_stateEbbT6_jjT7_P12ihipStream_tbENKUlT_T0_SI_SN_E_clISD_SD_SD_SD_EEDaS11_S12_SI_SN_EUlS11_E_NS1_11comp_targetILNS1_3genE9ELNS1_11target_archE1100ELNS1_3gpuE3ELNS1_3repE0EEENS1_47radix_sort_onesweep_sort_config_static_selectorELNS0_4arch9wavefront6targetE1EEEvSI_
	.p2align	8
	.type	_ZN7rocprim17ROCPRIM_400000_NS6detail17trampoline_kernelINS0_14default_configENS1_35radix_sort_onesweep_config_selectorIiiEEZZNS1_29radix_sort_onesweep_iterationIS3_Lb1EN6thrust23THRUST_200600_302600_NS6detail15normal_iteratorINS8_10device_ptrIiEEEESD_SD_SD_jNS0_19identity_decomposerENS1_16block_id_wrapperIjLb1EEEEE10hipError_tT1_PNSt15iterator_traitsISI_E10value_typeET2_T3_PNSJ_ISO_E10value_typeET4_T5_PST_SU_PNS1_23onesweep_lookback_stateEbbT6_jjT7_P12ihipStream_tbENKUlT_T0_SI_SN_E_clISD_SD_SD_SD_EEDaS11_S12_SI_SN_EUlS11_E_NS1_11comp_targetILNS1_3genE9ELNS1_11target_archE1100ELNS1_3gpuE3ELNS1_3repE0EEENS1_47radix_sort_onesweep_sort_config_static_selectorELNS0_4arch9wavefront6targetE1EEEvSI_,@function
_ZN7rocprim17ROCPRIM_400000_NS6detail17trampoline_kernelINS0_14default_configENS1_35radix_sort_onesweep_config_selectorIiiEEZZNS1_29radix_sort_onesweep_iterationIS3_Lb1EN6thrust23THRUST_200600_302600_NS6detail15normal_iteratorINS8_10device_ptrIiEEEESD_SD_SD_jNS0_19identity_decomposerENS1_16block_id_wrapperIjLb1EEEEE10hipError_tT1_PNSt15iterator_traitsISI_E10value_typeET2_T3_PNSJ_ISO_E10value_typeET4_T5_PST_SU_PNS1_23onesweep_lookback_stateEbbT6_jjT7_P12ihipStream_tbENKUlT_T0_SI_SN_E_clISD_SD_SD_SD_EEDaS11_S12_SI_SN_EUlS11_E_NS1_11comp_targetILNS1_3genE9ELNS1_11target_archE1100ELNS1_3gpuE3ELNS1_3repE0EEENS1_47radix_sort_onesweep_sort_config_static_selectorELNS0_4arch9wavefront6targetE1EEEvSI_: ; @_ZN7rocprim17ROCPRIM_400000_NS6detail17trampoline_kernelINS0_14default_configENS1_35radix_sort_onesweep_config_selectorIiiEEZZNS1_29radix_sort_onesweep_iterationIS3_Lb1EN6thrust23THRUST_200600_302600_NS6detail15normal_iteratorINS8_10device_ptrIiEEEESD_SD_SD_jNS0_19identity_decomposerENS1_16block_id_wrapperIjLb1EEEEE10hipError_tT1_PNSt15iterator_traitsISI_E10value_typeET2_T3_PNSJ_ISO_E10value_typeET4_T5_PST_SU_PNS1_23onesweep_lookback_stateEbbT6_jjT7_P12ihipStream_tbENKUlT_T0_SI_SN_E_clISD_SD_SD_SD_EEDaS11_S12_SI_SN_EUlS11_E_NS1_11comp_targetILNS1_3genE9ELNS1_11target_archE1100ELNS1_3gpuE3ELNS1_3repE0EEENS1_47radix_sort_onesweep_sort_config_static_selectorELNS0_4arch9wavefront6targetE1EEEvSI_
; %bb.0:
	.section	.rodata,"a",@progbits
	.p2align	6, 0x0
	.amdhsa_kernel _ZN7rocprim17ROCPRIM_400000_NS6detail17trampoline_kernelINS0_14default_configENS1_35radix_sort_onesweep_config_selectorIiiEEZZNS1_29radix_sort_onesweep_iterationIS3_Lb1EN6thrust23THRUST_200600_302600_NS6detail15normal_iteratorINS8_10device_ptrIiEEEESD_SD_SD_jNS0_19identity_decomposerENS1_16block_id_wrapperIjLb1EEEEE10hipError_tT1_PNSt15iterator_traitsISI_E10value_typeET2_T3_PNSJ_ISO_E10value_typeET4_T5_PST_SU_PNS1_23onesweep_lookback_stateEbbT6_jjT7_P12ihipStream_tbENKUlT_T0_SI_SN_E_clISD_SD_SD_SD_EEDaS11_S12_SI_SN_EUlS11_E_NS1_11comp_targetILNS1_3genE9ELNS1_11target_archE1100ELNS1_3gpuE3ELNS1_3repE0EEENS1_47radix_sort_onesweep_sort_config_static_selectorELNS0_4arch9wavefront6targetE1EEEvSI_
		.amdhsa_group_segment_fixed_size 0
		.amdhsa_private_segment_fixed_size 0
		.amdhsa_kernarg_size 88
		.amdhsa_user_sgpr_count 2
		.amdhsa_user_sgpr_dispatch_ptr 0
		.amdhsa_user_sgpr_queue_ptr 0
		.amdhsa_user_sgpr_kernarg_segment_ptr 1
		.amdhsa_user_sgpr_dispatch_id 0
		.amdhsa_user_sgpr_kernarg_preload_length 0
		.amdhsa_user_sgpr_kernarg_preload_offset 0
		.amdhsa_user_sgpr_private_segment_size 0
		.amdhsa_uses_dynamic_stack 0
		.amdhsa_enable_private_segment 0
		.amdhsa_system_sgpr_workgroup_id_x 1
		.amdhsa_system_sgpr_workgroup_id_y 0
		.amdhsa_system_sgpr_workgroup_id_z 0
		.amdhsa_system_sgpr_workgroup_info 0
		.amdhsa_system_vgpr_workitem_id 0
		.amdhsa_next_free_vgpr 1
		.amdhsa_next_free_sgpr 0
		.amdhsa_accum_offset 4
		.amdhsa_reserve_vcc 0
		.amdhsa_float_round_mode_32 0
		.amdhsa_float_round_mode_16_64 0
		.amdhsa_float_denorm_mode_32 3
		.amdhsa_float_denorm_mode_16_64 3
		.amdhsa_dx10_clamp 1
		.amdhsa_ieee_mode 1
		.amdhsa_fp16_overflow 0
		.amdhsa_tg_split 0
		.amdhsa_exception_fp_ieee_invalid_op 0
		.amdhsa_exception_fp_denorm_src 0
		.amdhsa_exception_fp_ieee_div_zero 0
		.amdhsa_exception_fp_ieee_overflow 0
		.amdhsa_exception_fp_ieee_underflow 0
		.amdhsa_exception_fp_ieee_inexact 0
		.amdhsa_exception_int_div_zero 0
	.end_amdhsa_kernel
	.section	.text._ZN7rocprim17ROCPRIM_400000_NS6detail17trampoline_kernelINS0_14default_configENS1_35radix_sort_onesweep_config_selectorIiiEEZZNS1_29radix_sort_onesweep_iterationIS3_Lb1EN6thrust23THRUST_200600_302600_NS6detail15normal_iteratorINS8_10device_ptrIiEEEESD_SD_SD_jNS0_19identity_decomposerENS1_16block_id_wrapperIjLb1EEEEE10hipError_tT1_PNSt15iterator_traitsISI_E10value_typeET2_T3_PNSJ_ISO_E10value_typeET4_T5_PST_SU_PNS1_23onesweep_lookback_stateEbbT6_jjT7_P12ihipStream_tbENKUlT_T0_SI_SN_E_clISD_SD_SD_SD_EEDaS11_S12_SI_SN_EUlS11_E_NS1_11comp_targetILNS1_3genE9ELNS1_11target_archE1100ELNS1_3gpuE3ELNS1_3repE0EEENS1_47radix_sort_onesweep_sort_config_static_selectorELNS0_4arch9wavefront6targetE1EEEvSI_,"axG",@progbits,_ZN7rocprim17ROCPRIM_400000_NS6detail17trampoline_kernelINS0_14default_configENS1_35radix_sort_onesweep_config_selectorIiiEEZZNS1_29radix_sort_onesweep_iterationIS3_Lb1EN6thrust23THRUST_200600_302600_NS6detail15normal_iteratorINS8_10device_ptrIiEEEESD_SD_SD_jNS0_19identity_decomposerENS1_16block_id_wrapperIjLb1EEEEE10hipError_tT1_PNSt15iterator_traitsISI_E10value_typeET2_T3_PNSJ_ISO_E10value_typeET4_T5_PST_SU_PNS1_23onesweep_lookback_stateEbbT6_jjT7_P12ihipStream_tbENKUlT_T0_SI_SN_E_clISD_SD_SD_SD_EEDaS11_S12_SI_SN_EUlS11_E_NS1_11comp_targetILNS1_3genE9ELNS1_11target_archE1100ELNS1_3gpuE3ELNS1_3repE0EEENS1_47radix_sort_onesweep_sort_config_static_selectorELNS0_4arch9wavefront6targetE1EEEvSI_,comdat
.Lfunc_end1844:
	.size	_ZN7rocprim17ROCPRIM_400000_NS6detail17trampoline_kernelINS0_14default_configENS1_35radix_sort_onesweep_config_selectorIiiEEZZNS1_29radix_sort_onesweep_iterationIS3_Lb1EN6thrust23THRUST_200600_302600_NS6detail15normal_iteratorINS8_10device_ptrIiEEEESD_SD_SD_jNS0_19identity_decomposerENS1_16block_id_wrapperIjLb1EEEEE10hipError_tT1_PNSt15iterator_traitsISI_E10value_typeET2_T3_PNSJ_ISO_E10value_typeET4_T5_PST_SU_PNS1_23onesweep_lookback_stateEbbT6_jjT7_P12ihipStream_tbENKUlT_T0_SI_SN_E_clISD_SD_SD_SD_EEDaS11_S12_SI_SN_EUlS11_E_NS1_11comp_targetILNS1_3genE9ELNS1_11target_archE1100ELNS1_3gpuE3ELNS1_3repE0EEENS1_47radix_sort_onesweep_sort_config_static_selectorELNS0_4arch9wavefront6targetE1EEEvSI_, .Lfunc_end1844-_ZN7rocprim17ROCPRIM_400000_NS6detail17trampoline_kernelINS0_14default_configENS1_35radix_sort_onesweep_config_selectorIiiEEZZNS1_29radix_sort_onesweep_iterationIS3_Lb1EN6thrust23THRUST_200600_302600_NS6detail15normal_iteratorINS8_10device_ptrIiEEEESD_SD_SD_jNS0_19identity_decomposerENS1_16block_id_wrapperIjLb1EEEEE10hipError_tT1_PNSt15iterator_traitsISI_E10value_typeET2_T3_PNSJ_ISO_E10value_typeET4_T5_PST_SU_PNS1_23onesweep_lookback_stateEbbT6_jjT7_P12ihipStream_tbENKUlT_T0_SI_SN_E_clISD_SD_SD_SD_EEDaS11_S12_SI_SN_EUlS11_E_NS1_11comp_targetILNS1_3genE9ELNS1_11target_archE1100ELNS1_3gpuE3ELNS1_3repE0EEENS1_47radix_sort_onesweep_sort_config_static_selectorELNS0_4arch9wavefront6targetE1EEEvSI_
                                        ; -- End function
	.set _ZN7rocprim17ROCPRIM_400000_NS6detail17trampoline_kernelINS0_14default_configENS1_35radix_sort_onesweep_config_selectorIiiEEZZNS1_29radix_sort_onesweep_iterationIS3_Lb1EN6thrust23THRUST_200600_302600_NS6detail15normal_iteratorINS8_10device_ptrIiEEEESD_SD_SD_jNS0_19identity_decomposerENS1_16block_id_wrapperIjLb1EEEEE10hipError_tT1_PNSt15iterator_traitsISI_E10value_typeET2_T3_PNSJ_ISO_E10value_typeET4_T5_PST_SU_PNS1_23onesweep_lookback_stateEbbT6_jjT7_P12ihipStream_tbENKUlT_T0_SI_SN_E_clISD_SD_SD_SD_EEDaS11_S12_SI_SN_EUlS11_E_NS1_11comp_targetILNS1_3genE9ELNS1_11target_archE1100ELNS1_3gpuE3ELNS1_3repE0EEENS1_47radix_sort_onesweep_sort_config_static_selectorELNS0_4arch9wavefront6targetE1EEEvSI_.num_vgpr, 0
	.set _ZN7rocprim17ROCPRIM_400000_NS6detail17trampoline_kernelINS0_14default_configENS1_35radix_sort_onesweep_config_selectorIiiEEZZNS1_29radix_sort_onesweep_iterationIS3_Lb1EN6thrust23THRUST_200600_302600_NS6detail15normal_iteratorINS8_10device_ptrIiEEEESD_SD_SD_jNS0_19identity_decomposerENS1_16block_id_wrapperIjLb1EEEEE10hipError_tT1_PNSt15iterator_traitsISI_E10value_typeET2_T3_PNSJ_ISO_E10value_typeET4_T5_PST_SU_PNS1_23onesweep_lookback_stateEbbT6_jjT7_P12ihipStream_tbENKUlT_T0_SI_SN_E_clISD_SD_SD_SD_EEDaS11_S12_SI_SN_EUlS11_E_NS1_11comp_targetILNS1_3genE9ELNS1_11target_archE1100ELNS1_3gpuE3ELNS1_3repE0EEENS1_47radix_sort_onesweep_sort_config_static_selectorELNS0_4arch9wavefront6targetE1EEEvSI_.num_agpr, 0
	.set _ZN7rocprim17ROCPRIM_400000_NS6detail17trampoline_kernelINS0_14default_configENS1_35radix_sort_onesweep_config_selectorIiiEEZZNS1_29radix_sort_onesweep_iterationIS3_Lb1EN6thrust23THRUST_200600_302600_NS6detail15normal_iteratorINS8_10device_ptrIiEEEESD_SD_SD_jNS0_19identity_decomposerENS1_16block_id_wrapperIjLb1EEEEE10hipError_tT1_PNSt15iterator_traitsISI_E10value_typeET2_T3_PNSJ_ISO_E10value_typeET4_T5_PST_SU_PNS1_23onesweep_lookback_stateEbbT6_jjT7_P12ihipStream_tbENKUlT_T0_SI_SN_E_clISD_SD_SD_SD_EEDaS11_S12_SI_SN_EUlS11_E_NS1_11comp_targetILNS1_3genE9ELNS1_11target_archE1100ELNS1_3gpuE3ELNS1_3repE0EEENS1_47radix_sort_onesweep_sort_config_static_selectorELNS0_4arch9wavefront6targetE1EEEvSI_.numbered_sgpr, 0
	.set _ZN7rocprim17ROCPRIM_400000_NS6detail17trampoline_kernelINS0_14default_configENS1_35radix_sort_onesweep_config_selectorIiiEEZZNS1_29radix_sort_onesweep_iterationIS3_Lb1EN6thrust23THRUST_200600_302600_NS6detail15normal_iteratorINS8_10device_ptrIiEEEESD_SD_SD_jNS0_19identity_decomposerENS1_16block_id_wrapperIjLb1EEEEE10hipError_tT1_PNSt15iterator_traitsISI_E10value_typeET2_T3_PNSJ_ISO_E10value_typeET4_T5_PST_SU_PNS1_23onesweep_lookback_stateEbbT6_jjT7_P12ihipStream_tbENKUlT_T0_SI_SN_E_clISD_SD_SD_SD_EEDaS11_S12_SI_SN_EUlS11_E_NS1_11comp_targetILNS1_3genE9ELNS1_11target_archE1100ELNS1_3gpuE3ELNS1_3repE0EEENS1_47radix_sort_onesweep_sort_config_static_selectorELNS0_4arch9wavefront6targetE1EEEvSI_.num_named_barrier, 0
	.set _ZN7rocprim17ROCPRIM_400000_NS6detail17trampoline_kernelINS0_14default_configENS1_35radix_sort_onesweep_config_selectorIiiEEZZNS1_29radix_sort_onesweep_iterationIS3_Lb1EN6thrust23THRUST_200600_302600_NS6detail15normal_iteratorINS8_10device_ptrIiEEEESD_SD_SD_jNS0_19identity_decomposerENS1_16block_id_wrapperIjLb1EEEEE10hipError_tT1_PNSt15iterator_traitsISI_E10value_typeET2_T3_PNSJ_ISO_E10value_typeET4_T5_PST_SU_PNS1_23onesweep_lookback_stateEbbT6_jjT7_P12ihipStream_tbENKUlT_T0_SI_SN_E_clISD_SD_SD_SD_EEDaS11_S12_SI_SN_EUlS11_E_NS1_11comp_targetILNS1_3genE9ELNS1_11target_archE1100ELNS1_3gpuE3ELNS1_3repE0EEENS1_47radix_sort_onesweep_sort_config_static_selectorELNS0_4arch9wavefront6targetE1EEEvSI_.private_seg_size, 0
	.set _ZN7rocprim17ROCPRIM_400000_NS6detail17trampoline_kernelINS0_14default_configENS1_35radix_sort_onesweep_config_selectorIiiEEZZNS1_29radix_sort_onesweep_iterationIS3_Lb1EN6thrust23THRUST_200600_302600_NS6detail15normal_iteratorINS8_10device_ptrIiEEEESD_SD_SD_jNS0_19identity_decomposerENS1_16block_id_wrapperIjLb1EEEEE10hipError_tT1_PNSt15iterator_traitsISI_E10value_typeET2_T3_PNSJ_ISO_E10value_typeET4_T5_PST_SU_PNS1_23onesweep_lookback_stateEbbT6_jjT7_P12ihipStream_tbENKUlT_T0_SI_SN_E_clISD_SD_SD_SD_EEDaS11_S12_SI_SN_EUlS11_E_NS1_11comp_targetILNS1_3genE9ELNS1_11target_archE1100ELNS1_3gpuE3ELNS1_3repE0EEENS1_47radix_sort_onesweep_sort_config_static_selectorELNS0_4arch9wavefront6targetE1EEEvSI_.uses_vcc, 0
	.set _ZN7rocprim17ROCPRIM_400000_NS6detail17trampoline_kernelINS0_14default_configENS1_35radix_sort_onesweep_config_selectorIiiEEZZNS1_29radix_sort_onesweep_iterationIS3_Lb1EN6thrust23THRUST_200600_302600_NS6detail15normal_iteratorINS8_10device_ptrIiEEEESD_SD_SD_jNS0_19identity_decomposerENS1_16block_id_wrapperIjLb1EEEEE10hipError_tT1_PNSt15iterator_traitsISI_E10value_typeET2_T3_PNSJ_ISO_E10value_typeET4_T5_PST_SU_PNS1_23onesweep_lookback_stateEbbT6_jjT7_P12ihipStream_tbENKUlT_T0_SI_SN_E_clISD_SD_SD_SD_EEDaS11_S12_SI_SN_EUlS11_E_NS1_11comp_targetILNS1_3genE9ELNS1_11target_archE1100ELNS1_3gpuE3ELNS1_3repE0EEENS1_47radix_sort_onesweep_sort_config_static_selectorELNS0_4arch9wavefront6targetE1EEEvSI_.uses_flat_scratch, 0
	.set _ZN7rocprim17ROCPRIM_400000_NS6detail17trampoline_kernelINS0_14default_configENS1_35radix_sort_onesweep_config_selectorIiiEEZZNS1_29radix_sort_onesweep_iterationIS3_Lb1EN6thrust23THRUST_200600_302600_NS6detail15normal_iteratorINS8_10device_ptrIiEEEESD_SD_SD_jNS0_19identity_decomposerENS1_16block_id_wrapperIjLb1EEEEE10hipError_tT1_PNSt15iterator_traitsISI_E10value_typeET2_T3_PNSJ_ISO_E10value_typeET4_T5_PST_SU_PNS1_23onesweep_lookback_stateEbbT6_jjT7_P12ihipStream_tbENKUlT_T0_SI_SN_E_clISD_SD_SD_SD_EEDaS11_S12_SI_SN_EUlS11_E_NS1_11comp_targetILNS1_3genE9ELNS1_11target_archE1100ELNS1_3gpuE3ELNS1_3repE0EEENS1_47radix_sort_onesweep_sort_config_static_selectorELNS0_4arch9wavefront6targetE1EEEvSI_.has_dyn_sized_stack, 0
	.set _ZN7rocprim17ROCPRIM_400000_NS6detail17trampoline_kernelINS0_14default_configENS1_35radix_sort_onesweep_config_selectorIiiEEZZNS1_29radix_sort_onesweep_iterationIS3_Lb1EN6thrust23THRUST_200600_302600_NS6detail15normal_iteratorINS8_10device_ptrIiEEEESD_SD_SD_jNS0_19identity_decomposerENS1_16block_id_wrapperIjLb1EEEEE10hipError_tT1_PNSt15iterator_traitsISI_E10value_typeET2_T3_PNSJ_ISO_E10value_typeET4_T5_PST_SU_PNS1_23onesweep_lookback_stateEbbT6_jjT7_P12ihipStream_tbENKUlT_T0_SI_SN_E_clISD_SD_SD_SD_EEDaS11_S12_SI_SN_EUlS11_E_NS1_11comp_targetILNS1_3genE9ELNS1_11target_archE1100ELNS1_3gpuE3ELNS1_3repE0EEENS1_47radix_sort_onesweep_sort_config_static_selectorELNS0_4arch9wavefront6targetE1EEEvSI_.has_recursion, 0
	.set _ZN7rocprim17ROCPRIM_400000_NS6detail17trampoline_kernelINS0_14default_configENS1_35radix_sort_onesweep_config_selectorIiiEEZZNS1_29radix_sort_onesweep_iterationIS3_Lb1EN6thrust23THRUST_200600_302600_NS6detail15normal_iteratorINS8_10device_ptrIiEEEESD_SD_SD_jNS0_19identity_decomposerENS1_16block_id_wrapperIjLb1EEEEE10hipError_tT1_PNSt15iterator_traitsISI_E10value_typeET2_T3_PNSJ_ISO_E10value_typeET4_T5_PST_SU_PNS1_23onesweep_lookback_stateEbbT6_jjT7_P12ihipStream_tbENKUlT_T0_SI_SN_E_clISD_SD_SD_SD_EEDaS11_S12_SI_SN_EUlS11_E_NS1_11comp_targetILNS1_3genE9ELNS1_11target_archE1100ELNS1_3gpuE3ELNS1_3repE0EEENS1_47radix_sort_onesweep_sort_config_static_selectorELNS0_4arch9wavefront6targetE1EEEvSI_.has_indirect_call, 0
	.section	.AMDGPU.csdata,"",@progbits
; Kernel info:
; codeLenInByte = 0
; TotalNumSgprs: 6
; NumVgprs: 0
; NumAgprs: 0
; TotalNumVgprs: 0
; ScratchSize: 0
; MemoryBound: 0
; FloatMode: 240
; IeeeMode: 1
; LDSByteSize: 0 bytes/workgroup (compile time only)
; SGPRBlocks: 0
; VGPRBlocks: 0
; NumSGPRsForWavesPerEU: 6
; NumVGPRsForWavesPerEU: 1
; AccumOffset: 4
; Occupancy: 8
; WaveLimiterHint : 0
; COMPUTE_PGM_RSRC2:SCRATCH_EN: 0
; COMPUTE_PGM_RSRC2:USER_SGPR: 2
; COMPUTE_PGM_RSRC2:TRAP_HANDLER: 0
; COMPUTE_PGM_RSRC2:TGID_X_EN: 1
; COMPUTE_PGM_RSRC2:TGID_Y_EN: 0
; COMPUTE_PGM_RSRC2:TGID_Z_EN: 0
; COMPUTE_PGM_RSRC2:TIDIG_COMP_CNT: 0
; COMPUTE_PGM_RSRC3_GFX90A:ACCUM_OFFSET: 0
; COMPUTE_PGM_RSRC3_GFX90A:TG_SPLIT: 0
	.section	.text._ZN7rocprim17ROCPRIM_400000_NS6detail17trampoline_kernelINS0_14default_configENS1_35radix_sort_onesweep_config_selectorIiiEEZZNS1_29radix_sort_onesweep_iterationIS3_Lb1EN6thrust23THRUST_200600_302600_NS6detail15normal_iteratorINS8_10device_ptrIiEEEESD_SD_SD_jNS0_19identity_decomposerENS1_16block_id_wrapperIjLb1EEEEE10hipError_tT1_PNSt15iterator_traitsISI_E10value_typeET2_T3_PNSJ_ISO_E10value_typeET4_T5_PST_SU_PNS1_23onesweep_lookback_stateEbbT6_jjT7_P12ihipStream_tbENKUlT_T0_SI_SN_E_clISD_SD_SD_SD_EEDaS11_S12_SI_SN_EUlS11_E_NS1_11comp_targetILNS1_3genE8ELNS1_11target_archE1030ELNS1_3gpuE2ELNS1_3repE0EEENS1_47radix_sort_onesweep_sort_config_static_selectorELNS0_4arch9wavefront6targetE1EEEvSI_,"axG",@progbits,_ZN7rocprim17ROCPRIM_400000_NS6detail17trampoline_kernelINS0_14default_configENS1_35radix_sort_onesweep_config_selectorIiiEEZZNS1_29radix_sort_onesweep_iterationIS3_Lb1EN6thrust23THRUST_200600_302600_NS6detail15normal_iteratorINS8_10device_ptrIiEEEESD_SD_SD_jNS0_19identity_decomposerENS1_16block_id_wrapperIjLb1EEEEE10hipError_tT1_PNSt15iterator_traitsISI_E10value_typeET2_T3_PNSJ_ISO_E10value_typeET4_T5_PST_SU_PNS1_23onesweep_lookback_stateEbbT6_jjT7_P12ihipStream_tbENKUlT_T0_SI_SN_E_clISD_SD_SD_SD_EEDaS11_S12_SI_SN_EUlS11_E_NS1_11comp_targetILNS1_3genE8ELNS1_11target_archE1030ELNS1_3gpuE2ELNS1_3repE0EEENS1_47radix_sort_onesweep_sort_config_static_selectorELNS0_4arch9wavefront6targetE1EEEvSI_,comdat
	.protected	_ZN7rocprim17ROCPRIM_400000_NS6detail17trampoline_kernelINS0_14default_configENS1_35radix_sort_onesweep_config_selectorIiiEEZZNS1_29radix_sort_onesweep_iterationIS3_Lb1EN6thrust23THRUST_200600_302600_NS6detail15normal_iteratorINS8_10device_ptrIiEEEESD_SD_SD_jNS0_19identity_decomposerENS1_16block_id_wrapperIjLb1EEEEE10hipError_tT1_PNSt15iterator_traitsISI_E10value_typeET2_T3_PNSJ_ISO_E10value_typeET4_T5_PST_SU_PNS1_23onesweep_lookback_stateEbbT6_jjT7_P12ihipStream_tbENKUlT_T0_SI_SN_E_clISD_SD_SD_SD_EEDaS11_S12_SI_SN_EUlS11_E_NS1_11comp_targetILNS1_3genE8ELNS1_11target_archE1030ELNS1_3gpuE2ELNS1_3repE0EEENS1_47radix_sort_onesweep_sort_config_static_selectorELNS0_4arch9wavefront6targetE1EEEvSI_ ; -- Begin function _ZN7rocprim17ROCPRIM_400000_NS6detail17trampoline_kernelINS0_14default_configENS1_35radix_sort_onesweep_config_selectorIiiEEZZNS1_29radix_sort_onesweep_iterationIS3_Lb1EN6thrust23THRUST_200600_302600_NS6detail15normal_iteratorINS8_10device_ptrIiEEEESD_SD_SD_jNS0_19identity_decomposerENS1_16block_id_wrapperIjLb1EEEEE10hipError_tT1_PNSt15iterator_traitsISI_E10value_typeET2_T3_PNSJ_ISO_E10value_typeET4_T5_PST_SU_PNS1_23onesweep_lookback_stateEbbT6_jjT7_P12ihipStream_tbENKUlT_T0_SI_SN_E_clISD_SD_SD_SD_EEDaS11_S12_SI_SN_EUlS11_E_NS1_11comp_targetILNS1_3genE8ELNS1_11target_archE1030ELNS1_3gpuE2ELNS1_3repE0EEENS1_47radix_sort_onesweep_sort_config_static_selectorELNS0_4arch9wavefront6targetE1EEEvSI_
	.globl	_ZN7rocprim17ROCPRIM_400000_NS6detail17trampoline_kernelINS0_14default_configENS1_35radix_sort_onesweep_config_selectorIiiEEZZNS1_29radix_sort_onesweep_iterationIS3_Lb1EN6thrust23THRUST_200600_302600_NS6detail15normal_iteratorINS8_10device_ptrIiEEEESD_SD_SD_jNS0_19identity_decomposerENS1_16block_id_wrapperIjLb1EEEEE10hipError_tT1_PNSt15iterator_traitsISI_E10value_typeET2_T3_PNSJ_ISO_E10value_typeET4_T5_PST_SU_PNS1_23onesweep_lookback_stateEbbT6_jjT7_P12ihipStream_tbENKUlT_T0_SI_SN_E_clISD_SD_SD_SD_EEDaS11_S12_SI_SN_EUlS11_E_NS1_11comp_targetILNS1_3genE8ELNS1_11target_archE1030ELNS1_3gpuE2ELNS1_3repE0EEENS1_47radix_sort_onesweep_sort_config_static_selectorELNS0_4arch9wavefront6targetE1EEEvSI_
	.p2align	8
	.type	_ZN7rocprim17ROCPRIM_400000_NS6detail17trampoline_kernelINS0_14default_configENS1_35radix_sort_onesweep_config_selectorIiiEEZZNS1_29radix_sort_onesweep_iterationIS3_Lb1EN6thrust23THRUST_200600_302600_NS6detail15normal_iteratorINS8_10device_ptrIiEEEESD_SD_SD_jNS0_19identity_decomposerENS1_16block_id_wrapperIjLb1EEEEE10hipError_tT1_PNSt15iterator_traitsISI_E10value_typeET2_T3_PNSJ_ISO_E10value_typeET4_T5_PST_SU_PNS1_23onesweep_lookback_stateEbbT6_jjT7_P12ihipStream_tbENKUlT_T0_SI_SN_E_clISD_SD_SD_SD_EEDaS11_S12_SI_SN_EUlS11_E_NS1_11comp_targetILNS1_3genE8ELNS1_11target_archE1030ELNS1_3gpuE2ELNS1_3repE0EEENS1_47radix_sort_onesweep_sort_config_static_selectorELNS0_4arch9wavefront6targetE1EEEvSI_,@function
_ZN7rocprim17ROCPRIM_400000_NS6detail17trampoline_kernelINS0_14default_configENS1_35radix_sort_onesweep_config_selectorIiiEEZZNS1_29radix_sort_onesweep_iterationIS3_Lb1EN6thrust23THRUST_200600_302600_NS6detail15normal_iteratorINS8_10device_ptrIiEEEESD_SD_SD_jNS0_19identity_decomposerENS1_16block_id_wrapperIjLb1EEEEE10hipError_tT1_PNSt15iterator_traitsISI_E10value_typeET2_T3_PNSJ_ISO_E10value_typeET4_T5_PST_SU_PNS1_23onesweep_lookback_stateEbbT6_jjT7_P12ihipStream_tbENKUlT_T0_SI_SN_E_clISD_SD_SD_SD_EEDaS11_S12_SI_SN_EUlS11_E_NS1_11comp_targetILNS1_3genE8ELNS1_11target_archE1030ELNS1_3gpuE2ELNS1_3repE0EEENS1_47radix_sort_onesweep_sort_config_static_selectorELNS0_4arch9wavefront6targetE1EEEvSI_: ; @_ZN7rocprim17ROCPRIM_400000_NS6detail17trampoline_kernelINS0_14default_configENS1_35radix_sort_onesweep_config_selectorIiiEEZZNS1_29radix_sort_onesweep_iterationIS3_Lb1EN6thrust23THRUST_200600_302600_NS6detail15normal_iteratorINS8_10device_ptrIiEEEESD_SD_SD_jNS0_19identity_decomposerENS1_16block_id_wrapperIjLb1EEEEE10hipError_tT1_PNSt15iterator_traitsISI_E10value_typeET2_T3_PNSJ_ISO_E10value_typeET4_T5_PST_SU_PNS1_23onesweep_lookback_stateEbbT6_jjT7_P12ihipStream_tbENKUlT_T0_SI_SN_E_clISD_SD_SD_SD_EEDaS11_S12_SI_SN_EUlS11_E_NS1_11comp_targetILNS1_3genE8ELNS1_11target_archE1030ELNS1_3gpuE2ELNS1_3repE0EEENS1_47radix_sort_onesweep_sort_config_static_selectorELNS0_4arch9wavefront6targetE1EEEvSI_
; %bb.0:
	.section	.rodata,"a",@progbits
	.p2align	6, 0x0
	.amdhsa_kernel _ZN7rocprim17ROCPRIM_400000_NS6detail17trampoline_kernelINS0_14default_configENS1_35radix_sort_onesweep_config_selectorIiiEEZZNS1_29radix_sort_onesweep_iterationIS3_Lb1EN6thrust23THRUST_200600_302600_NS6detail15normal_iteratorINS8_10device_ptrIiEEEESD_SD_SD_jNS0_19identity_decomposerENS1_16block_id_wrapperIjLb1EEEEE10hipError_tT1_PNSt15iterator_traitsISI_E10value_typeET2_T3_PNSJ_ISO_E10value_typeET4_T5_PST_SU_PNS1_23onesweep_lookback_stateEbbT6_jjT7_P12ihipStream_tbENKUlT_T0_SI_SN_E_clISD_SD_SD_SD_EEDaS11_S12_SI_SN_EUlS11_E_NS1_11comp_targetILNS1_3genE8ELNS1_11target_archE1030ELNS1_3gpuE2ELNS1_3repE0EEENS1_47radix_sort_onesweep_sort_config_static_selectorELNS0_4arch9wavefront6targetE1EEEvSI_
		.amdhsa_group_segment_fixed_size 0
		.amdhsa_private_segment_fixed_size 0
		.amdhsa_kernarg_size 88
		.amdhsa_user_sgpr_count 2
		.amdhsa_user_sgpr_dispatch_ptr 0
		.amdhsa_user_sgpr_queue_ptr 0
		.amdhsa_user_sgpr_kernarg_segment_ptr 1
		.amdhsa_user_sgpr_dispatch_id 0
		.amdhsa_user_sgpr_kernarg_preload_length 0
		.amdhsa_user_sgpr_kernarg_preload_offset 0
		.amdhsa_user_sgpr_private_segment_size 0
		.amdhsa_uses_dynamic_stack 0
		.amdhsa_enable_private_segment 0
		.amdhsa_system_sgpr_workgroup_id_x 1
		.amdhsa_system_sgpr_workgroup_id_y 0
		.amdhsa_system_sgpr_workgroup_id_z 0
		.amdhsa_system_sgpr_workgroup_info 0
		.amdhsa_system_vgpr_workitem_id 0
		.amdhsa_next_free_vgpr 1
		.amdhsa_next_free_sgpr 0
		.amdhsa_accum_offset 4
		.amdhsa_reserve_vcc 0
		.amdhsa_float_round_mode_32 0
		.amdhsa_float_round_mode_16_64 0
		.amdhsa_float_denorm_mode_32 3
		.amdhsa_float_denorm_mode_16_64 3
		.amdhsa_dx10_clamp 1
		.amdhsa_ieee_mode 1
		.amdhsa_fp16_overflow 0
		.amdhsa_tg_split 0
		.amdhsa_exception_fp_ieee_invalid_op 0
		.amdhsa_exception_fp_denorm_src 0
		.amdhsa_exception_fp_ieee_div_zero 0
		.amdhsa_exception_fp_ieee_overflow 0
		.amdhsa_exception_fp_ieee_underflow 0
		.amdhsa_exception_fp_ieee_inexact 0
		.amdhsa_exception_int_div_zero 0
	.end_amdhsa_kernel
	.section	.text._ZN7rocprim17ROCPRIM_400000_NS6detail17trampoline_kernelINS0_14default_configENS1_35radix_sort_onesweep_config_selectorIiiEEZZNS1_29radix_sort_onesweep_iterationIS3_Lb1EN6thrust23THRUST_200600_302600_NS6detail15normal_iteratorINS8_10device_ptrIiEEEESD_SD_SD_jNS0_19identity_decomposerENS1_16block_id_wrapperIjLb1EEEEE10hipError_tT1_PNSt15iterator_traitsISI_E10value_typeET2_T3_PNSJ_ISO_E10value_typeET4_T5_PST_SU_PNS1_23onesweep_lookback_stateEbbT6_jjT7_P12ihipStream_tbENKUlT_T0_SI_SN_E_clISD_SD_SD_SD_EEDaS11_S12_SI_SN_EUlS11_E_NS1_11comp_targetILNS1_3genE8ELNS1_11target_archE1030ELNS1_3gpuE2ELNS1_3repE0EEENS1_47radix_sort_onesweep_sort_config_static_selectorELNS0_4arch9wavefront6targetE1EEEvSI_,"axG",@progbits,_ZN7rocprim17ROCPRIM_400000_NS6detail17trampoline_kernelINS0_14default_configENS1_35radix_sort_onesweep_config_selectorIiiEEZZNS1_29radix_sort_onesweep_iterationIS3_Lb1EN6thrust23THRUST_200600_302600_NS6detail15normal_iteratorINS8_10device_ptrIiEEEESD_SD_SD_jNS0_19identity_decomposerENS1_16block_id_wrapperIjLb1EEEEE10hipError_tT1_PNSt15iterator_traitsISI_E10value_typeET2_T3_PNSJ_ISO_E10value_typeET4_T5_PST_SU_PNS1_23onesweep_lookback_stateEbbT6_jjT7_P12ihipStream_tbENKUlT_T0_SI_SN_E_clISD_SD_SD_SD_EEDaS11_S12_SI_SN_EUlS11_E_NS1_11comp_targetILNS1_3genE8ELNS1_11target_archE1030ELNS1_3gpuE2ELNS1_3repE0EEENS1_47radix_sort_onesweep_sort_config_static_selectorELNS0_4arch9wavefront6targetE1EEEvSI_,comdat
.Lfunc_end1845:
	.size	_ZN7rocprim17ROCPRIM_400000_NS6detail17trampoline_kernelINS0_14default_configENS1_35radix_sort_onesweep_config_selectorIiiEEZZNS1_29radix_sort_onesweep_iterationIS3_Lb1EN6thrust23THRUST_200600_302600_NS6detail15normal_iteratorINS8_10device_ptrIiEEEESD_SD_SD_jNS0_19identity_decomposerENS1_16block_id_wrapperIjLb1EEEEE10hipError_tT1_PNSt15iterator_traitsISI_E10value_typeET2_T3_PNSJ_ISO_E10value_typeET4_T5_PST_SU_PNS1_23onesweep_lookback_stateEbbT6_jjT7_P12ihipStream_tbENKUlT_T0_SI_SN_E_clISD_SD_SD_SD_EEDaS11_S12_SI_SN_EUlS11_E_NS1_11comp_targetILNS1_3genE8ELNS1_11target_archE1030ELNS1_3gpuE2ELNS1_3repE0EEENS1_47radix_sort_onesweep_sort_config_static_selectorELNS0_4arch9wavefront6targetE1EEEvSI_, .Lfunc_end1845-_ZN7rocprim17ROCPRIM_400000_NS6detail17trampoline_kernelINS0_14default_configENS1_35radix_sort_onesweep_config_selectorIiiEEZZNS1_29radix_sort_onesweep_iterationIS3_Lb1EN6thrust23THRUST_200600_302600_NS6detail15normal_iteratorINS8_10device_ptrIiEEEESD_SD_SD_jNS0_19identity_decomposerENS1_16block_id_wrapperIjLb1EEEEE10hipError_tT1_PNSt15iterator_traitsISI_E10value_typeET2_T3_PNSJ_ISO_E10value_typeET4_T5_PST_SU_PNS1_23onesweep_lookback_stateEbbT6_jjT7_P12ihipStream_tbENKUlT_T0_SI_SN_E_clISD_SD_SD_SD_EEDaS11_S12_SI_SN_EUlS11_E_NS1_11comp_targetILNS1_3genE8ELNS1_11target_archE1030ELNS1_3gpuE2ELNS1_3repE0EEENS1_47radix_sort_onesweep_sort_config_static_selectorELNS0_4arch9wavefront6targetE1EEEvSI_
                                        ; -- End function
	.set _ZN7rocprim17ROCPRIM_400000_NS6detail17trampoline_kernelINS0_14default_configENS1_35radix_sort_onesweep_config_selectorIiiEEZZNS1_29radix_sort_onesweep_iterationIS3_Lb1EN6thrust23THRUST_200600_302600_NS6detail15normal_iteratorINS8_10device_ptrIiEEEESD_SD_SD_jNS0_19identity_decomposerENS1_16block_id_wrapperIjLb1EEEEE10hipError_tT1_PNSt15iterator_traitsISI_E10value_typeET2_T3_PNSJ_ISO_E10value_typeET4_T5_PST_SU_PNS1_23onesweep_lookback_stateEbbT6_jjT7_P12ihipStream_tbENKUlT_T0_SI_SN_E_clISD_SD_SD_SD_EEDaS11_S12_SI_SN_EUlS11_E_NS1_11comp_targetILNS1_3genE8ELNS1_11target_archE1030ELNS1_3gpuE2ELNS1_3repE0EEENS1_47radix_sort_onesweep_sort_config_static_selectorELNS0_4arch9wavefront6targetE1EEEvSI_.num_vgpr, 0
	.set _ZN7rocprim17ROCPRIM_400000_NS6detail17trampoline_kernelINS0_14default_configENS1_35radix_sort_onesweep_config_selectorIiiEEZZNS1_29radix_sort_onesweep_iterationIS3_Lb1EN6thrust23THRUST_200600_302600_NS6detail15normal_iteratorINS8_10device_ptrIiEEEESD_SD_SD_jNS0_19identity_decomposerENS1_16block_id_wrapperIjLb1EEEEE10hipError_tT1_PNSt15iterator_traitsISI_E10value_typeET2_T3_PNSJ_ISO_E10value_typeET4_T5_PST_SU_PNS1_23onesweep_lookback_stateEbbT6_jjT7_P12ihipStream_tbENKUlT_T0_SI_SN_E_clISD_SD_SD_SD_EEDaS11_S12_SI_SN_EUlS11_E_NS1_11comp_targetILNS1_3genE8ELNS1_11target_archE1030ELNS1_3gpuE2ELNS1_3repE0EEENS1_47radix_sort_onesweep_sort_config_static_selectorELNS0_4arch9wavefront6targetE1EEEvSI_.num_agpr, 0
	.set _ZN7rocprim17ROCPRIM_400000_NS6detail17trampoline_kernelINS0_14default_configENS1_35radix_sort_onesweep_config_selectorIiiEEZZNS1_29radix_sort_onesweep_iterationIS3_Lb1EN6thrust23THRUST_200600_302600_NS6detail15normal_iteratorINS8_10device_ptrIiEEEESD_SD_SD_jNS0_19identity_decomposerENS1_16block_id_wrapperIjLb1EEEEE10hipError_tT1_PNSt15iterator_traitsISI_E10value_typeET2_T3_PNSJ_ISO_E10value_typeET4_T5_PST_SU_PNS1_23onesweep_lookback_stateEbbT6_jjT7_P12ihipStream_tbENKUlT_T0_SI_SN_E_clISD_SD_SD_SD_EEDaS11_S12_SI_SN_EUlS11_E_NS1_11comp_targetILNS1_3genE8ELNS1_11target_archE1030ELNS1_3gpuE2ELNS1_3repE0EEENS1_47radix_sort_onesweep_sort_config_static_selectorELNS0_4arch9wavefront6targetE1EEEvSI_.numbered_sgpr, 0
	.set _ZN7rocprim17ROCPRIM_400000_NS6detail17trampoline_kernelINS0_14default_configENS1_35radix_sort_onesweep_config_selectorIiiEEZZNS1_29radix_sort_onesweep_iterationIS3_Lb1EN6thrust23THRUST_200600_302600_NS6detail15normal_iteratorINS8_10device_ptrIiEEEESD_SD_SD_jNS0_19identity_decomposerENS1_16block_id_wrapperIjLb1EEEEE10hipError_tT1_PNSt15iterator_traitsISI_E10value_typeET2_T3_PNSJ_ISO_E10value_typeET4_T5_PST_SU_PNS1_23onesweep_lookback_stateEbbT6_jjT7_P12ihipStream_tbENKUlT_T0_SI_SN_E_clISD_SD_SD_SD_EEDaS11_S12_SI_SN_EUlS11_E_NS1_11comp_targetILNS1_3genE8ELNS1_11target_archE1030ELNS1_3gpuE2ELNS1_3repE0EEENS1_47radix_sort_onesweep_sort_config_static_selectorELNS0_4arch9wavefront6targetE1EEEvSI_.num_named_barrier, 0
	.set _ZN7rocprim17ROCPRIM_400000_NS6detail17trampoline_kernelINS0_14default_configENS1_35radix_sort_onesweep_config_selectorIiiEEZZNS1_29radix_sort_onesweep_iterationIS3_Lb1EN6thrust23THRUST_200600_302600_NS6detail15normal_iteratorINS8_10device_ptrIiEEEESD_SD_SD_jNS0_19identity_decomposerENS1_16block_id_wrapperIjLb1EEEEE10hipError_tT1_PNSt15iterator_traitsISI_E10value_typeET2_T3_PNSJ_ISO_E10value_typeET4_T5_PST_SU_PNS1_23onesweep_lookback_stateEbbT6_jjT7_P12ihipStream_tbENKUlT_T0_SI_SN_E_clISD_SD_SD_SD_EEDaS11_S12_SI_SN_EUlS11_E_NS1_11comp_targetILNS1_3genE8ELNS1_11target_archE1030ELNS1_3gpuE2ELNS1_3repE0EEENS1_47radix_sort_onesweep_sort_config_static_selectorELNS0_4arch9wavefront6targetE1EEEvSI_.private_seg_size, 0
	.set _ZN7rocprim17ROCPRIM_400000_NS6detail17trampoline_kernelINS0_14default_configENS1_35radix_sort_onesweep_config_selectorIiiEEZZNS1_29radix_sort_onesweep_iterationIS3_Lb1EN6thrust23THRUST_200600_302600_NS6detail15normal_iteratorINS8_10device_ptrIiEEEESD_SD_SD_jNS0_19identity_decomposerENS1_16block_id_wrapperIjLb1EEEEE10hipError_tT1_PNSt15iterator_traitsISI_E10value_typeET2_T3_PNSJ_ISO_E10value_typeET4_T5_PST_SU_PNS1_23onesweep_lookback_stateEbbT6_jjT7_P12ihipStream_tbENKUlT_T0_SI_SN_E_clISD_SD_SD_SD_EEDaS11_S12_SI_SN_EUlS11_E_NS1_11comp_targetILNS1_3genE8ELNS1_11target_archE1030ELNS1_3gpuE2ELNS1_3repE0EEENS1_47radix_sort_onesweep_sort_config_static_selectorELNS0_4arch9wavefront6targetE1EEEvSI_.uses_vcc, 0
	.set _ZN7rocprim17ROCPRIM_400000_NS6detail17trampoline_kernelINS0_14default_configENS1_35radix_sort_onesweep_config_selectorIiiEEZZNS1_29radix_sort_onesweep_iterationIS3_Lb1EN6thrust23THRUST_200600_302600_NS6detail15normal_iteratorINS8_10device_ptrIiEEEESD_SD_SD_jNS0_19identity_decomposerENS1_16block_id_wrapperIjLb1EEEEE10hipError_tT1_PNSt15iterator_traitsISI_E10value_typeET2_T3_PNSJ_ISO_E10value_typeET4_T5_PST_SU_PNS1_23onesweep_lookback_stateEbbT6_jjT7_P12ihipStream_tbENKUlT_T0_SI_SN_E_clISD_SD_SD_SD_EEDaS11_S12_SI_SN_EUlS11_E_NS1_11comp_targetILNS1_3genE8ELNS1_11target_archE1030ELNS1_3gpuE2ELNS1_3repE0EEENS1_47radix_sort_onesweep_sort_config_static_selectorELNS0_4arch9wavefront6targetE1EEEvSI_.uses_flat_scratch, 0
	.set _ZN7rocprim17ROCPRIM_400000_NS6detail17trampoline_kernelINS0_14default_configENS1_35radix_sort_onesweep_config_selectorIiiEEZZNS1_29radix_sort_onesweep_iterationIS3_Lb1EN6thrust23THRUST_200600_302600_NS6detail15normal_iteratorINS8_10device_ptrIiEEEESD_SD_SD_jNS0_19identity_decomposerENS1_16block_id_wrapperIjLb1EEEEE10hipError_tT1_PNSt15iterator_traitsISI_E10value_typeET2_T3_PNSJ_ISO_E10value_typeET4_T5_PST_SU_PNS1_23onesweep_lookback_stateEbbT6_jjT7_P12ihipStream_tbENKUlT_T0_SI_SN_E_clISD_SD_SD_SD_EEDaS11_S12_SI_SN_EUlS11_E_NS1_11comp_targetILNS1_3genE8ELNS1_11target_archE1030ELNS1_3gpuE2ELNS1_3repE0EEENS1_47radix_sort_onesweep_sort_config_static_selectorELNS0_4arch9wavefront6targetE1EEEvSI_.has_dyn_sized_stack, 0
	.set _ZN7rocprim17ROCPRIM_400000_NS6detail17trampoline_kernelINS0_14default_configENS1_35radix_sort_onesweep_config_selectorIiiEEZZNS1_29radix_sort_onesweep_iterationIS3_Lb1EN6thrust23THRUST_200600_302600_NS6detail15normal_iteratorINS8_10device_ptrIiEEEESD_SD_SD_jNS0_19identity_decomposerENS1_16block_id_wrapperIjLb1EEEEE10hipError_tT1_PNSt15iterator_traitsISI_E10value_typeET2_T3_PNSJ_ISO_E10value_typeET4_T5_PST_SU_PNS1_23onesweep_lookback_stateEbbT6_jjT7_P12ihipStream_tbENKUlT_T0_SI_SN_E_clISD_SD_SD_SD_EEDaS11_S12_SI_SN_EUlS11_E_NS1_11comp_targetILNS1_3genE8ELNS1_11target_archE1030ELNS1_3gpuE2ELNS1_3repE0EEENS1_47radix_sort_onesweep_sort_config_static_selectorELNS0_4arch9wavefront6targetE1EEEvSI_.has_recursion, 0
	.set _ZN7rocprim17ROCPRIM_400000_NS6detail17trampoline_kernelINS0_14default_configENS1_35radix_sort_onesweep_config_selectorIiiEEZZNS1_29radix_sort_onesweep_iterationIS3_Lb1EN6thrust23THRUST_200600_302600_NS6detail15normal_iteratorINS8_10device_ptrIiEEEESD_SD_SD_jNS0_19identity_decomposerENS1_16block_id_wrapperIjLb1EEEEE10hipError_tT1_PNSt15iterator_traitsISI_E10value_typeET2_T3_PNSJ_ISO_E10value_typeET4_T5_PST_SU_PNS1_23onesweep_lookback_stateEbbT6_jjT7_P12ihipStream_tbENKUlT_T0_SI_SN_E_clISD_SD_SD_SD_EEDaS11_S12_SI_SN_EUlS11_E_NS1_11comp_targetILNS1_3genE8ELNS1_11target_archE1030ELNS1_3gpuE2ELNS1_3repE0EEENS1_47radix_sort_onesweep_sort_config_static_selectorELNS0_4arch9wavefront6targetE1EEEvSI_.has_indirect_call, 0
	.section	.AMDGPU.csdata,"",@progbits
; Kernel info:
; codeLenInByte = 0
; TotalNumSgprs: 6
; NumVgprs: 0
; NumAgprs: 0
; TotalNumVgprs: 0
; ScratchSize: 0
; MemoryBound: 0
; FloatMode: 240
; IeeeMode: 1
; LDSByteSize: 0 bytes/workgroup (compile time only)
; SGPRBlocks: 0
; VGPRBlocks: 0
; NumSGPRsForWavesPerEU: 6
; NumVGPRsForWavesPerEU: 1
; AccumOffset: 4
; Occupancy: 8
; WaveLimiterHint : 0
; COMPUTE_PGM_RSRC2:SCRATCH_EN: 0
; COMPUTE_PGM_RSRC2:USER_SGPR: 2
; COMPUTE_PGM_RSRC2:TRAP_HANDLER: 0
; COMPUTE_PGM_RSRC2:TGID_X_EN: 1
; COMPUTE_PGM_RSRC2:TGID_Y_EN: 0
; COMPUTE_PGM_RSRC2:TGID_Z_EN: 0
; COMPUTE_PGM_RSRC2:TIDIG_COMP_CNT: 0
; COMPUTE_PGM_RSRC3_GFX90A:ACCUM_OFFSET: 0
; COMPUTE_PGM_RSRC3_GFX90A:TG_SPLIT: 0
	.section	.text._ZN7rocprim17ROCPRIM_400000_NS6detail17trampoline_kernelINS0_14default_configENS1_35radix_sort_onesweep_config_selectorIiiEEZZNS1_29radix_sort_onesweep_iterationIS3_Lb1EN6thrust23THRUST_200600_302600_NS6detail15normal_iteratorINS8_10device_ptrIiEEEESD_SD_SD_jNS0_19identity_decomposerENS1_16block_id_wrapperIjLb1EEEEE10hipError_tT1_PNSt15iterator_traitsISI_E10value_typeET2_T3_PNSJ_ISO_E10value_typeET4_T5_PST_SU_PNS1_23onesweep_lookback_stateEbbT6_jjT7_P12ihipStream_tbENKUlT_T0_SI_SN_E_clISD_PiSD_S15_EEDaS11_S12_SI_SN_EUlS11_E_NS1_11comp_targetILNS1_3genE0ELNS1_11target_archE4294967295ELNS1_3gpuE0ELNS1_3repE0EEENS1_47radix_sort_onesweep_sort_config_static_selectorELNS0_4arch9wavefront6targetE1EEEvSI_,"axG",@progbits,_ZN7rocprim17ROCPRIM_400000_NS6detail17trampoline_kernelINS0_14default_configENS1_35radix_sort_onesweep_config_selectorIiiEEZZNS1_29radix_sort_onesweep_iterationIS3_Lb1EN6thrust23THRUST_200600_302600_NS6detail15normal_iteratorINS8_10device_ptrIiEEEESD_SD_SD_jNS0_19identity_decomposerENS1_16block_id_wrapperIjLb1EEEEE10hipError_tT1_PNSt15iterator_traitsISI_E10value_typeET2_T3_PNSJ_ISO_E10value_typeET4_T5_PST_SU_PNS1_23onesweep_lookback_stateEbbT6_jjT7_P12ihipStream_tbENKUlT_T0_SI_SN_E_clISD_PiSD_S15_EEDaS11_S12_SI_SN_EUlS11_E_NS1_11comp_targetILNS1_3genE0ELNS1_11target_archE4294967295ELNS1_3gpuE0ELNS1_3repE0EEENS1_47radix_sort_onesweep_sort_config_static_selectorELNS0_4arch9wavefront6targetE1EEEvSI_,comdat
	.protected	_ZN7rocprim17ROCPRIM_400000_NS6detail17trampoline_kernelINS0_14default_configENS1_35radix_sort_onesweep_config_selectorIiiEEZZNS1_29radix_sort_onesweep_iterationIS3_Lb1EN6thrust23THRUST_200600_302600_NS6detail15normal_iteratorINS8_10device_ptrIiEEEESD_SD_SD_jNS0_19identity_decomposerENS1_16block_id_wrapperIjLb1EEEEE10hipError_tT1_PNSt15iterator_traitsISI_E10value_typeET2_T3_PNSJ_ISO_E10value_typeET4_T5_PST_SU_PNS1_23onesweep_lookback_stateEbbT6_jjT7_P12ihipStream_tbENKUlT_T0_SI_SN_E_clISD_PiSD_S15_EEDaS11_S12_SI_SN_EUlS11_E_NS1_11comp_targetILNS1_3genE0ELNS1_11target_archE4294967295ELNS1_3gpuE0ELNS1_3repE0EEENS1_47radix_sort_onesweep_sort_config_static_selectorELNS0_4arch9wavefront6targetE1EEEvSI_ ; -- Begin function _ZN7rocprim17ROCPRIM_400000_NS6detail17trampoline_kernelINS0_14default_configENS1_35radix_sort_onesweep_config_selectorIiiEEZZNS1_29radix_sort_onesweep_iterationIS3_Lb1EN6thrust23THRUST_200600_302600_NS6detail15normal_iteratorINS8_10device_ptrIiEEEESD_SD_SD_jNS0_19identity_decomposerENS1_16block_id_wrapperIjLb1EEEEE10hipError_tT1_PNSt15iterator_traitsISI_E10value_typeET2_T3_PNSJ_ISO_E10value_typeET4_T5_PST_SU_PNS1_23onesweep_lookback_stateEbbT6_jjT7_P12ihipStream_tbENKUlT_T0_SI_SN_E_clISD_PiSD_S15_EEDaS11_S12_SI_SN_EUlS11_E_NS1_11comp_targetILNS1_3genE0ELNS1_11target_archE4294967295ELNS1_3gpuE0ELNS1_3repE0EEENS1_47radix_sort_onesweep_sort_config_static_selectorELNS0_4arch9wavefront6targetE1EEEvSI_
	.globl	_ZN7rocprim17ROCPRIM_400000_NS6detail17trampoline_kernelINS0_14default_configENS1_35radix_sort_onesweep_config_selectorIiiEEZZNS1_29radix_sort_onesweep_iterationIS3_Lb1EN6thrust23THRUST_200600_302600_NS6detail15normal_iteratorINS8_10device_ptrIiEEEESD_SD_SD_jNS0_19identity_decomposerENS1_16block_id_wrapperIjLb1EEEEE10hipError_tT1_PNSt15iterator_traitsISI_E10value_typeET2_T3_PNSJ_ISO_E10value_typeET4_T5_PST_SU_PNS1_23onesweep_lookback_stateEbbT6_jjT7_P12ihipStream_tbENKUlT_T0_SI_SN_E_clISD_PiSD_S15_EEDaS11_S12_SI_SN_EUlS11_E_NS1_11comp_targetILNS1_3genE0ELNS1_11target_archE4294967295ELNS1_3gpuE0ELNS1_3repE0EEENS1_47radix_sort_onesweep_sort_config_static_selectorELNS0_4arch9wavefront6targetE1EEEvSI_
	.p2align	8
	.type	_ZN7rocprim17ROCPRIM_400000_NS6detail17trampoline_kernelINS0_14default_configENS1_35radix_sort_onesweep_config_selectorIiiEEZZNS1_29radix_sort_onesweep_iterationIS3_Lb1EN6thrust23THRUST_200600_302600_NS6detail15normal_iteratorINS8_10device_ptrIiEEEESD_SD_SD_jNS0_19identity_decomposerENS1_16block_id_wrapperIjLb1EEEEE10hipError_tT1_PNSt15iterator_traitsISI_E10value_typeET2_T3_PNSJ_ISO_E10value_typeET4_T5_PST_SU_PNS1_23onesweep_lookback_stateEbbT6_jjT7_P12ihipStream_tbENKUlT_T0_SI_SN_E_clISD_PiSD_S15_EEDaS11_S12_SI_SN_EUlS11_E_NS1_11comp_targetILNS1_3genE0ELNS1_11target_archE4294967295ELNS1_3gpuE0ELNS1_3repE0EEENS1_47radix_sort_onesweep_sort_config_static_selectorELNS0_4arch9wavefront6targetE1EEEvSI_,@function
_ZN7rocprim17ROCPRIM_400000_NS6detail17trampoline_kernelINS0_14default_configENS1_35radix_sort_onesweep_config_selectorIiiEEZZNS1_29radix_sort_onesweep_iterationIS3_Lb1EN6thrust23THRUST_200600_302600_NS6detail15normal_iteratorINS8_10device_ptrIiEEEESD_SD_SD_jNS0_19identity_decomposerENS1_16block_id_wrapperIjLb1EEEEE10hipError_tT1_PNSt15iterator_traitsISI_E10value_typeET2_T3_PNSJ_ISO_E10value_typeET4_T5_PST_SU_PNS1_23onesweep_lookback_stateEbbT6_jjT7_P12ihipStream_tbENKUlT_T0_SI_SN_E_clISD_PiSD_S15_EEDaS11_S12_SI_SN_EUlS11_E_NS1_11comp_targetILNS1_3genE0ELNS1_11target_archE4294967295ELNS1_3gpuE0ELNS1_3repE0EEENS1_47radix_sort_onesweep_sort_config_static_selectorELNS0_4arch9wavefront6targetE1EEEvSI_: ; @_ZN7rocprim17ROCPRIM_400000_NS6detail17trampoline_kernelINS0_14default_configENS1_35radix_sort_onesweep_config_selectorIiiEEZZNS1_29radix_sort_onesweep_iterationIS3_Lb1EN6thrust23THRUST_200600_302600_NS6detail15normal_iteratorINS8_10device_ptrIiEEEESD_SD_SD_jNS0_19identity_decomposerENS1_16block_id_wrapperIjLb1EEEEE10hipError_tT1_PNSt15iterator_traitsISI_E10value_typeET2_T3_PNSJ_ISO_E10value_typeET4_T5_PST_SU_PNS1_23onesweep_lookback_stateEbbT6_jjT7_P12ihipStream_tbENKUlT_T0_SI_SN_E_clISD_PiSD_S15_EEDaS11_S12_SI_SN_EUlS11_E_NS1_11comp_targetILNS1_3genE0ELNS1_11target_archE4294967295ELNS1_3gpuE0ELNS1_3repE0EEENS1_47radix_sort_onesweep_sort_config_static_selectorELNS0_4arch9wavefront6targetE1EEEvSI_
; %bb.0:
	.section	.rodata,"a",@progbits
	.p2align	6, 0x0
	.amdhsa_kernel _ZN7rocprim17ROCPRIM_400000_NS6detail17trampoline_kernelINS0_14default_configENS1_35radix_sort_onesweep_config_selectorIiiEEZZNS1_29radix_sort_onesweep_iterationIS3_Lb1EN6thrust23THRUST_200600_302600_NS6detail15normal_iteratorINS8_10device_ptrIiEEEESD_SD_SD_jNS0_19identity_decomposerENS1_16block_id_wrapperIjLb1EEEEE10hipError_tT1_PNSt15iterator_traitsISI_E10value_typeET2_T3_PNSJ_ISO_E10value_typeET4_T5_PST_SU_PNS1_23onesweep_lookback_stateEbbT6_jjT7_P12ihipStream_tbENKUlT_T0_SI_SN_E_clISD_PiSD_S15_EEDaS11_S12_SI_SN_EUlS11_E_NS1_11comp_targetILNS1_3genE0ELNS1_11target_archE4294967295ELNS1_3gpuE0ELNS1_3repE0EEENS1_47radix_sort_onesweep_sort_config_static_selectorELNS0_4arch9wavefront6targetE1EEEvSI_
		.amdhsa_group_segment_fixed_size 0
		.amdhsa_private_segment_fixed_size 0
		.amdhsa_kernarg_size 88
		.amdhsa_user_sgpr_count 2
		.amdhsa_user_sgpr_dispatch_ptr 0
		.amdhsa_user_sgpr_queue_ptr 0
		.amdhsa_user_sgpr_kernarg_segment_ptr 1
		.amdhsa_user_sgpr_dispatch_id 0
		.amdhsa_user_sgpr_kernarg_preload_length 0
		.amdhsa_user_sgpr_kernarg_preload_offset 0
		.amdhsa_user_sgpr_private_segment_size 0
		.amdhsa_uses_dynamic_stack 0
		.amdhsa_enable_private_segment 0
		.amdhsa_system_sgpr_workgroup_id_x 1
		.amdhsa_system_sgpr_workgroup_id_y 0
		.amdhsa_system_sgpr_workgroup_id_z 0
		.amdhsa_system_sgpr_workgroup_info 0
		.amdhsa_system_vgpr_workitem_id 0
		.amdhsa_next_free_vgpr 1
		.amdhsa_next_free_sgpr 0
		.amdhsa_accum_offset 4
		.amdhsa_reserve_vcc 0
		.amdhsa_float_round_mode_32 0
		.amdhsa_float_round_mode_16_64 0
		.amdhsa_float_denorm_mode_32 3
		.amdhsa_float_denorm_mode_16_64 3
		.amdhsa_dx10_clamp 1
		.amdhsa_ieee_mode 1
		.amdhsa_fp16_overflow 0
		.amdhsa_tg_split 0
		.amdhsa_exception_fp_ieee_invalid_op 0
		.amdhsa_exception_fp_denorm_src 0
		.amdhsa_exception_fp_ieee_div_zero 0
		.amdhsa_exception_fp_ieee_overflow 0
		.amdhsa_exception_fp_ieee_underflow 0
		.amdhsa_exception_fp_ieee_inexact 0
		.amdhsa_exception_int_div_zero 0
	.end_amdhsa_kernel
	.section	.text._ZN7rocprim17ROCPRIM_400000_NS6detail17trampoline_kernelINS0_14default_configENS1_35radix_sort_onesweep_config_selectorIiiEEZZNS1_29radix_sort_onesweep_iterationIS3_Lb1EN6thrust23THRUST_200600_302600_NS6detail15normal_iteratorINS8_10device_ptrIiEEEESD_SD_SD_jNS0_19identity_decomposerENS1_16block_id_wrapperIjLb1EEEEE10hipError_tT1_PNSt15iterator_traitsISI_E10value_typeET2_T3_PNSJ_ISO_E10value_typeET4_T5_PST_SU_PNS1_23onesweep_lookback_stateEbbT6_jjT7_P12ihipStream_tbENKUlT_T0_SI_SN_E_clISD_PiSD_S15_EEDaS11_S12_SI_SN_EUlS11_E_NS1_11comp_targetILNS1_3genE0ELNS1_11target_archE4294967295ELNS1_3gpuE0ELNS1_3repE0EEENS1_47radix_sort_onesweep_sort_config_static_selectorELNS0_4arch9wavefront6targetE1EEEvSI_,"axG",@progbits,_ZN7rocprim17ROCPRIM_400000_NS6detail17trampoline_kernelINS0_14default_configENS1_35radix_sort_onesweep_config_selectorIiiEEZZNS1_29radix_sort_onesweep_iterationIS3_Lb1EN6thrust23THRUST_200600_302600_NS6detail15normal_iteratorINS8_10device_ptrIiEEEESD_SD_SD_jNS0_19identity_decomposerENS1_16block_id_wrapperIjLb1EEEEE10hipError_tT1_PNSt15iterator_traitsISI_E10value_typeET2_T3_PNSJ_ISO_E10value_typeET4_T5_PST_SU_PNS1_23onesweep_lookback_stateEbbT6_jjT7_P12ihipStream_tbENKUlT_T0_SI_SN_E_clISD_PiSD_S15_EEDaS11_S12_SI_SN_EUlS11_E_NS1_11comp_targetILNS1_3genE0ELNS1_11target_archE4294967295ELNS1_3gpuE0ELNS1_3repE0EEENS1_47radix_sort_onesweep_sort_config_static_selectorELNS0_4arch9wavefront6targetE1EEEvSI_,comdat
.Lfunc_end1846:
	.size	_ZN7rocprim17ROCPRIM_400000_NS6detail17trampoline_kernelINS0_14default_configENS1_35radix_sort_onesweep_config_selectorIiiEEZZNS1_29radix_sort_onesweep_iterationIS3_Lb1EN6thrust23THRUST_200600_302600_NS6detail15normal_iteratorINS8_10device_ptrIiEEEESD_SD_SD_jNS0_19identity_decomposerENS1_16block_id_wrapperIjLb1EEEEE10hipError_tT1_PNSt15iterator_traitsISI_E10value_typeET2_T3_PNSJ_ISO_E10value_typeET4_T5_PST_SU_PNS1_23onesweep_lookback_stateEbbT6_jjT7_P12ihipStream_tbENKUlT_T0_SI_SN_E_clISD_PiSD_S15_EEDaS11_S12_SI_SN_EUlS11_E_NS1_11comp_targetILNS1_3genE0ELNS1_11target_archE4294967295ELNS1_3gpuE0ELNS1_3repE0EEENS1_47radix_sort_onesweep_sort_config_static_selectorELNS0_4arch9wavefront6targetE1EEEvSI_, .Lfunc_end1846-_ZN7rocprim17ROCPRIM_400000_NS6detail17trampoline_kernelINS0_14default_configENS1_35radix_sort_onesweep_config_selectorIiiEEZZNS1_29radix_sort_onesweep_iterationIS3_Lb1EN6thrust23THRUST_200600_302600_NS6detail15normal_iteratorINS8_10device_ptrIiEEEESD_SD_SD_jNS0_19identity_decomposerENS1_16block_id_wrapperIjLb1EEEEE10hipError_tT1_PNSt15iterator_traitsISI_E10value_typeET2_T3_PNSJ_ISO_E10value_typeET4_T5_PST_SU_PNS1_23onesweep_lookback_stateEbbT6_jjT7_P12ihipStream_tbENKUlT_T0_SI_SN_E_clISD_PiSD_S15_EEDaS11_S12_SI_SN_EUlS11_E_NS1_11comp_targetILNS1_3genE0ELNS1_11target_archE4294967295ELNS1_3gpuE0ELNS1_3repE0EEENS1_47radix_sort_onesweep_sort_config_static_selectorELNS0_4arch9wavefront6targetE1EEEvSI_
                                        ; -- End function
	.set _ZN7rocprim17ROCPRIM_400000_NS6detail17trampoline_kernelINS0_14default_configENS1_35radix_sort_onesweep_config_selectorIiiEEZZNS1_29radix_sort_onesweep_iterationIS3_Lb1EN6thrust23THRUST_200600_302600_NS6detail15normal_iteratorINS8_10device_ptrIiEEEESD_SD_SD_jNS0_19identity_decomposerENS1_16block_id_wrapperIjLb1EEEEE10hipError_tT1_PNSt15iterator_traitsISI_E10value_typeET2_T3_PNSJ_ISO_E10value_typeET4_T5_PST_SU_PNS1_23onesweep_lookback_stateEbbT6_jjT7_P12ihipStream_tbENKUlT_T0_SI_SN_E_clISD_PiSD_S15_EEDaS11_S12_SI_SN_EUlS11_E_NS1_11comp_targetILNS1_3genE0ELNS1_11target_archE4294967295ELNS1_3gpuE0ELNS1_3repE0EEENS1_47radix_sort_onesweep_sort_config_static_selectorELNS0_4arch9wavefront6targetE1EEEvSI_.num_vgpr, 0
	.set _ZN7rocprim17ROCPRIM_400000_NS6detail17trampoline_kernelINS0_14default_configENS1_35radix_sort_onesweep_config_selectorIiiEEZZNS1_29radix_sort_onesweep_iterationIS3_Lb1EN6thrust23THRUST_200600_302600_NS6detail15normal_iteratorINS8_10device_ptrIiEEEESD_SD_SD_jNS0_19identity_decomposerENS1_16block_id_wrapperIjLb1EEEEE10hipError_tT1_PNSt15iterator_traitsISI_E10value_typeET2_T3_PNSJ_ISO_E10value_typeET4_T5_PST_SU_PNS1_23onesweep_lookback_stateEbbT6_jjT7_P12ihipStream_tbENKUlT_T0_SI_SN_E_clISD_PiSD_S15_EEDaS11_S12_SI_SN_EUlS11_E_NS1_11comp_targetILNS1_3genE0ELNS1_11target_archE4294967295ELNS1_3gpuE0ELNS1_3repE0EEENS1_47radix_sort_onesweep_sort_config_static_selectorELNS0_4arch9wavefront6targetE1EEEvSI_.num_agpr, 0
	.set _ZN7rocprim17ROCPRIM_400000_NS6detail17trampoline_kernelINS0_14default_configENS1_35radix_sort_onesweep_config_selectorIiiEEZZNS1_29radix_sort_onesweep_iterationIS3_Lb1EN6thrust23THRUST_200600_302600_NS6detail15normal_iteratorINS8_10device_ptrIiEEEESD_SD_SD_jNS0_19identity_decomposerENS1_16block_id_wrapperIjLb1EEEEE10hipError_tT1_PNSt15iterator_traitsISI_E10value_typeET2_T3_PNSJ_ISO_E10value_typeET4_T5_PST_SU_PNS1_23onesweep_lookback_stateEbbT6_jjT7_P12ihipStream_tbENKUlT_T0_SI_SN_E_clISD_PiSD_S15_EEDaS11_S12_SI_SN_EUlS11_E_NS1_11comp_targetILNS1_3genE0ELNS1_11target_archE4294967295ELNS1_3gpuE0ELNS1_3repE0EEENS1_47radix_sort_onesweep_sort_config_static_selectorELNS0_4arch9wavefront6targetE1EEEvSI_.numbered_sgpr, 0
	.set _ZN7rocprim17ROCPRIM_400000_NS6detail17trampoline_kernelINS0_14default_configENS1_35radix_sort_onesweep_config_selectorIiiEEZZNS1_29radix_sort_onesweep_iterationIS3_Lb1EN6thrust23THRUST_200600_302600_NS6detail15normal_iteratorINS8_10device_ptrIiEEEESD_SD_SD_jNS0_19identity_decomposerENS1_16block_id_wrapperIjLb1EEEEE10hipError_tT1_PNSt15iterator_traitsISI_E10value_typeET2_T3_PNSJ_ISO_E10value_typeET4_T5_PST_SU_PNS1_23onesweep_lookback_stateEbbT6_jjT7_P12ihipStream_tbENKUlT_T0_SI_SN_E_clISD_PiSD_S15_EEDaS11_S12_SI_SN_EUlS11_E_NS1_11comp_targetILNS1_3genE0ELNS1_11target_archE4294967295ELNS1_3gpuE0ELNS1_3repE0EEENS1_47radix_sort_onesweep_sort_config_static_selectorELNS0_4arch9wavefront6targetE1EEEvSI_.num_named_barrier, 0
	.set _ZN7rocprim17ROCPRIM_400000_NS6detail17trampoline_kernelINS0_14default_configENS1_35radix_sort_onesweep_config_selectorIiiEEZZNS1_29radix_sort_onesweep_iterationIS3_Lb1EN6thrust23THRUST_200600_302600_NS6detail15normal_iteratorINS8_10device_ptrIiEEEESD_SD_SD_jNS0_19identity_decomposerENS1_16block_id_wrapperIjLb1EEEEE10hipError_tT1_PNSt15iterator_traitsISI_E10value_typeET2_T3_PNSJ_ISO_E10value_typeET4_T5_PST_SU_PNS1_23onesweep_lookback_stateEbbT6_jjT7_P12ihipStream_tbENKUlT_T0_SI_SN_E_clISD_PiSD_S15_EEDaS11_S12_SI_SN_EUlS11_E_NS1_11comp_targetILNS1_3genE0ELNS1_11target_archE4294967295ELNS1_3gpuE0ELNS1_3repE0EEENS1_47radix_sort_onesweep_sort_config_static_selectorELNS0_4arch9wavefront6targetE1EEEvSI_.private_seg_size, 0
	.set _ZN7rocprim17ROCPRIM_400000_NS6detail17trampoline_kernelINS0_14default_configENS1_35radix_sort_onesweep_config_selectorIiiEEZZNS1_29radix_sort_onesweep_iterationIS3_Lb1EN6thrust23THRUST_200600_302600_NS6detail15normal_iteratorINS8_10device_ptrIiEEEESD_SD_SD_jNS0_19identity_decomposerENS1_16block_id_wrapperIjLb1EEEEE10hipError_tT1_PNSt15iterator_traitsISI_E10value_typeET2_T3_PNSJ_ISO_E10value_typeET4_T5_PST_SU_PNS1_23onesweep_lookback_stateEbbT6_jjT7_P12ihipStream_tbENKUlT_T0_SI_SN_E_clISD_PiSD_S15_EEDaS11_S12_SI_SN_EUlS11_E_NS1_11comp_targetILNS1_3genE0ELNS1_11target_archE4294967295ELNS1_3gpuE0ELNS1_3repE0EEENS1_47radix_sort_onesweep_sort_config_static_selectorELNS0_4arch9wavefront6targetE1EEEvSI_.uses_vcc, 0
	.set _ZN7rocprim17ROCPRIM_400000_NS6detail17trampoline_kernelINS0_14default_configENS1_35radix_sort_onesweep_config_selectorIiiEEZZNS1_29radix_sort_onesweep_iterationIS3_Lb1EN6thrust23THRUST_200600_302600_NS6detail15normal_iteratorINS8_10device_ptrIiEEEESD_SD_SD_jNS0_19identity_decomposerENS1_16block_id_wrapperIjLb1EEEEE10hipError_tT1_PNSt15iterator_traitsISI_E10value_typeET2_T3_PNSJ_ISO_E10value_typeET4_T5_PST_SU_PNS1_23onesweep_lookback_stateEbbT6_jjT7_P12ihipStream_tbENKUlT_T0_SI_SN_E_clISD_PiSD_S15_EEDaS11_S12_SI_SN_EUlS11_E_NS1_11comp_targetILNS1_3genE0ELNS1_11target_archE4294967295ELNS1_3gpuE0ELNS1_3repE0EEENS1_47radix_sort_onesweep_sort_config_static_selectorELNS0_4arch9wavefront6targetE1EEEvSI_.uses_flat_scratch, 0
	.set _ZN7rocprim17ROCPRIM_400000_NS6detail17trampoline_kernelINS0_14default_configENS1_35radix_sort_onesweep_config_selectorIiiEEZZNS1_29radix_sort_onesweep_iterationIS3_Lb1EN6thrust23THRUST_200600_302600_NS6detail15normal_iteratorINS8_10device_ptrIiEEEESD_SD_SD_jNS0_19identity_decomposerENS1_16block_id_wrapperIjLb1EEEEE10hipError_tT1_PNSt15iterator_traitsISI_E10value_typeET2_T3_PNSJ_ISO_E10value_typeET4_T5_PST_SU_PNS1_23onesweep_lookback_stateEbbT6_jjT7_P12ihipStream_tbENKUlT_T0_SI_SN_E_clISD_PiSD_S15_EEDaS11_S12_SI_SN_EUlS11_E_NS1_11comp_targetILNS1_3genE0ELNS1_11target_archE4294967295ELNS1_3gpuE0ELNS1_3repE0EEENS1_47radix_sort_onesweep_sort_config_static_selectorELNS0_4arch9wavefront6targetE1EEEvSI_.has_dyn_sized_stack, 0
	.set _ZN7rocprim17ROCPRIM_400000_NS6detail17trampoline_kernelINS0_14default_configENS1_35radix_sort_onesweep_config_selectorIiiEEZZNS1_29radix_sort_onesweep_iterationIS3_Lb1EN6thrust23THRUST_200600_302600_NS6detail15normal_iteratorINS8_10device_ptrIiEEEESD_SD_SD_jNS0_19identity_decomposerENS1_16block_id_wrapperIjLb1EEEEE10hipError_tT1_PNSt15iterator_traitsISI_E10value_typeET2_T3_PNSJ_ISO_E10value_typeET4_T5_PST_SU_PNS1_23onesweep_lookback_stateEbbT6_jjT7_P12ihipStream_tbENKUlT_T0_SI_SN_E_clISD_PiSD_S15_EEDaS11_S12_SI_SN_EUlS11_E_NS1_11comp_targetILNS1_3genE0ELNS1_11target_archE4294967295ELNS1_3gpuE0ELNS1_3repE0EEENS1_47radix_sort_onesweep_sort_config_static_selectorELNS0_4arch9wavefront6targetE1EEEvSI_.has_recursion, 0
	.set _ZN7rocprim17ROCPRIM_400000_NS6detail17trampoline_kernelINS0_14default_configENS1_35radix_sort_onesweep_config_selectorIiiEEZZNS1_29radix_sort_onesweep_iterationIS3_Lb1EN6thrust23THRUST_200600_302600_NS6detail15normal_iteratorINS8_10device_ptrIiEEEESD_SD_SD_jNS0_19identity_decomposerENS1_16block_id_wrapperIjLb1EEEEE10hipError_tT1_PNSt15iterator_traitsISI_E10value_typeET2_T3_PNSJ_ISO_E10value_typeET4_T5_PST_SU_PNS1_23onesweep_lookback_stateEbbT6_jjT7_P12ihipStream_tbENKUlT_T0_SI_SN_E_clISD_PiSD_S15_EEDaS11_S12_SI_SN_EUlS11_E_NS1_11comp_targetILNS1_3genE0ELNS1_11target_archE4294967295ELNS1_3gpuE0ELNS1_3repE0EEENS1_47radix_sort_onesweep_sort_config_static_selectorELNS0_4arch9wavefront6targetE1EEEvSI_.has_indirect_call, 0
	.section	.AMDGPU.csdata,"",@progbits
; Kernel info:
; codeLenInByte = 0
; TotalNumSgprs: 6
; NumVgprs: 0
; NumAgprs: 0
; TotalNumVgprs: 0
; ScratchSize: 0
; MemoryBound: 0
; FloatMode: 240
; IeeeMode: 1
; LDSByteSize: 0 bytes/workgroup (compile time only)
; SGPRBlocks: 0
; VGPRBlocks: 0
; NumSGPRsForWavesPerEU: 6
; NumVGPRsForWavesPerEU: 1
; AccumOffset: 4
; Occupancy: 8
; WaveLimiterHint : 0
; COMPUTE_PGM_RSRC2:SCRATCH_EN: 0
; COMPUTE_PGM_RSRC2:USER_SGPR: 2
; COMPUTE_PGM_RSRC2:TRAP_HANDLER: 0
; COMPUTE_PGM_RSRC2:TGID_X_EN: 1
; COMPUTE_PGM_RSRC2:TGID_Y_EN: 0
; COMPUTE_PGM_RSRC2:TGID_Z_EN: 0
; COMPUTE_PGM_RSRC2:TIDIG_COMP_CNT: 0
; COMPUTE_PGM_RSRC3_GFX90A:ACCUM_OFFSET: 0
; COMPUTE_PGM_RSRC3_GFX90A:TG_SPLIT: 0
	.section	.text._ZN7rocprim17ROCPRIM_400000_NS6detail17trampoline_kernelINS0_14default_configENS1_35radix_sort_onesweep_config_selectorIiiEEZZNS1_29radix_sort_onesweep_iterationIS3_Lb1EN6thrust23THRUST_200600_302600_NS6detail15normal_iteratorINS8_10device_ptrIiEEEESD_SD_SD_jNS0_19identity_decomposerENS1_16block_id_wrapperIjLb1EEEEE10hipError_tT1_PNSt15iterator_traitsISI_E10value_typeET2_T3_PNSJ_ISO_E10value_typeET4_T5_PST_SU_PNS1_23onesweep_lookback_stateEbbT6_jjT7_P12ihipStream_tbENKUlT_T0_SI_SN_E_clISD_PiSD_S15_EEDaS11_S12_SI_SN_EUlS11_E_NS1_11comp_targetILNS1_3genE6ELNS1_11target_archE950ELNS1_3gpuE13ELNS1_3repE0EEENS1_47radix_sort_onesweep_sort_config_static_selectorELNS0_4arch9wavefront6targetE1EEEvSI_,"axG",@progbits,_ZN7rocprim17ROCPRIM_400000_NS6detail17trampoline_kernelINS0_14default_configENS1_35radix_sort_onesweep_config_selectorIiiEEZZNS1_29radix_sort_onesweep_iterationIS3_Lb1EN6thrust23THRUST_200600_302600_NS6detail15normal_iteratorINS8_10device_ptrIiEEEESD_SD_SD_jNS0_19identity_decomposerENS1_16block_id_wrapperIjLb1EEEEE10hipError_tT1_PNSt15iterator_traitsISI_E10value_typeET2_T3_PNSJ_ISO_E10value_typeET4_T5_PST_SU_PNS1_23onesweep_lookback_stateEbbT6_jjT7_P12ihipStream_tbENKUlT_T0_SI_SN_E_clISD_PiSD_S15_EEDaS11_S12_SI_SN_EUlS11_E_NS1_11comp_targetILNS1_3genE6ELNS1_11target_archE950ELNS1_3gpuE13ELNS1_3repE0EEENS1_47radix_sort_onesweep_sort_config_static_selectorELNS0_4arch9wavefront6targetE1EEEvSI_,comdat
	.protected	_ZN7rocprim17ROCPRIM_400000_NS6detail17trampoline_kernelINS0_14default_configENS1_35radix_sort_onesweep_config_selectorIiiEEZZNS1_29radix_sort_onesweep_iterationIS3_Lb1EN6thrust23THRUST_200600_302600_NS6detail15normal_iteratorINS8_10device_ptrIiEEEESD_SD_SD_jNS0_19identity_decomposerENS1_16block_id_wrapperIjLb1EEEEE10hipError_tT1_PNSt15iterator_traitsISI_E10value_typeET2_T3_PNSJ_ISO_E10value_typeET4_T5_PST_SU_PNS1_23onesweep_lookback_stateEbbT6_jjT7_P12ihipStream_tbENKUlT_T0_SI_SN_E_clISD_PiSD_S15_EEDaS11_S12_SI_SN_EUlS11_E_NS1_11comp_targetILNS1_3genE6ELNS1_11target_archE950ELNS1_3gpuE13ELNS1_3repE0EEENS1_47radix_sort_onesweep_sort_config_static_selectorELNS0_4arch9wavefront6targetE1EEEvSI_ ; -- Begin function _ZN7rocprim17ROCPRIM_400000_NS6detail17trampoline_kernelINS0_14default_configENS1_35radix_sort_onesweep_config_selectorIiiEEZZNS1_29radix_sort_onesweep_iterationIS3_Lb1EN6thrust23THRUST_200600_302600_NS6detail15normal_iteratorINS8_10device_ptrIiEEEESD_SD_SD_jNS0_19identity_decomposerENS1_16block_id_wrapperIjLb1EEEEE10hipError_tT1_PNSt15iterator_traitsISI_E10value_typeET2_T3_PNSJ_ISO_E10value_typeET4_T5_PST_SU_PNS1_23onesweep_lookback_stateEbbT6_jjT7_P12ihipStream_tbENKUlT_T0_SI_SN_E_clISD_PiSD_S15_EEDaS11_S12_SI_SN_EUlS11_E_NS1_11comp_targetILNS1_3genE6ELNS1_11target_archE950ELNS1_3gpuE13ELNS1_3repE0EEENS1_47radix_sort_onesweep_sort_config_static_selectorELNS0_4arch9wavefront6targetE1EEEvSI_
	.globl	_ZN7rocprim17ROCPRIM_400000_NS6detail17trampoline_kernelINS0_14default_configENS1_35radix_sort_onesweep_config_selectorIiiEEZZNS1_29radix_sort_onesweep_iterationIS3_Lb1EN6thrust23THRUST_200600_302600_NS6detail15normal_iteratorINS8_10device_ptrIiEEEESD_SD_SD_jNS0_19identity_decomposerENS1_16block_id_wrapperIjLb1EEEEE10hipError_tT1_PNSt15iterator_traitsISI_E10value_typeET2_T3_PNSJ_ISO_E10value_typeET4_T5_PST_SU_PNS1_23onesweep_lookback_stateEbbT6_jjT7_P12ihipStream_tbENKUlT_T0_SI_SN_E_clISD_PiSD_S15_EEDaS11_S12_SI_SN_EUlS11_E_NS1_11comp_targetILNS1_3genE6ELNS1_11target_archE950ELNS1_3gpuE13ELNS1_3repE0EEENS1_47radix_sort_onesweep_sort_config_static_selectorELNS0_4arch9wavefront6targetE1EEEvSI_
	.p2align	8
	.type	_ZN7rocprim17ROCPRIM_400000_NS6detail17trampoline_kernelINS0_14default_configENS1_35radix_sort_onesweep_config_selectorIiiEEZZNS1_29radix_sort_onesweep_iterationIS3_Lb1EN6thrust23THRUST_200600_302600_NS6detail15normal_iteratorINS8_10device_ptrIiEEEESD_SD_SD_jNS0_19identity_decomposerENS1_16block_id_wrapperIjLb1EEEEE10hipError_tT1_PNSt15iterator_traitsISI_E10value_typeET2_T3_PNSJ_ISO_E10value_typeET4_T5_PST_SU_PNS1_23onesweep_lookback_stateEbbT6_jjT7_P12ihipStream_tbENKUlT_T0_SI_SN_E_clISD_PiSD_S15_EEDaS11_S12_SI_SN_EUlS11_E_NS1_11comp_targetILNS1_3genE6ELNS1_11target_archE950ELNS1_3gpuE13ELNS1_3repE0EEENS1_47radix_sort_onesweep_sort_config_static_selectorELNS0_4arch9wavefront6targetE1EEEvSI_,@function
_ZN7rocprim17ROCPRIM_400000_NS6detail17trampoline_kernelINS0_14default_configENS1_35radix_sort_onesweep_config_selectorIiiEEZZNS1_29radix_sort_onesweep_iterationIS3_Lb1EN6thrust23THRUST_200600_302600_NS6detail15normal_iteratorINS8_10device_ptrIiEEEESD_SD_SD_jNS0_19identity_decomposerENS1_16block_id_wrapperIjLb1EEEEE10hipError_tT1_PNSt15iterator_traitsISI_E10value_typeET2_T3_PNSJ_ISO_E10value_typeET4_T5_PST_SU_PNS1_23onesweep_lookback_stateEbbT6_jjT7_P12ihipStream_tbENKUlT_T0_SI_SN_E_clISD_PiSD_S15_EEDaS11_S12_SI_SN_EUlS11_E_NS1_11comp_targetILNS1_3genE6ELNS1_11target_archE950ELNS1_3gpuE13ELNS1_3repE0EEENS1_47radix_sort_onesweep_sort_config_static_selectorELNS0_4arch9wavefront6targetE1EEEvSI_: ; @_ZN7rocprim17ROCPRIM_400000_NS6detail17trampoline_kernelINS0_14default_configENS1_35radix_sort_onesweep_config_selectorIiiEEZZNS1_29radix_sort_onesweep_iterationIS3_Lb1EN6thrust23THRUST_200600_302600_NS6detail15normal_iteratorINS8_10device_ptrIiEEEESD_SD_SD_jNS0_19identity_decomposerENS1_16block_id_wrapperIjLb1EEEEE10hipError_tT1_PNSt15iterator_traitsISI_E10value_typeET2_T3_PNSJ_ISO_E10value_typeET4_T5_PST_SU_PNS1_23onesweep_lookback_stateEbbT6_jjT7_P12ihipStream_tbENKUlT_T0_SI_SN_E_clISD_PiSD_S15_EEDaS11_S12_SI_SN_EUlS11_E_NS1_11comp_targetILNS1_3genE6ELNS1_11target_archE950ELNS1_3gpuE13ELNS1_3repE0EEENS1_47radix_sort_onesweep_sort_config_static_selectorELNS0_4arch9wavefront6targetE1EEEvSI_
; %bb.0:
	s_load_dwordx4 s[60:63], s[0:1], 0x28
	s_load_dwordx2 s[68:69], s[0:1], 0x38
	s_load_dwordx4 s[64:67], s[0:1], 0x44
	v_and_b32_e32 v2, 0x3ff, v0
	v_cmp_eq_u32_e64 s[44:45], 0, v2
	s_and_saveexec_b64 s[4:5], s[44:45]
	s_cbranch_execz .LBB1847_4
; %bb.1:
	s_mov_b64 s[8:9], exec
	v_mbcnt_lo_u32_b32 v1, s8, 0
	v_mbcnt_hi_u32_b32 v1, s9, v1
	v_cmp_eq_u32_e32 vcc, 0, v1
                                        ; implicit-def: $vgpr3
	s_and_saveexec_b64 s[6:7], vcc
	s_cbranch_execz .LBB1847_3
; %bb.2:
	s_load_dwordx2 s[10:11], s[0:1], 0x50
	s_bcnt1_i32_b64 s3, s[8:9]
	v_mov_b32_e32 v3, 0
	v_mov_b32_e32 v4, s3
	s_waitcnt lgkmcnt(0)
	global_atomic_add v3, v3, v4, s[10:11] sc0
.LBB1847_3:
	s_or_b64 exec, exec, s[6:7]
	s_waitcnt vmcnt(0)
	v_readfirstlane_b32 s3, v3
	v_mov_b32_e32 v3, 0
	s_nop 0
	v_add_u32_e32 v1, s3, v1
	ds_write_b32 v3, v1 offset:20544
.LBB1847_4:
	s_or_b64 exec, exec, s[4:5]
	v_mov_b32_e32 v5, 0
	s_load_dwordx8 s[52:59], s[0:1], 0x0
	s_load_dword s3, s[0:1], 0x20
	s_waitcnt lgkmcnt(0)
	s_barrier
	ds_read_b32 v1, v5 offset:20544
	s_mov_b64 s[4:5], -1
	v_mbcnt_lo_u32_b32 v3, -1, 0
	s_waitcnt lgkmcnt(0)
	s_barrier
	v_cmp_le_u32_e32 vcc, s66, v1
	v_readfirstlane_b32 s33, v1
	v_lshlrev_b32_e32 v1, 4, v2
	s_cbranch_vccz .LBB1847_208
; %bb.5:
	s_lshl_b32 s4, s66, 14
	s_sub_i32 s3, s3, s4
	s_lshl_b32 s4, s33, 14
	s_mov_b32 s5, 0
	s_lshl_b64 s[66:67], s[4:5], 2
	v_mbcnt_hi_u32_b32 v12, -1, v3
	s_add_u32 s4, s52, s66
	v_and_b32_e32 v10, 63, v12
	s_addc_u32 s5, s53, s67
	v_and_b32_e32 v11, 0x3c00, v1
	v_lshlrev_b32_e32 v4, 2, v10
	v_lshl_add_u64 v[8:9], s[4:5], 0, v[4:5]
	v_lshlrev_b32_e32 v6, 2, v11
	v_mov_b32_e32 v7, v5
	v_or_b32_e32 v10, v10, v11
	v_mov_b32_e32 v14, -1
	v_lshl_add_u64 v[8:9], v[8:9], 0, v[6:7]
	v_cmp_gt_u32_e32 vcc, s3, v10
	v_mov_b32_e32 v5, -1
	s_and_saveexec_b64 s[4:5], vcc
	s_cbranch_execz .LBB1847_7
; %bb.6:
	global_load_dword v5, v[8:9], off
	s_waitcnt vmcnt(0)
	v_xor_b32_e32 v5, 0x7fffffff, v5
.LBB1847_7:
	s_or_b64 exec, exec, s[4:5]
	v_or_b32_e32 v7, 64, v10
	v_cmp_gt_u32_e64 s[4:5], s3, v7
	s_and_saveexec_b64 s[6:7], s[4:5]
	s_cbranch_execz .LBB1847_9
; %bb.8:
	global_load_dword v7, v[8:9], off offset:256
	s_waitcnt vmcnt(0)
	v_xor_b32_e32 v14, 0x7fffffff, v7
.LBB1847_9:
	s_or_b64 exec, exec, s[6:7]
	v_or_b32_e32 v7, 0x80, v10
	v_cmp_gt_u32_e64 s[6:7], s3, v7
	v_mov_b32_e32 v7, -1
	v_mov_b32_e32 v15, -1
	s_and_saveexec_b64 s[8:9], s[6:7]
	s_cbranch_execz .LBB1847_11
; %bb.10:
	global_load_dword v11, v[8:9], off offset:512
	s_waitcnt vmcnt(0)
	v_xor_b32_e32 v15, 0x7fffffff, v11
.LBB1847_11:
	s_or_b64 exec, exec, s[8:9]
	v_or_b32_e32 v11, 0xc0, v10
	v_cmp_gt_u32_e64 s[8:9], s3, v11
	s_and_saveexec_b64 s[10:11], s[8:9]
	s_cbranch_execz .LBB1847_13
; %bb.12:
	global_load_dword v7, v[8:9], off offset:768
	s_waitcnt vmcnt(0)
	v_xor_b32_e32 v7, 0x7fffffff, v7
.LBB1847_13:
	s_or_b64 exec, exec, s[10:11]
	v_or_b32_e32 v11, 0x100, v10
	v_cmp_gt_u32_e64 s[10:11], s3, v11
	v_mov_b32_e32 v16, -1
	v_mov_b32_e32 v17, -1
	s_and_saveexec_b64 s[12:13], s[10:11]
	s_cbranch_execz .LBB1847_15
; %bb.14:
	global_load_dword v11, v[8:9], off offset:1024
	s_waitcnt vmcnt(0)
	v_xor_b32_e32 v17, 0x7fffffff, v11
.LBB1847_15:
	;; [unrolled: 22-line block ×7, first 2 shown]
	s_or_b64 exec, exec, s[34:35]
	v_or_b32_e32 v10, 0x3c0, v10
	v_cmp_gt_u32_e64 s[34:35], s3, v10
	s_and_saveexec_b64 s[36:37], s[34:35]
	s_cbranch_execz .LBB1847_37
; %bb.36:
	global_load_dword v8, v[8:9], off offset:3840
	s_waitcnt vmcnt(0)
	v_xor_b32_e32 v26, 0x7fffffff, v8
.LBB1847_37:
	s_or_b64 exec, exec, s[36:37]
	s_load_dword s36, s[0:1], 0x64
	s_load_dword s70, s[0:1], 0x58
	s_add_u32 s37, s0, 0x58
	s_addc_u32 s38, s1, 0
	v_mov_b32_e32 v9, 0
	s_waitcnt lgkmcnt(0)
	s_lshr_b32 s39, s36, 16
	s_cmp_lt_u32 s2, s70
	s_cselect_b32 s36, 12, 18
	s_add_u32 s36, s37, s36
	s_addc_u32 s37, s38, 0
	global_load_ushort v40, v9, s[36:37]
	v_lshrrev_b32_e32 v29, s64, v5
	s_lshl_b32 s36, -1, s65
	v_bfe_u32 v8, v0, 10, 10
	v_bfe_u32 v11, v0, 20, 10
	v_bitop3_b32 v38, v29, s36, v29 bitop3:0x30
	s_movk_i32 s72, 0x44
	v_mad_u32_u24 v42, v11, s39, v8
	v_and_b32_e32 v8, 1, v38
	v_lshlrev_b32_e32 v11, 30, v38
	v_mov_b32_e32 v10, v9
	v_mov_b32_e32 v30, v9
	s_not_b32 s71, s36
	v_mul_lo_u32 v43, v38, s72
	v_lshlrev_b32_e32 v29, 29, v38
	v_lshlrev_b32_e32 v31, 28, v38
	;; [unrolled: 1-line block ×6, first 2 shown]
	v_lshl_add_u64 v[38:39], v[8:9], 0, -1
	v_cmp_ne_u32_e64 s[36:37], 0, v8
	v_not_b32_e32 v8, v11
	v_mov_b32_e32 v28, v9
	v_mov_b32_e32 v32, v9
	v_cmp_gt_i64_e64 s[38:39], 0, v[10:11]
	v_not_b32_e32 v10, v29
	v_cmp_gt_i64_e64 s[42:43], 0, v[30:31]
	v_not_b32_e32 v11, v31
	v_xor_b32_e32 v31, s37, v39
	v_ashrrev_i32_e32 v8, 31, v8
	v_mov_b32_e32 v34, v9
	v_cmp_gt_i64_e64 s[40:41], 0, v[28:29]
	v_cmp_gt_i64_e64 s[46:47], 0, v[32:33]
	v_not_b32_e32 v28, v33
	v_xor_b32_e32 v32, s36, v38
	v_ashrrev_i32_e32 v10, 31, v10
	v_and_b32_e32 v31, exec_hi, v31
	v_xor_b32_e32 v33, s39, v8
	v_cmp_gt_i64_e64 s[48:49], 0, v[34:35]
	v_ashrrev_i32_e32 v11, 31, v11
	v_and_b32_e32 v32, exec_lo, v32
	v_xor_b32_e32 v8, s38, v8
	v_xor_b32_e32 v34, s41, v10
	v_and_b32_e32 v31, v31, v33
	v_mov_b32_e32 v36, v9
	v_not_b32_e32 v29, v35
	v_ashrrev_i32_e32 v28, 31, v28
	v_xor_b32_e32 v10, s40, v10
	v_xor_b32_e32 v35, s43, v11
	v_and_b32_e32 v8, v32, v8
	v_and_b32_e32 v31, v31, v34
	v_cmp_gt_i64_e64 s[50:51], 0, v[36:37]
	v_not_b32_e32 v30, v37
	v_ashrrev_i32_e32 v29, 31, v29
	v_xor_b32_e32 v36, s47, v28
	v_and_b32_e32 v8, v8, v10
	v_and_b32_e32 v10, v31, v35
	v_ashrrev_i32_e32 v30, 31, v30
	v_xor_b32_e32 v11, s42, v11
	v_xor_b32_e32 v37, s49, v29
	v_and_b32_e32 v10, v10, v36
	v_xor_b32_e32 v28, s46, v28
	v_xor_b32_e32 v38, s51, v30
	v_and_b32_e32 v8, v8, v11
	v_and_b32_e32 v10, v10, v37
	;; [unrolled: 1-line block ×4, first 2 shown]
	v_xor_b32_e32 v29, s48, v29
	v_xor_b32_e32 v30, s50, v30
	v_and_b32_e32 v8, v8, v29
	v_and_b32_e32 v8, v8, v30
	v_mul_u32_u24_e32 v13, 20, v2
	ds_write2_b32 v13, v9, v9 offset0:16 offset1:17
	ds_write2_b32 v13, v9, v9 offset0:18 offset1:19
	ds_write_b32 v13, v9 offset:80
	s_waitcnt lgkmcnt(0)
	s_barrier
	s_waitcnt vmcnt(0)
	; wave barrier
	v_mad_u64_u32 v[10:11], s[36:37], v42, v40, v[2:3]
	v_lshrrev_b32_e32 v39, 6, v10
	v_mov_b32_e32 v40, v9
	v_not_b32_e32 v10, v41
	v_cmp_gt_i64_e64 s[36:37], 0, v[40:41]
	v_ashrrev_i32_e32 v10, 31, v10
	v_lshl_add_u32 v32, v39, 2, v43
	v_xor_b32_e32 v11, s37, v10
	v_xor_b32_e32 v10, s36, v10
	v_and_b32_e32 v10, v8, v10
	v_and_b32_e32 v11, v28, v11
	v_mbcnt_lo_u32_b32 v8, v10, 0
	v_mbcnt_hi_u32_b32 v29, v11, v8
	v_cmp_eq_u32_e64 s[36:37], 0, v29
	v_cmp_ne_u64_e64 s[38:39], 0, v[10:11]
	s_and_b64 s[38:39], s[38:39], s[36:37]
	s_and_saveexec_b64 s[36:37], s[38:39]
; %bb.38:
	v_bcnt_u32_b32 v8, v10, 0
	v_bcnt_u32_b32 v8, v11, v8
	ds_write_b32 v32, v8 offset:64
; %bb.39:
	s_or_b64 exec, exec, s[36:37]
	v_lshrrev_b32_e32 v8, s64, v14
	v_and_b32_e32 v30, s71, v8
	v_mul_lo_u32 v8, v30, s72
	v_lshl_add_u32 v34, v39, 2, v8
	v_and_b32_e32 v8, 1, v30
	v_lshl_add_u64 v[10:11], v[8:9], 0, -1
	v_cmp_ne_u32_e64 s[36:37], 0, v8
	; wave barrier
	s_nop 1
	v_xor_b32_e32 v10, s36, v10
	v_xor_b32_e32 v8, s37, v11
	v_and_b32_e32 v31, exec_lo, v10
	v_lshlrev_b32_e32 v11, 30, v30
	v_mov_b32_e32 v10, v9
	v_cmp_gt_i64_e64 s[36:37], 0, v[10:11]
	v_not_b32_e32 v10, v11
	v_ashrrev_i32_e32 v10, 31, v10
	v_and_b32_e32 v8, exec_hi, v8
	v_xor_b32_e32 v11, s37, v10
	v_xor_b32_e32 v10, s36, v10
	v_and_b32_e32 v8, v8, v11
	v_and_b32_e32 v31, v31, v10
	v_lshlrev_b32_e32 v11, 29, v30
	v_mov_b32_e32 v10, v9
	v_cmp_gt_i64_e64 s[36:37], 0, v[10:11]
	v_not_b32_e32 v10, v11
	v_ashrrev_i32_e32 v10, 31, v10
	v_xor_b32_e32 v11, s37, v10
	v_xor_b32_e32 v10, s36, v10
	v_and_b32_e32 v8, v8, v11
	v_and_b32_e32 v31, v31, v10
	v_lshlrev_b32_e32 v11, 28, v30
	v_mov_b32_e32 v10, v9
	v_cmp_gt_i64_e64 s[36:37], 0, v[10:11]
	v_not_b32_e32 v10, v11
	v_ashrrev_i32_e32 v10, 31, v10
	;; [unrolled: 9-line block ×5, first 2 shown]
	v_xor_b32_e32 v11, s37, v10
	v_xor_b32_e32 v10, s36, v10
	v_and_b32_e32 v8, v8, v11
	v_lshlrev_b32_e32 v11, 24, v30
	v_and_b32_e32 v31, v31, v10
	v_mov_b32_e32 v10, v9
	v_not_b32_e32 v9, v11
	v_cmp_gt_i64_e64 s[36:37], 0, v[10:11]
	v_ashrrev_i32_e32 v9, 31, v9
	ds_read_b32 v28, v34 offset:64
	v_xor_b32_e32 v10, s37, v9
	v_xor_b32_e32 v11, s36, v9
	v_and_b32_e32 v9, v8, v10
	v_and_b32_e32 v8, v31, v11
	v_mbcnt_lo_u32_b32 v10, v8, 0
	v_mbcnt_hi_u32_b32 v30, v9, v10
	v_cmp_eq_u32_e64 s[36:37], 0, v30
	v_cmp_ne_u64_e64 s[38:39], 0, v[8:9]
	s_and_b64 s[38:39], s[38:39], s[36:37]
	; wave barrier
	s_and_saveexec_b64 s[36:37], s[38:39]
	s_cbranch_execz .LBB1847_41
; %bb.40:
	v_bcnt_u32_b32 v8, v8, 0
	v_bcnt_u32_b32 v8, v9, v8
	s_waitcnt lgkmcnt(0)
	v_add_u32_e32 v8, v28, v8
	ds_write_b32 v34, v8 offset:64
.LBB1847_41:
	s_or_b64 exec, exec, s[36:37]
	v_lshrrev_b32_e32 v8, s64, v15
	v_and_b32_e32 v33, s71, v8
	s_movk_i32 s40, 0x44
	v_mul_lo_u32 v8, v33, s40
	v_lshl_add_u32 v37, v39, 2, v8
	v_and_b32_e32 v8, 1, v33
	v_mov_b32_e32 v9, 0
	v_lshl_add_u64 v[10:11], v[8:9], 0, -1
	v_cmp_ne_u32_e64 s[36:37], 0, v8
	; wave barrier
	s_nop 1
	v_xor_b32_e32 v10, s36, v10
	v_xor_b32_e32 v8, s37, v11
	v_and_b32_e32 v35, exec_lo, v10
	v_lshlrev_b32_e32 v11, 30, v33
	v_mov_b32_e32 v10, v9
	v_cmp_gt_i64_e64 s[36:37], 0, v[10:11]
	v_not_b32_e32 v10, v11
	v_ashrrev_i32_e32 v10, 31, v10
	v_and_b32_e32 v8, exec_hi, v8
	v_xor_b32_e32 v11, s37, v10
	v_xor_b32_e32 v10, s36, v10
	v_and_b32_e32 v8, v8, v11
	v_and_b32_e32 v35, v35, v10
	v_lshlrev_b32_e32 v11, 29, v33
	v_mov_b32_e32 v10, v9
	v_cmp_gt_i64_e64 s[36:37], 0, v[10:11]
	v_not_b32_e32 v10, v11
	v_ashrrev_i32_e32 v10, 31, v10
	v_xor_b32_e32 v11, s37, v10
	v_xor_b32_e32 v10, s36, v10
	v_and_b32_e32 v8, v8, v11
	v_and_b32_e32 v35, v35, v10
	v_lshlrev_b32_e32 v11, 28, v33
	v_mov_b32_e32 v10, v9
	v_cmp_gt_i64_e64 s[36:37], 0, v[10:11]
	v_not_b32_e32 v10, v11
	v_ashrrev_i32_e32 v10, 31, v10
	;; [unrolled: 9-line block ×6, first 2 shown]
	v_xor_b32_e32 v11, s37, v10
	v_xor_b32_e32 v10, s36, v10
	ds_read_b32 v31, v37 offset:64
	v_and_b32_e32 v10, v35, v10
	v_and_b32_e32 v11, v8, v11
	v_mbcnt_lo_u32_b32 v8, v10, 0
	v_mbcnt_hi_u32_b32 v33, v11, v8
	v_cmp_eq_u32_e64 s[36:37], 0, v33
	v_cmp_ne_u64_e64 s[38:39], 0, v[10:11]
	s_and_b64 s[38:39], s[38:39], s[36:37]
	; wave barrier
	s_and_saveexec_b64 s[36:37], s[38:39]
	s_cbranch_execz .LBB1847_43
; %bb.42:
	v_bcnt_u32_b32 v8, v10, 0
	v_bcnt_u32_b32 v8, v11, v8
	s_waitcnt lgkmcnt(0)
	v_add_u32_e32 v8, v31, v8
	ds_write_b32 v37, v8 offset:64
.LBB1847_43:
	s_or_b64 exec, exec, s[36:37]
	v_lshrrev_b32_e32 v8, s64, v7
	v_and_b32_e32 v36, s71, v8
	v_mul_lo_u32 v8, v36, s40
	v_lshl_add_u32 v41, v39, 2, v8
	v_and_b32_e32 v8, 1, v36
	v_lshl_add_u64 v[10:11], v[8:9], 0, -1
	v_cmp_ne_u32_e64 s[36:37], 0, v8
	; wave barrier
	s_nop 1
	v_xor_b32_e32 v10, s36, v10
	v_xor_b32_e32 v8, s37, v11
	v_and_b32_e32 v38, exec_lo, v10
	v_lshlrev_b32_e32 v11, 30, v36
	v_mov_b32_e32 v10, v9
	v_cmp_gt_i64_e64 s[36:37], 0, v[10:11]
	v_not_b32_e32 v10, v11
	v_ashrrev_i32_e32 v10, 31, v10
	v_and_b32_e32 v8, exec_hi, v8
	v_xor_b32_e32 v11, s37, v10
	v_xor_b32_e32 v10, s36, v10
	v_and_b32_e32 v8, v8, v11
	v_and_b32_e32 v38, v38, v10
	v_lshlrev_b32_e32 v11, 29, v36
	v_mov_b32_e32 v10, v9
	v_cmp_gt_i64_e64 s[36:37], 0, v[10:11]
	v_not_b32_e32 v10, v11
	v_ashrrev_i32_e32 v10, 31, v10
	v_xor_b32_e32 v11, s37, v10
	v_xor_b32_e32 v10, s36, v10
	v_and_b32_e32 v8, v8, v11
	v_and_b32_e32 v38, v38, v10
	v_lshlrev_b32_e32 v11, 28, v36
	v_mov_b32_e32 v10, v9
	v_cmp_gt_i64_e64 s[36:37], 0, v[10:11]
	v_not_b32_e32 v10, v11
	v_ashrrev_i32_e32 v10, 31, v10
	;; [unrolled: 9-line block ×5, first 2 shown]
	v_xor_b32_e32 v11, s37, v10
	v_xor_b32_e32 v10, s36, v10
	v_and_b32_e32 v8, v8, v11
	v_lshlrev_b32_e32 v11, 24, v36
	v_and_b32_e32 v38, v38, v10
	v_mov_b32_e32 v10, v9
	v_not_b32_e32 v9, v11
	v_cmp_gt_i64_e64 s[36:37], 0, v[10:11]
	v_ashrrev_i32_e32 v9, 31, v9
	ds_read_b32 v35, v41 offset:64
	v_xor_b32_e32 v10, s37, v9
	v_xor_b32_e32 v11, s36, v9
	v_and_b32_e32 v9, v8, v10
	v_and_b32_e32 v8, v38, v11
	v_mbcnt_lo_u32_b32 v10, v8, 0
	v_mbcnt_hi_u32_b32 v36, v9, v10
	v_cmp_eq_u32_e64 s[36:37], 0, v36
	v_cmp_ne_u64_e64 s[38:39], 0, v[8:9]
	s_and_b64 s[38:39], s[38:39], s[36:37]
	; wave barrier
	s_and_saveexec_b64 s[36:37], s[38:39]
	s_cbranch_execz .LBB1847_45
; %bb.44:
	v_bcnt_u32_b32 v8, v8, 0
	v_bcnt_u32_b32 v8, v9, v8
	s_waitcnt lgkmcnt(0)
	v_add_u32_e32 v8, v35, v8
	ds_write_b32 v41, v8 offset:64
.LBB1847_45:
	s_or_b64 exec, exec, s[36:37]
	v_lshrrev_b32_e32 v8, s64, v17
	v_and_b32_e32 v40, s71, v8
	v_mul_lo_u32 v8, v40, s40
	v_lshl_add_u32 v44, v39, 2, v8
	v_and_b32_e32 v8, 1, v40
	v_mov_b32_e32 v9, 0
	v_lshl_add_u64 v[10:11], v[8:9], 0, -1
	v_cmp_ne_u32_e64 s[36:37], 0, v8
	; wave barrier
	s_nop 1
	v_xor_b32_e32 v10, s36, v10
	v_xor_b32_e32 v8, s37, v11
	v_and_b32_e32 v42, exec_lo, v10
	v_lshlrev_b32_e32 v11, 30, v40
	v_mov_b32_e32 v10, v9
	v_cmp_gt_i64_e64 s[36:37], 0, v[10:11]
	v_not_b32_e32 v10, v11
	v_ashrrev_i32_e32 v10, 31, v10
	v_and_b32_e32 v8, exec_hi, v8
	v_xor_b32_e32 v11, s37, v10
	v_xor_b32_e32 v10, s36, v10
	v_and_b32_e32 v8, v8, v11
	v_and_b32_e32 v42, v42, v10
	v_lshlrev_b32_e32 v11, 29, v40
	v_mov_b32_e32 v10, v9
	v_cmp_gt_i64_e64 s[36:37], 0, v[10:11]
	v_not_b32_e32 v10, v11
	v_ashrrev_i32_e32 v10, 31, v10
	v_xor_b32_e32 v11, s37, v10
	v_xor_b32_e32 v10, s36, v10
	v_and_b32_e32 v8, v8, v11
	v_and_b32_e32 v42, v42, v10
	v_lshlrev_b32_e32 v11, 28, v40
	v_mov_b32_e32 v10, v9
	v_cmp_gt_i64_e64 s[36:37], 0, v[10:11]
	v_not_b32_e32 v10, v11
	v_ashrrev_i32_e32 v10, 31, v10
	;; [unrolled: 9-line block ×6, first 2 shown]
	v_xor_b32_e32 v11, s37, v10
	v_xor_b32_e32 v10, s36, v10
	ds_read_b32 v38, v44 offset:64
	v_and_b32_e32 v10, v42, v10
	v_and_b32_e32 v11, v8, v11
	v_mbcnt_lo_u32_b32 v8, v10, 0
	v_mbcnt_hi_u32_b32 v40, v11, v8
	v_cmp_eq_u32_e64 s[36:37], 0, v40
	v_cmp_ne_u64_e64 s[38:39], 0, v[10:11]
	s_and_b64 s[38:39], s[38:39], s[36:37]
	; wave barrier
	s_and_saveexec_b64 s[36:37], s[38:39]
	s_cbranch_execz .LBB1847_47
; %bb.46:
	v_bcnt_u32_b32 v8, v10, 0
	v_bcnt_u32_b32 v8, v11, v8
	s_waitcnt lgkmcnt(0)
	v_add_u32_e32 v8, v38, v8
	ds_write_b32 v44, v8 offset:64
.LBB1847_47:
	s_or_b64 exec, exec, s[36:37]
	v_lshrrev_b32_e32 v8, s64, v16
	v_and_b32_e32 v43, s71, v8
	v_mul_lo_u32 v8, v43, s40
	v_lshl_add_u32 v46, v39, 2, v8
	v_and_b32_e32 v8, 1, v43
	v_lshl_add_u64 v[10:11], v[8:9], 0, -1
	v_cmp_ne_u32_e64 s[36:37], 0, v8
	; wave barrier
	s_nop 1
	v_xor_b32_e32 v10, s36, v10
	v_xor_b32_e32 v8, s37, v11
	v_and_b32_e32 v45, exec_lo, v10
	v_lshlrev_b32_e32 v11, 30, v43
	v_mov_b32_e32 v10, v9
	v_cmp_gt_i64_e64 s[36:37], 0, v[10:11]
	v_not_b32_e32 v10, v11
	v_ashrrev_i32_e32 v10, 31, v10
	v_and_b32_e32 v8, exec_hi, v8
	v_xor_b32_e32 v11, s37, v10
	v_xor_b32_e32 v10, s36, v10
	v_and_b32_e32 v8, v8, v11
	v_and_b32_e32 v45, v45, v10
	v_lshlrev_b32_e32 v11, 29, v43
	v_mov_b32_e32 v10, v9
	v_cmp_gt_i64_e64 s[36:37], 0, v[10:11]
	v_not_b32_e32 v10, v11
	v_ashrrev_i32_e32 v10, 31, v10
	v_xor_b32_e32 v11, s37, v10
	v_xor_b32_e32 v10, s36, v10
	v_and_b32_e32 v8, v8, v11
	v_and_b32_e32 v45, v45, v10
	v_lshlrev_b32_e32 v11, 28, v43
	v_mov_b32_e32 v10, v9
	v_cmp_gt_i64_e64 s[36:37], 0, v[10:11]
	v_not_b32_e32 v10, v11
	v_ashrrev_i32_e32 v10, 31, v10
	;; [unrolled: 9-line block ×5, first 2 shown]
	v_xor_b32_e32 v11, s37, v10
	v_xor_b32_e32 v10, s36, v10
	v_and_b32_e32 v8, v8, v11
	v_lshlrev_b32_e32 v11, 24, v43
	v_and_b32_e32 v45, v45, v10
	v_mov_b32_e32 v10, v9
	v_not_b32_e32 v9, v11
	v_cmp_gt_i64_e64 s[36:37], 0, v[10:11]
	v_ashrrev_i32_e32 v9, 31, v9
	ds_read_b32 v42, v46 offset:64
	v_xor_b32_e32 v10, s37, v9
	v_xor_b32_e32 v11, s36, v9
	v_and_b32_e32 v9, v8, v10
	v_and_b32_e32 v8, v45, v11
	v_mbcnt_lo_u32_b32 v10, v8, 0
	v_mbcnt_hi_u32_b32 v43, v9, v10
	v_cmp_eq_u32_e64 s[36:37], 0, v43
	v_cmp_ne_u64_e64 s[38:39], 0, v[8:9]
	s_and_b64 s[38:39], s[38:39], s[36:37]
	; wave barrier
	s_and_saveexec_b64 s[36:37], s[38:39]
	s_cbranch_execz .LBB1847_49
; %bb.48:
	v_bcnt_u32_b32 v8, v8, 0
	v_bcnt_u32_b32 v8, v9, v8
	s_waitcnt lgkmcnt(0)
	v_add_u32_e32 v8, v42, v8
	ds_write_b32 v46, v8 offset:64
.LBB1847_49:
	s_or_b64 exec, exec, s[36:37]
	v_lshrrev_b32_e32 v8, s64, v19
	v_and_b32_e32 v47, s71, v8
	v_mul_lo_u32 v8, v47, s40
	v_lshl_add_u32 v49, v39, 2, v8
	v_and_b32_e32 v8, 1, v47
	v_mov_b32_e32 v9, 0
	v_lshl_add_u64 v[10:11], v[8:9], 0, -1
	v_cmp_ne_u32_e64 s[36:37], 0, v8
	; wave barrier
	s_nop 1
	v_xor_b32_e32 v10, s36, v10
	v_xor_b32_e32 v8, s37, v11
	v_and_b32_e32 v48, exec_lo, v10
	v_lshlrev_b32_e32 v11, 30, v47
	v_mov_b32_e32 v10, v9
	v_cmp_gt_i64_e64 s[36:37], 0, v[10:11]
	v_not_b32_e32 v10, v11
	v_ashrrev_i32_e32 v10, 31, v10
	v_and_b32_e32 v8, exec_hi, v8
	v_xor_b32_e32 v11, s37, v10
	v_xor_b32_e32 v10, s36, v10
	v_and_b32_e32 v8, v8, v11
	v_and_b32_e32 v48, v48, v10
	v_lshlrev_b32_e32 v11, 29, v47
	v_mov_b32_e32 v10, v9
	v_cmp_gt_i64_e64 s[36:37], 0, v[10:11]
	v_not_b32_e32 v10, v11
	v_ashrrev_i32_e32 v10, 31, v10
	v_xor_b32_e32 v11, s37, v10
	v_xor_b32_e32 v10, s36, v10
	v_and_b32_e32 v8, v8, v11
	v_and_b32_e32 v48, v48, v10
	v_lshlrev_b32_e32 v11, 28, v47
	v_mov_b32_e32 v10, v9
	v_cmp_gt_i64_e64 s[36:37], 0, v[10:11]
	v_not_b32_e32 v10, v11
	v_ashrrev_i32_e32 v10, 31, v10
	;; [unrolled: 9-line block ×6, first 2 shown]
	v_xor_b32_e32 v11, s37, v10
	v_xor_b32_e32 v10, s36, v10
	ds_read_b32 v45, v49 offset:64
	v_and_b32_e32 v10, v48, v10
	v_and_b32_e32 v11, v8, v11
	v_mbcnt_lo_u32_b32 v8, v10, 0
	v_mbcnt_hi_u32_b32 v47, v11, v8
	v_cmp_eq_u32_e64 s[36:37], 0, v47
	v_cmp_ne_u64_e64 s[38:39], 0, v[10:11]
	s_and_b64 s[38:39], s[38:39], s[36:37]
	; wave barrier
	s_and_saveexec_b64 s[36:37], s[38:39]
	s_cbranch_execz .LBB1847_51
; %bb.50:
	v_bcnt_u32_b32 v8, v10, 0
	v_bcnt_u32_b32 v8, v11, v8
	s_waitcnt lgkmcnt(0)
	v_add_u32_e32 v8, v45, v8
	ds_write_b32 v49, v8 offset:64
.LBB1847_51:
	s_or_b64 exec, exec, s[36:37]
	v_lshrrev_b32_e32 v8, s64, v18
	v_and_b32_e32 v50, s71, v8
	v_mul_lo_u32 v8, v50, s40
	v_lshl_add_u32 v52, v39, 2, v8
	v_and_b32_e32 v8, 1, v50
	v_lshl_add_u64 v[10:11], v[8:9], 0, -1
	v_cmp_ne_u32_e64 s[36:37], 0, v8
	; wave barrier
	s_nop 1
	v_xor_b32_e32 v10, s36, v10
	v_xor_b32_e32 v8, s37, v11
	v_and_b32_e32 v51, exec_lo, v10
	v_lshlrev_b32_e32 v11, 30, v50
	v_mov_b32_e32 v10, v9
	v_cmp_gt_i64_e64 s[36:37], 0, v[10:11]
	v_not_b32_e32 v10, v11
	v_ashrrev_i32_e32 v10, 31, v10
	v_and_b32_e32 v8, exec_hi, v8
	v_xor_b32_e32 v11, s37, v10
	v_xor_b32_e32 v10, s36, v10
	v_and_b32_e32 v8, v8, v11
	v_and_b32_e32 v51, v51, v10
	v_lshlrev_b32_e32 v11, 29, v50
	v_mov_b32_e32 v10, v9
	v_cmp_gt_i64_e64 s[36:37], 0, v[10:11]
	v_not_b32_e32 v10, v11
	v_ashrrev_i32_e32 v10, 31, v10
	v_xor_b32_e32 v11, s37, v10
	v_xor_b32_e32 v10, s36, v10
	v_and_b32_e32 v8, v8, v11
	v_and_b32_e32 v51, v51, v10
	v_lshlrev_b32_e32 v11, 28, v50
	v_mov_b32_e32 v10, v9
	v_cmp_gt_i64_e64 s[36:37], 0, v[10:11]
	v_not_b32_e32 v10, v11
	v_ashrrev_i32_e32 v10, 31, v10
	;; [unrolled: 9-line block ×5, first 2 shown]
	v_xor_b32_e32 v11, s37, v10
	v_xor_b32_e32 v10, s36, v10
	v_and_b32_e32 v8, v8, v11
	v_lshlrev_b32_e32 v11, 24, v50
	v_and_b32_e32 v51, v51, v10
	v_mov_b32_e32 v10, v9
	v_not_b32_e32 v9, v11
	v_cmp_gt_i64_e64 s[36:37], 0, v[10:11]
	v_ashrrev_i32_e32 v9, 31, v9
	ds_read_b32 v48, v52 offset:64
	v_xor_b32_e32 v10, s37, v9
	v_xor_b32_e32 v11, s36, v9
	v_and_b32_e32 v9, v8, v10
	v_and_b32_e32 v8, v51, v11
	v_mbcnt_lo_u32_b32 v10, v8, 0
	v_mbcnt_hi_u32_b32 v50, v9, v10
	v_cmp_eq_u32_e64 s[36:37], 0, v50
	v_cmp_ne_u64_e64 s[38:39], 0, v[8:9]
	s_and_b64 s[38:39], s[38:39], s[36:37]
	; wave barrier
	s_and_saveexec_b64 s[36:37], s[38:39]
	s_cbranch_execz .LBB1847_53
; %bb.52:
	v_bcnt_u32_b32 v8, v8, 0
	v_bcnt_u32_b32 v8, v9, v8
	s_waitcnt lgkmcnt(0)
	v_add_u32_e32 v8, v48, v8
	ds_write_b32 v52, v8 offset:64
.LBB1847_53:
	s_or_b64 exec, exec, s[36:37]
	v_lshrrev_b32_e32 v8, s64, v21
	v_and_b32_e32 v53, s71, v8
	v_mul_lo_u32 v8, v53, s40
	v_lshl_add_u32 v55, v39, 2, v8
	v_and_b32_e32 v8, 1, v53
	v_mov_b32_e32 v9, 0
	v_lshl_add_u64 v[10:11], v[8:9], 0, -1
	v_cmp_ne_u32_e64 s[36:37], 0, v8
	; wave barrier
	s_nop 1
	v_xor_b32_e32 v10, s36, v10
	v_xor_b32_e32 v8, s37, v11
	v_and_b32_e32 v54, exec_lo, v10
	v_lshlrev_b32_e32 v11, 30, v53
	v_mov_b32_e32 v10, v9
	v_cmp_gt_i64_e64 s[36:37], 0, v[10:11]
	v_not_b32_e32 v10, v11
	v_ashrrev_i32_e32 v10, 31, v10
	v_and_b32_e32 v8, exec_hi, v8
	v_xor_b32_e32 v11, s37, v10
	v_xor_b32_e32 v10, s36, v10
	v_and_b32_e32 v8, v8, v11
	v_and_b32_e32 v54, v54, v10
	v_lshlrev_b32_e32 v11, 29, v53
	v_mov_b32_e32 v10, v9
	v_cmp_gt_i64_e64 s[36:37], 0, v[10:11]
	v_not_b32_e32 v10, v11
	v_ashrrev_i32_e32 v10, 31, v10
	v_xor_b32_e32 v11, s37, v10
	v_xor_b32_e32 v10, s36, v10
	v_and_b32_e32 v8, v8, v11
	v_and_b32_e32 v54, v54, v10
	v_lshlrev_b32_e32 v11, 28, v53
	v_mov_b32_e32 v10, v9
	v_cmp_gt_i64_e64 s[36:37], 0, v[10:11]
	v_not_b32_e32 v10, v11
	v_ashrrev_i32_e32 v10, 31, v10
	;; [unrolled: 9-line block ×6, first 2 shown]
	v_xor_b32_e32 v11, s37, v10
	v_xor_b32_e32 v10, s36, v10
	ds_read_b32 v51, v55 offset:64
	v_and_b32_e32 v10, v54, v10
	v_and_b32_e32 v11, v8, v11
	v_mbcnt_lo_u32_b32 v8, v10, 0
	v_mbcnt_hi_u32_b32 v53, v11, v8
	v_cmp_eq_u32_e64 s[36:37], 0, v53
	v_cmp_ne_u64_e64 s[38:39], 0, v[10:11]
	s_and_b64 s[38:39], s[38:39], s[36:37]
	; wave barrier
	s_and_saveexec_b64 s[36:37], s[38:39]
	s_cbranch_execz .LBB1847_55
; %bb.54:
	v_bcnt_u32_b32 v8, v10, 0
	v_bcnt_u32_b32 v8, v11, v8
	s_waitcnt lgkmcnt(0)
	v_add_u32_e32 v8, v51, v8
	ds_write_b32 v55, v8 offset:64
.LBB1847_55:
	s_or_b64 exec, exec, s[36:37]
	v_lshrrev_b32_e32 v8, s64, v20
	v_and_b32_e32 v56, s71, v8
	v_mul_lo_u32 v8, v56, s40
	v_lshl_add_u32 v58, v39, 2, v8
	v_and_b32_e32 v8, 1, v56
	v_lshl_add_u64 v[10:11], v[8:9], 0, -1
	v_cmp_ne_u32_e64 s[36:37], 0, v8
	; wave barrier
	s_nop 1
	v_xor_b32_e32 v10, s36, v10
	v_xor_b32_e32 v8, s37, v11
	v_and_b32_e32 v57, exec_lo, v10
	v_lshlrev_b32_e32 v11, 30, v56
	v_mov_b32_e32 v10, v9
	v_cmp_gt_i64_e64 s[36:37], 0, v[10:11]
	v_not_b32_e32 v10, v11
	v_ashrrev_i32_e32 v10, 31, v10
	v_and_b32_e32 v8, exec_hi, v8
	v_xor_b32_e32 v11, s37, v10
	v_xor_b32_e32 v10, s36, v10
	v_and_b32_e32 v8, v8, v11
	v_and_b32_e32 v57, v57, v10
	v_lshlrev_b32_e32 v11, 29, v56
	v_mov_b32_e32 v10, v9
	v_cmp_gt_i64_e64 s[36:37], 0, v[10:11]
	v_not_b32_e32 v10, v11
	v_ashrrev_i32_e32 v10, 31, v10
	v_xor_b32_e32 v11, s37, v10
	v_xor_b32_e32 v10, s36, v10
	v_and_b32_e32 v8, v8, v11
	v_and_b32_e32 v57, v57, v10
	v_lshlrev_b32_e32 v11, 28, v56
	v_mov_b32_e32 v10, v9
	v_cmp_gt_i64_e64 s[36:37], 0, v[10:11]
	v_not_b32_e32 v10, v11
	v_ashrrev_i32_e32 v10, 31, v10
	;; [unrolled: 9-line block ×5, first 2 shown]
	v_xor_b32_e32 v11, s37, v10
	v_xor_b32_e32 v10, s36, v10
	v_and_b32_e32 v8, v8, v11
	v_lshlrev_b32_e32 v11, 24, v56
	v_and_b32_e32 v57, v57, v10
	v_mov_b32_e32 v10, v9
	v_not_b32_e32 v9, v11
	v_cmp_gt_i64_e64 s[36:37], 0, v[10:11]
	v_ashrrev_i32_e32 v9, 31, v9
	ds_read_b32 v54, v58 offset:64
	v_xor_b32_e32 v10, s37, v9
	v_xor_b32_e32 v11, s36, v9
	v_and_b32_e32 v9, v8, v10
	v_and_b32_e32 v8, v57, v11
	v_mbcnt_lo_u32_b32 v10, v8, 0
	v_mbcnt_hi_u32_b32 v56, v9, v10
	v_cmp_eq_u32_e64 s[36:37], 0, v56
	v_cmp_ne_u64_e64 s[38:39], 0, v[8:9]
	s_and_b64 s[38:39], s[38:39], s[36:37]
	; wave barrier
	s_and_saveexec_b64 s[36:37], s[38:39]
	s_cbranch_execz .LBB1847_57
; %bb.56:
	v_bcnt_u32_b32 v8, v8, 0
	v_bcnt_u32_b32 v8, v9, v8
	s_waitcnt lgkmcnt(0)
	v_add_u32_e32 v8, v54, v8
	ds_write_b32 v58, v8 offset:64
.LBB1847_57:
	s_or_b64 exec, exec, s[36:37]
	v_lshrrev_b32_e32 v8, s64, v23
	v_and_b32_e32 v59, s71, v8
	v_mul_lo_u32 v8, v59, s40
	v_lshl_add_u32 v61, v39, 2, v8
	v_and_b32_e32 v8, 1, v59
	v_mov_b32_e32 v9, 0
	v_lshl_add_u64 v[10:11], v[8:9], 0, -1
	v_cmp_ne_u32_e64 s[36:37], 0, v8
	; wave barrier
	s_nop 1
	v_xor_b32_e32 v10, s36, v10
	v_xor_b32_e32 v8, s37, v11
	v_and_b32_e32 v60, exec_lo, v10
	v_lshlrev_b32_e32 v11, 30, v59
	v_mov_b32_e32 v10, v9
	v_cmp_gt_i64_e64 s[36:37], 0, v[10:11]
	v_not_b32_e32 v10, v11
	v_ashrrev_i32_e32 v10, 31, v10
	v_and_b32_e32 v8, exec_hi, v8
	v_xor_b32_e32 v11, s37, v10
	v_xor_b32_e32 v10, s36, v10
	v_and_b32_e32 v8, v8, v11
	v_and_b32_e32 v60, v60, v10
	v_lshlrev_b32_e32 v11, 29, v59
	v_mov_b32_e32 v10, v9
	v_cmp_gt_i64_e64 s[36:37], 0, v[10:11]
	v_not_b32_e32 v10, v11
	v_ashrrev_i32_e32 v10, 31, v10
	v_xor_b32_e32 v11, s37, v10
	v_xor_b32_e32 v10, s36, v10
	v_and_b32_e32 v8, v8, v11
	v_and_b32_e32 v60, v60, v10
	v_lshlrev_b32_e32 v11, 28, v59
	v_mov_b32_e32 v10, v9
	v_cmp_gt_i64_e64 s[36:37], 0, v[10:11]
	v_not_b32_e32 v10, v11
	v_ashrrev_i32_e32 v10, 31, v10
	;; [unrolled: 9-line block ×6, first 2 shown]
	v_xor_b32_e32 v11, s37, v10
	v_xor_b32_e32 v10, s36, v10
	ds_read_b32 v57, v61 offset:64
	v_and_b32_e32 v10, v60, v10
	v_and_b32_e32 v11, v8, v11
	v_mbcnt_lo_u32_b32 v8, v10, 0
	v_mbcnt_hi_u32_b32 v59, v11, v8
	v_cmp_eq_u32_e64 s[36:37], 0, v59
	v_cmp_ne_u64_e64 s[38:39], 0, v[10:11]
	s_and_b64 s[38:39], s[38:39], s[36:37]
	; wave barrier
	s_and_saveexec_b64 s[36:37], s[38:39]
	s_cbranch_execz .LBB1847_59
; %bb.58:
	v_bcnt_u32_b32 v8, v10, 0
	v_bcnt_u32_b32 v8, v11, v8
	s_waitcnt lgkmcnt(0)
	v_add_u32_e32 v8, v57, v8
	ds_write_b32 v61, v8 offset:64
.LBB1847_59:
	s_or_b64 exec, exec, s[36:37]
	v_lshrrev_b32_e32 v8, s64, v22
	v_and_b32_e32 v62, s71, v8
	v_mul_lo_u32 v8, v62, s40
	v_lshl_add_u32 v64, v39, 2, v8
	v_and_b32_e32 v8, 1, v62
	v_lshl_add_u64 v[10:11], v[8:9], 0, -1
	v_cmp_ne_u32_e64 s[36:37], 0, v8
	; wave barrier
	s_nop 1
	v_xor_b32_e32 v10, s36, v10
	v_xor_b32_e32 v8, s37, v11
	v_and_b32_e32 v63, exec_lo, v10
	v_lshlrev_b32_e32 v11, 30, v62
	v_mov_b32_e32 v10, v9
	v_cmp_gt_i64_e64 s[36:37], 0, v[10:11]
	v_not_b32_e32 v10, v11
	v_ashrrev_i32_e32 v10, 31, v10
	v_and_b32_e32 v8, exec_hi, v8
	v_xor_b32_e32 v11, s37, v10
	v_xor_b32_e32 v10, s36, v10
	v_and_b32_e32 v8, v8, v11
	v_and_b32_e32 v63, v63, v10
	v_lshlrev_b32_e32 v11, 29, v62
	v_mov_b32_e32 v10, v9
	v_cmp_gt_i64_e64 s[36:37], 0, v[10:11]
	v_not_b32_e32 v10, v11
	v_ashrrev_i32_e32 v10, 31, v10
	v_xor_b32_e32 v11, s37, v10
	v_xor_b32_e32 v10, s36, v10
	v_and_b32_e32 v8, v8, v11
	v_and_b32_e32 v63, v63, v10
	v_lshlrev_b32_e32 v11, 28, v62
	v_mov_b32_e32 v10, v9
	v_cmp_gt_i64_e64 s[36:37], 0, v[10:11]
	v_not_b32_e32 v10, v11
	v_ashrrev_i32_e32 v10, 31, v10
	v_xor_b32_e32 v11, s37, v10
	v_xor_b32_e32 v10, s36, v10
	v_and_b32_e32 v8, v8, v11
	v_and_b32_e32 v63, v63, v10
	v_lshlrev_b32_e32 v11, 27, v62
	v_mov_b32_e32 v10, v9
	v_cmp_gt_i64_e64 s[36:37], 0, v[10:11]
	v_not_b32_e32 v10, v11
	v_ashrrev_i32_e32 v10, 31, v10
	v_xor_b32_e32 v11, s37, v10
	v_xor_b32_e32 v10, s36, v10
	v_and_b32_e32 v8, v8, v11
	v_and_b32_e32 v63, v63, v10
	v_lshlrev_b32_e32 v11, 26, v62
	v_mov_b32_e32 v10, v9
	v_cmp_gt_i64_e64 s[36:37], 0, v[10:11]
	v_not_b32_e32 v10, v11
	v_ashrrev_i32_e32 v10, 31, v10
	v_xor_b32_e32 v11, s37, v10
	v_xor_b32_e32 v10, s36, v10
	v_and_b32_e32 v8, v8, v11
	v_and_b32_e32 v63, v63, v10
	v_lshlrev_b32_e32 v11, 25, v62
	v_mov_b32_e32 v10, v9
	v_cmp_gt_i64_e64 s[36:37], 0, v[10:11]
	v_not_b32_e32 v10, v11
	v_ashrrev_i32_e32 v10, 31, v10
	v_xor_b32_e32 v11, s37, v10
	v_xor_b32_e32 v10, s36, v10
	v_and_b32_e32 v8, v8, v11
	v_lshlrev_b32_e32 v11, 24, v62
	v_and_b32_e32 v63, v63, v10
	v_mov_b32_e32 v10, v9
	v_not_b32_e32 v9, v11
	v_cmp_gt_i64_e64 s[36:37], 0, v[10:11]
	v_ashrrev_i32_e32 v9, 31, v9
	ds_read_b32 v60, v64 offset:64
	v_xor_b32_e32 v10, s37, v9
	v_xor_b32_e32 v11, s36, v9
	v_and_b32_e32 v9, v8, v10
	v_and_b32_e32 v8, v63, v11
	v_mbcnt_lo_u32_b32 v10, v8, 0
	v_mbcnt_hi_u32_b32 v62, v9, v10
	v_cmp_eq_u32_e64 s[36:37], 0, v62
	v_cmp_ne_u64_e64 s[38:39], 0, v[8:9]
	s_and_b64 s[38:39], s[38:39], s[36:37]
	; wave barrier
	s_and_saveexec_b64 s[36:37], s[38:39]
	s_cbranch_execz .LBB1847_61
; %bb.60:
	v_bcnt_u32_b32 v8, v8, 0
	v_bcnt_u32_b32 v8, v9, v8
	s_waitcnt lgkmcnt(0)
	v_add_u32_e32 v8, v60, v8
	ds_write_b32 v64, v8 offset:64
.LBB1847_61:
	s_or_b64 exec, exec, s[36:37]
	v_lshrrev_b32_e32 v8, s64, v25
	v_and_b32_e32 v65, s71, v8
	v_mul_lo_u32 v8, v65, s40
	v_lshl_add_u32 v67, v39, 2, v8
	v_and_b32_e32 v8, 1, v65
	v_mov_b32_e32 v9, 0
	v_lshl_add_u64 v[10:11], v[8:9], 0, -1
	v_cmp_ne_u32_e64 s[36:37], 0, v8
	; wave barrier
	s_nop 1
	v_xor_b32_e32 v10, s36, v10
	v_xor_b32_e32 v8, s37, v11
	v_and_b32_e32 v66, exec_lo, v10
	v_lshlrev_b32_e32 v11, 30, v65
	v_mov_b32_e32 v10, v9
	v_cmp_gt_i64_e64 s[36:37], 0, v[10:11]
	v_not_b32_e32 v10, v11
	v_ashrrev_i32_e32 v10, 31, v10
	v_and_b32_e32 v8, exec_hi, v8
	v_xor_b32_e32 v11, s37, v10
	v_xor_b32_e32 v10, s36, v10
	v_and_b32_e32 v8, v8, v11
	v_and_b32_e32 v66, v66, v10
	v_lshlrev_b32_e32 v11, 29, v65
	v_mov_b32_e32 v10, v9
	v_cmp_gt_i64_e64 s[36:37], 0, v[10:11]
	v_not_b32_e32 v10, v11
	v_ashrrev_i32_e32 v10, 31, v10
	v_xor_b32_e32 v11, s37, v10
	v_xor_b32_e32 v10, s36, v10
	v_and_b32_e32 v8, v8, v11
	v_and_b32_e32 v66, v66, v10
	v_lshlrev_b32_e32 v11, 28, v65
	v_mov_b32_e32 v10, v9
	v_cmp_gt_i64_e64 s[36:37], 0, v[10:11]
	v_not_b32_e32 v10, v11
	v_ashrrev_i32_e32 v10, 31, v10
	;; [unrolled: 9-line block ×6, first 2 shown]
	v_xor_b32_e32 v11, s37, v10
	v_xor_b32_e32 v10, s36, v10
	ds_read_b32 v63, v67 offset:64
	v_and_b32_e32 v10, v66, v10
	v_and_b32_e32 v11, v8, v11
	v_mbcnt_lo_u32_b32 v8, v10, 0
	v_mbcnt_hi_u32_b32 v65, v11, v8
	v_cmp_eq_u32_e64 s[36:37], 0, v65
	v_cmp_ne_u64_e64 s[38:39], 0, v[10:11]
	s_and_b64 s[38:39], s[38:39], s[36:37]
	; wave barrier
	s_and_saveexec_b64 s[36:37], s[38:39]
	s_cbranch_execz .LBB1847_63
; %bb.62:
	v_bcnt_u32_b32 v8, v10, 0
	v_bcnt_u32_b32 v8, v11, v8
	s_waitcnt lgkmcnt(0)
	v_add_u32_e32 v8, v63, v8
	ds_write_b32 v67, v8 offset:64
.LBB1847_63:
	s_or_b64 exec, exec, s[36:37]
	v_lshrrev_b32_e32 v8, s64, v24
	v_and_b32_e32 v68, s71, v8
	v_mul_lo_u32 v8, v68, s40
	v_lshl_add_u32 v70, v39, 2, v8
	v_and_b32_e32 v8, 1, v68
	v_lshl_add_u64 v[10:11], v[8:9], 0, -1
	v_cmp_ne_u32_e64 s[36:37], 0, v8
	; wave barrier
	s_nop 1
	v_xor_b32_e32 v10, s36, v10
	v_xor_b32_e32 v8, s37, v11
	v_and_b32_e32 v69, exec_lo, v10
	v_lshlrev_b32_e32 v11, 30, v68
	v_mov_b32_e32 v10, v9
	v_cmp_gt_i64_e64 s[36:37], 0, v[10:11]
	v_not_b32_e32 v10, v11
	v_ashrrev_i32_e32 v10, 31, v10
	v_and_b32_e32 v8, exec_hi, v8
	v_xor_b32_e32 v11, s37, v10
	v_xor_b32_e32 v10, s36, v10
	v_and_b32_e32 v8, v8, v11
	v_and_b32_e32 v69, v69, v10
	v_lshlrev_b32_e32 v11, 29, v68
	v_mov_b32_e32 v10, v9
	v_cmp_gt_i64_e64 s[36:37], 0, v[10:11]
	v_not_b32_e32 v10, v11
	v_ashrrev_i32_e32 v10, 31, v10
	v_xor_b32_e32 v11, s37, v10
	v_xor_b32_e32 v10, s36, v10
	v_and_b32_e32 v8, v8, v11
	v_and_b32_e32 v69, v69, v10
	v_lshlrev_b32_e32 v11, 28, v68
	v_mov_b32_e32 v10, v9
	v_cmp_gt_i64_e64 s[36:37], 0, v[10:11]
	v_not_b32_e32 v10, v11
	v_ashrrev_i32_e32 v10, 31, v10
	;; [unrolled: 9-line block ×5, first 2 shown]
	v_xor_b32_e32 v11, s37, v10
	v_xor_b32_e32 v10, s36, v10
	v_and_b32_e32 v8, v8, v11
	v_lshlrev_b32_e32 v11, 24, v68
	v_and_b32_e32 v69, v69, v10
	v_mov_b32_e32 v10, v9
	v_not_b32_e32 v9, v11
	v_cmp_gt_i64_e64 s[36:37], 0, v[10:11]
	v_ashrrev_i32_e32 v9, 31, v9
	ds_read_b32 v66, v70 offset:64
	v_xor_b32_e32 v10, s37, v9
	v_xor_b32_e32 v11, s36, v9
	v_and_b32_e32 v9, v8, v10
	v_and_b32_e32 v8, v69, v11
	v_mbcnt_lo_u32_b32 v10, v8, 0
	v_mbcnt_hi_u32_b32 v68, v9, v10
	v_cmp_eq_u32_e64 s[36:37], 0, v68
	v_cmp_ne_u64_e64 s[38:39], 0, v[8:9]
	s_and_b64 s[38:39], s[38:39], s[36:37]
	; wave barrier
	s_and_saveexec_b64 s[36:37], s[38:39]
	s_cbranch_execz .LBB1847_65
; %bb.64:
	v_bcnt_u32_b32 v8, v8, 0
	v_bcnt_u32_b32 v8, v9, v8
	s_waitcnt lgkmcnt(0)
	v_add_u32_e32 v8, v66, v8
	ds_write_b32 v70, v8 offset:64
.LBB1847_65:
	s_or_b64 exec, exec, s[36:37]
	v_lshrrev_b32_e32 v8, s64, v27
	v_and_b32_e32 v71, s71, v8
	v_mul_lo_u32 v8, v71, s40
	v_lshl_add_u32 v72, v39, 2, v8
	v_and_b32_e32 v8, 1, v71
	v_mov_b32_e32 v9, 0
	v_lshl_add_u64 v[10:11], v[8:9], 0, -1
	v_cmp_ne_u32_e64 s[36:37], 0, v8
	; wave barrier
	s_nop 1
	v_xor_b32_e32 v10, s36, v10
	v_xor_b32_e32 v8, s37, v11
	v_and_b32_e32 v73, exec_lo, v10
	v_lshlrev_b32_e32 v11, 30, v71
	v_mov_b32_e32 v10, v9
	v_cmp_gt_i64_e64 s[36:37], 0, v[10:11]
	v_not_b32_e32 v10, v11
	v_ashrrev_i32_e32 v10, 31, v10
	v_and_b32_e32 v8, exec_hi, v8
	v_xor_b32_e32 v11, s37, v10
	v_xor_b32_e32 v10, s36, v10
	v_and_b32_e32 v8, v8, v11
	v_and_b32_e32 v73, v73, v10
	v_lshlrev_b32_e32 v11, 29, v71
	v_mov_b32_e32 v10, v9
	v_cmp_gt_i64_e64 s[36:37], 0, v[10:11]
	v_not_b32_e32 v10, v11
	v_ashrrev_i32_e32 v10, 31, v10
	v_xor_b32_e32 v11, s37, v10
	v_xor_b32_e32 v10, s36, v10
	v_and_b32_e32 v8, v8, v11
	v_and_b32_e32 v73, v73, v10
	v_lshlrev_b32_e32 v11, 28, v71
	v_mov_b32_e32 v10, v9
	v_cmp_gt_i64_e64 s[36:37], 0, v[10:11]
	v_not_b32_e32 v10, v11
	v_ashrrev_i32_e32 v10, 31, v10
	;; [unrolled: 9-line block ×6, first 2 shown]
	v_xor_b32_e32 v11, s37, v10
	v_xor_b32_e32 v10, s36, v10
	ds_read_b32 v69, v72 offset:64
	v_and_b32_e32 v10, v73, v10
	v_and_b32_e32 v11, v8, v11
	v_mbcnt_lo_u32_b32 v8, v10, 0
	v_mbcnt_hi_u32_b32 v71, v11, v8
	v_cmp_eq_u32_e64 s[36:37], 0, v71
	v_cmp_ne_u64_e64 s[38:39], 0, v[10:11]
	s_and_b64 s[38:39], s[38:39], s[36:37]
	; wave barrier
	s_and_saveexec_b64 s[36:37], s[38:39]
	s_cbranch_execz .LBB1847_67
; %bb.66:
	v_bcnt_u32_b32 v8, v10, 0
	v_bcnt_u32_b32 v8, v11, v8
	s_waitcnt lgkmcnt(0)
	v_add_u32_e32 v8, v69, v8
	ds_write_b32 v72, v8 offset:64
.LBB1847_67:
	s_or_b64 exec, exec, s[36:37]
	v_lshrrev_b32_e32 v8, s64, v26
	v_and_b32_e32 v73, s71, v8
	v_mul_lo_u32 v8, v73, s40
	v_lshl_add_u32 v74, v39, 2, v8
	v_and_b32_e32 v8, 1, v73
	v_lshl_add_u64 v[10:11], v[8:9], 0, -1
	v_cmp_ne_u32_e64 s[36:37], 0, v8
	; wave barrier
	s_nop 1
	v_xor_b32_e32 v10, s36, v10
	v_xor_b32_e32 v8, s37, v11
	v_and_b32_e32 v75, exec_lo, v10
	v_lshlrev_b32_e32 v11, 30, v73
	v_mov_b32_e32 v10, v9
	v_cmp_gt_i64_e64 s[36:37], 0, v[10:11]
	v_not_b32_e32 v10, v11
	v_ashrrev_i32_e32 v10, 31, v10
	v_and_b32_e32 v8, exec_hi, v8
	v_xor_b32_e32 v11, s37, v10
	v_xor_b32_e32 v10, s36, v10
	v_and_b32_e32 v8, v8, v11
	v_and_b32_e32 v75, v75, v10
	v_lshlrev_b32_e32 v11, 29, v73
	v_mov_b32_e32 v10, v9
	v_cmp_gt_i64_e64 s[36:37], 0, v[10:11]
	v_not_b32_e32 v10, v11
	v_ashrrev_i32_e32 v10, 31, v10
	v_xor_b32_e32 v11, s37, v10
	v_xor_b32_e32 v10, s36, v10
	v_and_b32_e32 v8, v8, v11
	v_and_b32_e32 v75, v75, v10
	v_lshlrev_b32_e32 v11, 28, v73
	v_mov_b32_e32 v10, v9
	v_cmp_gt_i64_e64 s[36:37], 0, v[10:11]
	v_not_b32_e32 v10, v11
	v_ashrrev_i32_e32 v10, 31, v10
	;; [unrolled: 9-line block ×5, first 2 shown]
	v_xor_b32_e32 v11, s37, v10
	v_xor_b32_e32 v10, s36, v10
	v_and_b32_e32 v8, v8, v11
	v_lshlrev_b32_e32 v11, 24, v73
	v_and_b32_e32 v75, v75, v10
	v_mov_b32_e32 v10, v9
	v_not_b32_e32 v9, v11
	v_cmp_gt_i64_e64 s[36:37], 0, v[10:11]
	v_ashrrev_i32_e32 v9, 31, v9
	ds_read_b32 v39, v74 offset:64
	v_xor_b32_e32 v10, s37, v9
	v_xor_b32_e32 v11, s36, v9
	v_and_b32_e32 v9, v8, v10
	v_and_b32_e32 v8, v75, v11
	v_mbcnt_lo_u32_b32 v10, v8, 0
	v_mbcnt_hi_u32_b32 v73, v9, v10
	v_cmp_eq_u32_e64 s[36:37], 0, v73
	v_cmp_ne_u64_e64 s[38:39], 0, v[8:9]
	s_and_b64 s[38:39], s[38:39], s[36:37]
	; wave barrier
	s_and_saveexec_b64 s[36:37], s[38:39]
	s_cbranch_execz .LBB1847_69
; %bb.68:
	v_bcnt_u32_b32 v8, v8, 0
	v_bcnt_u32_b32 v8, v9, v8
	s_waitcnt lgkmcnt(0)
	v_add_u32_e32 v8, v39, v8
	ds_write_b32 v74, v8 offset:64
.LBB1847_69:
	s_or_b64 exec, exec, s[36:37]
	; wave barrier
	s_waitcnt lgkmcnt(0)
	s_barrier
	ds_read2_b32 v[10:11], v13 offset0:16 offset1:17
	ds_read2_b32 v[8:9], v13 offset0:18 offset1:19
	ds_read_b32 v75, v13 offset:80
	v_cmp_lt_u32_e64 s[46:47], 31, v12
	s_waitcnt lgkmcnt(1)
	v_add3_u32 v76, v11, v10, v8
	s_waitcnt lgkmcnt(0)
	v_add3_u32 v75, v76, v9, v75
	v_and_b32_e32 v76, 15, v12
	v_cmp_eq_u32_e64 s[36:37], 0, v76
	v_mov_b32_dpp v77, v75 row_shr:1 row_mask:0xf bank_mask:0xf
	v_cmp_lt_u32_e64 s[38:39], 1, v76
	v_cndmask_b32_e64 v77, v77, 0, s[36:37]
	v_add_u32_e32 v75, v77, v75
	v_cmp_lt_u32_e64 s[40:41], 3, v76
	v_cmp_lt_u32_e64 s[42:43], 7, v76
	v_mov_b32_dpp v77, v75 row_shr:2 row_mask:0xf bank_mask:0xf
	v_cndmask_b32_e64 v77, 0, v77, s[38:39]
	v_add_u32_e32 v75, v75, v77
	s_nop 1
	v_mov_b32_dpp v77, v75 row_shr:4 row_mask:0xf bank_mask:0xf
	v_cndmask_b32_e64 v77, 0, v77, s[40:41]
	v_add_u32_e32 v75, v75, v77
	s_nop 1
	v_mov_b32_dpp v77, v75 row_shr:8 row_mask:0xf bank_mask:0xf
	v_cndmask_b32_e64 v76, 0, v77, s[42:43]
	v_add_u32_e32 v75, v75, v76
	v_bfe_i32 v77, v12, 4, 1
	s_nop 0
	v_mov_b32_dpp v76, v75 row_bcast:15 row_mask:0xf bank_mask:0xf
	v_and_b32_e32 v76, v77, v76
	v_add_u32_e32 v75, v75, v76
	v_and_b32_e32 v77, 63, v2
	s_nop 0
	v_mov_b32_dpp v76, v75 row_bcast:31 row_mask:0xf bank_mask:0xf
	v_cndmask_b32_e64 v76, 0, v76, s[46:47]
	v_add_u32_e32 v75, v75, v76
	v_lshrrev_b32_e32 v76, 6, v2
	v_cmp_eq_u32_e64 s[46:47], 63, v77
	s_and_saveexec_b64 s[48:49], s[46:47]
; %bb.70:
	v_lshlrev_b32_e32 v77, 2, v76
	ds_write_b32 v77, v75
; %bb.71:
	s_or_b64 exec, exec, s[48:49]
	v_cmp_gt_u32_e64 s[46:47], 16, v2
	s_waitcnt lgkmcnt(0)
	s_barrier
	s_and_saveexec_b64 s[48:49], s[46:47]
	s_cbranch_execz .LBB1847_73
; %bb.72:
	v_lshlrev_b32_e32 v77, 2, v2
	ds_read_b32 v78, v77
	s_waitcnt lgkmcnt(0)
	s_nop 0
	v_mov_b32_dpp v79, v78 row_shr:1 row_mask:0xf bank_mask:0xf
	v_cndmask_b32_e64 v79, v79, 0, s[36:37]
	v_add_u32_e32 v78, v79, v78
	s_nop 1
	v_mov_b32_dpp v79, v78 row_shr:2 row_mask:0xf bank_mask:0xf
	v_cndmask_b32_e64 v79, 0, v79, s[38:39]
	v_add_u32_e32 v78, v78, v79
	;; [unrolled: 4-line block ×4, first 2 shown]
	ds_write_b32 v77, v78
.LBB1847_73:
	s_or_b64 exec, exec, s[48:49]
	v_cmp_lt_u32_e64 s[36:37], 63, v2
	v_mov_b32_e32 v77, 0
	s_waitcnt lgkmcnt(0)
	s_barrier
	s_and_saveexec_b64 s[38:39], s[36:37]
; %bb.74:
	v_lshl_add_u32 v76, v76, 2, -4
	ds_read_b32 v77, v76
; %bb.75:
	s_or_b64 exec, exec, s[38:39]
	v_subrev_co_u32_e64 v76, s[36:37], 1, v12
	v_and_b32_e32 v78, 64, v12
	v_cmp_lt_i32_e64 s[38:39], v76, v78
	s_waitcnt lgkmcnt(0)
	v_add_u32_e32 v75, v77, v75
	s_movk_i32 s40, 0x100
	v_cndmask_b32_e64 v12, v76, v12, s[38:39]
	v_lshlrev_b32_e32 v12, 2, v12
	ds_bpermute_b32 v12, v12, v75
	v_cmp_gt_u32_e64 s[38:39], s40, v2
	s_waitcnt lgkmcnt(0)
	v_cndmask_b32_e64 v12, v12, v77, s[36:37]
	v_cndmask_b32_e64 v12, v12, 0, s[44:45]
	v_add_u32_e32 v10, v12, v10
	v_add_u32_e32 v11, v10, v11
	;; [unrolled: 1-line block ×4, first 2 shown]
	ds_write2_b32 v13, v12, v10 offset0:16 offset1:17
	ds_write2_b32 v13, v11, v8 offset0:18 offset1:19
	ds_write_b32 v13, v9 offset:80
	s_waitcnt lgkmcnt(0)
	s_barrier
	ds_read_b32 v84, v32 offset:64
	ds_read_b32 v75, v34 offset:64
	;; [unrolled: 1-line block ×16, first 2 shown]
	s_movk_i32 s36, 0xff
	v_cmp_lt_u32_e64 s[36:37], s36, v2
                                        ; implicit-def: $vgpr32
                                        ; implicit-def: $vgpr34
	s_and_saveexec_b64 s[42:43], s[38:39]
	s_cbranch_execz .LBB1847_79
; %bb.76:
	v_mul_u32_u24_e32 v8, 0x44, v2
	ds_read_b32 v32, v8 offset:64
	v_add_u32_e32 v9, 1, v2
	v_cmp_ne_u32_e64 s[40:41], s40, v9
	v_mov_b32_e32 v8, 0x4000
	s_and_saveexec_b64 s[46:47], s[40:41]
; %bb.77:
	v_mul_u32_u24_e32 v8, 0x44, v9
	ds_read_b32 v8, v8 offset:64
; %bb.78:
	s_or_b64 exec, exec, s[46:47]
	s_waitcnt lgkmcnt(0)
	v_sub_u32_e32 v34, v8, v32
.LBB1847_79:
	s_or_b64 exec, exec, s[42:43]
	v_mov_b32_e32 v9, 0
	v_lshlrev_b32_e32 v37, 2, v2
	s_waitcnt lgkmcnt(0)
	s_barrier
	s_and_saveexec_b64 s[40:41], s[38:39]
	s_cbranch_execz .LBB1847_89
; %bb.80:
	v_lshl_add_u32 v8, s33, 8, v2
	v_lshl_add_u64 v[10:11], v[8:9], 2, s[68:69]
	v_or_b32_e32 v8, 2.0, v34
	s_mov_b64 s[42:43], 0
	s_brev_b32 s50, -4
	s_mov_b32 s51, s33
	v_mov_b32_e32 v55, 0
	global_store_dword v[10:11], v8, off sc1
                                        ; implicit-def: $sgpr38_sgpr39
	s_branch .LBB1847_83
.LBB1847_81:                            ;   in Loop: Header=BB1847_83 Depth=1
	s_or_b64 exec, exec, s[48:49]
.LBB1847_82:                            ;   in Loop: Header=BB1847_83 Depth=1
	s_or_b64 exec, exec, s[46:47]
	v_and_b32_e32 v12, 0x3fffffff, v8
	v_add_u32_e32 v55, v12, v55
	v_cmp_gt_i32_e64 s[38:39], -2.0, v8
	s_and_b64 s[46:47], exec, s[38:39]
	s_or_b64 s[42:43], s[46:47], s[42:43]
	s_andn2_b64 exec, exec, s[42:43]
	s_cbranch_execz .LBB1847_88
.LBB1847_83:                            ; =>This Loop Header: Depth=1
                                        ;     Child Loop BB1847_86 Depth 2
	s_or_b64 s[38:39], s[38:39], exec
	s_cmp_eq_u32 s51, 0
	s_cbranch_scc1 .LBB1847_87
; %bb.84:                               ;   in Loop: Header=BB1847_83 Depth=1
	s_add_i32 s51, s51, -1
	v_lshl_or_b32 v8, s51, 8, v2
	v_lshl_add_u64 v[12:13], v[8:9], 2, s[68:69]
	global_load_dword v8, v[12:13], off sc1
	s_waitcnt vmcnt(0)
	v_cmp_gt_u32_e64 s[38:39], 2.0, v8
	s_and_saveexec_b64 s[46:47], s[38:39]
	s_cbranch_execz .LBB1847_82
; %bb.85:                               ;   in Loop: Header=BB1847_83 Depth=1
	s_mov_b64 s[48:49], 0
.LBB1847_86:                            ;   Parent Loop BB1847_83 Depth=1
                                        ; =>  This Inner Loop Header: Depth=2
	global_load_dword v8, v[12:13], off sc1
	s_waitcnt vmcnt(0)
	v_cmp_lt_u32_e64 s[38:39], s50, v8
	s_or_b64 s[48:49], s[38:39], s[48:49]
	s_andn2_b64 exec, exec, s[48:49]
	s_cbranch_execnz .LBB1847_86
	s_branch .LBB1847_81
.LBB1847_87:                            ;   in Loop: Header=BB1847_83 Depth=1
                                        ; implicit-def: $sgpr51
	s_and_b64 s[46:47], exec, s[38:39]
	s_or_b64 s[42:43], s[46:47], s[42:43]
	s_andn2_b64 exec, exec, s[42:43]
	s_cbranch_execnz .LBB1847_83
.LBB1847_88:
	s_or_b64 exec, exec, s[42:43]
	v_add_u32_e32 v8, v55, v34
	v_or_b32_e32 v8, 0x80000000, v8
	global_store_dword v[10:11], v8, off sc1
	global_load_dword v8, v37, s[60:61]
	v_sub_u32_e32 v9, v55, v32
	s_waitcnt vmcnt(0)
	v_add_u32_e32 v8, v9, v8
	ds_write_b32 v37, v8
.LBB1847_89:
	s_or_b64 exec, exec, s[40:41]
	v_add_u32_e32 v10, v84, v29
	v_add3_u32 v8, v30, v28, v75
	v_add3_u32 v9, v33, v31, v76
	;; [unrolled: 1-line block ×15, first 2 shown]
	v_mov_b32_e32 v88, 0x400
	s_movk_i32 s42, 0x400
	v_lshl_add_u32 v11, v11, 2, v88
	v_add3_u32 v12, v73, v49, v39
	v_lshl_add_u32 v13, v13, 2, v88
	v_add3_u32 v29, v71, v44, v69
	;; [unrolled: 2-line block ×15, first 2 shown]
	v_lshl_add_u32 v30, v10, 2, v88
	s_mov_b32 s43, 0
	s_mov_b32 s46, 0
	s_movk_i32 s47, 0x1000
	v_mov_b32_e32 v9, 0
	s_movk_i32 s48, 0x800
	s_movk_i32 s49, 0xc00
	v_mov_b32_e32 v59, v2
	s_mov_b32 s50, 0
	s_branch .LBB1847_91
.LBB1847_90:                            ;   in Loop: Header=BB1847_91 Depth=1
	s_or_b64 exec, exec, s[40:41]
	s_addk_i32 s50, 0xc000
	s_add_i32 s43, s43, 16
	s_addk_i32 s46, 0xf000
	s_cmp_eq_u32 s50, 0xffff0000
	v_add_u32_e32 v59, 0x1000, v59
	s_barrier
	s_cbranch_scc1 .LBB1847_131
.LBB1847_91:                            ; =>This Inner Loop Header: Depth=1
	v_add_u32_e32 v8, s46, v10
	v_cmp_gt_u32_e64 s[38:39], s47, v8
	s_and_saveexec_b64 s[40:41], s[38:39]
; %bb.92:                               ;   in Loop: Header=BB1847_91 Depth=1
	v_add_u32_e32 v8, s50, v30
	ds_write_b32 v8, v5
; %bb.93:                               ;   in Loop: Header=BB1847_91 Depth=1
	s_or_b64 exec, exec, s[40:41]
	v_add_u32_e32 v8, s46, v28
	v_cmp_gt_u32_e64 s[38:39], s47, v8
	s_and_saveexec_b64 s[40:41], s[38:39]
; %bb.94:                               ;   in Loop: Header=BB1847_91 Depth=1
	v_add_u32_e32 v8, s50, v33
	ds_write_b32 v8, v14
; %bb.95:                               ;   in Loop: Header=BB1847_91 Depth=1
	s_or_b64 exec, exec, s[40:41]
	;; [unrolled: 8-line block ×4, first 2 shown]
	v_add_u32_e32 v8, s46, v38
	v_cmp_gt_u32_e64 s[38:39], s47, v8
	s_and_saveexec_b64 s[40:41], s[38:39]
; %bb.100:                              ;   in Loop: Header=BB1847_91 Depth=1
	v_add_u32_e32 v8, s50, v43
	ds_write_b32 v8, v17
; %bb.101:                              ;   in Loop: Header=BB1847_91 Depth=1
	s_or_b64 exec, exec, s[40:41]
	v_add_u32_e32 v8, s46, v42
	v_cmp_gt_u32_e64 s[38:39], s47, v8
	s_and_saveexec_b64 s[40:41], s[38:39]
; %bb.102:                              ;   in Loop: Header=BB1847_91 Depth=1
	v_add_u32_e32 v8, s50, v47
	ds_write_b32 v8, v16
; %bb.103:                              ;   in Loop: Header=BB1847_91 Depth=1
	s_or_b64 exec, exec, s[40:41]
	;; [unrolled: 8-line block ×12, first 2 shown]
	v_cmp_gt_u32_e64 s[38:39], s3, v59
	s_waitcnt lgkmcnt(0)
	s_barrier
	s_and_saveexec_b64 s[40:41], s[38:39]
	s_cbranch_execz .LBB1847_125
; %bb.124:                              ;   in Loop: Header=BB1847_91 Depth=1
	ds_read_b32 v8, v37 offset:1024
	s_waitcnt lgkmcnt(0)
	v_lshrrev_b32_e32 v60, s64, v8
	v_and_b32_e32 v62, s71, v60
	v_lshlrev_b32_e32 v60, 2, v62
	ds_read_b32 v60, v60
	v_xor_b32_e32 v63, 0x7fffffff, v8
	s_waitcnt lgkmcnt(0)
	v_add_u32_e32 v8, v59, v60
	v_lshl_add_u64 v[60:61], v[8:9], 2, s[54:55]
	global_store_dword v[60:61], v63, off
	scratch_store_dword off, v62, s43
.LBB1847_125:                           ;   in Loop: Header=BB1847_91 Depth=1
	s_or_b64 exec, exec, s[40:41]
	v_add_u32_e32 v8, 0x400, v59
	v_cmp_gt_u32_e64 s[38:39], s3, v8
	s_and_saveexec_b64 s[40:41], s[38:39]
	s_cbranch_execz .LBB1847_127
; %bb.126:                              ;   in Loop: Header=BB1847_91 Depth=1
	ds_read_b32 v8, v37 offset:5120
	s_add_i32 s38, s43, 4
	s_waitcnt lgkmcnt(0)
	v_lshrrev_b32_e32 v60, s64, v8
	v_and_b32_e32 v62, s71, v60
	v_lshlrev_b32_e32 v60, 2, v62
	ds_read_b32 v60, v60
	v_xor_b32_e32 v63, 0x7fffffff, v8
	s_waitcnt lgkmcnt(0)
	v_add3_u32 v8, v59, v60, s42
	v_lshl_add_u64 v[60:61], v[8:9], 2, s[54:55]
	global_store_dword v[60:61], v63, off
	scratch_store_dword off, v62, s38
.LBB1847_127:                           ;   in Loop: Header=BB1847_91 Depth=1
	s_or_b64 exec, exec, s[40:41]
	v_add_u32_e32 v8, 0x800, v59
	v_cmp_gt_u32_e64 s[38:39], s3, v8
	s_and_saveexec_b64 s[40:41], s[38:39]
	s_cbranch_execz .LBB1847_129
; %bb.128:                              ;   in Loop: Header=BB1847_91 Depth=1
	ds_read_b32 v8, v37 offset:9216
	s_add_i32 s38, s43, 8
	s_waitcnt lgkmcnt(0)
	v_lshrrev_b32_e32 v60, s64, v8
	v_and_b32_e32 v62, s71, v60
	v_lshlrev_b32_e32 v60, 2, v62
	ds_read_b32 v60, v60
	v_xor_b32_e32 v63, 0x7fffffff, v8
	s_waitcnt lgkmcnt(0)
	v_add3_u32 v8, v59, v60, s48
	v_lshl_add_u64 v[60:61], v[8:9], 2, s[54:55]
	global_store_dword v[60:61], v63, off
	scratch_store_dword off, v62, s38
.LBB1847_129:                           ;   in Loop: Header=BB1847_91 Depth=1
	s_or_b64 exec, exec, s[40:41]
	v_add_u32_e32 v8, 0xc00, v59
	v_cmp_gt_u32_e64 s[38:39], s3, v8
	s_and_saveexec_b64 s[40:41], s[38:39]
	s_cbranch_execz .LBB1847_90
; %bb.130:                              ;   in Loop: Header=BB1847_91 Depth=1
	ds_read_b32 v8, v37 offset:13312
	s_add_i32 s38, s43, 12
	s_waitcnt lgkmcnt(0)
	v_lshrrev_b32_e32 v60, s64, v8
	v_and_b32_e32 v62, s71, v60
	v_lshlrev_b32_e32 v60, 2, v62
	ds_read_b32 v60, v60
	v_xor_b32_e32 v63, 0x7fffffff, v8
	s_waitcnt lgkmcnt(0)
	v_add3_u32 v8, v59, v60, s49
	v_lshl_add_u64 v[60:61], v[8:9], 2, s[54:55]
	global_store_dword v[60:61], v63, off
	scratch_store_dword off, v62, s38
	s_branch .LBB1847_90
.LBB1847_131:
	s_add_u32 s38, s56, s66
	s_addc_u32 s39, s57, s67
	v_mov_b32_e32 v5, 0
	v_lshl_add_u64 v[8:9], s[38:39], 0, v[4:5]
	v_mov_b32_e32 v7, v5
	v_lshl_add_u64 v[4:5], v[8:9], 0, v[6:7]
                                        ; implicit-def: $vgpr6
	s_and_saveexec_b64 s[38:39], vcc
	s_cbranch_execz .LBB1847_147
; %bb.132:
	global_load_dword v6, v[4:5], off
	s_or_b64 exec, exec, s[38:39]
                                        ; implicit-def: $vgpr7
	s_and_saveexec_b64 s[38:39], s[4:5]
	s_cbranch_execnz .LBB1847_148
.LBB1847_133:
	s_or_b64 exec, exec, s[38:39]
                                        ; implicit-def: $vgpr8
	s_and_saveexec_b64 s[4:5], s[6:7]
	s_cbranch_execz .LBB1847_149
.LBB1847_134:
	global_load_dword v8, v[4:5], off offset:512
	s_or_b64 exec, exec, s[4:5]
                                        ; implicit-def: $vgpr9
	s_and_saveexec_b64 s[4:5], s[8:9]
	s_cbranch_execnz .LBB1847_150
.LBB1847_135:
	s_or_b64 exec, exec, s[4:5]
                                        ; implicit-def: $vgpr14
	s_and_saveexec_b64 s[4:5], s[10:11]
	s_cbranch_execz .LBB1847_151
.LBB1847_136:
	global_load_dword v14, v[4:5], off offset:1024
	s_or_b64 exec, exec, s[4:5]
                                        ; implicit-def: $vgpr15
	s_and_saveexec_b64 s[4:5], s[12:13]
	s_cbranch_execnz .LBB1847_152
.LBB1847_137:
	s_or_b64 exec, exec, s[4:5]
                                        ; implicit-def: $vgpr16
	s_and_saveexec_b64 s[4:5], s[14:15]
	s_cbranch_execz .LBB1847_153
.LBB1847_138:
	global_load_dword v16, v[4:5], off offset:1536
	s_or_b64 exec, exec, s[4:5]
                                        ; implicit-def: $vgpr17
	s_and_saveexec_b64 s[4:5], s[16:17]
	s_cbranch_execnz .LBB1847_154
.LBB1847_139:
	s_or_b64 exec, exec, s[4:5]
                                        ; implicit-def: $vgpr18
	s_and_saveexec_b64 s[4:5], s[18:19]
	s_cbranch_execz .LBB1847_155
.LBB1847_140:
	global_load_dword v18, v[4:5], off offset:2048
	s_or_b64 exec, exec, s[4:5]
                                        ; implicit-def: $vgpr19
	s_and_saveexec_b64 s[4:5], s[20:21]
	s_cbranch_execnz .LBB1847_156
.LBB1847_141:
	s_or_b64 exec, exec, s[4:5]
                                        ; implicit-def: $vgpr20
	s_and_saveexec_b64 s[4:5], s[22:23]
	s_cbranch_execz .LBB1847_157
.LBB1847_142:
	global_load_dword v20, v[4:5], off offset:2560
	s_or_b64 exec, exec, s[4:5]
                                        ; implicit-def: $vgpr21
	s_and_saveexec_b64 s[4:5], s[24:25]
	s_cbranch_execnz .LBB1847_158
.LBB1847_143:
	s_or_b64 exec, exec, s[4:5]
                                        ; implicit-def: $vgpr22
	s_and_saveexec_b64 s[4:5], s[26:27]
	s_cbranch_execz .LBB1847_159
.LBB1847_144:
	global_load_dword v22, v[4:5], off offset:3072
	s_or_b64 exec, exec, s[4:5]
                                        ; implicit-def: $vgpr23
	s_and_saveexec_b64 s[4:5], s[28:29]
	s_cbranch_execnz .LBB1847_160
.LBB1847_145:
	s_or_b64 exec, exec, s[4:5]
                                        ; implicit-def: $vgpr24
	s_and_saveexec_b64 s[4:5], s[30:31]
	s_cbranch_execz .LBB1847_161
.LBB1847_146:
	global_load_dword v24, v[4:5], off offset:3584
	s_or_b64 exec, exec, s[4:5]
                                        ; implicit-def: $vgpr25
	s_and_saveexec_b64 s[4:5], s[34:35]
	s_cbranch_execnz .LBB1847_162
	s_branch .LBB1847_163
.LBB1847_147:
	s_or_b64 exec, exec, s[38:39]
                                        ; implicit-def: $vgpr7
	s_and_saveexec_b64 s[38:39], s[4:5]
	s_cbranch_execz .LBB1847_133
.LBB1847_148:
	global_load_dword v7, v[4:5], off offset:256
	s_or_b64 exec, exec, s[38:39]
                                        ; implicit-def: $vgpr8
	s_and_saveexec_b64 s[4:5], s[6:7]
	s_cbranch_execnz .LBB1847_134
.LBB1847_149:
	s_or_b64 exec, exec, s[4:5]
                                        ; implicit-def: $vgpr9
	s_and_saveexec_b64 s[4:5], s[8:9]
	s_cbranch_execz .LBB1847_135
.LBB1847_150:
	global_load_dword v9, v[4:5], off offset:768
	s_or_b64 exec, exec, s[4:5]
                                        ; implicit-def: $vgpr14
	s_and_saveexec_b64 s[4:5], s[10:11]
	s_cbranch_execnz .LBB1847_136
.LBB1847_151:
	s_or_b64 exec, exec, s[4:5]
                                        ; implicit-def: $vgpr15
	s_and_saveexec_b64 s[4:5], s[12:13]
	s_cbranch_execz .LBB1847_137
.LBB1847_152:
	global_load_dword v15, v[4:5], off offset:1280
	s_or_b64 exec, exec, s[4:5]
                                        ; implicit-def: $vgpr16
	s_and_saveexec_b64 s[4:5], s[14:15]
	s_cbranch_execnz .LBB1847_138
.LBB1847_153:
	s_or_b64 exec, exec, s[4:5]
                                        ; implicit-def: $vgpr17
	s_and_saveexec_b64 s[4:5], s[16:17]
	s_cbranch_execz .LBB1847_139
.LBB1847_154:
	global_load_dword v17, v[4:5], off offset:1792
	s_or_b64 exec, exec, s[4:5]
                                        ; implicit-def: $vgpr18
	s_and_saveexec_b64 s[4:5], s[18:19]
	s_cbranch_execnz .LBB1847_140
.LBB1847_155:
	s_or_b64 exec, exec, s[4:5]
                                        ; implicit-def: $vgpr19
	s_and_saveexec_b64 s[4:5], s[20:21]
	s_cbranch_execz .LBB1847_141
.LBB1847_156:
	global_load_dword v19, v[4:5], off offset:2304
	s_or_b64 exec, exec, s[4:5]
                                        ; implicit-def: $vgpr20
	s_and_saveexec_b64 s[4:5], s[22:23]
	s_cbranch_execnz .LBB1847_142
.LBB1847_157:
	s_or_b64 exec, exec, s[4:5]
                                        ; implicit-def: $vgpr21
	s_and_saveexec_b64 s[4:5], s[24:25]
	s_cbranch_execz .LBB1847_143
.LBB1847_158:
	global_load_dword v21, v[4:5], off offset:2816
	s_or_b64 exec, exec, s[4:5]
                                        ; implicit-def: $vgpr22
	s_and_saveexec_b64 s[4:5], s[26:27]
	s_cbranch_execnz .LBB1847_144
.LBB1847_159:
	s_or_b64 exec, exec, s[4:5]
                                        ; implicit-def: $vgpr23
	s_and_saveexec_b64 s[4:5], s[28:29]
	s_cbranch_execz .LBB1847_145
.LBB1847_160:
	global_load_dword v23, v[4:5], off offset:3328
	s_or_b64 exec, exec, s[4:5]
                                        ; implicit-def: $vgpr24
	s_and_saveexec_b64 s[4:5], s[30:31]
	s_cbranch_execnz .LBB1847_146
.LBB1847_161:
	s_or_b64 exec, exec, s[4:5]
                                        ; implicit-def: $vgpr25
	s_and_saveexec_b64 s[4:5], s[34:35]
	s_cbranch_execz .LBB1847_163
.LBB1847_162:
	global_load_dword v25, v[4:5], off offset:3840
.LBB1847_163:
	s_or_b64 exec, exec, s[4:5]
	s_mov_b32 s6, 0
	s_mov_b32 s7, 0
	s_movk_i32 s8, 0x1000
	v_mov_b32_e32 v5, 0
	s_movk_i32 s9, 0x400
	s_movk_i32 s10, 0x800
	;; [unrolled: 1-line block ×3, first 2 shown]
	s_mov_b32 s12, 0
	v_mov_b32_e32 v26, v2
	s_branch .LBB1847_165
.LBB1847_164:                           ;   in Loop: Header=BB1847_165 Depth=1
	s_or_b64 exec, exec, s[4:5]
	s_addk_i32 s12, 0xc000
	s_addk_i32 s7, 0xf000
	s_add_i32 s6, s6, 16
	s_cmp_eq_u32 s12, 0xffff0000
	v_add_u32_e32 v26, 0x1000, v26
	s_barrier
	s_cbranch_scc1 .LBB1847_205
.LBB1847_165:                           ; =>This Inner Loop Header: Depth=1
	v_add_u32_e32 v4, s7, v10
	v_cmp_gt_u32_e32 vcc, s8, v4
	s_and_saveexec_b64 s[4:5], vcc
	s_cbranch_execz .LBB1847_167
; %bb.166:                              ;   in Loop: Header=BB1847_165 Depth=1
	v_add_u32_e32 v4, s12, v30
	s_waitcnt vmcnt(0)
	ds_write_b32 v4, v6
.LBB1847_167:                           ;   in Loop: Header=BB1847_165 Depth=1
	s_or_b64 exec, exec, s[4:5]
	v_add_u32_e32 v4, s7, v28
	v_cmp_gt_u32_e32 vcc, s8, v4
	s_and_saveexec_b64 s[4:5], vcc
	s_cbranch_execz .LBB1847_169
; %bb.168:                              ;   in Loop: Header=BB1847_165 Depth=1
	v_add_u32_e32 v4, s12, v33
	s_waitcnt vmcnt(0)
	ds_write_b32 v4, v7
.LBB1847_169:                           ;   in Loop: Header=BB1847_165 Depth=1
	s_or_b64 exec, exec, s[4:5]
	;; [unrolled: 10-line block ×16, first 2 shown]
	v_cmp_gt_u32_e32 vcc, s3, v26
	s_waitcnt lgkmcnt(0)
	s_barrier
	s_and_saveexec_b64 s[4:5], vcc
	s_cbranch_execz .LBB1847_199
; %bb.198:                              ;   in Loop: Header=BB1847_165 Depth=1
	scratch_load_dword v4, off, s6
	s_waitcnt vmcnt(0)
	v_lshlrev_b32_e32 v4, 2, v4
	ds_read_b32 v4, v4
	ds_read_b32 v27, v37 offset:1024
	s_waitcnt lgkmcnt(1)
	v_add_u32_e32 v4, v26, v4
	v_lshl_add_u64 v[60:61], v[4:5], 2, s[58:59]
	s_waitcnt lgkmcnt(0)
	global_store_dword v[60:61], v27, off
.LBB1847_199:                           ;   in Loop: Header=BB1847_165 Depth=1
	s_or_b64 exec, exec, s[4:5]
	v_add_u32_e32 v4, 0x400, v26
	v_cmp_gt_u32_e32 vcc, s3, v4
	s_and_saveexec_b64 s[4:5], vcc
	s_cbranch_execz .LBB1847_201
; %bb.200:                              ;   in Loop: Header=BB1847_165 Depth=1
	s_add_i32 s13, s6, 4
	scratch_load_dword v4, off, s13
	s_waitcnt vmcnt(0)
	v_lshlrev_b32_e32 v4, 2, v4
	ds_read_b32 v4, v4
	ds_read_b32 v27, v37 offset:5120
	s_waitcnt lgkmcnt(1)
	v_add3_u32 v4, v26, v4, s9
	v_lshl_add_u64 v[60:61], v[4:5], 2, s[58:59]
	s_waitcnt lgkmcnt(0)
	global_store_dword v[60:61], v27, off
.LBB1847_201:                           ;   in Loop: Header=BB1847_165 Depth=1
	s_or_b64 exec, exec, s[4:5]
	v_add_u32_e32 v4, 0x800, v26
	v_cmp_gt_u32_e32 vcc, s3, v4
	s_and_saveexec_b64 s[4:5], vcc
	s_cbranch_execz .LBB1847_203
; %bb.202:                              ;   in Loop: Header=BB1847_165 Depth=1
	s_add_i32 s13, s6, 8
	scratch_load_dword v4, off, s13
	s_waitcnt vmcnt(0)
	v_lshlrev_b32_e32 v4, 2, v4
	ds_read_b32 v4, v4
	ds_read_b32 v27, v37 offset:9216
	s_waitcnt lgkmcnt(1)
	v_add3_u32 v4, v26, v4, s10
	v_lshl_add_u64 v[60:61], v[4:5], 2, s[58:59]
	s_waitcnt lgkmcnt(0)
	global_store_dword v[60:61], v27, off
.LBB1847_203:                           ;   in Loop: Header=BB1847_165 Depth=1
	s_or_b64 exec, exec, s[4:5]
	v_add_u32_e32 v4, 0xc00, v26
	v_cmp_gt_u32_e32 vcc, s3, v4
	s_and_saveexec_b64 s[4:5], vcc
	s_cbranch_execz .LBB1847_164
; %bb.204:                              ;   in Loop: Header=BB1847_165 Depth=1
	s_add_i32 s13, s6, 12
	scratch_load_dword v4, off, s13
	s_waitcnt vmcnt(0)
	v_lshlrev_b32_e32 v4, 2, v4
	ds_read_b32 v4, v4
	ds_read_b32 v27, v37 offset:13312
	s_waitcnt lgkmcnt(1)
	v_add3_u32 v4, v26, v4, s11
	v_lshl_add_u64 v[60:61], v[4:5], 2, s[58:59]
	s_waitcnt lgkmcnt(0)
	global_store_dword v[60:61], v27, off
	s_branch .LBB1847_164
.LBB1847_205:
	s_add_i32 s70, s70, -1
	s_cmp_eq_u32 s33, s70
	s_cselect_b64 s[4:5], -1, 0
	s_xor_b64 s[6:7], s[36:37], -1
	s_and_b64 s[6:7], s[6:7], s[4:5]
	s_and_saveexec_b64 s[4:5], s[6:7]
	s_cbranch_execz .LBB1847_207
; %bb.206:
	ds_read_b32 v4, v37
	s_waitcnt lgkmcnt(0)
	v_add3_u32 v4, v32, v34, v4
	global_store_dword v37, v4, s[62:63]
.LBB1847_207:
	s_or_b64 exec, exec, s[4:5]
	s_mov_b64 s[4:5], 0
.LBB1847_208:
	s_and_b64 vcc, exec, s[4:5]
	s_cbranch_vccz .LBB1847_331
; %bb.209:
	s_lshl_b32 s4, s33, 14
	s_mov_b32 s5, 0
	s_load_dword s12, s[0:1], 0x58
	s_load_dword s3, s[0:1], 0x64
	s_lshl_b64 s[8:9], s[4:5], 2
	v_mbcnt_hi_u32_b32 v10, -1, v3
	s_add_u32 s4, s52, s8
	v_and_b32_e32 v3, 63, v10
	s_waitcnt vmcnt(0)
	v_and_b32_e32 v6, 0x3c00, v1
	v_mov_b32_e32 v1, 0
	s_addc_u32 s5, s53, s9
	v_lshlrev_b32_e32 v4, 2, v3
	v_mov_b32_e32 v5, v1
	v_lshl_add_u64 v[8:9], s[4:5], 0, v[4:5]
	v_lshlrev_b32_e32 v6, 2, v6
	v_mov_b32_e32 v7, v1
	s_add_u32 s0, s0, 0x58
	v_lshl_add_u64 v[8:9], v[8:9], 0, v[6:7]
	s_addc_u32 s1, s1, 0
	s_waitcnt lgkmcnt(0)
	s_lshr_b32 s3, s3, 16
	global_load_dword v3, v[8:9], off
	s_cmp_lt_u32 s2, s12
	s_cselect_b32 s2, 12, 18
	s_add_u32 s0, s0, s2
	s_addc_u32 s1, s1, 0
	global_load_ushort v13, v1, s[0:1]
	v_mul_u32_u24_e32 v11, 20, v2
	ds_write2_b32 v11, v1, v1 offset0:16 offset1:17
	ds_write2_b32 v11, v1, v1 offset0:18 offset1:19
	ds_write_b32 v11, v1 offset:80
	global_load_dword v5, v[8:9], off offset:256
	global_load_dword v7, v[8:9], off offset:512
	;; [unrolled: 1-line block ×15, first 2 shown]
	v_bfe_u32 v14, v0, 10, 10
	v_bfe_u32 v0, v0, 20, 10
	v_mad_u32_u24 v8, v0, s3, v14
	s_lshl_b32 s0, -1, s65
	v_mov_b32_e32 v16, v1
	v_mov_b32_e32 v26, v1
	s_not_b32 s13, s0
	v_mov_b32_e32 v20, v1
	s_movk_i32 s6, 0x44
	s_waitcnt lgkmcnt(0)
	s_barrier
	s_waitcnt vmcnt(16)
	; wave barrier
	v_xor_b32_e32 v3, 0x7fffffff, v3
	v_lshrrev_b32_e32 v0, s64, v3
	v_bitop3_b32 v14, v0, s0, v0 bitop3:0x30
	v_and_b32_e32 v0, 1, v14
	v_lshlrev_b32_e32 v17, 30, v14
	v_lshlrev_b32_e32 v21, 29, v14
	v_lshlrev_b32_e32 v27, 28, v14
	s_waitcnt vmcnt(15)
	v_mad_u64_u32 v[8:9], s[0:1], v8, v13, v[2:3]
	v_lshl_add_u64 v[32:33], v[0:1], 0, -1
	v_cmp_ne_u32_e32 vcc, 0, v0
	v_not_b32_e32 v0, v17
	v_cmp_gt_i64_e64 s[0:1], 0, v[16:17]
	v_not_b32_e32 v9, v21
	v_cmp_gt_i64_e64 s[4:5], 0, v[26:27]
	v_not_b32_e32 v13, v27
	v_lshrrev_b32_e32 v27, 6, v8
	v_xor_b32_e32 v8, vcc_hi, v33
	v_ashrrev_i32_e32 v0, 31, v0
	v_cmp_gt_i64_e64 s[2:3], 0, v[20:21]
	v_xor_b32_e32 v16, vcc_lo, v32
	v_ashrrev_i32_e32 v9, 31, v9
	v_and_b32_e32 v8, exec_hi, v8
	v_xor_b32_e32 v17, s1, v0
	v_ashrrev_i32_e32 v13, 31, v13
	v_and_b32_e32 v16, exec_lo, v16
	v_xor_b32_e32 v0, s0, v0
	v_xor_b32_e32 v20, s3, v9
	v_and_b32_e32 v8, v8, v17
	v_xor_b32_e32 v9, s2, v9
	v_xor_b32_e32 v21, s5, v13
	v_and_b32_e32 v0, v16, v0
	v_and_b32_e32 v8, v8, v20
	;; [unrolled: 1-line block ×4, first 2 shown]
	v_lshlrev_b32_e32 v9, 27, v14
	v_mov_b32_e32 v8, v1
	v_cmp_gt_i64_e32 vcc, 0, v[8:9]
	v_not_b32_e32 v8, v9
	v_xor_b32_e32 v13, s4, v13
	v_ashrrev_i32_e32 v8, 31, v8
	v_and_b32_e32 v0, v0, v13
	v_xor_b32_e32 v9, vcc_hi, v8
	v_xor_b32_e32 v8, vcc_lo, v8
	v_and_b32_e32 v13, v16, v9
	v_and_b32_e32 v0, v0, v8
	v_lshlrev_b32_e32 v9, 26, v14
	v_mov_b32_e32 v8, v1
	v_cmp_gt_i64_e32 vcc, 0, v[8:9]
	v_not_b32_e32 v8, v9
	v_ashrrev_i32_e32 v8, 31, v8
	v_xor_b32_e32 v9, vcc_hi, v8
	v_xor_b32_e32 v8, vcc_lo, v8
	v_and_b32_e32 v13, v13, v9
	v_and_b32_e32 v0, v0, v8
	v_lshlrev_b32_e32 v9, 25, v14
	v_mov_b32_e32 v8, v1
	v_cmp_gt_i64_e32 vcc, 0, v[8:9]
	v_not_b32_e32 v8, v9
	v_ashrrev_i32_e32 v8, 31, v8
	;; [unrolled: 9-line block ×3, first 2 shown]
	v_xor_b32_e32 v9, vcc_hi, v8
	v_xor_b32_e32 v8, vcc_lo, v8
	v_and_b32_e32 v8, v0, v8
	v_and_b32_e32 v9, v13, v9
	v_mbcnt_lo_u32_b32 v0, v8, 0
	v_mul_lo_u32 v18, v14, s6
	v_mbcnt_hi_u32_b32 v14, v9, v0
	v_cmp_eq_u32_e32 vcc, 0, v14
	v_cmp_ne_u64_e64 s[0:1], 0, v[8:9]
	v_lshl_add_u32 v18, v27, 2, v18
	s_and_b64 s[2:3], s[0:1], vcc
	s_and_saveexec_b64 s[0:1], s[2:3]
; %bb.210:
	v_bcnt_u32_b32 v0, v8, 0
	v_bcnt_u32_b32 v0, v9, v0
	ds_write_b32 v18, v0 offset:64
; %bb.211:
	s_or_b64 exec, exec, s[0:1]
	s_waitcnt vmcnt(14)
	v_xor_b32_e32 v5, 0x7fffffff, v5
	v_lshrrev_b32_e32 v0, s64, v5
	v_and_b32_e32 v16, s13, v0
	v_mul_lo_u32 v0, v16, s6
	v_lshl_add_u32 v21, v27, 2, v0
	v_and_b32_e32 v0, 1, v16
	v_lshl_add_u64 v[8:9], v[0:1], 0, -1
	v_cmp_ne_u32_e32 vcc, 0, v0
	; wave barrier
	s_nop 1
	v_xor_b32_e32 v8, vcc_lo, v8
	v_xor_b32_e32 v0, vcc_hi, v9
	v_and_b32_e32 v17, exec_lo, v8
	v_lshlrev_b32_e32 v9, 30, v16
	v_mov_b32_e32 v8, v1
	v_cmp_gt_i64_e32 vcc, 0, v[8:9]
	v_not_b32_e32 v8, v9
	v_ashrrev_i32_e32 v8, 31, v8
	v_and_b32_e32 v0, exec_hi, v0
	v_xor_b32_e32 v9, vcc_hi, v8
	v_xor_b32_e32 v8, vcc_lo, v8
	v_and_b32_e32 v0, v0, v9
	v_and_b32_e32 v17, v17, v8
	v_lshlrev_b32_e32 v9, 29, v16
	v_mov_b32_e32 v8, v1
	v_cmp_gt_i64_e32 vcc, 0, v[8:9]
	v_not_b32_e32 v8, v9
	v_ashrrev_i32_e32 v8, 31, v8
	v_xor_b32_e32 v9, vcc_hi, v8
	v_xor_b32_e32 v8, vcc_lo, v8
	v_and_b32_e32 v0, v0, v9
	v_and_b32_e32 v17, v17, v8
	v_lshlrev_b32_e32 v9, 28, v16
	v_mov_b32_e32 v8, v1
	v_cmp_gt_i64_e32 vcc, 0, v[8:9]
	v_not_b32_e32 v8, v9
	v_ashrrev_i32_e32 v8, 31, v8
	;; [unrolled: 9-line block ×5, first 2 shown]
	v_xor_b32_e32 v9, vcc_hi, v8
	v_xor_b32_e32 v8, vcc_lo, v8
	v_and_b32_e32 v0, v0, v9
	v_lshlrev_b32_e32 v9, 24, v16
	v_and_b32_e32 v17, v17, v8
	v_mov_b32_e32 v8, v1
	v_not_b32_e32 v1, v9
	v_cmp_gt_i64_e32 vcc, 0, v[8:9]
	v_ashrrev_i32_e32 v1, 31, v1
	ds_read_b32 v13, v21 offset:64
	v_xor_b32_e32 v8, vcc_hi, v1
	v_xor_b32_e32 v9, vcc_lo, v1
	v_and_b32_e32 v1, v0, v8
	v_and_b32_e32 v0, v17, v9
	v_mbcnt_lo_u32_b32 v8, v0, 0
	v_mbcnt_hi_u32_b32 v16, v1, v8
	v_cmp_eq_u32_e32 vcc, 0, v16
	v_cmp_ne_u64_e64 s[0:1], 0, v[0:1]
	s_and_b64 s[2:3], s[0:1], vcc
	; wave barrier
	s_and_saveexec_b64 s[0:1], s[2:3]
	s_cbranch_execz .LBB1847_213
; %bb.212:
	v_bcnt_u32_b32 v0, v0, 0
	v_bcnt_u32_b32 v0, v1, v0
	s_waitcnt lgkmcnt(0)
	v_add_u32_e32 v0, v13, v0
	ds_write_b32 v21, v0 offset:64
.LBB1847_213:
	s_or_b64 exec, exec, s[0:1]
	s_waitcnt vmcnt(13)
	v_xor_b32_e32 v7, 0x7fffffff, v7
	v_lshrrev_b32_e32 v0, s64, v7
	v_and_b32_e32 v20, s13, v0
	s_movk_i32 s2, 0x44
	v_mul_lo_u32 v0, v20, s2
	v_lshl_add_u32 v26, v27, 2, v0
	v_and_b32_e32 v0, 1, v20
	v_mov_b32_e32 v1, 0
	v_lshl_add_u64 v[8:9], v[0:1], 0, -1
	v_cmp_ne_u32_e32 vcc, 0, v0
	; wave barrier
	s_nop 1
	v_xor_b32_e32 v8, vcc_lo, v8
	v_xor_b32_e32 v0, vcc_hi, v9
	v_and_b32_e32 v22, exec_lo, v8
	v_lshlrev_b32_e32 v9, 30, v20
	v_mov_b32_e32 v8, v1
	v_cmp_gt_i64_e32 vcc, 0, v[8:9]
	v_not_b32_e32 v8, v9
	v_ashrrev_i32_e32 v8, 31, v8
	v_and_b32_e32 v0, exec_hi, v0
	v_xor_b32_e32 v9, vcc_hi, v8
	v_xor_b32_e32 v8, vcc_lo, v8
	v_and_b32_e32 v0, v0, v9
	v_and_b32_e32 v22, v22, v8
	v_lshlrev_b32_e32 v9, 29, v20
	v_mov_b32_e32 v8, v1
	v_cmp_gt_i64_e32 vcc, 0, v[8:9]
	v_not_b32_e32 v8, v9
	v_ashrrev_i32_e32 v8, 31, v8
	v_xor_b32_e32 v9, vcc_hi, v8
	v_xor_b32_e32 v8, vcc_lo, v8
	v_and_b32_e32 v0, v0, v9
	v_and_b32_e32 v22, v22, v8
	v_lshlrev_b32_e32 v9, 28, v20
	v_mov_b32_e32 v8, v1
	v_cmp_gt_i64_e32 vcc, 0, v[8:9]
	v_not_b32_e32 v8, v9
	v_ashrrev_i32_e32 v8, 31, v8
	;; [unrolled: 9-line block ×6, first 2 shown]
	v_xor_b32_e32 v9, vcc_hi, v8
	v_xor_b32_e32 v8, vcc_lo, v8
	ds_read_b32 v17, v26 offset:64
	v_and_b32_e32 v8, v22, v8
	v_and_b32_e32 v9, v0, v9
	v_mbcnt_lo_u32_b32 v0, v8, 0
	v_mbcnt_hi_u32_b32 v20, v9, v0
	v_cmp_eq_u32_e32 vcc, 0, v20
	v_cmp_ne_u64_e64 s[0:1], 0, v[8:9]
	s_and_b64 s[4:5], s[0:1], vcc
	; wave barrier
	s_and_saveexec_b64 s[0:1], s[4:5]
	s_cbranch_execz .LBB1847_215
; %bb.214:
	v_bcnt_u32_b32 v0, v8, 0
	v_bcnt_u32_b32 v0, v9, v0
	s_waitcnt lgkmcnt(0)
	v_add_u32_e32 v0, v17, v0
	ds_write_b32 v26, v0 offset:64
.LBB1847_215:
	s_or_b64 exec, exec, s[0:1]
	s_waitcnt vmcnt(12)
	v_xor_b32_e32 v12, 0x7fffffff, v12
	v_lshrrev_b32_e32 v0, s64, v12
	v_and_b32_e32 v24, s13, v0
	v_mul_lo_u32 v0, v24, s2
	v_lshl_add_u32 v32, v27, 2, v0
	v_and_b32_e32 v0, 1, v24
	v_lshl_add_u64 v[8:9], v[0:1], 0, -1
	v_cmp_ne_u32_e32 vcc, 0, v0
	; wave barrier
	s_nop 1
	v_xor_b32_e32 v8, vcc_lo, v8
	v_xor_b32_e32 v0, vcc_hi, v9
	v_and_b32_e32 v28, exec_lo, v8
	v_lshlrev_b32_e32 v9, 30, v24
	v_mov_b32_e32 v8, v1
	v_cmp_gt_i64_e32 vcc, 0, v[8:9]
	v_not_b32_e32 v8, v9
	v_ashrrev_i32_e32 v8, 31, v8
	v_and_b32_e32 v0, exec_hi, v0
	v_xor_b32_e32 v9, vcc_hi, v8
	v_xor_b32_e32 v8, vcc_lo, v8
	v_and_b32_e32 v0, v0, v9
	v_and_b32_e32 v28, v28, v8
	v_lshlrev_b32_e32 v9, 29, v24
	v_mov_b32_e32 v8, v1
	v_cmp_gt_i64_e32 vcc, 0, v[8:9]
	v_not_b32_e32 v8, v9
	v_ashrrev_i32_e32 v8, 31, v8
	v_xor_b32_e32 v9, vcc_hi, v8
	v_xor_b32_e32 v8, vcc_lo, v8
	v_and_b32_e32 v0, v0, v9
	v_and_b32_e32 v28, v28, v8
	v_lshlrev_b32_e32 v9, 28, v24
	v_mov_b32_e32 v8, v1
	v_cmp_gt_i64_e32 vcc, 0, v[8:9]
	v_not_b32_e32 v8, v9
	v_ashrrev_i32_e32 v8, 31, v8
	;; [unrolled: 9-line block ×5, first 2 shown]
	v_xor_b32_e32 v9, vcc_hi, v8
	v_xor_b32_e32 v8, vcc_lo, v8
	v_and_b32_e32 v0, v0, v9
	v_lshlrev_b32_e32 v9, 24, v24
	v_and_b32_e32 v28, v28, v8
	v_mov_b32_e32 v8, v1
	v_not_b32_e32 v1, v9
	v_cmp_gt_i64_e32 vcc, 0, v[8:9]
	v_ashrrev_i32_e32 v1, 31, v1
	ds_read_b32 v22, v32 offset:64
	v_xor_b32_e32 v8, vcc_hi, v1
	v_xor_b32_e32 v9, vcc_lo, v1
	v_and_b32_e32 v1, v0, v8
	v_and_b32_e32 v0, v28, v9
	v_mbcnt_lo_u32_b32 v8, v0, 0
	v_mbcnt_hi_u32_b32 v24, v1, v8
	v_cmp_eq_u32_e32 vcc, 0, v24
	v_cmp_ne_u64_e64 s[0:1], 0, v[0:1]
	s_and_b64 s[2:3], s[0:1], vcc
	; wave barrier
	s_and_saveexec_b64 s[0:1], s[2:3]
	s_cbranch_execz .LBB1847_217
; %bb.216:
	v_bcnt_u32_b32 v0, v0, 0
	v_bcnt_u32_b32 v0, v1, v0
	s_waitcnt lgkmcnt(0)
	v_add_u32_e32 v0, v22, v0
	ds_write_b32 v32, v0 offset:64
.LBB1847_217:
	s_or_b64 exec, exec, s[0:1]
	s_waitcnt vmcnt(11)
	v_xor_b32_e32 v15, 0x7fffffff, v15
	v_lshrrev_b32_e32 v0, s64, v15
	v_and_b32_e32 v30, s13, v0
	s_movk_i32 s2, 0x44
	v_mul_lo_u32 v0, v30, s2
	v_lshl_add_u32 v37, v27, 2, v0
	v_and_b32_e32 v0, 1, v30
	v_mov_b32_e32 v1, 0
	v_lshl_add_u64 v[8:9], v[0:1], 0, -1
	v_cmp_ne_u32_e32 vcc, 0, v0
	; wave barrier
	s_nop 1
	v_xor_b32_e32 v8, vcc_lo, v8
	v_xor_b32_e32 v0, vcc_hi, v9
	v_and_b32_e32 v33, exec_lo, v8
	v_lshlrev_b32_e32 v9, 30, v30
	v_mov_b32_e32 v8, v1
	v_cmp_gt_i64_e32 vcc, 0, v[8:9]
	v_not_b32_e32 v8, v9
	v_ashrrev_i32_e32 v8, 31, v8
	v_and_b32_e32 v0, exec_hi, v0
	v_xor_b32_e32 v9, vcc_hi, v8
	v_xor_b32_e32 v8, vcc_lo, v8
	v_and_b32_e32 v0, v0, v9
	v_and_b32_e32 v33, v33, v8
	v_lshlrev_b32_e32 v9, 29, v30
	v_mov_b32_e32 v8, v1
	v_cmp_gt_i64_e32 vcc, 0, v[8:9]
	v_not_b32_e32 v8, v9
	v_ashrrev_i32_e32 v8, 31, v8
	v_xor_b32_e32 v9, vcc_hi, v8
	v_xor_b32_e32 v8, vcc_lo, v8
	v_and_b32_e32 v0, v0, v9
	v_and_b32_e32 v33, v33, v8
	v_lshlrev_b32_e32 v9, 28, v30
	v_mov_b32_e32 v8, v1
	v_cmp_gt_i64_e32 vcc, 0, v[8:9]
	v_not_b32_e32 v8, v9
	v_ashrrev_i32_e32 v8, 31, v8
	;; [unrolled: 9-line block ×6, first 2 shown]
	v_xor_b32_e32 v9, vcc_hi, v8
	v_xor_b32_e32 v8, vcc_lo, v8
	ds_read_b32 v28, v37 offset:64
	v_and_b32_e32 v8, v33, v8
	v_and_b32_e32 v9, v0, v9
	v_mbcnt_lo_u32_b32 v0, v8, 0
	v_mbcnt_hi_u32_b32 v30, v9, v0
	v_cmp_eq_u32_e32 vcc, 0, v30
	v_cmp_ne_u64_e64 s[0:1], 0, v[8:9]
	s_and_b64 s[4:5], s[0:1], vcc
	; wave barrier
	s_and_saveexec_b64 s[0:1], s[4:5]
	s_cbranch_execz .LBB1847_219
; %bb.218:
	v_bcnt_u32_b32 v0, v8, 0
	v_bcnt_u32_b32 v0, v9, v0
	s_waitcnt lgkmcnt(0)
	v_add_u32_e32 v0, v28, v0
	ds_write_b32 v37, v0 offset:64
.LBB1847_219:
	s_or_b64 exec, exec, s[0:1]
	s_waitcnt vmcnt(10)
	v_xor_b32_e32 v19, 0x7fffffff, v19
	v_lshrrev_b32_e32 v0, s64, v19
	v_and_b32_e32 v35, s13, v0
	v_mul_lo_u32 v0, v35, s2
	v_lshl_add_u32 v41, v27, 2, v0
	v_and_b32_e32 v0, 1, v35
	v_lshl_add_u64 v[8:9], v[0:1], 0, -1
	v_cmp_ne_u32_e32 vcc, 0, v0
	; wave barrier
	s_nop 1
	v_xor_b32_e32 v8, vcc_lo, v8
	v_xor_b32_e32 v0, vcc_hi, v9
	v_and_b32_e32 v38, exec_lo, v8
	v_lshlrev_b32_e32 v9, 30, v35
	v_mov_b32_e32 v8, v1
	v_cmp_gt_i64_e32 vcc, 0, v[8:9]
	v_not_b32_e32 v8, v9
	v_ashrrev_i32_e32 v8, 31, v8
	v_and_b32_e32 v0, exec_hi, v0
	v_xor_b32_e32 v9, vcc_hi, v8
	v_xor_b32_e32 v8, vcc_lo, v8
	v_and_b32_e32 v0, v0, v9
	v_and_b32_e32 v38, v38, v8
	v_lshlrev_b32_e32 v9, 29, v35
	v_mov_b32_e32 v8, v1
	v_cmp_gt_i64_e32 vcc, 0, v[8:9]
	v_not_b32_e32 v8, v9
	v_ashrrev_i32_e32 v8, 31, v8
	v_xor_b32_e32 v9, vcc_hi, v8
	v_xor_b32_e32 v8, vcc_lo, v8
	v_and_b32_e32 v0, v0, v9
	v_and_b32_e32 v38, v38, v8
	v_lshlrev_b32_e32 v9, 28, v35
	v_mov_b32_e32 v8, v1
	v_cmp_gt_i64_e32 vcc, 0, v[8:9]
	v_not_b32_e32 v8, v9
	v_ashrrev_i32_e32 v8, 31, v8
	;; [unrolled: 9-line block ×5, first 2 shown]
	v_xor_b32_e32 v9, vcc_hi, v8
	v_xor_b32_e32 v8, vcc_lo, v8
	v_and_b32_e32 v0, v0, v9
	v_lshlrev_b32_e32 v9, 24, v35
	v_and_b32_e32 v38, v38, v8
	v_mov_b32_e32 v8, v1
	v_not_b32_e32 v1, v9
	v_cmp_gt_i64_e32 vcc, 0, v[8:9]
	v_ashrrev_i32_e32 v1, 31, v1
	ds_read_b32 v33, v41 offset:64
	v_xor_b32_e32 v8, vcc_hi, v1
	v_xor_b32_e32 v9, vcc_lo, v1
	v_and_b32_e32 v1, v0, v8
	v_and_b32_e32 v0, v38, v9
	v_mbcnt_lo_u32_b32 v8, v0, 0
	v_mbcnt_hi_u32_b32 v35, v1, v8
	v_cmp_eq_u32_e32 vcc, 0, v35
	v_cmp_ne_u64_e64 s[0:1], 0, v[0:1]
	s_and_b64 s[2:3], s[0:1], vcc
	; wave barrier
	s_and_saveexec_b64 s[0:1], s[2:3]
	s_cbranch_execz .LBB1847_221
; %bb.220:
	v_bcnt_u32_b32 v0, v0, 0
	v_bcnt_u32_b32 v0, v1, v0
	s_waitcnt lgkmcnt(0)
	v_add_u32_e32 v0, v33, v0
	ds_write_b32 v41, v0 offset:64
.LBB1847_221:
	s_or_b64 exec, exec, s[0:1]
	s_waitcnt vmcnt(9)
	v_xor_b32_e32 v23, 0x7fffffff, v23
	v_lshrrev_b32_e32 v0, s64, v23
	v_and_b32_e32 v42, s13, v0
	s_movk_i32 s2, 0x44
	v_mul_lo_u32 v0, v42, s2
	v_lshl_add_u32 v46, v27, 2, v0
	v_and_b32_e32 v0, 1, v42
	v_mov_b32_e32 v1, 0
	v_lshl_add_u64 v[8:9], v[0:1], 0, -1
	v_cmp_ne_u32_e32 vcc, 0, v0
	; wave barrier
	s_nop 1
	v_xor_b32_e32 v8, vcc_lo, v8
	v_xor_b32_e32 v0, vcc_hi, v9
	v_and_b32_e32 v43, exec_lo, v8
	v_lshlrev_b32_e32 v9, 30, v42
	v_mov_b32_e32 v8, v1
	v_cmp_gt_i64_e32 vcc, 0, v[8:9]
	v_not_b32_e32 v8, v9
	v_ashrrev_i32_e32 v8, 31, v8
	v_and_b32_e32 v0, exec_hi, v0
	v_xor_b32_e32 v9, vcc_hi, v8
	v_xor_b32_e32 v8, vcc_lo, v8
	v_and_b32_e32 v0, v0, v9
	v_and_b32_e32 v43, v43, v8
	v_lshlrev_b32_e32 v9, 29, v42
	v_mov_b32_e32 v8, v1
	v_cmp_gt_i64_e32 vcc, 0, v[8:9]
	v_not_b32_e32 v8, v9
	v_ashrrev_i32_e32 v8, 31, v8
	v_xor_b32_e32 v9, vcc_hi, v8
	v_xor_b32_e32 v8, vcc_lo, v8
	v_and_b32_e32 v0, v0, v9
	v_and_b32_e32 v43, v43, v8
	v_lshlrev_b32_e32 v9, 28, v42
	v_mov_b32_e32 v8, v1
	v_cmp_gt_i64_e32 vcc, 0, v[8:9]
	v_not_b32_e32 v8, v9
	v_ashrrev_i32_e32 v8, 31, v8
	;; [unrolled: 9-line block ×6, first 2 shown]
	v_xor_b32_e32 v9, vcc_hi, v8
	v_xor_b32_e32 v8, vcc_lo, v8
	ds_read_b32 v38, v46 offset:64
	v_and_b32_e32 v8, v43, v8
	v_and_b32_e32 v9, v0, v9
	v_mbcnt_lo_u32_b32 v0, v8, 0
	v_mbcnt_hi_u32_b32 v42, v9, v0
	v_cmp_eq_u32_e32 vcc, 0, v42
	v_cmp_ne_u64_e64 s[0:1], 0, v[8:9]
	s_and_b64 s[4:5], s[0:1], vcc
	; wave barrier
	s_and_saveexec_b64 s[0:1], s[4:5]
	s_cbranch_execz .LBB1847_223
; %bb.222:
	v_bcnt_u32_b32 v0, v8, 0
	v_bcnt_u32_b32 v0, v9, v0
	s_waitcnt lgkmcnt(0)
	v_add_u32_e32 v0, v38, v0
	ds_write_b32 v46, v0 offset:64
.LBB1847_223:
	s_or_b64 exec, exec, s[0:1]
	s_waitcnt vmcnt(8)
	v_xor_b32_e32 v29, 0x7fffffff, v29
	v_lshrrev_b32_e32 v0, s64, v29
	v_and_b32_e32 v47, s13, v0
	v_mul_lo_u32 v0, v47, s2
	v_lshl_add_u32 v49, v27, 2, v0
	v_and_b32_e32 v0, 1, v47
	v_lshl_add_u64 v[8:9], v[0:1], 0, -1
	v_cmp_ne_u32_e32 vcc, 0, v0
	; wave barrier
	s_nop 1
	v_xor_b32_e32 v8, vcc_lo, v8
	v_xor_b32_e32 v0, vcc_hi, v9
	v_and_b32_e32 v48, exec_lo, v8
	v_lshlrev_b32_e32 v9, 30, v47
	v_mov_b32_e32 v8, v1
	v_cmp_gt_i64_e32 vcc, 0, v[8:9]
	v_not_b32_e32 v8, v9
	v_ashrrev_i32_e32 v8, 31, v8
	v_and_b32_e32 v0, exec_hi, v0
	v_xor_b32_e32 v9, vcc_hi, v8
	v_xor_b32_e32 v8, vcc_lo, v8
	v_and_b32_e32 v0, v0, v9
	v_and_b32_e32 v48, v48, v8
	v_lshlrev_b32_e32 v9, 29, v47
	v_mov_b32_e32 v8, v1
	v_cmp_gt_i64_e32 vcc, 0, v[8:9]
	v_not_b32_e32 v8, v9
	v_ashrrev_i32_e32 v8, 31, v8
	v_xor_b32_e32 v9, vcc_hi, v8
	v_xor_b32_e32 v8, vcc_lo, v8
	v_and_b32_e32 v0, v0, v9
	v_and_b32_e32 v48, v48, v8
	v_lshlrev_b32_e32 v9, 28, v47
	v_mov_b32_e32 v8, v1
	v_cmp_gt_i64_e32 vcc, 0, v[8:9]
	v_not_b32_e32 v8, v9
	v_ashrrev_i32_e32 v8, 31, v8
	;; [unrolled: 9-line block ×5, first 2 shown]
	v_xor_b32_e32 v9, vcc_hi, v8
	v_xor_b32_e32 v8, vcc_lo, v8
	v_and_b32_e32 v0, v0, v9
	v_lshlrev_b32_e32 v9, 24, v47
	v_and_b32_e32 v48, v48, v8
	v_mov_b32_e32 v8, v1
	v_not_b32_e32 v1, v9
	v_cmp_gt_i64_e32 vcc, 0, v[8:9]
	v_ashrrev_i32_e32 v1, 31, v1
	ds_read_b32 v43, v49 offset:64
	v_xor_b32_e32 v8, vcc_hi, v1
	v_xor_b32_e32 v9, vcc_lo, v1
	v_and_b32_e32 v1, v0, v8
	v_and_b32_e32 v0, v48, v9
	v_mbcnt_lo_u32_b32 v8, v0, 0
	v_mbcnt_hi_u32_b32 v47, v1, v8
	v_cmp_eq_u32_e32 vcc, 0, v47
	v_cmp_ne_u64_e64 s[0:1], 0, v[0:1]
	s_and_b64 s[2:3], s[0:1], vcc
	; wave barrier
	s_and_saveexec_b64 s[0:1], s[2:3]
	s_cbranch_execz .LBB1847_225
; %bb.224:
	v_bcnt_u32_b32 v0, v0, 0
	v_bcnt_u32_b32 v0, v1, v0
	s_waitcnt lgkmcnt(0)
	v_add_u32_e32 v0, v43, v0
	ds_write_b32 v49, v0 offset:64
.LBB1847_225:
	s_or_b64 exec, exec, s[0:1]
	s_waitcnt vmcnt(7)
	v_xor_b32_e32 v34, 0x7fffffff, v34
	v_lshrrev_b32_e32 v0, s64, v34
	v_and_b32_e32 v50, s13, v0
	s_movk_i32 s2, 0x44
	v_mul_lo_u32 v0, v50, s2
	v_lshl_add_u32 v52, v27, 2, v0
	v_and_b32_e32 v0, 1, v50
	v_mov_b32_e32 v1, 0
	v_lshl_add_u64 v[8:9], v[0:1], 0, -1
	v_cmp_ne_u32_e32 vcc, 0, v0
	; wave barrier
	s_nop 1
	v_xor_b32_e32 v8, vcc_lo, v8
	v_xor_b32_e32 v0, vcc_hi, v9
	v_and_b32_e32 v51, exec_lo, v8
	v_lshlrev_b32_e32 v9, 30, v50
	v_mov_b32_e32 v8, v1
	v_cmp_gt_i64_e32 vcc, 0, v[8:9]
	v_not_b32_e32 v8, v9
	v_ashrrev_i32_e32 v8, 31, v8
	v_and_b32_e32 v0, exec_hi, v0
	v_xor_b32_e32 v9, vcc_hi, v8
	v_xor_b32_e32 v8, vcc_lo, v8
	v_and_b32_e32 v0, v0, v9
	v_and_b32_e32 v51, v51, v8
	v_lshlrev_b32_e32 v9, 29, v50
	v_mov_b32_e32 v8, v1
	v_cmp_gt_i64_e32 vcc, 0, v[8:9]
	v_not_b32_e32 v8, v9
	v_ashrrev_i32_e32 v8, 31, v8
	v_xor_b32_e32 v9, vcc_hi, v8
	v_xor_b32_e32 v8, vcc_lo, v8
	v_and_b32_e32 v0, v0, v9
	v_and_b32_e32 v51, v51, v8
	v_lshlrev_b32_e32 v9, 28, v50
	v_mov_b32_e32 v8, v1
	v_cmp_gt_i64_e32 vcc, 0, v[8:9]
	v_not_b32_e32 v8, v9
	v_ashrrev_i32_e32 v8, 31, v8
	;; [unrolled: 9-line block ×6, first 2 shown]
	v_xor_b32_e32 v9, vcc_hi, v8
	v_xor_b32_e32 v8, vcc_lo, v8
	ds_read_b32 v48, v52 offset:64
	v_and_b32_e32 v8, v51, v8
	v_and_b32_e32 v9, v0, v9
	v_mbcnt_lo_u32_b32 v0, v8, 0
	v_mbcnt_hi_u32_b32 v50, v9, v0
	v_cmp_eq_u32_e32 vcc, 0, v50
	v_cmp_ne_u64_e64 s[0:1], 0, v[8:9]
	s_and_b64 s[4:5], s[0:1], vcc
	; wave barrier
	s_and_saveexec_b64 s[0:1], s[4:5]
	s_cbranch_execz .LBB1847_227
; %bb.226:
	v_bcnt_u32_b32 v0, v8, 0
	v_bcnt_u32_b32 v0, v9, v0
	s_waitcnt lgkmcnt(0)
	v_add_u32_e32 v0, v48, v0
	ds_write_b32 v52, v0 offset:64
.LBB1847_227:
	s_or_b64 exec, exec, s[0:1]
	s_waitcnt vmcnt(6)
	v_xor_b32_e32 v39, 0x7fffffff, v39
	v_lshrrev_b32_e32 v0, s64, v39
	v_and_b32_e32 v53, s13, v0
	v_mul_lo_u32 v0, v53, s2
	v_lshl_add_u32 v55, v27, 2, v0
	v_and_b32_e32 v0, 1, v53
	v_lshl_add_u64 v[8:9], v[0:1], 0, -1
	v_cmp_ne_u32_e32 vcc, 0, v0
	; wave barrier
	s_nop 1
	v_xor_b32_e32 v8, vcc_lo, v8
	v_xor_b32_e32 v0, vcc_hi, v9
	v_and_b32_e32 v54, exec_lo, v8
	v_lshlrev_b32_e32 v9, 30, v53
	v_mov_b32_e32 v8, v1
	v_cmp_gt_i64_e32 vcc, 0, v[8:9]
	v_not_b32_e32 v8, v9
	v_ashrrev_i32_e32 v8, 31, v8
	v_and_b32_e32 v0, exec_hi, v0
	v_xor_b32_e32 v9, vcc_hi, v8
	v_xor_b32_e32 v8, vcc_lo, v8
	v_and_b32_e32 v0, v0, v9
	v_and_b32_e32 v54, v54, v8
	v_lshlrev_b32_e32 v9, 29, v53
	v_mov_b32_e32 v8, v1
	v_cmp_gt_i64_e32 vcc, 0, v[8:9]
	v_not_b32_e32 v8, v9
	v_ashrrev_i32_e32 v8, 31, v8
	v_xor_b32_e32 v9, vcc_hi, v8
	v_xor_b32_e32 v8, vcc_lo, v8
	v_and_b32_e32 v0, v0, v9
	v_and_b32_e32 v54, v54, v8
	v_lshlrev_b32_e32 v9, 28, v53
	v_mov_b32_e32 v8, v1
	v_cmp_gt_i64_e32 vcc, 0, v[8:9]
	v_not_b32_e32 v8, v9
	v_ashrrev_i32_e32 v8, 31, v8
	;; [unrolled: 9-line block ×5, first 2 shown]
	v_xor_b32_e32 v9, vcc_hi, v8
	v_xor_b32_e32 v8, vcc_lo, v8
	v_and_b32_e32 v0, v0, v9
	v_lshlrev_b32_e32 v9, 24, v53
	v_and_b32_e32 v54, v54, v8
	v_mov_b32_e32 v8, v1
	v_not_b32_e32 v1, v9
	v_cmp_gt_i64_e32 vcc, 0, v[8:9]
	v_ashrrev_i32_e32 v1, 31, v1
	ds_read_b32 v51, v55 offset:64
	v_xor_b32_e32 v8, vcc_hi, v1
	v_xor_b32_e32 v9, vcc_lo, v1
	v_and_b32_e32 v1, v0, v8
	v_and_b32_e32 v0, v54, v9
	v_mbcnt_lo_u32_b32 v8, v0, 0
	v_mbcnt_hi_u32_b32 v53, v1, v8
	v_cmp_eq_u32_e32 vcc, 0, v53
	v_cmp_ne_u64_e64 s[0:1], 0, v[0:1]
	s_and_b64 s[2:3], s[0:1], vcc
	; wave barrier
	s_and_saveexec_b64 s[0:1], s[2:3]
	s_cbranch_execz .LBB1847_229
; %bb.228:
	v_bcnt_u32_b32 v0, v0, 0
	v_bcnt_u32_b32 v0, v1, v0
	s_waitcnt lgkmcnt(0)
	v_add_u32_e32 v0, v51, v0
	ds_write_b32 v55, v0 offset:64
.LBB1847_229:
	s_or_b64 exec, exec, s[0:1]
	s_waitcnt vmcnt(5)
	v_xor_b32_e32 v44, 0x7fffffff, v44
	v_lshrrev_b32_e32 v0, s64, v44
	v_and_b32_e32 v56, s13, v0
	s_movk_i32 s2, 0x44
	v_mul_lo_u32 v0, v56, s2
	v_lshl_add_u32 v58, v27, 2, v0
	v_and_b32_e32 v0, 1, v56
	v_mov_b32_e32 v1, 0
	v_lshl_add_u64 v[8:9], v[0:1], 0, -1
	v_cmp_ne_u32_e32 vcc, 0, v0
	; wave barrier
	s_nop 1
	v_xor_b32_e32 v8, vcc_lo, v8
	v_xor_b32_e32 v0, vcc_hi, v9
	v_and_b32_e32 v57, exec_lo, v8
	v_lshlrev_b32_e32 v9, 30, v56
	v_mov_b32_e32 v8, v1
	v_cmp_gt_i64_e32 vcc, 0, v[8:9]
	v_not_b32_e32 v8, v9
	v_ashrrev_i32_e32 v8, 31, v8
	v_and_b32_e32 v0, exec_hi, v0
	v_xor_b32_e32 v9, vcc_hi, v8
	v_xor_b32_e32 v8, vcc_lo, v8
	v_and_b32_e32 v0, v0, v9
	v_and_b32_e32 v57, v57, v8
	v_lshlrev_b32_e32 v9, 29, v56
	v_mov_b32_e32 v8, v1
	v_cmp_gt_i64_e32 vcc, 0, v[8:9]
	v_not_b32_e32 v8, v9
	v_ashrrev_i32_e32 v8, 31, v8
	v_xor_b32_e32 v9, vcc_hi, v8
	v_xor_b32_e32 v8, vcc_lo, v8
	v_and_b32_e32 v0, v0, v9
	v_and_b32_e32 v57, v57, v8
	v_lshlrev_b32_e32 v9, 28, v56
	v_mov_b32_e32 v8, v1
	v_cmp_gt_i64_e32 vcc, 0, v[8:9]
	v_not_b32_e32 v8, v9
	v_ashrrev_i32_e32 v8, 31, v8
	v_xor_b32_e32 v9, vcc_hi, v8
	v_xor_b32_e32 v8, vcc_lo, v8
	v_and_b32_e32 v0, v0, v9
	v_and_b32_e32 v57, v57, v8
	v_lshlrev_b32_e32 v9, 27, v56
	v_mov_b32_e32 v8, v1
	v_cmp_gt_i64_e32 vcc, 0, v[8:9]
	v_not_b32_e32 v8, v9
	v_ashrrev_i32_e32 v8, 31, v8
	v_xor_b32_e32 v9, vcc_hi, v8
	v_xor_b32_e32 v8, vcc_lo, v8
	v_and_b32_e32 v0, v0, v9
	v_and_b32_e32 v57, v57, v8
	v_lshlrev_b32_e32 v9, 26, v56
	v_mov_b32_e32 v8, v1
	v_cmp_gt_i64_e32 vcc, 0, v[8:9]
	v_not_b32_e32 v8, v9
	v_ashrrev_i32_e32 v8, 31, v8
	v_xor_b32_e32 v9, vcc_hi, v8
	v_xor_b32_e32 v8, vcc_lo, v8
	v_and_b32_e32 v0, v0, v9
	v_and_b32_e32 v57, v57, v8
	v_lshlrev_b32_e32 v9, 25, v56
	v_mov_b32_e32 v8, v1
	v_cmp_gt_i64_e32 vcc, 0, v[8:9]
	v_not_b32_e32 v8, v9
	v_ashrrev_i32_e32 v8, 31, v8
	v_xor_b32_e32 v9, vcc_hi, v8
	v_xor_b32_e32 v8, vcc_lo, v8
	v_and_b32_e32 v0, v0, v9
	v_and_b32_e32 v57, v57, v8
	v_lshlrev_b32_e32 v9, 24, v56
	v_mov_b32_e32 v8, v1
	v_cmp_gt_i64_e32 vcc, 0, v[8:9]
	v_not_b32_e32 v8, v9
	v_ashrrev_i32_e32 v8, 31, v8
	v_xor_b32_e32 v9, vcc_hi, v8
	v_xor_b32_e32 v8, vcc_lo, v8
	ds_read_b32 v54, v58 offset:64
	v_and_b32_e32 v8, v57, v8
	v_and_b32_e32 v9, v0, v9
	v_mbcnt_lo_u32_b32 v0, v8, 0
	v_mbcnt_hi_u32_b32 v56, v9, v0
	v_cmp_eq_u32_e32 vcc, 0, v56
	v_cmp_ne_u64_e64 s[0:1], 0, v[8:9]
	s_and_b64 s[4:5], s[0:1], vcc
	; wave barrier
	s_and_saveexec_b64 s[0:1], s[4:5]
	s_cbranch_execz .LBB1847_231
; %bb.230:
	v_bcnt_u32_b32 v0, v8, 0
	v_bcnt_u32_b32 v0, v9, v0
	s_waitcnt lgkmcnt(0)
	v_add_u32_e32 v0, v54, v0
	ds_write_b32 v58, v0 offset:64
.LBB1847_231:
	s_or_b64 exec, exec, s[0:1]
	s_waitcnt vmcnt(4)
	v_xor_b32_e32 v45, 0x7fffffff, v45
	v_lshrrev_b32_e32 v0, s64, v45
	v_and_b32_e32 v59, s13, v0
	v_mul_lo_u32 v0, v59, s2
	v_lshl_add_u32 v62, v27, 2, v0
	v_and_b32_e32 v0, 1, v59
	v_lshl_add_u64 v[8:9], v[0:1], 0, -1
	v_cmp_ne_u32_e32 vcc, 0, v0
	; wave barrier
	s_nop 1
	v_xor_b32_e32 v8, vcc_lo, v8
	v_xor_b32_e32 v0, vcc_hi, v9
	v_and_b32_e32 v60, exec_lo, v8
	v_lshlrev_b32_e32 v9, 30, v59
	v_mov_b32_e32 v8, v1
	v_cmp_gt_i64_e32 vcc, 0, v[8:9]
	v_not_b32_e32 v8, v9
	v_ashrrev_i32_e32 v8, 31, v8
	v_and_b32_e32 v0, exec_hi, v0
	v_xor_b32_e32 v9, vcc_hi, v8
	v_xor_b32_e32 v8, vcc_lo, v8
	v_and_b32_e32 v0, v0, v9
	v_and_b32_e32 v60, v60, v8
	v_lshlrev_b32_e32 v9, 29, v59
	v_mov_b32_e32 v8, v1
	v_cmp_gt_i64_e32 vcc, 0, v[8:9]
	v_not_b32_e32 v8, v9
	v_ashrrev_i32_e32 v8, 31, v8
	v_xor_b32_e32 v9, vcc_hi, v8
	v_xor_b32_e32 v8, vcc_lo, v8
	v_and_b32_e32 v0, v0, v9
	v_and_b32_e32 v60, v60, v8
	v_lshlrev_b32_e32 v9, 28, v59
	v_mov_b32_e32 v8, v1
	v_cmp_gt_i64_e32 vcc, 0, v[8:9]
	v_not_b32_e32 v8, v9
	v_ashrrev_i32_e32 v8, 31, v8
	;; [unrolled: 9-line block ×5, first 2 shown]
	v_xor_b32_e32 v9, vcc_hi, v8
	v_xor_b32_e32 v8, vcc_lo, v8
	v_and_b32_e32 v0, v0, v9
	v_lshlrev_b32_e32 v9, 24, v59
	v_and_b32_e32 v60, v60, v8
	v_mov_b32_e32 v8, v1
	v_not_b32_e32 v1, v9
	v_cmp_gt_i64_e32 vcc, 0, v[8:9]
	v_ashrrev_i32_e32 v1, 31, v1
	ds_read_b32 v57, v62 offset:64
	v_xor_b32_e32 v8, vcc_hi, v1
	v_xor_b32_e32 v9, vcc_lo, v1
	v_and_b32_e32 v1, v0, v8
	v_and_b32_e32 v0, v60, v9
	v_mbcnt_lo_u32_b32 v8, v0, 0
	v_mbcnt_hi_u32_b32 v59, v1, v8
	v_cmp_eq_u32_e32 vcc, 0, v59
	v_cmp_ne_u64_e64 s[0:1], 0, v[0:1]
	s_and_b64 s[2:3], s[0:1], vcc
	; wave barrier
	s_and_saveexec_b64 s[0:1], s[2:3]
	s_cbranch_execz .LBB1847_233
; %bb.232:
	v_bcnt_u32_b32 v0, v0, 0
	v_bcnt_u32_b32 v0, v1, v0
	s_waitcnt lgkmcnt(0)
	v_add_u32_e32 v0, v57, v0
	ds_write_b32 v62, v0 offset:64
.LBB1847_233:
	s_or_b64 exec, exec, s[0:1]
	s_waitcnt vmcnt(3)
	v_xor_b32_e32 v40, 0x7fffffff, v40
	v_lshrrev_b32_e32 v0, s64, v40
	v_and_b32_e32 v61, s13, v0
	s_movk_i32 s2, 0x44
	v_mul_lo_u32 v0, v61, s2
	v_lshl_add_u32 v65, v27, 2, v0
	v_and_b32_e32 v0, 1, v61
	v_mov_b32_e32 v1, 0
	v_lshl_add_u64 v[8:9], v[0:1], 0, -1
	v_cmp_ne_u32_e32 vcc, 0, v0
	; wave barrier
	s_nop 1
	v_xor_b32_e32 v8, vcc_lo, v8
	v_xor_b32_e32 v0, vcc_hi, v9
	v_and_b32_e32 v63, exec_lo, v8
	v_lshlrev_b32_e32 v9, 30, v61
	v_mov_b32_e32 v8, v1
	v_cmp_gt_i64_e32 vcc, 0, v[8:9]
	v_not_b32_e32 v8, v9
	v_ashrrev_i32_e32 v8, 31, v8
	v_and_b32_e32 v0, exec_hi, v0
	v_xor_b32_e32 v9, vcc_hi, v8
	v_xor_b32_e32 v8, vcc_lo, v8
	v_and_b32_e32 v0, v0, v9
	v_and_b32_e32 v63, v63, v8
	v_lshlrev_b32_e32 v9, 29, v61
	v_mov_b32_e32 v8, v1
	v_cmp_gt_i64_e32 vcc, 0, v[8:9]
	v_not_b32_e32 v8, v9
	v_ashrrev_i32_e32 v8, 31, v8
	v_xor_b32_e32 v9, vcc_hi, v8
	v_xor_b32_e32 v8, vcc_lo, v8
	v_and_b32_e32 v0, v0, v9
	v_and_b32_e32 v63, v63, v8
	v_lshlrev_b32_e32 v9, 28, v61
	v_mov_b32_e32 v8, v1
	v_cmp_gt_i64_e32 vcc, 0, v[8:9]
	v_not_b32_e32 v8, v9
	v_ashrrev_i32_e32 v8, 31, v8
	;; [unrolled: 9-line block ×6, first 2 shown]
	v_xor_b32_e32 v9, vcc_hi, v8
	v_xor_b32_e32 v8, vcc_lo, v8
	ds_read_b32 v60, v65 offset:64
	v_and_b32_e32 v8, v63, v8
	v_and_b32_e32 v9, v0, v9
	v_mbcnt_lo_u32_b32 v0, v8, 0
	v_mbcnt_hi_u32_b32 v63, v9, v0
	v_cmp_eq_u32_e32 vcc, 0, v63
	v_cmp_ne_u64_e64 s[0:1], 0, v[8:9]
	s_and_b64 s[4:5], s[0:1], vcc
	; wave barrier
	s_and_saveexec_b64 s[0:1], s[4:5]
	s_cbranch_execz .LBB1847_235
; %bb.234:
	v_bcnt_u32_b32 v0, v8, 0
	v_bcnt_u32_b32 v0, v9, v0
	s_waitcnt lgkmcnt(0)
	v_add_u32_e32 v0, v60, v0
	ds_write_b32 v65, v0 offset:64
.LBB1847_235:
	s_or_b64 exec, exec, s[0:1]
	s_waitcnt vmcnt(2)
	v_xor_b32_e32 v36, 0x7fffffff, v36
	v_lshrrev_b32_e32 v0, s64, v36
	v_and_b32_e32 v61, s13, v0
	v_mul_lo_u32 v0, v61, s2
	v_lshl_add_u32 v68, v27, 2, v0
	v_and_b32_e32 v0, 1, v61
	v_lshl_add_u64 v[8:9], v[0:1], 0, -1
	v_cmp_ne_u32_e32 vcc, 0, v0
	; wave barrier
	s_nop 1
	v_xor_b32_e32 v8, vcc_lo, v8
	v_xor_b32_e32 v0, vcc_hi, v9
	v_and_b32_e32 v66, exec_lo, v8
	v_lshlrev_b32_e32 v9, 30, v61
	v_mov_b32_e32 v8, v1
	v_cmp_gt_i64_e32 vcc, 0, v[8:9]
	v_not_b32_e32 v8, v9
	v_ashrrev_i32_e32 v8, 31, v8
	v_and_b32_e32 v0, exec_hi, v0
	v_xor_b32_e32 v9, vcc_hi, v8
	v_xor_b32_e32 v8, vcc_lo, v8
	v_and_b32_e32 v0, v0, v9
	v_and_b32_e32 v66, v66, v8
	v_lshlrev_b32_e32 v9, 29, v61
	v_mov_b32_e32 v8, v1
	v_cmp_gt_i64_e32 vcc, 0, v[8:9]
	v_not_b32_e32 v8, v9
	v_ashrrev_i32_e32 v8, 31, v8
	v_xor_b32_e32 v9, vcc_hi, v8
	v_xor_b32_e32 v8, vcc_lo, v8
	v_and_b32_e32 v0, v0, v9
	v_and_b32_e32 v66, v66, v8
	v_lshlrev_b32_e32 v9, 28, v61
	v_mov_b32_e32 v8, v1
	v_cmp_gt_i64_e32 vcc, 0, v[8:9]
	v_not_b32_e32 v8, v9
	v_ashrrev_i32_e32 v8, 31, v8
	;; [unrolled: 9-line block ×5, first 2 shown]
	v_xor_b32_e32 v9, vcc_hi, v8
	v_xor_b32_e32 v8, vcc_lo, v8
	v_and_b32_e32 v0, v0, v9
	v_lshlrev_b32_e32 v9, 24, v61
	v_and_b32_e32 v66, v66, v8
	v_mov_b32_e32 v8, v1
	v_not_b32_e32 v1, v9
	v_cmp_gt_i64_e32 vcc, 0, v[8:9]
	v_ashrrev_i32_e32 v1, 31, v1
	ds_read_b32 v64, v68 offset:64
	v_xor_b32_e32 v8, vcc_hi, v1
	v_xor_b32_e32 v9, vcc_lo, v1
	v_and_b32_e32 v1, v0, v8
	v_and_b32_e32 v0, v66, v9
	v_mbcnt_lo_u32_b32 v8, v0, 0
	v_mbcnt_hi_u32_b32 v66, v1, v8
	v_cmp_eq_u32_e32 vcc, 0, v66
	v_cmp_ne_u64_e64 s[0:1], 0, v[0:1]
	s_and_b64 s[2:3], s[0:1], vcc
	; wave barrier
	s_and_saveexec_b64 s[0:1], s[2:3]
	s_cbranch_execz .LBB1847_237
; %bb.236:
	v_bcnt_u32_b32 v0, v0, 0
	v_bcnt_u32_b32 v0, v1, v0
	s_waitcnt lgkmcnt(0)
	v_add_u32_e32 v0, v64, v0
	ds_write_b32 v68, v0 offset:64
.LBB1847_237:
	s_or_b64 exec, exec, s[0:1]
	s_waitcnt vmcnt(1)
	v_xor_b32_e32 v31, 0x7fffffff, v31
	v_lshrrev_b32_e32 v0, s64, v31
	v_and_b32_e32 v61, s13, v0
	s_movk_i32 s2, 0x44
	v_mul_lo_u32 v0, v61, s2
	v_lshl_add_u32 v70, v27, 2, v0
	v_and_b32_e32 v0, 1, v61
	v_mov_b32_e32 v1, 0
	v_lshl_add_u64 v[8:9], v[0:1], 0, -1
	v_cmp_ne_u32_e32 vcc, 0, v0
	; wave barrier
	s_nop 1
	v_xor_b32_e32 v8, vcc_lo, v8
	v_xor_b32_e32 v0, vcc_hi, v9
	v_and_b32_e32 v69, exec_lo, v8
	v_lshlrev_b32_e32 v9, 30, v61
	v_mov_b32_e32 v8, v1
	v_cmp_gt_i64_e32 vcc, 0, v[8:9]
	v_not_b32_e32 v8, v9
	v_ashrrev_i32_e32 v8, 31, v8
	v_and_b32_e32 v0, exec_hi, v0
	v_xor_b32_e32 v9, vcc_hi, v8
	v_xor_b32_e32 v8, vcc_lo, v8
	v_and_b32_e32 v0, v0, v9
	v_and_b32_e32 v69, v69, v8
	v_lshlrev_b32_e32 v9, 29, v61
	v_mov_b32_e32 v8, v1
	v_cmp_gt_i64_e32 vcc, 0, v[8:9]
	v_not_b32_e32 v8, v9
	v_ashrrev_i32_e32 v8, 31, v8
	v_xor_b32_e32 v9, vcc_hi, v8
	v_xor_b32_e32 v8, vcc_lo, v8
	v_and_b32_e32 v0, v0, v9
	v_and_b32_e32 v69, v69, v8
	v_lshlrev_b32_e32 v9, 28, v61
	v_mov_b32_e32 v8, v1
	v_cmp_gt_i64_e32 vcc, 0, v[8:9]
	v_not_b32_e32 v8, v9
	v_ashrrev_i32_e32 v8, 31, v8
	;; [unrolled: 9-line block ×6, first 2 shown]
	v_xor_b32_e32 v9, vcc_hi, v8
	v_xor_b32_e32 v8, vcc_lo, v8
	ds_read_b32 v67, v70 offset:64
	v_and_b32_e32 v8, v69, v8
	v_and_b32_e32 v9, v0, v9
	v_mbcnt_lo_u32_b32 v0, v8, 0
	v_mbcnt_hi_u32_b32 v69, v9, v0
	v_cmp_eq_u32_e32 vcc, 0, v69
	v_cmp_ne_u64_e64 s[0:1], 0, v[8:9]
	s_and_b64 s[4:5], s[0:1], vcc
	; wave barrier
	s_and_saveexec_b64 s[0:1], s[4:5]
	s_cbranch_execz .LBB1847_239
; %bb.238:
	v_bcnt_u32_b32 v0, v8, 0
	v_bcnt_u32_b32 v0, v9, v0
	s_waitcnt lgkmcnt(0)
	v_add_u32_e32 v0, v67, v0
	ds_write_b32 v70, v0 offset:64
.LBB1847_239:
	s_or_b64 exec, exec, s[0:1]
	s_waitcnt vmcnt(0)
	v_xor_b32_e32 v61, 0x7fffffff, v25
	v_lshrrev_b32_e32 v0, s64, v61
	v_and_b32_e32 v25, s13, v0
	v_mul_lo_u32 v0, v25, s2
	v_lshl_add_u32 v72, v27, 2, v0
	v_and_b32_e32 v0, 1, v25
	v_lshl_add_u64 v[8:9], v[0:1], 0, -1
	v_cmp_ne_u32_e32 vcc, 0, v0
	; wave barrier
	s_nop 1
	v_xor_b32_e32 v8, vcc_lo, v8
	v_xor_b32_e32 v0, vcc_hi, v9
	v_and_b32_e32 v71, exec_lo, v8
	v_lshlrev_b32_e32 v9, 30, v25
	v_mov_b32_e32 v8, v1
	v_cmp_gt_i64_e32 vcc, 0, v[8:9]
	v_not_b32_e32 v8, v9
	v_ashrrev_i32_e32 v8, 31, v8
	v_and_b32_e32 v0, exec_hi, v0
	v_xor_b32_e32 v9, vcc_hi, v8
	v_xor_b32_e32 v8, vcc_lo, v8
	v_and_b32_e32 v0, v0, v9
	v_and_b32_e32 v71, v71, v8
	v_lshlrev_b32_e32 v9, 29, v25
	v_mov_b32_e32 v8, v1
	v_cmp_gt_i64_e32 vcc, 0, v[8:9]
	v_not_b32_e32 v8, v9
	v_ashrrev_i32_e32 v8, 31, v8
	v_xor_b32_e32 v9, vcc_hi, v8
	v_xor_b32_e32 v8, vcc_lo, v8
	v_and_b32_e32 v0, v0, v9
	v_and_b32_e32 v71, v71, v8
	v_lshlrev_b32_e32 v9, 28, v25
	v_mov_b32_e32 v8, v1
	v_cmp_gt_i64_e32 vcc, 0, v[8:9]
	v_not_b32_e32 v8, v9
	v_ashrrev_i32_e32 v8, 31, v8
	;; [unrolled: 9-line block ×5, first 2 shown]
	v_xor_b32_e32 v9, vcc_hi, v8
	v_xor_b32_e32 v8, vcc_lo, v8
	v_and_b32_e32 v0, v0, v9
	v_lshlrev_b32_e32 v9, 24, v25
	v_and_b32_e32 v71, v71, v8
	v_mov_b32_e32 v8, v1
	v_not_b32_e32 v1, v9
	v_cmp_gt_i64_e32 vcc, 0, v[8:9]
	v_ashrrev_i32_e32 v1, 31, v1
	ds_read_b32 v27, v72 offset:64
	v_xor_b32_e32 v8, vcc_hi, v1
	v_xor_b32_e32 v9, vcc_lo, v1
	v_and_b32_e32 v1, v0, v8
	v_and_b32_e32 v0, v71, v9
	v_mbcnt_lo_u32_b32 v8, v0, 0
	v_mbcnt_hi_u32_b32 v71, v1, v8
	v_cmp_eq_u32_e32 vcc, 0, v71
	v_cmp_ne_u64_e64 s[0:1], 0, v[0:1]
	s_and_b64 s[2:3], s[0:1], vcc
	; wave barrier
	s_and_saveexec_b64 s[0:1], s[2:3]
	s_cbranch_execz .LBB1847_241
; %bb.240:
	v_bcnt_u32_b32 v0, v0, 0
	v_bcnt_u32_b32 v0, v1, v0
	s_waitcnt lgkmcnt(0)
	v_add_u32_e32 v0, v27, v0
	ds_write_b32 v72, v0 offset:64
.LBB1847_241:
	s_or_b64 exec, exec, s[0:1]
	; wave barrier
	s_waitcnt lgkmcnt(0)
	s_barrier
	ds_read2_b32 v[8:9], v11 offset0:16 offset1:17
	ds_read2_b32 v[0:1], v11 offset0:18 offset1:19
	ds_read_b32 v25, v11 offset:80
	v_cmp_lt_u32_e64 s[2:3], 31, v10
	s_waitcnt lgkmcnt(1)
	v_add3_u32 v73, v9, v8, v0
	s_waitcnt lgkmcnt(0)
	v_add3_u32 v25, v73, v1, v25
	v_and_b32_e32 v73, 15, v10
	v_cmp_eq_u32_e32 vcc, 0, v73
	v_mov_b32_dpp v74, v25 row_shr:1 row_mask:0xf bank_mask:0xf
	v_cmp_lt_u32_e64 s[0:1], 1, v73
	v_cndmask_b32_e64 v74, v74, 0, vcc
	v_add_u32_e32 v25, v74, v25
	v_cmp_lt_u32_e64 s[4:5], 3, v73
	v_cmp_lt_u32_e64 s[6:7], 7, v73
	v_mov_b32_dpp v74, v25 row_shr:2 row_mask:0xf bank_mask:0xf
	v_cndmask_b32_e64 v74, 0, v74, s[0:1]
	v_add_u32_e32 v25, v25, v74
	s_nop 1
	v_mov_b32_dpp v74, v25 row_shr:4 row_mask:0xf bank_mask:0xf
	v_cndmask_b32_e64 v74, 0, v74, s[4:5]
	v_add_u32_e32 v25, v25, v74
	s_nop 1
	v_mov_b32_dpp v74, v25 row_shr:8 row_mask:0xf bank_mask:0xf
	v_cndmask_b32_e64 v73, 0, v74, s[6:7]
	v_add_u32_e32 v25, v25, v73
	v_bfe_i32 v74, v10, 4, 1
	s_nop 0
	v_mov_b32_dpp v73, v25 row_bcast:15 row_mask:0xf bank_mask:0xf
	v_and_b32_e32 v73, v74, v73
	v_add_u32_e32 v25, v25, v73
	v_lshrrev_b32_e32 v74, 6, v2
	s_nop 0
	v_mov_b32_dpp v73, v25 row_bcast:31 row_mask:0xf bank_mask:0xf
	v_cndmask_b32_e64 v73, 0, v73, s[2:3]
	v_add_u32_e32 v73, v25, v73
	v_and_b32_e32 v25, 63, v2
	v_cmp_eq_u32_e64 s[2:3], 63, v25
	s_and_saveexec_b64 s[10:11], s[2:3]
; %bb.242:
	v_lshlrev_b32_e32 v25, 2, v74
	ds_write_b32 v25, v73
; %bb.243:
	s_or_b64 exec, exec, s[10:11]
	v_cmp_gt_u32_e64 s[2:3], 16, v2
	v_lshlrev_b32_e32 v25, 2, v2
	s_waitcnt lgkmcnt(0)
	s_barrier
	s_and_saveexec_b64 s[10:11], s[2:3]
	s_cbranch_execz .LBB1847_245
; %bb.244:
	ds_read_b32 v75, v25
	s_waitcnt lgkmcnt(0)
	s_nop 0
	v_mov_b32_dpp v76, v75 row_shr:1 row_mask:0xf bank_mask:0xf
	v_cndmask_b32_e64 v76, v76, 0, vcc
	v_add_u32_e32 v75, v76, v75
	s_nop 1
	v_mov_b32_dpp v76, v75 row_shr:2 row_mask:0xf bank_mask:0xf
	v_cndmask_b32_e64 v76, 0, v76, s[0:1]
	v_add_u32_e32 v75, v75, v76
	s_nop 1
	v_mov_b32_dpp v76, v75 row_shr:4 row_mask:0xf bank_mask:0xf
	v_cndmask_b32_e64 v76, 0, v76, s[4:5]
	v_add_u32_e32 v75, v75, v76
	s_nop 1
	v_mov_b32_dpp v76, v75 row_shr:8 row_mask:0xf bank_mask:0xf
	v_cndmask_b32_e64 v76, 0, v76, s[6:7]
	v_add_u32_e32 v75, v75, v76
	ds_write_b32 v25, v75
.LBB1847_245:
	s_or_b64 exec, exec, s[10:11]
	v_cmp_lt_u32_e32 vcc, 63, v2
	v_mov_b32_e32 v75, 0
	s_waitcnt lgkmcnt(0)
	s_barrier
	s_and_saveexec_b64 s[0:1], vcc
; %bb.246:
	v_lshl_add_u32 v74, v74, 2, -4
	ds_read_b32 v75, v74
; %bb.247:
	s_or_b64 exec, exec, s[0:1]
	v_subrev_co_u32_e32 v74, vcc, 1, v10
	v_and_b32_e32 v76, 64, v10
	v_cmp_lt_i32_e64 s[0:1], v74, v76
	s_waitcnt lgkmcnt(0)
	v_add_u32_e32 v73, v75, v73
	s_movk_i32 s2, 0x100
	v_cndmask_b32_e64 v10, v74, v10, s[0:1]
	v_lshlrev_b32_e32 v10, 2, v10
	ds_bpermute_b32 v10, v10, v73
	s_movk_i32 s0, 0xff
	s_waitcnt lgkmcnt(0)
	v_cndmask_b32_e32 v10, v10, v75, vcc
	v_cndmask_b32_e64 v10, v10, 0, s[44:45]
	v_add_u32_e32 v8, v10, v8
	v_add_u32_e32 v9, v8, v9
	;; [unrolled: 1-line block ×4, first 2 shown]
	ds_write2_b32 v11, v10, v8 offset0:16 offset1:17
	ds_write2_b32 v11, v9, v0 offset0:18 offset1:19
	ds_write_b32 v11, v1 offset:80
	s_waitcnt lgkmcnt(0)
	s_barrier
	ds_read_b32 v81, v18 offset:64
	ds_read_b32 v73, v21 offset:64
	;; [unrolled: 1-line block ×16, first 2 shown]
	v_cmp_lt_u32_e32 vcc, s0, v2
	v_cmp_gt_u32_e64 s[0:1], s2, v2
                                        ; implicit-def: $vgpr18
                                        ; implicit-def: $vgpr21
	s_and_saveexec_b64 s[4:5], s[0:1]
	s_cbranch_execz .LBB1847_251
; %bb.248:
	v_mul_u32_u24_e32 v0, 0x44, v2
	ds_read_b32 v18, v0 offset:64
	v_add_u32_e32 v1, 1, v2
	v_cmp_ne_u32_e64 s[2:3], s2, v1
	v_mov_b32_e32 v0, 0x4000
	s_and_saveexec_b64 s[6:7], s[2:3]
; %bb.249:
	v_mul_u32_u24_e32 v0, 0x44, v1
	ds_read_b32 v0, v0 offset:64
; %bb.250:
	s_or_b64 exec, exec, s[6:7]
	s_waitcnt lgkmcnt(0)
	v_sub_u32_e32 v21, v0, v18
.LBB1847_251:
	s_or_b64 exec, exec, s[4:5]
	v_mov_b32_e32 v1, 0
	s_waitcnt lgkmcnt(0)
	s_barrier
	s_and_saveexec_b64 s[2:3], s[0:1]
	s_cbranch_execz .LBB1847_261
; %bb.252:
	v_lshl_add_u32 v0, s33, 8, v2
	v_lshl_add_u64 v[8:9], v[0:1], 2, s[68:69]
	v_or_b32_e32 v0, 2.0, v21
	s_mov_b64 s[4:5], 0
	s_brev_b32 s14, -4
	s_mov_b32 s15, s33
	v_mov_b32_e32 v49, 0
	global_store_dword v[8:9], v0, off sc1
                                        ; implicit-def: $sgpr0_sgpr1
	s_branch .LBB1847_255
.LBB1847_253:                           ;   in Loop: Header=BB1847_255 Depth=1
	s_or_b64 exec, exec, s[10:11]
.LBB1847_254:                           ;   in Loop: Header=BB1847_255 Depth=1
	s_or_b64 exec, exec, s[6:7]
	v_and_b32_e32 v10, 0x3fffffff, v0
	v_add_u32_e32 v49, v10, v49
	v_cmp_gt_i32_e64 s[0:1], -2.0, v0
	s_and_b64 s[6:7], exec, s[0:1]
	s_or_b64 s[4:5], s[6:7], s[4:5]
	s_andn2_b64 exec, exec, s[4:5]
	s_cbranch_execz .LBB1847_260
.LBB1847_255:                           ; =>This Loop Header: Depth=1
                                        ;     Child Loop BB1847_258 Depth 2
	s_or_b64 s[0:1], s[0:1], exec
	s_cmp_eq_u32 s15, 0
	s_cbranch_scc1 .LBB1847_259
; %bb.256:                              ;   in Loop: Header=BB1847_255 Depth=1
	s_add_i32 s15, s15, -1
	v_lshl_or_b32 v0, s15, 8, v2
	v_lshl_add_u64 v[10:11], v[0:1], 2, s[68:69]
	global_load_dword v0, v[10:11], off sc1
	s_waitcnt vmcnt(0)
	v_cmp_gt_u32_e64 s[0:1], 2.0, v0
	s_and_saveexec_b64 s[6:7], s[0:1]
	s_cbranch_execz .LBB1847_254
; %bb.257:                              ;   in Loop: Header=BB1847_255 Depth=1
	s_mov_b64 s[10:11], 0
.LBB1847_258:                           ;   Parent Loop BB1847_255 Depth=1
                                        ; =>  This Inner Loop Header: Depth=2
	global_load_dword v0, v[10:11], off sc1
	s_waitcnt vmcnt(0)
	v_cmp_lt_u32_e64 s[0:1], s14, v0
	s_or_b64 s[10:11], s[0:1], s[10:11]
	s_andn2_b64 exec, exec, s[10:11]
	s_cbranch_execnz .LBB1847_258
	s_branch .LBB1847_253
.LBB1847_259:                           ;   in Loop: Header=BB1847_255 Depth=1
                                        ; implicit-def: $sgpr15
	s_and_b64 s[6:7], exec, s[0:1]
	s_or_b64 s[4:5], s[6:7], s[4:5]
	s_andn2_b64 exec, exec, s[4:5]
	s_cbranch_execnz .LBB1847_255
.LBB1847_260:
	s_or_b64 exec, exec, s[4:5]
	v_add_u32_e32 v0, v49, v21
	v_or_b32_e32 v0, 0x80000000, v0
	global_store_dword v[8:9], v0, off sc1
	global_load_dword v0, v25, s[60:61]
	v_sub_u32_e32 v1, v49, v18
	s_waitcnt vmcnt(0)
	v_add_u32_e32 v0, v1, v0
	ds_write_b32 v25, v0
.LBB1847_261:
	s_or_b64 exec, exec, s[2:3]
	v_add_u32_e32 v8, v81, v14
	v_add3_u32 v0, v16, v13, v73
	v_add3_u32 v1, v20, v17, v74
	;; [unrolled: 1-line block ×15, first 2 shown]
	v_mov_b32_e32 v85, 0x400
	s_mov_b32 s4, s64
	s_mov_b32 s5, s13
	s_movk_i32 s6, 0x400
	v_lshl_add_u32 v9, v9, 2, v85
	v_add3_u32 v10, v71, v41, v27
	v_lshl_add_u32 v11, v11, 2, v85
	v_add3_u32 v14, v69, v26, v67
	;; [unrolled: 2-line block ×15, first 2 shown]
	v_lshl_add_u32 v16, v8, 2, v85
	s_mov_b32 s7, 0
	s_mov_b32 s10, 0
	s_movk_i32 s11, 0x1000
	v_mov_b32_e32 v1, 0
	s_movk_i32 s14, 0x800
	s_movk_i32 s15, 0xc00
	v_mov_b32_e32 v55, v2
	s_mov_b32 s16, 0
	s_branch .LBB1847_263
.LBB1847_262:                           ;   in Loop: Header=BB1847_263 Depth=1
	s_or_b64 exec, exec, s[2:3]
	s_waitcnt lgkmcnt(0)
	s_barrier
	ds_read2st64_b32 v[56:57], v25 offset0:4 offset1:20
	ds_read2st64_b32 v[62:63], v25 offset0:36 offset1:52
	s_addk_i32 s16, 0xc000
	s_addk_i32 s10, 0xf000
	s_waitcnt lgkmcnt(1)
	v_xor_b32_e32 v60, 0x7fffffff, v56
	v_lshrrev_b32_e32 v56, s64, v56
	v_lshrrev_b32_e32 v0, s4, v57
	v_and_b32_e32 v56, s13, v56
	v_xor_b32_e32 v66, 0x7fffffff, v57
	v_and_b32_e32 v57, s5, v0
	v_lshlrev_b32_e32 v0, 2, v56
	ds_read_b32 v0, v0
	s_waitcnt lgkmcnt(1)
	v_lshrrev_b32_e32 v58, s4, v63
	v_lshrrev_b32_e32 v65, s64, v62
	v_and_b32_e32 v59, s5, v58
	v_lshlrev_b32_e32 v64, 2, v57
	v_and_b32_e32 v58, s13, v65
	v_lshlrev_b32_e32 v67, 2, v59
	v_lshlrev_b32_e32 v65, 2, v58
	ds_read_b32 v68, v64
	ds_read_b32 v69, v65
	;; [unrolled: 1-line block ×3, first 2 shown]
	s_waitcnt lgkmcnt(3)
	v_add_u32_e32 v0, v55, v0
	v_lshl_add_u64 v[64:65], v[0:1], 2, s[54:55]
	s_waitcnt lgkmcnt(2)
	v_add3_u32 v0, v55, v68, s6
	global_store_dword v[64:65], v60, off
	v_lshl_add_u64 v[64:65], v[0:1], 2, s[54:55]
	s_waitcnt lgkmcnt(1)
	v_add3_u32 v0, v55, v69, s14
	global_store_dword v[64:65], v66, off
	v_xor_b32_e32 v60, 0x7fffffff, v62
	v_xor_b32_e32 v64, 0x7fffffff, v63
	v_lshl_add_u64 v[62:63], v[0:1], 2, s[54:55]
	s_waitcnt lgkmcnt(0)
	v_add3_u32 v0, v55, v67, s15
	global_store_dword v[62:63], v60, off
	v_lshl_add_u64 v[62:63], v[0:1], 2, s[54:55]
	global_store_dword v[62:63], v64, off
	scratch_store_dwordx4 off, v[56:59], s7
	s_add_i32 s7, s7, 16
	s_cmp_eq_u32 s16, 0xffff0000
	v_add_u32_e32 v55, 0x1000, v55
	s_barrier
	s_cbranch_scc1 .LBB1847_295
.LBB1847_263:                           ; =>This Inner Loop Header: Depth=1
	v_add_u32_e32 v0, s10, v8
	v_cmp_gt_u32_e64 s[0:1], s11, v0
	s_and_saveexec_b64 s[2:3], s[0:1]
; %bb.264:                              ;   in Loop: Header=BB1847_263 Depth=1
	v_add_u32_e32 v0, s16, v16
	ds_write_b32 v0, v3
; %bb.265:                              ;   in Loop: Header=BB1847_263 Depth=1
	s_or_b64 exec, exec, s[2:3]
	v_add_u32_e32 v0, s10, v13
	v_cmp_gt_u32_e64 s[0:1], s11, v0
	s_and_saveexec_b64 s[2:3], s[0:1]
; %bb.266:                              ;   in Loop: Header=BB1847_263 Depth=1
	v_add_u32_e32 v0, s16, v20
	ds_write_b32 v0, v5
; %bb.267:                              ;   in Loop: Header=BB1847_263 Depth=1
	s_or_b64 exec, exec, s[2:3]
	;; [unrolled: 8-line block ×15, first 2 shown]
	v_add_u32_e32 v0, s10, v10
	v_cmp_gt_u32_e64 s[0:1], s11, v0
	s_and_saveexec_b64 s[2:3], s[0:1]
	s_cbranch_execz .LBB1847_262
; %bb.294:                              ;   in Loop: Header=BB1847_263 Depth=1
	v_add_u32_e32 v0, s16, v9
	ds_write_b32 v0, v61
	s_branch .LBB1847_262
.LBB1847_295:
	s_add_u32 s0, s56, s8
	s_addc_u32 s1, s57, s9
	v_mov_b32_e32 v5, 0
	v_lshl_add_u64 v[0:1], s[0:1], 0, v[4:5]
	v_mov_b32_e32 v7, v5
	v_lshl_add_u64 v[44:45], v[0:1], 0, v[6:7]
	global_load_dword v0, v[44:45], off
	global_load_dword v1, v[44:45], off offset:256
	global_load_dword v3, v[44:45], off offset:512
	;; [unrolled: 1-line block ×14, first 2 shown]
	s_nop 0
	global_load_dword v44, v[44:45], off offset:3840
	s_mov_b32 s4, 0
	s_mov_b32 s5, 0
	s_movk_i32 s6, 0x1000
	s_movk_i32 s7, 0x400
	;; [unrolled: 1-line block ×4, first 2 shown]
	s_mov_b32 s10, 0
	s_branch .LBB1847_297
.LBB1847_296:                           ;   in Loop: Header=BB1847_297 Depth=1
	s_or_b64 exec, exec, s[2:3]
	s_waitcnt lgkmcnt(0)
	s_barrier
	scratch_load_dwordx4 v[56:59], off, s4
	ds_read2st64_b32 v[60:61], v25 offset0:4 offset1:20
	ds_read2st64_b32 v[62:63], v25 offset0:36 offset1:52
	s_addk_i32 s10, 0xc000
	s_addk_i32 s5, 0xf000
	s_add_i32 s4, s4, 16
	s_cmp_eq_u32 s10, 0xffff0000
	s_waitcnt vmcnt(0)
	v_lshlrev_b32_e32 v4, 2, v56
	ds_read_b32 v4, v4
	v_lshlrev_b32_e32 v45, 2, v57
	v_lshlrev_b32_e32 v55, 2, v58
	;; [unrolled: 1-line block ×3, first 2 shown]
	ds_read_b32 v45, v45
	ds_read_b32 v55, v55
	ds_read_b32 v58, v56
	s_waitcnt lgkmcnt(3)
	v_add_u32_e32 v4, v2, v4
	v_lshl_add_u64 v[56:57], v[4:5], 2, s[58:59]
	s_waitcnt lgkmcnt(2)
	v_add3_u32 v4, v2, v45, s7
	global_store_dword v[56:57], v60, off
	v_lshl_add_u64 v[56:57], v[4:5], 2, s[58:59]
	s_waitcnt lgkmcnt(1)
	v_add3_u32 v4, v2, v55, s8
	global_store_dword v[56:57], v61, off
	;; [unrolled: 4-line block ×3, first 2 shown]
	v_lshl_add_u64 v[56:57], v[4:5], 2, s[58:59]
	v_add_u32_e32 v2, 0x1000, v2
	global_store_dword v[56:57], v63, off
	s_barrier
	s_cbranch_scc1 .LBB1847_329
.LBB1847_297:                           ; =>This Inner Loop Header: Depth=1
	v_add_u32_e32 v4, s5, v8
	v_cmp_gt_u32_e64 s[0:1], s6, v4
	s_and_saveexec_b64 s[2:3], s[0:1]
	s_cbranch_execz .LBB1847_299
; %bb.298:                              ;   in Loop: Header=BB1847_297 Depth=1
	v_add_u32_e32 v4, s10, v16
	s_waitcnt vmcnt(15)
	ds_write_b32 v4, v0
.LBB1847_299:                           ;   in Loop: Header=BB1847_297 Depth=1
	s_or_b64 exec, exec, s[2:3]
	v_add_u32_e32 v4, s5, v13
	v_cmp_gt_u32_e64 s[0:1], s6, v4
	s_and_saveexec_b64 s[2:3], s[0:1]
	s_cbranch_execz .LBB1847_301
; %bb.300:                              ;   in Loop: Header=BB1847_297 Depth=1
	v_add_u32_e32 v4, s10, v20
	s_waitcnt vmcnt(14)
	ds_write_b32 v4, v1
.LBB1847_301:                           ;   in Loop: Header=BB1847_297 Depth=1
	s_or_b64 exec, exec, s[2:3]
	;; [unrolled: 10-line block ×15, first 2 shown]
	v_add_u32_e32 v4, s5, v10
	v_cmp_gt_u32_e64 s[0:1], s6, v4
	s_and_saveexec_b64 s[2:3], s[0:1]
	s_cbranch_execz .LBB1847_296
; %bb.328:                              ;   in Loop: Header=BB1847_297 Depth=1
	v_add_u32_e32 v4, s10, v9
	s_waitcnt vmcnt(0)
	ds_write_b32 v4, v44
	s_branch .LBB1847_296
.LBB1847_329:
	s_add_i32 s12, s12, -1
	s_cmp_eq_u32 s33, s12
	s_cselect_b64 s[0:1], -1, 0
	s_xor_b64 s[2:3], vcc, -1
	s_and_b64 s[0:1], s[2:3], s[0:1]
	s_and_saveexec_b64 s[2:3], s[0:1]
	s_cbranch_execz .LBB1847_331
; %bb.330:
	ds_read_b32 v0, v25
	s_waitcnt lgkmcnt(0)
	v_add3_u32 v0, v18, v21, v0
	global_store_dword v25, v0, s[62:63]
.LBB1847_331:
	s_endpgm
	.section	.rodata,"a",@progbits
	.p2align	6, 0x0
	.amdhsa_kernel _ZN7rocprim17ROCPRIM_400000_NS6detail17trampoline_kernelINS0_14default_configENS1_35radix_sort_onesweep_config_selectorIiiEEZZNS1_29radix_sort_onesweep_iterationIS3_Lb1EN6thrust23THRUST_200600_302600_NS6detail15normal_iteratorINS8_10device_ptrIiEEEESD_SD_SD_jNS0_19identity_decomposerENS1_16block_id_wrapperIjLb1EEEEE10hipError_tT1_PNSt15iterator_traitsISI_E10value_typeET2_T3_PNSJ_ISO_E10value_typeET4_T5_PST_SU_PNS1_23onesweep_lookback_stateEbbT6_jjT7_P12ihipStream_tbENKUlT_T0_SI_SN_E_clISD_PiSD_S15_EEDaS11_S12_SI_SN_EUlS11_E_NS1_11comp_targetILNS1_3genE6ELNS1_11target_archE950ELNS1_3gpuE13ELNS1_3repE0EEENS1_47radix_sort_onesweep_sort_config_static_selectorELNS0_4arch9wavefront6targetE1EEEvSI_
		.amdhsa_group_segment_fixed_size 20552
		.amdhsa_private_segment_fixed_size 80
		.amdhsa_kernarg_size 344
		.amdhsa_user_sgpr_count 2
		.amdhsa_user_sgpr_dispatch_ptr 0
		.amdhsa_user_sgpr_queue_ptr 0
		.amdhsa_user_sgpr_kernarg_segment_ptr 1
		.amdhsa_user_sgpr_dispatch_id 0
		.amdhsa_user_sgpr_kernarg_preload_length 0
		.amdhsa_user_sgpr_kernarg_preload_offset 0
		.amdhsa_user_sgpr_private_segment_size 0
		.amdhsa_uses_dynamic_stack 0
		.amdhsa_enable_private_segment 1
		.amdhsa_system_sgpr_workgroup_id_x 1
		.amdhsa_system_sgpr_workgroup_id_y 0
		.amdhsa_system_sgpr_workgroup_id_z 0
		.amdhsa_system_sgpr_workgroup_info 0
		.amdhsa_system_vgpr_workitem_id 2
		.amdhsa_next_free_vgpr 89
		.amdhsa_next_free_sgpr 73
		.amdhsa_accum_offset 92
		.amdhsa_reserve_vcc 1
		.amdhsa_float_round_mode_32 0
		.amdhsa_float_round_mode_16_64 0
		.amdhsa_float_denorm_mode_32 3
		.amdhsa_float_denorm_mode_16_64 3
		.amdhsa_dx10_clamp 1
		.amdhsa_ieee_mode 1
		.amdhsa_fp16_overflow 0
		.amdhsa_tg_split 0
		.amdhsa_exception_fp_ieee_invalid_op 0
		.amdhsa_exception_fp_denorm_src 0
		.amdhsa_exception_fp_ieee_div_zero 0
		.amdhsa_exception_fp_ieee_overflow 0
		.amdhsa_exception_fp_ieee_underflow 0
		.amdhsa_exception_fp_ieee_inexact 0
		.amdhsa_exception_int_div_zero 0
	.end_amdhsa_kernel
	.section	.text._ZN7rocprim17ROCPRIM_400000_NS6detail17trampoline_kernelINS0_14default_configENS1_35radix_sort_onesweep_config_selectorIiiEEZZNS1_29radix_sort_onesweep_iterationIS3_Lb1EN6thrust23THRUST_200600_302600_NS6detail15normal_iteratorINS8_10device_ptrIiEEEESD_SD_SD_jNS0_19identity_decomposerENS1_16block_id_wrapperIjLb1EEEEE10hipError_tT1_PNSt15iterator_traitsISI_E10value_typeET2_T3_PNSJ_ISO_E10value_typeET4_T5_PST_SU_PNS1_23onesweep_lookback_stateEbbT6_jjT7_P12ihipStream_tbENKUlT_T0_SI_SN_E_clISD_PiSD_S15_EEDaS11_S12_SI_SN_EUlS11_E_NS1_11comp_targetILNS1_3genE6ELNS1_11target_archE950ELNS1_3gpuE13ELNS1_3repE0EEENS1_47radix_sort_onesweep_sort_config_static_selectorELNS0_4arch9wavefront6targetE1EEEvSI_,"axG",@progbits,_ZN7rocprim17ROCPRIM_400000_NS6detail17trampoline_kernelINS0_14default_configENS1_35radix_sort_onesweep_config_selectorIiiEEZZNS1_29radix_sort_onesweep_iterationIS3_Lb1EN6thrust23THRUST_200600_302600_NS6detail15normal_iteratorINS8_10device_ptrIiEEEESD_SD_SD_jNS0_19identity_decomposerENS1_16block_id_wrapperIjLb1EEEEE10hipError_tT1_PNSt15iterator_traitsISI_E10value_typeET2_T3_PNSJ_ISO_E10value_typeET4_T5_PST_SU_PNS1_23onesweep_lookback_stateEbbT6_jjT7_P12ihipStream_tbENKUlT_T0_SI_SN_E_clISD_PiSD_S15_EEDaS11_S12_SI_SN_EUlS11_E_NS1_11comp_targetILNS1_3genE6ELNS1_11target_archE950ELNS1_3gpuE13ELNS1_3repE0EEENS1_47radix_sort_onesweep_sort_config_static_selectorELNS0_4arch9wavefront6targetE1EEEvSI_,comdat
.Lfunc_end1847:
	.size	_ZN7rocprim17ROCPRIM_400000_NS6detail17trampoline_kernelINS0_14default_configENS1_35radix_sort_onesweep_config_selectorIiiEEZZNS1_29radix_sort_onesweep_iterationIS3_Lb1EN6thrust23THRUST_200600_302600_NS6detail15normal_iteratorINS8_10device_ptrIiEEEESD_SD_SD_jNS0_19identity_decomposerENS1_16block_id_wrapperIjLb1EEEEE10hipError_tT1_PNSt15iterator_traitsISI_E10value_typeET2_T3_PNSJ_ISO_E10value_typeET4_T5_PST_SU_PNS1_23onesweep_lookback_stateEbbT6_jjT7_P12ihipStream_tbENKUlT_T0_SI_SN_E_clISD_PiSD_S15_EEDaS11_S12_SI_SN_EUlS11_E_NS1_11comp_targetILNS1_3genE6ELNS1_11target_archE950ELNS1_3gpuE13ELNS1_3repE0EEENS1_47radix_sort_onesweep_sort_config_static_selectorELNS0_4arch9wavefront6targetE1EEEvSI_, .Lfunc_end1847-_ZN7rocprim17ROCPRIM_400000_NS6detail17trampoline_kernelINS0_14default_configENS1_35radix_sort_onesweep_config_selectorIiiEEZZNS1_29radix_sort_onesweep_iterationIS3_Lb1EN6thrust23THRUST_200600_302600_NS6detail15normal_iteratorINS8_10device_ptrIiEEEESD_SD_SD_jNS0_19identity_decomposerENS1_16block_id_wrapperIjLb1EEEEE10hipError_tT1_PNSt15iterator_traitsISI_E10value_typeET2_T3_PNSJ_ISO_E10value_typeET4_T5_PST_SU_PNS1_23onesweep_lookback_stateEbbT6_jjT7_P12ihipStream_tbENKUlT_T0_SI_SN_E_clISD_PiSD_S15_EEDaS11_S12_SI_SN_EUlS11_E_NS1_11comp_targetILNS1_3genE6ELNS1_11target_archE950ELNS1_3gpuE13ELNS1_3repE0EEENS1_47radix_sort_onesweep_sort_config_static_selectorELNS0_4arch9wavefront6targetE1EEEvSI_
                                        ; -- End function
	.set _ZN7rocprim17ROCPRIM_400000_NS6detail17trampoline_kernelINS0_14default_configENS1_35radix_sort_onesweep_config_selectorIiiEEZZNS1_29radix_sort_onesweep_iterationIS3_Lb1EN6thrust23THRUST_200600_302600_NS6detail15normal_iteratorINS8_10device_ptrIiEEEESD_SD_SD_jNS0_19identity_decomposerENS1_16block_id_wrapperIjLb1EEEEE10hipError_tT1_PNSt15iterator_traitsISI_E10value_typeET2_T3_PNSJ_ISO_E10value_typeET4_T5_PST_SU_PNS1_23onesweep_lookback_stateEbbT6_jjT7_P12ihipStream_tbENKUlT_T0_SI_SN_E_clISD_PiSD_S15_EEDaS11_S12_SI_SN_EUlS11_E_NS1_11comp_targetILNS1_3genE6ELNS1_11target_archE950ELNS1_3gpuE13ELNS1_3repE0EEENS1_47radix_sort_onesweep_sort_config_static_selectorELNS0_4arch9wavefront6targetE1EEEvSI_.num_vgpr, 89
	.set _ZN7rocprim17ROCPRIM_400000_NS6detail17trampoline_kernelINS0_14default_configENS1_35radix_sort_onesweep_config_selectorIiiEEZZNS1_29radix_sort_onesweep_iterationIS3_Lb1EN6thrust23THRUST_200600_302600_NS6detail15normal_iteratorINS8_10device_ptrIiEEEESD_SD_SD_jNS0_19identity_decomposerENS1_16block_id_wrapperIjLb1EEEEE10hipError_tT1_PNSt15iterator_traitsISI_E10value_typeET2_T3_PNSJ_ISO_E10value_typeET4_T5_PST_SU_PNS1_23onesweep_lookback_stateEbbT6_jjT7_P12ihipStream_tbENKUlT_T0_SI_SN_E_clISD_PiSD_S15_EEDaS11_S12_SI_SN_EUlS11_E_NS1_11comp_targetILNS1_3genE6ELNS1_11target_archE950ELNS1_3gpuE13ELNS1_3repE0EEENS1_47radix_sort_onesweep_sort_config_static_selectorELNS0_4arch9wavefront6targetE1EEEvSI_.num_agpr, 0
	.set _ZN7rocprim17ROCPRIM_400000_NS6detail17trampoline_kernelINS0_14default_configENS1_35radix_sort_onesweep_config_selectorIiiEEZZNS1_29radix_sort_onesweep_iterationIS3_Lb1EN6thrust23THRUST_200600_302600_NS6detail15normal_iteratorINS8_10device_ptrIiEEEESD_SD_SD_jNS0_19identity_decomposerENS1_16block_id_wrapperIjLb1EEEEE10hipError_tT1_PNSt15iterator_traitsISI_E10value_typeET2_T3_PNSJ_ISO_E10value_typeET4_T5_PST_SU_PNS1_23onesweep_lookback_stateEbbT6_jjT7_P12ihipStream_tbENKUlT_T0_SI_SN_E_clISD_PiSD_S15_EEDaS11_S12_SI_SN_EUlS11_E_NS1_11comp_targetILNS1_3genE6ELNS1_11target_archE950ELNS1_3gpuE13ELNS1_3repE0EEENS1_47radix_sort_onesweep_sort_config_static_selectorELNS0_4arch9wavefront6targetE1EEEvSI_.numbered_sgpr, 73
	.set _ZN7rocprim17ROCPRIM_400000_NS6detail17trampoline_kernelINS0_14default_configENS1_35radix_sort_onesweep_config_selectorIiiEEZZNS1_29radix_sort_onesweep_iterationIS3_Lb1EN6thrust23THRUST_200600_302600_NS6detail15normal_iteratorINS8_10device_ptrIiEEEESD_SD_SD_jNS0_19identity_decomposerENS1_16block_id_wrapperIjLb1EEEEE10hipError_tT1_PNSt15iterator_traitsISI_E10value_typeET2_T3_PNSJ_ISO_E10value_typeET4_T5_PST_SU_PNS1_23onesweep_lookback_stateEbbT6_jjT7_P12ihipStream_tbENKUlT_T0_SI_SN_E_clISD_PiSD_S15_EEDaS11_S12_SI_SN_EUlS11_E_NS1_11comp_targetILNS1_3genE6ELNS1_11target_archE950ELNS1_3gpuE13ELNS1_3repE0EEENS1_47radix_sort_onesweep_sort_config_static_selectorELNS0_4arch9wavefront6targetE1EEEvSI_.num_named_barrier, 0
	.set _ZN7rocprim17ROCPRIM_400000_NS6detail17trampoline_kernelINS0_14default_configENS1_35radix_sort_onesweep_config_selectorIiiEEZZNS1_29radix_sort_onesweep_iterationIS3_Lb1EN6thrust23THRUST_200600_302600_NS6detail15normal_iteratorINS8_10device_ptrIiEEEESD_SD_SD_jNS0_19identity_decomposerENS1_16block_id_wrapperIjLb1EEEEE10hipError_tT1_PNSt15iterator_traitsISI_E10value_typeET2_T3_PNSJ_ISO_E10value_typeET4_T5_PST_SU_PNS1_23onesweep_lookback_stateEbbT6_jjT7_P12ihipStream_tbENKUlT_T0_SI_SN_E_clISD_PiSD_S15_EEDaS11_S12_SI_SN_EUlS11_E_NS1_11comp_targetILNS1_3genE6ELNS1_11target_archE950ELNS1_3gpuE13ELNS1_3repE0EEENS1_47radix_sort_onesweep_sort_config_static_selectorELNS0_4arch9wavefront6targetE1EEEvSI_.private_seg_size, 80
	.set _ZN7rocprim17ROCPRIM_400000_NS6detail17trampoline_kernelINS0_14default_configENS1_35radix_sort_onesweep_config_selectorIiiEEZZNS1_29radix_sort_onesweep_iterationIS3_Lb1EN6thrust23THRUST_200600_302600_NS6detail15normal_iteratorINS8_10device_ptrIiEEEESD_SD_SD_jNS0_19identity_decomposerENS1_16block_id_wrapperIjLb1EEEEE10hipError_tT1_PNSt15iterator_traitsISI_E10value_typeET2_T3_PNSJ_ISO_E10value_typeET4_T5_PST_SU_PNS1_23onesweep_lookback_stateEbbT6_jjT7_P12ihipStream_tbENKUlT_T0_SI_SN_E_clISD_PiSD_S15_EEDaS11_S12_SI_SN_EUlS11_E_NS1_11comp_targetILNS1_3genE6ELNS1_11target_archE950ELNS1_3gpuE13ELNS1_3repE0EEENS1_47radix_sort_onesweep_sort_config_static_selectorELNS0_4arch9wavefront6targetE1EEEvSI_.uses_vcc, 1
	.set _ZN7rocprim17ROCPRIM_400000_NS6detail17trampoline_kernelINS0_14default_configENS1_35radix_sort_onesweep_config_selectorIiiEEZZNS1_29radix_sort_onesweep_iterationIS3_Lb1EN6thrust23THRUST_200600_302600_NS6detail15normal_iteratorINS8_10device_ptrIiEEEESD_SD_SD_jNS0_19identity_decomposerENS1_16block_id_wrapperIjLb1EEEEE10hipError_tT1_PNSt15iterator_traitsISI_E10value_typeET2_T3_PNSJ_ISO_E10value_typeET4_T5_PST_SU_PNS1_23onesweep_lookback_stateEbbT6_jjT7_P12ihipStream_tbENKUlT_T0_SI_SN_E_clISD_PiSD_S15_EEDaS11_S12_SI_SN_EUlS11_E_NS1_11comp_targetILNS1_3genE6ELNS1_11target_archE950ELNS1_3gpuE13ELNS1_3repE0EEENS1_47radix_sort_onesweep_sort_config_static_selectorELNS0_4arch9wavefront6targetE1EEEvSI_.uses_flat_scratch, 0
	.set _ZN7rocprim17ROCPRIM_400000_NS6detail17trampoline_kernelINS0_14default_configENS1_35radix_sort_onesweep_config_selectorIiiEEZZNS1_29radix_sort_onesweep_iterationIS3_Lb1EN6thrust23THRUST_200600_302600_NS6detail15normal_iteratorINS8_10device_ptrIiEEEESD_SD_SD_jNS0_19identity_decomposerENS1_16block_id_wrapperIjLb1EEEEE10hipError_tT1_PNSt15iterator_traitsISI_E10value_typeET2_T3_PNSJ_ISO_E10value_typeET4_T5_PST_SU_PNS1_23onesweep_lookback_stateEbbT6_jjT7_P12ihipStream_tbENKUlT_T0_SI_SN_E_clISD_PiSD_S15_EEDaS11_S12_SI_SN_EUlS11_E_NS1_11comp_targetILNS1_3genE6ELNS1_11target_archE950ELNS1_3gpuE13ELNS1_3repE0EEENS1_47radix_sort_onesweep_sort_config_static_selectorELNS0_4arch9wavefront6targetE1EEEvSI_.has_dyn_sized_stack, 0
	.set _ZN7rocprim17ROCPRIM_400000_NS6detail17trampoline_kernelINS0_14default_configENS1_35radix_sort_onesweep_config_selectorIiiEEZZNS1_29radix_sort_onesweep_iterationIS3_Lb1EN6thrust23THRUST_200600_302600_NS6detail15normal_iteratorINS8_10device_ptrIiEEEESD_SD_SD_jNS0_19identity_decomposerENS1_16block_id_wrapperIjLb1EEEEE10hipError_tT1_PNSt15iterator_traitsISI_E10value_typeET2_T3_PNSJ_ISO_E10value_typeET4_T5_PST_SU_PNS1_23onesweep_lookback_stateEbbT6_jjT7_P12ihipStream_tbENKUlT_T0_SI_SN_E_clISD_PiSD_S15_EEDaS11_S12_SI_SN_EUlS11_E_NS1_11comp_targetILNS1_3genE6ELNS1_11target_archE950ELNS1_3gpuE13ELNS1_3repE0EEENS1_47radix_sort_onesweep_sort_config_static_selectorELNS0_4arch9wavefront6targetE1EEEvSI_.has_recursion, 0
	.set _ZN7rocprim17ROCPRIM_400000_NS6detail17trampoline_kernelINS0_14default_configENS1_35radix_sort_onesweep_config_selectorIiiEEZZNS1_29radix_sort_onesweep_iterationIS3_Lb1EN6thrust23THRUST_200600_302600_NS6detail15normal_iteratorINS8_10device_ptrIiEEEESD_SD_SD_jNS0_19identity_decomposerENS1_16block_id_wrapperIjLb1EEEEE10hipError_tT1_PNSt15iterator_traitsISI_E10value_typeET2_T3_PNSJ_ISO_E10value_typeET4_T5_PST_SU_PNS1_23onesweep_lookback_stateEbbT6_jjT7_P12ihipStream_tbENKUlT_T0_SI_SN_E_clISD_PiSD_S15_EEDaS11_S12_SI_SN_EUlS11_E_NS1_11comp_targetILNS1_3genE6ELNS1_11target_archE950ELNS1_3gpuE13ELNS1_3repE0EEENS1_47radix_sort_onesweep_sort_config_static_selectorELNS0_4arch9wavefront6targetE1EEEvSI_.has_indirect_call, 0
	.section	.AMDGPU.csdata,"",@progbits
; Kernel info:
; codeLenInByte = 22700
; TotalNumSgprs: 79
; NumVgprs: 89
; NumAgprs: 0
; TotalNumVgprs: 89
; ScratchSize: 80
; MemoryBound: 0
; FloatMode: 240
; IeeeMode: 1
; LDSByteSize: 20552 bytes/workgroup (compile time only)
; SGPRBlocks: 9
; VGPRBlocks: 11
; NumSGPRsForWavesPerEU: 79
; NumVGPRsForWavesPerEU: 89
; AccumOffset: 92
; Occupancy: 5
; WaveLimiterHint : 1
; COMPUTE_PGM_RSRC2:SCRATCH_EN: 1
; COMPUTE_PGM_RSRC2:USER_SGPR: 2
; COMPUTE_PGM_RSRC2:TRAP_HANDLER: 0
; COMPUTE_PGM_RSRC2:TGID_X_EN: 1
; COMPUTE_PGM_RSRC2:TGID_Y_EN: 0
; COMPUTE_PGM_RSRC2:TGID_Z_EN: 0
; COMPUTE_PGM_RSRC2:TIDIG_COMP_CNT: 2
; COMPUTE_PGM_RSRC3_GFX90A:ACCUM_OFFSET: 22
; COMPUTE_PGM_RSRC3_GFX90A:TG_SPLIT: 0
	.section	.text._ZN7rocprim17ROCPRIM_400000_NS6detail17trampoline_kernelINS0_14default_configENS1_35radix_sort_onesweep_config_selectorIiiEEZZNS1_29radix_sort_onesweep_iterationIS3_Lb1EN6thrust23THRUST_200600_302600_NS6detail15normal_iteratorINS8_10device_ptrIiEEEESD_SD_SD_jNS0_19identity_decomposerENS1_16block_id_wrapperIjLb1EEEEE10hipError_tT1_PNSt15iterator_traitsISI_E10value_typeET2_T3_PNSJ_ISO_E10value_typeET4_T5_PST_SU_PNS1_23onesweep_lookback_stateEbbT6_jjT7_P12ihipStream_tbENKUlT_T0_SI_SN_E_clISD_PiSD_S15_EEDaS11_S12_SI_SN_EUlS11_E_NS1_11comp_targetILNS1_3genE5ELNS1_11target_archE942ELNS1_3gpuE9ELNS1_3repE0EEENS1_47radix_sort_onesweep_sort_config_static_selectorELNS0_4arch9wavefront6targetE1EEEvSI_,"axG",@progbits,_ZN7rocprim17ROCPRIM_400000_NS6detail17trampoline_kernelINS0_14default_configENS1_35radix_sort_onesweep_config_selectorIiiEEZZNS1_29radix_sort_onesweep_iterationIS3_Lb1EN6thrust23THRUST_200600_302600_NS6detail15normal_iteratorINS8_10device_ptrIiEEEESD_SD_SD_jNS0_19identity_decomposerENS1_16block_id_wrapperIjLb1EEEEE10hipError_tT1_PNSt15iterator_traitsISI_E10value_typeET2_T3_PNSJ_ISO_E10value_typeET4_T5_PST_SU_PNS1_23onesweep_lookback_stateEbbT6_jjT7_P12ihipStream_tbENKUlT_T0_SI_SN_E_clISD_PiSD_S15_EEDaS11_S12_SI_SN_EUlS11_E_NS1_11comp_targetILNS1_3genE5ELNS1_11target_archE942ELNS1_3gpuE9ELNS1_3repE0EEENS1_47radix_sort_onesweep_sort_config_static_selectorELNS0_4arch9wavefront6targetE1EEEvSI_,comdat
	.protected	_ZN7rocprim17ROCPRIM_400000_NS6detail17trampoline_kernelINS0_14default_configENS1_35radix_sort_onesweep_config_selectorIiiEEZZNS1_29radix_sort_onesweep_iterationIS3_Lb1EN6thrust23THRUST_200600_302600_NS6detail15normal_iteratorINS8_10device_ptrIiEEEESD_SD_SD_jNS0_19identity_decomposerENS1_16block_id_wrapperIjLb1EEEEE10hipError_tT1_PNSt15iterator_traitsISI_E10value_typeET2_T3_PNSJ_ISO_E10value_typeET4_T5_PST_SU_PNS1_23onesweep_lookback_stateEbbT6_jjT7_P12ihipStream_tbENKUlT_T0_SI_SN_E_clISD_PiSD_S15_EEDaS11_S12_SI_SN_EUlS11_E_NS1_11comp_targetILNS1_3genE5ELNS1_11target_archE942ELNS1_3gpuE9ELNS1_3repE0EEENS1_47radix_sort_onesweep_sort_config_static_selectorELNS0_4arch9wavefront6targetE1EEEvSI_ ; -- Begin function _ZN7rocprim17ROCPRIM_400000_NS6detail17trampoline_kernelINS0_14default_configENS1_35radix_sort_onesweep_config_selectorIiiEEZZNS1_29radix_sort_onesweep_iterationIS3_Lb1EN6thrust23THRUST_200600_302600_NS6detail15normal_iteratorINS8_10device_ptrIiEEEESD_SD_SD_jNS0_19identity_decomposerENS1_16block_id_wrapperIjLb1EEEEE10hipError_tT1_PNSt15iterator_traitsISI_E10value_typeET2_T3_PNSJ_ISO_E10value_typeET4_T5_PST_SU_PNS1_23onesweep_lookback_stateEbbT6_jjT7_P12ihipStream_tbENKUlT_T0_SI_SN_E_clISD_PiSD_S15_EEDaS11_S12_SI_SN_EUlS11_E_NS1_11comp_targetILNS1_3genE5ELNS1_11target_archE942ELNS1_3gpuE9ELNS1_3repE0EEENS1_47radix_sort_onesweep_sort_config_static_selectorELNS0_4arch9wavefront6targetE1EEEvSI_
	.globl	_ZN7rocprim17ROCPRIM_400000_NS6detail17trampoline_kernelINS0_14default_configENS1_35radix_sort_onesweep_config_selectorIiiEEZZNS1_29radix_sort_onesweep_iterationIS3_Lb1EN6thrust23THRUST_200600_302600_NS6detail15normal_iteratorINS8_10device_ptrIiEEEESD_SD_SD_jNS0_19identity_decomposerENS1_16block_id_wrapperIjLb1EEEEE10hipError_tT1_PNSt15iterator_traitsISI_E10value_typeET2_T3_PNSJ_ISO_E10value_typeET4_T5_PST_SU_PNS1_23onesweep_lookback_stateEbbT6_jjT7_P12ihipStream_tbENKUlT_T0_SI_SN_E_clISD_PiSD_S15_EEDaS11_S12_SI_SN_EUlS11_E_NS1_11comp_targetILNS1_3genE5ELNS1_11target_archE942ELNS1_3gpuE9ELNS1_3repE0EEENS1_47radix_sort_onesweep_sort_config_static_selectorELNS0_4arch9wavefront6targetE1EEEvSI_
	.p2align	8
	.type	_ZN7rocprim17ROCPRIM_400000_NS6detail17trampoline_kernelINS0_14default_configENS1_35radix_sort_onesweep_config_selectorIiiEEZZNS1_29radix_sort_onesweep_iterationIS3_Lb1EN6thrust23THRUST_200600_302600_NS6detail15normal_iteratorINS8_10device_ptrIiEEEESD_SD_SD_jNS0_19identity_decomposerENS1_16block_id_wrapperIjLb1EEEEE10hipError_tT1_PNSt15iterator_traitsISI_E10value_typeET2_T3_PNSJ_ISO_E10value_typeET4_T5_PST_SU_PNS1_23onesweep_lookback_stateEbbT6_jjT7_P12ihipStream_tbENKUlT_T0_SI_SN_E_clISD_PiSD_S15_EEDaS11_S12_SI_SN_EUlS11_E_NS1_11comp_targetILNS1_3genE5ELNS1_11target_archE942ELNS1_3gpuE9ELNS1_3repE0EEENS1_47radix_sort_onesweep_sort_config_static_selectorELNS0_4arch9wavefront6targetE1EEEvSI_,@function
_ZN7rocprim17ROCPRIM_400000_NS6detail17trampoline_kernelINS0_14default_configENS1_35radix_sort_onesweep_config_selectorIiiEEZZNS1_29radix_sort_onesweep_iterationIS3_Lb1EN6thrust23THRUST_200600_302600_NS6detail15normal_iteratorINS8_10device_ptrIiEEEESD_SD_SD_jNS0_19identity_decomposerENS1_16block_id_wrapperIjLb1EEEEE10hipError_tT1_PNSt15iterator_traitsISI_E10value_typeET2_T3_PNSJ_ISO_E10value_typeET4_T5_PST_SU_PNS1_23onesweep_lookback_stateEbbT6_jjT7_P12ihipStream_tbENKUlT_T0_SI_SN_E_clISD_PiSD_S15_EEDaS11_S12_SI_SN_EUlS11_E_NS1_11comp_targetILNS1_3genE5ELNS1_11target_archE942ELNS1_3gpuE9ELNS1_3repE0EEENS1_47radix_sort_onesweep_sort_config_static_selectorELNS0_4arch9wavefront6targetE1EEEvSI_: ; @_ZN7rocprim17ROCPRIM_400000_NS6detail17trampoline_kernelINS0_14default_configENS1_35radix_sort_onesweep_config_selectorIiiEEZZNS1_29radix_sort_onesweep_iterationIS3_Lb1EN6thrust23THRUST_200600_302600_NS6detail15normal_iteratorINS8_10device_ptrIiEEEESD_SD_SD_jNS0_19identity_decomposerENS1_16block_id_wrapperIjLb1EEEEE10hipError_tT1_PNSt15iterator_traitsISI_E10value_typeET2_T3_PNSJ_ISO_E10value_typeET4_T5_PST_SU_PNS1_23onesweep_lookback_stateEbbT6_jjT7_P12ihipStream_tbENKUlT_T0_SI_SN_E_clISD_PiSD_S15_EEDaS11_S12_SI_SN_EUlS11_E_NS1_11comp_targetILNS1_3genE5ELNS1_11target_archE942ELNS1_3gpuE9ELNS1_3repE0EEENS1_47radix_sort_onesweep_sort_config_static_selectorELNS0_4arch9wavefront6targetE1EEEvSI_
; %bb.0:
	.section	.rodata,"a",@progbits
	.p2align	6, 0x0
	.amdhsa_kernel _ZN7rocprim17ROCPRIM_400000_NS6detail17trampoline_kernelINS0_14default_configENS1_35radix_sort_onesweep_config_selectorIiiEEZZNS1_29radix_sort_onesweep_iterationIS3_Lb1EN6thrust23THRUST_200600_302600_NS6detail15normal_iteratorINS8_10device_ptrIiEEEESD_SD_SD_jNS0_19identity_decomposerENS1_16block_id_wrapperIjLb1EEEEE10hipError_tT1_PNSt15iterator_traitsISI_E10value_typeET2_T3_PNSJ_ISO_E10value_typeET4_T5_PST_SU_PNS1_23onesweep_lookback_stateEbbT6_jjT7_P12ihipStream_tbENKUlT_T0_SI_SN_E_clISD_PiSD_S15_EEDaS11_S12_SI_SN_EUlS11_E_NS1_11comp_targetILNS1_3genE5ELNS1_11target_archE942ELNS1_3gpuE9ELNS1_3repE0EEENS1_47radix_sort_onesweep_sort_config_static_selectorELNS0_4arch9wavefront6targetE1EEEvSI_
		.amdhsa_group_segment_fixed_size 0
		.amdhsa_private_segment_fixed_size 0
		.amdhsa_kernarg_size 88
		.amdhsa_user_sgpr_count 2
		.amdhsa_user_sgpr_dispatch_ptr 0
		.amdhsa_user_sgpr_queue_ptr 0
		.amdhsa_user_sgpr_kernarg_segment_ptr 1
		.amdhsa_user_sgpr_dispatch_id 0
		.amdhsa_user_sgpr_kernarg_preload_length 0
		.amdhsa_user_sgpr_kernarg_preload_offset 0
		.amdhsa_user_sgpr_private_segment_size 0
		.amdhsa_uses_dynamic_stack 0
		.amdhsa_enable_private_segment 0
		.amdhsa_system_sgpr_workgroup_id_x 1
		.amdhsa_system_sgpr_workgroup_id_y 0
		.amdhsa_system_sgpr_workgroup_id_z 0
		.amdhsa_system_sgpr_workgroup_info 0
		.amdhsa_system_vgpr_workitem_id 0
		.amdhsa_next_free_vgpr 1
		.amdhsa_next_free_sgpr 0
		.amdhsa_accum_offset 4
		.amdhsa_reserve_vcc 0
		.amdhsa_float_round_mode_32 0
		.amdhsa_float_round_mode_16_64 0
		.amdhsa_float_denorm_mode_32 3
		.amdhsa_float_denorm_mode_16_64 3
		.amdhsa_dx10_clamp 1
		.amdhsa_ieee_mode 1
		.amdhsa_fp16_overflow 0
		.amdhsa_tg_split 0
		.amdhsa_exception_fp_ieee_invalid_op 0
		.amdhsa_exception_fp_denorm_src 0
		.amdhsa_exception_fp_ieee_div_zero 0
		.amdhsa_exception_fp_ieee_overflow 0
		.amdhsa_exception_fp_ieee_underflow 0
		.amdhsa_exception_fp_ieee_inexact 0
		.amdhsa_exception_int_div_zero 0
	.end_amdhsa_kernel
	.section	.text._ZN7rocprim17ROCPRIM_400000_NS6detail17trampoline_kernelINS0_14default_configENS1_35radix_sort_onesweep_config_selectorIiiEEZZNS1_29radix_sort_onesweep_iterationIS3_Lb1EN6thrust23THRUST_200600_302600_NS6detail15normal_iteratorINS8_10device_ptrIiEEEESD_SD_SD_jNS0_19identity_decomposerENS1_16block_id_wrapperIjLb1EEEEE10hipError_tT1_PNSt15iterator_traitsISI_E10value_typeET2_T3_PNSJ_ISO_E10value_typeET4_T5_PST_SU_PNS1_23onesweep_lookback_stateEbbT6_jjT7_P12ihipStream_tbENKUlT_T0_SI_SN_E_clISD_PiSD_S15_EEDaS11_S12_SI_SN_EUlS11_E_NS1_11comp_targetILNS1_3genE5ELNS1_11target_archE942ELNS1_3gpuE9ELNS1_3repE0EEENS1_47radix_sort_onesweep_sort_config_static_selectorELNS0_4arch9wavefront6targetE1EEEvSI_,"axG",@progbits,_ZN7rocprim17ROCPRIM_400000_NS6detail17trampoline_kernelINS0_14default_configENS1_35radix_sort_onesweep_config_selectorIiiEEZZNS1_29radix_sort_onesweep_iterationIS3_Lb1EN6thrust23THRUST_200600_302600_NS6detail15normal_iteratorINS8_10device_ptrIiEEEESD_SD_SD_jNS0_19identity_decomposerENS1_16block_id_wrapperIjLb1EEEEE10hipError_tT1_PNSt15iterator_traitsISI_E10value_typeET2_T3_PNSJ_ISO_E10value_typeET4_T5_PST_SU_PNS1_23onesweep_lookback_stateEbbT6_jjT7_P12ihipStream_tbENKUlT_T0_SI_SN_E_clISD_PiSD_S15_EEDaS11_S12_SI_SN_EUlS11_E_NS1_11comp_targetILNS1_3genE5ELNS1_11target_archE942ELNS1_3gpuE9ELNS1_3repE0EEENS1_47radix_sort_onesweep_sort_config_static_selectorELNS0_4arch9wavefront6targetE1EEEvSI_,comdat
.Lfunc_end1848:
	.size	_ZN7rocprim17ROCPRIM_400000_NS6detail17trampoline_kernelINS0_14default_configENS1_35radix_sort_onesweep_config_selectorIiiEEZZNS1_29radix_sort_onesweep_iterationIS3_Lb1EN6thrust23THRUST_200600_302600_NS6detail15normal_iteratorINS8_10device_ptrIiEEEESD_SD_SD_jNS0_19identity_decomposerENS1_16block_id_wrapperIjLb1EEEEE10hipError_tT1_PNSt15iterator_traitsISI_E10value_typeET2_T3_PNSJ_ISO_E10value_typeET4_T5_PST_SU_PNS1_23onesweep_lookback_stateEbbT6_jjT7_P12ihipStream_tbENKUlT_T0_SI_SN_E_clISD_PiSD_S15_EEDaS11_S12_SI_SN_EUlS11_E_NS1_11comp_targetILNS1_3genE5ELNS1_11target_archE942ELNS1_3gpuE9ELNS1_3repE0EEENS1_47radix_sort_onesweep_sort_config_static_selectorELNS0_4arch9wavefront6targetE1EEEvSI_, .Lfunc_end1848-_ZN7rocprim17ROCPRIM_400000_NS6detail17trampoline_kernelINS0_14default_configENS1_35radix_sort_onesweep_config_selectorIiiEEZZNS1_29radix_sort_onesweep_iterationIS3_Lb1EN6thrust23THRUST_200600_302600_NS6detail15normal_iteratorINS8_10device_ptrIiEEEESD_SD_SD_jNS0_19identity_decomposerENS1_16block_id_wrapperIjLb1EEEEE10hipError_tT1_PNSt15iterator_traitsISI_E10value_typeET2_T3_PNSJ_ISO_E10value_typeET4_T5_PST_SU_PNS1_23onesweep_lookback_stateEbbT6_jjT7_P12ihipStream_tbENKUlT_T0_SI_SN_E_clISD_PiSD_S15_EEDaS11_S12_SI_SN_EUlS11_E_NS1_11comp_targetILNS1_3genE5ELNS1_11target_archE942ELNS1_3gpuE9ELNS1_3repE0EEENS1_47radix_sort_onesweep_sort_config_static_selectorELNS0_4arch9wavefront6targetE1EEEvSI_
                                        ; -- End function
	.set _ZN7rocprim17ROCPRIM_400000_NS6detail17trampoline_kernelINS0_14default_configENS1_35radix_sort_onesweep_config_selectorIiiEEZZNS1_29radix_sort_onesweep_iterationIS3_Lb1EN6thrust23THRUST_200600_302600_NS6detail15normal_iteratorINS8_10device_ptrIiEEEESD_SD_SD_jNS0_19identity_decomposerENS1_16block_id_wrapperIjLb1EEEEE10hipError_tT1_PNSt15iterator_traitsISI_E10value_typeET2_T3_PNSJ_ISO_E10value_typeET4_T5_PST_SU_PNS1_23onesweep_lookback_stateEbbT6_jjT7_P12ihipStream_tbENKUlT_T0_SI_SN_E_clISD_PiSD_S15_EEDaS11_S12_SI_SN_EUlS11_E_NS1_11comp_targetILNS1_3genE5ELNS1_11target_archE942ELNS1_3gpuE9ELNS1_3repE0EEENS1_47radix_sort_onesweep_sort_config_static_selectorELNS0_4arch9wavefront6targetE1EEEvSI_.num_vgpr, 0
	.set _ZN7rocprim17ROCPRIM_400000_NS6detail17trampoline_kernelINS0_14default_configENS1_35radix_sort_onesweep_config_selectorIiiEEZZNS1_29radix_sort_onesweep_iterationIS3_Lb1EN6thrust23THRUST_200600_302600_NS6detail15normal_iteratorINS8_10device_ptrIiEEEESD_SD_SD_jNS0_19identity_decomposerENS1_16block_id_wrapperIjLb1EEEEE10hipError_tT1_PNSt15iterator_traitsISI_E10value_typeET2_T3_PNSJ_ISO_E10value_typeET4_T5_PST_SU_PNS1_23onesweep_lookback_stateEbbT6_jjT7_P12ihipStream_tbENKUlT_T0_SI_SN_E_clISD_PiSD_S15_EEDaS11_S12_SI_SN_EUlS11_E_NS1_11comp_targetILNS1_3genE5ELNS1_11target_archE942ELNS1_3gpuE9ELNS1_3repE0EEENS1_47radix_sort_onesweep_sort_config_static_selectorELNS0_4arch9wavefront6targetE1EEEvSI_.num_agpr, 0
	.set _ZN7rocprim17ROCPRIM_400000_NS6detail17trampoline_kernelINS0_14default_configENS1_35radix_sort_onesweep_config_selectorIiiEEZZNS1_29radix_sort_onesweep_iterationIS3_Lb1EN6thrust23THRUST_200600_302600_NS6detail15normal_iteratorINS8_10device_ptrIiEEEESD_SD_SD_jNS0_19identity_decomposerENS1_16block_id_wrapperIjLb1EEEEE10hipError_tT1_PNSt15iterator_traitsISI_E10value_typeET2_T3_PNSJ_ISO_E10value_typeET4_T5_PST_SU_PNS1_23onesweep_lookback_stateEbbT6_jjT7_P12ihipStream_tbENKUlT_T0_SI_SN_E_clISD_PiSD_S15_EEDaS11_S12_SI_SN_EUlS11_E_NS1_11comp_targetILNS1_3genE5ELNS1_11target_archE942ELNS1_3gpuE9ELNS1_3repE0EEENS1_47radix_sort_onesweep_sort_config_static_selectorELNS0_4arch9wavefront6targetE1EEEvSI_.numbered_sgpr, 0
	.set _ZN7rocprim17ROCPRIM_400000_NS6detail17trampoline_kernelINS0_14default_configENS1_35radix_sort_onesweep_config_selectorIiiEEZZNS1_29radix_sort_onesweep_iterationIS3_Lb1EN6thrust23THRUST_200600_302600_NS6detail15normal_iteratorINS8_10device_ptrIiEEEESD_SD_SD_jNS0_19identity_decomposerENS1_16block_id_wrapperIjLb1EEEEE10hipError_tT1_PNSt15iterator_traitsISI_E10value_typeET2_T3_PNSJ_ISO_E10value_typeET4_T5_PST_SU_PNS1_23onesweep_lookback_stateEbbT6_jjT7_P12ihipStream_tbENKUlT_T0_SI_SN_E_clISD_PiSD_S15_EEDaS11_S12_SI_SN_EUlS11_E_NS1_11comp_targetILNS1_3genE5ELNS1_11target_archE942ELNS1_3gpuE9ELNS1_3repE0EEENS1_47radix_sort_onesweep_sort_config_static_selectorELNS0_4arch9wavefront6targetE1EEEvSI_.num_named_barrier, 0
	.set _ZN7rocprim17ROCPRIM_400000_NS6detail17trampoline_kernelINS0_14default_configENS1_35radix_sort_onesweep_config_selectorIiiEEZZNS1_29radix_sort_onesweep_iterationIS3_Lb1EN6thrust23THRUST_200600_302600_NS6detail15normal_iteratorINS8_10device_ptrIiEEEESD_SD_SD_jNS0_19identity_decomposerENS1_16block_id_wrapperIjLb1EEEEE10hipError_tT1_PNSt15iterator_traitsISI_E10value_typeET2_T3_PNSJ_ISO_E10value_typeET4_T5_PST_SU_PNS1_23onesweep_lookback_stateEbbT6_jjT7_P12ihipStream_tbENKUlT_T0_SI_SN_E_clISD_PiSD_S15_EEDaS11_S12_SI_SN_EUlS11_E_NS1_11comp_targetILNS1_3genE5ELNS1_11target_archE942ELNS1_3gpuE9ELNS1_3repE0EEENS1_47radix_sort_onesweep_sort_config_static_selectorELNS0_4arch9wavefront6targetE1EEEvSI_.private_seg_size, 0
	.set _ZN7rocprim17ROCPRIM_400000_NS6detail17trampoline_kernelINS0_14default_configENS1_35radix_sort_onesweep_config_selectorIiiEEZZNS1_29radix_sort_onesweep_iterationIS3_Lb1EN6thrust23THRUST_200600_302600_NS6detail15normal_iteratorINS8_10device_ptrIiEEEESD_SD_SD_jNS0_19identity_decomposerENS1_16block_id_wrapperIjLb1EEEEE10hipError_tT1_PNSt15iterator_traitsISI_E10value_typeET2_T3_PNSJ_ISO_E10value_typeET4_T5_PST_SU_PNS1_23onesweep_lookback_stateEbbT6_jjT7_P12ihipStream_tbENKUlT_T0_SI_SN_E_clISD_PiSD_S15_EEDaS11_S12_SI_SN_EUlS11_E_NS1_11comp_targetILNS1_3genE5ELNS1_11target_archE942ELNS1_3gpuE9ELNS1_3repE0EEENS1_47radix_sort_onesweep_sort_config_static_selectorELNS0_4arch9wavefront6targetE1EEEvSI_.uses_vcc, 0
	.set _ZN7rocprim17ROCPRIM_400000_NS6detail17trampoline_kernelINS0_14default_configENS1_35radix_sort_onesweep_config_selectorIiiEEZZNS1_29radix_sort_onesweep_iterationIS3_Lb1EN6thrust23THRUST_200600_302600_NS6detail15normal_iteratorINS8_10device_ptrIiEEEESD_SD_SD_jNS0_19identity_decomposerENS1_16block_id_wrapperIjLb1EEEEE10hipError_tT1_PNSt15iterator_traitsISI_E10value_typeET2_T3_PNSJ_ISO_E10value_typeET4_T5_PST_SU_PNS1_23onesweep_lookback_stateEbbT6_jjT7_P12ihipStream_tbENKUlT_T0_SI_SN_E_clISD_PiSD_S15_EEDaS11_S12_SI_SN_EUlS11_E_NS1_11comp_targetILNS1_3genE5ELNS1_11target_archE942ELNS1_3gpuE9ELNS1_3repE0EEENS1_47radix_sort_onesweep_sort_config_static_selectorELNS0_4arch9wavefront6targetE1EEEvSI_.uses_flat_scratch, 0
	.set _ZN7rocprim17ROCPRIM_400000_NS6detail17trampoline_kernelINS0_14default_configENS1_35radix_sort_onesweep_config_selectorIiiEEZZNS1_29radix_sort_onesweep_iterationIS3_Lb1EN6thrust23THRUST_200600_302600_NS6detail15normal_iteratorINS8_10device_ptrIiEEEESD_SD_SD_jNS0_19identity_decomposerENS1_16block_id_wrapperIjLb1EEEEE10hipError_tT1_PNSt15iterator_traitsISI_E10value_typeET2_T3_PNSJ_ISO_E10value_typeET4_T5_PST_SU_PNS1_23onesweep_lookback_stateEbbT6_jjT7_P12ihipStream_tbENKUlT_T0_SI_SN_E_clISD_PiSD_S15_EEDaS11_S12_SI_SN_EUlS11_E_NS1_11comp_targetILNS1_3genE5ELNS1_11target_archE942ELNS1_3gpuE9ELNS1_3repE0EEENS1_47radix_sort_onesweep_sort_config_static_selectorELNS0_4arch9wavefront6targetE1EEEvSI_.has_dyn_sized_stack, 0
	.set _ZN7rocprim17ROCPRIM_400000_NS6detail17trampoline_kernelINS0_14default_configENS1_35radix_sort_onesweep_config_selectorIiiEEZZNS1_29radix_sort_onesweep_iterationIS3_Lb1EN6thrust23THRUST_200600_302600_NS6detail15normal_iteratorINS8_10device_ptrIiEEEESD_SD_SD_jNS0_19identity_decomposerENS1_16block_id_wrapperIjLb1EEEEE10hipError_tT1_PNSt15iterator_traitsISI_E10value_typeET2_T3_PNSJ_ISO_E10value_typeET4_T5_PST_SU_PNS1_23onesweep_lookback_stateEbbT6_jjT7_P12ihipStream_tbENKUlT_T0_SI_SN_E_clISD_PiSD_S15_EEDaS11_S12_SI_SN_EUlS11_E_NS1_11comp_targetILNS1_3genE5ELNS1_11target_archE942ELNS1_3gpuE9ELNS1_3repE0EEENS1_47radix_sort_onesweep_sort_config_static_selectorELNS0_4arch9wavefront6targetE1EEEvSI_.has_recursion, 0
	.set _ZN7rocprim17ROCPRIM_400000_NS6detail17trampoline_kernelINS0_14default_configENS1_35radix_sort_onesweep_config_selectorIiiEEZZNS1_29radix_sort_onesweep_iterationIS3_Lb1EN6thrust23THRUST_200600_302600_NS6detail15normal_iteratorINS8_10device_ptrIiEEEESD_SD_SD_jNS0_19identity_decomposerENS1_16block_id_wrapperIjLb1EEEEE10hipError_tT1_PNSt15iterator_traitsISI_E10value_typeET2_T3_PNSJ_ISO_E10value_typeET4_T5_PST_SU_PNS1_23onesweep_lookback_stateEbbT6_jjT7_P12ihipStream_tbENKUlT_T0_SI_SN_E_clISD_PiSD_S15_EEDaS11_S12_SI_SN_EUlS11_E_NS1_11comp_targetILNS1_3genE5ELNS1_11target_archE942ELNS1_3gpuE9ELNS1_3repE0EEENS1_47radix_sort_onesweep_sort_config_static_selectorELNS0_4arch9wavefront6targetE1EEEvSI_.has_indirect_call, 0
	.section	.AMDGPU.csdata,"",@progbits
; Kernel info:
; codeLenInByte = 0
; TotalNumSgprs: 6
; NumVgprs: 0
; NumAgprs: 0
; TotalNumVgprs: 0
; ScratchSize: 0
; MemoryBound: 0
; FloatMode: 240
; IeeeMode: 1
; LDSByteSize: 0 bytes/workgroup (compile time only)
; SGPRBlocks: 0
; VGPRBlocks: 0
; NumSGPRsForWavesPerEU: 6
; NumVGPRsForWavesPerEU: 1
; AccumOffset: 4
; Occupancy: 8
; WaveLimiterHint : 0
; COMPUTE_PGM_RSRC2:SCRATCH_EN: 0
; COMPUTE_PGM_RSRC2:USER_SGPR: 2
; COMPUTE_PGM_RSRC2:TRAP_HANDLER: 0
; COMPUTE_PGM_RSRC2:TGID_X_EN: 1
; COMPUTE_PGM_RSRC2:TGID_Y_EN: 0
; COMPUTE_PGM_RSRC2:TGID_Z_EN: 0
; COMPUTE_PGM_RSRC2:TIDIG_COMP_CNT: 0
; COMPUTE_PGM_RSRC3_GFX90A:ACCUM_OFFSET: 0
; COMPUTE_PGM_RSRC3_GFX90A:TG_SPLIT: 0
	.section	.text._ZN7rocprim17ROCPRIM_400000_NS6detail17trampoline_kernelINS0_14default_configENS1_35radix_sort_onesweep_config_selectorIiiEEZZNS1_29radix_sort_onesweep_iterationIS3_Lb1EN6thrust23THRUST_200600_302600_NS6detail15normal_iteratorINS8_10device_ptrIiEEEESD_SD_SD_jNS0_19identity_decomposerENS1_16block_id_wrapperIjLb1EEEEE10hipError_tT1_PNSt15iterator_traitsISI_E10value_typeET2_T3_PNSJ_ISO_E10value_typeET4_T5_PST_SU_PNS1_23onesweep_lookback_stateEbbT6_jjT7_P12ihipStream_tbENKUlT_T0_SI_SN_E_clISD_PiSD_S15_EEDaS11_S12_SI_SN_EUlS11_E_NS1_11comp_targetILNS1_3genE2ELNS1_11target_archE906ELNS1_3gpuE6ELNS1_3repE0EEENS1_47radix_sort_onesweep_sort_config_static_selectorELNS0_4arch9wavefront6targetE1EEEvSI_,"axG",@progbits,_ZN7rocprim17ROCPRIM_400000_NS6detail17trampoline_kernelINS0_14default_configENS1_35radix_sort_onesweep_config_selectorIiiEEZZNS1_29radix_sort_onesweep_iterationIS3_Lb1EN6thrust23THRUST_200600_302600_NS6detail15normal_iteratorINS8_10device_ptrIiEEEESD_SD_SD_jNS0_19identity_decomposerENS1_16block_id_wrapperIjLb1EEEEE10hipError_tT1_PNSt15iterator_traitsISI_E10value_typeET2_T3_PNSJ_ISO_E10value_typeET4_T5_PST_SU_PNS1_23onesweep_lookback_stateEbbT6_jjT7_P12ihipStream_tbENKUlT_T0_SI_SN_E_clISD_PiSD_S15_EEDaS11_S12_SI_SN_EUlS11_E_NS1_11comp_targetILNS1_3genE2ELNS1_11target_archE906ELNS1_3gpuE6ELNS1_3repE0EEENS1_47radix_sort_onesweep_sort_config_static_selectorELNS0_4arch9wavefront6targetE1EEEvSI_,comdat
	.protected	_ZN7rocprim17ROCPRIM_400000_NS6detail17trampoline_kernelINS0_14default_configENS1_35radix_sort_onesweep_config_selectorIiiEEZZNS1_29radix_sort_onesweep_iterationIS3_Lb1EN6thrust23THRUST_200600_302600_NS6detail15normal_iteratorINS8_10device_ptrIiEEEESD_SD_SD_jNS0_19identity_decomposerENS1_16block_id_wrapperIjLb1EEEEE10hipError_tT1_PNSt15iterator_traitsISI_E10value_typeET2_T3_PNSJ_ISO_E10value_typeET4_T5_PST_SU_PNS1_23onesweep_lookback_stateEbbT6_jjT7_P12ihipStream_tbENKUlT_T0_SI_SN_E_clISD_PiSD_S15_EEDaS11_S12_SI_SN_EUlS11_E_NS1_11comp_targetILNS1_3genE2ELNS1_11target_archE906ELNS1_3gpuE6ELNS1_3repE0EEENS1_47radix_sort_onesweep_sort_config_static_selectorELNS0_4arch9wavefront6targetE1EEEvSI_ ; -- Begin function _ZN7rocprim17ROCPRIM_400000_NS6detail17trampoline_kernelINS0_14default_configENS1_35radix_sort_onesweep_config_selectorIiiEEZZNS1_29radix_sort_onesweep_iterationIS3_Lb1EN6thrust23THRUST_200600_302600_NS6detail15normal_iteratorINS8_10device_ptrIiEEEESD_SD_SD_jNS0_19identity_decomposerENS1_16block_id_wrapperIjLb1EEEEE10hipError_tT1_PNSt15iterator_traitsISI_E10value_typeET2_T3_PNSJ_ISO_E10value_typeET4_T5_PST_SU_PNS1_23onesweep_lookback_stateEbbT6_jjT7_P12ihipStream_tbENKUlT_T0_SI_SN_E_clISD_PiSD_S15_EEDaS11_S12_SI_SN_EUlS11_E_NS1_11comp_targetILNS1_3genE2ELNS1_11target_archE906ELNS1_3gpuE6ELNS1_3repE0EEENS1_47radix_sort_onesweep_sort_config_static_selectorELNS0_4arch9wavefront6targetE1EEEvSI_
	.globl	_ZN7rocprim17ROCPRIM_400000_NS6detail17trampoline_kernelINS0_14default_configENS1_35radix_sort_onesweep_config_selectorIiiEEZZNS1_29radix_sort_onesweep_iterationIS3_Lb1EN6thrust23THRUST_200600_302600_NS6detail15normal_iteratorINS8_10device_ptrIiEEEESD_SD_SD_jNS0_19identity_decomposerENS1_16block_id_wrapperIjLb1EEEEE10hipError_tT1_PNSt15iterator_traitsISI_E10value_typeET2_T3_PNSJ_ISO_E10value_typeET4_T5_PST_SU_PNS1_23onesweep_lookback_stateEbbT6_jjT7_P12ihipStream_tbENKUlT_T0_SI_SN_E_clISD_PiSD_S15_EEDaS11_S12_SI_SN_EUlS11_E_NS1_11comp_targetILNS1_3genE2ELNS1_11target_archE906ELNS1_3gpuE6ELNS1_3repE0EEENS1_47radix_sort_onesweep_sort_config_static_selectorELNS0_4arch9wavefront6targetE1EEEvSI_
	.p2align	8
	.type	_ZN7rocprim17ROCPRIM_400000_NS6detail17trampoline_kernelINS0_14default_configENS1_35radix_sort_onesweep_config_selectorIiiEEZZNS1_29radix_sort_onesweep_iterationIS3_Lb1EN6thrust23THRUST_200600_302600_NS6detail15normal_iteratorINS8_10device_ptrIiEEEESD_SD_SD_jNS0_19identity_decomposerENS1_16block_id_wrapperIjLb1EEEEE10hipError_tT1_PNSt15iterator_traitsISI_E10value_typeET2_T3_PNSJ_ISO_E10value_typeET4_T5_PST_SU_PNS1_23onesweep_lookback_stateEbbT6_jjT7_P12ihipStream_tbENKUlT_T0_SI_SN_E_clISD_PiSD_S15_EEDaS11_S12_SI_SN_EUlS11_E_NS1_11comp_targetILNS1_3genE2ELNS1_11target_archE906ELNS1_3gpuE6ELNS1_3repE0EEENS1_47radix_sort_onesweep_sort_config_static_selectorELNS0_4arch9wavefront6targetE1EEEvSI_,@function
_ZN7rocprim17ROCPRIM_400000_NS6detail17trampoline_kernelINS0_14default_configENS1_35radix_sort_onesweep_config_selectorIiiEEZZNS1_29radix_sort_onesweep_iterationIS3_Lb1EN6thrust23THRUST_200600_302600_NS6detail15normal_iteratorINS8_10device_ptrIiEEEESD_SD_SD_jNS0_19identity_decomposerENS1_16block_id_wrapperIjLb1EEEEE10hipError_tT1_PNSt15iterator_traitsISI_E10value_typeET2_T3_PNSJ_ISO_E10value_typeET4_T5_PST_SU_PNS1_23onesweep_lookback_stateEbbT6_jjT7_P12ihipStream_tbENKUlT_T0_SI_SN_E_clISD_PiSD_S15_EEDaS11_S12_SI_SN_EUlS11_E_NS1_11comp_targetILNS1_3genE2ELNS1_11target_archE906ELNS1_3gpuE6ELNS1_3repE0EEENS1_47radix_sort_onesweep_sort_config_static_selectorELNS0_4arch9wavefront6targetE1EEEvSI_: ; @_ZN7rocprim17ROCPRIM_400000_NS6detail17trampoline_kernelINS0_14default_configENS1_35radix_sort_onesweep_config_selectorIiiEEZZNS1_29radix_sort_onesweep_iterationIS3_Lb1EN6thrust23THRUST_200600_302600_NS6detail15normal_iteratorINS8_10device_ptrIiEEEESD_SD_SD_jNS0_19identity_decomposerENS1_16block_id_wrapperIjLb1EEEEE10hipError_tT1_PNSt15iterator_traitsISI_E10value_typeET2_T3_PNSJ_ISO_E10value_typeET4_T5_PST_SU_PNS1_23onesweep_lookback_stateEbbT6_jjT7_P12ihipStream_tbENKUlT_T0_SI_SN_E_clISD_PiSD_S15_EEDaS11_S12_SI_SN_EUlS11_E_NS1_11comp_targetILNS1_3genE2ELNS1_11target_archE906ELNS1_3gpuE6ELNS1_3repE0EEENS1_47radix_sort_onesweep_sort_config_static_selectorELNS0_4arch9wavefront6targetE1EEEvSI_
; %bb.0:
	.section	.rodata,"a",@progbits
	.p2align	6, 0x0
	.amdhsa_kernel _ZN7rocprim17ROCPRIM_400000_NS6detail17trampoline_kernelINS0_14default_configENS1_35radix_sort_onesweep_config_selectorIiiEEZZNS1_29radix_sort_onesweep_iterationIS3_Lb1EN6thrust23THRUST_200600_302600_NS6detail15normal_iteratorINS8_10device_ptrIiEEEESD_SD_SD_jNS0_19identity_decomposerENS1_16block_id_wrapperIjLb1EEEEE10hipError_tT1_PNSt15iterator_traitsISI_E10value_typeET2_T3_PNSJ_ISO_E10value_typeET4_T5_PST_SU_PNS1_23onesweep_lookback_stateEbbT6_jjT7_P12ihipStream_tbENKUlT_T0_SI_SN_E_clISD_PiSD_S15_EEDaS11_S12_SI_SN_EUlS11_E_NS1_11comp_targetILNS1_3genE2ELNS1_11target_archE906ELNS1_3gpuE6ELNS1_3repE0EEENS1_47radix_sort_onesweep_sort_config_static_selectorELNS0_4arch9wavefront6targetE1EEEvSI_
		.amdhsa_group_segment_fixed_size 0
		.amdhsa_private_segment_fixed_size 0
		.amdhsa_kernarg_size 88
		.amdhsa_user_sgpr_count 2
		.amdhsa_user_sgpr_dispatch_ptr 0
		.amdhsa_user_sgpr_queue_ptr 0
		.amdhsa_user_sgpr_kernarg_segment_ptr 1
		.amdhsa_user_sgpr_dispatch_id 0
		.amdhsa_user_sgpr_kernarg_preload_length 0
		.amdhsa_user_sgpr_kernarg_preload_offset 0
		.amdhsa_user_sgpr_private_segment_size 0
		.amdhsa_uses_dynamic_stack 0
		.amdhsa_enable_private_segment 0
		.amdhsa_system_sgpr_workgroup_id_x 1
		.amdhsa_system_sgpr_workgroup_id_y 0
		.amdhsa_system_sgpr_workgroup_id_z 0
		.amdhsa_system_sgpr_workgroup_info 0
		.amdhsa_system_vgpr_workitem_id 0
		.amdhsa_next_free_vgpr 1
		.amdhsa_next_free_sgpr 0
		.amdhsa_accum_offset 4
		.amdhsa_reserve_vcc 0
		.amdhsa_float_round_mode_32 0
		.amdhsa_float_round_mode_16_64 0
		.amdhsa_float_denorm_mode_32 3
		.amdhsa_float_denorm_mode_16_64 3
		.amdhsa_dx10_clamp 1
		.amdhsa_ieee_mode 1
		.amdhsa_fp16_overflow 0
		.amdhsa_tg_split 0
		.amdhsa_exception_fp_ieee_invalid_op 0
		.amdhsa_exception_fp_denorm_src 0
		.amdhsa_exception_fp_ieee_div_zero 0
		.amdhsa_exception_fp_ieee_overflow 0
		.amdhsa_exception_fp_ieee_underflow 0
		.amdhsa_exception_fp_ieee_inexact 0
		.amdhsa_exception_int_div_zero 0
	.end_amdhsa_kernel
	.section	.text._ZN7rocprim17ROCPRIM_400000_NS6detail17trampoline_kernelINS0_14default_configENS1_35radix_sort_onesweep_config_selectorIiiEEZZNS1_29radix_sort_onesweep_iterationIS3_Lb1EN6thrust23THRUST_200600_302600_NS6detail15normal_iteratorINS8_10device_ptrIiEEEESD_SD_SD_jNS0_19identity_decomposerENS1_16block_id_wrapperIjLb1EEEEE10hipError_tT1_PNSt15iterator_traitsISI_E10value_typeET2_T3_PNSJ_ISO_E10value_typeET4_T5_PST_SU_PNS1_23onesweep_lookback_stateEbbT6_jjT7_P12ihipStream_tbENKUlT_T0_SI_SN_E_clISD_PiSD_S15_EEDaS11_S12_SI_SN_EUlS11_E_NS1_11comp_targetILNS1_3genE2ELNS1_11target_archE906ELNS1_3gpuE6ELNS1_3repE0EEENS1_47radix_sort_onesweep_sort_config_static_selectorELNS0_4arch9wavefront6targetE1EEEvSI_,"axG",@progbits,_ZN7rocprim17ROCPRIM_400000_NS6detail17trampoline_kernelINS0_14default_configENS1_35radix_sort_onesweep_config_selectorIiiEEZZNS1_29radix_sort_onesweep_iterationIS3_Lb1EN6thrust23THRUST_200600_302600_NS6detail15normal_iteratorINS8_10device_ptrIiEEEESD_SD_SD_jNS0_19identity_decomposerENS1_16block_id_wrapperIjLb1EEEEE10hipError_tT1_PNSt15iterator_traitsISI_E10value_typeET2_T3_PNSJ_ISO_E10value_typeET4_T5_PST_SU_PNS1_23onesweep_lookback_stateEbbT6_jjT7_P12ihipStream_tbENKUlT_T0_SI_SN_E_clISD_PiSD_S15_EEDaS11_S12_SI_SN_EUlS11_E_NS1_11comp_targetILNS1_3genE2ELNS1_11target_archE906ELNS1_3gpuE6ELNS1_3repE0EEENS1_47radix_sort_onesweep_sort_config_static_selectorELNS0_4arch9wavefront6targetE1EEEvSI_,comdat
.Lfunc_end1849:
	.size	_ZN7rocprim17ROCPRIM_400000_NS6detail17trampoline_kernelINS0_14default_configENS1_35radix_sort_onesweep_config_selectorIiiEEZZNS1_29radix_sort_onesweep_iterationIS3_Lb1EN6thrust23THRUST_200600_302600_NS6detail15normal_iteratorINS8_10device_ptrIiEEEESD_SD_SD_jNS0_19identity_decomposerENS1_16block_id_wrapperIjLb1EEEEE10hipError_tT1_PNSt15iterator_traitsISI_E10value_typeET2_T3_PNSJ_ISO_E10value_typeET4_T5_PST_SU_PNS1_23onesweep_lookback_stateEbbT6_jjT7_P12ihipStream_tbENKUlT_T0_SI_SN_E_clISD_PiSD_S15_EEDaS11_S12_SI_SN_EUlS11_E_NS1_11comp_targetILNS1_3genE2ELNS1_11target_archE906ELNS1_3gpuE6ELNS1_3repE0EEENS1_47radix_sort_onesweep_sort_config_static_selectorELNS0_4arch9wavefront6targetE1EEEvSI_, .Lfunc_end1849-_ZN7rocprim17ROCPRIM_400000_NS6detail17trampoline_kernelINS0_14default_configENS1_35radix_sort_onesweep_config_selectorIiiEEZZNS1_29radix_sort_onesweep_iterationIS3_Lb1EN6thrust23THRUST_200600_302600_NS6detail15normal_iteratorINS8_10device_ptrIiEEEESD_SD_SD_jNS0_19identity_decomposerENS1_16block_id_wrapperIjLb1EEEEE10hipError_tT1_PNSt15iterator_traitsISI_E10value_typeET2_T3_PNSJ_ISO_E10value_typeET4_T5_PST_SU_PNS1_23onesweep_lookback_stateEbbT6_jjT7_P12ihipStream_tbENKUlT_T0_SI_SN_E_clISD_PiSD_S15_EEDaS11_S12_SI_SN_EUlS11_E_NS1_11comp_targetILNS1_3genE2ELNS1_11target_archE906ELNS1_3gpuE6ELNS1_3repE0EEENS1_47radix_sort_onesweep_sort_config_static_selectorELNS0_4arch9wavefront6targetE1EEEvSI_
                                        ; -- End function
	.set _ZN7rocprim17ROCPRIM_400000_NS6detail17trampoline_kernelINS0_14default_configENS1_35radix_sort_onesweep_config_selectorIiiEEZZNS1_29radix_sort_onesweep_iterationIS3_Lb1EN6thrust23THRUST_200600_302600_NS6detail15normal_iteratorINS8_10device_ptrIiEEEESD_SD_SD_jNS0_19identity_decomposerENS1_16block_id_wrapperIjLb1EEEEE10hipError_tT1_PNSt15iterator_traitsISI_E10value_typeET2_T3_PNSJ_ISO_E10value_typeET4_T5_PST_SU_PNS1_23onesweep_lookback_stateEbbT6_jjT7_P12ihipStream_tbENKUlT_T0_SI_SN_E_clISD_PiSD_S15_EEDaS11_S12_SI_SN_EUlS11_E_NS1_11comp_targetILNS1_3genE2ELNS1_11target_archE906ELNS1_3gpuE6ELNS1_3repE0EEENS1_47radix_sort_onesweep_sort_config_static_selectorELNS0_4arch9wavefront6targetE1EEEvSI_.num_vgpr, 0
	.set _ZN7rocprim17ROCPRIM_400000_NS6detail17trampoline_kernelINS0_14default_configENS1_35radix_sort_onesweep_config_selectorIiiEEZZNS1_29radix_sort_onesweep_iterationIS3_Lb1EN6thrust23THRUST_200600_302600_NS6detail15normal_iteratorINS8_10device_ptrIiEEEESD_SD_SD_jNS0_19identity_decomposerENS1_16block_id_wrapperIjLb1EEEEE10hipError_tT1_PNSt15iterator_traitsISI_E10value_typeET2_T3_PNSJ_ISO_E10value_typeET4_T5_PST_SU_PNS1_23onesweep_lookback_stateEbbT6_jjT7_P12ihipStream_tbENKUlT_T0_SI_SN_E_clISD_PiSD_S15_EEDaS11_S12_SI_SN_EUlS11_E_NS1_11comp_targetILNS1_3genE2ELNS1_11target_archE906ELNS1_3gpuE6ELNS1_3repE0EEENS1_47radix_sort_onesweep_sort_config_static_selectorELNS0_4arch9wavefront6targetE1EEEvSI_.num_agpr, 0
	.set _ZN7rocprim17ROCPRIM_400000_NS6detail17trampoline_kernelINS0_14default_configENS1_35radix_sort_onesweep_config_selectorIiiEEZZNS1_29radix_sort_onesweep_iterationIS3_Lb1EN6thrust23THRUST_200600_302600_NS6detail15normal_iteratorINS8_10device_ptrIiEEEESD_SD_SD_jNS0_19identity_decomposerENS1_16block_id_wrapperIjLb1EEEEE10hipError_tT1_PNSt15iterator_traitsISI_E10value_typeET2_T3_PNSJ_ISO_E10value_typeET4_T5_PST_SU_PNS1_23onesweep_lookback_stateEbbT6_jjT7_P12ihipStream_tbENKUlT_T0_SI_SN_E_clISD_PiSD_S15_EEDaS11_S12_SI_SN_EUlS11_E_NS1_11comp_targetILNS1_3genE2ELNS1_11target_archE906ELNS1_3gpuE6ELNS1_3repE0EEENS1_47radix_sort_onesweep_sort_config_static_selectorELNS0_4arch9wavefront6targetE1EEEvSI_.numbered_sgpr, 0
	.set _ZN7rocprim17ROCPRIM_400000_NS6detail17trampoline_kernelINS0_14default_configENS1_35radix_sort_onesweep_config_selectorIiiEEZZNS1_29radix_sort_onesweep_iterationIS3_Lb1EN6thrust23THRUST_200600_302600_NS6detail15normal_iteratorINS8_10device_ptrIiEEEESD_SD_SD_jNS0_19identity_decomposerENS1_16block_id_wrapperIjLb1EEEEE10hipError_tT1_PNSt15iterator_traitsISI_E10value_typeET2_T3_PNSJ_ISO_E10value_typeET4_T5_PST_SU_PNS1_23onesweep_lookback_stateEbbT6_jjT7_P12ihipStream_tbENKUlT_T0_SI_SN_E_clISD_PiSD_S15_EEDaS11_S12_SI_SN_EUlS11_E_NS1_11comp_targetILNS1_3genE2ELNS1_11target_archE906ELNS1_3gpuE6ELNS1_3repE0EEENS1_47radix_sort_onesweep_sort_config_static_selectorELNS0_4arch9wavefront6targetE1EEEvSI_.num_named_barrier, 0
	.set _ZN7rocprim17ROCPRIM_400000_NS6detail17trampoline_kernelINS0_14default_configENS1_35radix_sort_onesweep_config_selectorIiiEEZZNS1_29radix_sort_onesweep_iterationIS3_Lb1EN6thrust23THRUST_200600_302600_NS6detail15normal_iteratorINS8_10device_ptrIiEEEESD_SD_SD_jNS0_19identity_decomposerENS1_16block_id_wrapperIjLb1EEEEE10hipError_tT1_PNSt15iterator_traitsISI_E10value_typeET2_T3_PNSJ_ISO_E10value_typeET4_T5_PST_SU_PNS1_23onesweep_lookback_stateEbbT6_jjT7_P12ihipStream_tbENKUlT_T0_SI_SN_E_clISD_PiSD_S15_EEDaS11_S12_SI_SN_EUlS11_E_NS1_11comp_targetILNS1_3genE2ELNS1_11target_archE906ELNS1_3gpuE6ELNS1_3repE0EEENS1_47radix_sort_onesweep_sort_config_static_selectorELNS0_4arch9wavefront6targetE1EEEvSI_.private_seg_size, 0
	.set _ZN7rocprim17ROCPRIM_400000_NS6detail17trampoline_kernelINS0_14default_configENS1_35radix_sort_onesweep_config_selectorIiiEEZZNS1_29radix_sort_onesweep_iterationIS3_Lb1EN6thrust23THRUST_200600_302600_NS6detail15normal_iteratorINS8_10device_ptrIiEEEESD_SD_SD_jNS0_19identity_decomposerENS1_16block_id_wrapperIjLb1EEEEE10hipError_tT1_PNSt15iterator_traitsISI_E10value_typeET2_T3_PNSJ_ISO_E10value_typeET4_T5_PST_SU_PNS1_23onesweep_lookback_stateEbbT6_jjT7_P12ihipStream_tbENKUlT_T0_SI_SN_E_clISD_PiSD_S15_EEDaS11_S12_SI_SN_EUlS11_E_NS1_11comp_targetILNS1_3genE2ELNS1_11target_archE906ELNS1_3gpuE6ELNS1_3repE0EEENS1_47radix_sort_onesweep_sort_config_static_selectorELNS0_4arch9wavefront6targetE1EEEvSI_.uses_vcc, 0
	.set _ZN7rocprim17ROCPRIM_400000_NS6detail17trampoline_kernelINS0_14default_configENS1_35radix_sort_onesweep_config_selectorIiiEEZZNS1_29radix_sort_onesweep_iterationIS3_Lb1EN6thrust23THRUST_200600_302600_NS6detail15normal_iteratorINS8_10device_ptrIiEEEESD_SD_SD_jNS0_19identity_decomposerENS1_16block_id_wrapperIjLb1EEEEE10hipError_tT1_PNSt15iterator_traitsISI_E10value_typeET2_T3_PNSJ_ISO_E10value_typeET4_T5_PST_SU_PNS1_23onesweep_lookback_stateEbbT6_jjT7_P12ihipStream_tbENKUlT_T0_SI_SN_E_clISD_PiSD_S15_EEDaS11_S12_SI_SN_EUlS11_E_NS1_11comp_targetILNS1_3genE2ELNS1_11target_archE906ELNS1_3gpuE6ELNS1_3repE0EEENS1_47radix_sort_onesweep_sort_config_static_selectorELNS0_4arch9wavefront6targetE1EEEvSI_.uses_flat_scratch, 0
	.set _ZN7rocprim17ROCPRIM_400000_NS6detail17trampoline_kernelINS0_14default_configENS1_35radix_sort_onesweep_config_selectorIiiEEZZNS1_29radix_sort_onesweep_iterationIS3_Lb1EN6thrust23THRUST_200600_302600_NS6detail15normal_iteratorINS8_10device_ptrIiEEEESD_SD_SD_jNS0_19identity_decomposerENS1_16block_id_wrapperIjLb1EEEEE10hipError_tT1_PNSt15iterator_traitsISI_E10value_typeET2_T3_PNSJ_ISO_E10value_typeET4_T5_PST_SU_PNS1_23onesweep_lookback_stateEbbT6_jjT7_P12ihipStream_tbENKUlT_T0_SI_SN_E_clISD_PiSD_S15_EEDaS11_S12_SI_SN_EUlS11_E_NS1_11comp_targetILNS1_3genE2ELNS1_11target_archE906ELNS1_3gpuE6ELNS1_3repE0EEENS1_47radix_sort_onesweep_sort_config_static_selectorELNS0_4arch9wavefront6targetE1EEEvSI_.has_dyn_sized_stack, 0
	.set _ZN7rocprim17ROCPRIM_400000_NS6detail17trampoline_kernelINS0_14default_configENS1_35radix_sort_onesweep_config_selectorIiiEEZZNS1_29radix_sort_onesweep_iterationIS3_Lb1EN6thrust23THRUST_200600_302600_NS6detail15normal_iteratorINS8_10device_ptrIiEEEESD_SD_SD_jNS0_19identity_decomposerENS1_16block_id_wrapperIjLb1EEEEE10hipError_tT1_PNSt15iterator_traitsISI_E10value_typeET2_T3_PNSJ_ISO_E10value_typeET4_T5_PST_SU_PNS1_23onesweep_lookback_stateEbbT6_jjT7_P12ihipStream_tbENKUlT_T0_SI_SN_E_clISD_PiSD_S15_EEDaS11_S12_SI_SN_EUlS11_E_NS1_11comp_targetILNS1_3genE2ELNS1_11target_archE906ELNS1_3gpuE6ELNS1_3repE0EEENS1_47radix_sort_onesweep_sort_config_static_selectorELNS0_4arch9wavefront6targetE1EEEvSI_.has_recursion, 0
	.set _ZN7rocprim17ROCPRIM_400000_NS6detail17trampoline_kernelINS0_14default_configENS1_35radix_sort_onesweep_config_selectorIiiEEZZNS1_29radix_sort_onesweep_iterationIS3_Lb1EN6thrust23THRUST_200600_302600_NS6detail15normal_iteratorINS8_10device_ptrIiEEEESD_SD_SD_jNS0_19identity_decomposerENS1_16block_id_wrapperIjLb1EEEEE10hipError_tT1_PNSt15iterator_traitsISI_E10value_typeET2_T3_PNSJ_ISO_E10value_typeET4_T5_PST_SU_PNS1_23onesweep_lookback_stateEbbT6_jjT7_P12ihipStream_tbENKUlT_T0_SI_SN_E_clISD_PiSD_S15_EEDaS11_S12_SI_SN_EUlS11_E_NS1_11comp_targetILNS1_3genE2ELNS1_11target_archE906ELNS1_3gpuE6ELNS1_3repE0EEENS1_47radix_sort_onesweep_sort_config_static_selectorELNS0_4arch9wavefront6targetE1EEEvSI_.has_indirect_call, 0
	.section	.AMDGPU.csdata,"",@progbits
; Kernel info:
; codeLenInByte = 0
; TotalNumSgprs: 6
; NumVgprs: 0
; NumAgprs: 0
; TotalNumVgprs: 0
; ScratchSize: 0
; MemoryBound: 0
; FloatMode: 240
; IeeeMode: 1
; LDSByteSize: 0 bytes/workgroup (compile time only)
; SGPRBlocks: 0
; VGPRBlocks: 0
; NumSGPRsForWavesPerEU: 6
; NumVGPRsForWavesPerEU: 1
; AccumOffset: 4
; Occupancy: 8
; WaveLimiterHint : 0
; COMPUTE_PGM_RSRC2:SCRATCH_EN: 0
; COMPUTE_PGM_RSRC2:USER_SGPR: 2
; COMPUTE_PGM_RSRC2:TRAP_HANDLER: 0
; COMPUTE_PGM_RSRC2:TGID_X_EN: 1
; COMPUTE_PGM_RSRC2:TGID_Y_EN: 0
; COMPUTE_PGM_RSRC2:TGID_Z_EN: 0
; COMPUTE_PGM_RSRC2:TIDIG_COMP_CNT: 0
; COMPUTE_PGM_RSRC3_GFX90A:ACCUM_OFFSET: 0
; COMPUTE_PGM_RSRC3_GFX90A:TG_SPLIT: 0
	.section	.text._ZN7rocprim17ROCPRIM_400000_NS6detail17trampoline_kernelINS0_14default_configENS1_35radix_sort_onesweep_config_selectorIiiEEZZNS1_29radix_sort_onesweep_iterationIS3_Lb1EN6thrust23THRUST_200600_302600_NS6detail15normal_iteratorINS8_10device_ptrIiEEEESD_SD_SD_jNS0_19identity_decomposerENS1_16block_id_wrapperIjLb1EEEEE10hipError_tT1_PNSt15iterator_traitsISI_E10value_typeET2_T3_PNSJ_ISO_E10value_typeET4_T5_PST_SU_PNS1_23onesweep_lookback_stateEbbT6_jjT7_P12ihipStream_tbENKUlT_T0_SI_SN_E_clISD_PiSD_S15_EEDaS11_S12_SI_SN_EUlS11_E_NS1_11comp_targetILNS1_3genE4ELNS1_11target_archE910ELNS1_3gpuE8ELNS1_3repE0EEENS1_47radix_sort_onesweep_sort_config_static_selectorELNS0_4arch9wavefront6targetE1EEEvSI_,"axG",@progbits,_ZN7rocprim17ROCPRIM_400000_NS6detail17trampoline_kernelINS0_14default_configENS1_35radix_sort_onesweep_config_selectorIiiEEZZNS1_29radix_sort_onesweep_iterationIS3_Lb1EN6thrust23THRUST_200600_302600_NS6detail15normal_iteratorINS8_10device_ptrIiEEEESD_SD_SD_jNS0_19identity_decomposerENS1_16block_id_wrapperIjLb1EEEEE10hipError_tT1_PNSt15iterator_traitsISI_E10value_typeET2_T3_PNSJ_ISO_E10value_typeET4_T5_PST_SU_PNS1_23onesweep_lookback_stateEbbT6_jjT7_P12ihipStream_tbENKUlT_T0_SI_SN_E_clISD_PiSD_S15_EEDaS11_S12_SI_SN_EUlS11_E_NS1_11comp_targetILNS1_3genE4ELNS1_11target_archE910ELNS1_3gpuE8ELNS1_3repE0EEENS1_47radix_sort_onesweep_sort_config_static_selectorELNS0_4arch9wavefront6targetE1EEEvSI_,comdat
	.protected	_ZN7rocprim17ROCPRIM_400000_NS6detail17trampoline_kernelINS0_14default_configENS1_35radix_sort_onesweep_config_selectorIiiEEZZNS1_29radix_sort_onesweep_iterationIS3_Lb1EN6thrust23THRUST_200600_302600_NS6detail15normal_iteratorINS8_10device_ptrIiEEEESD_SD_SD_jNS0_19identity_decomposerENS1_16block_id_wrapperIjLb1EEEEE10hipError_tT1_PNSt15iterator_traitsISI_E10value_typeET2_T3_PNSJ_ISO_E10value_typeET4_T5_PST_SU_PNS1_23onesweep_lookback_stateEbbT6_jjT7_P12ihipStream_tbENKUlT_T0_SI_SN_E_clISD_PiSD_S15_EEDaS11_S12_SI_SN_EUlS11_E_NS1_11comp_targetILNS1_3genE4ELNS1_11target_archE910ELNS1_3gpuE8ELNS1_3repE0EEENS1_47radix_sort_onesweep_sort_config_static_selectorELNS0_4arch9wavefront6targetE1EEEvSI_ ; -- Begin function _ZN7rocprim17ROCPRIM_400000_NS6detail17trampoline_kernelINS0_14default_configENS1_35radix_sort_onesweep_config_selectorIiiEEZZNS1_29radix_sort_onesweep_iterationIS3_Lb1EN6thrust23THRUST_200600_302600_NS6detail15normal_iteratorINS8_10device_ptrIiEEEESD_SD_SD_jNS0_19identity_decomposerENS1_16block_id_wrapperIjLb1EEEEE10hipError_tT1_PNSt15iterator_traitsISI_E10value_typeET2_T3_PNSJ_ISO_E10value_typeET4_T5_PST_SU_PNS1_23onesweep_lookback_stateEbbT6_jjT7_P12ihipStream_tbENKUlT_T0_SI_SN_E_clISD_PiSD_S15_EEDaS11_S12_SI_SN_EUlS11_E_NS1_11comp_targetILNS1_3genE4ELNS1_11target_archE910ELNS1_3gpuE8ELNS1_3repE0EEENS1_47radix_sort_onesweep_sort_config_static_selectorELNS0_4arch9wavefront6targetE1EEEvSI_
	.globl	_ZN7rocprim17ROCPRIM_400000_NS6detail17trampoline_kernelINS0_14default_configENS1_35radix_sort_onesweep_config_selectorIiiEEZZNS1_29radix_sort_onesweep_iterationIS3_Lb1EN6thrust23THRUST_200600_302600_NS6detail15normal_iteratorINS8_10device_ptrIiEEEESD_SD_SD_jNS0_19identity_decomposerENS1_16block_id_wrapperIjLb1EEEEE10hipError_tT1_PNSt15iterator_traitsISI_E10value_typeET2_T3_PNSJ_ISO_E10value_typeET4_T5_PST_SU_PNS1_23onesweep_lookback_stateEbbT6_jjT7_P12ihipStream_tbENKUlT_T0_SI_SN_E_clISD_PiSD_S15_EEDaS11_S12_SI_SN_EUlS11_E_NS1_11comp_targetILNS1_3genE4ELNS1_11target_archE910ELNS1_3gpuE8ELNS1_3repE0EEENS1_47radix_sort_onesweep_sort_config_static_selectorELNS0_4arch9wavefront6targetE1EEEvSI_
	.p2align	8
	.type	_ZN7rocprim17ROCPRIM_400000_NS6detail17trampoline_kernelINS0_14default_configENS1_35radix_sort_onesweep_config_selectorIiiEEZZNS1_29radix_sort_onesweep_iterationIS3_Lb1EN6thrust23THRUST_200600_302600_NS6detail15normal_iteratorINS8_10device_ptrIiEEEESD_SD_SD_jNS0_19identity_decomposerENS1_16block_id_wrapperIjLb1EEEEE10hipError_tT1_PNSt15iterator_traitsISI_E10value_typeET2_T3_PNSJ_ISO_E10value_typeET4_T5_PST_SU_PNS1_23onesweep_lookback_stateEbbT6_jjT7_P12ihipStream_tbENKUlT_T0_SI_SN_E_clISD_PiSD_S15_EEDaS11_S12_SI_SN_EUlS11_E_NS1_11comp_targetILNS1_3genE4ELNS1_11target_archE910ELNS1_3gpuE8ELNS1_3repE0EEENS1_47radix_sort_onesweep_sort_config_static_selectorELNS0_4arch9wavefront6targetE1EEEvSI_,@function
_ZN7rocprim17ROCPRIM_400000_NS6detail17trampoline_kernelINS0_14default_configENS1_35radix_sort_onesweep_config_selectorIiiEEZZNS1_29radix_sort_onesweep_iterationIS3_Lb1EN6thrust23THRUST_200600_302600_NS6detail15normal_iteratorINS8_10device_ptrIiEEEESD_SD_SD_jNS0_19identity_decomposerENS1_16block_id_wrapperIjLb1EEEEE10hipError_tT1_PNSt15iterator_traitsISI_E10value_typeET2_T3_PNSJ_ISO_E10value_typeET4_T5_PST_SU_PNS1_23onesweep_lookback_stateEbbT6_jjT7_P12ihipStream_tbENKUlT_T0_SI_SN_E_clISD_PiSD_S15_EEDaS11_S12_SI_SN_EUlS11_E_NS1_11comp_targetILNS1_3genE4ELNS1_11target_archE910ELNS1_3gpuE8ELNS1_3repE0EEENS1_47radix_sort_onesweep_sort_config_static_selectorELNS0_4arch9wavefront6targetE1EEEvSI_: ; @_ZN7rocprim17ROCPRIM_400000_NS6detail17trampoline_kernelINS0_14default_configENS1_35radix_sort_onesweep_config_selectorIiiEEZZNS1_29radix_sort_onesweep_iterationIS3_Lb1EN6thrust23THRUST_200600_302600_NS6detail15normal_iteratorINS8_10device_ptrIiEEEESD_SD_SD_jNS0_19identity_decomposerENS1_16block_id_wrapperIjLb1EEEEE10hipError_tT1_PNSt15iterator_traitsISI_E10value_typeET2_T3_PNSJ_ISO_E10value_typeET4_T5_PST_SU_PNS1_23onesweep_lookback_stateEbbT6_jjT7_P12ihipStream_tbENKUlT_T0_SI_SN_E_clISD_PiSD_S15_EEDaS11_S12_SI_SN_EUlS11_E_NS1_11comp_targetILNS1_3genE4ELNS1_11target_archE910ELNS1_3gpuE8ELNS1_3repE0EEENS1_47radix_sort_onesweep_sort_config_static_selectorELNS0_4arch9wavefront6targetE1EEEvSI_
; %bb.0:
	.section	.rodata,"a",@progbits
	.p2align	6, 0x0
	.amdhsa_kernel _ZN7rocprim17ROCPRIM_400000_NS6detail17trampoline_kernelINS0_14default_configENS1_35radix_sort_onesweep_config_selectorIiiEEZZNS1_29radix_sort_onesweep_iterationIS3_Lb1EN6thrust23THRUST_200600_302600_NS6detail15normal_iteratorINS8_10device_ptrIiEEEESD_SD_SD_jNS0_19identity_decomposerENS1_16block_id_wrapperIjLb1EEEEE10hipError_tT1_PNSt15iterator_traitsISI_E10value_typeET2_T3_PNSJ_ISO_E10value_typeET4_T5_PST_SU_PNS1_23onesweep_lookback_stateEbbT6_jjT7_P12ihipStream_tbENKUlT_T0_SI_SN_E_clISD_PiSD_S15_EEDaS11_S12_SI_SN_EUlS11_E_NS1_11comp_targetILNS1_3genE4ELNS1_11target_archE910ELNS1_3gpuE8ELNS1_3repE0EEENS1_47radix_sort_onesweep_sort_config_static_selectorELNS0_4arch9wavefront6targetE1EEEvSI_
		.amdhsa_group_segment_fixed_size 0
		.amdhsa_private_segment_fixed_size 0
		.amdhsa_kernarg_size 88
		.amdhsa_user_sgpr_count 2
		.amdhsa_user_sgpr_dispatch_ptr 0
		.amdhsa_user_sgpr_queue_ptr 0
		.amdhsa_user_sgpr_kernarg_segment_ptr 1
		.amdhsa_user_sgpr_dispatch_id 0
		.amdhsa_user_sgpr_kernarg_preload_length 0
		.amdhsa_user_sgpr_kernarg_preload_offset 0
		.amdhsa_user_sgpr_private_segment_size 0
		.amdhsa_uses_dynamic_stack 0
		.amdhsa_enable_private_segment 0
		.amdhsa_system_sgpr_workgroup_id_x 1
		.amdhsa_system_sgpr_workgroup_id_y 0
		.amdhsa_system_sgpr_workgroup_id_z 0
		.amdhsa_system_sgpr_workgroup_info 0
		.amdhsa_system_vgpr_workitem_id 0
		.amdhsa_next_free_vgpr 1
		.amdhsa_next_free_sgpr 0
		.amdhsa_accum_offset 4
		.amdhsa_reserve_vcc 0
		.amdhsa_float_round_mode_32 0
		.amdhsa_float_round_mode_16_64 0
		.amdhsa_float_denorm_mode_32 3
		.amdhsa_float_denorm_mode_16_64 3
		.amdhsa_dx10_clamp 1
		.amdhsa_ieee_mode 1
		.amdhsa_fp16_overflow 0
		.amdhsa_tg_split 0
		.amdhsa_exception_fp_ieee_invalid_op 0
		.amdhsa_exception_fp_denorm_src 0
		.amdhsa_exception_fp_ieee_div_zero 0
		.amdhsa_exception_fp_ieee_overflow 0
		.amdhsa_exception_fp_ieee_underflow 0
		.amdhsa_exception_fp_ieee_inexact 0
		.amdhsa_exception_int_div_zero 0
	.end_amdhsa_kernel
	.section	.text._ZN7rocprim17ROCPRIM_400000_NS6detail17trampoline_kernelINS0_14default_configENS1_35radix_sort_onesweep_config_selectorIiiEEZZNS1_29radix_sort_onesweep_iterationIS3_Lb1EN6thrust23THRUST_200600_302600_NS6detail15normal_iteratorINS8_10device_ptrIiEEEESD_SD_SD_jNS0_19identity_decomposerENS1_16block_id_wrapperIjLb1EEEEE10hipError_tT1_PNSt15iterator_traitsISI_E10value_typeET2_T3_PNSJ_ISO_E10value_typeET4_T5_PST_SU_PNS1_23onesweep_lookback_stateEbbT6_jjT7_P12ihipStream_tbENKUlT_T0_SI_SN_E_clISD_PiSD_S15_EEDaS11_S12_SI_SN_EUlS11_E_NS1_11comp_targetILNS1_3genE4ELNS1_11target_archE910ELNS1_3gpuE8ELNS1_3repE0EEENS1_47radix_sort_onesweep_sort_config_static_selectorELNS0_4arch9wavefront6targetE1EEEvSI_,"axG",@progbits,_ZN7rocprim17ROCPRIM_400000_NS6detail17trampoline_kernelINS0_14default_configENS1_35radix_sort_onesweep_config_selectorIiiEEZZNS1_29radix_sort_onesweep_iterationIS3_Lb1EN6thrust23THRUST_200600_302600_NS6detail15normal_iteratorINS8_10device_ptrIiEEEESD_SD_SD_jNS0_19identity_decomposerENS1_16block_id_wrapperIjLb1EEEEE10hipError_tT1_PNSt15iterator_traitsISI_E10value_typeET2_T3_PNSJ_ISO_E10value_typeET4_T5_PST_SU_PNS1_23onesweep_lookback_stateEbbT6_jjT7_P12ihipStream_tbENKUlT_T0_SI_SN_E_clISD_PiSD_S15_EEDaS11_S12_SI_SN_EUlS11_E_NS1_11comp_targetILNS1_3genE4ELNS1_11target_archE910ELNS1_3gpuE8ELNS1_3repE0EEENS1_47radix_sort_onesweep_sort_config_static_selectorELNS0_4arch9wavefront6targetE1EEEvSI_,comdat
.Lfunc_end1850:
	.size	_ZN7rocprim17ROCPRIM_400000_NS6detail17trampoline_kernelINS0_14default_configENS1_35radix_sort_onesweep_config_selectorIiiEEZZNS1_29radix_sort_onesweep_iterationIS3_Lb1EN6thrust23THRUST_200600_302600_NS6detail15normal_iteratorINS8_10device_ptrIiEEEESD_SD_SD_jNS0_19identity_decomposerENS1_16block_id_wrapperIjLb1EEEEE10hipError_tT1_PNSt15iterator_traitsISI_E10value_typeET2_T3_PNSJ_ISO_E10value_typeET4_T5_PST_SU_PNS1_23onesweep_lookback_stateEbbT6_jjT7_P12ihipStream_tbENKUlT_T0_SI_SN_E_clISD_PiSD_S15_EEDaS11_S12_SI_SN_EUlS11_E_NS1_11comp_targetILNS1_3genE4ELNS1_11target_archE910ELNS1_3gpuE8ELNS1_3repE0EEENS1_47radix_sort_onesweep_sort_config_static_selectorELNS0_4arch9wavefront6targetE1EEEvSI_, .Lfunc_end1850-_ZN7rocprim17ROCPRIM_400000_NS6detail17trampoline_kernelINS0_14default_configENS1_35radix_sort_onesweep_config_selectorIiiEEZZNS1_29radix_sort_onesweep_iterationIS3_Lb1EN6thrust23THRUST_200600_302600_NS6detail15normal_iteratorINS8_10device_ptrIiEEEESD_SD_SD_jNS0_19identity_decomposerENS1_16block_id_wrapperIjLb1EEEEE10hipError_tT1_PNSt15iterator_traitsISI_E10value_typeET2_T3_PNSJ_ISO_E10value_typeET4_T5_PST_SU_PNS1_23onesweep_lookback_stateEbbT6_jjT7_P12ihipStream_tbENKUlT_T0_SI_SN_E_clISD_PiSD_S15_EEDaS11_S12_SI_SN_EUlS11_E_NS1_11comp_targetILNS1_3genE4ELNS1_11target_archE910ELNS1_3gpuE8ELNS1_3repE0EEENS1_47radix_sort_onesweep_sort_config_static_selectorELNS0_4arch9wavefront6targetE1EEEvSI_
                                        ; -- End function
	.set _ZN7rocprim17ROCPRIM_400000_NS6detail17trampoline_kernelINS0_14default_configENS1_35radix_sort_onesweep_config_selectorIiiEEZZNS1_29radix_sort_onesweep_iterationIS3_Lb1EN6thrust23THRUST_200600_302600_NS6detail15normal_iteratorINS8_10device_ptrIiEEEESD_SD_SD_jNS0_19identity_decomposerENS1_16block_id_wrapperIjLb1EEEEE10hipError_tT1_PNSt15iterator_traitsISI_E10value_typeET2_T3_PNSJ_ISO_E10value_typeET4_T5_PST_SU_PNS1_23onesweep_lookback_stateEbbT6_jjT7_P12ihipStream_tbENKUlT_T0_SI_SN_E_clISD_PiSD_S15_EEDaS11_S12_SI_SN_EUlS11_E_NS1_11comp_targetILNS1_3genE4ELNS1_11target_archE910ELNS1_3gpuE8ELNS1_3repE0EEENS1_47radix_sort_onesweep_sort_config_static_selectorELNS0_4arch9wavefront6targetE1EEEvSI_.num_vgpr, 0
	.set _ZN7rocprim17ROCPRIM_400000_NS6detail17trampoline_kernelINS0_14default_configENS1_35radix_sort_onesweep_config_selectorIiiEEZZNS1_29radix_sort_onesweep_iterationIS3_Lb1EN6thrust23THRUST_200600_302600_NS6detail15normal_iteratorINS8_10device_ptrIiEEEESD_SD_SD_jNS0_19identity_decomposerENS1_16block_id_wrapperIjLb1EEEEE10hipError_tT1_PNSt15iterator_traitsISI_E10value_typeET2_T3_PNSJ_ISO_E10value_typeET4_T5_PST_SU_PNS1_23onesweep_lookback_stateEbbT6_jjT7_P12ihipStream_tbENKUlT_T0_SI_SN_E_clISD_PiSD_S15_EEDaS11_S12_SI_SN_EUlS11_E_NS1_11comp_targetILNS1_3genE4ELNS1_11target_archE910ELNS1_3gpuE8ELNS1_3repE0EEENS1_47radix_sort_onesweep_sort_config_static_selectorELNS0_4arch9wavefront6targetE1EEEvSI_.num_agpr, 0
	.set _ZN7rocprim17ROCPRIM_400000_NS6detail17trampoline_kernelINS0_14default_configENS1_35radix_sort_onesweep_config_selectorIiiEEZZNS1_29radix_sort_onesweep_iterationIS3_Lb1EN6thrust23THRUST_200600_302600_NS6detail15normal_iteratorINS8_10device_ptrIiEEEESD_SD_SD_jNS0_19identity_decomposerENS1_16block_id_wrapperIjLb1EEEEE10hipError_tT1_PNSt15iterator_traitsISI_E10value_typeET2_T3_PNSJ_ISO_E10value_typeET4_T5_PST_SU_PNS1_23onesweep_lookback_stateEbbT6_jjT7_P12ihipStream_tbENKUlT_T0_SI_SN_E_clISD_PiSD_S15_EEDaS11_S12_SI_SN_EUlS11_E_NS1_11comp_targetILNS1_3genE4ELNS1_11target_archE910ELNS1_3gpuE8ELNS1_3repE0EEENS1_47radix_sort_onesweep_sort_config_static_selectorELNS0_4arch9wavefront6targetE1EEEvSI_.numbered_sgpr, 0
	.set _ZN7rocprim17ROCPRIM_400000_NS6detail17trampoline_kernelINS0_14default_configENS1_35radix_sort_onesweep_config_selectorIiiEEZZNS1_29radix_sort_onesweep_iterationIS3_Lb1EN6thrust23THRUST_200600_302600_NS6detail15normal_iteratorINS8_10device_ptrIiEEEESD_SD_SD_jNS0_19identity_decomposerENS1_16block_id_wrapperIjLb1EEEEE10hipError_tT1_PNSt15iterator_traitsISI_E10value_typeET2_T3_PNSJ_ISO_E10value_typeET4_T5_PST_SU_PNS1_23onesweep_lookback_stateEbbT6_jjT7_P12ihipStream_tbENKUlT_T0_SI_SN_E_clISD_PiSD_S15_EEDaS11_S12_SI_SN_EUlS11_E_NS1_11comp_targetILNS1_3genE4ELNS1_11target_archE910ELNS1_3gpuE8ELNS1_3repE0EEENS1_47radix_sort_onesweep_sort_config_static_selectorELNS0_4arch9wavefront6targetE1EEEvSI_.num_named_barrier, 0
	.set _ZN7rocprim17ROCPRIM_400000_NS6detail17trampoline_kernelINS0_14default_configENS1_35radix_sort_onesweep_config_selectorIiiEEZZNS1_29radix_sort_onesweep_iterationIS3_Lb1EN6thrust23THRUST_200600_302600_NS6detail15normal_iteratorINS8_10device_ptrIiEEEESD_SD_SD_jNS0_19identity_decomposerENS1_16block_id_wrapperIjLb1EEEEE10hipError_tT1_PNSt15iterator_traitsISI_E10value_typeET2_T3_PNSJ_ISO_E10value_typeET4_T5_PST_SU_PNS1_23onesweep_lookback_stateEbbT6_jjT7_P12ihipStream_tbENKUlT_T0_SI_SN_E_clISD_PiSD_S15_EEDaS11_S12_SI_SN_EUlS11_E_NS1_11comp_targetILNS1_3genE4ELNS1_11target_archE910ELNS1_3gpuE8ELNS1_3repE0EEENS1_47radix_sort_onesweep_sort_config_static_selectorELNS0_4arch9wavefront6targetE1EEEvSI_.private_seg_size, 0
	.set _ZN7rocprim17ROCPRIM_400000_NS6detail17trampoline_kernelINS0_14default_configENS1_35radix_sort_onesweep_config_selectorIiiEEZZNS1_29radix_sort_onesweep_iterationIS3_Lb1EN6thrust23THRUST_200600_302600_NS6detail15normal_iteratorINS8_10device_ptrIiEEEESD_SD_SD_jNS0_19identity_decomposerENS1_16block_id_wrapperIjLb1EEEEE10hipError_tT1_PNSt15iterator_traitsISI_E10value_typeET2_T3_PNSJ_ISO_E10value_typeET4_T5_PST_SU_PNS1_23onesweep_lookback_stateEbbT6_jjT7_P12ihipStream_tbENKUlT_T0_SI_SN_E_clISD_PiSD_S15_EEDaS11_S12_SI_SN_EUlS11_E_NS1_11comp_targetILNS1_3genE4ELNS1_11target_archE910ELNS1_3gpuE8ELNS1_3repE0EEENS1_47radix_sort_onesweep_sort_config_static_selectorELNS0_4arch9wavefront6targetE1EEEvSI_.uses_vcc, 0
	.set _ZN7rocprim17ROCPRIM_400000_NS6detail17trampoline_kernelINS0_14default_configENS1_35radix_sort_onesweep_config_selectorIiiEEZZNS1_29radix_sort_onesweep_iterationIS3_Lb1EN6thrust23THRUST_200600_302600_NS6detail15normal_iteratorINS8_10device_ptrIiEEEESD_SD_SD_jNS0_19identity_decomposerENS1_16block_id_wrapperIjLb1EEEEE10hipError_tT1_PNSt15iterator_traitsISI_E10value_typeET2_T3_PNSJ_ISO_E10value_typeET4_T5_PST_SU_PNS1_23onesweep_lookback_stateEbbT6_jjT7_P12ihipStream_tbENKUlT_T0_SI_SN_E_clISD_PiSD_S15_EEDaS11_S12_SI_SN_EUlS11_E_NS1_11comp_targetILNS1_3genE4ELNS1_11target_archE910ELNS1_3gpuE8ELNS1_3repE0EEENS1_47radix_sort_onesweep_sort_config_static_selectorELNS0_4arch9wavefront6targetE1EEEvSI_.uses_flat_scratch, 0
	.set _ZN7rocprim17ROCPRIM_400000_NS6detail17trampoline_kernelINS0_14default_configENS1_35radix_sort_onesweep_config_selectorIiiEEZZNS1_29radix_sort_onesweep_iterationIS3_Lb1EN6thrust23THRUST_200600_302600_NS6detail15normal_iteratorINS8_10device_ptrIiEEEESD_SD_SD_jNS0_19identity_decomposerENS1_16block_id_wrapperIjLb1EEEEE10hipError_tT1_PNSt15iterator_traitsISI_E10value_typeET2_T3_PNSJ_ISO_E10value_typeET4_T5_PST_SU_PNS1_23onesweep_lookback_stateEbbT6_jjT7_P12ihipStream_tbENKUlT_T0_SI_SN_E_clISD_PiSD_S15_EEDaS11_S12_SI_SN_EUlS11_E_NS1_11comp_targetILNS1_3genE4ELNS1_11target_archE910ELNS1_3gpuE8ELNS1_3repE0EEENS1_47radix_sort_onesweep_sort_config_static_selectorELNS0_4arch9wavefront6targetE1EEEvSI_.has_dyn_sized_stack, 0
	.set _ZN7rocprim17ROCPRIM_400000_NS6detail17trampoline_kernelINS0_14default_configENS1_35radix_sort_onesweep_config_selectorIiiEEZZNS1_29radix_sort_onesweep_iterationIS3_Lb1EN6thrust23THRUST_200600_302600_NS6detail15normal_iteratorINS8_10device_ptrIiEEEESD_SD_SD_jNS0_19identity_decomposerENS1_16block_id_wrapperIjLb1EEEEE10hipError_tT1_PNSt15iterator_traitsISI_E10value_typeET2_T3_PNSJ_ISO_E10value_typeET4_T5_PST_SU_PNS1_23onesweep_lookback_stateEbbT6_jjT7_P12ihipStream_tbENKUlT_T0_SI_SN_E_clISD_PiSD_S15_EEDaS11_S12_SI_SN_EUlS11_E_NS1_11comp_targetILNS1_3genE4ELNS1_11target_archE910ELNS1_3gpuE8ELNS1_3repE0EEENS1_47radix_sort_onesweep_sort_config_static_selectorELNS0_4arch9wavefront6targetE1EEEvSI_.has_recursion, 0
	.set _ZN7rocprim17ROCPRIM_400000_NS6detail17trampoline_kernelINS0_14default_configENS1_35radix_sort_onesweep_config_selectorIiiEEZZNS1_29radix_sort_onesweep_iterationIS3_Lb1EN6thrust23THRUST_200600_302600_NS6detail15normal_iteratorINS8_10device_ptrIiEEEESD_SD_SD_jNS0_19identity_decomposerENS1_16block_id_wrapperIjLb1EEEEE10hipError_tT1_PNSt15iterator_traitsISI_E10value_typeET2_T3_PNSJ_ISO_E10value_typeET4_T5_PST_SU_PNS1_23onesweep_lookback_stateEbbT6_jjT7_P12ihipStream_tbENKUlT_T0_SI_SN_E_clISD_PiSD_S15_EEDaS11_S12_SI_SN_EUlS11_E_NS1_11comp_targetILNS1_3genE4ELNS1_11target_archE910ELNS1_3gpuE8ELNS1_3repE0EEENS1_47radix_sort_onesweep_sort_config_static_selectorELNS0_4arch9wavefront6targetE1EEEvSI_.has_indirect_call, 0
	.section	.AMDGPU.csdata,"",@progbits
; Kernel info:
; codeLenInByte = 0
; TotalNumSgprs: 6
; NumVgprs: 0
; NumAgprs: 0
; TotalNumVgprs: 0
; ScratchSize: 0
; MemoryBound: 0
; FloatMode: 240
; IeeeMode: 1
; LDSByteSize: 0 bytes/workgroup (compile time only)
; SGPRBlocks: 0
; VGPRBlocks: 0
; NumSGPRsForWavesPerEU: 6
; NumVGPRsForWavesPerEU: 1
; AccumOffset: 4
; Occupancy: 8
; WaveLimiterHint : 0
; COMPUTE_PGM_RSRC2:SCRATCH_EN: 0
; COMPUTE_PGM_RSRC2:USER_SGPR: 2
; COMPUTE_PGM_RSRC2:TRAP_HANDLER: 0
; COMPUTE_PGM_RSRC2:TGID_X_EN: 1
; COMPUTE_PGM_RSRC2:TGID_Y_EN: 0
; COMPUTE_PGM_RSRC2:TGID_Z_EN: 0
; COMPUTE_PGM_RSRC2:TIDIG_COMP_CNT: 0
; COMPUTE_PGM_RSRC3_GFX90A:ACCUM_OFFSET: 0
; COMPUTE_PGM_RSRC3_GFX90A:TG_SPLIT: 0
	.section	.text._ZN7rocprim17ROCPRIM_400000_NS6detail17trampoline_kernelINS0_14default_configENS1_35radix_sort_onesweep_config_selectorIiiEEZZNS1_29radix_sort_onesweep_iterationIS3_Lb1EN6thrust23THRUST_200600_302600_NS6detail15normal_iteratorINS8_10device_ptrIiEEEESD_SD_SD_jNS0_19identity_decomposerENS1_16block_id_wrapperIjLb1EEEEE10hipError_tT1_PNSt15iterator_traitsISI_E10value_typeET2_T3_PNSJ_ISO_E10value_typeET4_T5_PST_SU_PNS1_23onesweep_lookback_stateEbbT6_jjT7_P12ihipStream_tbENKUlT_T0_SI_SN_E_clISD_PiSD_S15_EEDaS11_S12_SI_SN_EUlS11_E_NS1_11comp_targetILNS1_3genE3ELNS1_11target_archE908ELNS1_3gpuE7ELNS1_3repE0EEENS1_47radix_sort_onesweep_sort_config_static_selectorELNS0_4arch9wavefront6targetE1EEEvSI_,"axG",@progbits,_ZN7rocprim17ROCPRIM_400000_NS6detail17trampoline_kernelINS0_14default_configENS1_35radix_sort_onesweep_config_selectorIiiEEZZNS1_29radix_sort_onesweep_iterationIS3_Lb1EN6thrust23THRUST_200600_302600_NS6detail15normal_iteratorINS8_10device_ptrIiEEEESD_SD_SD_jNS0_19identity_decomposerENS1_16block_id_wrapperIjLb1EEEEE10hipError_tT1_PNSt15iterator_traitsISI_E10value_typeET2_T3_PNSJ_ISO_E10value_typeET4_T5_PST_SU_PNS1_23onesweep_lookback_stateEbbT6_jjT7_P12ihipStream_tbENKUlT_T0_SI_SN_E_clISD_PiSD_S15_EEDaS11_S12_SI_SN_EUlS11_E_NS1_11comp_targetILNS1_3genE3ELNS1_11target_archE908ELNS1_3gpuE7ELNS1_3repE0EEENS1_47radix_sort_onesweep_sort_config_static_selectorELNS0_4arch9wavefront6targetE1EEEvSI_,comdat
	.protected	_ZN7rocprim17ROCPRIM_400000_NS6detail17trampoline_kernelINS0_14default_configENS1_35radix_sort_onesweep_config_selectorIiiEEZZNS1_29radix_sort_onesweep_iterationIS3_Lb1EN6thrust23THRUST_200600_302600_NS6detail15normal_iteratorINS8_10device_ptrIiEEEESD_SD_SD_jNS0_19identity_decomposerENS1_16block_id_wrapperIjLb1EEEEE10hipError_tT1_PNSt15iterator_traitsISI_E10value_typeET2_T3_PNSJ_ISO_E10value_typeET4_T5_PST_SU_PNS1_23onesweep_lookback_stateEbbT6_jjT7_P12ihipStream_tbENKUlT_T0_SI_SN_E_clISD_PiSD_S15_EEDaS11_S12_SI_SN_EUlS11_E_NS1_11comp_targetILNS1_3genE3ELNS1_11target_archE908ELNS1_3gpuE7ELNS1_3repE0EEENS1_47radix_sort_onesweep_sort_config_static_selectorELNS0_4arch9wavefront6targetE1EEEvSI_ ; -- Begin function _ZN7rocprim17ROCPRIM_400000_NS6detail17trampoline_kernelINS0_14default_configENS1_35radix_sort_onesweep_config_selectorIiiEEZZNS1_29radix_sort_onesweep_iterationIS3_Lb1EN6thrust23THRUST_200600_302600_NS6detail15normal_iteratorINS8_10device_ptrIiEEEESD_SD_SD_jNS0_19identity_decomposerENS1_16block_id_wrapperIjLb1EEEEE10hipError_tT1_PNSt15iterator_traitsISI_E10value_typeET2_T3_PNSJ_ISO_E10value_typeET4_T5_PST_SU_PNS1_23onesweep_lookback_stateEbbT6_jjT7_P12ihipStream_tbENKUlT_T0_SI_SN_E_clISD_PiSD_S15_EEDaS11_S12_SI_SN_EUlS11_E_NS1_11comp_targetILNS1_3genE3ELNS1_11target_archE908ELNS1_3gpuE7ELNS1_3repE0EEENS1_47radix_sort_onesweep_sort_config_static_selectorELNS0_4arch9wavefront6targetE1EEEvSI_
	.globl	_ZN7rocprim17ROCPRIM_400000_NS6detail17trampoline_kernelINS0_14default_configENS1_35radix_sort_onesweep_config_selectorIiiEEZZNS1_29radix_sort_onesweep_iterationIS3_Lb1EN6thrust23THRUST_200600_302600_NS6detail15normal_iteratorINS8_10device_ptrIiEEEESD_SD_SD_jNS0_19identity_decomposerENS1_16block_id_wrapperIjLb1EEEEE10hipError_tT1_PNSt15iterator_traitsISI_E10value_typeET2_T3_PNSJ_ISO_E10value_typeET4_T5_PST_SU_PNS1_23onesweep_lookback_stateEbbT6_jjT7_P12ihipStream_tbENKUlT_T0_SI_SN_E_clISD_PiSD_S15_EEDaS11_S12_SI_SN_EUlS11_E_NS1_11comp_targetILNS1_3genE3ELNS1_11target_archE908ELNS1_3gpuE7ELNS1_3repE0EEENS1_47radix_sort_onesweep_sort_config_static_selectorELNS0_4arch9wavefront6targetE1EEEvSI_
	.p2align	8
	.type	_ZN7rocprim17ROCPRIM_400000_NS6detail17trampoline_kernelINS0_14default_configENS1_35radix_sort_onesweep_config_selectorIiiEEZZNS1_29radix_sort_onesweep_iterationIS3_Lb1EN6thrust23THRUST_200600_302600_NS6detail15normal_iteratorINS8_10device_ptrIiEEEESD_SD_SD_jNS0_19identity_decomposerENS1_16block_id_wrapperIjLb1EEEEE10hipError_tT1_PNSt15iterator_traitsISI_E10value_typeET2_T3_PNSJ_ISO_E10value_typeET4_T5_PST_SU_PNS1_23onesweep_lookback_stateEbbT6_jjT7_P12ihipStream_tbENKUlT_T0_SI_SN_E_clISD_PiSD_S15_EEDaS11_S12_SI_SN_EUlS11_E_NS1_11comp_targetILNS1_3genE3ELNS1_11target_archE908ELNS1_3gpuE7ELNS1_3repE0EEENS1_47radix_sort_onesweep_sort_config_static_selectorELNS0_4arch9wavefront6targetE1EEEvSI_,@function
_ZN7rocprim17ROCPRIM_400000_NS6detail17trampoline_kernelINS0_14default_configENS1_35radix_sort_onesweep_config_selectorIiiEEZZNS1_29radix_sort_onesweep_iterationIS3_Lb1EN6thrust23THRUST_200600_302600_NS6detail15normal_iteratorINS8_10device_ptrIiEEEESD_SD_SD_jNS0_19identity_decomposerENS1_16block_id_wrapperIjLb1EEEEE10hipError_tT1_PNSt15iterator_traitsISI_E10value_typeET2_T3_PNSJ_ISO_E10value_typeET4_T5_PST_SU_PNS1_23onesweep_lookback_stateEbbT6_jjT7_P12ihipStream_tbENKUlT_T0_SI_SN_E_clISD_PiSD_S15_EEDaS11_S12_SI_SN_EUlS11_E_NS1_11comp_targetILNS1_3genE3ELNS1_11target_archE908ELNS1_3gpuE7ELNS1_3repE0EEENS1_47radix_sort_onesweep_sort_config_static_selectorELNS0_4arch9wavefront6targetE1EEEvSI_: ; @_ZN7rocprim17ROCPRIM_400000_NS6detail17trampoline_kernelINS0_14default_configENS1_35radix_sort_onesweep_config_selectorIiiEEZZNS1_29radix_sort_onesweep_iterationIS3_Lb1EN6thrust23THRUST_200600_302600_NS6detail15normal_iteratorINS8_10device_ptrIiEEEESD_SD_SD_jNS0_19identity_decomposerENS1_16block_id_wrapperIjLb1EEEEE10hipError_tT1_PNSt15iterator_traitsISI_E10value_typeET2_T3_PNSJ_ISO_E10value_typeET4_T5_PST_SU_PNS1_23onesweep_lookback_stateEbbT6_jjT7_P12ihipStream_tbENKUlT_T0_SI_SN_E_clISD_PiSD_S15_EEDaS11_S12_SI_SN_EUlS11_E_NS1_11comp_targetILNS1_3genE3ELNS1_11target_archE908ELNS1_3gpuE7ELNS1_3repE0EEENS1_47radix_sort_onesweep_sort_config_static_selectorELNS0_4arch9wavefront6targetE1EEEvSI_
; %bb.0:
	.section	.rodata,"a",@progbits
	.p2align	6, 0x0
	.amdhsa_kernel _ZN7rocprim17ROCPRIM_400000_NS6detail17trampoline_kernelINS0_14default_configENS1_35radix_sort_onesweep_config_selectorIiiEEZZNS1_29radix_sort_onesweep_iterationIS3_Lb1EN6thrust23THRUST_200600_302600_NS6detail15normal_iteratorINS8_10device_ptrIiEEEESD_SD_SD_jNS0_19identity_decomposerENS1_16block_id_wrapperIjLb1EEEEE10hipError_tT1_PNSt15iterator_traitsISI_E10value_typeET2_T3_PNSJ_ISO_E10value_typeET4_T5_PST_SU_PNS1_23onesweep_lookback_stateEbbT6_jjT7_P12ihipStream_tbENKUlT_T0_SI_SN_E_clISD_PiSD_S15_EEDaS11_S12_SI_SN_EUlS11_E_NS1_11comp_targetILNS1_3genE3ELNS1_11target_archE908ELNS1_3gpuE7ELNS1_3repE0EEENS1_47radix_sort_onesweep_sort_config_static_selectorELNS0_4arch9wavefront6targetE1EEEvSI_
		.amdhsa_group_segment_fixed_size 0
		.amdhsa_private_segment_fixed_size 0
		.amdhsa_kernarg_size 88
		.amdhsa_user_sgpr_count 2
		.amdhsa_user_sgpr_dispatch_ptr 0
		.amdhsa_user_sgpr_queue_ptr 0
		.amdhsa_user_sgpr_kernarg_segment_ptr 1
		.amdhsa_user_sgpr_dispatch_id 0
		.amdhsa_user_sgpr_kernarg_preload_length 0
		.amdhsa_user_sgpr_kernarg_preload_offset 0
		.amdhsa_user_sgpr_private_segment_size 0
		.amdhsa_uses_dynamic_stack 0
		.amdhsa_enable_private_segment 0
		.amdhsa_system_sgpr_workgroup_id_x 1
		.amdhsa_system_sgpr_workgroup_id_y 0
		.amdhsa_system_sgpr_workgroup_id_z 0
		.amdhsa_system_sgpr_workgroup_info 0
		.amdhsa_system_vgpr_workitem_id 0
		.amdhsa_next_free_vgpr 1
		.amdhsa_next_free_sgpr 0
		.amdhsa_accum_offset 4
		.amdhsa_reserve_vcc 0
		.amdhsa_float_round_mode_32 0
		.amdhsa_float_round_mode_16_64 0
		.amdhsa_float_denorm_mode_32 3
		.amdhsa_float_denorm_mode_16_64 3
		.amdhsa_dx10_clamp 1
		.amdhsa_ieee_mode 1
		.amdhsa_fp16_overflow 0
		.amdhsa_tg_split 0
		.amdhsa_exception_fp_ieee_invalid_op 0
		.amdhsa_exception_fp_denorm_src 0
		.amdhsa_exception_fp_ieee_div_zero 0
		.amdhsa_exception_fp_ieee_overflow 0
		.amdhsa_exception_fp_ieee_underflow 0
		.amdhsa_exception_fp_ieee_inexact 0
		.amdhsa_exception_int_div_zero 0
	.end_amdhsa_kernel
	.section	.text._ZN7rocprim17ROCPRIM_400000_NS6detail17trampoline_kernelINS0_14default_configENS1_35radix_sort_onesweep_config_selectorIiiEEZZNS1_29radix_sort_onesweep_iterationIS3_Lb1EN6thrust23THRUST_200600_302600_NS6detail15normal_iteratorINS8_10device_ptrIiEEEESD_SD_SD_jNS0_19identity_decomposerENS1_16block_id_wrapperIjLb1EEEEE10hipError_tT1_PNSt15iterator_traitsISI_E10value_typeET2_T3_PNSJ_ISO_E10value_typeET4_T5_PST_SU_PNS1_23onesweep_lookback_stateEbbT6_jjT7_P12ihipStream_tbENKUlT_T0_SI_SN_E_clISD_PiSD_S15_EEDaS11_S12_SI_SN_EUlS11_E_NS1_11comp_targetILNS1_3genE3ELNS1_11target_archE908ELNS1_3gpuE7ELNS1_3repE0EEENS1_47radix_sort_onesweep_sort_config_static_selectorELNS0_4arch9wavefront6targetE1EEEvSI_,"axG",@progbits,_ZN7rocprim17ROCPRIM_400000_NS6detail17trampoline_kernelINS0_14default_configENS1_35radix_sort_onesweep_config_selectorIiiEEZZNS1_29radix_sort_onesweep_iterationIS3_Lb1EN6thrust23THRUST_200600_302600_NS6detail15normal_iteratorINS8_10device_ptrIiEEEESD_SD_SD_jNS0_19identity_decomposerENS1_16block_id_wrapperIjLb1EEEEE10hipError_tT1_PNSt15iterator_traitsISI_E10value_typeET2_T3_PNSJ_ISO_E10value_typeET4_T5_PST_SU_PNS1_23onesweep_lookback_stateEbbT6_jjT7_P12ihipStream_tbENKUlT_T0_SI_SN_E_clISD_PiSD_S15_EEDaS11_S12_SI_SN_EUlS11_E_NS1_11comp_targetILNS1_3genE3ELNS1_11target_archE908ELNS1_3gpuE7ELNS1_3repE0EEENS1_47radix_sort_onesweep_sort_config_static_selectorELNS0_4arch9wavefront6targetE1EEEvSI_,comdat
.Lfunc_end1851:
	.size	_ZN7rocprim17ROCPRIM_400000_NS6detail17trampoline_kernelINS0_14default_configENS1_35radix_sort_onesweep_config_selectorIiiEEZZNS1_29radix_sort_onesweep_iterationIS3_Lb1EN6thrust23THRUST_200600_302600_NS6detail15normal_iteratorINS8_10device_ptrIiEEEESD_SD_SD_jNS0_19identity_decomposerENS1_16block_id_wrapperIjLb1EEEEE10hipError_tT1_PNSt15iterator_traitsISI_E10value_typeET2_T3_PNSJ_ISO_E10value_typeET4_T5_PST_SU_PNS1_23onesweep_lookback_stateEbbT6_jjT7_P12ihipStream_tbENKUlT_T0_SI_SN_E_clISD_PiSD_S15_EEDaS11_S12_SI_SN_EUlS11_E_NS1_11comp_targetILNS1_3genE3ELNS1_11target_archE908ELNS1_3gpuE7ELNS1_3repE0EEENS1_47radix_sort_onesweep_sort_config_static_selectorELNS0_4arch9wavefront6targetE1EEEvSI_, .Lfunc_end1851-_ZN7rocprim17ROCPRIM_400000_NS6detail17trampoline_kernelINS0_14default_configENS1_35radix_sort_onesweep_config_selectorIiiEEZZNS1_29radix_sort_onesweep_iterationIS3_Lb1EN6thrust23THRUST_200600_302600_NS6detail15normal_iteratorINS8_10device_ptrIiEEEESD_SD_SD_jNS0_19identity_decomposerENS1_16block_id_wrapperIjLb1EEEEE10hipError_tT1_PNSt15iterator_traitsISI_E10value_typeET2_T3_PNSJ_ISO_E10value_typeET4_T5_PST_SU_PNS1_23onesweep_lookback_stateEbbT6_jjT7_P12ihipStream_tbENKUlT_T0_SI_SN_E_clISD_PiSD_S15_EEDaS11_S12_SI_SN_EUlS11_E_NS1_11comp_targetILNS1_3genE3ELNS1_11target_archE908ELNS1_3gpuE7ELNS1_3repE0EEENS1_47radix_sort_onesweep_sort_config_static_selectorELNS0_4arch9wavefront6targetE1EEEvSI_
                                        ; -- End function
	.set _ZN7rocprim17ROCPRIM_400000_NS6detail17trampoline_kernelINS0_14default_configENS1_35radix_sort_onesweep_config_selectorIiiEEZZNS1_29radix_sort_onesweep_iterationIS3_Lb1EN6thrust23THRUST_200600_302600_NS6detail15normal_iteratorINS8_10device_ptrIiEEEESD_SD_SD_jNS0_19identity_decomposerENS1_16block_id_wrapperIjLb1EEEEE10hipError_tT1_PNSt15iterator_traitsISI_E10value_typeET2_T3_PNSJ_ISO_E10value_typeET4_T5_PST_SU_PNS1_23onesweep_lookback_stateEbbT6_jjT7_P12ihipStream_tbENKUlT_T0_SI_SN_E_clISD_PiSD_S15_EEDaS11_S12_SI_SN_EUlS11_E_NS1_11comp_targetILNS1_3genE3ELNS1_11target_archE908ELNS1_3gpuE7ELNS1_3repE0EEENS1_47radix_sort_onesweep_sort_config_static_selectorELNS0_4arch9wavefront6targetE1EEEvSI_.num_vgpr, 0
	.set _ZN7rocprim17ROCPRIM_400000_NS6detail17trampoline_kernelINS0_14default_configENS1_35radix_sort_onesweep_config_selectorIiiEEZZNS1_29radix_sort_onesweep_iterationIS3_Lb1EN6thrust23THRUST_200600_302600_NS6detail15normal_iteratorINS8_10device_ptrIiEEEESD_SD_SD_jNS0_19identity_decomposerENS1_16block_id_wrapperIjLb1EEEEE10hipError_tT1_PNSt15iterator_traitsISI_E10value_typeET2_T3_PNSJ_ISO_E10value_typeET4_T5_PST_SU_PNS1_23onesweep_lookback_stateEbbT6_jjT7_P12ihipStream_tbENKUlT_T0_SI_SN_E_clISD_PiSD_S15_EEDaS11_S12_SI_SN_EUlS11_E_NS1_11comp_targetILNS1_3genE3ELNS1_11target_archE908ELNS1_3gpuE7ELNS1_3repE0EEENS1_47radix_sort_onesweep_sort_config_static_selectorELNS0_4arch9wavefront6targetE1EEEvSI_.num_agpr, 0
	.set _ZN7rocprim17ROCPRIM_400000_NS6detail17trampoline_kernelINS0_14default_configENS1_35radix_sort_onesweep_config_selectorIiiEEZZNS1_29radix_sort_onesweep_iterationIS3_Lb1EN6thrust23THRUST_200600_302600_NS6detail15normal_iteratorINS8_10device_ptrIiEEEESD_SD_SD_jNS0_19identity_decomposerENS1_16block_id_wrapperIjLb1EEEEE10hipError_tT1_PNSt15iterator_traitsISI_E10value_typeET2_T3_PNSJ_ISO_E10value_typeET4_T5_PST_SU_PNS1_23onesweep_lookback_stateEbbT6_jjT7_P12ihipStream_tbENKUlT_T0_SI_SN_E_clISD_PiSD_S15_EEDaS11_S12_SI_SN_EUlS11_E_NS1_11comp_targetILNS1_3genE3ELNS1_11target_archE908ELNS1_3gpuE7ELNS1_3repE0EEENS1_47radix_sort_onesweep_sort_config_static_selectorELNS0_4arch9wavefront6targetE1EEEvSI_.numbered_sgpr, 0
	.set _ZN7rocprim17ROCPRIM_400000_NS6detail17trampoline_kernelINS0_14default_configENS1_35radix_sort_onesweep_config_selectorIiiEEZZNS1_29radix_sort_onesweep_iterationIS3_Lb1EN6thrust23THRUST_200600_302600_NS6detail15normal_iteratorINS8_10device_ptrIiEEEESD_SD_SD_jNS0_19identity_decomposerENS1_16block_id_wrapperIjLb1EEEEE10hipError_tT1_PNSt15iterator_traitsISI_E10value_typeET2_T3_PNSJ_ISO_E10value_typeET4_T5_PST_SU_PNS1_23onesweep_lookback_stateEbbT6_jjT7_P12ihipStream_tbENKUlT_T0_SI_SN_E_clISD_PiSD_S15_EEDaS11_S12_SI_SN_EUlS11_E_NS1_11comp_targetILNS1_3genE3ELNS1_11target_archE908ELNS1_3gpuE7ELNS1_3repE0EEENS1_47radix_sort_onesweep_sort_config_static_selectorELNS0_4arch9wavefront6targetE1EEEvSI_.num_named_barrier, 0
	.set _ZN7rocprim17ROCPRIM_400000_NS6detail17trampoline_kernelINS0_14default_configENS1_35radix_sort_onesweep_config_selectorIiiEEZZNS1_29radix_sort_onesweep_iterationIS3_Lb1EN6thrust23THRUST_200600_302600_NS6detail15normal_iteratorINS8_10device_ptrIiEEEESD_SD_SD_jNS0_19identity_decomposerENS1_16block_id_wrapperIjLb1EEEEE10hipError_tT1_PNSt15iterator_traitsISI_E10value_typeET2_T3_PNSJ_ISO_E10value_typeET4_T5_PST_SU_PNS1_23onesweep_lookback_stateEbbT6_jjT7_P12ihipStream_tbENKUlT_T0_SI_SN_E_clISD_PiSD_S15_EEDaS11_S12_SI_SN_EUlS11_E_NS1_11comp_targetILNS1_3genE3ELNS1_11target_archE908ELNS1_3gpuE7ELNS1_3repE0EEENS1_47radix_sort_onesweep_sort_config_static_selectorELNS0_4arch9wavefront6targetE1EEEvSI_.private_seg_size, 0
	.set _ZN7rocprim17ROCPRIM_400000_NS6detail17trampoline_kernelINS0_14default_configENS1_35radix_sort_onesweep_config_selectorIiiEEZZNS1_29radix_sort_onesweep_iterationIS3_Lb1EN6thrust23THRUST_200600_302600_NS6detail15normal_iteratorINS8_10device_ptrIiEEEESD_SD_SD_jNS0_19identity_decomposerENS1_16block_id_wrapperIjLb1EEEEE10hipError_tT1_PNSt15iterator_traitsISI_E10value_typeET2_T3_PNSJ_ISO_E10value_typeET4_T5_PST_SU_PNS1_23onesweep_lookback_stateEbbT6_jjT7_P12ihipStream_tbENKUlT_T0_SI_SN_E_clISD_PiSD_S15_EEDaS11_S12_SI_SN_EUlS11_E_NS1_11comp_targetILNS1_3genE3ELNS1_11target_archE908ELNS1_3gpuE7ELNS1_3repE0EEENS1_47radix_sort_onesweep_sort_config_static_selectorELNS0_4arch9wavefront6targetE1EEEvSI_.uses_vcc, 0
	.set _ZN7rocprim17ROCPRIM_400000_NS6detail17trampoline_kernelINS0_14default_configENS1_35radix_sort_onesweep_config_selectorIiiEEZZNS1_29radix_sort_onesweep_iterationIS3_Lb1EN6thrust23THRUST_200600_302600_NS6detail15normal_iteratorINS8_10device_ptrIiEEEESD_SD_SD_jNS0_19identity_decomposerENS1_16block_id_wrapperIjLb1EEEEE10hipError_tT1_PNSt15iterator_traitsISI_E10value_typeET2_T3_PNSJ_ISO_E10value_typeET4_T5_PST_SU_PNS1_23onesweep_lookback_stateEbbT6_jjT7_P12ihipStream_tbENKUlT_T0_SI_SN_E_clISD_PiSD_S15_EEDaS11_S12_SI_SN_EUlS11_E_NS1_11comp_targetILNS1_3genE3ELNS1_11target_archE908ELNS1_3gpuE7ELNS1_3repE0EEENS1_47radix_sort_onesweep_sort_config_static_selectorELNS0_4arch9wavefront6targetE1EEEvSI_.uses_flat_scratch, 0
	.set _ZN7rocprim17ROCPRIM_400000_NS6detail17trampoline_kernelINS0_14default_configENS1_35radix_sort_onesweep_config_selectorIiiEEZZNS1_29radix_sort_onesweep_iterationIS3_Lb1EN6thrust23THRUST_200600_302600_NS6detail15normal_iteratorINS8_10device_ptrIiEEEESD_SD_SD_jNS0_19identity_decomposerENS1_16block_id_wrapperIjLb1EEEEE10hipError_tT1_PNSt15iterator_traitsISI_E10value_typeET2_T3_PNSJ_ISO_E10value_typeET4_T5_PST_SU_PNS1_23onesweep_lookback_stateEbbT6_jjT7_P12ihipStream_tbENKUlT_T0_SI_SN_E_clISD_PiSD_S15_EEDaS11_S12_SI_SN_EUlS11_E_NS1_11comp_targetILNS1_3genE3ELNS1_11target_archE908ELNS1_3gpuE7ELNS1_3repE0EEENS1_47radix_sort_onesweep_sort_config_static_selectorELNS0_4arch9wavefront6targetE1EEEvSI_.has_dyn_sized_stack, 0
	.set _ZN7rocprim17ROCPRIM_400000_NS6detail17trampoline_kernelINS0_14default_configENS1_35radix_sort_onesweep_config_selectorIiiEEZZNS1_29radix_sort_onesweep_iterationIS3_Lb1EN6thrust23THRUST_200600_302600_NS6detail15normal_iteratorINS8_10device_ptrIiEEEESD_SD_SD_jNS0_19identity_decomposerENS1_16block_id_wrapperIjLb1EEEEE10hipError_tT1_PNSt15iterator_traitsISI_E10value_typeET2_T3_PNSJ_ISO_E10value_typeET4_T5_PST_SU_PNS1_23onesweep_lookback_stateEbbT6_jjT7_P12ihipStream_tbENKUlT_T0_SI_SN_E_clISD_PiSD_S15_EEDaS11_S12_SI_SN_EUlS11_E_NS1_11comp_targetILNS1_3genE3ELNS1_11target_archE908ELNS1_3gpuE7ELNS1_3repE0EEENS1_47radix_sort_onesweep_sort_config_static_selectorELNS0_4arch9wavefront6targetE1EEEvSI_.has_recursion, 0
	.set _ZN7rocprim17ROCPRIM_400000_NS6detail17trampoline_kernelINS0_14default_configENS1_35radix_sort_onesweep_config_selectorIiiEEZZNS1_29radix_sort_onesweep_iterationIS3_Lb1EN6thrust23THRUST_200600_302600_NS6detail15normal_iteratorINS8_10device_ptrIiEEEESD_SD_SD_jNS0_19identity_decomposerENS1_16block_id_wrapperIjLb1EEEEE10hipError_tT1_PNSt15iterator_traitsISI_E10value_typeET2_T3_PNSJ_ISO_E10value_typeET4_T5_PST_SU_PNS1_23onesweep_lookback_stateEbbT6_jjT7_P12ihipStream_tbENKUlT_T0_SI_SN_E_clISD_PiSD_S15_EEDaS11_S12_SI_SN_EUlS11_E_NS1_11comp_targetILNS1_3genE3ELNS1_11target_archE908ELNS1_3gpuE7ELNS1_3repE0EEENS1_47radix_sort_onesweep_sort_config_static_selectorELNS0_4arch9wavefront6targetE1EEEvSI_.has_indirect_call, 0
	.section	.AMDGPU.csdata,"",@progbits
; Kernel info:
; codeLenInByte = 0
; TotalNumSgprs: 6
; NumVgprs: 0
; NumAgprs: 0
; TotalNumVgprs: 0
; ScratchSize: 0
; MemoryBound: 0
; FloatMode: 240
; IeeeMode: 1
; LDSByteSize: 0 bytes/workgroup (compile time only)
; SGPRBlocks: 0
; VGPRBlocks: 0
; NumSGPRsForWavesPerEU: 6
; NumVGPRsForWavesPerEU: 1
; AccumOffset: 4
; Occupancy: 8
; WaveLimiterHint : 0
; COMPUTE_PGM_RSRC2:SCRATCH_EN: 0
; COMPUTE_PGM_RSRC2:USER_SGPR: 2
; COMPUTE_PGM_RSRC2:TRAP_HANDLER: 0
; COMPUTE_PGM_RSRC2:TGID_X_EN: 1
; COMPUTE_PGM_RSRC2:TGID_Y_EN: 0
; COMPUTE_PGM_RSRC2:TGID_Z_EN: 0
; COMPUTE_PGM_RSRC2:TIDIG_COMP_CNT: 0
; COMPUTE_PGM_RSRC3_GFX90A:ACCUM_OFFSET: 0
; COMPUTE_PGM_RSRC3_GFX90A:TG_SPLIT: 0
	.section	.text._ZN7rocprim17ROCPRIM_400000_NS6detail17trampoline_kernelINS0_14default_configENS1_35radix_sort_onesweep_config_selectorIiiEEZZNS1_29radix_sort_onesweep_iterationIS3_Lb1EN6thrust23THRUST_200600_302600_NS6detail15normal_iteratorINS8_10device_ptrIiEEEESD_SD_SD_jNS0_19identity_decomposerENS1_16block_id_wrapperIjLb1EEEEE10hipError_tT1_PNSt15iterator_traitsISI_E10value_typeET2_T3_PNSJ_ISO_E10value_typeET4_T5_PST_SU_PNS1_23onesweep_lookback_stateEbbT6_jjT7_P12ihipStream_tbENKUlT_T0_SI_SN_E_clISD_PiSD_S15_EEDaS11_S12_SI_SN_EUlS11_E_NS1_11comp_targetILNS1_3genE10ELNS1_11target_archE1201ELNS1_3gpuE5ELNS1_3repE0EEENS1_47radix_sort_onesweep_sort_config_static_selectorELNS0_4arch9wavefront6targetE1EEEvSI_,"axG",@progbits,_ZN7rocprim17ROCPRIM_400000_NS6detail17trampoline_kernelINS0_14default_configENS1_35radix_sort_onesweep_config_selectorIiiEEZZNS1_29radix_sort_onesweep_iterationIS3_Lb1EN6thrust23THRUST_200600_302600_NS6detail15normal_iteratorINS8_10device_ptrIiEEEESD_SD_SD_jNS0_19identity_decomposerENS1_16block_id_wrapperIjLb1EEEEE10hipError_tT1_PNSt15iterator_traitsISI_E10value_typeET2_T3_PNSJ_ISO_E10value_typeET4_T5_PST_SU_PNS1_23onesweep_lookback_stateEbbT6_jjT7_P12ihipStream_tbENKUlT_T0_SI_SN_E_clISD_PiSD_S15_EEDaS11_S12_SI_SN_EUlS11_E_NS1_11comp_targetILNS1_3genE10ELNS1_11target_archE1201ELNS1_3gpuE5ELNS1_3repE0EEENS1_47radix_sort_onesweep_sort_config_static_selectorELNS0_4arch9wavefront6targetE1EEEvSI_,comdat
	.protected	_ZN7rocprim17ROCPRIM_400000_NS6detail17trampoline_kernelINS0_14default_configENS1_35radix_sort_onesweep_config_selectorIiiEEZZNS1_29radix_sort_onesweep_iterationIS3_Lb1EN6thrust23THRUST_200600_302600_NS6detail15normal_iteratorINS8_10device_ptrIiEEEESD_SD_SD_jNS0_19identity_decomposerENS1_16block_id_wrapperIjLb1EEEEE10hipError_tT1_PNSt15iterator_traitsISI_E10value_typeET2_T3_PNSJ_ISO_E10value_typeET4_T5_PST_SU_PNS1_23onesweep_lookback_stateEbbT6_jjT7_P12ihipStream_tbENKUlT_T0_SI_SN_E_clISD_PiSD_S15_EEDaS11_S12_SI_SN_EUlS11_E_NS1_11comp_targetILNS1_3genE10ELNS1_11target_archE1201ELNS1_3gpuE5ELNS1_3repE0EEENS1_47radix_sort_onesweep_sort_config_static_selectorELNS0_4arch9wavefront6targetE1EEEvSI_ ; -- Begin function _ZN7rocprim17ROCPRIM_400000_NS6detail17trampoline_kernelINS0_14default_configENS1_35radix_sort_onesweep_config_selectorIiiEEZZNS1_29radix_sort_onesweep_iterationIS3_Lb1EN6thrust23THRUST_200600_302600_NS6detail15normal_iteratorINS8_10device_ptrIiEEEESD_SD_SD_jNS0_19identity_decomposerENS1_16block_id_wrapperIjLb1EEEEE10hipError_tT1_PNSt15iterator_traitsISI_E10value_typeET2_T3_PNSJ_ISO_E10value_typeET4_T5_PST_SU_PNS1_23onesweep_lookback_stateEbbT6_jjT7_P12ihipStream_tbENKUlT_T0_SI_SN_E_clISD_PiSD_S15_EEDaS11_S12_SI_SN_EUlS11_E_NS1_11comp_targetILNS1_3genE10ELNS1_11target_archE1201ELNS1_3gpuE5ELNS1_3repE0EEENS1_47radix_sort_onesweep_sort_config_static_selectorELNS0_4arch9wavefront6targetE1EEEvSI_
	.globl	_ZN7rocprim17ROCPRIM_400000_NS6detail17trampoline_kernelINS0_14default_configENS1_35radix_sort_onesweep_config_selectorIiiEEZZNS1_29radix_sort_onesweep_iterationIS3_Lb1EN6thrust23THRUST_200600_302600_NS6detail15normal_iteratorINS8_10device_ptrIiEEEESD_SD_SD_jNS0_19identity_decomposerENS1_16block_id_wrapperIjLb1EEEEE10hipError_tT1_PNSt15iterator_traitsISI_E10value_typeET2_T3_PNSJ_ISO_E10value_typeET4_T5_PST_SU_PNS1_23onesweep_lookback_stateEbbT6_jjT7_P12ihipStream_tbENKUlT_T0_SI_SN_E_clISD_PiSD_S15_EEDaS11_S12_SI_SN_EUlS11_E_NS1_11comp_targetILNS1_3genE10ELNS1_11target_archE1201ELNS1_3gpuE5ELNS1_3repE0EEENS1_47radix_sort_onesweep_sort_config_static_selectorELNS0_4arch9wavefront6targetE1EEEvSI_
	.p2align	8
	.type	_ZN7rocprim17ROCPRIM_400000_NS6detail17trampoline_kernelINS0_14default_configENS1_35radix_sort_onesweep_config_selectorIiiEEZZNS1_29radix_sort_onesweep_iterationIS3_Lb1EN6thrust23THRUST_200600_302600_NS6detail15normal_iteratorINS8_10device_ptrIiEEEESD_SD_SD_jNS0_19identity_decomposerENS1_16block_id_wrapperIjLb1EEEEE10hipError_tT1_PNSt15iterator_traitsISI_E10value_typeET2_T3_PNSJ_ISO_E10value_typeET4_T5_PST_SU_PNS1_23onesweep_lookback_stateEbbT6_jjT7_P12ihipStream_tbENKUlT_T0_SI_SN_E_clISD_PiSD_S15_EEDaS11_S12_SI_SN_EUlS11_E_NS1_11comp_targetILNS1_3genE10ELNS1_11target_archE1201ELNS1_3gpuE5ELNS1_3repE0EEENS1_47radix_sort_onesweep_sort_config_static_selectorELNS0_4arch9wavefront6targetE1EEEvSI_,@function
_ZN7rocprim17ROCPRIM_400000_NS6detail17trampoline_kernelINS0_14default_configENS1_35radix_sort_onesweep_config_selectorIiiEEZZNS1_29radix_sort_onesweep_iterationIS3_Lb1EN6thrust23THRUST_200600_302600_NS6detail15normal_iteratorINS8_10device_ptrIiEEEESD_SD_SD_jNS0_19identity_decomposerENS1_16block_id_wrapperIjLb1EEEEE10hipError_tT1_PNSt15iterator_traitsISI_E10value_typeET2_T3_PNSJ_ISO_E10value_typeET4_T5_PST_SU_PNS1_23onesweep_lookback_stateEbbT6_jjT7_P12ihipStream_tbENKUlT_T0_SI_SN_E_clISD_PiSD_S15_EEDaS11_S12_SI_SN_EUlS11_E_NS1_11comp_targetILNS1_3genE10ELNS1_11target_archE1201ELNS1_3gpuE5ELNS1_3repE0EEENS1_47radix_sort_onesweep_sort_config_static_selectorELNS0_4arch9wavefront6targetE1EEEvSI_: ; @_ZN7rocprim17ROCPRIM_400000_NS6detail17trampoline_kernelINS0_14default_configENS1_35radix_sort_onesweep_config_selectorIiiEEZZNS1_29radix_sort_onesweep_iterationIS3_Lb1EN6thrust23THRUST_200600_302600_NS6detail15normal_iteratorINS8_10device_ptrIiEEEESD_SD_SD_jNS0_19identity_decomposerENS1_16block_id_wrapperIjLb1EEEEE10hipError_tT1_PNSt15iterator_traitsISI_E10value_typeET2_T3_PNSJ_ISO_E10value_typeET4_T5_PST_SU_PNS1_23onesweep_lookback_stateEbbT6_jjT7_P12ihipStream_tbENKUlT_T0_SI_SN_E_clISD_PiSD_S15_EEDaS11_S12_SI_SN_EUlS11_E_NS1_11comp_targetILNS1_3genE10ELNS1_11target_archE1201ELNS1_3gpuE5ELNS1_3repE0EEENS1_47radix_sort_onesweep_sort_config_static_selectorELNS0_4arch9wavefront6targetE1EEEvSI_
; %bb.0:
	.section	.rodata,"a",@progbits
	.p2align	6, 0x0
	.amdhsa_kernel _ZN7rocprim17ROCPRIM_400000_NS6detail17trampoline_kernelINS0_14default_configENS1_35radix_sort_onesweep_config_selectorIiiEEZZNS1_29radix_sort_onesweep_iterationIS3_Lb1EN6thrust23THRUST_200600_302600_NS6detail15normal_iteratorINS8_10device_ptrIiEEEESD_SD_SD_jNS0_19identity_decomposerENS1_16block_id_wrapperIjLb1EEEEE10hipError_tT1_PNSt15iterator_traitsISI_E10value_typeET2_T3_PNSJ_ISO_E10value_typeET4_T5_PST_SU_PNS1_23onesweep_lookback_stateEbbT6_jjT7_P12ihipStream_tbENKUlT_T0_SI_SN_E_clISD_PiSD_S15_EEDaS11_S12_SI_SN_EUlS11_E_NS1_11comp_targetILNS1_3genE10ELNS1_11target_archE1201ELNS1_3gpuE5ELNS1_3repE0EEENS1_47radix_sort_onesweep_sort_config_static_selectorELNS0_4arch9wavefront6targetE1EEEvSI_
		.amdhsa_group_segment_fixed_size 0
		.amdhsa_private_segment_fixed_size 0
		.amdhsa_kernarg_size 88
		.amdhsa_user_sgpr_count 2
		.amdhsa_user_sgpr_dispatch_ptr 0
		.amdhsa_user_sgpr_queue_ptr 0
		.amdhsa_user_sgpr_kernarg_segment_ptr 1
		.amdhsa_user_sgpr_dispatch_id 0
		.amdhsa_user_sgpr_kernarg_preload_length 0
		.amdhsa_user_sgpr_kernarg_preload_offset 0
		.amdhsa_user_sgpr_private_segment_size 0
		.amdhsa_uses_dynamic_stack 0
		.amdhsa_enable_private_segment 0
		.amdhsa_system_sgpr_workgroup_id_x 1
		.amdhsa_system_sgpr_workgroup_id_y 0
		.amdhsa_system_sgpr_workgroup_id_z 0
		.amdhsa_system_sgpr_workgroup_info 0
		.amdhsa_system_vgpr_workitem_id 0
		.amdhsa_next_free_vgpr 1
		.amdhsa_next_free_sgpr 0
		.amdhsa_accum_offset 4
		.amdhsa_reserve_vcc 0
		.amdhsa_float_round_mode_32 0
		.amdhsa_float_round_mode_16_64 0
		.amdhsa_float_denorm_mode_32 3
		.amdhsa_float_denorm_mode_16_64 3
		.amdhsa_dx10_clamp 1
		.amdhsa_ieee_mode 1
		.amdhsa_fp16_overflow 0
		.amdhsa_tg_split 0
		.amdhsa_exception_fp_ieee_invalid_op 0
		.amdhsa_exception_fp_denorm_src 0
		.amdhsa_exception_fp_ieee_div_zero 0
		.amdhsa_exception_fp_ieee_overflow 0
		.amdhsa_exception_fp_ieee_underflow 0
		.amdhsa_exception_fp_ieee_inexact 0
		.amdhsa_exception_int_div_zero 0
	.end_amdhsa_kernel
	.section	.text._ZN7rocprim17ROCPRIM_400000_NS6detail17trampoline_kernelINS0_14default_configENS1_35radix_sort_onesweep_config_selectorIiiEEZZNS1_29radix_sort_onesweep_iterationIS3_Lb1EN6thrust23THRUST_200600_302600_NS6detail15normal_iteratorINS8_10device_ptrIiEEEESD_SD_SD_jNS0_19identity_decomposerENS1_16block_id_wrapperIjLb1EEEEE10hipError_tT1_PNSt15iterator_traitsISI_E10value_typeET2_T3_PNSJ_ISO_E10value_typeET4_T5_PST_SU_PNS1_23onesweep_lookback_stateEbbT6_jjT7_P12ihipStream_tbENKUlT_T0_SI_SN_E_clISD_PiSD_S15_EEDaS11_S12_SI_SN_EUlS11_E_NS1_11comp_targetILNS1_3genE10ELNS1_11target_archE1201ELNS1_3gpuE5ELNS1_3repE0EEENS1_47radix_sort_onesweep_sort_config_static_selectorELNS0_4arch9wavefront6targetE1EEEvSI_,"axG",@progbits,_ZN7rocprim17ROCPRIM_400000_NS6detail17trampoline_kernelINS0_14default_configENS1_35radix_sort_onesweep_config_selectorIiiEEZZNS1_29radix_sort_onesweep_iterationIS3_Lb1EN6thrust23THRUST_200600_302600_NS6detail15normal_iteratorINS8_10device_ptrIiEEEESD_SD_SD_jNS0_19identity_decomposerENS1_16block_id_wrapperIjLb1EEEEE10hipError_tT1_PNSt15iterator_traitsISI_E10value_typeET2_T3_PNSJ_ISO_E10value_typeET4_T5_PST_SU_PNS1_23onesweep_lookback_stateEbbT6_jjT7_P12ihipStream_tbENKUlT_T0_SI_SN_E_clISD_PiSD_S15_EEDaS11_S12_SI_SN_EUlS11_E_NS1_11comp_targetILNS1_3genE10ELNS1_11target_archE1201ELNS1_3gpuE5ELNS1_3repE0EEENS1_47radix_sort_onesweep_sort_config_static_selectorELNS0_4arch9wavefront6targetE1EEEvSI_,comdat
.Lfunc_end1852:
	.size	_ZN7rocprim17ROCPRIM_400000_NS6detail17trampoline_kernelINS0_14default_configENS1_35radix_sort_onesweep_config_selectorIiiEEZZNS1_29radix_sort_onesweep_iterationIS3_Lb1EN6thrust23THRUST_200600_302600_NS6detail15normal_iteratorINS8_10device_ptrIiEEEESD_SD_SD_jNS0_19identity_decomposerENS1_16block_id_wrapperIjLb1EEEEE10hipError_tT1_PNSt15iterator_traitsISI_E10value_typeET2_T3_PNSJ_ISO_E10value_typeET4_T5_PST_SU_PNS1_23onesweep_lookback_stateEbbT6_jjT7_P12ihipStream_tbENKUlT_T0_SI_SN_E_clISD_PiSD_S15_EEDaS11_S12_SI_SN_EUlS11_E_NS1_11comp_targetILNS1_3genE10ELNS1_11target_archE1201ELNS1_3gpuE5ELNS1_3repE0EEENS1_47radix_sort_onesweep_sort_config_static_selectorELNS0_4arch9wavefront6targetE1EEEvSI_, .Lfunc_end1852-_ZN7rocprim17ROCPRIM_400000_NS6detail17trampoline_kernelINS0_14default_configENS1_35radix_sort_onesweep_config_selectorIiiEEZZNS1_29radix_sort_onesweep_iterationIS3_Lb1EN6thrust23THRUST_200600_302600_NS6detail15normal_iteratorINS8_10device_ptrIiEEEESD_SD_SD_jNS0_19identity_decomposerENS1_16block_id_wrapperIjLb1EEEEE10hipError_tT1_PNSt15iterator_traitsISI_E10value_typeET2_T3_PNSJ_ISO_E10value_typeET4_T5_PST_SU_PNS1_23onesweep_lookback_stateEbbT6_jjT7_P12ihipStream_tbENKUlT_T0_SI_SN_E_clISD_PiSD_S15_EEDaS11_S12_SI_SN_EUlS11_E_NS1_11comp_targetILNS1_3genE10ELNS1_11target_archE1201ELNS1_3gpuE5ELNS1_3repE0EEENS1_47radix_sort_onesweep_sort_config_static_selectorELNS0_4arch9wavefront6targetE1EEEvSI_
                                        ; -- End function
	.set _ZN7rocprim17ROCPRIM_400000_NS6detail17trampoline_kernelINS0_14default_configENS1_35radix_sort_onesweep_config_selectorIiiEEZZNS1_29radix_sort_onesweep_iterationIS3_Lb1EN6thrust23THRUST_200600_302600_NS6detail15normal_iteratorINS8_10device_ptrIiEEEESD_SD_SD_jNS0_19identity_decomposerENS1_16block_id_wrapperIjLb1EEEEE10hipError_tT1_PNSt15iterator_traitsISI_E10value_typeET2_T3_PNSJ_ISO_E10value_typeET4_T5_PST_SU_PNS1_23onesweep_lookback_stateEbbT6_jjT7_P12ihipStream_tbENKUlT_T0_SI_SN_E_clISD_PiSD_S15_EEDaS11_S12_SI_SN_EUlS11_E_NS1_11comp_targetILNS1_3genE10ELNS1_11target_archE1201ELNS1_3gpuE5ELNS1_3repE0EEENS1_47radix_sort_onesweep_sort_config_static_selectorELNS0_4arch9wavefront6targetE1EEEvSI_.num_vgpr, 0
	.set _ZN7rocprim17ROCPRIM_400000_NS6detail17trampoline_kernelINS0_14default_configENS1_35radix_sort_onesweep_config_selectorIiiEEZZNS1_29radix_sort_onesweep_iterationIS3_Lb1EN6thrust23THRUST_200600_302600_NS6detail15normal_iteratorINS8_10device_ptrIiEEEESD_SD_SD_jNS0_19identity_decomposerENS1_16block_id_wrapperIjLb1EEEEE10hipError_tT1_PNSt15iterator_traitsISI_E10value_typeET2_T3_PNSJ_ISO_E10value_typeET4_T5_PST_SU_PNS1_23onesweep_lookback_stateEbbT6_jjT7_P12ihipStream_tbENKUlT_T0_SI_SN_E_clISD_PiSD_S15_EEDaS11_S12_SI_SN_EUlS11_E_NS1_11comp_targetILNS1_3genE10ELNS1_11target_archE1201ELNS1_3gpuE5ELNS1_3repE0EEENS1_47radix_sort_onesweep_sort_config_static_selectorELNS0_4arch9wavefront6targetE1EEEvSI_.num_agpr, 0
	.set _ZN7rocprim17ROCPRIM_400000_NS6detail17trampoline_kernelINS0_14default_configENS1_35radix_sort_onesweep_config_selectorIiiEEZZNS1_29radix_sort_onesweep_iterationIS3_Lb1EN6thrust23THRUST_200600_302600_NS6detail15normal_iteratorINS8_10device_ptrIiEEEESD_SD_SD_jNS0_19identity_decomposerENS1_16block_id_wrapperIjLb1EEEEE10hipError_tT1_PNSt15iterator_traitsISI_E10value_typeET2_T3_PNSJ_ISO_E10value_typeET4_T5_PST_SU_PNS1_23onesweep_lookback_stateEbbT6_jjT7_P12ihipStream_tbENKUlT_T0_SI_SN_E_clISD_PiSD_S15_EEDaS11_S12_SI_SN_EUlS11_E_NS1_11comp_targetILNS1_3genE10ELNS1_11target_archE1201ELNS1_3gpuE5ELNS1_3repE0EEENS1_47radix_sort_onesweep_sort_config_static_selectorELNS0_4arch9wavefront6targetE1EEEvSI_.numbered_sgpr, 0
	.set _ZN7rocprim17ROCPRIM_400000_NS6detail17trampoline_kernelINS0_14default_configENS1_35radix_sort_onesweep_config_selectorIiiEEZZNS1_29radix_sort_onesweep_iterationIS3_Lb1EN6thrust23THRUST_200600_302600_NS6detail15normal_iteratorINS8_10device_ptrIiEEEESD_SD_SD_jNS0_19identity_decomposerENS1_16block_id_wrapperIjLb1EEEEE10hipError_tT1_PNSt15iterator_traitsISI_E10value_typeET2_T3_PNSJ_ISO_E10value_typeET4_T5_PST_SU_PNS1_23onesweep_lookback_stateEbbT6_jjT7_P12ihipStream_tbENKUlT_T0_SI_SN_E_clISD_PiSD_S15_EEDaS11_S12_SI_SN_EUlS11_E_NS1_11comp_targetILNS1_3genE10ELNS1_11target_archE1201ELNS1_3gpuE5ELNS1_3repE0EEENS1_47radix_sort_onesweep_sort_config_static_selectorELNS0_4arch9wavefront6targetE1EEEvSI_.num_named_barrier, 0
	.set _ZN7rocprim17ROCPRIM_400000_NS6detail17trampoline_kernelINS0_14default_configENS1_35radix_sort_onesweep_config_selectorIiiEEZZNS1_29radix_sort_onesweep_iterationIS3_Lb1EN6thrust23THRUST_200600_302600_NS6detail15normal_iteratorINS8_10device_ptrIiEEEESD_SD_SD_jNS0_19identity_decomposerENS1_16block_id_wrapperIjLb1EEEEE10hipError_tT1_PNSt15iterator_traitsISI_E10value_typeET2_T3_PNSJ_ISO_E10value_typeET4_T5_PST_SU_PNS1_23onesweep_lookback_stateEbbT6_jjT7_P12ihipStream_tbENKUlT_T0_SI_SN_E_clISD_PiSD_S15_EEDaS11_S12_SI_SN_EUlS11_E_NS1_11comp_targetILNS1_3genE10ELNS1_11target_archE1201ELNS1_3gpuE5ELNS1_3repE0EEENS1_47radix_sort_onesweep_sort_config_static_selectorELNS0_4arch9wavefront6targetE1EEEvSI_.private_seg_size, 0
	.set _ZN7rocprim17ROCPRIM_400000_NS6detail17trampoline_kernelINS0_14default_configENS1_35radix_sort_onesweep_config_selectorIiiEEZZNS1_29radix_sort_onesweep_iterationIS3_Lb1EN6thrust23THRUST_200600_302600_NS6detail15normal_iteratorINS8_10device_ptrIiEEEESD_SD_SD_jNS0_19identity_decomposerENS1_16block_id_wrapperIjLb1EEEEE10hipError_tT1_PNSt15iterator_traitsISI_E10value_typeET2_T3_PNSJ_ISO_E10value_typeET4_T5_PST_SU_PNS1_23onesweep_lookback_stateEbbT6_jjT7_P12ihipStream_tbENKUlT_T0_SI_SN_E_clISD_PiSD_S15_EEDaS11_S12_SI_SN_EUlS11_E_NS1_11comp_targetILNS1_3genE10ELNS1_11target_archE1201ELNS1_3gpuE5ELNS1_3repE0EEENS1_47radix_sort_onesweep_sort_config_static_selectorELNS0_4arch9wavefront6targetE1EEEvSI_.uses_vcc, 0
	.set _ZN7rocprim17ROCPRIM_400000_NS6detail17trampoline_kernelINS0_14default_configENS1_35radix_sort_onesweep_config_selectorIiiEEZZNS1_29radix_sort_onesweep_iterationIS3_Lb1EN6thrust23THRUST_200600_302600_NS6detail15normal_iteratorINS8_10device_ptrIiEEEESD_SD_SD_jNS0_19identity_decomposerENS1_16block_id_wrapperIjLb1EEEEE10hipError_tT1_PNSt15iterator_traitsISI_E10value_typeET2_T3_PNSJ_ISO_E10value_typeET4_T5_PST_SU_PNS1_23onesweep_lookback_stateEbbT6_jjT7_P12ihipStream_tbENKUlT_T0_SI_SN_E_clISD_PiSD_S15_EEDaS11_S12_SI_SN_EUlS11_E_NS1_11comp_targetILNS1_3genE10ELNS1_11target_archE1201ELNS1_3gpuE5ELNS1_3repE0EEENS1_47radix_sort_onesweep_sort_config_static_selectorELNS0_4arch9wavefront6targetE1EEEvSI_.uses_flat_scratch, 0
	.set _ZN7rocprim17ROCPRIM_400000_NS6detail17trampoline_kernelINS0_14default_configENS1_35radix_sort_onesweep_config_selectorIiiEEZZNS1_29radix_sort_onesweep_iterationIS3_Lb1EN6thrust23THRUST_200600_302600_NS6detail15normal_iteratorINS8_10device_ptrIiEEEESD_SD_SD_jNS0_19identity_decomposerENS1_16block_id_wrapperIjLb1EEEEE10hipError_tT1_PNSt15iterator_traitsISI_E10value_typeET2_T3_PNSJ_ISO_E10value_typeET4_T5_PST_SU_PNS1_23onesweep_lookback_stateEbbT6_jjT7_P12ihipStream_tbENKUlT_T0_SI_SN_E_clISD_PiSD_S15_EEDaS11_S12_SI_SN_EUlS11_E_NS1_11comp_targetILNS1_3genE10ELNS1_11target_archE1201ELNS1_3gpuE5ELNS1_3repE0EEENS1_47radix_sort_onesweep_sort_config_static_selectorELNS0_4arch9wavefront6targetE1EEEvSI_.has_dyn_sized_stack, 0
	.set _ZN7rocprim17ROCPRIM_400000_NS6detail17trampoline_kernelINS0_14default_configENS1_35radix_sort_onesweep_config_selectorIiiEEZZNS1_29radix_sort_onesweep_iterationIS3_Lb1EN6thrust23THRUST_200600_302600_NS6detail15normal_iteratorINS8_10device_ptrIiEEEESD_SD_SD_jNS0_19identity_decomposerENS1_16block_id_wrapperIjLb1EEEEE10hipError_tT1_PNSt15iterator_traitsISI_E10value_typeET2_T3_PNSJ_ISO_E10value_typeET4_T5_PST_SU_PNS1_23onesweep_lookback_stateEbbT6_jjT7_P12ihipStream_tbENKUlT_T0_SI_SN_E_clISD_PiSD_S15_EEDaS11_S12_SI_SN_EUlS11_E_NS1_11comp_targetILNS1_3genE10ELNS1_11target_archE1201ELNS1_3gpuE5ELNS1_3repE0EEENS1_47radix_sort_onesweep_sort_config_static_selectorELNS0_4arch9wavefront6targetE1EEEvSI_.has_recursion, 0
	.set _ZN7rocprim17ROCPRIM_400000_NS6detail17trampoline_kernelINS0_14default_configENS1_35radix_sort_onesweep_config_selectorIiiEEZZNS1_29radix_sort_onesweep_iterationIS3_Lb1EN6thrust23THRUST_200600_302600_NS6detail15normal_iteratorINS8_10device_ptrIiEEEESD_SD_SD_jNS0_19identity_decomposerENS1_16block_id_wrapperIjLb1EEEEE10hipError_tT1_PNSt15iterator_traitsISI_E10value_typeET2_T3_PNSJ_ISO_E10value_typeET4_T5_PST_SU_PNS1_23onesweep_lookback_stateEbbT6_jjT7_P12ihipStream_tbENKUlT_T0_SI_SN_E_clISD_PiSD_S15_EEDaS11_S12_SI_SN_EUlS11_E_NS1_11comp_targetILNS1_3genE10ELNS1_11target_archE1201ELNS1_3gpuE5ELNS1_3repE0EEENS1_47radix_sort_onesweep_sort_config_static_selectorELNS0_4arch9wavefront6targetE1EEEvSI_.has_indirect_call, 0
	.section	.AMDGPU.csdata,"",@progbits
; Kernel info:
; codeLenInByte = 0
; TotalNumSgprs: 6
; NumVgprs: 0
; NumAgprs: 0
; TotalNumVgprs: 0
; ScratchSize: 0
; MemoryBound: 0
; FloatMode: 240
; IeeeMode: 1
; LDSByteSize: 0 bytes/workgroup (compile time only)
; SGPRBlocks: 0
; VGPRBlocks: 0
; NumSGPRsForWavesPerEU: 6
; NumVGPRsForWavesPerEU: 1
; AccumOffset: 4
; Occupancy: 8
; WaveLimiterHint : 0
; COMPUTE_PGM_RSRC2:SCRATCH_EN: 0
; COMPUTE_PGM_RSRC2:USER_SGPR: 2
; COMPUTE_PGM_RSRC2:TRAP_HANDLER: 0
; COMPUTE_PGM_RSRC2:TGID_X_EN: 1
; COMPUTE_PGM_RSRC2:TGID_Y_EN: 0
; COMPUTE_PGM_RSRC2:TGID_Z_EN: 0
; COMPUTE_PGM_RSRC2:TIDIG_COMP_CNT: 0
; COMPUTE_PGM_RSRC3_GFX90A:ACCUM_OFFSET: 0
; COMPUTE_PGM_RSRC3_GFX90A:TG_SPLIT: 0
	.section	.text._ZN7rocprim17ROCPRIM_400000_NS6detail17trampoline_kernelINS0_14default_configENS1_35radix_sort_onesweep_config_selectorIiiEEZZNS1_29radix_sort_onesweep_iterationIS3_Lb1EN6thrust23THRUST_200600_302600_NS6detail15normal_iteratorINS8_10device_ptrIiEEEESD_SD_SD_jNS0_19identity_decomposerENS1_16block_id_wrapperIjLb1EEEEE10hipError_tT1_PNSt15iterator_traitsISI_E10value_typeET2_T3_PNSJ_ISO_E10value_typeET4_T5_PST_SU_PNS1_23onesweep_lookback_stateEbbT6_jjT7_P12ihipStream_tbENKUlT_T0_SI_SN_E_clISD_PiSD_S15_EEDaS11_S12_SI_SN_EUlS11_E_NS1_11comp_targetILNS1_3genE9ELNS1_11target_archE1100ELNS1_3gpuE3ELNS1_3repE0EEENS1_47radix_sort_onesweep_sort_config_static_selectorELNS0_4arch9wavefront6targetE1EEEvSI_,"axG",@progbits,_ZN7rocprim17ROCPRIM_400000_NS6detail17trampoline_kernelINS0_14default_configENS1_35radix_sort_onesweep_config_selectorIiiEEZZNS1_29radix_sort_onesweep_iterationIS3_Lb1EN6thrust23THRUST_200600_302600_NS6detail15normal_iteratorINS8_10device_ptrIiEEEESD_SD_SD_jNS0_19identity_decomposerENS1_16block_id_wrapperIjLb1EEEEE10hipError_tT1_PNSt15iterator_traitsISI_E10value_typeET2_T3_PNSJ_ISO_E10value_typeET4_T5_PST_SU_PNS1_23onesweep_lookback_stateEbbT6_jjT7_P12ihipStream_tbENKUlT_T0_SI_SN_E_clISD_PiSD_S15_EEDaS11_S12_SI_SN_EUlS11_E_NS1_11comp_targetILNS1_3genE9ELNS1_11target_archE1100ELNS1_3gpuE3ELNS1_3repE0EEENS1_47radix_sort_onesweep_sort_config_static_selectorELNS0_4arch9wavefront6targetE1EEEvSI_,comdat
	.protected	_ZN7rocprim17ROCPRIM_400000_NS6detail17trampoline_kernelINS0_14default_configENS1_35radix_sort_onesweep_config_selectorIiiEEZZNS1_29radix_sort_onesweep_iterationIS3_Lb1EN6thrust23THRUST_200600_302600_NS6detail15normal_iteratorINS8_10device_ptrIiEEEESD_SD_SD_jNS0_19identity_decomposerENS1_16block_id_wrapperIjLb1EEEEE10hipError_tT1_PNSt15iterator_traitsISI_E10value_typeET2_T3_PNSJ_ISO_E10value_typeET4_T5_PST_SU_PNS1_23onesweep_lookback_stateEbbT6_jjT7_P12ihipStream_tbENKUlT_T0_SI_SN_E_clISD_PiSD_S15_EEDaS11_S12_SI_SN_EUlS11_E_NS1_11comp_targetILNS1_3genE9ELNS1_11target_archE1100ELNS1_3gpuE3ELNS1_3repE0EEENS1_47radix_sort_onesweep_sort_config_static_selectorELNS0_4arch9wavefront6targetE1EEEvSI_ ; -- Begin function _ZN7rocprim17ROCPRIM_400000_NS6detail17trampoline_kernelINS0_14default_configENS1_35radix_sort_onesweep_config_selectorIiiEEZZNS1_29radix_sort_onesweep_iterationIS3_Lb1EN6thrust23THRUST_200600_302600_NS6detail15normal_iteratorINS8_10device_ptrIiEEEESD_SD_SD_jNS0_19identity_decomposerENS1_16block_id_wrapperIjLb1EEEEE10hipError_tT1_PNSt15iterator_traitsISI_E10value_typeET2_T3_PNSJ_ISO_E10value_typeET4_T5_PST_SU_PNS1_23onesweep_lookback_stateEbbT6_jjT7_P12ihipStream_tbENKUlT_T0_SI_SN_E_clISD_PiSD_S15_EEDaS11_S12_SI_SN_EUlS11_E_NS1_11comp_targetILNS1_3genE9ELNS1_11target_archE1100ELNS1_3gpuE3ELNS1_3repE0EEENS1_47radix_sort_onesweep_sort_config_static_selectorELNS0_4arch9wavefront6targetE1EEEvSI_
	.globl	_ZN7rocprim17ROCPRIM_400000_NS6detail17trampoline_kernelINS0_14default_configENS1_35radix_sort_onesweep_config_selectorIiiEEZZNS1_29radix_sort_onesweep_iterationIS3_Lb1EN6thrust23THRUST_200600_302600_NS6detail15normal_iteratorINS8_10device_ptrIiEEEESD_SD_SD_jNS0_19identity_decomposerENS1_16block_id_wrapperIjLb1EEEEE10hipError_tT1_PNSt15iterator_traitsISI_E10value_typeET2_T3_PNSJ_ISO_E10value_typeET4_T5_PST_SU_PNS1_23onesweep_lookback_stateEbbT6_jjT7_P12ihipStream_tbENKUlT_T0_SI_SN_E_clISD_PiSD_S15_EEDaS11_S12_SI_SN_EUlS11_E_NS1_11comp_targetILNS1_3genE9ELNS1_11target_archE1100ELNS1_3gpuE3ELNS1_3repE0EEENS1_47radix_sort_onesweep_sort_config_static_selectorELNS0_4arch9wavefront6targetE1EEEvSI_
	.p2align	8
	.type	_ZN7rocprim17ROCPRIM_400000_NS6detail17trampoline_kernelINS0_14default_configENS1_35radix_sort_onesweep_config_selectorIiiEEZZNS1_29radix_sort_onesweep_iterationIS3_Lb1EN6thrust23THRUST_200600_302600_NS6detail15normal_iteratorINS8_10device_ptrIiEEEESD_SD_SD_jNS0_19identity_decomposerENS1_16block_id_wrapperIjLb1EEEEE10hipError_tT1_PNSt15iterator_traitsISI_E10value_typeET2_T3_PNSJ_ISO_E10value_typeET4_T5_PST_SU_PNS1_23onesweep_lookback_stateEbbT6_jjT7_P12ihipStream_tbENKUlT_T0_SI_SN_E_clISD_PiSD_S15_EEDaS11_S12_SI_SN_EUlS11_E_NS1_11comp_targetILNS1_3genE9ELNS1_11target_archE1100ELNS1_3gpuE3ELNS1_3repE0EEENS1_47radix_sort_onesweep_sort_config_static_selectorELNS0_4arch9wavefront6targetE1EEEvSI_,@function
_ZN7rocprim17ROCPRIM_400000_NS6detail17trampoline_kernelINS0_14default_configENS1_35radix_sort_onesweep_config_selectorIiiEEZZNS1_29radix_sort_onesweep_iterationIS3_Lb1EN6thrust23THRUST_200600_302600_NS6detail15normal_iteratorINS8_10device_ptrIiEEEESD_SD_SD_jNS0_19identity_decomposerENS1_16block_id_wrapperIjLb1EEEEE10hipError_tT1_PNSt15iterator_traitsISI_E10value_typeET2_T3_PNSJ_ISO_E10value_typeET4_T5_PST_SU_PNS1_23onesweep_lookback_stateEbbT6_jjT7_P12ihipStream_tbENKUlT_T0_SI_SN_E_clISD_PiSD_S15_EEDaS11_S12_SI_SN_EUlS11_E_NS1_11comp_targetILNS1_3genE9ELNS1_11target_archE1100ELNS1_3gpuE3ELNS1_3repE0EEENS1_47radix_sort_onesweep_sort_config_static_selectorELNS0_4arch9wavefront6targetE1EEEvSI_: ; @_ZN7rocprim17ROCPRIM_400000_NS6detail17trampoline_kernelINS0_14default_configENS1_35radix_sort_onesweep_config_selectorIiiEEZZNS1_29radix_sort_onesweep_iterationIS3_Lb1EN6thrust23THRUST_200600_302600_NS6detail15normal_iteratorINS8_10device_ptrIiEEEESD_SD_SD_jNS0_19identity_decomposerENS1_16block_id_wrapperIjLb1EEEEE10hipError_tT1_PNSt15iterator_traitsISI_E10value_typeET2_T3_PNSJ_ISO_E10value_typeET4_T5_PST_SU_PNS1_23onesweep_lookback_stateEbbT6_jjT7_P12ihipStream_tbENKUlT_T0_SI_SN_E_clISD_PiSD_S15_EEDaS11_S12_SI_SN_EUlS11_E_NS1_11comp_targetILNS1_3genE9ELNS1_11target_archE1100ELNS1_3gpuE3ELNS1_3repE0EEENS1_47radix_sort_onesweep_sort_config_static_selectorELNS0_4arch9wavefront6targetE1EEEvSI_
; %bb.0:
	.section	.rodata,"a",@progbits
	.p2align	6, 0x0
	.amdhsa_kernel _ZN7rocprim17ROCPRIM_400000_NS6detail17trampoline_kernelINS0_14default_configENS1_35radix_sort_onesweep_config_selectorIiiEEZZNS1_29radix_sort_onesweep_iterationIS3_Lb1EN6thrust23THRUST_200600_302600_NS6detail15normal_iteratorINS8_10device_ptrIiEEEESD_SD_SD_jNS0_19identity_decomposerENS1_16block_id_wrapperIjLb1EEEEE10hipError_tT1_PNSt15iterator_traitsISI_E10value_typeET2_T3_PNSJ_ISO_E10value_typeET4_T5_PST_SU_PNS1_23onesweep_lookback_stateEbbT6_jjT7_P12ihipStream_tbENKUlT_T0_SI_SN_E_clISD_PiSD_S15_EEDaS11_S12_SI_SN_EUlS11_E_NS1_11comp_targetILNS1_3genE9ELNS1_11target_archE1100ELNS1_3gpuE3ELNS1_3repE0EEENS1_47radix_sort_onesweep_sort_config_static_selectorELNS0_4arch9wavefront6targetE1EEEvSI_
		.amdhsa_group_segment_fixed_size 0
		.amdhsa_private_segment_fixed_size 0
		.amdhsa_kernarg_size 88
		.amdhsa_user_sgpr_count 2
		.amdhsa_user_sgpr_dispatch_ptr 0
		.amdhsa_user_sgpr_queue_ptr 0
		.amdhsa_user_sgpr_kernarg_segment_ptr 1
		.amdhsa_user_sgpr_dispatch_id 0
		.amdhsa_user_sgpr_kernarg_preload_length 0
		.amdhsa_user_sgpr_kernarg_preload_offset 0
		.amdhsa_user_sgpr_private_segment_size 0
		.amdhsa_uses_dynamic_stack 0
		.amdhsa_enable_private_segment 0
		.amdhsa_system_sgpr_workgroup_id_x 1
		.amdhsa_system_sgpr_workgroup_id_y 0
		.amdhsa_system_sgpr_workgroup_id_z 0
		.amdhsa_system_sgpr_workgroup_info 0
		.amdhsa_system_vgpr_workitem_id 0
		.amdhsa_next_free_vgpr 1
		.amdhsa_next_free_sgpr 0
		.amdhsa_accum_offset 4
		.amdhsa_reserve_vcc 0
		.amdhsa_float_round_mode_32 0
		.amdhsa_float_round_mode_16_64 0
		.amdhsa_float_denorm_mode_32 3
		.amdhsa_float_denorm_mode_16_64 3
		.amdhsa_dx10_clamp 1
		.amdhsa_ieee_mode 1
		.amdhsa_fp16_overflow 0
		.amdhsa_tg_split 0
		.amdhsa_exception_fp_ieee_invalid_op 0
		.amdhsa_exception_fp_denorm_src 0
		.amdhsa_exception_fp_ieee_div_zero 0
		.amdhsa_exception_fp_ieee_overflow 0
		.amdhsa_exception_fp_ieee_underflow 0
		.amdhsa_exception_fp_ieee_inexact 0
		.amdhsa_exception_int_div_zero 0
	.end_amdhsa_kernel
	.section	.text._ZN7rocprim17ROCPRIM_400000_NS6detail17trampoline_kernelINS0_14default_configENS1_35radix_sort_onesweep_config_selectorIiiEEZZNS1_29radix_sort_onesweep_iterationIS3_Lb1EN6thrust23THRUST_200600_302600_NS6detail15normal_iteratorINS8_10device_ptrIiEEEESD_SD_SD_jNS0_19identity_decomposerENS1_16block_id_wrapperIjLb1EEEEE10hipError_tT1_PNSt15iterator_traitsISI_E10value_typeET2_T3_PNSJ_ISO_E10value_typeET4_T5_PST_SU_PNS1_23onesweep_lookback_stateEbbT6_jjT7_P12ihipStream_tbENKUlT_T0_SI_SN_E_clISD_PiSD_S15_EEDaS11_S12_SI_SN_EUlS11_E_NS1_11comp_targetILNS1_3genE9ELNS1_11target_archE1100ELNS1_3gpuE3ELNS1_3repE0EEENS1_47radix_sort_onesweep_sort_config_static_selectorELNS0_4arch9wavefront6targetE1EEEvSI_,"axG",@progbits,_ZN7rocprim17ROCPRIM_400000_NS6detail17trampoline_kernelINS0_14default_configENS1_35radix_sort_onesweep_config_selectorIiiEEZZNS1_29radix_sort_onesweep_iterationIS3_Lb1EN6thrust23THRUST_200600_302600_NS6detail15normal_iteratorINS8_10device_ptrIiEEEESD_SD_SD_jNS0_19identity_decomposerENS1_16block_id_wrapperIjLb1EEEEE10hipError_tT1_PNSt15iterator_traitsISI_E10value_typeET2_T3_PNSJ_ISO_E10value_typeET4_T5_PST_SU_PNS1_23onesweep_lookback_stateEbbT6_jjT7_P12ihipStream_tbENKUlT_T0_SI_SN_E_clISD_PiSD_S15_EEDaS11_S12_SI_SN_EUlS11_E_NS1_11comp_targetILNS1_3genE9ELNS1_11target_archE1100ELNS1_3gpuE3ELNS1_3repE0EEENS1_47radix_sort_onesweep_sort_config_static_selectorELNS0_4arch9wavefront6targetE1EEEvSI_,comdat
.Lfunc_end1853:
	.size	_ZN7rocprim17ROCPRIM_400000_NS6detail17trampoline_kernelINS0_14default_configENS1_35radix_sort_onesweep_config_selectorIiiEEZZNS1_29radix_sort_onesweep_iterationIS3_Lb1EN6thrust23THRUST_200600_302600_NS6detail15normal_iteratorINS8_10device_ptrIiEEEESD_SD_SD_jNS0_19identity_decomposerENS1_16block_id_wrapperIjLb1EEEEE10hipError_tT1_PNSt15iterator_traitsISI_E10value_typeET2_T3_PNSJ_ISO_E10value_typeET4_T5_PST_SU_PNS1_23onesweep_lookback_stateEbbT6_jjT7_P12ihipStream_tbENKUlT_T0_SI_SN_E_clISD_PiSD_S15_EEDaS11_S12_SI_SN_EUlS11_E_NS1_11comp_targetILNS1_3genE9ELNS1_11target_archE1100ELNS1_3gpuE3ELNS1_3repE0EEENS1_47radix_sort_onesweep_sort_config_static_selectorELNS0_4arch9wavefront6targetE1EEEvSI_, .Lfunc_end1853-_ZN7rocprim17ROCPRIM_400000_NS6detail17trampoline_kernelINS0_14default_configENS1_35radix_sort_onesweep_config_selectorIiiEEZZNS1_29radix_sort_onesweep_iterationIS3_Lb1EN6thrust23THRUST_200600_302600_NS6detail15normal_iteratorINS8_10device_ptrIiEEEESD_SD_SD_jNS0_19identity_decomposerENS1_16block_id_wrapperIjLb1EEEEE10hipError_tT1_PNSt15iterator_traitsISI_E10value_typeET2_T3_PNSJ_ISO_E10value_typeET4_T5_PST_SU_PNS1_23onesweep_lookback_stateEbbT6_jjT7_P12ihipStream_tbENKUlT_T0_SI_SN_E_clISD_PiSD_S15_EEDaS11_S12_SI_SN_EUlS11_E_NS1_11comp_targetILNS1_3genE9ELNS1_11target_archE1100ELNS1_3gpuE3ELNS1_3repE0EEENS1_47radix_sort_onesweep_sort_config_static_selectorELNS0_4arch9wavefront6targetE1EEEvSI_
                                        ; -- End function
	.set _ZN7rocprim17ROCPRIM_400000_NS6detail17trampoline_kernelINS0_14default_configENS1_35radix_sort_onesweep_config_selectorIiiEEZZNS1_29radix_sort_onesweep_iterationIS3_Lb1EN6thrust23THRUST_200600_302600_NS6detail15normal_iteratorINS8_10device_ptrIiEEEESD_SD_SD_jNS0_19identity_decomposerENS1_16block_id_wrapperIjLb1EEEEE10hipError_tT1_PNSt15iterator_traitsISI_E10value_typeET2_T3_PNSJ_ISO_E10value_typeET4_T5_PST_SU_PNS1_23onesweep_lookback_stateEbbT6_jjT7_P12ihipStream_tbENKUlT_T0_SI_SN_E_clISD_PiSD_S15_EEDaS11_S12_SI_SN_EUlS11_E_NS1_11comp_targetILNS1_3genE9ELNS1_11target_archE1100ELNS1_3gpuE3ELNS1_3repE0EEENS1_47radix_sort_onesweep_sort_config_static_selectorELNS0_4arch9wavefront6targetE1EEEvSI_.num_vgpr, 0
	.set _ZN7rocprim17ROCPRIM_400000_NS6detail17trampoline_kernelINS0_14default_configENS1_35radix_sort_onesweep_config_selectorIiiEEZZNS1_29radix_sort_onesweep_iterationIS3_Lb1EN6thrust23THRUST_200600_302600_NS6detail15normal_iteratorINS8_10device_ptrIiEEEESD_SD_SD_jNS0_19identity_decomposerENS1_16block_id_wrapperIjLb1EEEEE10hipError_tT1_PNSt15iterator_traitsISI_E10value_typeET2_T3_PNSJ_ISO_E10value_typeET4_T5_PST_SU_PNS1_23onesweep_lookback_stateEbbT6_jjT7_P12ihipStream_tbENKUlT_T0_SI_SN_E_clISD_PiSD_S15_EEDaS11_S12_SI_SN_EUlS11_E_NS1_11comp_targetILNS1_3genE9ELNS1_11target_archE1100ELNS1_3gpuE3ELNS1_3repE0EEENS1_47radix_sort_onesweep_sort_config_static_selectorELNS0_4arch9wavefront6targetE1EEEvSI_.num_agpr, 0
	.set _ZN7rocprim17ROCPRIM_400000_NS6detail17trampoline_kernelINS0_14default_configENS1_35radix_sort_onesweep_config_selectorIiiEEZZNS1_29radix_sort_onesweep_iterationIS3_Lb1EN6thrust23THRUST_200600_302600_NS6detail15normal_iteratorINS8_10device_ptrIiEEEESD_SD_SD_jNS0_19identity_decomposerENS1_16block_id_wrapperIjLb1EEEEE10hipError_tT1_PNSt15iterator_traitsISI_E10value_typeET2_T3_PNSJ_ISO_E10value_typeET4_T5_PST_SU_PNS1_23onesweep_lookback_stateEbbT6_jjT7_P12ihipStream_tbENKUlT_T0_SI_SN_E_clISD_PiSD_S15_EEDaS11_S12_SI_SN_EUlS11_E_NS1_11comp_targetILNS1_3genE9ELNS1_11target_archE1100ELNS1_3gpuE3ELNS1_3repE0EEENS1_47radix_sort_onesweep_sort_config_static_selectorELNS0_4arch9wavefront6targetE1EEEvSI_.numbered_sgpr, 0
	.set _ZN7rocprim17ROCPRIM_400000_NS6detail17trampoline_kernelINS0_14default_configENS1_35radix_sort_onesweep_config_selectorIiiEEZZNS1_29radix_sort_onesweep_iterationIS3_Lb1EN6thrust23THRUST_200600_302600_NS6detail15normal_iteratorINS8_10device_ptrIiEEEESD_SD_SD_jNS0_19identity_decomposerENS1_16block_id_wrapperIjLb1EEEEE10hipError_tT1_PNSt15iterator_traitsISI_E10value_typeET2_T3_PNSJ_ISO_E10value_typeET4_T5_PST_SU_PNS1_23onesweep_lookback_stateEbbT6_jjT7_P12ihipStream_tbENKUlT_T0_SI_SN_E_clISD_PiSD_S15_EEDaS11_S12_SI_SN_EUlS11_E_NS1_11comp_targetILNS1_3genE9ELNS1_11target_archE1100ELNS1_3gpuE3ELNS1_3repE0EEENS1_47radix_sort_onesweep_sort_config_static_selectorELNS0_4arch9wavefront6targetE1EEEvSI_.num_named_barrier, 0
	.set _ZN7rocprim17ROCPRIM_400000_NS6detail17trampoline_kernelINS0_14default_configENS1_35radix_sort_onesweep_config_selectorIiiEEZZNS1_29radix_sort_onesweep_iterationIS3_Lb1EN6thrust23THRUST_200600_302600_NS6detail15normal_iteratorINS8_10device_ptrIiEEEESD_SD_SD_jNS0_19identity_decomposerENS1_16block_id_wrapperIjLb1EEEEE10hipError_tT1_PNSt15iterator_traitsISI_E10value_typeET2_T3_PNSJ_ISO_E10value_typeET4_T5_PST_SU_PNS1_23onesweep_lookback_stateEbbT6_jjT7_P12ihipStream_tbENKUlT_T0_SI_SN_E_clISD_PiSD_S15_EEDaS11_S12_SI_SN_EUlS11_E_NS1_11comp_targetILNS1_3genE9ELNS1_11target_archE1100ELNS1_3gpuE3ELNS1_3repE0EEENS1_47radix_sort_onesweep_sort_config_static_selectorELNS0_4arch9wavefront6targetE1EEEvSI_.private_seg_size, 0
	.set _ZN7rocprim17ROCPRIM_400000_NS6detail17trampoline_kernelINS0_14default_configENS1_35radix_sort_onesweep_config_selectorIiiEEZZNS1_29radix_sort_onesweep_iterationIS3_Lb1EN6thrust23THRUST_200600_302600_NS6detail15normal_iteratorINS8_10device_ptrIiEEEESD_SD_SD_jNS0_19identity_decomposerENS1_16block_id_wrapperIjLb1EEEEE10hipError_tT1_PNSt15iterator_traitsISI_E10value_typeET2_T3_PNSJ_ISO_E10value_typeET4_T5_PST_SU_PNS1_23onesweep_lookback_stateEbbT6_jjT7_P12ihipStream_tbENKUlT_T0_SI_SN_E_clISD_PiSD_S15_EEDaS11_S12_SI_SN_EUlS11_E_NS1_11comp_targetILNS1_3genE9ELNS1_11target_archE1100ELNS1_3gpuE3ELNS1_3repE0EEENS1_47radix_sort_onesweep_sort_config_static_selectorELNS0_4arch9wavefront6targetE1EEEvSI_.uses_vcc, 0
	.set _ZN7rocprim17ROCPRIM_400000_NS6detail17trampoline_kernelINS0_14default_configENS1_35radix_sort_onesweep_config_selectorIiiEEZZNS1_29radix_sort_onesweep_iterationIS3_Lb1EN6thrust23THRUST_200600_302600_NS6detail15normal_iteratorINS8_10device_ptrIiEEEESD_SD_SD_jNS0_19identity_decomposerENS1_16block_id_wrapperIjLb1EEEEE10hipError_tT1_PNSt15iterator_traitsISI_E10value_typeET2_T3_PNSJ_ISO_E10value_typeET4_T5_PST_SU_PNS1_23onesweep_lookback_stateEbbT6_jjT7_P12ihipStream_tbENKUlT_T0_SI_SN_E_clISD_PiSD_S15_EEDaS11_S12_SI_SN_EUlS11_E_NS1_11comp_targetILNS1_3genE9ELNS1_11target_archE1100ELNS1_3gpuE3ELNS1_3repE0EEENS1_47radix_sort_onesweep_sort_config_static_selectorELNS0_4arch9wavefront6targetE1EEEvSI_.uses_flat_scratch, 0
	.set _ZN7rocprim17ROCPRIM_400000_NS6detail17trampoline_kernelINS0_14default_configENS1_35radix_sort_onesweep_config_selectorIiiEEZZNS1_29radix_sort_onesweep_iterationIS3_Lb1EN6thrust23THRUST_200600_302600_NS6detail15normal_iteratorINS8_10device_ptrIiEEEESD_SD_SD_jNS0_19identity_decomposerENS1_16block_id_wrapperIjLb1EEEEE10hipError_tT1_PNSt15iterator_traitsISI_E10value_typeET2_T3_PNSJ_ISO_E10value_typeET4_T5_PST_SU_PNS1_23onesweep_lookback_stateEbbT6_jjT7_P12ihipStream_tbENKUlT_T0_SI_SN_E_clISD_PiSD_S15_EEDaS11_S12_SI_SN_EUlS11_E_NS1_11comp_targetILNS1_3genE9ELNS1_11target_archE1100ELNS1_3gpuE3ELNS1_3repE0EEENS1_47radix_sort_onesweep_sort_config_static_selectorELNS0_4arch9wavefront6targetE1EEEvSI_.has_dyn_sized_stack, 0
	.set _ZN7rocprim17ROCPRIM_400000_NS6detail17trampoline_kernelINS0_14default_configENS1_35radix_sort_onesweep_config_selectorIiiEEZZNS1_29radix_sort_onesweep_iterationIS3_Lb1EN6thrust23THRUST_200600_302600_NS6detail15normal_iteratorINS8_10device_ptrIiEEEESD_SD_SD_jNS0_19identity_decomposerENS1_16block_id_wrapperIjLb1EEEEE10hipError_tT1_PNSt15iterator_traitsISI_E10value_typeET2_T3_PNSJ_ISO_E10value_typeET4_T5_PST_SU_PNS1_23onesweep_lookback_stateEbbT6_jjT7_P12ihipStream_tbENKUlT_T0_SI_SN_E_clISD_PiSD_S15_EEDaS11_S12_SI_SN_EUlS11_E_NS1_11comp_targetILNS1_3genE9ELNS1_11target_archE1100ELNS1_3gpuE3ELNS1_3repE0EEENS1_47radix_sort_onesweep_sort_config_static_selectorELNS0_4arch9wavefront6targetE1EEEvSI_.has_recursion, 0
	.set _ZN7rocprim17ROCPRIM_400000_NS6detail17trampoline_kernelINS0_14default_configENS1_35radix_sort_onesweep_config_selectorIiiEEZZNS1_29radix_sort_onesweep_iterationIS3_Lb1EN6thrust23THRUST_200600_302600_NS6detail15normal_iteratorINS8_10device_ptrIiEEEESD_SD_SD_jNS0_19identity_decomposerENS1_16block_id_wrapperIjLb1EEEEE10hipError_tT1_PNSt15iterator_traitsISI_E10value_typeET2_T3_PNSJ_ISO_E10value_typeET4_T5_PST_SU_PNS1_23onesweep_lookback_stateEbbT6_jjT7_P12ihipStream_tbENKUlT_T0_SI_SN_E_clISD_PiSD_S15_EEDaS11_S12_SI_SN_EUlS11_E_NS1_11comp_targetILNS1_3genE9ELNS1_11target_archE1100ELNS1_3gpuE3ELNS1_3repE0EEENS1_47radix_sort_onesweep_sort_config_static_selectorELNS0_4arch9wavefront6targetE1EEEvSI_.has_indirect_call, 0
	.section	.AMDGPU.csdata,"",@progbits
; Kernel info:
; codeLenInByte = 0
; TotalNumSgprs: 6
; NumVgprs: 0
; NumAgprs: 0
; TotalNumVgprs: 0
; ScratchSize: 0
; MemoryBound: 0
; FloatMode: 240
; IeeeMode: 1
; LDSByteSize: 0 bytes/workgroup (compile time only)
; SGPRBlocks: 0
; VGPRBlocks: 0
; NumSGPRsForWavesPerEU: 6
; NumVGPRsForWavesPerEU: 1
; AccumOffset: 4
; Occupancy: 8
; WaveLimiterHint : 0
; COMPUTE_PGM_RSRC2:SCRATCH_EN: 0
; COMPUTE_PGM_RSRC2:USER_SGPR: 2
; COMPUTE_PGM_RSRC2:TRAP_HANDLER: 0
; COMPUTE_PGM_RSRC2:TGID_X_EN: 1
; COMPUTE_PGM_RSRC2:TGID_Y_EN: 0
; COMPUTE_PGM_RSRC2:TGID_Z_EN: 0
; COMPUTE_PGM_RSRC2:TIDIG_COMP_CNT: 0
; COMPUTE_PGM_RSRC3_GFX90A:ACCUM_OFFSET: 0
; COMPUTE_PGM_RSRC3_GFX90A:TG_SPLIT: 0
	.section	.text._ZN7rocprim17ROCPRIM_400000_NS6detail17trampoline_kernelINS0_14default_configENS1_35radix_sort_onesweep_config_selectorIiiEEZZNS1_29radix_sort_onesweep_iterationIS3_Lb1EN6thrust23THRUST_200600_302600_NS6detail15normal_iteratorINS8_10device_ptrIiEEEESD_SD_SD_jNS0_19identity_decomposerENS1_16block_id_wrapperIjLb1EEEEE10hipError_tT1_PNSt15iterator_traitsISI_E10value_typeET2_T3_PNSJ_ISO_E10value_typeET4_T5_PST_SU_PNS1_23onesweep_lookback_stateEbbT6_jjT7_P12ihipStream_tbENKUlT_T0_SI_SN_E_clISD_PiSD_S15_EEDaS11_S12_SI_SN_EUlS11_E_NS1_11comp_targetILNS1_3genE8ELNS1_11target_archE1030ELNS1_3gpuE2ELNS1_3repE0EEENS1_47radix_sort_onesweep_sort_config_static_selectorELNS0_4arch9wavefront6targetE1EEEvSI_,"axG",@progbits,_ZN7rocprim17ROCPRIM_400000_NS6detail17trampoline_kernelINS0_14default_configENS1_35radix_sort_onesweep_config_selectorIiiEEZZNS1_29radix_sort_onesweep_iterationIS3_Lb1EN6thrust23THRUST_200600_302600_NS6detail15normal_iteratorINS8_10device_ptrIiEEEESD_SD_SD_jNS0_19identity_decomposerENS1_16block_id_wrapperIjLb1EEEEE10hipError_tT1_PNSt15iterator_traitsISI_E10value_typeET2_T3_PNSJ_ISO_E10value_typeET4_T5_PST_SU_PNS1_23onesweep_lookback_stateEbbT6_jjT7_P12ihipStream_tbENKUlT_T0_SI_SN_E_clISD_PiSD_S15_EEDaS11_S12_SI_SN_EUlS11_E_NS1_11comp_targetILNS1_3genE8ELNS1_11target_archE1030ELNS1_3gpuE2ELNS1_3repE0EEENS1_47radix_sort_onesweep_sort_config_static_selectorELNS0_4arch9wavefront6targetE1EEEvSI_,comdat
	.protected	_ZN7rocprim17ROCPRIM_400000_NS6detail17trampoline_kernelINS0_14default_configENS1_35radix_sort_onesweep_config_selectorIiiEEZZNS1_29radix_sort_onesweep_iterationIS3_Lb1EN6thrust23THRUST_200600_302600_NS6detail15normal_iteratorINS8_10device_ptrIiEEEESD_SD_SD_jNS0_19identity_decomposerENS1_16block_id_wrapperIjLb1EEEEE10hipError_tT1_PNSt15iterator_traitsISI_E10value_typeET2_T3_PNSJ_ISO_E10value_typeET4_T5_PST_SU_PNS1_23onesweep_lookback_stateEbbT6_jjT7_P12ihipStream_tbENKUlT_T0_SI_SN_E_clISD_PiSD_S15_EEDaS11_S12_SI_SN_EUlS11_E_NS1_11comp_targetILNS1_3genE8ELNS1_11target_archE1030ELNS1_3gpuE2ELNS1_3repE0EEENS1_47radix_sort_onesweep_sort_config_static_selectorELNS0_4arch9wavefront6targetE1EEEvSI_ ; -- Begin function _ZN7rocprim17ROCPRIM_400000_NS6detail17trampoline_kernelINS0_14default_configENS1_35radix_sort_onesweep_config_selectorIiiEEZZNS1_29radix_sort_onesweep_iterationIS3_Lb1EN6thrust23THRUST_200600_302600_NS6detail15normal_iteratorINS8_10device_ptrIiEEEESD_SD_SD_jNS0_19identity_decomposerENS1_16block_id_wrapperIjLb1EEEEE10hipError_tT1_PNSt15iterator_traitsISI_E10value_typeET2_T3_PNSJ_ISO_E10value_typeET4_T5_PST_SU_PNS1_23onesweep_lookback_stateEbbT6_jjT7_P12ihipStream_tbENKUlT_T0_SI_SN_E_clISD_PiSD_S15_EEDaS11_S12_SI_SN_EUlS11_E_NS1_11comp_targetILNS1_3genE8ELNS1_11target_archE1030ELNS1_3gpuE2ELNS1_3repE0EEENS1_47radix_sort_onesweep_sort_config_static_selectorELNS0_4arch9wavefront6targetE1EEEvSI_
	.globl	_ZN7rocprim17ROCPRIM_400000_NS6detail17trampoline_kernelINS0_14default_configENS1_35radix_sort_onesweep_config_selectorIiiEEZZNS1_29radix_sort_onesweep_iterationIS3_Lb1EN6thrust23THRUST_200600_302600_NS6detail15normal_iteratorINS8_10device_ptrIiEEEESD_SD_SD_jNS0_19identity_decomposerENS1_16block_id_wrapperIjLb1EEEEE10hipError_tT1_PNSt15iterator_traitsISI_E10value_typeET2_T3_PNSJ_ISO_E10value_typeET4_T5_PST_SU_PNS1_23onesweep_lookback_stateEbbT6_jjT7_P12ihipStream_tbENKUlT_T0_SI_SN_E_clISD_PiSD_S15_EEDaS11_S12_SI_SN_EUlS11_E_NS1_11comp_targetILNS1_3genE8ELNS1_11target_archE1030ELNS1_3gpuE2ELNS1_3repE0EEENS1_47radix_sort_onesweep_sort_config_static_selectorELNS0_4arch9wavefront6targetE1EEEvSI_
	.p2align	8
	.type	_ZN7rocprim17ROCPRIM_400000_NS6detail17trampoline_kernelINS0_14default_configENS1_35radix_sort_onesweep_config_selectorIiiEEZZNS1_29radix_sort_onesweep_iterationIS3_Lb1EN6thrust23THRUST_200600_302600_NS6detail15normal_iteratorINS8_10device_ptrIiEEEESD_SD_SD_jNS0_19identity_decomposerENS1_16block_id_wrapperIjLb1EEEEE10hipError_tT1_PNSt15iterator_traitsISI_E10value_typeET2_T3_PNSJ_ISO_E10value_typeET4_T5_PST_SU_PNS1_23onesweep_lookback_stateEbbT6_jjT7_P12ihipStream_tbENKUlT_T0_SI_SN_E_clISD_PiSD_S15_EEDaS11_S12_SI_SN_EUlS11_E_NS1_11comp_targetILNS1_3genE8ELNS1_11target_archE1030ELNS1_3gpuE2ELNS1_3repE0EEENS1_47radix_sort_onesweep_sort_config_static_selectorELNS0_4arch9wavefront6targetE1EEEvSI_,@function
_ZN7rocprim17ROCPRIM_400000_NS6detail17trampoline_kernelINS0_14default_configENS1_35radix_sort_onesweep_config_selectorIiiEEZZNS1_29radix_sort_onesweep_iterationIS3_Lb1EN6thrust23THRUST_200600_302600_NS6detail15normal_iteratorINS8_10device_ptrIiEEEESD_SD_SD_jNS0_19identity_decomposerENS1_16block_id_wrapperIjLb1EEEEE10hipError_tT1_PNSt15iterator_traitsISI_E10value_typeET2_T3_PNSJ_ISO_E10value_typeET4_T5_PST_SU_PNS1_23onesweep_lookback_stateEbbT6_jjT7_P12ihipStream_tbENKUlT_T0_SI_SN_E_clISD_PiSD_S15_EEDaS11_S12_SI_SN_EUlS11_E_NS1_11comp_targetILNS1_3genE8ELNS1_11target_archE1030ELNS1_3gpuE2ELNS1_3repE0EEENS1_47radix_sort_onesweep_sort_config_static_selectorELNS0_4arch9wavefront6targetE1EEEvSI_: ; @_ZN7rocprim17ROCPRIM_400000_NS6detail17trampoline_kernelINS0_14default_configENS1_35radix_sort_onesweep_config_selectorIiiEEZZNS1_29radix_sort_onesweep_iterationIS3_Lb1EN6thrust23THRUST_200600_302600_NS6detail15normal_iteratorINS8_10device_ptrIiEEEESD_SD_SD_jNS0_19identity_decomposerENS1_16block_id_wrapperIjLb1EEEEE10hipError_tT1_PNSt15iterator_traitsISI_E10value_typeET2_T3_PNSJ_ISO_E10value_typeET4_T5_PST_SU_PNS1_23onesweep_lookback_stateEbbT6_jjT7_P12ihipStream_tbENKUlT_T0_SI_SN_E_clISD_PiSD_S15_EEDaS11_S12_SI_SN_EUlS11_E_NS1_11comp_targetILNS1_3genE8ELNS1_11target_archE1030ELNS1_3gpuE2ELNS1_3repE0EEENS1_47radix_sort_onesweep_sort_config_static_selectorELNS0_4arch9wavefront6targetE1EEEvSI_
; %bb.0:
	.section	.rodata,"a",@progbits
	.p2align	6, 0x0
	.amdhsa_kernel _ZN7rocprim17ROCPRIM_400000_NS6detail17trampoline_kernelINS0_14default_configENS1_35radix_sort_onesweep_config_selectorIiiEEZZNS1_29radix_sort_onesweep_iterationIS3_Lb1EN6thrust23THRUST_200600_302600_NS6detail15normal_iteratorINS8_10device_ptrIiEEEESD_SD_SD_jNS0_19identity_decomposerENS1_16block_id_wrapperIjLb1EEEEE10hipError_tT1_PNSt15iterator_traitsISI_E10value_typeET2_T3_PNSJ_ISO_E10value_typeET4_T5_PST_SU_PNS1_23onesweep_lookback_stateEbbT6_jjT7_P12ihipStream_tbENKUlT_T0_SI_SN_E_clISD_PiSD_S15_EEDaS11_S12_SI_SN_EUlS11_E_NS1_11comp_targetILNS1_3genE8ELNS1_11target_archE1030ELNS1_3gpuE2ELNS1_3repE0EEENS1_47radix_sort_onesweep_sort_config_static_selectorELNS0_4arch9wavefront6targetE1EEEvSI_
		.amdhsa_group_segment_fixed_size 0
		.amdhsa_private_segment_fixed_size 0
		.amdhsa_kernarg_size 88
		.amdhsa_user_sgpr_count 2
		.amdhsa_user_sgpr_dispatch_ptr 0
		.amdhsa_user_sgpr_queue_ptr 0
		.amdhsa_user_sgpr_kernarg_segment_ptr 1
		.amdhsa_user_sgpr_dispatch_id 0
		.amdhsa_user_sgpr_kernarg_preload_length 0
		.amdhsa_user_sgpr_kernarg_preload_offset 0
		.amdhsa_user_sgpr_private_segment_size 0
		.amdhsa_uses_dynamic_stack 0
		.amdhsa_enable_private_segment 0
		.amdhsa_system_sgpr_workgroup_id_x 1
		.amdhsa_system_sgpr_workgroup_id_y 0
		.amdhsa_system_sgpr_workgroup_id_z 0
		.amdhsa_system_sgpr_workgroup_info 0
		.amdhsa_system_vgpr_workitem_id 0
		.amdhsa_next_free_vgpr 1
		.amdhsa_next_free_sgpr 0
		.amdhsa_accum_offset 4
		.amdhsa_reserve_vcc 0
		.amdhsa_float_round_mode_32 0
		.amdhsa_float_round_mode_16_64 0
		.amdhsa_float_denorm_mode_32 3
		.amdhsa_float_denorm_mode_16_64 3
		.amdhsa_dx10_clamp 1
		.amdhsa_ieee_mode 1
		.amdhsa_fp16_overflow 0
		.amdhsa_tg_split 0
		.amdhsa_exception_fp_ieee_invalid_op 0
		.amdhsa_exception_fp_denorm_src 0
		.amdhsa_exception_fp_ieee_div_zero 0
		.amdhsa_exception_fp_ieee_overflow 0
		.amdhsa_exception_fp_ieee_underflow 0
		.amdhsa_exception_fp_ieee_inexact 0
		.amdhsa_exception_int_div_zero 0
	.end_amdhsa_kernel
	.section	.text._ZN7rocprim17ROCPRIM_400000_NS6detail17trampoline_kernelINS0_14default_configENS1_35radix_sort_onesweep_config_selectorIiiEEZZNS1_29radix_sort_onesweep_iterationIS3_Lb1EN6thrust23THRUST_200600_302600_NS6detail15normal_iteratorINS8_10device_ptrIiEEEESD_SD_SD_jNS0_19identity_decomposerENS1_16block_id_wrapperIjLb1EEEEE10hipError_tT1_PNSt15iterator_traitsISI_E10value_typeET2_T3_PNSJ_ISO_E10value_typeET4_T5_PST_SU_PNS1_23onesweep_lookback_stateEbbT6_jjT7_P12ihipStream_tbENKUlT_T0_SI_SN_E_clISD_PiSD_S15_EEDaS11_S12_SI_SN_EUlS11_E_NS1_11comp_targetILNS1_3genE8ELNS1_11target_archE1030ELNS1_3gpuE2ELNS1_3repE0EEENS1_47radix_sort_onesweep_sort_config_static_selectorELNS0_4arch9wavefront6targetE1EEEvSI_,"axG",@progbits,_ZN7rocprim17ROCPRIM_400000_NS6detail17trampoline_kernelINS0_14default_configENS1_35radix_sort_onesweep_config_selectorIiiEEZZNS1_29radix_sort_onesweep_iterationIS3_Lb1EN6thrust23THRUST_200600_302600_NS6detail15normal_iteratorINS8_10device_ptrIiEEEESD_SD_SD_jNS0_19identity_decomposerENS1_16block_id_wrapperIjLb1EEEEE10hipError_tT1_PNSt15iterator_traitsISI_E10value_typeET2_T3_PNSJ_ISO_E10value_typeET4_T5_PST_SU_PNS1_23onesweep_lookback_stateEbbT6_jjT7_P12ihipStream_tbENKUlT_T0_SI_SN_E_clISD_PiSD_S15_EEDaS11_S12_SI_SN_EUlS11_E_NS1_11comp_targetILNS1_3genE8ELNS1_11target_archE1030ELNS1_3gpuE2ELNS1_3repE0EEENS1_47radix_sort_onesweep_sort_config_static_selectorELNS0_4arch9wavefront6targetE1EEEvSI_,comdat
.Lfunc_end1854:
	.size	_ZN7rocprim17ROCPRIM_400000_NS6detail17trampoline_kernelINS0_14default_configENS1_35radix_sort_onesweep_config_selectorIiiEEZZNS1_29radix_sort_onesweep_iterationIS3_Lb1EN6thrust23THRUST_200600_302600_NS6detail15normal_iteratorINS8_10device_ptrIiEEEESD_SD_SD_jNS0_19identity_decomposerENS1_16block_id_wrapperIjLb1EEEEE10hipError_tT1_PNSt15iterator_traitsISI_E10value_typeET2_T3_PNSJ_ISO_E10value_typeET4_T5_PST_SU_PNS1_23onesweep_lookback_stateEbbT6_jjT7_P12ihipStream_tbENKUlT_T0_SI_SN_E_clISD_PiSD_S15_EEDaS11_S12_SI_SN_EUlS11_E_NS1_11comp_targetILNS1_3genE8ELNS1_11target_archE1030ELNS1_3gpuE2ELNS1_3repE0EEENS1_47radix_sort_onesweep_sort_config_static_selectorELNS0_4arch9wavefront6targetE1EEEvSI_, .Lfunc_end1854-_ZN7rocprim17ROCPRIM_400000_NS6detail17trampoline_kernelINS0_14default_configENS1_35radix_sort_onesweep_config_selectorIiiEEZZNS1_29radix_sort_onesweep_iterationIS3_Lb1EN6thrust23THRUST_200600_302600_NS6detail15normal_iteratorINS8_10device_ptrIiEEEESD_SD_SD_jNS0_19identity_decomposerENS1_16block_id_wrapperIjLb1EEEEE10hipError_tT1_PNSt15iterator_traitsISI_E10value_typeET2_T3_PNSJ_ISO_E10value_typeET4_T5_PST_SU_PNS1_23onesweep_lookback_stateEbbT6_jjT7_P12ihipStream_tbENKUlT_T0_SI_SN_E_clISD_PiSD_S15_EEDaS11_S12_SI_SN_EUlS11_E_NS1_11comp_targetILNS1_3genE8ELNS1_11target_archE1030ELNS1_3gpuE2ELNS1_3repE0EEENS1_47radix_sort_onesweep_sort_config_static_selectorELNS0_4arch9wavefront6targetE1EEEvSI_
                                        ; -- End function
	.set _ZN7rocprim17ROCPRIM_400000_NS6detail17trampoline_kernelINS0_14default_configENS1_35radix_sort_onesweep_config_selectorIiiEEZZNS1_29radix_sort_onesweep_iterationIS3_Lb1EN6thrust23THRUST_200600_302600_NS6detail15normal_iteratorINS8_10device_ptrIiEEEESD_SD_SD_jNS0_19identity_decomposerENS1_16block_id_wrapperIjLb1EEEEE10hipError_tT1_PNSt15iterator_traitsISI_E10value_typeET2_T3_PNSJ_ISO_E10value_typeET4_T5_PST_SU_PNS1_23onesweep_lookback_stateEbbT6_jjT7_P12ihipStream_tbENKUlT_T0_SI_SN_E_clISD_PiSD_S15_EEDaS11_S12_SI_SN_EUlS11_E_NS1_11comp_targetILNS1_3genE8ELNS1_11target_archE1030ELNS1_3gpuE2ELNS1_3repE0EEENS1_47radix_sort_onesweep_sort_config_static_selectorELNS0_4arch9wavefront6targetE1EEEvSI_.num_vgpr, 0
	.set _ZN7rocprim17ROCPRIM_400000_NS6detail17trampoline_kernelINS0_14default_configENS1_35radix_sort_onesweep_config_selectorIiiEEZZNS1_29radix_sort_onesweep_iterationIS3_Lb1EN6thrust23THRUST_200600_302600_NS6detail15normal_iteratorINS8_10device_ptrIiEEEESD_SD_SD_jNS0_19identity_decomposerENS1_16block_id_wrapperIjLb1EEEEE10hipError_tT1_PNSt15iterator_traitsISI_E10value_typeET2_T3_PNSJ_ISO_E10value_typeET4_T5_PST_SU_PNS1_23onesweep_lookback_stateEbbT6_jjT7_P12ihipStream_tbENKUlT_T0_SI_SN_E_clISD_PiSD_S15_EEDaS11_S12_SI_SN_EUlS11_E_NS1_11comp_targetILNS1_3genE8ELNS1_11target_archE1030ELNS1_3gpuE2ELNS1_3repE0EEENS1_47radix_sort_onesweep_sort_config_static_selectorELNS0_4arch9wavefront6targetE1EEEvSI_.num_agpr, 0
	.set _ZN7rocprim17ROCPRIM_400000_NS6detail17trampoline_kernelINS0_14default_configENS1_35radix_sort_onesweep_config_selectorIiiEEZZNS1_29radix_sort_onesweep_iterationIS3_Lb1EN6thrust23THRUST_200600_302600_NS6detail15normal_iteratorINS8_10device_ptrIiEEEESD_SD_SD_jNS0_19identity_decomposerENS1_16block_id_wrapperIjLb1EEEEE10hipError_tT1_PNSt15iterator_traitsISI_E10value_typeET2_T3_PNSJ_ISO_E10value_typeET4_T5_PST_SU_PNS1_23onesweep_lookback_stateEbbT6_jjT7_P12ihipStream_tbENKUlT_T0_SI_SN_E_clISD_PiSD_S15_EEDaS11_S12_SI_SN_EUlS11_E_NS1_11comp_targetILNS1_3genE8ELNS1_11target_archE1030ELNS1_3gpuE2ELNS1_3repE0EEENS1_47radix_sort_onesweep_sort_config_static_selectorELNS0_4arch9wavefront6targetE1EEEvSI_.numbered_sgpr, 0
	.set _ZN7rocprim17ROCPRIM_400000_NS6detail17trampoline_kernelINS0_14default_configENS1_35radix_sort_onesweep_config_selectorIiiEEZZNS1_29radix_sort_onesweep_iterationIS3_Lb1EN6thrust23THRUST_200600_302600_NS6detail15normal_iteratorINS8_10device_ptrIiEEEESD_SD_SD_jNS0_19identity_decomposerENS1_16block_id_wrapperIjLb1EEEEE10hipError_tT1_PNSt15iterator_traitsISI_E10value_typeET2_T3_PNSJ_ISO_E10value_typeET4_T5_PST_SU_PNS1_23onesweep_lookback_stateEbbT6_jjT7_P12ihipStream_tbENKUlT_T0_SI_SN_E_clISD_PiSD_S15_EEDaS11_S12_SI_SN_EUlS11_E_NS1_11comp_targetILNS1_3genE8ELNS1_11target_archE1030ELNS1_3gpuE2ELNS1_3repE0EEENS1_47radix_sort_onesweep_sort_config_static_selectorELNS0_4arch9wavefront6targetE1EEEvSI_.num_named_barrier, 0
	.set _ZN7rocprim17ROCPRIM_400000_NS6detail17trampoline_kernelINS0_14default_configENS1_35radix_sort_onesweep_config_selectorIiiEEZZNS1_29radix_sort_onesweep_iterationIS3_Lb1EN6thrust23THRUST_200600_302600_NS6detail15normal_iteratorINS8_10device_ptrIiEEEESD_SD_SD_jNS0_19identity_decomposerENS1_16block_id_wrapperIjLb1EEEEE10hipError_tT1_PNSt15iterator_traitsISI_E10value_typeET2_T3_PNSJ_ISO_E10value_typeET4_T5_PST_SU_PNS1_23onesweep_lookback_stateEbbT6_jjT7_P12ihipStream_tbENKUlT_T0_SI_SN_E_clISD_PiSD_S15_EEDaS11_S12_SI_SN_EUlS11_E_NS1_11comp_targetILNS1_3genE8ELNS1_11target_archE1030ELNS1_3gpuE2ELNS1_3repE0EEENS1_47radix_sort_onesweep_sort_config_static_selectorELNS0_4arch9wavefront6targetE1EEEvSI_.private_seg_size, 0
	.set _ZN7rocprim17ROCPRIM_400000_NS6detail17trampoline_kernelINS0_14default_configENS1_35radix_sort_onesweep_config_selectorIiiEEZZNS1_29radix_sort_onesweep_iterationIS3_Lb1EN6thrust23THRUST_200600_302600_NS6detail15normal_iteratorINS8_10device_ptrIiEEEESD_SD_SD_jNS0_19identity_decomposerENS1_16block_id_wrapperIjLb1EEEEE10hipError_tT1_PNSt15iterator_traitsISI_E10value_typeET2_T3_PNSJ_ISO_E10value_typeET4_T5_PST_SU_PNS1_23onesweep_lookback_stateEbbT6_jjT7_P12ihipStream_tbENKUlT_T0_SI_SN_E_clISD_PiSD_S15_EEDaS11_S12_SI_SN_EUlS11_E_NS1_11comp_targetILNS1_3genE8ELNS1_11target_archE1030ELNS1_3gpuE2ELNS1_3repE0EEENS1_47radix_sort_onesweep_sort_config_static_selectorELNS0_4arch9wavefront6targetE1EEEvSI_.uses_vcc, 0
	.set _ZN7rocprim17ROCPRIM_400000_NS6detail17trampoline_kernelINS0_14default_configENS1_35radix_sort_onesweep_config_selectorIiiEEZZNS1_29radix_sort_onesweep_iterationIS3_Lb1EN6thrust23THRUST_200600_302600_NS6detail15normal_iteratorINS8_10device_ptrIiEEEESD_SD_SD_jNS0_19identity_decomposerENS1_16block_id_wrapperIjLb1EEEEE10hipError_tT1_PNSt15iterator_traitsISI_E10value_typeET2_T3_PNSJ_ISO_E10value_typeET4_T5_PST_SU_PNS1_23onesweep_lookback_stateEbbT6_jjT7_P12ihipStream_tbENKUlT_T0_SI_SN_E_clISD_PiSD_S15_EEDaS11_S12_SI_SN_EUlS11_E_NS1_11comp_targetILNS1_3genE8ELNS1_11target_archE1030ELNS1_3gpuE2ELNS1_3repE0EEENS1_47radix_sort_onesweep_sort_config_static_selectorELNS0_4arch9wavefront6targetE1EEEvSI_.uses_flat_scratch, 0
	.set _ZN7rocprim17ROCPRIM_400000_NS6detail17trampoline_kernelINS0_14default_configENS1_35radix_sort_onesweep_config_selectorIiiEEZZNS1_29radix_sort_onesweep_iterationIS3_Lb1EN6thrust23THRUST_200600_302600_NS6detail15normal_iteratorINS8_10device_ptrIiEEEESD_SD_SD_jNS0_19identity_decomposerENS1_16block_id_wrapperIjLb1EEEEE10hipError_tT1_PNSt15iterator_traitsISI_E10value_typeET2_T3_PNSJ_ISO_E10value_typeET4_T5_PST_SU_PNS1_23onesweep_lookback_stateEbbT6_jjT7_P12ihipStream_tbENKUlT_T0_SI_SN_E_clISD_PiSD_S15_EEDaS11_S12_SI_SN_EUlS11_E_NS1_11comp_targetILNS1_3genE8ELNS1_11target_archE1030ELNS1_3gpuE2ELNS1_3repE0EEENS1_47radix_sort_onesweep_sort_config_static_selectorELNS0_4arch9wavefront6targetE1EEEvSI_.has_dyn_sized_stack, 0
	.set _ZN7rocprim17ROCPRIM_400000_NS6detail17trampoline_kernelINS0_14default_configENS1_35radix_sort_onesweep_config_selectorIiiEEZZNS1_29radix_sort_onesweep_iterationIS3_Lb1EN6thrust23THRUST_200600_302600_NS6detail15normal_iteratorINS8_10device_ptrIiEEEESD_SD_SD_jNS0_19identity_decomposerENS1_16block_id_wrapperIjLb1EEEEE10hipError_tT1_PNSt15iterator_traitsISI_E10value_typeET2_T3_PNSJ_ISO_E10value_typeET4_T5_PST_SU_PNS1_23onesweep_lookback_stateEbbT6_jjT7_P12ihipStream_tbENKUlT_T0_SI_SN_E_clISD_PiSD_S15_EEDaS11_S12_SI_SN_EUlS11_E_NS1_11comp_targetILNS1_3genE8ELNS1_11target_archE1030ELNS1_3gpuE2ELNS1_3repE0EEENS1_47radix_sort_onesweep_sort_config_static_selectorELNS0_4arch9wavefront6targetE1EEEvSI_.has_recursion, 0
	.set _ZN7rocprim17ROCPRIM_400000_NS6detail17trampoline_kernelINS0_14default_configENS1_35radix_sort_onesweep_config_selectorIiiEEZZNS1_29radix_sort_onesweep_iterationIS3_Lb1EN6thrust23THRUST_200600_302600_NS6detail15normal_iteratorINS8_10device_ptrIiEEEESD_SD_SD_jNS0_19identity_decomposerENS1_16block_id_wrapperIjLb1EEEEE10hipError_tT1_PNSt15iterator_traitsISI_E10value_typeET2_T3_PNSJ_ISO_E10value_typeET4_T5_PST_SU_PNS1_23onesweep_lookback_stateEbbT6_jjT7_P12ihipStream_tbENKUlT_T0_SI_SN_E_clISD_PiSD_S15_EEDaS11_S12_SI_SN_EUlS11_E_NS1_11comp_targetILNS1_3genE8ELNS1_11target_archE1030ELNS1_3gpuE2ELNS1_3repE0EEENS1_47radix_sort_onesweep_sort_config_static_selectorELNS0_4arch9wavefront6targetE1EEEvSI_.has_indirect_call, 0
	.section	.AMDGPU.csdata,"",@progbits
; Kernel info:
; codeLenInByte = 0
; TotalNumSgprs: 6
; NumVgprs: 0
; NumAgprs: 0
; TotalNumVgprs: 0
; ScratchSize: 0
; MemoryBound: 0
; FloatMode: 240
; IeeeMode: 1
; LDSByteSize: 0 bytes/workgroup (compile time only)
; SGPRBlocks: 0
; VGPRBlocks: 0
; NumSGPRsForWavesPerEU: 6
; NumVGPRsForWavesPerEU: 1
; AccumOffset: 4
; Occupancy: 8
; WaveLimiterHint : 0
; COMPUTE_PGM_RSRC2:SCRATCH_EN: 0
; COMPUTE_PGM_RSRC2:USER_SGPR: 2
; COMPUTE_PGM_RSRC2:TRAP_HANDLER: 0
; COMPUTE_PGM_RSRC2:TGID_X_EN: 1
; COMPUTE_PGM_RSRC2:TGID_Y_EN: 0
; COMPUTE_PGM_RSRC2:TGID_Z_EN: 0
; COMPUTE_PGM_RSRC2:TIDIG_COMP_CNT: 0
; COMPUTE_PGM_RSRC3_GFX90A:ACCUM_OFFSET: 0
; COMPUTE_PGM_RSRC3_GFX90A:TG_SPLIT: 0
	.section	.text._ZN7rocprim17ROCPRIM_400000_NS6detail17trampoline_kernelINS0_14default_configENS1_35radix_sort_onesweep_config_selectorIiiEEZZNS1_29radix_sort_onesweep_iterationIS3_Lb1EN6thrust23THRUST_200600_302600_NS6detail15normal_iteratorINS8_10device_ptrIiEEEESD_SD_SD_jNS0_19identity_decomposerENS1_16block_id_wrapperIjLb1EEEEE10hipError_tT1_PNSt15iterator_traitsISI_E10value_typeET2_T3_PNSJ_ISO_E10value_typeET4_T5_PST_SU_PNS1_23onesweep_lookback_stateEbbT6_jjT7_P12ihipStream_tbENKUlT_T0_SI_SN_E_clIPiSD_S15_SD_EEDaS11_S12_SI_SN_EUlS11_E_NS1_11comp_targetILNS1_3genE0ELNS1_11target_archE4294967295ELNS1_3gpuE0ELNS1_3repE0EEENS1_47radix_sort_onesweep_sort_config_static_selectorELNS0_4arch9wavefront6targetE1EEEvSI_,"axG",@progbits,_ZN7rocprim17ROCPRIM_400000_NS6detail17trampoline_kernelINS0_14default_configENS1_35radix_sort_onesweep_config_selectorIiiEEZZNS1_29radix_sort_onesweep_iterationIS3_Lb1EN6thrust23THRUST_200600_302600_NS6detail15normal_iteratorINS8_10device_ptrIiEEEESD_SD_SD_jNS0_19identity_decomposerENS1_16block_id_wrapperIjLb1EEEEE10hipError_tT1_PNSt15iterator_traitsISI_E10value_typeET2_T3_PNSJ_ISO_E10value_typeET4_T5_PST_SU_PNS1_23onesweep_lookback_stateEbbT6_jjT7_P12ihipStream_tbENKUlT_T0_SI_SN_E_clIPiSD_S15_SD_EEDaS11_S12_SI_SN_EUlS11_E_NS1_11comp_targetILNS1_3genE0ELNS1_11target_archE4294967295ELNS1_3gpuE0ELNS1_3repE0EEENS1_47radix_sort_onesweep_sort_config_static_selectorELNS0_4arch9wavefront6targetE1EEEvSI_,comdat
	.protected	_ZN7rocprim17ROCPRIM_400000_NS6detail17trampoline_kernelINS0_14default_configENS1_35radix_sort_onesweep_config_selectorIiiEEZZNS1_29radix_sort_onesweep_iterationIS3_Lb1EN6thrust23THRUST_200600_302600_NS6detail15normal_iteratorINS8_10device_ptrIiEEEESD_SD_SD_jNS0_19identity_decomposerENS1_16block_id_wrapperIjLb1EEEEE10hipError_tT1_PNSt15iterator_traitsISI_E10value_typeET2_T3_PNSJ_ISO_E10value_typeET4_T5_PST_SU_PNS1_23onesweep_lookback_stateEbbT6_jjT7_P12ihipStream_tbENKUlT_T0_SI_SN_E_clIPiSD_S15_SD_EEDaS11_S12_SI_SN_EUlS11_E_NS1_11comp_targetILNS1_3genE0ELNS1_11target_archE4294967295ELNS1_3gpuE0ELNS1_3repE0EEENS1_47radix_sort_onesweep_sort_config_static_selectorELNS0_4arch9wavefront6targetE1EEEvSI_ ; -- Begin function _ZN7rocprim17ROCPRIM_400000_NS6detail17trampoline_kernelINS0_14default_configENS1_35radix_sort_onesweep_config_selectorIiiEEZZNS1_29radix_sort_onesweep_iterationIS3_Lb1EN6thrust23THRUST_200600_302600_NS6detail15normal_iteratorINS8_10device_ptrIiEEEESD_SD_SD_jNS0_19identity_decomposerENS1_16block_id_wrapperIjLb1EEEEE10hipError_tT1_PNSt15iterator_traitsISI_E10value_typeET2_T3_PNSJ_ISO_E10value_typeET4_T5_PST_SU_PNS1_23onesweep_lookback_stateEbbT6_jjT7_P12ihipStream_tbENKUlT_T0_SI_SN_E_clIPiSD_S15_SD_EEDaS11_S12_SI_SN_EUlS11_E_NS1_11comp_targetILNS1_3genE0ELNS1_11target_archE4294967295ELNS1_3gpuE0ELNS1_3repE0EEENS1_47radix_sort_onesweep_sort_config_static_selectorELNS0_4arch9wavefront6targetE1EEEvSI_
	.globl	_ZN7rocprim17ROCPRIM_400000_NS6detail17trampoline_kernelINS0_14default_configENS1_35radix_sort_onesweep_config_selectorIiiEEZZNS1_29radix_sort_onesweep_iterationIS3_Lb1EN6thrust23THRUST_200600_302600_NS6detail15normal_iteratorINS8_10device_ptrIiEEEESD_SD_SD_jNS0_19identity_decomposerENS1_16block_id_wrapperIjLb1EEEEE10hipError_tT1_PNSt15iterator_traitsISI_E10value_typeET2_T3_PNSJ_ISO_E10value_typeET4_T5_PST_SU_PNS1_23onesweep_lookback_stateEbbT6_jjT7_P12ihipStream_tbENKUlT_T0_SI_SN_E_clIPiSD_S15_SD_EEDaS11_S12_SI_SN_EUlS11_E_NS1_11comp_targetILNS1_3genE0ELNS1_11target_archE4294967295ELNS1_3gpuE0ELNS1_3repE0EEENS1_47radix_sort_onesweep_sort_config_static_selectorELNS0_4arch9wavefront6targetE1EEEvSI_
	.p2align	8
	.type	_ZN7rocprim17ROCPRIM_400000_NS6detail17trampoline_kernelINS0_14default_configENS1_35radix_sort_onesweep_config_selectorIiiEEZZNS1_29radix_sort_onesweep_iterationIS3_Lb1EN6thrust23THRUST_200600_302600_NS6detail15normal_iteratorINS8_10device_ptrIiEEEESD_SD_SD_jNS0_19identity_decomposerENS1_16block_id_wrapperIjLb1EEEEE10hipError_tT1_PNSt15iterator_traitsISI_E10value_typeET2_T3_PNSJ_ISO_E10value_typeET4_T5_PST_SU_PNS1_23onesweep_lookback_stateEbbT6_jjT7_P12ihipStream_tbENKUlT_T0_SI_SN_E_clIPiSD_S15_SD_EEDaS11_S12_SI_SN_EUlS11_E_NS1_11comp_targetILNS1_3genE0ELNS1_11target_archE4294967295ELNS1_3gpuE0ELNS1_3repE0EEENS1_47radix_sort_onesweep_sort_config_static_selectorELNS0_4arch9wavefront6targetE1EEEvSI_,@function
_ZN7rocprim17ROCPRIM_400000_NS6detail17trampoline_kernelINS0_14default_configENS1_35radix_sort_onesweep_config_selectorIiiEEZZNS1_29radix_sort_onesweep_iterationIS3_Lb1EN6thrust23THRUST_200600_302600_NS6detail15normal_iteratorINS8_10device_ptrIiEEEESD_SD_SD_jNS0_19identity_decomposerENS1_16block_id_wrapperIjLb1EEEEE10hipError_tT1_PNSt15iterator_traitsISI_E10value_typeET2_T3_PNSJ_ISO_E10value_typeET4_T5_PST_SU_PNS1_23onesweep_lookback_stateEbbT6_jjT7_P12ihipStream_tbENKUlT_T0_SI_SN_E_clIPiSD_S15_SD_EEDaS11_S12_SI_SN_EUlS11_E_NS1_11comp_targetILNS1_3genE0ELNS1_11target_archE4294967295ELNS1_3gpuE0ELNS1_3repE0EEENS1_47radix_sort_onesweep_sort_config_static_selectorELNS0_4arch9wavefront6targetE1EEEvSI_: ; @_ZN7rocprim17ROCPRIM_400000_NS6detail17trampoline_kernelINS0_14default_configENS1_35radix_sort_onesweep_config_selectorIiiEEZZNS1_29radix_sort_onesweep_iterationIS3_Lb1EN6thrust23THRUST_200600_302600_NS6detail15normal_iteratorINS8_10device_ptrIiEEEESD_SD_SD_jNS0_19identity_decomposerENS1_16block_id_wrapperIjLb1EEEEE10hipError_tT1_PNSt15iterator_traitsISI_E10value_typeET2_T3_PNSJ_ISO_E10value_typeET4_T5_PST_SU_PNS1_23onesweep_lookback_stateEbbT6_jjT7_P12ihipStream_tbENKUlT_T0_SI_SN_E_clIPiSD_S15_SD_EEDaS11_S12_SI_SN_EUlS11_E_NS1_11comp_targetILNS1_3genE0ELNS1_11target_archE4294967295ELNS1_3gpuE0ELNS1_3repE0EEENS1_47radix_sort_onesweep_sort_config_static_selectorELNS0_4arch9wavefront6targetE1EEEvSI_
; %bb.0:
	.section	.rodata,"a",@progbits
	.p2align	6, 0x0
	.amdhsa_kernel _ZN7rocprim17ROCPRIM_400000_NS6detail17trampoline_kernelINS0_14default_configENS1_35radix_sort_onesweep_config_selectorIiiEEZZNS1_29radix_sort_onesweep_iterationIS3_Lb1EN6thrust23THRUST_200600_302600_NS6detail15normal_iteratorINS8_10device_ptrIiEEEESD_SD_SD_jNS0_19identity_decomposerENS1_16block_id_wrapperIjLb1EEEEE10hipError_tT1_PNSt15iterator_traitsISI_E10value_typeET2_T3_PNSJ_ISO_E10value_typeET4_T5_PST_SU_PNS1_23onesweep_lookback_stateEbbT6_jjT7_P12ihipStream_tbENKUlT_T0_SI_SN_E_clIPiSD_S15_SD_EEDaS11_S12_SI_SN_EUlS11_E_NS1_11comp_targetILNS1_3genE0ELNS1_11target_archE4294967295ELNS1_3gpuE0ELNS1_3repE0EEENS1_47radix_sort_onesweep_sort_config_static_selectorELNS0_4arch9wavefront6targetE1EEEvSI_
		.amdhsa_group_segment_fixed_size 0
		.amdhsa_private_segment_fixed_size 0
		.amdhsa_kernarg_size 88
		.amdhsa_user_sgpr_count 2
		.amdhsa_user_sgpr_dispatch_ptr 0
		.amdhsa_user_sgpr_queue_ptr 0
		.amdhsa_user_sgpr_kernarg_segment_ptr 1
		.amdhsa_user_sgpr_dispatch_id 0
		.amdhsa_user_sgpr_kernarg_preload_length 0
		.amdhsa_user_sgpr_kernarg_preload_offset 0
		.amdhsa_user_sgpr_private_segment_size 0
		.amdhsa_uses_dynamic_stack 0
		.amdhsa_enable_private_segment 0
		.amdhsa_system_sgpr_workgroup_id_x 1
		.amdhsa_system_sgpr_workgroup_id_y 0
		.amdhsa_system_sgpr_workgroup_id_z 0
		.amdhsa_system_sgpr_workgroup_info 0
		.amdhsa_system_vgpr_workitem_id 0
		.amdhsa_next_free_vgpr 1
		.amdhsa_next_free_sgpr 0
		.amdhsa_accum_offset 4
		.amdhsa_reserve_vcc 0
		.amdhsa_float_round_mode_32 0
		.amdhsa_float_round_mode_16_64 0
		.amdhsa_float_denorm_mode_32 3
		.amdhsa_float_denorm_mode_16_64 3
		.amdhsa_dx10_clamp 1
		.amdhsa_ieee_mode 1
		.amdhsa_fp16_overflow 0
		.amdhsa_tg_split 0
		.amdhsa_exception_fp_ieee_invalid_op 0
		.amdhsa_exception_fp_denorm_src 0
		.amdhsa_exception_fp_ieee_div_zero 0
		.amdhsa_exception_fp_ieee_overflow 0
		.amdhsa_exception_fp_ieee_underflow 0
		.amdhsa_exception_fp_ieee_inexact 0
		.amdhsa_exception_int_div_zero 0
	.end_amdhsa_kernel
	.section	.text._ZN7rocprim17ROCPRIM_400000_NS6detail17trampoline_kernelINS0_14default_configENS1_35radix_sort_onesweep_config_selectorIiiEEZZNS1_29radix_sort_onesweep_iterationIS3_Lb1EN6thrust23THRUST_200600_302600_NS6detail15normal_iteratorINS8_10device_ptrIiEEEESD_SD_SD_jNS0_19identity_decomposerENS1_16block_id_wrapperIjLb1EEEEE10hipError_tT1_PNSt15iterator_traitsISI_E10value_typeET2_T3_PNSJ_ISO_E10value_typeET4_T5_PST_SU_PNS1_23onesweep_lookback_stateEbbT6_jjT7_P12ihipStream_tbENKUlT_T0_SI_SN_E_clIPiSD_S15_SD_EEDaS11_S12_SI_SN_EUlS11_E_NS1_11comp_targetILNS1_3genE0ELNS1_11target_archE4294967295ELNS1_3gpuE0ELNS1_3repE0EEENS1_47radix_sort_onesweep_sort_config_static_selectorELNS0_4arch9wavefront6targetE1EEEvSI_,"axG",@progbits,_ZN7rocprim17ROCPRIM_400000_NS6detail17trampoline_kernelINS0_14default_configENS1_35radix_sort_onesweep_config_selectorIiiEEZZNS1_29radix_sort_onesweep_iterationIS3_Lb1EN6thrust23THRUST_200600_302600_NS6detail15normal_iteratorINS8_10device_ptrIiEEEESD_SD_SD_jNS0_19identity_decomposerENS1_16block_id_wrapperIjLb1EEEEE10hipError_tT1_PNSt15iterator_traitsISI_E10value_typeET2_T3_PNSJ_ISO_E10value_typeET4_T5_PST_SU_PNS1_23onesweep_lookback_stateEbbT6_jjT7_P12ihipStream_tbENKUlT_T0_SI_SN_E_clIPiSD_S15_SD_EEDaS11_S12_SI_SN_EUlS11_E_NS1_11comp_targetILNS1_3genE0ELNS1_11target_archE4294967295ELNS1_3gpuE0ELNS1_3repE0EEENS1_47radix_sort_onesweep_sort_config_static_selectorELNS0_4arch9wavefront6targetE1EEEvSI_,comdat
.Lfunc_end1855:
	.size	_ZN7rocprim17ROCPRIM_400000_NS6detail17trampoline_kernelINS0_14default_configENS1_35radix_sort_onesweep_config_selectorIiiEEZZNS1_29radix_sort_onesweep_iterationIS3_Lb1EN6thrust23THRUST_200600_302600_NS6detail15normal_iteratorINS8_10device_ptrIiEEEESD_SD_SD_jNS0_19identity_decomposerENS1_16block_id_wrapperIjLb1EEEEE10hipError_tT1_PNSt15iterator_traitsISI_E10value_typeET2_T3_PNSJ_ISO_E10value_typeET4_T5_PST_SU_PNS1_23onesweep_lookback_stateEbbT6_jjT7_P12ihipStream_tbENKUlT_T0_SI_SN_E_clIPiSD_S15_SD_EEDaS11_S12_SI_SN_EUlS11_E_NS1_11comp_targetILNS1_3genE0ELNS1_11target_archE4294967295ELNS1_3gpuE0ELNS1_3repE0EEENS1_47radix_sort_onesweep_sort_config_static_selectorELNS0_4arch9wavefront6targetE1EEEvSI_, .Lfunc_end1855-_ZN7rocprim17ROCPRIM_400000_NS6detail17trampoline_kernelINS0_14default_configENS1_35radix_sort_onesweep_config_selectorIiiEEZZNS1_29radix_sort_onesweep_iterationIS3_Lb1EN6thrust23THRUST_200600_302600_NS6detail15normal_iteratorINS8_10device_ptrIiEEEESD_SD_SD_jNS0_19identity_decomposerENS1_16block_id_wrapperIjLb1EEEEE10hipError_tT1_PNSt15iterator_traitsISI_E10value_typeET2_T3_PNSJ_ISO_E10value_typeET4_T5_PST_SU_PNS1_23onesweep_lookback_stateEbbT6_jjT7_P12ihipStream_tbENKUlT_T0_SI_SN_E_clIPiSD_S15_SD_EEDaS11_S12_SI_SN_EUlS11_E_NS1_11comp_targetILNS1_3genE0ELNS1_11target_archE4294967295ELNS1_3gpuE0ELNS1_3repE0EEENS1_47radix_sort_onesweep_sort_config_static_selectorELNS0_4arch9wavefront6targetE1EEEvSI_
                                        ; -- End function
	.set _ZN7rocprim17ROCPRIM_400000_NS6detail17trampoline_kernelINS0_14default_configENS1_35radix_sort_onesweep_config_selectorIiiEEZZNS1_29radix_sort_onesweep_iterationIS3_Lb1EN6thrust23THRUST_200600_302600_NS6detail15normal_iteratorINS8_10device_ptrIiEEEESD_SD_SD_jNS0_19identity_decomposerENS1_16block_id_wrapperIjLb1EEEEE10hipError_tT1_PNSt15iterator_traitsISI_E10value_typeET2_T3_PNSJ_ISO_E10value_typeET4_T5_PST_SU_PNS1_23onesweep_lookback_stateEbbT6_jjT7_P12ihipStream_tbENKUlT_T0_SI_SN_E_clIPiSD_S15_SD_EEDaS11_S12_SI_SN_EUlS11_E_NS1_11comp_targetILNS1_3genE0ELNS1_11target_archE4294967295ELNS1_3gpuE0ELNS1_3repE0EEENS1_47radix_sort_onesweep_sort_config_static_selectorELNS0_4arch9wavefront6targetE1EEEvSI_.num_vgpr, 0
	.set _ZN7rocprim17ROCPRIM_400000_NS6detail17trampoline_kernelINS0_14default_configENS1_35radix_sort_onesweep_config_selectorIiiEEZZNS1_29radix_sort_onesweep_iterationIS3_Lb1EN6thrust23THRUST_200600_302600_NS6detail15normal_iteratorINS8_10device_ptrIiEEEESD_SD_SD_jNS0_19identity_decomposerENS1_16block_id_wrapperIjLb1EEEEE10hipError_tT1_PNSt15iterator_traitsISI_E10value_typeET2_T3_PNSJ_ISO_E10value_typeET4_T5_PST_SU_PNS1_23onesweep_lookback_stateEbbT6_jjT7_P12ihipStream_tbENKUlT_T0_SI_SN_E_clIPiSD_S15_SD_EEDaS11_S12_SI_SN_EUlS11_E_NS1_11comp_targetILNS1_3genE0ELNS1_11target_archE4294967295ELNS1_3gpuE0ELNS1_3repE0EEENS1_47radix_sort_onesweep_sort_config_static_selectorELNS0_4arch9wavefront6targetE1EEEvSI_.num_agpr, 0
	.set _ZN7rocprim17ROCPRIM_400000_NS6detail17trampoline_kernelINS0_14default_configENS1_35radix_sort_onesweep_config_selectorIiiEEZZNS1_29radix_sort_onesweep_iterationIS3_Lb1EN6thrust23THRUST_200600_302600_NS6detail15normal_iteratorINS8_10device_ptrIiEEEESD_SD_SD_jNS0_19identity_decomposerENS1_16block_id_wrapperIjLb1EEEEE10hipError_tT1_PNSt15iterator_traitsISI_E10value_typeET2_T3_PNSJ_ISO_E10value_typeET4_T5_PST_SU_PNS1_23onesweep_lookback_stateEbbT6_jjT7_P12ihipStream_tbENKUlT_T0_SI_SN_E_clIPiSD_S15_SD_EEDaS11_S12_SI_SN_EUlS11_E_NS1_11comp_targetILNS1_3genE0ELNS1_11target_archE4294967295ELNS1_3gpuE0ELNS1_3repE0EEENS1_47radix_sort_onesweep_sort_config_static_selectorELNS0_4arch9wavefront6targetE1EEEvSI_.numbered_sgpr, 0
	.set _ZN7rocprim17ROCPRIM_400000_NS6detail17trampoline_kernelINS0_14default_configENS1_35radix_sort_onesweep_config_selectorIiiEEZZNS1_29radix_sort_onesweep_iterationIS3_Lb1EN6thrust23THRUST_200600_302600_NS6detail15normal_iteratorINS8_10device_ptrIiEEEESD_SD_SD_jNS0_19identity_decomposerENS1_16block_id_wrapperIjLb1EEEEE10hipError_tT1_PNSt15iterator_traitsISI_E10value_typeET2_T3_PNSJ_ISO_E10value_typeET4_T5_PST_SU_PNS1_23onesweep_lookback_stateEbbT6_jjT7_P12ihipStream_tbENKUlT_T0_SI_SN_E_clIPiSD_S15_SD_EEDaS11_S12_SI_SN_EUlS11_E_NS1_11comp_targetILNS1_3genE0ELNS1_11target_archE4294967295ELNS1_3gpuE0ELNS1_3repE0EEENS1_47radix_sort_onesweep_sort_config_static_selectorELNS0_4arch9wavefront6targetE1EEEvSI_.num_named_barrier, 0
	.set _ZN7rocprim17ROCPRIM_400000_NS6detail17trampoline_kernelINS0_14default_configENS1_35radix_sort_onesweep_config_selectorIiiEEZZNS1_29radix_sort_onesweep_iterationIS3_Lb1EN6thrust23THRUST_200600_302600_NS6detail15normal_iteratorINS8_10device_ptrIiEEEESD_SD_SD_jNS0_19identity_decomposerENS1_16block_id_wrapperIjLb1EEEEE10hipError_tT1_PNSt15iterator_traitsISI_E10value_typeET2_T3_PNSJ_ISO_E10value_typeET4_T5_PST_SU_PNS1_23onesweep_lookback_stateEbbT6_jjT7_P12ihipStream_tbENKUlT_T0_SI_SN_E_clIPiSD_S15_SD_EEDaS11_S12_SI_SN_EUlS11_E_NS1_11comp_targetILNS1_3genE0ELNS1_11target_archE4294967295ELNS1_3gpuE0ELNS1_3repE0EEENS1_47radix_sort_onesweep_sort_config_static_selectorELNS0_4arch9wavefront6targetE1EEEvSI_.private_seg_size, 0
	.set _ZN7rocprim17ROCPRIM_400000_NS6detail17trampoline_kernelINS0_14default_configENS1_35radix_sort_onesweep_config_selectorIiiEEZZNS1_29radix_sort_onesweep_iterationIS3_Lb1EN6thrust23THRUST_200600_302600_NS6detail15normal_iteratorINS8_10device_ptrIiEEEESD_SD_SD_jNS0_19identity_decomposerENS1_16block_id_wrapperIjLb1EEEEE10hipError_tT1_PNSt15iterator_traitsISI_E10value_typeET2_T3_PNSJ_ISO_E10value_typeET4_T5_PST_SU_PNS1_23onesweep_lookback_stateEbbT6_jjT7_P12ihipStream_tbENKUlT_T0_SI_SN_E_clIPiSD_S15_SD_EEDaS11_S12_SI_SN_EUlS11_E_NS1_11comp_targetILNS1_3genE0ELNS1_11target_archE4294967295ELNS1_3gpuE0ELNS1_3repE0EEENS1_47radix_sort_onesweep_sort_config_static_selectorELNS0_4arch9wavefront6targetE1EEEvSI_.uses_vcc, 0
	.set _ZN7rocprim17ROCPRIM_400000_NS6detail17trampoline_kernelINS0_14default_configENS1_35radix_sort_onesweep_config_selectorIiiEEZZNS1_29radix_sort_onesweep_iterationIS3_Lb1EN6thrust23THRUST_200600_302600_NS6detail15normal_iteratorINS8_10device_ptrIiEEEESD_SD_SD_jNS0_19identity_decomposerENS1_16block_id_wrapperIjLb1EEEEE10hipError_tT1_PNSt15iterator_traitsISI_E10value_typeET2_T3_PNSJ_ISO_E10value_typeET4_T5_PST_SU_PNS1_23onesweep_lookback_stateEbbT6_jjT7_P12ihipStream_tbENKUlT_T0_SI_SN_E_clIPiSD_S15_SD_EEDaS11_S12_SI_SN_EUlS11_E_NS1_11comp_targetILNS1_3genE0ELNS1_11target_archE4294967295ELNS1_3gpuE0ELNS1_3repE0EEENS1_47radix_sort_onesweep_sort_config_static_selectorELNS0_4arch9wavefront6targetE1EEEvSI_.uses_flat_scratch, 0
	.set _ZN7rocprim17ROCPRIM_400000_NS6detail17trampoline_kernelINS0_14default_configENS1_35radix_sort_onesweep_config_selectorIiiEEZZNS1_29radix_sort_onesweep_iterationIS3_Lb1EN6thrust23THRUST_200600_302600_NS6detail15normal_iteratorINS8_10device_ptrIiEEEESD_SD_SD_jNS0_19identity_decomposerENS1_16block_id_wrapperIjLb1EEEEE10hipError_tT1_PNSt15iterator_traitsISI_E10value_typeET2_T3_PNSJ_ISO_E10value_typeET4_T5_PST_SU_PNS1_23onesweep_lookback_stateEbbT6_jjT7_P12ihipStream_tbENKUlT_T0_SI_SN_E_clIPiSD_S15_SD_EEDaS11_S12_SI_SN_EUlS11_E_NS1_11comp_targetILNS1_3genE0ELNS1_11target_archE4294967295ELNS1_3gpuE0ELNS1_3repE0EEENS1_47radix_sort_onesweep_sort_config_static_selectorELNS0_4arch9wavefront6targetE1EEEvSI_.has_dyn_sized_stack, 0
	.set _ZN7rocprim17ROCPRIM_400000_NS6detail17trampoline_kernelINS0_14default_configENS1_35radix_sort_onesweep_config_selectorIiiEEZZNS1_29radix_sort_onesweep_iterationIS3_Lb1EN6thrust23THRUST_200600_302600_NS6detail15normal_iteratorINS8_10device_ptrIiEEEESD_SD_SD_jNS0_19identity_decomposerENS1_16block_id_wrapperIjLb1EEEEE10hipError_tT1_PNSt15iterator_traitsISI_E10value_typeET2_T3_PNSJ_ISO_E10value_typeET4_T5_PST_SU_PNS1_23onesweep_lookback_stateEbbT6_jjT7_P12ihipStream_tbENKUlT_T0_SI_SN_E_clIPiSD_S15_SD_EEDaS11_S12_SI_SN_EUlS11_E_NS1_11comp_targetILNS1_3genE0ELNS1_11target_archE4294967295ELNS1_3gpuE0ELNS1_3repE0EEENS1_47radix_sort_onesweep_sort_config_static_selectorELNS0_4arch9wavefront6targetE1EEEvSI_.has_recursion, 0
	.set _ZN7rocprim17ROCPRIM_400000_NS6detail17trampoline_kernelINS0_14default_configENS1_35radix_sort_onesweep_config_selectorIiiEEZZNS1_29radix_sort_onesweep_iterationIS3_Lb1EN6thrust23THRUST_200600_302600_NS6detail15normal_iteratorINS8_10device_ptrIiEEEESD_SD_SD_jNS0_19identity_decomposerENS1_16block_id_wrapperIjLb1EEEEE10hipError_tT1_PNSt15iterator_traitsISI_E10value_typeET2_T3_PNSJ_ISO_E10value_typeET4_T5_PST_SU_PNS1_23onesweep_lookback_stateEbbT6_jjT7_P12ihipStream_tbENKUlT_T0_SI_SN_E_clIPiSD_S15_SD_EEDaS11_S12_SI_SN_EUlS11_E_NS1_11comp_targetILNS1_3genE0ELNS1_11target_archE4294967295ELNS1_3gpuE0ELNS1_3repE0EEENS1_47radix_sort_onesweep_sort_config_static_selectorELNS0_4arch9wavefront6targetE1EEEvSI_.has_indirect_call, 0
	.section	.AMDGPU.csdata,"",@progbits
; Kernel info:
; codeLenInByte = 0
; TotalNumSgprs: 6
; NumVgprs: 0
; NumAgprs: 0
; TotalNumVgprs: 0
; ScratchSize: 0
; MemoryBound: 0
; FloatMode: 240
; IeeeMode: 1
; LDSByteSize: 0 bytes/workgroup (compile time only)
; SGPRBlocks: 0
; VGPRBlocks: 0
; NumSGPRsForWavesPerEU: 6
; NumVGPRsForWavesPerEU: 1
; AccumOffset: 4
; Occupancy: 8
; WaveLimiterHint : 0
; COMPUTE_PGM_RSRC2:SCRATCH_EN: 0
; COMPUTE_PGM_RSRC2:USER_SGPR: 2
; COMPUTE_PGM_RSRC2:TRAP_HANDLER: 0
; COMPUTE_PGM_RSRC2:TGID_X_EN: 1
; COMPUTE_PGM_RSRC2:TGID_Y_EN: 0
; COMPUTE_PGM_RSRC2:TGID_Z_EN: 0
; COMPUTE_PGM_RSRC2:TIDIG_COMP_CNT: 0
; COMPUTE_PGM_RSRC3_GFX90A:ACCUM_OFFSET: 0
; COMPUTE_PGM_RSRC3_GFX90A:TG_SPLIT: 0
	.section	.text._ZN7rocprim17ROCPRIM_400000_NS6detail17trampoline_kernelINS0_14default_configENS1_35radix_sort_onesweep_config_selectorIiiEEZZNS1_29radix_sort_onesweep_iterationIS3_Lb1EN6thrust23THRUST_200600_302600_NS6detail15normal_iteratorINS8_10device_ptrIiEEEESD_SD_SD_jNS0_19identity_decomposerENS1_16block_id_wrapperIjLb1EEEEE10hipError_tT1_PNSt15iterator_traitsISI_E10value_typeET2_T3_PNSJ_ISO_E10value_typeET4_T5_PST_SU_PNS1_23onesweep_lookback_stateEbbT6_jjT7_P12ihipStream_tbENKUlT_T0_SI_SN_E_clIPiSD_S15_SD_EEDaS11_S12_SI_SN_EUlS11_E_NS1_11comp_targetILNS1_3genE6ELNS1_11target_archE950ELNS1_3gpuE13ELNS1_3repE0EEENS1_47radix_sort_onesweep_sort_config_static_selectorELNS0_4arch9wavefront6targetE1EEEvSI_,"axG",@progbits,_ZN7rocprim17ROCPRIM_400000_NS6detail17trampoline_kernelINS0_14default_configENS1_35radix_sort_onesweep_config_selectorIiiEEZZNS1_29radix_sort_onesweep_iterationIS3_Lb1EN6thrust23THRUST_200600_302600_NS6detail15normal_iteratorINS8_10device_ptrIiEEEESD_SD_SD_jNS0_19identity_decomposerENS1_16block_id_wrapperIjLb1EEEEE10hipError_tT1_PNSt15iterator_traitsISI_E10value_typeET2_T3_PNSJ_ISO_E10value_typeET4_T5_PST_SU_PNS1_23onesweep_lookback_stateEbbT6_jjT7_P12ihipStream_tbENKUlT_T0_SI_SN_E_clIPiSD_S15_SD_EEDaS11_S12_SI_SN_EUlS11_E_NS1_11comp_targetILNS1_3genE6ELNS1_11target_archE950ELNS1_3gpuE13ELNS1_3repE0EEENS1_47radix_sort_onesweep_sort_config_static_selectorELNS0_4arch9wavefront6targetE1EEEvSI_,comdat
	.protected	_ZN7rocprim17ROCPRIM_400000_NS6detail17trampoline_kernelINS0_14default_configENS1_35radix_sort_onesweep_config_selectorIiiEEZZNS1_29radix_sort_onesweep_iterationIS3_Lb1EN6thrust23THRUST_200600_302600_NS6detail15normal_iteratorINS8_10device_ptrIiEEEESD_SD_SD_jNS0_19identity_decomposerENS1_16block_id_wrapperIjLb1EEEEE10hipError_tT1_PNSt15iterator_traitsISI_E10value_typeET2_T3_PNSJ_ISO_E10value_typeET4_T5_PST_SU_PNS1_23onesweep_lookback_stateEbbT6_jjT7_P12ihipStream_tbENKUlT_T0_SI_SN_E_clIPiSD_S15_SD_EEDaS11_S12_SI_SN_EUlS11_E_NS1_11comp_targetILNS1_3genE6ELNS1_11target_archE950ELNS1_3gpuE13ELNS1_3repE0EEENS1_47radix_sort_onesweep_sort_config_static_selectorELNS0_4arch9wavefront6targetE1EEEvSI_ ; -- Begin function _ZN7rocprim17ROCPRIM_400000_NS6detail17trampoline_kernelINS0_14default_configENS1_35radix_sort_onesweep_config_selectorIiiEEZZNS1_29radix_sort_onesweep_iterationIS3_Lb1EN6thrust23THRUST_200600_302600_NS6detail15normal_iteratorINS8_10device_ptrIiEEEESD_SD_SD_jNS0_19identity_decomposerENS1_16block_id_wrapperIjLb1EEEEE10hipError_tT1_PNSt15iterator_traitsISI_E10value_typeET2_T3_PNSJ_ISO_E10value_typeET4_T5_PST_SU_PNS1_23onesweep_lookback_stateEbbT6_jjT7_P12ihipStream_tbENKUlT_T0_SI_SN_E_clIPiSD_S15_SD_EEDaS11_S12_SI_SN_EUlS11_E_NS1_11comp_targetILNS1_3genE6ELNS1_11target_archE950ELNS1_3gpuE13ELNS1_3repE0EEENS1_47radix_sort_onesweep_sort_config_static_selectorELNS0_4arch9wavefront6targetE1EEEvSI_
	.globl	_ZN7rocprim17ROCPRIM_400000_NS6detail17trampoline_kernelINS0_14default_configENS1_35radix_sort_onesweep_config_selectorIiiEEZZNS1_29radix_sort_onesweep_iterationIS3_Lb1EN6thrust23THRUST_200600_302600_NS6detail15normal_iteratorINS8_10device_ptrIiEEEESD_SD_SD_jNS0_19identity_decomposerENS1_16block_id_wrapperIjLb1EEEEE10hipError_tT1_PNSt15iterator_traitsISI_E10value_typeET2_T3_PNSJ_ISO_E10value_typeET4_T5_PST_SU_PNS1_23onesweep_lookback_stateEbbT6_jjT7_P12ihipStream_tbENKUlT_T0_SI_SN_E_clIPiSD_S15_SD_EEDaS11_S12_SI_SN_EUlS11_E_NS1_11comp_targetILNS1_3genE6ELNS1_11target_archE950ELNS1_3gpuE13ELNS1_3repE0EEENS1_47radix_sort_onesweep_sort_config_static_selectorELNS0_4arch9wavefront6targetE1EEEvSI_
	.p2align	8
	.type	_ZN7rocprim17ROCPRIM_400000_NS6detail17trampoline_kernelINS0_14default_configENS1_35radix_sort_onesweep_config_selectorIiiEEZZNS1_29radix_sort_onesweep_iterationIS3_Lb1EN6thrust23THRUST_200600_302600_NS6detail15normal_iteratorINS8_10device_ptrIiEEEESD_SD_SD_jNS0_19identity_decomposerENS1_16block_id_wrapperIjLb1EEEEE10hipError_tT1_PNSt15iterator_traitsISI_E10value_typeET2_T3_PNSJ_ISO_E10value_typeET4_T5_PST_SU_PNS1_23onesweep_lookback_stateEbbT6_jjT7_P12ihipStream_tbENKUlT_T0_SI_SN_E_clIPiSD_S15_SD_EEDaS11_S12_SI_SN_EUlS11_E_NS1_11comp_targetILNS1_3genE6ELNS1_11target_archE950ELNS1_3gpuE13ELNS1_3repE0EEENS1_47radix_sort_onesweep_sort_config_static_selectorELNS0_4arch9wavefront6targetE1EEEvSI_,@function
_ZN7rocprim17ROCPRIM_400000_NS6detail17trampoline_kernelINS0_14default_configENS1_35radix_sort_onesweep_config_selectorIiiEEZZNS1_29radix_sort_onesweep_iterationIS3_Lb1EN6thrust23THRUST_200600_302600_NS6detail15normal_iteratorINS8_10device_ptrIiEEEESD_SD_SD_jNS0_19identity_decomposerENS1_16block_id_wrapperIjLb1EEEEE10hipError_tT1_PNSt15iterator_traitsISI_E10value_typeET2_T3_PNSJ_ISO_E10value_typeET4_T5_PST_SU_PNS1_23onesweep_lookback_stateEbbT6_jjT7_P12ihipStream_tbENKUlT_T0_SI_SN_E_clIPiSD_S15_SD_EEDaS11_S12_SI_SN_EUlS11_E_NS1_11comp_targetILNS1_3genE6ELNS1_11target_archE950ELNS1_3gpuE13ELNS1_3repE0EEENS1_47radix_sort_onesweep_sort_config_static_selectorELNS0_4arch9wavefront6targetE1EEEvSI_: ; @_ZN7rocprim17ROCPRIM_400000_NS6detail17trampoline_kernelINS0_14default_configENS1_35radix_sort_onesweep_config_selectorIiiEEZZNS1_29radix_sort_onesweep_iterationIS3_Lb1EN6thrust23THRUST_200600_302600_NS6detail15normal_iteratorINS8_10device_ptrIiEEEESD_SD_SD_jNS0_19identity_decomposerENS1_16block_id_wrapperIjLb1EEEEE10hipError_tT1_PNSt15iterator_traitsISI_E10value_typeET2_T3_PNSJ_ISO_E10value_typeET4_T5_PST_SU_PNS1_23onesweep_lookback_stateEbbT6_jjT7_P12ihipStream_tbENKUlT_T0_SI_SN_E_clIPiSD_S15_SD_EEDaS11_S12_SI_SN_EUlS11_E_NS1_11comp_targetILNS1_3genE6ELNS1_11target_archE950ELNS1_3gpuE13ELNS1_3repE0EEENS1_47radix_sort_onesweep_sort_config_static_selectorELNS0_4arch9wavefront6targetE1EEEvSI_
; %bb.0:
	s_load_dwordx4 s[60:63], s[0:1], 0x28
	s_load_dwordx2 s[68:69], s[0:1], 0x38
	s_load_dwordx4 s[64:67], s[0:1], 0x44
	v_and_b32_e32 v2, 0x3ff, v0
	v_cmp_eq_u32_e64 s[44:45], 0, v2
	s_and_saveexec_b64 s[4:5], s[44:45]
	s_cbranch_execz .LBB1856_4
; %bb.1:
	s_mov_b64 s[8:9], exec
	v_mbcnt_lo_u32_b32 v1, s8, 0
	v_mbcnt_hi_u32_b32 v1, s9, v1
	v_cmp_eq_u32_e32 vcc, 0, v1
                                        ; implicit-def: $vgpr3
	s_and_saveexec_b64 s[6:7], vcc
	s_cbranch_execz .LBB1856_3
; %bb.2:
	s_load_dwordx2 s[10:11], s[0:1], 0x50
	s_bcnt1_i32_b64 s3, s[8:9]
	v_mov_b32_e32 v3, 0
	v_mov_b32_e32 v4, s3
	s_waitcnt lgkmcnt(0)
	global_atomic_add v3, v3, v4, s[10:11] sc0
.LBB1856_3:
	s_or_b64 exec, exec, s[6:7]
	s_waitcnt vmcnt(0)
	v_readfirstlane_b32 s3, v3
	v_mov_b32_e32 v3, 0
	s_nop 0
	v_add_u32_e32 v1, s3, v1
	ds_write_b32 v3, v1 offset:20544
.LBB1856_4:
	s_or_b64 exec, exec, s[4:5]
	v_mov_b32_e32 v5, 0
	s_load_dwordx8 s[52:59], s[0:1], 0x0
	s_load_dword s3, s[0:1], 0x20
	s_waitcnt lgkmcnt(0)
	s_barrier
	ds_read_b32 v1, v5 offset:20544
	s_mov_b64 s[4:5], -1
	v_mbcnt_lo_u32_b32 v3, -1, 0
	s_waitcnt lgkmcnt(0)
	s_barrier
	v_cmp_le_u32_e32 vcc, s66, v1
	v_readfirstlane_b32 s33, v1
	v_lshlrev_b32_e32 v1, 4, v2
	s_cbranch_vccz .LBB1856_208
; %bb.5:
	s_lshl_b32 s4, s66, 14
	s_sub_i32 s3, s3, s4
	s_lshl_b32 s4, s33, 14
	s_mov_b32 s5, 0
	s_lshl_b64 s[66:67], s[4:5], 2
	v_mbcnt_hi_u32_b32 v12, -1, v3
	s_add_u32 s4, s52, s66
	v_and_b32_e32 v10, 63, v12
	s_addc_u32 s5, s53, s67
	v_and_b32_e32 v11, 0x3c00, v1
	v_lshlrev_b32_e32 v4, 2, v10
	v_lshl_add_u64 v[8:9], s[4:5], 0, v[4:5]
	v_lshlrev_b32_e32 v6, 2, v11
	v_mov_b32_e32 v7, v5
	v_or_b32_e32 v10, v10, v11
	v_mov_b32_e32 v14, -1
	v_lshl_add_u64 v[8:9], v[8:9], 0, v[6:7]
	v_cmp_gt_u32_e32 vcc, s3, v10
	v_mov_b32_e32 v5, -1
	s_and_saveexec_b64 s[4:5], vcc
	s_cbranch_execz .LBB1856_7
; %bb.6:
	global_load_dword v5, v[8:9], off
	s_waitcnt vmcnt(0)
	v_xor_b32_e32 v5, 0x7fffffff, v5
.LBB1856_7:
	s_or_b64 exec, exec, s[4:5]
	v_or_b32_e32 v7, 64, v10
	v_cmp_gt_u32_e64 s[4:5], s3, v7
	s_and_saveexec_b64 s[6:7], s[4:5]
	s_cbranch_execz .LBB1856_9
; %bb.8:
	global_load_dword v7, v[8:9], off offset:256
	s_waitcnt vmcnt(0)
	v_xor_b32_e32 v14, 0x7fffffff, v7
.LBB1856_9:
	s_or_b64 exec, exec, s[6:7]
	v_or_b32_e32 v7, 0x80, v10
	v_cmp_gt_u32_e64 s[6:7], s3, v7
	v_mov_b32_e32 v7, -1
	v_mov_b32_e32 v15, -1
	s_and_saveexec_b64 s[8:9], s[6:7]
	s_cbranch_execz .LBB1856_11
; %bb.10:
	global_load_dword v11, v[8:9], off offset:512
	s_waitcnt vmcnt(0)
	v_xor_b32_e32 v15, 0x7fffffff, v11
.LBB1856_11:
	s_or_b64 exec, exec, s[8:9]
	v_or_b32_e32 v11, 0xc0, v10
	v_cmp_gt_u32_e64 s[8:9], s3, v11
	s_and_saveexec_b64 s[10:11], s[8:9]
	s_cbranch_execz .LBB1856_13
; %bb.12:
	global_load_dword v7, v[8:9], off offset:768
	s_waitcnt vmcnt(0)
	v_xor_b32_e32 v7, 0x7fffffff, v7
.LBB1856_13:
	s_or_b64 exec, exec, s[10:11]
	v_or_b32_e32 v11, 0x100, v10
	v_cmp_gt_u32_e64 s[10:11], s3, v11
	v_mov_b32_e32 v16, -1
	v_mov_b32_e32 v17, -1
	s_and_saveexec_b64 s[12:13], s[10:11]
	s_cbranch_execz .LBB1856_15
; %bb.14:
	global_load_dword v11, v[8:9], off offset:1024
	s_waitcnt vmcnt(0)
	v_xor_b32_e32 v17, 0x7fffffff, v11
.LBB1856_15:
	;; [unrolled: 22-line block ×7, first 2 shown]
	s_or_b64 exec, exec, s[34:35]
	v_or_b32_e32 v10, 0x3c0, v10
	v_cmp_gt_u32_e64 s[34:35], s3, v10
	s_and_saveexec_b64 s[36:37], s[34:35]
	s_cbranch_execz .LBB1856_37
; %bb.36:
	global_load_dword v8, v[8:9], off offset:3840
	s_waitcnt vmcnt(0)
	v_xor_b32_e32 v26, 0x7fffffff, v8
.LBB1856_37:
	s_or_b64 exec, exec, s[36:37]
	s_load_dword s36, s[0:1], 0x64
	s_load_dword s70, s[0:1], 0x58
	s_add_u32 s37, s0, 0x58
	s_addc_u32 s38, s1, 0
	v_mov_b32_e32 v9, 0
	s_waitcnt lgkmcnt(0)
	s_lshr_b32 s39, s36, 16
	s_cmp_lt_u32 s2, s70
	s_cselect_b32 s36, 12, 18
	s_add_u32 s36, s37, s36
	s_addc_u32 s37, s38, 0
	global_load_ushort v40, v9, s[36:37]
	v_lshrrev_b32_e32 v29, s64, v5
	s_lshl_b32 s36, -1, s65
	v_bfe_u32 v8, v0, 10, 10
	v_bfe_u32 v11, v0, 20, 10
	v_bitop3_b32 v38, v29, s36, v29 bitop3:0x30
	s_movk_i32 s72, 0x44
	v_mad_u32_u24 v42, v11, s39, v8
	v_and_b32_e32 v8, 1, v38
	v_lshlrev_b32_e32 v11, 30, v38
	v_mov_b32_e32 v10, v9
	v_mov_b32_e32 v30, v9
	s_not_b32 s71, s36
	v_mul_lo_u32 v43, v38, s72
	v_lshlrev_b32_e32 v29, 29, v38
	v_lshlrev_b32_e32 v31, 28, v38
	v_lshlrev_b32_e32 v33, 27, v38
	v_lshlrev_b32_e32 v35, 26, v38
	v_lshlrev_b32_e32 v37, 25, v38
	v_lshlrev_b32_e32 v41, 24, v38
	v_lshl_add_u64 v[38:39], v[8:9], 0, -1
	v_cmp_ne_u32_e64 s[36:37], 0, v8
	v_not_b32_e32 v8, v11
	v_mov_b32_e32 v28, v9
	v_mov_b32_e32 v32, v9
	v_cmp_gt_i64_e64 s[38:39], 0, v[10:11]
	v_not_b32_e32 v10, v29
	v_cmp_gt_i64_e64 s[42:43], 0, v[30:31]
	v_not_b32_e32 v11, v31
	v_xor_b32_e32 v31, s37, v39
	v_ashrrev_i32_e32 v8, 31, v8
	v_mov_b32_e32 v34, v9
	v_cmp_gt_i64_e64 s[40:41], 0, v[28:29]
	v_cmp_gt_i64_e64 s[46:47], 0, v[32:33]
	v_not_b32_e32 v28, v33
	v_xor_b32_e32 v32, s36, v38
	v_ashrrev_i32_e32 v10, 31, v10
	v_and_b32_e32 v31, exec_hi, v31
	v_xor_b32_e32 v33, s39, v8
	v_cmp_gt_i64_e64 s[48:49], 0, v[34:35]
	v_ashrrev_i32_e32 v11, 31, v11
	v_and_b32_e32 v32, exec_lo, v32
	v_xor_b32_e32 v8, s38, v8
	v_xor_b32_e32 v34, s41, v10
	v_and_b32_e32 v31, v31, v33
	v_mov_b32_e32 v36, v9
	v_not_b32_e32 v29, v35
	v_ashrrev_i32_e32 v28, 31, v28
	v_xor_b32_e32 v10, s40, v10
	v_xor_b32_e32 v35, s43, v11
	v_and_b32_e32 v8, v32, v8
	v_and_b32_e32 v31, v31, v34
	v_cmp_gt_i64_e64 s[50:51], 0, v[36:37]
	v_not_b32_e32 v30, v37
	v_ashrrev_i32_e32 v29, 31, v29
	v_xor_b32_e32 v36, s47, v28
	v_and_b32_e32 v8, v8, v10
	v_and_b32_e32 v10, v31, v35
	v_ashrrev_i32_e32 v30, 31, v30
	v_xor_b32_e32 v11, s42, v11
	v_xor_b32_e32 v37, s49, v29
	v_and_b32_e32 v10, v10, v36
	v_xor_b32_e32 v28, s46, v28
	v_xor_b32_e32 v38, s51, v30
	v_and_b32_e32 v8, v8, v11
	v_and_b32_e32 v10, v10, v37
	;; [unrolled: 1-line block ×4, first 2 shown]
	v_xor_b32_e32 v29, s48, v29
	v_xor_b32_e32 v30, s50, v30
	v_and_b32_e32 v8, v8, v29
	v_and_b32_e32 v8, v8, v30
	v_mul_u32_u24_e32 v13, 20, v2
	ds_write2_b32 v13, v9, v9 offset0:16 offset1:17
	ds_write2_b32 v13, v9, v9 offset0:18 offset1:19
	ds_write_b32 v13, v9 offset:80
	s_waitcnt lgkmcnt(0)
	s_barrier
	s_waitcnt vmcnt(0)
	; wave barrier
	v_mad_u64_u32 v[10:11], s[36:37], v42, v40, v[2:3]
	v_lshrrev_b32_e32 v39, 6, v10
	v_mov_b32_e32 v40, v9
	v_not_b32_e32 v10, v41
	v_cmp_gt_i64_e64 s[36:37], 0, v[40:41]
	v_ashrrev_i32_e32 v10, 31, v10
	v_lshl_add_u32 v32, v39, 2, v43
	v_xor_b32_e32 v11, s37, v10
	v_xor_b32_e32 v10, s36, v10
	v_and_b32_e32 v10, v8, v10
	v_and_b32_e32 v11, v28, v11
	v_mbcnt_lo_u32_b32 v8, v10, 0
	v_mbcnt_hi_u32_b32 v29, v11, v8
	v_cmp_eq_u32_e64 s[36:37], 0, v29
	v_cmp_ne_u64_e64 s[38:39], 0, v[10:11]
	s_and_b64 s[38:39], s[38:39], s[36:37]
	s_and_saveexec_b64 s[36:37], s[38:39]
; %bb.38:
	v_bcnt_u32_b32 v8, v10, 0
	v_bcnt_u32_b32 v8, v11, v8
	ds_write_b32 v32, v8 offset:64
; %bb.39:
	s_or_b64 exec, exec, s[36:37]
	v_lshrrev_b32_e32 v8, s64, v14
	v_and_b32_e32 v30, s71, v8
	v_mul_lo_u32 v8, v30, s72
	v_lshl_add_u32 v34, v39, 2, v8
	v_and_b32_e32 v8, 1, v30
	v_lshl_add_u64 v[10:11], v[8:9], 0, -1
	v_cmp_ne_u32_e64 s[36:37], 0, v8
	; wave barrier
	s_nop 1
	v_xor_b32_e32 v10, s36, v10
	v_xor_b32_e32 v8, s37, v11
	v_and_b32_e32 v31, exec_lo, v10
	v_lshlrev_b32_e32 v11, 30, v30
	v_mov_b32_e32 v10, v9
	v_cmp_gt_i64_e64 s[36:37], 0, v[10:11]
	v_not_b32_e32 v10, v11
	v_ashrrev_i32_e32 v10, 31, v10
	v_and_b32_e32 v8, exec_hi, v8
	v_xor_b32_e32 v11, s37, v10
	v_xor_b32_e32 v10, s36, v10
	v_and_b32_e32 v8, v8, v11
	v_and_b32_e32 v31, v31, v10
	v_lshlrev_b32_e32 v11, 29, v30
	v_mov_b32_e32 v10, v9
	v_cmp_gt_i64_e64 s[36:37], 0, v[10:11]
	v_not_b32_e32 v10, v11
	v_ashrrev_i32_e32 v10, 31, v10
	v_xor_b32_e32 v11, s37, v10
	v_xor_b32_e32 v10, s36, v10
	v_and_b32_e32 v8, v8, v11
	v_and_b32_e32 v31, v31, v10
	v_lshlrev_b32_e32 v11, 28, v30
	v_mov_b32_e32 v10, v9
	v_cmp_gt_i64_e64 s[36:37], 0, v[10:11]
	v_not_b32_e32 v10, v11
	v_ashrrev_i32_e32 v10, 31, v10
	;; [unrolled: 9-line block ×5, first 2 shown]
	v_xor_b32_e32 v11, s37, v10
	v_xor_b32_e32 v10, s36, v10
	v_and_b32_e32 v8, v8, v11
	v_lshlrev_b32_e32 v11, 24, v30
	v_and_b32_e32 v31, v31, v10
	v_mov_b32_e32 v10, v9
	v_not_b32_e32 v9, v11
	v_cmp_gt_i64_e64 s[36:37], 0, v[10:11]
	v_ashrrev_i32_e32 v9, 31, v9
	ds_read_b32 v28, v34 offset:64
	v_xor_b32_e32 v10, s37, v9
	v_xor_b32_e32 v11, s36, v9
	v_and_b32_e32 v9, v8, v10
	v_and_b32_e32 v8, v31, v11
	v_mbcnt_lo_u32_b32 v10, v8, 0
	v_mbcnt_hi_u32_b32 v30, v9, v10
	v_cmp_eq_u32_e64 s[36:37], 0, v30
	v_cmp_ne_u64_e64 s[38:39], 0, v[8:9]
	s_and_b64 s[38:39], s[38:39], s[36:37]
	; wave barrier
	s_and_saveexec_b64 s[36:37], s[38:39]
	s_cbranch_execz .LBB1856_41
; %bb.40:
	v_bcnt_u32_b32 v8, v8, 0
	v_bcnt_u32_b32 v8, v9, v8
	s_waitcnt lgkmcnt(0)
	v_add_u32_e32 v8, v28, v8
	ds_write_b32 v34, v8 offset:64
.LBB1856_41:
	s_or_b64 exec, exec, s[36:37]
	v_lshrrev_b32_e32 v8, s64, v15
	v_and_b32_e32 v33, s71, v8
	s_movk_i32 s40, 0x44
	v_mul_lo_u32 v8, v33, s40
	v_lshl_add_u32 v37, v39, 2, v8
	v_and_b32_e32 v8, 1, v33
	v_mov_b32_e32 v9, 0
	v_lshl_add_u64 v[10:11], v[8:9], 0, -1
	v_cmp_ne_u32_e64 s[36:37], 0, v8
	; wave barrier
	s_nop 1
	v_xor_b32_e32 v10, s36, v10
	v_xor_b32_e32 v8, s37, v11
	v_and_b32_e32 v35, exec_lo, v10
	v_lshlrev_b32_e32 v11, 30, v33
	v_mov_b32_e32 v10, v9
	v_cmp_gt_i64_e64 s[36:37], 0, v[10:11]
	v_not_b32_e32 v10, v11
	v_ashrrev_i32_e32 v10, 31, v10
	v_and_b32_e32 v8, exec_hi, v8
	v_xor_b32_e32 v11, s37, v10
	v_xor_b32_e32 v10, s36, v10
	v_and_b32_e32 v8, v8, v11
	v_and_b32_e32 v35, v35, v10
	v_lshlrev_b32_e32 v11, 29, v33
	v_mov_b32_e32 v10, v9
	v_cmp_gt_i64_e64 s[36:37], 0, v[10:11]
	v_not_b32_e32 v10, v11
	v_ashrrev_i32_e32 v10, 31, v10
	v_xor_b32_e32 v11, s37, v10
	v_xor_b32_e32 v10, s36, v10
	v_and_b32_e32 v8, v8, v11
	v_and_b32_e32 v35, v35, v10
	v_lshlrev_b32_e32 v11, 28, v33
	v_mov_b32_e32 v10, v9
	v_cmp_gt_i64_e64 s[36:37], 0, v[10:11]
	v_not_b32_e32 v10, v11
	v_ashrrev_i32_e32 v10, 31, v10
	;; [unrolled: 9-line block ×6, first 2 shown]
	v_xor_b32_e32 v11, s37, v10
	v_xor_b32_e32 v10, s36, v10
	ds_read_b32 v31, v37 offset:64
	v_and_b32_e32 v10, v35, v10
	v_and_b32_e32 v11, v8, v11
	v_mbcnt_lo_u32_b32 v8, v10, 0
	v_mbcnt_hi_u32_b32 v33, v11, v8
	v_cmp_eq_u32_e64 s[36:37], 0, v33
	v_cmp_ne_u64_e64 s[38:39], 0, v[10:11]
	s_and_b64 s[38:39], s[38:39], s[36:37]
	; wave barrier
	s_and_saveexec_b64 s[36:37], s[38:39]
	s_cbranch_execz .LBB1856_43
; %bb.42:
	v_bcnt_u32_b32 v8, v10, 0
	v_bcnt_u32_b32 v8, v11, v8
	s_waitcnt lgkmcnt(0)
	v_add_u32_e32 v8, v31, v8
	ds_write_b32 v37, v8 offset:64
.LBB1856_43:
	s_or_b64 exec, exec, s[36:37]
	v_lshrrev_b32_e32 v8, s64, v7
	v_and_b32_e32 v36, s71, v8
	v_mul_lo_u32 v8, v36, s40
	v_lshl_add_u32 v41, v39, 2, v8
	v_and_b32_e32 v8, 1, v36
	v_lshl_add_u64 v[10:11], v[8:9], 0, -1
	v_cmp_ne_u32_e64 s[36:37], 0, v8
	; wave barrier
	s_nop 1
	v_xor_b32_e32 v10, s36, v10
	v_xor_b32_e32 v8, s37, v11
	v_and_b32_e32 v38, exec_lo, v10
	v_lshlrev_b32_e32 v11, 30, v36
	v_mov_b32_e32 v10, v9
	v_cmp_gt_i64_e64 s[36:37], 0, v[10:11]
	v_not_b32_e32 v10, v11
	v_ashrrev_i32_e32 v10, 31, v10
	v_and_b32_e32 v8, exec_hi, v8
	v_xor_b32_e32 v11, s37, v10
	v_xor_b32_e32 v10, s36, v10
	v_and_b32_e32 v8, v8, v11
	v_and_b32_e32 v38, v38, v10
	v_lshlrev_b32_e32 v11, 29, v36
	v_mov_b32_e32 v10, v9
	v_cmp_gt_i64_e64 s[36:37], 0, v[10:11]
	v_not_b32_e32 v10, v11
	v_ashrrev_i32_e32 v10, 31, v10
	v_xor_b32_e32 v11, s37, v10
	v_xor_b32_e32 v10, s36, v10
	v_and_b32_e32 v8, v8, v11
	v_and_b32_e32 v38, v38, v10
	v_lshlrev_b32_e32 v11, 28, v36
	v_mov_b32_e32 v10, v9
	v_cmp_gt_i64_e64 s[36:37], 0, v[10:11]
	v_not_b32_e32 v10, v11
	v_ashrrev_i32_e32 v10, 31, v10
	v_xor_b32_e32 v11, s37, v10
	v_xor_b32_e32 v10, s36, v10
	v_and_b32_e32 v8, v8, v11
	v_and_b32_e32 v38, v38, v10
	v_lshlrev_b32_e32 v11, 27, v36
	v_mov_b32_e32 v10, v9
	v_cmp_gt_i64_e64 s[36:37], 0, v[10:11]
	v_not_b32_e32 v10, v11
	v_ashrrev_i32_e32 v10, 31, v10
	v_xor_b32_e32 v11, s37, v10
	v_xor_b32_e32 v10, s36, v10
	v_and_b32_e32 v8, v8, v11
	v_and_b32_e32 v38, v38, v10
	v_lshlrev_b32_e32 v11, 26, v36
	v_mov_b32_e32 v10, v9
	v_cmp_gt_i64_e64 s[36:37], 0, v[10:11]
	v_not_b32_e32 v10, v11
	v_ashrrev_i32_e32 v10, 31, v10
	v_xor_b32_e32 v11, s37, v10
	v_xor_b32_e32 v10, s36, v10
	v_and_b32_e32 v8, v8, v11
	v_and_b32_e32 v38, v38, v10
	v_lshlrev_b32_e32 v11, 25, v36
	v_mov_b32_e32 v10, v9
	v_cmp_gt_i64_e64 s[36:37], 0, v[10:11]
	v_not_b32_e32 v10, v11
	v_ashrrev_i32_e32 v10, 31, v10
	v_xor_b32_e32 v11, s37, v10
	v_xor_b32_e32 v10, s36, v10
	v_and_b32_e32 v8, v8, v11
	v_lshlrev_b32_e32 v11, 24, v36
	v_and_b32_e32 v38, v38, v10
	v_mov_b32_e32 v10, v9
	v_not_b32_e32 v9, v11
	v_cmp_gt_i64_e64 s[36:37], 0, v[10:11]
	v_ashrrev_i32_e32 v9, 31, v9
	ds_read_b32 v35, v41 offset:64
	v_xor_b32_e32 v10, s37, v9
	v_xor_b32_e32 v11, s36, v9
	v_and_b32_e32 v9, v8, v10
	v_and_b32_e32 v8, v38, v11
	v_mbcnt_lo_u32_b32 v10, v8, 0
	v_mbcnt_hi_u32_b32 v36, v9, v10
	v_cmp_eq_u32_e64 s[36:37], 0, v36
	v_cmp_ne_u64_e64 s[38:39], 0, v[8:9]
	s_and_b64 s[38:39], s[38:39], s[36:37]
	; wave barrier
	s_and_saveexec_b64 s[36:37], s[38:39]
	s_cbranch_execz .LBB1856_45
; %bb.44:
	v_bcnt_u32_b32 v8, v8, 0
	v_bcnt_u32_b32 v8, v9, v8
	s_waitcnt lgkmcnt(0)
	v_add_u32_e32 v8, v35, v8
	ds_write_b32 v41, v8 offset:64
.LBB1856_45:
	s_or_b64 exec, exec, s[36:37]
	v_lshrrev_b32_e32 v8, s64, v17
	v_and_b32_e32 v40, s71, v8
	v_mul_lo_u32 v8, v40, s40
	v_lshl_add_u32 v44, v39, 2, v8
	v_and_b32_e32 v8, 1, v40
	v_mov_b32_e32 v9, 0
	v_lshl_add_u64 v[10:11], v[8:9], 0, -1
	v_cmp_ne_u32_e64 s[36:37], 0, v8
	; wave barrier
	s_nop 1
	v_xor_b32_e32 v10, s36, v10
	v_xor_b32_e32 v8, s37, v11
	v_and_b32_e32 v42, exec_lo, v10
	v_lshlrev_b32_e32 v11, 30, v40
	v_mov_b32_e32 v10, v9
	v_cmp_gt_i64_e64 s[36:37], 0, v[10:11]
	v_not_b32_e32 v10, v11
	v_ashrrev_i32_e32 v10, 31, v10
	v_and_b32_e32 v8, exec_hi, v8
	v_xor_b32_e32 v11, s37, v10
	v_xor_b32_e32 v10, s36, v10
	v_and_b32_e32 v8, v8, v11
	v_and_b32_e32 v42, v42, v10
	v_lshlrev_b32_e32 v11, 29, v40
	v_mov_b32_e32 v10, v9
	v_cmp_gt_i64_e64 s[36:37], 0, v[10:11]
	v_not_b32_e32 v10, v11
	v_ashrrev_i32_e32 v10, 31, v10
	v_xor_b32_e32 v11, s37, v10
	v_xor_b32_e32 v10, s36, v10
	v_and_b32_e32 v8, v8, v11
	v_and_b32_e32 v42, v42, v10
	v_lshlrev_b32_e32 v11, 28, v40
	v_mov_b32_e32 v10, v9
	v_cmp_gt_i64_e64 s[36:37], 0, v[10:11]
	v_not_b32_e32 v10, v11
	v_ashrrev_i32_e32 v10, 31, v10
	;; [unrolled: 9-line block ×6, first 2 shown]
	v_xor_b32_e32 v11, s37, v10
	v_xor_b32_e32 v10, s36, v10
	ds_read_b32 v38, v44 offset:64
	v_and_b32_e32 v10, v42, v10
	v_and_b32_e32 v11, v8, v11
	v_mbcnt_lo_u32_b32 v8, v10, 0
	v_mbcnt_hi_u32_b32 v40, v11, v8
	v_cmp_eq_u32_e64 s[36:37], 0, v40
	v_cmp_ne_u64_e64 s[38:39], 0, v[10:11]
	s_and_b64 s[38:39], s[38:39], s[36:37]
	; wave barrier
	s_and_saveexec_b64 s[36:37], s[38:39]
	s_cbranch_execz .LBB1856_47
; %bb.46:
	v_bcnt_u32_b32 v8, v10, 0
	v_bcnt_u32_b32 v8, v11, v8
	s_waitcnt lgkmcnt(0)
	v_add_u32_e32 v8, v38, v8
	ds_write_b32 v44, v8 offset:64
.LBB1856_47:
	s_or_b64 exec, exec, s[36:37]
	v_lshrrev_b32_e32 v8, s64, v16
	v_and_b32_e32 v43, s71, v8
	v_mul_lo_u32 v8, v43, s40
	v_lshl_add_u32 v46, v39, 2, v8
	v_and_b32_e32 v8, 1, v43
	v_lshl_add_u64 v[10:11], v[8:9], 0, -1
	v_cmp_ne_u32_e64 s[36:37], 0, v8
	; wave barrier
	s_nop 1
	v_xor_b32_e32 v10, s36, v10
	v_xor_b32_e32 v8, s37, v11
	v_and_b32_e32 v45, exec_lo, v10
	v_lshlrev_b32_e32 v11, 30, v43
	v_mov_b32_e32 v10, v9
	v_cmp_gt_i64_e64 s[36:37], 0, v[10:11]
	v_not_b32_e32 v10, v11
	v_ashrrev_i32_e32 v10, 31, v10
	v_and_b32_e32 v8, exec_hi, v8
	v_xor_b32_e32 v11, s37, v10
	v_xor_b32_e32 v10, s36, v10
	v_and_b32_e32 v8, v8, v11
	v_and_b32_e32 v45, v45, v10
	v_lshlrev_b32_e32 v11, 29, v43
	v_mov_b32_e32 v10, v9
	v_cmp_gt_i64_e64 s[36:37], 0, v[10:11]
	v_not_b32_e32 v10, v11
	v_ashrrev_i32_e32 v10, 31, v10
	v_xor_b32_e32 v11, s37, v10
	v_xor_b32_e32 v10, s36, v10
	v_and_b32_e32 v8, v8, v11
	v_and_b32_e32 v45, v45, v10
	v_lshlrev_b32_e32 v11, 28, v43
	v_mov_b32_e32 v10, v9
	v_cmp_gt_i64_e64 s[36:37], 0, v[10:11]
	v_not_b32_e32 v10, v11
	v_ashrrev_i32_e32 v10, 31, v10
	;; [unrolled: 9-line block ×5, first 2 shown]
	v_xor_b32_e32 v11, s37, v10
	v_xor_b32_e32 v10, s36, v10
	v_and_b32_e32 v8, v8, v11
	v_lshlrev_b32_e32 v11, 24, v43
	v_and_b32_e32 v45, v45, v10
	v_mov_b32_e32 v10, v9
	v_not_b32_e32 v9, v11
	v_cmp_gt_i64_e64 s[36:37], 0, v[10:11]
	v_ashrrev_i32_e32 v9, 31, v9
	ds_read_b32 v42, v46 offset:64
	v_xor_b32_e32 v10, s37, v9
	v_xor_b32_e32 v11, s36, v9
	v_and_b32_e32 v9, v8, v10
	v_and_b32_e32 v8, v45, v11
	v_mbcnt_lo_u32_b32 v10, v8, 0
	v_mbcnt_hi_u32_b32 v43, v9, v10
	v_cmp_eq_u32_e64 s[36:37], 0, v43
	v_cmp_ne_u64_e64 s[38:39], 0, v[8:9]
	s_and_b64 s[38:39], s[38:39], s[36:37]
	; wave barrier
	s_and_saveexec_b64 s[36:37], s[38:39]
	s_cbranch_execz .LBB1856_49
; %bb.48:
	v_bcnt_u32_b32 v8, v8, 0
	v_bcnt_u32_b32 v8, v9, v8
	s_waitcnt lgkmcnt(0)
	v_add_u32_e32 v8, v42, v8
	ds_write_b32 v46, v8 offset:64
.LBB1856_49:
	s_or_b64 exec, exec, s[36:37]
	v_lshrrev_b32_e32 v8, s64, v19
	v_and_b32_e32 v47, s71, v8
	v_mul_lo_u32 v8, v47, s40
	v_lshl_add_u32 v49, v39, 2, v8
	v_and_b32_e32 v8, 1, v47
	v_mov_b32_e32 v9, 0
	v_lshl_add_u64 v[10:11], v[8:9], 0, -1
	v_cmp_ne_u32_e64 s[36:37], 0, v8
	; wave barrier
	s_nop 1
	v_xor_b32_e32 v10, s36, v10
	v_xor_b32_e32 v8, s37, v11
	v_and_b32_e32 v48, exec_lo, v10
	v_lshlrev_b32_e32 v11, 30, v47
	v_mov_b32_e32 v10, v9
	v_cmp_gt_i64_e64 s[36:37], 0, v[10:11]
	v_not_b32_e32 v10, v11
	v_ashrrev_i32_e32 v10, 31, v10
	v_and_b32_e32 v8, exec_hi, v8
	v_xor_b32_e32 v11, s37, v10
	v_xor_b32_e32 v10, s36, v10
	v_and_b32_e32 v8, v8, v11
	v_and_b32_e32 v48, v48, v10
	v_lshlrev_b32_e32 v11, 29, v47
	v_mov_b32_e32 v10, v9
	v_cmp_gt_i64_e64 s[36:37], 0, v[10:11]
	v_not_b32_e32 v10, v11
	v_ashrrev_i32_e32 v10, 31, v10
	v_xor_b32_e32 v11, s37, v10
	v_xor_b32_e32 v10, s36, v10
	v_and_b32_e32 v8, v8, v11
	v_and_b32_e32 v48, v48, v10
	v_lshlrev_b32_e32 v11, 28, v47
	v_mov_b32_e32 v10, v9
	v_cmp_gt_i64_e64 s[36:37], 0, v[10:11]
	v_not_b32_e32 v10, v11
	v_ashrrev_i32_e32 v10, 31, v10
	v_xor_b32_e32 v11, s37, v10
	v_xor_b32_e32 v10, s36, v10
	v_and_b32_e32 v8, v8, v11
	v_and_b32_e32 v48, v48, v10
	v_lshlrev_b32_e32 v11, 27, v47
	v_mov_b32_e32 v10, v9
	v_cmp_gt_i64_e64 s[36:37], 0, v[10:11]
	v_not_b32_e32 v10, v11
	v_ashrrev_i32_e32 v10, 31, v10
	v_xor_b32_e32 v11, s37, v10
	v_xor_b32_e32 v10, s36, v10
	v_and_b32_e32 v8, v8, v11
	v_and_b32_e32 v48, v48, v10
	v_lshlrev_b32_e32 v11, 26, v47
	v_mov_b32_e32 v10, v9
	v_cmp_gt_i64_e64 s[36:37], 0, v[10:11]
	v_not_b32_e32 v10, v11
	v_ashrrev_i32_e32 v10, 31, v10
	v_xor_b32_e32 v11, s37, v10
	v_xor_b32_e32 v10, s36, v10
	v_and_b32_e32 v8, v8, v11
	v_and_b32_e32 v48, v48, v10
	v_lshlrev_b32_e32 v11, 25, v47
	v_mov_b32_e32 v10, v9
	v_cmp_gt_i64_e64 s[36:37], 0, v[10:11]
	v_not_b32_e32 v10, v11
	v_ashrrev_i32_e32 v10, 31, v10
	v_xor_b32_e32 v11, s37, v10
	v_xor_b32_e32 v10, s36, v10
	v_and_b32_e32 v8, v8, v11
	v_and_b32_e32 v48, v48, v10
	v_lshlrev_b32_e32 v11, 24, v47
	v_mov_b32_e32 v10, v9
	v_cmp_gt_i64_e64 s[36:37], 0, v[10:11]
	v_not_b32_e32 v10, v11
	v_ashrrev_i32_e32 v10, 31, v10
	v_xor_b32_e32 v11, s37, v10
	v_xor_b32_e32 v10, s36, v10
	ds_read_b32 v45, v49 offset:64
	v_and_b32_e32 v10, v48, v10
	v_and_b32_e32 v11, v8, v11
	v_mbcnt_lo_u32_b32 v8, v10, 0
	v_mbcnt_hi_u32_b32 v47, v11, v8
	v_cmp_eq_u32_e64 s[36:37], 0, v47
	v_cmp_ne_u64_e64 s[38:39], 0, v[10:11]
	s_and_b64 s[38:39], s[38:39], s[36:37]
	; wave barrier
	s_and_saveexec_b64 s[36:37], s[38:39]
	s_cbranch_execz .LBB1856_51
; %bb.50:
	v_bcnt_u32_b32 v8, v10, 0
	v_bcnt_u32_b32 v8, v11, v8
	s_waitcnt lgkmcnt(0)
	v_add_u32_e32 v8, v45, v8
	ds_write_b32 v49, v8 offset:64
.LBB1856_51:
	s_or_b64 exec, exec, s[36:37]
	v_lshrrev_b32_e32 v8, s64, v18
	v_and_b32_e32 v50, s71, v8
	v_mul_lo_u32 v8, v50, s40
	v_lshl_add_u32 v52, v39, 2, v8
	v_and_b32_e32 v8, 1, v50
	v_lshl_add_u64 v[10:11], v[8:9], 0, -1
	v_cmp_ne_u32_e64 s[36:37], 0, v8
	; wave barrier
	s_nop 1
	v_xor_b32_e32 v10, s36, v10
	v_xor_b32_e32 v8, s37, v11
	v_and_b32_e32 v51, exec_lo, v10
	v_lshlrev_b32_e32 v11, 30, v50
	v_mov_b32_e32 v10, v9
	v_cmp_gt_i64_e64 s[36:37], 0, v[10:11]
	v_not_b32_e32 v10, v11
	v_ashrrev_i32_e32 v10, 31, v10
	v_and_b32_e32 v8, exec_hi, v8
	v_xor_b32_e32 v11, s37, v10
	v_xor_b32_e32 v10, s36, v10
	v_and_b32_e32 v8, v8, v11
	v_and_b32_e32 v51, v51, v10
	v_lshlrev_b32_e32 v11, 29, v50
	v_mov_b32_e32 v10, v9
	v_cmp_gt_i64_e64 s[36:37], 0, v[10:11]
	v_not_b32_e32 v10, v11
	v_ashrrev_i32_e32 v10, 31, v10
	v_xor_b32_e32 v11, s37, v10
	v_xor_b32_e32 v10, s36, v10
	v_and_b32_e32 v8, v8, v11
	v_and_b32_e32 v51, v51, v10
	v_lshlrev_b32_e32 v11, 28, v50
	v_mov_b32_e32 v10, v9
	v_cmp_gt_i64_e64 s[36:37], 0, v[10:11]
	v_not_b32_e32 v10, v11
	v_ashrrev_i32_e32 v10, 31, v10
	;; [unrolled: 9-line block ×5, first 2 shown]
	v_xor_b32_e32 v11, s37, v10
	v_xor_b32_e32 v10, s36, v10
	v_and_b32_e32 v8, v8, v11
	v_lshlrev_b32_e32 v11, 24, v50
	v_and_b32_e32 v51, v51, v10
	v_mov_b32_e32 v10, v9
	v_not_b32_e32 v9, v11
	v_cmp_gt_i64_e64 s[36:37], 0, v[10:11]
	v_ashrrev_i32_e32 v9, 31, v9
	ds_read_b32 v48, v52 offset:64
	v_xor_b32_e32 v10, s37, v9
	v_xor_b32_e32 v11, s36, v9
	v_and_b32_e32 v9, v8, v10
	v_and_b32_e32 v8, v51, v11
	v_mbcnt_lo_u32_b32 v10, v8, 0
	v_mbcnt_hi_u32_b32 v50, v9, v10
	v_cmp_eq_u32_e64 s[36:37], 0, v50
	v_cmp_ne_u64_e64 s[38:39], 0, v[8:9]
	s_and_b64 s[38:39], s[38:39], s[36:37]
	; wave barrier
	s_and_saveexec_b64 s[36:37], s[38:39]
	s_cbranch_execz .LBB1856_53
; %bb.52:
	v_bcnt_u32_b32 v8, v8, 0
	v_bcnt_u32_b32 v8, v9, v8
	s_waitcnt lgkmcnt(0)
	v_add_u32_e32 v8, v48, v8
	ds_write_b32 v52, v8 offset:64
.LBB1856_53:
	s_or_b64 exec, exec, s[36:37]
	v_lshrrev_b32_e32 v8, s64, v21
	v_and_b32_e32 v53, s71, v8
	v_mul_lo_u32 v8, v53, s40
	v_lshl_add_u32 v55, v39, 2, v8
	v_and_b32_e32 v8, 1, v53
	v_mov_b32_e32 v9, 0
	v_lshl_add_u64 v[10:11], v[8:9], 0, -1
	v_cmp_ne_u32_e64 s[36:37], 0, v8
	; wave barrier
	s_nop 1
	v_xor_b32_e32 v10, s36, v10
	v_xor_b32_e32 v8, s37, v11
	v_and_b32_e32 v54, exec_lo, v10
	v_lshlrev_b32_e32 v11, 30, v53
	v_mov_b32_e32 v10, v9
	v_cmp_gt_i64_e64 s[36:37], 0, v[10:11]
	v_not_b32_e32 v10, v11
	v_ashrrev_i32_e32 v10, 31, v10
	v_and_b32_e32 v8, exec_hi, v8
	v_xor_b32_e32 v11, s37, v10
	v_xor_b32_e32 v10, s36, v10
	v_and_b32_e32 v8, v8, v11
	v_and_b32_e32 v54, v54, v10
	v_lshlrev_b32_e32 v11, 29, v53
	v_mov_b32_e32 v10, v9
	v_cmp_gt_i64_e64 s[36:37], 0, v[10:11]
	v_not_b32_e32 v10, v11
	v_ashrrev_i32_e32 v10, 31, v10
	v_xor_b32_e32 v11, s37, v10
	v_xor_b32_e32 v10, s36, v10
	v_and_b32_e32 v8, v8, v11
	v_and_b32_e32 v54, v54, v10
	v_lshlrev_b32_e32 v11, 28, v53
	v_mov_b32_e32 v10, v9
	v_cmp_gt_i64_e64 s[36:37], 0, v[10:11]
	v_not_b32_e32 v10, v11
	v_ashrrev_i32_e32 v10, 31, v10
	;; [unrolled: 9-line block ×6, first 2 shown]
	v_xor_b32_e32 v11, s37, v10
	v_xor_b32_e32 v10, s36, v10
	ds_read_b32 v51, v55 offset:64
	v_and_b32_e32 v10, v54, v10
	v_and_b32_e32 v11, v8, v11
	v_mbcnt_lo_u32_b32 v8, v10, 0
	v_mbcnt_hi_u32_b32 v53, v11, v8
	v_cmp_eq_u32_e64 s[36:37], 0, v53
	v_cmp_ne_u64_e64 s[38:39], 0, v[10:11]
	s_and_b64 s[38:39], s[38:39], s[36:37]
	; wave barrier
	s_and_saveexec_b64 s[36:37], s[38:39]
	s_cbranch_execz .LBB1856_55
; %bb.54:
	v_bcnt_u32_b32 v8, v10, 0
	v_bcnt_u32_b32 v8, v11, v8
	s_waitcnt lgkmcnt(0)
	v_add_u32_e32 v8, v51, v8
	ds_write_b32 v55, v8 offset:64
.LBB1856_55:
	s_or_b64 exec, exec, s[36:37]
	v_lshrrev_b32_e32 v8, s64, v20
	v_and_b32_e32 v56, s71, v8
	v_mul_lo_u32 v8, v56, s40
	v_lshl_add_u32 v58, v39, 2, v8
	v_and_b32_e32 v8, 1, v56
	v_lshl_add_u64 v[10:11], v[8:9], 0, -1
	v_cmp_ne_u32_e64 s[36:37], 0, v8
	; wave barrier
	s_nop 1
	v_xor_b32_e32 v10, s36, v10
	v_xor_b32_e32 v8, s37, v11
	v_and_b32_e32 v57, exec_lo, v10
	v_lshlrev_b32_e32 v11, 30, v56
	v_mov_b32_e32 v10, v9
	v_cmp_gt_i64_e64 s[36:37], 0, v[10:11]
	v_not_b32_e32 v10, v11
	v_ashrrev_i32_e32 v10, 31, v10
	v_and_b32_e32 v8, exec_hi, v8
	v_xor_b32_e32 v11, s37, v10
	v_xor_b32_e32 v10, s36, v10
	v_and_b32_e32 v8, v8, v11
	v_and_b32_e32 v57, v57, v10
	v_lshlrev_b32_e32 v11, 29, v56
	v_mov_b32_e32 v10, v9
	v_cmp_gt_i64_e64 s[36:37], 0, v[10:11]
	v_not_b32_e32 v10, v11
	v_ashrrev_i32_e32 v10, 31, v10
	v_xor_b32_e32 v11, s37, v10
	v_xor_b32_e32 v10, s36, v10
	v_and_b32_e32 v8, v8, v11
	v_and_b32_e32 v57, v57, v10
	v_lshlrev_b32_e32 v11, 28, v56
	v_mov_b32_e32 v10, v9
	v_cmp_gt_i64_e64 s[36:37], 0, v[10:11]
	v_not_b32_e32 v10, v11
	v_ashrrev_i32_e32 v10, 31, v10
	;; [unrolled: 9-line block ×5, first 2 shown]
	v_xor_b32_e32 v11, s37, v10
	v_xor_b32_e32 v10, s36, v10
	v_and_b32_e32 v8, v8, v11
	v_lshlrev_b32_e32 v11, 24, v56
	v_and_b32_e32 v57, v57, v10
	v_mov_b32_e32 v10, v9
	v_not_b32_e32 v9, v11
	v_cmp_gt_i64_e64 s[36:37], 0, v[10:11]
	v_ashrrev_i32_e32 v9, 31, v9
	ds_read_b32 v54, v58 offset:64
	v_xor_b32_e32 v10, s37, v9
	v_xor_b32_e32 v11, s36, v9
	v_and_b32_e32 v9, v8, v10
	v_and_b32_e32 v8, v57, v11
	v_mbcnt_lo_u32_b32 v10, v8, 0
	v_mbcnt_hi_u32_b32 v56, v9, v10
	v_cmp_eq_u32_e64 s[36:37], 0, v56
	v_cmp_ne_u64_e64 s[38:39], 0, v[8:9]
	s_and_b64 s[38:39], s[38:39], s[36:37]
	; wave barrier
	s_and_saveexec_b64 s[36:37], s[38:39]
	s_cbranch_execz .LBB1856_57
; %bb.56:
	v_bcnt_u32_b32 v8, v8, 0
	v_bcnt_u32_b32 v8, v9, v8
	s_waitcnt lgkmcnt(0)
	v_add_u32_e32 v8, v54, v8
	ds_write_b32 v58, v8 offset:64
.LBB1856_57:
	s_or_b64 exec, exec, s[36:37]
	v_lshrrev_b32_e32 v8, s64, v23
	v_and_b32_e32 v59, s71, v8
	v_mul_lo_u32 v8, v59, s40
	v_lshl_add_u32 v61, v39, 2, v8
	v_and_b32_e32 v8, 1, v59
	v_mov_b32_e32 v9, 0
	v_lshl_add_u64 v[10:11], v[8:9], 0, -1
	v_cmp_ne_u32_e64 s[36:37], 0, v8
	; wave barrier
	s_nop 1
	v_xor_b32_e32 v10, s36, v10
	v_xor_b32_e32 v8, s37, v11
	v_and_b32_e32 v60, exec_lo, v10
	v_lshlrev_b32_e32 v11, 30, v59
	v_mov_b32_e32 v10, v9
	v_cmp_gt_i64_e64 s[36:37], 0, v[10:11]
	v_not_b32_e32 v10, v11
	v_ashrrev_i32_e32 v10, 31, v10
	v_and_b32_e32 v8, exec_hi, v8
	v_xor_b32_e32 v11, s37, v10
	v_xor_b32_e32 v10, s36, v10
	v_and_b32_e32 v8, v8, v11
	v_and_b32_e32 v60, v60, v10
	v_lshlrev_b32_e32 v11, 29, v59
	v_mov_b32_e32 v10, v9
	v_cmp_gt_i64_e64 s[36:37], 0, v[10:11]
	v_not_b32_e32 v10, v11
	v_ashrrev_i32_e32 v10, 31, v10
	v_xor_b32_e32 v11, s37, v10
	v_xor_b32_e32 v10, s36, v10
	v_and_b32_e32 v8, v8, v11
	v_and_b32_e32 v60, v60, v10
	v_lshlrev_b32_e32 v11, 28, v59
	v_mov_b32_e32 v10, v9
	v_cmp_gt_i64_e64 s[36:37], 0, v[10:11]
	v_not_b32_e32 v10, v11
	v_ashrrev_i32_e32 v10, 31, v10
	;; [unrolled: 9-line block ×6, first 2 shown]
	v_xor_b32_e32 v11, s37, v10
	v_xor_b32_e32 v10, s36, v10
	ds_read_b32 v57, v61 offset:64
	v_and_b32_e32 v10, v60, v10
	v_and_b32_e32 v11, v8, v11
	v_mbcnt_lo_u32_b32 v8, v10, 0
	v_mbcnt_hi_u32_b32 v59, v11, v8
	v_cmp_eq_u32_e64 s[36:37], 0, v59
	v_cmp_ne_u64_e64 s[38:39], 0, v[10:11]
	s_and_b64 s[38:39], s[38:39], s[36:37]
	; wave barrier
	s_and_saveexec_b64 s[36:37], s[38:39]
	s_cbranch_execz .LBB1856_59
; %bb.58:
	v_bcnt_u32_b32 v8, v10, 0
	v_bcnt_u32_b32 v8, v11, v8
	s_waitcnt lgkmcnt(0)
	v_add_u32_e32 v8, v57, v8
	ds_write_b32 v61, v8 offset:64
.LBB1856_59:
	s_or_b64 exec, exec, s[36:37]
	v_lshrrev_b32_e32 v8, s64, v22
	v_and_b32_e32 v62, s71, v8
	v_mul_lo_u32 v8, v62, s40
	v_lshl_add_u32 v64, v39, 2, v8
	v_and_b32_e32 v8, 1, v62
	v_lshl_add_u64 v[10:11], v[8:9], 0, -1
	v_cmp_ne_u32_e64 s[36:37], 0, v8
	; wave barrier
	s_nop 1
	v_xor_b32_e32 v10, s36, v10
	v_xor_b32_e32 v8, s37, v11
	v_and_b32_e32 v63, exec_lo, v10
	v_lshlrev_b32_e32 v11, 30, v62
	v_mov_b32_e32 v10, v9
	v_cmp_gt_i64_e64 s[36:37], 0, v[10:11]
	v_not_b32_e32 v10, v11
	v_ashrrev_i32_e32 v10, 31, v10
	v_and_b32_e32 v8, exec_hi, v8
	v_xor_b32_e32 v11, s37, v10
	v_xor_b32_e32 v10, s36, v10
	v_and_b32_e32 v8, v8, v11
	v_and_b32_e32 v63, v63, v10
	v_lshlrev_b32_e32 v11, 29, v62
	v_mov_b32_e32 v10, v9
	v_cmp_gt_i64_e64 s[36:37], 0, v[10:11]
	v_not_b32_e32 v10, v11
	v_ashrrev_i32_e32 v10, 31, v10
	v_xor_b32_e32 v11, s37, v10
	v_xor_b32_e32 v10, s36, v10
	v_and_b32_e32 v8, v8, v11
	v_and_b32_e32 v63, v63, v10
	v_lshlrev_b32_e32 v11, 28, v62
	v_mov_b32_e32 v10, v9
	v_cmp_gt_i64_e64 s[36:37], 0, v[10:11]
	v_not_b32_e32 v10, v11
	v_ashrrev_i32_e32 v10, 31, v10
	;; [unrolled: 9-line block ×5, first 2 shown]
	v_xor_b32_e32 v11, s37, v10
	v_xor_b32_e32 v10, s36, v10
	v_and_b32_e32 v8, v8, v11
	v_lshlrev_b32_e32 v11, 24, v62
	v_and_b32_e32 v63, v63, v10
	v_mov_b32_e32 v10, v9
	v_not_b32_e32 v9, v11
	v_cmp_gt_i64_e64 s[36:37], 0, v[10:11]
	v_ashrrev_i32_e32 v9, 31, v9
	ds_read_b32 v60, v64 offset:64
	v_xor_b32_e32 v10, s37, v9
	v_xor_b32_e32 v11, s36, v9
	v_and_b32_e32 v9, v8, v10
	v_and_b32_e32 v8, v63, v11
	v_mbcnt_lo_u32_b32 v10, v8, 0
	v_mbcnt_hi_u32_b32 v62, v9, v10
	v_cmp_eq_u32_e64 s[36:37], 0, v62
	v_cmp_ne_u64_e64 s[38:39], 0, v[8:9]
	s_and_b64 s[38:39], s[38:39], s[36:37]
	; wave barrier
	s_and_saveexec_b64 s[36:37], s[38:39]
	s_cbranch_execz .LBB1856_61
; %bb.60:
	v_bcnt_u32_b32 v8, v8, 0
	v_bcnt_u32_b32 v8, v9, v8
	s_waitcnt lgkmcnt(0)
	v_add_u32_e32 v8, v60, v8
	ds_write_b32 v64, v8 offset:64
.LBB1856_61:
	s_or_b64 exec, exec, s[36:37]
	v_lshrrev_b32_e32 v8, s64, v25
	v_and_b32_e32 v65, s71, v8
	v_mul_lo_u32 v8, v65, s40
	v_lshl_add_u32 v67, v39, 2, v8
	v_and_b32_e32 v8, 1, v65
	v_mov_b32_e32 v9, 0
	v_lshl_add_u64 v[10:11], v[8:9], 0, -1
	v_cmp_ne_u32_e64 s[36:37], 0, v8
	; wave barrier
	s_nop 1
	v_xor_b32_e32 v10, s36, v10
	v_xor_b32_e32 v8, s37, v11
	v_and_b32_e32 v66, exec_lo, v10
	v_lshlrev_b32_e32 v11, 30, v65
	v_mov_b32_e32 v10, v9
	v_cmp_gt_i64_e64 s[36:37], 0, v[10:11]
	v_not_b32_e32 v10, v11
	v_ashrrev_i32_e32 v10, 31, v10
	v_and_b32_e32 v8, exec_hi, v8
	v_xor_b32_e32 v11, s37, v10
	v_xor_b32_e32 v10, s36, v10
	v_and_b32_e32 v8, v8, v11
	v_and_b32_e32 v66, v66, v10
	v_lshlrev_b32_e32 v11, 29, v65
	v_mov_b32_e32 v10, v9
	v_cmp_gt_i64_e64 s[36:37], 0, v[10:11]
	v_not_b32_e32 v10, v11
	v_ashrrev_i32_e32 v10, 31, v10
	v_xor_b32_e32 v11, s37, v10
	v_xor_b32_e32 v10, s36, v10
	v_and_b32_e32 v8, v8, v11
	v_and_b32_e32 v66, v66, v10
	v_lshlrev_b32_e32 v11, 28, v65
	v_mov_b32_e32 v10, v9
	v_cmp_gt_i64_e64 s[36:37], 0, v[10:11]
	v_not_b32_e32 v10, v11
	v_ashrrev_i32_e32 v10, 31, v10
	;; [unrolled: 9-line block ×6, first 2 shown]
	v_xor_b32_e32 v11, s37, v10
	v_xor_b32_e32 v10, s36, v10
	ds_read_b32 v63, v67 offset:64
	v_and_b32_e32 v10, v66, v10
	v_and_b32_e32 v11, v8, v11
	v_mbcnt_lo_u32_b32 v8, v10, 0
	v_mbcnt_hi_u32_b32 v65, v11, v8
	v_cmp_eq_u32_e64 s[36:37], 0, v65
	v_cmp_ne_u64_e64 s[38:39], 0, v[10:11]
	s_and_b64 s[38:39], s[38:39], s[36:37]
	; wave barrier
	s_and_saveexec_b64 s[36:37], s[38:39]
	s_cbranch_execz .LBB1856_63
; %bb.62:
	v_bcnt_u32_b32 v8, v10, 0
	v_bcnt_u32_b32 v8, v11, v8
	s_waitcnt lgkmcnt(0)
	v_add_u32_e32 v8, v63, v8
	ds_write_b32 v67, v8 offset:64
.LBB1856_63:
	s_or_b64 exec, exec, s[36:37]
	v_lshrrev_b32_e32 v8, s64, v24
	v_and_b32_e32 v68, s71, v8
	v_mul_lo_u32 v8, v68, s40
	v_lshl_add_u32 v70, v39, 2, v8
	v_and_b32_e32 v8, 1, v68
	v_lshl_add_u64 v[10:11], v[8:9], 0, -1
	v_cmp_ne_u32_e64 s[36:37], 0, v8
	; wave barrier
	s_nop 1
	v_xor_b32_e32 v10, s36, v10
	v_xor_b32_e32 v8, s37, v11
	v_and_b32_e32 v69, exec_lo, v10
	v_lshlrev_b32_e32 v11, 30, v68
	v_mov_b32_e32 v10, v9
	v_cmp_gt_i64_e64 s[36:37], 0, v[10:11]
	v_not_b32_e32 v10, v11
	v_ashrrev_i32_e32 v10, 31, v10
	v_and_b32_e32 v8, exec_hi, v8
	v_xor_b32_e32 v11, s37, v10
	v_xor_b32_e32 v10, s36, v10
	v_and_b32_e32 v8, v8, v11
	v_and_b32_e32 v69, v69, v10
	v_lshlrev_b32_e32 v11, 29, v68
	v_mov_b32_e32 v10, v9
	v_cmp_gt_i64_e64 s[36:37], 0, v[10:11]
	v_not_b32_e32 v10, v11
	v_ashrrev_i32_e32 v10, 31, v10
	v_xor_b32_e32 v11, s37, v10
	v_xor_b32_e32 v10, s36, v10
	v_and_b32_e32 v8, v8, v11
	v_and_b32_e32 v69, v69, v10
	v_lshlrev_b32_e32 v11, 28, v68
	v_mov_b32_e32 v10, v9
	v_cmp_gt_i64_e64 s[36:37], 0, v[10:11]
	v_not_b32_e32 v10, v11
	v_ashrrev_i32_e32 v10, 31, v10
	;; [unrolled: 9-line block ×5, first 2 shown]
	v_xor_b32_e32 v11, s37, v10
	v_xor_b32_e32 v10, s36, v10
	v_and_b32_e32 v8, v8, v11
	v_lshlrev_b32_e32 v11, 24, v68
	v_and_b32_e32 v69, v69, v10
	v_mov_b32_e32 v10, v9
	v_not_b32_e32 v9, v11
	v_cmp_gt_i64_e64 s[36:37], 0, v[10:11]
	v_ashrrev_i32_e32 v9, 31, v9
	ds_read_b32 v66, v70 offset:64
	v_xor_b32_e32 v10, s37, v9
	v_xor_b32_e32 v11, s36, v9
	v_and_b32_e32 v9, v8, v10
	v_and_b32_e32 v8, v69, v11
	v_mbcnt_lo_u32_b32 v10, v8, 0
	v_mbcnt_hi_u32_b32 v68, v9, v10
	v_cmp_eq_u32_e64 s[36:37], 0, v68
	v_cmp_ne_u64_e64 s[38:39], 0, v[8:9]
	s_and_b64 s[38:39], s[38:39], s[36:37]
	; wave barrier
	s_and_saveexec_b64 s[36:37], s[38:39]
	s_cbranch_execz .LBB1856_65
; %bb.64:
	v_bcnt_u32_b32 v8, v8, 0
	v_bcnt_u32_b32 v8, v9, v8
	s_waitcnt lgkmcnt(0)
	v_add_u32_e32 v8, v66, v8
	ds_write_b32 v70, v8 offset:64
.LBB1856_65:
	s_or_b64 exec, exec, s[36:37]
	v_lshrrev_b32_e32 v8, s64, v27
	v_and_b32_e32 v71, s71, v8
	v_mul_lo_u32 v8, v71, s40
	v_lshl_add_u32 v72, v39, 2, v8
	v_and_b32_e32 v8, 1, v71
	v_mov_b32_e32 v9, 0
	v_lshl_add_u64 v[10:11], v[8:9], 0, -1
	v_cmp_ne_u32_e64 s[36:37], 0, v8
	; wave barrier
	s_nop 1
	v_xor_b32_e32 v10, s36, v10
	v_xor_b32_e32 v8, s37, v11
	v_and_b32_e32 v73, exec_lo, v10
	v_lshlrev_b32_e32 v11, 30, v71
	v_mov_b32_e32 v10, v9
	v_cmp_gt_i64_e64 s[36:37], 0, v[10:11]
	v_not_b32_e32 v10, v11
	v_ashrrev_i32_e32 v10, 31, v10
	v_and_b32_e32 v8, exec_hi, v8
	v_xor_b32_e32 v11, s37, v10
	v_xor_b32_e32 v10, s36, v10
	v_and_b32_e32 v8, v8, v11
	v_and_b32_e32 v73, v73, v10
	v_lshlrev_b32_e32 v11, 29, v71
	v_mov_b32_e32 v10, v9
	v_cmp_gt_i64_e64 s[36:37], 0, v[10:11]
	v_not_b32_e32 v10, v11
	v_ashrrev_i32_e32 v10, 31, v10
	v_xor_b32_e32 v11, s37, v10
	v_xor_b32_e32 v10, s36, v10
	v_and_b32_e32 v8, v8, v11
	v_and_b32_e32 v73, v73, v10
	v_lshlrev_b32_e32 v11, 28, v71
	v_mov_b32_e32 v10, v9
	v_cmp_gt_i64_e64 s[36:37], 0, v[10:11]
	v_not_b32_e32 v10, v11
	v_ashrrev_i32_e32 v10, 31, v10
	;; [unrolled: 9-line block ×6, first 2 shown]
	v_xor_b32_e32 v11, s37, v10
	v_xor_b32_e32 v10, s36, v10
	ds_read_b32 v69, v72 offset:64
	v_and_b32_e32 v10, v73, v10
	v_and_b32_e32 v11, v8, v11
	v_mbcnt_lo_u32_b32 v8, v10, 0
	v_mbcnt_hi_u32_b32 v71, v11, v8
	v_cmp_eq_u32_e64 s[36:37], 0, v71
	v_cmp_ne_u64_e64 s[38:39], 0, v[10:11]
	s_and_b64 s[38:39], s[38:39], s[36:37]
	; wave barrier
	s_and_saveexec_b64 s[36:37], s[38:39]
	s_cbranch_execz .LBB1856_67
; %bb.66:
	v_bcnt_u32_b32 v8, v10, 0
	v_bcnt_u32_b32 v8, v11, v8
	s_waitcnt lgkmcnt(0)
	v_add_u32_e32 v8, v69, v8
	ds_write_b32 v72, v8 offset:64
.LBB1856_67:
	s_or_b64 exec, exec, s[36:37]
	v_lshrrev_b32_e32 v8, s64, v26
	v_and_b32_e32 v73, s71, v8
	v_mul_lo_u32 v8, v73, s40
	v_lshl_add_u32 v74, v39, 2, v8
	v_and_b32_e32 v8, 1, v73
	v_lshl_add_u64 v[10:11], v[8:9], 0, -1
	v_cmp_ne_u32_e64 s[36:37], 0, v8
	; wave barrier
	s_nop 1
	v_xor_b32_e32 v10, s36, v10
	v_xor_b32_e32 v8, s37, v11
	v_and_b32_e32 v75, exec_lo, v10
	v_lshlrev_b32_e32 v11, 30, v73
	v_mov_b32_e32 v10, v9
	v_cmp_gt_i64_e64 s[36:37], 0, v[10:11]
	v_not_b32_e32 v10, v11
	v_ashrrev_i32_e32 v10, 31, v10
	v_and_b32_e32 v8, exec_hi, v8
	v_xor_b32_e32 v11, s37, v10
	v_xor_b32_e32 v10, s36, v10
	v_and_b32_e32 v8, v8, v11
	v_and_b32_e32 v75, v75, v10
	v_lshlrev_b32_e32 v11, 29, v73
	v_mov_b32_e32 v10, v9
	v_cmp_gt_i64_e64 s[36:37], 0, v[10:11]
	v_not_b32_e32 v10, v11
	v_ashrrev_i32_e32 v10, 31, v10
	v_xor_b32_e32 v11, s37, v10
	v_xor_b32_e32 v10, s36, v10
	v_and_b32_e32 v8, v8, v11
	v_and_b32_e32 v75, v75, v10
	v_lshlrev_b32_e32 v11, 28, v73
	v_mov_b32_e32 v10, v9
	v_cmp_gt_i64_e64 s[36:37], 0, v[10:11]
	v_not_b32_e32 v10, v11
	v_ashrrev_i32_e32 v10, 31, v10
	;; [unrolled: 9-line block ×5, first 2 shown]
	v_xor_b32_e32 v11, s37, v10
	v_xor_b32_e32 v10, s36, v10
	v_and_b32_e32 v8, v8, v11
	v_lshlrev_b32_e32 v11, 24, v73
	v_and_b32_e32 v75, v75, v10
	v_mov_b32_e32 v10, v9
	v_not_b32_e32 v9, v11
	v_cmp_gt_i64_e64 s[36:37], 0, v[10:11]
	v_ashrrev_i32_e32 v9, 31, v9
	ds_read_b32 v39, v74 offset:64
	v_xor_b32_e32 v10, s37, v9
	v_xor_b32_e32 v11, s36, v9
	v_and_b32_e32 v9, v8, v10
	v_and_b32_e32 v8, v75, v11
	v_mbcnt_lo_u32_b32 v10, v8, 0
	v_mbcnt_hi_u32_b32 v73, v9, v10
	v_cmp_eq_u32_e64 s[36:37], 0, v73
	v_cmp_ne_u64_e64 s[38:39], 0, v[8:9]
	s_and_b64 s[38:39], s[38:39], s[36:37]
	; wave barrier
	s_and_saveexec_b64 s[36:37], s[38:39]
	s_cbranch_execz .LBB1856_69
; %bb.68:
	v_bcnt_u32_b32 v8, v8, 0
	v_bcnt_u32_b32 v8, v9, v8
	s_waitcnt lgkmcnt(0)
	v_add_u32_e32 v8, v39, v8
	ds_write_b32 v74, v8 offset:64
.LBB1856_69:
	s_or_b64 exec, exec, s[36:37]
	; wave barrier
	s_waitcnt lgkmcnt(0)
	s_barrier
	ds_read2_b32 v[10:11], v13 offset0:16 offset1:17
	ds_read2_b32 v[8:9], v13 offset0:18 offset1:19
	ds_read_b32 v75, v13 offset:80
	v_cmp_lt_u32_e64 s[46:47], 31, v12
	s_waitcnt lgkmcnt(1)
	v_add3_u32 v76, v11, v10, v8
	s_waitcnt lgkmcnt(0)
	v_add3_u32 v75, v76, v9, v75
	v_and_b32_e32 v76, 15, v12
	v_cmp_eq_u32_e64 s[36:37], 0, v76
	v_mov_b32_dpp v77, v75 row_shr:1 row_mask:0xf bank_mask:0xf
	v_cmp_lt_u32_e64 s[38:39], 1, v76
	v_cndmask_b32_e64 v77, v77, 0, s[36:37]
	v_add_u32_e32 v75, v77, v75
	v_cmp_lt_u32_e64 s[40:41], 3, v76
	v_cmp_lt_u32_e64 s[42:43], 7, v76
	v_mov_b32_dpp v77, v75 row_shr:2 row_mask:0xf bank_mask:0xf
	v_cndmask_b32_e64 v77, 0, v77, s[38:39]
	v_add_u32_e32 v75, v75, v77
	s_nop 1
	v_mov_b32_dpp v77, v75 row_shr:4 row_mask:0xf bank_mask:0xf
	v_cndmask_b32_e64 v77, 0, v77, s[40:41]
	v_add_u32_e32 v75, v75, v77
	s_nop 1
	v_mov_b32_dpp v77, v75 row_shr:8 row_mask:0xf bank_mask:0xf
	v_cndmask_b32_e64 v76, 0, v77, s[42:43]
	v_add_u32_e32 v75, v75, v76
	v_bfe_i32 v77, v12, 4, 1
	s_nop 0
	v_mov_b32_dpp v76, v75 row_bcast:15 row_mask:0xf bank_mask:0xf
	v_and_b32_e32 v76, v77, v76
	v_add_u32_e32 v75, v75, v76
	v_and_b32_e32 v77, 63, v2
	s_nop 0
	v_mov_b32_dpp v76, v75 row_bcast:31 row_mask:0xf bank_mask:0xf
	v_cndmask_b32_e64 v76, 0, v76, s[46:47]
	v_add_u32_e32 v75, v75, v76
	v_lshrrev_b32_e32 v76, 6, v2
	v_cmp_eq_u32_e64 s[46:47], 63, v77
	s_and_saveexec_b64 s[48:49], s[46:47]
; %bb.70:
	v_lshlrev_b32_e32 v77, 2, v76
	ds_write_b32 v77, v75
; %bb.71:
	s_or_b64 exec, exec, s[48:49]
	v_cmp_gt_u32_e64 s[46:47], 16, v2
	s_waitcnt lgkmcnt(0)
	s_barrier
	s_and_saveexec_b64 s[48:49], s[46:47]
	s_cbranch_execz .LBB1856_73
; %bb.72:
	v_lshlrev_b32_e32 v77, 2, v2
	ds_read_b32 v78, v77
	s_waitcnt lgkmcnt(0)
	s_nop 0
	v_mov_b32_dpp v79, v78 row_shr:1 row_mask:0xf bank_mask:0xf
	v_cndmask_b32_e64 v79, v79, 0, s[36:37]
	v_add_u32_e32 v78, v79, v78
	s_nop 1
	v_mov_b32_dpp v79, v78 row_shr:2 row_mask:0xf bank_mask:0xf
	v_cndmask_b32_e64 v79, 0, v79, s[38:39]
	v_add_u32_e32 v78, v78, v79
	;; [unrolled: 4-line block ×4, first 2 shown]
	ds_write_b32 v77, v78
.LBB1856_73:
	s_or_b64 exec, exec, s[48:49]
	v_cmp_lt_u32_e64 s[36:37], 63, v2
	v_mov_b32_e32 v77, 0
	s_waitcnt lgkmcnt(0)
	s_barrier
	s_and_saveexec_b64 s[38:39], s[36:37]
; %bb.74:
	v_lshl_add_u32 v76, v76, 2, -4
	ds_read_b32 v77, v76
; %bb.75:
	s_or_b64 exec, exec, s[38:39]
	v_subrev_co_u32_e64 v76, s[36:37], 1, v12
	v_and_b32_e32 v78, 64, v12
	v_cmp_lt_i32_e64 s[38:39], v76, v78
	s_waitcnt lgkmcnt(0)
	v_add_u32_e32 v75, v77, v75
	s_movk_i32 s40, 0x100
	v_cndmask_b32_e64 v12, v76, v12, s[38:39]
	v_lshlrev_b32_e32 v12, 2, v12
	ds_bpermute_b32 v12, v12, v75
	v_cmp_gt_u32_e64 s[38:39], s40, v2
	s_waitcnt lgkmcnt(0)
	v_cndmask_b32_e64 v12, v12, v77, s[36:37]
	v_cndmask_b32_e64 v12, v12, 0, s[44:45]
	v_add_u32_e32 v10, v12, v10
	v_add_u32_e32 v11, v10, v11
	;; [unrolled: 1-line block ×4, first 2 shown]
	ds_write2_b32 v13, v12, v10 offset0:16 offset1:17
	ds_write2_b32 v13, v11, v8 offset0:18 offset1:19
	ds_write_b32 v13, v9 offset:80
	s_waitcnt lgkmcnt(0)
	s_barrier
	ds_read_b32 v84, v32 offset:64
	ds_read_b32 v75, v34 offset:64
	;; [unrolled: 1-line block ×16, first 2 shown]
	s_movk_i32 s36, 0xff
	v_cmp_lt_u32_e64 s[36:37], s36, v2
                                        ; implicit-def: $vgpr32
                                        ; implicit-def: $vgpr34
	s_and_saveexec_b64 s[42:43], s[38:39]
	s_cbranch_execz .LBB1856_79
; %bb.76:
	v_mul_u32_u24_e32 v8, 0x44, v2
	ds_read_b32 v32, v8 offset:64
	v_add_u32_e32 v9, 1, v2
	v_cmp_ne_u32_e64 s[40:41], s40, v9
	v_mov_b32_e32 v8, 0x4000
	s_and_saveexec_b64 s[46:47], s[40:41]
; %bb.77:
	v_mul_u32_u24_e32 v8, 0x44, v9
	ds_read_b32 v8, v8 offset:64
; %bb.78:
	s_or_b64 exec, exec, s[46:47]
	s_waitcnt lgkmcnt(0)
	v_sub_u32_e32 v34, v8, v32
.LBB1856_79:
	s_or_b64 exec, exec, s[42:43]
	v_mov_b32_e32 v9, 0
	v_lshlrev_b32_e32 v37, 2, v2
	s_waitcnt lgkmcnt(0)
	s_barrier
	s_and_saveexec_b64 s[40:41], s[38:39]
	s_cbranch_execz .LBB1856_89
; %bb.80:
	v_lshl_add_u32 v8, s33, 8, v2
	v_lshl_add_u64 v[10:11], v[8:9], 2, s[68:69]
	v_or_b32_e32 v8, 2.0, v34
	s_mov_b64 s[42:43], 0
	s_brev_b32 s50, -4
	s_mov_b32 s51, s33
	v_mov_b32_e32 v55, 0
	global_store_dword v[10:11], v8, off sc1
                                        ; implicit-def: $sgpr38_sgpr39
	s_branch .LBB1856_83
.LBB1856_81:                            ;   in Loop: Header=BB1856_83 Depth=1
	s_or_b64 exec, exec, s[48:49]
.LBB1856_82:                            ;   in Loop: Header=BB1856_83 Depth=1
	s_or_b64 exec, exec, s[46:47]
	v_and_b32_e32 v12, 0x3fffffff, v8
	v_add_u32_e32 v55, v12, v55
	v_cmp_gt_i32_e64 s[38:39], -2.0, v8
	s_and_b64 s[46:47], exec, s[38:39]
	s_or_b64 s[42:43], s[46:47], s[42:43]
	s_andn2_b64 exec, exec, s[42:43]
	s_cbranch_execz .LBB1856_88
.LBB1856_83:                            ; =>This Loop Header: Depth=1
                                        ;     Child Loop BB1856_86 Depth 2
	s_or_b64 s[38:39], s[38:39], exec
	s_cmp_eq_u32 s51, 0
	s_cbranch_scc1 .LBB1856_87
; %bb.84:                               ;   in Loop: Header=BB1856_83 Depth=1
	s_add_i32 s51, s51, -1
	v_lshl_or_b32 v8, s51, 8, v2
	v_lshl_add_u64 v[12:13], v[8:9], 2, s[68:69]
	global_load_dword v8, v[12:13], off sc1
	s_waitcnt vmcnt(0)
	v_cmp_gt_u32_e64 s[38:39], 2.0, v8
	s_and_saveexec_b64 s[46:47], s[38:39]
	s_cbranch_execz .LBB1856_82
; %bb.85:                               ;   in Loop: Header=BB1856_83 Depth=1
	s_mov_b64 s[48:49], 0
.LBB1856_86:                            ;   Parent Loop BB1856_83 Depth=1
                                        ; =>  This Inner Loop Header: Depth=2
	global_load_dword v8, v[12:13], off sc1
	s_waitcnt vmcnt(0)
	v_cmp_lt_u32_e64 s[38:39], s50, v8
	s_or_b64 s[48:49], s[38:39], s[48:49]
	s_andn2_b64 exec, exec, s[48:49]
	s_cbranch_execnz .LBB1856_86
	s_branch .LBB1856_81
.LBB1856_87:                            ;   in Loop: Header=BB1856_83 Depth=1
                                        ; implicit-def: $sgpr51
	s_and_b64 s[46:47], exec, s[38:39]
	s_or_b64 s[42:43], s[46:47], s[42:43]
	s_andn2_b64 exec, exec, s[42:43]
	s_cbranch_execnz .LBB1856_83
.LBB1856_88:
	s_or_b64 exec, exec, s[42:43]
	v_add_u32_e32 v8, v55, v34
	v_or_b32_e32 v8, 0x80000000, v8
	global_store_dword v[10:11], v8, off sc1
	global_load_dword v8, v37, s[60:61]
	v_sub_u32_e32 v9, v55, v32
	s_waitcnt vmcnt(0)
	v_add_u32_e32 v8, v9, v8
	ds_write_b32 v37, v8
.LBB1856_89:
	s_or_b64 exec, exec, s[40:41]
	v_add_u32_e32 v10, v84, v29
	v_add3_u32 v8, v30, v28, v75
	v_add3_u32 v9, v33, v31, v76
	;; [unrolled: 1-line block ×15, first 2 shown]
	v_mov_b32_e32 v88, 0x400
	s_movk_i32 s42, 0x400
	v_lshl_add_u32 v11, v11, 2, v88
	v_add3_u32 v12, v73, v49, v39
	v_lshl_add_u32 v13, v13, 2, v88
	v_add3_u32 v29, v71, v44, v69
	;; [unrolled: 2-line block ×15, first 2 shown]
	v_lshl_add_u32 v30, v10, 2, v88
	s_mov_b32 s43, 0
	s_mov_b32 s46, 0
	s_movk_i32 s47, 0x1000
	v_mov_b32_e32 v9, 0
	s_movk_i32 s48, 0x800
	s_movk_i32 s49, 0xc00
	v_mov_b32_e32 v59, v2
	s_mov_b32 s50, 0
	s_branch .LBB1856_91
.LBB1856_90:                            ;   in Loop: Header=BB1856_91 Depth=1
	s_or_b64 exec, exec, s[40:41]
	s_addk_i32 s50, 0xc000
	s_add_i32 s43, s43, 16
	s_addk_i32 s46, 0xf000
	s_cmp_eq_u32 s50, 0xffff0000
	v_add_u32_e32 v59, 0x1000, v59
	s_barrier
	s_cbranch_scc1 .LBB1856_131
.LBB1856_91:                            ; =>This Inner Loop Header: Depth=1
	v_add_u32_e32 v8, s46, v10
	v_cmp_gt_u32_e64 s[38:39], s47, v8
	s_and_saveexec_b64 s[40:41], s[38:39]
; %bb.92:                               ;   in Loop: Header=BB1856_91 Depth=1
	v_add_u32_e32 v8, s50, v30
	ds_write_b32 v8, v5
; %bb.93:                               ;   in Loop: Header=BB1856_91 Depth=1
	s_or_b64 exec, exec, s[40:41]
	v_add_u32_e32 v8, s46, v28
	v_cmp_gt_u32_e64 s[38:39], s47, v8
	s_and_saveexec_b64 s[40:41], s[38:39]
; %bb.94:                               ;   in Loop: Header=BB1856_91 Depth=1
	v_add_u32_e32 v8, s50, v33
	ds_write_b32 v8, v14
; %bb.95:                               ;   in Loop: Header=BB1856_91 Depth=1
	s_or_b64 exec, exec, s[40:41]
	;; [unrolled: 8-line block ×4, first 2 shown]
	v_add_u32_e32 v8, s46, v38
	v_cmp_gt_u32_e64 s[38:39], s47, v8
	s_and_saveexec_b64 s[40:41], s[38:39]
; %bb.100:                              ;   in Loop: Header=BB1856_91 Depth=1
	v_add_u32_e32 v8, s50, v43
	ds_write_b32 v8, v17
; %bb.101:                              ;   in Loop: Header=BB1856_91 Depth=1
	s_or_b64 exec, exec, s[40:41]
	v_add_u32_e32 v8, s46, v42
	v_cmp_gt_u32_e64 s[38:39], s47, v8
	s_and_saveexec_b64 s[40:41], s[38:39]
; %bb.102:                              ;   in Loop: Header=BB1856_91 Depth=1
	v_add_u32_e32 v8, s50, v47
	ds_write_b32 v8, v16
; %bb.103:                              ;   in Loop: Header=BB1856_91 Depth=1
	s_or_b64 exec, exec, s[40:41]
	;; [unrolled: 8-line block ×12, first 2 shown]
	v_cmp_gt_u32_e64 s[38:39], s3, v59
	s_waitcnt lgkmcnt(0)
	s_barrier
	s_and_saveexec_b64 s[40:41], s[38:39]
	s_cbranch_execz .LBB1856_125
; %bb.124:                              ;   in Loop: Header=BB1856_91 Depth=1
	ds_read_b32 v8, v37 offset:1024
	s_waitcnt lgkmcnt(0)
	v_lshrrev_b32_e32 v60, s64, v8
	v_and_b32_e32 v62, s71, v60
	v_lshlrev_b32_e32 v60, 2, v62
	ds_read_b32 v60, v60
	v_xor_b32_e32 v63, 0x7fffffff, v8
	s_waitcnt lgkmcnt(0)
	v_add_u32_e32 v8, v59, v60
	v_lshl_add_u64 v[60:61], v[8:9], 2, s[54:55]
	global_store_dword v[60:61], v63, off
	scratch_store_dword off, v62, s43
.LBB1856_125:                           ;   in Loop: Header=BB1856_91 Depth=1
	s_or_b64 exec, exec, s[40:41]
	v_add_u32_e32 v8, 0x400, v59
	v_cmp_gt_u32_e64 s[38:39], s3, v8
	s_and_saveexec_b64 s[40:41], s[38:39]
	s_cbranch_execz .LBB1856_127
; %bb.126:                              ;   in Loop: Header=BB1856_91 Depth=1
	ds_read_b32 v8, v37 offset:5120
	s_add_i32 s38, s43, 4
	s_waitcnt lgkmcnt(0)
	v_lshrrev_b32_e32 v60, s64, v8
	v_and_b32_e32 v62, s71, v60
	v_lshlrev_b32_e32 v60, 2, v62
	ds_read_b32 v60, v60
	v_xor_b32_e32 v63, 0x7fffffff, v8
	s_waitcnt lgkmcnt(0)
	v_add3_u32 v8, v59, v60, s42
	v_lshl_add_u64 v[60:61], v[8:9], 2, s[54:55]
	global_store_dword v[60:61], v63, off
	scratch_store_dword off, v62, s38
.LBB1856_127:                           ;   in Loop: Header=BB1856_91 Depth=1
	s_or_b64 exec, exec, s[40:41]
	v_add_u32_e32 v8, 0x800, v59
	v_cmp_gt_u32_e64 s[38:39], s3, v8
	s_and_saveexec_b64 s[40:41], s[38:39]
	s_cbranch_execz .LBB1856_129
; %bb.128:                              ;   in Loop: Header=BB1856_91 Depth=1
	ds_read_b32 v8, v37 offset:9216
	s_add_i32 s38, s43, 8
	s_waitcnt lgkmcnt(0)
	v_lshrrev_b32_e32 v60, s64, v8
	v_and_b32_e32 v62, s71, v60
	v_lshlrev_b32_e32 v60, 2, v62
	ds_read_b32 v60, v60
	v_xor_b32_e32 v63, 0x7fffffff, v8
	s_waitcnt lgkmcnt(0)
	v_add3_u32 v8, v59, v60, s48
	v_lshl_add_u64 v[60:61], v[8:9], 2, s[54:55]
	global_store_dword v[60:61], v63, off
	scratch_store_dword off, v62, s38
.LBB1856_129:                           ;   in Loop: Header=BB1856_91 Depth=1
	s_or_b64 exec, exec, s[40:41]
	v_add_u32_e32 v8, 0xc00, v59
	v_cmp_gt_u32_e64 s[38:39], s3, v8
	s_and_saveexec_b64 s[40:41], s[38:39]
	s_cbranch_execz .LBB1856_90
; %bb.130:                              ;   in Loop: Header=BB1856_91 Depth=1
	ds_read_b32 v8, v37 offset:13312
	s_add_i32 s38, s43, 12
	s_waitcnt lgkmcnt(0)
	v_lshrrev_b32_e32 v60, s64, v8
	v_and_b32_e32 v62, s71, v60
	v_lshlrev_b32_e32 v60, 2, v62
	ds_read_b32 v60, v60
	v_xor_b32_e32 v63, 0x7fffffff, v8
	s_waitcnt lgkmcnt(0)
	v_add3_u32 v8, v59, v60, s49
	v_lshl_add_u64 v[60:61], v[8:9], 2, s[54:55]
	global_store_dword v[60:61], v63, off
	scratch_store_dword off, v62, s38
	s_branch .LBB1856_90
.LBB1856_131:
	s_add_u32 s38, s56, s66
	s_addc_u32 s39, s57, s67
	v_mov_b32_e32 v5, 0
	v_lshl_add_u64 v[8:9], s[38:39], 0, v[4:5]
	v_mov_b32_e32 v7, v5
	v_lshl_add_u64 v[4:5], v[8:9], 0, v[6:7]
                                        ; implicit-def: $vgpr6
	s_and_saveexec_b64 s[38:39], vcc
	s_cbranch_execz .LBB1856_147
; %bb.132:
	global_load_dword v6, v[4:5], off
	s_or_b64 exec, exec, s[38:39]
                                        ; implicit-def: $vgpr7
	s_and_saveexec_b64 s[38:39], s[4:5]
	s_cbranch_execnz .LBB1856_148
.LBB1856_133:
	s_or_b64 exec, exec, s[38:39]
                                        ; implicit-def: $vgpr8
	s_and_saveexec_b64 s[4:5], s[6:7]
	s_cbranch_execz .LBB1856_149
.LBB1856_134:
	global_load_dword v8, v[4:5], off offset:512
	s_or_b64 exec, exec, s[4:5]
                                        ; implicit-def: $vgpr9
	s_and_saveexec_b64 s[4:5], s[8:9]
	s_cbranch_execnz .LBB1856_150
.LBB1856_135:
	s_or_b64 exec, exec, s[4:5]
                                        ; implicit-def: $vgpr14
	s_and_saveexec_b64 s[4:5], s[10:11]
	s_cbranch_execz .LBB1856_151
.LBB1856_136:
	global_load_dword v14, v[4:5], off offset:1024
	s_or_b64 exec, exec, s[4:5]
                                        ; implicit-def: $vgpr15
	s_and_saveexec_b64 s[4:5], s[12:13]
	s_cbranch_execnz .LBB1856_152
.LBB1856_137:
	s_or_b64 exec, exec, s[4:5]
                                        ; implicit-def: $vgpr16
	s_and_saveexec_b64 s[4:5], s[14:15]
	s_cbranch_execz .LBB1856_153
.LBB1856_138:
	global_load_dword v16, v[4:5], off offset:1536
	s_or_b64 exec, exec, s[4:5]
                                        ; implicit-def: $vgpr17
	s_and_saveexec_b64 s[4:5], s[16:17]
	s_cbranch_execnz .LBB1856_154
.LBB1856_139:
	s_or_b64 exec, exec, s[4:5]
                                        ; implicit-def: $vgpr18
	s_and_saveexec_b64 s[4:5], s[18:19]
	s_cbranch_execz .LBB1856_155
.LBB1856_140:
	global_load_dword v18, v[4:5], off offset:2048
	s_or_b64 exec, exec, s[4:5]
                                        ; implicit-def: $vgpr19
	s_and_saveexec_b64 s[4:5], s[20:21]
	s_cbranch_execnz .LBB1856_156
.LBB1856_141:
	s_or_b64 exec, exec, s[4:5]
                                        ; implicit-def: $vgpr20
	s_and_saveexec_b64 s[4:5], s[22:23]
	s_cbranch_execz .LBB1856_157
.LBB1856_142:
	global_load_dword v20, v[4:5], off offset:2560
	s_or_b64 exec, exec, s[4:5]
                                        ; implicit-def: $vgpr21
	s_and_saveexec_b64 s[4:5], s[24:25]
	s_cbranch_execnz .LBB1856_158
.LBB1856_143:
	s_or_b64 exec, exec, s[4:5]
                                        ; implicit-def: $vgpr22
	s_and_saveexec_b64 s[4:5], s[26:27]
	s_cbranch_execz .LBB1856_159
.LBB1856_144:
	global_load_dword v22, v[4:5], off offset:3072
	s_or_b64 exec, exec, s[4:5]
                                        ; implicit-def: $vgpr23
	s_and_saveexec_b64 s[4:5], s[28:29]
	s_cbranch_execnz .LBB1856_160
.LBB1856_145:
	s_or_b64 exec, exec, s[4:5]
                                        ; implicit-def: $vgpr24
	s_and_saveexec_b64 s[4:5], s[30:31]
	s_cbranch_execz .LBB1856_161
.LBB1856_146:
	global_load_dword v24, v[4:5], off offset:3584
	s_or_b64 exec, exec, s[4:5]
                                        ; implicit-def: $vgpr25
	s_and_saveexec_b64 s[4:5], s[34:35]
	s_cbranch_execnz .LBB1856_162
	s_branch .LBB1856_163
.LBB1856_147:
	s_or_b64 exec, exec, s[38:39]
                                        ; implicit-def: $vgpr7
	s_and_saveexec_b64 s[38:39], s[4:5]
	s_cbranch_execz .LBB1856_133
.LBB1856_148:
	global_load_dword v7, v[4:5], off offset:256
	s_or_b64 exec, exec, s[38:39]
                                        ; implicit-def: $vgpr8
	s_and_saveexec_b64 s[4:5], s[6:7]
	s_cbranch_execnz .LBB1856_134
.LBB1856_149:
	s_or_b64 exec, exec, s[4:5]
                                        ; implicit-def: $vgpr9
	s_and_saveexec_b64 s[4:5], s[8:9]
	s_cbranch_execz .LBB1856_135
.LBB1856_150:
	global_load_dword v9, v[4:5], off offset:768
	s_or_b64 exec, exec, s[4:5]
                                        ; implicit-def: $vgpr14
	s_and_saveexec_b64 s[4:5], s[10:11]
	s_cbranch_execnz .LBB1856_136
.LBB1856_151:
	s_or_b64 exec, exec, s[4:5]
                                        ; implicit-def: $vgpr15
	s_and_saveexec_b64 s[4:5], s[12:13]
	s_cbranch_execz .LBB1856_137
.LBB1856_152:
	global_load_dword v15, v[4:5], off offset:1280
	s_or_b64 exec, exec, s[4:5]
                                        ; implicit-def: $vgpr16
	s_and_saveexec_b64 s[4:5], s[14:15]
	s_cbranch_execnz .LBB1856_138
.LBB1856_153:
	s_or_b64 exec, exec, s[4:5]
                                        ; implicit-def: $vgpr17
	s_and_saveexec_b64 s[4:5], s[16:17]
	s_cbranch_execz .LBB1856_139
.LBB1856_154:
	global_load_dword v17, v[4:5], off offset:1792
	s_or_b64 exec, exec, s[4:5]
                                        ; implicit-def: $vgpr18
	s_and_saveexec_b64 s[4:5], s[18:19]
	s_cbranch_execnz .LBB1856_140
.LBB1856_155:
	s_or_b64 exec, exec, s[4:5]
                                        ; implicit-def: $vgpr19
	s_and_saveexec_b64 s[4:5], s[20:21]
	s_cbranch_execz .LBB1856_141
.LBB1856_156:
	global_load_dword v19, v[4:5], off offset:2304
	s_or_b64 exec, exec, s[4:5]
                                        ; implicit-def: $vgpr20
	s_and_saveexec_b64 s[4:5], s[22:23]
	s_cbranch_execnz .LBB1856_142
.LBB1856_157:
	s_or_b64 exec, exec, s[4:5]
                                        ; implicit-def: $vgpr21
	s_and_saveexec_b64 s[4:5], s[24:25]
	s_cbranch_execz .LBB1856_143
.LBB1856_158:
	global_load_dword v21, v[4:5], off offset:2816
	s_or_b64 exec, exec, s[4:5]
                                        ; implicit-def: $vgpr22
	s_and_saveexec_b64 s[4:5], s[26:27]
	s_cbranch_execnz .LBB1856_144
.LBB1856_159:
	s_or_b64 exec, exec, s[4:5]
                                        ; implicit-def: $vgpr23
	s_and_saveexec_b64 s[4:5], s[28:29]
	s_cbranch_execz .LBB1856_145
.LBB1856_160:
	global_load_dword v23, v[4:5], off offset:3328
	s_or_b64 exec, exec, s[4:5]
                                        ; implicit-def: $vgpr24
	s_and_saveexec_b64 s[4:5], s[30:31]
	s_cbranch_execnz .LBB1856_146
.LBB1856_161:
	s_or_b64 exec, exec, s[4:5]
                                        ; implicit-def: $vgpr25
	s_and_saveexec_b64 s[4:5], s[34:35]
	s_cbranch_execz .LBB1856_163
.LBB1856_162:
	global_load_dword v25, v[4:5], off offset:3840
.LBB1856_163:
	s_or_b64 exec, exec, s[4:5]
	s_mov_b32 s6, 0
	s_mov_b32 s7, 0
	s_movk_i32 s8, 0x1000
	v_mov_b32_e32 v5, 0
	s_movk_i32 s9, 0x400
	s_movk_i32 s10, 0x800
	;; [unrolled: 1-line block ×3, first 2 shown]
	s_mov_b32 s12, 0
	v_mov_b32_e32 v26, v2
	s_branch .LBB1856_165
.LBB1856_164:                           ;   in Loop: Header=BB1856_165 Depth=1
	s_or_b64 exec, exec, s[4:5]
	s_addk_i32 s12, 0xc000
	s_addk_i32 s7, 0xf000
	s_add_i32 s6, s6, 16
	s_cmp_eq_u32 s12, 0xffff0000
	v_add_u32_e32 v26, 0x1000, v26
	s_barrier
	s_cbranch_scc1 .LBB1856_205
.LBB1856_165:                           ; =>This Inner Loop Header: Depth=1
	v_add_u32_e32 v4, s7, v10
	v_cmp_gt_u32_e32 vcc, s8, v4
	s_and_saveexec_b64 s[4:5], vcc
	s_cbranch_execz .LBB1856_167
; %bb.166:                              ;   in Loop: Header=BB1856_165 Depth=1
	v_add_u32_e32 v4, s12, v30
	s_waitcnt vmcnt(0)
	ds_write_b32 v4, v6
.LBB1856_167:                           ;   in Loop: Header=BB1856_165 Depth=1
	s_or_b64 exec, exec, s[4:5]
	v_add_u32_e32 v4, s7, v28
	v_cmp_gt_u32_e32 vcc, s8, v4
	s_and_saveexec_b64 s[4:5], vcc
	s_cbranch_execz .LBB1856_169
; %bb.168:                              ;   in Loop: Header=BB1856_165 Depth=1
	v_add_u32_e32 v4, s12, v33
	s_waitcnt vmcnt(0)
	ds_write_b32 v4, v7
.LBB1856_169:                           ;   in Loop: Header=BB1856_165 Depth=1
	s_or_b64 exec, exec, s[4:5]
	v_add_u32_e32 v4, s7, v31
	v_cmp_gt_u32_e32 vcc, s8, v4
	s_and_saveexec_b64 s[4:5], vcc
	s_cbranch_execz .LBB1856_171
; %bb.170:                              ;   in Loop: Header=BB1856_165 Depth=1
	v_add_u32_e32 v4, s12, v36
	s_waitcnt vmcnt(0)
	ds_write_b32 v4, v8
.LBB1856_171:                           ;   in Loop: Header=BB1856_165 Depth=1
	s_or_b64 exec, exec, s[4:5]
	v_add_u32_e32 v4, s7, v35
	v_cmp_gt_u32_e32 vcc, s8, v4
	s_and_saveexec_b64 s[4:5], vcc
	s_cbranch_execz .LBB1856_173
; %bb.172:                              ;   in Loop: Header=BB1856_165 Depth=1
	v_add_u32_e32 v4, s12, v40
	s_waitcnt vmcnt(0)
	ds_write_b32 v4, v9
.LBB1856_173:                           ;   in Loop: Header=BB1856_165 Depth=1
	s_or_b64 exec, exec, s[4:5]
	v_add_u32_e32 v4, s7, v38
	v_cmp_gt_u32_e32 vcc, s8, v4
	s_and_saveexec_b64 s[4:5], vcc
	s_cbranch_execz .LBB1856_175
; %bb.174:                              ;   in Loop: Header=BB1856_165 Depth=1
	v_add_u32_e32 v4, s12, v43
	s_waitcnt vmcnt(0)
	ds_write_b32 v4, v14
.LBB1856_175:                           ;   in Loop: Header=BB1856_165 Depth=1
	s_or_b64 exec, exec, s[4:5]
	v_add_u32_e32 v4, s7, v42
	v_cmp_gt_u32_e32 vcc, s8, v4
	s_and_saveexec_b64 s[4:5], vcc
	s_cbranch_execz .LBB1856_177
; %bb.176:                              ;   in Loop: Header=BB1856_165 Depth=1
	v_add_u32_e32 v4, s12, v47
	s_waitcnt vmcnt(0)
	ds_write_b32 v4, v15
.LBB1856_177:                           ;   in Loop: Header=BB1856_165 Depth=1
	s_or_b64 exec, exec, s[4:5]
	v_add_u32_e32 v4, s7, v45
	v_cmp_gt_u32_e32 vcc, s8, v4
	s_and_saveexec_b64 s[4:5], vcc
	s_cbranch_execz .LBB1856_179
; %bb.178:                              ;   in Loop: Header=BB1856_165 Depth=1
	v_add_u32_e32 v4, s12, v50
	s_waitcnt vmcnt(0)
	ds_write_b32 v4, v16
.LBB1856_179:                           ;   in Loop: Header=BB1856_165 Depth=1
	s_or_b64 exec, exec, s[4:5]
	v_add_u32_e32 v4, s7, v48
	v_cmp_gt_u32_e32 vcc, s8, v4
	s_and_saveexec_b64 s[4:5], vcc
	s_cbranch_execz .LBB1856_181
; %bb.180:                              ;   in Loop: Header=BB1856_165 Depth=1
	v_add_u32_e32 v4, s12, v53
	s_waitcnt vmcnt(0)
	ds_write_b32 v4, v17
.LBB1856_181:                           ;   in Loop: Header=BB1856_165 Depth=1
	s_or_b64 exec, exec, s[4:5]
	v_add_u32_e32 v4, s7, v51
	v_cmp_gt_u32_e32 vcc, s8, v4
	s_and_saveexec_b64 s[4:5], vcc
	s_cbranch_execz .LBB1856_183
; %bb.182:                              ;   in Loop: Header=BB1856_165 Depth=1
	v_add_u32_e32 v4, s12, v56
	s_waitcnt vmcnt(0)
	ds_write_b32 v4, v18
.LBB1856_183:                           ;   in Loop: Header=BB1856_165 Depth=1
	s_or_b64 exec, exec, s[4:5]
	v_add_u32_e32 v4, s7, v54
	v_cmp_gt_u32_e32 vcc, s8, v4
	s_and_saveexec_b64 s[4:5], vcc
	s_cbranch_execz .LBB1856_185
; %bb.184:                              ;   in Loop: Header=BB1856_165 Depth=1
	v_add_u32_e32 v4, s12, v58
	s_waitcnt vmcnt(0)
	ds_write_b32 v4, v19
.LBB1856_185:                           ;   in Loop: Header=BB1856_165 Depth=1
	s_or_b64 exec, exec, s[4:5]
	v_add_u32_e32 v4, s7, v57
	v_cmp_gt_u32_e32 vcc, s8, v4
	s_and_saveexec_b64 s[4:5], vcc
	s_cbranch_execz .LBB1856_187
; %bb.186:                              ;   in Loop: Header=BB1856_165 Depth=1
	v_add_u32_e32 v4, s12, v55
	s_waitcnt vmcnt(0)
	ds_write_b32 v4, v20
.LBB1856_187:                           ;   in Loop: Header=BB1856_165 Depth=1
	s_or_b64 exec, exec, s[4:5]
	v_add_u32_e32 v4, s7, v52
	v_cmp_gt_u32_e32 vcc, s8, v4
	s_and_saveexec_b64 s[4:5], vcc
	s_cbranch_execz .LBB1856_189
; %bb.188:                              ;   in Loop: Header=BB1856_165 Depth=1
	v_add_u32_e32 v4, s12, v49
	s_waitcnt vmcnt(0)
	ds_write_b32 v4, v21
.LBB1856_189:                           ;   in Loop: Header=BB1856_165 Depth=1
	s_or_b64 exec, exec, s[4:5]
	v_add_u32_e32 v4, s7, v46
	v_cmp_gt_u32_e32 vcc, s8, v4
	s_and_saveexec_b64 s[4:5], vcc
	s_cbranch_execz .LBB1856_191
; %bb.190:                              ;   in Loop: Header=BB1856_165 Depth=1
	v_add_u32_e32 v4, s12, v44
	s_waitcnt vmcnt(0)
	ds_write_b32 v4, v22
.LBB1856_191:                           ;   in Loop: Header=BB1856_165 Depth=1
	s_or_b64 exec, exec, s[4:5]
	v_add_u32_e32 v4, s7, v41
	v_cmp_gt_u32_e32 vcc, s8, v4
	s_and_saveexec_b64 s[4:5], vcc
	s_cbranch_execz .LBB1856_193
; %bb.192:                              ;   in Loop: Header=BB1856_165 Depth=1
	v_add_u32_e32 v4, s12, v39
	s_waitcnt vmcnt(0)
	ds_write_b32 v4, v23
.LBB1856_193:                           ;   in Loop: Header=BB1856_165 Depth=1
	s_or_b64 exec, exec, s[4:5]
	v_add_u32_e32 v4, s7, v29
	v_cmp_gt_u32_e32 vcc, s8, v4
	s_and_saveexec_b64 s[4:5], vcc
	s_cbranch_execz .LBB1856_195
; %bb.194:                              ;   in Loop: Header=BB1856_165 Depth=1
	v_add_u32_e32 v4, s12, v13
	s_waitcnt vmcnt(0)
	ds_write_b32 v4, v24
.LBB1856_195:                           ;   in Loop: Header=BB1856_165 Depth=1
	s_or_b64 exec, exec, s[4:5]
	v_add_u32_e32 v4, s7, v12
	v_cmp_gt_u32_e32 vcc, s8, v4
	s_and_saveexec_b64 s[4:5], vcc
	s_cbranch_execz .LBB1856_197
; %bb.196:                              ;   in Loop: Header=BB1856_165 Depth=1
	v_add_u32_e32 v4, s12, v11
	s_waitcnt vmcnt(0)
	ds_write_b32 v4, v25
.LBB1856_197:                           ;   in Loop: Header=BB1856_165 Depth=1
	s_or_b64 exec, exec, s[4:5]
	v_cmp_gt_u32_e32 vcc, s3, v26
	s_waitcnt lgkmcnt(0)
	s_barrier
	s_and_saveexec_b64 s[4:5], vcc
	s_cbranch_execz .LBB1856_199
; %bb.198:                              ;   in Loop: Header=BB1856_165 Depth=1
	scratch_load_dword v4, off, s6
	s_waitcnt vmcnt(0)
	v_lshlrev_b32_e32 v4, 2, v4
	ds_read_b32 v4, v4
	ds_read_b32 v27, v37 offset:1024
	s_waitcnt lgkmcnt(1)
	v_add_u32_e32 v4, v26, v4
	v_lshl_add_u64 v[60:61], v[4:5], 2, s[58:59]
	s_waitcnt lgkmcnt(0)
	global_store_dword v[60:61], v27, off
.LBB1856_199:                           ;   in Loop: Header=BB1856_165 Depth=1
	s_or_b64 exec, exec, s[4:5]
	v_add_u32_e32 v4, 0x400, v26
	v_cmp_gt_u32_e32 vcc, s3, v4
	s_and_saveexec_b64 s[4:5], vcc
	s_cbranch_execz .LBB1856_201
; %bb.200:                              ;   in Loop: Header=BB1856_165 Depth=1
	s_add_i32 s13, s6, 4
	scratch_load_dword v4, off, s13
	s_waitcnt vmcnt(0)
	v_lshlrev_b32_e32 v4, 2, v4
	ds_read_b32 v4, v4
	ds_read_b32 v27, v37 offset:5120
	s_waitcnt lgkmcnt(1)
	v_add3_u32 v4, v26, v4, s9
	v_lshl_add_u64 v[60:61], v[4:5], 2, s[58:59]
	s_waitcnt lgkmcnt(0)
	global_store_dword v[60:61], v27, off
.LBB1856_201:                           ;   in Loop: Header=BB1856_165 Depth=1
	s_or_b64 exec, exec, s[4:5]
	v_add_u32_e32 v4, 0x800, v26
	v_cmp_gt_u32_e32 vcc, s3, v4
	s_and_saveexec_b64 s[4:5], vcc
	s_cbranch_execz .LBB1856_203
; %bb.202:                              ;   in Loop: Header=BB1856_165 Depth=1
	s_add_i32 s13, s6, 8
	scratch_load_dword v4, off, s13
	s_waitcnt vmcnt(0)
	v_lshlrev_b32_e32 v4, 2, v4
	ds_read_b32 v4, v4
	ds_read_b32 v27, v37 offset:9216
	s_waitcnt lgkmcnt(1)
	v_add3_u32 v4, v26, v4, s10
	v_lshl_add_u64 v[60:61], v[4:5], 2, s[58:59]
	s_waitcnt lgkmcnt(0)
	global_store_dword v[60:61], v27, off
.LBB1856_203:                           ;   in Loop: Header=BB1856_165 Depth=1
	s_or_b64 exec, exec, s[4:5]
	v_add_u32_e32 v4, 0xc00, v26
	v_cmp_gt_u32_e32 vcc, s3, v4
	s_and_saveexec_b64 s[4:5], vcc
	s_cbranch_execz .LBB1856_164
; %bb.204:                              ;   in Loop: Header=BB1856_165 Depth=1
	s_add_i32 s13, s6, 12
	scratch_load_dword v4, off, s13
	s_waitcnt vmcnt(0)
	v_lshlrev_b32_e32 v4, 2, v4
	ds_read_b32 v4, v4
	ds_read_b32 v27, v37 offset:13312
	s_waitcnt lgkmcnt(1)
	v_add3_u32 v4, v26, v4, s11
	v_lshl_add_u64 v[60:61], v[4:5], 2, s[58:59]
	s_waitcnt lgkmcnt(0)
	global_store_dword v[60:61], v27, off
	s_branch .LBB1856_164
.LBB1856_205:
	s_add_i32 s70, s70, -1
	s_cmp_eq_u32 s33, s70
	s_cselect_b64 s[4:5], -1, 0
	s_xor_b64 s[6:7], s[36:37], -1
	s_and_b64 s[6:7], s[6:7], s[4:5]
	s_and_saveexec_b64 s[4:5], s[6:7]
	s_cbranch_execz .LBB1856_207
; %bb.206:
	ds_read_b32 v4, v37
	s_waitcnt lgkmcnt(0)
	v_add3_u32 v4, v32, v34, v4
	global_store_dword v37, v4, s[62:63]
.LBB1856_207:
	s_or_b64 exec, exec, s[4:5]
	s_mov_b64 s[4:5], 0
.LBB1856_208:
	s_and_b64 vcc, exec, s[4:5]
	s_cbranch_vccz .LBB1856_331
; %bb.209:
	s_lshl_b32 s4, s33, 14
	s_mov_b32 s5, 0
	s_load_dword s12, s[0:1], 0x58
	s_load_dword s3, s[0:1], 0x64
	s_lshl_b64 s[8:9], s[4:5], 2
	v_mbcnt_hi_u32_b32 v10, -1, v3
	s_add_u32 s4, s52, s8
	v_and_b32_e32 v3, 63, v10
	s_waitcnt vmcnt(0)
	v_and_b32_e32 v6, 0x3c00, v1
	v_mov_b32_e32 v1, 0
	s_addc_u32 s5, s53, s9
	v_lshlrev_b32_e32 v4, 2, v3
	v_mov_b32_e32 v5, v1
	v_lshl_add_u64 v[8:9], s[4:5], 0, v[4:5]
	v_lshlrev_b32_e32 v6, 2, v6
	v_mov_b32_e32 v7, v1
	s_add_u32 s0, s0, 0x58
	v_lshl_add_u64 v[8:9], v[8:9], 0, v[6:7]
	s_addc_u32 s1, s1, 0
	s_waitcnt lgkmcnt(0)
	s_lshr_b32 s3, s3, 16
	global_load_dword v3, v[8:9], off
	s_cmp_lt_u32 s2, s12
	s_cselect_b32 s2, 12, 18
	s_add_u32 s0, s0, s2
	s_addc_u32 s1, s1, 0
	global_load_ushort v13, v1, s[0:1]
	v_mul_u32_u24_e32 v11, 20, v2
	ds_write2_b32 v11, v1, v1 offset0:16 offset1:17
	ds_write2_b32 v11, v1, v1 offset0:18 offset1:19
	ds_write_b32 v11, v1 offset:80
	global_load_dword v5, v[8:9], off offset:256
	global_load_dword v7, v[8:9], off offset:512
	;; [unrolled: 1-line block ×15, first 2 shown]
	v_bfe_u32 v14, v0, 10, 10
	v_bfe_u32 v0, v0, 20, 10
	v_mad_u32_u24 v8, v0, s3, v14
	s_lshl_b32 s0, -1, s65
	v_mov_b32_e32 v16, v1
	v_mov_b32_e32 v26, v1
	s_not_b32 s13, s0
	v_mov_b32_e32 v20, v1
	s_movk_i32 s6, 0x44
	s_waitcnt lgkmcnt(0)
	s_barrier
	s_waitcnt vmcnt(16)
	; wave barrier
	v_xor_b32_e32 v3, 0x7fffffff, v3
	v_lshrrev_b32_e32 v0, s64, v3
	v_bitop3_b32 v14, v0, s0, v0 bitop3:0x30
	v_and_b32_e32 v0, 1, v14
	v_lshlrev_b32_e32 v17, 30, v14
	v_lshlrev_b32_e32 v21, 29, v14
	v_lshlrev_b32_e32 v27, 28, v14
	s_waitcnt vmcnt(15)
	v_mad_u64_u32 v[8:9], s[0:1], v8, v13, v[2:3]
	v_lshl_add_u64 v[32:33], v[0:1], 0, -1
	v_cmp_ne_u32_e32 vcc, 0, v0
	v_not_b32_e32 v0, v17
	v_cmp_gt_i64_e64 s[0:1], 0, v[16:17]
	v_not_b32_e32 v9, v21
	v_cmp_gt_i64_e64 s[4:5], 0, v[26:27]
	v_not_b32_e32 v13, v27
	v_lshrrev_b32_e32 v27, 6, v8
	v_xor_b32_e32 v8, vcc_hi, v33
	v_ashrrev_i32_e32 v0, 31, v0
	v_cmp_gt_i64_e64 s[2:3], 0, v[20:21]
	v_xor_b32_e32 v16, vcc_lo, v32
	v_ashrrev_i32_e32 v9, 31, v9
	v_and_b32_e32 v8, exec_hi, v8
	v_xor_b32_e32 v17, s1, v0
	v_ashrrev_i32_e32 v13, 31, v13
	v_and_b32_e32 v16, exec_lo, v16
	v_xor_b32_e32 v0, s0, v0
	v_xor_b32_e32 v20, s3, v9
	v_and_b32_e32 v8, v8, v17
	v_xor_b32_e32 v9, s2, v9
	v_xor_b32_e32 v21, s5, v13
	v_and_b32_e32 v0, v16, v0
	v_and_b32_e32 v8, v8, v20
	v_and_b32_e32 v0, v0, v9
	v_and_b32_e32 v16, v8, v21
	v_lshlrev_b32_e32 v9, 27, v14
	v_mov_b32_e32 v8, v1
	v_cmp_gt_i64_e32 vcc, 0, v[8:9]
	v_not_b32_e32 v8, v9
	v_xor_b32_e32 v13, s4, v13
	v_ashrrev_i32_e32 v8, 31, v8
	v_and_b32_e32 v0, v0, v13
	v_xor_b32_e32 v9, vcc_hi, v8
	v_xor_b32_e32 v8, vcc_lo, v8
	v_and_b32_e32 v13, v16, v9
	v_and_b32_e32 v0, v0, v8
	v_lshlrev_b32_e32 v9, 26, v14
	v_mov_b32_e32 v8, v1
	v_cmp_gt_i64_e32 vcc, 0, v[8:9]
	v_not_b32_e32 v8, v9
	v_ashrrev_i32_e32 v8, 31, v8
	v_xor_b32_e32 v9, vcc_hi, v8
	v_xor_b32_e32 v8, vcc_lo, v8
	v_and_b32_e32 v13, v13, v9
	v_and_b32_e32 v0, v0, v8
	v_lshlrev_b32_e32 v9, 25, v14
	v_mov_b32_e32 v8, v1
	v_cmp_gt_i64_e32 vcc, 0, v[8:9]
	v_not_b32_e32 v8, v9
	v_ashrrev_i32_e32 v8, 31, v8
	v_xor_b32_e32 v9, vcc_hi, v8
	v_xor_b32_e32 v8, vcc_lo, v8
	v_and_b32_e32 v13, v13, v9
	v_and_b32_e32 v0, v0, v8
	v_lshlrev_b32_e32 v9, 24, v14
	v_mov_b32_e32 v8, v1
	v_cmp_gt_i64_e32 vcc, 0, v[8:9]
	v_not_b32_e32 v8, v9
	v_ashrrev_i32_e32 v8, 31, v8
	v_xor_b32_e32 v9, vcc_hi, v8
	v_xor_b32_e32 v8, vcc_lo, v8
	v_and_b32_e32 v8, v0, v8
	v_and_b32_e32 v9, v13, v9
	v_mbcnt_lo_u32_b32 v0, v8, 0
	v_mul_lo_u32 v18, v14, s6
	v_mbcnt_hi_u32_b32 v14, v9, v0
	v_cmp_eq_u32_e32 vcc, 0, v14
	v_cmp_ne_u64_e64 s[0:1], 0, v[8:9]
	v_lshl_add_u32 v18, v27, 2, v18
	s_and_b64 s[2:3], s[0:1], vcc
	s_and_saveexec_b64 s[0:1], s[2:3]
; %bb.210:
	v_bcnt_u32_b32 v0, v8, 0
	v_bcnt_u32_b32 v0, v9, v0
	ds_write_b32 v18, v0 offset:64
; %bb.211:
	s_or_b64 exec, exec, s[0:1]
	s_waitcnt vmcnt(14)
	v_xor_b32_e32 v5, 0x7fffffff, v5
	v_lshrrev_b32_e32 v0, s64, v5
	v_and_b32_e32 v16, s13, v0
	v_mul_lo_u32 v0, v16, s6
	v_lshl_add_u32 v21, v27, 2, v0
	v_and_b32_e32 v0, 1, v16
	v_lshl_add_u64 v[8:9], v[0:1], 0, -1
	v_cmp_ne_u32_e32 vcc, 0, v0
	; wave barrier
	s_nop 1
	v_xor_b32_e32 v8, vcc_lo, v8
	v_xor_b32_e32 v0, vcc_hi, v9
	v_and_b32_e32 v17, exec_lo, v8
	v_lshlrev_b32_e32 v9, 30, v16
	v_mov_b32_e32 v8, v1
	v_cmp_gt_i64_e32 vcc, 0, v[8:9]
	v_not_b32_e32 v8, v9
	v_ashrrev_i32_e32 v8, 31, v8
	v_and_b32_e32 v0, exec_hi, v0
	v_xor_b32_e32 v9, vcc_hi, v8
	v_xor_b32_e32 v8, vcc_lo, v8
	v_and_b32_e32 v0, v0, v9
	v_and_b32_e32 v17, v17, v8
	v_lshlrev_b32_e32 v9, 29, v16
	v_mov_b32_e32 v8, v1
	v_cmp_gt_i64_e32 vcc, 0, v[8:9]
	v_not_b32_e32 v8, v9
	v_ashrrev_i32_e32 v8, 31, v8
	v_xor_b32_e32 v9, vcc_hi, v8
	v_xor_b32_e32 v8, vcc_lo, v8
	v_and_b32_e32 v0, v0, v9
	v_and_b32_e32 v17, v17, v8
	v_lshlrev_b32_e32 v9, 28, v16
	v_mov_b32_e32 v8, v1
	v_cmp_gt_i64_e32 vcc, 0, v[8:9]
	v_not_b32_e32 v8, v9
	v_ashrrev_i32_e32 v8, 31, v8
	;; [unrolled: 9-line block ×5, first 2 shown]
	v_xor_b32_e32 v9, vcc_hi, v8
	v_xor_b32_e32 v8, vcc_lo, v8
	v_and_b32_e32 v0, v0, v9
	v_lshlrev_b32_e32 v9, 24, v16
	v_and_b32_e32 v17, v17, v8
	v_mov_b32_e32 v8, v1
	v_not_b32_e32 v1, v9
	v_cmp_gt_i64_e32 vcc, 0, v[8:9]
	v_ashrrev_i32_e32 v1, 31, v1
	ds_read_b32 v13, v21 offset:64
	v_xor_b32_e32 v8, vcc_hi, v1
	v_xor_b32_e32 v9, vcc_lo, v1
	v_and_b32_e32 v1, v0, v8
	v_and_b32_e32 v0, v17, v9
	v_mbcnt_lo_u32_b32 v8, v0, 0
	v_mbcnt_hi_u32_b32 v16, v1, v8
	v_cmp_eq_u32_e32 vcc, 0, v16
	v_cmp_ne_u64_e64 s[0:1], 0, v[0:1]
	s_and_b64 s[2:3], s[0:1], vcc
	; wave barrier
	s_and_saveexec_b64 s[0:1], s[2:3]
	s_cbranch_execz .LBB1856_213
; %bb.212:
	v_bcnt_u32_b32 v0, v0, 0
	v_bcnt_u32_b32 v0, v1, v0
	s_waitcnt lgkmcnt(0)
	v_add_u32_e32 v0, v13, v0
	ds_write_b32 v21, v0 offset:64
.LBB1856_213:
	s_or_b64 exec, exec, s[0:1]
	s_waitcnt vmcnt(13)
	v_xor_b32_e32 v7, 0x7fffffff, v7
	v_lshrrev_b32_e32 v0, s64, v7
	v_and_b32_e32 v20, s13, v0
	s_movk_i32 s2, 0x44
	v_mul_lo_u32 v0, v20, s2
	v_lshl_add_u32 v26, v27, 2, v0
	v_and_b32_e32 v0, 1, v20
	v_mov_b32_e32 v1, 0
	v_lshl_add_u64 v[8:9], v[0:1], 0, -1
	v_cmp_ne_u32_e32 vcc, 0, v0
	; wave barrier
	s_nop 1
	v_xor_b32_e32 v8, vcc_lo, v8
	v_xor_b32_e32 v0, vcc_hi, v9
	v_and_b32_e32 v22, exec_lo, v8
	v_lshlrev_b32_e32 v9, 30, v20
	v_mov_b32_e32 v8, v1
	v_cmp_gt_i64_e32 vcc, 0, v[8:9]
	v_not_b32_e32 v8, v9
	v_ashrrev_i32_e32 v8, 31, v8
	v_and_b32_e32 v0, exec_hi, v0
	v_xor_b32_e32 v9, vcc_hi, v8
	v_xor_b32_e32 v8, vcc_lo, v8
	v_and_b32_e32 v0, v0, v9
	v_and_b32_e32 v22, v22, v8
	v_lshlrev_b32_e32 v9, 29, v20
	v_mov_b32_e32 v8, v1
	v_cmp_gt_i64_e32 vcc, 0, v[8:9]
	v_not_b32_e32 v8, v9
	v_ashrrev_i32_e32 v8, 31, v8
	v_xor_b32_e32 v9, vcc_hi, v8
	v_xor_b32_e32 v8, vcc_lo, v8
	v_and_b32_e32 v0, v0, v9
	v_and_b32_e32 v22, v22, v8
	v_lshlrev_b32_e32 v9, 28, v20
	v_mov_b32_e32 v8, v1
	v_cmp_gt_i64_e32 vcc, 0, v[8:9]
	v_not_b32_e32 v8, v9
	v_ashrrev_i32_e32 v8, 31, v8
	;; [unrolled: 9-line block ×6, first 2 shown]
	v_xor_b32_e32 v9, vcc_hi, v8
	v_xor_b32_e32 v8, vcc_lo, v8
	ds_read_b32 v17, v26 offset:64
	v_and_b32_e32 v8, v22, v8
	v_and_b32_e32 v9, v0, v9
	v_mbcnt_lo_u32_b32 v0, v8, 0
	v_mbcnt_hi_u32_b32 v20, v9, v0
	v_cmp_eq_u32_e32 vcc, 0, v20
	v_cmp_ne_u64_e64 s[0:1], 0, v[8:9]
	s_and_b64 s[4:5], s[0:1], vcc
	; wave barrier
	s_and_saveexec_b64 s[0:1], s[4:5]
	s_cbranch_execz .LBB1856_215
; %bb.214:
	v_bcnt_u32_b32 v0, v8, 0
	v_bcnt_u32_b32 v0, v9, v0
	s_waitcnt lgkmcnt(0)
	v_add_u32_e32 v0, v17, v0
	ds_write_b32 v26, v0 offset:64
.LBB1856_215:
	s_or_b64 exec, exec, s[0:1]
	s_waitcnt vmcnt(12)
	v_xor_b32_e32 v12, 0x7fffffff, v12
	v_lshrrev_b32_e32 v0, s64, v12
	v_and_b32_e32 v24, s13, v0
	v_mul_lo_u32 v0, v24, s2
	v_lshl_add_u32 v32, v27, 2, v0
	v_and_b32_e32 v0, 1, v24
	v_lshl_add_u64 v[8:9], v[0:1], 0, -1
	v_cmp_ne_u32_e32 vcc, 0, v0
	; wave barrier
	s_nop 1
	v_xor_b32_e32 v8, vcc_lo, v8
	v_xor_b32_e32 v0, vcc_hi, v9
	v_and_b32_e32 v28, exec_lo, v8
	v_lshlrev_b32_e32 v9, 30, v24
	v_mov_b32_e32 v8, v1
	v_cmp_gt_i64_e32 vcc, 0, v[8:9]
	v_not_b32_e32 v8, v9
	v_ashrrev_i32_e32 v8, 31, v8
	v_and_b32_e32 v0, exec_hi, v0
	v_xor_b32_e32 v9, vcc_hi, v8
	v_xor_b32_e32 v8, vcc_lo, v8
	v_and_b32_e32 v0, v0, v9
	v_and_b32_e32 v28, v28, v8
	v_lshlrev_b32_e32 v9, 29, v24
	v_mov_b32_e32 v8, v1
	v_cmp_gt_i64_e32 vcc, 0, v[8:9]
	v_not_b32_e32 v8, v9
	v_ashrrev_i32_e32 v8, 31, v8
	v_xor_b32_e32 v9, vcc_hi, v8
	v_xor_b32_e32 v8, vcc_lo, v8
	v_and_b32_e32 v0, v0, v9
	v_and_b32_e32 v28, v28, v8
	v_lshlrev_b32_e32 v9, 28, v24
	v_mov_b32_e32 v8, v1
	v_cmp_gt_i64_e32 vcc, 0, v[8:9]
	v_not_b32_e32 v8, v9
	v_ashrrev_i32_e32 v8, 31, v8
	;; [unrolled: 9-line block ×5, first 2 shown]
	v_xor_b32_e32 v9, vcc_hi, v8
	v_xor_b32_e32 v8, vcc_lo, v8
	v_and_b32_e32 v0, v0, v9
	v_lshlrev_b32_e32 v9, 24, v24
	v_and_b32_e32 v28, v28, v8
	v_mov_b32_e32 v8, v1
	v_not_b32_e32 v1, v9
	v_cmp_gt_i64_e32 vcc, 0, v[8:9]
	v_ashrrev_i32_e32 v1, 31, v1
	ds_read_b32 v22, v32 offset:64
	v_xor_b32_e32 v8, vcc_hi, v1
	v_xor_b32_e32 v9, vcc_lo, v1
	v_and_b32_e32 v1, v0, v8
	v_and_b32_e32 v0, v28, v9
	v_mbcnt_lo_u32_b32 v8, v0, 0
	v_mbcnt_hi_u32_b32 v24, v1, v8
	v_cmp_eq_u32_e32 vcc, 0, v24
	v_cmp_ne_u64_e64 s[0:1], 0, v[0:1]
	s_and_b64 s[2:3], s[0:1], vcc
	; wave barrier
	s_and_saveexec_b64 s[0:1], s[2:3]
	s_cbranch_execz .LBB1856_217
; %bb.216:
	v_bcnt_u32_b32 v0, v0, 0
	v_bcnt_u32_b32 v0, v1, v0
	s_waitcnt lgkmcnt(0)
	v_add_u32_e32 v0, v22, v0
	ds_write_b32 v32, v0 offset:64
.LBB1856_217:
	s_or_b64 exec, exec, s[0:1]
	s_waitcnt vmcnt(11)
	v_xor_b32_e32 v15, 0x7fffffff, v15
	v_lshrrev_b32_e32 v0, s64, v15
	v_and_b32_e32 v30, s13, v0
	s_movk_i32 s2, 0x44
	v_mul_lo_u32 v0, v30, s2
	v_lshl_add_u32 v37, v27, 2, v0
	v_and_b32_e32 v0, 1, v30
	v_mov_b32_e32 v1, 0
	v_lshl_add_u64 v[8:9], v[0:1], 0, -1
	v_cmp_ne_u32_e32 vcc, 0, v0
	; wave barrier
	s_nop 1
	v_xor_b32_e32 v8, vcc_lo, v8
	v_xor_b32_e32 v0, vcc_hi, v9
	v_and_b32_e32 v33, exec_lo, v8
	v_lshlrev_b32_e32 v9, 30, v30
	v_mov_b32_e32 v8, v1
	v_cmp_gt_i64_e32 vcc, 0, v[8:9]
	v_not_b32_e32 v8, v9
	v_ashrrev_i32_e32 v8, 31, v8
	v_and_b32_e32 v0, exec_hi, v0
	v_xor_b32_e32 v9, vcc_hi, v8
	v_xor_b32_e32 v8, vcc_lo, v8
	v_and_b32_e32 v0, v0, v9
	v_and_b32_e32 v33, v33, v8
	v_lshlrev_b32_e32 v9, 29, v30
	v_mov_b32_e32 v8, v1
	v_cmp_gt_i64_e32 vcc, 0, v[8:9]
	v_not_b32_e32 v8, v9
	v_ashrrev_i32_e32 v8, 31, v8
	v_xor_b32_e32 v9, vcc_hi, v8
	v_xor_b32_e32 v8, vcc_lo, v8
	v_and_b32_e32 v0, v0, v9
	v_and_b32_e32 v33, v33, v8
	v_lshlrev_b32_e32 v9, 28, v30
	v_mov_b32_e32 v8, v1
	v_cmp_gt_i64_e32 vcc, 0, v[8:9]
	v_not_b32_e32 v8, v9
	v_ashrrev_i32_e32 v8, 31, v8
	;; [unrolled: 9-line block ×6, first 2 shown]
	v_xor_b32_e32 v9, vcc_hi, v8
	v_xor_b32_e32 v8, vcc_lo, v8
	ds_read_b32 v28, v37 offset:64
	v_and_b32_e32 v8, v33, v8
	v_and_b32_e32 v9, v0, v9
	v_mbcnt_lo_u32_b32 v0, v8, 0
	v_mbcnt_hi_u32_b32 v30, v9, v0
	v_cmp_eq_u32_e32 vcc, 0, v30
	v_cmp_ne_u64_e64 s[0:1], 0, v[8:9]
	s_and_b64 s[4:5], s[0:1], vcc
	; wave barrier
	s_and_saveexec_b64 s[0:1], s[4:5]
	s_cbranch_execz .LBB1856_219
; %bb.218:
	v_bcnt_u32_b32 v0, v8, 0
	v_bcnt_u32_b32 v0, v9, v0
	s_waitcnt lgkmcnt(0)
	v_add_u32_e32 v0, v28, v0
	ds_write_b32 v37, v0 offset:64
.LBB1856_219:
	s_or_b64 exec, exec, s[0:1]
	s_waitcnt vmcnt(10)
	v_xor_b32_e32 v19, 0x7fffffff, v19
	v_lshrrev_b32_e32 v0, s64, v19
	v_and_b32_e32 v35, s13, v0
	v_mul_lo_u32 v0, v35, s2
	v_lshl_add_u32 v41, v27, 2, v0
	v_and_b32_e32 v0, 1, v35
	v_lshl_add_u64 v[8:9], v[0:1], 0, -1
	v_cmp_ne_u32_e32 vcc, 0, v0
	; wave barrier
	s_nop 1
	v_xor_b32_e32 v8, vcc_lo, v8
	v_xor_b32_e32 v0, vcc_hi, v9
	v_and_b32_e32 v38, exec_lo, v8
	v_lshlrev_b32_e32 v9, 30, v35
	v_mov_b32_e32 v8, v1
	v_cmp_gt_i64_e32 vcc, 0, v[8:9]
	v_not_b32_e32 v8, v9
	v_ashrrev_i32_e32 v8, 31, v8
	v_and_b32_e32 v0, exec_hi, v0
	v_xor_b32_e32 v9, vcc_hi, v8
	v_xor_b32_e32 v8, vcc_lo, v8
	v_and_b32_e32 v0, v0, v9
	v_and_b32_e32 v38, v38, v8
	v_lshlrev_b32_e32 v9, 29, v35
	v_mov_b32_e32 v8, v1
	v_cmp_gt_i64_e32 vcc, 0, v[8:9]
	v_not_b32_e32 v8, v9
	v_ashrrev_i32_e32 v8, 31, v8
	v_xor_b32_e32 v9, vcc_hi, v8
	v_xor_b32_e32 v8, vcc_lo, v8
	v_and_b32_e32 v0, v0, v9
	v_and_b32_e32 v38, v38, v8
	v_lshlrev_b32_e32 v9, 28, v35
	v_mov_b32_e32 v8, v1
	v_cmp_gt_i64_e32 vcc, 0, v[8:9]
	v_not_b32_e32 v8, v9
	v_ashrrev_i32_e32 v8, 31, v8
	;; [unrolled: 9-line block ×5, first 2 shown]
	v_xor_b32_e32 v9, vcc_hi, v8
	v_xor_b32_e32 v8, vcc_lo, v8
	v_and_b32_e32 v0, v0, v9
	v_lshlrev_b32_e32 v9, 24, v35
	v_and_b32_e32 v38, v38, v8
	v_mov_b32_e32 v8, v1
	v_not_b32_e32 v1, v9
	v_cmp_gt_i64_e32 vcc, 0, v[8:9]
	v_ashrrev_i32_e32 v1, 31, v1
	ds_read_b32 v33, v41 offset:64
	v_xor_b32_e32 v8, vcc_hi, v1
	v_xor_b32_e32 v9, vcc_lo, v1
	v_and_b32_e32 v1, v0, v8
	v_and_b32_e32 v0, v38, v9
	v_mbcnt_lo_u32_b32 v8, v0, 0
	v_mbcnt_hi_u32_b32 v35, v1, v8
	v_cmp_eq_u32_e32 vcc, 0, v35
	v_cmp_ne_u64_e64 s[0:1], 0, v[0:1]
	s_and_b64 s[2:3], s[0:1], vcc
	; wave barrier
	s_and_saveexec_b64 s[0:1], s[2:3]
	s_cbranch_execz .LBB1856_221
; %bb.220:
	v_bcnt_u32_b32 v0, v0, 0
	v_bcnt_u32_b32 v0, v1, v0
	s_waitcnt lgkmcnt(0)
	v_add_u32_e32 v0, v33, v0
	ds_write_b32 v41, v0 offset:64
.LBB1856_221:
	s_or_b64 exec, exec, s[0:1]
	s_waitcnt vmcnt(9)
	v_xor_b32_e32 v23, 0x7fffffff, v23
	v_lshrrev_b32_e32 v0, s64, v23
	v_and_b32_e32 v42, s13, v0
	s_movk_i32 s2, 0x44
	v_mul_lo_u32 v0, v42, s2
	v_lshl_add_u32 v46, v27, 2, v0
	v_and_b32_e32 v0, 1, v42
	v_mov_b32_e32 v1, 0
	v_lshl_add_u64 v[8:9], v[0:1], 0, -1
	v_cmp_ne_u32_e32 vcc, 0, v0
	; wave barrier
	s_nop 1
	v_xor_b32_e32 v8, vcc_lo, v8
	v_xor_b32_e32 v0, vcc_hi, v9
	v_and_b32_e32 v43, exec_lo, v8
	v_lshlrev_b32_e32 v9, 30, v42
	v_mov_b32_e32 v8, v1
	v_cmp_gt_i64_e32 vcc, 0, v[8:9]
	v_not_b32_e32 v8, v9
	v_ashrrev_i32_e32 v8, 31, v8
	v_and_b32_e32 v0, exec_hi, v0
	v_xor_b32_e32 v9, vcc_hi, v8
	v_xor_b32_e32 v8, vcc_lo, v8
	v_and_b32_e32 v0, v0, v9
	v_and_b32_e32 v43, v43, v8
	v_lshlrev_b32_e32 v9, 29, v42
	v_mov_b32_e32 v8, v1
	v_cmp_gt_i64_e32 vcc, 0, v[8:9]
	v_not_b32_e32 v8, v9
	v_ashrrev_i32_e32 v8, 31, v8
	v_xor_b32_e32 v9, vcc_hi, v8
	v_xor_b32_e32 v8, vcc_lo, v8
	v_and_b32_e32 v0, v0, v9
	v_and_b32_e32 v43, v43, v8
	v_lshlrev_b32_e32 v9, 28, v42
	v_mov_b32_e32 v8, v1
	v_cmp_gt_i64_e32 vcc, 0, v[8:9]
	v_not_b32_e32 v8, v9
	v_ashrrev_i32_e32 v8, 31, v8
	;; [unrolled: 9-line block ×6, first 2 shown]
	v_xor_b32_e32 v9, vcc_hi, v8
	v_xor_b32_e32 v8, vcc_lo, v8
	ds_read_b32 v38, v46 offset:64
	v_and_b32_e32 v8, v43, v8
	v_and_b32_e32 v9, v0, v9
	v_mbcnt_lo_u32_b32 v0, v8, 0
	v_mbcnt_hi_u32_b32 v42, v9, v0
	v_cmp_eq_u32_e32 vcc, 0, v42
	v_cmp_ne_u64_e64 s[0:1], 0, v[8:9]
	s_and_b64 s[4:5], s[0:1], vcc
	; wave barrier
	s_and_saveexec_b64 s[0:1], s[4:5]
	s_cbranch_execz .LBB1856_223
; %bb.222:
	v_bcnt_u32_b32 v0, v8, 0
	v_bcnt_u32_b32 v0, v9, v0
	s_waitcnt lgkmcnt(0)
	v_add_u32_e32 v0, v38, v0
	ds_write_b32 v46, v0 offset:64
.LBB1856_223:
	s_or_b64 exec, exec, s[0:1]
	s_waitcnt vmcnt(8)
	v_xor_b32_e32 v29, 0x7fffffff, v29
	v_lshrrev_b32_e32 v0, s64, v29
	v_and_b32_e32 v47, s13, v0
	v_mul_lo_u32 v0, v47, s2
	v_lshl_add_u32 v49, v27, 2, v0
	v_and_b32_e32 v0, 1, v47
	v_lshl_add_u64 v[8:9], v[0:1], 0, -1
	v_cmp_ne_u32_e32 vcc, 0, v0
	; wave barrier
	s_nop 1
	v_xor_b32_e32 v8, vcc_lo, v8
	v_xor_b32_e32 v0, vcc_hi, v9
	v_and_b32_e32 v48, exec_lo, v8
	v_lshlrev_b32_e32 v9, 30, v47
	v_mov_b32_e32 v8, v1
	v_cmp_gt_i64_e32 vcc, 0, v[8:9]
	v_not_b32_e32 v8, v9
	v_ashrrev_i32_e32 v8, 31, v8
	v_and_b32_e32 v0, exec_hi, v0
	v_xor_b32_e32 v9, vcc_hi, v8
	v_xor_b32_e32 v8, vcc_lo, v8
	v_and_b32_e32 v0, v0, v9
	v_and_b32_e32 v48, v48, v8
	v_lshlrev_b32_e32 v9, 29, v47
	v_mov_b32_e32 v8, v1
	v_cmp_gt_i64_e32 vcc, 0, v[8:9]
	v_not_b32_e32 v8, v9
	v_ashrrev_i32_e32 v8, 31, v8
	v_xor_b32_e32 v9, vcc_hi, v8
	v_xor_b32_e32 v8, vcc_lo, v8
	v_and_b32_e32 v0, v0, v9
	v_and_b32_e32 v48, v48, v8
	v_lshlrev_b32_e32 v9, 28, v47
	v_mov_b32_e32 v8, v1
	v_cmp_gt_i64_e32 vcc, 0, v[8:9]
	v_not_b32_e32 v8, v9
	v_ashrrev_i32_e32 v8, 31, v8
	;; [unrolled: 9-line block ×5, first 2 shown]
	v_xor_b32_e32 v9, vcc_hi, v8
	v_xor_b32_e32 v8, vcc_lo, v8
	v_and_b32_e32 v0, v0, v9
	v_lshlrev_b32_e32 v9, 24, v47
	v_and_b32_e32 v48, v48, v8
	v_mov_b32_e32 v8, v1
	v_not_b32_e32 v1, v9
	v_cmp_gt_i64_e32 vcc, 0, v[8:9]
	v_ashrrev_i32_e32 v1, 31, v1
	ds_read_b32 v43, v49 offset:64
	v_xor_b32_e32 v8, vcc_hi, v1
	v_xor_b32_e32 v9, vcc_lo, v1
	v_and_b32_e32 v1, v0, v8
	v_and_b32_e32 v0, v48, v9
	v_mbcnt_lo_u32_b32 v8, v0, 0
	v_mbcnt_hi_u32_b32 v47, v1, v8
	v_cmp_eq_u32_e32 vcc, 0, v47
	v_cmp_ne_u64_e64 s[0:1], 0, v[0:1]
	s_and_b64 s[2:3], s[0:1], vcc
	; wave barrier
	s_and_saveexec_b64 s[0:1], s[2:3]
	s_cbranch_execz .LBB1856_225
; %bb.224:
	v_bcnt_u32_b32 v0, v0, 0
	v_bcnt_u32_b32 v0, v1, v0
	s_waitcnt lgkmcnt(0)
	v_add_u32_e32 v0, v43, v0
	ds_write_b32 v49, v0 offset:64
.LBB1856_225:
	s_or_b64 exec, exec, s[0:1]
	s_waitcnt vmcnt(7)
	v_xor_b32_e32 v34, 0x7fffffff, v34
	v_lshrrev_b32_e32 v0, s64, v34
	v_and_b32_e32 v50, s13, v0
	s_movk_i32 s2, 0x44
	v_mul_lo_u32 v0, v50, s2
	v_lshl_add_u32 v52, v27, 2, v0
	v_and_b32_e32 v0, 1, v50
	v_mov_b32_e32 v1, 0
	v_lshl_add_u64 v[8:9], v[0:1], 0, -1
	v_cmp_ne_u32_e32 vcc, 0, v0
	; wave barrier
	s_nop 1
	v_xor_b32_e32 v8, vcc_lo, v8
	v_xor_b32_e32 v0, vcc_hi, v9
	v_and_b32_e32 v51, exec_lo, v8
	v_lshlrev_b32_e32 v9, 30, v50
	v_mov_b32_e32 v8, v1
	v_cmp_gt_i64_e32 vcc, 0, v[8:9]
	v_not_b32_e32 v8, v9
	v_ashrrev_i32_e32 v8, 31, v8
	v_and_b32_e32 v0, exec_hi, v0
	v_xor_b32_e32 v9, vcc_hi, v8
	v_xor_b32_e32 v8, vcc_lo, v8
	v_and_b32_e32 v0, v0, v9
	v_and_b32_e32 v51, v51, v8
	v_lshlrev_b32_e32 v9, 29, v50
	v_mov_b32_e32 v8, v1
	v_cmp_gt_i64_e32 vcc, 0, v[8:9]
	v_not_b32_e32 v8, v9
	v_ashrrev_i32_e32 v8, 31, v8
	v_xor_b32_e32 v9, vcc_hi, v8
	v_xor_b32_e32 v8, vcc_lo, v8
	v_and_b32_e32 v0, v0, v9
	v_and_b32_e32 v51, v51, v8
	v_lshlrev_b32_e32 v9, 28, v50
	v_mov_b32_e32 v8, v1
	v_cmp_gt_i64_e32 vcc, 0, v[8:9]
	v_not_b32_e32 v8, v9
	v_ashrrev_i32_e32 v8, 31, v8
	;; [unrolled: 9-line block ×6, first 2 shown]
	v_xor_b32_e32 v9, vcc_hi, v8
	v_xor_b32_e32 v8, vcc_lo, v8
	ds_read_b32 v48, v52 offset:64
	v_and_b32_e32 v8, v51, v8
	v_and_b32_e32 v9, v0, v9
	v_mbcnt_lo_u32_b32 v0, v8, 0
	v_mbcnt_hi_u32_b32 v50, v9, v0
	v_cmp_eq_u32_e32 vcc, 0, v50
	v_cmp_ne_u64_e64 s[0:1], 0, v[8:9]
	s_and_b64 s[4:5], s[0:1], vcc
	; wave barrier
	s_and_saveexec_b64 s[0:1], s[4:5]
	s_cbranch_execz .LBB1856_227
; %bb.226:
	v_bcnt_u32_b32 v0, v8, 0
	v_bcnt_u32_b32 v0, v9, v0
	s_waitcnt lgkmcnt(0)
	v_add_u32_e32 v0, v48, v0
	ds_write_b32 v52, v0 offset:64
.LBB1856_227:
	s_or_b64 exec, exec, s[0:1]
	s_waitcnt vmcnt(6)
	v_xor_b32_e32 v39, 0x7fffffff, v39
	v_lshrrev_b32_e32 v0, s64, v39
	v_and_b32_e32 v53, s13, v0
	v_mul_lo_u32 v0, v53, s2
	v_lshl_add_u32 v55, v27, 2, v0
	v_and_b32_e32 v0, 1, v53
	v_lshl_add_u64 v[8:9], v[0:1], 0, -1
	v_cmp_ne_u32_e32 vcc, 0, v0
	; wave barrier
	s_nop 1
	v_xor_b32_e32 v8, vcc_lo, v8
	v_xor_b32_e32 v0, vcc_hi, v9
	v_and_b32_e32 v54, exec_lo, v8
	v_lshlrev_b32_e32 v9, 30, v53
	v_mov_b32_e32 v8, v1
	v_cmp_gt_i64_e32 vcc, 0, v[8:9]
	v_not_b32_e32 v8, v9
	v_ashrrev_i32_e32 v8, 31, v8
	v_and_b32_e32 v0, exec_hi, v0
	v_xor_b32_e32 v9, vcc_hi, v8
	v_xor_b32_e32 v8, vcc_lo, v8
	v_and_b32_e32 v0, v0, v9
	v_and_b32_e32 v54, v54, v8
	v_lshlrev_b32_e32 v9, 29, v53
	v_mov_b32_e32 v8, v1
	v_cmp_gt_i64_e32 vcc, 0, v[8:9]
	v_not_b32_e32 v8, v9
	v_ashrrev_i32_e32 v8, 31, v8
	v_xor_b32_e32 v9, vcc_hi, v8
	v_xor_b32_e32 v8, vcc_lo, v8
	v_and_b32_e32 v0, v0, v9
	v_and_b32_e32 v54, v54, v8
	v_lshlrev_b32_e32 v9, 28, v53
	v_mov_b32_e32 v8, v1
	v_cmp_gt_i64_e32 vcc, 0, v[8:9]
	v_not_b32_e32 v8, v9
	v_ashrrev_i32_e32 v8, 31, v8
	;; [unrolled: 9-line block ×5, first 2 shown]
	v_xor_b32_e32 v9, vcc_hi, v8
	v_xor_b32_e32 v8, vcc_lo, v8
	v_and_b32_e32 v0, v0, v9
	v_lshlrev_b32_e32 v9, 24, v53
	v_and_b32_e32 v54, v54, v8
	v_mov_b32_e32 v8, v1
	v_not_b32_e32 v1, v9
	v_cmp_gt_i64_e32 vcc, 0, v[8:9]
	v_ashrrev_i32_e32 v1, 31, v1
	ds_read_b32 v51, v55 offset:64
	v_xor_b32_e32 v8, vcc_hi, v1
	v_xor_b32_e32 v9, vcc_lo, v1
	v_and_b32_e32 v1, v0, v8
	v_and_b32_e32 v0, v54, v9
	v_mbcnt_lo_u32_b32 v8, v0, 0
	v_mbcnt_hi_u32_b32 v53, v1, v8
	v_cmp_eq_u32_e32 vcc, 0, v53
	v_cmp_ne_u64_e64 s[0:1], 0, v[0:1]
	s_and_b64 s[2:3], s[0:1], vcc
	; wave barrier
	s_and_saveexec_b64 s[0:1], s[2:3]
	s_cbranch_execz .LBB1856_229
; %bb.228:
	v_bcnt_u32_b32 v0, v0, 0
	v_bcnt_u32_b32 v0, v1, v0
	s_waitcnt lgkmcnt(0)
	v_add_u32_e32 v0, v51, v0
	ds_write_b32 v55, v0 offset:64
.LBB1856_229:
	s_or_b64 exec, exec, s[0:1]
	s_waitcnt vmcnt(5)
	v_xor_b32_e32 v44, 0x7fffffff, v44
	v_lshrrev_b32_e32 v0, s64, v44
	v_and_b32_e32 v56, s13, v0
	s_movk_i32 s2, 0x44
	v_mul_lo_u32 v0, v56, s2
	v_lshl_add_u32 v58, v27, 2, v0
	v_and_b32_e32 v0, 1, v56
	v_mov_b32_e32 v1, 0
	v_lshl_add_u64 v[8:9], v[0:1], 0, -1
	v_cmp_ne_u32_e32 vcc, 0, v0
	; wave barrier
	s_nop 1
	v_xor_b32_e32 v8, vcc_lo, v8
	v_xor_b32_e32 v0, vcc_hi, v9
	v_and_b32_e32 v57, exec_lo, v8
	v_lshlrev_b32_e32 v9, 30, v56
	v_mov_b32_e32 v8, v1
	v_cmp_gt_i64_e32 vcc, 0, v[8:9]
	v_not_b32_e32 v8, v9
	v_ashrrev_i32_e32 v8, 31, v8
	v_and_b32_e32 v0, exec_hi, v0
	v_xor_b32_e32 v9, vcc_hi, v8
	v_xor_b32_e32 v8, vcc_lo, v8
	v_and_b32_e32 v0, v0, v9
	v_and_b32_e32 v57, v57, v8
	v_lshlrev_b32_e32 v9, 29, v56
	v_mov_b32_e32 v8, v1
	v_cmp_gt_i64_e32 vcc, 0, v[8:9]
	v_not_b32_e32 v8, v9
	v_ashrrev_i32_e32 v8, 31, v8
	v_xor_b32_e32 v9, vcc_hi, v8
	v_xor_b32_e32 v8, vcc_lo, v8
	v_and_b32_e32 v0, v0, v9
	v_and_b32_e32 v57, v57, v8
	v_lshlrev_b32_e32 v9, 28, v56
	v_mov_b32_e32 v8, v1
	v_cmp_gt_i64_e32 vcc, 0, v[8:9]
	v_not_b32_e32 v8, v9
	v_ashrrev_i32_e32 v8, 31, v8
	;; [unrolled: 9-line block ×6, first 2 shown]
	v_xor_b32_e32 v9, vcc_hi, v8
	v_xor_b32_e32 v8, vcc_lo, v8
	ds_read_b32 v54, v58 offset:64
	v_and_b32_e32 v8, v57, v8
	v_and_b32_e32 v9, v0, v9
	v_mbcnt_lo_u32_b32 v0, v8, 0
	v_mbcnt_hi_u32_b32 v56, v9, v0
	v_cmp_eq_u32_e32 vcc, 0, v56
	v_cmp_ne_u64_e64 s[0:1], 0, v[8:9]
	s_and_b64 s[4:5], s[0:1], vcc
	; wave barrier
	s_and_saveexec_b64 s[0:1], s[4:5]
	s_cbranch_execz .LBB1856_231
; %bb.230:
	v_bcnt_u32_b32 v0, v8, 0
	v_bcnt_u32_b32 v0, v9, v0
	s_waitcnt lgkmcnt(0)
	v_add_u32_e32 v0, v54, v0
	ds_write_b32 v58, v0 offset:64
.LBB1856_231:
	s_or_b64 exec, exec, s[0:1]
	s_waitcnt vmcnt(4)
	v_xor_b32_e32 v45, 0x7fffffff, v45
	v_lshrrev_b32_e32 v0, s64, v45
	v_and_b32_e32 v59, s13, v0
	v_mul_lo_u32 v0, v59, s2
	v_lshl_add_u32 v62, v27, 2, v0
	v_and_b32_e32 v0, 1, v59
	v_lshl_add_u64 v[8:9], v[0:1], 0, -1
	v_cmp_ne_u32_e32 vcc, 0, v0
	; wave barrier
	s_nop 1
	v_xor_b32_e32 v8, vcc_lo, v8
	v_xor_b32_e32 v0, vcc_hi, v9
	v_and_b32_e32 v60, exec_lo, v8
	v_lshlrev_b32_e32 v9, 30, v59
	v_mov_b32_e32 v8, v1
	v_cmp_gt_i64_e32 vcc, 0, v[8:9]
	v_not_b32_e32 v8, v9
	v_ashrrev_i32_e32 v8, 31, v8
	v_and_b32_e32 v0, exec_hi, v0
	v_xor_b32_e32 v9, vcc_hi, v8
	v_xor_b32_e32 v8, vcc_lo, v8
	v_and_b32_e32 v0, v0, v9
	v_and_b32_e32 v60, v60, v8
	v_lshlrev_b32_e32 v9, 29, v59
	v_mov_b32_e32 v8, v1
	v_cmp_gt_i64_e32 vcc, 0, v[8:9]
	v_not_b32_e32 v8, v9
	v_ashrrev_i32_e32 v8, 31, v8
	v_xor_b32_e32 v9, vcc_hi, v8
	v_xor_b32_e32 v8, vcc_lo, v8
	v_and_b32_e32 v0, v0, v9
	v_and_b32_e32 v60, v60, v8
	v_lshlrev_b32_e32 v9, 28, v59
	v_mov_b32_e32 v8, v1
	v_cmp_gt_i64_e32 vcc, 0, v[8:9]
	v_not_b32_e32 v8, v9
	v_ashrrev_i32_e32 v8, 31, v8
	;; [unrolled: 9-line block ×5, first 2 shown]
	v_xor_b32_e32 v9, vcc_hi, v8
	v_xor_b32_e32 v8, vcc_lo, v8
	v_and_b32_e32 v0, v0, v9
	v_lshlrev_b32_e32 v9, 24, v59
	v_and_b32_e32 v60, v60, v8
	v_mov_b32_e32 v8, v1
	v_not_b32_e32 v1, v9
	v_cmp_gt_i64_e32 vcc, 0, v[8:9]
	v_ashrrev_i32_e32 v1, 31, v1
	ds_read_b32 v57, v62 offset:64
	v_xor_b32_e32 v8, vcc_hi, v1
	v_xor_b32_e32 v9, vcc_lo, v1
	v_and_b32_e32 v1, v0, v8
	v_and_b32_e32 v0, v60, v9
	v_mbcnt_lo_u32_b32 v8, v0, 0
	v_mbcnt_hi_u32_b32 v59, v1, v8
	v_cmp_eq_u32_e32 vcc, 0, v59
	v_cmp_ne_u64_e64 s[0:1], 0, v[0:1]
	s_and_b64 s[2:3], s[0:1], vcc
	; wave barrier
	s_and_saveexec_b64 s[0:1], s[2:3]
	s_cbranch_execz .LBB1856_233
; %bb.232:
	v_bcnt_u32_b32 v0, v0, 0
	v_bcnt_u32_b32 v0, v1, v0
	s_waitcnt lgkmcnt(0)
	v_add_u32_e32 v0, v57, v0
	ds_write_b32 v62, v0 offset:64
.LBB1856_233:
	s_or_b64 exec, exec, s[0:1]
	s_waitcnt vmcnt(3)
	v_xor_b32_e32 v40, 0x7fffffff, v40
	v_lshrrev_b32_e32 v0, s64, v40
	v_and_b32_e32 v61, s13, v0
	s_movk_i32 s2, 0x44
	v_mul_lo_u32 v0, v61, s2
	v_lshl_add_u32 v65, v27, 2, v0
	v_and_b32_e32 v0, 1, v61
	v_mov_b32_e32 v1, 0
	v_lshl_add_u64 v[8:9], v[0:1], 0, -1
	v_cmp_ne_u32_e32 vcc, 0, v0
	; wave barrier
	s_nop 1
	v_xor_b32_e32 v8, vcc_lo, v8
	v_xor_b32_e32 v0, vcc_hi, v9
	v_and_b32_e32 v63, exec_lo, v8
	v_lshlrev_b32_e32 v9, 30, v61
	v_mov_b32_e32 v8, v1
	v_cmp_gt_i64_e32 vcc, 0, v[8:9]
	v_not_b32_e32 v8, v9
	v_ashrrev_i32_e32 v8, 31, v8
	v_and_b32_e32 v0, exec_hi, v0
	v_xor_b32_e32 v9, vcc_hi, v8
	v_xor_b32_e32 v8, vcc_lo, v8
	v_and_b32_e32 v0, v0, v9
	v_and_b32_e32 v63, v63, v8
	v_lshlrev_b32_e32 v9, 29, v61
	v_mov_b32_e32 v8, v1
	v_cmp_gt_i64_e32 vcc, 0, v[8:9]
	v_not_b32_e32 v8, v9
	v_ashrrev_i32_e32 v8, 31, v8
	v_xor_b32_e32 v9, vcc_hi, v8
	v_xor_b32_e32 v8, vcc_lo, v8
	v_and_b32_e32 v0, v0, v9
	v_and_b32_e32 v63, v63, v8
	v_lshlrev_b32_e32 v9, 28, v61
	v_mov_b32_e32 v8, v1
	v_cmp_gt_i64_e32 vcc, 0, v[8:9]
	v_not_b32_e32 v8, v9
	v_ashrrev_i32_e32 v8, 31, v8
	;; [unrolled: 9-line block ×6, first 2 shown]
	v_xor_b32_e32 v9, vcc_hi, v8
	v_xor_b32_e32 v8, vcc_lo, v8
	ds_read_b32 v60, v65 offset:64
	v_and_b32_e32 v8, v63, v8
	v_and_b32_e32 v9, v0, v9
	v_mbcnt_lo_u32_b32 v0, v8, 0
	v_mbcnt_hi_u32_b32 v63, v9, v0
	v_cmp_eq_u32_e32 vcc, 0, v63
	v_cmp_ne_u64_e64 s[0:1], 0, v[8:9]
	s_and_b64 s[4:5], s[0:1], vcc
	; wave barrier
	s_and_saveexec_b64 s[0:1], s[4:5]
	s_cbranch_execz .LBB1856_235
; %bb.234:
	v_bcnt_u32_b32 v0, v8, 0
	v_bcnt_u32_b32 v0, v9, v0
	s_waitcnt lgkmcnt(0)
	v_add_u32_e32 v0, v60, v0
	ds_write_b32 v65, v0 offset:64
.LBB1856_235:
	s_or_b64 exec, exec, s[0:1]
	s_waitcnt vmcnt(2)
	v_xor_b32_e32 v36, 0x7fffffff, v36
	v_lshrrev_b32_e32 v0, s64, v36
	v_and_b32_e32 v61, s13, v0
	v_mul_lo_u32 v0, v61, s2
	v_lshl_add_u32 v68, v27, 2, v0
	v_and_b32_e32 v0, 1, v61
	v_lshl_add_u64 v[8:9], v[0:1], 0, -1
	v_cmp_ne_u32_e32 vcc, 0, v0
	; wave barrier
	s_nop 1
	v_xor_b32_e32 v8, vcc_lo, v8
	v_xor_b32_e32 v0, vcc_hi, v9
	v_and_b32_e32 v66, exec_lo, v8
	v_lshlrev_b32_e32 v9, 30, v61
	v_mov_b32_e32 v8, v1
	v_cmp_gt_i64_e32 vcc, 0, v[8:9]
	v_not_b32_e32 v8, v9
	v_ashrrev_i32_e32 v8, 31, v8
	v_and_b32_e32 v0, exec_hi, v0
	v_xor_b32_e32 v9, vcc_hi, v8
	v_xor_b32_e32 v8, vcc_lo, v8
	v_and_b32_e32 v0, v0, v9
	v_and_b32_e32 v66, v66, v8
	v_lshlrev_b32_e32 v9, 29, v61
	v_mov_b32_e32 v8, v1
	v_cmp_gt_i64_e32 vcc, 0, v[8:9]
	v_not_b32_e32 v8, v9
	v_ashrrev_i32_e32 v8, 31, v8
	v_xor_b32_e32 v9, vcc_hi, v8
	v_xor_b32_e32 v8, vcc_lo, v8
	v_and_b32_e32 v0, v0, v9
	v_and_b32_e32 v66, v66, v8
	v_lshlrev_b32_e32 v9, 28, v61
	v_mov_b32_e32 v8, v1
	v_cmp_gt_i64_e32 vcc, 0, v[8:9]
	v_not_b32_e32 v8, v9
	v_ashrrev_i32_e32 v8, 31, v8
	;; [unrolled: 9-line block ×5, first 2 shown]
	v_xor_b32_e32 v9, vcc_hi, v8
	v_xor_b32_e32 v8, vcc_lo, v8
	v_and_b32_e32 v0, v0, v9
	v_lshlrev_b32_e32 v9, 24, v61
	v_and_b32_e32 v66, v66, v8
	v_mov_b32_e32 v8, v1
	v_not_b32_e32 v1, v9
	v_cmp_gt_i64_e32 vcc, 0, v[8:9]
	v_ashrrev_i32_e32 v1, 31, v1
	ds_read_b32 v64, v68 offset:64
	v_xor_b32_e32 v8, vcc_hi, v1
	v_xor_b32_e32 v9, vcc_lo, v1
	v_and_b32_e32 v1, v0, v8
	v_and_b32_e32 v0, v66, v9
	v_mbcnt_lo_u32_b32 v8, v0, 0
	v_mbcnt_hi_u32_b32 v66, v1, v8
	v_cmp_eq_u32_e32 vcc, 0, v66
	v_cmp_ne_u64_e64 s[0:1], 0, v[0:1]
	s_and_b64 s[2:3], s[0:1], vcc
	; wave barrier
	s_and_saveexec_b64 s[0:1], s[2:3]
	s_cbranch_execz .LBB1856_237
; %bb.236:
	v_bcnt_u32_b32 v0, v0, 0
	v_bcnt_u32_b32 v0, v1, v0
	s_waitcnt lgkmcnt(0)
	v_add_u32_e32 v0, v64, v0
	ds_write_b32 v68, v0 offset:64
.LBB1856_237:
	s_or_b64 exec, exec, s[0:1]
	s_waitcnt vmcnt(1)
	v_xor_b32_e32 v31, 0x7fffffff, v31
	v_lshrrev_b32_e32 v0, s64, v31
	v_and_b32_e32 v61, s13, v0
	s_movk_i32 s2, 0x44
	v_mul_lo_u32 v0, v61, s2
	v_lshl_add_u32 v70, v27, 2, v0
	v_and_b32_e32 v0, 1, v61
	v_mov_b32_e32 v1, 0
	v_lshl_add_u64 v[8:9], v[0:1], 0, -1
	v_cmp_ne_u32_e32 vcc, 0, v0
	; wave barrier
	s_nop 1
	v_xor_b32_e32 v8, vcc_lo, v8
	v_xor_b32_e32 v0, vcc_hi, v9
	v_and_b32_e32 v69, exec_lo, v8
	v_lshlrev_b32_e32 v9, 30, v61
	v_mov_b32_e32 v8, v1
	v_cmp_gt_i64_e32 vcc, 0, v[8:9]
	v_not_b32_e32 v8, v9
	v_ashrrev_i32_e32 v8, 31, v8
	v_and_b32_e32 v0, exec_hi, v0
	v_xor_b32_e32 v9, vcc_hi, v8
	v_xor_b32_e32 v8, vcc_lo, v8
	v_and_b32_e32 v0, v0, v9
	v_and_b32_e32 v69, v69, v8
	v_lshlrev_b32_e32 v9, 29, v61
	v_mov_b32_e32 v8, v1
	v_cmp_gt_i64_e32 vcc, 0, v[8:9]
	v_not_b32_e32 v8, v9
	v_ashrrev_i32_e32 v8, 31, v8
	v_xor_b32_e32 v9, vcc_hi, v8
	v_xor_b32_e32 v8, vcc_lo, v8
	v_and_b32_e32 v0, v0, v9
	v_and_b32_e32 v69, v69, v8
	v_lshlrev_b32_e32 v9, 28, v61
	v_mov_b32_e32 v8, v1
	v_cmp_gt_i64_e32 vcc, 0, v[8:9]
	v_not_b32_e32 v8, v9
	v_ashrrev_i32_e32 v8, 31, v8
	;; [unrolled: 9-line block ×6, first 2 shown]
	v_xor_b32_e32 v9, vcc_hi, v8
	v_xor_b32_e32 v8, vcc_lo, v8
	ds_read_b32 v67, v70 offset:64
	v_and_b32_e32 v8, v69, v8
	v_and_b32_e32 v9, v0, v9
	v_mbcnt_lo_u32_b32 v0, v8, 0
	v_mbcnt_hi_u32_b32 v69, v9, v0
	v_cmp_eq_u32_e32 vcc, 0, v69
	v_cmp_ne_u64_e64 s[0:1], 0, v[8:9]
	s_and_b64 s[4:5], s[0:1], vcc
	; wave barrier
	s_and_saveexec_b64 s[0:1], s[4:5]
	s_cbranch_execz .LBB1856_239
; %bb.238:
	v_bcnt_u32_b32 v0, v8, 0
	v_bcnt_u32_b32 v0, v9, v0
	s_waitcnt lgkmcnt(0)
	v_add_u32_e32 v0, v67, v0
	ds_write_b32 v70, v0 offset:64
.LBB1856_239:
	s_or_b64 exec, exec, s[0:1]
	s_waitcnt vmcnt(0)
	v_xor_b32_e32 v61, 0x7fffffff, v25
	v_lshrrev_b32_e32 v0, s64, v61
	v_and_b32_e32 v25, s13, v0
	v_mul_lo_u32 v0, v25, s2
	v_lshl_add_u32 v72, v27, 2, v0
	v_and_b32_e32 v0, 1, v25
	v_lshl_add_u64 v[8:9], v[0:1], 0, -1
	v_cmp_ne_u32_e32 vcc, 0, v0
	; wave barrier
	s_nop 1
	v_xor_b32_e32 v8, vcc_lo, v8
	v_xor_b32_e32 v0, vcc_hi, v9
	v_and_b32_e32 v71, exec_lo, v8
	v_lshlrev_b32_e32 v9, 30, v25
	v_mov_b32_e32 v8, v1
	v_cmp_gt_i64_e32 vcc, 0, v[8:9]
	v_not_b32_e32 v8, v9
	v_ashrrev_i32_e32 v8, 31, v8
	v_and_b32_e32 v0, exec_hi, v0
	v_xor_b32_e32 v9, vcc_hi, v8
	v_xor_b32_e32 v8, vcc_lo, v8
	v_and_b32_e32 v0, v0, v9
	v_and_b32_e32 v71, v71, v8
	v_lshlrev_b32_e32 v9, 29, v25
	v_mov_b32_e32 v8, v1
	v_cmp_gt_i64_e32 vcc, 0, v[8:9]
	v_not_b32_e32 v8, v9
	v_ashrrev_i32_e32 v8, 31, v8
	v_xor_b32_e32 v9, vcc_hi, v8
	v_xor_b32_e32 v8, vcc_lo, v8
	v_and_b32_e32 v0, v0, v9
	v_and_b32_e32 v71, v71, v8
	v_lshlrev_b32_e32 v9, 28, v25
	v_mov_b32_e32 v8, v1
	v_cmp_gt_i64_e32 vcc, 0, v[8:9]
	v_not_b32_e32 v8, v9
	v_ashrrev_i32_e32 v8, 31, v8
	;; [unrolled: 9-line block ×5, first 2 shown]
	v_xor_b32_e32 v9, vcc_hi, v8
	v_xor_b32_e32 v8, vcc_lo, v8
	v_and_b32_e32 v0, v0, v9
	v_lshlrev_b32_e32 v9, 24, v25
	v_and_b32_e32 v71, v71, v8
	v_mov_b32_e32 v8, v1
	v_not_b32_e32 v1, v9
	v_cmp_gt_i64_e32 vcc, 0, v[8:9]
	v_ashrrev_i32_e32 v1, 31, v1
	ds_read_b32 v27, v72 offset:64
	v_xor_b32_e32 v8, vcc_hi, v1
	v_xor_b32_e32 v9, vcc_lo, v1
	v_and_b32_e32 v1, v0, v8
	v_and_b32_e32 v0, v71, v9
	v_mbcnt_lo_u32_b32 v8, v0, 0
	v_mbcnt_hi_u32_b32 v71, v1, v8
	v_cmp_eq_u32_e32 vcc, 0, v71
	v_cmp_ne_u64_e64 s[0:1], 0, v[0:1]
	s_and_b64 s[2:3], s[0:1], vcc
	; wave barrier
	s_and_saveexec_b64 s[0:1], s[2:3]
	s_cbranch_execz .LBB1856_241
; %bb.240:
	v_bcnt_u32_b32 v0, v0, 0
	v_bcnt_u32_b32 v0, v1, v0
	s_waitcnt lgkmcnt(0)
	v_add_u32_e32 v0, v27, v0
	ds_write_b32 v72, v0 offset:64
.LBB1856_241:
	s_or_b64 exec, exec, s[0:1]
	; wave barrier
	s_waitcnt lgkmcnt(0)
	s_barrier
	ds_read2_b32 v[8:9], v11 offset0:16 offset1:17
	ds_read2_b32 v[0:1], v11 offset0:18 offset1:19
	ds_read_b32 v25, v11 offset:80
	v_cmp_lt_u32_e64 s[2:3], 31, v10
	s_waitcnt lgkmcnt(1)
	v_add3_u32 v73, v9, v8, v0
	s_waitcnt lgkmcnt(0)
	v_add3_u32 v25, v73, v1, v25
	v_and_b32_e32 v73, 15, v10
	v_cmp_eq_u32_e32 vcc, 0, v73
	v_mov_b32_dpp v74, v25 row_shr:1 row_mask:0xf bank_mask:0xf
	v_cmp_lt_u32_e64 s[0:1], 1, v73
	v_cndmask_b32_e64 v74, v74, 0, vcc
	v_add_u32_e32 v25, v74, v25
	v_cmp_lt_u32_e64 s[4:5], 3, v73
	v_cmp_lt_u32_e64 s[6:7], 7, v73
	v_mov_b32_dpp v74, v25 row_shr:2 row_mask:0xf bank_mask:0xf
	v_cndmask_b32_e64 v74, 0, v74, s[0:1]
	v_add_u32_e32 v25, v25, v74
	s_nop 1
	v_mov_b32_dpp v74, v25 row_shr:4 row_mask:0xf bank_mask:0xf
	v_cndmask_b32_e64 v74, 0, v74, s[4:5]
	v_add_u32_e32 v25, v25, v74
	s_nop 1
	v_mov_b32_dpp v74, v25 row_shr:8 row_mask:0xf bank_mask:0xf
	v_cndmask_b32_e64 v73, 0, v74, s[6:7]
	v_add_u32_e32 v25, v25, v73
	v_bfe_i32 v74, v10, 4, 1
	s_nop 0
	v_mov_b32_dpp v73, v25 row_bcast:15 row_mask:0xf bank_mask:0xf
	v_and_b32_e32 v73, v74, v73
	v_add_u32_e32 v25, v25, v73
	v_lshrrev_b32_e32 v74, 6, v2
	s_nop 0
	v_mov_b32_dpp v73, v25 row_bcast:31 row_mask:0xf bank_mask:0xf
	v_cndmask_b32_e64 v73, 0, v73, s[2:3]
	v_add_u32_e32 v73, v25, v73
	v_and_b32_e32 v25, 63, v2
	v_cmp_eq_u32_e64 s[2:3], 63, v25
	s_and_saveexec_b64 s[10:11], s[2:3]
; %bb.242:
	v_lshlrev_b32_e32 v25, 2, v74
	ds_write_b32 v25, v73
; %bb.243:
	s_or_b64 exec, exec, s[10:11]
	v_cmp_gt_u32_e64 s[2:3], 16, v2
	v_lshlrev_b32_e32 v25, 2, v2
	s_waitcnt lgkmcnt(0)
	s_barrier
	s_and_saveexec_b64 s[10:11], s[2:3]
	s_cbranch_execz .LBB1856_245
; %bb.244:
	ds_read_b32 v75, v25
	s_waitcnt lgkmcnt(0)
	s_nop 0
	v_mov_b32_dpp v76, v75 row_shr:1 row_mask:0xf bank_mask:0xf
	v_cndmask_b32_e64 v76, v76, 0, vcc
	v_add_u32_e32 v75, v76, v75
	s_nop 1
	v_mov_b32_dpp v76, v75 row_shr:2 row_mask:0xf bank_mask:0xf
	v_cndmask_b32_e64 v76, 0, v76, s[0:1]
	v_add_u32_e32 v75, v75, v76
	s_nop 1
	v_mov_b32_dpp v76, v75 row_shr:4 row_mask:0xf bank_mask:0xf
	v_cndmask_b32_e64 v76, 0, v76, s[4:5]
	;; [unrolled: 4-line block ×3, first 2 shown]
	v_add_u32_e32 v75, v75, v76
	ds_write_b32 v25, v75
.LBB1856_245:
	s_or_b64 exec, exec, s[10:11]
	v_cmp_lt_u32_e32 vcc, 63, v2
	v_mov_b32_e32 v75, 0
	s_waitcnt lgkmcnt(0)
	s_barrier
	s_and_saveexec_b64 s[0:1], vcc
; %bb.246:
	v_lshl_add_u32 v74, v74, 2, -4
	ds_read_b32 v75, v74
; %bb.247:
	s_or_b64 exec, exec, s[0:1]
	v_subrev_co_u32_e32 v74, vcc, 1, v10
	v_and_b32_e32 v76, 64, v10
	v_cmp_lt_i32_e64 s[0:1], v74, v76
	s_waitcnt lgkmcnt(0)
	v_add_u32_e32 v73, v75, v73
	s_movk_i32 s2, 0x100
	v_cndmask_b32_e64 v10, v74, v10, s[0:1]
	v_lshlrev_b32_e32 v10, 2, v10
	ds_bpermute_b32 v10, v10, v73
	s_movk_i32 s0, 0xff
	s_waitcnt lgkmcnt(0)
	v_cndmask_b32_e32 v10, v10, v75, vcc
	v_cndmask_b32_e64 v10, v10, 0, s[44:45]
	v_add_u32_e32 v8, v10, v8
	v_add_u32_e32 v9, v8, v9
	;; [unrolled: 1-line block ×4, first 2 shown]
	ds_write2_b32 v11, v10, v8 offset0:16 offset1:17
	ds_write2_b32 v11, v9, v0 offset0:18 offset1:19
	ds_write_b32 v11, v1 offset:80
	s_waitcnt lgkmcnt(0)
	s_barrier
	ds_read_b32 v81, v18 offset:64
	ds_read_b32 v73, v21 offset:64
	;; [unrolled: 1-line block ×16, first 2 shown]
	v_cmp_lt_u32_e32 vcc, s0, v2
	v_cmp_gt_u32_e64 s[0:1], s2, v2
                                        ; implicit-def: $vgpr18
                                        ; implicit-def: $vgpr21
	s_and_saveexec_b64 s[4:5], s[0:1]
	s_cbranch_execz .LBB1856_251
; %bb.248:
	v_mul_u32_u24_e32 v0, 0x44, v2
	ds_read_b32 v18, v0 offset:64
	v_add_u32_e32 v1, 1, v2
	v_cmp_ne_u32_e64 s[2:3], s2, v1
	v_mov_b32_e32 v0, 0x4000
	s_and_saveexec_b64 s[6:7], s[2:3]
; %bb.249:
	v_mul_u32_u24_e32 v0, 0x44, v1
	ds_read_b32 v0, v0 offset:64
; %bb.250:
	s_or_b64 exec, exec, s[6:7]
	s_waitcnt lgkmcnt(0)
	v_sub_u32_e32 v21, v0, v18
.LBB1856_251:
	s_or_b64 exec, exec, s[4:5]
	v_mov_b32_e32 v1, 0
	s_waitcnt lgkmcnt(0)
	s_barrier
	s_and_saveexec_b64 s[2:3], s[0:1]
	s_cbranch_execz .LBB1856_261
; %bb.252:
	v_lshl_add_u32 v0, s33, 8, v2
	v_lshl_add_u64 v[8:9], v[0:1], 2, s[68:69]
	v_or_b32_e32 v0, 2.0, v21
	s_mov_b64 s[4:5], 0
	s_brev_b32 s14, -4
	s_mov_b32 s15, s33
	v_mov_b32_e32 v49, 0
	global_store_dword v[8:9], v0, off sc1
                                        ; implicit-def: $sgpr0_sgpr1
	s_branch .LBB1856_255
.LBB1856_253:                           ;   in Loop: Header=BB1856_255 Depth=1
	s_or_b64 exec, exec, s[10:11]
.LBB1856_254:                           ;   in Loop: Header=BB1856_255 Depth=1
	s_or_b64 exec, exec, s[6:7]
	v_and_b32_e32 v10, 0x3fffffff, v0
	v_add_u32_e32 v49, v10, v49
	v_cmp_gt_i32_e64 s[0:1], -2.0, v0
	s_and_b64 s[6:7], exec, s[0:1]
	s_or_b64 s[4:5], s[6:7], s[4:5]
	s_andn2_b64 exec, exec, s[4:5]
	s_cbranch_execz .LBB1856_260
.LBB1856_255:                           ; =>This Loop Header: Depth=1
                                        ;     Child Loop BB1856_258 Depth 2
	s_or_b64 s[0:1], s[0:1], exec
	s_cmp_eq_u32 s15, 0
	s_cbranch_scc1 .LBB1856_259
; %bb.256:                              ;   in Loop: Header=BB1856_255 Depth=1
	s_add_i32 s15, s15, -1
	v_lshl_or_b32 v0, s15, 8, v2
	v_lshl_add_u64 v[10:11], v[0:1], 2, s[68:69]
	global_load_dword v0, v[10:11], off sc1
	s_waitcnt vmcnt(0)
	v_cmp_gt_u32_e64 s[0:1], 2.0, v0
	s_and_saveexec_b64 s[6:7], s[0:1]
	s_cbranch_execz .LBB1856_254
; %bb.257:                              ;   in Loop: Header=BB1856_255 Depth=1
	s_mov_b64 s[10:11], 0
.LBB1856_258:                           ;   Parent Loop BB1856_255 Depth=1
                                        ; =>  This Inner Loop Header: Depth=2
	global_load_dword v0, v[10:11], off sc1
	s_waitcnt vmcnt(0)
	v_cmp_lt_u32_e64 s[0:1], s14, v0
	s_or_b64 s[10:11], s[0:1], s[10:11]
	s_andn2_b64 exec, exec, s[10:11]
	s_cbranch_execnz .LBB1856_258
	s_branch .LBB1856_253
.LBB1856_259:                           ;   in Loop: Header=BB1856_255 Depth=1
                                        ; implicit-def: $sgpr15
	s_and_b64 s[6:7], exec, s[0:1]
	s_or_b64 s[4:5], s[6:7], s[4:5]
	s_andn2_b64 exec, exec, s[4:5]
	s_cbranch_execnz .LBB1856_255
.LBB1856_260:
	s_or_b64 exec, exec, s[4:5]
	v_add_u32_e32 v0, v49, v21
	v_or_b32_e32 v0, 0x80000000, v0
	global_store_dword v[8:9], v0, off sc1
	global_load_dword v0, v25, s[60:61]
	v_sub_u32_e32 v1, v49, v18
	s_waitcnt vmcnt(0)
	v_add_u32_e32 v0, v1, v0
	ds_write_b32 v25, v0
.LBB1856_261:
	s_or_b64 exec, exec, s[2:3]
	v_add_u32_e32 v8, v81, v14
	v_add3_u32 v0, v16, v13, v73
	v_add3_u32 v1, v20, v17, v74
	;; [unrolled: 1-line block ×15, first 2 shown]
	v_mov_b32_e32 v85, 0x400
	s_mov_b32 s4, s64
	s_mov_b32 s5, s13
	s_movk_i32 s6, 0x400
	v_lshl_add_u32 v9, v9, 2, v85
	v_add3_u32 v10, v71, v41, v27
	v_lshl_add_u32 v11, v11, 2, v85
	v_add3_u32 v14, v69, v26, v67
	v_lshl_add_u32 v26, v84, 2, v85
	v_add3_u32 v27, v66, v32, v64
	v_lshl_add_u32 v32, v83, 2, v85
	v_add3_u32 v37, v63, v37, v60
	v_lshl_add_u32 v41, v82, 2, v85
	v_add3_u32 v46, v59, v46, v57
	v_lshl_add_u32 v49, v49, 2, v85
	v_add3_u32 v52, v56, v52, v54
	v_lshl_add_u32 v54, v81, 2, v85
	v_add3_u32 v51, v53, v55, v51
	v_lshl_add_u32 v53, v72, 2, v85
	v_add3_u32 v48, v50, v80, v48
	v_lshl_add_u32 v50, v70, 2, v85
	v_add3_u32 v43, v47, v79, v43
	v_lshl_add_u32 v47, v68, 2, v85
	v_add3_u32 v38, v42, v78, v38
	v_lshl_add_u32 v42, v65, 2, v85
	v_add3_u32 v33, v35, v77, v33
	v_lshl_add_u32 v35, v62, 2, v85
	v_add3_u32 v28, v30, v76, v28
	v_lshl_add_u32 v30, v58, 2, v85
	v_add3_u32 v22, v24, v75, v22
	v_lshl_add_u32 v24, v1, 2, v85
	v_add3_u32 v17, v20, v74, v17
	v_lshl_add_u32 v20, v0, 2, v85
	v_add3_u32 v13, v16, v73, v13
	v_lshl_add_u32 v16, v8, 2, v85
	s_mov_b32 s7, 0
	s_mov_b32 s10, 0
	s_movk_i32 s11, 0x1000
	v_mov_b32_e32 v1, 0
	s_movk_i32 s14, 0x800
	s_movk_i32 s15, 0xc00
	v_mov_b32_e32 v55, v2
	s_mov_b32 s16, 0
	s_branch .LBB1856_263
.LBB1856_262:                           ;   in Loop: Header=BB1856_263 Depth=1
	s_or_b64 exec, exec, s[2:3]
	s_waitcnt lgkmcnt(0)
	s_barrier
	ds_read2st64_b32 v[56:57], v25 offset0:4 offset1:20
	ds_read2st64_b32 v[62:63], v25 offset0:36 offset1:52
	s_addk_i32 s16, 0xc000
	s_addk_i32 s10, 0xf000
	s_waitcnt lgkmcnt(1)
	v_xor_b32_e32 v60, 0x7fffffff, v56
	v_lshrrev_b32_e32 v56, s64, v56
	v_lshrrev_b32_e32 v0, s4, v57
	v_and_b32_e32 v56, s13, v56
	v_xor_b32_e32 v66, 0x7fffffff, v57
	v_and_b32_e32 v57, s5, v0
	v_lshlrev_b32_e32 v0, 2, v56
	ds_read_b32 v0, v0
	s_waitcnt lgkmcnt(1)
	v_lshrrev_b32_e32 v58, s4, v63
	v_lshrrev_b32_e32 v65, s64, v62
	v_and_b32_e32 v59, s5, v58
	v_lshlrev_b32_e32 v64, 2, v57
	v_and_b32_e32 v58, s13, v65
	v_lshlrev_b32_e32 v67, 2, v59
	v_lshlrev_b32_e32 v65, 2, v58
	ds_read_b32 v68, v64
	ds_read_b32 v69, v65
	;; [unrolled: 1-line block ×3, first 2 shown]
	s_waitcnt lgkmcnt(3)
	v_add_u32_e32 v0, v55, v0
	v_lshl_add_u64 v[64:65], v[0:1], 2, s[54:55]
	s_waitcnt lgkmcnt(2)
	v_add3_u32 v0, v55, v68, s6
	global_store_dword v[64:65], v60, off
	v_lshl_add_u64 v[64:65], v[0:1], 2, s[54:55]
	s_waitcnt lgkmcnt(1)
	v_add3_u32 v0, v55, v69, s14
	global_store_dword v[64:65], v66, off
	v_xor_b32_e32 v60, 0x7fffffff, v62
	v_xor_b32_e32 v64, 0x7fffffff, v63
	v_lshl_add_u64 v[62:63], v[0:1], 2, s[54:55]
	s_waitcnt lgkmcnt(0)
	v_add3_u32 v0, v55, v67, s15
	global_store_dword v[62:63], v60, off
	v_lshl_add_u64 v[62:63], v[0:1], 2, s[54:55]
	global_store_dword v[62:63], v64, off
	scratch_store_dwordx4 off, v[56:59], s7
	s_add_i32 s7, s7, 16
	s_cmp_eq_u32 s16, 0xffff0000
	v_add_u32_e32 v55, 0x1000, v55
	s_barrier
	s_cbranch_scc1 .LBB1856_295
.LBB1856_263:                           ; =>This Inner Loop Header: Depth=1
	v_add_u32_e32 v0, s10, v8
	v_cmp_gt_u32_e64 s[0:1], s11, v0
	s_and_saveexec_b64 s[2:3], s[0:1]
; %bb.264:                              ;   in Loop: Header=BB1856_263 Depth=1
	v_add_u32_e32 v0, s16, v16
	ds_write_b32 v0, v3
; %bb.265:                              ;   in Loop: Header=BB1856_263 Depth=1
	s_or_b64 exec, exec, s[2:3]
	v_add_u32_e32 v0, s10, v13
	v_cmp_gt_u32_e64 s[0:1], s11, v0
	s_and_saveexec_b64 s[2:3], s[0:1]
; %bb.266:                              ;   in Loop: Header=BB1856_263 Depth=1
	v_add_u32_e32 v0, s16, v20
	ds_write_b32 v0, v5
; %bb.267:                              ;   in Loop: Header=BB1856_263 Depth=1
	s_or_b64 exec, exec, s[2:3]
	;; [unrolled: 8-line block ×15, first 2 shown]
	v_add_u32_e32 v0, s10, v10
	v_cmp_gt_u32_e64 s[0:1], s11, v0
	s_and_saveexec_b64 s[2:3], s[0:1]
	s_cbranch_execz .LBB1856_262
; %bb.294:                              ;   in Loop: Header=BB1856_263 Depth=1
	v_add_u32_e32 v0, s16, v9
	ds_write_b32 v0, v61
	s_branch .LBB1856_262
.LBB1856_295:
	s_add_u32 s0, s56, s8
	s_addc_u32 s1, s57, s9
	v_mov_b32_e32 v5, 0
	v_lshl_add_u64 v[0:1], s[0:1], 0, v[4:5]
	v_mov_b32_e32 v7, v5
	v_lshl_add_u64 v[44:45], v[0:1], 0, v[6:7]
	global_load_dword v0, v[44:45], off
	global_load_dword v1, v[44:45], off offset:256
	global_load_dword v3, v[44:45], off offset:512
	global_load_dword v6, v[44:45], off offset:768
	global_load_dword v7, v[44:45], off offset:1024
	global_load_dword v12, v[44:45], off offset:1280
	global_load_dword v15, v[44:45], off offset:1536
	global_load_dword v19, v[44:45], off offset:1792
	global_load_dword v23, v[44:45], off offset:2048
	global_load_dword v29, v[44:45], off offset:2304
	global_load_dword v31, v[44:45], off offset:2560
	global_load_dword v34, v[44:45], off offset:2816
	global_load_dword v36, v[44:45], off offset:3072
	global_load_dword v39, v[44:45], off offset:3328
	global_load_dword v40, v[44:45], off offset:3584
	s_nop 0
	global_load_dword v44, v[44:45], off offset:3840
	s_mov_b32 s4, 0
	s_mov_b32 s5, 0
	s_movk_i32 s6, 0x1000
	s_movk_i32 s7, 0x400
	s_movk_i32 s8, 0x800
	s_movk_i32 s9, 0xc00
	s_mov_b32 s10, 0
	s_branch .LBB1856_297
.LBB1856_296:                           ;   in Loop: Header=BB1856_297 Depth=1
	s_or_b64 exec, exec, s[2:3]
	s_waitcnt lgkmcnt(0)
	s_barrier
	scratch_load_dwordx4 v[56:59], off, s4
	ds_read2st64_b32 v[60:61], v25 offset0:4 offset1:20
	ds_read2st64_b32 v[62:63], v25 offset0:36 offset1:52
	s_addk_i32 s10, 0xc000
	s_addk_i32 s5, 0xf000
	s_add_i32 s4, s4, 16
	s_cmp_eq_u32 s10, 0xffff0000
	s_waitcnt vmcnt(0)
	v_lshlrev_b32_e32 v4, 2, v56
	ds_read_b32 v4, v4
	v_lshlrev_b32_e32 v45, 2, v57
	v_lshlrev_b32_e32 v55, 2, v58
	;; [unrolled: 1-line block ×3, first 2 shown]
	ds_read_b32 v45, v45
	ds_read_b32 v55, v55
	;; [unrolled: 1-line block ×3, first 2 shown]
	s_waitcnt lgkmcnt(3)
	v_add_u32_e32 v4, v2, v4
	v_lshl_add_u64 v[56:57], v[4:5], 2, s[58:59]
	s_waitcnt lgkmcnt(2)
	v_add3_u32 v4, v2, v45, s7
	global_store_dword v[56:57], v60, off
	v_lshl_add_u64 v[56:57], v[4:5], 2, s[58:59]
	s_waitcnt lgkmcnt(1)
	v_add3_u32 v4, v2, v55, s8
	global_store_dword v[56:57], v61, off
	;; [unrolled: 4-line block ×3, first 2 shown]
	v_lshl_add_u64 v[56:57], v[4:5], 2, s[58:59]
	v_add_u32_e32 v2, 0x1000, v2
	global_store_dword v[56:57], v63, off
	s_barrier
	s_cbranch_scc1 .LBB1856_329
.LBB1856_297:                           ; =>This Inner Loop Header: Depth=1
	v_add_u32_e32 v4, s5, v8
	v_cmp_gt_u32_e64 s[0:1], s6, v4
	s_and_saveexec_b64 s[2:3], s[0:1]
	s_cbranch_execz .LBB1856_299
; %bb.298:                              ;   in Loop: Header=BB1856_297 Depth=1
	v_add_u32_e32 v4, s10, v16
	s_waitcnt vmcnt(15)
	ds_write_b32 v4, v0
.LBB1856_299:                           ;   in Loop: Header=BB1856_297 Depth=1
	s_or_b64 exec, exec, s[2:3]
	v_add_u32_e32 v4, s5, v13
	v_cmp_gt_u32_e64 s[0:1], s6, v4
	s_and_saveexec_b64 s[2:3], s[0:1]
	s_cbranch_execz .LBB1856_301
; %bb.300:                              ;   in Loop: Header=BB1856_297 Depth=1
	v_add_u32_e32 v4, s10, v20
	s_waitcnt vmcnt(14)
	ds_write_b32 v4, v1
.LBB1856_301:                           ;   in Loop: Header=BB1856_297 Depth=1
	s_or_b64 exec, exec, s[2:3]
	;; [unrolled: 10-line block ×15, first 2 shown]
	v_add_u32_e32 v4, s5, v10
	v_cmp_gt_u32_e64 s[0:1], s6, v4
	s_and_saveexec_b64 s[2:3], s[0:1]
	s_cbranch_execz .LBB1856_296
; %bb.328:                              ;   in Loop: Header=BB1856_297 Depth=1
	v_add_u32_e32 v4, s10, v9
	s_waitcnt vmcnt(0)
	ds_write_b32 v4, v44
	s_branch .LBB1856_296
.LBB1856_329:
	s_add_i32 s12, s12, -1
	s_cmp_eq_u32 s33, s12
	s_cselect_b64 s[0:1], -1, 0
	s_xor_b64 s[2:3], vcc, -1
	s_and_b64 s[0:1], s[2:3], s[0:1]
	s_and_saveexec_b64 s[2:3], s[0:1]
	s_cbranch_execz .LBB1856_331
; %bb.330:
	ds_read_b32 v0, v25
	s_waitcnt lgkmcnt(0)
	v_add3_u32 v0, v18, v21, v0
	global_store_dword v25, v0, s[62:63]
.LBB1856_331:
	s_endpgm
	.section	.rodata,"a",@progbits
	.p2align	6, 0x0
	.amdhsa_kernel _ZN7rocprim17ROCPRIM_400000_NS6detail17trampoline_kernelINS0_14default_configENS1_35radix_sort_onesweep_config_selectorIiiEEZZNS1_29radix_sort_onesweep_iterationIS3_Lb1EN6thrust23THRUST_200600_302600_NS6detail15normal_iteratorINS8_10device_ptrIiEEEESD_SD_SD_jNS0_19identity_decomposerENS1_16block_id_wrapperIjLb1EEEEE10hipError_tT1_PNSt15iterator_traitsISI_E10value_typeET2_T3_PNSJ_ISO_E10value_typeET4_T5_PST_SU_PNS1_23onesweep_lookback_stateEbbT6_jjT7_P12ihipStream_tbENKUlT_T0_SI_SN_E_clIPiSD_S15_SD_EEDaS11_S12_SI_SN_EUlS11_E_NS1_11comp_targetILNS1_3genE6ELNS1_11target_archE950ELNS1_3gpuE13ELNS1_3repE0EEENS1_47radix_sort_onesweep_sort_config_static_selectorELNS0_4arch9wavefront6targetE1EEEvSI_
		.amdhsa_group_segment_fixed_size 20552
		.amdhsa_private_segment_fixed_size 80
		.amdhsa_kernarg_size 344
		.amdhsa_user_sgpr_count 2
		.amdhsa_user_sgpr_dispatch_ptr 0
		.amdhsa_user_sgpr_queue_ptr 0
		.amdhsa_user_sgpr_kernarg_segment_ptr 1
		.amdhsa_user_sgpr_dispatch_id 0
		.amdhsa_user_sgpr_kernarg_preload_length 0
		.amdhsa_user_sgpr_kernarg_preload_offset 0
		.amdhsa_user_sgpr_private_segment_size 0
		.amdhsa_uses_dynamic_stack 0
		.amdhsa_enable_private_segment 1
		.amdhsa_system_sgpr_workgroup_id_x 1
		.amdhsa_system_sgpr_workgroup_id_y 0
		.amdhsa_system_sgpr_workgroup_id_z 0
		.amdhsa_system_sgpr_workgroup_info 0
		.amdhsa_system_vgpr_workitem_id 2
		.amdhsa_next_free_vgpr 89
		.amdhsa_next_free_sgpr 73
		.amdhsa_accum_offset 92
		.amdhsa_reserve_vcc 1
		.amdhsa_float_round_mode_32 0
		.amdhsa_float_round_mode_16_64 0
		.amdhsa_float_denorm_mode_32 3
		.amdhsa_float_denorm_mode_16_64 3
		.amdhsa_dx10_clamp 1
		.amdhsa_ieee_mode 1
		.amdhsa_fp16_overflow 0
		.amdhsa_tg_split 0
		.amdhsa_exception_fp_ieee_invalid_op 0
		.amdhsa_exception_fp_denorm_src 0
		.amdhsa_exception_fp_ieee_div_zero 0
		.amdhsa_exception_fp_ieee_overflow 0
		.amdhsa_exception_fp_ieee_underflow 0
		.amdhsa_exception_fp_ieee_inexact 0
		.amdhsa_exception_int_div_zero 0
	.end_amdhsa_kernel
	.section	.text._ZN7rocprim17ROCPRIM_400000_NS6detail17trampoline_kernelINS0_14default_configENS1_35radix_sort_onesweep_config_selectorIiiEEZZNS1_29radix_sort_onesweep_iterationIS3_Lb1EN6thrust23THRUST_200600_302600_NS6detail15normal_iteratorINS8_10device_ptrIiEEEESD_SD_SD_jNS0_19identity_decomposerENS1_16block_id_wrapperIjLb1EEEEE10hipError_tT1_PNSt15iterator_traitsISI_E10value_typeET2_T3_PNSJ_ISO_E10value_typeET4_T5_PST_SU_PNS1_23onesweep_lookback_stateEbbT6_jjT7_P12ihipStream_tbENKUlT_T0_SI_SN_E_clIPiSD_S15_SD_EEDaS11_S12_SI_SN_EUlS11_E_NS1_11comp_targetILNS1_3genE6ELNS1_11target_archE950ELNS1_3gpuE13ELNS1_3repE0EEENS1_47radix_sort_onesweep_sort_config_static_selectorELNS0_4arch9wavefront6targetE1EEEvSI_,"axG",@progbits,_ZN7rocprim17ROCPRIM_400000_NS6detail17trampoline_kernelINS0_14default_configENS1_35radix_sort_onesweep_config_selectorIiiEEZZNS1_29radix_sort_onesweep_iterationIS3_Lb1EN6thrust23THRUST_200600_302600_NS6detail15normal_iteratorINS8_10device_ptrIiEEEESD_SD_SD_jNS0_19identity_decomposerENS1_16block_id_wrapperIjLb1EEEEE10hipError_tT1_PNSt15iterator_traitsISI_E10value_typeET2_T3_PNSJ_ISO_E10value_typeET4_T5_PST_SU_PNS1_23onesweep_lookback_stateEbbT6_jjT7_P12ihipStream_tbENKUlT_T0_SI_SN_E_clIPiSD_S15_SD_EEDaS11_S12_SI_SN_EUlS11_E_NS1_11comp_targetILNS1_3genE6ELNS1_11target_archE950ELNS1_3gpuE13ELNS1_3repE0EEENS1_47radix_sort_onesweep_sort_config_static_selectorELNS0_4arch9wavefront6targetE1EEEvSI_,comdat
.Lfunc_end1856:
	.size	_ZN7rocprim17ROCPRIM_400000_NS6detail17trampoline_kernelINS0_14default_configENS1_35radix_sort_onesweep_config_selectorIiiEEZZNS1_29radix_sort_onesweep_iterationIS3_Lb1EN6thrust23THRUST_200600_302600_NS6detail15normal_iteratorINS8_10device_ptrIiEEEESD_SD_SD_jNS0_19identity_decomposerENS1_16block_id_wrapperIjLb1EEEEE10hipError_tT1_PNSt15iterator_traitsISI_E10value_typeET2_T3_PNSJ_ISO_E10value_typeET4_T5_PST_SU_PNS1_23onesweep_lookback_stateEbbT6_jjT7_P12ihipStream_tbENKUlT_T0_SI_SN_E_clIPiSD_S15_SD_EEDaS11_S12_SI_SN_EUlS11_E_NS1_11comp_targetILNS1_3genE6ELNS1_11target_archE950ELNS1_3gpuE13ELNS1_3repE0EEENS1_47radix_sort_onesweep_sort_config_static_selectorELNS0_4arch9wavefront6targetE1EEEvSI_, .Lfunc_end1856-_ZN7rocprim17ROCPRIM_400000_NS6detail17trampoline_kernelINS0_14default_configENS1_35radix_sort_onesweep_config_selectorIiiEEZZNS1_29radix_sort_onesweep_iterationIS3_Lb1EN6thrust23THRUST_200600_302600_NS6detail15normal_iteratorINS8_10device_ptrIiEEEESD_SD_SD_jNS0_19identity_decomposerENS1_16block_id_wrapperIjLb1EEEEE10hipError_tT1_PNSt15iterator_traitsISI_E10value_typeET2_T3_PNSJ_ISO_E10value_typeET4_T5_PST_SU_PNS1_23onesweep_lookback_stateEbbT6_jjT7_P12ihipStream_tbENKUlT_T0_SI_SN_E_clIPiSD_S15_SD_EEDaS11_S12_SI_SN_EUlS11_E_NS1_11comp_targetILNS1_3genE6ELNS1_11target_archE950ELNS1_3gpuE13ELNS1_3repE0EEENS1_47radix_sort_onesweep_sort_config_static_selectorELNS0_4arch9wavefront6targetE1EEEvSI_
                                        ; -- End function
	.set _ZN7rocprim17ROCPRIM_400000_NS6detail17trampoline_kernelINS0_14default_configENS1_35radix_sort_onesweep_config_selectorIiiEEZZNS1_29radix_sort_onesweep_iterationIS3_Lb1EN6thrust23THRUST_200600_302600_NS6detail15normal_iteratorINS8_10device_ptrIiEEEESD_SD_SD_jNS0_19identity_decomposerENS1_16block_id_wrapperIjLb1EEEEE10hipError_tT1_PNSt15iterator_traitsISI_E10value_typeET2_T3_PNSJ_ISO_E10value_typeET4_T5_PST_SU_PNS1_23onesweep_lookback_stateEbbT6_jjT7_P12ihipStream_tbENKUlT_T0_SI_SN_E_clIPiSD_S15_SD_EEDaS11_S12_SI_SN_EUlS11_E_NS1_11comp_targetILNS1_3genE6ELNS1_11target_archE950ELNS1_3gpuE13ELNS1_3repE0EEENS1_47radix_sort_onesweep_sort_config_static_selectorELNS0_4arch9wavefront6targetE1EEEvSI_.num_vgpr, 89
	.set _ZN7rocprim17ROCPRIM_400000_NS6detail17trampoline_kernelINS0_14default_configENS1_35radix_sort_onesweep_config_selectorIiiEEZZNS1_29radix_sort_onesweep_iterationIS3_Lb1EN6thrust23THRUST_200600_302600_NS6detail15normal_iteratorINS8_10device_ptrIiEEEESD_SD_SD_jNS0_19identity_decomposerENS1_16block_id_wrapperIjLb1EEEEE10hipError_tT1_PNSt15iterator_traitsISI_E10value_typeET2_T3_PNSJ_ISO_E10value_typeET4_T5_PST_SU_PNS1_23onesweep_lookback_stateEbbT6_jjT7_P12ihipStream_tbENKUlT_T0_SI_SN_E_clIPiSD_S15_SD_EEDaS11_S12_SI_SN_EUlS11_E_NS1_11comp_targetILNS1_3genE6ELNS1_11target_archE950ELNS1_3gpuE13ELNS1_3repE0EEENS1_47radix_sort_onesweep_sort_config_static_selectorELNS0_4arch9wavefront6targetE1EEEvSI_.num_agpr, 0
	.set _ZN7rocprim17ROCPRIM_400000_NS6detail17trampoline_kernelINS0_14default_configENS1_35radix_sort_onesweep_config_selectorIiiEEZZNS1_29radix_sort_onesweep_iterationIS3_Lb1EN6thrust23THRUST_200600_302600_NS6detail15normal_iteratorINS8_10device_ptrIiEEEESD_SD_SD_jNS0_19identity_decomposerENS1_16block_id_wrapperIjLb1EEEEE10hipError_tT1_PNSt15iterator_traitsISI_E10value_typeET2_T3_PNSJ_ISO_E10value_typeET4_T5_PST_SU_PNS1_23onesweep_lookback_stateEbbT6_jjT7_P12ihipStream_tbENKUlT_T0_SI_SN_E_clIPiSD_S15_SD_EEDaS11_S12_SI_SN_EUlS11_E_NS1_11comp_targetILNS1_3genE6ELNS1_11target_archE950ELNS1_3gpuE13ELNS1_3repE0EEENS1_47radix_sort_onesweep_sort_config_static_selectorELNS0_4arch9wavefront6targetE1EEEvSI_.numbered_sgpr, 73
	.set _ZN7rocprim17ROCPRIM_400000_NS6detail17trampoline_kernelINS0_14default_configENS1_35radix_sort_onesweep_config_selectorIiiEEZZNS1_29radix_sort_onesweep_iterationIS3_Lb1EN6thrust23THRUST_200600_302600_NS6detail15normal_iteratorINS8_10device_ptrIiEEEESD_SD_SD_jNS0_19identity_decomposerENS1_16block_id_wrapperIjLb1EEEEE10hipError_tT1_PNSt15iterator_traitsISI_E10value_typeET2_T3_PNSJ_ISO_E10value_typeET4_T5_PST_SU_PNS1_23onesweep_lookback_stateEbbT6_jjT7_P12ihipStream_tbENKUlT_T0_SI_SN_E_clIPiSD_S15_SD_EEDaS11_S12_SI_SN_EUlS11_E_NS1_11comp_targetILNS1_3genE6ELNS1_11target_archE950ELNS1_3gpuE13ELNS1_3repE0EEENS1_47radix_sort_onesweep_sort_config_static_selectorELNS0_4arch9wavefront6targetE1EEEvSI_.num_named_barrier, 0
	.set _ZN7rocprim17ROCPRIM_400000_NS6detail17trampoline_kernelINS0_14default_configENS1_35radix_sort_onesweep_config_selectorIiiEEZZNS1_29radix_sort_onesweep_iterationIS3_Lb1EN6thrust23THRUST_200600_302600_NS6detail15normal_iteratorINS8_10device_ptrIiEEEESD_SD_SD_jNS0_19identity_decomposerENS1_16block_id_wrapperIjLb1EEEEE10hipError_tT1_PNSt15iterator_traitsISI_E10value_typeET2_T3_PNSJ_ISO_E10value_typeET4_T5_PST_SU_PNS1_23onesweep_lookback_stateEbbT6_jjT7_P12ihipStream_tbENKUlT_T0_SI_SN_E_clIPiSD_S15_SD_EEDaS11_S12_SI_SN_EUlS11_E_NS1_11comp_targetILNS1_3genE6ELNS1_11target_archE950ELNS1_3gpuE13ELNS1_3repE0EEENS1_47radix_sort_onesweep_sort_config_static_selectorELNS0_4arch9wavefront6targetE1EEEvSI_.private_seg_size, 80
	.set _ZN7rocprim17ROCPRIM_400000_NS6detail17trampoline_kernelINS0_14default_configENS1_35radix_sort_onesweep_config_selectorIiiEEZZNS1_29radix_sort_onesweep_iterationIS3_Lb1EN6thrust23THRUST_200600_302600_NS6detail15normal_iteratorINS8_10device_ptrIiEEEESD_SD_SD_jNS0_19identity_decomposerENS1_16block_id_wrapperIjLb1EEEEE10hipError_tT1_PNSt15iterator_traitsISI_E10value_typeET2_T3_PNSJ_ISO_E10value_typeET4_T5_PST_SU_PNS1_23onesweep_lookback_stateEbbT6_jjT7_P12ihipStream_tbENKUlT_T0_SI_SN_E_clIPiSD_S15_SD_EEDaS11_S12_SI_SN_EUlS11_E_NS1_11comp_targetILNS1_3genE6ELNS1_11target_archE950ELNS1_3gpuE13ELNS1_3repE0EEENS1_47radix_sort_onesweep_sort_config_static_selectorELNS0_4arch9wavefront6targetE1EEEvSI_.uses_vcc, 1
	.set _ZN7rocprim17ROCPRIM_400000_NS6detail17trampoline_kernelINS0_14default_configENS1_35radix_sort_onesweep_config_selectorIiiEEZZNS1_29radix_sort_onesweep_iterationIS3_Lb1EN6thrust23THRUST_200600_302600_NS6detail15normal_iteratorINS8_10device_ptrIiEEEESD_SD_SD_jNS0_19identity_decomposerENS1_16block_id_wrapperIjLb1EEEEE10hipError_tT1_PNSt15iterator_traitsISI_E10value_typeET2_T3_PNSJ_ISO_E10value_typeET4_T5_PST_SU_PNS1_23onesweep_lookback_stateEbbT6_jjT7_P12ihipStream_tbENKUlT_T0_SI_SN_E_clIPiSD_S15_SD_EEDaS11_S12_SI_SN_EUlS11_E_NS1_11comp_targetILNS1_3genE6ELNS1_11target_archE950ELNS1_3gpuE13ELNS1_3repE0EEENS1_47radix_sort_onesweep_sort_config_static_selectorELNS0_4arch9wavefront6targetE1EEEvSI_.uses_flat_scratch, 0
	.set _ZN7rocprim17ROCPRIM_400000_NS6detail17trampoline_kernelINS0_14default_configENS1_35radix_sort_onesweep_config_selectorIiiEEZZNS1_29radix_sort_onesweep_iterationIS3_Lb1EN6thrust23THRUST_200600_302600_NS6detail15normal_iteratorINS8_10device_ptrIiEEEESD_SD_SD_jNS0_19identity_decomposerENS1_16block_id_wrapperIjLb1EEEEE10hipError_tT1_PNSt15iterator_traitsISI_E10value_typeET2_T3_PNSJ_ISO_E10value_typeET4_T5_PST_SU_PNS1_23onesweep_lookback_stateEbbT6_jjT7_P12ihipStream_tbENKUlT_T0_SI_SN_E_clIPiSD_S15_SD_EEDaS11_S12_SI_SN_EUlS11_E_NS1_11comp_targetILNS1_3genE6ELNS1_11target_archE950ELNS1_3gpuE13ELNS1_3repE0EEENS1_47radix_sort_onesweep_sort_config_static_selectorELNS0_4arch9wavefront6targetE1EEEvSI_.has_dyn_sized_stack, 0
	.set _ZN7rocprim17ROCPRIM_400000_NS6detail17trampoline_kernelINS0_14default_configENS1_35radix_sort_onesweep_config_selectorIiiEEZZNS1_29radix_sort_onesweep_iterationIS3_Lb1EN6thrust23THRUST_200600_302600_NS6detail15normal_iteratorINS8_10device_ptrIiEEEESD_SD_SD_jNS0_19identity_decomposerENS1_16block_id_wrapperIjLb1EEEEE10hipError_tT1_PNSt15iterator_traitsISI_E10value_typeET2_T3_PNSJ_ISO_E10value_typeET4_T5_PST_SU_PNS1_23onesweep_lookback_stateEbbT6_jjT7_P12ihipStream_tbENKUlT_T0_SI_SN_E_clIPiSD_S15_SD_EEDaS11_S12_SI_SN_EUlS11_E_NS1_11comp_targetILNS1_3genE6ELNS1_11target_archE950ELNS1_3gpuE13ELNS1_3repE0EEENS1_47radix_sort_onesweep_sort_config_static_selectorELNS0_4arch9wavefront6targetE1EEEvSI_.has_recursion, 0
	.set _ZN7rocprim17ROCPRIM_400000_NS6detail17trampoline_kernelINS0_14default_configENS1_35radix_sort_onesweep_config_selectorIiiEEZZNS1_29radix_sort_onesweep_iterationIS3_Lb1EN6thrust23THRUST_200600_302600_NS6detail15normal_iteratorINS8_10device_ptrIiEEEESD_SD_SD_jNS0_19identity_decomposerENS1_16block_id_wrapperIjLb1EEEEE10hipError_tT1_PNSt15iterator_traitsISI_E10value_typeET2_T3_PNSJ_ISO_E10value_typeET4_T5_PST_SU_PNS1_23onesweep_lookback_stateEbbT6_jjT7_P12ihipStream_tbENKUlT_T0_SI_SN_E_clIPiSD_S15_SD_EEDaS11_S12_SI_SN_EUlS11_E_NS1_11comp_targetILNS1_3genE6ELNS1_11target_archE950ELNS1_3gpuE13ELNS1_3repE0EEENS1_47radix_sort_onesweep_sort_config_static_selectorELNS0_4arch9wavefront6targetE1EEEvSI_.has_indirect_call, 0
	.section	.AMDGPU.csdata,"",@progbits
; Kernel info:
; codeLenInByte = 22700
; TotalNumSgprs: 79
; NumVgprs: 89
; NumAgprs: 0
; TotalNumVgprs: 89
; ScratchSize: 80
; MemoryBound: 0
; FloatMode: 240
; IeeeMode: 1
; LDSByteSize: 20552 bytes/workgroup (compile time only)
; SGPRBlocks: 9
; VGPRBlocks: 11
; NumSGPRsForWavesPerEU: 79
; NumVGPRsForWavesPerEU: 89
; AccumOffset: 92
; Occupancy: 5
; WaveLimiterHint : 1
; COMPUTE_PGM_RSRC2:SCRATCH_EN: 1
; COMPUTE_PGM_RSRC2:USER_SGPR: 2
; COMPUTE_PGM_RSRC2:TRAP_HANDLER: 0
; COMPUTE_PGM_RSRC2:TGID_X_EN: 1
; COMPUTE_PGM_RSRC2:TGID_Y_EN: 0
; COMPUTE_PGM_RSRC2:TGID_Z_EN: 0
; COMPUTE_PGM_RSRC2:TIDIG_COMP_CNT: 2
; COMPUTE_PGM_RSRC3_GFX90A:ACCUM_OFFSET: 22
; COMPUTE_PGM_RSRC3_GFX90A:TG_SPLIT: 0
	.section	.text._ZN7rocprim17ROCPRIM_400000_NS6detail17trampoline_kernelINS0_14default_configENS1_35radix_sort_onesweep_config_selectorIiiEEZZNS1_29radix_sort_onesweep_iterationIS3_Lb1EN6thrust23THRUST_200600_302600_NS6detail15normal_iteratorINS8_10device_ptrIiEEEESD_SD_SD_jNS0_19identity_decomposerENS1_16block_id_wrapperIjLb1EEEEE10hipError_tT1_PNSt15iterator_traitsISI_E10value_typeET2_T3_PNSJ_ISO_E10value_typeET4_T5_PST_SU_PNS1_23onesweep_lookback_stateEbbT6_jjT7_P12ihipStream_tbENKUlT_T0_SI_SN_E_clIPiSD_S15_SD_EEDaS11_S12_SI_SN_EUlS11_E_NS1_11comp_targetILNS1_3genE5ELNS1_11target_archE942ELNS1_3gpuE9ELNS1_3repE0EEENS1_47radix_sort_onesweep_sort_config_static_selectorELNS0_4arch9wavefront6targetE1EEEvSI_,"axG",@progbits,_ZN7rocprim17ROCPRIM_400000_NS6detail17trampoline_kernelINS0_14default_configENS1_35radix_sort_onesweep_config_selectorIiiEEZZNS1_29radix_sort_onesweep_iterationIS3_Lb1EN6thrust23THRUST_200600_302600_NS6detail15normal_iteratorINS8_10device_ptrIiEEEESD_SD_SD_jNS0_19identity_decomposerENS1_16block_id_wrapperIjLb1EEEEE10hipError_tT1_PNSt15iterator_traitsISI_E10value_typeET2_T3_PNSJ_ISO_E10value_typeET4_T5_PST_SU_PNS1_23onesweep_lookback_stateEbbT6_jjT7_P12ihipStream_tbENKUlT_T0_SI_SN_E_clIPiSD_S15_SD_EEDaS11_S12_SI_SN_EUlS11_E_NS1_11comp_targetILNS1_3genE5ELNS1_11target_archE942ELNS1_3gpuE9ELNS1_3repE0EEENS1_47radix_sort_onesweep_sort_config_static_selectorELNS0_4arch9wavefront6targetE1EEEvSI_,comdat
	.protected	_ZN7rocprim17ROCPRIM_400000_NS6detail17trampoline_kernelINS0_14default_configENS1_35radix_sort_onesweep_config_selectorIiiEEZZNS1_29radix_sort_onesweep_iterationIS3_Lb1EN6thrust23THRUST_200600_302600_NS6detail15normal_iteratorINS8_10device_ptrIiEEEESD_SD_SD_jNS0_19identity_decomposerENS1_16block_id_wrapperIjLb1EEEEE10hipError_tT1_PNSt15iterator_traitsISI_E10value_typeET2_T3_PNSJ_ISO_E10value_typeET4_T5_PST_SU_PNS1_23onesweep_lookback_stateEbbT6_jjT7_P12ihipStream_tbENKUlT_T0_SI_SN_E_clIPiSD_S15_SD_EEDaS11_S12_SI_SN_EUlS11_E_NS1_11comp_targetILNS1_3genE5ELNS1_11target_archE942ELNS1_3gpuE9ELNS1_3repE0EEENS1_47radix_sort_onesweep_sort_config_static_selectorELNS0_4arch9wavefront6targetE1EEEvSI_ ; -- Begin function _ZN7rocprim17ROCPRIM_400000_NS6detail17trampoline_kernelINS0_14default_configENS1_35radix_sort_onesweep_config_selectorIiiEEZZNS1_29radix_sort_onesweep_iterationIS3_Lb1EN6thrust23THRUST_200600_302600_NS6detail15normal_iteratorINS8_10device_ptrIiEEEESD_SD_SD_jNS0_19identity_decomposerENS1_16block_id_wrapperIjLb1EEEEE10hipError_tT1_PNSt15iterator_traitsISI_E10value_typeET2_T3_PNSJ_ISO_E10value_typeET4_T5_PST_SU_PNS1_23onesweep_lookback_stateEbbT6_jjT7_P12ihipStream_tbENKUlT_T0_SI_SN_E_clIPiSD_S15_SD_EEDaS11_S12_SI_SN_EUlS11_E_NS1_11comp_targetILNS1_3genE5ELNS1_11target_archE942ELNS1_3gpuE9ELNS1_3repE0EEENS1_47radix_sort_onesweep_sort_config_static_selectorELNS0_4arch9wavefront6targetE1EEEvSI_
	.globl	_ZN7rocprim17ROCPRIM_400000_NS6detail17trampoline_kernelINS0_14default_configENS1_35radix_sort_onesweep_config_selectorIiiEEZZNS1_29radix_sort_onesweep_iterationIS3_Lb1EN6thrust23THRUST_200600_302600_NS6detail15normal_iteratorINS8_10device_ptrIiEEEESD_SD_SD_jNS0_19identity_decomposerENS1_16block_id_wrapperIjLb1EEEEE10hipError_tT1_PNSt15iterator_traitsISI_E10value_typeET2_T3_PNSJ_ISO_E10value_typeET4_T5_PST_SU_PNS1_23onesweep_lookback_stateEbbT6_jjT7_P12ihipStream_tbENKUlT_T0_SI_SN_E_clIPiSD_S15_SD_EEDaS11_S12_SI_SN_EUlS11_E_NS1_11comp_targetILNS1_3genE5ELNS1_11target_archE942ELNS1_3gpuE9ELNS1_3repE0EEENS1_47radix_sort_onesweep_sort_config_static_selectorELNS0_4arch9wavefront6targetE1EEEvSI_
	.p2align	8
	.type	_ZN7rocprim17ROCPRIM_400000_NS6detail17trampoline_kernelINS0_14default_configENS1_35radix_sort_onesweep_config_selectorIiiEEZZNS1_29radix_sort_onesweep_iterationIS3_Lb1EN6thrust23THRUST_200600_302600_NS6detail15normal_iteratorINS8_10device_ptrIiEEEESD_SD_SD_jNS0_19identity_decomposerENS1_16block_id_wrapperIjLb1EEEEE10hipError_tT1_PNSt15iterator_traitsISI_E10value_typeET2_T3_PNSJ_ISO_E10value_typeET4_T5_PST_SU_PNS1_23onesweep_lookback_stateEbbT6_jjT7_P12ihipStream_tbENKUlT_T0_SI_SN_E_clIPiSD_S15_SD_EEDaS11_S12_SI_SN_EUlS11_E_NS1_11comp_targetILNS1_3genE5ELNS1_11target_archE942ELNS1_3gpuE9ELNS1_3repE0EEENS1_47radix_sort_onesweep_sort_config_static_selectorELNS0_4arch9wavefront6targetE1EEEvSI_,@function
_ZN7rocprim17ROCPRIM_400000_NS6detail17trampoline_kernelINS0_14default_configENS1_35radix_sort_onesweep_config_selectorIiiEEZZNS1_29radix_sort_onesweep_iterationIS3_Lb1EN6thrust23THRUST_200600_302600_NS6detail15normal_iteratorINS8_10device_ptrIiEEEESD_SD_SD_jNS0_19identity_decomposerENS1_16block_id_wrapperIjLb1EEEEE10hipError_tT1_PNSt15iterator_traitsISI_E10value_typeET2_T3_PNSJ_ISO_E10value_typeET4_T5_PST_SU_PNS1_23onesweep_lookback_stateEbbT6_jjT7_P12ihipStream_tbENKUlT_T0_SI_SN_E_clIPiSD_S15_SD_EEDaS11_S12_SI_SN_EUlS11_E_NS1_11comp_targetILNS1_3genE5ELNS1_11target_archE942ELNS1_3gpuE9ELNS1_3repE0EEENS1_47radix_sort_onesweep_sort_config_static_selectorELNS0_4arch9wavefront6targetE1EEEvSI_: ; @_ZN7rocprim17ROCPRIM_400000_NS6detail17trampoline_kernelINS0_14default_configENS1_35radix_sort_onesweep_config_selectorIiiEEZZNS1_29radix_sort_onesweep_iterationIS3_Lb1EN6thrust23THRUST_200600_302600_NS6detail15normal_iteratorINS8_10device_ptrIiEEEESD_SD_SD_jNS0_19identity_decomposerENS1_16block_id_wrapperIjLb1EEEEE10hipError_tT1_PNSt15iterator_traitsISI_E10value_typeET2_T3_PNSJ_ISO_E10value_typeET4_T5_PST_SU_PNS1_23onesweep_lookback_stateEbbT6_jjT7_P12ihipStream_tbENKUlT_T0_SI_SN_E_clIPiSD_S15_SD_EEDaS11_S12_SI_SN_EUlS11_E_NS1_11comp_targetILNS1_3genE5ELNS1_11target_archE942ELNS1_3gpuE9ELNS1_3repE0EEENS1_47radix_sort_onesweep_sort_config_static_selectorELNS0_4arch9wavefront6targetE1EEEvSI_
; %bb.0:
	.section	.rodata,"a",@progbits
	.p2align	6, 0x0
	.amdhsa_kernel _ZN7rocprim17ROCPRIM_400000_NS6detail17trampoline_kernelINS0_14default_configENS1_35radix_sort_onesweep_config_selectorIiiEEZZNS1_29radix_sort_onesweep_iterationIS3_Lb1EN6thrust23THRUST_200600_302600_NS6detail15normal_iteratorINS8_10device_ptrIiEEEESD_SD_SD_jNS0_19identity_decomposerENS1_16block_id_wrapperIjLb1EEEEE10hipError_tT1_PNSt15iterator_traitsISI_E10value_typeET2_T3_PNSJ_ISO_E10value_typeET4_T5_PST_SU_PNS1_23onesweep_lookback_stateEbbT6_jjT7_P12ihipStream_tbENKUlT_T0_SI_SN_E_clIPiSD_S15_SD_EEDaS11_S12_SI_SN_EUlS11_E_NS1_11comp_targetILNS1_3genE5ELNS1_11target_archE942ELNS1_3gpuE9ELNS1_3repE0EEENS1_47radix_sort_onesweep_sort_config_static_selectorELNS0_4arch9wavefront6targetE1EEEvSI_
		.amdhsa_group_segment_fixed_size 0
		.amdhsa_private_segment_fixed_size 0
		.amdhsa_kernarg_size 88
		.amdhsa_user_sgpr_count 2
		.amdhsa_user_sgpr_dispatch_ptr 0
		.amdhsa_user_sgpr_queue_ptr 0
		.amdhsa_user_sgpr_kernarg_segment_ptr 1
		.amdhsa_user_sgpr_dispatch_id 0
		.amdhsa_user_sgpr_kernarg_preload_length 0
		.amdhsa_user_sgpr_kernarg_preload_offset 0
		.amdhsa_user_sgpr_private_segment_size 0
		.amdhsa_uses_dynamic_stack 0
		.amdhsa_enable_private_segment 0
		.amdhsa_system_sgpr_workgroup_id_x 1
		.amdhsa_system_sgpr_workgroup_id_y 0
		.amdhsa_system_sgpr_workgroup_id_z 0
		.amdhsa_system_sgpr_workgroup_info 0
		.amdhsa_system_vgpr_workitem_id 0
		.amdhsa_next_free_vgpr 1
		.amdhsa_next_free_sgpr 0
		.amdhsa_accum_offset 4
		.amdhsa_reserve_vcc 0
		.amdhsa_float_round_mode_32 0
		.amdhsa_float_round_mode_16_64 0
		.amdhsa_float_denorm_mode_32 3
		.amdhsa_float_denorm_mode_16_64 3
		.amdhsa_dx10_clamp 1
		.amdhsa_ieee_mode 1
		.amdhsa_fp16_overflow 0
		.amdhsa_tg_split 0
		.amdhsa_exception_fp_ieee_invalid_op 0
		.amdhsa_exception_fp_denorm_src 0
		.amdhsa_exception_fp_ieee_div_zero 0
		.amdhsa_exception_fp_ieee_overflow 0
		.amdhsa_exception_fp_ieee_underflow 0
		.amdhsa_exception_fp_ieee_inexact 0
		.amdhsa_exception_int_div_zero 0
	.end_amdhsa_kernel
	.section	.text._ZN7rocprim17ROCPRIM_400000_NS6detail17trampoline_kernelINS0_14default_configENS1_35radix_sort_onesweep_config_selectorIiiEEZZNS1_29radix_sort_onesweep_iterationIS3_Lb1EN6thrust23THRUST_200600_302600_NS6detail15normal_iteratorINS8_10device_ptrIiEEEESD_SD_SD_jNS0_19identity_decomposerENS1_16block_id_wrapperIjLb1EEEEE10hipError_tT1_PNSt15iterator_traitsISI_E10value_typeET2_T3_PNSJ_ISO_E10value_typeET4_T5_PST_SU_PNS1_23onesweep_lookback_stateEbbT6_jjT7_P12ihipStream_tbENKUlT_T0_SI_SN_E_clIPiSD_S15_SD_EEDaS11_S12_SI_SN_EUlS11_E_NS1_11comp_targetILNS1_3genE5ELNS1_11target_archE942ELNS1_3gpuE9ELNS1_3repE0EEENS1_47radix_sort_onesweep_sort_config_static_selectorELNS0_4arch9wavefront6targetE1EEEvSI_,"axG",@progbits,_ZN7rocprim17ROCPRIM_400000_NS6detail17trampoline_kernelINS0_14default_configENS1_35radix_sort_onesweep_config_selectorIiiEEZZNS1_29radix_sort_onesweep_iterationIS3_Lb1EN6thrust23THRUST_200600_302600_NS6detail15normal_iteratorINS8_10device_ptrIiEEEESD_SD_SD_jNS0_19identity_decomposerENS1_16block_id_wrapperIjLb1EEEEE10hipError_tT1_PNSt15iterator_traitsISI_E10value_typeET2_T3_PNSJ_ISO_E10value_typeET4_T5_PST_SU_PNS1_23onesweep_lookback_stateEbbT6_jjT7_P12ihipStream_tbENKUlT_T0_SI_SN_E_clIPiSD_S15_SD_EEDaS11_S12_SI_SN_EUlS11_E_NS1_11comp_targetILNS1_3genE5ELNS1_11target_archE942ELNS1_3gpuE9ELNS1_3repE0EEENS1_47radix_sort_onesweep_sort_config_static_selectorELNS0_4arch9wavefront6targetE1EEEvSI_,comdat
.Lfunc_end1857:
	.size	_ZN7rocprim17ROCPRIM_400000_NS6detail17trampoline_kernelINS0_14default_configENS1_35radix_sort_onesweep_config_selectorIiiEEZZNS1_29radix_sort_onesweep_iterationIS3_Lb1EN6thrust23THRUST_200600_302600_NS6detail15normal_iteratorINS8_10device_ptrIiEEEESD_SD_SD_jNS0_19identity_decomposerENS1_16block_id_wrapperIjLb1EEEEE10hipError_tT1_PNSt15iterator_traitsISI_E10value_typeET2_T3_PNSJ_ISO_E10value_typeET4_T5_PST_SU_PNS1_23onesweep_lookback_stateEbbT6_jjT7_P12ihipStream_tbENKUlT_T0_SI_SN_E_clIPiSD_S15_SD_EEDaS11_S12_SI_SN_EUlS11_E_NS1_11comp_targetILNS1_3genE5ELNS1_11target_archE942ELNS1_3gpuE9ELNS1_3repE0EEENS1_47radix_sort_onesweep_sort_config_static_selectorELNS0_4arch9wavefront6targetE1EEEvSI_, .Lfunc_end1857-_ZN7rocprim17ROCPRIM_400000_NS6detail17trampoline_kernelINS0_14default_configENS1_35radix_sort_onesweep_config_selectorIiiEEZZNS1_29radix_sort_onesweep_iterationIS3_Lb1EN6thrust23THRUST_200600_302600_NS6detail15normal_iteratorINS8_10device_ptrIiEEEESD_SD_SD_jNS0_19identity_decomposerENS1_16block_id_wrapperIjLb1EEEEE10hipError_tT1_PNSt15iterator_traitsISI_E10value_typeET2_T3_PNSJ_ISO_E10value_typeET4_T5_PST_SU_PNS1_23onesweep_lookback_stateEbbT6_jjT7_P12ihipStream_tbENKUlT_T0_SI_SN_E_clIPiSD_S15_SD_EEDaS11_S12_SI_SN_EUlS11_E_NS1_11comp_targetILNS1_3genE5ELNS1_11target_archE942ELNS1_3gpuE9ELNS1_3repE0EEENS1_47radix_sort_onesweep_sort_config_static_selectorELNS0_4arch9wavefront6targetE1EEEvSI_
                                        ; -- End function
	.set _ZN7rocprim17ROCPRIM_400000_NS6detail17trampoline_kernelINS0_14default_configENS1_35radix_sort_onesweep_config_selectorIiiEEZZNS1_29radix_sort_onesweep_iterationIS3_Lb1EN6thrust23THRUST_200600_302600_NS6detail15normal_iteratorINS8_10device_ptrIiEEEESD_SD_SD_jNS0_19identity_decomposerENS1_16block_id_wrapperIjLb1EEEEE10hipError_tT1_PNSt15iterator_traitsISI_E10value_typeET2_T3_PNSJ_ISO_E10value_typeET4_T5_PST_SU_PNS1_23onesweep_lookback_stateEbbT6_jjT7_P12ihipStream_tbENKUlT_T0_SI_SN_E_clIPiSD_S15_SD_EEDaS11_S12_SI_SN_EUlS11_E_NS1_11comp_targetILNS1_3genE5ELNS1_11target_archE942ELNS1_3gpuE9ELNS1_3repE0EEENS1_47radix_sort_onesweep_sort_config_static_selectorELNS0_4arch9wavefront6targetE1EEEvSI_.num_vgpr, 0
	.set _ZN7rocprim17ROCPRIM_400000_NS6detail17trampoline_kernelINS0_14default_configENS1_35radix_sort_onesweep_config_selectorIiiEEZZNS1_29radix_sort_onesweep_iterationIS3_Lb1EN6thrust23THRUST_200600_302600_NS6detail15normal_iteratorINS8_10device_ptrIiEEEESD_SD_SD_jNS0_19identity_decomposerENS1_16block_id_wrapperIjLb1EEEEE10hipError_tT1_PNSt15iterator_traitsISI_E10value_typeET2_T3_PNSJ_ISO_E10value_typeET4_T5_PST_SU_PNS1_23onesweep_lookback_stateEbbT6_jjT7_P12ihipStream_tbENKUlT_T0_SI_SN_E_clIPiSD_S15_SD_EEDaS11_S12_SI_SN_EUlS11_E_NS1_11comp_targetILNS1_3genE5ELNS1_11target_archE942ELNS1_3gpuE9ELNS1_3repE0EEENS1_47radix_sort_onesweep_sort_config_static_selectorELNS0_4arch9wavefront6targetE1EEEvSI_.num_agpr, 0
	.set _ZN7rocprim17ROCPRIM_400000_NS6detail17trampoline_kernelINS0_14default_configENS1_35radix_sort_onesweep_config_selectorIiiEEZZNS1_29radix_sort_onesweep_iterationIS3_Lb1EN6thrust23THRUST_200600_302600_NS6detail15normal_iteratorINS8_10device_ptrIiEEEESD_SD_SD_jNS0_19identity_decomposerENS1_16block_id_wrapperIjLb1EEEEE10hipError_tT1_PNSt15iterator_traitsISI_E10value_typeET2_T3_PNSJ_ISO_E10value_typeET4_T5_PST_SU_PNS1_23onesweep_lookback_stateEbbT6_jjT7_P12ihipStream_tbENKUlT_T0_SI_SN_E_clIPiSD_S15_SD_EEDaS11_S12_SI_SN_EUlS11_E_NS1_11comp_targetILNS1_3genE5ELNS1_11target_archE942ELNS1_3gpuE9ELNS1_3repE0EEENS1_47radix_sort_onesweep_sort_config_static_selectorELNS0_4arch9wavefront6targetE1EEEvSI_.numbered_sgpr, 0
	.set _ZN7rocprim17ROCPRIM_400000_NS6detail17trampoline_kernelINS0_14default_configENS1_35radix_sort_onesweep_config_selectorIiiEEZZNS1_29radix_sort_onesweep_iterationIS3_Lb1EN6thrust23THRUST_200600_302600_NS6detail15normal_iteratorINS8_10device_ptrIiEEEESD_SD_SD_jNS0_19identity_decomposerENS1_16block_id_wrapperIjLb1EEEEE10hipError_tT1_PNSt15iterator_traitsISI_E10value_typeET2_T3_PNSJ_ISO_E10value_typeET4_T5_PST_SU_PNS1_23onesweep_lookback_stateEbbT6_jjT7_P12ihipStream_tbENKUlT_T0_SI_SN_E_clIPiSD_S15_SD_EEDaS11_S12_SI_SN_EUlS11_E_NS1_11comp_targetILNS1_3genE5ELNS1_11target_archE942ELNS1_3gpuE9ELNS1_3repE0EEENS1_47radix_sort_onesweep_sort_config_static_selectorELNS0_4arch9wavefront6targetE1EEEvSI_.num_named_barrier, 0
	.set _ZN7rocprim17ROCPRIM_400000_NS6detail17trampoline_kernelINS0_14default_configENS1_35radix_sort_onesweep_config_selectorIiiEEZZNS1_29radix_sort_onesweep_iterationIS3_Lb1EN6thrust23THRUST_200600_302600_NS6detail15normal_iteratorINS8_10device_ptrIiEEEESD_SD_SD_jNS0_19identity_decomposerENS1_16block_id_wrapperIjLb1EEEEE10hipError_tT1_PNSt15iterator_traitsISI_E10value_typeET2_T3_PNSJ_ISO_E10value_typeET4_T5_PST_SU_PNS1_23onesweep_lookback_stateEbbT6_jjT7_P12ihipStream_tbENKUlT_T0_SI_SN_E_clIPiSD_S15_SD_EEDaS11_S12_SI_SN_EUlS11_E_NS1_11comp_targetILNS1_3genE5ELNS1_11target_archE942ELNS1_3gpuE9ELNS1_3repE0EEENS1_47radix_sort_onesweep_sort_config_static_selectorELNS0_4arch9wavefront6targetE1EEEvSI_.private_seg_size, 0
	.set _ZN7rocprim17ROCPRIM_400000_NS6detail17trampoline_kernelINS0_14default_configENS1_35radix_sort_onesweep_config_selectorIiiEEZZNS1_29radix_sort_onesweep_iterationIS3_Lb1EN6thrust23THRUST_200600_302600_NS6detail15normal_iteratorINS8_10device_ptrIiEEEESD_SD_SD_jNS0_19identity_decomposerENS1_16block_id_wrapperIjLb1EEEEE10hipError_tT1_PNSt15iterator_traitsISI_E10value_typeET2_T3_PNSJ_ISO_E10value_typeET4_T5_PST_SU_PNS1_23onesweep_lookback_stateEbbT6_jjT7_P12ihipStream_tbENKUlT_T0_SI_SN_E_clIPiSD_S15_SD_EEDaS11_S12_SI_SN_EUlS11_E_NS1_11comp_targetILNS1_3genE5ELNS1_11target_archE942ELNS1_3gpuE9ELNS1_3repE0EEENS1_47radix_sort_onesweep_sort_config_static_selectorELNS0_4arch9wavefront6targetE1EEEvSI_.uses_vcc, 0
	.set _ZN7rocprim17ROCPRIM_400000_NS6detail17trampoline_kernelINS0_14default_configENS1_35radix_sort_onesweep_config_selectorIiiEEZZNS1_29radix_sort_onesweep_iterationIS3_Lb1EN6thrust23THRUST_200600_302600_NS6detail15normal_iteratorINS8_10device_ptrIiEEEESD_SD_SD_jNS0_19identity_decomposerENS1_16block_id_wrapperIjLb1EEEEE10hipError_tT1_PNSt15iterator_traitsISI_E10value_typeET2_T3_PNSJ_ISO_E10value_typeET4_T5_PST_SU_PNS1_23onesweep_lookback_stateEbbT6_jjT7_P12ihipStream_tbENKUlT_T0_SI_SN_E_clIPiSD_S15_SD_EEDaS11_S12_SI_SN_EUlS11_E_NS1_11comp_targetILNS1_3genE5ELNS1_11target_archE942ELNS1_3gpuE9ELNS1_3repE0EEENS1_47radix_sort_onesweep_sort_config_static_selectorELNS0_4arch9wavefront6targetE1EEEvSI_.uses_flat_scratch, 0
	.set _ZN7rocprim17ROCPRIM_400000_NS6detail17trampoline_kernelINS0_14default_configENS1_35radix_sort_onesweep_config_selectorIiiEEZZNS1_29radix_sort_onesweep_iterationIS3_Lb1EN6thrust23THRUST_200600_302600_NS6detail15normal_iteratorINS8_10device_ptrIiEEEESD_SD_SD_jNS0_19identity_decomposerENS1_16block_id_wrapperIjLb1EEEEE10hipError_tT1_PNSt15iterator_traitsISI_E10value_typeET2_T3_PNSJ_ISO_E10value_typeET4_T5_PST_SU_PNS1_23onesweep_lookback_stateEbbT6_jjT7_P12ihipStream_tbENKUlT_T0_SI_SN_E_clIPiSD_S15_SD_EEDaS11_S12_SI_SN_EUlS11_E_NS1_11comp_targetILNS1_3genE5ELNS1_11target_archE942ELNS1_3gpuE9ELNS1_3repE0EEENS1_47radix_sort_onesweep_sort_config_static_selectorELNS0_4arch9wavefront6targetE1EEEvSI_.has_dyn_sized_stack, 0
	.set _ZN7rocprim17ROCPRIM_400000_NS6detail17trampoline_kernelINS0_14default_configENS1_35radix_sort_onesweep_config_selectorIiiEEZZNS1_29radix_sort_onesweep_iterationIS3_Lb1EN6thrust23THRUST_200600_302600_NS6detail15normal_iteratorINS8_10device_ptrIiEEEESD_SD_SD_jNS0_19identity_decomposerENS1_16block_id_wrapperIjLb1EEEEE10hipError_tT1_PNSt15iterator_traitsISI_E10value_typeET2_T3_PNSJ_ISO_E10value_typeET4_T5_PST_SU_PNS1_23onesweep_lookback_stateEbbT6_jjT7_P12ihipStream_tbENKUlT_T0_SI_SN_E_clIPiSD_S15_SD_EEDaS11_S12_SI_SN_EUlS11_E_NS1_11comp_targetILNS1_3genE5ELNS1_11target_archE942ELNS1_3gpuE9ELNS1_3repE0EEENS1_47radix_sort_onesweep_sort_config_static_selectorELNS0_4arch9wavefront6targetE1EEEvSI_.has_recursion, 0
	.set _ZN7rocprim17ROCPRIM_400000_NS6detail17trampoline_kernelINS0_14default_configENS1_35radix_sort_onesweep_config_selectorIiiEEZZNS1_29radix_sort_onesweep_iterationIS3_Lb1EN6thrust23THRUST_200600_302600_NS6detail15normal_iteratorINS8_10device_ptrIiEEEESD_SD_SD_jNS0_19identity_decomposerENS1_16block_id_wrapperIjLb1EEEEE10hipError_tT1_PNSt15iterator_traitsISI_E10value_typeET2_T3_PNSJ_ISO_E10value_typeET4_T5_PST_SU_PNS1_23onesweep_lookback_stateEbbT6_jjT7_P12ihipStream_tbENKUlT_T0_SI_SN_E_clIPiSD_S15_SD_EEDaS11_S12_SI_SN_EUlS11_E_NS1_11comp_targetILNS1_3genE5ELNS1_11target_archE942ELNS1_3gpuE9ELNS1_3repE0EEENS1_47radix_sort_onesweep_sort_config_static_selectorELNS0_4arch9wavefront6targetE1EEEvSI_.has_indirect_call, 0
	.section	.AMDGPU.csdata,"",@progbits
; Kernel info:
; codeLenInByte = 0
; TotalNumSgprs: 6
; NumVgprs: 0
; NumAgprs: 0
; TotalNumVgprs: 0
; ScratchSize: 0
; MemoryBound: 0
; FloatMode: 240
; IeeeMode: 1
; LDSByteSize: 0 bytes/workgroup (compile time only)
; SGPRBlocks: 0
; VGPRBlocks: 0
; NumSGPRsForWavesPerEU: 6
; NumVGPRsForWavesPerEU: 1
; AccumOffset: 4
; Occupancy: 8
; WaveLimiterHint : 0
; COMPUTE_PGM_RSRC2:SCRATCH_EN: 0
; COMPUTE_PGM_RSRC2:USER_SGPR: 2
; COMPUTE_PGM_RSRC2:TRAP_HANDLER: 0
; COMPUTE_PGM_RSRC2:TGID_X_EN: 1
; COMPUTE_PGM_RSRC2:TGID_Y_EN: 0
; COMPUTE_PGM_RSRC2:TGID_Z_EN: 0
; COMPUTE_PGM_RSRC2:TIDIG_COMP_CNT: 0
; COMPUTE_PGM_RSRC3_GFX90A:ACCUM_OFFSET: 0
; COMPUTE_PGM_RSRC3_GFX90A:TG_SPLIT: 0
	.section	.text._ZN7rocprim17ROCPRIM_400000_NS6detail17trampoline_kernelINS0_14default_configENS1_35radix_sort_onesweep_config_selectorIiiEEZZNS1_29radix_sort_onesweep_iterationIS3_Lb1EN6thrust23THRUST_200600_302600_NS6detail15normal_iteratorINS8_10device_ptrIiEEEESD_SD_SD_jNS0_19identity_decomposerENS1_16block_id_wrapperIjLb1EEEEE10hipError_tT1_PNSt15iterator_traitsISI_E10value_typeET2_T3_PNSJ_ISO_E10value_typeET4_T5_PST_SU_PNS1_23onesweep_lookback_stateEbbT6_jjT7_P12ihipStream_tbENKUlT_T0_SI_SN_E_clIPiSD_S15_SD_EEDaS11_S12_SI_SN_EUlS11_E_NS1_11comp_targetILNS1_3genE2ELNS1_11target_archE906ELNS1_3gpuE6ELNS1_3repE0EEENS1_47radix_sort_onesweep_sort_config_static_selectorELNS0_4arch9wavefront6targetE1EEEvSI_,"axG",@progbits,_ZN7rocprim17ROCPRIM_400000_NS6detail17trampoline_kernelINS0_14default_configENS1_35radix_sort_onesweep_config_selectorIiiEEZZNS1_29radix_sort_onesweep_iterationIS3_Lb1EN6thrust23THRUST_200600_302600_NS6detail15normal_iteratorINS8_10device_ptrIiEEEESD_SD_SD_jNS0_19identity_decomposerENS1_16block_id_wrapperIjLb1EEEEE10hipError_tT1_PNSt15iterator_traitsISI_E10value_typeET2_T3_PNSJ_ISO_E10value_typeET4_T5_PST_SU_PNS1_23onesweep_lookback_stateEbbT6_jjT7_P12ihipStream_tbENKUlT_T0_SI_SN_E_clIPiSD_S15_SD_EEDaS11_S12_SI_SN_EUlS11_E_NS1_11comp_targetILNS1_3genE2ELNS1_11target_archE906ELNS1_3gpuE6ELNS1_3repE0EEENS1_47radix_sort_onesweep_sort_config_static_selectorELNS0_4arch9wavefront6targetE1EEEvSI_,comdat
	.protected	_ZN7rocprim17ROCPRIM_400000_NS6detail17trampoline_kernelINS0_14default_configENS1_35radix_sort_onesweep_config_selectorIiiEEZZNS1_29radix_sort_onesweep_iterationIS3_Lb1EN6thrust23THRUST_200600_302600_NS6detail15normal_iteratorINS8_10device_ptrIiEEEESD_SD_SD_jNS0_19identity_decomposerENS1_16block_id_wrapperIjLb1EEEEE10hipError_tT1_PNSt15iterator_traitsISI_E10value_typeET2_T3_PNSJ_ISO_E10value_typeET4_T5_PST_SU_PNS1_23onesweep_lookback_stateEbbT6_jjT7_P12ihipStream_tbENKUlT_T0_SI_SN_E_clIPiSD_S15_SD_EEDaS11_S12_SI_SN_EUlS11_E_NS1_11comp_targetILNS1_3genE2ELNS1_11target_archE906ELNS1_3gpuE6ELNS1_3repE0EEENS1_47radix_sort_onesweep_sort_config_static_selectorELNS0_4arch9wavefront6targetE1EEEvSI_ ; -- Begin function _ZN7rocprim17ROCPRIM_400000_NS6detail17trampoline_kernelINS0_14default_configENS1_35radix_sort_onesweep_config_selectorIiiEEZZNS1_29radix_sort_onesweep_iterationIS3_Lb1EN6thrust23THRUST_200600_302600_NS6detail15normal_iteratorINS8_10device_ptrIiEEEESD_SD_SD_jNS0_19identity_decomposerENS1_16block_id_wrapperIjLb1EEEEE10hipError_tT1_PNSt15iterator_traitsISI_E10value_typeET2_T3_PNSJ_ISO_E10value_typeET4_T5_PST_SU_PNS1_23onesweep_lookback_stateEbbT6_jjT7_P12ihipStream_tbENKUlT_T0_SI_SN_E_clIPiSD_S15_SD_EEDaS11_S12_SI_SN_EUlS11_E_NS1_11comp_targetILNS1_3genE2ELNS1_11target_archE906ELNS1_3gpuE6ELNS1_3repE0EEENS1_47radix_sort_onesweep_sort_config_static_selectorELNS0_4arch9wavefront6targetE1EEEvSI_
	.globl	_ZN7rocprim17ROCPRIM_400000_NS6detail17trampoline_kernelINS0_14default_configENS1_35radix_sort_onesweep_config_selectorIiiEEZZNS1_29radix_sort_onesweep_iterationIS3_Lb1EN6thrust23THRUST_200600_302600_NS6detail15normal_iteratorINS8_10device_ptrIiEEEESD_SD_SD_jNS0_19identity_decomposerENS1_16block_id_wrapperIjLb1EEEEE10hipError_tT1_PNSt15iterator_traitsISI_E10value_typeET2_T3_PNSJ_ISO_E10value_typeET4_T5_PST_SU_PNS1_23onesweep_lookback_stateEbbT6_jjT7_P12ihipStream_tbENKUlT_T0_SI_SN_E_clIPiSD_S15_SD_EEDaS11_S12_SI_SN_EUlS11_E_NS1_11comp_targetILNS1_3genE2ELNS1_11target_archE906ELNS1_3gpuE6ELNS1_3repE0EEENS1_47radix_sort_onesweep_sort_config_static_selectorELNS0_4arch9wavefront6targetE1EEEvSI_
	.p2align	8
	.type	_ZN7rocprim17ROCPRIM_400000_NS6detail17trampoline_kernelINS0_14default_configENS1_35radix_sort_onesweep_config_selectorIiiEEZZNS1_29radix_sort_onesweep_iterationIS3_Lb1EN6thrust23THRUST_200600_302600_NS6detail15normal_iteratorINS8_10device_ptrIiEEEESD_SD_SD_jNS0_19identity_decomposerENS1_16block_id_wrapperIjLb1EEEEE10hipError_tT1_PNSt15iterator_traitsISI_E10value_typeET2_T3_PNSJ_ISO_E10value_typeET4_T5_PST_SU_PNS1_23onesweep_lookback_stateEbbT6_jjT7_P12ihipStream_tbENKUlT_T0_SI_SN_E_clIPiSD_S15_SD_EEDaS11_S12_SI_SN_EUlS11_E_NS1_11comp_targetILNS1_3genE2ELNS1_11target_archE906ELNS1_3gpuE6ELNS1_3repE0EEENS1_47radix_sort_onesweep_sort_config_static_selectorELNS0_4arch9wavefront6targetE1EEEvSI_,@function
_ZN7rocprim17ROCPRIM_400000_NS6detail17trampoline_kernelINS0_14default_configENS1_35radix_sort_onesweep_config_selectorIiiEEZZNS1_29radix_sort_onesweep_iterationIS3_Lb1EN6thrust23THRUST_200600_302600_NS6detail15normal_iteratorINS8_10device_ptrIiEEEESD_SD_SD_jNS0_19identity_decomposerENS1_16block_id_wrapperIjLb1EEEEE10hipError_tT1_PNSt15iterator_traitsISI_E10value_typeET2_T3_PNSJ_ISO_E10value_typeET4_T5_PST_SU_PNS1_23onesweep_lookback_stateEbbT6_jjT7_P12ihipStream_tbENKUlT_T0_SI_SN_E_clIPiSD_S15_SD_EEDaS11_S12_SI_SN_EUlS11_E_NS1_11comp_targetILNS1_3genE2ELNS1_11target_archE906ELNS1_3gpuE6ELNS1_3repE0EEENS1_47radix_sort_onesweep_sort_config_static_selectorELNS0_4arch9wavefront6targetE1EEEvSI_: ; @_ZN7rocprim17ROCPRIM_400000_NS6detail17trampoline_kernelINS0_14default_configENS1_35radix_sort_onesweep_config_selectorIiiEEZZNS1_29radix_sort_onesweep_iterationIS3_Lb1EN6thrust23THRUST_200600_302600_NS6detail15normal_iteratorINS8_10device_ptrIiEEEESD_SD_SD_jNS0_19identity_decomposerENS1_16block_id_wrapperIjLb1EEEEE10hipError_tT1_PNSt15iterator_traitsISI_E10value_typeET2_T3_PNSJ_ISO_E10value_typeET4_T5_PST_SU_PNS1_23onesweep_lookback_stateEbbT6_jjT7_P12ihipStream_tbENKUlT_T0_SI_SN_E_clIPiSD_S15_SD_EEDaS11_S12_SI_SN_EUlS11_E_NS1_11comp_targetILNS1_3genE2ELNS1_11target_archE906ELNS1_3gpuE6ELNS1_3repE0EEENS1_47radix_sort_onesweep_sort_config_static_selectorELNS0_4arch9wavefront6targetE1EEEvSI_
; %bb.0:
	.section	.rodata,"a",@progbits
	.p2align	6, 0x0
	.amdhsa_kernel _ZN7rocprim17ROCPRIM_400000_NS6detail17trampoline_kernelINS0_14default_configENS1_35radix_sort_onesweep_config_selectorIiiEEZZNS1_29radix_sort_onesweep_iterationIS3_Lb1EN6thrust23THRUST_200600_302600_NS6detail15normal_iteratorINS8_10device_ptrIiEEEESD_SD_SD_jNS0_19identity_decomposerENS1_16block_id_wrapperIjLb1EEEEE10hipError_tT1_PNSt15iterator_traitsISI_E10value_typeET2_T3_PNSJ_ISO_E10value_typeET4_T5_PST_SU_PNS1_23onesweep_lookback_stateEbbT6_jjT7_P12ihipStream_tbENKUlT_T0_SI_SN_E_clIPiSD_S15_SD_EEDaS11_S12_SI_SN_EUlS11_E_NS1_11comp_targetILNS1_3genE2ELNS1_11target_archE906ELNS1_3gpuE6ELNS1_3repE0EEENS1_47radix_sort_onesweep_sort_config_static_selectorELNS0_4arch9wavefront6targetE1EEEvSI_
		.amdhsa_group_segment_fixed_size 0
		.amdhsa_private_segment_fixed_size 0
		.amdhsa_kernarg_size 88
		.amdhsa_user_sgpr_count 2
		.amdhsa_user_sgpr_dispatch_ptr 0
		.amdhsa_user_sgpr_queue_ptr 0
		.amdhsa_user_sgpr_kernarg_segment_ptr 1
		.amdhsa_user_sgpr_dispatch_id 0
		.amdhsa_user_sgpr_kernarg_preload_length 0
		.amdhsa_user_sgpr_kernarg_preload_offset 0
		.amdhsa_user_sgpr_private_segment_size 0
		.amdhsa_uses_dynamic_stack 0
		.amdhsa_enable_private_segment 0
		.amdhsa_system_sgpr_workgroup_id_x 1
		.amdhsa_system_sgpr_workgroup_id_y 0
		.amdhsa_system_sgpr_workgroup_id_z 0
		.amdhsa_system_sgpr_workgroup_info 0
		.amdhsa_system_vgpr_workitem_id 0
		.amdhsa_next_free_vgpr 1
		.amdhsa_next_free_sgpr 0
		.amdhsa_accum_offset 4
		.amdhsa_reserve_vcc 0
		.amdhsa_float_round_mode_32 0
		.amdhsa_float_round_mode_16_64 0
		.amdhsa_float_denorm_mode_32 3
		.amdhsa_float_denorm_mode_16_64 3
		.amdhsa_dx10_clamp 1
		.amdhsa_ieee_mode 1
		.amdhsa_fp16_overflow 0
		.amdhsa_tg_split 0
		.amdhsa_exception_fp_ieee_invalid_op 0
		.amdhsa_exception_fp_denorm_src 0
		.amdhsa_exception_fp_ieee_div_zero 0
		.amdhsa_exception_fp_ieee_overflow 0
		.amdhsa_exception_fp_ieee_underflow 0
		.amdhsa_exception_fp_ieee_inexact 0
		.amdhsa_exception_int_div_zero 0
	.end_amdhsa_kernel
	.section	.text._ZN7rocprim17ROCPRIM_400000_NS6detail17trampoline_kernelINS0_14default_configENS1_35radix_sort_onesweep_config_selectorIiiEEZZNS1_29radix_sort_onesweep_iterationIS3_Lb1EN6thrust23THRUST_200600_302600_NS6detail15normal_iteratorINS8_10device_ptrIiEEEESD_SD_SD_jNS0_19identity_decomposerENS1_16block_id_wrapperIjLb1EEEEE10hipError_tT1_PNSt15iterator_traitsISI_E10value_typeET2_T3_PNSJ_ISO_E10value_typeET4_T5_PST_SU_PNS1_23onesweep_lookback_stateEbbT6_jjT7_P12ihipStream_tbENKUlT_T0_SI_SN_E_clIPiSD_S15_SD_EEDaS11_S12_SI_SN_EUlS11_E_NS1_11comp_targetILNS1_3genE2ELNS1_11target_archE906ELNS1_3gpuE6ELNS1_3repE0EEENS1_47radix_sort_onesweep_sort_config_static_selectorELNS0_4arch9wavefront6targetE1EEEvSI_,"axG",@progbits,_ZN7rocprim17ROCPRIM_400000_NS6detail17trampoline_kernelINS0_14default_configENS1_35radix_sort_onesweep_config_selectorIiiEEZZNS1_29radix_sort_onesweep_iterationIS3_Lb1EN6thrust23THRUST_200600_302600_NS6detail15normal_iteratorINS8_10device_ptrIiEEEESD_SD_SD_jNS0_19identity_decomposerENS1_16block_id_wrapperIjLb1EEEEE10hipError_tT1_PNSt15iterator_traitsISI_E10value_typeET2_T3_PNSJ_ISO_E10value_typeET4_T5_PST_SU_PNS1_23onesweep_lookback_stateEbbT6_jjT7_P12ihipStream_tbENKUlT_T0_SI_SN_E_clIPiSD_S15_SD_EEDaS11_S12_SI_SN_EUlS11_E_NS1_11comp_targetILNS1_3genE2ELNS1_11target_archE906ELNS1_3gpuE6ELNS1_3repE0EEENS1_47radix_sort_onesweep_sort_config_static_selectorELNS0_4arch9wavefront6targetE1EEEvSI_,comdat
.Lfunc_end1858:
	.size	_ZN7rocprim17ROCPRIM_400000_NS6detail17trampoline_kernelINS0_14default_configENS1_35radix_sort_onesweep_config_selectorIiiEEZZNS1_29radix_sort_onesweep_iterationIS3_Lb1EN6thrust23THRUST_200600_302600_NS6detail15normal_iteratorINS8_10device_ptrIiEEEESD_SD_SD_jNS0_19identity_decomposerENS1_16block_id_wrapperIjLb1EEEEE10hipError_tT1_PNSt15iterator_traitsISI_E10value_typeET2_T3_PNSJ_ISO_E10value_typeET4_T5_PST_SU_PNS1_23onesweep_lookback_stateEbbT6_jjT7_P12ihipStream_tbENKUlT_T0_SI_SN_E_clIPiSD_S15_SD_EEDaS11_S12_SI_SN_EUlS11_E_NS1_11comp_targetILNS1_3genE2ELNS1_11target_archE906ELNS1_3gpuE6ELNS1_3repE0EEENS1_47radix_sort_onesweep_sort_config_static_selectorELNS0_4arch9wavefront6targetE1EEEvSI_, .Lfunc_end1858-_ZN7rocprim17ROCPRIM_400000_NS6detail17trampoline_kernelINS0_14default_configENS1_35radix_sort_onesweep_config_selectorIiiEEZZNS1_29radix_sort_onesweep_iterationIS3_Lb1EN6thrust23THRUST_200600_302600_NS6detail15normal_iteratorINS8_10device_ptrIiEEEESD_SD_SD_jNS0_19identity_decomposerENS1_16block_id_wrapperIjLb1EEEEE10hipError_tT1_PNSt15iterator_traitsISI_E10value_typeET2_T3_PNSJ_ISO_E10value_typeET4_T5_PST_SU_PNS1_23onesweep_lookback_stateEbbT6_jjT7_P12ihipStream_tbENKUlT_T0_SI_SN_E_clIPiSD_S15_SD_EEDaS11_S12_SI_SN_EUlS11_E_NS1_11comp_targetILNS1_3genE2ELNS1_11target_archE906ELNS1_3gpuE6ELNS1_3repE0EEENS1_47radix_sort_onesweep_sort_config_static_selectorELNS0_4arch9wavefront6targetE1EEEvSI_
                                        ; -- End function
	.set _ZN7rocprim17ROCPRIM_400000_NS6detail17trampoline_kernelINS0_14default_configENS1_35radix_sort_onesweep_config_selectorIiiEEZZNS1_29radix_sort_onesweep_iterationIS3_Lb1EN6thrust23THRUST_200600_302600_NS6detail15normal_iteratorINS8_10device_ptrIiEEEESD_SD_SD_jNS0_19identity_decomposerENS1_16block_id_wrapperIjLb1EEEEE10hipError_tT1_PNSt15iterator_traitsISI_E10value_typeET2_T3_PNSJ_ISO_E10value_typeET4_T5_PST_SU_PNS1_23onesweep_lookback_stateEbbT6_jjT7_P12ihipStream_tbENKUlT_T0_SI_SN_E_clIPiSD_S15_SD_EEDaS11_S12_SI_SN_EUlS11_E_NS1_11comp_targetILNS1_3genE2ELNS1_11target_archE906ELNS1_3gpuE6ELNS1_3repE0EEENS1_47radix_sort_onesweep_sort_config_static_selectorELNS0_4arch9wavefront6targetE1EEEvSI_.num_vgpr, 0
	.set _ZN7rocprim17ROCPRIM_400000_NS6detail17trampoline_kernelINS0_14default_configENS1_35radix_sort_onesweep_config_selectorIiiEEZZNS1_29radix_sort_onesweep_iterationIS3_Lb1EN6thrust23THRUST_200600_302600_NS6detail15normal_iteratorINS8_10device_ptrIiEEEESD_SD_SD_jNS0_19identity_decomposerENS1_16block_id_wrapperIjLb1EEEEE10hipError_tT1_PNSt15iterator_traitsISI_E10value_typeET2_T3_PNSJ_ISO_E10value_typeET4_T5_PST_SU_PNS1_23onesweep_lookback_stateEbbT6_jjT7_P12ihipStream_tbENKUlT_T0_SI_SN_E_clIPiSD_S15_SD_EEDaS11_S12_SI_SN_EUlS11_E_NS1_11comp_targetILNS1_3genE2ELNS1_11target_archE906ELNS1_3gpuE6ELNS1_3repE0EEENS1_47radix_sort_onesweep_sort_config_static_selectorELNS0_4arch9wavefront6targetE1EEEvSI_.num_agpr, 0
	.set _ZN7rocprim17ROCPRIM_400000_NS6detail17trampoline_kernelINS0_14default_configENS1_35radix_sort_onesweep_config_selectorIiiEEZZNS1_29radix_sort_onesweep_iterationIS3_Lb1EN6thrust23THRUST_200600_302600_NS6detail15normal_iteratorINS8_10device_ptrIiEEEESD_SD_SD_jNS0_19identity_decomposerENS1_16block_id_wrapperIjLb1EEEEE10hipError_tT1_PNSt15iterator_traitsISI_E10value_typeET2_T3_PNSJ_ISO_E10value_typeET4_T5_PST_SU_PNS1_23onesweep_lookback_stateEbbT6_jjT7_P12ihipStream_tbENKUlT_T0_SI_SN_E_clIPiSD_S15_SD_EEDaS11_S12_SI_SN_EUlS11_E_NS1_11comp_targetILNS1_3genE2ELNS1_11target_archE906ELNS1_3gpuE6ELNS1_3repE0EEENS1_47radix_sort_onesweep_sort_config_static_selectorELNS0_4arch9wavefront6targetE1EEEvSI_.numbered_sgpr, 0
	.set _ZN7rocprim17ROCPRIM_400000_NS6detail17trampoline_kernelINS0_14default_configENS1_35radix_sort_onesweep_config_selectorIiiEEZZNS1_29radix_sort_onesweep_iterationIS3_Lb1EN6thrust23THRUST_200600_302600_NS6detail15normal_iteratorINS8_10device_ptrIiEEEESD_SD_SD_jNS0_19identity_decomposerENS1_16block_id_wrapperIjLb1EEEEE10hipError_tT1_PNSt15iterator_traitsISI_E10value_typeET2_T3_PNSJ_ISO_E10value_typeET4_T5_PST_SU_PNS1_23onesweep_lookback_stateEbbT6_jjT7_P12ihipStream_tbENKUlT_T0_SI_SN_E_clIPiSD_S15_SD_EEDaS11_S12_SI_SN_EUlS11_E_NS1_11comp_targetILNS1_3genE2ELNS1_11target_archE906ELNS1_3gpuE6ELNS1_3repE0EEENS1_47radix_sort_onesweep_sort_config_static_selectorELNS0_4arch9wavefront6targetE1EEEvSI_.num_named_barrier, 0
	.set _ZN7rocprim17ROCPRIM_400000_NS6detail17trampoline_kernelINS0_14default_configENS1_35radix_sort_onesweep_config_selectorIiiEEZZNS1_29radix_sort_onesweep_iterationIS3_Lb1EN6thrust23THRUST_200600_302600_NS6detail15normal_iteratorINS8_10device_ptrIiEEEESD_SD_SD_jNS0_19identity_decomposerENS1_16block_id_wrapperIjLb1EEEEE10hipError_tT1_PNSt15iterator_traitsISI_E10value_typeET2_T3_PNSJ_ISO_E10value_typeET4_T5_PST_SU_PNS1_23onesweep_lookback_stateEbbT6_jjT7_P12ihipStream_tbENKUlT_T0_SI_SN_E_clIPiSD_S15_SD_EEDaS11_S12_SI_SN_EUlS11_E_NS1_11comp_targetILNS1_3genE2ELNS1_11target_archE906ELNS1_3gpuE6ELNS1_3repE0EEENS1_47radix_sort_onesweep_sort_config_static_selectorELNS0_4arch9wavefront6targetE1EEEvSI_.private_seg_size, 0
	.set _ZN7rocprim17ROCPRIM_400000_NS6detail17trampoline_kernelINS0_14default_configENS1_35radix_sort_onesweep_config_selectorIiiEEZZNS1_29radix_sort_onesweep_iterationIS3_Lb1EN6thrust23THRUST_200600_302600_NS6detail15normal_iteratorINS8_10device_ptrIiEEEESD_SD_SD_jNS0_19identity_decomposerENS1_16block_id_wrapperIjLb1EEEEE10hipError_tT1_PNSt15iterator_traitsISI_E10value_typeET2_T3_PNSJ_ISO_E10value_typeET4_T5_PST_SU_PNS1_23onesweep_lookback_stateEbbT6_jjT7_P12ihipStream_tbENKUlT_T0_SI_SN_E_clIPiSD_S15_SD_EEDaS11_S12_SI_SN_EUlS11_E_NS1_11comp_targetILNS1_3genE2ELNS1_11target_archE906ELNS1_3gpuE6ELNS1_3repE0EEENS1_47radix_sort_onesweep_sort_config_static_selectorELNS0_4arch9wavefront6targetE1EEEvSI_.uses_vcc, 0
	.set _ZN7rocprim17ROCPRIM_400000_NS6detail17trampoline_kernelINS0_14default_configENS1_35radix_sort_onesweep_config_selectorIiiEEZZNS1_29radix_sort_onesweep_iterationIS3_Lb1EN6thrust23THRUST_200600_302600_NS6detail15normal_iteratorINS8_10device_ptrIiEEEESD_SD_SD_jNS0_19identity_decomposerENS1_16block_id_wrapperIjLb1EEEEE10hipError_tT1_PNSt15iterator_traitsISI_E10value_typeET2_T3_PNSJ_ISO_E10value_typeET4_T5_PST_SU_PNS1_23onesweep_lookback_stateEbbT6_jjT7_P12ihipStream_tbENKUlT_T0_SI_SN_E_clIPiSD_S15_SD_EEDaS11_S12_SI_SN_EUlS11_E_NS1_11comp_targetILNS1_3genE2ELNS1_11target_archE906ELNS1_3gpuE6ELNS1_3repE0EEENS1_47radix_sort_onesweep_sort_config_static_selectorELNS0_4arch9wavefront6targetE1EEEvSI_.uses_flat_scratch, 0
	.set _ZN7rocprim17ROCPRIM_400000_NS6detail17trampoline_kernelINS0_14default_configENS1_35radix_sort_onesweep_config_selectorIiiEEZZNS1_29radix_sort_onesweep_iterationIS3_Lb1EN6thrust23THRUST_200600_302600_NS6detail15normal_iteratorINS8_10device_ptrIiEEEESD_SD_SD_jNS0_19identity_decomposerENS1_16block_id_wrapperIjLb1EEEEE10hipError_tT1_PNSt15iterator_traitsISI_E10value_typeET2_T3_PNSJ_ISO_E10value_typeET4_T5_PST_SU_PNS1_23onesweep_lookback_stateEbbT6_jjT7_P12ihipStream_tbENKUlT_T0_SI_SN_E_clIPiSD_S15_SD_EEDaS11_S12_SI_SN_EUlS11_E_NS1_11comp_targetILNS1_3genE2ELNS1_11target_archE906ELNS1_3gpuE6ELNS1_3repE0EEENS1_47radix_sort_onesweep_sort_config_static_selectorELNS0_4arch9wavefront6targetE1EEEvSI_.has_dyn_sized_stack, 0
	.set _ZN7rocprim17ROCPRIM_400000_NS6detail17trampoline_kernelINS0_14default_configENS1_35radix_sort_onesweep_config_selectorIiiEEZZNS1_29radix_sort_onesweep_iterationIS3_Lb1EN6thrust23THRUST_200600_302600_NS6detail15normal_iteratorINS8_10device_ptrIiEEEESD_SD_SD_jNS0_19identity_decomposerENS1_16block_id_wrapperIjLb1EEEEE10hipError_tT1_PNSt15iterator_traitsISI_E10value_typeET2_T3_PNSJ_ISO_E10value_typeET4_T5_PST_SU_PNS1_23onesweep_lookback_stateEbbT6_jjT7_P12ihipStream_tbENKUlT_T0_SI_SN_E_clIPiSD_S15_SD_EEDaS11_S12_SI_SN_EUlS11_E_NS1_11comp_targetILNS1_3genE2ELNS1_11target_archE906ELNS1_3gpuE6ELNS1_3repE0EEENS1_47radix_sort_onesweep_sort_config_static_selectorELNS0_4arch9wavefront6targetE1EEEvSI_.has_recursion, 0
	.set _ZN7rocprim17ROCPRIM_400000_NS6detail17trampoline_kernelINS0_14default_configENS1_35radix_sort_onesweep_config_selectorIiiEEZZNS1_29radix_sort_onesweep_iterationIS3_Lb1EN6thrust23THRUST_200600_302600_NS6detail15normal_iteratorINS8_10device_ptrIiEEEESD_SD_SD_jNS0_19identity_decomposerENS1_16block_id_wrapperIjLb1EEEEE10hipError_tT1_PNSt15iterator_traitsISI_E10value_typeET2_T3_PNSJ_ISO_E10value_typeET4_T5_PST_SU_PNS1_23onesweep_lookback_stateEbbT6_jjT7_P12ihipStream_tbENKUlT_T0_SI_SN_E_clIPiSD_S15_SD_EEDaS11_S12_SI_SN_EUlS11_E_NS1_11comp_targetILNS1_3genE2ELNS1_11target_archE906ELNS1_3gpuE6ELNS1_3repE0EEENS1_47radix_sort_onesweep_sort_config_static_selectorELNS0_4arch9wavefront6targetE1EEEvSI_.has_indirect_call, 0
	.section	.AMDGPU.csdata,"",@progbits
; Kernel info:
; codeLenInByte = 0
; TotalNumSgprs: 6
; NumVgprs: 0
; NumAgprs: 0
; TotalNumVgprs: 0
; ScratchSize: 0
; MemoryBound: 0
; FloatMode: 240
; IeeeMode: 1
; LDSByteSize: 0 bytes/workgroup (compile time only)
; SGPRBlocks: 0
; VGPRBlocks: 0
; NumSGPRsForWavesPerEU: 6
; NumVGPRsForWavesPerEU: 1
; AccumOffset: 4
; Occupancy: 8
; WaveLimiterHint : 0
; COMPUTE_PGM_RSRC2:SCRATCH_EN: 0
; COMPUTE_PGM_RSRC2:USER_SGPR: 2
; COMPUTE_PGM_RSRC2:TRAP_HANDLER: 0
; COMPUTE_PGM_RSRC2:TGID_X_EN: 1
; COMPUTE_PGM_RSRC2:TGID_Y_EN: 0
; COMPUTE_PGM_RSRC2:TGID_Z_EN: 0
; COMPUTE_PGM_RSRC2:TIDIG_COMP_CNT: 0
; COMPUTE_PGM_RSRC3_GFX90A:ACCUM_OFFSET: 0
; COMPUTE_PGM_RSRC3_GFX90A:TG_SPLIT: 0
	.section	.text._ZN7rocprim17ROCPRIM_400000_NS6detail17trampoline_kernelINS0_14default_configENS1_35radix_sort_onesweep_config_selectorIiiEEZZNS1_29radix_sort_onesweep_iterationIS3_Lb1EN6thrust23THRUST_200600_302600_NS6detail15normal_iteratorINS8_10device_ptrIiEEEESD_SD_SD_jNS0_19identity_decomposerENS1_16block_id_wrapperIjLb1EEEEE10hipError_tT1_PNSt15iterator_traitsISI_E10value_typeET2_T3_PNSJ_ISO_E10value_typeET4_T5_PST_SU_PNS1_23onesweep_lookback_stateEbbT6_jjT7_P12ihipStream_tbENKUlT_T0_SI_SN_E_clIPiSD_S15_SD_EEDaS11_S12_SI_SN_EUlS11_E_NS1_11comp_targetILNS1_3genE4ELNS1_11target_archE910ELNS1_3gpuE8ELNS1_3repE0EEENS1_47radix_sort_onesweep_sort_config_static_selectorELNS0_4arch9wavefront6targetE1EEEvSI_,"axG",@progbits,_ZN7rocprim17ROCPRIM_400000_NS6detail17trampoline_kernelINS0_14default_configENS1_35radix_sort_onesweep_config_selectorIiiEEZZNS1_29radix_sort_onesweep_iterationIS3_Lb1EN6thrust23THRUST_200600_302600_NS6detail15normal_iteratorINS8_10device_ptrIiEEEESD_SD_SD_jNS0_19identity_decomposerENS1_16block_id_wrapperIjLb1EEEEE10hipError_tT1_PNSt15iterator_traitsISI_E10value_typeET2_T3_PNSJ_ISO_E10value_typeET4_T5_PST_SU_PNS1_23onesweep_lookback_stateEbbT6_jjT7_P12ihipStream_tbENKUlT_T0_SI_SN_E_clIPiSD_S15_SD_EEDaS11_S12_SI_SN_EUlS11_E_NS1_11comp_targetILNS1_3genE4ELNS1_11target_archE910ELNS1_3gpuE8ELNS1_3repE0EEENS1_47radix_sort_onesweep_sort_config_static_selectorELNS0_4arch9wavefront6targetE1EEEvSI_,comdat
	.protected	_ZN7rocprim17ROCPRIM_400000_NS6detail17trampoline_kernelINS0_14default_configENS1_35radix_sort_onesweep_config_selectorIiiEEZZNS1_29radix_sort_onesweep_iterationIS3_Lb1EN6thrust23THRUST_200600_302600_NS6detail15normal_iteratorINS8_10device_ptrIiEEEESD_SD_SD_jNS0_19identity_decomposerENS1_16block_id_wrapperIjLb1EEEEE10hipError_tT1_PNSt15iterator_traitsISI_E10value_typeET2_T3_PNSJ_ISO_E10value_typeET4_T5_PST_SU_PNS1_23onesweep_lookback_stateEbbT6_jjT7_P12ihipStream_tbENKUlT_T0_SI_SN_E_clIPiSD_S15_SD_EEDaS11_S12_SI_SN_EUlS11_E_NS1_11comp_targetILNS1_3genE4ELNS1_11target_archE910ELNS1_3gpuE8ELNS1_3repE0EEENS1_47radix_sort_onesweep_sort_config_static_selectorELNS0_4arch9wavefront6targetE1EEEvSI_ ; -- Begin function _ZN7rocprim17ROCPRIM_400000_NS6detail17trampoline_kernelINS0_14default_configENS1_35radix_sort_onesweep_config_selectorIiiEEZZNS1_29radix_sort_onesweep_iterationIS3_Lb1EN6thrust23THRUST_200600_302600_NS6detail15normal_iteratorINS8_10device_ptrIiEEEESD_SD_SD_jNS0_19identity_decomposerENS1_16block_id_wrapperIjLb1EEEEE10hipError_tT1_PNSt15iterator_traitsISI_E10value_typeET2_T3_PNSJ_ISO_E10value_typeET4_T5_PST_SU_PNS1_23onesweep_lookback_stateEbbT6_jjT7_P12ihipStream_tbENKUlT_T0_SI_SN_E_clIPiSD_S15_SD_EEDaS11_S12_SI_SN_EUlS11_E_NS1_11comp_targetILNS1_3genE4ELNS1_11target_archE910ELNS1_3gpuE8ELNS1_3repE0EEENS1_47radix_sort_onesweep_sort_config_static_selectorELNS0_4arch9wavefront6targetE1EEEvSI_
	.globl	_ZN7rocprim17ROCPRIM_400000_NS6detail17trampoline_kernelINS0_14default_configENS1_35radix_sort_onesweep_config_selectorIiiEEZZNS1_29radix_sort_onesweep_iterationIS3_Lb1EN6thrust23THRUST_200600_302600_NS6detail15normal_iteratorINS8_10device_ptrIiEEEESD_SD_SD_jNS0_19identity_decomposerENS1_16block_id_wrapperIjLb1EEEEE10hipError_tT1_PNSt15iterator_traitsISI_E10value_typeET2_T3_PNSJ_ISO_E10value_typeET4_T5_PST_SU_PNS1_23onesweep_lookback_stateEbbT6_jjT7_P12ihipStream_tbENKUlT_T0_SI_SN_E_clIPiSD_S15_SD_EEDaS11_S12_SI_SN_EUlS11_E_NS1_11comp_targetILNS1_3genE4ELNS1_11target_archE910ELNS1_3gpuE8ELNS1_3repE0EEENS1_47radix_sort_onesweep_sort_config_static_selectorELNS0_4arch9wavefront6targetE1EEEvSI_
	.p2align	8
	.type	_ZN7rocprim17ROCPRIM_400000_NS6detail17trampoline_kernelINS0_14default_configENS1_35radix_sort_onesweep_config_selectorIiiEEZZNS1_29radix_sort_onesweep_iterationIS3_Lb1EN6thrust23THRUST_200600_302600_NS6detail15normal_iteratorINS8_10device_ptrIiEEEESD_SD_SD_jNS0_19identity_decomposerENS1_16block_id_wrapperIjLb1EEEEE10hipError_tT1_PNSt15iterator_traitsISI_E10value_typeET2_T3_PNSJ_ISO_E10value_typeET4_T5_PST_SU_PNS1_23onesweep_lookback_stateEbbT6_jjT7_P12ihipStream_tbENKUlT_T0_SI_SN_E_clIPiSD_S15_SD_EEDaS11_S12_SI_SN_EUlS11_E_NS1_11comp_targetILNS1_3genE4ELNS1_11target_archE910ELNS1_3gpuE8ELNS1_3repE0EEENS1_47radix_sort_onesweep_sort_config_static_selectorELNS0_4arch9wavefront6targetE1EEEvSI_,@function
_ZN7rocprim17ROCPRIM_400000_NS6detail17trampoline_kernelINS0_14default_configENS1_35radix_sort_onesweep_config_selectorIiiEEZZNS1_29radix_sort_onesweep_iterationIS3_Lb1EN6thrust23THRUST_200600_302600_NS6detail15normal_iteratorINS8_10device_ptrIiEEEESD_SD_SD_jNS0_19identity_decomposerENS1_16block_id_wrapperIjLb1EEEEE10hipError_tT1_PNSt15iterator_traitsISI_E10value_typeET2_T3_PNSJ_ISO_E10value_typeET4_T5_PST_SU_PNS1_23onesweep_lookback_stateEbbT6_jjT7_P12ihipStream_tbENKUlT_T0_SI_SN_E_clIPiSD_S15_SD_EEDaS11_S12_SI_SN_EUlS11_E_NS1_11comp_targetILNS1_3genE4ELNS1_11target_archE910ELNS1_3gpuE8ELNS1_3repE0EEENS1_47radix_sort_onesweep_sort_config_static_selectorELNS0_4arch9wavefront6targetE1EEEvSI_: ; @_ZN7rocprim17ROCPRIM_400000_NS6detail17trampoline_kernelINS0_14default_configENS1_35radix_sort_onesweep_config_selectorIiiEEZZNS1_29radix_sort_onesweep_iterationIS3_Lb1EN6thrust23THRUST_200600_302600_NS6detail15normal_iteratorINS8_10device_ptrIiEEEESD_SD_SD_jNS0_19identity_decomposerENS1_16block_id_wrapperIjLb1EEEEE10hipError_tT1_PNSt15iterator_traitsISI_E10value_typeET2_T3_PNSJ_ISO_E10value_typeET4_T5_PST_SU_PNS1_23onesweep_lookback_stateEbbT6_jjT7_P12ihipStream_tbENKUlT_T0_SI_SN_E_clIPiSD_S15_SD_EEDaS11_S12_SI_SN_EUlS11_E_NS1_11comp_targetILNS1_3genE4ELNS1_11target_archE910ELNS1_3gpuE8ELNS1_3repE0EEENS1_47radix_sort_onesweep_sort_config_static_selectorELNS0_4arch9wavefront6targetE1EEEvSI_
; %bb.0:
	.section	.rodata,"a",@progbits
	.p2align	6, 0x0
	.amdhsa_kernel _ZN7rocprim17ROCPRIM_400000_NS6detail17trampoline_kernelINS0_14default_configENS1_35radix_sort_onesweep_config_selectorIiiEEZZNS1_29radix_sort_onesweep_iterationIS3_Lb1EN6thrust23THRUST_200600_302600_NS6detail15normal_iteratorINS8_10device_ptrIiEEEESD_SD_SD_jNS0_19identity_decomposerENS1_16block_id_wrapperIjLb1EEEEE10hipError_tT1_PNSt15iterator_traitsISI_E10value_typeET2_T3_PNSJ_ISO_E10value_typeET4_T5_PST_SU_PNS1_23onesweep_lookback_stateEbbT6_jjT7_P12ihipStream_tbENKUlT_T0_SI_SN_E_clIPiSD_S15_SD_EEDaS11_S12_SI_SN_EUlS11_E_NS1_11comp_targetILNS1_3genE4ELNS1_11target_archE910ELNS1_3gpuE8ELNS1_3repE0EEENS1_47radix_sort_onesweep_sort_config_static_selectorELNS0_4arch9wavefront6targetE1EEEvSI_
		.amdhsa_group_segment_fixed_size 0
		.amdhsa_private_segment_fixed_size 0
		.amdhsa_kernarg_size 88
		.amdhsa_user_sgpr_count 2
		.amdhsa_user_sgpr_dispatch_ptr 0
		.amdhsa_user_sgpr_queue_ptr 0
		.amdhsa_user_sgpr_kernarg_segment_ptr 1
		.amdhsa_user_sgpr_dispatch_id 0
		.amdhsa_user_sgpr_kernarg_preload_length 0
		.amdhsa_user_sgpr_kernarg_preload_offset 0
		.amdhsa_user_sgpr_private_segment_size 0
		.amdhsa_uses_dynamic_stack 0
		.amdhsa_enable_private_segment 0
		.amdhsa_system_sgpr_workgroup_id_x 1
		.amdhsa_system_sgpr_workgroup_id_y 0
		.amdhsa_system_sgpr_workgroup_id_z 0
		.amdhsa_system_sgpr_workgroup_info 0
		.amdhsa_system_vgpr_workitem_id 0
		.amdhsa_next_free_vgpr 1
		.amdhsa_next_free_sgpr 0
		.amdhsa_accum_offset 4
		.amdhsa_reserve_vcc 0
		.amdhsa_float_round_mode_32 0
		.amdhsa_float_round_mode_16_64 0
		.amdhsa_float_denorm_mode_32 3
		.amdhsa_float_denorm_mode_16_64 3
		.amdhsa_dx10_clamp 1
		.amdhsa_ieee_mode 1
		.amdhsa_fp16_overflow 0
		.amdhsa_tg_split 0
		.amdhsa_exception_fp_ieee_invalid_op 0
		.amdhsa_exception_fp_denorm_src 0
		.amdhsa_exception_fp_ieee_div_zero 0
		.amdhsa_exception_fp_ieee_overflow 0
		.amdhsa_exception_fp_ieee_underflow 0
		.amdhsa_exception_fp_ieee_inexact 0
		.amdhsa_exception_int_div_zero 0
	.end_amdhsa_kernel
	.section	.text._ZN7rocprim17ROCPRIM_400000_NS6detail17trampoline_kernelINS0_14default_configENS1_35radix_sort_onesweep_config_selectorIiiEEZZNS1_29radix_sort_onesweep_iterationIS3_Lb1EN6thrust23THRUST_200600_302600_NS6detail15normal_iteratorINS8_10device_ptrIiEEEESD_SD_SD_jNS0_19identity_decomposerENS1_16block_id_wrapperIjLb1EEEEE10hipError_tT1_PNSt15iterator_traitsISI_E10value_typeET2_T3_PNSJ_ISO_E10value_typeET4_T5_PST_SU_PNS1_23onesweep_lookback_stateEbbT6_jjT7_P12ihipStream_tbENKUlT_T0_SI_SN_E_clIPiSD_S15_SD_EEDaS11_S12_SI_SN_EUlS11_E_NS1_11comp_targetILNS1_3genE4ELNS1_11target_archE910ELNS1_3gpuE8ELNS1_3repE0EEENS1_47radix_sort_onesweep_sort_config_static_selectorELNS0_4arch9wavefront6targetE1EEEvSI_,"axG",@progbits,_ZN7rocprim17ROCPRIM_400000_NS6detail17trampoline_kernelINS0_14default_configENS1_35radix_sort_onesweep_config_selectorIiiEEZZNS1_29radix_sort_onesweep_iterationIS3_Lb1EN6thrust23THRUST_200600_302600_NS6detail15normal_iteratorINS8_10device_ptrIiEEEESD_SD_SD_jNS0_19identity_decomposerENS1_16block_id_wrapperIjLb1EEEEE10hipError_tT1_PNSt15iterator_traitsISI_E10value_typeET2_T3_PNSJ_ISO_E10value_typeET4_T5_PST_SU_PNS1_23onesweep_lookback_stateEbbT6_jjT7_P12ihipStream_tbENKUlT_T0_SI_SN_E_clIPiSD_S15_SD_EEDaS11_S12_SI_SN_EUlS11_E_NS1_11comp_targetILNS1_3genE4ELNS1_11target_archE910ELNS1_3gpuE8ELNS1_3repE0EEENS1_47radix_sort_onesweep_sort_config_static_selectorELNS0_4arch9wavefront6targetE1EEEvSI_,comdat
.Lfunc_end1859:
	.size	_ZN7rocprim17ROCPRIM_400000_NS6detail17trampoline_kernelINS0_14default_configENS1_35radix_sort_onesweep_config_selectorIiiEEZZNS1_29radix_sort_onesweep_iterationIS3_Lb1EN6thrust23THRUST_200600_302600_NS6detail15normal_iteratorINS8_10device_ptrIiEEEESD_SD_SD_jNS0_19identity_decomposerENS1_16block_id_wrapperIjLb1EEEEE10hipError_tT1_PNSt15iterator_traitsISI_E10value_typeET2_T3_PNSJ_ISO_E10value_typeET4_T5_PST_SU_PNS1_23onesweep_lookback_stateEbbT6_jjT7_P12ihipStream_tbENKUlT_T0_SI_SN_E_clIPiSD_S15_SD_EEDaS11_S12_SI_SN_EUlS11_E_NS1_11comp_targetILNS1_3genE4ELNS1_11target_archE910ELNS1_3gpuE8ELNS1_3repE0EEENS1_47radix_sort_onesweep_sort_config_static_selectorELNS0_4arch9wavefront6targetE1EEEvSI_, .Lfunc_end1859-_ZN7rocprim17ROCPRIM_400000_NS6detail17trampoline_kernelINS0_14default_configENS1_35radix_sort_onesweep_config_selectorIiiEEZZNS1_29radix_sort_onesweep_iterationIS3_Lb1EN6thrust23THRUST_200600_302600_NS6detail15normal_iteratorINS8_10device_ptrIiEEEESD_SD_SD_jNS0_19identity_decomposerENS1_16block_id_wrapperIjLb1EEEEE10hipError_tT1_PNSt15iterator_traitsISI_E10value_typeET2_T3_PNSJ_ISO_E10value_typeET4_T5_PST_SU_PNS1_23onesweep_lookback_stateEbbT6_jjT7_P12ihipStream_tbENKUlT_T0_SI_SN_E_clIPiSD_S15_SD_EEDaS11_S12_SI_SN_EUlS11_E_NS1_11comp_targetILNS1_3genE4ELNS1_11target_archE910ELNS1_3gpuE8ELNS1_3repE0EEENS1_47radix_sort_onesweep_sort_config_static_selectorELNS0_4arch9wavefront6targetE1EEEvSI_
                                        ; -- End function
	.set _ZN7rocprim17ROCPRIM_400000_NS6detail17trampoline_kernelINS0_14default_configENS1_35radix_sort_onesweep_config_selectorIiiEEZZNS1_29radix_sort_onesweep_iterationIS3_Lb1EN6thrust23THRUST_200600_302600_NS6detail15normal_iteratorINS8_10device_ptrIiEEEESD_SD_SD_jNS0_19identity_decomposerENS1_16block_id_wrapperIjLb1EEEEE10hipError_tT1_PNSt15iterator_traitsISI_E10value_typeET2_T3_PNSJ_ISO_E10value_typeET4_T5_PST_SU_PNS1_23onesweep_lookback_stateEbbT6_jjT7_P12ihipStream_tbENKUlT_T0_SI_SN_E_clIPiSD_S15_SD_EEDaS11_S12_SI_SN_EUlS11_E_NS1_11comp_targetILNS1_3genE4ELNS1_11target_archE910ELNS1_3gpuE8ELNS1_3repE0EEENS1_47radix_sort_onesweep_sort_config_static_selectorELNS0_4arch9wavefront6targetE1EEEvSI_.num_vgpr, 0
	.set _ZN7rocprim17ROCPRIM_400000_NS6detail17trampoline_kernelINS0_14default_configENS1_35radix_sort_onesweep_config_selectorIiiEEZZNS1_29radix_sort_onesweep_iterationIS3_Lb1EN6thrust23THRUST_200600_302600_NS6detail15normal_iteratorINS8_10device_ptrIiEEEESD_SD_SD_jNS0_19identity_decomposerENS1_16block_id_wrapperIjLb1EEEEE10hipError_tT1_PNSt15iterator_traitsISI_E10value_typeET2_T3_PNSJ_ISO_E10value_typeET4_T5_PST_SU_PNS1_23onesweep_lookback_stateEbbT6_jjT7_P12ihipStream_tbENKUlT_T0_SI_SN_E_clIPiSD_S15_SD_EEDaS11_S12_SI_SN_EUlS11_E_NS1_11comp_targetILNS1_3genE4ELNS1_11target_archE910ELNS1_3gpuE8ELNS1_3repE0EEENS1_47radix_sort_onesweep_sort_config_static_selectorELNS0_4arch9wavefront6targetE1EEEvSI_.num_agpr, 0
	.set _ZN7rocprim17ROCPRIM_400000_NS6detail17trampoline_kernelINS0_14default_configENS1_35radix_sort_onesweep_config_selectorIiiEEZZNS1_29radix_sort_onesweep_iterationIS3_Lb1EN6thrust23THRUST_200600_302600_NS6detail15normal_iteratorINS8_10device_ptrIiEEEESD_SD_SD_jNS0_19identity_decomposerENS1_16block_id_wrapperIjLb1EEEEE10hipError_tT1_PNSt15iterator_traitsISI_E10value_typeET2_T3_PNSJ_ISO_E10value_typeET4_T5_PST_SU_PNS1_23onesweep_lookback_stateEbbT6_jjT7_P12ihipStream_tbENKUlT_T0_SI_SN_E_clIPiSD_S15_SD_EEDaS11_S12_SI_SN_EUlS11_E_NS1_11comp_targetILNS1_3genE4ELNS1_11target_archE910ELNS1_3gpuE8ELNS1_3repE0EEENS1_47radix_sort_onesweep_sort_config_static_selectorELNS0_4arch9wavefront6targetE1EEEvSI_.numbered_sgpr, 0
	.set _ZN7rocprim17ROCPRIM_400000_NS6detail17trampoline_kernelINS0_14default_configENS1_35radix_sort_onesweep_config_selectorIiiEEZZNS1_29radix_sort_onesweep_iterationIS3_Lb1EN6thrust23THRUST_200600_302600_NS6detail15normal_iteratorINS8_10device_ptrIiEEEESD_SD_SD_jNS0_19identity_decomposerENS1_16block_id_wrapperIjLb1EEEEE10hipError_tT1_PNSt15iterator_traitsISI_E10value_typeET2_T3_PNSJ_ISO_E10value_typeET4_T5_PST_SU_PNS1_23onesweep_lookback_stateEbbT6_jjT7_P12ihipStream_tbENKUlT_T0_SI_SN_E_clIPiSD_S15_SD_EEDaS11_S12_SI_SN_EUlS11_E_NS1_11comp_targetILNS1_3genE4ELNS1_11target_archE910ELNS1_3gpuE8ELNS1_3repE0EEENS1_47radix_sort_onesweep_sort_config_static_selectorELNS0_4arch9wavefront6targetE1EEEvSI_.num_named_barrier, 0
	.set _ZN7rocprim17ROCPRIM_400000_NS6detail17trampoline_kernelINS0_14default_configENS1_35radix_sort_onesweep_config_selectorIiiEEZZNS1_29radix_sort_onesweep_iterationIS3_Lb1EN6thrust23THRUST_200600_302600_NS6detail15normal_iteratorINS8_10device_ptrIiEEEESD_SD_SD_jNS0_19identity_decomposerENS1_16block_id_wrapperIjLb1EEEEE10hipError_tT1_PNSt15iterator_traitsISI_E10value_typeET2_T3_PNSJ_ISO_E10value_typeET4_T5_PST_SU_PNS1_23onesweep_lookback_stateEbbT6_jjT7_P12ihipStream_tbENKUlT_T0_SI_SN_E_clIPiSD_S15_SD_EEDaS11_S12_SI_SN_EUlS11_E_NS1_11comp_targetILNS1_3genE4ELNS1_11target_archE910ELNS1_3gpuE8ELNS1_3repE0EEENS1_47radix_sort_onesweep_sort_config_static_selectorELNS0_4arch9wavefront6targetE1EEEvSI_.private_seg_size, 0
	.set _ZN7rocprim17ROCPRIM_400000_NS6detail17trampoline_kernelINS0_14default_configENS1_35radix_sort_onesweep_config_selectorIiiEEZZNS1_29radix_sort_onesweep_iterationIS3_Lb1EN6thrust23THRUST_200600_302600_NS6detail15normal_iteratorINS8_10device_ptrIiEEEESD_SD_SD_jNS0_19identity_decomposerENS1_16block_id_wrapperIjLb1EEEEE10hipError_tT1_PNSt15iterator_traitsISI_E10value_typeET2_T3_PNSJ_ISO_E10value_typeET4_T5_PST_SU_PNS1_23onesweep_lookback_stateEbbT6_jjT7_P12ihipStream_tbENKUlT_T0_SI_SN_E_clIPiSD_S15_SD_EEDaS11_S12_SI_SN_EUlS11_E_NS1_11comp_targetILNS1_3genE4ELNS1_11target_archE910ELNS1_3gpuE8ELNS1_3repE0EEENS1_47radix_sort_onesweep_sort_config_static_selectorELNS0_4arch9wavefront6targetE1EEEvSI_.uses_vcc, 0
	.set _ZN7rocprim17ROCPRIM_400000_NS6detail17trampoline_kernelINS0_14default_configENS1_35radix_sort_onesweep_config_selectorIiiEEZZNS1_29radix_sort_onesweep_iterationIS3_Lb1EN6thrust23THRUST_200600_302600_NS6detail15normal_iteratorINS8_10device_ptrIiEEEESD_SD_SD_jNS0_19identity_decomposerENS1_16block_id_wrapperIjLb1EEEEE10hipError_tT1_PNSt15iterator_traitsISI_E10value_typeET2_T3_PNSJ_ISO_E10value_typeET4_T5_PST_SU_PNS1_23onesweep_lookback_stateEbbT6_jjT7_P12ihipStream_tbENKUlT_T0_SI_SN_E_clIPiSD_S15_SD_EEDaS11_S12_SI_SN_EUlS11_E_NS1_11comp_targetILNS1_3genE4ELNS1_11target_archE910ELNS1_3gpuE8ELNS1_3repE0EEENS1_47radix_sort_onesweep_sort_config_static_selectorELNS0_4arch9wavefront6targetE1EEEvSI_.uses_flat_scratch, 0
	.set _ZN7rocprim17ROCPRIM_400000_NS6detail17trampoline_kernelINS0_14default_configENS1_35radix_sort_onesweep_config_selectorIiiEEZZNS1_29radix_sort_onesweep_iterationIS3_Lb1EN6thrust23THRUST_200600_302600_NS6detail15normal_iteratorINS8_10device_ptrIiEEEESD_SD_SD_jNS0_19identity_decomposerENS1_16block_id_wrapperIjLb1EEEEE10hipError_tT1_PNSt15iterator_traitsISI_E10value_typeET2_T3_PNSJ_ISO_E10value_typeET4_T5_PST_SU_PNS1_23onesweep_lookback_stateEbbT6_jjT7_P12ihipStream_tbENKUlT_T0_SI_SN_E_clIPiSD_S15_SD_EEDaS11_S12_SI_SN_EUlS11_E_NS1_11comp_targetILNS1_3genE4ELNS1_11target_archE910ELNS1_3gpuE8ELNS1_3repE0EEENS1_47radix_sort_onesweep_sort_config_static_selectorELNS0_4arch9wavefront6targetE1EEEvSI_.has_dyn_sized_stack, 0
	.set _ZN7rocprim17ROCPRIM_400000_NS6detail17trampoline_kernelINS0_14default_configENS1_35radix_sort_onesweep_config_selectorIiiEEZZNS1_29radix_sort_onesweep_iterationIS3_Lb1EN6thrust23THRUST_200600_302600_NS6detail15normal_iteratorINS8_10device_ptrIiEEEESD_SD_SD_jNS0_19identity_decomposerENS1_16block_id_wrapperIjLb1EEEEE10hipError_tT1_PNSt15iterator_traitsISI_E10value_typeET2_T3_PNSJ_ISO_E10value_typeET4_T5_PST_SU_PNS1_23onesweep_lookback_stateEbbT6_jjT7_P12ihipStream_tbENKUlT_T0_SI_SN_E_clIPiSD_S15_SD_EEDaS11_S12_SI_SN_EUlS11_E_NS1_11comp_targetILNS1_3genE4ELNS1_11target_archE910ELNS1_3gpuE8ELNS1_3repE0EEENS1_47radix_sort_onesweep_sort_config_static_selectorELNS0_4arch9wavefront6targetE1EEEvSI_.has_recursion, 0
	.set _ZN7rocprim17ROCPRIM_400000_NS6detail17trampoline_kernelINS0_14default_configENS1_35radix_sort_onesweep_config_selectorIiiEEZZNS1_29radix_sort_onesweep_iterationIS3_Lb1EN6thrust23THRUST_200600_302600_NS6detail15normal_iteratorINS8_10device_ptrIiEEEESD_SD_SD_jNS0_19identity_decomposerENS1_16block_id_wrapperIjLb1EEEEE10hipError_tT1_PNSt15iterator_traitsISI_E10value_typeET2_T3_PNSJ_ISO_E10value_typeET4_T5_PST_SU_PNS1_23onesweep_lookback_stateEbbT6_jjT7_P12ihipStream_tbENKUlT_T0_SI_SN_E_clIPiSD_S15_SD_EEDaS11_S12_SI_SN_EUlS11_E_NS1_11comp_targetILNS1_3genE4ELNS1_11target_archE910ELNS1_3gpuE8ELNS1_3repE0EEENS1_47radix_sort_onesweep_sort_config_static_selectorELNS0_4arch9wavefront6targetE1EEEvSI_.has_indirect_call, 0
	.section	.AMDGPU.csdata,"",@progbits
; Kernel info:
; codeLenInByte = 0
; TotalNumSgprs: 6
; NumVgprs: 0
; NumAgprs: 0
; TotalNumVgprs: 0
; ScratchSize: 0
; MemoryBound: 0
; FloatMode: 240
; IeeeMode: 1
; LDSByteSize: 0 bytes/workgroup (compile time only)
; SGPRBlocks: 0
; VGPRBlocks: 0
; NumSGPRsForWavesPerEU: 6
; NumVGPRsForWavesPerEU: 1
; AccumOffset: 4
; Occupancy: 8
; WaveLimiterHint : 0
; COMPUTE_PGM_RSRC2:SCRATCH_EN: 0
; COMPUTE_PGM_RSRC2:USER_SGPR: 2
; COMPUTE_PGM_RSRC2:TRAP_HANDLER: 0
; COMPUTE_PGM_RSRC2:TGID_X_EN: 1
; COMPUTE_PGM_RSRC2:TGID_Y_EN: 0
; COMPUTE_PGM_RSRC2:TGID_Z_EN: 0
; COMPUTE_PGM_RSRC2:TIDIG_COMP_CNT: 0
; COMPUTE_PGM_RSRC3_GFX90A:ACCUM_OFFSET: 0
; COMPUTE_PGM_RSRC3_GFX90A:TG_SPLIT: 0
	.section	.text._ZN7rocprim17ROCPRIM_400000_NS6detail17trampoline_kernelINS0_14default_configENS1_35radix_sort_onesweep_config_selectorIiiEEZZNS1_29radix_sort_onesweep_iterationIS3_Lb1EN6thrust23THRUST_200600_302600_NS6detail15normal_iteratorINS8_10device_ptrIiEEEESD_SD_SD_jNS0_19identity_decomposerENS1_16block_id_wrapperIjLb1EEEEE10hipError_tT1_PNSt15iterator_traitsISI_E10value_typeET2_T3_PNSJ_ISO_E10value_typeET4_T5_PST_SU_PNS1_23onesweep_lookback_stateEbbT6_jjT7_P12ihipStream_tbENKUlT_T0_SI_SN_E_clIPiSD_S15_SD_EEDaS11_S12_SI_SN_EUlS11_E_NS1_11comp_targetILNS1_3genE3ELNS1_11target_archE908ELNS1_3gpuE7ELNS1_3repE0EEENS1_47radix_sort_onesweep_sort_config_static_selectorELNS0_4arch9wavefront6targetE1EEEvSI_,"axG",@progbits,_ZN7rocprim17ROCPRIM_400000_NS6detail17trampoline_kernelINS0_14default_configENS1_35radix_sort_onesweep_config_selectorIiiEEZZNS1_29radix_sort_onesweep_iterationIS3_Lb1EN6thrust23THRUST_200600_302600_NS6detail15normal_iteratorINS8_10device_ptrIiEEEESD_SD_SD_jNS0_19identity_decomposerENS1_16block_id_wrapperIjLb1EEEEE10hipError_tT1_PNSt15iterator_traitsISI_E10value_typeET2_T3_PNSJ_ISO_E10value_typeET4_T5_PST_SU_PNS1_23onesweep_lookback_stateEbbT6_jjT7_P12ihipStream_tbENKUlT_T0_SI_SN_E_clIPiSD_S15_SD_EEDaS11_S12_SI_SN_EUlS11_E_NS1_11comp_targetILNS1_3genE3ELNS1_11target_archE908ELNS1_3gpuE7ELNS1_3repE0EEENS1_47radix_sort_onesweep_sort_config_static_selectorELNS0_4arch9wavefront6targetE1EEEvSI_,comdat
	.protected	_ZN7rocprim17ROCPRIM_400000_NS6detail17trampoline_kernelINS0_14default_configENS1_35radix_sort_onesweep_config_selectorIiiEEZZNS1_29radix_sort_onesweep_iterationIS3_Lb1EN6thrust23THRUST_200600_302600_NS6detail15normal_iteratorINS8_10device_ptrIiEEEESD_SD_SD_jNS0_19identity_decomposerENS1_16block_id_wrapperIjLb1EEEEE10hipError_tT1_PNSt15iterator_traitsISI_E10value_typeET2_T3_PNSJ_ISO_E10value_typeET4_T5_PST_SU_PNS1_23onesweep_lookback_stateEbbT6_jjT7_P12ihipStream_tbENKUlT_T0_SI_SN_E_clIPiSD_S15_SD_EEDaS11_S12_SI_SN_EUlS11_E_NS1_11comp_targetILNS1_3genE3ELNS1_11target_archE908ELNS1_3gpuE7ELNS1_3repE0EEENS1_47radix_sort_onesweep_sort_config_static_selectorELNS0_4arch9wavefront6targetE1EEEvSI_ ; -- Begin function _ZN7rocprim17ROCPRIM_400000_NS6detail17trampoline_kernelINS0_14default_configENS1_35radix_sort_onesweep_config_selectorIiiEEZZNS1_29radix_sort_onesweep_iterationIS3_Lb1EN6thrust23THRUST_200600_302600_NS6detail15normal_iteratorINS8_10device_ptrIiEEEESD_SD_SD_jNS0_19identity_decomposerENS1_16block_id_wrapperIjLb1EEEEE10hipError_tT1_PNSt15iterator_traitsISI_E10value_typeET2_T3_PNSJ_ISO_E10value_typeET4_T5_PST_SU_PNS1_23onesweep_lookback_stateEbbT6_jjT7_P12ihipStream_tbENKUlT_T0_SI_SN_E_clIPiSD_S15_SD_EEDaS11_S12_SI_SN_EUlS11_E_NS1_11comp_targetILNS1_3genE3ELNS1_11target_archE908ELNS1_3gpuE7ELNS1_3repE0EEENS1_47radix_sort_onesweep_sort_config_static_selectorELNS0_4arch9wavefront6targetE1EEEvSI_
	.globl	_ZN7rocprim17ROCPRIM_400000_NS6detail17trampoline_kernelINS0_14default_configENS1_35radix_sort_onesweep_config_selectorIiiEEZZNS1_29radix_sort_onesweep_iterationIS3_Lb1EN6thrust23THRUST_200600_302600_NS6detail15normal_iteratorINS8_10device_ptrIiEEEESD_SD_SD_jNS0_19identity_decomposerENS1_16block_id_wrapperIjLb1EEEEE10hipError_tT1_PNSt15iterator_traitsISI_E10value_typeET2_T3_PNSJ_ISO_E10value_typeET4_T5_PST_SU_PNS1_23onesweep_lookback_stateEbbT6_jjT7_P12ihipStream_tbENKUlT_T0_SI_SN_E_clIPiSD_S15_SD_EEDaS11_S12_SI_SN_EUlS11_E_NS1_11comp_targetILNS1_3genE3ELNS1_11target_archE908ELNS1_3gpuE7ELNS1_3repE0EEENS1_47radix_sort_onesweep_sort_config_static_selectorELNS0_4arch9wavefront6targetE1EEEvSI_
	.p2align	8
	.type	_ZN7rocprim17ROCPRIM_400000_NS6detail17trampoline_kernelINS0_14default_configENS1_35radix_sort_onesweep_config_selectorIiiEEZZNS1_29radix_sort_onesweep_iterationIS3_Lb1EN6thrust23THRUST_200600_302600_NS6detail15normal_iteratorINS8_10device_ptrIiEEEESD_SD_SD_jNS0_19identity_decomposerENS1_16block_id_wrapperIjLb1EEEEE10hipError_tT1_PNSt15iterator_traitsISI_E10value_typeET2_T3_PNSJ_ISO_E10value_typeET4_T5_PST_SU_PNS1_23onesweep_lookback_stateEbbT6_jjT7_P12ihipStream_tbENKUlT_T0_SI_SN_E_clIPiSD_S15_SD_EEDaS11_S12_SI_SN_EUlS11_E_NS1_11comp_targetILNS1_3genE3ELNS1_11target_archE908ELNS1_3gpuE7ELNS1_3repE0EEENS1_47radix_sort_onesweep_sort_config_static_selectorELNS0_4arch9wavefront6targetE1EEEvSI_,@function
_ZN7rocprim17ROCPRIM_400000_NS6detail17trampoline_kernelINS0_14default_configENS1_35radix_sort_onesweep_config_selectorIiiEEZZNS1_29radix_sort_onesweep_iterationIS3_Lb1EN6thrust23THRUST_200600_302600_NS6detail15normal_iteratorINS8_10device_ptrIiEEEESD_SD_SD_jNS0_19identity_decomposerENS1_16block_id_wrapperIjLb1EEEEE10hipError_tT1_PNSt15iterator_traitsISI_E10value_typeET2_T3_PNSJ_ISO_E10value_typeET4_T5_PST_SU_PNS1_23onesweep_lookback_stateEbbT6_jjT7_P12ihipStream_tbENKUlT_T0_SI_SN_E_clIPiSD_S15_SD_EEDaS11_S12_SI_SN_EUlS11_E_NS1_11comp_targetILNS1_3genE3ELNS1_11target_archE908ELNS1_3gpuE7ELNS1_3repE0EEENS1_47radix_sort_onesweep_sort_config_static_selectorELNS0_4arch9wavefront6targetE1EEEvSI_: ; @_ZN7rocprim17ROCPRIM_400000_NS6detail17trampoline_kernelINS0_14default_configENS1_35radix_sort_onesweep_config_selectorIiiEEZZNS1_29radix_sort_onesweep_iterationIS3_Lb1EN6thrust23THRUST_200600_302600_NS6detail15normal_iteratorINS8_10device_ptrIiEEEESD_SD_SD_jNS0_19identity_decomposerENS1_16block_id_wrapperIjLb1EEEEE10hipError_tT1_PNSt15iterator_traitsISI_E10value_typeET2_T3_PNSJ_ISO_E10value_typeET4_T5_PST_SU_PNS1_23onesweep_lookback_stateEbbT6_jjT7_P12ihipStream_tbENKUlT_T0_SI_SN_E_clIPiSD_S15_SD_EEDaS11_S12_SI_SN_EUlS11_E_NS1_11comp_targetILNS1_3genE3ELNS1_11target_archE908ELNS1_3gpuE7ELNS1_3repE0EEENS1_47radix_sort_onesweep_sort_config_static_selectorELNS0_4arch9wavefront6targetE1EEEvSI_
; %bb.0:
	.section	.rodata,"a",@progbits
	.p2align	6, 0x0
	.amdhsa_kernel _ZN7rocprim17ROCPRIM_400000_NS6detail17trampoline_kernelINS0_14default_configENS1_35radix_sort_onesweep_config_selectorIiiEEZZNS1_29radix_sort_onesweep_iterationIS3_Lb1EN6thrust23THRUST_200600_302600_NS6detail15normal_iteratorINS8_10device_ptrIiEEEESD_SD_SD_jNS0_19identity_decomposerENS1_16block_id_wrapperIjLb1EEEEE10hipError_tT1_PNSt15iterator_traitsISI_E10value_typeET2_T3_PNSJ_ISO_E10value_typeET4_T5_PST_SU_PNS1_23onesweep_lookback_stateEbbT6_jjT7_P12ihipStream_tbENKUlT_T0_SI_SN_E_clIPiSD_S15_SD_EEDaS11_S12_SI_SN_EUlS11_E_NS1_11comp_targetILNS1_3genE3ELNS1_11target_archE908ELNS1_3gpuE7ELNS1_3repE0EEENS1_47radix_sort_onesweep_sort_config_static_selectorELNS0_4arch9wavefront6targetE1EEEvSI_
		.amdhsa_group_segment_fixed_size 0
		.amdhsa_private_segment_fixed_size 0
		.amdhsa_kernarg_size 88
		.amdhsa_user_sgpr_count 2
		.amdhsa_user_sgpr_dispatch_ptr 0
		.amdhsa_user_sgpr_queue_ptr 0
		.amdhsa_user_sgpr_kernarg_segment_ptr 1
		.amdhsa_user_sgpr_dispatch_id 0
		.amdhsa_user_sgpr_kernarg_preload_length 0
		.amdhsa_user_sgpr_kernarg_preload_offset 0
		.amdhsa_user_sgpr_private_segment_size 0
		.amdhsa_uses_dynamic_stack 0
		.amdhsa_enable_private_segment 0
		.amdhsa_system_sgpr_workgroup_id_x 1
		.amdhsa_system_sgpr_workgroup_id_y 0
		.amdhsa_system_sgpr_workgroup_id_z 0
		.amdhsa_system_sgpr_workgroup_info 0
		.amdhsa_system_vgpr_workitem_id 0
		.amdhsa_next_free_vgpr 1
		.amdhsa_next_free_sgpr 0
		.amdhsa_accum_offset 4
		.amdhsa_reserve_vcc 0
		.amdhsa_float_round_mode_32 0
		.amdhsa_float_round_mode_16_64 0
		.amdhsa_float_denorm_mode_32 3
		.amdhsa_float_denorm_mode_16_64 3
		.amdhsa_dx10_clamp 1
		.amdhsa_ieee_mode 1
		.amdhsa_fp16_overflow 0
		.amdhsa_tg_split 0
		.amdhsa_exception_fp_ieee_invalid_op 0
		.amdhsa_exception_fp_denorm_src 0
		.amdhsa_exception_fp_ieee_div_zero 0
		.amdhsa_exception_fp_ieee_overflow 0
		.amdhsa_exception_fp_ieee_underflow 0
		.amdhsa_exception_fp_ieee_inexact 0
		.amdhsa_exception_int_div_zero 0
	.end_amdhsa_kernel
	.section	.text._ZN7rocprim17ROCPRIM_400000_NS6detail17trampoline_kernelINS0_14default_configENS1_35radix_sort_onesweep_config_selectorIiiEEZZNS1_29radix_sort_onesweep_iterationIS3_Lb1EN6thrust23THRUST_200600_302600_NS6detail15normal_iteratorINS8_10device_ptrIiEEEESD_SD_SD_jNS0_19identity_decomposerENS1_16block_id_wrapperIjLb1EEEEE10hipError_tT1_PNSt15iterator_traitsISI_E10value_typeET2_T3_PNSJ_ISO_E10value_typeET4_T5_PST_SU_PNS1_23onesweep_lookback_stateEbbT6_jjT7_P12ihipStream_tbENKUlT_T0_SI_SN_E_clIPiSD_S15_SD_EEDaS11_S12_SI_SN_EUlS11_E_NS1_11comp_targetILNS1_3genE3ELNS1_11target_archE908ELNS1_3gpuE7ELNS1_3repE0EEENS1_47radix_sort_onesweep_sort_config_static_selectorELNS0_4arch9wavefront6targetE1EEEvSI_,"axG",@progbits,_ZN7rocprim17ROCPRIM_400000_NS6detail17trampoline_kernelINS0_14default_configENS1_35radix_sort_onesweep_config_selectorIiiEEZZNS1_29radix_sort_onesweep_iterationIS3_Lb1EN6thrust23THRUST_200600_302600_NS6detail15normal_iteratorINS8_10device_ptrIiEEEESD_SD_SD_jNS0_19identity_decomposerENS1_16block_id_wrapperIjLb1EEEEE10hipError_tT1_PNSt15iterator_traitsISI_E10value_typeET2_T3_PNSJ_ISO_E10value_typeET4_T5_PST_SU_PNS1_23onesweep_lookback_stateEbbT6_jjT7_P12ihipStream_tbENKUlT_T0_SI_SN_E_clIPiSD_S15_SD_EEDaS11_S12_SI_SN_EUlS11_E_NS1_11comp_targetILNS1_3genE3ELNS1_11target_archE908ELNS1_3gpuE7ELNS1_3repE0EEENS1_47radix_sort_onesweep_sort_config_static_selectorELNS0_4arch9wavefront6targetE1EEEvSI_,comdat
.Lfunc_end1860:
	.size	_ZN7rocprim17ROCPRIM_400000_NS6detail17trampoline_kernelINS0_14default_configENS1_35radix_sort_onesweep_config_selectorIiiEEZZNS1_29radix_sort_onesweep_iterationIS3_Lb1EN6thrust23THRUST_200600_302600_NS6detail15normal_iteratorINS8_10device_ptrIiEEEESD_SD_SD_jNS0_19identity_decomposerENS1_16block_id_wrapperIjLb1EEEEE10hipError_tT1_PNSt15iterator_traitsISI_E10value_typeET2_T3_PNSJ_ISO_E10value_typeET4_T5_PST_SU_PNS1_23onesweep_lookback_stateEbbT6_jjT7_P12ihipStream_tbENKUlT_T0_SI_SN_E_clIPiSD_S15_SD_EEDaS11_S12_SI_SN_EUlS11_E_NS1_11comp_targetILNS1_3genE3ELNS1_11target_archE908ELNS1_3gpuE7ELNS1_3repE0EEENS1_47radix_sort_onesweep_sort_config_static_selectorELNS0_4arch9wavefront6targetE1EEEvSI_, .Lfunc_end1860-_ZN7rocprim17ROCPRIM_400000_NS6detail17trampoline_kernelINS0_14default_configENS1_35radix_sort_onesweep_config_selectorIiiEEZZNS1_29radix_sort_onesweep_iterationIS3_Lb1EN6thrust23THRUST_200600_302600_NS6detail15normal_iteratorINS8_10device_ptrIiEEEESD_SD_SD_jNS0_19identity_decomposerENS1_16block_id_wrapperIjLb1EEEEE10hipError_tT1_PNSt15iterator_traitsISI_E10value_typeET2_T3_PNSJ_ISO_E10value_typeET4_T5_PST_SU_PNS1_23onesweep_lookback_stateEbbT6_jjT7_P12ihipStream_tbENKUlT_T0_SI_SN_E_clIPiSD_S15_SD_EEDaS11_S12_SI_SN_EUlS11_E_NS1_11comp_targetILNS1_3genE3ELNS1_11target_archE908ELNS1_3gpuE7ELNS1_3repE0EEENS1_47radix_sort_onesweep_sort_config_static_selectorELNS0_4arch9wavefront6targetE1EEEvSI_
                                        ; -- End function
	.set _ZN7rocprim17ROCPRIM_400000_NS6detail17trampoline_kernelINS0_14default_configENS1_35radix_sort_onesweep_config_selectorIiiEEZZNS1_29radix_sort_onesweep_iterationIS3_Lb1EN6thrust23THRUST_200600_302600_NS6detail15normal_iteratorINS8_10device_ptrIiEEEESD_SD_SD_jNS0_19identity_decomposerENS1_16block_id_wrapperIjLb1EEEEE10hipError_tT1_PNSt15iterator_traitsISI_E10value_typeET2_T3_PNSJ_ISO_E10value_typeET4_T5_PST_SU_PNS1_23onesweep_lookback_stateEbbT6_jjT7_P12ihipStream_tbENKUlT_T0_SI_SN_E_clIPiSD_S15_SD_EEDaS11_S12_SI_SN_EUlS11_E_NS1_11comp_targetILNS1_3genE3ELNS1_11target_archE908ELNS1_3gpuE7ELNS1_3repE0EEENS1_47radix_sort_onesweep_sort_config_static_selectorELNS0_4arch9wavefront6targetE1EEEvSI_.num_vgpr, 0
	.set _ZN7rocprim17ROCPRIM_400000_NS6detail17trampoline_kernelINS0_14default_configENS1_35radix_sort_onesweep_config_selectorIiiEEZZNS1_29radix_sort_onesweep_iterationIS3_Lb1EN6thrust23THRUST_200600_302600_NS6detail15normal_iteratorINS8_10device_ptrIiEEEESD_SD_SD_jNS0_19identity_decomposerENS1_16block_id_wrapperIjLb1EEEEE10hipError_tT1_PNSt15iterator_traitsISI_E10value_typeET2_T3_PNSJ_ISO_E10value_typeET4_T5_PST_SU_PNS1_23onesweep_lookback_stateEbbT6_jjT7_P12ihipStream_tbENKUlT_T0_SI_SN_E_clIPiSD_S15_SD_EEDaS11_S12_SI_SN_EUlS11_E_NS1_11comp_targetILNS1_3genE3ELNS1_11target_archE908ELNS1_3gpuE7ELNS1_3repE0EEENS1_47radix_sort_onesweep_sort_config_static_selectorELNS0_4arch9wavefront6targetE1EEEvSI_.num_agpr, 0
	.set _ZN7rocprim17ROCPRIM_400000_NS6detail17trampoline_kernelINS0_14default_configENS1_35radix_sort_onesweep_config_selectorIiiEEZZNS1_29radix_sort_onesweep_iterationIS3_Lb1EN6thrust23THRUST_200600_302600_NS6detail15normal_iteratorINS8_10device_ptrIiEEEESD_SD_SD_jNS0_19identity_decomposerENS1_16block_id_wrapperIjLb1EEEEE10hipError_tT1_PNSt15iterator_traitsISI_E10value_typeET2_T3_PNSJ_ISO_E10value_typeET4_T5_PST_SU_PNS1_23onesweep_lookback_stateEbbT6_jjT7_P12ihipStream_tbENKUlT_T0_SI_SN_E_clIPiSD_S15_SD_EEDaS11_S12_SI_SN_EUlS11_E_NS1_11comp_targetILNS1_3genE3ELNS1_11target_archE908ELNS1_3gpuE7ELNS1_3repE0EEENS1_47radix_sort_onesweep_sort_config_static_selectorELNS0_4arch9wavefront6targetE1EEEvSI_.numbered_sgpr, 0
	.set _ZN7rocprim17ROCPRIM_400000_NS6detail17trampoline_kernelINS0_14default_configENS1_35radix_sort_onesweep_config_selectorIiiEEZZNS1_29radix_sort_onesweep_iterationIS3_Lb1EN6thrust23THRUST_200600_302600_NS6detail15normal_iteratorINS8_10device_ptrIiEEEESD_SD_SD_jNS0_19identity_decomposerENS1_16block_id_wrapperIjLb1EEEEE10hipError_tT1_PNSt15iterator_traitsISI_E10value_typeET2_T3_PNSJ_ISO_E10value_typeET4_T5_PST_SU_PNS1_23onesweep_lookback_stateEbbT6_jjT7_P12ihipStream_tbENKUlT_T0_SI_SN_E_clIPiSD_S15_SD_EEDaS11_S12_SI_SN_EUlS11_E_NS1_11comp_targetILNS1_3genE3ELNS1_11target_archE908ELNS1_3gpuE7ELNS1_3repE0EEENS1_47radix_sort_onesweep_sort_config_static_selectorELNS0_4arch9wavefront6targetE1EEEvSI_.num_named_barrier, 0
	.set _ZN7rocprim17ROCPRIM_400000_NS6detail17trampoline_kernelINS0_14default_configENS1_35radix_sort_onesweep_config_selectorIiiEEZZNS1_29radix_sort_onesweep_iterationIS3_Lb1EN6thrust23THRUST_200600_302600_NS6detail15normal_iteratorINS8_10device_ptrIiEEEESD_SD_SD_jNS0_19identity_decomposerENS1_16block_id_wrapperIjLb1EEEEE10hipError_tT1_PNSt15iterator_traitsISI_E10value_typeET2_T3_PNSJ_ISO_E10value_typeET4_T5_PST_SU_PNS1_23onesweep_lookback_stateEbbT6_jjT7_P12ihipStream_tbENKUlT_T0_SI_SN_E_clIPiSD_S15_SD_EEDaS11_S12_SI_SN_EUlS11_E_NS1_11comp_targetILNS1_3genE3ELNS1_11target_archE908ELNS1_3gpuE7ELNS1_3repE0EEENS1_47radix_sort_onesweep_sort_config_static_selectorELNS0_4arch9wavefront6targetE1EEEvSI_.private_seg_size, 0
	.set _ZN7rocprim17ROCPRIM_400000_NS6detail17trampoline_kernelINS0_14default_configENS1_35radix_sort_onesweep_config_selectorIiiEEZZNS1_29radix_sort_onesweep_iterationIS3_Lb1EN6thrust23THRUST_200600_302600_NS6detail15normal_iteratorINS8_10device_ptrIiEEEESD_SD_SD_jNS0_19identity_decomposerENS1_16block_id_wrapperIjLb1EEEEE10hipError_tT1_PNSt15iterator_traitsISI_E10value_typeET2_T3_PNSJ_ISO_E10value_typeET4_T5_PST_SU_PNS1_23onesweep_lookback_stateEbbT6_jjT7_P12ihipStream_tbENKUlT_T0_SI_SN_E_clIPiSD_S15_SD_EEDaS11_S12_SI_SN_EUlS11_E_NS1_11comp_targetILNS1_3genE3ELNS1_11target_archE908ELNS1_3gpuE7ELNS1_3repE0EEENS1_47radix_sort_onesweep_sort_config_static_selectorELNS0_4arch9wavefront6targetE1EEEvSI_.uses_vcc, 0
	.set _ZN7rocprim17ROCPRIM_400000_NS6detail17trampoline_kernelINS0_14default_configENS1_35radix_sort_onesweep_config_selectorIiiEEZZNS1_29radix_sort_onesweep_iterationIS3_Lb1EN6thrust23THRUST_200600_302600_NS6detail15normal_iteratorINS8_10device_ptrIiEEEESD_SD_SD_jNS0_19identity_decomposerENS1_16block_id_wrapperIjLb1EEEEE10hipError_tT1_PNSt15iterator_traitsISI_E10value_typeET2_T3_PNSJ_ISO_E10value_typeET4_T5_PST_SU_PNS1_23onesweep_lookback_stateEbbT6_jjT7_P12ihipStream_tbENKUlT_T0_SI_SN_E_clIPiSD_S15_SD_EEDaS11_S12_SI_SN_EUlS11_E_NS1_11comp_targetILNS1_3genE3ELNS1_11target_archE908ELNS1_3gpuE7ELNS1_3repE0EEENS1_47radix_sort_onesweep_sort_config_static_selectorELNS0_4arch9wavefront6targetE1EEEvSI_.uses_flat_scratch, 0
	.set _ZN7rocprim17ROCPRIM_400000_NS6detail17trampoline_kernelINS0_14default_configENS1_35radix_sort_onesweep_config_selectorIiiEEZZNS1_29radix_sort_onesweep_iterationIS3_Lb1EN6thrust23THRUST_200600_302600_NS6detail15normal_iteratorINS8_10device_ptrIiEEEESD_SD_SD_jNS0_19identity_decomposerENS1_16block_id_wrapperIjLb1EEEEE10hipError_tT1_PNSt15iterator_traitsISI_E10value_typeET2_T3_PNSJ_ISO_E10value_typeET4_T5_PST_SU_PNS1_23onesweep_lookback_stateEbbT6_jjT7_P12ihipStream_tbENKUlT_T0_SI_SN_E_clIPiSD_S15_SD_EEDaS11_S12_SI_SN_EUlS11_E_NS1_11comp_targetILNS1_3genE3ELNS1_11target_archE908ELNS1_3gpuE7ELNS1_3repE0EEENS1_47radix_sort_onesweep_sort_config_static_selectorELNS0_4arch9wavefront6targetE1EEEvSI_.has_dyn_sized_stack, 0
	.set _ZN7rocprim17ROCPRIM_400000_NS6detail17trampoline_kernelINS0_14default_configENS1_35radix_sort_onesweep_config_selectorIiiEEZZNS1_29radix_sort_onesweep_iterationIS3_Lb1EN6thrust23THRUST_200600_302600_NS6detail15normal_iteratorINS8_10device_ptrIiEEEESD_SD_SD_jNS0_19identity_decomposerENS1_16block_id_wrapperIjLb1EEEEE10hipError_tT1_PNSt15iterator_traitsISI_E10value_typeET2_T3_PNSJ_ISO_E10value_typeET4_T5_PST_SU_PNS1_23onesweep_lookback_stateEbbT6_jjT7_P12ihipStream_tbENKUlT_T0_SI_SN_E_clIPiSD_S15_SD_EEDaS11_S12_SI_SN_EUlS11_E_NS1_11comp_targetILNS1_3genE3ELNS1_11target_archE908ELNS1_3gpuE7ELNS1_3repE0EEENS1_47radix_sort_onesweep_sort_config_static_selectorELNS0_4arch9wavefront6targetE1EEEvSI_.has_recursion, 0
	.set _ZN7rocprim17ROCPRIM_400000_NS6detail17trampoline_kernelINS0_14default_configENS1_35radix_sort_onesweep_config_selectorIiiEEZZNS1_29radix_sort_onesweep_iterationIS3_Lb1EN6thrust23THRUST_200600_302600_NS6detail15normal_iteratorINS8_10device_ptrIiEEEESD_SD_SD_jNS0_19identity_decomposerENS1_16block_id_wrapperIjLb1EEEEE10hipError_tT1_PNSt15iterator_traitsISI_E10value_typeET2_T3_PNSJ_ISO_E10value_typeET4_T5_PST_SU_PNS1_23onesweep_lookback_stateEbbT6_jjT7_P12ihipStream_tbENKUlT_T0_SI_SN_E_clIPiSD_S15_SD_EEDaS11_S12_SI_SN_EUlS11_E_NS1_11comp_targetILNS1_3genE3ELNS1_11target_archE908ELNS1_3gpuE7ELNS1_3repE0EEENS1_47radix_sort_onesweep_sort_config_static_selectorELNS0_4arch9wavefront6targetE1EEEvSI_.has_indirect_call, 0
	.section	.AMDGPU.csdata,"",@progbits
; Kernel info:
; codeLenInByte = 0
; TotalNumSgprs: 6
; NumVgprs: 0
; NumAgprs: 0
; TotalNumVgprs: 0
; ScratchSize: 0
; MemoryBound: 0
; FloatMode: 240
; IeeeMode: 1
; LDSByteSize: 0 bytes/workgroup (compile time only)
; SGPRBlocks: 0
; VGPRBlocks: 0
; NumSGPRsForWavesPerEU: 6
; NumVGPRsForWavesPerEU: 1
; AccumOffset: 4
; Occupancy: 8
; WaveLimiterHint : 0
; COMPUTE_PGM_RSRC2:SCRATCH_EN: 0
; COMPUTE_PGM_RSRC2:USER_SGPR: 2
; COMPUTE_PGM_RSRC2:TRAP_HANDLER: 0
; COMPUTE_PGM_RSRC2:TGID_X_EN: 1
; COMPUTE_PGM_RSRC2:TGID_Y_EN: 0
; COMPUTE_PGM_RSRC2:TGID_Z_EN: 0
; COMPUTE_PGM_RSRC2:TIDIG_COMP_CNT: 0
; COMPUTE_PGM_RSRC3_GFX90A:ACCUM_OFFSET: 0
; COMPUTE_PGM_RSRC3_GFX90A:TG_SPLIT: 0
	.section	.text._ZN7rocprim17ROCPRIM_400000_NS6detail17trampoline_kernelINS0_14default_configENS1_35radix_sort_onesweep_config_selectorIiiEEZZNS1_29radix_sort_onesweep_iterationIS3_Lb1EN6thrust23THRUST_200600_302600_NS6detail15normal_iteratorINS8_10device_ptrIiEEEESD_SD_SD_jNS0_19identity_decomposerENS1_16block_id_wrapperIjLb1EEEEE10hipError_tT1_PNSt15iterator_traitsISI_E10value_typeET2_T3_PNSJ_ISO_E10value_typeET4_T5_PST_SU_PNS1_23onesweep_lookback_stateEbbT6_jjT7_P12ihipStream_tbENKUlT_T0_SI_SN_E_clIPiSD_S15_SD_EEDaS11_S12_SI_SN_EUlS11_E_NS1_11comp_targetILNS1_3genE10ELNS1_11target_archE1201ELNS1_3gpuE5ELNS1_3repE0EEENS1_47radix_sort_onesweep_sort_config_static_selectorELNS0_4arch9wavefront6targetE1EEEvSI_,"axG",@progbits,_ZN7rocprim17ROCPRIM_400000_NS6detail17trampoline_kernelINS0_14default_configENS1_35radix_sort_onesweep_config_selectorIiiEEZZNS1_29radix_sort_onesweep_iterationIS3_Lb1EN6thrust23THRUST_200600_302600_NS6detail15normal_iteratorINS8_10device_ptrIiEEEESD_SD_SD_jNS0_19identity_decomposerENS1_16block_id_wrapperIjLb1EEEEE10hipError_tT1_PNSt15iterator_traitsISI_E10value_typeET2_T3_PNSJ_ISO_E10value_typeET4_T5_PST_SU_PNS1_23onesweep_lookback_stateEbbT6_jjT7_P12ihipStream_tbENKUlT_T0_SI_SN_E_clIPiSD_S15_SD_EEDaS11_S12_SI_SN_EUlS11_E_NS1_11comp_targetILNS1_3genE10ELNS1_11target_archE1201ELNS1_3gpuE5ELNS1_3repE0EEENS1_47radix_sort_onesweep_sort_config_static_selectorELNS0_4arch9wavefront6targetE1EEEvSI_,comdat
	.protected	_ZN7rocprim17ROCPRIM_400000_NS6detail17trampoline_kernelINS0_14default_configENS1_35radix_sort_onesweep_config_selectorIiiEEZZNS1_29radix_sort_onesweep_iterationIS3_Lb1EN6thrust23THRUST_200600_302600_NS6detail15normal_iteratorINS8_10device_ptrIiEEEESD_SD_SD_jNS0_19identity_decomposerENS1_16block_id_wrapperIjLb1EEEEE10hipError_tT1_PNSt15iterator_traitsISI_E10value_typeET2_T3_PNSJ_ISO_E10value_typeET4_T5_PST_SU_PNS1_23onesweep_lookback_stateEbbT6_jjT7_P12ihipStream_tbENKUlT_T0_SI_SN_E_clIPiSD_S15_SD_EEDaS11_S12_SI_SN_EUlS11_E_NS1_11comp_targetILNS1_3genE10ELNS1_11target_archE1201ELNS1_3gpuE5ELNS1_3repE0EEENS1_47radix_sort_onesweep_sort_config_static_selectorELNS0_4arch9wavefront6targetE1EEEvSI_ ; -- Begin function _ZN7rocprim17ROCPRIM_400000_NS6detail17trampoline_kernelINS0_14default_configENS1_35radix_sort_onesweep_config_selectorIiiEEZZNS1_29radix_sort_onesweep_iterationIS3_Lb1EN6thrust23THRUST_200600_302600_NS6detail15normal_iteratorINS8_10device_ptrIiEEEESD_SD_SD_jNS0_19identity_decomposerENS1_16block_id_wrapperIjLb1EEEEE10hipError_tT1_PNSt15iterator_traitsISI_E10value_typeET2_T3_PNSJ_ISO_E10value_typeET4_T5_PST_SU_PNS1_23onesweep_lookback_stateEbbT6_jjT7_P12ihipStream_tbENKUlT_T0_SI_SN_E_clIPiSD_S15_SD_EEDaS11_S12_SI_SN_EUlS11_E_NS1_11comp_targetILNS1_3genE10ELNS1_11target_archE1201ELNS1_3gpuE5ELNS1_3repE0EEENS1_47radix_sort_onesweep_sort_config_static_selectorELNS0_4arch9wavefront6targetE1EEEvSI_
	.globl	_ZN7rocprim17ROCPRIM_400000_NS6detail17trampoline_kernelINS0_14default_configENS1_35radix_sort_onesweep_config_selectorIiiEEZZNS1_29radix_sort_onesweep_iterationIS3_Lb1EN6thrust23THRUST_200600_302600_NS6detail15normal_iteratorINS8_10device_ptrIiEEEESD_SD_SD_jNS0_19identity_decomposerENS1_16block_id_wrapperIjLb1EEEEE10hipError_tT1_PNSt15iterator_traitsISI_E10value_typeET2_T3_PNSJ_ISO_E10value_typeET4_T5_PST_SU_PNS1_23onesweep_lookback_stateEbbT6_jjT7_P12ihipStream_tbENKUlT_T0_SI_SN_E_clIPiSD_S15_SD_EEDaS11_S12_SI_SN_EUlS11_E_NS1_11comp_targetILNS1_3genE10ELNS1_11target_archE1201ELNS1_3gpuE5ELNS1_3repE0EEENS1_47radix_sort_onesweep_sort_config_static_selectorELNS0_4arch9wavefront6targetE1EEEvSI_
	.p2align	8
	.type	_ZN7rocprim17ROCPRIM_400000_NS6detail17trampoline_kernelINS0_14default_configENS1_35radix_sort_onesweep_config_selectorIiiEEZZNS1_29radix_sort_onesweep_iterationIS3_Lb1EN6thrust23THRUST_200600_302600_NS6detail15normal_iteratorINS8_10device_ptrIiEEEESD_SD_SD_jNS0_19identity_decomposerENS1_16block_id_wrapperIjLb1EEEEE10hipError_tT1_PNSt15iterator_traitsISI_E10value_typeET2_T3_PNSJ_ISO_E10value_typeET4_T5_PST_SU_PNS1_23onesweep_lookback_stateEbbT6_jjT7_P12ihipStream_tbENKUlT_T0_SI_SN_E_clIPiSD_S15_SD_EEDaS11_S12_SI_SN_EUlS11_E_NS1_11comp_targetILNS1_3genE10ELNS1_11target_archE1201ELNS1_3gpuE5ELNS1_3repE0EEENS1_47radix_sort_onesweep_sort_config_static_selectorELNS0_4arch9wavefront6targetE1EEEvSI_,@function
_ZN7rocprim17ROCPRIM_400000_NS6detail17trampoline_kernelINS0_14default_configENS1_35radix_sort_onesweep_config_selectorIiiEEZZNS1_29radix_sort_onesweep_iterationIS3_Lb1EN6thrust23THRUST_200600_302600_NS6detail15normal_iteratorINS8_10device_ptrIiEEEESD_SD_SD_jNS0_19identity_decomposerENS1_16block_id_wrapperIjLb1EEEEE10hipError_tT1_PNSt15iterator_traitsISI_E10value_typeET2_T3_PNSJ_ISO_E10value_typeET4_T5_PST_SU_PNS1_23onesweep_lookback_stateEbbT6_jjT7_P12ihipStream_tbENKUlT_T0_SI_SN_E_clIPiSD_S15_SD_EEDaS11_S12_SI_SN_EUlS11_E_NS1_11comp_targetILNS1_3genE10ELNS1_11target_archE1201ELNS1_3gpuE5ELNS1_3repE0EEENS1_47radix_sort_onesweep_sort_config_static_selectorELNS0_4arch9wavefront6targetE1EEEvSI_: ; @_ZN7rocprim17ROCPRIM_400000_NS6detail17trampoline_kernelINS0_14default_configENS1_35radix_sort_onesweep_config_selectorIiiEEZZNS1_29radix_sort_onesweep_iterationIS3_Lb1EN6thrust23THRUST_200600_302600_NS6detail15normal_iteratorINS8_10device_ptrIiEEEESD_SD_SD_jNS0_19identity_decomposerENS1_16block_id_wrapperIjLb1EEEEE10hipError_tT1_PNSt15iterator_traitsISI_E10value_typeET2_T3_PNSJ_ISO_E10value_typeET4_T5_PST_SU_PNS1_23onesweep_lookback_stateEbbT6_jjT7_P12ihipStream_tbENKUlT_T0_SI_SN_E_clIPiSD_S15_SD_EEDaS11_S12_SI_SN_EUlS11_E_NS1_11comp_targetILNS1_3genE10ELNS1_11target_archE1201ELNS1_3gpuE5ELNS1_3repE0EEENS1_47radix_sort_onesweep_sort_config_static_selectorELNS0_4arch9wavefront6targetE1EEEvSI_
; %bb.0:
	.section	.rodata,"a",@progbits
	.p2align	6, 0x0
	.amdhsa_kernel _ZN7rocprim17ROCPRIM_400000_NS6detail17trampoline_kernelINS0_14default_configENS1_35radix_sort_onesweep_config_selectorIiiEEZZNS1_29radix_sort_onesweep_iterationIS3_Lb1EN6thrust23THRUST_200600_302600_NS6detail15normal_iteratorINS8_10device_ptrIiEEEESD_SD_SD_jNS0_19identity_decomposerENS1_16block_id_wrapperIjLb1EEEEE10hipError_tT1_PNSt15iterator_traitsISI_E10value_typeET2_T3_PNSJ_ISO_E10value_typeET4_T5_PST_SU_PNS1_23onesweep_lookback_stateEbbT6_jjT7_P12ihipStream_tbENKUlT_T0_SI_SN_E_clIPiSD_S15_SD_EEDaS11_S12_SI_SN_EUlS11_E_NS1_11comp_targetILNS1_3genE10ELNS1_11target_archE1201ELNS1_3gpuE5ELNS1_3repE0EEENS1_47radix_sort_onesweep_sort_config_static_selectorELNS0_4arch9wavefront6targetE1EEEvSI_
		.amdhsa_group_segment_fixed_size 0
		.amdhsa_private_segment_fixed_size 0
		.amdhsa_kernarg_size 88
		.amdhsa_user_sgpr_count 2
		.amdhsa_user_sgpr_dispatch_ptr 0
		.amdhsa_user_sgpr_queue_ptr 0
		.amdhsa_user_sgpr_kernarg_segment_ptr 1
		.amdhsa_user_sgpr_dispatch_id 0
		.amdhsa_user_sgpr_kernarg_preload_length 0
		.amdhsa_user_sgpr_kernarg_preload_offset 0
		.amdhsa_user_sgpr_private_segment_size 0
		.amdhsa_uses_dynamic_stack 0
		.amdhsa_enable_private_segment 0
		.amdhsa_system_sgpr_workgroup_id_x 1
		.amdhsa_system_sgpr_workgroup_id_y 0
		.amdhsa_system_sgpr_workgroup_id_z 0
		.amdhsa_system_sgpr_workgroup_info 0
		.amdhsa_system_vgpr_workitem_id 0
		.amdhsa_next_free_vgpr 1
		.amdhsa_next_free_sgpr 0
		.amdhsa_accum_offset 4
		.amdhsa_reserve_vcc 0
		.amdhsa_float_round_mode_32 0
		.amdhsa_float_round_mode_16_64 0
		.amdhsa_float_denorm_mode_32 3
		.amdhsa_float_denorm_mode_16_64 3
		.amdhsa_dx10_clamp 1
		.amdhsa_ieee_mode 1
		.amdhsa_fp16_overflow 0
		.amdhsa_tg_split 0
		.amdhsa_exception_fp_ieee_invalid_op 0
		.amdhsa_exception_fp_denorm_src 0
		.amdhsa_exception_fp_ieee_div_zero 0
		.amdhsa_exception_fp_ieee_overflow 0
		.amdhsa_exception_fp_ieee_underflow 0
		.amdhsa_exception_fp_ieee_inexact 0
		.amdhsa_exception_int_div_zero 0
	.end_amdhsa_kernel
	.section	.text._ZN7rocprim17ROCPRIM_400000_NS6detail17trampoline_kernelINS0_14default_configENS1_35radix_sort_onesweep_config_selectorIiiEEZZNS1_29radix_sort_onesweep_iterationIS3_Lb1EN6thrust23THRUST_200600_302600_NS6detail15normal_iteratorINS8_10device_ptrIiEEEESD_SD_SD_jNS0_19identity_decomposerENS1_16block_id_wrapperIjLb1EEEEE10hipError_tT1_PNSt15iterator_traitsISI_E10value_typeET2_T3_PNSJ_ISO_E10value_typeET4_T5_PST_SU_PNS1_23onesweep_lookback_stateEbbT6_jjT7_P12ihipStream_tbENKUlT_T0_SI_SN_E_clIPiSD_S15_SD_EEDaS11_S12_SI_SN_EUlS11_E_NS1_11comp_targetILNS1_3genE10ELNS1_11target_archE1201ELNS1_3gpuE5ELNS1_3repE0EEENS1_47radix_sort_onesweep_sort_config_static_selectorELNS0_4arch9wavefront6targetE1EEEvSI_,"axG",@progbits,_ZN7rocprim17ROCPRIM_400000_NS6detail17trampoline_kernelINS0_14default_configENS1_35radix_sort_onesweep_config_selectorIiiEEZZNS1_29radix_sort_onesweep_iterationIS3_Lb1EN6thrust23THRUST_200600_302600_NS6detail15normal_iteratorINS8_10device_ptrIiEEEESD_SD_SD_jNS0_19identity_decomposerENS1_16block_id_wrapperIjLb1EEEEE10hipError_tT1_PNSt15iterator_traitsISI_E10value_typeET2_T3_PNSJ_ISO_E10value_typeET4_T5_PST_SU_PNS1_23onesweep_lookback_stateEbbT6_jjT7_P12ihipStream_tbENKUlT_T0_SI_SN_E_clIPiSD_S15_SD_EEDaS11_S12_SI_SN_EUlS11_E_NS1_11comp_targetILNS1_3genE10ELNS1_11target_archE1201ELNS1_3gpuE5ELNS1_3repE0EEENS1_47radix_sort_onesweep_sort_config_static_selectorELNS0_4arch9wavefront6targetE1EEEvSI_,comdat
.Lfunc_end1861:
	.size	_ZN7rocprim17ROCPRIM_400000_NS6detail17trampoline_kernelINS0_14default_configENS1_35radix_sort_onesweep_config_selectorIiiEEZZNS1_29radix_sort_onesweep_iterationIS3_Lb1EN6thrust23THRUST_200600_302600_NS6detail15normal_iteratorINS8_10device_ptrIiEEEESD_SD_SD_jNS0_19identity_decomposerENS1_16block_id_wrapperIjLb1EEEEE10hipError_tT1_PNSt15iterator_traitsISI_E10value_typeET2_T3_PNSJ_ISO_E10value_typeET4_T5_PST_SU_PNS1_23onesweep_lookback_stateEbbT6_jjT7_P12ihipStream_tbENKUlT_T0_SI_SN_E_clIPiSD_S15_SD_EEDaS11_S12_SI_SN_EUlS11_E_NS1_11comp_targetILNS1_3genE10ELNS1_11target_archE1201ELNS1_3gpuE5ELNS1_3repE0EEENS1_47radix_sort_onesweep_sort_config_static_selectorELNS0_4arch9wavefront6targetE1EEEvSI_, .Lfunc_end1861-_ZN7rocprim17ROCPRIM_400000_NS6detail17trampoline_kernelINS0_14default_configENS1_35radix_sort_onesweep_config_selectorIiiEEZZNS1_29radix_sort_onesweep_iterationIS3_Lb1EN6thrust23THRUST_200600_302600_NS6detail15normal_iteratorINS8_10device_ptrIiEEEESD_SD_SD_jNS0_19identity_decomposerENS1_16block_id_wrapperIjLb1EEEEE10hipError_tT1_PNSt15iterator_traitsISI_E10value_typeET2_T3_PNSJ_ISO_E10value_typeET4_T5_PST_SU_PNS1_23onesweep_lookback_stateEbbT6_jjT7_P12ihipStream_tbENKUlT_T0_SI_SN_E_clIPiSD_S15_SD_EEDaS11_S12_SI_SN_EUlS11_E_NS1_11comp_targetILNS1_3genE10ELNS1_11target_archE1201ELNS1_3gpuE5ELNS1_3repE0EEENS1_47radix_sort_onesweep_sort_config_static_selectorELNS0_4arch9wavefront6targetE1EEEvSI_
                                        ; -- End function
	.set _ZN7rocprim17ROCPRIM_400000_NS6detail17trampoline_kernelINS0_14default_configENS1_35radix_sort_onesweep_config_selectorIiiEEZZNS1_29radix_sort_onesweep_iterationIS3_Lb1EN6thrust23THRUST_200600_302600_NS6detail15normal_iteratorINS8_10device_ptrIiEEEESD_SD_SD_jNS0_19identity_decomposerENS1_16block_id_wrapperIjLb1EEEEE10hipError_tT1_PNSt15iterator_traitsISI_E10value_typeET2_T3_PNSJ_ISO_E10value_typeET4_T5_PST_SU_PNS1_23onesweep_lookback_stateEbbT6_jjT7_P12ihipStream_tbENKUlT_T0_SI_SN_E_clIPiSD_S15_SD_EEDaS11_S12_SI_SN_EUlS11_E_NS1_11comp_targetILNS1_3genE10ELNS1_11target_archE1201ELNS1_3gpuE5ELNS1_3repE0EEENS1_47radix_sort_onesweep_sort_config_static_selectorELNS0_4arch9wavefront6targetE1EEEvSI_.num_vgpr, 0
	.set _ZN7rocprim17ROCPRIM_400000_NS6detail17trampoline_kernelINS0_14default_configENS1_35radix_sort_onesweep_config_selectorIiiEEZZNS1_29radix_sort_onesweep_iterationIS3_Lb1EN6thrust23THRUST_200600_302600_NS6detail15normal_iteratorINS8_10device_ptrIiEEEESD_SD_SD_jNS0_19identity_decomposerENS1_16block_id_wrapperIjLb1EEEEE10hipError_tT1_PNSt15iterator_traitsISI_E10value_typeET2_T3_PNSJ_ISO_E10value_typeET4_T5_PST_SU_PNS1_23onesweep_lookback_stateEbbT6_jjT7_P12ihipStream_tbENKUlT_T0_SI_SN_E_clIPiSD_S15_SD_EEDaS11_S12_SI_SN_EUlS11_E_NS1_11comp_targetILNS1_3genE10ELNS1_11target_archE1201ELNS1_3gpuE5ELNS1_3repE0EEENS1_47radix_sort_onesweep_sort_config_static_selectorELNS0_4arch9wavefront6targetE1EEEvSI_.num_agpr, 0
	.set _ZN7rocprim17ROCPRIM_400000_NS6detail17trampoline_kernelINS0_14default_configENS1_35radix_sort_onesweep_config_selectorIiiEEZZNS1_29radix_sort_onesweep_iterationIS3_Lb1EN6thrust23THRUST_200600_302600_NS6detail15normal_iteratorINS8_10device_ptrIiEEEESD_SD_SD_jNS0_19identity_decomposerENS1_16block_id_wrapperIjLb1EEEEE10hipError_tT1_PNSt15iterator_traitsISI_E10value_typeET2_T3_PNSJ_ISO_E10value_typeET4_T5_PST_SU_PNS1_23onesweep_lookback_stateEbbT6_jjT7_P12ihipStream_tbENKUlT_T0_SI_SN_E_clIPiSD_S15_SD_EEDaS11_S12_SI_SN_EUlS11_E_NS1_11comp_targetILNS1_3genE10ELNS1_11target_archE1201ELNS1_3gpuE5ELNS1_3repE0EEENS1_47radix_sort_onesweep_sort_config_static_selectorELNS0_4arch9wavefront6targetE1EEEvSI_.numbered_sgpr, 0
	.set _ZN7rocprim17ROCPRIM_400000_NS6detail17trampoline_kernelINS0_14default_configENS1_35radix_sort_onesweep_config_selectorIiiEEZZNS1_29radix_sort_onesweep_iterationIS3_Lb1EN6thrust23THRUST_200600_302600_NS6detail15normal_iteratorINS8_10device_ptrIiEEEESD_SD_SD_jNS0_19identity_decomposerENS1_16block_id_wrapperIjLb1EEEEE10hipError_tT1_PNSt15iterator_traitsISI_E10value_typeET2_T3_PNSJ_ISO_E10value_typeET4_T5_PST_SU_PNS1_23onesweep_lookback_stateEbbT6_jjT7_P12ihipStream_tbENKUlT_T0_SI_SN_E_clIPiSD_S15_SD_EEDaS11_S12_SI_SN_EUlS11_E_NS1_11comp_targetILNS1_3genE10ELNS1_11target_archE1201ELNS1_3gpuE5ELNS1_3repE0EEENS1_47radix_sort_onesweep_sort_config_static_selectorELNS0_4arch9wavefront6targetE1EEEvSI_.num_named_barrier, 0
	.set _ZN7rocprim17ROCPRIM_400000_NS6detail17trampoline_kernelINS0_14default_configENS1_35radix_sort_onesweep_config_selectorIiiEEZZNS1_29radix_sort_onesweep_iterationIS3_Lb1EN6thrust23THRUST_200600_302600_NS6detail15normal_iteratorINS8_10device_ptrIiEEEESD_SD_SD_jNS0_19identity_decomposerENS1_16block_id_wrapperIjLb1EEEEE10hipError_tT1_PNSt15iterator_traitsISI_E10value_typeET2_T3_PNSJ_ISO_E10value_typeET4_T5_PST_SU_PNS1_23onesweep_lookback_stateEbbT6_jjT7_P12ihipStream_tbENKUlT_T0_SI_SN_E_clIPiSD_S15_SD_EEDaS11_S12_SI_SN_EUlS11_E_NS1_11comp_targetILNS1_3genE10ELNS1_11target_archE1201ELNS1_3gpuE5ELNS1_3repE0EEENS1_47radix_sort_onesweep_sort_config_static_selectorELNS0_4arch9wavefront6targetE1EEEvSI_.private_seg_size, 0
	.set _ZN7rocprim17ROCPRIM_400000_NS6detail17trampoline_kernelINS0_14default_configENS1_35radix_sort_onesweep_config_selectorIiiEEZZNS1_29radix_sort_onesweep_iterationIS3_Lb1EN6thrust23THRUST_200600_302600_NS6detail15normal_iteratorINS8_10device_ptrIiEEEESD_SD_SD_jNS0_19identity_decomposerENS1_16block_id_wrapperIjLb1EEEEE10hipError_tT1_PNSt15iterator_traitsISI_E10value_typeET2_T3_PNSJ_ISO_E10value_typeET4_T5_PST_SU_PNS1_23onesweep_lookback_stateEbbT6_jjT7_P12ihipStream_tbENKUlT_T0_SI_SN_E_clIPiSD_S15_SD_EEDaS11_S12_SI_SN_EUlS11_E_NS1_11comp_targetILNS1_3genE10ELNS1_11target_archE1201ELNS1_3gpuE5ELNS1_3repE0EEENS1_47radix_sort_onesweep_sort_config_static_selectorELNS0_4arch9wavefront6targetE1EEEvSI_.uses_vcc, 0
	.set _ZN7rocprim17ROCPRIM_400000_NS6detail17trampoline_kernelINS0_14default_configENS1_35radix_sort_onesweep_config_selectorIiiEEZZNS1_29radix_sort_onesweep_iterationIS3_Lb1EN6thrust23THRUST_200600_302600_NS6detail15normal_iteratorINS8_10device_ptrIiEEEESD_SD_SD_jNS0_19identity_decomposerENS1_16block_id_wrapperIjLb1EEEEE10hipError_tT1_PNSt15iterator_traitsISI_E10value_typeET2_T3_PNSJ_ISO_E10value_typeET4_T5_PST_SU_PNS1_23onesweep_lookback_stateEbbT6_jjT7_P12ihipStream_tbENKUlT_T0_SI_SN_E_clIPiSD_S15_SD_EEDaS11_S12_SI_SN_EUlS11_E_NS1_11comp_targetILNS1_3genE10ELNS1_11target_archE1201ELNS1_3gpuE5ELNS1_3repE0EEENS1_47radix_sort_onesweep_sort_config_static_selectorELNS0_4arch9wavefront6targetE1EEEvSI_.uses_flat_scratch, 0
	.set _ZN7rocprim17ROCPRIM_400000_NS6detail17trampoline_kernelINS0_14default_configENS1_35radix_sort_onesweep_config_selectorIiiEEZZNS1_29radix_sort_onesweep_iterationIS3_Lb1EN6thrust23THRUST_200600_302600_NS6detail15normal_iteratorINS8_10device_ptrIiEEEESD_SD_SD_jNS0_19identity_decomposerENS1_16block_id_wrapperIjLb1EEEEE10hipError_tT1_PNSt15iterator_traitsISI_E10value_typeET2_T3_PNSJ_ISO_E10value_typeET4_T5_PST_SU_PNS1_23onesweep_lookback_stateEbbT6_jjT7_P12ihipStream_tbENKUlT_T0_SI_SN_E_clIPiSD_S15_SD_EEDaS11_S12_SI_SN_EUlS11_E_NS1_11comp_targetILNS1_3genE10ELNS1_11target_archE1201ELNS1_3gpuE5ELNS1_3repE0EEENS1_47radix_sort_onesweep_sort_config_static_selectorELNS0_4arch9wavefront6targetE1EEEvSI_.has_dyn_sized_stack, 0
	.set _ZN7rocprim17ROCPRIM_400000_NS6detail17trampoline_kernelINS0_14default_configENS1_35radix_sort_onesweep_config_selectorIiiEEZZNS1_29radix_sort_onesweep_iterationIS3_Lb1EN6thrust23THRUST_200600_302600_NS6detail15normal_iteratorINS8_10device_ptrIiEEEESD_SD_SD_jNS0_19identity_decomposerENS1_16block_id_wrapperIjLb1EEEEE10hipError_tT1_PNSt15iterator_traitsISI_E10value_typeET2_T3_PNSJ_ISO_E10value_typeET4_T5_PST_SU_PNS1_23onesweep_lookback_stateEbbT6_jjT7_P12ihipStream_tbENKUlT_T0_SI_SN_E_clIPiSD_S15_SD_EEDaS11_S12_SI_SN_EUlS11_E_NS1_11comp_targetILNS1_3genE10ELNS1_11target_archE1201ELNS1_3gpuE5ELNS1_3repE0EEENS1_47radix_sort_onesweep_sort_config_static_selectorELNS0_4arch9wavefront6targetE1EEEvSI_.has_recursion, 0
	.set _ZN7rocprim17ROCPRIM_400000_NS6detail17trampoline_kernelINS0_14default_configENS1_35radix_sort_onesweep_config_selectorIiiEEZZNS1_29radix_sort_onesweep_iterationIS3_Lb1EN6thrust23THRUST_200600_302600_NS6detail15normal_iteratorINS8_10device_ptrIiEEEESD_SD_SD_jNS0_19identity_decomposerENS1_16block_id_wrapperIjLb1EEEEE10hipError_tT1_PNSt15iterator_traitsISI_E10value_typeET2_T3_PNSJ_ISO_E10value_typeET4_T5_PST_SU_PNS1_23onesweep_lookback_stateEbbT6_jjT7_P12ihipStream_tbENKUlT_T0_SI_SN_E_clIPiSD_S15_SD_EEDaS11_S12_SI_SN_EUlS11_E_NS1_11comp_targetILNS1_3genE10ELNS1_11target_archE1201ELNS1_3gpuE5ELNS1_3repE0EEENS1_47radix_sort_onesweep_sort_config_static_selectorELNS0_4arch9wavefront6targetE1EEEvSI_.has_indirect_call, 0
	.section	.AMDGPU.csdata,"",@progbits
; Kernel info:
; codeLenInByte = 0
; TotalNumSgprs: 6
; NumVgprs: 0
; NumAgprs: 0
; TotalNumVgprs: 0
; ScratchSize: 0
; MemoryBound: 0
; FloatMode: 240
; IeeeMode: 1
; LDSByteSize: 0 bytes/workgroup (compile time only)
; SGPRBlocks: 0
; VGPRBlocks: 0
; NumSGPRsForWavesPerEU: 6
; NumVGPRsForWavesPerEU: 1
; AccumOffset: 4
; Occupancy: 8
; WaveLimiterHint : 0
; COMPUTE_PGM_RSRC2:SCRATCH_EN: 0
; COMPUTE_PGM_RSRC2:USER_SGPR: 2
; COMPUTE_PGM_RSRC2:TRAP_HANDLER: 0
; COMPUTE_PGM_RSRC2:TGID_X_EN: 1
; COMPUTE_PGM_RSRC2:TGID_Y_EN: 0
; COMPUTE_PGM_RSRC2:TGID_Z_EN: 0
; COMPUTE_PGM_RSRC2:TIDIG_COMP_CNT: 0
; COMPUTE_PGM_RSRC3_GFX90A:ACCUM_OFFSET: 0
; COMPUTE_PGM_RSRC3_GFX90A:TG_SPLIT: 0
	.section	.text._ZN7rocprim17ROCPRIM_400000_NS6detail17trampoline_kernelINS0_14default_configENS1_35radix_sort_onesweep_config_selectorIiiEEZZNS1_29radix_sort_onesweep_iterationIS3_Lb1EN6thrust23THRUST_200600_302600_NS6detail15normal_iteratorINS8_10device_ptrIiEEEESD_SD_SD_jNS0_19identity_decomposerENS1_16block_id_wrapperIjLb1EEEEE10hipError_tT1_PNSt15iterator_traitsISI_E10value_typeET2_T3_PNSJ_ISO_E10value_typeET4_T5_PST_SU_PNS1_23onesweep_lookback_stateEbbT6_jjT7_P12ihipStream_tbENKUlT_T0_SI_SN_E_clIPiSD_S15_SD_EEDaS11_S12_SI_SN_EUlS11_E_NS1_11comp_targetILNS1_3genE9ELNS1_11target_archE1100ELNS1_3gpuE3ELNS1_3repE0EEENS1_47radix_sort_onesweep_sort_config_static_selectorELNS0_4arch9wavefront6targetE1EEEvSI_,"axG",@progbits,_ZN7rocprim17ROCPRIM_400000_NS6detail17trampoline_kernelINS0_14default_configENS1_35radix_sort_onesweep_config_selectorIiiEEZZNS1_29radix_sort_onesweep_iterationIS3_Lb1EN6thrust23THRUST_200600_302600_NS6detail15normal_iteratorINS8_10device_ptrIiEEEESD_SD_SD_jNS0_19identity_decomposerENS1_16block_id_wrapperIjLb1EEEEE10hipError_tT1_PNSt15iterator_traitsISI_E10value_typeET2_T3_PNSJ_ISO_E10value_typeET4_T5_PST_SU_PNS1_23onesweep_lookback_stateEbbT6_jjT7_P12ihipStream_tbENKUlT_T0_SI_SN_E_clIPiSD_S15_SD_EEDaS11_S12_SI_SN_EUlS11_E_NS1_11comp_targetILNS1_3genE9ELNS1_11target_archE1100ELNS1_3gpuE3ELNS1_3repE0EEENS1_47radix_sort_onesweep_sort_config_static_selectorELNS0_4arch9wavefront6targetE1EEEvSI_,comdat
	.protected	_ZN7rocprim17ROCPRIM_400000_NS6detail17trampoline_kernelINS0_14default_configENS1_35radix_sort_onesweep_config_selectorIiiEEZZNS1_29radix_sort_onesweep_iterationIS3_Lb1EN6thrust23THRUST_200600_302600_NS6detail15normal_iteratorINS8_10device_ptrIiEEEESD_SD_SD_jNS0_19identity_decomposerENS1_16block_id_wrapperIjLb1EEEEE10hipError_tT1_PNSt15iterator_traitsISI_E10value_typeET2_T3_PNSJ_ISO_E10value_typeET4_T5_PST_SU_PNS1_23onesweep_lookback_stateEbbT6_jjT7_P12ihipStream_tbENKUlT_T0_SI_SN_E_clIPiSD_S15_SD_EEDaS11_S12_SI_SN_EUlS11_E_NS1_11comp_targetILNS1_3genE9ELNS1_11target_archE1100ELNS1_3gpuE3ELNS1_3repE0EEENS1_47radix_sort_onesweep_sort_config_static_selectorELNS0_4arch9wavefront6targetE1EEEvSI_ ; -- Begin function _ZN7rocprim17ROCPRIM_400000_NS6detail17trampoline_kernelINS0_14default_configENS1_35radix_sort_onesweep_config_selectorIiiEEZZNS1_29radix_sort_onesweep_iterationIS3_Lb1EN6thrust23THRUST_200600_302600_NS6detail15normal_iteratorINS8_10device_ptrIiEEEESD_SD_SD_jNS0_19identity_decomposerENS1_16block_id_wrapperIjLb1EEEEE10hipError_tT1_PNSt15iterator_traitsISI_E10value_typeET2_T3_PNSJ_ISO_E10value_typeET4_T5_PST_SU_PNS1_23onesweep_lookback_stateEbbT6_jjT7_P12ihipStream_tbENKUlT_T0_SI_SN_E_clIPiSD_S15_SD_EEDaS11_S12_SI_SN_EUlS11_E_NS1_11comp_targetILNS1_3genE9ELNS1_11target_archE1100ELNS1_3gpuE3ELNS1_3repE0EEENS1_47radix_sort_onesweep_sort_config_static_selectorELNS0_4arch9wavefront6targetE1EEEvSI_
	.globl	_ZN7rocprim17ROCPRIM_400000_NS6detail17trampoline_kernelINS0_14default_configENS1_35radix_sort_onesweep_config_selectorIiiEEZZNS1_29radix_sort_onesweep_iterationIS3_Lb1EN6thrust23THRUST_200600_302600_NS6detail15normal_iteratorINS8_10device_ptrIiEEEESD_SD_SD_jNS0_19identity_decomposerENS1_16block_id_wrapperIjLb1EEEEE10hipError_tT1_PNSt15iterator_traitsISI_E10value_typeET2_T3_PNSJ_ISO_E10value_typeET4_T5_PST_SU_PNS1_23onesweep_lookback_stateEbbT6_jjT7_P12ihipStream_tbENKUlT_T0_SI_SN_E_clIPiSD_S15_SD_EEDaS11_S12_SI_SN_EUlS11_E_NS1_11comp_targetILNS1_3genE9ELNS1_11target_archE1100ELNS1_3gpuE3ELNS1_3repE0EEENS1_47radix_sort_onesweep_sort_config_static_selectorELNS0_4arch9wavefront6targetE1EEEvSI_
	.p2align	8
	.type	_ZN7rocprim17ROCPRIM_400000_NS6detail17trampoline_kernelINS0_14default_configENS1_35radix_sort_onesweep_config_selectorIiiEEZZNS1_29radix_sort_onesweep_iterationIS3_Lb1EN6thrust23THRUST_200600_302600_NS6detail15normal_iteratorINS8_10device_ptrIiEEEESD_SD_SD_jNS0_19identity_decomposerENS1_16block_id_wrapperIjLb1EEEEE10hipError_tT1_PNSt15iterator_traitsISI_E10value_typeET2_T3_PNSJ_ISO_E10value_typeET4_T5_PST_SU_PNS1_23onesweep_lookback_stateEbbT6_jjT7_P12ihipStream_tbENKUlT_T0_SI_SN_E_clIPiSD_S15_SD_EEDaS11_S12_SI_SN_EUlS11_E_NS1_11comp_targetILNS1_3genE9ELNS1_11target_archE1100ELNS1_3gpuE3ELNS1_3repE0EEENS1_47radix_sort_onesweep_sort_config_static_selectorELNS0_4arch9wavefront6targetE1EEEvSI_,@function
_ZN7rocprim17ROCPRIM_400000_NS6detail17trampoline_kernelINS0_14default_configENS1_35radix_sort_onesweep_config_selectorIiiEEZZNS1_29radix_sort_onesweep_iterationIS3_Lb1EN6thrust23THRUST_200600_302600_NS6detail15normal_iteratorINS8_10device_ptrIiEEEESD_SD_SD_jNS0_19identity_decomposerENS1_16block_id_wrapperIjLb1EEEEE10hipError_tT1_PNSt15iterator_traitsISI_E10value_typeET2_T3_PNSJ_ISO_E10value_typeET4_T5_PST_SU_PNS1_23onesweep_lookback_stateEbbT6_jjT7_P12ihipStream_tbENKUlT_T0_SI_SN_E_clIPiSD_S15_SD_EEDaS11_S12_SI_SN_EUlS11_E_NS1_11comp_targetILNS1_3genE9ELNS1_11target_archE1100ELNS1_3gpuE3ELNS1_3repE0EEENS1_47radix_sort_onesweep_sort_config_static_selectorELNS0_4arch9wavefront6targetE1EEEvSI_: ; @_ZN7rocprim17ROCPRIM_400000_NS6detail17trampoline_kernelINS0_14default_configENS1_35radix_sort_onesweep_config_selectorIiiEEZZNS1_29radix_sort_onesweep_iterationIS3_Lb1EN6thrust23THRUST_200600_302600_NS6detail15normal_iteratorINS8_10device_ptrIiEEEESD_SD_SD_jNS0_19identity_decomposerENS1_16block_id_wrapperIjLb1EEEEE10hipError_tT1_PNSt15iterator_traitsISI_E10value_typeET2_T3_PNSJ_ISO_E10value_typeET4_T5_PST_SU_PNS1_23onesweep_lookback_stateEbbT6_jjT7_P12ihipStream_tbENKUlT_T0_SI_SN_E_clIPiSD_S15_SD_EEDaS11_S12_SI_SN_EUlS11_E_NS1_11comp_targetILNS1_3genE9ELNS1_11target_archE1100ELNS1_3gpuE3ELNS1_3repE0EEENS1_47radix_sort_onesweep_sort_config_static_selectorELNS0_4arch9wavefront6targetE1EEEvSI_
; %bb.0:
	.section	.rodata,"a",@progbits
	.p2align	6, 0x0
	.amdhsa_kernel _ZN7rocprim17ROCPRIM_400000_NS6detail17trampoline_kernelINS0_14default_configENS1_35radix_sort_onesweep_config_selectorIiiEEZZNS1_29radix_sort_onesweep_iterationIS3_Lb1EN6thrust23THRUST_200600_302600_NS6detail15normal_iteratorINS8_10device_ptrIiEEEESD_SD_SD_jNS0_19identity_decomposerENS1_16block_id_wrapperIjLb1EEEEE10hipError_tT1_PNSt15iterator_traitsISI_E10value_typeET2_T3_PNSJ_ISO_E10value_typeET4_T5_PST_SU_PNS1_23onesweep_lookback_stateEbbT6_jjT7_P12ihipStream_tbENKUlT_T0_SI_SN_E_clIPiSD_S15_SD_EEDaS11_S12_SI_SN_EUlS11_E_NS1_11comp_targetILNS1_3genE9ELNS1_11target_archE1100ELNS1_3gpuE3ELNS1_3repE0EEENS1_47radix_sort_onesweep_sort_config_static_selectorELNS0_4arch9wavefront6targetE1EEEvSI_
		.amdhsa_group_segment_fixed_size 0
		.amdhsa_private_segment_fixed_size 0
		.amdhsa_kernarg_size 88
		.amdhsa_user_sgpr_count 2
		.amdhsa_user_sgpr_dispatch_ptr 0
		.amdhsa_user_sgpr_queue_ptr 0
		.amdhsa_user_sgpr_kernarg_segment_ptr 1
		.amdhsa_user_sgpr_dispatch_id 0
		.amdhsa_user_sgpr_kernarg_preload_length 0
		.amdhsa_user_sgpr_kernarg_preload_offset 0
		.amdhsa_user_sgpr_private_segment_size 0
		.amdhsa_uses_dynamic_stack 0
		.amdhsa_enable_private_segment 0
		.amdhsa_system_sgpr_workgroup_id_x 1
		.amdhsa_system_sgpr_workgroup_id_y 0
		.amdhsa_system_sgpr_workgroup_id_z 0
		.amdhsa_system_sgpr_workgroup_info 0
		.amdhsa_system_vgpr_workitem_id 0
		.amdhsa_next_free_vgpr 1
		.amdhsa_next_free_sgpr 0
		.amdhsa_accum_offset 4
		.amdhsa_reserve_vcc 0
		.amdhsa_float_round_mode_32 0
		.amdhsa_float_round_mode_16_64 0
		.amdhsa_float_denorm_mode_32 3
		.amdhsa_float_denorm_mode_16_64 3
		.amdhsa_dx10_clamp 1
		.amdhsa_ieee_mode 1
		.amdhsa_fp16_overflow 0
		.amdhsa_tg_split 0
		.amdhsa_exception_fp_ieee_invalid_op 0
		.amdhsa_exception_fp_denorm_src 0
		.amdhsa_exception_fp_ieee_div_zero 0
		.amdhsa_exception_fp_ieee_overflow 0
		.amdhsa_exception_fp_ieee_underflow 0
		.amdhsa_exception_fp_ieee_inexact 0
		.amdhsa_exception_int_div_zero 0
	.end_amdhsa_kernel
	.section	.text._ZN7rocprim17ROCPRIM_400000_NS6detail17trampoline_kernelINS0_14default_configENS1_35radix_sort_onesweep_config_selectorIiiEEZZNS1_29radix_sort_onesweep_iterationIS3_Lb1EN6thrust23THRUST_200600_302600_NS6detail15normal_iteratorINS8_10device_ptrIiEEEESD_SD_SD_jNS0_19identity_decomposerENS1_16block_id_wrapperIjLb1EEEEE10hipError_tT1_PNSt15iterator_traitsISI_E10value_typeET2_T3_PNSJ_ISO_E10value_typeET4_T5_PST_SU_PNS1_23onesweep_lookback_stateEbbT6_jjT7_P12ihipStream_tbENKUlT_T0_SI_SN_E_clIPiSD_S15_SD_EEDaS11_S12_SI_SN_EUlS11_E_NS1_11comp_targetILNS1_3genE9ELNS1_11target_archE1100ELNS1_3gpuE3ELNS1_3repE0EEENS1_47radix_sort_onesweep_sort_config_static_selectorELNS0_4arch9wavefront6targetE1EEEvSI_,"axG",@progbits,_ZN7rocprim17ROCPRIM_400000_NS6detail17trampoline_kernelINS0_14default_configENS1_35radix_sort_onesweep_config_selectorIiiEEZZNS1_29radix_sort_onesweep_iterationIS3_Lb1EN6thrust23THRUST_200600_302600_NS6detail15normal_iteratorINS8_10device_ptrIiEEEESD_SD_SD_jNS0_19identity_decomposerENS1_16block_id_wrapperIjLb1EEEEE10hipError_tT1_PNSt15iterator_traitsISI_E10value_typeET2_T3_PNSJ_ISO_E10value_typeET4_T5_PST_SU_PNS1_23onesweep_lookback_stateEbbT6_jjT7_P12ihipStream_tbENKUlT_T0_SI_SN_E_clIPiSD_S15_SD_EEDaS11_S12_SI_SN_EUlS11_E_NS1_11comp_targetILNS1_3genE9ELNS1_11target_archE1100ELNS1_3gpuE3ELNS1_3repE0EEENS1_47radix_sort_onesweep_sort_config_static_selectorELNS0_4arch9wavefront6targetE1EEEvSI_,comdat
.Lfunc_end1862:
	.size	_ZN7rocprim17ROCPRIM_400000_NS6detail17trampoline_kernelINS0_14default_configENS1_35radix_sort_onesweep_config_selectorIiiEEZZNS1_29radix_sort_onesweep_iterationIS3_Lb1EN6thrust23THRUST_200600_302600_NS6detail15normal_iteratorINS8_10device_ptrIiEEEESD_SD_SD_jNS0_19identity_decomposerENS1_16block_id_wrapperIjLb1EEEEE10hipError_tT1_PNSt15iterator_traitsISI_E10value_typeET2_T3_PNSJ_ISO_E10value_typeET4_T5_PST_SU_PNS1_23onesweep_lookback_stateEbbT6_jjT7_P12ihipStream_tbENKUlT_T0_SI_SN_E_clIPiSD_S15_SD_EEDaS11_S12_SI_SN_EUlS11_E_NS1_11comp_targetILNS1_3genE9ELNS1_11target_archE1100ELNS1_3gpuE3ELNS1_3repE0EEENS1_47radix_sort_onesweep_sort_config_static_selectorELNS0_4arch9wavefront6targetE1EEEvSI_, .Lfunc_end1862-_ZN7rocprim17ROCPRIM_400000_NS6detail17trampoline_kernelINS0_14default_configENS1_35radix_sort_onesweep_config_selectorIiiEEZZNS1_29radix_sort_onesweep_iterationIS3_Lb1EN6thrust23THRUST_200600_302600_NS6detail15normal_iteratorINS8_10device_ptrIiEEEESD_SD_SD_jNS0_19identity_decomposerENS1_16block_id_wrapperIjLb1EEEEE10hipError_tT1_PNSt15iterator_traitsISI_E10value_typeET2_T3_PNSJ_ISO_E10value_typeET4_T5_PST_SU_PNS1_23onesweep_lookback_stateEbbT6_jjT7_P12ihipStream_tbENKUlT_T0_SI_SN_E_clIPiSD_S15_SD_EEDaS11_S12_SI_SN_EUlS11_E_NS1_11comp_targetILNS1_3genE9ELNS1_11target_archE1100ELNS1_3gpuE3ELNS1_3repE0EEENS1_47radix_sort_onesweep_sort_config_static_selectorELNS0_4arch9wavefront6targetE1EEEvSI_
                                        ; -- End function
	.set _ZN7rocprim17ROCPRIM_400000_NS6detail17trampoline_kernelINS0_14default_configENS1_35radix_sort_onesweep_config_selectorIiiEEZZNS1_29radix_sort_onesweep_iterationIS3_Lb1EN6thrust23THRUST_200600_302600_NS6detail15normal_iteratorINS8_10device_ptrIiEEEESD_SD_SD_jNS0_19identity_decomposerENS1_16block_id_wrapperIjLb1EEEEE10hipError_tT1_PNSt15iterator_traitsISI_E10value_typeET2_T3_PNSJ_ISO_E10value_typeET4_T5_PST_SU_PNS1_23onesweep_lookback_stateEbbT6_jjT7_P12ihipStream_tbENKUlT_T0_SI_SN_E_clIPiSD_S15_SD_EEDaS11_S12_SI_SN_EUlS11_E_NS1_11comp_targetILNS1_3genE9ELNS1_11target_archE1100ELNS1_3gpuE3ELNS1_3repE0EEENS1_47radix_sort_onesweep_sort_config_static_selectorELNS0_4arch9wavefront6targetE1EEEvSI_.num_vgpr, 0
	.set _ZN7rocprim17ROCPRIM_400000_NS6detail17trampoline_kernelINS0_14default_configENS1_35radix_sort_onesweep_config_selectorIiiEEZZNS1_29radix_sort_onesweep_iterationIS3_Lb1EN6thrust23THRUST_200600_302600_NS6detail15normal_iteratorINS8_10device_ptrIiEEEESD_SD_SD_jNS0_19identity_decomposerENS1_16block_id_wrapperIjLb1EEEEE10hipError_tT1_PNSt15iterator_traitsISI_E10value_typeET2_T3_PNSJ_ISO_E10value_typeET4_T5_PST_SU_PNS1_23onesweep_lookback_stateEbbT6_jjT7_P12ihipStream_tbENKUlT_T0_SI_SN_E_clIPiSD_S15_SD_EEDaS11_S12_SI_SN_EUlS11_E_NS1_11comp_targetILNS1_3genE9ELNS1_11target_archE1100ELNS1_3gpuE3ELNS1_3repE0EEENS1_47radix_sort_onesweep_sort_config_static_selectorELNS0_4arch9wavefront6targetE1EEEvSI_.num_agpr, 0
	.set _ZN7rocprim17ROCPRIM_400000_NS6detail17trampoline_kernelINS0_14default_configENS1_35radix_sort_onesweep_config_selectorIiiEEZZNS1_29radix_sort_onesweep_iterationIS3_Lb1EN6thrust23THRUST_200600_302600_NS6detail15normal_iteratorINS8_10device_ptrIiEEEESD_SD_SD_jNS0_19identity_decomposerENS1_16block_id_wrapperIjLb1EEEEE10hipError_tT1_PNSt15iterator_traitsISI_E10value_typeET2_T3_PNSJ_ISO_E10value_typeET4_T5_PST_SU_PNS1_23onesweep_lookback_stateEbbT6_jjT7_P12ihipStream_tbENKUlT_T0_SI_SN_E_clIPiSD_S15_SD_EEDaS11_S12_SI_SN_EUlS11_E_NS1_11comp_targetILNS1_3genE9ELNS1_11target_archE1100ELNS1_3gpuE3ELNS1_3repE0EEENS1_47radix_sort_onesweep_sort_config_static_selectorELNS0_4arch9wavefront6targetE1EEEvSI_.numbered_sgpr, 0
	.set _ZN7rocprim17ROCPRIM_400000_NS6detail17trampoline_kernelINS0_14default_configENS1_35radix_sort_onesweep_config_selectorIiiEEZZNS1_29radix_sort_onesweep_iterationIS3_Lb1EN6thrust23THRUST_200600_302600_NS6detail15normal_iteratorINS8_10device_ptrIiEEEESD_SD_SD_jNS0_19identity_decomposerENS1_16block_id_wrapperIjLb1EEEEE10hipError_tT1_PNSt15iterator_traitsISI_E10value_typeET2_T3_PNSJ_ISO_E10value_typeET4_T5_PST_SU_PNS1_23onesweep_lookback_stateEbbT6_jjT7_P12ihipStream_tbENKUlT_T0_SI_SN_E_clIPiSD_S15_SD_EEDaS11_S12_SI_SN_EUlS11_E_NS1_11comp_targetILNS1_3genE9ELNS1_11target_archE1100ELNS1_3gpuE3ELNS1_3repE0EEENS1_47radix_sort_onesweep_sort_config_static_selectorELNS0_4arch9wavefront6targetE1EEEvSI_.num_named_barrier, 0
	.set _ZN7rocprim17ROCPRIM_400000_NS6detail17trampoline_kernelINS0_14default_configENS1_35radix_sort_onesweep_config_selectorIiiEEZZNS1_29radix_sort_onesweep_iterationIS3_Lb1EN6thrust23THRUST_200600_302600_NS6detail15normal_iteratorINS8_10device_ptrIiEEEESD_SD_SD_jNS0_19identity_decomposerENS1_16block_id_wrapperIjLb1EEEEE10hipError_tT1_PNSt15iterator_traitsISI_E10value_typeET2_T3_PNSJ_ISO_E10value_typeET4_T5_PST_SU_PNS1_23onesweep_lookback_stateEbbT6_jjT7_P12ihipStream_tbENKUlT_T0_SI_SN_E_clIPiSD_S15_SD_EEDaS11_S12_SI_SN_EUlS11_E_NS1_11comp_targetILNS1_3genE9ELNS1_11target_archE1100ELNS1_3gpuE3ELNS1_3repE0EEENS1_47radix_sort_onesweep_sort_config_static_selectorELNS0_4arch9wavefront6targetE1EEEvSI_.private_seg_size, 0
	.set _ZN7rocprim17ROCPRIM_400000_NS6detail17trampoline_kernelINS0_14default_configENS1_35radix_sort_onesweep_config_selectorIiiEEZZNS1_29radix_sort_onesweep_iterationIS3_Lb1EN6thrust23THRUST_200600_302600_NS6detail15normal_iteratorINS8_10device_ptrIiEEEESD_SD_SD_jNS0_19identity_decomposerENS1_16block_id_wrapperIjLb1EEEEE10hipError_tT1_PNSt15iterator_traitsISI_E10value_typeET2_T3_PNSJ_ISO_E10value_typeET4_T5_PST_SU_PNS1_23onesweep_lookback_stateEbbT6_jjT7_P12ihipStream_tbENKUlT_T0_SI_SN_E_clIPiSD_S15_SD_EEDaS11_S12_SI_SN_EUlS11_E_NS1_11comp_targetILNS1_3genE9ELNS1_11target_archE1100ELNS1_3gpuE3ELNS1_3repE0EEENS1_47radix_sort_onesweep_sort_config_static_selectorELNS0_4arch9wavefront6targetE1EEEvSI_.uses_vcc, 0
	.set _ZN7rocprim17ROCPRIM_400000_NS6detail17trampoline_kernelINS0_14default_configENS1_35radix_sort_onesweep_config_selectorIiiEEZZNS1_29radix_sort_onesweep_iterationIS3_Lb1EN6thrust23THRUST_200600_302600_NS6detail15normal_iteratorINS8_10device_ptrIiEEEESD_SD_SD_jNS0_19identity_decomposerENS1_16block_id_wrapperIjLb1EEEEE10hipError_tT1_PNSt15iterator_traitsISI_E10value_typeET2_T3_PNSJ_ISO_E10value_typeET4_T5_PST_SU_PNS1_23onesweep_lookback_stateEbbT6_jjT7_P12ihipStream_tbENKUlT_T0_SI_SN_E_clIPiSD_S15_SD_EEDaS11_S12_SI_SN_EUlS11_E_NS1_11comp_targetILNS1_3genE9ELNS1_11target_archE1100ELNS1_3gpuE3ELNS1_3repE0EEENS1_47radix_sort_onesweep_sort_config_static_selectorELNS0_4arch9wavefront6targetE1EEEvSI_.uses_flat_scratch, 0
	.set _ZN7rocprim17ROCPRIM_400000_NS6detail17trampoline_kernelINS0_14default_configENS1_35radix_sort_onesweep_config_selectorIiiEEZZNS1_29radix_sort_onesweep_iterationIS3_Lb1EN6thrust23THRUST_200600_302600_NS6detail15normal_iteratorINS8_10device_ptrIiEEEESD_SD_SD_jNS0_19identity_decomposerENS1_16block_id_wrapperIjLb1EEEEE10hipError_tT1_PNSt15iterator_traitsISI_E10value_typeET2_T3_PNSJ_ISO_E10value_typeET4_T5_PST_SU_PNS1_23onesweep_lookback_stateEbbT6_jjT7_P12ihipStream_tbENKUlT_T0_SI_SN_E_clIPiSD_S15_SD_EEDaS11_S12_SI_SN_EUlS11_E_NS1_11comp_targetILNS1_3genE9ELNS1_11target_archE1100ELNS1_3gpuE3ELNS1_3repE0EEENS1_47radix_sort_onesweep_sort_config_static_selectorELNS0_4arch9wavefront6targetE1EEEvSI_.has_dyn_sized_stack, 0
	.set _ZN7rocprim17ROCPRIM_400000_NS6detail17trampoline_kernelINS0_14default_configENS1_35radix_sort_onesweep_config_selectorIiiEEZZNS1_29radix_sort_onesweep_iterationIS3_Lb1EN6thrust23THRUST_200600_302600_NS6detail15normal_iteratorINS8_10device_ptrIiEEEESD_SD_SD_jNS0_19identity_decomposerENS1_16block_id_wrapperIjLb1EEEEE10hipError_tT1_PNSt15iterator_traitsISI_E10value_typeET2_T3_PNSJ_ISO_E10value_typeET4_T5_PST_SU_PNS1_23onesweep_lookback_stateEbbT6_jjT7_P12ihipStream_tbENKUlT_T0_SI_SN_E_clIPiSD_S15_SD_EEDaS11_S12_SI_SN_EUlS11_E_NS1_11comp_targetILNS1_3genE9ELNS1_11target_archE1100ELNS1_3gpuE3ELNS1_3repE0EEENS1_47radix_sort_onesweep_sort_config_static_selectorELNS0_4arch9wavefront6targetE1EEEvSI_.has_recursion, 0
	.set _ZN7rocprim17ROCPRIM_400000_NS6detail17trampoline_kernelINS0_14default_configENS1_35radix_sort_onesweep_config_selectorIiiEEZZNS1_29radix_sort_onesweep_iterationIS3_Lb1EN6thrust23THRUST_200600_302600_NS6detail15normal_iteratorINS8_10device_ptrIiEEEESD_SD_SD_jNS0_19identity_decomposerENS1_16block_id_wrapperIjLb1EEEEE10hipError_tT1_PNSt15iterator_traitsISI_E10value_typeET2_T3_PNSJ_ISO_E10value_typeET4_T5_PST_SU_PNS1_23onesweep_lookback_stateEbbT6_jjT7_P12ihipStream_tbENKUlT_T0_SI_SN_E_clIPiSD_S15_SD_EEDaS11_S12_SI_SN_EUlS11_E_NS1_11comp_targetILNS1_3genE9ELNS1_11target_archE1100ELNS1_3gpuE3ELNS1_3repE0EEENS1_47radix_sort_onesweep_sort_config_static_selectorELNS0_4arch9wavefront6targetE1EEEvSI_.has_indirect_call, 0
	.section	.AMDGPU.csdata,"",@progbits
; Kernel info:
; codeLenInByte = 0
; TotalNumSgprs: 6
; NumVgprs: 0
; NumAgprs: 0
; TotalNumVgprs: 0
; ScratchSize: 0
; MemoryBound: 0
; FloatMode: 240
; IeeeMode: 1
; LDSByteSize: 0 bytes/workgroup (compile time only)
; SGPRBlocks: 0
; VGPRBlocks: 0
; NumSGPRsForWavesPerEU: 6
; NumVGPRsForWavesPerEU: 1
; AccumOffset: 4
; Occupancy: 8
; WaveLimiterHint : 0
; COMPUTE_PGM_RSRC2:SCRATCH_EN: 0
; COMPUTE_PGM_RSRC2:USER_SGPR: 2
; COMPUTE_PGM_RSRC2:TRAP_HANDLER: 0
; COMPUTE_PGM_RSRC2:TGID_X_EN: 1
; COMPUTE_PGM_RSRC2:TGID_Y_EN: 0
; COMPUTE_PGM_RSRC2:TGID_Z_EN: 0
; COMPUTE_PGM_RSRC2:TIDIG_COMP_CNT: 0
; COMPUTE_PGM_RSRC3_GFX90A:ACCUM_OFFSET: 0
; COMPUTE_PGM_RSRC3_GFX90A:TG_SPLIT: 0
	.section	.text._ZN7rocprim17ROCPRIM_400000_NS6detail17trampoline_kernelINS0_14default_configENS1_35radix_sort_onesweep_config_selectorIiiEEZZNS1_29radix_sort_onesweep_iterationIS3_Lb1EN6thrust23THRUST_200600_302600_NS6detail15normal_iteratorINS8_10device_ptrIiEEEESD_SD_SD_jNS0_19identity_decomposerENS1_16block_id_wrapperIjLb1EEEEE10hipError_tT1_PNSt15iterator_traitsISI_E10value_typeET2_T3_PNSJ_ISO_E10value_typeET4_T5_PST_SU_PNS1_23onesweep_lookback_stateEbbT6_jjT7_P12ihipStream_tbENKUlT_T0_SI_SN_E_clIPiSD_S15_SD_EEDaS11_S12_SI_SN_EUlS11_E_NS1_11comp_targetILNS1_3genE8ELNS1_11target_archE1030ELNS1_3gpuE2ELNS1_3repE0EEENS1_47radix_sort_onesweep_sort_config_static_selectorELNS0_4arch9wavefront6targetE1EEEvSI_,"axG",@progbits,_ZN7rocprim17ROCPRIM_400000_NS6detail17trampoline_kernelINS0_14default_configENS1_35radix_sort_onesweep_config_selectorIiiEEZZNS1_29radix_sort_onesweep_iterationIS3_Lb1EN6thrust23THRUST_200600_302600_NS6detail15normal_iteratorINS8_10device_ptrIiEEEESD_SD_SD_jNS0_19identity_decomposerENS1_16block_id_wrapperIjLb1EEEEE10hipError_tT1_PNSt15iterator_traitsISI_E10value_typeET2_T3_PNSJ_ISO_E10value_typeET4_T5_PST_SU_PNS1_23onesweep_lookback_stateEbbT6_jjT7_P12ihipStream_tbENKUlT_T0_SI_SN_E_clIPiSD_S15_SD_EEDaS11_S12_SI_SN_EUlS11_E_NS1_11comp_targetILNS1_3genE8ELNS1_11target_archE1030ELNS1_3gpuE2ELNS1_3repE0EEENS1_47radix_sort_onesweep_sort_config_static_selectorELNS0_4arch9wavefront6targetE1EEEvSI_,comdat
	.protected	_ZN7rocprim17ROCPRIM_400000_NS6detail17trampoline_kernelINS0_14default_configENS1_35radix_sort_onesweep_config_selectorIiiEEZZNS1_29radix_sort_onesweep_iterationIS3_Lb1EN6thrust23THRUST_200600_302600_NS6detail15normal_iteratorINS8_10device_ptrIiEEEESD_SD_SD_jNS0_19identity_decomposerENS1_16block_id_wrapperIjLb1EEEEE10hipError_tT1_PNSt15iterator_traitsISI_E10value_typeET2_T3_PNSJ_ISO_E10value_typeET4_T5_PST_SU_PNS1_23onesweep_lookback_stateEbbT6_jjT7_P12ihipStream_tbENKUlT_T0_SI_SN_E_clIPiSD_S15_SD_EEDaS11_S12_SI_SN_EUlS11_E_NS1_11comp_targetILNS1_3genE8ELNS1_11target_archE1030ELNS1_3gpuE2ELNS1_3repE0EEENS1_47radix_sort_onesweep_sort_config_static_selectorELNS0_4arch9wavefront6targetE1EEEvSI_ ; -- Begin function _ZN7rocprim17ROCPRIM_400000_NS6detail17trampoline_kernelINS0_14default_configENS1_35radix_sort_onesweep_config_selectorIiiEEZZNS1_29radix_sort_onesweep_iterationIS3_Lb1EN6thrust23THRUST_200600_302600_NS6detail15normal_iteratorINS8_10device_ptrIiEEEESD_SD_SD_jNS0_19identity_decomposerENS1_16block_id_wrapperIjLb1EEEEE10hipError_tT1_PNSt15iterator_traitsISI_E10value_typeET2_T3_PNSJ_ISO_E10value_typeET4_T5_PST_SU_PNS1_23onesweep_lookback_stateEbbT6_jjT7_P12ihipStream_tbENKUlT_T0_SI_SN_E_clIPiSD_S15_SD_EEDaS11_S12_SI_SN_EUlS11_E_NS1_11comp_targetILNS1_3genE8ELNS1_11target_archE1030ELNS1_3gpuE2ELNS1_3repE0EEENS1_47radix_sort_onesweep_sort_config_static_selectorELNS0_4arch9wavefront6targetE1EEEvSI_
	.globl	_ZN7rocprim17ROCPRIM_400000_NS6detail17trampoline_kernelINS0_14default_configENS1_35radix_sort_onesweep_config_selectorIiiEEZZNS1_29radix_sort_onesweep_iterationIS3_Lb1EN6thrust23THRUST_200600_302600_NS6detail15normal_iteratorINS8_10device_ptrIiEEEESD_SD_SD_jNS0_19identity_decomposerENS1_16block_id_wrapperIjLb1EEEEE10hipError_tT1_PNSt15iterator_traitsISI_E10value_typeET2_T3_PNSJ_ISO_E10value_typeET4_T5_PST_SU_PNS1_23onesweep_lookback_stateEbbT6_jjT7_P12ihipStream_tbENKUlT_T0_SI_SN_E_clIPiSD_S15_SD_EEDaS11_S12_SI_SN_EUlS11_E_NS1_11comp_targetILNS1_3genE8ELNS1_11target_archE1030ELNS1_3gpuE2ELNS1_3repE0EEENS1_47radix_sort_onesweep_sort_config_static_selectorELNS0_4arch9wavefront6targetE1EEEvSI_
	.p2align	8
	.type	_ZN7rocprim17ROCPRIM_400000_NS6detail17trampoline_kernelINS0_14default_configENS1_35radix_sort_onesweep_config_selectorIiiEEZZNS1_29radix_sort_onesweep_iterationIS3_Lb1EN6thrust23THRUST_200600_302600_NS6detail15normal_iteratorINS8_10device_ptrIiEEEESD_SD_SD_jNS0_19identity_decomposerENS1_16block_id_wrapperIjLb1EEEEE10hipError_tT1_PNSt15iterator_traitsISI_E10value_typeET2_T3_PNSJ_ISO_E10value_typeET4_T5_PST_SU_PNS1_23onesweep_lookback_stateEbbT6_jjT7_P12ihipStream_tbENKUlT_T0_SI_SN_E_clIPiSD_S15_SD_EEDaS11_S12_SI_SN_EUlS11_E_NS1_11comp_targetILNS1_3genE8ELNS1_11target_archE1030ELNS1_3gpuE2ELNS1_3repE0EEENS1_47radix_sort_onesweep_sort_config_static_selectorELNS0_4arch9wavefront6targetE1EEEvSI_,@function
_ZN7rocprim17ROCPRIM_400000_NS6detail17trampoline_kernelINS0_14default_configENS1_35radix_sort_onesweep_config_selectorIiiEEZZNS1_29radix_sort_onesweep_iterationIS3_Lb1EN6thrust23THRUST_200600_302600_NS6detail15normal_iteratorINS8_10device_ptrIiEEEESD_SD_SD_jNS0_19identity_decomposerENS1_16block_id_wrapperIjLb1EEEEE10hipError_tT1_PNSt15iterator_traitsISI_E10value_typeET2_T3_PNSJ_ISO_E10value_typeET4_T5_PST_SU_PNS1_23onesweep_lookback_stateEbbT6_jjT7_P12ihipStream_tbENKUlT_T0_SI_SN_E_clIPiSD_S15_SD_EEDaS11_S12_SI_SN_EUlS11_E_NS1_11comp_targetILNS1_3genE8ELNS1_11target_archE1030ELNS1_3gpuE2ELNS1_3repE0EEENS1_47radix_sort_onesweep_sort_config_static_selectorELNS0_4arch9wavefront6targetE1EEEvSI_: ; @_ZN7rocprim17ROCPRIM_400000_NS6detail17trampoline_kernelINS0_14default_configENS1_35radix_sort_onesweep_config_selectorIiiEEZZNS1_29radix_sort_onesweep_iterationIS3_Lb1EN6thrust23THRUST_200600_302600_NS6detail15normal_iteratorINS8_10device_ptrIiEEEESD_SD_SD_jNS0_19identity_decomposerENS1_16block_id_wrapperIjLb1EEEEE10hipError_tT1_PNSt15iterator_traitsISI_E10value_typeET2_T3_PNSJ_ISO_E10value_typeET4_T5_PST_SU_PNS1_23onesweep_lookback_stateEbbT6_jjT7_P12ihipStream_tbENKUlT_T0_SI_SN_E_clIPiSD_S15_SD_EEDaS11_S12_SI_SN_EUlS11_E_NS1_11comp_targetILNS1_3genE8ELNS1_11target_archE1030ELNS1_3gpuE2ELNS1_3repE0EEENS1_47radix_sort_onesweep_sort_config_static_selectorELNS0_4arch9wavefront6targetE1EEEvSI_
; %bb.0:
	.section	.rodata,"a",@progbits
	.p2align	6, 0x0
	.amdhsa_kernel _ZN7rocprim17ROCPRIM_400000_NS6detail17trampoline_kernelINS0_14default_configENS1_35radix_sort_onesweep_config_selectorIiiEEZZNS1_29radix_sort_onesweep_iterationIS3_Lb1EN6thrust23THRUST_200600_302600_NS6detail15normal_iteratorINS8_10device_ptrIiEEEESD_SD_SD_jNS0_19identity_decomposerENS1_16block_id_wrapperIjLb1EEEEE10hipError_tT1_PNSt15iterator_traitsISI_E10value_typeET2_T3_PNSJ_ISO_E10value_typeET4_T5_PST_SU_PNS1_23onesweep_lookback_stateEbbT6_jjT7_P12ihipStream_tbENKUlT_T0_SI_SN_E_clIPiSD_S15_SD_EEDaS11_S12_SI_SN_EUlS11_E_NS1_11comp_targetILNS1_3genE8ELNS1_11target_archE1030ELNS1_3gpuE2ELNS1_3repE0EEENS1_47radix_sort_onesweep_sort_config_static_selectorELNS0_4arch9wavefront6targetE1EEEvSI_
		.amdhsa_group_segment_fixed_size 0
		.amdhsa_private_segment_fixed_size 0
		.amdhsa_kernarg_size 88
		.amdhsa_user_sgpr_count 2
		.amdhsa_user_sgpr_dispatch_ptr 0
		.amdhsa_user_sgpr_queue_ptr 0
		.amdhsa_user_sgpr_kernarg_segment_ptr 1
		.amdhsa_user_sgpr_dispatch_id 0
		.amdhsa_user_sgpr_kernarg_preload_length 0
		.amdhsa_user_sgpr_kernarg_preload_offset 0
		.amdhsa_user_sgpr_private_segment_size 0
		.amdhsa_uses_dynamic_stack 0
		.amdhsa_enable_private_segment 0
		.amdhsa_system_sgpr_workgroup_id_x 1
		.amdhsa_system_sgpr_workgroup_id_y 0
		.amdhsa_system_sgpr_workgroup_id_z 0
		.amdhsa_system_sgpr_workgroup_info 0
		.amdhsa_system_vgpr_workitem_id 0
		.amdhsa_next_free_vgpr 1
		.amdhsa_next_free_sgpr 0
		.amdhsa_accum_offset 4
		.amdhsa_reserve_vcc 0
		.amdhsa_float_round_mode_32 0
		.amdhsa_float_round_mode_16_64 0
		.amdhsa_float_denorm_mode_32 3
		.amdhsa_float_denorm_mode_16_64 3
		.amdhsa_dx10_clamp 1
		.amdhsa_ieee_mode 1
		.amdhsa_fp16_overflow 0
		.amdhsa_tg_split 0
		.amdhsa_exception_fp_ieee_invalid_op 0
		.amdhsa_exception_fp_denorm_src 0
		.amdhsa_exception_fp_ieee_div_zero 0
		.amdhsa_exception_fp_ieee_overflow 0
		.amdhsa_exception_fp_ieee_underflow 0
		.amdhsa_exception_fp_ieee_inexact 0
		.amdhsa_exception_int_div_zero 0
	.end_amdhsa_kernel
	.section	.text._ZN7rocprim17ROCPRIM_400000_NS6detail17trampoline_kernelINS0_14default_configENS1_35radix_sort_onesweep_config_selectorIiiEEZZNS1_29radix_sort_onesweep_iterationIS3_Lb1EN6thrust23THRUST_200600_302600_NS6detail15normal_iteratorINS8_10device_ptrIiEEEESD_SD_SD_jNS0_19identity_decomposerENS1_16block_id_wrapperIjLb1EEEEE10hipError_tT1_PNSt15iterator_traitsISI_E10value_typeET2_T3_PNSJ_ISO_E10value_typeET4_T5_PST_SU_PNS1_23onesweep_lookback_stateEbbT6_jjT7_P12ihipStream_tbENKUlT_T0_SI_SN_E_clIPiSD_S15_SD_EEDaS11_S12_SI_SN_EUlS11_E_NS1_11comp_targetILNS1_3genE8ELNS1_11target_archE1030ELNS1_3gpuE2ELNS1_3repE0EEENS1_47radix_sort_onesweep_sort_config_static_selectorELNS0_4arch9wavefront6targetE1EEEvSI_,"axG",@progbits,_ZN7rocprim17ROCPRIM_400000_NS6detail17trampoline_kernelINS0_14default_configENS1_35radix_sort_onesweep_config_selectorIiiEEZZNS1_29radix_sort_onesweep_iterationIS3_Lb1EN6thrust23THRUST_200600_302600_NS6detail15normal_iteratorINS8_10device_ptrIiEEEESD_SD_SD_jNS0_19identity_decomposerENS1_16block_id_wrapperIjLb1EEEEE10hipError_tT1_PNSt15iterator_traitsISI_E10value_typeET2_T3_PNSJ_ISO_E10value_typeET4_T5_PST_SU_PNS1_23onesweep_lookback_stateEbbT6_jjT7_P12ihipStream_tbENKUlT_T0_SI_SN_E_clIPiSD_S15_SD_EEDaS11_S12_SI_SN_EUlS11_E_NS1_11comp_targetILNS1_3genE8ELNS1_11target_archE1030ELNS1_3gpuE2ELNS1_3repE0EEENS1_47radix_sort_onesweep_sort_config_static_selectorELNS0_4arch9wavefront6targetE1EEEvSI_,comdat
.Lfunc_end1863:
	.size	_ZN7rocprim17ROCPRIM_400000_NS6detail17trampoline_kernelINS0_14default_configENS1_35radix_sort_onesweep_config_selectorIiiEEZZNS1_29radix_sort_onesweep_iterationIS3_Lb1EN6thrust23THRUST_200600_302600_NS6detail15normal_iteratorINS8_10device_ptrIiEEEESD_SD_SD_jNS0_19identity_decomposerENS1_16block_id_wrapperIjLb1EEEEE10hipError_tT1_PNSt15iterator_traitsISI_E10value_typeET2_T3_PNSJ_ISO_E10value_typeET4_T5_PST_SU_PNS1_23onesweep_lookback_stateEbbT6_jjT7_P12ihipStream_tbENKUlT_T0_SI_SN_E_clIPiSD_S15_SD_EEDaS11_S12_SI_SN_EUlS11_E_NS1_11comp_targetILNS1_3genE8ELNS1_11target_archE1030ELNS1_3gpuE2ELNS1_3repE0EEENS1_47radix_sort_onesweep_sort_config_static_selectorELNS0_4arch9wavefront6targetE1EEEvSI_, .Lfunc_end1863-_ZN7rocprim17ROCPRIM_400000_NS6detail17trampoline_kernelINS0_14default_configENS1_35radix_sort_onesweep_config_selectorIiiEEZZNS1_29radix_sort_onesweep_iterationIS3_Lb1EN6thrust23THRUST_200600_302600_NS6detail15normal_iteratorINS8_10device_ptrIiEEEESD_SD_SD_jNS0_19identity_decomposerENS1_16block_id_wrapperIjLb1EEEEE10hipError_tT1_PNSt15iterator_traitsISI_E10value_typeET2_T3_PNSJ_ISO_E10value_typeET4_T5_PST_SU_PNS1_23onesweep_lookback_stateEbbT6_jjT7_P12ihipStream_tbENKUlT_T0_SI_SN_E_clIPiSD_S15_SD_EEDaS11_S12_SI_SN_EUlS11_E_NS1_11comp_targetILNS1_3genE8ELNS1_11target_archE1030ELNS1_3gpuE2ELNS1_3repE0EEENS1_47radix_sort_onesweep_sort_config_static_selectorELNS0_4arch9wavefront6targetE1EEEvSI_
                                        ; -- End function
	.set _ZN7rocprim17ROCPRIM_400000_NS6detail17trampoline_kernelINS0_14default_configENS1_35radix_sort_onesweep_config_selectorIiiEEZZNS1_29radix_sort_onesweep_iterationIS3_Lb1EN6thrust23THRUST_200600_302600_NS6detail15normal_iteratorINS8_10device_ptrIiEEEESD_SD_SD_jNS0_19identity_decomposerENS1_16block_id_wrapperIjLb1EEEEE10hipError_tT1_PNSt15iterator_traitsISI_E10value_typeET2_T3_PNSJ_ISO_E10value_typeET4_T5_PST_SU_PNS1_23onesweep_lookback_stateEbbT6_jjT7_P12ihipStream_tbENKUlT_T0_SI_SN_E_clIPiSD_S15_SD_EEDaS11_S12_SI_SN_EUlS11_E_NS1_11comp_targetILNS1_3genE8ELNS1_11target_archE1030ELNS1_3gpuE2ELNS1_3repE0EEENS1_47radix_sort_onesweep_sort_config_static_selectorELNS0_4arch9wavefront6targetE1EEEvSI_.num_vgpr, 0
	.set _ZN7rocprim17ROCPRIM_400000_NS6detail17trampoline_kernelINS0_14default_configENS1_35radix_sort_onesweep_config_selectorIiiEEZZNS1_29radix_sort_onesweep_iterationIS3_Lb1EN6thrust23THRUST_200600_302600_NS6detail15normal_iteratorINS8_10device_ptrIiEEEESD_SD_SD_jNS0_19identity_decomposerENS1_16block_id_wrapperIjLb1EEEEE10hipError_tT1_PNSt15iterator_traitsISI_E10value_typeET2_T3_PNSJ_ISO_E10value_typeET4_T5_PST_SU_PNS1_23onesweep_lookback_stateEbbT6_jjT7_P12ihipStream_tbENKUlT_T0_SI_SN_E_clIPiSD_S15_SD_EEDaS11_S12_SI_SN_EUlS11_E_NS1_11comp_targetILNS1_3genE8ELNS1_11target_archE1030ELNS1_3gpuE2ELNS1_3repE0EEENS1_47radix_sort_onesweep_sort_config_static_selectorELNS0_4arch9wavefront6targetE1EEEvSI_.num_agpr, 0
	.set _ZN7rocprim17ROCPRIM_400000_NS6detail17trampoline_kernelINS0_14default_configENS1_35radix_sort_onesweep_config_selectorIiiEEZZNS1_29radix_sort_onesweep_iterationIS3_Lb1EN6thrust23THRUST_200600_302600_NS6detail15normal_iteratorINS8_10device_ptrIiEEEESD_SD_SD_jNS0_19identity_decomposerENS1_16block_id_wrapperIjLb1EEEEE10hipError_tT1_PNSt15iterator_traitsISI_E10value_typeET2_T3_PNSJ_ISO_E10value_typeET4_T5_PST_SU_PNS1_23onesweep_lookback_stateEbbT6_jjT7_P12ihipStream_tbENKUlT_T0_SI_SN_E_clIPiSD_S15_SD_EEDaS11_S12_SI_SN_EUlS11_E_NS1_11comp_targetILNS1_3genE8ELNS1_11target_archE1030ELNS1_3gpuE2ELNS1_3repE0EEENS1_47radix_sort_onesweep_sort_config_static_selectorELNS0_4arch9wavefront6targetE1EEEvSI_.numbered_sgpr, 0
	.set _ZN7rocprim17ROCPRIM_400000_NS6detail17trampoline_kernelINS0_14default_configENS1_35radix_sort_onesweep_config_selectorIiiEEZZNS1_29radix_sort_onesweep_iterationIS3_Lb1EN6thrust23THRUST_200600_302600_NS6detail15normal_iteratorINS8_10device_ptrIiEEEESD_SD_SD_jNS0_19identity_decomposerENS1_16block_id_wrapperIjLb1EEEEE10hipError_tT1_PNSt15iterator_traitsISI_E10value_typeET2_T3_PNSJ_ISO_E10value_typeET4_T5_PST_SU_PNS1_23onesweep_lookback_stateEbbT6_jjT7_P12ihipStream_tbENKUlT_T0_SI_SN_E_clIPiSD_S15_SD_EEDaS11_S12_SI_SN_EUlS11_E_NS1_11comp_targetILNS1_3genE8ELNS1_11target_archE1030ELNS1_3gpuE2ELNS1_3repE0EEENS1_47radix_sort_onesweep_sort_config_static_selectorELNS0_4arch9wavefront6targetE1EEEvSI_.num_named_barrier, 0
	.set _ZN7rocprim17ROCPRIM_400000_NS6detail17trampoline_kernelINS0_14default_configENS1_35radix_sort_onesweep_config_selectorIiiEEZZNS1_29radix_sort_onesweep_iterationIS3_Lb1EN6thrust23THRUST_200600_302600_NS6detail15normal_iteratorINS8_10device_ptrIiEEEESD_SD_SD_jNS0_19identity_decomposerENS1_16block_id_wrapperIjLb1EEEEE10hipError_tT1_PNSt15iterator_traitsISI_E10value_typeET2_T3_PNSJ_ISO_E10value_typeET4_T5_PST_SU_PNS1_23onesweep_lookback_stateEbbT6_jjT7_P12ihipStream_tbENKUlT_T0_SI_SN_E_clIPiSD_S15_SD_EEDaS11_S12_SI_SN_EUlS11_E_NS1_11comp_targetILNS1_3genE8ELNS1_11target_archE1030ELNS1_3gpuE2ELNS1_3repE0EEENS1_47radix_sort_onesweep_sort_config_static_selectorELNS0_4arch9wavefront6targetE1EEEvSI_.private_seg_size, 0
	.set _ZN7rocprim17ROCPRIM_400000_NS6detail17trampoline_kernelINS0_14default_configENS1_35radix_sort_onesweep_config_selectorIiiEEZZNS1_29radix_sort_onesweep_iterationIS3_Lb1EN6thrust23THRUST_200600_302600_NS6detail15normal_iteratorINS8_10device_ptrIiEEEESD_SD_SD_jNS0_19identity_decomposerENS1_16block_id_wrapperIjLb1EEEEE10hipError_tT1_PNSt15iterator_traitsISI_E10value_typeET2_T3_PNSJ_ISO_E10value_typeET4_T5_PST_SU_PNS1_23onesweep_lookback_stateEbbT6_jjT7_P12ihipStream_tbENKUlT_T0_SI_SN_E_clIPiSD_S15_SD_EEDaS11_S12_SI_SN_EUlS11_E_NS1_11comp_targetILNS1_3genE8ELNS1_11target_archE1030ELNS1_3gpuE2ELNS1_3repE0EEENS1_47radix_sort_onesweep_sort_config_static_selectorELNS0_4arch9wavefront6targetE1EEEvSI_.uses_vcc, 0
	.set _ZN7rocprim17ROCPRIM_400000_NS6detail17trampoline_kernelINS0_14default_configENS1_35radix_sort_onesweep_config_selectorIiiEEZZNS1_29radix_sort_onesweep_iterationIS3_Lb1EN6thrust23THRUST_200600_302600_NS6detail15normal_iteratorINS8_10device_ptrIiEEEESD_SD_SD_jNS0_19identity_decomposerENS1_16block_id_wrapperIjLb1EEEEE10hipError_tT1_PNSt15iterator_traitsISI_E10value_typeET2_T3_PNSJ_ISO_E10value_typeET4_T5_PST_SU_PNS1_23onesweep_lookback_stateEbbT6_jjT7_P12ihipStream_tbENKUlT_T0_SI_SN_E_clIPiSD_S15_SD_EEDaS11_S12_SI_SN_EUlS11_E_NS1_11comp_targetILNS1_3genE8ELNS1_11target_archE1030ELNS1_3gpuE2ELNS1_3repE0EEENS1_47radix_sort_onesweep_sort_config_static_selectorELNS0_4arch9wavefront6targetE1EEEvSI_.uses_flat_scratch, 0
	.set _ZN7rocprim17ROCPRIM_400000_NS6detail17trampoline_kernelINS0_14default_configENS1_35radix_sort_onesweep_config_selectorIiiEEZZNS1_29radix_sort_onesweep_iterationIS3_Lb1EN6thrust23THRUST_200600_302600_NS6detail15normal_iteratorINS8_10device_ptrIiEEEESD_SD_SD_jNS0_19identity_decomposerENS1_16block_id_wrapperIjLb1EEEEE10hipError_tT1_PNSt15iterator_traitsISI_E10value_typeET2_T3_PNSJ_ISO_E10value_typeET4_T5_PST_SU_PNS1_23onesweep_lookback_stateEbbT6_jjT7_P12ihipStream_tbENKUlT_T0_SI_SN_E_clIPiSD_S15_SD_EEDaS11_S12_SI_SN_EUlS11_E_NS1_11comp_targetILNS1_3genE8ELNS1_11target_archE1030ELNS1_3gpuE2ELNS1_3repE0EEENS1_47radix_sort_onesweep_sort_config_static_selectorELNS0_4arch9wavefront6targetE1EEEvSI_.has_dyn_sized_stack, 0
	.set _ZN7rocprim17ROCPRIM_400000_NS6detail17trampoline_kernelINS0_14default_configENS1_35radix_sort_onesweep_config_selectorIiiEEZZNS1_29radix_sort_onesweep_iterationIS3_Lb1EN6thrust23THRUST_200600_302600_NS6detail15normal_iteratorINS8_10device_ptrIiEEEESD_SD_SD_jNS0_19identity_decomposerENS1_16block_id_wrapperIjLb1EEEEE10hipError_tT1_PNSt15iterator_traitsISI_E10value_typeET2_T3_PNSJ_ISO_E10value_typeET4_T5_PST_SU_PNS1_23onesweep_lookback_stateEbbT6_jjT7_P12ihipStream_tbENKUlT_T0_SI_SN_E_clIPiSD_S15_SD_EEDaS11_S12_SI_SN_EUlS11_E_NS1_11comp_targetILNS1_3genE8ELNS1_11target_archE1030ELNS1_3gpuE2ELNS1_3repE0EEENS1_47radix_sort_onesweep_sort_config_static_selectorELNS0_4arch9wavefront6targetE1EEEvSI_.has_recursion, 0
	.set _ZN7rocprim17ROCPRIM_400000_NS6detail17trampoline_kernelINS0_14default_configENS1_35radix_sort_onesweep_config_selectorIiiEEZZNS1_29radix_sort_onesweep_iterationIS3_Lb1EN6thrust23THRUST_200600_302600_NS6detail15normal_iteratorINS8_10device_ptrIiEEEESD_SD_SD_jNS0_19identity_decomposerENS1_16block_id_wrapperIjLb1EEEEE10hipError_tT1_PNSt15iterator_traitsISI_E10value_typeET2_T3_PNSJ_ISO_E10value_typeET4_T5_PST_SU_PNS1_23onesweep_lookback_stateEbbT6_jjT7_P12ihipStream_tbENKUlT_T0_SI_SN_E_clIPiSD_S15_SD_EEDaS11_S12_SI_SN_EUlS11_E_NS1_11comp_targetILNS1_3genE8ELNS1_11target_archE1030ELNS1_3gpuE2ELNS1_3repE0EEENS1_47radix_sort_onesweep_sort_config_static_selectorELNS0_4arch9wavefront6targetE1EEEvSI_.has_indirect_call, 0
	.section	.AMDGPU.csdata,"",@progbits
; Kernel info:
; codeLenInByte = 0
; TotalNumSgprs: 6
; NumVgprs: 0
; NumAgprs: 0
; TotalNumVgprs: 0
; ScratchSize: 0
; MemoryBound: 0
; FloatMode: 240
; IeeeMode: 1
; LDSByteSize: 0 bytes/workgroup (compile time only)
; SGPRBlocks: 0
; VGPRBlocks: 0
; NumSGPRsForWavesPerEU: 6
; NumVGPRsForWavesPerEU: 1
; AccumOffset: 4
; Occupancy: 8
; WaveLimiterHint : 0
; COMPUTE_PGM_RSRC2:SCRATCH_EN: 0
; COMPUTE_PGM_RSRC2:USER_SGPR: 2
; COMPUTE_PGM_RSRC2:TRAP_HANDLER: 0
; COMPUTE_PGM_RSRC2:TGID_X_EN: 1
; COMPUTE_PGM_RSRC2:TGID_Y_EN: 0
; COMPUTE_PGM_RSRC2:TGID_Z_EN: 0
; COMPUTE_PGM_RSRC2:TIDIG_COMP_CNT: 0
; COMPUTE_PGM_RSRC3_GFX90A:ACCUM_OFFSET: 0
; COMPUTE_PGM_RSRC3_GFX90A:TG_SPLIT: 0
	.section	.text._ZN7rocprim17ROCPRIM_400000_NS6detail17trampoline_kernelINS0_14default_configENS1_35radix_sort_onesweep_config_selectorIiiEEZZNS1_29radix_sort_onesweep_iterationIS3_Lb1EN6thrust23THRUST_200600_302600_NS6detail15normal_iteratorINS8_10device_ptrIiEEEESD_SD_SD_jNS0_19identity_decomposerENS1_16block_id_wrapperIjLb0EEEEE10hipError_tT1_PNSt15iterator_traitsISI_E10value_typeET2_T3_PNSJ_ISO_E10value_typeET4_T5_PST_SU_PNS1_23onesweep_lookback_stateEbbT6_jjT7_P12ihipStream_tbENKUlT_T0_SI_SN_E_clISD_SD_SD_SD_EEDaS11_S12_SI_SN_EUlS11_E_NS1_11comp_targetILNS1_3genE0ELNS1_11target_archE4294967295ELNS1_3gpuE0ELNS1_3repE0EEENS1_47radix_sort_onesweep_sort_config_static_selectorELNS0_4arch9wavefront6targetE1EEEvSI_,"axG",@progbits,_ZN7rocprim17ROCPRIM_400000_NS6detail17trampoline_kernelINS0_14default_configENS1_35radix_sort_onesweep_config_selectorIiiEEZZNS1_29radix_sort_onesweep_iterationIS3_Lb1EN6thrust23THRUST_200600_302600_NS6detail15normal_iteratorINS8_10device_ptrIiEEEESD_SD_SD_jNS0_19identity_decomposerENS1_16block_id_wrapperIjLb0EEEEE10hipError_tT1_PNSt15iterator_traitsISI_E10value_typeET2_T3_PNSJ_ISO_E10value_typeET4_T5_PST_SU_PNS1_23onesweep_lookback_stateEbbT6_jjT7_P12ihipStream_tbENKUlT_T0_SI_SN_E_clISD_SD_SD_SD_EEDaS11_S12_SI_SN_EUlS11_E_NS1_11comp_targetILNS1_3genE0ELNS1_11target_archE4294967295ELNS1_3gpuE0ELNS1_3repE0EEENS1_47radix_sort_onesweep_sort_config_static_selectorELNS0_4arch9wavefront6targetE1EEEvSI_,comdat
	.protected	_ZN7rocprim17ROCPRIM_400000_NS6detail17trampoline_kernelINS0_14default_configENS1_35radix_sort_onesweep_config_selectorIiiEEZZNS1_29radix_sort_onesweep_iterationIS3_Lb1EN6thrust23THRUST_200600_302600_NS6detail15normal_iteratorINS8_10device_ptrIiEEEESD_SD_SD_jNS0_19identity_decomposerENS1_16block_id_wrapperIjLb0EEEEE10hipError_tT1_PNSt15iterator_traitsISI_E10value_typeET2_T3_PNSJ_ISO_E10value_typeET4_T5_PST_SU_PNS1_23onesweep_lookback_stateEbbT6_jjT7_P12ihipStream_tbENKUlT_T0_SI_SN_E_clISD_SD_SD_SD_EEDaS11_S12_SI_SN_EUlS11_E_NS1_11comp_targetILNS1_3genE0ELNS1_11target_archE4294967295ELNS1_3gpuE0ELNS1_3repE0EEENS1_47radix_sort_onesweep_sort_config_static_selectorELNS0_4arch9wavefront6targetE1EEEvSI_ ; -- Begin function _ZN7rocprim17ROCPRIM_400000_NS6detail17trampoline_kernelINS0_14default_configENS1_35radix_sort_onesweep_config_selectorIiiEEZZNS1_29radix_sort_onesweep_iterationIS3_Lb1EN6thrust23THRUST_200600_302600_NS6detail15normal_iteratorINS8_10device_ptrIiEEEESD_SD_SD_jNS0_19identity_decomposerENS1_16block_id_wrapperIjLb0EEEEE10hipError_tT1_PNSt15iterator_traitsISI_E10value_typeET2_T3_PNSJ_ISO_E10value_typeET4_T5_PST_SU_PNS1_23onesweep_lookback_stateEbbT6_jjT7_P12ihipStream_tbENKUlT_T0_SI_SN_E_clISD_SD_SD_SD_EEDaS11_S12_SI_SN_EUlS11_E_NS1_11comp_targetILNS1_3genE0ELNS1_11target_archE4294967295ELNS1_3gpuE0ELNS1_3repE0EEENS1_47radix_sort_onesweep_sort_config_static_selectorELNS0_4arch9wavefront6targetE1EEEvSI_
	.globl	_ZN7rocprim17ROCPRIM_400000_NS6detail17trampoline_kernelINS0_14default_configENS1_35radix_sort_onesweep_config_selectorIiiEEZZNS1_29radix_sort_onesweep_iterationIS3_Lb1EN6thrust23THRUST_200600_302600_NS6detail15normal_iteratorINS8_10device_ptrIiEEEESD_SD_SD_jNS0_19identity_decomposerENS1_16block_id_wrapperIjLb0EEEEE10hipError_tT1_PNSt15iterator_traitsISI_E10value_typeET2_T3_PNSJ_ISO_E10value_typeET4_T5_PST_SU_PNS1_23onesweep_lookback_stateEbbT6_jjT7_P12ihipStream_tbENKUlT_T0_SI_SN_E_clISD_SD_SD_SD_EEDaS11_S12_SI_SN_EUlS11_E_NS1_11comp_targetILNS1_3genE0ELNS1_11target_archE4294967295ELNS1_3gpuE0ELNS1_3repE0EEENS1_47radix_sort_onesweep_sort_config_static_selectorELNS0_4arch9wavefront6targetE1EEEvSI_
	.p2align	8
	.type	_ZN7rocprim17ROCPRIM_400000_NS6detail17trampoline_kernelINS0_14default_configENS1_35radix_sort_onesweep_config_selectorIiiEEZZNS1_29radix_sort_onesweep_iterationIS3_Lb1EN6thrust23THRUST_200600_302600_NS6detail15normal_iteratorINS8_10device_ptrIiEEEESD_SD_SD_jNS0_19identity_decomposerENS1_16block_id_wrapperIjLb0EEEEE10hipError_tT1_PNSt15iterator_traitsISI_E10value_typeET2_T3_PNSJ_ISO_E10value_typeET4_T5_PST_SU_PNS1_23onesweep_lookback_stateEbbT6_jjT7_P12ihipStream_tbENKUlT_T0_SI_SN_E_clISD_SD_SD_SD_EEDaS11_S12_SI_SN_EUlS11_E_NS1_11comp_targetILNS1_3genE0ELNS1_11target_archE4294967295ELNS1_3gpuE0ELNS1_3repE0EEENS1_47radix_sort_onesweep_sort_config_static_selectorELNS0_4arch9wavefront6targetE1EEEvSI_,@function
_ZN7rocprim17ROCPRIM_400000_NS6detail17trampoline_kernelINS0_14default_configENS1_35radix_sort_onesweep_config_selectorIiiEEZZNS1_29radix_sort_onesweep_iterationIS3_Lb1EN6thrust23THRUST_200600_302600_NS6detail15normal_iteratorINS8_10device_ptrIiEEEESD_SD_SD_jNS0_19identity_decomposerENS1_16block_id_wrapperIjLb0EEEEE10hipError_tT1_PNSt15iterator_traitsISI_E10value_typeET2_T3_PNSJ_ISO_E10value_typeET4_T5_PST_SU_PNS1_23onesweep_lookback_stateEbbT6_jjT7_P12ihipStream_tbENKUlT_T0_SI_SN_E_clISD_SD_SD_SD_EEDaS11_S12_SI_SN_EUlS11_E_NS1_11comp_targetILNS1_3genE0ELNS1_11target_archE4294967295ELNS1_3gpuE0ELNS1_3repE0EEENS1_47radix_sort_onesweep_sort_config_static_selectorELNS0_4arch9wavefront6targetE1EEEvSI_: ; @_ZN7rocprim17ROCPRIM_400000_NS6detail17trampoline_kernelINS0_14default_configENS1_35radix_sort_onesweep_config_selectorIiiEEZZNS1_29radix_sort_onesweep_iterationIS3_Lb1EN6thrust23THRUST_200600_302600_NS6detail15normal_iteratorINS8_10device_ptrIiEEEESD_SD_SD_jNS0_19identity_decomposerENS1_16block_id_wrapperIjLb0EEEEE10hipError_tT1_PNSt15iterator_traitsISI_E10value_typeET2_T3_PNSJ_ISO_E10value_typeET4_T5_PST_SU_PNS1_23onesweep_lookback_stateEbbT6_jjT7_P12ihipStream_tbENKUlT_T0_SI_SN_E_clISD_SD_SD_SD_EEDaS11_S12_SI_SN_EUlS11_E_NS1_11comp_targetILNS1_3genE0ELNS1_11target_archE4294967295ELNS1_3gpuE0ELNS1_3repE0EEENS1_47radix_sort_onesweep_sort_config_static_selectorELNS0_4arch9wavefront6targetE1EEEvSI_
; %bb.0:
	.section	.rodata,"a",@progbits
	.p2align	6, 0x0
	.amdhsa_kernel _ZN7rocprim17ROCPRIM_400000_NS6detail17trampoline_kernelINS0_14default_configENS1_35radix_sort_onesweep_config_selectorIiiEEZZNS1_29radix_sort_onesweep_iterationIS3_Lb1EN6thrust23THRUST_200600_302600_NS6detail15normal_iteratorINS8_10device_ptrIiEEEESD_SD_SD_jNS0_19identity_decomposerENS1_16block_id_wrapperIjLb0EEEEE10hipError_tT1_PNSt15iterator_traitsISI_E10value_typeET2_T3_PNSJ_ISO_E10value_typeET4_T5_PST_SU_PNS1_23onesweep_lookback_stateEbbT6_jjT7_P12ihipStream_tbENKUlT_T0_SI_SN_E_clISD_SD_SD_SD_EEDaS11_S12_SI_SN_EUlS11_E_NS1_11comp_targetILNS1_3genE0ELNS1_11target_archE4294967295ELNS1_3gpuE0ELNS1_3repE0EEENS1_47radix_sort_onesweep_sort_config_static_selectorELNS0_4arch9wavefront6targetE1EEEvSI_
		.amdhsa_group_segment_fixed_size 0
		.amdhsa_private_segment_fixed_size 0
		.amdhsa_kernarg_size 88
		.amdhsa_user_sgpr_count 2
		.amdhsa_user_sgpr_dispatch_ptr 0
		.amdhsa_user_sgpr_queue_ptr 0
		.amdhsa_user_sgpr_kernarg_segment_ptr 1
		.amdhsa_user_sgpr_dispatch_id 0
		.amdhsa_user_sgpr_kernarg_preload_length 0
		.amdhsa_user_sgpr_kernarg_preload_offset 0
		.amdhsa_user_sgpr_private_segment_size 0
		.amdhsa_uses_dynamic_stack 0
		.amdhsa_enable_private_segment 0
		.amdhsa_system_sgpr_workgroup_id_x 1
		.amdhsa_system_sgpr_workgroup_id_y 0
		.amdhsa_system_sgpr_workgroup_id_z 0
		.amdhsa_system_sgpr_workgroup_info 0
		.amdhsa_system_vgpr_workitem_id 0
		.amdhsa_next_free_vgpr 1
		.amdhsa_next_free_sgpr 0
		.amdhsa_accum_offset 4
		.amdhsa_reserve_vcc 0
		.amdhsa_float_round_mode_32 0
		.amdhsa_float_round_mode_16_64 0
		.amdhsa_float_denorm_mode_32 3
		.amdhsa_float_denorm_mode_16_64 3
		.amdhsa_dx10_clamp 1
		.amdhsa_ieee_mode 1
		.amdhsa_fp16_overflow 0
		.amdhsa_tg_split 0
		.amdhsa_exception_fp_ieee_invalid_op 0
		.amdhsa_exception_fp_denorm_src 0
		.amdhsa_exception_fp_ieee_div_zero 0
		.amdhsa_exception_fp_ieee_overflow 0
		.amdhsa_exception_fp_ieee_underflow 0
		.amdhsa_exception_fp_ieee_inexact 0
		.amdhsa_exception_int_div_zero 0
	.end_amdhsa_kernel
	.section	.text._ZN7rocprim17ROCPRIM_400000_NS6detail17trampoline_kernelINS0_14default_configENS1_35radix_sort_onesweep_config_selectorIiiEEZZNS1_29radix_sort_onesweep_iterationIS3_Lb1EN6thrust23THRUST_200600_302600_NS6detail15normal_iteratorINS8_10device_ptrIiEEEESD_SD_SD_jNS0_19identity_decomposerENS1_16block_id_wrapperIjLb0EEEEE10hipError_tT1_PNSt15iterator_traitsISI_E10value_typeET2_T3_PNSJ_ISO_E10value_typeET4_T5_PST_SU_PNS1_23onesweep_lookback_stateEbbT6_jjT7_P12ihipStream_tbENKUlT_T0_SI_SN_E_clISD_SD_SD_SD_EEDaS11_S12_SI_SN_EUlS11_E_NS1_11comp_targetILNS1_3genE0ELNS1_11target_archE4294967295ELNS1_3gpuE0ELNS1_3repE0EEENS1_47radix_sort_onesweep_sort_config_static_selectorELNS0_4arch9wavefront6targetE1EEEvSI_,"axG",@progbits,_ZN7rocprim17ROCPRIM_400000_NS6detail17trampoline_kernelINS0_14default_configENS1_35radix_sort_onesweep_config_selectorIiiEEZZNS1_29radix_sort_onesweep_iterationIS3_Lb1EN6thrust23THRUST_200600_302600_NS6detail15normal_iteratorINS8_10device_ptrIiEEEESD_SD_SD_jNS0_19identity_decomposerENS1_16block_id_wrapperIjLb0EEEEE10hipError_tT1_PNSt15iterator_traitsISI_E10value_typeET2_T3_PNSJ_ISO_E10value_typeET4_T5_PST_SU_PNS1_23onesweep_lookback_stateEbbT6_jjT7_P12ihipStream_tbENKUlT_T0_SI_SN_E_clISD_SD_SD_SD_EEDaS11_S12_SI_SN_EUlS11_E_NS1_11comp_targetILNS1_3genE0ELNS1_11target_archE4294967295ELNS1_3gpuE0ELNS1_3repE0EEENS1_47radix_sort_onesweep_sort_config_static_selectorELNS0_4arch9wavefront6targetE1EEEvSI_,comdat
.Lfunc_end1864:
	.size	_ZN7rocprim17ROCPRIM_400000_NS6detail17trampoline_kernelINS0_14default_configENS1_35radix_sort_onesweep_config_selectorIiiEEZZNS1_29radix_sort_onesweep_iterationIS3_Lb1EN6thrust23THRUST_200600_302600_NS6detail15normal_iteratorINS8_10device_ptrIiEEEESD_SD_SD_jNS0_19identity_decomposerENS1_16block_id_wrapperIjLb0EEEEE10hipError_tT1_PNSt15iterator_traitsISI_E10value_typeET2_T3_PNSJ_ISO_E10value_typeET4_T5_PST_SU_PNS1_23onesweep_lookback_stateEbbT6_jjT7_P12ihipStream_tbENKUlT_T0_SI_SN_E_clISD_SD_SD_SD_EEDaS11_S12_SI_SN_EUlS11_E_NS1_11comp_targetILNS1_3genE0ELNS1_11target_archE4294967295ELNS1_3gpuE0ELNS1_3repE0EEENS1_47radix_sort_onesweep_sort_config_static_selectorELNS0_4arch9wavefront6targetE1EEEvSI_, .Lfunc_end1864-_ZN7rocprim17ROCPRIM_400000_NS6detail17trampoline_kernelINS0_14default_configENS1_35radix_sort_onesweep_config_selectorIiiEEZZNS1_29radix_sort_onesweep_iterationIS3_Lb1EN6thrust23THRUST_200600_302600_NS6detail15normal_iteratorINS8_10device_ptrIiEEEESD_SD_SD_jNS0_19identity_decomposerENS1_16block_id_wrapperIjLb0EEEEE10hipError_tT1_PNSt15iterator_traitsISI_E10value_typeET2_T3_PNSJ_ISO_E10value_typeET4_T5_PST_SU_PNS1_23onesweep_lookback_stateEbbT6_jjT7_P12ihipStream_tbENKUlT_T0_SI_SN_E_clISD_SD_SD_SD_EEDaS11_S12_SI_SN_EUlS11_E_NS1_11comp_targetILNS1_3genE0ELNS1_11target_archE4294967295ELNS1_3gpuE0ELNS1_3repE0EEENS1_47radix_sort_onesweep_sort_config_static_selectorELNS0_4arch9wavefront6targetE1EEEvSI_
                                        ; -- End function
	.set _ZN7rocprim17ROCPRIM_400000_NS6detail17trampoline_kernelINS0_14default_configENS1_35radix_sort_onesweep_config_selectorIiiEEZZNS1_29radix_sort_onesweep_iterationIS3_Lb1EN6thrust23THRUST_200600_302600_NS6detail15normal_iteratorINS8_10device_ptrIiEEEESD_SD_SD_jNS0_19identity_decomposerENS1_16block_id_wrapperIjLb0EEEEE10hipError_tT1_PNSt15iterator_traitsISI_E10value_typeET2_T3_PNSJ_ISO_E10value_typeET4_T5_PST_SU_PNS1_23onesweep_lookback_stateEbbT6_jjT7_P12ihipStream_tbENKUlT_T0_SI_SN_E_clISD_SD_SD_SD_EEDaS11_S12_SI_SN_EUlS11_E_NS1_11comp_targetILNS1_3genE0ELNS1_11target_archE4294967295ELNS1_3gpuE0ELNS1_3repE0EEENS1_47radix_sort_onesweep_sort_config_static_selectorELNS0_4arch9wavefront6targetE1EEEvSI_.num_vgpr, 0
	.set _ZN7rocprim17ROCPRIM_400000_NS6detail17trampoline_kernelINS0_14default_configENS1_35radix_sort_onesweep_config_selectorIiiEEZZNS1_29radix_sort_onesweep_iterationIS3_Lb1EN6thrust23THRUST_200600_302600_NS6detail15normal_iteratorINS8_10device_ptrIiEEEESD_SD_SD_jNS0_19identity_decomposerENS1_16block_id_wrapperIjLb0EEEEE10hipError_tT1_PNSt15iterator_traitsISI_E10value_typeET2_T3_PNSJ_ISO_E10value_typeET4_T5_PST_SU_PNS1_23onesweep_lookback_stateEbbT6_jjT7_P12ihipStream_tbENKUlT_T0_SI_SN_E_clISD_SD_SD_SD_EEDaS11_S12_SI_SN_EUlS11_E_NS1_11comp_targetILNS1_3genE0ELNS1_11target_archE4294967295ELNS1_3gpuE0ELNS1_3repE0EEENS1_47radix_sort_onesweep_sort_config_static_selectorELNS0_4arch9wavefront6targetE1EEEvSI_.num_agpr, 0
	.set _ZN7rocprim17ROCPRIM_400000_NS6detail17trampoline_kernelINS0_14default_configENS1_35radix_sort_onesweep_config_selectorIiiEEZZNS1_29radix_sort_onesweep_iterationIS3_Lb1EN6thrust23THRUST_200600_302600_NS6detail15normal_iteratorINS8_10device_ptrIiEEEESD_SD_SD_jNS0_19identity_decomposerENS1_16block_id_wrapperIjLb0EEEEE10hipError_tT1_PNSt15iterator_traitsISI_E10value_typeET2_T3_PNSJ_ISO_E10value_typeET4_T5_PST_SU_PNS1_23onesweep_lookback_stateEbbT6_jjT7_P12ihipStream_tbENKUlT_T0_SI_SN_E_clISD_SD_SD_SD_EEDaS11_S12_SI_SN_EUlS11_E_NS1_11comp_targetILNS1_3genE0ELNS1_11target_archE4294967295ELNS1_3gpuE0ELNS1_3repE0EEENS1_47radix_sort_onesweep_sort_config_static_selectorELNS0_4arch9wavefront6targetE1EEEvSI_.numbered_sgpr, 0
	.set _ZN7rocprim17ROCPRIM_400000_NS6detail17trampoline_kernelINS0_14default_configENS1_35radix_sort_onesweep_config_selectorIiiEEZZNS1_29radix_sort_onesweep_iterationIS3_Lb1EN6thrust23THRUST_200600_302600_NS6detail15normal_iteratorINS8_10device_ptrIiEEEESD_SD_SD_jNS0_19identity_decomposerENS1_16block_id_wrapperIjLb0EEEEE10hipError_tT1_PNSt15iterator_traitsISI_E10value_typeET2_T3_PNSJ_ISO_E10value_typeET4_T5_PST_SU_PNS1_23onesweep_lookback_stateEbbT6_jjT7_P12ihipStream_tbENKUlT_T0_SI_SN_E_clISD_SD_SD_SD_EEDaS11_S12_SI_SN_EUlS11_E_NS1_11comp_targetILNS1_3genE0ELNS1_11target_archE4294967295ELNS1_3gpuE0ELNS1_3repE0EEENS1_47radix_sort_onesweep_sort_config_static_selectorELNS0_4arch9wavefront6targetE1EEEvSI_.num_named_barrier, 0
	.set _ZN7rocprim17ROCPRIM_400000_NS6detail17trampoline_kernelINS0_14default_configENS1_35radix_sort_onesweep_config_selectorIiiEEZZNS1_29radix_sort_onesweep_iterationIS3_Lb1EN6thrust23THRUST_200600_302600_NS6detail15normal_iteratorINS8_10device_ptrIiEEEESD_SD_SD_jNS0_19identity_decomposerENS1_16block_id_wrapperIjLb0EEEEE10hipError_tT1_PNSt15iterator_traitsISI_E10value_typeET2_T3_PNSJ_ISO_E10value_typeET4_T5_PST_SU_PNS1_23onesweep_lookback_stateEbbT6_jjT7_P12ihipStream_tbENKUlT_T0_SI_SN_E_clISD_SD_SD_SD_EEDaS11_S12_SI_SN_EUlS11_E_NS1_11comp_targetILNS1_3genE0ELNS1_11target_archE4294967295ELNS1_3gpuE0ELNS1_3repE0EEENS1_47radix_sort_onesweep_sort_config_static_selectorELNS0_4arch9wavefront6targetE1EEEvSI_.private_seg_size, 0
	.set _ZN7rocprim17ROCPRIM_400000_NS6detail17trampoline_kernelINS0_14default_configENS1_35radix_sort_onesweep_config_selectorIiiEEZZNS1_29radix_sort_onesweep_iterationIS3_Lb1EN6thrust23THRUST_200600_302600_NS6detail15normal_iteratorINS8_10device_ptrIiEEEESD_SD_SD_jNS0_19identity_decomposerENS1_16block_id_wrapperIjLb0EEEEE10hipError_tT1_PNSt15iterator_traitsISI_E10value_typeET2_T3_PNSJ_ISO_E10value_typeET4_T5_PST_SU_PNS1_23onesweep_lookback_stateEbbT6_jjT7_P12ihipStream_tbENKUlT_T0_SI_SN_E_clISD_SD_SD_SD_EEDaS11_S12_SI_SN_EUlS11_E_NS1_11comp_targetILNS1_3genE0ELNS1_11target_archE4294967295ELNS1_3gpuE0ELNS1_3repE0EEENS1_47radix_sort_onesweep_sort_config_static_selectorELNS0_4arch9wavefront6targetE1EEEvSI_.uses_vcc, 0
	.set _ZN7rocprim17ROCPRIM_400000_NS6detail17trampoline_kernelINS0_14default_configENS1_35radix_sort_onesweep_config_selectorIiiEEZZNS1_29radix_sort_onesweep_iterationIS3_Lb1EN6thrust23THRUST_200600_302600_NS6detail15normal_iteratorINS8_10device_ptrIiEEEESD_SD_SD_jNS0_19identity_decomposerENS1_16block_id_wrapperIjLb0EEEEE10hipError_tT1_PNSt15iterator_traitsISI_E10value_typeET2_T3_PNSJ_ISO_E10value_typeET4_T5_PST_SU_PNS1_23onesweep_lookback_stateEbbT6_jjT7_P12ihipStream_tbENKUlT_T0_SI_SN_E_clISD_SD_SD_SD_EEDaS11_S12_SI_SN_EUlS11_E_NS1_11comp_targetILNS1_3genE0ELNS1_11target_archE4294967295ELNS1_3gpuE0ELNS1_3repE0EEENS1_47radix_sort_onesweep_sort_config_static_selectorELNS0_4arch9wavefront6targetE1EEEvSI_.uses_flat_scratch, 0
	.set _ZN7rocprim17ROCPRIM_400000_NS6detail17trampoline_kernelINS0_14default_configENS1_35radix_sort_onesweep_config_selectorIiiEEZZNS1_29radix_sort_onesweep_iterationIS3_Lb1EN6thrust23THRUST_200600_302600_NS6detail15normal_iteratorINS8_10device_ptrIiEEEESD_SD_SD_jNS0_19identity_decomposerENS1_16block_id_wrapperIjLb0EEEEE10hipError_tT1_PNSt15iterator_traitsISI_E10value_typeET2_T3_PNSJ_ISO_E10value_typeET4_T5_PST_SU_PNS1_23onesweep_lookback_stateEbbT6_jjT7_P12ihipStream_tbENKUlT_T0_SI_SN_E_clISD_SD_SD_SD_EEDaS11_S12_SI_SN_EUlS11_E_NS1_11comp_targetILNS1_3genE0ELNS1_11target_archE4294967295ELNS1_3gpuE0ELNS1_3repE0EEENS1_47radix_sort_onesweep_sort_config_static_selectorELNS0_4arch9wavefront6targetE1EEEvSI_.has_dyn_sized_stack, 0
	.set _ZN7rocprim17ROCPRIM_400000_NS6detail17trampoline_kernelINS0_14default_configENS1_35radix_sort_onesweep_config_selectorIiiEEZZNS1_29radix_sort_onesweep_iterationIS3_Lb1EN6thrust23THRUST_200600_302600_NS6detail15normal_iteratorINS8_10device_ptrIiEEEESD_SD_SD_jNS0_19identity_decomposerENS1_16block_id_wrapperIjLb0EEEEE10hipError_tT1_PNSt15iterator_traitsISI_E10value_typeET2_T3_PNSJ_ISO_E10value_typeET4_T5_PST_SU_PNS1_23onesweep_lookback_stateEbbT6_jjT7_P12ihipStream_tbENKUlT_T0_SI_SN_E_clISD_SD_SD_SD_EEDaS11_S12_SI_SN_EUlS11_E_NS1_11comp_targetILNS1_3genE0ELNS1_11target_archE4294967295ELNS1_3gpuE0ELNS1_3repE0EEENS1_47radix_sort_onesweep_sort_config_static_selectorELNS0_4arch9wavefront6targetE1EEEvSI_.has_recursion, 0
	.set _ZN7rocprim17ROCPRIM_400000_NS6detail17trampoline_kernelINS0_14default_configENS1_35radix_sort_onesweep_config_selectorIiiEEZZNS1_29radix_sort_onesweep_iterationIS3_Lb1EN6thrust23THRUST_200600_302600_NS6detail15normal_iteratorINS8_10device_ptrIiEEEESD_SD_SD_jNS0_19identity_decomposerENS1_16block_id_wrapperIjLb0EEEEE10hipError_tT1_PNSt15iterator_traitsISI_E10value_typeET2_T3_PNSJ_ISO_E10value_typeET4_T5_PST_SU_PNS1_23onesweep_lookback_stateEbbT6_jjT7_P12ihipStream_tbENKUlT_T0_SI_SN_E_clISD_SD_SD_SD_EEDaS11_S12_SI_SN_EUlS11_E_NS1_11comp_targetILNS1_3genE0ELNS1_11target_archE4294967295ELNS1_3gpuE0ELNS1_3repE0EEENS1_47radix_sort_onesweep_sort_config_static_selectorELNS0_4arch9wavefront6targetE1EEEvSI_.has_indirect_call, 0
	.section	.AMDGPU.csdata,"",@progbits
; Kernel info:
; codeLenInByte = 0
; TotalNumSgprs: 6
; NumVgprs: 0
; NumAgprs: 0
; TotalNumVgprs: 0
; ScratchSize: 0
; MemoryBound: 0
; FloatMode: 240
; IeeeMode: 1
; LDSByteSize: 0 bytes/workgroup (compile time only)
; SGPRBlocks: 0
; VGPRBlocks: 0
; NumSGPRsForWavesPerEU: 6
; NumVGPRsForWavesPerEU: 1
; AccumOffset: 4
; Occupancy: 8
; WaveLimiterHint : 0
; COMPUTE_PGM_RSRC2:SCRATCH_EN: 0
; COMPUTE_PGM_RSRC2:USER_SGPR: 2
; COMPUTE_PGM_RSRC2:TRAP_HANDLER: 0
; COMPUTE_PGM_RSRC2:TGID_X_EN: 1
; COMPUTE_PGM_RSRC2:TGID_Y_EN: 0
; COMPUTE_PGM_RSRC2:TGID_Z_EN: 0
; COMPUTE_PGM_RSRC2:TIDIG_COMP_CNT: 0
; COMPUTE_PGM_RSRC3_GFX90A:ACCUM_OFFSET: 0
; COMPUTE_PGM_RSRC3_GFX90A:TG_SPLIT: 0
	.section	.text._ZN7rocprim17ROCPRIM_400000_NS6detail17trampoline_kernelINS0_14default_configENS1_35radix_sort_onesweep_config_selectorIiiEEZZNS1_29radix_sort_onesweep_iterationIS3_Lb1EN6thrust23THRUST_200600_302600_NS6detail15normal_iteratorINS8_10device_ptrIiEEEESD_SD_SD_jNS0_19identity_decomposerENS1_16block_id_wrapperIjLb0EEEEE10hipError_tT1_PNSt15iterator_traitsISI_E10value_typeET2_T3_PNSJ_ISO_E10value_typeET4_T5_PST_SU_PNS1_23onesweep_lookback_stateEbbT6_jjT7_P12ihipStream_tbENKUlT_T0_SI_SN_E_clISD_SD_SD_SD_EEDaS11_S12_SI_SN_EUlS11_E_NS1_11comp_targetILNS1_3genE6ELNS1_11target_archE950ELNS1_3gpuE13ELNS1_3repE0EEENS1_47radix_sort_onesweep_sort_config_static_selectorELNS0_4arch9wavefront6targetE1EEEvSI_,"axG",@progbits,_ZN7rocprim17ROCPRIM_400000_NS6detail17trampoline_kernelINS0_14default_configENS1_35radix_sort_onesweep_config_selectorIiiEEZZNS1_29radix_sort_onesweep_iterationIS3_Lb1EN6thrust23THRUST_200600_302600_NS6detail15normal_iteratorINS8_10device_ptrIiEEEESD_SD_SD_jNS0_19identity_decomposerENS1_16block_id_wrapperIjLb0EEEEE10hipError_tT1_PNSt15iterator_traitsISI_E10value_typeET2_T3_PNSJ_ISO_E10value_typeET4_T5_PST_SU_PNS1_23onesweep_lookback_stateEbbT6_jjT7_P12ihipStream_tbENKUlT_T0_SI_SN_E_clISD_SD_SD_SD_EEDaS11_S12_SI_SN_EUlS11_E_NS1_11comp_targetILNS1_3genE6ELNS1_11target_archE950ELNS1_3gpuE13ELNS1_3repE0EEENS1_47radix_sort_onesweep_sort_config_static_selectorELNS0_4arch9wavefront6targetE1EEEvSI_,comdat
	.protected	_ZN7rocprim17ROCPRIM_400000_NS6detail17trampoline_kernelINS0_14default_configENS1_35radix_sort_onesweep_config_selectorIiiEEZZNS1_29radix_sort_onesweep_iterationIS3_Lb1EN6thrust23THRUST_200600_302600_NS6detail15normal_iteratorINS8_10device_ptrIiEEEESD_SD_SD_jNS0_19identity_decomposerENS1_16block_id_wrapperIjLb0EEEEE10hipError_tT1_PNSt15iterator_traitsISI_E10value_typeET2_T3_PNSJ_ISO_E10value_typeET4_T5_PST_SU_PNS1_23onesweep_lookback_stateEbbT6_jjT7_P12ihipStream_tbENKUlT_T0_SI_SN_E_clISD_SD_SD_SD_EEDaS11_S12_SI_SN_EUlS11_E_NS1_11comp_targetILNS1_3genE6ELNS1_11target_archE950ELNS1_3gpuE13ELNS1_3repE0EEENS1_47radix_sort_onesweep_sort_config_static_selectorELNS0_4arch9wavefront6targetE1EEEvSI_ ; -- Begin function _ZN7rocprim17ROCPRIM_400000_NS6detail17trampoline_kernelINS0_14default_configENS1_35radix_sort_onesweep_config_selectorIiiEEZZNS1_29radix_sort_onesweep_iterationIS3_Lb1EN6thrust23THRUST_200600_302600_NS6detail15normal_iteratorINS8_10device_ptrIiEEEESD_SD_SD_jNS0_19identity_decomposerENS1_16block_id_wrapperIjLb0EEEEE10hipError_tT1_PNSt15iterator_traitsISI_E10value_typeET2_T3_PNSJ_ISO_E10value_typeET4_T5_PST_SU_PNS1_23onesweep_lookback_stateEbbT6_jjT7_P12ihipStream_tbENKUlT_T0_SI_SN_E_clISD_SD_SD_SD_EEDaS11_S12_SI_SN_EUlS11_E_NS1_11comp_targetILNS1_3genE6ELNS1_11target_archE950ELNS1_3gpuE13ELNS1_3repE0EEENS1_47radix_sort_onesweep_sort_config_static_selectorELNS0_4arch9wavefront6targetE1EEEvSI_
	.globl	_ZN7rocprim17ROCPRIM_400000_NS6detail17trampoline_kernelINS0_14default_configENS1_35radix_sort_onesweep_config_selectorIiiEEZZNS1_29radix_sort_onesweep_iterationIS3_Lb1EN6thrust23THRUST_200600_302600_NS6detail15normal_iteratorINS8_10device_ptrIiEEEESD_SD_SD_jNS0_19identity_decomposerENS1_16block_id_wrapperIjLb0EEEEE10hipError_tT1_PNSt15iterator_traitsISI_E10value_typeET2_T3_PNSJ_ISO_E10value_typeET4_T5_PST_SU_PNS1_23onesweep_lookback_stateEbbT6_jjT7_P12ihipStream_tbENKUlT_T0_SI_SN_E_clISD_SD_SD_SD_EEDaS11_S12_SI_SN_EUlS11_E_NS1_11comp_targetILNS1_3genE6ELNS1_11target_archE950ELNS1_3gpuE13ELNS1_3repE0EEENS1_47radix_sort_onesweep_sort_config_static_selectorELNS0_4arch9wavefront6targetE1EEEvSI_
	.p2align	8
	.type	_ZN7rocprim17ROCPRIM_400000_NS6detail17trampoline_kernelINS0_14default_configENS1_35radix_sort_onesweep_config_selectorIiiEEZZNS1_29radix_sort_onesweep_iterationIS3_Lb1EN6thrust23THRUST_200600_302600_NS6detail15normal_iteratorINS8_10device_ptrIiEEEESD_SD_SD_jNS0_19identity_decomposerENS1_16block_id_wrapperIjLb0EEEEE10hipError_tT1_PNSt15iterator_traitsISI_E10value_typeET2_T3_PNSJ_ISO_E10value_typeET4_T5_PST_SU_PNS1_23onesweep_lookback_stateEbbT6_jjT7_P12ihipStream_tbENKUlT_T0_SI_SN_E_clISD_SD_SD_SD_EEDaS11_S12_SI_SN_EUlS11_E_NS1_11comp_targetILNS1_3genE6ELNS1_11target_archE950ELNS1_3gpuE13ELNS1_3repE0EEENS1_47radix_sort_onesweep_sort_config_static_selectorELNS0_4arch9wavefront6targetE1EEEvSI_,@function
_ZN7rocprim17ROCPRIM_400000_NS6detail17trampoline_kernelINS0_14default_configENS1_35radix_sort_onesweep_config_selectorIiiEEZZNS1_29radix_sort_onesweep_iterationIS3_Lb1EN6thrust23THRUST_200600_302600_NS6detail15normal_iteratorINS8_10device_ptrIiEEEESD_SD_SD_jNS0_19identity_decomposerENS1_16block_id_wrapperIjLb0EEEEE10hipError_tT1_PNSt15iterator_traitsISI_E10value_typeET2_T3_PNSJ_ISO_E10value_typeET4_T5_PST_SU_PNS1_23onesweep_lookback_stateEbbT6_jjT7_P12ihipStream_tbENKUlT_T0_SI_SN_E_clISD_SD_SD_SD_EEDaS11_S12_SI_SN_EUlS11_E_NS1_11comp_targetILNS1_3genE6ELNS1_11target_archE950ELNS1_3gpuE13ELNS1_3repE0EEENS1_47radix_sort_onesweep_sort_config_static_selectorELNS0_4arch9wavefront6targetE1EEEvSI_: ; @_ZN7rocprim17ROCPRIM_400000_NS6detail17trampoline_kernelINS0_14default_configENS1_35radix_sort_onesweep_config_selectorIiiEEZZNS1_29radix_sort_onesweep_iterationIS3_Lb1EN6thrust23THRUST_200600_302600_NS6detail15normal_iteratorINS8_10device_ptrIiEEEESD_SD_SD_jNS0_19identity_decomposerENS1_16block_id_wrapperIjLb0EEEEE10hipError_tT1_PNSt15iterator_traitsISI_E10value_typeET2_T3_PNSJ_ISO_E10value_typeET4_T5_PST_SU_PNS1_23onesweep_lookback_stateEbbT6_jjT7_P12ihipStream_tbENKUlT_T0_SI_SN_E_clISD_SD_SD_SD_EEDaS11_S12_SI_SN_EUlS11_E_NS1_11comp_targetILNS1_3genE6ELNS1_11target_archE950ELNS1_3gpuE13ELNS1_3repE0EEENS1_47radix_sort_onesweep_sort_config_static_selectorELNS0_4arch9wavefront6targetE1EEEvSI_
; %bb.0:
	s_load_dwordx8 s[52:59], s[0:1], 0x0
	s_load_dwordx4 s[64:67], s[0:1], 0x44
	s_load_dwordx4 s[60:63], s[0:1], 0x28
	s_load_dwordx2 s[50:51], s[0:1], 0x38
	s_mov_b64 s[4:5], -1
	v_mbcnt_lo_u32_b32 v1, -1, 0
	s_waitcnt lgkmcnt(0)
	s_cmp_ge_u32 s2, s66
	s_cbranch_scc0 .LBB1865_204
; %bb.1:
	s_load_dword s3, s[0:1], 0x20
	s_lshl_b32 s6, s66, 14
	s_lshl_b32 s4, s2, 14
	s_mov_b32 s5, 0
	v_and_b32_e32 v2, 0x3ff, v0
	s_waitcnt lgkmcnt(0)
	s_sub_i32 s3, s3, s6
	s_lshl_b64 s[66:67], s[4:5], 2
	v_mbcnt_hi_u32_b32 v12, -1, v1
	s_add_u32 s4, s52, s66
	v_and_b32_e32 v10, 63, v12
	v_lshlrev_b32_e32 v4, 4, v2
	s_addc_u32 s5, s53, s67
	v_and_b32_e32 v11, 0x3c00, v4
	v_mov_b32_e32 v5, 0
	v_lshlrev_b32_e32 v4, 2, v10
	v_lshl_add_u64 v[8:9], s[4:5], 0, v[4:5]
	v_lshlrev_b32_e32 v6, 2, v11
	v_mov_b32_e32 v7, v5
	v_or_b32_e32 v10, v10, v11
	v_mov_b32_e32 v3, -1
	v_lshl_add_u64 v[8:9], v[8:9], 0, v[6:7]
	v_cmp_gt_u32_e32 vcc, s3, v10
	v_mov_b32_e32 v5, -1
	s_and_saveexec_b64 s[4:5], vcc
	s_cbranch_execz .LBB1865_3
; %bb.2:
	global_load_dword v5, v[8:9], off
	s_waitcnt vmcnt(0)
	v_xor_b32_e32 v5, 0x7fffffff, v5
.LBB1865_3:
	s_or_b64 exec, exec, s[4:5]
	v_or_b32_e32 v7, 64, v10
	v_cmp_gt_u32_e64 s[42:43], s3, v7
	s_and_saveexec_b64 s[4:5], s[42:43]
	s_cbranch_execz .LBB1865_5
; %bb.4:
	global_load_dword v3, v[8:9], off offset:256
	s_waitcnt vmcnt(0)
	v_xor_b32_e32 v3, 0x7fffffff, v3
.LBB1865_5:
	s_or_b64 exec, exec, s[4:5]
	v_or_b32_e32 v7, 0x80, v10
	v_cmp_gt_u32_e64 s[4:5], s3, v7
	v_mov_b32_e32 v7, -1
	v_mov_b32_e32 v14, -1
	s_and_saveexec_b64 s[6:7], s[4:5]
	s_cbranch_execz .LBB1865_7
; %bb.6:
	global_load_dword v11, v[8:9], off offset:512
	s_waitcnt vmcnt(0)
	v_xor_b32_e32 v14, 0x7fffffff, v11
.LBB1865_7:
	s_or_b64 exec, exec, s[6:7]
	v_or_b32_e32 v11, 0xc0, v10
	v_cmp_gt_u32_e64 s[6:7], s3, v11
	s_and_saveexec_b64 s[8:9], s[6:7]
	s_cbranch_execz .LBB1865_9
; %bb.8:
	global_load_dword v7, v[8:9], off offset:768
	s_waitcnt vmcnt(0)
	v_xor_b32_e32 v7, 0x7fffffff, v7
.LBB1865_9:
	s_or_b64 exec, exec, s[8:9]
	v_or_b32_e32 v11, 0x100, v10
	v_cmp_gt_u32_e64 s[8:9], s3, v11
	v_mov_b32_e32 v15, -1
	v_mov_b32_e32 v16, -1
	s_and_saveexec_b64 s[10:11], s[8:9]
	s_cbranch_execz .LBB1865_11
; %bb.10:
	global_load_dword v11, v[8:9], off offset:1024
	s_waitcnt vmcnt(0)
	v_xor_b32_e32 v16, 0x7fffffff, v11
.LBB1865_11:
	;; [unrolled: 22-line block ×7, first 2 shown]
	s_or_b64 exec, exec, s[30:31]
	v_or_b32_e32 v10, 0x3c0, v10
	v_cmp_gt_u32_e64 s[30:31], s3, v10
	s_and_saveexec_b64 s[34:35], s[30:31]
	s_cbranch_execz .LBB1865_33
; %bb.32:
	global_load_dword v8, v[8:9], off offset:3840
	s_waitcnt vmcnt(0)
	v_xor_b32_e32 v25, 0x7fffffff, v8
.LBB1865_33:
	s_or_b64 exec, exec, s[34:35]
	s_load_dword s34, s[0:1], 0x64
	s_load_dword s33, s[0:1], 0x58
	s_add_u32 s35, s0, 0x58
	s_addc_u32 s36, s1, 0
	v_mov_b32_e32 v9, 0
	s_waitcnt lgkmcnt(0)
	s_lshr_b32 s37, s34, 16
	s_cmp_lt_u32 s2, s33
	s_cselect_b32 s34, 12, 18
	s_add_u32 s34, s35, s34
	s_addc_u32 s35, s36, 0
	global_load_ushort v27, v9, s[34:35]
	v_lshrrev_b32_e32 v29, s64, v5
	s_lshl_b32 s34, -1, s65
	v_bfe_u32 v8, v0, 10, 10
	v_bfe_u32 v11, v0, 20, 10
	v_bitop3_b32 v38, v29, s34, v29 bitop3:0x30
	s_movk_i32 s69, 0x44
	v_mad_u32_u24 v40, v11, s37, v8
	v_and_b32_e32 v8, 1, v38
	v_lshlrev_b32_e32 v11, 30, v38
	v_mov_b32_e32 v10, v9
	v_mov_b32_e32 v30, v9
	s_not_b32 s68, s34
	v_mul_lo_u32 v42, v38, s69
	v_lshlrev_b32_e32 v29, 29, v38
	v_lshlrev_b32_e32 v31, 28, v38
	;; [unrolled: 1-line block ×6, first 2 shown]
	v_lshl_add_u64 v[38:39], v[8:9], 0, -1
	v_cmp_ne_u32_e64 s[34:35], 0, v8
	v_not_b32_e32 v8, v11
	v_mov_b32_e32 v28, v9
	v_mov_b32_e32 v32, v9
	v_cmp_gt_i64_e64 s[36:37], 0, v[10:11]
	v_not_b32_e32 v10, v29
	v_cmp_gt_i64_e64 s[40:41], 0, v[30:31]
	v_not_b32_e32 v11, v31
	v_xor_b32_e32 v31, s35, v39
	v_ashrrev_i32_e32 v8, 31, v8
	v_mov_b32_e32 v34, v9
	v_cmp_gt_i64_e64 s[38:39], 0, v[28:29]
	v_cmp_gt_i64_e64 s[44:45], 0, v[32:33]
	v_not_b32_e32 v28, v33
	v_xor_b32_e32 v32, s34, v38
	v_ashrrev_i32_e32 v10, 31, v10
	v_and_b32_e32 v31, exec_hi, v31
	v_xor_b32_e32 v33, s37, v8
	v_cmp_gt_i64_e64 s[46:47], 0, v[34:35]
	v_ashrrev_i32_e32 v11, 31, v11
	v_and_b32_e32 v32, exec_lo, v32
	v_xor_b32_e32 v8, s36, v8
	v_xor_b32_e32 v34, s39, v10
	v_and_b32_e32 v31, v31, v33
	v_mov_b32_e32 v36, v9
	v_not_b32_e32 v29, v35
	v_ashrrev_i32_e32 v28, 31, v28
	v_xor_b32_e32 v10, s38, v10
	v_xor_b32_e32 v35, s41, v11
	v_and_b32_e32 v8, v32, v8
	v_and_b32_e32 v31, v31, v34
	v_cmp_gt_i64_e64 s[48:49], 0, v[36:37]
	v_not_b32_e32 v30, v37
	v_ashrrev_i32_e32 v29, 31, v29
	v_xor_b32_e32 v36, s45, v28
	v_and_b32_e32 v8, v8, v10
	v_and_b32_e32 v10, v31, v35
	v_ashrrev_i32_e32 v30, 31, v30
	v_xor_b32_e32 v11, s40, v11
	v_xor_b32_e32 v37, s47, v29
	v_and_b32_e32 v10, v10, v36
	v_xor_b32_e32 v28, s44, v28
	v_xor_b32_e32 v38, s49, v30
	v_and_b32_e32 v8, v8, v11
	v_and_b32_e32 v10, v10, v37
	;; [unrolled: 1-line block ×4, first 2 shown]
	v_xor_b32_e32 v29, s46, v29
	v_xor_b32_e32 v30, s48, v30
	v_and_b32_e32 v8, v8, v29
	v_and_b32_e32 v8, v8, v30
	v_mul_u32_u24_e32 v13, 20, v2
	ds_write2_b32 v13, v9, v9 offset0:16 offset1:17
	ds_write2_b32 v13, v9, v9 offset0:18 offset1:19
	ds_write_b32 v13, v9 offset:80
	s_waitcnt lgkmcnt(0)
	s_barrier
	s_waitcnt vmcnt(0)
	; wave barrier
	v_mad_u64_u32 v[10:11], s[34:35], v40, v27, v[2:3]
	v_lshrrev_b32_e32 v38, 6, v10
	v_mov_b32_e32 v40, v9
	v_not_b32_e32 v10, v41
	v_cmp_gt_i64_e64 s[34:35], 0, v[40:41]
	v_ashrrev_i32_e32 v10, 31, v10
	v_lshl_add_u32 v31, v38, 2, v42
	v_xor_b32_e32 v11, s35, v10
	v_xor_b32_e32 v10, s34, v10
	v_and_b32_e32 v10, v8, v10
	v_and_b32_e32 v11, v28, v11
	v_mbcnt_lo_u32_b32 v8, v10, 0
	v_mbcnt_hi_u32_b32 v28, v11, v8
	v_cmp_eq_u32_e64 s[34:35], 0, v28
	v_cmp_ne_u64_e64 s[36:37], 0, v[10:11]
	s_and_b64 s[36:37], s[36:37], s[34:35]
	s_and_saveexec_b64 s[34:35], s[36:37]
; %bb.34:
	v_bcnt_u32_b32 v8, v10, 0
	v_bcnt_u32_b32 v8, v11, v8
	ds_write_b32 v31, v8 offset:64
; %bb.35:
	s_or_b64 exec, exec, s[34:35]
	v_lshrrev_b32_e32 v8, s64, v3
	v_and_b32_e32 v29, s68, v8
	v_mul_lo_u32 v8, v29, s69
	v_lshl_add_u32 v33, v38, 2, v8
	v_and_b32_e32 v8, 1, v29
	v_lshl_add_u64 v[10:11], v[8:9], 0, -1
	v_cmp_ne_u32_e64 s[34:35], 0, v8
	; wave barrier
	s_nop 1
	v_xor_b32_e32 v10, s34, v10
	v_xor_b32_e32 v8, s35, v11
	v_and_b32_e32 v30, exec_lo, v10
	v_lshlrev_b32_e32 v11, 30, v29
	v_mov_b32_e32 v10, v9
	v_cmp_gt_i64_e64 s[34:35], 0, v[10:11]
	v_not_b32_e32 v10, v11
	v_ashrrev_i32_e32 v10, 31, v10
	v_and_b32_e32 v8, exec_hi, v8
	v_xor_b32_e32 v11, s35, v10
	v_xor_b32_e32 v10, s34, v10
	v_and_b32_e32 v8, v8, v11
	v_and_b32_e32 v30, v30, v10
	v_lshlrev_b32_e32 v11, 29, v29
	v_mov_b32_e32 v10, v9
	v_cmp_gt_i64_e64 s[34:35], 0, v[10:11]
	v_not_b32_e32 v10, v11
	v_ashrrev_i32_e32 v10, 31, v10
	v_xor_b32_e32 v11, s35, v10
	v_xor_b32_e32 v10, s34, v10
	v_and_b32_e32 v8, v8, v11
	v_and_b32_e32 v30, v30, v10
	v_lshlrev_b32_e32 v11, 28, v29
	v_mov_b32_e32 v10, v9
	v_cmp_gt_i64_e64 s[34:35], 0, v[10:11]
	v_not_b32_e32 v10, v11
	v_ashrrev_i32_e32 v10, 31, v10
	;; [unrolled: 9-line block ×5, first 2 shown]
	v_xor_b32_e32 v11, s35, v10
	v_xor_b32_e32 v10, s34, v10
	v_and_b32_e32 v8, v8, v11
	v_lshlrev_b32_e32 v11, 24, v29
	v_and_b32_e32 v30, v30, v10
	v_mov_b32_e32 v10, v9
	v_not_b32_e32 v9, v11
	v_cmp_gt_i64_e64 s[34:35], 0, v[10:11]
	v_ashrrev_i32_e32 v9, 31, v9
	ds_read_b32 v27, v33 offset:64
	v_xor_b32_e32 v10, s35, v9
	v_xor_b32_e32 v11, s34, v9
	v_and_b32_e32 v9, v8, v10
	v_and_b32_e32 v8, v30, v11
	v_mbcnt_lo_u32_b32 v10, v8, 0
	v_mbcnt_hi_u32_b32 v29, v9, v10
	v_cmp_eq_u32_e64 s[34:35], 0, v29
	v_cmp_ne_u64_e64 s[36:37], 0, v[8:9]
	s_and_b64 s[36:37], s[36:37], s[34:35]
	; wave barrier
	s_and_saveexec_b64 s[34:35], s[36:37]
	s_cbranch_execz .LBB1865_37
; %bb.36:
	v_bcnt_u32_b32 v8, v8, 0
	v_bcnt_u32_b32 v8, v9, v8
	s_waitcnt lgkmcnt(0)
	v_add_u32_e32 v8, v27, v8
	ds_write_b32 v33, v8 offset:64
.LBB1865_37:
	s_or_b64 exec, exec, s[34:35]
	v_lshrrev_b32_e32 v8, s64, v14
	v_and_b32_e32 v32, s68, v8
	s_movk_i32 s38, 0x44
	v_mul_lo_u32 v8, v32, s38
	v_lshl_add_u32 v36, v38, 2, v8
	v_and_b32_e32 v8, 1, v32
	v_mov_b32_e32 v9, 0
	v_lshl_add_u64 v[10:11], v[8:9], 0, -1
	v_cmp_ne_u32_e64 s[34:35], 0, v8
	; wave barrier
	s_nop 1
	v_xor_b32_e32 v10, s34, v10
	v_xor_b32_e32 v8, s35, v11
	v_and_b32_e32 v34, exec_lo, v10
	v_lshlrev_b32_e32 v11, 30, v32
	v_mov_b32_e32 v10, v9
	v_cmp_gt_i64_e64 s[34:35], 0, v[10:11]
	v_not_b32_e32 v10, v11
	v_ashrrev_i32_e32 v10, 31, v10
	v_and_b32_e32 v8, exec_hi, v8
	v_xor_b32_e32 v11, s35, v10
	v_xor_b32_e32 v10, s34, v10
	v_and_b32_e32 v8, v8, v11
	v_and_b32_e32 v34, v34, v10
	v_lshlrev_b32_e32 v11, 29, v32
	v_mov_b32_e32 v10, v9
	v_cmp_gt_i64_e64 s[34:35], 0, v[10:11]
	v_not_b32_e32 v10, v11
	v_ashrrev_i32_e32 v10, 31, v10
	v_xor_b32_e32 v11, s35, v10
	v_xor_b32_e32 v10, s34, v10
	v_and_b32_e32 v8, v8, v11
	v_and_b32_e32 v34, v34, v10
	v_lshlrev_b32_e32 v11, 28, v32
	v_mov_b32_e32 v10, v9
	v_cmp_gt_i64_e64 s[34:35], 0, v[10:11]
	v_not_b32_e32 v10, v11
	v_ashrrev_i32_e32 v10, 31, v10
	v_xor_b32_e32 v11, s35, v10
	v_xor_b32_e32 v10, s34, v10
	v_and_b32_e32 v8, v8, v11
	v_and_b32_e32 v34, v34, v10
	v_lshlrev_b32_e32 v11, 27, v32
	v_mov_b32_e32 v10, v9
	v_cmp_gt_i64_e64 s[34:35], 0, v[10:11]
	v_not_b32_e32 v10, v11
	v_ashrrev_i32_e32 v10, 31, v10
	v_xor_b32_e32 v11, s35, v10
	v_xor_b32_e32 v10, s34, v10
	v_and_b32_e32 v8, v8, v11
	v_and_b32_e32 v34, v34, v10
	v_lshlrev_b32_e32 v11, 26, v32
	v_mov_b32_e32 v10, v9
	v_cmp_gt_i64_e64 s[34:35], 0, v[10:11]
	v_not_b32_e32 v10, v11
	v_ashrrev_i32_e32 v10, 31, v10
	v_xor_b32_e32 v11, s35, v10
	v_xor_b32_e32 v10, s34, v10
	v_and_b32_e32 v8, v8, v11
	v_and_b32_e32 v34, v34, v10
	v_lshlrev_b32_e32 v11, 25, v32
	v_mov_b32_e32 v10, v9
	v_cmp_gt_i64_e64 s[34:35], 0, v[10:11]
	v_not_b32_e32 v10, v11
	v_ashrrev_i32_e32 v10, 31, v10
	v_xor_b32_e32 v11, s35, v10
	v_xor_b32_e32 v10, s34, v10
	v_and_b32_e32 v8, v8, v11
	v_and_b32_e32 v34, v34, v10
	v_lshlrev_b32_e32 v11, 24, v32
	v_mov_b32_e32 v10, v9
	v_cmp_gt_i64_e64 s[34:35], 0, v[10:11]
	v_not_b32_e32 v10, v11
	v_ashrrev_i32_e32 v10, 31, v10
	v_xor_b32_e32 v11, s35, v10
	v_xor_b32_e32 v10, s34, v10
	ds_read_b32 v30, v36 offset:64
	v_and_b32_e32 v10, v34, v10
	v_and_b32_e32 v11, v8, v11
	v_mbcnt_lo_u32_b32 v8, v10, 0
	v_mbcnt_hi_u32_b32 v32, v11, v8
	v_cmp_eq_u32_e64 s[34:35], 0, v32
	v_cmp_ne_u64_e64 s[36:37], 0, v[10:11]
	s_and_b64 s[36:37], s[36:37], s[34:35]
	; wave barrier
	s_and_saveexec_b64 s[34:35], s[36:37]
	s_cbranch_execz .LBB1865_39
; %bb.38:
	v_bcnt_u32_b32 v8, v10, 0
	v_bcnt_u32_b32 v8, v11, v8
	s_waitcnt lgkmcnt(0)
	v_add_u32_e32 v8, v30, v8
	ds_write_b32 v36, v8 offset:64
.LBB1865_39:
	s_or_b64 exec, exec, s[34:35]
	v_lshrrev_b32_e32 v8, s64, v7
	v_and_b32_e32 v35, s68, v8
	v_mul_lo_u32 v8, v35, s38
	v_lshl_add_u32 v40, v38, 2, v8
	v_and_b32_e32 v8, 1, v35
	v_lshl_add_u64 v[10:11], v[8:9], 0, -1
	v_cmp_ne_u32_e64 s[34:35], 0, v8
	; wave barrier
	s_nop 1
	v_xor_b32_e32 v10, s34, v10
	v_xor_b32_e32 v8, s35, v11
	v_and_b32_e32 v37, exec_lo, v10
	v_lshlrev_b32_e32 v11, 30, v35
	v_mov_b32_e32 v10, v9
	v_cmp_gt_i64_e64 s[34:35], 0, v[10:11]
	v_not_b32_e32 v10, v11
	v_ashrrev_i32_e32 v10, 31, v10
	v_and_b32_e32 v8, exec_hi, v8
	v_xor_b32_e32 v11, s35, v10
	v_xor_b32_e32 v10, s34, v10
	v_and_b32_e32 v8, v8, v11
	v_and_b32_e32 v37, v37, v10
	v_lshlrev_b32_e32 v11, 29, v35
	v_mov_b32_e32 v10, v9
	v_cmp_gt_i64_e64 s[34:35], 0, v[10:11]
	v_not_b32_e32 v10, v11
	v_ashrrev_i32_e32 v10, 31, v10
	v_xor_b32_e32 v11, s35, v10
	v_xor_b32_e32 v10, s34, v10
	v_and_b32_e32 v8, v8, v11
	v_and_b32_e32 v37, v37, v10
	v_lshlrev_b32_e32 v11, 28, v35
	v_mov_b32_e32 v10, v9
	v_cmp_gt_i64_e64 s[34:35], 0, v[10:11]
	v_not_b32_e32 v10, v11
	v_ashrrev_i32_e32 v10, 31, v10
	v_xor_b32_e32 v11, s35, v10
	v_xor_b32_e32 v10, s34, v10
	v_and_b32_e32 v8, v8, v11
	v_and_b32_e32 v37, v37, v10
	v_lshlrev_b32_e32 v11, 27, v35
	v_mov_b32_e32 v10, v9
	v_cmp_gt_i64_e64 s[34:35], 0, v[10:11]
	v_not_b32_e32 v10, v11
	v_ashrrev_i32_e32 v10, 31, v10
	v_xor_b32_e32 v11, s35, v10
	v_xor_b32_e32 v10, s34, v10
	v_and_b32_e32 v8, v8, v11
	v_and_b32_e32 v37, v37, v10
	v_lshlrev_b32_e32 v11, 26, v35
	v_mov_b32_e32 v10, v9
	v_cmp_gt_i64_e64 s[34:35], 0, v[10:11]
	v_not_b32_e32 v10, v11
	v_ashrrev_i32_e32 v10, 31, v10
	v_xor_b32_e32 v11, s35, v10
	v_xor_b32_e32 v10, s34, v10
	v_and_b32_e32 v8, v8, v11
	v_and_b32_e32 v37, v37, v10
	v_lshlrev_b32_e32 v11, 25, v35
	v_mov_b32_e32 v10, v9
	v_cmp_gt_i64_e64 s[34:35], 0, v[10:11]
	v_not_b32_e32 v10, v11
	v_ashrrev_i32_e32 v10, 31, v10
	v_xor_b32_e32 v11, s35, v10
	v_xor_b32_e32 v10, s34, v10
	v_and_b32_e32 v8, v8, v11
	v_lshlrev_b32_e32 v11, 24, v35
	v_and_b32_e32 v37, v37, v10
	v_mov_b32_e32 v10, v9
	v_not_b32_e32 v9, v11
	v_cmp_gt_i64_e64 s[34:35], 0, v[10:11]
	v_ashrrev_i32_e32 v9, 31, v9
	ds_read_b32 v34, v40 offset:64
	v_xor_b32_e32 v10, s35, v9
	v_xor_b32_e32 v11, s34, v9
	v_and_b32_e32 v9, v8, v10
	v_and_b32_e32 v8, v37, v11
	v_mbcnt_lo_u32_b32 v10, v8, 0
	v_mbcnt_hi_u32_b32 v35, v9, v10
	v_cmp_eq_u32_e64 s[34:35], 0, v35
	v_cmp_ne_u64_e64 s[36:37], 0, v[8:9]
	s_and_b64 s[36:37], s[36:37], s[34:35]
	; wave barrier
	s_and_saveexec_b64 s[34:35], s[36:37]
	s_cbranch_execz .LBB1865_41
; %bb.40:
	v_bcnt_u32_b32 v8, v8, 0
	v_bcnt_u32_b32 v8, v9, v8
	s_waitcnt lgkmcnt(0)
	v_add_u32_e32 v8, v34, v8
	ds_write_b32 v40, v8 offset:64
.LBB1865_41:
	s_or_b64 exec, exec, s[34:35]
	v_lshrrev_b32_e32 v8, s64, v16
	v_and_b32_e32 v39, s68, v8
	v_mul_lo_u32 v8, v39, s38
	v_lshl_add_u32 v43, v38, 2, v8
	v_and_b32_e32 v8, 1, v39
	v_mov_b32_e32 v9, 0
	v_lshl_add_u64 v[10:11], v[8:9], 0, -1
	v_cmp_ne_u32_e64 s[34:35], 0, v8
	; wave barrier
	s_nop 1
	v_xor_b32_e32 v10, s34, v10
	v_xor_b32_e32 v8, s35, v11
	v_and_b32_e32 v41, exec_lo, v10
	v_lshlrev_b32_e32 v11, 30, v39
	v_mov_b32_e32 v10, v9
	v_cmp_gt_i64_e64 s[34:35], 0, v[10:11]
	v_not_b32_e32 v10, v11
	v_ashrrev_i32_e32 v10, 31, v10
	v_and_b32_e32 v8, exec_hi, v8
	v_xor_b32_e32 v11, s35, v10
	v_xor_b32_e32 v10, s34, v10
	v_and_b32_e32 v8, v8, v11
	v_and_b32_e32 v41, v41, v10
	v_lshlrev_b32_e32 v11, 29, v39
	v_mov_b32_e32 v10, v9
	v_cmp_gt_i64_e64 s[34:35], 0, v[10:11]
	v_not_b32_e32 v10, v11
	v_ashrrev_i32_e32 v10, 31, v10
	v_xor_b32_e32 v11, s35, v10
	v_xor_b32_e32 v10, s34, v10
	v_and_b32_e32 v8, v8, v11
	v_and_b32_e32 v41, v41, v10
	v_lshlrev_b32_e32 v11, 28, v39
	v_mov_b32_e32 v10, v9
	v_cmp_gt_i64_e64 s[34:35], 0, v[10:11]
	v_not_b32_e32 v10, v11
	v_ashrrev_i32_e32 v10, 31, v10
	;; [unrolled: 9-line block ×6, first 2 shown]
	v_xor_b32_e32 v11, s35, v10
	v_xor_b32_e32 v10, s34, v10
	ds_read_b32 v37, v43 offset:64
	v_and_b32_e32 v10, v41, v10
	v_and_b32_e32 v11, v8, v11
	v_mbcnt_lo_u32_b32 v8, v10, 0
	v_mbcnt_hi_u32_b32 v39, v11, v8
	v_cmp_eq_u32_e64 s[34:35], 0, v39
	v_cmp_ne_u64_e64 s[36:37], 0, v[10:11]
	s_and_b64 s[36:37], s[36:37], s[34:35]
	; wave barrier
	s_and_saveexec_b64 s[34:35], s[36:37]
	s_cbranch_execz .LBB1865_43
; %bb.42:
	v_bcnt_u32_b32 v8, v10, 0
	v_bcnt_u32_b32 v8, v11, v8
	s_waitcnt lgkmcnt(0)
	v_add_u32_e32 v8, v37, v8
	ds_write_b32 v43, v8 offset:64
.LBB1865_43:
	s_or_b64 exec, exec, s[34:35]
	v_lshrrev_b32_e32 v8, s64, v15
	v_and_b32_e32 v42, s68, v8
	v_mul_lo_u32 v8, v42, s38
	v_lshl_add_u32 v45, v38, 2, v8
	v_and_b32_e32 v8, 1, v42
	v_lshl_add_u64 v[10:11], v[8:9], 0, -1
	v_cmp_ne_u32_e64 s[34:35], 0, v8
	; wave barrier
	s_nop 1
	v_xor_b32_e32 v10, s34, v10
	v_xor_b32_e32 v8, s35, v11
	v_and_b32_e32 v44, exec_lo, v10
	v_lshlrev_b32_e32 v11, 30, v42
	v_mov_b32_e32 v10, v9
	v_cmp_gt_i64_e64 s[34:35], 0, v[10:11]
	v_not_b32_e32 v10, v11
	v_ashrrev_i32_e32 v10, 31, v10
	v_and_b32_e32 v8, exec_hi, v8
	v_xor_b32_e32 v11, s35, v10
	v_xor_b32_e32 v10, s34, v10
	v_and_b32_e32 v8, v8, v11
	v_and_b32_e32 v44, v44, v10
	v_lshlrev_b32_e32 v11, 29, v42
	v_mov_b32_e32 v10, v9
	v_cmp_gt_i64_e64 s[34:35], 0, v[10:11]
	v_not_b32_e32 v10, v11
	v_ashrrev_i32_e32 v10, 31, v10
	v_xor_b32_e32 v11, s35, v10
	v_xor_b32_e32 v10, s34, v10
	v_and_b32_e32 v8, v8, v11
	v_and_b32_e32 v44, v44, v10
	v_lshlrev_b32_e32 v11, 28, v42
	v_mov_b32_e32 v10, v9
	v_cmp_gt_i64_e64 s[34:35], 0, v[10:11]
	v_not_b32_e32 v10, v11
	v_ashrrev_i32_e32 v10, 31, v10
	;; [unrolled: 9-line block ×5, first 2 shown]
	v_xor_b32_e32 v11, s35, v10
	v_xor_b32_e32 v10, s34, v10
	v_and_b32_e32 v8, v8, v11
	v_lshlrev_b32_e32 v11, 24, v42
	v_and_b32_e32 v44, v44, v10
	v_mov_b32_e32 v10, v9
	v_not_b32_e32 v9, v11
	v_cmp_gt_i64_e64 s[34:35], 0, v[10:11]
	v_ashrrev_i32_e32 v9, 31, v9
	ds_read_b32 v41, v45 offset:64
	v_xor_b32_e32 v10, s35, v9
	v_xor_b32_e32 v11, s34, v9
	v_and_b32_e32 v9, v8, v10
	v_and_b32_e32 v8, v44, v11
	v_mbcnt_lo_u32_b32 v10, v8, 0
	v_mbcnt_hi_u32_b32 v42, v9, v10
	v_cmp_eq_u32_e64 s[34:35], 0, v42
	v_cmp_ne_u64_e64 s[36:37], 0, v[8:9]
	s_and_b64 s[36:37], s[36:37], s[34:35]
	; wave barrier
	s_and_saveexec_b64 s[34:35], s[36:37]
	s_cbranch_execz .LBB1865_45
; %bb.44:
	v_bcnt_u32_b32 v8, v8, 0
	v_bcnt_u32_b32 v8, v9, v8
	s_waitcnt lgkmcnt(0)
	v_add_u32_e32 v8, v41, v8
	ds_write_b32 v45, v8 offset:64
.LBB1865_45:
	s_or_b64 exec, exec, s[34:35]
	v_lshrrev_b32_e32 v8, s64, v18
	v_and_b32_e32 v46, s68, v8
	v_mul_lo_u32 v8, v46, s38
	v_lshl_add_u32 v48, v38, 2, v8
	v_and_b32_e32 v8, 1, v46
	v_mov_b32_e32 v9, 0
	v_lshl_add_u64 v[10:11], v[8:9], 0, -1
	v_cmp_ne_u32_e64 s[34:35], 0, v8
	; wave barrier
	s_nop 1
	v_xor_b32_e32 v10, s34, v10
	v_xor_b32_e32 v8, s35, v11
	v_and_b32_e32 v47, exec_lo, v10
	v_lshlrev_b32_e32 v11, 30, v46
	v_mov_b32_e32 v10, v9
	v_cmp_gt_i64_e64 s[34:35], 0, v[10:11]
	v_not_b32_e32 v10, v11
	v_ashrrev_i32_e32 v10, 31, v10
	v_and_b32_e32 v8, exec_hi, v8
	v_xor_b32_e32 v11, s35, v10
	v_xor_b32_e32 v10, s34, v10
	v_and_b32_e32 v8, v8, v11
	v_and_b32_e32 v47, v47, v10
	v_lshlrev_b32_e32 v11, 29, v46
	v_mov_b32_e32 v10, v9
	v_cmp_gt_i64_e64 s[34:35], 0, v[10:11]
	v_not_b32_e32 v10, v11
	v_ashrrev_i32_e32 v10, 31, v10
	v_xor_b32_e32 v11, s35, v10
	v_xor_b32_e32 v10, s34, v10
	v_and_b32_e32 v8, v8, v11
	v_and_b32_e32 v47, v47, v10
	v_lshlrev_b32_e32 v11, 28, v46
	v_mov_b32_e32 v10, v9
	v_cmp_gt_i64_e64 s[34:35], 0, v[10:11]
	v_not_b32_e32 v10, v11
	v_ashrrev_i32_e32 v10, 31, v10
	;; [unrolled: 9-line block ×6, first 2 shown]
	v_xor_b32_e32 v11, s35, v10
	v_xor_b32_e32 v10, s34, v10
	ds_read_b32 v44, v48 offset:64
	v_and_b32_e32 v10, v47, v10
	v_and_b32_e32 v11, v8, v11
	v_mbcnt_lo_u32_b32 v8, v10, 0
	v_mbcnt_hi_u32_b32 v46, v11, v8
	v_cmp_eq_u32_e64 s[34:35], 0, v46
	v_cmp_ne_u64_e64 s[36:37], 0, v[10:11]
	s_and_b64 s[36:37], s[36:37], s[34:35]
	; wave barrier
	s_and_saveexec_b64 s[34:35], s[36:37]
	s_cbranch_execz .LBB1865_47
; %bb.46:
	v_bcnt_u32_b32 v8, v10, 0
	v_bcnt_u32_b32 v8, v11, v8
	s_waitcnt lgkmcnt(0)
	v_add_u32_e32 v8, v44, v8
	ds_write_b32 v48, v8 offset:64
.LBB1865_47:
	s_or_b64 exec, exec, s[34:35]
	v_lshrrev_b32_e32 v8, s64, v17
	v_and_b32_e32 v49, s68, v8
	v_mul_lo_u32 v8, v49, s38
	v_lshl_add_u32 v51, v38, 2, v8
	v_and_b32_e32 v8, 1, v49
	v_lshl_add_u64 v[10:11], v[8:9], 0, -1
	v_cmp_ne_u32_e64 s[34:35], 0, v8
	; wave barrier
	s_nop 1
	v_xor_b32_e32 v10, s34, v10
	v_xor_b32_e32 v8, s35, v11
	v_and_b32_e32 v50, exec_lo, v10
	v_lshlrev_b32_e32 v11, 30, v49
	v_mov_b32_e32 v10, v9
	v_cmp_gt_i64_e64 s[34:35], 0, v[10:11]
	v_not_b32_e32 v10, v11
	v_ashrrev_i32_e32 v10, 31, v10
	v_and_b32_e32 v8, exec_hi, v8
	v_xor_b32_e32 v11, s35, v10
	v_xor_b32_e32 v10, s34, v10
	v_and_b32_e32 v8, v8, v11
	v_and_b32_e32 v50, v50, v10
	v_lshlrev_b32_e32 v11, 29, v49
	v_mov_b32_e32 v10, v9
	v_cmp_gt_i64_e64 s[34:35], 0, v[10:11]
	v_not_b32_e32 v10, v11
	v_ashrrev_i32_e32 v10, 31, v10
	v_xor_b32_e32 v11, s35, v10
	v_xor_b32_e32 v10, s34, v10
	v_and_b32_e32 v8, v8, v11
	v_and_b32_e32 v50, v50, v10
	v_lshlrev_b32_e32 v11, 28, v49
	v_mov_b32_e32 v10, v9
	v_cmp_gt_i64_e64 s[34:35], 0, v[10:11]
	v_not_b32_e32 v10, v11
	v_ashrrev_i32_e32 v10, 31, v10
	;; [unrolled: 9-line block ×5, first 2 shown]
	v_xor_b32_e32 v11, s35, v10
	v_xor_b32_e32 v10, s34, v10
	v_and_b32_e32 v8, v8, v11
	v_lshlrev_b32_e32 v11, 24, v49
	v_and_b32_e32 v50, v50, v10
	v_mov_b32_e32 v10, v9
	v_not_b32_e32 v9, v11
	v_cmp_gt_i64_e64 s[34:35], 0, v[10:11]
	v_ashrrev_i32_e32 v9, 31, v9
	ds_read_b32 v47, v51 offset:64
	v_xor_b32_e32 v10, s35, v9
	v_xor_b32_e32 v11, s34, v9
	v_and_b32_e32 v9, v8, v10
	v_and_b32_e32 v8, v50, v11
	v_mbcnt_lo_u32_b32 v10, v8, 0
	v_mbcnt_hi_u32_b32 v49, v9, v10
	v_cmp_eq_u32_e64 s[34:35], 0, v49
	v_cmp_ne_u64_e64 s[36:37], 0, v[8:9]
	s_and_b64 s[36:37], s[36:37], s[34:35]
	; wave barrier
	s_and_saveexec_b64 s[34:35], s[36:37]
	s_cbranch_execz .LBB1865_49
; %bb.48:
	v_bcnt_u32_b32 v8, v8, 0
	v_bcnt_u32_b32 v8, v9, v8
	s_waitcnt lgkmcnt(0)
	v_add_u32_e32 v8, v47, v8
	ds_write_b32 v51, v8 offset:64
.LBB1865_49:
	s_or_b64 exec, exec, s[34:35]
	v_lshrrev_b32_e32 v8, s64, v20
	v_and_b32_e32 v52, s68, v8
	v_mul_lo_u32 v8, v52, s38
	v_lshl_add_u32 v54, v38, 2, v8
	v_and_b32_e32 v8, 1, v52
	v_mov_b32_e32 v9, 0
	v_lshl_add_u64 v[10:11], v[8:9], 0, -1
	v_cmp_ne_u32_e64 s[34:35], 0, v8
	; wave barrier
	s_nop 1
	v_xor_b32_e32 v10, s34, v10
	v_xor_b32_e32 v8, s35, v11
	v_and_b32_e32 v53, exec_lo, v10
	v_lshlrev_b32_e32 v11, 30, v52
	v_mov_b32_e32 v10, v9
	v_cmp_gt_i64_e64 s[34:35], 0, v[10:11]
	v_not_b32_e32 v10, v11
	v_ashrrev_i32_e32 v10, 31, v10
	v_and_b32_e32 v8, exec_hi, v8
	v_xor_b32_e32 v11, s35, v10
	v_xor_b32_e32 v10, s34, v10
	v_and_b32_e32 v8, v8, v11
	v_and_b32_e32 v53, v53, v10
	v_lshlrev_b32_e32 v11, 29, v52
	v_mov_b32_e32 v10, v9
	v_cmp_gt_i64_e64 s[34:35], 0, v[10:11]
	v_not_b32_e32 v10, v11
	v_ashrrev_i32_e32 v10, 31, v10
	v_xor_b32_e32 v11, s35, v10
	v_xor_b32_e32 v10, s34, v10
	v_and_b32_e32 v8, v8, v11
	v_and_b32_e32 v53, v53, v10
	v_lshlrev_b32_e32 v11, 28, v52
	v_mov_b32_e32 v10, v9
	v_cmp_gt_i64_e64 s[34:35], 0, v[10:11]
	v_not_b32_e32 v10, v11
	v_ashrrev_i32_e32 v10, 31, v10
	;; [unrolled: 9-line block ×6, first 2 shown]
	v_xor_b32_e32 v11, s35, v10
	v_xor_b32_e32 v10, s34, v10
	ds_read_b32 v50, v54 offset:64
	v_and_b32_e32 v10, v53, v10
	v_and_b32_e32 v11, v8, v11
	v_mbcnt_lo_u32_b32 v8, v10, 0
	v_mbcnt_hi_u32_b32 v52, v11, v8
	v_cmp_eq_u32_e64 s[34:35], 0, v52
	v_cmp_ne_u64_e64 s[36:37], 0, v[10:11]
	s_and_b64 s[36:37], s[36:37], s[34:35]
	; wave barrier
	s_and_saveexec_b64 s[34:35], s[36:37]
	s_cbranch_execz .LBB1865_51
; %bb.50:
	v_bcnt_u32_b32 v8, v10, 0
	v_bcnt_u32_b32 v8, v11, v8
	s_waitcnt lgkmcnt(0)
	v_add_u32_e32 v8, v50, v8
	ds_write_b32 v54, v8 offset:64
.LBB1865_51:
	s_or_b64 exec, exec, s[34:35]
	v_lshrrev_b32_e32 v8, s64, v19
	v_and_b32_e32 v55, s68, v8
	v_mul_lo_u32 v8, v55, s38
	v_lshl_add_u32 v57, v38, 2, v8
	v_and_b32_e32 v8, 1, v55
	v_lshl_add_u64 v[10:11], v[8:9], 0, -1
	v_cmp_ne_u32_e64 s[34:35], 0, v8
	; wave barrier
	s_nop 1
	v_xor_b32_e32 v10, s34, v10
	v_xor_b32_e32 v8, s35, v11
	v_and_b32_e32 v56, exec_lo, v10
	v_lshlrev_b32_e32 v11, 30, v55
	v_mov_b32_e32 v10, v9
	v_cmp_gt_i64_e64 s[34:35], 0, v[10:11]
	v_not_b32_e32 v10, v11
	v_ashrrev_i32_e32 v10, 31, v10
	v_and_b32_e32 v8, exec_hi, v8
	v_xor_b32_e32 v11, s35, v10
	v_xor_b32_e32 v10, s34, v10
	v_and_b32_e32 v8, v8, v11
	v_and_b32_e32 v56, v56, v10
	v_lshlrev_b32_e32 v11, 29, v55
	v_mov_b32_e32 v10, v9
	v_cmp_gt_i64_e64 s[34:35], 0, v[10:11]
	v_not_b32_e32 v10, v11
	v_ashrrev_i32_e32 v10, 31, v10
	v_xor_b32_e32 v11, s35, v10
	v_xor_b32_e32 v10, s34, v10
	v_and_b32_e32 v8, v8, v11
	v_and_b32_e32 v56, v56, v10
	v_lshlrev_b32_e32 v11, 28, v55
	v_mov_b32_e32 v10, v9
	v_cmp_gt_i64_e64 s[34:35], 0, v[10:11]
	v_not_b32_e32 v10, v11
	v_ashrrev_i32_e32 v10, 31, v10
	;; [unrolled: 9-line block ×5, first 2 shown]
	v_xor_b32_e32 v11, s35, v10
	v_xor_b32_e32 v10, s34, v10
	v_and_b32_e32 v8, v8, v11
	v_lshlrev_b32_e32 v11, 24, v55
	v_and_b32_e32 v56, v56, v10
	v_mov_b32_e32 v10, v9
	v_not_b32_e32 v9, v11
	v_cmp_gt_i64_e64 s[34:35], 0, v[10:11]
	v_ashrrev_i32_e32 v9, 31, v9
	ds_read_b32 v53, v57 offset:64
	v_xor_b32_e32 v10, s35, v9
	v_xor_b32_e32 v11, s34, v9
	v_and_b32_e32 v9, v8, v10
	v_and_b32_e32 v8, v56, v11
	v_mbcnt_lo_u32_b32 v10, v8, 0
	v_mbcnt_hi_u32_b32 v55, v9, v10
	v_cmp_eq_u32_e64 s[34:35], 0, v55
	v_cmp_ne_u64_e64 s[36:37], 0, v[8:9]
	s_and_b64 s[36:37], s[36:37], s[34:35]
	; wave barrier
	s_and_saveexec_b64 s[34:35], s[36:37]
	s_cbranch_execz .LBB1865_53
; %bb.52:
	v_bcnt_u32_b32 v8, v8, 0
	v_bcnt_u32_b32 v8, v9, v8
	s_waitcnt lgkmcnt(0)
	v_add_u32_e32 v8, v53, v8
	ds_write_b32 v57, v8 offset:64
.LBB1865_53:
	s_or_b64 exec, exec, s[34:35]
	v_lshrrev_b32_e32 v8, s64, v22
	v_and_b32_e32 v58, s68, v8
	v_mul_lo_u32 v8, v58, s38
	v_lshl_add_u32 v60, v38, 2, v8
	v_and_b32_e32 v8, 1, v58
	v_mov_b32_e32 v9, 0
	v_lshl_add_u64 v[10:11], v[8:9], 0, -1
	v_cmp_ne_u32_e64 s[34:35], 0, v8
	; wave barrier
	s_nop 1
	v_xor_b32_e32 v10, s34, v10
	v_xor_b32_e32 v8, s35, v11
	v_and_b32_e32 v59, exec_lo, v10
	v_lshlrev_b32_e32 v11, 30, v58
	v_mov_b32_e32 v10, v9
	v_cmp_gt_i64_e64 s[34:35], 0, v[10:11]
	v_not_b32_e32 v10, v11
	v_ashrrev_i32_e32 v10, 31, v10
	v_and_b32_e32 v8, exec_hi, v8
	v_xor_b32_e32 v11, s35, v10
	v_xor_b32_e32 v10, s34, v10
	v_and_b32_e32 v8, v8, v11
	v_and_b32_e32 v59, v59, v10
	v_lshlrev_b32_e32 v11, 29, v58
	v_mov_b32_e32 v10, v9
	v_cmp_gt_i64_e64 s[34:35], 0, v[10:11]
	v_not_b32_e32 v10, v11
	v_ashrrev_i32_e32 v10, 31, v10
	v_xor_b32_e32 v11, s35, v10
	v_xor_b32_e32 v10, s34, v10
	v_and_b32_e32 v8, v8, v11
	v_and_b32_e32 v59, v59, v10
	v_lshlrev_b32_e32 v11, 28, v58
	v_mov_b32_e32 v10, v9
	v_cmp_gt_i64_e64 s[34:35], 0, v[10:11]
	v_not_b32_e32 v10, v11
	v_ashrrev_i32_e32 v10, 31, v10
	;; [unrolled: 9-line block ×6, first 2 shown]
	v_xor_b32_e32 v11, s35, v10
	v_xor_b32_e32 v10, s34, v10
	ds_read_b32 v56, v60 offset:64
	v_and_b32_e32 v10, v59, v10
	v_and_b32_e32 v11, v8, v11
	v_mbcnt_lo_u32_b32 v8, v10, 0
	v_mbcnt_hi_u32_b32 v58, v11, v8
	v_cmp_eq_u32_e64 s[34:35], 0, v58
	v_cmp_ne_u64_e64 s[36:37], 0, v[10:11]
	s_and_b64 s[36:37], s[36:37], s[34:35]
	; wave barrier
	s_and_saveexec_b64 s[34:35], s[36:37]
	s_cbranch_execz .LBB1865_55
; %bb.54:
	v_bcnt_u32_b32 v8, v10, 0
	v_bcnt_u32_b32 v8, v11, v8
	s_waitcnt lgkmcnt(0)
	v_add_u32_e32 v8, v56, v8
	ds_write_b32 v60, v8 offset:64
.LBB1865_55:
	s_or_b64 exec, exec, s[34:35]
	v_lshrrev_b32_e32 v8, s64, v21
	v_and_b32_e32 v61, s68, v8
	v_mul_lo_u32 v8, v61, s38
	v_lshl_add_u32 v63, v38, 2, v8
	v_and_b32_e32 v8, 1, v61
	v_lshl_add_u64 v[10:11], v[8:9], 0, -1
	v_cmp_ne_u32_e64 s[34:35], 0, v8
	; wave barrier
	s_nop 1
	v_xor_b32_e32 v10, s34, v10
	v_xor_b32_e32 v8, s35, v11
	v_and_b32_e32 v62, exec_lo, v10
	v_lshlrev_b32_e32 v11, 30, v61
	v_mov_b32_e32 v10, v9
	v_cmp_gt_i64_e64 s[34:35], 0, v[10:11]
	v_not_b32_e32 v10, v11
	v_ashrrev_i32_e32 v10, 31, v10
	v_and_b32_e32 v8, exec_hi, v8
	v_xor_b32_e32 v11, s35, v10
	v_xor_b32_e32 v10, s34, v10
	v_and_b32_e32 v8, v8, v11
	v_and_b32_e32 v62, v62, v10
	v_lshlrev_b32_e32 v11, 29, v61
	v_mov_b32_e32 v10, v9
	v_cmp_gt_i64_e64 s[34:35], 0, v[10:11]
	v_not_b32_e32 v10, v11
	v_ashrrev_i32_e32 v10, 31, v10
	v_xor_b32_e32 v11, s35, v10
	v_xor_b32_e32 v10, s34, v10
	v_and_b32_e32 v8, v8, v11
	v_and_b32_e32 v62, v62, v10
	v_lshlrev_b32_e32 v11, 28, v61
	v_mov_b32_e32 v10, v9
	v_cmp_gt_i64_e64 s[34:35], 0, v[10:11]
	v_not_b32_e32 v10, v11
	v_ashrrev_i32_e32 v10, 31, v10
	;; [unrolled: 9-line block ×5, first 2 shown]
	v_xor_b32_e32 v11, s35, v10
	v_xor_b32_e32 v10, s34, v10
	v_and_b32_e32 v8, v8, v11
	v_lshlrev_b32_e32 v11, 24, v61
	v_and_b32_e32 v62, v62, v10
	v_mov_b32_e32 v10, v9
	v_not_b32_e32 v9, v11
	v_cmp_gt_i64_e64 s[34:35], 0, v[10:11]
	v_ashrrev_i32_e32 v9, 31, v9
	ds_read_b32 v59, v63 offset:64
	v_xor_b32_e32 v10, s35, v9
	v_xor_b32_e32 v11, s34, v9
	v_and_b32_e32 v9, v8, v10
	v_and_b32_e32 v8, v62, v11
	v_mbcnt_lo_u32_b32 v10, v8, 0
	v_mbcnt_hi_u32_b32 v61, v9, v10
	v_cmp_eq_u32_e64 s[34:35], 0, v61
	v_cmp_ne_u64_e64 s[36:37], 0, v[8:9]
	s_and_b64 s[36:37], s[36:37], s[34:35]
	; wave barrier
	s_and_saveexec_b64 s[34:35], s[36:37]
	s_cbranch_execz .LBB1865_57
; %bb.56:
	v_bcnt_u32_b32 v8, v8, 0
	v_bcnt_u32_b32 v8, v9, v8
	s_waitcnt lgkmcnt(0)
	v_add_u32_e32 v8, v59, v8
	ds_write_b32 v63, v8 offset:64
.LBB1865_57:
	s_or_b64 exec, exec, s[34:35]
	v_lshrrev_b32_e32 v8, s64, v24
	v_and_b32_e32 v64, s68, v8
	v_mul_lo_u32 v8, v64, s38
	v_lshl_add_u32 v66, v38, 2, v8
	v_and_b32_e32 v8, 1, v64
	v_mov_b32_e32 v9, 0
	v_lshl_add_u64 v[10:11], v[8:9], 0, -1
	v_cmp_ne_u32_e64 s[34:35], 0, v8
	; wave barrier
	s_nop 1
	v_xor_b32_e32 v10, s34, v10
	v_xor_b32_e32 v8, s35, v11
	v_and_b32_e32 v65, exec_lo, v10
	v_lshlrev_b32_e32 v11, 30, v64
	v_mov_b32_e32 v10, v9
	v_cmp_gt_i64_e64 s[34:35], 0, v[10:11]
	v_not_b32_e32 v10, v11
	v_ashrrev_i32_e32 v10, 31, v10
	v_and_b32_e32 v8, exec_hi, v8
	v_xor_b32_e32 v11, s35, v10
	v_xor_b32_e32 v10, s34, v10
	v_and_b32_e32 v8, v8, v11
	v_and_b32_e32 v65, v65, v10
	v_lshlrev_b32_e32 v11, 29, v64
	v_mov_b32_e32 v10, v9
	v_cmp_gt_i64_e64 s[34:35], 0, v[10:11]
	v_not_b32_e32 v10, v11
	v_ashrrev_i32_e32 v10, 31, v10
	v_xor_b32_e32 v11, s35, v10
	v_xor_b32_e32 v10, s34, v10
	v_and_b32_e32 v8, v8, v11
	v_and_b32_e32 v65, v65, v10
	v_lshlrev_b32_e32 v11, 28, v64
	v_mov_b32_e32 v10, v9
	v_cmp_gt_i64_e64 s[34:35], 0, v[10:11]
	v_not_b32_e32 v10, v11
	v_ashrrev_i32_e32 v10, 31, v10
	;; [unrolled: 9-line block ×6, first 2 shown]
	v_xor_b32_e32 v11, s35, v10
	v_xor_b32_e32 v10, s34, v10
	ds_read_b32 v62, v66 offset:64
	v_and_b32_e32 v10, v65, v10
	v_and_b32_e32 v11, v8, v11
	v_mbcnt_lo_u32_b32 v8, v10, 0
	v_mbcnt_hi_u32_b32 v64, v11, v8
	v_cmp_eq_u32_e64 s[34:35], 0, v64
	v_cmp_ne_u64_e64 s[36:37], 0, v[10:11]
	s_and_b64 s[36:37], s[36:37], s[34:35]
	; wave barrier
	s_and_saveexec_b64 s[34:35], s[36:37]
	s_cbranch_execz .LBB1865_59
; %bb.58:
	v_bcnt_u32_b32 v8, v10, 0
	v_bcnt_u32_b32 v8, v11, v8
	s_waitcnt lgkmcnt(0)
	v_add_u32_e32 v8, v62, v8
	ds_write_b32 v66, v8 offset:64
.LBB1865_59:
	s_or_b64 exec, exec, s[34:35]
	v_lshrrev_b32_e32 v8, s64, v23
	v_and_b32_e32 v67, s68, v8
	v_mul_lo_u32 v8, v67, s38
	v_lshl_add_u32 v69, v38, 2, v8
	v_and_b32_e32 v8, 1, v67
	v_lshl_add_u64 v[10:11], v[8:9], 0, -1
	v_cmp_ne_u32_e64 s[34:35], 0, v8
	; wave barrier
	s_nop 1
	v_xor_b32_e32 v10, s34, v10
	v_xor_b32_e32 v8, s35, v11
	v_and_b32_e32 v68, exec_lo, v10
	v_lshlrev_b32_e32 v11, 30, v67
	v_mov_b32_e32 v10, v9
	v_cmp_gt_i64_e64 s[34:35], 0, v[10:11]
	v_not_b32_e32 v10, v11
	v_ashrrev_i32_e32 v10, 31, v10
	v_and_b32_e32 v8, exec_hi, v8
	v_xor_b32_e32 v11, s35, v10
	v_xor_b32_e32 v10, s34, v10
	v_and_b32_e32 v8, v8, v11
	v_and_b32_e32 v68, v68, v10
	v_lshlrev_b32_e32 v11, 29, v67
	v_mov_b32_e32 v10, v9
	v_cmp_gt_i64_e64 s[34:35], 0, v[10:11]
	v_not_b32_e32 v10, v11
	v_ashrrev_i32_e32 v10, 31, v10
	v_xor_b32_e32 v11, s35, v10
	v_xor_b32_e32 v10, s34, v10
	v_and_b32_e32 v8, v8, v11
	v_and_b32_e32 v68, v68, v10
	v_lshlrev_b32_e32 v11, 28, v67
	v_mov_b32_e32 v10, v9
	v_cmp_gt_i64_e64 s[34:35], 0, v[10:11]
	v_not_b32_e32 v10, v11
	v_ashrrev_i32_e32 v10, 31, v10
	v_xor_b32_e32 v11, s35, v10
	v_xor_b32_e32 v10, s34, v10
	v_and_b32_e32 v8, v8, v11
	v_and_b32_e32 v68, v68, v10
	v_lshlrev_b32_e32 v11, 27, v67
	v_mov_b32_e32 v10, v9
	v_cmp_gt_i64_e64 s[34:35], 0, v[10:11]
	v_not_b32_e32 v10, v11
	v_ashrrev_i32_e32 v10, 31, v10
	v_xor_b32_e32 v11, s35, v10
	v_xor_b32_e32 v10, s34, v10
	v_and_b32_e32 v8, v8, v11
	v_and_b32_e32 v68, v68, v10
	v_lshlrev_b32_e32 v11, 26, v67
	v_mov_b32_e32 v10, v9
	v_cmp_gt_i64_e64 s[34:35], 0, v[10:11]
	v_not_b32_e32 v10, v11
	v_ashrrev_i32_e32 v10, 31, v10
	v_xor_b32_e32 v11, s35, v10
	v_xor_b32_e32 v10, s34, v10
	v_and_b32_e32 v8, v8, v11
	v_and_b32_e32 v68, v68, v10
	v_lshlrev_b32_e32 v11, 25, v67
	v_mov_b32_e32 v10, v9
	v_cmp_gt_i64_e64 s[34:35], 0, v[10:11]
	v_not_b32_e32 v10, v11
	v_ashrrev_i32_e32 v10, 31, v10
	v_xor_b32_e32 v11, s35, v10
	v_xor_b32_e32 v10, s34, v10
	v_and_b32_e32 v8, v8, v11
	v_lshlrev_b32_e32 v11, 24, v67
	v_and_b32_e32 v68, v68, v10
	v_mov_b32_e32 v10, v9
	v_not_b32_e32 v9, v11
	v_cmp_gt_i64_e64 s[34:35], 0, v[10:11]
	v_ashrrev_i32_e32 v9, 31, v9
	ds_read_b32 v65, v69 offset:64
	v_xor_b32_e32 v10, s35, v9
	v_xor_b32_e32 v11, s34, v9
	v_and_b32_e32 v9, v8, v10
	v_and_b32_e32 v8, v68, v11
	v_mbcnt_lo_u32_b32 v10, v8, 0
	v_mbcnt_hi_u32_b32 v67, v9, v10
	v_cmp_eq_u32_e64 s[34:35], 0, v67
	v_cmp_ne_u64_e64 s[36:37], 0, v[8:9]
	s_and_b64 s[36:37], s[36:37], s[34:35]
	; wave barrier
	s_and_saveexec_b64 s[34:35], s[36:37]
	s_cbranch_execz .LBB1865_61
; %bb.60:
	v_bcnt_u32_b32 v8, v8, 0
	v_bcnt_u32_b32 v8, v9, v8
	s_waitcnt lgkmcnt(0)
	v_add_u32_e32 v8, v65, v8
	ds_write_b32 v69, v8 offset:64
.LBB1865_61:
	s_or_b64 exec, exec, s[34:35]
	v_lshrrev_b32_e32 v8, s64, v26
	v_and_b32_e32 v70, s68, v8
	v_mul_lo_u32 v8, v70, s38
	v_lshl_add_u32 v72, v38, 2, v8
	v_and_b32_e32 v8, 1, v70
	v_mov_b32_e32 v9, 0
	v_lshl_add_u64 v[10:11], v[8:9], 0, -1
	v_cmp_ne_u32_e64 s[34:35], 0, v8
	; wave barrier
	s_nop 1
	v_xor_b32_e32 v10, s34, v10
	v_xor_b32_e32 v8, s35, v11
	v_and_b32_e32 v71, exec_lo, v10
	v_lshlrev_b32_e32 v11, 30, v70
	v_mov_b32_e32 v10, v9
	v_cmp_gt_i64_e64 s[34:35], 0, v[10:11]
	v_not_b32_e32 v10, v11
	v_ashrrev_i32_e32 v10, 31, v10
	v_and_b32_e32 v8, exec_hi, v8
	v_xor_b32_e32 v11, s35, v10
	v_xor_b32_e32 v10, s34, v10
	v_and_b32_e32 v8, v8, v11
	v_and_b32_e32 v71, v71, v10
	v_lshlrev_b32_e32 v11, 29, v70
	v_mov_b32_e32 v10, v9
	v_cmp_gt_i64_e64 s[34:35], 0, v[10:11]
	v_not_b32_e32 v10, v11
	v_ashrrev_i32_e32 v10, 31, v10
	v_xor_b32_e32 v11, s35, v10
	v_xor_b32_e32 v10, s34, v10
	v_and_b32_e32 v8, v8, v11
	v_and_b32_e32 v71, v71, v10
	v_lshlrev_b32_e32 v11, 28, v70
	v_mov_b32_e32 v10, v9
	v_cmp_gt_i64_e64 s[34:35], 0, v[10:11]
	v_not_b32_e32 v10, v11
	v_ashrrev_i32_e32 v10, 31, v10
	;; [unrolled: 9-line block ×6, first 2 shown]
	v_xor_b32_e32 v11, s35, v10
	v_xor_b32_e32 v10, s34, v10
	ds_read_b32 v68, v72 offset:64
	v_and_b32_e32 v10, v71, v10
	v_and_b32_e32 v11, v8, v11
	v_mbcnt_lo_u32_b32 v8, v10, 0
	v_mbcnt_hi_u32_b32 v70, v11, v8
	v_cmp_eq_u32_e64 s[34:35], 0, v70
	v_cmp_ne_u64_e64 s[36:37], 0, v[10:11]
	s_and_b64 s[36:37], s[36:37], s[34:35]
	; wave barrier
	s_and_saveexec_b64 s[34:35], s[36:37]
	s_cbranch_execz .LBB1865_63
; %bb.62:
	v_bcnt_u32_b32 v8, v10, 0
	v_bcnt_u32_b32 v8, v11, v8
	s_waitcnt lgkmcnt(0)
	v_add_u32_e32 v8, v68, v8
	ds_write_b32 v72, v8 offset:64
.LBB1865_63:
	s_or_b64 exec, exec, s[34:35]
	v_lshrrev_b32_e32 v8, s64, v25
	v_and_b32_e32 v73, s68, v8
	v_mul_lo_u32 v8, v73, s38
	v_lshl_add_u32 v74, v38, 2, v8
	v_and_b32_e32 v8, 1, v73
	v_lshl_add_u64 v[10:11], v[8:9], 0, -1
	v_cmp_ne_u32_e64 s[34:35], 0, v8
	; wave barrier
	s_nop 1
	v_xor_b32_e32 v10, s34, v10
	v_xor_b32_e32 v8, s35, v11
	v_and_b32_e32 v38, exec_lo, v10
	v_lshlrev_b32_e32 v11, 30, v73
	v_mov_b32_e32 v10, v9
	v_cmp_gt_i64_e64 s[34:35], 0, v[10:11]
	v_not_b32_e32 v10, v11
	v_ashrrev_i32_e32 v10, 31, v10
	v_and_b32_e32 v8, exec_hi, v8
	v_xor_b32_e32 v11, s35, v10
	v_xor_b32_e32 v10, s34, v10
	v_and_b32_e32 v8, v8, v11
	v_and_b32_e32 v38, v38, v10
	v_lshlrev_b32_e32 v11, 29, v73
	v_mov_b32_e32 v10, v9
	v_cmp_gt_i64_e64 s[34:35], 0, v[10:11]
	v_not_b32_e32 v10, v11
	v_ashrrev_i32_e32 v10, 31, v10
	v_xor_b32_e32 v11, s35, v10
	v_xor_b32_e32 v10, s34, v10
	v_and_b32_e32 v8, v8, v11
	v_and_b32_e32 v38, v38, v10
	v_lshlrev_b32_e32 v11, 28, v73
	v_mov_b32_e32 v10, v9
	v_cmp_gt_i64_e64 s[34:35], 0, v[10:11]
	v_not_b32_e32 v10, v11
	v_ashrrev_i32_e32 v10, 31, v10
	;; [unrolled: 9-line block ×5, first 2 shown]
	v_xor_b32_e32 v11, s35, v10
	v_xor_b32_e32 v10, s34, v10
	v_and_b32_e32 v8, v8, v11
	v_lshlrev_b32_e32 v11, 24, v73
	v_and_b32_e32 v38, v38, v10
	v_mov_b32_e32 v10, v9
	v_not_b32_e32 v9, v11
	v_cmp_gt_i64_e64 s[34:35], 0, v[10:11]
	v_ashrrev_i32_e32 v9, 31, v9
	ds_read_b32 v71, v74 offset:64
	v_xor_b32_e32 v10, s35, v9
	v_xor_b32_e32 v11, s34, v9
	v_and_b32_e32 v9, v8, v10
	v_and_b32_e32 v8, v38, v11
	v_mbcnt_lo_u32_b32 v10, v8, 0
	v_mbcnt_hi_u32_b32 v73, v9, v10
	v_cmp_eq_u32_e64 s[34:35], 0, v73
	v_cmp_ne_u64_e64 s[36:37], 0, v[8:9]
	s_and_b64 s[36:37], s[36:37], s[34:35]
	; wave barrier
	s_and_saveexec_b64 s[34:35], s[36:37]
	s_cbranch_execz .LBB1865_65
; %bb.64:
	v_bcnt_u32_b32 v8, v8, 0
	v_bcnt_u32_b32 v8, v9, v8
	s_waitcnt lgkmcnt(0)
	v_add_u32_e32 v8, v71, v8
	ds_write_b32 v74, v8 offset:64
.LBB1865_65:
	s_or_b64 exec, exec, s[34:35]
	; wave barrier
	s_waitcnt lgkmcnt(0)
	s_barrier
	ds_read2_b32 v[10:11], v13 offset0:16 offset1:17
	ds_read2_b32 v[8:9], v13 offset0:18 offset1:19
	ds_read_b32 v38, v13 offset:80
	v_cmp_lt_u32_e64 s[44:45], 31, v12
	s_waitcnt lgkmcnt(1)
	v_add3_u32 v75, v11, v10, v8
	s_waitcnt lgkmcnt(0)
	v_add3_u32 v38, v75, v9, v38
	v_and_b32_e32 v75, 15, v12
	v_cmp_eq_u32_e64 s[34:35], 0, v75
	v_mov_b32_dpp v76, v38 row_shr:1 row_mask:0xf bank_mask:0xf
	v_cmp_lt_u32_e64 s[36:37], 1, v75
	v_cndmask_b32_e64 v76, v76, 0, s[34:35]
	v_add_u32_e32 v38, v76, v38
	v_cmp_lt_u32_e64 s[38:39], 3, v75
	v_cmp_lt_u32_e64 s[40:41], 7, v75
	v_mov_b32_dpp v76, v38 row_shr:2 row_mask:0xf bank_mask:0xf
	v_cndmask_b32_e64 v76, 0, v76, s[36:37]
	v_add_u32_e32 v38, v38, v76
	s_nop 1
	v_mov_b32_dpp v76, v38 row_shr:4 row_mask:0xf bank_mask:0xf
	v_cndmask_b32_e64 v76, 0, v76, s[38:39]
	v_add_u32_e32 v38, v38, v76
	s_nop 1
	v_mov_b32_dpp v76, v38 row_shr:8 row_mask:0xf bank_mask:0xf
	v_cndmask_b32_e64 v75, 0, v76, s[40:41]
	v_add_u32_e32 v38, v38, v75
	v_bfe_i32 v76, v12, 4, 1
	s_nop 0
	v_mov_b32_dpp v75, v38 row_bcast:15 row_mask:0xf bank_mask:0xf
	v_and_b32_e32 v75, v76, v75
	v_add_u32_e32 v38, v38, v75
	v_lshrrev_b32_e32 v76, 6, v2
	s_nop 0
	v_mov_b32_dpp v75, v38 row_bcast:31 row_mask:0xf bank_mask:0xf
	v_cndmask_b32_e64 v75, 0, v75, s[44:45]
	v_add_u32_e32 v75, v38, v75
	v_and_b32_e32 v38, 63, v2
	v_cmp_eq_u32_e64 s[44:45], 63, v38
	s_and_saveexec_b64 s[46:47], s[44:45]
; %bb.66:
	v_lshlrev_b32_e32 v38, 2, v76
	ds_write_b32 v38, v75
; %bb.67:
	s_or_b64 exec, exec, s[46:47]
	v_cmp_gt_u32_e64 s[44:45], 16, v2
	v_lshlrev_b32_e32 v38, 2, v2
	s_waitcnt lgkmcnt(0)
	s_barrier
	s_and_saveexec_b64 s[46:47], s[44:45]
	s_cbranch_execz .LBB1865_69
; %bb.68:
	ds_read_b32 v77, v38
	s_waitcnt lgkmcnt(0)
	s_nop 0
	v_mov_b32_dpp v78, v77 row_shr:1 row_mask:0xf bank_mask:0xf
	v_cndmask_b32_e64 v78, v78, 0, s[34:35]
	v_add_u32_e32 v77, v78, v77
	s_nop 1
	v_mov_b32_dpp v78, v77 row_shr:2 row_mask:0xf bank_mask:0xf
	v_cndmask_b32_e64 v78, 0, v78, s[36:37]
	v_add_u32_e32 v77, v77, v78
	;; [unrolled: 4-line block ×4, first 2 shown]
	ds_write_b32 v38, v77
.LBB1865_69:
	s_or_b64 exec, exec, s[46:47]
	v_cmp_lt_u32_e64 s[34:35], 63, v2
	v_mov_b32_e32 v77, 0
	s_waitcnt lgkmcnt(0)
	s_barrier
	s_and_saveexec_b64 s[36:37], s[34:35]
; %bb.70:
	v_lshl_add_u32 v76, v76, 2, -4
	ds_read_b32 v77, v76
; %bb.71:
	s_or_b64 exec, exec, s[36:37]
	v_subrev_co_u32_e64 v76, s[34:35], 1, v12
	v_and_b32_e32 v78, 64, v12
	v_cmp_lt_i32_e64 s[36:37], v76, v78
	s_waitcnt lgkmcnt(0)
	v_add_u32_e32 v75, v77, v75
	s_movk_i32 s38, 0x100
	v_cndmask_b32_e64 v12, v76, v12, s[36:37]
	v_lshlrev_b32_e32 v12, 2, v12
	ds_bpermute_b32 v12, v12, v75
	v_cmp_gt_u32_e64 s[36:37], s38, v2
	s_waitcnt lgkmcnt(0)
	v_cndmask_b32_e64 v12, v12, v77, s[34:35]
	v_cmp_ne_u32_e64 s[34:35], 0, v2
	s_nop 1
	v_cndmask_b32_e64 v12, 0, v12, s[34:35]
	v_add_u32_e32 v10, v12, v10
	v_add_u32_e32 v11, v10, v11
	;; [unrolled: 1-line block ×4, first 2 shown]
	ds_write2_b32 v13, v12, v10 offset0:16 offset1:17
	ds_write2_b32 v13, v11, v8 offset0:18 offset1:19
	ds_write_b32 v13, v9 offset:80
	s_waitcnt lgkmcnt(0)
	s_barrier
	ds_read_b32 v84, v31 offset:64
	ds_read_b32 v75, v33 offset:64
	ds_read_b32 v76, v36 offset:64
	ds_read_b32 v77, v40 offset:64
	ds_read_b32 v78, v43 offset:64
	ds_read_b32 v79, v45 offset:64
	ds_read_b32 v80, v48 offset:64
	ds_read_b32 v81, v51 offset:64
	ds_read_b32 v82, v54 offset:64
	ds_read_b32 v83, v57 offset:64
	ds_read_b32 v57, v60 offset:64
	ds_read_b32 v51, v63 offset:64
	ds_read_b32 v45, v66 offset:64
	ds_read_b32 v40, v69 offset:64
	ds_read_b32 v36, v72 offset:64
	ds_read_b32 v43, v74 offset:64
	s_movk_i32 s34, 0xff
	v_cmp_lt_u32_e64 s[34:35], s34, v2
                                        ; implicit-def: $vgpr31
                                        ; implicit-def: $vgpr33
	s_and_saveexec_b64 s[40:41], s[36:37]
	s_cbranch_execz .LBB1865_75
; %bb.72:
	v_mul_u32_u24_e32 v8, 0x44, v2
	ds_read_b32 v31, v8 offset:64
	v_add_u32_e32 v9, 1, v2
	v_cmp_ne_u32_e64 s[38:39], s38, v9
	v_mov_b32_e32 v8, 0x4000
	s_and_saveexec_b64 s[44:45], s[38:39]
; %bb.73:
	v_mul_u32_u24_e32 v8, 0x44, v9
	ds_read_b32 v8, v8 offset:64
; %bb.74:
	s_or_b64 exec, exec, s[44:45]
	s_waitcnt lgkmcnt(0)
	v_sub_u32_e32 v33, v8, v31
.LBB1865_75:
	s_or_b64 exec, exec, s[40:41]
	v_mov_b32_e32 v9, 0
	s_waitcnt lgkmcnt(0)
	s_barrier
	s_and_saveexec_b64 s[38:39], s[36:37]
	s_cbranch_execz .LBB1865_85
; %bb.76:
	v_lshl_add_u32 v8, s2, 8, v2
	v_lshl_add_u64 v[10:11], v[8:9], 2, s[50:51]
	v_or_b32_e32 v8, 2.0, v33
	s_mov_b64 s[40:41], 0
	s_brev_b32 s48, -4
	s_mov_b32 s49, s2
	v_mov_b32_e32 v48, 0
	global_store_dword v[10:11], v8, off sc1
                                        ; implicit-def: $sgpr36_sgpr37
	s_branch .LBB1865_79
.LBB1865_77:                            ;   in Loop: Header=BB1865_79 Depth=1
	s_or_b64 exec, exec, s[46:47]
.LBB1865_78:                            ;   in Loop: Header=BB1865_79 Depth=1
	s_or_b64 exec, exec, s[44:45]
	v_and_b32_e32 v12, 0x3fffffff, v8
	v_add_u32_e32 v48, v12, v48
	v_cmp_gt_i32_e64 s[36:37], -2.0, v8
	s_and_b64 s[44:45], exec, s[36:37]
	s_or_b64 s[40:41], s[44:45], s[40:41]
	s_andn2_b64 exec, exec, s[40:41]
	s_cbranch_execz .LBB1865_84
.LBB1865_79:                            ; =>This Loop Header: Depth=1
                                        ;     Child Loop BB1865_82 Depth 2
	s_or_b64 s[36:37], s[36:37], exec
	s_cmp_eq_u32 s49, 0
	s_cbranch_scc1 .LBB1865_83
; %bb.80:                               ;   in Loop: Header=BB1865_79 Depth=1
	s_add_i32 s49, s49, -1
	v_lshl_or_b32 v8, s49, 8, v2
	v_lshl_add_u64 v[12:13], v[8:9], 2, s[50:51]
	global_load_dword v8, v[12:13], off sc1
	s_waitcnt vmcnt(0)
	v_cmp_gt_u32_e64 s[36:37], 2.0, v8
	s_and_saveexec_b64 s[44:45], s[36:37]
	s_cbranch_execz .LBB1865_78
; %bb.81:                               ;   in Loop: Header=BB1865_79 Depth=1
	s_mov_b64 s[46:47], 0
.LBB1865_82:                            ;   Parent Loop BB1865_79 Depth=1
                                        ; =>  This Inner Loop Header: Depth=2
	global_load_dword v8, v[12:13], off sc1
	s_waitcnt vmcnt(0)
	v_cmp_lt_u32_e64 s[36:37], s48, v8
	s_or_b64 s[46:47], s[36:37], s[46:47]
	s_andn2_b64 exec, exec, s[46:47]
	s_cbranch_execnz .LBB1865_82
	s_branch .LBB1865_77
.LBB1865_83:                            ;   in Loop: Header=BB1865_79 Depth=1
                                        ; implicit-def: $sgpr49
	s_and_b64 s[44:45], exec, s[36:37]
	s_or_b64 s[40:41], s[44:45], s[40:41]
	s_andn2_b64 exec, exec, s[40:41]
	s_cbranch_execnz .LBB1865_79
.LBB1865_84:
	s_or_b64 exec, exec, s[40:41]
	v_add_u32_e32 v8, v48, v33
	v_or_b32_e32 v8, 0x80000000, v8
	global_store_dword v[10:11], v8, off sc1
	global_load_dword v8, v38, s[60:61]
	v_sub_u32_e32 v9, v48, v31
	s_waitcnt vmcnt(0)
	v_add_u32_e32 v8, v9, v8
	ds_write_b32 v38, v8
.LBB1865_85:
	s_or_b64 exec, exec, s[38:39]
	v_add_u32_e32 v10, v84, v28
	v_add3_u32 v8, v29, v27, v75
	v_add3_u32 v9, v32, v30, v76
	v_add3_u32 v60, v35, v34, v77
	v_add3_u32 v63, v39, v37, v78
	v_add3_u32 v66, v42, v41, v79
	v_add3_u32 v69, v46, v44, v80
	v_add3_u32 v72, v49, v47, v81
	v_add3_u32 v74, v52, v50, v82
	v_add3_u32 v84, v55, v53, v83
	v_add3_u32 v54, v58, v56, v57
	v_add3_u32 v48, v61, v59, v51
	v_add3_u32 v85, v64, v62, v45
	v_add3_u32 v86, v67, v65, v40
	v_add3_u32 v13, v70, v68, v36
	v_add3_u32 v11, v73, v71, v43
	v_mov_b32_e32 v87, 0x400
	s_movk_i32 s40, 0x400
	v_lshl_add_u32 v11, v11, 2, v87
	v_add3_u32 v12, v73, v43, v71
	v_lshl_add_u32 v13, v13, 2, v87
	v_add3_u32 v28, v70, v36, v68
	;; [unrolled: 2-line block ×15, first 2 shown]
	v_lshl_add_u32 v29, v10, 2, v87
	s_mov_b32 s41, 0
	s_mov_b32 s44, 0
	s_movk_i32 s45, 0x1000
	v_mov_b32_e32 v9, 0
	s_movk_i32 s46, 0x800
	s_movk_i32 s47, 0xc00
	v_mov_b32_e32 v58, v2
	s_mov_b32 s48, 0
	s_branch .LBB1865_87
.LBB1865_86:                            ;   in Loop: Header=BB1865_87 Depth=1
	s_or_b64 exec, exec, s[38:39]
	s_addk_i32 s48, 0xc000
	s_add_i32 s41, s41, 16
	s_addk_i32 s44, 0xf000
	s_cmp_eq_u32 s48, 0xffff0000
	v_add_u32_e32 v58, 0x1000, v58
	s_barrier
	s_cbranch_scc1 .LBB1865_127
.LBB1865_87:                            ; =>This Inner Loop Header: Depth=1
	v_add_u32_e32 v8, s44, v10
	v_cmp_gt_u32_e64 s[36:37], s45, v8
	s_and_saveexec_b64 s[38:39], s[36:37]
; %bb.88:                               ;   in Loop: Header=BB1865_87 Depth=1
	v_add_u32_e32 v8, s48, v29
	ds_write_b32 v8, v5
; %bb.89:                               ;   in Loop: Header=BB1865_87 Depth=1
	s_or_b64 exec, exec, s[38:39]
	v_add_u32_e32 v8, s44, v27
	v_cmp_gt_u32_e64 s[36:37], s45, v8
	s_and_saveexec_b64 s[38:39], s[36:37]
; %bb.90:                               ;   in Loop: Header=BB1865_87 Depth=1
	v_add_u32_e32 v8, s48, v32
	ds_write_b32 v8, v3
; %bb.91:                               ;   in Loop: Header=BB1865_87 Depth=1
	s_or_b64 exec, exec, s[38:39]
	;; [unrolled: 8-line block ×6, first 2 shown]
	v_add_u32_e32 v8, s44, v44
	v_cmp_gt_u32_e64 s[36:37], s45, v8
	s_and_saveexec_b64 s[38:39], s[36:37]
; %bb.100:                              ;   in Loop: Header=BB1865_87 Depth=1
	v_add_u32_e32 v8, s48, v49
	ds_write_b32 v8, v18
; %bb.101:                              ;   in Loop: Header=BB1865_87 Depth=1
	s_or_b64 exec, exec, s[38:39]
	v_add_u32_e32 v8, s44, v47
	v_cmp_gt_u32_e64 s[36:37], s45, v8
	s_and_saveexec_b64 s[38:39], s[36:37]
; %bb.102:                              ;   in Loop: Header=BB1865_87 Depth=1
	v_add_u32_e32 v8, s48, v52
	ds_write_b32 v8, v17
; %bb.103:                              ;   in Loop: Header=BB1865_87 Depth=1
	s_or_b64 exec, exec, s[38:39]
	v_add_u32_e32 v8, s44, v50
	v_cmp_gt_u32_e64 s[36:37], s45, v8
	s_and_saveexec_b64 s[38:39], s[36:37]
; %bb.104:                              ;   in Loop: Header=BB1865_87 Depth=1
	v_add_u32_e32 v8, s48, v55
	ds_write_b32 v8, v20
; %bb.105:                              ;   in Loop: Header=BB1865_87 Depth=1
	s_or_b64 exec, exec, s[38:39]
	v_add_u32_e32 v8, s44, v53
	v_cmp_gt_u32_e64 s[36:37], s45, v8
	s_and_saveexec_b64 s[38:39], s[36:37]
; %bb.106:                              ;   in Loop: Header=BB1865_87 Depth=1
	v_add_u32_e32 v8, s48, v57
	ds_write_b32 v8, v19
; %bb.107:                              ;   in Loop: Header=BB1865_87 Depth=1
	s_or_b64 exec, exec, s[38:39]
	v_add_u32_e32 v8, s44, v56
	v_cmp_gt_u32_e64 s[36:37], s45, v8
	s_and_saveexec_b64 s[38:39], s[36:37]
; %bb.108:                              ;   in Loop: Header=BB1865_87 Depth=1
	v_add_u32_e32 v8, s48, v54
	ds_write_b32 v8, v22
; %bb.109:                              ;   in Loop: Header=BB1865_87 Depth=1
	s_or_b64 exec, exec, s[38:39]
	v_add_u32_e32 v8, s44, v51
	v_cmp_gt_u32_e64 s[36:37], s45, v8
	s_and_saveexec_b64 s[38:39], s[36:37]
; %bb.110:                              ;   in Loop: Header=BB1865_87 Depth=1
	v_add_u32_e32 v8, s48, v48
	ds_write_b32 v8, v21
; %bb.111:                              ;   in Loop: Header=BB1865_87 Depth=1
	s_or_b64 exec, exec, s[38:39]
	v_add_u32_e32 v8, s44, v45
	v_cmp_gt_u32_e64 s[36:37], s45, v8
	s_and_saveexec_b64 s[38:39], s[36:37]
; %bb.112:                              ;   in Loop: Header=BB1865_87 Depth=1
	v_add_u32_e32 v8, s48, v43
	ds_write_b32 v8, v24
; %bb.113:                              ;   in Loop: Header=BB1865_87 Depth=1
	s_or_b64 exec, exec, s[38:39]
	v_add_u32_e32 v8, s44, v40
	v_cmp_gt_u32_e64 s[36:37], s45, v8
	s_and_saveexec_b64 s[38:39], s[36:37]
; %bb.114:                              ;   in Loop: Header=BB1865_87 Depth=1
	v_add_u32_e32 v8, s48, v36
	ds_write_b32 v8, v23
; %bb.115:                              ;   in Loop: Header=BB1865_87 Depth=1
	s_or_b64 exec, exec, s[38:39]
	v_add_u32_e32 v8, s44, v28
	v_cmp_gt_u32_e64 s[36:37], s45, v8
	s_and_saveexec_b64 s[38:39], s[36:37]
; %bb.116:                              ;   in Loop: Header=BB1865_87 Depth=1
	v_add_u32_e32 v8, s48, v13
	ds_write_b32 v8, v26
; %bb.117:                              ;   in Loop: Header=BB1865_87 Depth=1
	s_or_b64 exec, exec, s[38:39]
	v_add_u32_e32 v8, s44, v12
	v_cmp_gt_u32_e64 s[36:37], s45, v8
	s_and_saveexec_b64 s[38:39], s[36:37]
; %bb.118:                              ;   in Loop: Header=BB1865_87 Depth=1
	v_add_u32_e32 v8, s48, v11
	ds_write_b32 v8, v25
; %bb.119:                              ;   in Loop: Header=BB1865_87 Depth=1
	s_or_b64 exec, exec, s[38:39]
	v_cmp_gt_u32_e64 s[36:37], s3, v58
	s_waitcnt lgkmcnt(0)
	s_barrier
	s_and_saveexec_b64 s[38:39], s[36:37]
	s_cbranch_execz .LBB1865_121
; %bb.120:                              ;   in Loop: Header=BB1865_87 Depth=1
	ds_read_b32 v8, v38 offset:1024
	s_waitcnt lgkmcnt(0)
	v_lshrrev_b32_e32 v59, s64, v8
	v_and_b32_e32 v59, s68, v59
	v_lshlrev_b32_e32 v60, 2, v59
	ds_read_b32 v60, v60
	v_xor_b32_e32 v62, 0x7fffffff, v8
	s_waitcnt lgkmcnt(0)
	v_add_u32_e32 v8, v58, v60
	v_lshl_add_u64 v[60:61], v[8:9], 2, s[54:55]
	global_store_dword v[60:61], v62, off
	scratch_store_dword off, v59, s41
.LBB1865_121:                           ;   in Loop: Header=BB1865_87 Depth=1
	s_or_b64 exec, exec, s[38:39]
	v_add_u32_e32 v8, 0x400, v58
	v_cmp_gt_u32_e64 s[36:37], s3, v8
	s_and_saveexec_b64 s[38:39], s[36:37]
	s_cbranch_execz .LBB1865_123
; %bb.122:                              ;   in Loop: Header=BB1865_87 Depth=1
	ds_read_b32 v8, v38 offset:5120
	s_add_i32 s36, s41, 4
	s_waitcnt lgkmcnt(0)
	v_lshrrev_b32_e32 v59, s64, v8
	v_and_b32_e32 v59, s68, v59
	v_lshlrev_b32_e32 v60, 2, v59
	ds_read_b32 v60, v60
	v_xor_b32_e32 v62, 0x7fffffff, v8
	s_waitcnt lgkmcnt(0)
	v_add3_u32 v8, v58, v60, s40
	v_lshl_add_u64 v[60:61], v[8:9], 2, s[54:55]
	global_store_dword v[60:61], v62, off
	scratch_store_dword off, v59, s36
.LBB1865_123:                           ;   in Loop: Header=BB1865_87 Depth=1
	s_or_b64 exec, exec, s[38:39]
	v_add_u32_e32 v8, 0x800, v58
	v_cmp_gt_u32_e64 s[36:37], s3, v8
	s_and_saveexec_b64 s[38:39], s[36:37]
	s_cbranch_execz .LBB1865_125
; %bb.124:                              ;   in Loop: Header=BB1865_87 Depth=1
	ds_read_b32 v8, v38 offset:9216
	s_add_i32 s36, s41, 8
	s_waitcnt lgkmcnt(0)
	v_lshrrev_b32_e32 v59, s64, v8
	v_and_b32_e32 v59, s68, v59
	v_lshlrev_b32_e32 v60, 2, v59
	ds_read_b32 v60, v60
	v_xor_b32_e32 v62, 0x7fffffff, v8
	s_waitcnt lgkmcnt(0)
	v_add3_u32 v8, v58, v60, s46
	v_lshl_add_u64 v[60:61], v[8:9], 2, s[54:55]
	global_store_dword v[60:61], v62, off
	scratch_store_dword off, v59, s36
.LBB1865_125:                           ;   in Loop: Header=BB1865_87 Depth=1
	s_or_b64 exec, exec, s[38:39]
	v_add_u32_e32 v8, 0xc00, v58
	v_cmp_gt_u32_e64 s[36:37], s3, v8
	s_and_saveexec_b64 s[38:39], s[36:37]
	s_cbranch_execz .LBB1865_86
; %bb.126:                              ;   in Loop: Header=BB1865_87 Depth=1
	ds_read_b32 v8, v38 offset:13312
	s_add_i32 s36, s41, 12
	s_waitcnt lgkmcnt(0)
	v_lshrrev_b32_e32 v59, s64, v8
	v_and_b32_e32 v59, s68, v59
	v_lshlrev_b32_e32 v60, 2, v59
	ds_read_b32 v60, v60
	v_xor_b32_e32 v62, 0x7fffffff, v8
	s_waitcnt lgkmcnt(0)
	v_add3_u32 v8, v58, v60, s47
	v_lshl_add_u64 v[60:61], v[8:9], 2, s[54:55]
	global_store_dword v[60:61], v62, off
	scratch_store_dword off, v59, s36
	s_branch .LBB1865_86
.LBB1865_127:
	s_add_u32 s36, s56, s66
	s_addc_u32 s37, s57, s67
	v_mov_b32_e32 v5, 0
	v_lshl_add_u64 v[8:9], s[36:37], 0, v[4:5]
	v_mov_b32_e32 v7, v5
	v_lshl_add_u64 v[4:5], v[8:9], 0, v[6:7]
                                        ; implicit-def: $vgpr3
	s_and_saveexec_b64 s[36:37], vcc
	s_cbranch_execz .LBB1865_143
; %bb.128:
	global_load_dword v3, v[4:5], off
	s_or_b64 exec, exec, s[36:37]
                                        ; implicit-def: $vgpr6
	s_and_saveexec_b64 s[36:37], s[42:43]
	s_cbranch_execnz .LBB1865_144
.LBB1865_129:
	s_or_b64 exec, exec, s[36:37]
                                        ; implicit-def: $vgpr7
	s_and_saveexec_b64 s[36:37], s[4:5]
	s_cbranch_execz .LBB1865_145
.LBB1865_130:
	global_load_dword v7, v[4:5], off offset:512
	s_or_b64 exec, exec, s[36:37]
                                        ; implicit-def: $vgpr8
	s_and_saveexec_b64 s[4:5], s[6:7]
	s_cbranch_execnz .LBB1865_146
.LBB1865_131:
	s_or_b64 exec, exec, s[4:5]
                                        ; implicit-def: $vgpr9
	s_and_saveexec_b64 s[4:5], s[8:9]
	s_cbranch_execz .LBB1865_147
.LBB1865_132:
	global_load_dword v9, v[4:5], off offset:1024
	s_or_b64 exec, exec, s[4:5]
                                        ; implicit-def: $vgpr14
	s_and_saveexec_b64 s[4:5], s[10:11]
	s_cbranch_execnz .LBB1865_148
.LBB1865_133:
	s_or_b64 exec, exec, s[4:5]
                                        ; implicit-def: $vgpr15
	s_and_saveexec_b64 s[4:5], s[12:13]
	s_cbranch_execz .LBB1865_149
.LBB1865_134:
	global_load_dword v15, v[4:5], off offset:1536
	s_or_b64 exec, exec, s[4:5]
                                        ; implicit-def: $vgpr16
	s_and_saveexec_b64 s[4:5], s[14:15]
	s_cbranch_execnz .LBB1865_150
.LBB1865_135:
	s_or_b64 exec, exec, s[4:5]
                                        ; implicit-def: $vgpr17
	s_and_saveexec_b64 s[4:5], s[16:17]
	s_cbranch_execz .LBB1865_151
.LBB1865_136:
	global_load_dword v17, v[4:5], off offset:2048
	s_or_b64 exec, exec, s[4:5]
                                        ; implicit-def: $vgpr18
	s_and_saveexec_b64 s[4:5], s[18:19]
	s_cbranch_execnz .LBB1865_152
.LBB1865_137:
	s_or_b64 exec, exec, s[4:5]
                                        ; implicit-def: $vgpr19
	s_and_saveexec_b64 s[4:5], s[20:21]
	s_cbranch_execz .LBB1865_153
.LBB1865_138:
	global_load_dword v19, v[4:5], off offset:2560
	s_or_b64 exec, exec, s[4:5]
                                        ; implicit-def: $vgpr20
	s_and_saveexec_b64 s[4:5], s[22:23]
	s_cbranch_execnz .LBB1865_154
.LBB1865_139:
	s_or_b64 exec, exec, s[4:5]
                                        ; implicit-def: $vgpr21
	s_and_saveexec_b64 s[4:5], s[24:25]
	s_cbranch_execz .LBB1865_155
.LBB1865_140:
	global_load_dword v21, v[4:5], off offset:3072
	s_or_b64 exec, exec, s[4:5]
                                        ; implicit-def: $vgpr22
	s_and_saveexec_b64 s[4:5], s[26:27]
	s_cbranch_execnz .LBB1865_156
.LBB1865_141:
	s_or_b64 exec, exec, s[4:5]
                                        ; implicit-def: $vgpr23
	s_and_saveexec_b64 s[4:5], s[28:29]
	s_cbranch_execz .LBB1865_157
.LBB1865_142:
	global_load_dword v23, v[4:5], off offset:3584
	s_or_b64 exec, exec, s[4:5]
                                        ; implicit-def: $vgpr24
	s_and_saveexec_b64 s[4:5], s[30:31]
	s_cbranch_execnz .LBB1865_158
	s_branch .LBB1865_159
.LBB1865_143:
	s_or_b64 exec, exec, s[36:37]
                                        ; implicit-def: $vgpr6
	s_and_saveexec_b64 s[36:37], s[42:43]
	s_cbranch_execz .LBB1865_129
.LBB1865_144:
	global_load_dword v6, v[4:5], off offset:256
	s_or_b64 exec, exec, s[36:37]
                                        ; implicit-def: $vgpr7
	s_and_saveexec_b64 s[36:37], s[4:5]
	s_cbranch_execnz .LBB1865_130
.LBB1865_145:
	s_or_b64 exec, exec, s[36:37]
                                        ; implicit-def: $vgpr8
	s_and_saveexec_b64 s[4:5], s[6:7]
	s_cbranch_execz .LBB1865_131
.LBB1865_146:
	global_load_dword v8, v[4:5], off offset:768
	s_or_b64 exec, exec, s[4:5]
                                        ; implicit-def: $vgpr9
	s_and_saveexec_b64 s[4:5], s[8:9]
	s_cbranch_execnz .LBB1865_132
.LBB1865_147:
	s_or_b64 exec, exec, s[4:5]
                                        ; implicit-def: $vgpr14
	s_and_saveexec_b64 s[4:5], s[10:11]
	s_cbranch_execz .LBB1865_133
.LBB1865_148:
	global_load_dword v14, v[4:5], off offset:1280
	s_or_b64 exec, exec, s[4:5]
                                        ; implicit-def: $vgpr15
	s_and_saveexec_b64 s[4:5], s[12:13]
	s_cbranch_execnz .LBB1865_134
.LBB1865_149:
	s_or_b64 exec, exec, s[4:5]
                                        ; implicit-def: $vgpr16
	s_and_saveexec_b64 s[4:5], s[14:15]
	s_cbranch_execz .LBB1865_135
.LBB1865_150:
	global_load_dword v16, v[4:5], off offset:1792
	s_or_b64 exec, exec, s[4:5]
                                        ; implicit-def: $vgpr17
	s_and_saveexec_b64 s[4:5], s[16:17]
	s_cbranch_execnz .LBB1865_136
.LBB1865_151:
	s_or_b64 exec, exec, s[4:5]
                                        ; implicit-def: $vgpr18
	s_and_saveexec_b64 s[4:5], s[18:19]
	s_cbranch_execz .LBB1865_137
.LBB1865_152:
	global_load_dword v18, v[4:5], off offset:2304
	s_or_b64 exec, exec, s[4:5]
                                        ; implicit-def: $vgpr19
	s_and_saveexec_b64 s[4:5], s[20:21]
	s_cbranch_execnz .LBB1865_138
.LBB1865_153:
	s_or_b64 exec, exec, s[4:5]
                                        ; implicit-def: $vgpr20
	s_and_saveexec_b64 s[4:5], s[22:23]
	s_cbranch_execz .LBB1865_139
.LBB1865_154:
	global_load_dword v20, v[4:5], off offset:2816
	s_or_b64 exec, exec, s[4:5]
                                        ; implicit-def: $vgpr21
	s_and_saveexec_b64 s[4:5], s[24:25]
	s_cbranch_execnz .LBB1865_140
.LBB1865_155:
	s_or_b64 exec, exec, s[4:5]
                                        ; implicit-def: $vgpr22
	s_and_saveexec_b64 s[4:5], s[26:27]
	s_cbranch_execz .LBB1865_141
.LBB1865_156:
	global_load_dword v22, v[4:5], off offset:3328
	s_or_b64 exec, exec, s[4:5]
                                        ; implicit-def: $vgpr23
	s_and_saveexec_b64 s[4:5], s[28:29]
	s_cbranch_execnz .LBB1865_142
.LBB1865_157:
	s_or_b64 exec, exec, s[4:5]
                                        ; implicit-def: $vgpr24
	s_and_saveexec_b64 s[4:5], s[30:31]
	s_cbranch_execz .LBB1865_159
.LBB1865_158:
	global_load_dword v24, v[4:5], off offset:3840
.LBB1865_159:
	s_or_b64 exec, exec, s[4:5]
	s_mov_b32 s6, 0
	s_mov_b32 s7, 0
	s_movk_i32 s8, 0x1000
	v_mov_b32_e32 v5, 0
	s_movk_i32 s9, 0x400
	s_movk_i32 s10, 0x800
	;; [unrolled: 1-line block ×3, first 2 shown]
	s_mov_b32 s12, 0
	s_branch .LBB1865_161
.LBB1865_160:                           ;   in Loop: Header=BB1865_161 Depth=1
	s_or_b64 exec, exec, s[4:5]
	s_addk_i32 s12, 0xc000
	s_addk_i32 s7, 0xf000
	s_add_i32 s6, s6, 16
	s_cmp_eq_u32 s12, 0xffff0000
	v_add_u32_e32 v2, 0x1000, v2
	s_barrier
	s_cbranch_scc1 .LBB1865_201
.LBB1865_161:                           ; =>This Inner Loop Header: Depth=1
	v_add_u32_e32 v4, s7, v10
	v_cmp_gt_u32_e32 vcc, s8, v4
	s_and_saveexec_b64 s[4:5], vcc
	s_cbranch_execz .LBB1865_163
; %bb.162:                              ;   in Loop: Header=BB1865_161 Depth=1
	v_add_u32_e32 v4, s12, v29
	s_waitcnt vmcnt(0)
	ds_write_b32 v4, v3
.LBB1865_163:                           ;   in Loop: Header=BB1865_161 Depth=1
	s_or_b64 exec, exec, s[4:5]
	v_add_u32_e32 v4, s7, v27
	v_cmp_gt_u32_e32 vcc, s8, v4
	s_and_saveexec_b64 s[4:5], vcc
	s_cbranch_execz .LBB1865_165
; %bb.164:                              ;   in Loop: Header=BB1865_161 Depth=1
	v_add_u32_e32 v4, s12, v32
	s_waitcnt vmcnt(0)
	ds_write_b32 v4, v6
.LBB1865_165:                           ;   in Loop: Header=BB1865_161 Depth=1
	s_or_b64 exec, exec, s[4:5]
	v_add_u32_e32 v4, s7, v30
	v_cmp_gt_u32_e32 vcc, s8, v4
	s_and_saveexec_b64 s[4:5], vcc
	s_cbranch_execz .LBB1865_167
; %bb.166:                              ;   in Loop: Header=BB1865_161 Depth=1
	v_add_u32_e32 v4, s12, v35
	s_waitcnt vmcnt(0)
	ds_write_b32 v4, v7
.LBB1865_167:                           ;   in Loop: Header=BB1865_161 Depth=1
	s_or_b64 exec, exec, s[4:5]
	v_add_u32_e32 v4, s7, v34
	v_cmp_gt_u32_e32 vcc, s8, v4
	s_and_saveexec_b64 s[4:5], vcc
	s_cbranch_execz .LBB1865_169
; %bb.168:                              ;   in Loop: Header=BB1865_161 Depth=1
	v_add_u32_e32 v4, s12, v39
	s_waitcnt vmcnt(0)
	ds_write_b32 v4, v8
.LBB1865_169:                           ;   in Loop: Header=BB1865_161 Depth=1
	s_or_b64 exec, exec, s[4:5]
	v_add_u32_e32 v4, s7, v37
	v_cmp_gt_u32_e32 vcc, s8, v4
	s_and_saveexec_b64 s[4:5], vcc
	s_cbranch_execz .LBB1865_171
; %bb.170:                              ;   in Loop: Header=BB1865_161 Depth=1
	v_add_u32_e32 v4, s12, v42
	s_waitcnt vmcnt(0)
	ds_write_b32 v4, v9
.LBB1865_171:                           ;   in Loop: Header=BB1865_161 Depth=1
	s_or_b64 exec, exec, s[4:5]
	v_add_u32_e32 v4, s7, v41
	v_cmp_gt_u32_e32 vcc, s8, v4
	s_and_saveexec_b64 s[4:5], vcc
	s_cbranch_execz .LBB1865_173
; %bb.172:                              ;   in Loop: Header=BB1865_161 Depth=1
	v_add_u32_e32 v4, s12, v46
	s_waitcnt vmcnt(0)
	ds_write_b32 v4, v14
.LBB1865_173:                           ;   in Loop: Header=BB1865_161 Depth=1
	s_or_b64 exec, exec, s[4:5]
	v_add_u32_e32 v4, s7, v44
	v_cmp_gt_u32_e32 vcc, s8, v4
	s_and_saveexec_b64 s[4:5], vcc
	s_cbranch_execz .LBB1865_175
; %bb.174:                              ;   in Loop: Header=BB1865_161 Depth=1
	v_add_u32_e32 v4, s12, v49
	s_waitcnt vmcnt(0)
	ds_write_b32 v4, v15
.LBB1865_175:                           ;   in Loop: Header=BB1865_161 Depth=1
	s_or_b64 exec, exec, s[4:5]
	v_add_u32_e32 v4, s7, v47
	v_cmp_gt_u32_e32 vcc, s8, v4
	s_and_saveexec_b64 s[4:5], vcc
	s_cbranch_execz .LBB1865_177
; %bb.176:                              ;   in Loop: Header=BB1865_161 Depth=1
	v_add_u32_e32 v4, s12, v52
	s_waitcnt vmcnt(0)
	ds_write_b32 v4, v16
.LBB1865_177:                           ;   in Loop: Header=BB1865_161 Depth=1
	s_or_b64 exec, exec, s[4:5]
	v_add_u32_e32 v4, s7, v50
	v_cmp_gt_u32_e32 vcc, s8, v4
	s_and_saveexec_b64 s[4:5], vcc
	s_cbranch_execz .LBB1865_179
; %bb.178:                              ;   in Loop: Header=BB1865_161 Depth=1
	v_add_u32_e32 v4, s12, v55
	s_waitcnt vmcnt(0)
	ds_write_b32 v4, v17
.LBB1865_179:                           ;   in Loop: Header=BB1865_161 Depth=1
	s_or_b64 exec, exec, s[4:5]
	v_add_u32_e32 v4, s7, v53
	v_cmp_gt_u32_e32 vcc, s8, v4
	s_and_saveexec_b64 s[4:5], vcc
	s_cbranch_execz .LBB1865_181
; %bb.180:                              ;   in Loop: Header=BB1865_161 Depth=1
	v_add_u32_e32 v4, s12, v57
	s_waitcnt vmcnt(0)
	ds_write_b32 v4, v18
.LBB1865_181:                           ;   in Loop: Header=BB1865_161 Depth=1
	s_or_b64 exec, exec, s[4:5]
	v_add_u32_e32 v4, s7, v56
	v_cmp_gt_u32_e32 vcc, s8, v4
	s_and_saveexec_b64 s[4:5], vcc
	s_cbranch_execz .LBB1865_183
; %bb.182:                              ;   in Loop: Header=BB1865_161 Depth=1
	v_add_u32_e32 v4, s12, v54
	s_waitcnt vmcnt(0)
	ds_write_b32 v4, v19
.LBB1865_183:                           ;   in Loop: Header=BB1865_161 Depth=1
	s_or_b64 exec, exec, s[4:5]
	v_add_u32_e32 v4, s7, v51
	v_cmp_gt_u32_e32 vcc, s8, v4
	s_and_saveexec_b64 s[4:5], vcc
	s_cbranch_execz .LBB1865_185
; %bb.184:                              ;   in Loop: Header=BB1865_161 Depth=1
	v_add_u32_e32 v4, s12, v48
	s_waitcnt vmcnt(0)
	ds_write_b32 v4, v20
.LBB1865_185:                           ;   in Loop: Header=BB1865_161 Depth=1
	s_or_b64 exec, exec, s[4:5]
	v_add_u32_e32 v4, s7, v45
	v_cmp_gt_u32_e32 vcc, s8, v4
	s_and_saveexec_b64 s[4:5], vcc
	s_cbranch_execz .LBB1865_187
; %bb.186:                              ;   in Loop: Header=BB1865_161 Depth=1
	v_add_u32_e32 v4, s12, v43
	s_waitcnt vmcnt(0)
	ds_write_b32 v4, v21
.LBB1865_187:                           ;   in Loop: Header=BB1865_161 Depth=1
	s_or_b64 exec, exec, s[4:5]
	v_add_u32_e32 v4, s7, v40
	v_cmp_gt_u32_e32 vcc, s8, v4
	s_and_saveexec_b64 s[4:5], vcc
	s_cbranch_execz .LBB1865_189
; %bb.188:                              ;   in Loop: Header=BB1865_161 Depth=1
	v_add_u32_e32 v4, s12, v36
	s_waitcnt vmcnt(0)
	ds_write_b32 v4, v22
.LBB1865_189:                           ;   in Loop: Header=BB1865_161 Depth=1
	s_or_b64 exec, exec, s[4:5]
	v_add_u32_e32 v4, s7, v28
	v_cmp_gt_u32_e32 vcc, s8, v4
	s_and_saveexec_b64 s[4:5], vcc
	s_cbranch_execz .LBB1865_191
; %bb.190:                              ;   in Loop: Header=BB1865_161 Depth=1
	v_add_u32_e32 v4, s12, v13
	s_waitcnt vmcnt(0)
	ds_write_b32 v4, v23
.LBB1865_191:                           ;   in Loop: Header=BB1865_161 Depth=1
	s_or_b64 exec, exec, s[4:5]
	v_add_u32_e32 v4, s7, v12
	v_cmp_gt_u32_e32 vcc, s8, v4
	s_and_saveexec_b64 s[4:5], vcc
	s_cbranch_execz .LBB1865_193
; %bb.192:                              ;   in Loop: Header=BB1865_161 Depth=1
	v_add_u32_e32 v4, s12, v11
	s_waitcnt vmcnt(0)
	ds_write_b32 v4, v24
.LBB1865_193:                           ;   in Loop: Header=BB1865_161 Depth=1
	s_or_b64 exec, exec, s[4:5]
	v_cmp_gt_u32_e32 vcc, s3, v2
	s_waitcnt lgkmcnt(0)
	s_barrier
	s_and_saveexec_b64 s[4:5], vcc
	s_cbranch_execz .LBB1865_195
; %bb.194:                              ;   in Loop: Header=BB1865_161 Depth=1
	scratch_load_dword v4, off, s6
	s_waitcnt vmcnt(0)
	v_lshlrev_b32_e32 v4, 2, v4
	ds_read_b32 v4, v4
	ds_read_b32 v25, v38 offset:1024
	s_waitcnt lgkmcnt(1)
	v_add_u32_e32 v4, v2, v4
	v_lshl_add_u64 v[58:59], v[4:5], 2, s[58:59]
	s_waitcnt lgkmcnt(0)
	global_store_dword v[58:59], v25, off
.LBB1865_195:                           ;   in Loop: Header=BB1865_161 Depth=1
	s_or_b64 exec, exec, s[4:5]
	v_add_u32_e32 v4, 0x400, v2
	v_cmp_gt_u32_e32 vcc, s3, v4
	s_and_saveexec_b64 s[4:5], vcc
	s_cbranch_execz .LBB1865_197
; %bb.196:                              ;   in Loop: Header=BB1865_161 Depth=1
	s_add_i32 s13, s6, 4
	scratch_load_dword v4, off, s13
	s_waitcnt vmcnt(0)
	v_lshlrev_b32_e32 v4, 2, v4
	ds_read_b32 v4, v4
	ds_read_b32 v25, v38 offset:5120
	s_waitcnt lgkmcnt(1)
	v_add3_u32 v4, v2, v4, s9
	v_lshl_add_u64 v[58:59], v[4:5], 2, s[58:59]
	s_waitcnt lgkmcnt(0)
	global_store_dword v[58:59], v25, off
.LBB1865_197:                           ;   in Loop: Header=BB1865_161 Depth=1
	s_or_b64 exec, exec, s[4:5]
	v_add_u32_e32 v4, 0x800, v2
	v_cmp_gt_u32_e32 vcc, s3, v4
	s_and_saveexec_b64 s[4:5], vcc
	s_cbranch_execz .LBB1865_199
; %bb.198:                              ;   in Loop: Header=BB1865_161 Depth=1
	s_add_i32 s13, s6, 8
	scratch_load_dword v4, off, s13
	s_waitcnt vmcnt(0)
	v_lshlrev_b32_e32 v4, 2, v4
	ds_read_b32 v4, v4
	ds_read_b32 v25, v38 offset:9216
	s_waitcnt lgkmcnt(1)
	v_add3_u32 v4, v2, v4, s10
	v_lshl_add_u64 v[58:59], v[4:5], 2, s[58:59]
	s_waitcnt lgkmcnt(0)
	global_store_dword v[58:59], v25, off
.LBB1865_199:                           ;   in Loop: Header=BB1865_161 Depth=1
	s_or_b64 exec, exec, s[4:5]
	v_add_u32_e32 v4, 0xc00, v2
	v_cmp_gt_u32_e32 vcc, s3, v4
	s_and_saveexec_b64 s[4:5], vcc
	s_cbranch_execz .LBB1865_160
; %bb.200:                              ;   in Loop: Header=BB1865_161 Depth=1
	s_add_i32 s13, s6, 12
	scratch_load_dword v4, off, s13
	s_waitcnt vmcnt(0)
	v_lshlrev_b32_e32 v4, 2, v4
	ds_read_b32 v4, v4
	ds_read_b32 v25, v38 offset:13312
	s_waitcnt lgkmcnt(1)
	v_add3_u32 v4, v2, v4, s11
	v_lshl_add_u64 v[58:59], v[4:5], 2, s[58:59]
	s_waitcnt lgkmcnt(0)
	global_store_dword v[58:59], v25, off
	s_branch .LBB1865_160
.LBB1865_201:
	s_add_i32 s33, s33, -1
	s_cmp_eq_u32 s2, s33
	s_cselect_b64 s[4:5], -1, 0
	s_xor_b64 s[6:7], s[34:35], -1
	s_and_b64 s[6:7], s[6:7], s[4:5]
	s_and_saveexec_b64 s[4:5], s[6:7]
	s_cbranch_execz .LBB1865_203
; %bb.202:
	ds_read_b32 v2, v38
	s_waitcnt lgkmcnt(0)
	v_add3_u32 v2, v31, v33, v2
	global_store_dword v38, v2, s[62:63]
.LBB1865_203:
	s_or_b64 exec, exec, s[4:5]
	s_mov_b64 s[4:5], 0
.LBB1865_204:
	s_and_b64 vcc, exec, s[4:5]
	s_cbranch_vccz .LBB1865_327
; %bb.205:
	v_and_b32_e32 v2, 0x3ff, v0
	s_lshl_b32 s4, s2, 14
	s_mov_b32 s5, 0
	s_lshl_b64 s[10:11], s[4:5], 2
	v_mbcnt_hi_u32_b32 v10, -1, v1
	v_lshlrev_b32_e32 v1, 4, v2
	s_add_u32 s4, s52, s10
	s_waitcnt vmcnt(0)
	v_and_b32_e32 v3, 63, v10
	v_and_b32_e32 v6, 0x3c00, v1
	v_mov_b32_e32 v1, 0
	s_addc_u32 s5, s53, s11
	v_lshlrev_b32_e32 v4, 2, v3
	v_mov_b32_e32 v5, v1
	v_lshl_add_u64 v[8:9], s[4:5], 0, v[4:5]
	s_load_dword s3, s[0:1], 0x58
	s_load_dword s4, s[0:1], 0x64
	v_lshlrev_b32_e32 v6, 2, v6
	v_mov_b32_e32 v7, v1
	s_add_u32 s0, s0, 0x58
	v_lshl_add_u64 v[8:9], v[8:9], 0, v[6:7]
	s_addc_u32 s1, s1, 0
	s_waitcnt lgkmcnt(0)
	s_lshr_b32 s4, s4, 16
	global_load_dword v3, v[8:9], off
	s_cmp_lt_u32 s2, s3
	s_cselect_b32 s5, 12, 18
	s_add_u32 s0, s0, s5
	s_addc_u32 s1, s1, 0
	global_load_ushort v13, v1, s[0:1]
	v_mul_u32_u24_e32 v11, 20, v2
	ds_write2_b32 v11, v1, v1 offset0:16 offset1:17
	ds_write2_b32 v11, v1, v1 offset0:18 offset1:19
	ds_write_b32 v11, v1 offset:80
	global_load_dword v5, v[8:9], off offset:256
	global_load_dword v7, v[8:9], off offset:512
	global_load_dword v12, v[8:9], off offset:768
	global_load_dword v15, v[8:9], off offset:1024
	global_load_dword v19, v[8:9], off offset:1280
	global_load_dword v23, v[8:9], off offset:1536
	global_load_dword v29, v[8:9], off offset:1792
	global_load_dword v34, v[8:9], off offset:2048
	global_load_dword v39, v[8:9], off offset:2304
	global_load_dword v44, v[8:9], off offset:2560
	global_load_dword v45, v[8:9], off offset:2816
	global_load_dword v40, v[8:9], off offset:3072
	global_load_dword v36, v[8:9], off offset:3328
	global_load_dword v31, v[8:9], off offset:3584
	global_load_dword v25, v[8:9], off offset:3840
	v_bfe_u32 v14, v0, 10, 10
	v_bfe_u32 v0, v0, 20, 10
	v_mad_u32_u24 v8, v0, s4, v14
	s_lshl_b32 s0, -1, s65
	v_mov_b32_e32 v16, v1
	s_not_b32 s14, s0
	v_mov_b32_e32 v20, v1
	v_mov_b32_e32 v26, v1
	s_movk_i32 s8, 0x44
	s_waitcnt lgkmcnt(0)
	s_barrier
	s_waitcnt vmcnt(16)
	; wave barrier
	v_xor_b32_e32 v3, 0x7fffffff, v3
	v_lshrrev_b32_e32 v0, s64, v3
	v_bitop3_b32 v14, v0, s0, v0 bitop3:0x30
	v_and_b32_e32 v0, 1, v14
	v_lshlrev_b32_e32 v17, 30, v14
	v_lshlrev_b32_e32 v21, 29, v14
	s_waitcnt vmcnt(15)
	v_mad_u64_u32 v[8:9], s[0:1], v8, v13, v[2:3]
	v_lshl_add_u64 v[32:33], v[0:1], 0, -1
	v_cmp_ne_u32_e32 vcc, 0, v0
	v_not_b32_e32 v0, v17
	v_lshlrev_b32_e32 v27, 28, v14
	v_cmp_gt_i64_e64 s[0:1], 0, v[16:17]
	v_not_b32_e32 v9, v21
	v_lshrrev_b32_e32 v28, 6, v8
	v_xor_b32_e32 v8, vcc_hi, v33
	v_xor_b32_e32 v16, vcc_lo, v32
	v_ashrrev_i32_e32 v0, 31, v0
	v_cmp_gt_i64_e64 s[4:5], 0, v[20:21]
	v_not_b32_e32 v13, v27
	v_ashrrev_i32_e32 v9, 31, v9
	v_and_b32_e32 v8, exec_hi, v8
	v_and_b32_e32 v16, exec_lo, v16
	v_xor_b32_e32 v17, s1, v0
	v_xor_b32_e32 v0, s0, v0
	v_cmp_gt_i64_e64 s[6:7], 0, v[26:27]
	v_ashrrev_i32_e32 v13, 31, v13
	v_xor_b32_e32 v20, s5, v9
	v_xor_b32_e32 v9, s4, v9
	v_and_b32_e32 v8, v8, v17
	v_and_b32_e32 v0, v16, v0
	v_xor_b32_e32 v21, s7, v13
	v_and_b32_e32 v8, v8, v20
	v_and_b32_e32 v0, v0, v9
	;; [unrolled: 3-line block ×3, first 2 shown]
	v_lshlrev_b32_e32 v9, 27, v14
	v_mov_b32_e32 v8, v1
	v_cmp_gt_i64_e32 vcc, 0, v[8:9]
	v_not_b32_e32 v8, v9
	v_ashrrev_i32_e32 v8, 31, v8
	v_xor_b32_e32 v9, vcc_hi, v8
	v_xor_b32_e32 v8, vcc_lo, v8
	v_and_b32_e32 v13, v13, v9
	v_and_b32_e32 v0, v0, v8
	v_lshlrev_b32_e32 v9, 26, v14
	v_mov_b32_e32 v8, v1
	v_cmp_gt_i64_e32 vcc, 0, v[8:9]
	v_not_b32_e32 v8, v9
	v_ashrrev_i32_e32 v8, 31, v8
	v_xor_b32_e32 v9, vcc_hi, v8
	v_xor_b32_e32 v8, vcc_lo, v8
	v_and_b32_e32 v13, v13, v9
	v_and_b32_e32 v0, v0, v8
	;; [unrolled: 9-line block ×4, first 2 shown]
	v_mbcnt_lo_u32_b32 v0, v8, 0
	v_mul_lo_u32 v18, v14, s8
	v_mbcnt_hi_u32_b32 v14, v9, v0
	v_cmp_eq_u32_e32 vcc, 0, v14
	v_cmp_ne_u64_e64 s[0:1], 0, v[8:9]
	v_lshl_add_u32 v18, v28, 2, v18
	s_and_b64 s[4:5], s[0:1], vcc
	s_and_saveexec_b64 s[0:1], s[4:5]
; %bb.206:
	v_bcnt_u32_b32 v0, v8, 0
	v_bcnt_u32_b32 v0, v9, v0
	ds_write_b32 v18, v0 offset:64
; %bb.207:
	s_or_b64 exec, exec, s[0:1]
	s_waitcnt vmcnt(14)
	v_xor_b32_e32 v5, 0x7fffffff, v5
	v_lshrrev_b32_e32 v0, s64, v5
	v_and_b32_e32 v16, s14, v0
	v_mul_lo_u32 v0, v16, s8
	v_lshl_add_u32 v21, v28, 2, v0
	v_and_b32_e32 v0, 1, v16
	v_lshl_add_u64 v[8:9], v[0:1], 0, -1
	v_cmp_ne_u32_e32 vcc, 0, v0
	; wave barrier
	s_nop 1
	v_xor_b32_e32 v8, vcc_lo, v8
	v_xor_b32_e32 v0, vcc_hi, v9
	v_and_b32_e32 v17, exec_lo, v8
	v_lshlrev_b32_e32 v9, 30, v16
	v_mov_b32_e32 v8, v1
	v_cmp_gt_i64_e32 vcc, 0, v[8:9]
	v_not_b32_e32 v8, v9
	v_ashrrev_i32_e32 v8, 31, v8
	v_and_b32_e32 v0, exec_hi, v0
	v_xor_b32_e32 v9, vcc_hi, v8
	v_xor_b32_e32 v8, vcc_lo, v8
	v_and_b32_e32 v0, v0, v9
	v_and_b32_e32 v17, v17, v8
	v_lshlrev_b32_e32 v9, 29, v16
	v_mov_b32_e32 v8, v1
	v_cmp_gt_i64_e32 vcc, 0, v[8:9]
	v_not_b32_e32 v8, v9
	v_ashrrev_i32_e32 v8, 31, v8
	v_xor_b32_e32 v9, vcc_hi, v8
	v_xor_b32_e32 v8, vcc_lo, v8
	v_and_b32_e32 v0, v0, v9
	v_and_b32_e32 v17, v17, v8
	v_lshlrev_b32_e32 v9, 28, v16
	v_mov_b32_e32 v8, v1
	v_cmp_gt_i64_e32 vcc, 0, v[8:9]
	v_not_b32_e32 v8, v9
	v_ashrrev_i32_e32 v8, 31, v8
	;; [unrolled: 9-line block ×5, first 2 shown]
	v_xor_b32_e32 v9, vcc_hi, v8
	v_xor_b32_e32 v8, vcc_lo, v8
	v_and_b32_e32 v0, v0, v9
	v_lshlrev_b32_e32 v9, 24, v16
	v_and_b32_e32 v17, v17, v8
	v_mov_b32_e32 v8, v1
	v_not_b32_e32 v1, v9
	v_cmp_gt_i64_e32 vcc, 0, v[8:9]
	v_ashrrev_i32_e32 v1, 31, v1
	ds_read_b32 v13, v21 offset:64
	v_xor_b32_e32 v8, vcc_hi, v1
	v_xor_b32_e32 v9, vcc_lo, v1
	v_and_b32_e32 v1, v0, v8
	v_and_b32_e32 v0, v17, v9
	v_mbcnt_lo_u32_b32 v8, v0, 0
	v_mbcnt_hi_u32_b32 v16, v1, v8
	v_cmp_eq_u32_e32 vcc, 0, v16
	v_cmp_ne_u64_e64 s[0:1], 0, v[0:1]
	s_and_b64 s[4:5], s[0:1], vcc
	; wave barrier
	s_and_saveexec_b64 s[0:1], s[4:5]
	s_cbranch_execz .LBB1865_209
; %bb.208:
	v_bcnt_u32_b32 v0, v0, 0
	v_bcnt_u32_b32 v0, v1, v0
	s_waitcnt lgkmcnt(0)
	v_add_u32_e32 v0, v13, v0
	ds_write_b32 v21, v0 offset:64
.LBB1865_209:
	s_or_b64 exec, exec, s[0:1]
	s_waitcnt vmcnt(13)
	v_xor_b32_e32 v7, 0x7fffffff, v7
	v_lshrrev_b32_e32 v0, s64, v7
	v_and_b32_e32 v20, s14, v0
	s_movk_i32 s4, 0x44
	v_mul_lo_u32 v0, v20, s4
	v_lshl_add_u32 v26, v28, 2, v0
	v_and_b32_e32 v0, 1, v20
	v_mov_b32_e32 v1, 0
	v_lshl_add_u64 v[8:9], v[0:1], 0, -1
	v_cmp_ne_u32_e32 vcc, 0, v0
	; wave barrier
	s_nop 1
	v_xor_b32_e32 v8, vcc_lo, v8
	v_xor_b32_e32 v0, vcc_hi, v9
	v_and_b32_e32 v22, exec_lo, v8
	v_lshlrev_b32_e32 v9, 30, v20
	v_mov_b32_e32 v8, v1
	v_cmp_gt_i64_e32 vcc, 0, v[8:9]
	v_not_b32_e32 v8, v9
	v_ashrrev_i32_e32 v8, 31, v8
	v_and_b32_e32 v0, exec_hi, v0
	v_xor_b32_e32 v9, vcc_hi, v8
	v_xor_b32_e32 v8, vcc_lo, v8
	v_and_b32_e32 v0, v0, v9
	v_and_b32_e32 v22, v22, v8
	v_lshlrev_b32_e32 v9, 29, v20
	v_mov_b32_e32 v8, v1
	v_cmp_gt_i64_e32 vcc, 0, v[8:9]
	v_not_b32_e32 v8, v9
	v_ashrrev_i32_e32 v8, 31, v8
	v_xor_b32_e32 v9, vcc_hi, v8
	v_xor_b32_e32 v8, vcc_lo, v8
	v_and_b32_e32 v0, v0, v9
	v_and_b32_e32 v22, v22, v8
	v_lshlrev_b32_e32 v9, 28, v20
	v_mov_b32_e32 v8, v1
	v_cmp_gt_i64_e32 vcc, 0, v[8:9]
	v_not_b32_e32 v8, v9
	v_ashrrev_i32_e32 v8, 31, v8
	;; [unrolled: 9-line block ×6, first 2 shown]
	v_xor_b32_e32 v9, vcc_hi, v8
	v_xor_b32_e32 v8, vcc_lo, v8
	ds_read_b32 v17, v26 offset:64
	v_and_b32_e32 v8, v22, v8
	v_and_b32_e32 v9, v0, v9
	v_mbcnt_lo_u32_b32 v0, v8, 0
	v_mbcnt_hi_u32_b32 v20, v9, v0
	v_cmp_eq_u32_e32 vcc, 0, v20
	v_cmp_ne_u64_e64 s[0:1], 0, v[8:9]
	s_and_b64 s[6:7], s[0:1], vcc
	; wave barrier
	s_and_saveexec_b64 s[0:1], s[6:7]
	s_cbranch_execz .LBB1865_211
; %bb.210:
	v_bcnt_u32_b32 v0, v8, 0
	v_bcnt_u32_b32 v0, v9, v0
	s_waitcnt lgkmcnt(0)
	v_add_u32_e32 v0, v17, v0
	ds_write_b32 v26, v0 offset:64
.LBB1865_211:
	s_or_b64 exec, exec, s[0:1]
	s_waitcnt vmcnt(12)
	v_xor_b32_e32 v12, 0x7fffffff, v12
	v_lshrrev_b32_e32 v0, s64, v12
	v_and_b32_e32 v24, s14, v0
	v_mul_lo_u32 v0, v24, s4
	v_lshl_add_u32 v32, v28, 2, v0
	v_and_b32_e32 v0, 1, v24
	v_lshl_add_u64 v[8:9], v[0:1], 0, -1
	v_cmp_ne_u32_e32 vcc, 0, v0
	; wave barrier
	s_nop 1
	v_xor_b32_e32 v8, vcc_lo, v8
	v_xor_b32_e32 v0, vcc_hi, v9
	v_and_b32_e32 v27, exec_lo, v8
	v_lshlrev_b32_e32 v9, 30, v24
	v_mov_b32_e32 v8, v1
	v_cmp_gt_i64_e32 vcc, 0, v[8:9]
	v_not_b32_e32 v8, v9
	v_ashrrev_i32_e32 v8, 31, v8
	v_and_b32_e32 v0, exec_hi, v0
	v_xor_b32_e32 v9, vcc_hi, v8
	v_xor_b32_e32 v8, vcc_lo, v8
	v_and_b32_e32 v0, v0, v9
	v_and_b32_e32 v27, v27, v8
	v_lshlrev_b32_e32 v9, 29, v24
	v_mov_b32_e32 v8, v1
	v_cmp_gt_i64_e32 vcc, 0, v[8:9]
	v_not_b32_e32 v8, v9
	v_ashrrev_i32_e32 v8, 31, v8
	v_xor_b32_e32 v9, vcc_hi, v8
	v_xor_b32_e32 v8, vcc_lo, v8
	v_and_b32_e32 v0, v0, v9
	v_and_b32_e32 v27, v27, v8
	v_lshlrev_b32_e32 v9, 28, v24
	v_mov_b32_e32 v8, v1
	v_cmp_gt_i64_e32 vcc, 0, v[8:9]
	v_not_b32_e32 v8, v9
	v_ashrrev_i32_e32 v8, 31, v8
	;; [unrolled: 9-line block ×5, first 2 shown]
	v_xor_b32_e32 v9, vcc_hi, v8
	v_xor_b32_e32 v8, vcc_lo, v8
	v_and_b32_e32 v0, v0, v9
	v_lshlrev_b32_e32 v9, 24, v24
	v_and_b32_e32 v27, v27, v8
	v_mov_b32_e32 v8, v1
	v_not_b32_e32 v1, v9
	v_cmp_gt_i64_e32 vcc, 0, v[8:9]
	v_ashrrev_i32_e32 v1, 31, v1
	ds_read_b32 v22, v32 offset:64
	v_xor_b32_e32 v8, vcc_hi, v1
	v_xor_b32_e32 v9, vcc_lo, v1
	v_and_b32_e32 v1, v0, v8
	v_and_b32_e32 v0, v27, v9
	v_mbcnt_lo_u32_b32 v8, v0, 0
	v_mbcnt_hi_u32_b32 v24, v1, v8
	v_cmp_eq_u32_e32 vcc, 0, v24
	v_cmp_ne_u64_e64 s[0:1], 0, v[0:1]
	s_and_b64 s[4:5], s[0:1], vcc
	; wave barrier
	s_and_saveexec_b64 s[0:1], s[4:5]
	s_cbranch_execz .LBB1865_213
; %bb.212:
	v_bcnt_u32_b32 v0, v0, 0
	v_bcnt_u32_b32 v0, v1, v0
	s_waitcnt lgkmcnt(0)
	v_add_u32_e32 v0, v22, v0
	ds_write_b32 v32, v0 offset:64
.LBB1865_213:
	s_or_b64 exec, exec, s[0:1]
	s_waitcnt vmcnt(11)
	v_xor_b32_e32 v15, 0x7fffffff, v15
	v_lshrrev_b32_e32 v0, s64, v15
	v_and_b32_e32 v30, s14, v0
	s_movk_i32 s4, 0x44
	v_mul_lo_u32 v0, v30, s4
	v_lshl_add_u32 v37, v28, 2, v0
	v_and_b32_e32 v0, 1, v30
	v_mov_b32_e32 v1, 0
	v_lshl_add_u64 v[8:9], v[0:1], 0, -1
	v_cmp_ne_u32_e32 vcc, 0, v0
	; wave barrier
	s_nop 1
	v_xor_b32_e32 v8, vcc_lo, v8
	v_xor_b32_e32 v0, vcc_hi, v9
	v_and_b32_e32 v33, exec_lo, v8
	v_lshlrev_b32_e32 v9, 30, v30
	v_mov_b32_e32 v8, v1
	v_cmp_gt_i64_e32 vcc, 0, v[8:9]
	v_not_b32_e32 v8, v9
	v_ashrrev_i32_e32 v8, 31, v8
	v_and_b32_e32 v0, exec_hi, v0
	v_xor_b32_e32 v9, vcc_hi, v8
	v_xor_b32_e32 v8, vcc_lo, v8
	v_and_b32_e32 v0, v0, v9
	v_and_b32_e32 v33, v33, v8
	v_lshlrev_b32_e32 v9, 29, v30
	v_mov_b32_e32 v8, v1
	v_cmp_gt_i64_e32 vcc, 0, v[8:9]
	v_not_b32_e32 v8, v9
	v_ashrrev_i32_e32 v8, 31, v8
	v_xor_b32_e32 v9, vcc_hi, v8
	v_xor_b32_e32 v8, vcc_lo, v8
	v_and_b32_e32 v0, v0, v9
	v_and_b32_e32 v33, v33, v8
	v_lshlrev_b32_e32 v9, 28, v30
	v_mov_b32_e32 v8, v1
	v_cmp_gt_i64_e32 vcc, 0, v[8:9]
	v_not_b32_e32 v8, v9
	v_ashrrev_i32_e32 v8, 31, v8
	v_xor_b32_e32 v9, vcc_hi, v8
	v_xor_b32_e32 v8, vcc_lo, v8
	v_and_b32_e32 v0, v0, v9
	v_and_b32_e32 v33, v33, v8
	v_lshlrev_b32_e32 v9, 27, v30
	v_mov_b32_e32 v8, v1
	v_cmp_gt_i64_e32 vcc, 0, v[8:9]
	v_not_b32_e32 v8, v9
	v_ashrrev_i32_e32 v8, 31, v8
	v_xor_b32_e32 v9, vcc_hi, v8
	v_xor_b32_e32 v8, vcc_lo, v8
	v_and_b32_e32 v0, v0, v9
	v_and_b32_e32 v33, v33, v8
	v_lshlrev_b32_e32 v9, 26, v30
	v_mov_b32_e32 v8, v1
	v_cmp_gt_i64_e32 vcc, 0, v[8:9]
	v_not_b32_e32 v8, v9
	v_ashrrev_i32_e32 v8, 31, v8
	v_xor_b32_e32 v9, vcc_hi, v8
	v_xor_b32_e32 v8, vcc_lo, v8
	v_and_b32_e32 v0, v0, v9
	v_and_b32_e32 v33, v33, v8
	v_lshlrev_b32_e32 v9, 25, v30
	v_mov_b32_e32 v8, v1
	v_cmp_gt_i64_e32 vcc, 0, v[8:9]
	v_not_b32_e32 v8, v9
	v_ashrrev_i32_e32 v8, 31, v8
	v_xor_b32_e32 v9, vcc_hi, v8
	v_xor_b32_e32 v8, vcc_lo, v8
	v_and_b32_e32 v0, v0, v9
	v_and_b32_e32 v33, v33, v8
	v_lshlrev_b32_e32 v9, 24, v30
	v_mov_b32_e32 v8, v1
	v_cmp_gt_i64_e32 vcc, 0, v[8:9]
	v_not_b32_e32 v8, v9
	v_ashrrev_i32_e32 v8, 31, v8
	v_xor_b32_e32 v9, vcc_hi, v8
	v_xor_b32_e32 v8, vcc_lo, v8
	ds_read_b32 v27, v37 offset:64
	v_and_b32_e32 v8, v33, v8
	v_and_b32_e32 v9, v0, v9
	v_mbcnt_lo_u32_b32 v0, v8, 0
	v_mbcnt_hi_u32_b32 v30, v9, v0
	v_cmp_eq_u32_e32 vcc, 0, v30
	v_cmp_ne_u64_e64 s[0:1], 0, v[8:9]
	s_and_b64 s[6:7], s[0:1], vcc
	; wave barrier
	s_and_saveexec_b64 s[0:1], s[6:7]
	s_cbranch_execz .LBB1865_215
; %bb.214:
	v_bcnt_u32_b32 v0, v8, 0
	v_bcnt_u32_b32 v0, v9, v0
	s_waitcnt lgkmcnt(0)
	v_add_u32_e32 v0, v27, v0
	ds_write_b32 v37, v0 offset:64
.LBB1865_215:
	s_or_b64 exec, exec, s[0:1]
	s_waitcnt vmcnt(10)
	v_xor_b32_e32 v19, 0x7fffffff, v19
	v_lshrrev_b32_e32 v0, s64, v19
	v_and_b32_e32 v35, s14, v0
	v_mul_lo_u32 v0, v35, s4
	v_lshl_add_u32 v41, v28, 2, v0
	v_and_b32_e32 v0, 1, v35
	v_lshl_add_u64 v[8:9], v[0:1], 0, -1
	v_cmp_ne_u32_e32 vcc, 0, v0
	; wave barrier
	s_nop 1
	v_xor_b32_e32 v8, vcc_lo, v8
	v_xor_b32_e32 v0, vcc_hi, v9
	v_and_b32_e32 v38, exec_lo, v8
	v_lshlrev_b32_e32 v9, 30, v35
	v_mov_b32_e32 v8, v1
	v_cmp_gt_i64_e32 vcc, 0, v[8:9]
	v_not_b32_e32 v8, v9
	v_ashrrev_i32_e32 v8, 31, v8
	v_and_b32_e32 v0, exec_hi, v0
	v_xor_b32_e32 v9, vcc_hi, v8
	v_xor_b32_e32 v8, vcc_lo, v8
	v_and_b32_e32 v0, v0, v9
	v_and_b32_e32 v38, v38, v8
	v_lshlrev_b32_e32 v9, 29, v35
	v_mov_b32_e32 v8, v1
	v_cmp_gt_i64_e32 vcc, 0, v[8:9]
	v_not_b32_e32 v8, v9
	v_ashrrev_i32_e32 v8, 31, v8
	v_xor_b32_e32 v9, vcc_hi, v8
	v_xor_b32_e32 v8, vcc_lo, v8
	v_and_b32_e32 v0, v0, v9
	v_and_b32_e32 v38, v38, v8
	v_lshlrev_b32_e32 v9, 28, v35
	v_mov_b32_e32 v8, v1
	v_cmp_gt_i64_e32 vcc, 0, v[8:9]
	v_not_b32_e32 v8, v9
	v_ashrrev_i32_e32 v8, 31, v8
	;; [unrolled: 9-line block ×5, first 2 shown]
	v_xor_b32_e32 v9, vcc_hi, v8
	v_xor_b32_e32 v8, vcc_lo, v8
	v_and_b32_e32 v0, v0, v9
	v_lshlrev_b32_e32 v9, 24, v35
	v_and_b32_e32 v38, v38, v8
	v_mov_b32_e32 v8, v1
	v_not_b32_e32 v1, v9
	v_cmp_gt_i64_e32 vcc, 0, v[8:9]
	v_ashrrev_i32_e32 v1, 31, v1
	ds_read_b32 v33, v41 offset:64
	v_xor_b32_e32 v8, vcc_hi, v1
	v_xor_b32_e32 v9, vcc_lo, v1
	v_and_b32_e32 v1, v0, v8
	v_and_b32_e32 v0, v38, v9
	v_mbcnt_lo_u32_b32 v8, v0, 0
	v_mbcnt_hi_u32_b32 v35, v1, v8
	v_cmp_eq_u32_e32 vcc, 0, v35
	v_cmp_ne_u64_e64 s[0:1], 0, v[0:1]
	s_and_b64 s[4:5], s[0:1], vcc
	; wave barrier
	s_and_saveexec_b64 s[0:1], s[4:5]
	s_cbranch_execz .LBB1865_217
; %bb.216:
	v_bcnt_u32_b32 v0, v0, 0
	v_bcnt_u32_b32 v0, v1, v0
	s_waitcnt lgkmcnt(0)
	v_add_u32_e32 v0, v33, v0
	ds_write_b32 v41, v0 offset:64
.LBB1865_217:
	s_or_b64 exec, exec, s[0:1]
	s_waitcnt vmcnt(9)
	v_xor_b32_e32 v23, 0x7fffffff, v23
	v_lshrrev_b32_e32 v0, s64, v23
	v_and_b32_e32 v42, s14, v0
	s_movk_i32 s4, 0x44
	v_mul_lo_u32 v0, v42, s4
	v_lshl_add_u32 v46, v28, 2, v0
	v_and_b32_e32 v0, 1, v42
	v_mov_b32_e32 v1, 0
	v_lshl_add_u64 v[8:9], v[0:1], 0, -1
	v_cmp_ne_u32_e32 vcc, 0, v0
	; wave barrier
	s_nop 1
	v_xor_b32_e32 v8, vcc_lo, v8
	v_xor_b32_e32 v0, vcc_hi, v9
	v_and_b32_e32 v43, exec_lo, v8
	v_lshlrev_b32_e32 v9, 30, v42
	v_mov_b32_e32 v8, v1
	v_cmp_gt_i64_e32 vcc, 0, v[8:9]
	v_not_b32_e32 v8, v9
	v_ashrrev_i32_e32 v8, 31, v8
	v_and_b32_e32 v0, exec_hi, v0
	v_xor_b32_e32 v9, vcc_hi, v8
	v_xor_b32_e32 v8, vcc_lo, v8
	v_and_b32_e32 v0, v0, v9
	v_and_b32_e32 v43, v43, v8
	v_lshlrev_b32_e32 v9, 29, v42
	v_mov_b32_e32 v8, v1
	v_cmp_gt_i64_e32 vcc, 0, v[8:9]
	v_not_b32_e32 v8, v9
	v_ashrrev_i32_e32 v8, 31, v8
	v_xor_b32_e32 v9, vcc_hi, v8
	v_xor_b32_e32 v8, vcc_lo, v8
	v_and_b32_e32 v0, v0, v9
	v_and_b32_e32 v43, v43, v8
	v_lshlrev_b32_e32 v9, 28, v42
	v_mov_b32_e32 v8, v1
	v_cmp_gt_i64_e32 vcc, 0, v[8:9]
	v_not_b32_e32 v8, v9
	v_ashrrev_i32_e32 v8, 31, v8
	;; [unrolled: 9-line block ×6, first 2 shown]
	v_xor_b32_e32 v9, vcc_hi, v8
	v_xor_b32_e32 v8, vcc_lo, v8
	ds_read_b32 v38, v46 offset:64
	v_and_b32_e32 v8, v43, v8
	v_and_b32_e32 v9, v0, v9
	v_mbcnt_lo_u32_b32 v0, v8, 0
	v_mbcnt_hi_u32_b32 v42, v9, v0
	v_cmp_eq_u32_e32 vcc, 0, v42
	v_cmp_ne_u64_e64 s[0:1], 0, v[8:9]
	s_and_b64 s[6:7], s[0:1], vcc
	; wave barrier
	s_and_saveexec_b64 s[0:1], s[6:7]
	s_cbranch_execz .LBB1865_219
; %bb.218:
	v_bcnt_u32_b32 v0, v8, 0
	v_bcnt_u32_b32 v0, v9, v0
	s_waitcnt lgkmcnt(0)
	v_add_u32_e32 v0, v38, v0
	ds_write_b32 v46, v0 offset:64
.LBB1865_219:
	s_or_b64 exec, exec, s[0:1]
	s_waitcnt vmcnt(8)
	v_xor_b32_e32 v29, 0x7fffffff, v29
	v_lshrrev_b32_e32 v0, s64, v29
	v_and_b32_e32 v47, s14, v0
	v_mul_lo_u32 v0, v47, s4
	v_lshl_add_u32 v49, v28, 2, v0
	v_and_b32_e32 v0, 1, v47
	v_lshl_add_u64 v[8:9], v[0:1], 0, -1
	v_cmp_ne_u32_e32 vcc, 0, v0
	; wave barrier
	s_nop 1
	v_xor_b32_e32 v8, vcc_lo, v8
	v_xor_b32_e32 v0, vcc_hi, v9
	v_and_b32_e32 v48, exec_lo, v8
	v_lshlrev_b32_e32 v9, 30, v47
	v_mov_b32_e32 v8, v1
	v_cmp_gt_i64_e32 vcc, 0, v[8:9]
	v_not_b32_e32 v8, v9
	v_ashrrev_i32_e32 v8, 31, v8
	v_and_b32_e32 v0, exec_hi, v0
	v_xor_b32_e32 v9, vcc_hi, v8
	v_xor_b32_e32 v8, vcc_lo, v8
	v_and_b32_e32 v0, v0, v9
	v_and_b32_e32 v48, v48, v8
	v_lshlrev_b32_e32 v9, 29, v47
	v_mov_b32_e32 v8, v1
	v_cmp_gt_i64_e32 vcc, 0, v[8:9]
	v_not_b32_e32 v8, v9
	v_ashrrev_i32_e32 v8, 31, v8
	v_xor_b32_e32 v9, vcc_hi, v8
	v_xor_b32_e32 v8, vcc_lo, v8
	v_and_b32_e32 v0, v0, v9
	v_and_b32_e32 v48, v48, v8
	v_lshlrev_b32_e32 v9, 28, v47
	v_mov_b32_e32 v8, v1
	v_cmp_gt_i64_e32 vcc, 0, v[8:9]
	v_not_b32_e32 v8, v9
	v_ashrrev_i32_e32 v8, 31, v8
	;; [unrolled: 9-line block ×5, first 2 shown]
	v_xor_b32_e32 v9, vcc_hi, v8
	v_xor_b32_e32 v8, vcc_lo, v8
	v_and_b32_e32 v0, v0, v9
	v_lshlrev_b32_e32 v9, 24, v47
	v_and_b32_e32 v48, v48, v8
	v_mov_b32_e32 v8, v1
	v_not_b32_e32 v1, v9
	v_cmp_gt_i64_e32 vcc, 0, v[8:9]
	v_ashrrev_i32_e32 v1, 31, v1
	ds_read_b32 v43, v49 offset:64
	v_xor_b32_e32 v8, vcc_hi, v1
	v_xor_b32_e32 v9, vcc_lo, v1
	v_and_b32_e32 v1, v0, v8
	v_and_b32_e32 v0, v48, v9
	v_mbcnt_lo_u32_b32 v8, v0, 0
	v_mbcnt_hi_u32_b32 v47, v1, v8
	v_cmp_eq_u32_e32 vcc, 0, v47
	v_cmp_ne_u64_e64 s[0:1], 0, v[0:1]
	s_and_b64 s[4:5], s[0:1], vcc
	; wave barrier
	s_and_saveexec_b64 s[0:1], s[4:5]
	s_cbranch_execz .LBB1865_221
; %bb.220:
	v_bcnt_u32_b32 v0, v0, 0
	v_bcnt_u32_b32 v0, v1, v0
	s_waitcnt lgkmcnt(0)
	v_add_u32_e32 v0, v43, v0
	ds_write_b32 v49, v0 offset:64
.LBB1865_221:
	s_or_b64 exec, exec, s[0:1]
	s_waitcnt vmcnt(7)
	v_xor_b32_e32 v34, 0x7fffffff, v34
	v_lshrrev_b32_e32 v0, s64, v34
	v_and_b32_e32 v50, s14, v0
	s_movk_i32 s4, 0x44
	v_mul_lo_u32 v0, v50, s4
	v_lshl_add_u32 v52, v28, 2, v0
	v_and_b32_e32 v0, 1, v50
	v_mov_b32_e32 v1, 0
	v_lshl_add_u64 v[8:9], v[0:1], 0, -1
	v_cmp_ne_u32_e32 vcc, 0, v0
	; wave barrier
	s_nop 1
	v_xor_b32_e32 v8, vcc_lo, v8
	v_xor_b32_e32 v0, vcc_hi, v9
	v_and_b32_e32 v51, exec_lo, v8
	v_lshlrev_b32_e32 v9, 30, v50
	v_mov_b32_e32 v8, v1
	v_cmp_gt_i64_e32 vcc, 0, v[8:9]
	v_not_b32_e32 v8, v9
	v_ashrrev_i32_e32 v8, 31, v8
	v_and_b32_e32 v0, exec_hi, v0
	v_xor_b32_e32 v9, vcc_hi, v8
	v_xor_b32_e32 v8, vcc_lo, v8
	v_and_b32_e32 v0, v0, v9
	v_and_b32_e32 v51, v51, v8
	v_lshlrev_b32_e32 v9, 29, v50
	v_mov_b32_e32 v8, v1
	v_cmp_gt_i64_e32 vcc, 0, v[8:9]
	v_not_b32_e32 v8, v9
	v_ashrrev_i32_e32 v8, 31, v8
	v_xor_b32_e32 v9, vcc_hi, v8
	v_xor_b32_e32 v8, vcc_lo, v8
	v_and_b32_e32 v0, v0, v9
	v_and_b32_e32 v51, v51, v8
	v_lshlrev_b32_e32 v9, 28, v50
	v_mov_b32_e32 v8, v1
	v_cmp_gt_i64_e32 vcc, 0, v[8:9]
	v_not_b32_e32 v8, v9
	v_ashrrev_i32_e32 v8, 31, v8
	;; [unrolled: 9-line block ×6, first 2 shown]
	v_xor_b32_e32 v9, vcc_hi, v8
	v_xor_b32_e32 v8, vcc_lo, v8
	ds_read_b32 v48, v52 offset:64
	v_and_b32_e32 v8, v51, v8
	v_and_b32_e32 v9, v0, v9
	v_mbcnt_lo_u32_b32 v0, v8, 0
	v_mbcnt_hi_u32_b32 v50, v9, v0
	v_cmp_eq_u32_e32 vcc, 0, v50
	v_cmp_ne_u64_e64 s[0:1], 0, v[8:9]
	s_and_b64 s[6:7], s[0:1], vcc
	; wave barrier
	s_and_saveexec_b64 s[0:1], s[6:7]
	s_cbranch_execz .LBB1865_223
; %bb.222:
	v_bcnt_u32_b32 v0, v8, 0
	v_bcnt_u32_b32 v0, v9, v0
	s_waitcnt lgkmcnt(0)
	v_add_u32_e32 v0, v48, v0
	ds_write_b32 v52, v0 offset:64
.LBB1865_223:
	s_or_b64 exec, exec, s[0:1]
	s_waitcnt vmcnt(6)
	v_xor_b32_e32 v39, 0x7fffffff, v39
	v_lshrrev_b32_e32 v0, s64, v39
	v_and_b32_e32 v53, s14, v0
	v_mul_lo_u32 v0, v53, s4
	v_lshl_add_u32 v55, v28, 2, v0
	v_and_b32_e32 v0, 1, v53
	v_lshl_add_u64 v[8:9], v[0:1], 0, -1
	v_cmp_ne_u32_e32 vcc, 0, v0
	; wave barrier
	s_nop 1
	v_xor_b32_e32 v8, vcc_lo, v8
	v_xor_b32_e32 v0, vcc_hi, v9
	v_and_b32_e32 v54, exec_lo, v8
	v_lshlrev_b32_e32 v9, 30, v53
	v_mov_b32_e32 v8, v1
	v_cmp_gt_i64_e32 vcc, 0, v[8:9]
	v_not_b32_e32 v8, v9
	v_ashrrev_i32_e32 v8, 31, v8
	v_and_b32_e32 v0, exec_hi, v0
	v_xor_b32_e32 v9, vcc_hi, v8
	v_xor_b32_e32 v8, vcc_lo, v8
	v_and_b32_e32 v0, v0, v9
	v_and_b32_e32 v54, v54, v8
	v_lshlrev_b32_e32 v9, 29, v53
	v_mov_b32_e32 v8, v1
	v_cmp_gt_i64_e32 vcc, 0, v[8:9]
	v_not_b32_e32 v8, v9
	v_ashrrev_i32_e32 v8, 31, v8
	v_xor_b32_e32 v9, vcc_hi, v8
	v_xor_b32_e32 v8, vcc_lo, v8
	v_and_b32_e32 v0, v0, v9
	v_and_b32_e32 v54, v54, v8
	v_lshlrev_b32_e32 v9, 28, v53
	v_mov_b32_e32 v8, v1
	v_cmp_gt_i64_e32 vcc, 0, v[8:9]
	v_not_b32_e32 v8, v9
	v_ashrrev_i32_e32 v8, 31, v8
	;; [unrolled: 9-line block ×5, first 2 shown]
	v_xor_b32_e32 v9, vcc_hi, v8
	v_xor_b32_e32 v8, vcc_lo, v8
	v_and_b32_e32 v0, v0, v9
	v_lshlrev_b32_e32 v9, 24, v53
	v_and_b32_e32 v54, v54, v8
	v_mov_b32_e32 v8, v1
	v_not_b32_e32 v1, v9
	v_cmp_gt_i64_e32 vcc, 0, v[8:9]
	v_ashrrev_i32_e32 v1, 31, v1
	ds_read_b32 v51, v55 offset:64
	v_xor_b32_e32 v8, vcc_hi, v1
	v_xor_b32_e32 v9, vcc_lo, v1
	v_and_b32_e32 v1, v0, v8
	v_and_b32_e32 v0, v54, v9
	v_mbcnt_lo_u32_b32 v8, v0, 0
	v_mbcnt_hi_u32_b32 v53, v1, v8
	v_cmp_eq_u32_e32 vcc, 0, v53
	v_cmp_ne_u64_e64 s[0:1], 0, v[0:1]
	s_and_b64 s[4:5], s[0:1], vcc
	; wave barrier
	s_and_saveexec_b64 s[0:1], s[4:5]
	s_cbranch_execz .LBB1865_225
; %bb.224:
	v_bcnt_u32_b32 v0, v0, 0
	v_bcnt_u32_b32 v0, v1, v0
	s_waitcnt lgkmcnt(0)
	v_add_u32_e32 v0, v51, v0
	ds_write_b32 v55, v0 offset:64
.LBB1865_225:
	s_or_b64 exec, exec, s[0:1]
	s_waitcnt vmcnt(5)
	v_xor_b32_e32 v44, 0x7fffffff, v44
	v_lshrrev_b32_e32 v0, s64, v44
	v_and_b32_e32 v56, s14, v0
	s_movk_i32 s4, 0x44
	v_mul_lo_u32 v0, v56, s4
	v_lshl_add_u32 v58, v28, 2, v0
	v_and_b32_e32 v0, 1, v56
	v_mov_b32_e32 v1, 0
	v_lshl_add_u64 v[8:9], v[0:1], 0, -1
	v_cmp_ne_u32_e32 vcc, 0, v0
	; wave barrier
	s_nop 1
	v_xor_b32_e32 v8, vcc_lo, v8
	v_xor_b32_e32 v0, vcc_hi, v9
	v_and_b32_e32 v57, exec_lo, v8
	v_lshlrev_b32_e32 v9, 30, v56
	v_mov_b32_e32 v8, v1
	v_cmp_gt_i64_e32 vcc, 0, v[8:9]
	v_not_b32_e32 v8, v9
	v_ashrrev_i32_e32 v8, 31, v8
	v_and_b32_e32 v0, exec_hi, v0
	v_xor_b32_e32 v9, vcc_hi, v8
	v_xor_b32_e32 v8, vcc_lo, v8
	v_and_b32_e32 v0, v0, v9
	v_and_b32_e32 v57, v57, v8
	v_lshlrev_b32_e32 v9, 29, v56
	v_mov_b32_e32 v8, v1
	v_cmp_gt_i64_e32 vcc, 0, v[8:9]
	v_not_b32_e32 v8, v9
	v_ashrrev_i32_e32 v8, 31, v8
	v_xor_b32_e32 v9, vcc_hi, v8
	v_xor_b32_e32 v8, vcc_lo, v8
	v_and_b32_e32 v0, v0, v9
	v_and_b32_e32 v57, v57, v8
	v_lshlrev_b32_e32 v9, 28, v56
	v_mov_b32_e32 v8, v1
	v_cmp_gt_i64_e32 vcc, 0, v[8:9]
	v_not_b32_e32 v8, v9
	v_ashrrev_i32_e32 v8, 31, v8
	;; [unrolled: 9-line block ×6, first 2 shown]
	v_xor_b32_e32 v9, vcc_hi, v8
	v_xor_b32_e32 v8, vcc_lo, v8
	ds_read_b32 v54, v58 offset:64
	v_and_b32_e32 v8, v57, v8
	v_and_b32_e32 v9, v0, v9
	v_mbcnt_lo_u32_b32 v0, v8, 0
	v_mbcnt_hi_u32_b32 v56, v9, v0
	v_cmp_eq_u32_e32 vcc, 0, v56
	v_cmp_ne_u64_e64 s[0:1], 0, v[8:9]
	s_and_b64 s[6:7], s[0:1], vcc
	; wave barrier
	s_and_saveexec_b64 s[0:1], s[6:7]
	s_cbranch_execz .LBB1865_227
; %bb.226:
	v_bcnt_u32_b32 v0, v8, 0
	v_bcnt_u32_b32 v0, v9, v0
	s_waitcnt lgkmcnt(0)
	v_add_u32_e32 v0, v54, v0
	ds_write_b32 v58, v0 offset:64
.LBB1865_227:
	s_or_b64 exec, exec, s[0:1]
	s_waitcnt vmcnt(4)
	v_xor_b32_e32 v45, 0x7fffffff, v45
	v_lshrrev_b32_e32 v0, s64, v45
	v_and_b32_e32 v59, s14, v0
	v_mul_lo_u32 v0, v59, s4
	v_lshl_add_u32 v62, v28, 2, v0
	v_and_b32_e32 v0, 1, v59
	v_lshl_add_u64 v[8:9], v[0:1], 0, -1
	v_cmp_ne_u32_e32 vcc, 0, v0
	; wave barrier
	s_nop 1
	v_xor_b32_e32 v8, vcc_lo, v8
	v_xor_b32_e32 v0, vcc_hi, v9
	v_and_b32_e32 v60, exec_lo, v8
	v_lshlrev_b32_e32 v9, 30, v59
	v_mov_b32_e32 v8, v1
	v_cmp_gt_i64_e32 vcc, 0, v[8:9]
	v_not_b32_e32 v8, v9
	v_ashrrev_i32_e32 v8, 31, v8
	v_and_b32_e32 v0, exec_hi, v0
	v_xor_b32_e32 v9, vcc_hi, v8
	v_xor_b32_e32 v8, vcc_lo, v8
	v_and_b32_e32 v0, v0, v9
	v_and_b32_e32 v60, v60, v8
	v_lshlrev_b32_e32 v9, 29, v59
	v_mov_b32_e32 v8, v1
	v_cmp_gt_i64_e32 vcc, 0, v[8:9]
	v_not_b32_e32 v8, v9
	v_ashrrev_i32_e32 v8, 31, v8
	v_xor_b32_e32 v9, vcc_hi, v8
	v_xor_b32_e32 v8, vcc_lo, v8
	v_and_b32_e32 v0, v0, v9
	v_and_b32_e32 v60, v60, v8
	v_lshlrev_b32_e32 v9, 28, v59
	v_mov_b32_e32 v8, v1
	v_cmp_gt_i64_e32 vcc, 0, v[8:9]
	v_not_b32_e32 v8, v9
	v_ashrrev_i32_e32 v8, 31, v8
	;; [unrolled: 9-line block ×5, first 2 shown]
	v_xor_b32_e32 v9, vcc_hi, v8
	v_xor_b32_e32 v8, vcc_lo, v8
	v_and_b32_e32 v0, v0, v9
	v_lshlrev_b32_e32 v9, 24, v59
	v_and_b32_e32 v60, v60, v8
	v_mov_b32_e32 v8, v1
	v_not_b32_e32 v1, v9
	v_cmp_gt_i64_e32 vcc, 0, v[8:9]
	v_ashrrev_i32_e32 v1, 31, v1
	ds_read_b32 v57, v62 offset:64
	v_xor_b32_e32 v8, vcc_hi, v1
	v_xor_b32_e32 v9, vcc_lo, v1
	v_and_b32_e32 v1, v0, v8
	v_and_b32_e32 v0, v60, v9
	v_mbcnt_lo_u32_b32 v8, v0, 0
	v_mbcnt_hi_u32_b32 v59, v1, v8
	v_cmp_eq_u32_e32 vcc, 0, v59
	v_cmp_ne_u64_e64 s[0:1], 0, v[0:1]
	s_and_b64 s[4:5], s[0:1], vcc
	; wave barrier
	s_and_saveexec_b64 s[0:1], s[4:5]
	s_cbranch_execz .LBB1865_229
; %bb.228:
	v_bcnt_u32_b32 v0, v0, 0
	v_bcnt_u32_b32 v0, v1, v0
	s_waitcnt lgkmcnt(0)
	v_add_u32_e32 v0, v57, v0
	ds_write_b32 v62, v0 offset:64
.LBB1865_229:
	s_or_b64 exec, exec, s[0:1]
	s_waitcnt vmcnt(3)
	v_xor_b32_e32 v40, 0x7fffffff, v40
	v_lshrrev_b32_e32 v0, s64, v40
	v_and_b32_e32 v61, s14, v0
	s_movk_i32 s4, 0x44
	v_mul_lo_u32 v0, v61, s4
	v_lshl_add_u32 v65, v28, 2, v0
	v_and_b32_e32 v0, 1, v61
	v_mov_b32_e32 v1, 0
	v_lshl_add_u64 v[8:9], v[0:1], 0, -1
	v_cmp_ne_u32_e32 vcc, 0, v0
	; wave barrier
	s_nop 1
	v_xor_b32_e32 v8, vcc_lo, v8
	v_xor_b32_e32 v0, vcc_hi, v9
	v_and_b32_e32 v63, exec_lo, v8
	v_lshlrev_b32_e32 v9, 30, v61
	v_mov_b32_e32 v8, v1
	v_cmp_gt_i64_e32 vcc, 0, v[8:9]
	v_not_b32_e32 v8, v9
	v_ashrrev_i32_e32 v8, 31, v8
	v_and_b32_e32 v0, exec_hi, v0
	v_xor_b32_e32 v9, vcc_hi, v8
	v_xor_b32_e32 v8, vcc_lo, v8
	v_and_b32_e32 v0, v0, v9
	v_and_b32_e32 v63, v63, v8
	v_lshlrev_b32_e32 v9, 29, v61
	v_mov_b32_e32 v8, v1
	v_cmp_gt_i64_e32 vcc, 0, v[8:9]
	v_not_b32_e32 v8, v9
	v_ashrrev_i32_e32 v8, 31, v8
	v_xor_b32_e32 v9, vcc_hi, v8
	v_xor_b32_e32 v8, vcc_lo, v8
	v_and_b32_e32 v0, v0, v9
	v_and_b32_e32 v63, v63, v8
	v_lshlrev_b32_e32 v9, 28, v61
	v_mov_b32_e32 v8, v1
	v_cmp_gt_i64_e32 vcc, 0, v[8:9]
	v_not_b32_e32 v8, v9
	v_ashrrev_i32_e32 v8, 31, v8
	;; [unrolled: 9-line block ×6, first 2 shown]
	v_xor_b32_e32 v9, vcc_hi, v8
	v_xor_b32_e32 v8, vcc_lo, v8
	ds_read_b32 v60, v65 offset:64
	v_and_b32_e32 v8, v63, v8
	v_and_b32_e32 v9, v0, v9
	v_mbcnt_lo_u32_b32 v0, v8, 0
	v_mbcnt_hi_u32_b32 v63, v9, v0
	v_cmp_eq_u32_e32 vcc, 0, v63
	v_cmp_ne_u64_e64 s[0:1], 0, v[8:9]
	s_and_b64 s[6:7], s[0:1], vcc
	; wave barrier
	s_and_saveexec_b64 s[0:1], s[6:7]
	s_cbranch_execz .LBB1865_231
; %bb.230:
	v_bcnt_u32_b32 v0, v8, 0
	v_bcnt_u32_b32 v0, v9, v0
	s_waitcnt lgkmcnt(0)
	v_add_u32_e32 v0, v60, v0
	ds_write_b32 v65, v0 offset:64
.LBB1865_231:
	s_or_b64 exec, exec, s[0:1]
	s_waitcnt vmcnt(2)
	v_xor_b32_e32 v36, 0x7fffffff, v36
	v_lshrrev_b32_e32 v0, s64, v36
	v_and_b32_e32 v61, s14, v0
	v_mul_lo_u32 v0, v61, s4
	v_lshl_add_u32 v68, v28, 2, v0
	v_and_b32_e32 v0, 1, v61
	v_lshl_add_u64 v[8:9], v[0:1], 0, -1
	v_cmp_ne_u32_e32 vcc, 0, v0
	; wave barrier
	s_nop 1
	v_xor_b32_e32 v8, vcc_lo, v8
	v_xor_b32_e32 v0, vcc_hi, v9
	v_and_b32_e32 v66, exec_lo, v8
	v_lshlrev_b32_e32 v9, 30, v61
	v_mov_b32_e32 v8, v1
	v_cmp_gt_i64_e32 vcc, 0, v[8:9]
	v_not_b32_e32 v8, v9
	v_ashrrev_i32_e32 v8, 31, v8
	v_and_b32_e32 v0, exec_hi, v0
	v_xor_b32_e32 v9, vcc_hi, v8
	v_xor_b32_e32 v8, vcc_lo, v8
	v_and_b32_e32 v0, v0, v9
	v_and_b32_e32 v66, v66, v8
	v_lshlrev_b32_e32 v9, 29, v61
	v_mov_b32_e32 v8, v1
	v_cmp_gt_i64_e32 vcc, 0, v[8:9]
	v_not_b32_e32 v8, v9
	v_ashrrev_i32_e32 v8, 31, v8
	v_xor_b32_e32 v9, vcc_hi, v8
	v_xor_b32_e32 v8, vcc_lo, v8
	v_and_b32_e32 v0, v0, v9
	v_and_b32_e32 v66, v66, v8
	v_lshlrev_b32_e32 v9, 28, v61
	v_mov_b32_e32 v8, v1
	v_cmp_gt_i64_e32 vcc, 0, v[8:9]
	v_not_b32_e32 v8, v9
	v_ashrrev_i32_e32 v8, 31, v8
	;; [unrolled: 9-line block ×5, first 2 shown]
	v_xor_b32_e32 v9, vcc_hi, v8
	v_xor_b32_e32 v8, vcc_lo, v8
	v_and_b32_e32 v0, v0, v9
	v_lshlrev_b32_e32 v9, 24, v61
	v_and_b32_e32 v66, v66, v8
	v_mov_b32_e32 v8, v1
	v_not_b32_e32 v1, v9
	v_cmp_gt_i64_e32 vcc, 0, v[8:9]
	v_ashrrev_i32_e32 v1, 31, v1
	ds_read_b32 v64, v68 offset:64
	v_xor_b32_e32 v8, vcc_hi, v1
	v_xor_b32_e32 v9, vcc_lo, v1
	v_and_b32_e32 v1, v0, v8
	v_and_b32_e32 v0, v66, v9
	v_mbcnt_lo_u32_b32 v8, v0, 0
	v_mbcnt_hi_u32_b32 v66, v1, v8
	v_cmp_eq_u32_e32 vcc, 0, v66
	v_cmp_ne_u64_e64 s[0:1], 0, v[0:1]
	s_and_b64 s[4:5], s[0:1], vcc
	; wave barrier
	s_and_saveexec_b64 s[0:1], s[4:5]
	s_cbranch_execz .LBB1865_233
; %bb.232:
	v_bcnt_u32_b32 v0, v0, 0
	v_bcnt_u32_b32 v0, v1, v0
	s_waitcnt lgkmcnt(0)
	v_add_u32_e32 v0, v64, v0
	ds_write_b32 v68, v0 offset:64
.LBB1865_233:
	s_or_b64 exec, exec, s[0:1]
	s_waitcnt vmcnt(1)
	v_xor_b32_e32 v31, 0x7fffffff, v31
	v_lshrrev_b32_e32 v0, s64, v31
	v_and_b32_e32 v61, s14, v0
	s_movk_i32 s4, 0x44
	v_mul_lo_u32 v0, v61, s4
	v_lshl_add_u32 v70, v28, 2, v0
	v_and_b32_e32 v0, 1, v61
	v_mov_b32_e32 v1, 0
	v_lshl_add_u64 v[8:9], v[0:1], 0, -1
	v_cmp_ne_u32_e32 vcc, 0, v0
	; wave barrier
	s_nop 1
	v_xor_b32_e32 v8, vcc_lo, v8
	v_xor_b32_e32 v0, vcc_hi, v9
	v_and_b32_e32 v69, exec_lo, v8
	v_lshlrev_b32_e32 v9, 30, v61
	v_mov_b32_e32 v8, v1
	v_cmp_gt_i64_e32 vcc, 0, v[8:9]
	v_not_b32_e32 v8, v9
	v_ashrrev_i32_e32 v8, 31, v8
	v_and_b32_e32 v0, exec_hi, v0
	v_xor_b32_e32 v9, vcc_hi, v8
	v_xor_b32_e32 v8, vcc_lo, v8
	v_and_b32_e32 v0, v0, v9
	v_and_b32_e32 v69, v69, v8
	v_lshlrev_b32_e32 v9, 29, v61
	v_mov_b32_e32 v8, v1
	v_cmp_gt_i64_e32 vcc, 0, v[8:9]
	v_not_b32_e32 v8, v9
	v_ashrrev_i32_e32 v8, 31, v8
	v_xor_b32_e32 v9, vcc_hi, v8
	v_xor_b32_e32 v8, vcc_lo, v8
	v_and_b32_e32 v0, v0, v9
	v_and_b32_e32 v69, v69, v8
	v_lshlrev_b32_e32 v9, 28, v61
	v_mov_b32_e32 v8, v1
	v_cmp_gt_i64_e32 vcc, 0, v[8:9]
	v_not_b32_e32 v8, v9
	v_ashrrev_i32_e32 v8, 31, v8
	;; [unrolled: 9-line block ×6, first 2 shown]
	v_xor_b32_e32 v9, vcc_hi, v8
	v_xor_b32_e32 v8, vcc_lo, v8
	ds_read_b32 v67, v70 offset:64
	v_and_b32_e32 v8, v69, v8
	v_and_b32_e32 v9, v0, v9
	v_mbcnt_lo_u32_b32 v0, v8, 0
	v_mbcnt_hi_u32_b32 v69, v9, v0
	v_cmp_eq_u32_e32 vcc, 0, v69
	v_cmp_ne_u64_e64 s[0:1], 0, v[8:9]
	s_and_b64 s[6:7], s[0:1], vcc
	; wave barrier
	s_and_saveexec_b64 s[0:1], s[6:7]
	s_cbranch_execz .LBB1865_235
; %bb.234:
	v_bcnt_u32_b32 v0, v8, 0
	v_bcnt_u32_b32 v0, v9, v0
	s_waitcnt lgkmcnt(0)
	v_add_u32_e32 v0, v67, v0
	ds_write_b32 v70, v0 offset:64
.LBB1865_235:
	s_or_b64 exec, exec, s[0:1]
	s_waitcnt vmcnt(0)
	v_xor_b32_e32 v61, 0x7fffffff, v25
	v_lshrrev_b32_e32 v0, s64, v61
	v_and_b32_e32 v25, s14, v0
	v_mul_lo_u32 v0, v25, s4
	v_lshl_add_u32 v72, v28, 2, v0
	v_and_b32_e32 v0, 1, v25
	v_lshl_add_u64 v[8:9], v[0:1], 0, -1
	v_cmp_ne_u32_e32 vcc, 0, v0
	; wave barrier
	s_nop 1
	v_xor_b32_e32 v8, vcc_lo, v8
	v_xor_b32_e32 v0, vcc_hi, v9
	v_and_b32_e32 v71, exec_lo, v8
	v_lshlrev_b32_e32 v9, 30, v25
	v_mov_b32_e32 v8, v1
	v_cmp_gt_i64_e32 vcc, 0, v[8:9]
	v_not_b32_e32 v8, v9
	v_ashrrev_i32_e32 v8, 31, v8
	v_and_b32_e32 v0, exec_hi, v0
	v_xor_b32_e32 v9, vcc_hi, v8
	v_xor_b32_e32 v8, vcc_lo, v8
	v_and_b32_e32 v0, v0, v9
	v_and_b32_e32 v71, v71, v8
	v_lshlrev_b32_e32 v9, 29, v25
	v_mov_b32_e32 v8, v1
	v_cmp_gt_i64_e32 vcc, 0, v[8:9]
	v_not_b32_e32 v8, v9
	v_ashrrev_i32_e32 v8, 31, v8
	v_xor_b32_e32 v9, vcc_hi, v8
	v_xor_b32_e32 v8, vcc_lo, v8
	v_and_b32_e32 v0, v0, v9
	v_and_b32_e32 v71, v71, v8
	v_lshlrev_b32_e32 v9, 28, v25
	v_mov_b32_e32 v8, v1
	v_cmp_gt_i64_e32 vcc, 0, v[8:9]
	v_not_b32_e32 v8, v9
	v_ashrrev_i32_e32 v8, 31, v8
	;; [unrolled: 9-line block ×5, first 2 shown]
	v_xor_b32_e32 v9, vcc_hi, v8
	v_xor_b32_e32 v8, vcc_lo, v8
	v_and_b32_e32 v0, v0, v9
	v_lshlrev_b32_e32 v9, 24, v25
	v_and_b32_e32 v71, v71, v8
	v_mov_b32_e32 v8, v1
	v_not_b32_e32 v1, v9
	v_cmp_gt_i64_e32 vcc, 0, v[8:9]
	v_ashrrev_i32_e32 v1, 31, v1
	ds_read_b32 v28, v72 offset:64
	v_xor_b32_e32 v8, vcc_hi, v1
	v_xor_b32_e32 v9, vcc_lo, v1
	v_and_b32_e32 v1, v0, v8
	v_and_b32_e32 v0, v71, v9
	v_mbcnt_lo_u32_b32 v8, v0, 0
	v_mbcnt_hi_u32_b32 v71, v1, v8
	v_cmp_eq_u32_e32 vcc, 0, v71
	v_cmp_ne_u64_e64 s[0:1], 0, v[0:1]
	s_and_b64 s[4:5], s[0:1], vcc
	; wave barrier
	s_and_saveexec_b64 s[0:1], s[4:5]
	s_cbranch_execz .LBB1865_237
; %bb.236:
	v_bcnt_u32_b32 v0, v0, 0
	v_bcnt_u32_b32 v0, v1, v0
	s_waitcnt lgkmcnt(0)
	v_add_u32_e32 v0, v28, v0
	ds_write_b32 v72, v0 offset:64
.LBB1865_237:
	s_or_b64 exec, exec, s[0:1]
	; wave barrier
	s_waitcnt lgkmcnt(0)
	s_barrier
	ds_read2_b32 v[8:9], v11 offset0:16 offset1:17
	ds_read2_b32 v[0:1], v11 offset0:18 offset1:19
	ds_read_b32 v25, v11 offset:80
	v_cmp_lt_u32_e64 s[8:9], 31, v10
	s_waitcnt lgkmcnt(1)
	v_add3_u32 v73, v9, v8, v0
	s_waitcnt lgkmcnt(0)
	v_add3_u32 v25, v73, v1, v25
	v_and_b32_e32 v73, 15, v10
	v_cmp_eq_u32_e32 vcc, 0, v73
	v_mov_b32_dpp v74, v25 row_shr:1 row_mask:0xf bank_mask:0xf
	v_cmp_lt_u32_e64 s[0:1], 1, v73
	v_cndmask_b32_e64 v74, v74, 0, vcc
	v_add_u32_e32 v25, v74, v25
	v_cmp_lt_u32_e64 s[6:7], 3, v73
	v_cmp_lt_u32_e64 s[4:5], 7, v73
	v_mov_b32_dpp v74, v25 row_shr:2 row_mask:0xf bank_mask:0xf
	v_cndmask_b32_e64 v74, 0, v74, s[0:1]
	v_add_u32_e32 v25, v25, v74
	s_nop 1
	v_mov_b32_dpp v74, v25 row_shr:4 row_mask:0xf bank_mask:0xf
	v_cndmask_b32_e64 v74, 0, v74, s[6:7]
	v_add_u32_e32 v25, v25, v74
	s_nop 1
	v_mov_b32_dpp v74, v25 row_shr:8 row_mask:0xf bank_mask:0xf
	v_cndmask_b32_e64 v73, 0, v74, s[4:5]
	v_add_u32_e32 v25, v25, v73
	v_bfe_i32 v74, v10, 4, 1
	s_nop 0
	v_mov_b32_dpp v73, v25 row_bcast:15 row_mask:0xf bank_mask:0xf
	v_and_b32_e32 v73, v74, v73
	v_add_u32_e32 v25, v25, v73
	v_lshrrev_b32_e32 v74, 6, v2
	s_nop 0
	v_mov_b32_dpp v73, v25 row_bcast:31 row_mask:0xf bank_mask:0xf
	v_cndmask_b32_e64 v73, 0, v73, s[8:9]
	v_add_u32_e32 v73, v25, v73
	v_and_b32_e32 v25, 63, v2
	v_cmp_eq_u32_e64 s[8:9], 63, v25
	s_and_saveexec_b64 s[12:13], s[8:9]
; %bb.238:
	v_lshlrev_b32_e32 v25, 2, v74
	ds_write_b32 v25, v73
; %bb.239:
	s_or_b64 exec, exec, s[12:13]
	v_cmp_gt_u32_e64 s[8:9], 16, v2
	v_lshlrev_b32_e32 v25, 2, v2
	s_waitcnt lgkmcnt(0)
	s_barrier
	s_and_saveexec_b64 s[12:13], s[8:9]
	s_cbranch_execz .LBB1865_241
; %bb.240:
	ds_read_b32 v75, v25
	s_waitcnt lgkmcnt(0)
	s_nop 0
	v_mov_b32_dpp v76, v75 row_shr:1 row_mask:0xf bank_mask:0xf
	v_cndmask_b32_e64 v76, v76, 0, vcc
	v_add_u32_e32 v75, v76, v75
	s_nop 1
	v_mov_b32_dpp v76, v75 row_shr:2 row_mask:0xf bank_mask:0xf
	v_cndmask_b32_e64 v76, 0, v76, s[0:1]
	v_add_u32_e32 v75, v75, v76
	s_nop 1
	v_mov_b32_dpp v76, v75 row_shr:4 row_mask:0xf bank_mask:0xf
	v_cndmask_b32_e64 v76, 0, v76, s[6:7]
	;; [unrolled: 4-line block ×3, first 2 shown]
	v_add_u32_e32 v75, v75, v76
	ds_write_b32 v25, v75
.LBB1865_241:
	s_or_b64 exec, exec, s[12:13]
	v_cmp_lt_u32_e32 vcc, 63, v2
	v_mov_b32_e32 v75, 0
	s_waitcnt lgkmcnt(0)
	s_barrier
	s_and_saveexec_b64 s[0:1], vcc
; %bb.242:
	v_lshl_add_u32 v74, v74, 2, -4
	ds_read_b32 v75, v74
; %bb.243:
	s_or_b64 exec, exec, s[0:1]
	v_subrev_co_u32_e32 v74, vcc, 1, v10
	v_and_b32_e32 v76, 64, v10
	v_cmp_lt_i32_e64 s[0:1], v74, v76
	s_waitcnt lgkmcnt(0)
	v_add_u32_e32 v73, v75, v73
	s_movk_i32 s4, 0x100
	v_cndmask_b32_e64 v10, v74, v10, s[0:1]
	v_lshlrev_b32_e32 v10, 2, v10
	ds_bpermute_b32 v10, v10, v73
	s_movk_i32 s0, 0xff
	s_waitcnt lgkmcnt(0)
	v_cndmask_b32_e32 v10, v10, v75, vcc
	v_cmp_ne_u32_e32 vcc, 0, v2
	s_nop 1
	v_cndmask_b32_e32 v10, 0, v10, vcc
	v_add_u32_e32 v8, v10, v8
	v_add_u32_e32 v9, v8, v9
	v_add_u32_e32 v0, v9, v0
	v_add_u32_e32 v1, v0, v1
	ds_write2_b32 v11, v10, v8 offset0:16 offset1:17
	ds_write2_b32 v11, v9, v0 offset0:18 offset1:19
	ds_write_b32 v11, v1 offset:80
	s_waitcnt lgkmcnt(0)
	s_barrier
	ds_read_b32 v81, v18 offset:64
	ds_read_b32 v73, v21 offset:64
	;; [unrolled: 1-line block ×16, first 2 shown]
	v_cmp_lt_u32_e32 vcc, s0, v2
	v_cmp_gt_u32_e64 s[0:1], s4, v2
                                        ; implicit-def: $vgpr18
                                        ; implicit-def: $vgpr21
	s_and_saveexec_b64 s[6:7], s[0:1]
	s_cbranch_execz .LBB1865_247
; %bb.244:
	v_mul_u32_u24_e32 v0, 0x44, v2
	ds_read_b32 v18, v0 offset:64
	v_add_u32_e32 v1, 1, v2
	v_cmp_ne_u32_e64 s[4:5], s4, v1
	v_mov_b32_e32 v0, 0x4000
	s_and_saveexec_b64 s[8:9], s[4:5]
; %bb.245:
	v_mul_u32_u24_e32 v0, 0x44, v1
	ds_read_b32 v0, v0 offset:64
; %bb.246:
	s_or_b64 exec, exec, s[8:9]
	s_waitcnt lgkmcnt(0)
	v_sub_u32_e32 v21, v0, v18
.LBB1865_247:
	s_or_b64 exec, exec, s[6:7]
	v_mov_b32_e32 v1, 0
	s_waitcnt lgkmcnt(0)
	s_barrier
	s_and_saveexec_b64 s[4:5], s[0:1]
	s_cbranch_execz .LBB1865_257
; %bb.248:
	v_lshl_add_u32 v0, s2, 8, v2
	v_lshl_add_u64 v[8:9], v[0:1], 2, s[50:51]
	v_or_b32_e32 v0, 2.0, v21
	s_mov_b64 s[6:7], 0
	s_brev_b32 s15, -4
	s_mov_b32 s16, s2
	v_mov_b32_e32 v49, 0
	global_store_dword v[8:9], v0, off sc1
                                        ; implicit-def: $sgpr0_sgpr1
	s_branch .LBB1865_251
.LBB1865_249:                           ;   in Loop: Header=BB1865_251 Depth=1
	s_or_b64 exec, exec, s[12:13]
.LBB1865_250:                           ;   in Loop: Header=BB1865_251 Depth=1
	s_or_b64 exec, exec, s[8:9]
	v_and_b32_e32 v10, 0x3fffffff, v0
	v_add_u32_e32 v49, v10, v49
	v_cmp_gt_i32_e64 s[0:1], -2.0, v0
	s_and_b64 s[8:9], exec, s[0:1]
	s_or_b64 s[6:7], s[8:9], s[6:7]
	s_andn2_b64 exec, exec, s[6:7]
	s_cbranch_execz .LBB1865_256
.LBB1865_251:                           ; =>This Loop Header: Depth=1
                                        ;     Child Loop BB1865_254 Depth 2
	s_or_b64 s[0:1], s[0:1], exec
	s_cmp_eq_u32 s16, 0
	s_cbranch_scc1 .LBB1865_255
; %bb.252:                              ;   in Loop: Header=BB1865_251 Depth=1
	s_add_i32 s16, s16, -1
	v_lshl_or_b32 v0, s16, 8, v2
	v_lshl_add_u64 v[10:11], v[0:1], 2, s[50:51]
	global_load_dword v0, v[10:11], off sc1
	s_waitcnt vmcnt(0)
	v_cmp_gt_u32_e64 s[0:1], 2.0, v0
	s_and_saveexec_b64 s[8:9], s[0:1]
	s_cbranch_execz .LBB1865_250
; %bb.253:                              ;   in Loop: Header=BB1865_251 Depth=1
	s_mov_b64 s[12:13], 0
.LBB1865_254:                           ;   Parent Loop BB1865_251 Depth=1
                                        ; =>  This Inner Loop Header: Depth=2
	global_load_dword v0, v[10:11], off sc1
	s_waitcnt vmcnt(0)
	v_cmp_lt_u32_e64 s[0:1], s15, v0
	s_or_b64 s[12:13], s[0:1], s[12:13]
	s_andn2_b64 exec, exec, s[12:13]
	s_cbranch_execnz .LBB1865_254
	s_branch .LBB1865_249
.LBB1865_255:                           ;   in Loop: Header=BB1865_251 Depth=1
                                        ; implicit-def: $sgpr16
	s_and_b64 s[8:9], exec, s[0:1]
	s_or_b64 s[6:7], s[8:9], s[6:7]
	s_andn2_b64 exec, exec, s[6:7]
	s_cbranch_execnz .LBB1865_251
.LBB1865_256:
	s_or_b64 exec, exec, s[6:7]
	v_add_u32_e32 v0, v49, v21
	v_or_b32_e32 v0, 0x80000000, v0
	global_store_dword v[8:9], v0, off sc1
	global_load_dword v0, v25, s[60:61]
	v_sub_u32_e32 v1, v49, v18
	s_waitcnt vmcnt(0)
	v_add_u32_e32 v0, v1, v0
	ds_write_b32 v25, v0
.LBB1865_257:
	s_or_b64 exec, exec, s[4:5]
	v_add_u32_e32 v8, v81, v14
	v_add3_u32 v0, v16, v13, v73
	v_add3_u32 v1, v20, v17, v74
	;; [unrolled: 1-line block ×15, first 2 shown]
	v_mov_b32_e32 v85, 0x400
	s_mov_b32 s6, s64
	s_mov_b32 s7, s14
	s_movk_i32 s8, 0x400
	v_lshl_add_u32 v9, v9, 2, v85
	v_add3_u32 v10, v71, v41, v28
	v_lshl_add_u32 v11, v11, 2, v85
	v_add3_u32 v14, v69, v26, v67
	;; [unrolled: 2-line block ×15, first 2 shown]
	v_lshl_add_u32 v16, v8, 2, v85
	s_mov_b32 s9, 0
	s_mov_b32 s12, 0
	s_movk_i32 s13, 0x1000
	v_mov_b32_e32 v1, 0
	s_movk_i32 s15, 0x800
	s_movk_i32 s16, 0xc00
	v_mov_b32_e32 v55, v2
	s_mov_b32 s17, 0
	s_branch .LBB1865_259
.LBB1865_258:                           ;   in Loop: Header=BB1865_259 Depth=1
	s_or_b64 exec, exec, s[4:5]
	s_waitcnt lgkmcnt(0)
	s_barrier
	ds_read2st64_b32 v[56:57], v25 offset0:4 offset1:20
	ds_read2st64_b32 v[62:63], v25 offset0:36 offset1:52
	s_addk_i32 s17, 0xc000
	s_addk_i32 s12, 0xf000
	s_waitcnt lgkmcnt(1)
	v_xor_b32_e32 v60, 0x7fffffff, v56
	v_lshrrev_b32_e32 v56, s64, v56
	v_lshrrev_b32_e32 v0, s6, v57
	v_and_b32_e32 v56, s14, v56
	v_xor_b32_e32 v66, 0x7fffffff, v57
	v_and_b32_e32 v57, s7, v0
	v_lshlrev_b32_e32 v0, 2, v56
	ds_read_b32 v0, v0
	s_waitcnt lgkmcnt(1)
	v_lshrrev_b32_e32 v58, s6, v63
	v_lshrrev_b32_e32 v65, s64, v62
	v_and_b32_e32 v59, s7, v58
	v_lshlrev_b32_e32 v64, 2, v57
	v_and_b32_e32 v58, s14, v65
	v_lshlrev_b32_e32 v67, 2, v59
	v_lshlrev_b32_e32 v65, 2, v58
	ds_read_b32 v68, v64
	ds_read_b32 v69, v65
	;; [unrolled: 1-line block ×3, first 2 shown]
	s_waitcnt lgkmcnt(3)
	v_add_u32_e32 v0, v55, v0
	v_lshl_add_u64 v[64:65], v[0:1], 2, s[54:55]
	s_waitcnt lgkmcnt(2)
	v_add3_u32 v0, v55, v68, s8
	global_store_dword v[64:65], v60, off
	v_lshl_add_u64 v[64:65], v[0:1], 2, s[54:55]
	s_waitcnt lgkmcnt(1)
	v_add3_u32 v0, v55, v69, s15
	global_store_dword v[64:65], v66, off
	v_xor_b32_e32 v60, 0x7fffffff, v62
	v_xor_b32_e32 v64, 0x7fffffff, v63
	v_lshl_add_u64 v[62:63], v[0:1], 2, s[54:55]
	s_waitcnt lgkmcnt(0)
	v_add3_u32 v0, v55, v67, s16
	global_store_dword v[62:63], v60, off
	v_lshl_add_u64 v[62:63], v[0:1], 2, s[54:55]
	global_store_dword v[62:63], v64, off
	scratch_store_dwordx4 off, v[56:59], s9
	s_add_i32 s9, s9, 16
	s_cmp_eq_u32 s17, 0xffff0000
	v_add_u32_e32 v55, 0x1000, v55
	s_barrier
	s_cbranch_scc1 .LBB1865_291
.LBB1865_259:                           ; =>This Inner Loop Header: Depth=1
	v_add_u32_e32 v0, s12, v8
	v_cmp_gt_u32_e64 s[0:1], s13, v0
	s_and_saveexec_b64 s[4:5], s[0:1]
; %bb.260:                              ;   in Loop: Header=BB1865_259 Depth=1
	v_add_u32_e32 v0, s17, v16
	ds_write_b32 v0, v3
; %bb.261:                              ;   in Loop: Header=BB1865_259 Depth=1
	s_or_b64 exec, exec, s[4:5]
	v_add_u32_e32 v0, s12, v13
	v_cmp_gt_u32_e64 s[0:1], s13, v0
	s_and_saveexec_b64 s[4:5], s[0:1]
; %bb.262:                              ;   in Loop: Header=BB1865_259 Depth=1
	v_add_u32_e32 v0, s17, v20
	ds_write_b32 v0, v5
; %bb.263:                              ;   in Loop: Header=BB1865_259 Depth=1
	s_or_b64 exec, exec, s[4:5]
	;; [unrolled: 8-line block ×15, first 2 shown]
	v_add_u32_e32 v0, s12, v10
	v_cmp_gt_u32_e64 s[0:1], s13, v0
	s_and_saveexec_b64 s[4:5], s[0:1]
	s_cbranch_execz .LBB1865_258
; %bb.290:                              ;   in Loop: Header=BB1865_259 Depth=1
	v_add_u32_e32 v0, s17, v9
	ds_write_b32 v0, v61
	s_branch .LBB1865_258
.LBB1865_291:
	s_add_u32 s0, s56, s10
	s_addc_u32 s1, s57, s11
	v_mov_b32_e32 v5, 0
	v_lshl_add_u64 v[0:1], s[0:1], 0, v[4:5]
	v_mov_b32_e32 v7, v5
	v_lshl_add_u64 v[44:45], v[0:1], 0, v[6:7]
	global_load_dword v0, v[44:45], off
	global_load_dword v1, v[44:45], off offset:256
	global_load_dword v3, v[44:45], off offset:512
	;; [unrolled: 1-line block ×14, first 2 shown]
	s_nop 0
	global_load_dword v44, v[44:45], off offset:3840
	s_mov_b32 s6, 0
	s_mov_b32 s7, 0
	s_movk_i32 s8, 0x1000
	s_movk_i32 s9, 0x400
	;; [unrolled: 1-line block ×4, first 2 shown]
	s_mov_b32 s12, 0
	s_branch .LBB1865_293
.LBB1865_292:                           ;   in Loop: Header=BB1865_293 Depth=1
	s_or_b64 exec, exec, s[4:5]
	s_waitcnt lgkmcnt(0)
	s_barrier
	scratch_load_dwordx4 v[56:59], off, s6
	ds_read2st64_b32 v[60:61], v25 offset0:4 offset1:20
	ds_read2st64_b32 v[62:63], v25 offset0:36 offset1:52
	s_addk_i32 s12, 0xc000
	s_addk_i32 s7, 0xf000
	s_add_i32 s6, s6, 16
	s_cmp_eq_u32 s12, 0xffff0000
	s_waitcnt vmcnt(0)
	v_lshlrev_b32_e32 v4, 2, v56
	ds_read_b32 v4, v4
	v_lshlrev_b32_e32 v45, 2, v57
	v_lshlrev_b32_e32 v55, 2, v58
	;; [unrolled: 1-line block ×3, first 2 shown]
	ds_read_b32 v45, v45
	ds_read_b32 v55, v55
	;; [unrolled: 1-line block ×3, first 2 shown]
	s_waitcnt lgkmcnt(3)
	v_add_u32_e32 v4, v2, v4
	v_lshl_add_u64 v[56:57], v[4:5], 2, s[58:59]
	s_waitcnt lgkmcnt(2)
	v_add3_u32 v4, v2, v45, s9
	global_store_dword v[56:57], v60, off
	v_lshl_add_u64 v[56:57], v[4:5], 2, s[58:59]
	s_waitcnt lgkmcnt(1)
	v_add3_u32 v4, v2, v55, s10
	global_store_dword v[56:57], v61, off
	;; [unrolled: 4-line block ×3, first 2 shown]
	v_lshl_add_u64 v[56:57], v[4:5], 2, s[58:59]
	v_add_u32_e32 v2, 0x1000, v2
	global_store_dword v[56:57], v63, off
	s_barrier
	s_cbranch_scc1 .LBB1865_325
.LBB1865_293:                           ; =>This Inner Loop Header: Depth=1
	v_add_u32_e32 v4, s7, v8
	v_cmp_gt_u32_e64 s[0:1], s8, v4
	s_and_saveexec_b64 s[4:5], s[0:1]
	s_cbranch_execz .LBB1865_295
; %bb.294:                              ;   in Loop: Header=BB1865_293 Depth=1
	v_add_u32_e32 v4, s12, v16
	s_waitcnt vmcnt(15)
	ds_write_b32 v4, v0
.LBB1865_295:                           ;   in Loop: Header=BB1865_293 Depth=1
	s_or_b64 exec, exec, s[4:5]
	v_add_u32_e32 v4, s7, v13
	v_cmp_gt_u32_e64 s[0:1], s8, v4
	s_and_saveexec_b64 s[4:5], s[0:1]
	s_cbranch_execz .LBB1865_297
; %bb.296:                              ;   in Loop: Header=BB1865_293 Depth=1
	v_add_u32_e32 v4, s12, v20
	s_waitcnt vmcnt(14)
	ds_write_b32 v4, v1
.LBB1865_297:                           ;   in Loop: Header=BB1865_293 Depth=1
	s_or_b64 exec, exec, s[4:5]
	;; [unrolled: 10-line block ×15, first 2 shown]
	v_add_u32_e32 v4, s7, v10
	v_cmp_gt_u32_e64 s[0:1], s8, v4
	s_and_saveexec_b64 s[4:5], s[0:1]
	s_cbranch_execz .LBB1865_292
; %bb.324:                              ;   in Loop: Header=BB1865_293 Depth=1
	v_add_u32_e32 v4, s12, v9
	s_waitcnt vmcnt(0)
	ds_write_b32 v4, v44
	s_branch .LBB1865_292
.LBB1865_325:
	s_add_i32 s3, s3, -1
	s_cmp_eq_u32 s2, s3
	s_cselect_b64 s[0:1], -1, 0
	s_xor_b64 s[2:3], vcc, -1
	s_and_b64 s[0:1], s[2:3], s[0:1]
	s_and_saveexec_b64 s[2:3], s[0:1]
	s_cbranch_execz .LBB1865_327
; %bb.326:
	ds_read_b32 v0, v25
	s_waitcnt lgkmcnt(0)
	v_add3_u32 v0, v18, v21, v0
	global_store_dword v25, v0, s[62:63]
.LBB1865_327:
	s_endpgm
	.section	.rodata,"a",@progbits
	.p2align	6, 0x0
	.amdhsa_kernel _ZN7rocprim17ROCPRIM_400000_NS6detail17trampoline_kernelINS0_14default_configENS1_35radix_sort_onesweep_config_selectorIiiEEZZNS1_29radix_sort_onesweep_iterationIS3_Lb1EN6thrust23THRUST_200600_302600_NS6detail15normal_iteratorINS8_10device_ptrIiEEEESD_SD_SD_jNS0_19identity_decomposerENS1_16block_id_wrapperIjLb0EEEEE10hipError_tT1_PNSt15iterator_traitsISI_E10value_typeET2_T3_PNSJ_ISO_E10value_typeET4_T5_PST_SU_PNS1_23onesweep_lookback_stateEbbT6_jjT7_P12ihipStream_tbENKUlT_T0_SI_SN_E_clISD_SD_SD_SD_EEDaS11_S12_SI_SN_EUlS11_E_NS1_11comp_targetILNS1_3genE6ELNS1_11target_archE950ELNS1_3gpuE13ELNS1_3repE0EEENS1_47radix_sort_onesweep_sort_config_static_selectorELNS0_4arch9wavefront6targetE1EEEvSI_
		.amdhsa_group_segment_fixed_size 20552
		.amdhsa_private_segment_fixed_size 80
		.amdhsa_kernarg_size 344
		.amdhsa_user_sgpr_count 2
		.amdhsa_user_sgpr_dispatch_ptr 0
		.amdhsa_user_sgpr_queue_ptr 0
		.amdhsa_user_sgpr_kernarg_segment_ptr 1
		.amdhsa_user_sgpr_dispatch_id 0
		.amdhsa_user_sgpr_kernarg_preload_length 0
		.amdhsa_user_sgpr_kernarg_preload_offset 0
		.amdhsa_user_sgpr_private_segment_size 0
		.amdhsa_uses_dynamic_stack 0
		.amdhsa_enable_private_segment 1
		.amdhsa_system_sgpr_workgroup_id_x 1
		.amdhsa_system_sgpr_workgroup_id_y 0
		.amdhsa_system_sgpr_workgroup_id_z 0
		.amdhsa_system_sgpr_workgroup_info 0
		.amdhsa_system_vgpr_workitem_id 2
		.amdhsa_next_free_vgpr 88
		.amdhsa_next_free_sgpr 70
		.amdhsa_accum_offset 88
		.amdhsa_reserve_vcc 1
		.amdhsa_float_round_mode_32 0
		.amdhsa_float_round_mode_16_64 0
		.amdhsa_float_denorm_mode_32 3
		.amdhsa_float_denorm_mode_16_64 3
		.amdhsa_dx10_clamp 1
		.amdhsa_ieee_mode 1
		.amdhsa_fp16_overflow 0
		.amdhsa_tg_split 0
		.amdhsa_exception_fp_ieee_invalid_op 0
		.amdhsa_exception_fp_denorm_src 0
		.amdhsa_exception_fp_ieee_div_zero 0
		.amdhsa_exception_fp_ieee_overflow 0
		.amdhsa_exception_fp_ieee_underflow 0
		.amdhsa_exception_fp_ieee_inexact 0
		.amdhsa_exception_int_div_zero 0
	.end_amdhsa_kernel
	.section	.text._ZN7rocprim17ROCPRIM_400000_NS6detail17trampoline_kernelINS0_14default_configENS1_35radix_sort_onesweep_config_selectorIiiEEZZNS1_29radix_sort_onesweep_iterationIS3_Lb1EN6thrust23THRUST_200600_302600_NS6detail15normal_iteratorINS8_10device_ptrIiEEEESD_SD_SD_jNS0_19identity_decomposerENS1_16block_id_wrapperIjLb0EEEEE10hipError_tT1_PNSt15iterator_traitsISI_E10value_typeET2_T3_PNSJ_ISO_E10value_typeET4_T5_PST_SU_PNS1_23onesweep_lookback_stateEbbT6_jjT7_P12ihipStream_tbENKUlT_T0_SI_SN_E_clISD_SD_SD_SD_EEDaS11_S12_SI_SN_EUlS11_E_NS1_11comp_targetILNS1_3genE6ELNS1_11target_archE950ELNS1_3gpuE13ELNS1_3repE0EEENS1_47radix_sort_onesweep_sort_config_static_selectorELNS0_4arch9wavefront6targetE1EEEvSI_,"axG",@progbits,_ZN7rocprim17ROCPRIM_400000_NS6detail17trampoline_kernelINS0_14default_configENS1_35radix_sort_onesweep_config_selectorIiiEEZZNS1_29radix_sort_onesweep_iterationIS3_Lb1EN6thrust23THRUST_200600_302600_NS6detail15normal_iteratorINS8_10device_ptrIiEEEESD_SD_SD_jNS0_19identity_decomposerENS1_16block_id_wrapperIjLb0EEEEE10hipError_tT1_PNSt15iterator_traitsISI_E10value_typeET2_T3_PNSJ_ISO_E10value_typeET4_T5_PST_SU_PNS1_23onesweep_lookback_stateEbbT6_jjT7_P12ihipStream_tbENKUlT_T0_SI_SN_E_clISD_SD_SD_SD_EEDaS11_S12_SI_SN_EUlS11_E_NS1_11comp_targetILNS1_3genE6ELNS1_11target_archE950ELNS1_3gpuE13ELNS1_3repE0EEENS1_47radix_sort_onesweep_sort_config_static_selectorELNS0_4arch9wavefront6targetE1EEEvSI_,comdat
.Lfunc_end1865:
	.size	_ZN7rocprim17ROCPRIM_400000_NS6detail17trampoline_kernelINS0_14default_configENS1_35radix_sort_onesweep_config_selectorIiiEEZZNS1_29radix_sort_onesweep_iterationIS3_Lb1EN6thrust23THRUST_200600_302600_NS6detail15normal_iteratorINS8_10device_ptrIiEEEESD_SD_SD_jNS0_19identity_decomposerENS1_16block_id_wrapperIjLb0EEEEE10hipError_tT1_PNSt15iterator_traitsISI_E10value_typeET2_T3_PNSJ_ISO_E10value_typeET4_T5_PST_SU_PNS1_23onesweep_lookback_stateEbbT6_jjT7_P12ihipStream_tbENKUlT_T0_SI_SN_E_clISD_SD_SD_SD_EEDaS11_S12_SI_SN_EUlS11_E_NS1_11comp_targetILNS1_3genE6ELNS1_11target_archE950ELNS1_3gpuE13ELNS1_3repE0EEENS1_47radix_sort_onesweep_sort_config_static_selectorELNS0_4arch9wavefront6targetE1EEEvSI_, .Lfunc_end1865-_ZN7rocprim17ROCPRIM_400000_NS6detail17trampoline_kernelINS0_14default_configENS1_35radix_sort_onesweep_config_selectorIiiEEZZNS1_29radix_sort_onesweep_iterationIS3_Lb1EN6thrust23THRUST_200600_302600_NS6detail15normal_iteratorINS8_10device_ptrIiEEEESD_SD_SD_jNS0_19identity_decomposerENS1_16block_id_wrapperIjLb0EEEEE10hipError_tT1_PNSt15iterator_traitsISI_E10value_typeET2_T3_PNSJ_ISO_E10value_typeET4_T5_PST_SU_PNS1_23onesweep_lookback_stateEbbT6_jjT7_P12ihipStream_tbENKUlT_T0_SI_SN_E_clISD_SD_SD_SD_EEDaS11_S12_SI_SN_EUlS11_E_NS1_11comp_targetILNS1_3genE6ELNS1_11target_archE950ELNS1_3gpuE13ELNS1_3repE0EEENS1_47radix_sort_onesweep_sort_config_static_selectorELNS0_4arch9wavefront6targetE1EEEvSI_
                                        ; -- End function
	.set _ZN7rocprim17ROCPRIM_400000_NS6detail17trampoline_kernelINS0_14default_configENS1_35radix_sort_onesweep_config_selectorIiiEEZZNS1_29radix_sort_onesweep_iterationIS3_Lb1EN6thrust23THRUST_200600_302600_NS6detail15normal_iteratorINS8_10device_ptrIiEEEESD_SD_SD_jNS0_19identity_decomposerENS1_16block_id_wrapperIjLb0EEEEE10hipError_tT1_PNSt15iterator_traitsISI_E10value_typeET2_T3_PNSJ_ISO_E10value_typeET4_T5_PST_SU_PNS1_23onesweep_lookback_stateEbbT6_jjT7_P12ihipStream_tbENKUlT_T0_SI_SN_E_clISD_SD_SD_SD_EEDaS11_S12_SI_SN_EUlS11_E_NS1_11comp_targetILNS1_3genE6ELNS1_11target_archE950ELNS1_3gpuE13ELNS1_3repE0EEENS1_47radix_sort_onesweep_sort_config_static_selectorELNS0_4arch9wavefront6targetE1EEEvSI_.num_vgpr, 88
	.set _ZN7rocprim17ROCPRIM_400000_NS6detail17trampoline_kernelINS0_14default_configENS1_35radix_sort_onesweep_config_selectorIiiEEZZNS1_29radix_sort_onesweep_iterationIS3_Lb1EN6thrust23THRUST_200600_302600_NS6detail15normal_iteratorINS8_10device_ptrIiEEEESD_SD_SD_jNS0_19identity_decomposerENS1_16block_id_wrapperIjLb0EEEEE10hipError_tT1_PNSt15iterator_traitsISI_E10value_typeET2_T3_PNSJ_ISO_E10value_typeET4_T5_PST_SU_PNS1_23onesweep_lookback_stateEbbT6_jjT7_P12ihipStream_tbENKUlT_T0_SI_SN_E_clISD_SD_SD_SD_EEDaS11_S12_SI_SN_EUlS11_E_NS1_11comp_targetILNS1_3genE6ELNS1_11target_archE950ELNS1_3gpuE13ELNS1_3repE0EEENS1_47radix_sort_onesweep_sort_config_static_selectorELNS0_4arch9wavefront6targetE1EEEvSI_.num_agpr, 0
	.set _ZN7rocprim17ROCPRIM_400000_NS6detail17trampoline_kernelINS0_14default_configENS1_35radix_sort_onesweep_config_selectorIiiEEZZNS1_29radix_sort_onesweep_iterationIS3_Lb1EN6thrust23THRUST_200600_302600_NS6detail15normal_iteratorINS8_10device_ptrIiEEEESD_SD_SD_jNS0_19identity_decomposerENS1_16block_id_wrapperIjLb0EEEEE10hipError_tT1_PNSt15iterator_traitsISI_E10value_typeET2_T3_PNSJ_ISO_E10value_typeET4_T5_PST_SU_PNS1_23onesweep_lookback_stateEbbT6_jjT7_P12ihipStream_tbENKUlT_T0_SI_SN_E_clISD_SD_SD_SD_EEDaS11_S12_SI_SN_EUlS11_E_NS1_11comp_targetILNS1_3genE6ELNS1_11target_archE950ELNS1_3gpuE13ELNS1_3repE0EEENS1_47radix_sort_onesweep_sort_config_static_selectorELNS0_4arch9wavefront6targetE1EEEvSI_.numbered_sgpr, 70
	.set _ZN7rocprim17ROCPRIM_400000_NS6detail17trampoline_kernelINS0_14default_configENS1_35radix_sort_onesweep_config_selectorIiiEEZZNS1_29radix_sort_onesweep_iterationIS3_Lb1EN6thrust23THRUST_200600_302600_NS6detail15normal_iteratorINS8_10device_ptrIiEEEESD_SD_SD_jNS0_19identity_decomposerENS1_16block_id_wrapperIjLb0EEEEE10hipError_tT1_PNSt15iterator_traitsISI_E10value_typeET2_T3_PNSJ_ISO_E10value_typeET4_T5_PST_SU_PNS1_23onesweep_lookback_stateEbbT6_jjT7_P12ihipStream_tbENKUlT_T0_SI_SN_E_clISD_SD_SD_SD_EEDaS11_S12_SI_SN_EUlS11_E_NS1_11comp_targetILNS1_3genE6ELNS1_11target_archE950ELNS1_3gpuE13ELNS1_3repE0EEENS1_47radix_sort_onesweep_sort_config_static_selectorELNS0_4arch9wavefront6targetE1EEEvSI_.num_named_barrier, 0
	.set _ZN7rocprim17ROCPRIM_400000_NS6detail17trampoline_kernelINS0_14default_configENS1_35radix_sort_onesweep_config_selectorIiiEEZZNS1_29radix_sort_onesweep_iterationIS3_Lb1EN6thrust23THRUST_200600_302600_NS6detail15normal_iteratorINS8_10device_ptrIiEEEESD_SD_SD_jNS0_19identity_decomposerENS1_16block_id_wrapperIjLb0EEEEE10hipError_tT1_PNSt15iterator_traitsISI_E10value_typeET2_T3_PNSJ_ISO_E10value_typeET4_T5_PST_SU_PNS1_23onesweep_lookback_stateEbbT6_jjT7_P12ihipStream_tbENKUlT_T0_SI_SN_E_clISD_SD_SD_SD_EEDaS11_S12_SI_SN_EUlS11_E_NS1_11comp_targetILNS1_3genE6ELNS1_11target_archE950ELNS1_3gpuE13ELNS1_3repE0EEENS1_47radix_sort_onesweep_sort_config_static_selectorELNS0_4arch9wavefront6targetE1EEEvSI_.private_seg_size, 80
	.set _ZN7rocprim17ROCPRIM_400000_NS6detail17trampoline_kernelINS0_14default_configENS1_35radix_sort_onesweep_config_selectorIiiEEZZNS1_29radix_sort_onesweep_iterationIS3_Lb1EN6thrust23THRUST_200600_302600_NS6detail15normal_iteratorINS8_10device_ptrIiEEEESD_SD_SD_jNS0_19identity_decomposerENS1_16block_id_wrapperIjLb0EEEEE10hipError_tT1_PNSt15iterator_traitsISI_E10value_typeET2_T3_PNSJ_ISO_E10value_typeET4_T5_PST_SU_PNS1_23onesweep_lookback_stateEbbT6_jjT7_P12ihipStream_tbENKUlT_T0_SI_SN_E_clISD_SD_SD_SD_EEDaS11_S12_SI_SN_EUlS11_E_NS1_11comp_targetILNS1_3genE6ELNS1_11target_archE950ELNS1_3gpuE13ELNS1_3repE0EEENS1_47radix_sort_onesweep_sort_config_static_selectorELNS0_4arch9wavefront6targetE1EEEvSI_.uses_vcc, 1
	.set _ZN7rocprim17ROCPRIM_400000_NS6detail17trampoline_kernelINS0_14default_configENS1_35radix_sort_onesweep_config_selectorIiiEEZZNS1_29radix_sort_onesweep_iterationIS3_Lb1EN6thrust23THRUST_200600_302600_NS6detail15normal_iteratorINS8_10device_ptrIiEEEESD_SD_SD_jNS0_19identity_decomposerENS1_16block_id_wrapperIjLb0EEEEE10hipError_tT1_PNSt15iterator_traitsISI_E10value_typeET2_T3_PNSJ_ISO_E10value_typeET4_T5_PST_SU_PNS1_23onesweep_lookback_stateEbbT6_jjT7_P12ihipStream_tbENKUlT_T0_SI_SN_E_clISD_SD_SD_SD_EEDaS11_S12_SI_SN_EUlS11_E_NS1_11comp_targetILNS1_3genE6ELNS1_11target_archE950ELNS1_3gpuE13ELNS1_3repE0EEENS1_47radix_sort_onesweep_sort_config_static_selectorELNS0_4arch9wavefront6targetE1EEEvSI_.uses_flat_scratch, 0
	.set _ZN7rocprim17ROCPRIM_400000_NS6detail17trampoline_kernelINS0_14default_configENS1_35radix_sort_onesweep_config_selectorIiiEEZZNS1_29radix_sort_onesweep_iterationIS3_Lb1EN6thrust23THRUST_200600_302600_NS6detail15normal_iteratorINS8_10device_ptrIiEEEESD_SD_SD_jNS0_19identity_decomposerENS1_16block_id_wrapperIjLb0EEEEE10hipError_tT1_PNSt15iterator_traitsISI_E10value_typeET2_T3_PNSJ_ISO_E10value_typeET4_T5_PST_SU_PNS1_23onesweep_lookback_stateEbbT6_jjT7_P12ihipStream_tbENKUlT_T0_SI_SN_E_clISD_SD_SD_SD_EEDaS11_S12_SI_SN_EUlS11_E_NS1_11comp_targetILNS1_3genE6ELNS1_11target_archE950ELNS1_3gpuE13ELNS1_3repE0EEENS1_47radix_sort_onesweep_sort_config_static_selectorELNS0_4arch9wavefront6targetE1EEEvSI_.has_dyn_sized_stack, 0
	.set _ZN7rocprim17ROCPRIM_400000_NS6detail17trampoline_kernelINS0_14default_configENS1_35radix_sort_onesweep_config_selectorIiiEEZZNS1_29radix_sort_onesweep_iterationIS3_Lb1EN6thrust23THRUST_200600_302600_NS6detail15normal_iteratorINS8_10device_ptrIiEEEESD_SD_SD_jNS0_19identity_decomposerENS1_16block_id_wrapperIjLb0EEEEE10hipError_tT1_PNSt15iterator_traitsISI_E10value_typeET2_T3_PNSJ_ISO_E10value_typeET4_T5_PST_SU_PNS1_23onesweep_lookback_stateEbbT6_jjT7_P12ihipStream_tbENKUlT_T0_SI_SN_E_clISD_SD_SD_SD_EEDaS11_S12_SI_SN_EUlS11_E_NS1_11comp_targetILNS1_3genE6ELNS1_11target_archE950ELNS1_3gpuE13ELNS1_3repE0EEENS1_47radix_sort_onesweep_sort_config_static_selectorELNS0_4arch9wavefront6targetE1EEEvSI_.has_recursion, 0
	.set _ZN7rocprim17ROCPRIM_400000_NS6detail17trampoline_kernelINS0_14default_configENS1_35radix_sort_onesweep_config_selectorIiiEEZZNS1_29radix_sort_onesweep_iterationIS3_Lb1EN6thrust23THRUST_200600_302600_NS6detail15normal_iteratorINS8_10device_ptrIiEEEESD_SD_SD_jNS0_19identity_decomposerENS1_16block_id_wrapperIjLb0EEEEE10hipError_tT1_PNSt15iterator_traitsISI_E10value_typeET2_T3_PNSJ_ISO_E10value_typeET4_T5_PST_SU_PNS1_23onesweep_lookback_stateEbbT6_jjT7_P12ihipStream_tbENKUlT_T0_SI_SN_E_clISD_SD_SD_SD_EEDaS11_S12_SI_SN_EUlS11_E_NS1_11comp_targetILNS1_3genE6ELNS1_11target_archE950ELNS1_3gpuE13ELNS1_3repE0EEENS1_47radix_sort_onesweep_sort_config_static_selectorELNS0_4arch9wavefront6targetE1EEEvSI_.has_indirect_call, 0
	.section	.AMDGPU.csdata,"",@progbits
; Kernel info:
; codeLenInByte = 22584
; TotalNumSgprs: 76
; NumVgprs: 88
; NumAgprs: 0
; TotalNumVgprs: 88
; ScratchSize: 80
; MemoryBound: 0
; FloatMode: 240
; IeeeMode: 1
; LDSByteSize: 20552 bytes/workgroup (compile time only)
; SGPRBlocks: 9
; VGPRBlocks: 10
; NumSGPRsForWavesPerEU: 76
; NumVGPRsForWavesPerEU: 88
; AccumOffset: 88
; Occupancy: 5
; WaveLimiterHint : 1
; COMPUTE_PGM_RSRC2:SCRATCH_EN: 1
; COMPUTE_PGM_RSRC2:USER_SGPR: 2
; COMPUTE_PGM_RSRC2:TRAP_HANDLER: 0
; COMPUTE_PGM_RSRC2:TGID_X_EN: 1
; COMPUTE_PGM_RSRC2:TGID_Y_EN: 0
; COMPUTE_PGM_RSRC2:TGID_Z_EN: 0
; COMPUTE_PGM_RSRC2:TIDIG_COMP_CNT: 2
; COMPUTE_PGM_RSRC3_GFX90A:ACCUM_OFFSET: 21
; COMPUTE_PGM_RSRC3_GFX90A:TG_SPLIT: 0
	.section	.text._ZN7rocprim17ROCPRIM_400000_NS6detail17trampoline_kernelINS0_14default_configENS1_35radix_sort_onesweep_config_selectorIiiEEZZNS1_29radix_sort_onesweep_iterationIS3_Lb1EN6thrust23THRUST_200600_302600_NS6detail15normal_iteratorINS8_10device_ptrIiEEEESD_SD_SD_jNS0_19identity_decomposerENS1_16block_id_wrapperIjLb0EEEEE10hipError_tT1_PNSt15iterator_traitsISI_E10value_typeET2_T3_PNSJ_ISO_E10value_typeET4_T5_PST_SU_PNS1_23onesweep_lookback_stateEbbT6_jjT7_P12ihipStream_tbENKUlT_T0_SI_SN_E_clISD_SD_SD_SD_EEDaS11_S12_SI_SN_EUlS11_E_NS1_11comp_targetILNS1_3genE5ELNS1_11target_archE942ELNS1_3gpuE9ELNS1_3repE0EEENS1_47radix_sort_onesweep_sort_config_static_selectorELNS0_4arch9wavefront6targetE1EEEvSI_,"axG",@progbits,_ZN7rocprim17ROCPRIM_400000_NS6detail17trampoline_kernelINS0_14default_configENS1_35radix_sort_onesweep_config_selectorIiiEEZZNS1_29radix_sort_onesweep_iterationIS3_Lb1EN6thrust23THRUST_200600_302600_NS6detail15normal_iteratorINS8_10device_ptrIiEEEESD_SD_SD_jNS0_19identity_decomposerENS1_16block_id_wrapperIjLb0EEEEE10hipError_tT1_PNSt15iterator_traitsISI_E10value_typeET2_T3_PNSJ_ISO_E10value_typeET4_T5_PST_SU_PNS1_23onesweep_lookback_stateEbbT6_jjT7_P12ihipStream_tbENKUlT_T0_SI_SN_E_clISD_SD_SD_SD_EEDaS11_S12_SI_SN_EUlS11_E_NS1_11comp_targetILNS1_3genE5ELNS1_11target_archE942ELNS1_3gpuE9ELNS1_3repE0EEENS1_47radix_sort_onesweep_sort_config_static_selectorELNS0_4arch9wavefront6targetE1EEEvSI_,comdat
	.protected	_ZN7rocprim17ROCPRIM_400000_NS6detail17trampoline_kernelINS0_14default_configENS1_35radix_sort_onesweep_config_selectorIiiEEZZNS1_29radix_sort_onesweep_iterationIS3_Lb1EN6thrust23THRUST_200600_302600_NS6detail15normal_iteratorINS8_10device_ptrIiEEEESD_SD_SD_jNS0_19identity_decomposerENS1_16block_id_wrapperIjLb0EEEEE10hipError_tT1_PNSt15iterator_traitsISI_E10value_typeET2_T3_PNSJ_ISO_E10value_typeET4_T5_PST_SU_PNS1_23onesweep_lookback_stateEbbT6_jjT7_P12ihipStream_tbENKUlT_T0_SI_SN_E_clISD_SD_SD_SD_EEDaS11_S12_SI_SN_EUlS11_E_NS1_11comp_targetILNS1_3genE5ELNS1_11target_archE942ELNS1_3gpuE9ELNS1_3repE0EEENS1_47radix_sort_onesweep_sort_config_static_selectorELNS0_4arch9wavefront6targetE1EEEvSI_ ; -- Begin function _ZN7rocprim17ROCPRIM_400000_NS6detail17trampoline_kernelINS0_14default_configENS1_35radix_sort_onesweep_config_selectorIiiEEZZNS1_29radix_sort_onesweep_iterationIS3_Lb1EN6thrust23THRUST_200600_302600_NS6detail15normal_iteratorINS8_10device_ptrIiEEEESD_SD_SD_jNS0_19identity_decomposerENS1_16block_id_wrapperIjLb0EEEEE10hipError_tT1_PNSt15iterator_traitsISI_E10value_typeET2_T3_PNSJ_ISO_E10value_typeET4_T5_PST_SU_PNS1_23onesweep_lookback_stateEbbT6_jjT7_P12ihipStream_tbENKUlT_T0_SI_SN_E_clISD_SD_SD_SD_EEDaS11_S12_SI_SN_EUlS11_E_NS1_11comp_targetILNS1_3genE5ELNS1_11target_archE942ELNS1_3gpuE9ELNS1_3repE0EEENS1_47radix_sort_onesweep_sort_config_static_selectorELNS0_4arch9wavefront6targetE1EEEvSI_
	.globl	_ZN7rocprim17ROCPRIM_400000_NS6detail17trampoline_kernelINS0_14default_configENS1_35radix_sort_onesweep_config_selectorIiiEEZZNS1_29radix_sort_onesweep_iterationIS3_Lb1EN6thrust23THRUST_200600_302600_NS6detail15normal_iteratorINS8_10device_ptrIiEEEESD_SD_SD_jNS0_19identity_decomposerENS1_16block_id_wrapperIjLb0EEEEE10hipError_tT1_PNSt15iterator_traitsISI_E10value_typeET2_T3_PNSJ_ISO_E10value_typeET4_T5_PST_SU_PNS1_23onesweep_lookback_stateEbbT6_jjT7_P12ihipStream_tbENKUlT_T0_SI_SN_E_clISD_SD_SD_SD_EEDaS11_S12_SI_SN_EUlS11_E_NS1_11comp_targetILNS1_3genE5ELNS1_11target_archE942ELNS1_3gpuE9ELNS1_3repE0EEENS1_47radix_sort_onesweep_sort_config_static_selectorELNS0_4arch9wavefront6targetE1EEEvSI_
	.p2align	8
	.type	_ZN7rocprim17ROCPRIM_400000_NS6detail17trampoline_kernelINS0_14default_configENS1_35radix_sort_onesweep_config_selectorIiiEEZZNS1_29radix_sort_onesweep_iterationIS3_Lb1EN6thrust23THRUST_200600_302600_NS6detail15normal_iteratorINS8_10device_ptrIiEEEESD_SD_SD_jNS0_19identity_decomposerENS1_16block_id_wrapperIjLb0EEEEE10hipError_tT1_PNSt15iterator_traitsISI_E10value_typeET2_T3_PNSJ_ISO_E10value_typeET4_T5_PST_SU_PNS1_23onesweep_lookback_stateEbbT6_jjT7_P12ihipStream_tbENKUlT_T0_SI_SN_E_clISD_SD_SD_SD_EEDaS11_S12_SI_SN_EUlS11_E_NS1_11comp_targetILNS1_3genE5ELNS1_11target_archE942ELNS1_3gpuE9ELNS1_3repE0EEENS1_47radix_sort_onesweep_sort_config_static_selectorELNS0_4arch9wavefront6targetE1EEEvSI_,@function
_ZN7rocprim17ROCPRIM_400000_NS6detail17trampoline_kernelINS0_14default_configENS1_35radix_sort_onesweep_config_selectorIiiEEZZNS1_29radix_sort_onesweep_iterationIS3_Lb1EN6thrust23THRUST_200600_302600_NS6detail15normal_iteratorINS8_10device_ptrIiEEEESD_SD_SD_jNS0_19identity_decomposerENS1_16block_id_wrapperIjLb0EEEEE10hipError_tT1_PNSt15iterator_traitsISI_E10value_typeET2_T3_PNSJ_ISO_E10value_typeET4_T5_PST_SU_PNS1_23onesweep_lookback_stateEbbT6_jjT7_P12ihipStream_tbENKUlT_T0_SI_SN_E_clISD_SD_SD_SD_EEDaS11_S12_SI_SN_EUlS11_E_NS1_11comp_targetILNS1_3genE5ELNS1_11target_archE942ELNS1_3gpuE9ELNS1_3repE0EEENS1_47radix_sort_onesweep_sort_config_static_selectorELNS0_4arch9wavefront6targetE1EEEvSI_: ; @_ZN7rocprim17ROCPRIM_400000_NS6detail17trampoline_kernelINS0_14default_configENS1_35radix_sort_onesweep_config_selectorIiiEEZZNS1_29radix_sort_onesweep_iterationIS3_Lb1EN6thrust23THRUST_200600_302600_NS6detail15normal_iteratorINS8_10device_ptrIiEEEESD_SD_SD_jNS0_19identity_decomposerENS1_16block_id_wrapperIjLb0EEEEE10hipError_tT1_PNSt15iterator_traitsISI_E10value_typeET2_T3_PNSJ_ISO_E10value_typeET4_T5_PST_SU_PNS1_23onesweep_lookback_stateEbbT6_jjT7_P12ihipStream_tbENKUlT_T0_SI_SN_E_clISD_SD_SD_SD_EEDaS11_S12_SI_SN_EUlS11_E_NS1_11comp_targetILNS1_3genE5ELNS1_11target_archE942ELNS1_3gpuE9ELNS1_3repE0EEENS1_47radix_sort_onesweep_sort_config_static_selectorELNS0_4arch9wavefront6targetE1EEEvSI_
; %bb.0:
	.section	.rodata,"a",@progbits
	.p2align	6, 0x0
	.amdhsa_kernel _ZN7rocprim17ROCPRIM_400000_NS6detail17trampoline_kernelINS0_14default_configENS1_35radix_sort_onesweep_config_selectorIiiEEZZNS1_29radix_sort_onesweep_iterationIS3_Lb1EN6thrust23THRUST_200600_302600_NS6detail15normal_iteratorINS8_10device_ptrIiEEEESD_SD_SD_jNS0_19identity_decomposerENS1_16block_id_wrapperIjLb0EEEEE10hipError_tT1_PNSt15iterator_traitsISI_E10value_typeET2_T3_PNSJ_ISO_E10value_typeET4_T5_PST_SU_PNS1_23onesweep_lookback_stateEbbT6_jjT7_P12ihipStream_tbENKUlT_T0_SI_SN_E_clISD_SD_SD_SD_EEDaS11_S12_SI_SN_EUlS11_E_NS1_11comp_targetILNS1_3genE5ELNS1_11target_archE942ELNS1_3gpuE9ELNS1_3repE0EEENS1_47radix_sort_onesweep_sort_config_static_selectorELNS0_4arch9wavefront6targetE1EEEvSI_
		.amdhsa_group_segment_fixed_size 0
		.amdhsa_private_segment_fixed_size 0
		.amdhsa_kernarg_size 88
		.amdhsa_user_sgpr_count 2
		.amdhsa_user_sgpr_dispatch_ptr 0
		.amdhsa_user_sgpr_queue_ptr 0
		.amdhsa_user_sgpr_kernarg_segment_ptr 1
		.amdhsa_user_sgpr_dispatch_id 0
		.amdhsa_user_sgpr_kernarg_preload_length 0
		.amdhsa_user_sgpr_kernarg_preload_offset 0
		.amdhsa_user_sgpr_private_segment_size 0
		.amdhsa_uses_dynamic_stack 0
		.amdhsa_enable_private_segment 0
		.amdhsa_system_sgpr_workgroup_id_x 1
		.amdhsa_system_sgpr_workgroup_id_y 0
		.amdhsa_system_sgpr_workgroup_id_z 0
		.amdhsa_system_sgpr_workgroup_info 0
		.amdhsa_system_vgpr_workitem_id 0
		.amdhsa_next_free_vgpr 1
		.amdhsa_next_free_sgpr 0
		.amdhsa_accum_offset 4
		.amdhsa_reserve_vcc 0
		.amdhsa_float_round_mode_32 0
		.amdhsa_float_round_mode_16_64 0
		.amdhsa_float_denorm_mode_32 3
		.amdhsa_float_denorm_mode_16_64 3
		.amdhsa_dx10_clamp 1
		.amdhsa_ieee_mode 1
		.amdhsa_fp16_overflow 0
		.amdhsa_tg_split 0
		.amdhsa_exception_fp_ieee_invalid_op 0
		.amdhsa_exception_fp_denorm_src 0
		.amdhsa_exception_fp_ieee_div_zero 0
		.amdhsa_exception_fp_ieee_overflow 0
		.amdhsa_exception_fp_ieee_underflow 0
		.amdhsa_exception_fp_ieee_inexact 0
		.amdhsa_exception_int_div_zero 0
	.end_amdhsa_kernel
	.section	.text._ZN7rocprim17ROCPRIM_400000_NS6detail17trampoline_kernelINS0_14default_configENS1_35radix_sort_onesweep_config_selectorIiiEEZZNS1_29radix_sort_onesweep_iterationIS3_Lb1EN6thrust23THRUST_200600_302600_NS6detail15normal_iteratorINS8_10device_ptrIiEEEESD_SD_SD_jNS0_19identity_decomposerENS1_16block_id_wrapperIjLb0EEEEE10hipError_tT1_PNSt15iterator_traitsISI_E10value_typeET2_T3_PNSJ_ISO_E10value_typeET4_T5_PST_SU_PNS1_23onesweep_lookback_stateEbbT6_jjT7_P12ihipStream_tbENKUlT_T0_SI_SN_E_clISD_SD_SD_SD_EEDaS11_S12_SI_SN_EUlS11_E_NS1_11comp_targetILNS1_3genE5ELNS1_11target_archE942ELNS1_3gpuE9ELNS1_3repE0EEENS1_47radix_sort_onesweep_sort_config_static_selectorELNS0_4arch9wavefront6targetE1EEEvSI_,"axG",@progbits,_ZN7rocprim17ROCPRIM_400000_NS6detail17trampoline_kernelINS0_14default_configENS1_35radix_sort_onesweep_config_selectorIiiEEZZNS1_29radix_sort_onesweep_iterationIS3_Lb1EN6thrust23THRUST_200600_302600_NS6detail15normal_iteratorINS8_10device_ptrIiEEEESD_SD_SD_jNS0_19identity_decomposerENS1_16block_id_wrapperIjLb0EEEEE10hipError_tT1_PNSt15iterator_traitsISI_E10value_typeET2_T3_PNSJ_ISO_E10value_typeET4_T5_PST_SU_PNS1_23onesweep_lookback_stateEbbT6_jjT7_P12ihipStream_tbENKUlT_T0_SI_SN_E_clISD_SD_SD_SD_EEDaS11_S12_SI_SN_EUlS11_E_NS1_11comp_targetILNS1_3genE5ELNS1_11target_archE942ELNS1_3gpuE9ELNS1_3repE0EEENS1_47radix_sort_onesweep_sort_config_static_selectorELNS0_4arch9wavefront6targetE1EEEvSI_,comdat
.Lfunc_end1866:
	.size	_ZN7rocprim17ROCPRIM_400000_NS6detail17trampoline_kernelINS0_14default_configENS1_35radix_sort_onesweep_config_selectorIiiEEZZNS1_29radix_sort_onesweep_iterationIS3_Lb1EN6thrust23THRUST_200600_302600_NS6detail15normal_iteratorINS8_10device_ptrIiEEEESD_SD_SD_jNS0_19identity_decomposerENS1_16block_id_wrapperIjLb0EEEEE10hipError_tT1_PNSt15iterator_traitsISI_E10value_typeET2_T3_PNSJ_ISO_E10value_typeET4_T5_PST_SU_PNS1_23onesweep_lookback_stateEbbT6_jjT7_P12ihipStream_tbENKUlT_T0_SI_SN_E_clISD_SD_SD_SD_EEDaS11_S12_SI_SN_EUlS11_E_NS1_11comp_targetILNS1_3genE5ELNS1_11target_archE942ELNS1_3gpuE9ELNS1_3repE0EEENS1_47radix_sort_onesweep_sort_config_static_selectorELNS0_4arch9wavefront6targetE1EEEvSI_, .Lfunc_end1866-_ZN7rocprim17ROCPRIM_400000_NS6detail17trampoline_kernelINS0_14default_configENS1_35radix_sort_onesweep_config_selectorIiiEEZZNS1_29radix_sort_onesweep_iterationIS3_Lb1EN6thrust23THRUST_200600_302600_NS6detail15normal_iteratorINS8_10device_ptrIiEEEESD_SD_SD_jNS0_19identity_decomposerENS1_16block_id_wrapperIjLb0EEEEE10hipError_tT1_PNSt15iterator_traitsISI_E10value_typeET2_T3_PNSJ_ISO_E10value_typeET4_T5_PST_SU_PNS1_23onesweep_lookback_stateEbbT6_jjT7_P12ihipStream_tbENKUlT_T0_SI_SN_E_clISD_SD_SD_SD_EEDaS11_S12_SI_SN_EUlS11_E_NS1_11comp_targetILNS1_3genE5ELNS1_11target_archE942ELNS1_3gpuE9ELNS1_3repE0EEENS1_47radix_sort_onesweep_sort_config_static_selectorELNS0_4arch9wavefront6targetE1EEEvSI_
                                        ; -- End function
	.set _ZN7rocprim17ROCPRIM_400000_NS6detail17trampoline_kernelINS0_14default_configENS1_35radix_sort_onesweep_config_selectorIiiEEZZNS1_29radix_sort_onesweep_iterationIS3_Lb1EN6thrust23THRUST_200600_302600_NS6detail15normal_iteratorINS8_10device_ptrIiEEEESD_SD_SD_jNS0_19identity_decomposerENS1_16block_id_wrapperIjLb0EEEEE10hipError_tT1_PNSt15iterator_traitsISI_E10value_typeET2_T3_PNSJ_ISO_E10value_typeET4_T5_PST_SU_PNS1_23onesweep_lookback_stateEbbT6_jjT7_P12ihipStream_tbENKUlT_T0_SI_SN_E_clISD_SD_SD_SD_EEDaS11_S12_SI_SN_EUlS11_E_NS1_11comp_targetILNS1_3genE5ELNS1_11target_archE942ELNS1_3gpuE9ELNS1_3repE0EEENS1_47radix_sort_onesweep_sort_config_static_selectorELNS0_4arch9wavefront6targetE1EEEvSI_.num_vgpr, 0
	.set _ZN7rocprim17ROCPRIM_400000_NS6detail17trampoline_kernelINS0_14default_configENS1_35radix_sort_onesweep_config_selectorIiiEEZZNS1_29radix_sort_onesweep_iterationIS3_Lb1EN6thrust23THRUST_200600_302600_NS6detail15normal_iteratorINS8_10device_ptrIiEEEESD_SD_SD_jNS0_19identity_decomposerENS1_16block_id_wrapperIjLb0EEEEE10hipError_tT1_PNSt15iterator_traitsISI_E10value_typeET2_T3_PNSJ_ISO_E10value_typeET4_T5_PST_SU_PNS1_23onesweep_lookback_stateEbbT6_jjT7_P12ihipStream_tbENKUlT_T0_SI_SN_E_clISD_SD_SD_SD_EEDaS11_S12_SI_SN_EUlS11_E_NS1_11comp_targetILNS1_3genE5ELNS1_11target_archE942ELNS1_3gpuE9ELNS1_3repE0EEENS1_47radix_sort_onesweep_sort_config_static_selectorELNS0_4arch9wavefront6targetE1EEEvSI_.num_agpr, 0
	.set _ZN7rocprim17ROCPRIM_400000_NS6detail17trampoline_kernelINS0_14default_configENS1_35radix_sort_onesweep_config_selectorIiiEEZZNS1_29radix_sort_onesweep_iterationIS3_Lb1EN6thrust23THRUST_200600_302600_NS6detail15normal_iteratorINS8_10device_ptrIiEEEESD_SD_SD_jNS0_19identity_decomposerENS1_16block_id_wrapperIjLb0EEEEE10hipError_tT1_PNSt15iterator_traitsISI_E10value_typeET2_T3_PNSJ_ISO_E10value_typeET4_T5_PST_SU_PNS1_23onesweep_lookback_stateEbbT6_jjT7_P12ihipStream_tbENKUlT_T0_SI_SN_E_clISD_SD_SD_SD_EEDaS11_S12_SI_SN_EUlS11_E_NS1_11comp_targetILNS1_3genE5ELNS1_11target_archE942ELNS1_3gpuE9ELNS1_3repE0EEENS1_47radix_sort_onesweep_sort_config_static_selectorELNS0_4arch9wavefront6targetE1EEEvSI_.numbered_sgpr, 0
	.set _ZN7rocprim17ROCPRIM_400000_NS6detail17trampoline_kernelINS0_14default_configENS1_35radix_sort_onesweep_config_selectorIiiEEZZNS1_29radix_sort_onesweep_iterationIS3_Lb1EN6thrust23THRUST_200600_302600_NS6detail15normal_iteratorINS8_10device_ptrIiEEEESD_SD_SD_jNS0_19identity_decomposerENS1_16block_id_wrapperIjLb0EEEEE10hipError_tT1_PNSt15iterator_traitsISI_E10value_typeET2_T3_PNSJ_ISO_E10value_typeET4_T5_PST_SU_PNS1_23onesweep_lookback_stateEbbT6_jjT7_P12ihipStream_tbENKUlT_T0_SI_SN_E_clISD_SD_SD_SD_EEDaS11_S12_SI_SN_EUlS11_E_NS1_11comp_targetILNS1_3genE5ELNS1_11target_archE942ELNS1_3gpuE9ELNS1_3repE0EEENS1_47radix_sort_onesweep_sort_config_static_selectorELNS0_4arch9wavefront6targetE1EEEvSI_.num_named_barrier, 0
	.set _ZN7rocprim17ROCPRIM_400000_NS6detail17trampoline_kernelINS0_14default_configENS1_35radix_sort_onesweep_config_selectorIiiEEZZNS1_29radix_sort_onesweep_iterationIS3_Lb1EN6thrust23THRUST_200600_302600_NS6detail15normal_iteratorINS8_10device_ptrIiEEEESD_SD_SD_jNS0_19identity_decomposerENS1_16block_id_wrapperIjLb0EEEEE10hipError_tT1_PNSt15iterator_traitsISI_E10value_typeET2_T3_PNSJ_ISO_E10value_typeET4_T5_PST_SU_PNS1_23onesweep_lookback_stateEbbT6_jjT7_P12ihipStream_tbENKUlT_T0_SI_SN_E_clISD_SD_SD_SD_EEDaS11_S12_SI_SN_EUlS11_E_NS1_11comp_targetILNS1_3genE5ELNS1_11target_archE942ELNS1_3gpuE9ELNS1_3repE0EEENS1_47radix_sort_onesweep_sort_config_static_selectorELNS0_4arch9wavefront6targetE1EEEvSI_.private_seg_size, 0
	.set _ZN7rocprim17ROCPRIM_400000_NS6detail17trampoline_kernelINS0_14default_configENS1_35radix_sort_onesweep_config_selectorIiiEEZZNS1_29radix_sort_onesweep_iterationIS3_Lb1EN6thrust23THRUST_200600_302600_NS6detail15normal_iteratorINS8_10device_ptrIiEEEESD_SD_SD_jNS0_19identity_decomposerENS1_16block_id_wrapperIjLb0EEEEE10hipError_tT1_PNSt15iterator_traitsISI_E10value_typeET2_T3_PNSJ_ISO_E10value_typeET4_T5_PST_SU_PNS1_23onesweep_lookback_stateEbbT6_jjT7_P12ihipStream_tbENKUlT_T0_SI_SN_E_clISD_SD_SD_SD_EEDaS11_S12_SI_SN_EUlS11_E_NS1_11comp_targetILNS1_3genE5ELNS1_11target_archE942ELNS1_3gpuE9ELNS1_3repE0EEENS1_47radix_sort_onesweep_sort_config_static_selectorELNS0_4arch9wavefront6targetE1EEEvSI_.uses_vcc, 0
	.set _ZN7rocprim17ROCPRIM_400000_NS6detail17trampoline_kernelINS0_14default_configENS1_35radix_sort_onesweep_config_selectorIiiEEZZNS1_29radix_sort_onesweep_iterationIS3_Lb1EN6thrust23THRUST_200600_302600_NS6detail15normal_iteratorINS8_10device_ptrIiEEEESD_SD_SD_jNS0_19identity_decomposerENS1_16block_id_wrapperIjLb0EEEEE10hipError_tT1_PNSt15iterator_traitsISI_E10value_typeET2_T3_PNSJ_ISO_E10value_typeET4_T5_PST_SU_PNS1_23onesweep_lookback_stateEbbT6_jjT7_P12ihipStream_tbENKUlT_T0_SI_SN_E_clISD_SD_SD_SD_EEDaS11_S12_SI_SN_EUlS11_E_NS1_11comp_targetILNS1_3genE5ELNS1_11target_archE942ELNS1_3gpuE9ELNS1_3repE0EEENS1_47radix_sort_onesweep_sort_config_static_selectorELNS0_4arch9wavefront6targetE1EEEvSI_.uses_flat_scratch, 0
	.set _ZN7rocprim17ROCPRIM_400000_NS6detail17trampoline_kernelINS0_14default_configENS1_35radix_sort_onesweep_config_selectorIiiEEZZNS1_29radix_sort_onesweep_iterationIS3_Lb1EN6thrust23THRUST_200600_302600_NS6detail15normal_iteratorINS8_10device_ptrIiEEEESD_SD_SD_jNS0_19identity_decomposerENS1_16block_id_wrapperIjLb0EEEEE10hipError_tT1_PNSt15iterator_traitsISI_E10value_typeET2_T3_PNSJ_ISO_E10value_typeET4_T5_PST_SU_PNS1_23onesweep_lookback_stateEbbT6_jjT7_P12ihipStream_tbENKUlT_T0_SI_SN_E_clISD_SD_SD_SD_EEDaS11_S12_SI_SN_EUlS11_E_NS1_11comp_targetILNS1_3genE5ELNS1_11target_archE942ELNS1_3gpuE9ELNS1_3repE0EEENS1_47radix_sort_onesweep_sort_config_static_selectorELNS0_4arch9wavefront6targetE1EEEvSI_.has_dyn_sized_stack, 0
	.set _ZN7rocprim17ROCPRIM_400000_NS6detail17trampoline_kernelINS0_14default_configENS1_35radix_sort_onesweep_config_selectorIiiEEZZNS1_29radix_sort_onesweep_iterationIS3_Lb1EN6thrust23THRUST_200600_302600_NS6detail15normal_iteratorINS8_10device_ptrIiEEEESD_SD_SD_jNS0_19identity_decomposerENS1_16block_id_wrapperIjLb0EEEEE10hipError_tT1_PNSt15iterator_traitsISI_E10value_typeET2_T3_PNSJ_ISO_E10value_typeET4_T5_PST_SU_PNS1_23onesweep_lookback_stateEbbT6_jjT7_P12ihipStream_tbENKUlT_T0_SI_SN_E_clISD_SD_SD_SD_EEDaS11_S12_SI_SN_EUlS11_E_NS1_11comp_targetILNS1_3genE5ELNS1_11target_archE942ELNS1_3gpuE9ELNS1_3repE0EEENS1_47radix_sort_onesweep_sort_config_static_selectorELNS0_4arch9wavefront6targetE1EEEvSI_.has_recursion, 0
	.set _ZN7rocprim17ROCPRIM_400000_NS6detail17trampoline_kernelINS0_14default_configENS1_35radix_sort_onesweep_config_selectorIiiEEZZNS1_29radix_sort_onesweep_iterationIS3_Lb1EN6thrust23THRUST_200600_302600_NS6detail15normal_iteratorINS8_10device_ptrIiEEEESD_SD_SD_jNS0_19identity_decomposerENS1_16block_id_wrapperIjLb0EEEEE10hipError_tT1_PNSt15iterator_traitsISI_E10value_typeET2_T3_PNSJ_ISO_E10value_typeET4_T5_PST_SU_PNS1_23onesweep_lookback_stateEbbT6_jjT7_P12ihipStream_tbENKUlT_T0_SI_SN_E_clISD_SD_SD_SD_EEDaS11_S12_SI_SN_EUlS11_E_NS1_11comp_targetILNS1_3genE5ELNS1_11target_archE942ELNS1_3gpuE9ELNS1_3repE0EEENS1_47radix_sort_onesweep_sort_config_static_selectorELNS0_4arch9wavefront6targetE1EEEvSI_.has_indirect_call, 0
	.section	.AMDGPU.csdata,"",@progbits
; Kernel info:
; codeLenInByte = 0
; TotalNumSgprs: 6
; NumVgprs: 0
; NumAgprs: 0
; TotalNumVgprs: 0
; ScratchSize: 0
; MemoryBound: 0
; FloatMode: 240
; IeeeMode: 1
; LDSByteSize: 0 bytes/workgroup (compile time only)
; SGPRBlocks: 0
; VGPRBlocks: 0
; NumSGPRsForWavesPerEU: 6
; NumVGPRsForWavesPerEU: 1
; AccumOffset: 4
; Occupancy: 8
; WaveLimiterHint : 0
; COMPUTE_PGM_RSRC2:SCRATCH_EN: 0
; COMPUTE_PGM_RSRC2:USER_SGPR: 2
; COMPUTE_PGM_RSRC2:TRAP_HANDLER: 0
; COMPUTE_PGM_RSRC2:TGID_X_EN: 1
; COMPUTE_PGM_RSRC2:TGID_Y_EN: 0
; COMPUTE_PGM_RSRC2:TGID_Z_EN: 0
; COMPUTE_PGM_RSRC2:TIDIG_COMP_CNT: 0
; COMPUTE_PGM_RSRC3_GFX90A:ACCUM_OFFSET: 0
; COMPUTE_PGM_RSRC3_GFX90A:TG_SPLIT: 0
	.section	.text._ZN7rocprim17ROCPRIM_400000_NS6detail17trampoline_kernelINS0_14default_configENS1_35radix_sort_onesweep_config_selectorIiiEEZZNS1_29radix_sort_onesweep_iterationIS3_Lb1EN6thrust23THRUST_200600_302600_NS6detail15normal_iteratorINS8_10device_ptrIiEEEESD_SD_SD_jNS0_19identity_decomposerENS1_16block_id_wrapperIjLb0EEEEE10hipError_tT1_PNSt15iterator_traitsISI_E10value_typeET2_T3_PNSJ_ISO_E10value_typeET4_T5_PST_SU_PNS1_23onesweep_lookback_stateEbbT6_jjT7_P12ihipStream_tbENKUlT_T0_SI_SN_E_clISD_SD_SD_SD_EEDaS11_S12_SI_SN_EUlS11_E_NS1_11comp_targetILNS1_3genE2ELNS1_11target_archE906ELNS1_3gpuE6ELNS1_3repE0EEENS1_47radix_sort_onesweep_sort_config_static_selectorELNS0_4arch9wavefront6targetE1EEEvSI_,"axG",@progbits,_ZN7rocprim17ROCPRIM_400000_NS6detail17trampoline_kernelINS0_14default_configENS1_35radix_sort_onesweep_config_selectorIiiEEZZNS1_29radix_sort_onesweep_iterationIS3_Lb1EN6thrust23THRUST_200600_302600_NS6detail15normal_iteratorINS8_10device_ptrIiEEEESD_SD_SD_jNS0_19identity_decomposerENS1_16block_id_wrapperIjLb0EEEEE10hipError_tT1_PNSt15iterator_traitsISI_E10value_typeET2_T3_PNSJ_ISO_E10value_typeET4_T5_PST_SU_PNS1_23onesweep_lookback_stateEbbT6_jjT7_P12ihipStream_tbENKUlT_T0_SI_SN_E_clISD_SD_SD_SD_EEDaS11_S12_SI_SN_EUlS11_E_NS1_11comp_targetILNS1_3genE2ELNS1_11target_archE906ELNS1_3gpuE6ELNS1_3repE0EEENS1_47radix_sort_onesweep_sort_config_static_selectorELNS0_4arch9wavefront6targetE1EEEvSI_,comdat
	.protected	_ZN7rocprim17ROCPRIM_400000_NS6detail17trampoline_kernelINS0_14default_configENS1_35radix_sort_onesweep_config_selectorIiiEEZZNS1_29radix_sort_onesweep_iterationIS3_Lb1EN6thrust23THRUST_200600_302600_NS6detail15normal_iteratorINS8_10device_ptrIiEEEESD_SD_SD_jNS0_19identity_decomposerENS1_16block_id_wrapperIjLb0EEEEE10hipError_tT1_PNSt15iterator_traitsISI_E10value_typeET2_T3_PNSJ_ISO_E10value_typeET4_T5_PST_SU_PNS1_23onesweep_lookback_stateEbbT6_jjT7_P12ihipStream_tbENKUlT_T0_SI_SN_E_clISD_SD_SD_SD_EEDaS11_S12_SI_SN_EUlS11_E_NS1_11comp_targetILNS1_3genE2ELNS1_11target_archE906ELNS1_3gpuE6ELNS1_3repE0EEENS1_47radix_sort_onesweep_sort_config_static_selectorELNS0_4arch9wavefront6targetE1EEEvSI_ ; -- Begin function _ZN7rocprim17ROCPRIM_400000_NS6detail17trampoline_kernelINS0_14default_configENS1_35radix_sort_onesweep_config_selectorIiiEEZZNS1_29radix_sort_onesweep_iterationIS3_Lb1EN6thrust23THRUST_200600_302600_NS6detail15normal_iteratorINS8_10device_ptrIiEEEESD_SD_SD_jNS0_19identity_decomposerENS1_16block_id_wrapperIjLb0EEEEE10hipError_tT1_PNSt15iterator_traitsISI_E10value_typeET2_T3_PNSJ_ISO_E10value_typeET4_T5_PST_SU_PNS1_23onesweep_lookback_stateEbbT6_jjT7_P12ihipStream_tbENKUlT_T0_SI_SN_E_clISD_SD_SD_SD_EEDaS11_S12_SI_SN_EUlS11_E_NS1_11comp_targetILNS1_3genE2ELNS1_11target_archE906ELNS1_3gpuE6ELNS1_3repE0EEENS1_47radix_sort_onesweep_sort_config_static_selectorELNS0_4arch9wavefront6targetE1EEEvSI_
	.globl	_ZN7rocprim17ROCPRIM_400000_NS6detail17trampoline_kernelINS0_14default_configENS1_35radix_sort_onesweep_config_selectorIiiEEZZNS1_29radix_sort_onesweep_iterationIS3_Lb1EN6thrust23THRUST_200600_302600_NS6detail15normal_iteratorINS8_10device_ptrIiEEEESD_SD_SD_jNS0_19identity_decomposerENS1_16block_id_wrapperIjLb0EEEEE10hipError_tT1_PNSt15iterator_traitsISI_E10value_typeET2_T3_PNSJ_ISO_E10value_typeET4_T5_PST_SU_PNS1_23onesweep_lookback_stateEbbT6_jjT7_P12ihipStream_tbENKUlT_T0_SI_SN_E_clISD_SD_SD_SD_EEDaS11_S12_SI_SN_EUlS11_E_NS1_11comp_targetILNS1_3genE2ELNS1_11target_archE906ELNS1_3gpuE6ELNS1_3repE0EEENS1_47radix_sort_onesweep_sort_config_static_selectorELNS0_4arch9wavefront6targetE1EEEvSI_
	.p2align	8
	.type	_ZN7rocprim17ROCPRIM_400000_NS6detail17trampoline_kernelINS0_14default_configENS1_35radix_sort_onesweep_config_selectorIiiEEZZNS1_29radix_sort_onesweep_iterationIS3_Lb1EN6thrust23THRUST_200600_302600_NS6detail15normal_iteratorINS8_10device_ptrIiEEEESD_SD_SD_jNS0_19identity_decomposerENS1_16block_id_wrapperIjLb0EEEEE10hipError_tT1_PNSt15iterator_traitsISI_E10value_typeET2_T3_PNSJ_ISO_E10value_typeET4_T5_PST_SU_PNS1_23onesweep_lookback_stateEbbT6_jjT7_P12ihipStream_tbENKUlT_T0_SI_SN_E_clISD_SD_SD_SD_EEDaS11_S12_SI_SN_EUlS11_E_NS1_11comp_targetILNS1_3genE2ELNS1_11target_archE906ELNS1_3gpuE6ELNS1_3repE0EEENS1_47radix_sort_onesweep_sort_config_static_selectorELNS0_4arch9wavefront6targetE1EEEvSI_,@function
_ZN7rocprim17ROCPRIM_400000_NS6detail17trampoline_kernelINS0_14default_configENS1_35radix_sort_onesweep_config_selectorIiiEEZZNS1_29radix_sort_onesweep_iterationIS3_Lb1EN6thrust23THRUST_200600_302600_NS6detail15normal_iteratorINS8_10device_ptrIiEEEESD_SD_SD_jNS0_19identity_decomposerENS1_16block_id_wrapperIjLb0EEEEE10hipError_tT1_PNSt15iterator_traitsISI_E10value_typeET2_T3_PNSJ_ISO_E10value_typeET4_T5_PST_SU_PNS1_23onesweep_lookback_stateEbbT6_jjT7_P12ihipStream_tbENKUlT_T0_SI_SN_E_clISD_SD_SD_SD_EEDaS11_S12_SI_SN_EUlS11_E_NS1_11comp_targetILNS1_3genE2ELNS1_11target_archE906ELNS1_3gpuE6ELNS1_3repE0EEENS1_47radix_sort_onesweep_sort_config_static_selectorELNS0_4arch9wavefront6targetE1EEEvSI_: ; @_ZN7rocprim17ROCPRIM_400000_NS6detail17trampoline_kernelINS0_14default_configENS1_35radix_sort_onesweep_config_selectorIiiEEZZNS1_29radix_sort_onesweep_iterationIS3_Lb1EN6thrust23THRUST_200600_302600_NS6detail15normal_iteratorINS8_10device_ptrIiEEEESD_SD_SD_jNS0_19identity_decomposerENS1_16block_id_wrapperIjLb0EEEEE10hipError_tT1_PNSt15iterator_traitsISI_E10value_typeET2_T3_PNSJ_ISO_E10value_typeET4_T5_PST_SU_PNS1_23onesweep_lookback_stateEbbT6_jjT7_P12ihipStream_tbENKUlT_T0_SI_SN_E_clISD_SD_SD_SD_EEDaS11_S12_SI_SN_EUlS11_E_NS1_11comp_targetILNS1_3genE2ELNS1_11target_archE906ELNS1_3gpuE6ELNS1_3repE0EEENS1_47radix_sort_onesweep_sort_config_static_selectorELNS0_4arch9wavefront6targetE1EEEvSI_
; %bb.0:
	.section	.rodata,"a",@progbits
	.p2align	6, 0x0
	.amdhsa_kernel _ZN7rocprim17ROCPRIM_400000_NS6detail17trampoline_kernelINS0_14default_configENS1_35radix_sort_onesweep_config_selectorIiiEEZZNS1_29radix_sort_onesweep_iterationIS3_Lb1EN6thrust23THRUST_200600_302600_NS6detail15normal_iteratorINS8_10device_ptrIiEEEESD_SD_SD_jNS0_19identity_decomposerENS1_16block_id_wrapperIjLb0EEEEE10hipError_tT1_PNSt15iterator_traitsISI_E10value_typeET2_T3_PNSJ_ISO_E10value_typeET4_T5_PST_SU_PNS1_23onesweep_lookback_stateEbbT6_jjT7_P12ihipStream_tbENKUlT_T0_SI_SN_E_clISD_SD_SD_SD_EEDaS11_S12_SI_SN_EUlS11_E_NS1_11comp_targetILNS1_3genE2ELNS1_11target_archE906ELNS1_3gpuE6ELNS1_3repE0EEENS1_47radix_sort_onesweep_sort_config_static_selectorELNS0_4arch9wavefront6targetE1EEEvSI_
		.amdhsa_group_segment_fixed_size 0
		.amdhsa_private_segment_fixed_size 0
		.amdhsa_kernarg_size 88
		.amdhsa_user_sgpr_count 2
		.amdhsa_user_sgpr_dispatch_ptr 0
		.amdhsa_user_sgpr_queue_ptr 0
		.amdhsa_user_sgpr_kernarg_segment_ptr 1
		.amdhsa_user_sgpr_dispatch_id 0
		.amdhsa_user_sgpr_kernarg_preload_length 0
		.amdhsa_user_sgpr_kernarg_preload_offset 0
		.amdhsa_user_sgpr_private_segment_size 0
		.amdhsa_uses_dynamic_stack 0
		.amdhsa_enable_private_segment 0
		.amdhsa_system_sgpr_workgroup_id_x 1
		.amdhsa_system_sgpr_workgroup_id_y 0
		.amdhsa_system_sgpr_workgroup_id_z 0
		.amdhsa_system_sgpr_workgroup_info 0
		.amdhsa_system_vgpr_workitem_id 0
		.amdhsa_next_free_vgpr 1
		.amdhsa_next_free_sgpr 0
		.amdhsa_accum_offset 4
		.amdhsa_reserve_vcc 0
		.amdhsa_float_round_mode_32 0
		.amdhsa_float_round_mode_16_64 0
		.amdhsa_float_denorm_mode_32 3
		.amdhsa_float_denorm_mode_16_64 3
		.amdhsa_dx10_clamp 1
		.amdhsa_ieee_mode 1
		.amdhsa_fp16_overflow 0
		.amdhsa_tg_split 0
		.amdhsa_exception_fp_ieee_invalid_op 0
		.amdhsa_exception_fp_denorm_src 0
		.amdhsa_exception_fp_ieee_div_zero 0
		.amdhsa_exception_fp_ieee_overflow 0
		.amdhsa_exception_fp_ieee_underflow 0
		.amdhsa_exception_fp_ieee_inexact 0
		.amdhsa_exception_int_div_zero 0
	.end_amdhsa_kernel
	.section	.text._ZN7rocprim17ROCPRIM_400000_NS6detail17trampoline_kernelINS0_14default_configENS1_35radix_sort_onesweep_config_selectorIiiEEZZNS1_29radix_sort_onesweep_iterationIS3_Lb1EN6thrust23THRUST_200600_302600_NS6detail15normal_iteratorINS8_10device_ptrIiEEEESD_SD_SD_jNS0_19identity_decomposerENS1_16block_id_wrapperIjLb0EEEEE10hipError_tT1_PNSt15iterator_traitsISI_E10value_typeET2_T3_PNSJ_ISO_E10value_typeET4_T5_PST_SU_PNS1_23onesweep_lookback_stateEbbT6_jjT7_P12ihipStream_tbENKUlT_T0_SI_SN_E_clISD_SD_SD_SD_EEDaS11_S12_SI_SN_EUlS11_E_NS1_11comp_targetILNS1_3genE2ELNS1_11target_archE906ELNS1_3gpuE6ELNS1_3repE0EEENS1_47radix_sort_onesweep_sort_config_static_selectorELNS0_4arch9wavefront6targetE1EEEvSI_,"axG",@progbits,_ZN7rocprim17ROCPRIM_400000_NS6detail17trampoline_kernelINS0_14default_configENS1_35radix_sort_onesweep_config_selectorIiiEEZZNS1_29radix_sort_onesweep_iterationIS3_Lb1EN6thrust23THRUST_200600_302600_NS6detail15normal_iteratorINS8_10device_ptrIiEEEESD_SD_SD_jNS0_19identity_decomposerENS1_16block_id_wrapperIjLb0EEEEE10hipError_tT1_PNSt15iterator_traitsISI_E10value_typeET2_T3_PNSJ_ISO_E10value_typeET4_T5_PST_SU_PNS1_23onesweep_lookback_stateEbbT6_jjT7_P12ihipStream_tbENKUlT_T0_SI_SN_E_clISD_SD_SD_SD_EEDaS11_S12_SI_SN_EUlS11_E_NS1_11comp_targetILNS1_3genE2ELNS1_11target_archE906ELNS1_3gpuE6ELNS1_3repE0EEENS1_47radix_sort_onesweep_sort_config_static_selectorELNS0_4arch9wavefront6targetE1EEEvSI_,comdat
.Lfunc_end1867:
	.size	_ZN7rocprim17ROCPRIM_400000_NS6detail17trampoline_kernelINS0_14default_configENS1_35radix_sort_onesweep_config_selectorIiiEEZZNS1_29radix_sort_onesweep_iterationIS3_Lb1EN6thrust23THRUST_200600_302600_NS6detail15normal_iteratorINS8_10device_ptrIiEEEESD_SD_SD_jNS0_19identity_decomposerENS1_16block_id_wrapperIjLb0EEEEE10hipError_tT1_PNSt15iterator_traitsISI_E10value_typeET2_T3_PNSJ_ISO_E10value_typeET4_T5_PST_SU_PNS1_23onesweep_lookback_stateEbbT6_jjT7_P12ihipStream_tbENKUlT_T0_SI_SN_E_clISD_SD_SD_SD_EEDaS11_S12_SI_SN_EUlS11_E_NS1_11comp_targetILNS1_3genE2ELNS1_11target_archE906ELNS1_3gpuE6ELNS1_3repE0EEENS1_47radix_sort_onesweep_sort_config_static_selectorELNS0_4arch9wavefront6targetE1EEEvSI_, .Lfunc_end1867-_ZN7rocprim17ROCPRIM_400000_NS6detail17trampoline_kernelINS0_14default_configENS1_35radix_sort_onesweep_config_selectorIiiEEZZNS1_29radix_sort_onesweep_iterationIS3_Lb1EN6thrust23THRUST_200600_302600_NS6detail15normal_iteratorINS8_10device_ptrIiEEEESD_SD_SD_jNS0_19identity_decomposerENS1_16block_id_wrapperIjLb0EEEEE10hipError_tT1_PNSt15iterator_traitsISI_E10value_typeET2_T3_PNSJ_ISO_E10value_typeET4_T5_PST_SU_PNS1_23onesweep_lookback_stateEbbT6_jjT7_P12ihipStream_tbENKUlT_T0_SI_SN_E_clISD_SD_SD_SD_EEDaS11_S12_SI_SN_EUlS11_E_NS1_11comp_targetILNS1_3genE2ELNS1_11target_archE906ELNS1_3gpuE6ELNS1_3repE0EEENS1_47radix_sort_onesweep_sort_config_static_selectorELNS0_4arch9wavefront6targetE1EEEvSI_
                                        ; -- End function
	.set _ZN7rocprim17ROCPRIM_400000_NS6detail17trampoline_kernelINS0_14default_configENS1_35radix_sort_onesweep_config_selectorIiiEEZZNS1_29radix_sort_onesweep_iterationIS3_Lb1EN6thrust23THRUST_200600_302600_NS6detail15normal_iteratorINS8_10device_ptrIiEEEESD_SD_SD_jNS0_19identity_decomposerENS1_16block_id_wrapperIjLb0EEEEE10hipError_tT1_PNSt15iterator_traitsISI_E10value_typeET2_T3_PNSJ_ISO_E10value_typeET4_T5_PST_SU_PNS1_23onesweep_lookback_stateEbbT6_jjT7_P12ihipStream_tbENKUlT_T0_SI_SN_E_clISD_SD_SD_SD_EEDaS11_S12_SI_SN_EUlS11_E_NS1_11comp_targetILNS1_3genE2ELNS1_11target_archE906ELNS1_3gpuE6ELNS1_3repE0EEENS1_47radix_sort_onesweep_sort_config_static_selectorELNS0_4arch9wavefront6targetE1EEEvSI_.num_vgpr, 0
	.set _ZN7rocprim17ROCPRIM_400000_NS6detail17trampoline_kernelINS0_14default_configENS1_35radix_sort_onesweep_config_selectorIiiEEZZNS1_29radix_sort_onesweep_iterationIS3_Lb1EN6thrust23THRUST_200600_302600_NS6detail15normal_iteratorINS8_10device_ptrIiEEEESD_SD_SD_jNS0_19identity_decomposerENS1_16block_id_wrapperIjLb0EEEEE10hipError_tT1_PNSt15iterator_traitsISI_E10value_typeET2_T3_PNSJ_ISO_E10value_typeET4_T5_PST_SU_PNS1_23onesweep_lookback_stateEbbT6_jjT7_P12ihipStream_tbENKUlT_T0_SI_SN_E_clISD_SD_SD_SD_EEDaS11_S12_SI_SN_EUlS11_E_NS1_11comp_targetILNS1_3genE2ELNS1_11target_archE906ELNS1_3gpuE6ELNS1_3repE0EEENS1_47radix_sort_onesweep_sort_config_static_selectorELNS0_4arch9wavefront6targetE1EEEvSI_.num_agpr, 0
	.set _ZN7rocprim17ROCPRIM_400000_NS6detail17trampoline_kernelINS0_14default_configENS1_35radix_sort_onesweep_config_selectorIiiEEZZNS1_29radix_sort_onesweep_iterationIS3_Lb1EN6thrust23THRUST_200600_302600_NS6detail15normal_iteratorINS8_10device_ptrIiEEEESD_SD_SD_jNS0_19identity_decomposerENS1_16block_id_wrapperIjLb0EEEEE10hipError_tT1_PNSt15iterator_traitsISI_E10value_typeET2_T3_PNSJ_ISO_E10value_typeET4_T5_PST_SU_PNS1_23onesweep_lookback_stateEbbT6_jjT7_P12ihipStream_tbENKUlT_T0_SI_SN_E_clISD_SD_SD_SD_EEDaS11_S12_SI_SN_EUlS11_E_NS1_11comp_targetILNS1_3genE2ELNS1_11target_archE906ELNS1_3gpuE6ELNS1_3repE0EEENS1_47radix_sort_onesweep_sort_config_static_selectorELNS0_4arch9wavefront6targetE1EEEvSI_.numbered_sgpr, 0
	.set _ZN7rocprim17ROCPRIM_400000_NS6detail17trampoline_kernelINS0_14default_configENS1_35radix_sort_onesweep_config_selectorIiiEEZZNS1_29radix_sort_onesweep_iterationIS3_Lb1EN6thrust23THRUST_200600_302600_NS6detail15normal_iteratorINS8_10device_ptrIiEEEESD_SD_SD_jNS0_19identity_decomposerENS1_16block_id_wrapperIjLb0EEEEE10hipError_tT1_PNSt15iterator_traitsISI_E10value_typeET2_T3_PNSJ_ISO_E10value_typeET4_T5_PST_SU_PNS1_23onesweep_lookback_stateEbbT6_jjT7_P12ihipStream_tbENKUlT_T0_SI_SN_E_clISD_SD_SD_SD_EEDaS11_S12_SI_SN_EUlS11_E_NS1_11comp_targetILNS1_3genE2ELNS1_11target_archE906ELNS1_3gpuE6ELNS1_3repE0EEENS1_47radix_sort_onesweep_sort_config_static_selectorELNS0_4arch9wavefront6targetE1EEEvSI_.num_named_barrier, 0
	.set _ZN7rocprim17ROCPRIM_400000_NS6detail17trampoline_kernelINS0_14default_configENS1_35radix_sort_onesweep_config_selectorIiiEEZZNS1_29radix_sort_onesweep_iterationIS3_Lb1EN6thrust23THRUST_200600_302600_NS6detail15normal_iteratorINS8_10device_ptrIiEEEESD_SD_SD_jNS0_19identity_decomposerENS1_16block_id_wrapperIjLb0EEEEE10hipError_tT1_PNSt15iterator_traitsISI_E10value_typeET2_T3_PNSJ_ISO_E10value_typeET4_T5_PST_SU_PNS1_23onesweep_lookback_stateEbbT6_jjT7_P12ihipStream_tbENKUlT_T0_SI_SN_E_clISD_SD_SD_SD_EEDaS11_S12_SI_SN_EUlS11_E_NS1_11comp_targetILNS1_3genE2ELNS1_11target_archE906ELNS1_3gpuE6ELNS1_3repE0EEENS1_47radix_sort_onesweep_sort_config_static_selectorELNS0_4arch9wavefront6targetE1EEEvSI_.private_seg_size, 0
	.set _ZN7rocprim17ROCPRIM_400000_NS6detail17trampoline_kernelINS0_14default_configENS1_35radix_sort_onesweep_config_selectorIiiEEZZNS1_29radix_sort_onesweep_iterationIS3_Lb1EN6thrust23THRUST_200600_302600_NS6detail15normal_iteratorINS8_10device_ptrIiEEEESD_SD_SD_jNS0_19identity_decomposerENS1_16block_id_wrapperIjLb0EEEEE10hipError_tT1_PNSt15iterator_traitsISI_E10value_typeET2_T3_PNSJ_ISO_E10value_typeET4_T5_PST_SU_PNS1_23onesweep_lookback_stateEbbT6_jjT7_P12ihipStream_tbENKUlT_T0_SI_SN_E_clISD_SD_SD_SD_EEDaS11_S12_SI_SN_EUlS11_E_NS1_11comp_targetILNS1_3genE2ELNS1_11target_archE906ELNS1_3gpuE6ELNS1_3repE0EEENS1_47radix_sort_onesweep_sort_config_static_selectorELNS0_4arch9wavefront6targetE1EEEvSI_.uses_vcc, 0
	.set _ZN7rocprim17ROCPRIM_400000_NS6detail17trampoline_kernelINS0_14default_configENS1_35radix_sort_onesweep_config_selectorIiiEEZZNS1_29radix_sort_onesweep_iterationIS3_Lb1EN6thrust23THRUST_200600_302600_NS6detail15normal_iteratorINS8_10device_ptrIiEEEESD_SD_SD_jNS0_19identity_decomposerENS1_16block_id_wrapperIjLb0EEEEE10hipError_tT1_PNSt15iterator_traitsISI_E10value_typeET2_T3_PNSJ_ISO_E10value_typeET4_T5_PST_SU_PNS1_23onesweep_lookback_stateEbbT6_jjT7_P12ihipStream_tbENKUlT_T0_SI_SN_E_clISD_SD_SD_SD_EEDaS11_S12_SI_SN_EUlS11_E_NS1_11comp_targetILNS1_3genE2ELNS1_11target_archE906ELNS1_3gpuE6ELNS1_3repE0EEENS1_47radix_sort_onesweep_sort_config_static_selectorELNS0_4arch9wavefront6targetE1EEEvSI_.uses_flat_scratch, 0
	.set _ZN7rocprim17ROCPRIM_400000_NS6detail17trampoline_kernelINS0_14default_configENS1_35radix_sort_onesweep_config_selectorIiiEEZZNS1_29radix_sort_onesweep_iterationIS3_Lb1EN6thrust23THRUST_200600_302600_NS6detail15normal_iteratorINS8_10device_ptrIiEEEESD_SD_SD_jNS0_19identity_decomposerENS1_16block_id_wrapperIjLb0EEEEE10hipError_tT1_PNSt15iterator_traitsISI_E10value_typeET2_T3_PNSJ_ISO_E10value_typeET4_T5_PST_SU_PNS1_23onesweep_lookback_stateEbbT6_jjT7_P12ihipStream_tbENKUlT_T0_SI_SN_E_clISD_SD_SD_SD_EEDaS11_S12_SI_SN_EUlS11_E_NS1_11comp_targetILNS1_3genE2ELNS1_11target_archE906ELNS1_3gpuE6ELNS1_3repE0EEENS1_47radix_sort_onesweep_sort_config_static_selectorELNS0_4arch9wavefront6targetE1EEEvSI_.has_dyn_sized_stack, 0
	.set _ZN7rocprim17ROCPRIM_400000_NS6detail17trampoline_kernelINS0_14default_configENS1_35radix_sort_onesweep_config_selectorIiiEEZZNS1_29radix_sort_onesweep_iterationIS3_Lb1EN6thrust23THRUST_200600_302600_NS6detail15normal_iteratorINS8_10device_ptrIiEEEESD_SD_SD_jNS0_19identity_decomposerENS1_16block_id_wrapperIjLb0EEEEE10hipError_tT1_PNSt15iterator_traitsISI_E10value_typeET2_T3_PNSJ_ISO_E10value_typeET4_T5_PST_SU_PNS1_23onesweep_lookback_stateEbbT6_jjT7_P12ihipStream_tbENKUlT_T0_SI_SN_E_clISD_SD_SD_SD_EEDaS11_S12_SI_SN_EUlS11_E_NS1_11comp_targetILNS1_3genE2ELNS1_11target_archE906ELNS1_3gpuE6ELNS1_3repE0EEENS1_47radix_sort_onesweep_sort_config_static_selectorELNS0_4arch9wavefront6targetE1EEEvSI_.has_recursion, 0
	.set _ZN7rocprim17ROCPRIM_400000_NS6detail17trampoline_kernelINS0_14default_configENS1_35radix_sort_onesweep_config_selectorIiiEEZZNS1_29radix_sort_onesweep_iterationIS3_Lb1EN6thrust23THRUST_200600_302600_NS6detail15normal_iteratorINS8_10device_ptrIiEEEESD_SD_SD_jNS0_19identity_decomposerENS1_16block_id_wrapperIjLb0EEEEE10hipError_tT1_PNSt15iterator_traitsISI_E10value_typeET2_T3_PNSJ_ISO_E10value_typeET4_T5_PST_SU_PNS1_23onesweep_lookback_stateEbbT6_jjT7_P12ihipStream_tbENKUlT_T0_SI_SN_E_clISD_SD_SD_SD_EEDaS11_S12_SI_SN_EUlS11_E_NS1_11comp_targetILNS1_3genE2ELNS1_11target_archE906ELNS1_3gpuE6ELNS1_3repE0EEENS1_47radix_sort_onesweep_sort_config_static_selectorELNS0_4arch9wavefront6targetE1EEEvSI_.has_indirect_call, 0
	.section	.AMDGPU.csdata,"",@progbits
; Kernel info:
; codeLenInByte = 0
; TotalNumSgprs: 6
; NumVgprs: 0
; NumAgprs: 0
; TotalNumVgprs: 0
; ScratchSize: 0
; MemoryBound: 0
; FloatMode: 240
; IeeeMode: 1
; LDSByteSize: 0 bytes/workgroup (compile time only)
; SGPRBlocks: 0
; VGPRBlocks: 0
; NumSGPRsForWavesPerEU: 6
; NumVGPRsForWavesPerEU: 1
; AccumOffset: 4
; Occupancy: 8
; WaveLimiterHint : 0
; COMPUTE_PGM_RSRC2:SCRATCH_EN: 0
; COMPUTE_PGM_RSRC2:USER_SGPR: 2
; COMPUTE_PGM_RSRC2:TRAP_HANDLER: 0
; COMPUTE_PGM_RSRC2:TGID_X_EN: 1
; COMPUTE_PGM_RSRC2:TGID_Y_EN: 0
; COMPUTE_PGM_RSRC2:TGID_Z_EN: 0
; COMPUTE_PGM_RSRC2:TIDIG_COMP_CNT: 0
; COMPUTE_PGM_RSRC3_GFX90A:ACCUM_OFFSET: 0
; COMPUTE_PGM_RSRC3_GFX90A:TG_SPLIT: 0
	.section	.text._ZN7rocprim17ROCPRIM_400000_NS6detail17trampoline_kernelINS0_14default_configENS1_35radix_sort_onesweep_config_selectorIiiEEZZNS1_29radix_sort_onesweep_iterationIS3_Lb1EN6thrust23THRUST_200600_302600_NS6detail15normal_iteratorINS8_10device_ptrIiEEEESD_SD_SD_jNS0_19identity_decomposerENS1_16block_id_wrapperIjLb0EEEEE10hipError_tT1_PNSt15iterator_traitsISI_E10value_typeET2_T3_PNSJ_ISO_E10value_typeET4_T5_PST_SU_PNS1_23onesweep_lookback_stateEbbT6_jjT7_P12ihipStream_tbENKUlT_T0_SI_SN_E_clISD_SD_SD_SD_EEDaS11_S12_SI_SN_EUlS11_E_NS1_11comp_targetILNS1_3genE4ELNS1_11target_archE910ELNS1_3gpuE8ELNS1_3repE0EEENS1_47radix_sort_onesweep_sort_config_static_selectorELNS0_4arch9wavefront6targetE1EEEvSI_,"axG",@progbits,_ZN7rocprim17ROCPRIM_400000_NS6detail17trampoline_kernelINS0_14default_configENS1_35radix_sort_onesweep_config_selectorIiiEEZZNS1_29radix_sort_onesweep_iterationIS3_Lb1EN6thrust23THRUST_200600_302600_NS6detail15normal_iteratorINS8_10device_ptrIiEEEESD_SD_SD_jNS0_19identity_decomposerENS1_16block_id_wrapperIjLb0EEEEE10hipError_tT1_PNSt15iterator_traitsISI_E10value_typeET2_T3_PNSJ_ISO_E10value_typeET4_T5_PST_SU_PNS1_23onesweep_lookback_stateEbbT6_jjT7_P12ihipStream_tbENKUlT_T0_SI_SN_E_clISD_SD_SD_SD_EEDaS11_S12_SI_SN_EUlS11_E_NS1_11comp_targetILNS1_3genE4ELNS1_11target_archE910ELNS1_3gpuE8ELNS1_3repE0EEENS1_47radix_sort_onesweep_sort_config_static_selectorELNS0_4arch9wavefront6targetE1EEEvSI_,comdat
	.protected	_ZN7rocprim17ROCPRIM_400000_NS6detail17trampoline_kernelINS0_14default_configENS1_35radix_sort_onesweep_config_selectorIiiEEZZNS1_29radix_sort_onesweep_iterationIS3_Lb1EN6thrust23THRUST_200600_302600_NS6detail15normal_iteratorINS8_10device_ptrIiEEEESD_SD_SD_jNS0_19identity_decomposerENS1_16block_id_wrapperIjLb0EEEEE10hipError_tT1_PNSt15iterator_traitsISI_E10value_typeET2_T3_PNSJ_ISO_E10value_typeET4_T5_PST_SU_PNS1_23onesweep_lookback_stateEbbT6_jjT7_P12ihipStream_tbENKUlT_T0_SI_SN_E_clISD_SD_SD_SD_EEDaS11_S12_SI_SN_EUlS11_E_NS1_11comp_targetILNS1_3genE4ELNS1_11target_archE910ELNS1_3gpuE8ELNS1_3repE0EEENS1_47radix_sort_onesweep_sort_config_static_selectorELNS0_4arch9wavefront6targetE1EEEvSI_ ; -- Begin function _ZN7rocprim17ROCPRIM_400000_NS6detail17trampoline_kernelINS0_14default_configENS1_35radix_sort_onesweep_config_selectorIiiEEZZNS1_29radix_sort_onesweep_iterationIS3_Lb1EN6thrust23THRUST_200600_302600_NS6detail15normal_iteratorINS8_10device_ptrIiEEEESD_SD_SD_jNS0_19identity_decomposerENS1_16block_id_wrapperIjLb0EEEEE10hipError_tT1_PNSt15iterator_traitsISI_E10value_typeET2_T3_PNSJ_ISO_E10value_typeET4_T5_PST_SU_PNS1_23onesweep_lookback_stateEbbT6_jjT7_P12ihipStream_tbENKUlT_T0_SI_SN_E_clISD_SD_SD_SD_EEDaS11_S12_SI_SN_EUlS11_E_NS1_11comp_targetILNS1_3genE4ELNS1_11target_archE910ELNS1_3gpuE8ELNS1_3repE0EEENS1_47radix_sort_onesweep_sort_config_static_selectorELNS0_4arch9wavefront6targetE1EEEvSI_
	.globl	_ZN7rocprim17ROCPRIM_400000_NS6detail17trampoline_kernelINS0_14default_configENS1_35radix_sort_onesweep_config_selectorIiiEEZZNS1_29radix_sort_onesweep_iterationIS3_Lb1EN6thrust23THRUST_200600_302600_NS6detail15normal_iteratorINS8_10device_ptrIiEEEESD_SD_SD_jNS0_19identity_decomposerENS1_16block_id_wrapperIjLb0EEEEE10hipError_tT1_PNSt15iterator_traitsISI_E10value_typeET2_T3_PNSJ_ISO_E10value_typeET4_T5_PST_SU_PNS1_23onesweep_lookback_stateEbbT6_jjT7_P12ihipStream_tbENKUlT_T0_SI_SN_E_clISD_SD_SD_SD_EEDaS11_S12_SI_SN_EUlS11_E_NS1_11comp_targetILNS1_3genE4ELNS1_11target_archE910ELNS1_3gpuE8ELNS1_3repE0EEENS1_47radix_sort_onesweep_sort_config_static_selectorELNS0_4arch9wavefront6targetE1EEEvSI_
	.p2align	8
	.type	_ZN7rocprim17ROCPRIM_400000_NS6detail17trampoline_kernelINS0_14default_configENS1_35radix_sort_onesweep_config_selectorIiiEEZZNS1_29radix_sort_onesweep_iterationIS3_Lb1EN6thrust23THRUST_200600_302600_NS6detail15normal_iteratorINS8_10device_ptrIiEEEESD_SD_SD_jNS0_19identity_decomposerENS1_16block_id_wrapperIjLb0EEEEE10hipError_tT1_PNSt15iterator_traitsISI_E10value_typeET2_T3_PNSJ_ISO_E10value_typeET4_T5_PST_SU_PNS1_23onesweep_lookback_stateEbbT6_jjT7_P12ihipStream_tbENKUlT_T0_SI_SN_E_clISD_SD_SD_SD_EEDaS11_S12_SI_SN_EUlS11_E_NS1_11comp_targetILNS1_3genE4ELNS1_11target_archE910ELNS1_3gpuE8ELNS1_3repE0EEENS1_47radix_sort_onesweep_sort_config_static_selectorELNS0_4arch9wavefront6targetE1EEEvSI_,@function
_ZN7rocprim17ROCPRIM_400000_NS6detail17trampoline_kernelINS0_14default_configENS1_35radix_sort_onesweep_config_selectorIiiEEZZNS1_29radix_sort_onesweep_iterationIS3_Lb1EN6thrust23THRUST_200600_302600_NS6detail15normal_iteratorINS8_10device_ptrIiEEEESD_SD_SD_jNS0_19identity_decomposerENS1_16block_id_wrapperIjLb0EEEEE10hipError_tT1_PNSt15iterator_traitsISI_E10value_typeET2_T3_PNSJ_ISO_E10value_typeET4_T5_PST_SU_PNS1_23onesweep_lookback_stateEbbT6_jjT7_P12ihipStream_tbENKUlT_T0_SI_SN_E_clISD_SD_SD_SD_EEDaS11_S12_SI_SN_EUlS11_E_NS1_11comp_targetILNS1_3genE4ELNS1_11target_archE910ELNS1_3gpuE8ELNS1_3repE0EEENS1_47radix_sort_onesweep_sort_config_static_selectorELNS0_4arch9wavefront6targetE1EEEvSI_: ; @_ZN7rocprim17ROCPRIM_400000_NS6detail17trampoline_kernelINS0_14default_configENS1_35radix_sort_onesweep_config_selectorIiiEEZZNS1_29radix_sort_onesweep_iterationIS3_Lb1EN6thrust23THRUST_200600_302600_NS6detail15normal_iteratorINS8_10device_ptrIiEEEESD_SD_SD_jNS0_19identity_decomposerENS1_16block_id_wrapperIjLb0EEEEE10hipError_tT1_PNSt15iterator_traitsISI_E10value_typeET2_T3_PNSJ_ISO_E10value_typeET4_T5_PST_SU_PNS1_23onesweep_lookback_stateEbbT6_jjT7_P12ihipStream_tbENKUlT_T0_SI_SN_E_clISD_SD_SD_SD_EEDaS11_S12_SI_SN_EUlS11_E_NS1_11comp_targetILNS1_3genE4ELNS1_11target_archE910ELNS1_3gpuE8ELNS1_3repE0EEENS1_47radix_sort_onesweep_sort_config_static_selectorELNS0_4arch9wavefront6targetE1EEEvSI_
; %bb.0:
	.section	.rodata,"a",@progbits
	.p2align	6, 0x0
	.amdhsa_kernel _ZN7rocprim17ROCPRIM_400000_NS6detail17trampoline_kernelINS0_14default_configENS1_35radix_sort_onesweep_config_selectorIiiEEZZNS1_29radix_sort_onesweep_iterationIS3_Lb1EN6thrust23THRUST_200600_302600_NS6detail15normal_iteratorINS8_10device_ptrIiEEEESD_SD_SD_jNS0_19identity_decomposerENS1_16block_id_wrapperIjLb0EEEEE10hipError_tT1_PNSt15iterator_traitsISI_E10value_typeET2_T3_PNSJ_ISO_E10value_typeET4_T5_PST_SU_PNS1_23onesweep_lookback_stateEbbT6_jjT7_P12ihipStream_tbENKUlT_T0_SI_SN_E_clISD_SD_SD_SD_EEDaS11_S12_SI_SN_EUlS11_E_NS1_11comp_targetILNS1_3genE4ELNS1_11target_archE910ELNS1_3gpuE8ELNS1_3repE0EEENS1_47radix_sort_onesweep_sort_config_static_selectorELNS0_4arch9wavefront6targetE1EEEvSI_
		.amdhsa_group_segment_fixed_size 0
		.amdhsa_private_segment_fixed_size 0
		.amdhsa_kernarg_size 88
		.amdhsa_user_sgpr_count 2
		.amdhsa_user_sgpr_dispatch_ptr 0
		.amdhsa_user_sgpr_queue_ptr 0
		.amdhsa_user_sgpr_kernarg_segment_ptr 1
		.amdhsa_user_sgpr_dispatch_id 0
		.amdhsa_user_sgpr_kernarg_preload_length 0
		.amdhsa_user_sgpr_kernarg_preload_offset 0
		.amdhsa_user_sgpr_private_segment_size 0
		.amdhsa_uses_dynamic_stack 0
		.amdhsa_enable_private_segment 0
		.amdhsa_system_sgpr_workgroup_id_x 1
		.amdhsa_system_sgpr_workgroup_id_y 0
		.amdhsa_system_sgpr_workgroup_id_z 0
		.amdhsa_system_sgpr_workgroup_info 0
		.amdhsa_system_vgpr_workitem_id 0
		.amdhsa_next_free_vgpr 1
		.amdhsa_next_free_sgpr 0
		.amdhsa_accum_offset 4
		.amdhsa_reserve_vcc 0
		.amdhsa_float_round_mode_32 0
		.amdhsa_float_round_mode_16_64 0
		.amdhsa_float_denorm_mode_32 3
		.amdhsa_float_denorm_mode_16_64 3
		.amdhsa_dx10_clamp 1
		.amdhsa_ieee_mode 1
		.amdhsa_fp16_overflow 0
		.amdhsa_tg_split 0
		.amdhsa_exception_fp_ieee_invalid_op 0
		.amdhsa_exception_fp_denorm_src 0
		.amdhsa_exception_fp_ieee_div_zero 0
		.amdhsa_exception_fp_ieee_overflow 0
		.amdhsa_exception_fp_ieee_underflow 0
		.amdhsa_exception_fp_ieee_inexact 0
		.amdhsa_exception_int_div_zero 0
	.end_amdhsa_kernel
	.section	.text._ZN7rocprim17ROCPRIM_400000_NS6detail17trampoline_kernelINS0_14default_configENS1_35radix_sort_onesweep_config_selectorIiiEEZZNS1_29radix_sort_onesweep_iterationIS3_Lb1EN6thrust23THRUST_200600_302600_NS6detail15normal_iteratorINS8_10device_ptrIiEEEESD_SD_SD_jNS0_19identity_decomposerENS1_16block_id_wrapperIjLb0EEEEE10hipError_tT1_PNSt15iterator_traitsISI_E10value_typeET2_T3_PNSJ_ISO_E10value_typeET4_T5_PST_SU_PNS1_23onesweep_lookback_stateEbbT6_jjT7_P12ihipStream_tbENKUlT_T0_SI_SN_E_clISD_SD_SD_SD_EEDaS11_S12_SI_SN_EUlS11_E_NS1_11comp_targetILNS1_3genE4ELNS1_11target_archE910ELNS1_3gpuE8ELNS1_3repE0EEENS1_47radix_sort_onesweep_sort_config_static_selectorELNS0_4arch9wavefront6targetE1EEEvSI_,"axG",@progbits,_ZN7rocprim17ROCPRIM_400000_NS6detail17trampoline_kernelINS0_14default_configENS1_35radix_sort_onesweep_config_selectorIiiEEZZNS1_29radix_sort_onesweep_iterationIS3_Lb1EN6thrust23THRUST_200600_302600_NS6detail15normal_iteratorINS8_10device_ptrIiEEEESD_SD_SD_jNS0_19identity_decomposerENS1_16block_id_wrapperIjLb0EEEEE10hipError_tT1_PNSt15iterator_traitsISI_E10value_typeET2_T3_PNSJ_ISO_E10value_typeET4_T5_PST_SU_PNS1_23onesweep_lookback_stateEbbT6_jjT7_P12ihipStream_tbENKUlT_T0_SI_SN_E_clISD_SD_SD_SD_EEDaS11_S12_SI_SN_EUlS11_E_NS1_11comp_targetILNS1_3genE4ELNS1_11target_archE910ELNS1_3gpuE8ELNS1_3repE0EEENS1_47radix_sort_onesweep_sort_config_static_selectorELNS0_4arch9wavefront6targetE1EEEvSI_,comdat
.Lfunc_end1868:
	.size	_ZN7rocprim17ROCPRIM_400000_NS6detail17trampoline_kernelINS0_14default_configENS1_35radix_sort_onesweep_config_selectorIiiEEZZNS1_29radix_sort_onesweep_iterationIS3_Lb1EN6thrust23THRUST_200600_302600_NS6detail15normal_iteratorINS8_10device_ptrIiEEEESD_SD_SD_jNS0_19identity_decomposerENS1_16block_id_wrapperIjLb0EEEEE10hipError_tT1_PNSt15iterator_traitsISI_E10value_typeET2_T3_PNSJ_ISO_E10value_typeET4_T5_PST_SU_PNS1_23onesweep_lookback_stateEbbT6_jjT7_P12ihipStream_tbENKUlT_T0_SI_SN_E_clISD_SD_SD_SD_EEDaS11_S12_SI_SN_EUlS11_E_NS1_11comp_targetILNS1_3genE4ELNS1_11target_archE910ELNS1_3gpuE8ELNS1_3repE0EEENS1_47radix_sort_onesweep_sort_config_static_selectorELNS0_4arch9wavefront6targetE1EEEvSI_, .Lfunc_end1868-_ZN7rocprim17ROCPRIM_400000_NS6detail17trampoline_kernelINS0_14default_configENS1_35radix_sort_onesweep_config_selectorIiiEEZZNS1_29radix_sort_onesweep_iterationIS3_Lb1EN6thrust23THRUST_200600_302600_NS6detail15normal_iteratorINS8_10device_ptrIiEEEESD_SD_SD_jNS0_19identity_decomposerENS1_16block_id_wrapperIjLb0EEEEE10hipError_tT1_PNSt15iterator_traitsISI_E10value_typeET2_T3_PNSJ_ISO_E10value_typeET4_T5_PST_SU_PNS1_23onesweep_lookback_stateEbbT6_jjT7_P12ihipStream_tbENKUlT_T0_SI_SN_E_clISD_SD_SD_SD_EEDaS11_S12_SI_SN_EUlS11_E_NS1_11comp_targetILNS1_3genE4ELNS1_11target_archE910ELNS1_3gpuE8ELNS1_3repE0EEENS1_47radix_sort_onesweep_sort_config_static_selectorELNS0_4arch9wavefront6targetE1EEEvSI_
                                        ; -- End function
	.set _ZN7rocprim17ROCPRIM_400000_NS6detail17trampoline_kernelINS0_14default_configENS1_35radix_sort_onesweep_config_selectorIiiEEZZNS1_29radix_sort_onesweep_iterationIS3_Lb1EN6thrust23THRUST_200600_302600_NS6detail15normal_iteratorINS8_10device_ptrIiEEEESD_SD_SD_jNS0_19identity_decomposerENS1_16block_id_wrapperIjLb0EEEEE10hipError_tT1_PNSt15iterator_traitsISI_E10value_typeET2_T3_PNSJ_ISO_E10value_typeET4_T5_PST_SU_PNS1_23onesweep_lookback_stateEbbT6_jjT7_P12ihipStream_tbENKUlT_T0_SI_SN_E_clISD_SD_SD_SD_EEDaS11_S12_SI_SN_EUlS11_E_NS1_11comp_targetILNS1_3genE4ELNS1_11target_archE910ELNS1_3gpuE8ELNS1_3repE0EEENS1_47radix_sort_onesweep_sort_config_static_selectorELNS0_4arch9wavefront6targetE1EEEvSI_.num_vgpr, 0
	.set _ZN7rocprim17ROCPRIM_400000_NS6detail17trampoline_kernelINS0_14default_configENS1_35radix_sort_onesweep_config_selectorIiiEEZZNS1_29radix_sort_onesweep_iterationIS3_Lb1EN6thrust23THRUST_200600_302600_NS6detail15normal_iteratorINS8_10device_ptrIiEEEESD_SD_SD_jNS0_19identity_decomposerENS1_16block_id_wrapperIjLb0EEEEE10hipError_tT1_PNSt15iterator_traitsISI_E10value_typeET2_T3_PNSJ_ISO_E10value_typeET4_T5_PST_SU_PNS1_23onesweep_lookback_stateEbbT6_jjT7_P12ihipStream_tbENKUlT_T0_SI_SN_E_clISD_SD_SD_SD_EEDaS11_S12_SI_SN_EUlS11_E_NS1_11comp_targetILNS1_3genE4ELNS1_11target_archE910ELNS1_3gpuE8ELNS1_3repE0EEENS1_47radix_sort_onesweep_sort_config_static_selectorELNS0_4arch9wavefront6targetE1EEEvSI_.num_agpr, 0
	.set _ZN7rocprim17ROCPRIM_400000_NS6detail17trampoline_kernelINS0_14default_configENS1_35radix_sort_onesweep_config_selectorIiiEEZZNS1_29radix_sort_onesweep_iterationIS3_Lb1EN6thrust23THRUST_200600_302600_NS6detail15normal_iteratorINS8_10device_ptrIiEEEESD_SD_SD_jNS0_19identity_decomposerENS1_16block_id_wrapperIjLb0EEEEE10hipError_tT1_PNSt15iterator_traitsISI_E10value_typeET2_T3_PNSJ_ISO_E10value_typeET4_T5_PST_SU_PNS1_23onesweep_lookback_stateEbbT6_jjT7_P12ihipStream_tbENKUlT_T0_SI_SN_E_clISD_SD_SD_SD_EEDaS11_S12_SI_SN_EUlS11_E_NS1_11comp_targetILNS1_3genE4ELNS1_11target_archE910ELNS1_3gpuE8ELNS1_3repE0EEENS1_47radix_sort_onesweep_sort_config_static_selectorELNS0_4arch9wavefront6targetE1EEEvSI_.numbered_sgpr, 0
	.set _ZN7rocprim17ROCPRIM_400000_NS6detail17trampoline_kernelINS0_14default_configENS1_35radix_sort_onesweep_config_selectorIiiEEZZNS1_29radix_sort_onesweep_iterationIS3_Lb1EN6thrust23THRUST_200600_302600_NS6detail15normal_iteratorINS8_10device_ptrIiEEEESD_SD_SD_jNS0_19identity_decomposerENS1_16block_id_wrapperIjLb0EEEEE10hipError_tT1_PNSt15iterator_traitsISI_E10value_typeET2_T3_PNSJ_ISO_E10value_typeET4_T5_PST_SU_PNS1_23onesweep_lookback_stateEbbT6_jjT7_P12ihipStream_tbENKUlT_T0_SI_SN_E_clISD_SD_SD_SD_EEDaS11_S12_SI_SN_EUlS11_E_NS1_11comp_targetILNS1_3genE4ELNS1_11target_archE910ELNS1_3gpuE8ELNS1_3repE0EEENS1_47radix_sort_onesweep_sort_config_static_selectorELNS0_4arch9wavefront6targetE1EEEvSI_.num_named_barrier, 0
	.set _ZN7rocprim17ROCPRIM_400000_NS6detail17trampoline_kernelINS0_14default_configENS1_35radix_sort_onesweep_config_selectorIiiEEZZNS1_29radix_sort_onesweep_iterationIS3_Lb1EN6thrust23THRUST_200600_302600_NS6detail15normal_iteratorINS8_10device_ptrIiEEEESD_SD_SD_jNS0_19identity_decomposerENS1_16block_id_wrapperIjLb0EEEEE10hipError_tT1_PNSt15iterator_traitsISI_E10value_typeET2_T3_PNSJ_ISO_E10value_typeET4_T5_PST_SU_PNS1_23onesweep_lookback_stateEbbT6_jjT7_P12ihipStream_tbENKUlT_T0_SI_SN_E_clISD_SD_SD_SD_EEDaS11_S12_SI_SN_EUlS11_E_NS1_11comp_targetILNS1_3genE4ELNS1_11target_archE910ELNS1_3gpuE8ELNS1_3repE0EEENS1_47radix_sort_onesweep_sort_config_static_selectorELNS0_4arch9wavefront6targetE1EEEvSI_.private_seg_size, 0
	.set _ZN7rocprim17ROCPRIM_400000_NS6detail17trampoline_kernelINS0_14default_configENS1_35radix_sort_onesweep_config_selectorIiiEEZZNS1_29radix_sort_onesweep_iterationIS3_Lb1EN6thrust23THRUST_200600_302600_NS6detail15normal_iteratorINS8_10device_ptrIiEEEESD_SD_SD_jNS0_19identity_decomposerENS1_16block_id_wrapperIjLb0EEEEE10hipError_tT1_PNSt15iterator_traitsISI_E10value_typeET2_T3_PNSJ_ISO_E10value_typeET4_T5_PST_SU_PNS1_23onesweep_lookback_stateEbbT6_jjT7_P12ihipStream_tbENKUlT_T0_SI_SN_E_clISD_SD_SD_SD_EEDaS11_S12_SI_SN_EUlS11_E_NS1_11comp_targetILNS1_3genE4ELNS1_11target_archE910ELNS1_3gpuE8ELNS1_3repE0EEENS1_47radix_sort_onesweep_sort_config_static_selectorELNS0_4arch9wavefront6targetE1EEEvSI_.uses_vcc, 0
	.set _ZN7rocprim17ROCPRIM_400000_NS6detail17trampoline_kernelINS0_14default_configENS1_35radix_sort_onesweep_config_selectorIiiEEZZNS1_29radix_sort_onesweep_iterationIS3_Lb1EN6thrust23THRUST_200600_302600_NS6detail15normal_iteratorINS8_10device_ptrIiEEEESD_SD_SD_jNS0_19identity_decomposerENS1_16block_id_wrapperIjLb0EEEEE10hipError_tT1_PNSt15iterator_traitsISI_E10value_typeET2_T3_PNSJ_ISO_E10value_typeET4_T5_PST_SU_PNS1_23onesweep_lookback_stateEbbT6_jjT7_P12ihipStream_tbENKUlT_T0_SI_SN_E_clISD_SD_SD_SD_EEDaS11_S12_SI_SN_EUlS11_E_NS1_11comp_targetILNS1_3genE4ELNS1_11target_archE910ELNS1_3gpuE8ELNS1_3repE0EEENS1_47radix_sort_onesweep_sort_config_static_selectorELNS0_4arch9wavefront6targetE1EEEvSI_.uses_flat_scratch, 0
	.set _ZN7rocprim17ROCPRIM_400000_NS6detail17trampoline_kernelINS0_14default_configENS1_35radix_sort_onesweep_config_selectorIiiEEZZNS1_29radix_sort_onesweep_iterationIS3_Lb1EN6thrust23THRUST_200600_302600_NS6detail15normal_iteratorINS8_10device_ptrIiEEEESD_SD_SD_jNS0_19identity_decomposerENS1_16block_id_wrapperIjLb0EEEEE10hipError_tT1_PNSt15iterator_traitsISI_E10value_typeET2_T3_PNSJ_ISO_E10value_typeET4_T5_PST_SU_PNS1_23onesweep_lookback_stateEbbT6_jjT7_P12ihipStream_tbENKUlT_T0_SI_SN_E_clISD_SD_SD_SD_EEDaS11_S12_SI_SN_EUlS11_E_NS1_11comp_targetILNS1_3genE4ELNS1_11target_archE910ELNS1_3gpuE8ELNS1_3repE0EEENS1_47radix_sort_onesweep_sort_config_static_selectorELNS0_4arch9wavefront6targetE1EEEvSI_.has_dyn_sized_stack, 0
	.set _ZN7rocprim17ROCPRIM_400000_NS6detail17trampoline_kernelINS0_14default_configENS1_35radix_sort_onesweep_config_selectorIiiEEZZNS1_29radix_sort_onesweep_iterationIS3_Lb1EN6thrust23THRUST_200600_302600_NS6detail15normal_iteratorINS8_10device_ptrIiEEEESD_SD_SD_jNS0_19identity_decomposerENS1_16block_id_wrapperIjLb0EEEEE10hipError_tT1_PNSt15iterator_traitsISI_E10value_typeET2_T3_PNSJ_ISO_E10value_typeET4_T5_PST_SU_PNS1_23onesweep_lookback_stateEbbT6_jjT7_P12ihipStream_tbENKUlT_T0_SI_SN_E_clISD_SD_SD_SD_EEDaS11_S12_SI_SN_EUlS11_E_NS1_11comp_targetILNS1_3genE4ELNS1_11target_archE910ELNS1_3gpuE8ELNS1_3repE0EEENS1_47radix_sort_onesweep_sort_config_static_selectorELNS0_4arch9wavefront6targetE1EEEvSI_.has_recursion, 0
	.set _ZN7rocprim17ROCPRIM_400000_NS6detail17trampoline_kernelINS0_14default_configENS1_35radix_sort_onesweep_config_selectorIiiEEZZNS1_29radix_sort_onesweep_iterationIS3_Lb1EN6thrust23THRUST_200600_302600_NS6detail15normal_iteratorINS8_10device_ptrIiEEEESD_SD_SD_jNS0_19identity_decomposerENS1_16block_id_wrapperIjLb0EEEEE10hipError_tT1_PNSt15iterator_traitsISI_E10value_typeET2_T3_PNSJ_ISO_E10value_typeET4_T5_PST_SU_PNS1_23onesweep_lookback_stateEbbT6_jjT7_P12ihipStream_tbENKUlT_T0_SI_SN_E_clISD_SD_SD_SD_EEDaS11_S12_SI_SN_EUlS11_E_NS1_11comp_targetILNS1_3genE4ELNS1_11target_archE910ELNS1_3gpuE8ELNS1_3repE0EEENS1_47radix_sort_onesweep_sort_config_static_selectorELNS0_4arch9wavefront6targetE1EEEvSI_.has_indirect_call, 0
	.section	.AMDGPU.csdata,"",@progbits
; Kernel info:
; codeLenInByte = 0
; TotalNumSgprs: 6
; NumVgprs: 0
; NumAgprs: 0
; TotalNumVgprs: 0
; ScratchSize: 0
; MemoryBound: 0
; FloatMode: 240
; IeeeMode: 1
; LDSByteSize: 0 bytes/workgroup (compile time only)
; SGPRBlocks: 0
; VGPRBlocks: 0
; NumSGPRsForWavesPerEU: 6
; NumVGPRsForWavesPerEU: 1
; AccumOffset: 4
; Occupancy: 8
; WaveLimiterHint : 0
; COMPUTE_PGM_RSRC2:SCRATCH_EN: 0
; COMPUTE_PGM_RSRC2:USER_SGPR: 2
; COMPUTE_PGM_RSRC2:TRAP_HANDLER: 0
; COMPUTE_PGM_RSRC2:TGID_X_EN: 1
; COMPUTE_PGM_RSRC2:TGID_Y_EN: 0
; COMPUTE_PGM_RSRC2:TGID_Z_EN: 0
; COMPUTE_PGM_RSRC2:TIDIG_COMP_CNT: 0
; COMPUTE_PGM_RSRC3_GFX90A:ACCUM_OFFSET: 0
; COMPUTE_PGM_RSRC3_GFX90A:TG_SPLIT: 0
	.section	.text._ZN7rocprim17ROCPRIM_400000_NS6detail17trampoline_kernelINS0_14default_configENS1_35radix_sort_onesweep_config_selectorIiiEEZZNS1_29radix_sort_onesweep_iterationIS3_Lb1EN6thrust23THRUST_200600_302600_NS6detail15normal_iteratorINS8_10device_ptrIiEEEESD_SD_SD_jNS0_19identity_decomposerENS1_16block_id_wrapperIjLb0EEEEE10hipError_tT1_PNSt15iterator_traitsISI_E10value_typeET2_T3_PNSJ_ISO_E10value_typeET4_T5_PST_SU_PNS1_23onesweep_lookback_stateEbbT6_jjT7_P12ihipStream_tbENKUlT_T0_SI_SN_E_clISD_SD_SD_SD_EEDaS11_S12_SI_SN_EUlS11_E_NS1_11comp_targetILNS1_3genE3ELNS1_11target_archE908ELNS1_3gpuE7ELNS1_3repE0EEENS1_47radix_sort_onesweep_sort_config_static_selectorELNS0_4arch9wavefront6targetE1EEEvSI_,"axG",@progbits,_ZN7rocprim17ROCPRIM_400000_NS6detail17trampoline_kernelINS0_14default_configENS1_35radix_sort_onesweep_config_selectorIiiEEZZNS1_29radix_sort_onesweep_iterationIS3_Lb1EN6thrust23THRUST_200600_302600_NS6detail15normal_iteratorINS8_10device_ptrIiEEEESD_SD_SD_jNS0_19identity_decomposerENS1_16block_id_wrapperIjLb0EEEEE10hipError_tT1_PNSt15iterator_traitsISI_E10value_typeET2_T3_PNSJ_ISO_E10value_typeET4_T5_PST_SU_PNS1_23onesweep_lookback_stateEbbT6_jjT7_P12ihipStream_tbENKUlT_T0_SI_SN_E_clISD_SD_SD_SD_EEDaS11_S12_SI_SN_EUlS11_E_NS1_11comp_targetILNS1_3genE3ELNS1_11target_archE908ELNS1_3gpuE7ELNS1_3repE0EEENS1_47radix_sort_onesweep_sort_config_static_selectorELNS0_4arch9wavefront6targetE1EEEvSI_,comdat
	.protected	_ZN7rocprim17ROCPRIM_400000_NS6detail17trampoline_kernelINS0_14default_configENS1_35radix_sort_onesweep_config_selectorIiiEEZZNS1_29radix_sort_onesweep_iterationIS3_Lb1EN6thrust23THRUST_200600_302600_NS6detail15normal_iteratorINS8_10device_ptrIiEEEESD_SD_SD_jNS0_19identity_decomposerENS1_16block_id_wrapperIjLb0EEEEE10hipError_tT1_PNSt15iterator_traitsISI_E10value_typeET2_T3_PNSJ_ISO_E10value_typeET4_T5_PST_SU_PNS1_23onesweep_lookback_stateEbbT6_jjT7_P12ihipStream_tbENKUlT_T0_SI_SN_E_clISD_SD_SD_SD_EEDaS11_S12_SI_SN_EUlS11_E_NS1_11comp_targetILNS1_3genE3ELNS1_11target_archE908ELNS1_3gpuE7ELNS1_3repE0EEENS1_47radix_sort_onesweep_sort_config_static_selectorELNS0_4arch9wavefront6targetE1EEEvSI_ ; -- Begin function _ZN7rocprim17ROCPRIM_400000_NS6detail17trampoline_kernelINS0_14default_configENS1_35radix_sort_onesweep_config_selectorIiiEEZZNS1_29radix_sort_onesweep_iterationIS3_Lb1EN6thrust23THRUST_200600_302600_NS6detail15normal_iteratorINS8_10device_ptrIiEEEESD_SD_SD_jNS0_19identity_decomposerENS1_16block_id_wrapperIjLb0EEEEE10hipError_tT1_PNSt15iterator_traitsISI_E10value_typeET2_T3_PNSJ_ISO_E10value_typeET4_T5_PST_SU_PNS1_23onesweep_lookback_stateEbbT6_jjT7_P12ihipStream_tbENKUlT_T0_SI_SN_E_clISD_SD_SD_SD_EEDaS11_S12_SI_SN_EUlS11_E_NS1_11comp_targetILNS1_3genE3ELNS1_11target_archE908ELNS1_3gpuE7ELNS1_3repE0EEENS1_47radix_sort_onesweep_sort_config_static_selectorELNS0_4arch9wavefront6targetE1EEEvSI_
	.globl	_ZN7rocprim17ROCPRIM_400000_NS6detail17trampoline_kernelINS0_14default_configENS1_35radix_sort_onesweep_config_selectorIiiEEZZNS1_29radix_sort_onesweep_iterationIS3_Lb1EN6thrust23THRUST_200600_302600_NS6detail15normal_iteratorINS8_10device_ptrIiEEEESD_SD_SD_jNS0_19identity_decomposerENS1_16block_id_wrapperIjLb0EEEEE10hipError_tT1_PNSt15iterator_traitsISI_E10value_typeET2_T3_PNSJ_ISO_E10value_typeET4_T5_PST_SU_PNS1_23onesweep_lookback_stateEbbT6_jjT7_P12ihipStream_tbENKUlT_T0_SI_SN_E_clISD_SD_SD_SD_EEDaS11_S12_SI_SN_EUlS11_E_NS1_11comp_targetILNS1_3genE3ELNS1_11target_archE908ELNS1_3gpuE7ELNS1_3repE0EEENS1_47radix_sort_onesweep_sort_config_static_selectorELNS0_4arch9wavefront6targetE1EEEvSI_
	.p2align	8
	.type	_ZN7rocprim17ROCPRIM_400000_NS6detail17trampoline_kernelINS0_14default_configENS1_35radix_sort_onesweep_config_selectorIiiEEZZNS1_29radix_sort_onesweep_iterationIS3_Lb1EN6thrust23THRUST_200600_302600_NS6detail15normal_iteratorINS8_10device_ptrIiEEEESD_SD_SD_jNS0_19identity_decomposerENS1_16block_id_wrapperIjLb0EEEEE10hipError_tT1_PNSt15iterator_traitsISI_E10value_typeET2_T3_PNSJ_ISO_E10value_typeET4_T5_PST_SU_PNS1_23onesweep_lookback_stateEbbT6_jjT7_P12ihipStream_tbENKUlT_T0_SI_SN_E_clISD_SD_SD_SD_EEDaS11_S12_SI_SN_EUlS11_E_NS1_11comp_targetILNS1_3genE3ELNS1_11target_archE908ELNS1_3gpuE7ELNS1_3repE0EEENS1_47radix_sort_onesweep_sort_config_static_selectorELNS0_4arch9wavefront6targetE1EEEvSI_,@function
_ZN7rocprim17ROCPRIM_400000_NS6detail17trampoline_kernelINS0_14default_configENS1_35radix_sort_onesweep_config_selectorIiiEEZZNS1_29radix_sort_onesweep_iterationIS3_Lb1EN6thrust23THRUST_200600_302600_NS6detail15normal_iteratorINS8_10device_ptrIiEEEESD_SD_SD_jNS0_19identity_decomposerENS1_16block_id_wrapperIjLb0EEEEE10hipError_tT1_PNSt15iterator_traitsISI_E10value_typeET2_T3_PNSJ_ISO_E10value_typeET4_T5_PST_SU_PNS1_23onesweep_lookback_stateEbbT6_jjT7_P12ihipStream_tbENKUlT_T0_SI_SN_E_clISD_SD_SD_SD_EEDaS11_S12_SI_SN_EUlS11_E_NS1_11comp_targetILNS1_3genE3ELNS1_11target_archE908ELNS1_3gpuE7ELNS1_3repE0EEENS1_47radix_sort_onesweep_sort_config_static_selectorELNS0_4arch9wavefront6targetE1EEEvSI_: ; @_ZN7rocprim17ROCPRIM_400000_NS6detail17trampoline_kernelINS0_14default_configENS1_35radix_sort_onesweep_config_selectorIiiEEZZNS1_29radix_sort_onesweep_iterationIS3_Lb1EN6thrust23THRUST_200600_302600_NS6detail15normal_iteratorINS8_10device_ptrIiEEEESD_SD_SD_jNS0_19identity_decomposerENS1_16block_id_wrapperIjLb0EEEEE10hipError_tT1_PNSt15iterator_traitsISI_E10value_typeET2_T3_PNSJ_ISO_E10value_typeET4_T5_PST_SU_PNS1_23onesweep_lookback_stateEbbT6_jjT7_P12ihipStream_tbENKUlT_T0_SI_SN_E_clISD_SD_SD_SD_EEDaS11_S12_SI_SN_EUlS11_E_NS1_11comp_targetILNS1_3genE3ELNS1_11target_archE908ELNS1_3gpuE7ELNS1_3repE0EEENS1_47radix_sort_onesweep_sort_config_static_selectorELNS0_4arch9wavefront6targetE1EEEvSI_
; %bb.0:
	.section	.rodata,"a",@progbits
	.p2align	6, 0x0
	.amdhsa_kernel _ZN7rocprim17ROCPRIM_400000_NS6detail17trampoline_kernelINS0_14default_configENS1_35radix_sort_onesweep_config_selectorIiiEEZZNS1_29radix_sort_onesweep_iterationIS3_Lb1EN6thrust23THRUST_200600_302600_NS6detail15normal_iteratorINS8_10device_ptrIiEEEESD_SD_SD_jNS0_19identity_decomposerENS1_16block_id_wrapperIjLb0EEEEE10hipError_tT1_PNSt15iterator_traitsISI_E10value_typeET2_T3_PNSJ_ISO_E10value_typeET4_T5_PST_SU_PNS1_23onesweep_lookback_stateEbbT6_jjT7_P12ihipStream_tbENKUlT_T0_SI_SN_E_clISD_SD_SD_SD_EEDaS11_S12_SI_SN_EUlS11_E_NS1_11comp_targetILNS1_3genE3ELNS1_11target_archE908ELNS1_3gpuE7ELNS1_3repE0EEENS1_47radix_sort_onesweep_sort_config_static_selectorELNS0_4arch9wavefront6targetE1EEEvSI_
		.amdhsa_group_segment_fixed_size 0
		.amdhsa_private_segment_fixed_size 0
		.amdhsa_kernarg_size 88
		.amdhsa_user_sgpr_count 2
		.amdhsa_user_sgpr_dispatch_ptr 0
		.amdhsa_user_sgpr_queue_ptr 0
		.amdhsa_user_sgpr_kernarg_segment_ptr 1
		.amdhsa_user_sgpr_dispatch_id 0
		.amdhsa_user_sgpr_kernarg_preload_length 0
		.amdhsa_user_sgpr_kernarg_preload_offset 0
		.amdhsa_user_sgpr_private_segment_size 0
		.amdhsa_uses_dynamic_stack 0
		.amdhsa_enable_private_segment 0
		.amdhsa_system_sgpr_workgroup_id_x 1
		.amdhsa_system_sgpr_workgroup_id_y 0
		.amdhsa_system_sgpr_workgroup_id_z 0
		.amdhsa_system_sgpr_workgroup_info 0
		.amdhsa_system_vgpr_workitem_id 0
		.amdhsa_next_free_vgpr 1
		.amdhsa_next_free_sgpr 0
		.amdhsa_accum_offset 4
		.amdhsa_reserve_vcc 0
		.amdhsa_float_round_mode_32 0
		.amdhsa_float_round_mode_16_64 0
		.amdhsa_float_denorm_mode_32 3
		.amdhsa_float_denorm_mode_16_64 3
		.amdhsa_dx10_clamp 1
		.amdhsa_ieee_mode 1
		.amdhsa_fp16_overflow 0
		.amdhsa_tg_split 0
		.amdhsa_exception_fp_ieee_invalid_op 0
		.amdhsa_exception_fp_denorm_src 0
		.amdhsa_exception_fp_ieee_div_zero 0
		.amdhsa_exception_fp_ieee_overflow 0
		.amdhsa_exception_fp_ieee_underflow 0
		.amdhsa_exception_fp_ieee_inexact 0
		.amdhsa_exception_int_div_zero 0
	.end_amdhsa_kernel
	.section	.text._ZN7rocprim17ROCPRIM_400000_NS6detail17trampoline_kernelINS0_14default_configENS1_35radix_sort_onesweep_config_selectorIiiEEZZNS1_29radix_sort_onesweep_iterationIS3_Lb1EN6thrust23THRUST_200600_302600_NS6detail15normal_iteratorINS8_10device_ptrIiEEEESD_SD_SD_jNS0_19identity_decomposerENS1_16block_id_wrapperIjLb0EEEEE10hipError_tT1_PNSt15iterator_traitsISI_E10value_typeET2_T3_PNSJ_ISO_E10value_typeET4_T5_PST_SU_PNS1_23onesweep_lookback_stateEbbT6_jjT7_P12ihipStream_tbENKUlT_T0_SI_SN_E_clISD_SD_SD_SD_EEDaS11_S12_SI_SN_EUlS11_E_NS1_11comp_targetILNS1_3genE3ELNS1_11target_archE908ELNS1_3gpuE7ELNS1_3repE0EEENS1_47radix_sort_onesweep_sort_config_static_selectorELNS0_4arch9wavefront6targetE1EEEvSI_,"axG",@progbits,_ZN7rocprim17ROCPRIM_400000_NS6detail17trampoline_kernelINS0_14default_configENS1_35radix_sort_onesweep_config_selectorIiiEEZZNS1_29radix_sort_onesweep_iterationIS3_Lb1EN6thrust23THRUST_200600_302600_NS6detail15normal_iteratorINS8_10device_ptrIiEEEESD_SD_SD_jNS0_19identity_decomposerENS1_16block_id_wrapperIjLb0EEEEE10hipError_tT1_PNSt15iterator_traitsISI_E10value_typeET2_T3_PNSJ_ISO_E10value_typeET4_T5_PST_SU_PNS1_23onesweep_lookback_stateEbbT6_jjT7_P12ihipStream_tbENKUlT_T0_SI_SN_E_clISD_SD_SD_SD_EEDaS11_S12_SI_SN_EUlS11_E_NS1_11comp_targetILNS1_3genE3ELNS1_11target_archE908ELNS1_3gpuE7ELNS1_3repE0EEENS1_47radix_sort_onesweep_sort_config_static_selectorELNS0_4arch9wavefront6targetE1EEEvSI_,comdat
.Lfunc_end1869:
	.size	_ZN7rocprim17ROCPRIM_400000_NS6detail17trampoline_kernelINS0_14default_configENS1_35radix_sort_onesweep_config_selectorIiiEEZZNS1_29radix_sort_onesweep_iterationIS3_Lb1EN6thrust23THRUST_200600_302600_NS6detail15normal_iteratorINS8_10device_ptrIiEEEESD_SD_SD_jNS0_19identity_decomposerENS1_16block_id_wrapperIjLb0EEEEE10hipError_tT1_PNSt15iterator_traitsISI_E10value_typeET2_T3_PNSJ_ISO_E10value_typeET4_T5_PST_SU_PNS1_23onesweep_lookback_stateEbbT6_jjT7_P12ihipStream_tbENKUlT_T0_SI_SN_E_clISD_SD_SD_SD_EEDaS11_S12_SI_SN_EUlS11_E_NS1_11comp_targetILNS1_3genE3ELNS1_11target_archE908ELNS1_3gpuE7ELNS1_3repE0EEENS1_47radix_sort_onesweep_sort_config_static_selectorELNS0_4arch9wavefront6targetE1EEEvSI_, .Lfunc_end1869-_ZN7rocprim17ROCPRIM_400000_NS6detail17trampoline_kernelINS0_14default_configENS1_35radix_sort_onesweep_config_selectorIiiEEZZNS1_29radix_sort_onesweep_iterationIS3_Lb1EN6thrust23THRUST_200600_302600_NS6detail15normal_iteratorINS8_10device_ptrIiEEEESD_SD_SD_jNS0_19identity_decomposerENS1_16block_id_wrapperIjLb0EEEEE10hipError_tT1_PNSt15iterator_traitsISI_E10value_typeET2_T3_PNSJ_ISO_E10value_typeET4_T5_PST_SU_PNS1_23onesweep_lookback_stateEbbT6_jjT7_P12ihipStream_tbENKUlT_T0_SI_SN_E_clISD_SD_SD_SD_EEDaS11_S12_SI_SN_EUlS11_E_NS1_11comp_targetILNS1_3genE3ELNS1_11target_archE908ELNS1_3gpuE7ELNS1_3repE0EEENS1_47radix_sort_onesweep_sort_config_static_selectorELNS0_4arch9wavefront6targetE1EEEvSI_
                                        ; -- End function
	.set _ZN7rocprim17ROCPRIM_400000_NS6detail17trampoline_kernelINS0_14default_configENS1_35radix_sort_onesweep_config_selectorIiiEEZZNS1_29radix_sort_onesweep_iterationIS3_Lb1EN6thrust23THRUST_200600_302600_NS6detail15normal_iteratorINS8_10device_ptrIiEEEESD_SD_SD_jNS0_19identity_decomposerENS1_16block_id_wrapperIjLb0EEEEE10hipError_tT1_PNSt15iterator_traitsISI_E10value_typeET2_T3_PNSJ_ISO_E10value_typeET4_T5_PST_SU_PNS1_23onesweep_lookback_stateEbbT6_jjT7_P12ihipStream_tbENKUlT_T0_SI_SN_E_clISD_SD_SD_SD_EEDaS11_S12_SI_SN_EUlS11_E_NS1_11comp_targetILNS1_3genE3ELNS1_11target_archE908ELNS1_3gpuE7ELNS1_3repE0EEENS1_47radix_sort_onesweep_sort_config_static_selectorELNS0_4arch9wavefront6targetE1EEEvSI_.num_vgpr, 0
	.set _ZN7rocprim17ROCPRIM_400000_NS6detail17trampoline_kernelINS0_14default_configENS1_35radix_sort_onesweep_config_selectorIiiEEZZNS1_29radix_sort_onesweep_iterationIS3_Lb1EN6thrust23THRUST_200600_302600_NS6detail15normal_iteratorINS8_10device_ptrIiEEEESD_SD_SD_jNS0_19identity_decomposerENS1_16block_id_wrapperIjLb0EEEEE10hipError_tT1_PNSt15iterator_traitsISI_E10value_typeET2_T3_PNSJ_ISO_E10value_typeET4_T5_PST_SU_PNS1_23onesweep_lookback_stateEbbT6_jjT7_P12ihipStream_tbENKUlT_T0_SI_SN_E_clISD_SD_SD_SD_EEDaS11_S12_SI_SN_EUlS11_E_NS1_11comp_targetILNS1_3genE3ELNS1_11target_archE908ELNS1_3gpuE7ELNS1_3repE0EEENS1_47radix_sort_onesweep_sort_config_static_selectorELNS0_4arch9wavefront6targetE1EEEvSI_.num_agpr, 0
	.set _ZN7rocprim17ROCPRIM_400000_NS6detail17trampoline_kernelINS0_14default_configENS1_35radix_sort_onesweep_config_selectorIiiEEZZNS1_29radix_sort_onesweep_iterationIS3_Lb1EN6thrust23THRUST_200600_302600_NS6detail15normal_iteratorINS8_10device_ptrIiEEEESD_SD_SD_jNS0_19identity_decomposerENS1_16block_id_wrapperIjLb0EEEEE10hipError_tT1_PNSt15iterator_traitsISI_E10value_typeET2_T3_PNSJ_ISO_E10value_typeET4_T5_PST_SU_PNS1_23onesweep_lookback_stateEbbT6_jjT7_P12ihipStream_tbENKUlT_T0_SI_SN_E_clISD_SD_SD_SD_EEDaS11_S12_SI_SN_EUlS11_E_NS1_11comp_targetILNS1_3genE3ELNS1_11target_archE908ELNS1_3gpuE7ELNS1_3repE0EEENS1_47radix_sort_onesweep_sort_config_static_selectorELNS0_4arch9wavefront6targetE1EEEvSI_.numbered_sgpr, 0
	.set _ZN7rocprim17ROCPRIM_400000_NS6detail17trampoline_kernelINS0_14default_configENS1_35radix_sort_onesweep_config_selectorIiiEEZZNS1_29radix_sort_onesweep_iterationIS3_Lb1EN6thrust23THRUST_200600_302600_NS6detail15normal_iteratorINS8_10device_ptrIiEEEESD_SD_SD_jNS0_19identity_decomposerENS1_16block_id_wrapperIjLb0EEEEE10hipError_tT1_PNSt15iterator_traitsISI_E10value_typeET2_T3_PNSJ_ISO_E10value_typeET4_T5_PST_SU_PNS1_23onesweep_lookback_stateEbbT6_jjT7_P12ihipStream_tbENKUlT_T0_SI_SN_E_clISD_SD_SD_SD_EEDaS11_S12_SI_SN_EUlS11_E_NS1_11comp_targetILNS1_3genE3ELNS1_11target_archE908ELNS1_3gpuE7ELNS1_3repE0EEENS1_47radix_sort_onesweep_sort_config_static_selectorELNS0_4arch9wavefront6targetE1EEEvSI_.num_named_barrier, 0
	.set _ZN7rocprim17ROCPRIM_400000_NS6detail17trampoline_kernelINS0_14default_configENS1_35radix_sort_onesweep_config_selectorIiiEEZZNS1_29radix_sort_onesweep_iterationIS3_Lb1EN6thrust23THRUST_200600_302600_NS6detail15normal_iteratorINS8_10device_ptrIiEEEESD_SD_SD_jNS0_19identity_decomposerENS1_16block_id_wrapperIjLb0EEEEE10hipError_tT1_PNSt15iterator_traitsISI_E10value_typeET2_T3_PNSJ_ISO_E10value_typeET4_T5_PST_SU_PNS1_23onesweep_lookback_stateEbbT6_jjT7_P12ihipStream_tbENKUlT_T0_SI_SN_E_clISD_SD_SD_SD_EEDaS11_S12_SI_SN_EUlS11_E_NS1_11comp_targetILNS1_3genE3ELNS1_11target_archE908ELNS1_3gpuE7ELNS1_3repE0EEENS1_47radix_sort_onesweep_sort_config_static_selectorELNS0_4arch9wavefront6targetE1EEEvSI_.private_seg_size, 0
	.set _ZN7rocprim17ROCPRIM_400000_NS6detail17trampoline_kernelINS0_14default_configENS1_35radix_sort_onesweep_config_selectorIiiEEZZNS1_29radix_sort_onesweep_iterationIS3_Lb1EN6thrust23THRUST_200600_302600_NS6detail15normal_iteratorINS8_10device_ptrIiEEEESD_SD_SD_jNS0_19identity_decomposerENS1_16block_id_wrapperIjLb0EEEEE10hipError_tT1_PNSt15iterator_traitsISI_E10value_typeET2_T3_PNSJ_ISO_E10value_typeET4_T5_PST_SU_PNS1_23onesweep_lookback_stateEbbT6_jjT7_P12ihipStream_tbENKUlT_T0_SI_SN_E_clISD_SD_SD_SD_EEDaS11_S12_SI_SN_EUlS11_E_NS1_11comp_targetILNS1_3genE3ELNS1_11target_archE908ELNS1_3gpuE7ELNS1_3repE0EEENS1_47radix_sort_onesweep_sort_config_static_selectorELNS0_4arch9wavefront6targetE1EEEvSI_.uses_vcc, 0
	.set _ZN7rocprim17ROCPRIM_400000_NS6detail17trampoline_kernelINS0_14default_configENS1_35radix_sort_onesweep_config_selectorIiiEEZZNS1_29radix_sort_onesweep_iterationIS3_Lb1EN6thrust23THRUST_200600_302600_NS6detail15normal_iteratorINS8_10device_ptrIiEEEESD_SD_SD_jNS0_19identity_decomposerENS1_16block_id_wrapperIjLb0EEEEE10hipError_tT1_PNSt15iterator_traitsISI_E10value_typeET2_T3_PNSJ_ISO_E10value_typeET4_T5_PST_SU_PNS1_23onesweep_lookback_stateEbbT6_jjT7_P12ihipStream_tbENKUlT_T0_SI_SN_E_clISD_SD_SD_SD_EEDaS11_S12_SI_SN_EUlS11_E_NS1_11comp_targetILNS1_3genE3ELNS1_11target_archE908ELNS1_3gpuE7ELNS1_3repE0EEENS1_47radix_sort_onesweep_sort_config_static_selectorELNS0_4arch9wavefront6targetE1EEEvSI_.uses_flat_scratch, 0
	.set _ZN7rocprim17ROCPRIM_400000_NS6detail17trampoline_kernelINS0_14default_configENS1_35radix_sort_onesweep_config_selectorIiiEEZZNS1_29radix_sort_onesweep_iterationIS3_Lb1EN6thrust23THRUST_200600_302600_NS6detail15normal_iteratorINS8_10device_ptrIiEEEESD_SD_SD_jNS0_19identity_decomposerENS1_16block_id_wrapperIjLb0EEEEE10hipError_tT1_PNSt15iterator_traitsISI_E10value_typeET2_T3_PNSJ_ISO_E10value_typeET4_T5_PST_SU_PNS1_23onesweep_lookback_stateEbbT6_jjT7_P12ihipStream_tbENKUlT_T0_SI_SN_E_clISD_SD_SD_SD_EEDaS11_S12_SI_SN_EUlS11_E_NS1_11comp_targetILNS1_3genE3ELNS1_11target_archE908ELNS1_3gpuE7ELNS1_3repE0EEENS1_47radix_sort_onesweep_sort_config_static_selectorELNS0_4arch9wavefront6targetE1EEEvSI_.has_dyn_sized_stack, 0
	.set _ZN7rocprim17ROCPRIM_400000_NS6detail17trampoline_kernelINS0_14default_configENS1_35radix_sort_onesweep_config_selectorIiiEEZZNS1_29radix_sort_onesweep_iterationIS3_Lb1EN6thrust23THRUST_200600_302600_NS6detail15normal_iteratorINS8_10device_ptrIiEEEESD_SD_SD_jNS0_19identity_decomposerENS1_16block_id_wrapperIjLb0EEEEE10hipError_tT1_PNSt15iterator_traitsISI_E10value_typeET2_T3_PNSJ_ISO_E10value_typeET4_T5_PST_SU_PNS1_23onesweep_lookback_stateEbbT6_jjT7_P12ihipStream_tbENKUlT_T0_SI_SN_E_clISD_SD_SD_SD_EEDaS11_S12_SI_SN_EUlS11_E_NS1_11comp_targetILNS1_3genE3ELNS1_11target_archE908ELNS1_3gpuE7ELNS1_3repE0EEENS1_47radix_sort_onesweep_sort_config_static_selectorELNS0_4arch9wavefront6targetE1EEEvSI_.has_recursion, 0
	.set _ZN7rocprim17ROCPRIM_400000_NS6detail17trampoline_kernelINS0_14default_configENS1_35radix_sort_onesweep_config_selectorIiiEEZZNS1_29radix_sort_onesweep_iterationIS3_Lb1EN6thrust23THRUST_200600_302600_NS6detail15normal_iteratorINS8_10device_ptrIiEEEESD_SD_SD_jNS0_19identity_decomposerENS1_16block_id_wrapperIjLb0EEEEE10hipError_tT1_PNSt15iterator_traitsISI_E10value_typeET2_T3_PNSJ_ISO_E10value_typeET4_T5_PST_SU_PNS1_23onesweep_lookback_stateEbbT6_jjT7_P12ihipStream_tbENKUlT_T0_SI_SN_E_clISD_SD_SD_SD_EEDaS11_S12_SI_SN_EUlS11_E_NS1_11comp_targetILNS1_3genE3ELNS1_11target_archE908ELNS1_3gpuE7ELNS1_3repE0EEENS1_47radix_sort_onesweep_sort_config_static_selectorELNS0_4arch9wavefront6targetE1EEEvSI_.has_indirect_call, 0
	.section	.AMDGPU.csdata,"",@progbits
; Kernel info:
; codeLenInByte = 0
; TotalNumSgprs: 6
; NumVgprs: 0
; NumAgprs: 0
; TotalNumVgprs: 0
; ScratchSize: 0
; MemoryBound: 0
; FloatMode: 240
; IeeeMode: 1
; LDSByteSize: 0 bytes/workgroup (compile time only)
; SGPRBlocks: 0
; VGPRBlocks: 0
; NumSGPRsForWavesPerEU: 6
; NumVGPRsForWavesPerEU: 1
; AccumOffset: 4
; Occupancy: 8
; WaveLimiterHint : 0
; COMPUTE_PGM_RSRC2:SCRATCH_EN: 0
; COMPUTE_PGM_RSRC2:USER_SGPR: 2
; COMPUTE_PGM_RSRC2:TRAP_HANDLER: 0
; COMPUTE_PGM_RSRC2:TGID_X_EN: 1
; COMPUTE_PGM_RSRC2:TGID_Y_EN: 0
; COMPUTE_PGM_RSRC2:TGID_Z_EN: 0
; COMPUTE_PGM_RSRC2:TIDIG_COMP_CNT: 0
; COMPUTE_PGM_RSRC3_GFX90A:ACCUM_OFFSET: 0
; COMPUTE_PGM_RSRC3_GFX90A:TG_SPLIT: 0
	.section	.text._ZN7rocprim17ROCPRIM_400000_NS6detail17trampoline_kernelINS0_14default_configENS1_35radix_sort_onesweep_config_selectorIiiEEZZNS1_29radix_sort_onesweep_iterationIS3_Lb1EN6thrust23THRUST_200600_302600_NS6detail15normal_iteratorINS8_10device_ptrIiEEEESD_SD_SD_jNS0_19identity_decomposerENS1_16block_id_wrapperIjLb0EEEEE10hipError_tT1_PNSt15iterator_traitsISI_E10value_typeET2_T3_PNSJ_ISO_E10value_typeET4_T5_PST_SU_PNS1_23onesweep_lookback_stateEbbT6_jjT7_P12ihipStream_tbENKUlT_T0_SI_SN_E_clISD_SD_SD_SD_EEDaS11_S12_SI_SN_EUlS11_E_NS1_11comp_targetILNS1_3genE10ELNS1_11target_archE1201ELNS1_3gpuE5ELNS1_3repE0EEENS1_47radix_sort_onesweep_sort_config_static_selectorELNS0_4arch9wavefront6targetE1EEEvSI_,"axG",@progbits,_ZN7rocprim17ROCPRIM_400000_NS6detail17trampoline_kernelINS0_14default_configENS1_35radix_sort_onesweep_config_selectorIiiEEZZNS1_29radix_sort_onesweep_iterationIS3_Lb1EN6thrust23THRUST_200600_302600_NS6detail15normal_iteratorINS8_10device_ptrIiEEEESD_SD_SD_jNS0_19identity_decomposerENS1_16block_id_wrapperIjLb0EEEEE10hipError_tT1_PNSt15iterator_traitsISI_E10value_typeET2_T3_PNSJ_ISO_E10value_typeET4_T5_PST_SU_PNS1_23onesweep_lookback_stateEbbT6_jjT7_P12ihipStream_tbENKUlT_T0_SI_SN_E_clISD_SD_SD_SD_EEDaS11_S12_SI_SN_EUlS11_E_NS1_11comp_targetILNS1_3genE10ELNS1_11target_archE1201ELNS1_3gpuE5ELNS1_3repE0EEENS1_47radix_sort_onesweep_sort_config_static_selectorELNS0_4arch9wavefront6targetE1EEEvSI_,comdat
	.protected	_ZN7rocprim17ROCPRIM_400000_NS6detail17trampoline_kernelINS0_14default_configENS1_35radix_sort_onesweep_config_selectorIiiEEZZNS1_29radix_sort_onesweep_iterationIS3_Lb1EN6thrust23THRUST_200600_302600_NS6detail15normal_iteratorINS8_10device_ptrIiEEEESD_SD_SD_jNS0_19identity_decomposerENS1_16block_id_wrapperIjLb0EEEEE10hipError_tT1_PNSt15iterator_traitsISI_E10value_typeET2_T3_PNSJ_ISO_E10value_typeET4_T5_PST_SU_PNS1_23onesweep_lookback_stateEbbT6_jjT7_P12ihipStream_tbENKUlT_T0_SI_SN_E_clISD_SD_SD_SD_EEDaS11_S12_SI_SN_EUlS11_E_NS1_11comp_targetILNS1_3genE10ELNS1_11target_archE1201ELNS1_3gpuE5ELNS1_3repE0EEENS1_47radix_sort_onesweep_sort_config_static_selectorELNS0_4arch9wavefront6targetE1EEEvSI_ ; -- Begin function _ZN7rocprim17ROCPRIM_400000_NS6detail17trampoline_kernelINS0_14default_configENS1_35radix_sort_onesweep_config_selectorIiiEEZZNS1_29radix_sort_onesweep_iterationIS3_Lb1EN6thrust23THRUST_200600_302600_NS6detail15normal_iteratorINS8_10device_ptrIiEEEESD_SD_SD_jNS0_19identity_decomposerENS1_16block_id_wrapperIjLb0EEEEE10hipError_tT1_PNSt15iterator_traitsISI_E10value_typeET2_T3_PNSJ_ISO_E10value_typeET4_T5_PST_SU_PNS1_23onesweep_lookback_stateEbbT6_jjT7_P12ihipStream_tbENKUlT_T0_SI_SN_E_clISD_SD_SD_SD_EEDaS11_S12_SI_SN_EUlS11_E_NS1_11comp_targetILNS1_3genE10ELNS1_11target_archE1201ELNS1_3gpuE5ELNS1_3repE0EEENS1_47radix_sort_onesweep_sort_config_static_selectorELNS0_4arch9wavefront6targetE1EEEvSI_
	.globl	_ZN7rocprim17ROCPRIM_400000_NS6detail17trampoline_kernelINS0_14default_configENS1_35radix_sort_onesweep_config_selectorIiiEEZZNS1_29radix_sort_onesweep_iterationIS3_Lb1EN6thrust23THRUST_200600_302600_NS6detail15normal_iteratorINS8_10device_ptrIiEEEESD_SD_SD_jNS0_19identity_decomposerENS1_16block_id_wrapperIjLb0EEEEE10hipError_tT1_PNSt15iterator_traitsISI_E10value_typeET2_T3_PNSJ_ISO_E10value_typeET4_T5_PST_SU_PNS1_23onesweep_lookback_stateEbbT6_jjT7_P12ihipStream_tbENKUlT_T0_SI_SN_E_clISD_SD_SD_SD_EEDaS11_S12_SI_SN_EUlS11_E_NS1_11comp_targetILNS1_3genE10ELNS1_11target_archE1201ELNS1_3gpuE5ELNS1_3repE0EEENS1_47radix_sort_onesweep_sort_config_static_selectorELNS0_4arch9wavefront6targetE1EEEvSI_
	.p2align	8
	.type	_ZN7rocprim17ROCPRIM_400000_NS6detail17trampoline_kernelINS0_14default_configENS1_35radix_sort_onesweep_config_selectorIiiEEZZNS1_29radix_sort_onesweep_iterationIS3_Lb1EN6thrust23THRUST_200600_302600_NS6detail15normal_iteratorINS8_10device_ptrIiEEEESD_SD_SD_jNS0_19identity_decomposerENS1_16block_id_wrapperIjLb0EEEEE10hipError_tT1_PNSt15iterator_traitsISI_E10value_typeET2_T3_PNSJ_ISO_E10value_typeET4_T5_PST_SU_PNS1_23onesweep_lookback_stateEbbT6_jjT7_P12ihipStream_tbENKUlT_T0_SI_SN_E_clISD_SD_SD_SD_EEDaS11_S12_SI_SN_EUlS11_E_NS1_11comp_targetILNS1_3genE10ELNS1_11target_archE1201ELNS1_3gpuE5ELNS1_3repE0EEENS1_47radix_sort_onesweep_sort_config_static_selectorELNS0_4arch9wavefront6targetE1EEEvSI_,@function
_ZN7rocprim17ROCPRIM_400000_NS6detail17trampoline_kernelINS0_14default_configENS1_35radix_sort_onesweep_config_selectorIiiEEZZNS1_29radix_sort_onesweep_iterationIS3_Lb1EN6thrust23THRUST_200600_302600_NS6detail15normal_iteratorINS8_10device_ptrIiEEEESD_SD_SD_jNS0_19identity_decomposerENS1_16block_id_wrapperIjLb0EEEEE10hipError_tT1_PNSt15iterator_traitsISI_E10value_typeET2_T3_PNSJ_ISO_E10value_typeET4_T5_PST_SU_PNS1_23onesweep_lookback_stateEbbT6_jjT7_P12ihipStream_tbENKUlT_T0_SI_SN_E_clISD_SD_SD_SD_EEDaS11_S12_SI_SN_EUlS11_E_NS1_11comp_targetILNS1_3genE10ELNS1_11target_archE1201ELNS1_3gpuE5ELNS1_3repE0EEENS1_47radix_sort_onesweep_sort_config_static_selectorELNS0_4arch9wavefront6targetE1EEEvSI_: ; @_ZN7rocprim17ROCPRIM_400000_NS6detail17trampoline_kernelINS0_14default_configENS1_35radix_sort_onesweep_config_selectorIiiEEZZNS1_29radix_sort_onesweep_iterationIS3_Lb1EN6thrust23THRUST_200600_302600_NS6detail15normal_iteratorINS8_10device_ptrIiEEEESD_SD_SD_jNS0_19identity_decomposerENS1_16block_id_wrapperIjLb0EEEEE10hipError_tT1_PNSt15iterator_traitsISI_E10value_typeET2_T3_PNSJ_ISO_E10value_typeET4_T5_PST_SU_PNS1_23onesweep_lookback_stateEbbT6_jjT7_P12ihipStream_tbENKUlT_T0_SI_SN_E_clISD_SD_SD_SD_EEDaS11_S12_SI_SN_EUlS11_E_NS1_11comp_targetILNS1_3genE10ELNS1_11target_archE1201ELNS1_3gpuE5ELNS1_3repE0EEENS1_47radix_sort_onesweep_sort_config_static_selectorELNS0_4arch9wavefront6targetE1EEEvSI_
; %bb.0:
	.section	.rodata,"a",@progbits
	.p2align	6, 0x0
	.amdhsa_kernel _ZN7rocprim17ROCPRIM_400000_NS6detail17trampoline_kernelINS0_14default_configENS1_35radix_sort_onesweep_config_selectorIiiEEZZNS1_29radix_sort_onesweep_iterationIS3_Lb1EN6thrust23THRUST_200600_302600_NS6detail15normal_iteratorINS8_10device_ptrIiEEEESD_SD_SD_jNS0_19identity_decomposerENS1_16block_id_wrapperIjLb0EEEEE10hipError_tT1_PNSt15iterator_traitsISI_E10value_typeET2_T3_PNSJ_ISO_E10value_typeET4_T5_PST_SU_PNS1_23onesweep_lookback_stateEbbT6_jjT7_P12ihipStream_tbENKUlT_T0_SI_SN_E_clISD_SD_SD_SD_EEDaS11_S12_SI_SN_EUlS11_E_NS1_11comp_targetILNS1_3genE10ELNS1_11target_archE1201ELNS1_3gpuE5ELNS1_3repE0EEENS1_47radix_sort_onesweep_sort_config_static_selectorELNS0_4arch9wavefront6targetE1EEEvSI_
		.amdhsa_group_segment_fixed_size 0
		.amdhsa_private_segment_fixed_size 0
		.amdhsa_kernarg_size 88
		.amdhsa_user_sgpr_count 2
		.amdhsa_user_sgpr_dispatch_ptr 0
		.amdhsa_user_sgpr_queue_ptr 0
		.amdhsa_user_sgpr_kernarg_segment_ptr 1
		.amdhsa_user_sgpr_dispatch_id 0
		.amdhsa_user_sgpr_kernarg_preload_length 0
		.amdhsa_user_sgpr_kernarg_preload_offset 0
		.amdhsa_user_sgpr_private_segment_size 0
		.amdhsa_uses_dynamic_stack 0
		.amdhsa_enable_private_segment 0
		.amdhsa_system_sgpr_workgroup_id_x 1
		.amdhsa_system_sgpr_workgroup_id_y 0
		.amdhsa_system_sgpr_workgroup_id_z 0
		.amdhsa_system_sgpr_workgroup_info 0
		.amdhsa_system_vgpr_workitem_id 0
		.amdhsa_next_free_vgpr 1
		.amdhsa_next_free_sgpr 0
		.amdhsa_accum_offset 4
		.amdhsa_reserve_vcc 0
		.amdhsa_float_round_mode_32 0
		.amdhsa_float_round_mode_16_64 0
		.amdhsa_float_denorm_mode_32 3
		.amdhsa_float_denorm_mode_16_64 3
		.amdhsa_dx10_clamp 1
		.amdhsa_ieee_mode 1
		.amdhsa_fp16_overflow 0
		.amdhsa_tg_split 0
		.amdhsa_exception_fp_ieee_invalid_op 0
		.amdhsa_exception_fp_denorm_src 0
		.amdhsa_exception_fp_ieee_div_zero 0
		.amdhsa_exception_fp_ieee_overflow 0
		.amdhsa_exception_fp_ieee_underflow 0
		.amdhsa_exception_fp_ieee_inexact 0
		.amdhsa_exception_int_div_zero 0
	.end_amdhsa_kernel
	.section	.text._ZN7rocprim17ROCPRIM_400000_NS6detail17trampoline_kernelINS0_14default_configENS1_35radix_sort_onesweep_config_selectorIiiEEZZNS1_29radix_sort_onesweep_iterationIS3_Lb1EN6thrust23THRUST_200600_302600_NS6detail15normal_iteratorINS8_10device_ptrIiEEEESD_SD_SD_jNS0_19identity_decomposerENS1_16block_id_wrapperIjLb0EEEEE10hipError_tT1_PNSt15iterator_traitsISI_E10value_typeET2_T3_PNSJ_ISO_E10value_typeET4_T5_PST_SU_PNS1_23onesweep_lookback_stateEbbT6_jjT7_P12ihipStream_tbENKUlT_T0_SI_SN_E_clISD_SD_SD_SD_EEDaS11_S12_SI_SN_EUlS11_E_NS1_11comp_targetILNS1_3genE10ELNS1_11target_archE1201ELNS1_3gpuE5ELNS1_3repE0EEENS1_47radix_sort_onesweep_sort_config_static_selectorELNS0_4arch9wavefront6targetE1EEEvSI_,"axG",@progbits,_ZN7rocprim17ROCPRIM_400000_NS6detail17trampoline_kernelINS0_14default_configENS1_35radix_sort_onesweep_config_selectorIiiEEZZNS1_29radix_sort_onesweep_iterationIS3_Lb1EN6thrust23THRUST_200600_302600_NS6detail15normal_iteratorINS8_10device_ptrIiEEEESD_SD_SD_jNS0_19identity_decomposerENS1_16block_id_wrapperIjLb0EEEEE10hipError_tT1_PNSt15iterator_traitsISI_E10value_typeET2_T3_PNSJ_ISO_E10value_typeET4_T5_PST_SU_PNS1_23onesweep_lookback_stateEbbT6_jjT7_P12ihipStream_tbENKUlT_T0_SI_SN_E_clISD_SD_SD_SD_EEDaS11_S12_SI_SN_EUlS11_E_NS1_11comp_targetILNS1_3genE10ELNS1_11target_archE1201ELNS1_3gpuE5ELNS1_3repE0EEENS1_47radix_sort_onesweep_sort_config_static_selectorELNS0_4arch9wavefront6targetE1EEEvSI_,comdat
.Lfunc_end1870:
	.size	_ZN7rocprim17ROCPRIM_400000_NS6detail17trampoline_kernelINS0_14default_configENS1_35radix_sort_onesweep_config_selectorIiiEEZZNS1_29radix_sort_onesweep_iterationIS3_Lb1EN6thrust23THRUST_200600_302600_NS6detail15normal_iteratorINS8_10device_ptrIiEEEESD_SD_SD_jNS0_19identity_decomposerENS1_16block_id_wrapperIjLb0EEEEE10hipError_tT1_PNSt15iterator_traitsISI_E10value_typeET2_T3_PNSJ_ISO_E10value_typeET4_T5_PST_SU_PNS1_23onesweep_lookback_stateEbbT6_jjT7_P12ihipStream_tbENKUlT_T0_SI_SN_E_clISD_SD_SD_SD_EEDaS11_S12_SI_SN_EUlS11_E_NS1_11comp_targetILNS1_3genE10ELNS1_11target_archE1201ELNS1_3gpuE5ELNS1_3repE0EEENS1_47radix_sort_onesweep_sort_config_static_selectorELNS0_4arch9wavefront6targetE1EEEvSI_, .Lfunc_end1870-_ZN7rocprim17ROCPRIM_400000_NS6detail17trampoline_kernelINS0_14default_configENS1_35radix_sort_onesweep_config_selectorIiiEEZZNS1_29radix_sort_onesweep_iterationIS3_Lb1EN6thrust23THRUST_200600_302600_NS6detail15normal_iteratorINS8_10device_ptrIiEEEESD_SD_SD_jNS0_19identity_decomposerENS1_16block_id_wrapperIjLb0EEEEE10hipError_tT1_PNSt15iterator_traitsISI_E10value_typeET2_T3_PNSJ_ISO_E10value_typeET4_T5_PST_SU_PNS1_23onesweep_lookback_stateEbbT6_jjT7_P12ihipStream_tbENKUlT_T0_SI_SN_E_clISD_SD_SD_SD_EEDaS11_S12_SI_SN_EUlS11_E_NS1_11comp_targetILNS1_3genE10ELNS1_11target_archE1201ELNS1_3gpuE5ELNS1_3repE0EEENS1_47radix_sort_onesweep_sort_config_static_selectorELNS0_4arch9wavefront6targetE1EEEvSI_
                                        ; -- End function
	.set _ZN7rocprim17ROCPRIM_400000_NS6detail17trampoline_kernelINS0_14default_configENS1_35radix_sort_onesweep_config_selectorIiiEEZZNS1_29radix_sort_onesweep_iterationIS3_Lb1EN6thrust23THRUST_200600_302600_NS6detail15normal_iteratorINS8_10device_ptrIiEEEESD_SD_SD_jNS0_19identity_decomposerENS1_16block_id_wrapperIjLb0EEEEE10hipError_tT1_PNSt15iterator_traitsISI_E10value_typeET2_T3_PNSJ_ISO_E10value_typeET4_T5_PST_SU_PNS1_23onesweep_lookback_stateEbbT6_jjT7_P12ihipStream_tbENKUlT_T0_SI_SN_E_clISD_SD_SD_SD_EEDaS11_S12_SI_SN_EUlS11_E_NS1_11comp_targetILNS1_3genE10ELNS1_11target_archE1201ELNS1_3gpuE5ELNS1_3repE0EEENS1_47radix_sort_onesweep_sort_config_static_selectorELNS0_4arch9wavefront6targetE1EEEvSI_.num_vgpr, 0
	.set _ZN7rocprim17ROCPRIM_400000_NS6detail17trampoline_kernelINS0_14default_configENS1_35radix_sort_onesweep_config_selectorIiiEEZZNS1_29radix_sort_onesweep_iterationIS3_Lb1EN6thrust23THRUST_200600_302600_NS6detail15normal_iteratorINS8_10device_ptrIiEEEESD_SD_SD_jNS0_19identity_decomposerENS1_16block_id_wrapperIjLb0EEEEE10hipError_tT1_PNSt15iterator_traitsISI_E10value_typeET2_T3_PNSJ_ISO_E10value_typeET4_T5_PST_SU_PNS1_23onesweep_lookback_stateEbbT6_jjT7_P12ihipStream_tbENKUlT_T0_SI_SN_E_clISD_SD_SD_SD_EEDaS11_S12_SI_SN_EUlS11_E_NS1_11comp_targetILNS1_3genE10ELNS1_11target_archE1201ELNS1_3gpuE5ELNS1_3repE0EEENS1_47radix_sort_onesweep_sort_config_static_selectorELNS0_4arch9wavefront6targetE1EEEvSI_.num_agpr, 0
	.set _ZN7rocprim17ROCPRIM_400000_NS6detail17trampoline_kernelINS0_14default_configENS1_35radix_sort_onesweep_config_selectorIiiEEZZNS1_29radix_sort_onesweep_iterationIS3_Lb1EN6thrust23THRUST_200600_302600_NS6detail15normal_iteratorINS8_10device_ptrIiEEEESD_SD_SD_jNS0_19identity_decomposerENS1_16block_id_wrapperIjLb0EEEEE10hipError_tT1_PNSt15iterator_traitsISI_E10value_typeET2_T3_PNSJ_ISO_E10value_typeET4_T5_PST_SU_PNS1_23onesweep_lookback_stateEbbT6_jjT7_P12ihipStream_tbENKUlT_T0_SI_SN_E_clISD_SD_SD_SD_EEDaS11_S12_SI_SN_EUlS11_E_NS1_11comp_targetILNS1_3genE10ELNS1_11target_archE1201ELNS1_3gpuE5ELNS1_3repE0EEENS1_47radix_sort_onesweep_sort_config_static_selectorELNS0_4arch9wavefront6targetE1EEEvSI_.numbered_sgpr, 0
	.set _ZN7rocprim17ROCPRIM_400000_NS6detail17trampoline_kernelINS0_14default_configENS1_35radix_sort_onesweep_config_selectorIiiEEZZNS1_29radix_sort_onesweep_iterationIS3_Lb1EN6thrust23THRUST_200600_302600_NS6detail15normal_iteratorINS8_10device_ptrIiEEEESD_SD_SD_jNS0_19identity_decomposerENS1_16block_id_wrapperIjLb0EEEEE10hipError_tT1_PNSt15iterator_traitsISI_E10value_typeET2_T3_PNSJ_ISO_E10value_typeET4_T5_PST_SU_PNS1_23onesweep_lookback_stateEbbT6_jjT7_P12ihipStream_tbENKUlT_T0_SI_SN_E_clISD_SD_SD_SD_EEDaS11_S12_SI_SN_EUlS11_E_NS1_11comp_targetILNS1_3genE10ELNS1_11target_archE1201ELNS1_3gpuE5ELNS1_3repE0EEENS1_47radix_sort_onesweep_sort_config_static_selectorELNS0_4arch9wavefront6targetE1EEEvSI_.num_named_barrier, 0
	.set _ZN7rocprim17ROCPRIM_400000_NS6detail17trampoline_kernelINS0_14default_configENS1_35radix_sort_onesweep_config_selectorIiiEEZZNS1_29radix_sort_onesweep_iterationIS3_Lb1EN6thrust23THRUST_200600_302600_NS6detail15normal_iteratorINS8_10device_ptrIiEEEESD_SD_SD_jNS0_19identity_decomposerENS1_16block_id_wrapperIjLb0EEEEE10hipError_tT1_PNSt15iterator_traitsISI_E10value_typeET2_T3_PNSJ_ISO_E10value_typeET4_T5_PST_SU_PNS1_23onesweep_lookback_stateEbbT6_jjT7_P12ihipStream_tbENKUlT_T0_SI_SN_E_clISD_SD_SD_SD_EEDaS11_S12_SI_SN_EUlS11_E_NS1_11comp_targetILNS1_3genE10ELNS1_11target_archE1201ELNS1_3gpuE5ELNS1_3repE0EEENS1_47radix_sort_onesweep_sort_config_static_selectorELNS0_4arch9wavefront6targetE1EEEvSI_.private_seg_size, 0
	.set _ZN7rocprim17ROCPRIM_400000_NS6detail17trampoline_kernelINS0_14default_configENS1_35radix_sort_onesweep_config_selectorIiiEEZZNS1_29radix_sort_onesweep_iterationIS3_Lb1EN6thrust23THRUST_200600_302600_NS6detail15normal_iteratorINS8_10device_ptrIiEEEESD_SD_SD_jNS0_19identity_decomposerENS1_16block_id_wrapperIjLb0EEEEE10hipError_tT1_PNSt15iterator_traitsISI_E10value_typeET2_T3_PNSJ_ISO_E10value_typeET4_T5_PST_SU_PNS1_23onesweep_lookback_stateEbbT6_jjT7_P12ihipStream_tbENKUlT_T0_SI_SN_E_clISD_SD_SD_SD_EEDaS11_S12_SI_SN_EUlS11_E_NS1_11comp_targetILNS1_3genE10ELNS1_11target_archE1201ELNS1_3gpuE5ELNS1_3repE0EEENS1_47radix_sort_onesweep_sort_config_static_selectorELNS0_4arch9wavefront6targetE1EEEvSI_.uses_vcc, 0
	.set _ZN7rocprim17ROCPRIM_400000_NS6detail17trampoline_kernelINS0_14default_configENS1_35radix_sort_onesweep_config_selectorIiiEEZZNS1_29radix_sort_onesweep_iterationIS3_Lb1EN6thrust23THRUST_200600_302600_NS6detail15normal_iteratorINS8_10device_ptrIiEEEESD_SD_SD_jNS0_19identity_decomposerENS1_16block_id_wrapperIjLb0EEEEE10hipError_tT1_PNSt15iterator_traitsISI_E10value_typeET2_T3_PNSJ_ISO_E10value_typeET4_T5_PST_SU_PNS1_23onesweep_lookback_stateEbbT6_jjT7_P12ihipStream_tbENKUlT_T0_SI_SN_E_clISD_SD_SD_SD_EEDaS11_S12_SI_SN_EUlS11_E_NS1_11comp_targetILNS1_3genE10ELNS1_11target_archE1201ELNS1_3gpuE5ELNS1_3repE0EEENS1_47radix_sort_onesweep_sort_config_static_selectorELNS0_4arch9wavefront6targetE1EEEvSI_.uses_flat_scratch, 0
	.set _ZN7rocprim17ROCPRIM_400000_NS6detail17trampoline_kernelINS0_14default_configENS1_35radix_sort_onesweep_config_selectorIiiEEZZNS1_29radix_sort_onesweep_iterationIS3_Lb1EN6thrust23THRUST_200600_302600_NS6detail15normal_iteratorINS8_10device_ptrIiEEEESD_SD_SD_jNS0_19identity_decomposerENS1_16block_id_wrapperIjLb0EEEEE10hipError_tT1_PNSt15iterator_traitsISI_E10value_typeET2_T3_PNSJ_ISO_E10value_typeET4_T5_PST_SU_PNS1_23onesweep_lookback_stateEbbT6_jjT7_P12ihipStream_tbENKUlT_T0_SI_SN_E_clISD_SD_SD_SD_EEDaS11_S12_SI_SN_EUlS11_E_NS1_11comp_targetILNS1_3genE10ELNS1_11target_archE1201ELNS1_3gpuE5ELNS1_3repE0EEENS1_47radix_sort_onesweep_sort_config_static_selectorELNS0_4arch9wavefront6targetE1EEEvSI_.has_dyn_sized_stack, 0
	.set _ZN7rocprim17ROCPRIM_400000_NS6detail17trampoline_kernelINS0_14default_configENS1_35radix_sort_onesweep_config_selectorIiiEEZZNS1_29radix_sort_onesweep_iterationIS3_Lb1EN6thrust23THRUST_200600_302600_NS6detail15normal_iteratorINS8_10device_ptrIiEEEESD_SD_SD_jNS0_19identity_decomposerENS1_16block_id_wrapperIjLb0EEEEE10hipError_tT1_PNSt15iterator_traitsISI_E10value_typeET2_T3_PNSJ_ISO_E10value_typeET4_T5_PST_SU_PNS1_23onesweep_lookback_stateEbbT6_jjT7_P12ihipStream_tbENKUlT_T0_SI_SN_E_clISD_SD_SD_SD_EEDaS11_S12_SI_SN_EUlS11_E_NS1_11comp_targetILNS1_3genE10ELNS1_11target_archE1201ELNS1_3gpuE5ELNS1_3repE0EEENS1_47radix_sort_onesweep_sort_config_static_selectorELNS0_4arch9wavefront6targetE1EEEvSI_.has_recursion, 0
	.set _ZN7rocprim17ROCPRIM_400000_NS6detail17trampoline_kernelINS0_14default_configENS1_35radix_sort_onesweep_config_selectorIiiEEZZNS1_29radix_sort_onesweep_iterationIS3_Lb1EN6thrust23THRUST_200600_302600_NS6detail15normal_iteratorINS8_10device_ptrIiEEEESD_SD_SD_jNS0_19identity_decomposerENS1_16block_id_wrapperIjLb0EEEEE10hipError_tT1_PNSt15iterator_traitsISI_E10value_typeET2_T3_PNSJ_ISO_E10value_typeET4_T5_PST_SU_PNS1_23onesweep_lookback_stateEbbT6_jjT7_P12ihipStream_tbENKUlT_T0_SI_SN_E_clISD_SD_SD_SD_EEDaS11_S12_SI_SN_EUlS11_E_NS1_11comp_targetILNS1_3genE10ELNS1_11target_archE1201ELNS1_3gpuE5ELNS1_3repE0EEENS1_47radix_sort_onesweep_sort_config_static_selectorELNS0_4arch9wavefront6targetE1EEEvSI_.has_indirect_call, 0
	.section	.AMDGPU.csdata,"",@progbits
; Kernel info:
; codeLenInByte = 0
; TotalNumSgprs: 6
; NumVgprs: 0
; NumAgprs: 0
; TotalNumVgprs: 0
; ScratchSize: 0
; MemoryBound: 0
; FloatMode: 240
; IeeeMode: 1
; LDSByteSize: 0 bytes/workgroup (compile time only)
; SGPRBlocks: 0
; VGPRBlocks: 0
; NumSGPRsForWavesPerEU: 6
; NumVGPRsForWavesPerEU: 1
; AccumOffset: 4
; Occupancy: 8
; WaveLimiterHint : 0
; COMPUTE_PGM_RSRC2:SCRATCH_EN: 0
; COMPUTE_PGM_RSRC2:USER_SGPR: 2
; COMPUTE_PGM_RSRC2:TRAP_HANDLER: 0
; COMPUTE_PGM_RSRC2:TGID_X_EN: 1
; COMPUTE_PGM_RSRC2:TGID_Y_EN: 0
; COMPUTE_PGM_RSRC2:TGID_Z_EN: 0
; COMPUTE_PGM_RSRC2:TIDIG_COMP_CNT: 0
; COMPUTE_PGM_RSRC3_GFX90A:ACCUM_OFFSET: 0
; COMPUTE_PGM_RSRC3_GFX90A:TG_SPLIT: 0
	.section	.text._ZN7rocprim17ROCPRIM_400000_NS6detail17trampoline_kernelINS0_14default_configENS1_35radix_sort_onesweep_config_selectorIiiEEZZNS1_29radix_sort_onesweep_iterationIS3_Lb1EN6thrust23THRUST_200600_302600_NS6detail15normal_iteratorINS8_10device_ptrIiEEEESD_SD_SD_jNS0_19identity_decomposerENS1_16block_id_wrapperIjLb0EEEEE10hipError_tT1_PNSt15iterator_traitsISI_E10value_typeET2_T3_PNSJ_ISO_E10value_typeET4_T5_PST_SU_PNS1_23onesweep_lookback_stateEbbT6_jjT7_P12ihipStream_tbENKUlT_T0_SI_SN_E_clISD_SD_SD_SD_EEDaS11_S12_SI_SN_EUlS11_E_NS1_11comp_targetILNS1_3genE9ELNS1_11target_archE1100ELNS1_3gpuE3ELNS1_3repE0EEENS1_47radix_sort_onesweep_sort_config_static_selectorELNS0_4arch9wavefront6targetE1EEEvSI_,"axG",@progbits,_ZN7rocprim17ROCPRIM_400000_NS6detail17trampoline_kernelINS0_14default_configENS1_35radix_sort_onesweep_config_selectorIiiEEZZNS1_29radix_sort_onesweep_iterationIS3_Lb1EN6thrust23THRUST_200600_302600_NS6detail15normal_iteratorINS8_10device_ptrIiEEEESD_SD_SD_jNS0_19identity_decomposerENS1_16block_id_wrapperIjLb0EEEEE10hipError_tT1_PNSt15iterator_traitsISI_E10value_typeET2_T3_PNSJ_ISO_E10value_typeET4_T5_PST_SU_PNS1_23onesweep_lookback_stateEbbT6_jjT7_P12ihipStream_tbENKUlT_T0_SI_SN_E_clISD_SD_SD_SD_EEDaS11_S12_SI_SN_EUlS11_E_NS1_11comp_targetILNS1_3genE9ELNS1_11target_archE1100ELNS1_3gpuE3ELNS1_3repE0EEENS1_47radix_sort_onesweep_sort_config_static_selectorELNS0_4arch9wavefront6targetE1EEEvSI_,comdat
	.protected	_ZN7rocprim17ROCPRIM_400000_NS6detail17trampoline_kernelINS0_14default_configENS1_35radix_sort_onesweep_config_selectorIiiEEZZNS1_29radix_sort_onesweep_iterationIS3_Lb1EN6thrust23THRUST_200600_302600_NS6detail15normal_iteratorINS8_10device_ptrIiEEEESD_SD_SD_jNS0_19identity_decomposerENS1_16block_id_wrapperIjLb0EEEEE10hipError_tT1_PNSt15iterator_traitsISI_E10value_typeET2_T3_PNSJ_ISO_E10value_typeET4_T5_PST_SU_PNS1_23onesweep_lookback_stateEbbT6_jjT7_P12ihipStream_tbENKUlT_T0_SI_SN_E_clISD_SD_SD_SD_EEDaS11_S12_SI_SN_EUlS11_E_NS1_11comp_targetILNS1_3genE9ELNS1_11target_archE1100ELNS1_3gpuE3ELNS1_3repE0EEENS1_47radix_sort_onesweep_sort_config_static_selectorELNS0_4arch9wavefront6targetE1EEEvSI_ ; -- Begin function _ZN7rocprim17ROCPRIM_400000_NS6detail17trampoline_kernelINS0_14default_configENS1_35radix_sort_onesweep_config_selectorIiiEEZZNS1_29radix_sort_onesweep_iterationIS3_Lb1EN6thrust23THRUST_200600_302600_NS6detail15normal_iteratorINS8_10device_ptrIiEEEESD_SD_SD_jNS0_19identity_decomposerENS1_16block_id_wrapperIjLb0EEEEE10hipError_tT1_PNSt15iterator_traitsISI_E10value_typeET2_T3_PNSJ_ISO_E10value_typeET4_T5_PST_SU_PNS1_23onesweep_lookback_stateEbbT6_jjT7_P12ihipStream_tbENKUlT_T0_SI_SN_E_clISD_SD_SD_SD_EEDaS11_S12_SI_SN_EUlS11_E_NS1_11comp_targetILNS1_3genE9ELNS1_11target_archE1100ELNS1_3gpuE3ELNS1_3repE0EEENS1_47radix_sort_onesweep_sort_config_static_selectorELNS0_4arch9wavefront6targetE1EEEvSI_
	.globl	_ZN7rocprim17ROCPRIM_400000_NS6detail17trampoline_kernelINS0_14default_configENS1_35radix_sort_onesweep_config_selectorIiiEEZZNS1_29radix_sort_onesweep_iterationIS3_Lb1EN6thrust23THRUST_200600_302600_NS6detail15normal_iteratorINS8_10device_ptrIiEEEESD_SD_SD_jNS0_19identity_decomposerENS1_16block_id_wrapperIjLb0EEEEE10hipError_tT1_PNSt15iterator_traitsISI_E10value_typeET2_T3_PNSJ_ISO_E10value_typeET4_T5_PST_SU_PNS1_23onesweep_lookback_stateEbbT6_jjT7_P12ihipStream_tbENKUlT_T0_SI_SN_E_clISD_SD_SD_SD_EEDaS11_S12_SI_SN_EUlS11_E_NS1_11comp_targetILNS1_3genE9ELNS1_11target_archE1100ELNS1_3gpuE3ELNS1_3repE0EEENS1_47radix_sort_onesweep_sort_config_static_selectorELNS0_4arch9wavefront6targetE1EEEvSI_
	.p2align	8
	.type	_ZN7rocprim17ROCPRIM_400000_NS6detail17trampoline_kernelINS0_14default_configENS1_35radix_sort_onesweep_config_selectorIiiEEZZNS1_29radix_sort_onesweep_iterationIS3_Lb1EN6thrust23THRUST_200600_302600_NS6detail15normal_iteratorINS8_10device_ptrIiEEEESD_SD_SD_jNS0_19identity_decomposerENS1_16block_id_wrapperIjLb0EEEEE10hipError_tT1_PNSt15iterator_traitsISI_E10value_typeET2_T3_PNSJ_ISO_E10value_typeET4_T5_PST_SU_PNS1_23onesweep_lookback_stateEbbT6_jjT7_P12ihipStream_tbENKUlT_T0_SI_SN_E_clISD_SD_SD_SD_EEDaS11_S12_SI_SN_EUlS11_E_NS1_11comp_targetILNS1_3genE9ELNS1_11target_archE1100ELNS1_3gpuE3ELNS1_3repE0EEENS1_47radix_sort_onesweep_sort_config_static_selectorELNS0_4arch9wavefront6targetE1EEEvSI_,@function
_ZN7rocprim17ROCPRIM_400000_NS6detail17trampoline_kernelINS0_14default_configENS1_35radix_sort_onesweep_config_selectorIiiEEZZNS1_29radix_sort_onesweep_iterationIS3_Lb1EN6thrust23THRUST_200600_302600_NS6detail15normal_iteratorINS8_10device_ptrIiEEEESD_SD_SD_jNS0_19identity_decomposerENS1_16block_id_wrapperIjLb0EEEEE10hipError_tT1_PNSt15iterator_traitsISI_E10value_typeET2_T3_PNSJ_ISO_E10value_typeET4_T5_PST_SU_PNS1_23onesweep_lookback_stateEbbT6_jjT7_P12ihipStream_tbENKUlT_T0_SI_SN_E_clISD_SD_SD_SD_EEDaS11_S12_SI_SN_EUlS11_E_NS1_11comp_targetILNS1_3genE9ELNS1_11target_archE1100ELNS1_3gpuE3ELNS1_3repE0EEENS1_47radix_sort_onesweep_sort_config_static_selectorELNS0_4arch9wavefront6targetE1EEEvSI_: ; @_ZN7rocprim17ROCPRIM_400000_NS6detail17trampoline_kernelINS0_14default_configENS1_35radix_sort_onesweep_config_selectorIiiEEZZNS1_29radix_sort_onesweep_iterationIS3_Lb1EN6thrust23THRUST_200600_302600_NS6detail15normal_iteratorINS8_10device_ptrIiEEEESD_SD_SD_jNS0_19identity_decomposerENS1_16block_id_wrapperIjLb0EEEEE10hipError_tT1_PNSt15iterator_traitsISI_E10value_typeET2_T3_PNSJ_ISO_E10value_typeET4_T5_PST_SU_PNS1_23onesweep_lookback_stateEbbT6_jjT7_P12ihipStream_tbENKUlT_T0_SI_SN_E_clISD_SD_SD_SD_EEDaS11_S12_SI_SN_EUlS11_E_NS1_11comp_targetILNS1_3genE9ELNS1_11target_archE1100ELNS1_3gpuE3ELNS1_3repE0EEENS1_47radix_sort_onesweep_sort_config_static_selectorELNS0_4arch9wavefront6targetE1EEEvSI_
; %bb.0:
	.section	.rodata,"a",@progbits
	.p2align	6, 0x0
	.amdhsa_kernel _ZN7rocprim17ROCPRIM_400000_NS6detail17trampoline_kernelINS0_14default_configENS1_35radix_sort_onesweep_config_selectorIiiEEZZNS1_29radix_sort_onesweep_iterationIS3_Lb1EN6thrust23THRUST_200600_302600_NS6detail15normal_iteratorINS8_10device_ptrIiEEEESD_SD_SD_jNS0_19identity_decomposerENS1_16block_id_wrapperIjLb0EEEEE10hipError_tT1_PNSt15iterator_traitsISI_E10value_typeET2_T3_PNSJ_ISO_E10value_typeET4_T5_PST_SU_PNS1_23onesweep_lookback_stateEbbT6_jjT7_P12ihipStream_tbENKUlT_T0_SI_SN_E_clISD_SD_SD_SD_EEDaS11_S12_SI_SN_EUlS11_E_NS1_11comp_targetILNS1_3genE9ELNS1_11target_archE1100ELNS1_3gpuE3ELNS1_3repE0EEENS1_47radix_sort_onesweep_sort_config_static_selectorELNS0_4arch9wavefront6targetE1EEEvSI_
		.amdhsa_group_segment_fixed_size 0
		.amdhsa_private_segment_fixed_size 0
		.amdhsa_kernarg_size 88
		.amdhsa_user_sgpr_count 2
		.amdhsa_user_sgpr_dispatch_ptr 0
		.amdhsa_user_sgpr_queue_ptr 0
		.amdhsa_user_sgpr_kernarg_segment_ptr 1
		.amdhsa_user_sgpr_dispatch_id 0
		.amdhsa_user_sgpr_kernarg_preload_length 0
		.amdhsa_user_sgpr_kernarg_preload_offset 0
		.amdhsa_user_sgpr_private_segment_size 0
		.amdhsa_uses_dynamic_stack 0
		.amdhsa_enable_private_segment 0
		.amdhsa_system_sgpr_workgroup_id_x 1
		.amdhsa_system_sgpr_workgroup_id_y 0
		.amdhsa_system_sgpr_workgroup_id_z 0
		.amdhsa_system_sgpr_workgroup_info 0
		.amdhsa_system_vgpr_workitem_id 0
		.amdhsa_next_free_vgpr 1
		.amdhsa_next_free_sgpr 0
		.amdhsa_accum_offset 4
		.amdhsa_reserve_vcc 0
		.amdhsa_float_round_mode_32 0
		.amdhsa_float_round_mode_16_64 0
		.amdhsa_float_denorm_mode_32 3
		.amdhsa_float_denorm_mode_16_64 3
		.amdhsa_dx10_clamp 1
		.amdhsa_ieee_mode 1
		.amdhsa_fp16_overflow 0
		.amdhsa_tg_split 0
		.amdhsa_exception_fp_ieee_invalid_op 0
		.amdhsa_exception_fp_denorm_src 0
		.amdhsa_exception_fp_ieee_div_zero 0
		.amdhsa_exception_fp_ieee_overflow 0
		.amdhsa_exception_fp_ieee_underflow 0
		.amdhsa_exception_fp_ieee_inexact 0
		.amdhsa_exception_int_div_zero 0
	.end_amdhsa_kernel
	.section	.text._ZN7rocprim17ROCPRIM_400000_NS6detail17trampoline_kernelINS0_14default_configENS1_35radix_sort_onesweep_config_selectorIiiEEZZNS1_29radix_sort_onesweep_iterationIS3_Lb1EN6thrust23THRUST_200600_302600_NS6detail15normal_iteratorINS8_10device_ptrIiEEEESD_SD_SD_jNS0_19identity_decomposerENS1_16block_id_wrapperIjLb0EEEEE10hipError_tT1_PNSt15iterator_traitsISI_E10value_typeET2_T3_PNSJ_ISO_E10value_typeET4_T5_PST_SU_PNS1_23onesweep_lookback_stateEbbT6_jjT7_P12ihipStream_tbENKUlT_T0_SI_SN_E_clISD_SD_SD_SD_EEDaS11_S12_SI_SN_EUlS11_E_NS1_11comp_targetILNS1_3genE9ELNS1_11target_archE1100ELNS1_3gpuE3ELNS1_3repE0EEENS1_47radix_sort_onesweep_sort_config_static_selectorELNS0_4arch9wavefront6targetE1EEEvSI_,"axG",@progbits,_ZN7rocprim17ROCPRIM_400000_NS6detail17trampoline_kernelINS0_14default_configENS1_35radix_sort_onesweep_config_selectorIiiEEZZNS1_29radix_sort_onesweep_iterationIS3_Lb1EN6thrust23THRUST_200600_302600_NS6detail15normal_iteratorINS8_10device_ptrIiEEEESD_SD_SD_jNS0_19identity_decomposerENS1_16block_id_wrapperIjLb0EEEEE10hipError_tT1_PNSt15iterator_traitsISI_E10value_typeET2_T3_PNSJ_ISO_E10value_typeET4_T5_PST_SU_PNS1_23onesweep_lookback_stateEbbT6_jjT7_P12ihipStream_tbENKUlT_T0_SI_SN_E_clISD_SD_SD_SD_EEDaS11_S12_SI_SN_EUlS11_E_NS1_11comp_targetILNS1_3genE9ELNS1_11target_archE1100ELNS1_3gpuE3ELNS1_3repE0EEENS1_47radix_sort_onesweep_sort_config_static_selectorELNS0_4arch9wavefront6targetE1EEEvSI_,comdat
.Lfunc_end1871:
	.size	_ZN7rocprim17ROCPRIM_400000_NS6detail17trampoline_kernelINS0_14default_configENS1_35radix_sort_onesweep_config_selectorIiiEEZZNS1_29radix_sort_onesweep_iterationIS3_Lb1EN6thrust23THRUST_200600_302600_NS6detail15normal_iteratorINS8_10device_ptrIiEEEESD_SD_SD_jNS0_19identity_decomposerENS1_16block_id_wrapperIjLb0EEEEE10hipError_tT1_PNSt15iterator_traitsISI_E10value_typeET2_T3_PNSJ_ISO_E10value_typeET4_T5_PST_SU_PNS1_23onesweep_lookback_stateEbbT6_jjT7_P12ihipStream_tbENKUlT_T0_SI_SN_E_clISD_SD_SD_SD_EEDaS11_S12_SI_SN_EUlS11_E_NS1_11comp_targetILNS1_3genE9ELNS1_11target_archE1100ELNS1_3gpuE3ELNS1_3repE0EEENS1_47radix_sort_onesweep_sort_config_static_selectorELNS0_4arch9wavefront6targetE1EEEvSI_, .Lfunc_end1871-_ZN7rocprim17ROCPRIM_400000_NS6detail17trampoline_kernelINS0_14default_configENS1_35radix_sort_onesweep_config_selectorIiiEEZZNS1_29radix_sort_onesweep_iterationIS3_Lb1EN6thrust23THRUST_200600_302600_NS6detail15normal_iteratorINS8_10device_ptrIiEEEESD_SD_SD_jNS0_19identity_decomposerENS1_16block_id_wrapperIjLb0EEEEE10hipError_tT1_PNSt15iterator_traitsISI_E10value_typeET2_T3_PNSJ_ISO_E10value_typeET4_T5_PST_SU_PNS1_23onesweep_lookback_stateEbbT6_jjT7_P12ihipStream_tbENKUlT_T0_SI_SN_E_clISD_SD_SD_SD_EEDaS11_S12_SI_SN_EUlS11_E_NS1_11comp_targetILNS1_3genE9ELNS1_11target_archE1100ELNS1_3gpuE3ELNS1_3repE0EEENS1_47radix_sort_onesweep_sort_config_static_selectorELNS0_4arch9wavefront6targetE1EEEvSI_
                                        ; -- End function
	.set _ZN7rocprim17ROCPRIM_400000_NS6detail17trampoline_kernelINS0_14default_configENS1_35radix_sort_onesweep_config_selectorIiiEEZZNS1_29radix_sort_onesweep_iterationIS3_Lb1EN6thrust23THRUST_200600_302600_NS6detail15normal_iteratorINS8_10device_ptrIiEEEESD_SD_SD_jNS0_19identity_decomposerENS1_16block_id_wrapperIjLb0EEEEE10hipError_tT1_PNSt15iterator_traitsISI_E10value_typeET2_T3_PNSJ_ISO_E10value_typeET4_T5_PST_SU_PNS1_23onesweep_lookback_stateEbbT6_jjT7_P12ihipStream_tbENKUlT_T0_SI_SN_E_clISD_SD_SD_SD_EEDaS11_S12_SI_SN_EUlS11_E_NS1_11comp_targetILNS1_3genE9ELNS1_11target_archE1100ELNS1_3gpuE3ELNS1_3repE0EEENS1_47radix_sort_onesweep_sort_config_static_selectorELNS0_4arch9wavefront6targetE1EEEvSI_.num_vgpr, 0
	.set _ZN7rocprim17ROCPRIM_400000_NS6detail17trampoline_kernelINS0_14default_configENS1_35radix_sort_onesweep_config_selectorIiiEEZZNS1_29radix_sort_onesweep_iterationIS3_Lb1EN6thrust23THRUST_200600_302600_NS6detail15normal_iteratorINS8_10device_ptrIiEEEESD_SD_SD_jNS0_19identity_decomposerENS1_16block_id_wrapperIjLb0EEEEE10hipError_tT1_PNSt15iterator_traitsISI_E10value_typeET2_T3_PNSJ_ISO_E10value_typeET4_T5_PST_SU_PNS1_23onesweep_lookback_stateEbbT6_jjT7_P12ihipStream_tbENKUlT_T0_SI_SN_E_clISD_SD_SD_SD_EEDaS11_S12_SI_SN_EUlS11_E_NS1_11comp_targetILNS1_3genE9ELNS1_11target_archE1100ELNS1_3gpuE3ELNS1_3repE0EEENS1_47radix_sort_onesweep_sort_config_static_selectorELNS0_4arch9wavefront6targetE1EEEvSI_.num_agpr, 0
	.set _ZN7rocprim17ROCPRIM_400000_NS6detail17trampoline_kernelINS0_14default_configENS1_35radix_sort_onesweep_config_selectorIiiEEZZNS1_29radix_sort_onesweep_iterationIS3_Lb1EN6thrust23THRUST_200600_302600_NS6detail15normal_iteratorINS8_10device_ptrIiEEEESD_SD_SD_jNS0_19identity_decomposerENS1_16block_id_wrapperIjLb0EEEEE10hipError_tT1_PNSt15iterator_traitsISI_E10value_typeET2_T3_PNSJ_ISO_E10value_typeET4_T5_PST_SU_PNS1_23onesweep_lookback_stateEbbT6_jjT7_P12ihipStream_tbENKUlT_T0_SI_SN_E_clISD_SD_SD_SD_EEDaS11_S12_SI_SN_EUlS11_E_NS1_11comp_targetILNS1_3genE9ELNS1_11target_archE1100ELNS1_3gpuE3ELNS1_3repE0EEENS1_47radix_sort_onesweep_sort_config_static_selectorELNS0_4arch9wavefront6targetE1EEEvSI_.numbered_sgpr, 0
	.set _ZN7rocprim17ROCPRIM_400000_NS6detail17trampoline_kernelINS0_14default_configENS1_35radix_sort_onesweep_config_selectorIiiEEZZNS1_29radix_sort_onesweep_iterationIS3_Lb1EN6thrust23THRUST_200600_302600_NS6detail15normal_iteratorINS8_10device_ptrIiEEEESD_SD_SD_jNS0_19identity_decomposerENS1_16block_id_wrapperIjLb0EEEEE10hipError_tT1_PNSt15iterator_traitsISI_E10value_typeET2_T3_PNSJ_ISO_E10value_typeET4_T5_PST_SU_PNS1_23onesweep_lookback_stateEbbT6_jjT7_P12ihipStream_tbENKUlT_T0_SI_SN_E_clISD_SD_SD_SD_EEDaS11_S12_SI_SN_EUlS11_E_NS1_11comp_targetILNS1_3genE9ELNS1_11target_archE1100ELNS1_3gpuE3ELNS1_3repE0EEENS1_47radix_sort_onesweep_sort_config_static_selectorELNS0_4arch9wavefront6targetE1EEEvSI_.num_named_barrier, 0
	.set _ZN7rocprim17ROCPRIM_400000_NS6detail17trampoline_kernelINS0_14default_configENS1_35radix_sort_onesweep_config_selectorIiiEEZZNS1_29radix_sort_onesweep_iterationIS3_Lb1EN6thrust23THRUST_200600_302600_NS6detail15normal_iteratorINS8_10device_ptrIiEEEESD_SD_SD_jNS0_19identity_decomposerENS1_16block_id_wrapperIjLb0EEEEE10hipError_tT1_PNSt15iterator_traitsISI_E10value_typeET2_T3_PNSJ_ISO_E10value_typeET4_T5_PST_SU_PNS1_23onesweep_lookback_stateEbbT6_jjT7_P12ihipStream_tbENKUlT_T0_SI_SN_E_clISD_SD_SD_SD_EEDaS11_S12_SI_SN_EUlS11_E_NS1_11comp_targetILNS1_3genE9ELNS1_11target_archE1100ELNS1_3gpuE3ELNS1_3repE0EEENS1_47radix_sort_onesweep_sort_config_static_selectorELNS0_4arch9wavefront6targetE1EEEvSI_.private_seg_size, 0
	.set _ZN7rocprim17ROCPRIM_400000_NS6detail17trampoline_kernelINS0_14default_configENS1_35radix_sort_onesweep_config_selectorIiiEEZZNS1_29radix_sort_onesweep_iterationIS3_Lb1EN6thrust23THRUST_200600_302600_NS6detail15normal_iteratorINS8_10device_ptrIiEEEESD_SD_SD_jNS0_19identity_decomposerENS1_16block_id_wrapperIjLb0EEEEE10hipError_tT1_PNSt15iterator_traitsISI_E10value_typeET2_T3_PNSJ_ISO_E10value_typeET4_T5_PST_SU_PNS1_23onesweep_lookback_stateEbbT6_jjT7_P12ihipStream_tbENKUlT_T0_SI_SN_E_clISD_SD_SD_SD_EEDaS11_S12_SI_SN_EUlS11_E_NS1_11comp_targetILNS1_3genE9ELNS1_11target_archE1100ELNS1_3gpuE3ELNS1_3repE0EEENS1_47radix_sort_onesweep_sort_config_static_selectorELNS0_4arch9wavefront6targetE1EEEvSI_.uses_vcc, 0
	.set _ZN7rocprim17ROCPRIM_400000_NS6detail17trampoline_kernelINS0_14default_configENS1_35radix_sort_onesweep_config_selectorIiiEEZZNS1_29radix_sort_onesweep_iterationIS3_Lb1EN6thrust23THRUST_200600_302600_NS6detail15normal_iteratorINS8_10device_ptrIiEEEESD_SD_SD_jNS0_19identity_decomposerENS1_16block_id_wrapperIjLb0EEEEE10hipError_tT1_PNSt15iterator_traitsISI_E10value_typeET2_T3_PNSJ_ISO_E10value_typeET4_T5_PST_SU_PNS1_23onesweep_lookback_stateEbbT6_jjT7_P12ihipStream_tbENKUlT_T0_SI_SN_E_clISD_SD_SD_SD_EEDaS11_S12_SI_SN_EUlS11_E_NS1_11comp_targetILNS1_3genE9ELNS1_11target_archE1100ELNS1_3gpuE3ELNS1_3repE0EEENS1_47radix_sort_onesweep_sort_config_static_selectorELNS0_4arch9wavefront6targetE1EEEvSI_.uses_flat_scratch, 0
	.set _ZN7rocprim17ROCPRIM_400000_NS6detail17trampoline_kernelINS0_14default_configENS1_35radix_sort_onesweep_config_selectorIiiEEZZNS1_29radix_sort_onesweep_iterationIS3_Lb1EN6thrust23THRUST_200600_302600_NS6detail15normal_iteratorINS8_10device_ptrIiEEEESD_SD_SD_jNS0_19identity_decomposerENS1_16block_id_wrapperIjLb0EEEEE10hipError_tT1_PNSt15iterator_traitsISI_E10value_typeET2_T3_PNSJ_ISO_E10value_typeET4_T5_PST_SU_PNS1_23onesweep_lookback_stateEbbT6_jjT7_P12ihipStream_tbENKUlT_T0_SI_SN_E_clISD_SD_SD_SD_EEDaS11_S12_SI_SN_EUlS11_E_NS1_11comp_targetILNS1_3genE9ELNS1_11target_archE1100ELNS1_3gpuE3ELNS1_3repE0EEENS1_47radix_sort_onesweep_sort_config_static_selectorELNS0_4arch9wavefront6targetE1EEEvSI_.has_dyn_sized_stack, 0
	.set _ZN7rocprim17ROCPRIM_400000_NS6detail17trampoline_kernelINS0_14default_configENS1_35radix_sort_onesweep_config_selectorIiiEEZZNS1_29radix_sort_onesweep_iterationIS3_Lb1EN6thrust23THRUST_200600_302600_NS6detail15normal_iteratorINS8_10device_ptrIiEEEESD_SD_SD_jNS0_19identity_decomposerENS1_16block_id_wrapperIjLb0EEEEE10hipError_tT1_PNSt15iterator_traitsISI_E10value_typeET2_T3_PNSJ_ISO_E10value_typeET4_T5_PST_SU_PNS1_23onesweep_lookback_stateEbbT6_jjT7_P12ihipStream_tbENKUlT_T0_SI_SN_E_clISD_SD_SD_SD_EEDaS11_S12_SI_SN_EUlS11_E_NS1_11comp_targetILNS1_3genE9ELNS1_11target_archE1100ELNS1_3gpuE3ELNS1_3repE0EEENS1_47radix_sort_onesweep_sort_config_static_selectorELNS0_4arch9wavefront6targetE1EEEvSI_.has_recursion, 0
	.set _ZN7rocprim17ROCPRIM_400000_NS6detail17trampoline_kernelINS0_14default_configENS1_35radix_sort_onesweep_config_selectorIiiEEZZNS1_29radix_sort_onesweep_iterationIS3_Lb1EN6thrust23THRUST_200600_302600_NS6detail15normal_iteratorINS8_10device_ptrIiEEEESD_SD_SD_jNS0_19identity_decomposerENS1_16block_id_wrapperIjLb0EEEEE10hipError_tT1_PNSt15iterator_traitsISI_E10value_typeET2_T3_PNSJ_ISO_E10value_typeET4_T5_PST_SU_PNS1_23onesweep_lookback_stateEbbT6_jjT7_P12ihipStream_tbENKUlT_T0_SI_SN_E_clISD_SD_SD_SD_EEDaS11_S12_SI_SN_EUlS11_E_NS1_11comp_targetILNS1_3genE9ELNS1_11target_archE1100ELNS1_3gpuE3ELNS1_3repE0EEENS1_47radix_sort_onesweep_sort_config_static_selectorELNS0_4arch9wavefront6targetE1EEEvSI_.has_indirect_call, 0
	.section	.AMDGPU.csdata,"",@progbits
; Kernel info:
; codeLenInByte = 0
; TotalNumSgprs: 6
; NumVgprs: 0
; NumAgprs: 0
; TotalNumVgprs: 0
; ScratchSize: 0
; MemoryBound: 0
; FloatMode: 240
; IeeeMode: 1
; LDSByteSize: 0 bytes/workgroup (compile time only)
; SGPRBlocks: 0
; VGPRBlocks: 0
; NumSGPRsForWavesPerEU: 6
; NumVGPRsForWavesPerEU: 1
; AccumOffset: 4
; Occupancy: 8
; WaveLimiterHint : 0
; COMPUTE_PGM_RSRC2:SCRATCH_EN: 0
; COMPUTE_PGM_RSRC2:USER_SGPR: 2
; COMPUTE_PGM_RSRC2:TRAP_HANDLER: 0
; COMPUTE_PGM_RSRC2:TGID_X_EN: 1
; COMPUTE_PGM_RSRC2:TGID_Y_EN: 0
; COMPUTE_PGM_RSRC2:TGID_Z_EN: 0
; COMPUTE_PGM_RSRC2:TIDIG_COMP_CNT: 0
; COMPUTE_PGM_RSRC3_GFX90A:ACCUM_OFFSET: 0
; COMPUTE_PGM_RSRC3_GFX90A:TG_SPLIT: 0
	.section	.text._ZN7rocprim17ROCPRIM_400000_NS6detail17trampoline_kernelINS0_14default_configENS1_35radix_sort_onesweep_config_selectorIiiEEZZNS1_29radix_sort_onesweep_iterationIS3_Lb1EN6thrust23THRUST_200600_302600_NS6detail15normal_iteratorINS8_10device_ptrIiEEEESD_SD_SD_jNS0_19identity_decomposerENS1_16block_id_wrapperIjLb0EEEEE10hipError_tT1_PNSt15iterator_traitsISI_E10value_typeET2_T3_PNSJ_ISO_E10value_typeET4_T5_PST_SU_PNS1_23onesweep_lookback_stateEbbT6_jjT7_P12ihipStream_tbENKUlT_T0_SI_SN_E_clISD_SD_SD_SD_EEDaS11_S12_SI_SN_EUlS11_E_NS1_11comp_targetILNS1_3genE8ELNS1_11target_archE1030ELNS1_3gpuE2ELNS1_3repE0EEENS1_47radix_sort_onesweep_sort_config_static_selectorELNS0_4arch9wavefront6targetE1EEEvSI_,"axG",@progbits,_ZN7rocprim17ROCPRIM_400000_NS6detail17trampoline_kernelINS0_14default_configENS1_35radix_sort_onesweep_config_selectorIiiEEZZNS1_29radix_sort_onesweep_iterationIS3_Lb1EN6thrust23THRUST_200600_302600_NS6detail15normal_iteratorINS8_10device_ptrIiEEEESD_SD_SD_jNS0_19identity_decomposerENS1_16block_id_wrapperIjLb0EEEEE10hipError_tT1_PNSt15iterator_traitsISI_E10value_typeET2_T3_PNSJ_ISO_E10value_typeET4_T5_PST_SU_PNS1_23onesweep_lookback_stateEbbT6_jjT7_P12ihipStream_tbENKUlT_T0_SI_SN_E_clISD_SD_SD_SD_EEDaS11_S12_SI_SN_EUlS11_E_NS1_11comp_targetILNS1_3genE8ELNS1_11target_archE1030ELNS1_3gpuE2ELNS1_3repE0EEENS1_47radix_sort_onesweep_sort_config_static_selectorELNS0_4arch9wavefront6targetE1EEEvSI_,comdat
	.protected	_ZN7rocprim17ROCPRIM_400000_NS6detail17trampoline_kernelINS0_14default_configENS1_35radix_sort_onesweep_config_selectorIiiEEZZNS1_29radix_sort_onesweep_iterationIS3_Lb1EN6thrust23THRUST_200600_302600_NS6detail15normal_iteratorINS8_10device_ptrIiEEEESD_SD_SD_jNS0_19identity_decomposerENS1_16block_id_wrapperIjLb0EEEEE10hipError_tT1_PNSt15iterator_traitsISI_E10value_typeET2_T3_PNSJ_ISO_E10value_typeET4_T5_PST_SU_PNS1_23onesweep_lookback_stateEbbT6_jjT7_P12ihipStream_tbENKUlT_T0_SI_SN_E_clISD_SD_SD_SD_EEDaS11_S12_SI_SN_EUlS11_E_NS1_11comp_targetILNS1_3genE8ELNS1_11target_archE1030ELNS1_3gpuE2ELNS1_3repE0EEENS1_47radix_sort_onesweep_sort_config_static_selectorELNS0_4arch9wavefront6targetE1EEEvSI_ ; -- Begin function _ZN7rocprim17ROCPRIM_400000_NS6detail17trampoline_kernelINS0_14default_configENS1_35radix_sort_onesweep_config_selectorIiiEEZZNS1_29radix_sort_onesweep_iterationIS3_Lb1EN6thrust23THRUST_200600_302600_NS6detail15normal_iteratorINS8_10device_ptrIiEEEESD_SD_SD_jNS0_19identity_decomposerENS1_16block_id_wrapperIjLb0EEEEE10hipError_tT1_PNSt15iterator_traitsISI_E10value_typeET2_T3_PNSJ_ISO_E10value_typeET4_T5_PST_SU_PNS1_23onesweep_lookback_stateEbbT6_jjT7_P12ihipStream_tbENKUlT_T0_SI_SN_E_clISD_SD_SD_SD_EEDaS11_S12_SI_SN_EUlS11_E_NS1_11comp_targetILNS1_3genE8ELNS1_11target_archE1030ELNS1_3gpuE2ELNS1_3repE0EEENS1_47radix_sort_onesweep_sort_config_static_selectorELNS0_4arch9wavefront6targetE1EEEvSI_
	.globl	_ZN7rocprim17ROCPRIM_400000_NS6detail17trampoline_kernelINS0_14default_configENS1_35radix_sort_onesweep_config_selectorIiiEEZZNS1_29radix_sort_onesweep_iterationIS3_Lb1EN6thrust23THRUST_200600_302600_NS6detail15normal_iteratorINS8_10device_ptrIiEEEESD_SD_SD_jNS0_19identity_decomposerENS1_16block_id_wrapperIjLb0EEEEE10hipError_tT1_PNSt15iterator_traitsISI_E10value_typeET2_T3_PNSJ_ISO_E10value_typeET4_T5_PST_SU_PNS1_23onesweep_lookback_stateEbbT6_jjT7_P12ihipStream_tbENKUlT_T0_SI_SN_E_clISD_SD_SD_SD_EEDaS11_S12_SI_SN_EUlS11_E_NS1_11comp_targetILNS1_3genE8ELNS1_11target_archE1030ELNS1_3gpuE2ELNS1_3repE0EEENS1_47radix_sort_onesweep_sort_config_static_selectorELNS0_4arch9wavefront6targetE1EEEvSI_
	.p2align	8
	.type	_ZN7rocprim17ROCPRIM_400000_NS6detail17trampoline_kernelINS0_14default_configENS1_35radix_sort_onesweep_config_selectorIiiEEZZNS1_29radix_sort_onesweep_iterationIS3_Lb1EN6thrust23THRUST_200600_302600_NS6detail15normal_iteratorINS8_10device_ptrIiEEEESD_SD_SD_jNS0_19identity_decomposerENS1_16block_id_wrapperIjLb0EEEEE10hipError_tT1_PNSt15iterator_traitsISI_E10value_typeET2_T3_PNSJ_ISO_E10value_typeET4_T5_PST_SU_PNS1_23onesweep_lookback_stateEbbT6_jjT7_P12ihipStream_tbENKUlT_T0_SI_SN_E_clISD_SD_SD_SD_EEDaS11_S12_SI_SN_EUlS11_E_NS1_11comp_targetILNS1_3genE8ELNS1_11target_archE1030ELNS1_3gpuE2ELNS1_3repE0EEENS1_47radix_sort_onesweep_sort_config_static_selectorELNS0_4arch9wavefront6targetE1EEEvSI_,@function
_ZN7rocprim17ROCPRIM_400000_NS6detail17trampoline_kernelINS0_14default_configENS1_35radix_sort_onesweep_config_selectorIiiEEZZNS1_29radix_sort_onesweep_iterationIS3_Lb1EN6thrust23THRUST_200600_302600_NS6detail15normal_iteratorINS8_10device_ptrIiEEEESD_SD_SD_jNS0_19identity_decomposerENS1_16block_id_wrapperIjLb0EEEEE10hipError_tT1_PNSt15iterator_traitsISI_E10value_typeET2_T3_PNSJ_ISO_E10value_typeET4_T5_PST_SU_PNS1_23onesweep_lookback_stateEbbT6_jjT7_P12ihipStream_tbENKUlT_T0_SI_SN_E_clISD_SD_SD_SD_EEDaS11_S12_SI_SN_EUlS11_E_NS1_11comp_targetILNS1_3genE8ELNS1_11target_archE1030ELNS1_3gpuE2ELNS1_3repE0EEENS1_47radix_sort_onesweep_sort_config_static_selectorELNS0_4arch9wavefront6targetE1EEEvSI_: ; @_ZN7rocprim17ROCPRIM_400000_NS6detail17trampoline_kernelINS0_14default_configENS1_35radix_sort_onesweep_config_selectorIiiEEZZNS1_29radix_sort_onesweep_iterationIS3_Lb1EN6thrust23THRUST_200600_302600_NS6detail15normal_iteratorINS8_10device_ptrIiEEEESD_SD_SD_jNS0_19identity_decomposerENS1_16block_id_wrapperIjLb0EEEEE10hipError_tT1_PNSt15iterator_traitsISI_E10value_typeET2_T3_PNSJ_ISO_E10value_typeET4_T5_PST_SU_PNS1_23onesweep_lookback_stateEbbT6_jjT7_P12ihipStream_tbENKUlT_T0_SI_SN_E_clISD_SD_SD_SD_EEDaS11_S12_SI_SN_EUlS11_E_NS1_11comp_targetILNS1_3genE8ELNS1_11target_archE1030ELNS1_3gpuE2ELNS1_3repE0EEENS1_47radix_sort_onesweep_sort_config_static_selectorELNS0_4arch9wavefront6targetE1EEEvSI_
; %bb.0:
	.section	.rodata,"a",@progbits
	.p2align	6, 0x0
	.amdhsa_kernel _ZN7rocprim17ROCPRIM_400000_NS6detail17trampoline_kernelINS0_14default_configENS1_35radix_sort_onesweep_config_selectorIiiEEZZNS1_29radix_sort_onesweep_iterationIS3_Lb1EN6thrust23THRUST_200600_302600_NS6detail15normal_iteratorINS8_10device_ptrIiEEEESD_SD_SD_jNS0_19identity_decomposerENS1_16block_id_wrapperIjLb0EEEEE10hipError_tT1_PNSt15iterator_traitsISI_E10value_typeET2_T3_PNSJ_ISO_E10value_typeET4_T5_PST_SU_PNS1_23onesweep_lookback_stateEbbT6_jjT7_P12ihipStream_tbENKUlT_T0_SI_SN_E_clISD_SD_SD_SD_EEDaS11_S12_SI_SN_EUlS11_E_NS1_11comp_targetILNS1_3genE8ELNS1_11target_archE1030ELNS1_3gpuE2ELNS1_3repE0EEENS1_47radix_sort_onesweep_sort_config_static_selectorELNS0_4arch9wavefront6targetE1EEEvSI_
		.amdhsa_group_segment_fixed_size 0
		.amdhsa_private_segment_fixed_size 0
		.amdhsa_kernarg_size 88
		.amdhsa_user_sgpr_count 2
		.amdhsa_user_sgpr_dispatch_ptr 0
		.amdhsa_user_sgpr_queue_ptr 0
		.amdhsa_user_sgpr_kernarg_segment_ptr 1
		.amdhsa_user_sgpr_dispatch_id 0
		.amdhsa_user_sgpr_kernarg_preload_length 0
		.amdhsa_user_sgpr_kernarg_preload_offset 0
		.amdhsa_user_sgpr_private_segment_size 0
		.amdhsa_uses_dynamic_stack 0
		.amdhsa_enable_private_segment 0
		.amdhsa_system_sgpr_workgroup_id_x 1
		.amdhsa_system_sgpr_workgroup_id_y 0
		.amdhsa_system_sgpr_workgroup_id_z 0
		.amdhsa_system_sgpr_workgroup_info 0
		.amdhsa_system_vgpr_workitem_id 0
		.amdhsa_next_free_vgpr 1
		.amdhsa_next_free_sgpr 0
		.amdhsa_accum_offset 4
		.amdhsa_reserve_vcc 0
		.amdhsa_float_round_mode_32 0
		.amdhsa_float_round_mode_16_64 0
		.amdhsa_float_denorm_mode_32 3
		.amdhsa_float_denorm_mode_16_64 3
		.amdhsa_dx10_clamp 1
		.amdhsa_ieee_mode 1
		.amdhsa_fp16_overflow 0
		.amdhsa_tg_split 0
		.amdhsa_exception_fp_ieee_invalid_op 0
		.amdhsa_exception_fp_denorm_src 0
		.amdhsa_exception_fp_ieee_div_zero 0
		.amdhsa_exception_fp_ieee_overflow 0
		.amdhsa_exception_fp_ieee_underflow 0
		.amdhsa_exception_fp_ieee_inexact 0
		.amdhsa_exception_int_div_zero 0
	.end_amdhsa_kernel
	.section	.text._ZN7rocprim17ROCPRIM_400000_NS6detail17trampoline_kernelINS0_14default_configENS1_35radix_sort_onesweep_config_selectorIiiEEZZNS1_29radix_sort_onesweep_iterationIS3_Lb1EN6thrust23THRUST_200600_302600_NS6detail15normal_iteratorINS8_10device_ptrIiEEEESD_SD_SD_jNS0_19identity_decomposerENS1_16block_id_wrapperIjLb0EEEEE10hipError_tT1_PNSt15iterator_traitsISI_E10value_typeET2_T3_PNSJ_ISO_E10value_typeET4_T5_PST_SU_PNS1_23onesweep_lookback_stateEbbT6_jjT7_P12ihipStream_tbENKUlT_T0_SI_SN_E_clISD_SD_SD_SD_EEDaS11_S12_SI_SN_EUlS11_E_NS1_11comp_targetILNS1_3genE8ELNS1_11target_archE1030ELNS1_3gpuE2ELNS1_3repE0EEENS1_47radix_sort_onesweep_sort_config_static_selectorELNS0_4arch9wavefront6targetE1EEEvSI_,"axG",@progbits,_ZN7rocprim17ROCPRIM_400000_NS6detail17trampoline_kernelINS0_14default_configENS1_35radix_sort_onesweep_config_selectorIiiEEZZNS1_29radix_sort_onesweep_iterationIS3_Lb1EN6thrust23THRUST_200600_302600_NS6detail15normal_iteratorINS8_10device_ptrIiEEEESD_SD_SD_jNS0_19identity_decomposerENS1_16block_id_wrapperIjLb0EEEEE10hipError_tT1_PNSt15iterator_traitsISI_E10value_typeET2_T3_PNSJ_ISO_E10value_typeET4_T5_PST_SU_PNS1_23onesweep_lookback_stateEbbT6_jjT7_P12ihipStream_tbENKUlT_T0_SI_SN_E_clISD_SD_SD_SD_EEDaS11_S12_SI_SN_EUlS11_E_NS1_11comp_targetILNS1_3genE8ELNS1_11target_archE1030ELNS1_3gpuE2ELNS1_3repE0EEENS1_47radix_sort_onesweep_sort_config_static_selectorELNS0_4arch9wavefront6targetE1EEEvSI_,comdat
.Lfunc_end1872:
	.size	_ZN7rocprim17ROCPRIM_400000_NS6detail17trampoline_kernelINS0_14default_configENS1_35radix_sort_onesweep_config_selectorIiiEEZZNS1_29radix_sort_onesweep_iterationIS3_Lb1EN6thrust23THRUST_200600_302600_NS6detail15normal_iteratorINS8_10device_ptrIiEEEESD_SD_SD_jNS0_19identity_decomposerENS1_16block_id_wrapperIjLb0EEEEE10hipError_tT1_PNSt15iterator_traitsISI_E10value_typeET2_T3_PNSJ_ISO_E10value_typeET4_T5_PST_SU_PNS1_23onesweep_lookback_stateEbbT6_jjT7_P12ihipStream_tbENKUlT_T0_SI_SN_E_clISD_SD_SD_SD_EEDaS11_S12_SI_SN_EUlS11_E_NS1_11comp_targetILNS1_3genE8ELNS1_11target_archE1030ELNS1_3gpuE2ELNS1_3repE0EEENS1_47radix_sort_onesweep_sort_config_static_selectorELNS0_4arch9wavefront6targetE1EEEvSI_, .Lfunc_end1872-_ZN7rocprim17ROCPRIM_400000_NS6detail17trampoline_kernelINS0_14default_configENS1_35radix_sort_onesweep_config_selectorIiiEEZZNS1_29radix_sort_onesweep_iterationIS3_Lb1EN6thrust23THRUST_200600_302600_NS6detail15normal_iteratorINS8_10device_ptrIiEEEESD_SD_SD_jNS0_19identity_decomposerENS1_16block_id_wrapperIjLb0EEEEE10hipError_tT1_PNSt15iterator_traitsISI_E10value_typeET2_T3_PNSJ_ISO_E10value_typeET4_T5_PST_SU_PNS1_23onesweep_lookback_stateEbbT6_jjT7_P12ihipStream_tbENKUlT_T0_SI_SN_E_clISD_SD_SD_SD_EEDaS11_S12_SI_SN_EUlS11_E_NS1_11comp_targetILNS1_3genE8ELNS1_11target_archE1030ELNS1_3gpuE2ELNS1_3repE0EEENS1_47radix_sort_onesweep_sort_config_static_selectorELNS0_4arch9wavefront6targetE1EEEvSI_
                                        ; -- End function
	.set _ZN7rocprim17ROCPRIM_400000_NS6detail17trampoline_kernelINS0_14default_configENS1_35radix_sort_onesweep_config_selectorIiiEEZZNS1_29radix_sort_onesweep_iterationIS3_Lb1EN6thrust23THRUST_200600_302600_NS6detail15normal_iteratorINS8_10device_ptrIiEEEESD_SD_SD_jNS0_19identity_decomposerENS1_16block_id_wrapperIjLb0EEEEE10hipError_tT1_PNSt15iterator_traitsISI_E10value_typeET2_T3_PNSJ_ISO_E10value_typeET4_T5_PST_SU_PNS1_23onesweep_lookback_stateEbbT6_jjT7_P12ihipStream_tbENKUlT_T0_SI_SN_E_clISD_SD_SD_SD_EEDaS11_S12_SI_SN_EUlS11_E_NS1_11comp_targetILNS1_3genE8ELNS1_11target_archE1030ELNS1_3gpuE2ELNS1_3repE0EEENS1_47radix_sort_onesweep_sort_config_static_selectorELNS0_4arch9wavefront6targetE1EEEvSI_.num_vgpr, 0
	.set _ZN7rocprim17ROCPRIM_400000_NS6detail17trampoline_kernelINS0_14default_configENS1_35radix_sort_onesweep_config_selectorIiiEEZZNS1_29radix_sort_onesweep_iterationIS3_Lb1EN6thrust23THRUST_200600_302600_NS6detail15normal_iteratorINS8_10device_ptrIiEEEESD_SD_SD_jNS0_19identity_decomposerENS1_16block_id_wrapperIjLb0EEEEE10hipError_tT1_PNSt15iterator_traitsISI_E10value_typeET2_T3_PNSJ_ISO_E10value_typeET4_T5_PST_SU_PNS1_23onesweep_lookback_stateEbbT6_jjT7_P12ihipStream_tbENKUlT_T0_SI_SN_E_clISD_SD_SD_SD_EEDaS11_S12_SI_SN_EUlS11_E_NS1_11comp_targetILNS1_3genE8ELNS1_11target_archE1030ELNS1_3gpuE2ELNS1_3repE0EEENS1_47radix_sort_onesweep_sort_config_static_selectorELNS0_4arch9wavefront6targetE1EEEvSI_.num_agpr, 0
	.set _ZN7rocprim17ROCPRIM_400000_NS6detail17trampoline_kernelINS0_14default_configENS1_35radix_sort_onesweep_config_selectorIiiEEZZNS1_29radix_sort_onesweep_iterationIS3_Lb1EN6thrust23THRUST_200600_302600_NS6detail15normal_iteratorINS8_10device_ptrIiEEEESD_SD_SD_jNS0_19identity_decomposerENS1_16block_id_wrapperIjLb0EEEEE10hipError_tT1_PNSt15iterator_traitsISI_E10value_typeET2_T3_PNSJ_ISO_E10value_typeET4_T5_PST_SU_PNS1_23onesweep_lookback_stateEbbT6_jjT7_P12ihipStream_tbENKUlT_T0_SI_SN_E_clISD_SD_SD_SD_EEDaS11_S12_SI_SN_EUlS11_E_NS1_11comp_targetILNS1_3genE8ELNS1_11target_archE1030ELNS1_3gpuE2ELNS1_3repE0EEENS1_47radix_sort_onesweep_sort_config_static_selectorELNS0_4arch9wavefront6targetE1EEEvSI_.numbered_sgpr, 0
	.set _ZN7rocprim17ROCPRIM_400000_NS6detail17trampoline_kernelINS0_14default_configENS1_35radix_sort_onesweep_config_selectorIiiEEZZNS1_29radix_sort_onesweep_iterationIS3_Lb1EN6thrust23THRUST_200600_302600_NS6detail15normal_iteratorINS8_10device_ptrIiEEEESD_SD_SD_jNS0_19identity_decomposerENS1_16block_id_wrapperIjLb0EEEEE10hipError_tT1_PNSt15iterator_traitsISI_E10value_typeET2_T3_PNSJ_ISO_E10value_typeET4_T5_PST_SU_PNS1_23onesweep_lookback_stateEbbT6_jjT7_P12ihipStream_tbENKUlT_T0_SI_SN_E_clISD_SD_SD_SD_EEDaS11_S12_SI_SN_EUlS11_E_NS1_11comp_targetILNS1_3genE8ELNS1_11target_archE1030ELNS1_3gpuE2ELNS1_3repE0EEENS1_47radix_sort_onesweep_sort_config_static_selectorELNS0_4arch9wavefront6targetE1EEEvSI_.num_named_barrier, 0
	.set _ZN7rocprim17ROCPRIM_400000_NS6detail17trampoline_kernelINS0_14default_configENS1_35radix_sort_onesweep_config_selectorIiiEEZZNS1_29radix_sort_onesweep_iterationIS3_Lb1EN6thrust23THRUST_200600_302600_NS6detail15normal_iteratorINS8_10device_ptrIiEEEESD_SD_SD_jNS0_19identity_decomposerENS1_16block_id_wrapperIjLb0EEEEE10hipError_tT1_PNSt15iterator_traitsISI_E10value_typeET2_T3_PNSJ_ISO_E10value_typeET4_T5_PST_SU_PNS1_23onesweep_lookback_stateEbbT6_jjT7_P12ihipStream_tbENKUlT_T0_SI_SN_E_clISD_SD_SD_SD_EEDaS11_S12_SI_SN_EUlS11_E_NS1_11comp_targetILNS1_3genE8ELNS1_11target_archE1030ELNS1_3gpuE2ELNS1_3repE0EEENS1_47radix_sort_onesweep_sort_config_static_selectorELNS0_4arch9wavefront6targetE1EEEvSI_.private_seg_size, 0
	.set _ZN7rocprim17ROCPRIM_400000_NS6detail17trampoline_kernelINS0_14default_configENS1_35radix_sort_onesweep_config_selectorIiiEEZZNS1_29radix_sort_onesweep_iterationIS3_Lb1EN6thrust23THRUST_200600_302600_NS6detail15normal_iteratorINS8_10device_ptrIiEEEESD_SD_SD_jNS0_19identity_decomposerENS1_16block_id_wrapperIjLb0EEEEE10hipError_tT1_PNSt15iterator_traitsISI_E10value_typeET2_T3_PNSJ_ISO_E10value_typeET4_T5_PST_SU_PNS1_23onesweep_lookback_stateEbbT6_jjT7_P12ihipStream_tbENKUlT_T0_SI_SN_E_clISD_SD_SD_SD_EEDaS11_S12_SI_SN_EUlS11_E_NS1_11comp_targetILNS1_3genE8ELNS1_11target_archE1030ELNS1_3gpuE2ELNS1_3repE0EEENS1_47radix_sort_onesweep_sort_config_static_selectorELNS0_4arch9wavefront6targetE1EEEvSI_.uses_vcc, 0
	.set _ZN7rocprim17ROCPRIM_400000_NS6detail17trampoline_kernelINS0_14default_configENS1_35radix_sort_onesweep_config_selectorIiiEEZZNS1_29radix_sort_onesweep_iterationIS3_Lb1EN6thrust23THRUST_200600_302600_NS6detail15normal_iteratorINS8_10device_ptrIiEEEESD_SD_SD_jNS0_19identity_decomposerENS1_16block_id_wrapperIjLb0EEEEE10hipError_tT1_PNSt15iterator_traitsISI_E10value_typeET2_T3_PNSJ_ISO_E10value_typeET4_T5_PST_SU_PNS1_23onesweep_lookback_stateEbbT6_jjT7_P12ihipStream_tbENKUlT_T0_SI_SN_E_clISD_SD_SD_SD_EEDaS11_S12_SI_SN_EUlS11_E_NS1_11comp_targetILNS1_3genE8ELNS1_11target_archE1030ELNS1_3gpuE2ELNS1_3repE0EEENS1_47radix_sort_onesweep_sort_config_static_selectorELNS0_4arch9wavefront6targetE1EEEvSI_.uses_flat_scratch, 0
	.set _ZN7rocprim17ROCPRIM_400000_NS6detail17trampoline_kernelINS0_14default_configENS1_35radix_sort_onesweep_config_selectorIiiEEZZNS1_29radix_sort_onesweep_iterationIS3_Lb1EN6thrust23THRUST_200600_302600_NS6detail15normal_iteratorINS8_10device_ptrIiEEEESD_SD_SD_jNS0_19identity_decomposerENS1_16block_id_wrapperIjLb0EEEEE10hipError_tT1_PNSt15iterator_traitsISI_E10value_typeET2_T3_PNSJ_ISO_E10value_typeET4_T5_PST_SU_PNS1_23onesweep_lookback_stateEbbT6_jjT7_P12ihipStream_tbENKUlT_T0_SI_SN_E_clISD_SD_SD_SD_EEDaS11_S12_SI_SN_EUlS11_E_NS1_11comp_targetILNS1_3genE8ELNS1_11target_archE1030ELNS1_3gpuE2ELNS1_3repE0EEENS1_47radix_sort_onesweep_sort_config_static_selectorELNS0_4arch9wavefront6targetE1EEEvSI_.has_dyn_sized_stack, 0
	.set _ZN7rocprim17ROCPRIM_400000_NS6detail17trampoline_kernelINS0_14default_configENS1_35radix_sort_onesweep_config_selectorIiiEEZZNS1_29radix_sort_onesweep_iterationIS3_Lb1EN6thrust23THRUST_200600_302600_NS6detail15normal_iteratorINS8_10device_ptrIiEEEESD_SD_SD_jNS0_19identity_decomposerENS1_16block_id_wrapperIjLb0EEEEE10hipError_tT1_PNSt15iterator_traitsISI_E10value_typeET2_T3_PNSJ_ISO_E10value_typeET4_T5_PST_SU_PNS1_23onesweep_lookback_stateEbbT6_jjT7_P12ihipStream_tbENKUlT_T0_SI_SN_E_clISD_SD_SD_SD_EEDaS11_S12_SI_SN_EUlS11_E_NS1_11comp_targetILNS1_3genE8ELNS1_11target_archE1030ELNS1_3gpuE2ELNS1_3repE0EEENS1_47radix_sort_onesweep_sort_config_static_selectorELNS0_4arch9wavefront6targetE1EEEvSI_.has_recursion, 0
	.set _ZN7rocprim17ROCPRIM_400000_NS6detail17trampoline_kernelINS0_14default_configENS1_35radix_sort_onesweep_config_selectorIiiEEZZNS1_29radix_sort_onesweep_iterationIS3_Lb1EN6thrust23THRUST_200600_302600_NS6detail15normal_iteratorINS8_10device_ptrIiEEEESD_SD_SD_jNS0_19identity_decomposerENS1_16block_id_wrapperIjLb0EEEEE10hipError_tT1_PNSt15iterator_traitsISI_E10value_typeET2_T3_PNSJ_ISO_E10value_typeET4_T5_PST_SU_PNS1_23onesweep_lookback_stateEbbT6_jjT7_P12ihipStream_tbENKUlT_T0_SI_SN_E_clISD_SD_SD_SD_EEDaS11_S12_SI_SN_EUlS11_E_NS1_11comp_targetILNS1_3genE8ELNS1_11target_archE1030ELNS1_3gpuE2ELNS1_3repE0EEENS1_47radix_sort_onesweep_sort_config_static_selectorELNS0_4arch9wavefront6targetE1EEEvSI_.has_indirect_call, 0
	.section	.AMDGPU.csdata,"",@progbits
; Kernel info:
; codeLenInByte = 0
; TotalNumSgprs: 6
; NumVgprs: 0
; NumAgprs: 0
; TotalNumVgprs: 0
; ScratchSize: 0
; MemoryBound: 0
; FloatMode: 240
; IeeeMode: 1
; LDSByteSize: 0 bytes/workgroup (compile time only)
; SGPRBlocks: 0
; VGPRBlocks: 0
; NumSGPRsForWavesPerEU: 6
; NumVGPRsForWavesPerEU: 1
; AccumOffset: 4
; Occupancy: 8
; WaveLimiterHint : 0
; COMPUTE_PGM_RSRC2:SCRATCH_EN: 0
; COMPUTE_PGM_RSRC2:USER_SGPR: 2
; COMPUTE_PGM_RSRC2:TRAP_HANDLER: 0
; COMPUTE_PGM_RSRC2:TGID_X_EN: 1
; COMPUTE_PGM_RSRC2:TGID_Y_EN: 0
; COMPUTE_PGM_RSRC2:TGID_Z_EN: 0
; COMPUTE_PGM_RSRC2:TIDIG_COMP_CNT: 0
; COMPUTE_PGM_RSRC3_GFX90A:ACCUM_OFFSET: 0
; COMPUTE_PGM_RSRC3_GFX90A:TG_SPLIT: 0
	.section	.text._ZN7rocprim17ROCPRIM_400000_NS6detail17trampoline_kernelINS0_14default_configENS1_35radix_sort_onesweep_config_selectorIiiEEZZNS1_29radix_sort_onesweep_iterationIS3_Lb1EN6thrust23THRUST_200600_302600_NS6detail15normal_iteratorINS8_10device_ptrIiEEEESD_SD_SD_jNS0_19identity_decomposerENS1_16block_id_wrapperIjLb0EEEEE10hipError_tT1_PNSt15iterator_traitsISI_E10value_typeET2_T3_PNSJ_ISO_E10value_typeET4_T5_PST_SU_PNS1_23onesweep_lookback_stateEbbT6_jjT7_P12ihipStream_tbENKUlT_T0_SI_SN_E_clISD_PiSD_S15_EEDaS11_S12_SI_SN_EUlS11_E_NS1_11comp_targetILNS1_3genE0ELNS1_11target_archE4294967295ELNS1_3gpuE0ELNS1_3repE0EEENS1_47radix_sort_onesweep_sort_config_static_selectorELNS0_4arch9wavefront6targetE1EEEvSI_,"axG",@progbits,_ZN7rocprim17ROCPRIM_400000_NS6detail17trampoline_kernelINS0_14default_configENS1_35radix_sort_onesweep_config_selectorIiiEEZZNS1_29radix_sort_onesweep_iterationIS3_Lb1EN6thrust23THRUST_200600_302600_NS6detail15normal_iteratorINS8_10device_ptrIiEEEESD_SD_SD_jNS0_19identity_decomposerENS1_16block_id_wrapperIjLb0EEEEE10hipError_tT1_PNSt15iterator_traitsISI_E10value_typeET2_T3_PNSJ_ISO_E10value_typeET4_T5_PST_SU_PNS1_23onesweep_lookback_stateEbbT6_jjT7_P12ihipStream_tbENKUlT_T0_SI_SN_E_clISD_PiSD_S15_EEDaS11_S12_SI_SN_EUlS11_E_NS1_11comp_targetILNS1_3genE0ELNS1_11target_archE4294967295ELNS1_3gpuE0ELNS1_3repE0EEENS1_47radix_sort_onesweep_sort_config_static_selectorELNS0_4arch9wavefront6targetE1EEEvSI_,comdat
	.protected	_ZN7rocprim17ROCPRIM_400000_NS6detail17trampoline_kernelINS0_14default_configENS1_35radix_sort_onesweep_config_selectorIiiEEZZNS1_29radix_sort_onesweep_iterationIS3_Lb1EN6thrust23THRUST_200600_302600_NS6detail15normal_iteratorINS8_10device_ptrIiEEEESD_SD_SD_jNS0_19identity_decomposerENS1_16block_id_wrapperIjLb0EEEEE10hipError_tT1_PNSt15iterator_traitsISI_E10value_typeET2_T3_PNSJ_ISO_E10value_typeET4_T5_PST_SU_PNS1_23onesweep_lookback_stateEbbT6_jjT7_P12ihipStream_tbENKUlT_T0_SI_SN_E_clISD_PiSD_S15_EEDaS11_S12_SI_SN_EUlS11_E_NS1_11comp_targetILNS1_3genE0ELNS1_11target_archE4294967295ELNS1_3gpuE0ELNS1_3repE0EEENS1_47radix_sort_onesweep_sort_config_static_selectorELNS0_4arch9wavefront6targetE1EEEvSI_ ; -- Begin function _ZN7rocprim17ROCPRIM_400000_NS6detail17trampoline_kernelINS0_14default_configENS1_35radix_sort_onesweep_config_selectorIiiEEZZNS1_29radix_sort_onesweep_iterationIS3_Lb1EN6thrust23THRUST_200600_302600_NS6detail15normal_iteratorINS8_10device_ptrIiEEEESD_SD_SD_jNS0_19identity_decomposerENS1_16block_id_wrapperIjLb0EEEEE10hipError_tT1_PNSt15iterator_traitsISI_E10value_typeET2_T3_PNSJ_ISO_E10value_typeET4_T5_PST_SU_PNS1_23onesweep_lookback_stateEbbT6_jjT7_P12ihipStream_tbENKUlT_T0_SI_SN_E_clISD_PiSD_S15_EEDaS11_S12_SI_SN_EUlS11_E_NS1_11comp_targetILNS1_3genE0ELNS1_11target_archE4294967295ELNS1_3gpuE0ELNS1_3repE0EEENS1_47radix_sort_onesweep_sort_config_static_selectorELNS0_4arch9wavefront6targetE1EEEvSI_
	.globl	_ZN7rocprim17ROCPRIM_400000_NS6detail17trampoline_kernelINS0_14default_configENS1_35radix_sort_onesweep_config_selectorIiiEEZZNS1_29radix_sort_onesweep_iterationIS3_Lb1EN6thrust23THRUST_200600_302600_NS6detail15normal_iteratorINS8_10device_ptrIiEEEESD_SD_SD_jNS0_19identity_decomposerENS1_16block_id_wrapperIjLb0EEEEE10hipError_tT1_PNSt15iterator_traitsISI_E10value_typeET2_T3_PNSJ_ISO_E10value_typeET4_T5_PST_SU_PNS1_23onesweep_lookback_stateEbbT6_jjT7_P12ihipStream_tbENKUlT_T0_SI_SN_E_clISD_PiSD_S15_EEDaS11_S12_SI_SN_EUlS11_E_NS1_11comp_targetILNS1_3genE0ELNS1_11target_archE4294967295ELNS1_3gpuE0ELNS1_3repE0EEENS1_47radix_sort_onesweep_sort_config_static_selectorELNS0_4arch9wavefront6targetE1EEEvSI_
	.p2align	8
	.type	_ZN7rocprim17ROCPRIM_400000_NS6detail17trampoline_kernelINS0_14default_configENS1_35radix_sort_onesweep_config_selectorIiiEEZZNS1_29radix_sort_onesweep_iterationIS3_Lb1EN6thrust23THRUST_200600_302600_NS6detail15normal_iteratorINS8_10device_ptrIiEEEESD_SD_SD_jNS0_19identity_decomposerENS1_16block_id_wrapperIjLb0EEEEE10hipError_tT1_PNSt15iterator_traitsISI_E10value_typeET2_T3_PNSJ_ISO_E10value_typeET4_T5_PST_SU_PNS1_23onesweep_lookback_stateEbbT6_jjT7_P12ihipStream_tbENKUlT_T0_SI_SN_E_clISD_PiSD_S15_EEDaS11_S12_SI_SN_EUlS11_E_NS1_11comp_targetILNS1_3genE0ELNS1_11target_archE4294967295ELNS1_3gpuE0ELNS1_3repE0EEENS1_47radix_sort_onesweep_sort_config_static_selectorELNS0_4arch9wavefront6targetE1EEEvSI_,@function
_ZN7rocprim17ROCPRIM_400000_NS6detail17trampoline_kernelINS0_14default_configENS1_35radix_sort_onesweep_config_selectorIiiEEZZNS1_29radix_sort_onesweep_iterationIS3_Lb1EN6thrust23THRUST_200600_302600_NS6detail15normal_iteratorINS8_10device_ptrIiEEEESD_SD_SD_jNS0_19identity_decomposerENS1_16block_id_wrapperIjLb0EEEEE10hipError_tT1_PNSt15iterator_traitsISI_E10value_typeET2_T3_PNSJ_ISO_E10value_typeET4_T5_PST_SU_PNS1_23onesweep_lookback_stateEbbT6_jjT7_P12ihipStream_tbENKUlT_T0_SI_SN_E_clISD_PiSD_S15_EEDaS11_S12_SI_SN_EUlS11_E_NS1_11comp_targetILNS1_3genE0ELNS1_11target_archE4294967295ELNS1_3gpuE0ELNS1_3repE0EEENS1_47radix_sort_onesweep_sort_config_static_selectorELNS0_4arch9wavefront6targetE1EEEvSI_: ; @_ZN7rocprim17ROCPRIM_400000_NS6detail17trampoline_kernelINS0_14default_configENS1_35radix_sort_onesweep_config_selectorIiiEEZZNS1_29radix_sort_onesweep_iterationIS3_Lb1EN6thrust23THRUST_200600_302600_NS6detail15normal_iteratorINS8_10device_ptrIiEEEESD_SD_SD_jNS0_19identity_decomposerENS1_16block_id_wrapperIjLb0EEEEE10hipError_tT1_PNSt15iterator_traitsISI_E10value_typeET2_T3_PNSJ_ISO_E10value_typeET4_T5_PST_SU_PNS1_23onesweep_lookback_stateEbbT6_jjT7_P12ihipStream_tbENKUlT_T0_SI_SN_E_clISD_PiSD_S15_EEDaS11_S12_SI_SN_EUlS11_E_NS1_11comp_targetILNS1_3genE0ELNS1_11target_archE4294967295ELNS1_3gpuE0ELNS1_3repE0EEENS1_47radix_sort_onesweep_sort_config_static_selectorELNS0_4arch9wavefront6targetE1EEEvSI_
; %bb.0:
	.section	.rodata,"a",@progbits
	.p2align	6, 0x0
	.amdhsa_kernel _ZN7rocprim17ROCPRIM_400000_NS6detail17trampoline_kernelINS0_14default_configENS1_35radix_sort_onesweep_config_selectorIiiEEZZNS1_29radix_sort_onesweep_iterationIS3_Lb1EN6thrust23THRUST_200600_302600_NS6detail15normal_iteratorINS8_10device_ptrIiEEEESD_SD_SD_jNS0_19identity_decomposerENS1_16block_id_wrapperIjLb0EEEEE10hipError_tT1_PNSt15iterator_traitsISI_E10value_typeET2_T3_PNSJ_ISO_E10value_typeET4_T5_PST_SU_PNS1_23onesweep_lookback_stateEbbT6_jjT7_P12ihipStream_tbENKUlT_T0_SI_SN_E_clISD_PiSD_S15_EEDaS11_S12_SI_SN_EUlS11_E_NS1_11comp_targetILNS1_3genE0ELNS1_11target_archE4294967295ELNS1_3gpuE0ELNS1_3repE0EEENS1_47radix_sort_onesweep_sort_config_static_selectorELNS0_4arch9wavefront6targetE1EEEvSI_
		.amdhsa_group_segment_fixed_size 0
		.amdhsa_private_segment_fixed_size 0
		.amdhsa_kernarg_size 88
		.amdhsa_user_sgpr_count 2
		.amdhsa_user_sgpr_dispatch_ptr 0
		.amdhsa_user_sgpr_queue_ptr 0
		.amdhsa_user_sgpr_kernarg_segment_ptr 1
		.amdhsa_user_sgpr_dispatch_id 0
		.amdhsa_user_sgpr_kernarg_preload_length 0
		.amdhsa_user_sgpr_kernarg_preload_offset 0
		.amdhsa_user_sgpr_private_segment_size 0
		.amdhsa_uses_dynamic_stack 0
		.amdhsa_enable_private_segment 0
		.amdhsa_system_sgpr_workgroup_id_x 1
		.amdhsa_system_sgpr_workgroup_id_y 0
		.amdhsa_system_sgpr_workgroup_id_z 0
		.amdhsa_system_sgpr_workgroup_info 0
		.amdhsa_system_vgpr_workitem_id 0
		.amdhsa_next_free_vgpr 1
		.amdhsa_next_free_sgpr 0
		.amdhsa_accum_offset 4
		.amdhsa_reserve_vcc 0
		.amdhsa_float_round_mode_32 0
		.amdhsa_float_round_mode_16_64 0
		.amdhsa_float_denorm_mode_32 3
		.amdhsa_float_denorm_mode_16_64 3
		.amdhsa_dx10_clamp 1
		.amdhsa_ieee_mode 1
		.amdhsa_fp16_overflow 0
		.amdhsa_tg_split 0
		.amdhsa_exception_fp_ieee_invalid_op 0
		.amdhsa_exception_fp_denorm_src 0
		.amdhsa_exception_fp_ieee_div_zero 0
		.amdhsa_exception_fp_ieee_overflow 0
		.amdhsa_exception_fp_ieee_underflow 0
		.amdhsa_exception_fp_ieee_inexact 0
		.amdhsa_exception_int_div_zero 0
	.end_amdhsa_kernel
	.section	.text._ZN7rocprim17ROCPRIM_400000_NS6detail17trampoline_kernelINS0_14default_configENS1_35radix_sort_onesweep_config_selectorIiiEEZZNS1_29radix_sort_onesweep_iterationIS3_Lb1EN6thrust23THRUST_200600_302600_NS6detail15normal_iteratorINS8_10device_ptrIiEEEESD_SD_SD_jNS0_19identity_decomposerENS1_16block_id_wrapperIjLb0EEEEE10hipError_tT1_PNSt15iterator_traitsISI_E10value_typeET2_T3_PNSJ_ISO_E10value_typeET4_T5_PST_SU_PNS1_23onesweep_lookback_stateEbbT6_jjT7_P12ihipStream_tbENKUlT_T0_SI_SN_E_clISD_PiSD_S15_EEDaS11_S12_SI_SN_EUlS11_E_NS1_11comp_targetILNS1_3genE0ELNS1_11target_archE4294967295ELNS1_3gpuE0ELNS1_3repE0EEENS1_47radix_sort_onesweep_sort_config_static_selectorELNS0_4arch9wavefront6targetE1EEEvSI_,"axG",@progbits,_ZN7rocprim17ROCPRIM_400000_NS6detail17trampoline_kernelINS0_14default_configENS1_35radix_sort_onesweep_config_selectorIiiEEZZNS1_29radix_sort_onesweep_iterationIS3_Lb1EN6thrust23THRUST_200600_302600_NS6detail15normal_iteratorINS8_10device_ptrIiEEEESD_SD_SD_jNS0_19identity_decomposerENS1_16block_id_wrapperIjLb0EEEEE10hipError_tT1_PNSt15iterator_traitsISI_E10value_typeET2_T3_PNSJ_ISO_E10value_typeET4_T5_PST_SU_PNS1_23onesweep_lookback_stateEbbT6_jjT7_P12ihipStream_tbENKUlT_T0_SI_SN_E_clISD_PiSD_S15_EEDaS11_S12_SI_SN_EUlS11_E_NS1_11comp_targetILNS1_3genE0ELNS1_11target_archE4294967295ELNS1_3gpuE0ELNS1_3repE0EEENS1_47radix_sort_onesweep_sort_config_static_selectorELNS0_4arch9wavefront6targetE1EEEvSI_,comdat
.Lfunc_end1873:
	.size	_ZN7rocprim17ROCPRIM_400000_NS6detail17trampoline_kernelINS0_14default_configENS1_35radix_sort_onesweep_config_selectorIiiEEZZNS1_29radix_sort_onesweep_iterationIS3_Lb1EN6thrust23THRUST_200600_302600_NS6detail15normal_iteratorINS8_10device_ptrIiEEEESD_SD_SD_jNS0_19identity_decomposerENS1_16block_id_wrapperIjLb0EEEEE10hipError_tT1_PNSt15iterator_traitsISI_E10value_typeET2_T3_PNSJ_ISO_E10value_typeET4_T5_PST_SU_PNS1_23onesweep_lookback_stateEbbT6_jjT7_P12ihipStream_tbENKUlT_T0_SI_SN_E_clISD_PiSD_S15_EEDaS11_S12_SI_SN_EUlS11_E_NS1_11comp_targetILNS1_3genE0ELNS1_11target_archE4294967295ELNS1_3gpuE0ELNS1_3repE0EEENS1_47radix_sort_onesweep_sort_config_static_selectorELNS0_4arch9wavefront6targetE1EEEvSI_, .Lfunc_end1873-_ZN7rocprim17ROCPRIM_400000_NS6detail17trampoline_kernelINS0_14default_configENS1_35radix_sort_onesweep_config_selectorIiiEEZZNS1_29radix_sort_onesweep_iterationIS3_Lb1EN6thrust23THRUST_200600_302600_NS6detail15normal_iteratorINS8_10device_ptrIiEEEESD_SD_SD_jNS0_19identity_decomposerENS1_16block_id_wrapperIjLb0EEEEE10hipError_tT1_PNSt15iterator_traitsISI_E10value_typeET2_T3_PNSJ_ISO_E10value_typeET4_T5_PST_SU_PNS1_23onesweep_lookback_stateEbbT6_jjT7_P12ihipStream_tbENKUlT_T0_SI_SN_E_clISD_PiSD_S15_EEDaS11_S12_SI_SN_EUlS11_E_NS1_11comp_targetILNS1_3genE0ELNS1_11target_archE4294967295ELNS1_3gpuE0ELNS1_3repE0EEENS1_47radix_sort_onesweep_sort_config_static_selectorELNS0_4arch9wavefront6targetE1EEEvSI_
                                        ; -- End function
	.set _ZN7rocprim17ROCPRIM_400000_NS6detail17trampoline_kernelINS0_14default_configENS1_35radix_sort_onesweep_config_selectorIiiEEZZNS1_29radix_sort_onesweep_iterationIS3_Lb1EN6thrust23THRUST_200600_302600_NS6detail15normal_iteratorINS8_10device_ptrIiEEEESD_SD_SD_jNS0_19identity_decomposerENS1_16block_id_wrapperIjLb0EEEEE10hipError_tT1_PNSt15iterator_traitsISI_E10value_typeET2_T3_PNSJ_ISO_E10value_typeET4_T5_PST_SU_PNS1_23onesweep_lookback_stateEbbT6_jjT7_P12ihipStream_tbENKUlT_T0_SI_SN_E_clISD_PiSD_S15_EEDaS11_S12_SI_SN_EUlS11_E_NS1_11comp_targetILNS1_3genE0ELNS1_11target_archE4294967295ELNS1_3gpuE0ELNS1_3repE0EEENS1_47radix_sort_onesweep_sort_config_static_selectorELNS0_4arch9wavefront6targetE1EEEvSI_.num_vgpr, 0
	.set _ZN7rocprim17ROCPRIM_400000_NS6detail17trampoline_kernelINS0_14default_configENS1_35radix_sort_onesweep_config_selectorIiiEEZZNS1_29radix_sort_onesweep_iterationIS3_Lb1EN6thrust23THRUST_200600_302600_NS6detail15normal_iteratorINS8_10device_ptrIiEEEESD_SD_SD_jNS0_19identity_decomposerENS1_16block_id_wrapperIjLb0EEEEE10hipError_tT1_PNSt15iterator_traitsISI_E10value_typeET2_T3_PNSJ_ISO_E10value_typeET4_T5_PST_SU_PNS1_23onesweep_lookback_stateEbbT6_jjT7_P12ihipStream_tbENKUlT_T0_SI_SN_E_clISD_PiSD_S15_EEDaS11_S12_SI_SN_EUlS11_E_NS1_11comp_targetILNS1_3genE0ELNS1_11target_archE4294967295ELNS1_3gpuE0ELNS1_3repE0EEENS1_47radix_sort_onesweep_sort_config_static_selectorELNS0_4arch9wavefront6targetE1EEEvSI_.num_agpr, 0
	.set _ZN7rocprim17ROCPRIM_400000_NS6detail17trampoline_kernelINS0_14default_configENS1_35radix_sort_onesweep_config_selectorIiiEEZZNS1_29radix_sort_onesweep_iterationIS3_Lb1EN6thrust23THRUST_200600_302600_NS6detail15normal_iteratorINS8_10device_ptrIiEEEESD_SD_SD_jNS0_19identity_decomposerENS1_16block_id_wrapperIjLb0EEEEE10hipError_tT1_PNSt15iterator_traitsISI_E10value_typeET2_T3_PNSJ_ISO_E10value_typeET4_T5_PST_SU_PNS1_23onesweep_lookback_stateEbbT6_jjT7_P12ihipStream_tbENKUlT_T0_SI_SN_E_clISD_PiSD_S15_EEDaS11_S12_SI_SN_EUlS11_E_NS1_11comp_targetILNS1_3genE0ELNS1_11target_archE4294967295ELNS1_3gpuE0ELNS1_3repE0EEENS1_47radix_sort_onesweep_sort_config_static_selectorELNS0_4arch9wavefront6targetE1EEEvSI_.numbered_sgpr, 0
	.set _ZN7rocprim17ROCPRIM_400000_NS6detail17trampoline_kernelINS0_14default_configENS1_35radix_sort_onesweep_config_selectorIiiEEZZNS1_29radix_sort_onesweep_iterationIS3_Lb1EN6thrust23THRUST_200600_302600_NS6detail15normal_iteratorINS8_10device_ptrIiEEEESD_SD_SD_jNS0_19identity_decomposerENS1_16block_id_wrapperIjLb0EEEEE10hipError_tT1_PNSt15iterator_traitsISI_E10value_typeET2_T3_PNSJ_ISO_E10value_typeET4_T5_PST_SU_PNS1_23onesweep_lookback_stateEbbT6_jjT7_P12ihipStream_tbENKUlT_T0_SI_SN_E_clISD_PiSD_S15_EEDaS11_S12_SI_SN_EUlS11_E_NS1_11comp_targetILNS1_3genE0ELNS1_11target_archE4294967295ELNS1_3gpuE0ELNS1_3repE0EEENS1_47radix_sort_onesweep_sort_config_static_selectorELNS0_4arch9wavefront6targetE1EEEvSI_.num_named_barrier, 0
	.set _ZN7rocprim17ROCPRIM_400000_NS6detail17trampoline_kernelINS0_14default_configENS1_35radix_sort_onesweep_config_selectorIiiEEZZNS1_29radix_sort_onesweep_iterationIS3_Lb1EN6thrust23THRUST_200600_302600_NS6detail15normal_iteratorINS8_10device_ptrIiEEEESD_SD_SD_jNS0_19identity_decomposerENS1_16block_id_wrapperIjLb0EEEEE10hipError_tT1_PNSt15iterator_traitsISI_E10value_typeET2_T3_PNSJ_ISO_E10value_typeET4_T5_PST_SU_PNS1_23onesweep_lookback_stateEbbT6_jjT7_P12ihipStream_tbENKUlT_T0_SI_SN_E_clISD_PiSD_S15_EEDaS11_S12_SI_SN_EUlS11_E_NS1_11comp_targetILNS1_3genE0ELNS1_11target_archE4294967295ELNS1_3gpuE0ELNS1_3repE0EEENS1_47radix_sort_onesweep_sort_config_static_selectorELNS0_4arch9wavefront6targetE1EEEvSI_.private_seg_size, 0
	.set _ZN7rocprim17ROCPRIM_400000_NS6detail17trampoline_kernelINS0_14default_configENS1_35radix_sort_onesweep_config_selectorIiiEEZZNS1_29radix_sort_onesweep_iterationIS3_Lb1EN6thrust23THRUST_200600_302600_NS6detail15normal_iteratorINS8_10device_ptrIiEEEESD_SD_SD_jNS0_19identity_decomposerENS1_16block_id_wrapperIjLb0EEEEE10hipError_tT1_PNSt15iterator_traitsISI_E10value_typeET2_T3_PNSJ_ISO_E10value_typeET4_T5_PST_SU_PNS1_23onesweep_lookback_stateEbbT6_jjT7_P12ihipStream_tbENKUlT_T0_SI_SN_E_clISD_PiSD_S15_EEDaS11_S12_SI_SN_EUlS11_E_NS1_11comp_targetILNS1_3genE0ELNS1_11target_archE4294967295ELNS1_3gpuE0ELNS1_3repE0EEENS1_47radix_sort_onesweep_sort_config_static_selectorELNS0_4arch9wavefront6targetE1EEEvSI_.uses_vcc, 0
	.set _ZN7rocprim17ROCPRIM_400000_NS6detail17trampoline_kernelINS0_14default_configENS1_35radix_sort_onesweep_config_selectorIiiEEZZNS1_29radix_sort_onesweep_iterationIS3_Lb1EN6thrust23THRUST_200600_302600_NS6detail15normal_iteratorINS8_10device_ptrIiEEEESD_SD_SD_jNS0_19identity_decomposerENS1_16block_id_wrapperIjLb0EEEEE10hipError_tT1_PNSt15iterator_traitsISI_E10value_typeET2_T3_PNSJ_ISO_E10value_typeET4_T5_PST_SU_PNS1_23onesweep_lookback_stateEbbT6_jjT7_P12ihipStream_tbENKUlT_T0_SI_SN_E_clISD_PiSD_S15_EEDaS11_S12_SI_SN_EUlS11_E_NS1_11comp_targetILNS1_3genE0ELNS1_11target_archE4294967295ELNS1_3gpuE0ELNS1_3repE0EEENS1_47radix_sort_onesweep_sort_config_static_selectorELNS0_4arch9wavefront6targetE1EEEvSI_.uses_flat_scratch, 0
	.set _ZN7rocprim17ROCPRIM_400000_NS6detail17trampoline_kernelINS0_14default_configENS1_35radix_sort_onesweep_config_selectorIiiEEZZNS1_29radix_sort_onesweep_iterationIS3_Lb1EN6thrust23THRUST_200600_302600_NS6detail15normal_iteratorINS8_10device_ptrIiEEEESD_SD_SD_jNS0_19identity_decomposerENS1_16block_id_wrapperIjLb0EEEEE10hipError_tT1_PNSt15iterator_traitsISI_E10value_typeET2_T3_PNSJ_ISO_E10value_typeET4_T5_PST_SU_PNS1_23onesweep_lookback_stateEbbT6_jjT7_P12ihipStream_tbENKUlT_T0_SI_SN_E_clISD_PiSD_S15_EEDaS11_S12_SI_SN_EUlS11_E_NS1_11comp_targetILNS1_3genE0ELNS1_11target_archE4294967295ELNS1_3gpuE0ELNS1_3repE0EEENS1_47radix_sort_onesweep_sort_config_static_selectorELNS0_4arch9wavefront6targetE1EEEvSI_.has_dyn_sized_stack, 0
	.set _ZN7rocprim17ROCPRIM_400000_NS6detail17trampoline_kernelINS0_14default_configENS1_35radix_sort_onesweep_config_selectorIiiEEZZNS1_29radix_sort_onesweep_iterationIS3_Lb1EN6thrust23THRUST_200600_302600_NS6detail15normal_iteratorINS8_10device_ptrIiEEEESD_SD_SD_jNS0_19identity_decomposerENS1_16block_id_wrapperIjLb0EEEEE10hipError_tT1_PNSt15iterator_traitsISI_E10value_typeET2_T3_PNSJ_ISO_E10value_typeET4_T5_PST_SU_PNS1_23onesweep_lookback_stateEbbT6_jjT7_P12ihipStream_tbENKUlT_T0_SI_SN_E_clISD_PiSD_S15_EEDaS11_S12_SI_SN_EUlS11_E_NS1_11comp_targetILNS1_3genE0ELNS1_11target_archE4294967295ELNS1_3gpuE0ELNS1_3repE0EEENS1_47radix_sort_onesweep_sort_config_static_selectorELNS0_4arch9wavefront6targetE1EEEvSI_.has_recursion, 0
	.set _ZN7rocprim17ROCPRIM_400000_NS6detail17trampoline_kernelINS0_14default_configENS1_35radix_sort_onesweep_config_selectorIiiEEZZNS1_29radix_sort_onesweep_iterationIS3_Lb1EN6thrust23THRUST_200600_302600_NS6detail15normal_iteratorINS8_10device_ptrIiEEEESD_SD_SD_jNS0_19identity_decomposerENS1_16block_id_wrapperIjLb0EEEEE10hipError_tT1_PNSt15iterator_traitsISI_E10value_typeET2_T3_PNSJ_ISO_E10value_typeET4_T5_PST_SU_PNS1_23onesweep_lookback_stateEbbT6_jjT7_P12ihipStream_tbENKUlT_T0_SI_SN_E_clISD_PiSD_S15_EEDaS11_S12_SI_SN_EUlS11_E_NS1_11comp_targetILNS1_3genE0ELNS1_11target_archE4294967295ELNS1_3gpuE0ELNS1_3repE0EEENS1_47radix_sort_onesweep_sort_config_static_selectorELNS0_4arch9wavefront6targetE1EEEvSI_.has_indirect_call, 0
	.section	.AMDGPU.csdata,"",@progbits
; Kernel info:
; codeLenInByte = 0
; TotalNumSgprs: 6
; NumVgprs: 0
; NumAgprs: 0
; TotalNumVgprs: 0
; ScratchSize: 0
; MemoryBound: 0
; FloatMode: 240
; IeeeMode: 1
; LDSByteSize: 0 bytes/workgroup (compile time only)
; SGPRBlocks: 0
; VGPRBlocks: 0
; NumSGPRsForWavesPerEU: 6
; NumVGPRsForWavesPerEU: 1
; AccumOffset: 4
; Occupancy: 8
; WaveLimiterHint : 0
; COMPUTE_PGM_RSRC2:SCRATCH_EN: 0
; COMPUTE_PGM_RSRC2:USER_SGPR: 2
; COMPUTE_PGM_RSRC2:TRAP_HANDLER: 0
; COMPUTE_PGM_RSRC2:TGID_X_EN: 1
; COMPUTE_PGM_RSRC2:TGID_Y_EN: 0
; COMPUTE_PGM_RSRC2:TGID_Z_EN: 0
; COMPUTE_PGM_RSRC2:TIDIG_COMP_CNT: 0
; COMPUTE_PGM_RSRC3_GFX90A:ACCUM_OFFSET: 0
; COMPUTE_PGM_RSRC3_GFX90A:TG_SPLIT: 0
	.section	.text._ZN7rocprim17ROCPRIM_400000_NS6detail17trampoline_kernelINS0_14default_configENS1_35radix_sort_onesweep_config_selectorIiiEEZZNS1_29radix_sort_onesweep_iterationIS3_Lb1EN6thrust23THRUST_200600_302600_NS6detail15normal_iteratorINS8_10device_ptrIiEEEESD_SD_SD_jNS0_19identity_decomposerENS1_16block_id_wrapperIjLb0EEEEE10hipError_tT1_PNSt15iterator_traitsISI_E10value_typeET2_T3_PNSJ_ISO_E10value_typeET4_T5_PST_SU_PNS1_23onesweep_lookback_stateEbbT6_jjT7_P12ihipStream_tbENKUlT_T0_SI_SN_E_clISD_PiSD_S15_EEDaS11_S12_SI_SN_EUlS11_E_NS1_11comp_targetILNS1_3genE6ELNS1_11target_archE950ELNS1_3gpuE13ELNS1_3repE0EEENS1_47radix_sort_onesweep_sort_config_static_selectorELNS0_4arch9wavefront6targetE1EEEvSI_,"axG",@progbits,_ZN7rocprim17ROCPRIM_400000_NS6detail17trampoline_kernelINS0_14default_configENS1_35radix_sort_onesweep_config_selectorIiiEEZZNS1_29radix_sort_onesweep_iterationIS3_Lb1EN6thrust23THRUST_200600_302600_NS6detail15normal_iteratorINS8_10device_ptrIiEEEESD_SD_SD_jNS0_19identity_decomposerENS1_16block_id_wrapperIjLb0EEEEE10hipError_tT1_PNSt15iterator_traitsISI_E10value_typeET2_T3_PNSJ_ISO_E10value_typeET4_T5_PST_SU_PNS1_23onesweep_lookback_stateEbbT6_jjT7_P12ihipStream_tbENKUlT_T0_SI_SN_E_clISD_PiSD_S15_EEDaS11_S12_SI_SN_EUlS11_E_NS1_11comp_targetILNS1_3genE6ELNS1_11target_archE950ELNS1_3gpuE13ELNS1_3repE0EEENS1_47radix_sort_onesweep_sort_config_static_selectorELNS0_4arch9wavefront6targetE1EEEvSI_,comdat
	.protected	_ZN7rocprim17ROCPRIM_400000_NS6detail17trampoline_kernelINS0_14default_configENS1_35radix_sort_onesweep_config_selectorIiiEEZZNS1_29radix_sort_onesweep_iterationIS3_Lb1EN6thrust23THRUST_200600_302600_NS6detail15normal_iteratorINS8_10device_ptrIiEEEESD_SD_SD_jNS0_19identity_decomposerENS1_16block_id_wrapperIjLb0EEEEE10hipError_tT1_PNSt15iterator_traitsISI_E10value_typeET2_T3_PNSJ_ISO_E10value_typeET4_T5_PST_SU_PNS1_23onesweep_lookback_stateEbbT6_jjT7_P12ihipStream_tbENKUlT_T0_SI_SN_E_clISD_PiSD_S15_EEDaS11_S12_SI_SN_EUlS11_E_NS1_11comp_targetILNS1_3genE6ELNS1_11target_archE950ELNS1_3gpuE13ELNS1_3repE0EEENS1_47radix_sort_onesweep_sort_config_static_selectorELNS0_4arch9wavefront6targetE1EEEvSI_ ; -- Begin function _ZN7rocprim17ROCPRIM_400000_NS6detail17trampoline_kernelINS0_14default_configENS1_35radix_sort_onesweep_config_selectorIiiEEZZNS1_29radix_sort_onesweep_iterationIS3_Lb1EN6thrust23THRUST_200600_302600_NS6detail15normal_iteratorINS8_10device_ptrIiEEEESD_SD_SD_jNS0_19identity_decomposerENS1_16block_id_wrapperIjLb0EEEEE10hipError_tT1_PNSt15iterator_traitsISI_E10value_typeET2_T3_PNSJ_ISO_E10value_typeET4_T5_PST_SU_PNS1_23onesweep_lookback_stateEbbT6_jjT7_P12ihipStream_tbENKUlT_T0_SI_SN_E_clISD_PiSD_S15_EEDaS11_S12_SI_SN_EUlS11_E_NS1_11comp_targetILNS1_3genE6ELNS1_11target_archE950ELNS1_3gpuE13ELNS1_3repE0EEENS1_47radix_sort_onesweep_sort_config_static_selectorELNS0_4arch9wavefront6targetE1EEEvSI_
	.globl	_ZN7rocprim17ROCPRIM_400000_NS6detail17trampoline_kernelINS0_14default_configENS1_35radix_sort_onesweep_config_selectorIiiEEZZNS1_29radix_sort_onesweep_iterationIS3_Lb1EN6thrust23THRUST_200600_302600_NS6detail15normal_iteratorINS8_10device_ptrIiEEEESD_SD_SD_jNS0_19identity_decomposerENS1_16block_id_wrapperIjLb0EEEEE10hipError_tT1_PNSt15iterator_traitsISI_E10value_typeET2_T3_PNSJ_ISO_E10value_typeET4_T5_PST_SU_PNS1_23onesweep_lookback_stateEbbT6_jjT7_P12ihipStream_tbENKUlT_T0_SI_SN_E_clISD_PiSD_S15_EEDaS11_S12_SI_SN_EUlS11_E_NS1_11comp_targetILNS1_3genE6ELNS1_11target_archE950ELNS1_3gpuE13ELNS1_3repE0EEENS1_47radix_sort_onesweep_sort_config_static_selectorELNS0_4arch9wavefront6targetE1EEEvSI_
	.p2align	8
	.type	_ZN7rocprim17ROCPRIM_400000_NS6detail17trampoline_kernelINS0_14default_configENS1_35radix_sort_onesweep_config_selectorIiiEEZZNS1_29radix_sort_onesweep_iterationIS3_Lb1EN6thrust23THRUST_200600_302600_NS6detail15normal_iteratorINS8_10device_ptrIiEEEESD_SD_SD_jNS0_19identity_decomposerENS1_16block_id_wrapperIjLb0EEEEE10hipError_tT1_PNSt15iterator_traitsISI_E10value_typeET2_T3_PNSJ_ISO_E10value_typeET4_T5_PST_SU_PNS1_23onesweep_lookback_stateEbbT6_jjT7_P12ihipStream_tbENKUlT_T0_SI_SN_E_clISD_PiSD_S15_EEDaS11_S12_SI_SN_EUlS11_E_NS1_11comp_targetILNS1_3genE6ELNS1_11target_archE950ELNS1_3gpuE13ELNS1_3repE0EEENS1_47radix_sort_onesweep_sort_config_static_selectorELNS0_4arch9wavefront6targetE1EEEvSI_,@function
_ZN7rocprim17ROCPRIM_400000_NS6detail17trampoline_kernelINS0_14default_configENS1_35radix_sort_onesweep_config_selectorIiiEEZZNS1_29radix_sort_onesweep_iterationIS3_Lb1EN6thrust23THRUST_200600_302600_NS6detail15normal_iteratorINS8_10device_ptrIiEEEESD_SD_SD_jNS0_19identity_decomposerENS1_16block_id_wrapperIjLb0EEEEE10hipError_tT1_PNSt15iterator_traitsISI_E10value_typeET2_T3_PNSJ_ISO_E10value_typeET4_T5_PST_SU_PNS1_23onesweep_lookback_stateEbbT6_jjT7_P12ihipStream_tbENKUlT_T0_SI_SN_E_clISD_PiSD_S15_EEDaS11_S12_SI_SN_EUlS11_E_NS1_11comp_targetILNS1_3genE6ELNS1_11target_archE950ELNS1_3gpuE13ELNS1_3repE0EEENS1_47radix_sort_onesweep_sort_config_static_selectorELNS0_4arch9wavefront6targetE1EEEvSI_: ; @_ZN7rocprim17ROCPRIM_400000_NS6detail17trampoline_kernelINS0_14default_configENS1_35radix_sort_onesweep_config_selectorIiiEEZZNS1_29radix_sort_onesweep_iterationIS3_Lb1EN6thrust23THRUST_200600_302600_NS6detail15normal_iteratorINS8_10device_ptrIiEEEESD_SD_SD_jNS0_19identity_decomposerENS1_16block_id_wrapperIjLb0EEEEE10hipError_tT1_PNSt15iterator_traitsISI_E10value_typeET2_T3_PNSJ_ISO_E10value_typeET4_T5_PST_SU_PNS1_23onesweep_lookback_stateEbbT6_jjT7_P12ihipStream_tbENKUlT_T0_SI_SN_E_clISD_PiSD_S15_EEDaS11_S12_SI_SN_EUlS11_E_NS1_11comp_targetILNS1_3genE6ELNS1_11target_archE950ELNS1_3gpuE13ELNS1_3repE0EEENS1_47radix_sort_onesweep_sort_config_static_selectorELNS0_4arch9wavefront6targetE1EEEvSI_
; %bb.0:
	s_load_dwordx8 s[52:59], s[0:1], 0x0
	s_load_dwordx4 s[64:67], s[0:1], 0x44
	s_load_dwordx4 s[60:63], s[0:1], 0x28
	s_load_dwordx2 s[50:51], s[0:1], 0x38
	s_mov_b64 s[4:5], -1
	v_mbcnt_lo_u32_b32 v1, -1, 0
	s_waitcnt lgkmcnt(0)
	s_cmp_ge_u32 s2, s66
	s_cbranch_scc0 .LBB1874_204
; %bb.1:
	s_load_dword s3, s[0:1], 0x20
	s_lshl_b32 s6, s66, 14
	s_lshl_b32 s4, s2, 14
	s_mov_b32 s5, 0
	v_and_b32_e32 v2, 0x3ff, v0
	s_waitcnt lgkmcnt(0)
	s_sub_i32 s3, s3, s6
	s_lshl_b64 s[66:67], s[4:5], 2
	v_mbcnt_hi_u32_b32 v12, -1, v1
	s_add_u32 s4, s52, s66
	v_and_b32_e32 v10, 63, v12
	v_lshlrev_b32_e32 v4, 4, v2
	s_addc_u32 s5, s53, s67
	v_and_b32_e32 v11, 0x3c00, v4
	v_mov_b32_e32 v5, 0
	v_lshlrev_b32_e32 v4, 2, v10
	v_lshl_add_u64 v[8:9], s[4:5], 0, v[4:5]
	v_lshlrev_b32_e32 v6, 2, v11
	v_mov_b32_e32 v7, v5
	v_or_b32_e32 v10, v10, v11
	v_mov_b32_e32 v3, -1
	v_lshl_add_u64 v[8:9], v[8:9], 0, v[6:7]
	v_cmp_gt_u32_e32 vcc, s3, v10
	v_mov_b32_e32 v5, -1
	s_and_saveexec_b64 s[4:5], vcc
	s_cbranch_execz .LBB1874_3
; %bb.2:
	global_load_dword v5, v[8:9], off
	s_waitcnt vmcnt(0)
	v_xor_b32_e32 v5, 0x7fffffff, v5
.LBB1874_3:
	s_or_b64 exec, exec, s[4:5]
	v_or_b32_e32 v7, 64, v10
	v_cmp_gt_u32_e64 s[42:43], s3, v7
	s_and_saveexec_b64 s[4:5], s[42:43]
	s_cbranch_execz .LBB1874_5
; %bb.4:
	global_load_dword v3, v[8:9], off offset:256
	s_waitcnt vmcnt(0)
	v_xor_b32_e32 v3, 0x7fffffff, v3
.LBB1874_5:
	s_or_b64 exec, exec, s[4:5]
	v_or_b32_e32 v7, 0x80, v10
	v_cmp_gt_u32_e64 s[4:5], s3, v7
	v_mov_b32_e32 v7, -1
	v_mov_b32_e32 v14, -1
	s_and_saveexec_b64 s[6:7], s[4:5]
	s_cbranch_execz .LBB1874_7
; %bb.6:
	global_load_dword v11, v[8:9], off offset:512
	s_waitcnt vmcnt(0)
	v_xor_b32_e32 v14, 0x7fffffff, v11
.LBB1874_7:
	s_or_b64 exec, exec, s[6:7]
	v_or_b32_e32 v11, 0xc0, v10
	v_cmp_gt_u32_e64 s[6:7], s3, v11
	s_and_saveexec_b64 s[8:9], s[6:7]
	s_cbranch_execz .LBB1874_9
; %bb.8:
	global_load_dword v7, v[8:9], off offset:768
	s_waitcnt vmcnt(0)
	v_xor_b32_e32 v7, 0x7fffffff, v7
.LBB1874_9:
	s_or_b64 exec, exec, s[8:9]
	v_or_b32_e32 v11, 0x100, v10
	v_cmp_gt_u32_e64 s[8:9], s3, v11
	v_mov_b32_e32 v15, -1
	v_mov_b32_e32 v16, -1
	s_and_saveexec_b64 s[10:11], s[8:9]
	s_cbranch_execz .LBB1874_11
; %bb.10:
	global_load_dword v11, v[8:9], off offset:1024
	s_waitcnt vmcnt(0)
	v_xor_b32_e32 v16, 0x7fffffff, v11
.LBB1874_11:
	;; [unrolled: 22-line block ×7, first 2 shown]
	s_or_b64 exec, exec, s[30:31]
	v_or_b32_e32 v10, 0x3c0, v10
	v_cmp_gt_u32_e64 s[30:31], s3, v10
	s_and_saveexec_b64 s[34:35], s[30:31]
	s_cbranch_execz .LBB1874_33
; %bb.32:
	global_load_dword v8, v[8:9], off offset:3840
	s_waitcnt vmcnt(0)
	v_xor_b32_e32 v25, 0x7fffffff, v8
.LBB1874_33:
	s_or_b64 exec, exec, s[34:35]
	s_load_dword s34, s[0:1], 0x64
	s_load_dword s33, s[0:1], 0x58
	s_add_u32 s35, s0, 0x58
	s_addc_u32 s36, s1, 0
	v_mov_b32_e32 v9, 0
	s_waitcnt lgkmcnt(0)
	s_lshr_b32 s37, s34, 16
	s_cmp_lt_u32 s2, s33
	s_cselect_b32 s34, 12, 18
	s_add_u32 s34, s35, s34
	s_addc_u32 s35, s36, 0
	global_load_ushort v27, v9, s[34:35]
	v_lshrrev_b32_e32 v29, s64, v5
	s_lshl_b32 s34, -1, s65
	v_bfe_u32 v8, v0, 10, 10
	v_bfe_u32 v11, v0, 20, 10
	v_bitop3_b32 v38, v29, s34, v29 bitop3:0x30
	s_movk_i32 s69, 0x44
	v_mad_u32_u24 v40, v11, s37, v8
	v_and_b32_e32 v8, 1, v38
	v_lshlrev_b32_e32 v11, 30, v38
	v_mov_b32_e32 v10, v9
	v_mov_b32_e32 v30, v9
	s_not_b32 s68, s34
	v_mul_lo_u32 v42, v38, s69
	v_lshlrev_b32_e32 v29, 29, v38
	v_lshlrev_b32_e32 v31, 28, v38
	;; [unrolled: 1-line block ×6, first 2 shown]
	v_lshl_add_u64 v[38:39], v[8:9], 0, -1
	v_cmp_ne_u32_e64 s[34:35], 0, v8
	v_not_b32_e32 v8, v11
	v_mov_b32_e32 v28, v9
	v_mov_b32_e32 v32, v9
	v_cmp_gt_i64_e64 s[36:37], 0, v[10:11]
	v_not_b32_e32 v10, v29
	v_cmp_gt_i64_e64 s[40:41], 0, v[30:31]
	v_not_b32_e32 v11, v31
	v_xor_b32_e32 v31, s35, v39
	v_ashrrev_i32_e32 v8, 31, v8
	v_mov_b32_e32 v34, v9
	v_cmp_gt_i64_e64 s[38:39], 0, v[28:29]
	v_cmp_gt_i64_e64 s[44:45], 0, v[32:33]
	v_not_b32_e32 v28, v33
	v_xor_b32_e32 v32, s34, v38
	v_ashrrev_i32_e32 v10, 31, v10
	v_and_b32_e32 v31, exec_hi, v31
	v_xor_b32_e32 v33, s37, v8
	v_cmp_gt_i64_e64 s[46:47], 0, v[34:35]
	v_ashrrev_i32_e32 v11, 31, v11
	v_and_b32_e32 v32, exec_lo, v32
	v_xor_b32_e32 v8, s36, v8
	v_xor_b32_e32 v34, s39, v10
	v_and_b32_e32 v31, v31, v33
	v_mov_b32_e32 v36, v9
	v_not_b32_e32 v29, v35
	v_ashrrev_i32_e32 v28, 31, v28
	v_xor_b32_e32 v10, s38, v10
	v_xor_b32_e32 v35, s41, v11
	v_and_b32_e32 v8, v32, v8
	v_and_b32_e32 v31, v31, v34
	v_cmp_gt_i64_e64 s[48:49], 0, v[36:37]
	v_not_b32_e32 v30, v37
	v_ashrrev_i32_e32 v29, 31, v29
	v_xor_b32_e32 v36, s45, v28
	v_and_b32_e32 v8, v8, v10
	v_and_b32_e32 v10, v31, v35
	v_ashrrev_i32_e32 v30, 31, v30
	v_xor_b32_e32 v11, s40, v11
	v_xor_b32_e32 v37, s47, v29
	v_and_b32_e32 v10, v10, v36
	v_xor_b32_e32 v28, s44, v28
	v_xor_b32_e32 v38, s49, v30
	v_and_b32_e32 v8, v8, v11
	v_and_b32_e32 v10, v10, v37
	v_and_b32_e32 v8, v8, v28
	v_and_b32_e32 v28, v10, v38
	v_xor_b32_e32 v29, s46, v29
	v_xor_b32_e32 v30, s48, v30
	v_and_b32_e32 v8, v8, v29
	v_and_b32_e32 v8, v8, v30
	v_mul_u32_u24_e32 v13, 20, v2
	ds_write2_b32 v13, v9, v9 offset0:16 offset1:17
	ds_write2_b32 v13, v9, v9 offset0:18 offset1:19
	ds_write_b32 v13, v9 offset:80
	s_waitcnt lgkmcnt(0)
	s_barrier
	s_waitcnt vmcnt(0)
	; wave barrier
	v_mad_u64_u32 v[10:11], s[34:35], v40, v27, v[2:3]
	v_lshrrev_b32_e32 v38, 6, v10
	v_mov_b32_e32 v40, v9
	v_not_b32_e32 v10, v41
	v_cmp_gt_i64_e64 s[34:35], 0, v[40:41]
	v_ashrrev_i32_e32 v10, 31, v10
	v_lshl_add_u32 v31, v38, 2, v42
	v_xor_b32_e32 v11, s35, v10
	v_xor_b32_e32 v10, s34, v10
	v_and_b32_e32 v10, v8, v10
	v_and_b32_e32 v11, v28, v11
	v_mbcnt_lo_u32_b32 v8, v10, 0
	v_mbcnt_hi_u32_b32 v28, v11, v8
	v_cmp_eq_u32_e64 s[34:35], 0, v28
	v_cmp_ne_u64_e64 s[36:37], 0, v[10:11]
	s_and_b64 s[36:37], s[36:37], s[34:35]
	s_and_saveexec_b64 s[34:35], s[36:37]
; %bb.34:
	v_bcnt_u32_b32 v8, v10, 0
	v_bcnt_u32_b32 v8, v11, v8
	ds_write_b32 v31, v8 offset:64
; %bb.35:
	s_or_b64 exec, exec, s[34:35]
	v_lshrrev_b32_e32 v8, s64, v3
	v_and_b32_e32 v29, s68, v8
	v_mul_lo_u32 v8, v29, s69
	v_lshl_add_u32 v33, v38, 2, v8
	v_and_b32_e32 v8, 1, v29
	v_lshl_add_u64 v[10:11], v[8:9], 0, -1
	v_cmp_ne_u32_e64 s[34:35], 0, v8
	; wave barrier
	s_nop 1
	v_xor_b32_e32 v10, s34, v10
	v_xor_b32_e32 v8, s35, v11
	v_and_b32_e32 v30, exec_lo, v10
	v_lshlrev_b32_e32 v11, 30, v29
	v_mov_b32_e32 v10, v9
	v_cmp_gt_i64_e64 s[34:35], 0, v[10:11]
	v_not_b32_e32 v10, v11
	v_ashrrev_i32_e32 v10, 31, v10
	v_and_b32_e32 v8, exec_hi, v8
	v_xor_b32_e32 v11, s35, v10
	v_xor_b32_e32 v10, s34, v10
	v_and_b32_e32 v8, v8, v11
	v_and_b32_e32 v30, v30, v10
	v_lshlrev_b32_e32 v11, 29, v29
	v_mov_b32_e32 v10, v9
	v_cmp_gt_i64_e64 s[34:35], 0, v[10:11]
	v_not_b32_e32 v10, v11
	v_ashrrev_i32_e32 v10, 31, v10
	v_xor_b32_e32 v11, s35, v10
	v_xor_b32_e32 v10, s34, v10
	v_and_b32_e32 v8, v8, v11
	v_and_b32_e32 v30, v30, v10
	v_lshlrev_b32_e32 v11, 28, v29
	v_mov_b32_e32 v10, v9
	v_cmp_gt_i64_e64 s[34:35], 0, v[10:11]
	v_not_b32_e32 v10, v11
	v_ashrrev_i32_e32 v10, 31, v10
	;; [unrolled: 9-line block ×5, first 2 shown]
	v_xor_b32_e32 v11, s35, v10
	v_xor_b32_e32 v10, s34, v10
	v_and_b32_e32 v8, v8, v11
	v_lshlrev_b32_e32 v11, 24, v29
	v_and_b32_e32 v30, v30, v10
	v_mov_b32_e32 v10, v9
	v_not_b32_e32 v9, v11
	v_cmp_gt_i64_e64 s[34:35], 0, v[10:11]
	v_ashrrev_i32_e32 v9, 31, v9
	ds_read_b32 v27, v33 offset:64
	v_xor_b32_e32 v10, s35, v9
	v_xor_b32_e32 v11, s34, v9
	v_and_b32_e32 v9, v8, v10
	v_and_b32_e32 v8, v30, v11
	v_mbcnt_lo_u32_b32 v10, v8, 0
	v_mbcnt_hi_u32_b32 v29, v9, v10
	v_cmp_eq_u32_e64 s[34:35], 0, v29
	v_cmp_ne_u64_e64 s[36:37], 0, v[8:9]
	s_and_b64 s[36:37], s[36:37], s[34:35]
	; wave barrier
	s_and_saveexec_b64 s[34:35], s[36:37]
	s_cbranch_execz .LBB1874_37
; %bb.36:
	v_bcnt_u32_b32 v8, v8, 0
	v_bcnt_u32_b32 v8, v9, v8
	s_waitcnt lgkmcnt(0)
	v_add_u32_e32 v8, v27, v8
	ds_write_b32 v33, v8 offset:64
.LBB1874_37:
	s_or_b64 exec, exec, s[34:35]
	v_lshrrev_b32_e32 v8, s64, v14
	v_and_b32_e32 v32, s68, v8
	s_movk_i32 s38, 0x44
	v_mul_lo_u32 v8, v32, s38
	v_lshl_add_u32 v36, v38, 2, v8
	v_and_b32_e32 v8, 1, v32
	v_mov_b32_e32 v9, 0
	v_lshl_add_u64 v[10:11], v[8:9], 0, -1
	v_cmp_ne_u32_e64 s[34:35], 0, v8
	; wave barrier
	s_nop 1
	v_xor_b32_e32 v10, s34, v10
	v_xor_b32_e32 v8, s35, v11
	v_and_b32_e32 v34, exec_lo, v10
	v_lshlrev_b32_e32 v11, 30, v32
	v_mov_b32_e32 v10, v9
	v_cmp_gt_i64_e64 s[34:35], 0, v[10:11]
	v_not_b32_e32 v10, v11
	v_ashrrev_i32_e32 v10, 31, v10
	v_and_b32_e32 v8, exec_hi, v8
	v_xor_b32_e32 v11, s35, v10
	v_xor_b32_e32 v10, s34, v10
	v_and_b32_e32 v8, v8, v11
	v_and_b32_e32 v34, v34, v10
	v_lshlrev_b32_e32 v11, 29, v32
	v_mov_b32_e32 v10, v9
	v_cmp_gt_i64_e64 s[34:35], 0, v[10:11]
	v_not_b32_e32 v10, v11
	v_ashrrev_i32_e32 v10, 31, v10
	v_xor_b32_e32 v11, s35, v10
	v_xor_b32_e32 v10, s34, v10
	v_and_b32_e32 v8, v8, v11
	v_and_b32_e32 v34, v34, v10
	v_lshlrev_b32_e32 v11, 28, v32
	v_mov_b32_e32 v10, v9
	v_cmp_gt_i64_e64 s[34:35], 0, v[10:11]
	v_not_b32_e32 v10, v11
	v_ashrrev_i32_e32 v10, 31, v10
	;; [unrolled: 9-line block ×6, first 2 shown]
	v_xor_b32_e32 v11, s35, v10
	v_xor_b32_e32 v10, s34, v10
	ds_read_b32 v30, v36 offset:64
	v_and_b32_e32 v10, v34, v10
	v_and_b32_e32 v11, v8, v11
	v_mbcnt_lo_u32_b32 v8, v10, 0
	v_mbcnt_hi_u32_b32 v32, v11, v8
	v_cmp_eq_u32_e64 s[34:35], 0, v32
	v_cmp_ne_u64_e64 s[36:37], 0, v[10:11]
	s_and_b64 s[36:37], s[36:37], s[34:35]
	; wave barrier
	s_and_saveexec_b64 s[34:35], s[36:37]
	s_cbranch_execz .LBB1874_39
; %bb.38:
	v_bcnt_u32_b32 v8, v10, 0
	v_bcnt_u32_b32 v8, v11, v8
	s_waitcnt lgkmcnt(0)
	v_add_u32_e32 v8, v30, v8
	ds_write_b32 v36, v8 offset:64
.LBB1874_39:
	s_or_b64 exec, exec, s[34:35]
	v_lshrrev_b32_e32 v8, s64, v7
	v_and_b32_e32 v35, s68, v8
	v_mul_lo_u32 v8, v35, s38
	v_lshl_add_u32 v40, v38, 2, v8
	v_and_b32_e32 v8, 1, v35
	v_lshl_add_u64 v[10:11], v[8:9], 0, -1
	v_cmp_ne_u32_e64 s[34:35], 0, v8
	; wave barrier
	s_nop 1
	v_xor_b32_e32 v10, s34, v10
	v_xor_b32_e32 v8, s35, v11
	v_and_b32_e32 v37, exec_lo, v10
	v_lshlrev_b32_e32 v11, 30, v35
	v_mov_b32_e32 v10, v9
	v_cmp_gt_i64_e64 s[34:35], 0, v[10:11]
	v_not_b32_e32 v10, v11
	v_ashrrev_i32_e32 v10, 31, v10
	v_and_b32_e32 v8, exec_hi, v8
	v_xor_b32_e32 v11, s35, v10
	v_xor_b32_e32 v10, s34, v10
	v_and_b32_e32 v8, v8, v11
	v_and_b32_e32 v37, v37, v10
	v_lshlrev_b32_e32 v11, 29, v35
	v_mov_b32_e32 v10, v9
	v_cmp_gt_i64_e64 s[34:35], 0, v[10:11]
	v_not_b32_e32 v10, v11
	v_ashrrev_i32_e32 v10, 31, v10
	v_xor_b32_e32 v11, s35, v10
	v_xor_b32_e32 v10, s34, v10
	v_and_b32_e32 v8, v8, v11
	v_and_b32_e32 v37, v37, v10
	v_lshlrev_b32_e32 v11, 28, v35
	v_mov_b32_e32 v10, v9
	v_cmp_gt_i64_e64 s[34:35], 0, v[10:11]
	v_not_b32_e32 v10, v11
	v_ashrrev_i32_e32 v10, 31, v10
	;; [unrolled: 9-line block ×5, first 2 shown]
	v_xor_b32_e32 v11, s35, v10
	v_xor_b32_e32 v10, s34, v10
	v_and_b32_e32 v8, v8, v11
	v_lshlrev_b32_e32 v11, 24, v35
	v_and_b32_e32 v37, v37, v10
	v_mov_b32_e32 v10, v9
	v_not_b32_e32 v9, v11
	v_cmp_gt_i64_e64 s[34:35], 0, v[10:11]
	v_ashrrev_i32_e32 v9, 31, v9
	ds_read_b32 v34, v40 offset:64
	v_xor_b32_e32 v10, s35, v9
	v_xor_b32_e32 v11, s34, v9
	v_and_b32_e32 v9, v8, v10
	v_and_b32_e32 v8, v37, v11
	v_mbcnt_lo_u32_b32 v10, v8, 0
	v_mbcnt_hi_u32_b32 v35, v9, v10
	v_cmp_eq_u32_e64 s[34:35], 0, v35
	v_cmp_ne_u64_e64 s[36:37], 0, v[8:9]
	s_and_b64 s[36:37], s[36:37], s[34:35]
	; wave barrier
	s_and_saveexec_b64 s[34:35], s[36:37]
	s_cbranch_execz .LBB1874_41
; %bb.40:
	v_bcnt_u32_b32 v8, v8, 0
	v_bcnt_u32_b32 v8, v9, v8
	s_waitcnt lgkmcnt(0)
	v_add_u32_e32 v8, v34, v8
	ds_write_b32 v40, v8 offset:64
.LBB1874_41:
	s_or_b64 exec, exec, s[34:35]
	v_lshrrev_b32_e32 v8, s64, v16
	v_and_b32_e32 v39, s68, v8
	v_mul_lo_u32 v8, v39, s38
	v_lshl_add_u32 v43, v38, 2, v8
	v_and_b32_e32 v8, 1, v39
	v_mov_b32_e32 v9, 0
	v_lshl_add_u64 v[10:11], v[8:9], 0, -1
	v_cmp_ne_u32_e64 s[34:35], 0, v8
	; wave barrier
	s_nop 1
	v_xor_b32_e32 v10, s34, v10
	v_xor_b32_e32 v8, s35, v11
	v_and_b32_e32 v41, exec_lo, v10
	v_lshlrev_b32_e32 v11, 30, v39
	v_mov_b32_e32 v10, v9
	v_cmp_gt_i64_e64 s[34:35], 0, v[10:11]
	v_not_b32_e32 v10, v11
	v_ashrrev_i32_e32 v10, 31, v10
	v_and_b32_e32 v8, exec_hi, v8
	v_xor_b32_e32 v11, s35, v10
	v_xor_b32_e32 v10, s34, v10
	v_and_b32_e32 v8, v8, v11
	v_and_b32_e32 v41, v41, v10
	v_lshlrev_b32_e32 v11, 29, v39
	v_mov_b32_e32 v10, v9
	v_cmp_gt_i64_e64 s[34:35], 0, v[10:11]
	v_not_b32_e32 v10, v11
	v_ashrrev_i32_e32 v10, 31, v10
	v_xor_b32_e32 v11, s35, v10
	v_xor_b32_e32 v10, s34, v10
	v_and_b32_e32 v8, v8, v11
	v_and_b32_e32 v41, v41, v10
	v_lshlrev_b32_e32 v11, 28, v39
	v_mov_b32_e32 v10, v9
	v_cmp_gt_i64_e64 s[34:35], 0, v[10:11]
	v_not_b32_e32 v10, v11
	v_ashrrev_i32_e32 v10, 31, v10
	;; [unrolled: 9-line block ×6, first 2 shown]
	v_xor_b32_e32 v11, s35, v10
	v_xor_b32_e32 v10, s34, v10
	ds_read_b32 v37, v43 offset:64
	v_and_b32_e32 v10, v41, v10
	v_and_b32_e32 v11, v8, v11
	v_mbcnt_lo_u32_b32 v8, v10, 0
	v_mbcnt_hi_u32_b32 v39, v11, v8
	v_cmp_eq_u32_e64 s[34:35], 0, v39
	v_cmp_ne_u64_e64 s[36:37], 0, v[10:11]
	s_and_b64 s[36:37], s[36:37], s[34:35]
	; wave barrier
	s_and_saveexec_b64 s[34:35], s[36:37]
	s_cbranch_execz .LBB1874_43
; %bb.42:
	v_bcnt_u32_b32 v8, v10, 0
	v_bcnt_u32_b32 v8, v11, v8
	s_waitcnt lgkmcnt(0)
	v_add_u32_e32 v8, v37, v8
	ds_write_b32 v43, v8 offset:64
.LBB1874_43:
	s_or_b64 exec, exec, s[34:35]
	v_lshrrev_b32_e32 v8, s64, v15
	v_and_b32_e32 v42, s68, v8
	v_mul_lo_u32 v8, v42, s38
	v_lshl_add_u32 v45, v38, 2, v8
	v_and_b32_e32 v8, 1, v42
	v_lshl_add_u64 v[10:11], v[8:9], 0, -1
	v_cmp_ne_u32_e64 s[34:35], 0, v8
	; wave barrier
	s_nop 1
	v_xor_b32_e32 v10, s34, v10
	v_xor_b32_e32 v8, s35, v11
	v_and_b32_e32 v44, exec_lo, v10
	v_lshlrev_b32_e32 v11, 30, v42
	v_mov_b32_e32 v10, v9
	v_cmp_gt_i64_e64 s[34:35], 0, v[10:11]
	v_not_b32_e32 v10, v11
	v_ashrrev_i32_e32 v10, 31, v10
	v_and_b32_e32 v8, exec_hi, v8
	v_xor_b32_e32 v11, s35, v10
	v_xor_b32_e32 v10, s34, v10
	v_and_b32_e32 v8, v8, v11
	v_and_b32_e32 v44, v44, v10
	v_lshlrev_b32_e32 v11, 29, v42
	v_mov_b32_e32 v10, v9
	v_cmp_gt_i64_e64 s[34:35], 0, v[10:11]
	v_not_b32_e32 v10, v11
	v_ashrrev_i32_e32 v10, 31, v10
	v_xor_b32_e32 v11, s35, v10
	v_xor_b32_e32 v10, s34, v10
	v_and_b32_e32 v8, v8, v11
	v_and_b32_e32 v44, v44, v10
	v_lshlrev_b32_e32 v11, 28, v42
	v_mov_b32_e32 v10, v9
	v_cmp_gt_i64_e64 s[34:35], 0, v[10:11]
	v_not_b32_e32 v10, v11
	v_ashrrev_i32_e32 v10, 31, v10
	;; [unrolled: 9-line block ×5, first 2 shown]
	v_xor_b32_e32 v11, s35, v10
	v_xor_b32_e32 v10, s34, v10
	v_and_b32_e32 v8, v8, v11
	v_lshlrev_b32_e32 v11, 24, v42
	v_and_b32_e32 v44, v44, v10
	v_mov_b32_e32 v10, v9
	v_not_b32_e32 v9, v11
	v_cmp_gt_i64_e64 s[34:35], 0, v[10:11]
	v_ashrrev_i32_e32 v9, 31, v9
	ds_read_b32 v41, v45 offset:64
	v_xor_b32_e32 v10, s35, v9
	v_xor_b32_e32 v11, s34, v9
	v_and_b32_e32 v9, v8, v10
	v_and_b32_e32 v8, v44, v11
	v_mbcnt_lo_u32_b32 v10, v8, 0
	v_mbcnt_hi_u32_b32 v42, v9, v10
	v_cmp_eq_u32_e64 s[34:35], 0, v42
	v_cmp_ne_u64_e64 s[36:37], 0, v[8:9]
	s_and_b64 s[36:37], s[36:37], s[34:35]
	; wave barrier
	s_and_saveexec_b64 s[34:35], s[36:37]
	s_cbranch_execz .LBB1874_45
; %bb.44:
	v_bcnt_u32_b32 v8, v8, 0
	v_bcnt_u32_b32 v8, v9, v8
	s_waitcnt lgkmcnt(0)
	v_add_u32_e32 v8, v41, v8
	ds_write_b32 v45, v8 offset:64
.LBB1874_45:
	s_or_b64 exec, exec, s[34:35]
	v_lshrrev_b32_e32 v8, s64, v18
	v_and_b32_e32 v46, s68, v8
	v_mul_lo_u32 v8, v46, s38
	v_lshl_add_u32 v48, v38, 2, v8
	v_and_b32_e32 v8, 1, v46
	v_mov_b32_e32 v9, 0
	v_lshl_add_u64 v[10:11], v[8:9], 0, -1
	v_cmp_ne_u32_e64 s[34:35], 0, v8
	; wave barrier
	s_nop 1
	v_xor_b32_e32 v10, s34, v10
	v_xor_b32_e32 v8, s35, v11
	v_and_b32_e32 v47, exec_lo, v10
	v_lshlrev_b32_e32 v11, 30, v46
	v_mov_b32_e32 v10, v9
	v_cmp_gt_i64_e64 s[34:35], 0, v[10:11]
	v_not_b32_e32 v10, v11
	v_ashrrev_i32_e32 v10, 31, v10
	v_and_b32_e32 v8, exec_hi, v8
	v_xor_b32_e32 v11, s35, v10
	v_xor_b32_e32 v10, s34, v10
	v_and_b32_e32 v8, v8, v11
	v_and_b32_e32 v47, v47, v10
	v_lshlrev_b32_e32 v11, 29, v46
	v_mov_b32_e32 v10, v9
	v_cmp_gt_i64_e64 s[34:35], 0, v[10:11]
	v_not_b32_e32 v10, v11
	v_ashrrev_i32_e32 v10, 31, v10
	v_xor_b32_e32 v11, s35, v10
	v_xor_b32_e32 v10, s34, v10
	v_and_b32_e32 v8, v8, v11
	v_and_b32_e32 v47, v47, v10
	v_lshlrev_b32_e32 v11, 28, v46
	v_mov_b32_e32 v10, v9
	v_cmp_gt_i64_e64 s[34:35], 0, v[10:11]
	v_not_b32_e32 v10, v11
	v_ashrrev_i32_e32 v10, 31, v10
	;; [unrolled: 9-line block ×6, first 2 shown]
	v_xor_b32_e32 v11, s35, v10
	v_xor_b32_e32 v10, s34, v10
	ds_read_b32 v44, v48 offset:64
	v_and_b32_e32 v10, v47, v10
	v_and_b32_e32 v11, v8, v11
	v_mbcnt_lo_u32_b32 v8, v10, 0
	v_mbcnt_hi_u32_b32 v46, v11, v8
	v_cmp_eq_u32_e64 s[34:35], 0, v46
	v_cmp_ne_u64_e64 s[36:37], 0, v[10:11]
	s_and_b64 s[36:37], s[36:37], s[34:35]
	; wave barrier
	s_and_saveexec_b64 s[34:35], s[36:37]
	s_cbranch_execz .LBB1874_47
; %bb.46:
	v_bcnt_u32_b32 v8, v10, 0
	v_bcnt_u32_b32 v8, v11, v8
	s_waitcnt lgkmcnt(0)
	v_add_u32_e32 v8, v44, v8
	ds_write_b32 v48, v8 offset:64
.LBB1874_47:
	s_or_b64 exec, exec, s[34:35]
	v_lshrrev_b32_e32 v8, s64, v17
	v_and_b32_e32 v49, s68, v8
	v_mul_lo_u32 v8, v49, s38
	v_lshl_add_u32 v51, v38, 2, v8
	v_and_b32_e32 v8, 1, v49
	v_lshl_add_u64 v[10:11], v[8:9], 0, -1
	v_cmp_ne_u32_e64 s[34:35], 0, v8
	; wave barrier
	s_nop 1
	v_xor_b32_e32 v10, s34, v10
	v_xor_b32_e32 v8, s35, v11
	v_and_b32_e32 v50, exec_lo, v10
	v_lshlrev_b32_e32 v11, 30, v49
	v_mov_b32_e32 v10, v9
	v_cmp_gt_i64_e64 s[34:35], 0, v[10:11]
	v_not_b32_e32 v10, v11
	v_ashrrev_i32_e32 v10, 31, v10
	v_and_b32_e32 v8, exec_hi, v8
	v_xor_b32_e32 v11, s35, v10
	v_xor_b32_e32 v10, s34, v10
	v_and_b32_e32 v8, v8, v11
	v_and_b32_e32 v50, v50, v10
	v_lshlrev_b32_e32 v11, 29, v49
	v_mov_b32_e32 v10, v9
	v_cmp_gt_i64_e64 s[34:35], 0, v[10:11]
	v_not_b32_e32 v10, v11
	v_ashrrev_i32_e32 v10, 31, v10
	v_xor_b32_e32 v11, s35, v10
	v_xor_b32_e32 v10, s34, v10
	v_and_b32_e32 v8, v8, v11
	v_and_b32_e32 v50, v50, v10
	v_lshlrev_b32_e32 v11, 28, v49
	v_mov_b32_e32 v10, v9
	v_cmp_gt_i64_e64 s[34:35], 0, v[10:11]
	v_not_b32_e32 v10, v11
	v_ashrrev_i32_e32 v10, 31, v10
	;; [unrolled: 9-line block ×5, first 2 shown]
	v_xor_b32_e32 v11, s35, v10
	v_xor_b32_e32 v10, s34, v10
	v_and_b32_e32 v8, v8, v11
	v_lshlrev_b32_e32 v11, 24, v49
	v_and_b32_e32 v50, v50, v10
	v_mov_b32_e32 v10, v9
	v_not_b32_e32 v9, v11
	v_cmp_gt_i64_e64 s[34:35], 0, v[10:11]
	v_ashrrev_i32_e32 v9, 31, v9
	ds_read_b32 v47, v51 offset:64
	v_xor_b32_e32 v10, s35, v9
	v_xor_b32_e32 v11, s34, v9
	v_and_b32_e32 v9, v8, v10
	v_and_b32_e32 v8, v50, v11
	v_mbcnt_lo_u32_b32 v10, v8, 0
	v_mbcnt_hi_u32_b32 v49, v9, v10
	v_cmp_eq_u32_e64 s[34:35], 0, v49
	v_cmp_ne_u64_e64 s[36:37], 0, v[8:9]
	s_and_b64 s[36:37], s[36:37], s[34:35]
	; wave barrier
	s_and_saveexec_b64 s[34:35], s[36:37]
	s_cbranch_execz .LBB1874_49
; %bb.48:
	v_bcnt_u32_b32 v8, v8, 0
	v_bcnt_u32_b32 v8, v9, v8
	s_waitcnt lgkmcnt(0)
	v_add_u32_e32 v8, v47, v8
	ds_write_b32 v51, v8 offset:64
.LBB1874_49:
	s_or_b64 exec, exec, s[34:35]
	v_lshrrev_b32_e32 v8, s64, v20
	v_and_b32_e32 v52, s68, v8
	v_mul_lo_u32 v8, v52, s38
	v_lshl_add_u32 v54, v38, 2, v8
	v_and_b32_e32 v8, 1, v52
	v_mov_b32_e32 v9, 0
	v_lshl_add_u64 v[10:11], v[8:9], 0, -1
	v_cmp_ne_u32_e64 s[34:35], 0, v8
	; wave barrier
	s_nop 1
	v_xor_b32_e32 v10, s34, v10
	v_xor_b32_e32 v8, s35, v11
	v_and_b32_e32 v53, exec_lo, v10
	v_lshlrev_b32_e32 v11, 30, v52
	v_mov_b32_e32 v10, v9
	v_cmp_gt_i64_e64 s[34:35], 0, v[10:11]
	v_not_b32_e32 v10, v11
	v_ashrrev_i32_e32 v10, 31, v10
	v_and_b32_e32 v8, exec_hi, v8
	v_xor_b32_e32 v11, s35, v10
	v_xor_b32_e32 v10, s34, v10
	v_and_b32_e32 v8, v8, v11
	v_and_b32_e32 v53, v53, v10
	v_lshlrev_b32_e32 v11, 29, v52
	v_mov_b32_e32 v10, v9
	v_cmp_gt_i64_e64 s[34:35], 0, v[10:11]
	v_not_b32_e32 v10, v11
	v_ashrrev_i32_e32 v10, 31, v10
	v_xor_b32_e32 v11, s35, v10
	v_xor_b32_e32 v10, s34, v10
	v_and_b32_e32 v8, v8, v11
	v_and_b32_e32 v53, v53, v10
	v_lshlrev_b32_e32 v11, 28, v52
	v_mov_b32_e32 v10, v9
	v_cmp_gt_i64_e64 s[34:35], 0, v[10:11]
	v_not_b32_e32 v10, v11
	v_ashrrev_i32_e32 v10, 31, v10
	;; [unrolled: 9-line block ×6, first 2 shown]
	v_xor_b32_e32 v11, s35, v10
	v_xor_b32_e32 v10, s34, v10
	ds_read_b32 v50, v54 offset:64
	v_and_b32_e32 v10, v53, v10
	v_and_b32_e32 v11, v8, v11
	v_mbcnt_lo_u32_b32 v8, v10, 0
	v_mbcnt_hi_u32_b32 v52, v11, v8
	v_cmp_eq_u32_e64 s[34:35], 0, v52
	v_cmp_ne_u64_e64 s[36:37], 0, v[10:11]
	s_and_b64 s[36:37], s[36:37], s[34:35]
	; wave barrier
	s_and_saveexec_b64 s[34:35], s[36:37]
	s_cbranch_execz .LBB1874_51
; %bb.50:
	v_bcnt_u32_b32 v8, v10, 0
	v_bcnt_u32_b32 v8, v11, v8
	s_waitcnt lgkmcnt(0)
	v_add_u32_e32 v8, v50, v8
	ds_write_b32 v54, v8 offset:64
.LBB1874_51:
	s_or_b64 exec, exec, s[34:35]
	v_lshrrev_b32_e32 v8, s64, v19
	v_and_b32_e32 v55, s68, v8
	v_mul_lo_u32 v8, v55, s38
	v_lshl_add_u32 v57, v38, 2, v8
	v_and_b32_e32 v8, 1, v55
	v_lshl_add_u64 v[10:11], v[8:9], 0, -1
	v_cmp_ne_u32_e64 s[34:35], 0, v8
	; wave barrier
	s_nop 1
	v_xor_b32_e32 v10, s34, v10
	v_xor_b32_e32 v8, s35, v11
	v_and_b32_e32 v56, exec_lo, v10
	v_lshlrev_b32_e32 v11, 30, v55
	v_mov_b32_e32 v10, v9
	v_cmp_gt_i64_e64 s[34:35], 0, v[10:11]
	v_not_b32_e32 v10, v11
	v_ashrrev_i32_e32 v10, 31, v10
	v_and_b32_e32 v8, exec_hi, v8
	v_xor_b32_e32 v11, s35, v10
	v_xor_b32_e32 v10, s34, v10
	v_and_b32_e32 v8, v8, v11
	v_and_b32_e32 v56, v56, v10
	v_lshlrev_b32_e32 v11, 29, v55
	v_mov_b32_e32 v10, v9
	v_cmp_gt_i64_e64 s[34:35], 0, v[10:11]
	v_not_b32_e32 v10, v11
	v_ashrrev_i32_e32 v10, 31, v10
	v_xor_b32_e32 v11, s35, v10
	v_xor_b32_e32 v10, s34, v10
	v_and_b32_e32 v8, v8, v11
	v_and_b32_e32 v56, v56, v10
	v_lshlrev_b32_e32 v11, 28, v55
	v_mov_b32_e32 v10, v9
	v_cmp_gt_i64_e64 s[34:35], 0, v[10:11]
	v_not_b32_e32 v10, v11
	v_ashrrev_i32_e32 v10, 31, v10
	;; [unrolled: 9-line block ×5, first 2 shown]
	v_xor_b32_e32 v11, s35, v10
	v_xor_b32_e32 v10, s34, v10
	v_and_b32_e32 v8, v8, v11
	v_lshlrev_b32_e32 v11, 24, v55
	v_and_b32_e32 v56, v56, v10
	v_mov_b32_e32 v10, v9
	v_not_b32_e32 v9, v11
	v_cmp_gt_i64_e64 s[34:35], 0, v[10:11]
	v_ashrrev_i32_e32 v9, 31, v9
	ds_read_b32 v53, v57 offset:64
	v_xor_b32_e32 v10, s35, v9
	v_xor_b32_e32 v11, s34, v9
	v_and_b32_e32 v9, v8, v10
	v_and_b32_e32 v8, v56, v11
	v_mbcnt_lo_u32_b32 v10, v8, 0
	v_mbcnt_hi_u32_b32 v55, v9, v10
	v_cmp_eq_u32_e64 s[34:35], 0, v55
	v_cmp_ne_u64_e64 s[36:37], 0, v[8:9]
	s_and_b64 s[36:37], s[36:37], s[34:35]
	; wave barrier
	s_and_saveexec_b64 s[34:35], s[36:37]
	s_cbranch_execz .LBB1874_53
; %bb.52:
	v_bcnt_u32_b32 v8, v8, 0
	v_bcnt_u32_b32 v8, v9, v8
	s_waitcnt lgkmcnt(0)
	v_add_u32_e32 v8, v53, v8
	ds_write_b32 v57, v8 offset:64
.LBB1874_53:
	s_or_b64 exec, exec, s[34:35]
	v_lshrrev_b32_e32 v8, s64, v22
	v_and_b32_e32 v58, s68, v8
	v_mul_lo_u32 v8, v58, s38
	v_lshl_add_u32 v60, v38, 2, v8
	v_and_b32_e32 v8, 1, v58
	v_mov_b32_e32 v9, 0
	v_lshl_add_u64 v[10:11], v[8:9], 0, -1
	v_cmp_ne_u32_e64 s[34:35], 0, v8
	; wave barrier
	s_nop 1
	v_xor_b32_e32 v10, s34, v10
	v_xor_b32_e32 v8, s35, v11
	v_and_b32_e32 v59, exec_lo, v10
	v_lshlrev_b32_e32 v11, 30, v58
	v_mov_b32_e32 v10, v9
	v_cmp_gt_i64_e64 s[34:35], 0, v[10:11]
	v_not_b32_e32 v10, v11
	v_ashrrev_i32_e32 v10, 31, v10
	v_and_b32_e32 v8, exec_hi, v8
	v_xor_b32_e32 v11, s35, v10
	v_xor_b32_e32 v10, s34, v10
	v_and_b32_e32 v8, v8, v11
	v_and_b32_e32 v59, v59, v10
	v_lshlrev_b32_e32 v11, 29, v58
	v_mov_b32_e32 v10, v9
	v_cmp_gt_i64_e64 s[34:35], 0, v[10:11]
	v_not_b32_e32 v10, v11
	v_ashrrev_i32_e32 v10, 31, v10
	v_xor_b32_e32 v11, s35, v10
	v_xor_b32_e32 v10, s34, v10
	v_and_b32_e32 v8, v8, v11
	v_and_b32_e32 v59, v59, v10
	v_lshlrev_b32_e32 v11, 28, v58
	v_mov_b32_e32 v10, v9
	v_cmp_gt_i64_e64 s[34:35], 0, v[10:11]
	v_not_b32_e32 v10, v11
	v_ashrrev_i32_e32 v10, 31, v10
	;; [unrolled: 9-line block ×6, first 2 shown]
	v_xor_b32_e32 v11, s35, v10
	v_xor_b32_e32 v10, s34, v10
	ds_read_b32 v56, v60 offset:64
	v_and_b32_e32 v10, v59, v10
	v_and_b32_e32 v11, v8, v11
	v_mbcnt_lo_u32_b32 v8, v10, 0
	v_mbcnt_hi_u32_b32 v58, v11, v8
	v_cmp_eq_u32_e64 s[34:35], 0, v58
	v_cmp_ne_u64_e64 s[36:37], 0, v[10:11]
	s_and_b64 s[36:37], s[36:37], s[34:35]
	; wave barrier
	s_and_saveexec_b64 s[34:35], s[36:37]
	s_cbranch_execz .LBB1874_55
; %bb.54:
	v_bcnt_u32_b32 v8, v10, 0
	v_bcnt_u32_b32 v8, v11, v8
	s_waitcnt lgkmcnt(0)
	v_add_u32_e32 v8, v56, v8
	ds_write_b32 v60, v8 offset:64
.LBB1874_55:
	s_or_b64 exec, exec, s[34:35]
	v_lshrrev_b32_e32 v8, s64, v21
	v_and_b32_e32 v61, s68, v8
	v_mul_lo_u32 v8, v61, s38
	v_lshl_add_u32 v63, v38, 2, v8
	v_and_b32_e32 v8, 1, v61
	v_lshl_add_u64 v[10:11], v[8:9], 0, -1
	v_cmp_ne_u32_e64 s[34:35], 0, v8
	; wave barrier
	s_nop 1
	v_xor_b32_e32 v10, s34, v10
	v_xor_b32_e32 v8, s35, v11
	v_and_b32_e32 v62, exec_lo, v10
	v_lshlrev_b32_e32 v11, 30, v61
	v_mov_b32_e32 v10, v9
	v_cmp_gt_i64_e64 s[34:35], 0, v[10:11]
	v_not_b32_e32 v10, v11
	v_ashrrev_i32_e32 v10, 31, v10
	v_and_b32_e32 v8, exec_hi, v8
	v_xor_b32_e32 v11, s35, v10
	v_xor_b32_e32 v10, s34, v10
	v_and_b32_e32 v8, v8, v11
	v_and_b32_e32 v62, v62, v10
	v_lshlrev_b32_e32 v11, 29, v61
	v_mov_b32_e32 v10, v9
	v_cmp_gt_i64_e64 s[34:35], 0, v[10:11]
	v_not_b32_e32 v10, v11
	v_ashrrev_i32_e32 v10, 31, v10
	v_xor_b32_e32 v11, s35, v10
	v_xor_b32_e32 v10, s34, v10
	v_and_b32_e32 v8, v8, v11
	v_and_b32_e32 v62, v62, v10
	v_lshlrev_b32_e32 v11, 28, v61
	v_mov_b32_e32 v10, v9
	v_cmp_gt_i64_e64 s[34:35], 0, v[10:11]
	v_not_b32_e32 v10, v11
	v_ashrrev_i32_e32 v10, 31, v10
	;; [unrolled: 9-line block ×5, first 2 shown]
	v_xor_b32_e32 v11, s35, v10
	v_xor_b32_e32 v10, s34, v10
	v_and_b32_e32 v8, v8, v11
	v_lshlrev_b32_e32 v11, 24, v61
	v_and_b32_e32 v62, v62, v10
	v_mov_b32_e32 v10, v9
	v_not_b32_e32 v9, v11
	v_cmp_gt_i64_e64 s[34:35], 0, v[10:11]
	v_ashrrev_i32_e32 v9, 31, v9
	ds_read_b32 v59, v63 offset:64
	v_xor_b32_e32 v10, s35, v9
	v_xor_b32_e32 v11, s34, v9
	v_and_b32_e32 v9, v8, v10
	v_and_b32_e32 v8, v62, v11
	v_mbcnt_lo_u32_b32 v10, v8, 0
	v_mbcnt_hi_u32_b32 v61, v9, v10
	v_cmp_eq_u32_e64 s[34:35], 0, v61
	v_cmp_ne_u64_e64 s[36:37], 0, v[8:9]
	s_and_b64 s[36:37], s[36:37], s[34:35]
	; wave barrier
	s_and_saveexec_b64 s[34:35], s[36:37]
	s_cbranch_execz .LBB1874_57
; %bb.56:
	v_bcnt_u32_b32 v8, v8, 0
	v_bcnt_u32_b32 v8, v9, v8
	s_waitcnt lgkmcnt(0)
	v_add_u32_e32 v8, v59, v8
	ds_write_b32 v63, v8 offset:64
.LBB1874_57:
	s_or_b64 exec, exec, s[34:35]
	v_lshrrev_b32_e32 v8, s64, v24
	v_and_b32_e32 v64, s68, v8
	v_mul_lo_u32 v8, v64, s38
	v_lshl_add_u32 v66, v38, 2, v8
	v_and_b32_e32 v8, 1, v64
	v_mov_b32_e32 v9, 0
	v_lshl_add_u64 v[10:11], v[8:9], 0, -1
	v_cmp_ne_u32_e64 s[34:35], 0, v8
	; wave barrier
	s_nop 1
	v_xor_b32_e32 v10, s34, v10
	v_xor_b32_e32 v8, s35, v11
	v_and_b32_e32 v65, exec_lo, v10
	v_lshlrev_b32_e32 v11, 30, v64
	v_mov_b32_e32 v10, v9
	v_cmp_gt_i64_e64 s[34:35], 0, v[10:11]
	v_not_b32_e32 v10, v11
	v_ashrrev_i32_e32 v10, 31, v10
	v_and_b32_e32 v8, exec_hi, v8
	v_xor_b32_e32 v11, s35, v10
	v_xor_b32_e32 v10, s34, v10
	v_and_b32_e32 v8, v8, v11
	v_and_b32_e32 v65, v65, v10
	v_lshlrev_b32_e32 v11, 29, v64
	v_mov_b32_e32 v10, v9
	v_cmp_gt_i64_e64 s[34:35], 0, v[10:11]
	v_not_b32_e32 v10, v11
	v_ashrrev_i32_e32 v10, 31, v10
	v_xor_b32_e32 v11, s35, v10
	v_xor_b32_e32 v10, s34, v10
	v_and_b32_e32 v8, v8, v11
	v_and_b32_e32 v65, v65, v10
	v_lshlrev_b32_e32 v11, 28, v64
	v_mov_b32_e32 v10, v9
	v_cmp_gt_i64_e64 s[34:35], 0, v[10:11]
	v_not_b32_e32 v10, v11
	v_ashrrev_i32_e32 v10, 31, v10
	;; [unrolled: 9-line block ×6, first 2 shown]
	v_xor_b32_e32 v11, s35, v10
	v_xor_b32_e32 v10, s34, v10
	ds_read_b32 v62, v66 offset:64
	v_and_b32_e32 v10, v65, v10
	v_and_b32_e32 v11, v8, v11
	v_mbcnt_lo_u32_b32 v8, v10, 0
	v_mbcnt_hi_u32_b32 v64, v11, v8
	v_cmp_eq_u32_e64 s[34:35], 0, v64
	v_cmp_ne_u64_e64 s[36:37], 0, v[10:11]
	s_and_b64 s[36:37], s[36:37], s[34:35]
	; wave barrier
	s_and_saveexec_b64 s[34:35], s[36:37]
	s_cbranch_execz .LBB1874_59
; %bb.58:
	v_bcnt_u32_b32 v8, v10, 0
	v_bcnt_u32_b32 v8, v11, v8
	s_waitcnt lgkmcnt(0)
	v_add_u32_e32 v8, v62, v8
	ds_write_b32 v66, v8 offset:64
.LBB1874_59:
	s_or_b64 exec, exec, s[34:35]
	v_lshrrev_b32_e32 v8, s64, v23
	v_and_b32_e32 v67, s68, v8
	v_mul_lo_u32 v8, v67, s38
	v_lshl_add_u32 v69, v38, 2, v8
	v_and_b32_e32 v8, 1, v67
	v_lshl_add_u64 v[10:11], v[8:9], 0, -1
	v_cmp_ne_u32_e64 s[34:35], 0, v8
	; wave barrier
	s_nop 1
	v_xor_b32_e32 v10, s34, v10
	v_xor_b32_e32 v8, s35, v11
	v_and_b32_e32 v68, exec_lo, v10
	v_lshlrev_b32_e32 v11, 30, v67
	v_mov_b32_e32 v10, v9
	v_cmp_gt_i64_e64 s[34:35], 0, v[10:11]
	v_not_b32_e32 v10, v11
	v_ashrrev_i32_e32 v10, 31, v10
	v_and_b32_e32 v8, exec_hi, v8
	v_xor_b32_e32 v11, s35, v10
	v_xor_b32_e32 v10, s34, v10
	v_and_b32_e32 v8, v8, v11
	v_and_b32_e32 v68, v68, v10
	v_lshlrev_b32_e32 v11, 29, v67
	v_mov_b32_e32 v10, v9
	v_cmp_gt_i64_e64 s[34:35], 0, v[10:11]
	v_not_b32_e32 v10, v11
	v_ashrrev_i32_e32 v10, 31, v10
	v_xor_b32_e32 v11, s35, v10
	v_xor_b32_e32 v10, s34, v10
	v_and_b32_e32 v8, v8, v11
	v_and_b32_e32 v68, v68, v10
	v_lshlrev_b32_e32 v11, 28, v67
	v_mov_b32_e32 v10, v9
	v_cmp_gt_i64_e64 s[34:35], 0, v[10:11]
	v_not_b32_e32 v10, v11
	v_ashrrev_i32_e32 v10, 31, v10
	;; [unrolled: 9-line block ×5, first 2 shown]
	v_xor_b32_e32 v11, s35, v10
	v_xor_b32_e32 v10, s34, v10
	v_and_b32_e32 v8, v8, v11
	v_lshlrev_b32_e32 v11, 24, v67
	v_and_b32_e32 v68, v68, v10
	v_mov_b32_e32 v10, v9
	v_not_b32_e32 v9, v11
	v_cmp_gt_i64_e64 s[34:35], 0, v[10:11]
	v_ashrrev_i32_e32 v9, 31, v9
	ds_read_b32 v65, v69 offset:64
	v_xor_b32_e32 v10, s35, v9
	v_xor_b32_e32 v11, s34, v9
	v_and_b32_e32 v9, v8, v10
	v_and_b32_e32 v8, v68, v11
	v_mbcnt_lo_u32_b32 v10, v8, 0
	v_mbcnt_hi_u32_b32 v67, v9, v10
	v_cmp_eq_u32_e64 s[34:35], 0, v67
	v_cmp_ne_u64_e64 s[36:37], 0, v[8:9]
	s_and_b64 s[36:37], s[36:37], s[34:35]
	; wave barrier
	s_and_saveexec_b64 s[34:35], s[36:37]
	s_cbranch_execz .LBB1874_61
; %bb.60:
	v_bcnt_u32_b32 v8, v8, 0
	v_bcnt_u32_b32 v8, v9, v8
	s_waitcnt lgkmcnt(0)
	v_add_u32_e32 v8, v65, v8
	ds_write_b32 v69, v8 offset:64
.LBB1874_61:
	s_or_b64 exec, exec, s[34:35]
	v_lshrrev_b32_e32 v8, s64, v26
	v_and_b32_e32 v70, s68, v8
	v_mul_lo_u32 v8, v70, s38
	v_lshl_add_u32 v72, v38, 2, v8
	v_and_b32_e32 v8, 1, v70
	v_mov_b32_e32 v9, 0
	v_lshl_add_u64 v[10:11], v[8:9], 0, -1
	v_cmp_ne_u32_e64 s[34:35], 0, v8
	; wave barrier
	s_nop 1
	v_xor_b32_e32 v10, s34, v10
	v_xor_b32_e32 v8, s35, v11
	v_and_b32_e32 v71, exec_lo, v10
	v_lshlrev_b32_e32 v11, 30, v70
	v_mov_b32_e32 v10, v9
	v_cmp_gt_i64_e64 s[34:35], 0, v[10:11]
	v_not_b32_e32 v10, v11
	v_ashrrev_i32_e32 v10, 31, v10
	v_and_b32_e32 v8, exec_hi, v8
	v_xor_b32_e32 v11, s35, v10
	v_xor_b32_e32 v10, s34, v10
	v_and_b32_e32 v8, v8, v11
	v_and_b32_e32 v71, v71, v10
	v_lshlrev_b32_e32 v11, 29, v70
	v_mov_b32_e32 v10, v9
	v_cmp_gt_i64_e64 s[34:35], 0, v[10:11]
	v_not_b32_e32 v10, v11
	v_ashrrev_i32_e32 v10, 31, v10
	v_xor_b32_e32 v11, s35, v10
	v_xor_b32_e32 v10, s34, v10
	v_and_b32_e32 v8, v8, v11
	v_and_b32_e32 v71, v71, v10
	v_lshlrev_b32_e32 v11, 28, v70
	v_mov_b32_e32 v10, v9
	v_cmp_gt_i64_e64 s[34:35], 0, v[10:11]
	v_not_b32_e32 v10, v11
	v_ashrrev_i32_e32 v10, 31, v10
	;; [unrolled: 9-line block ×6, first 2 shown]
	v_xor_b32_e32 v11, s35, v10
	v_xor_b32_e32 v10, s34, v10
	ds_read_b32 v68, v72 offset:64
	v_and_b32_e32 v10, v71, v10
	v_and_b32_e32 v11, v8, v11
	v_mbcnt_lo_u32_b32 v8, v10, 0
	v_mbcnt_hi_u32_b32 v70, v11, v8
	v_cmp_eq_u32_e64 s[34:35], 0, v70
	v_cmp_ne_u64_e64 s[36:37], 0, v[10:11]
	s_and_b64 s[36:37], s[36:37], s[34:35]
	; wave barrier
	s_and_saveexec_b64 s[34:35], s[36:37]
	s_cbranch_execz .LBB1874_63
; %bb.62:
	v_bcnt_u32_b32 v8, v10, 0
	v_bcnt_u32_b32 v8, v11, v8
	s_waitcnt lgkmcnt(0)
	v_add_u32_e32 v8, v68, v8
	ds_write_b32 v72, v8 offset:64
.LBB1874_63:
	s_or_b64 exec, exec, s[34:35]
	v_lshrrev_b32_e32 v8, s64, v25
	v_and_b32_e32 v73, s68, v8
	v_mul_lo_u32 v8, v73, s38
	v_lshl_add_u32 v74, v38, 2, v8
	v_and_b32_e32 v8, 1, v73
	v_lshl_add_u64 v[10:11], v[8:9], 0, -1
	v_cmp_ne_u32_e64 s[34:35], 0, v8
	; wave barrier
	s_nop 1
	v_xor_b32_e32 v10, s34, v10
	v_xor_b32_e32 v8, s35, v11
	v_and_b32_e32 v38, exec_lo, v10
	v_lshlrev_b32_e32 v11, 30, v73
	v_mov_b32_e32 v10, v9
	v_cmp_gt_i64_e64 s[34:35], 0, v[10:11]
	v_not_b32_e32 v10, v11
	v_ashrrev_i32_e32 v10, 31, v10
	v_and_b32_e32 v8, exec_hi, v8
	v_xor_b32_e32 v11, s35, v10
	v_xor_b32_e32 v10, s34, v10
	v_and_b32_e32 v8, v8, v11
	v_and_b32_e32 v38, v38, v10
	v_lshlrev_b32_e32 v11, 29, v73
	v_mov_b32_e32 v10, v9
	v_cmp_gt_i64_e64 s[34:35], 0, v[10:11]
	v_not_b32_e32 v10, v11
	v_ashrrev_i32_e32 v10, 31, v10
	v_xor_b32_e32 v11, s35, v10
	v_xor_b32_e32 v10, s34, v10
	v_and_b32_e32 v8, v8, v11
	v_and_b32_e32 v38, v38, v10
	v_lshlrev_b32_e32 v11, 28, v73
	v_mov_b32_e32 v10, v9
	v_cmp_gt_i64_e64 s[34:35], 0, v[10:11]
	v_not_b32_e32 v10, v11
	v_ashrrev_i32_e32 v10, 31, v10
	;; [unrolled: 9-line block ×5, first 2 shown]
	v_xor_b32_e32 v11, s35, v10
	v_xor_b32_e32 v10, s34, v10
	v_and_b32_e32 v8, v8, v11
	v_lshlrev_b32_e32 v11, 24, v73
	v_and_b32_e32 v38, v38, v10
	v_mov_b32_e32 v10, v9
	v_not_b32_e32 v9, v11
	v_cmp_gt_i64_e64 s[34:35], 0, v[10:11]
	v_ashrrev_i32_e32 v9, 31, v9
	ds_read_b32 v71, v74 offset:64
	v_xor_b32_e32 v10, s35, v9
	v_xor_b32_e32 v11, s34, v9
	v_and_b32_e32 v9, v8, v10
	v_and_b32_e32 v8, v38, v11
	v_mbcnt_lo_u32_b32 v10, v8, 0
	v_mbcnt_hi_u32_b32 v73, v9, v10
	v_cmp_eq_u32_e64 s[34:35], 0, v73
	v_cmp_ne_u64_e64 s[36:37], 0, v[8:9]
	s_and_b64 s[36:37], s[36:37], s[34:35]
	; wave barrier
	s_and_saveexec_b64 s[34:35], s[36:37]
	s_cbranch_execz .LBB1874_65
; %bb.64:
	v_bcnt_u32_b32 v8, v8, 0
	v_bcnt_u32_b32 v8, v9, v8
	s_waitcnt lgkmcnt(0)
	v_add_u32_e32 v8, v71, v8
	ds_write_b32 v74, v8 offset:64
.LBB1874_65:
	s_or_b64 exec, exec, s[34:35]
	; wave barrier
	s_waitcnt lgkmcnt(0)
	s_barrier
	ds_read2_b32 v[10:11], v13 offset0:16 offset1:17
	ds_read2_b32 v[8:9], v13 offset0:18 offset1:19
	ds_read_b32 v38, v13 offset:80
	v_cmp_lt_u32_e64 s[44:45], 31, v12
	s_waitcnt lgkmcnt(1)
	v_add3_u32 v75, v11, v10, v8
	s_waitcnt lgkmcnt(0)
	v_add3_u32 v38, v75, v9, v38
	v_and_b32_e32 v75, 15, v12
	v_cmp_eq_u32_e64 s[34:35], 0, v75
	v_mov_b32_dpp v76, v38 row_shr:1 row_mask:0xf bank_mask:0xf
	v_cmp_lt_u32_e64 s[36:37], 1, v75
	v_cndmask_b32_e64 v76, v76, 0, s[34:35]
	v_add_u32_e32 v38, v76, v38
	v_cmp_lt_u32_e64 s[38:39], 3, v75
	v_cmp_lt_u32_e64 s[40:41], 7, v75
	v_mov_b32_dpp v76, v38 row_shr:2 row_mask:0xf bank_mask:0xf
	v_cndmask_b32_e64 v76, 0, v76, s[36:37]
	v_add_u32_e32 v38, v38, v76
	s_nop 1
	v_mov_b32_dpp v76, v38 row_shr:4 row_mask:0xf bank_mask:0xf
	v_cndmask_b32_e64 v76, 0, v76, s[38:39]
	v_add_u32_e32 v38, v38, v76
	s_nop 1
	v_mov_b32_dpp v76, v38 row_shr:8 row_mask:0xf bank_mask:0xf
	v_cndmask_b32_e64 v75, 0, v76, s[40:41]
	v_add_u32_e32 v38, v38, v75
	v_bfe_i32 v76, v12, 4, 1
	s_nop 0
	v_mov_b32_dpp v75, v38 row_bcast:15 row_mask:0xf bank_mask:0xf
	v_and_b32_e32 v75, v76, v75
	v_add_u32_e32 v38, v38, v75
	v_lshrrev_b32_e32 v76, 6, v2
	s_nop 0
	v_mov_b32_dpp v75, v38 row_bcast:31 row_mask:0xf bank_mask:0xf
	v_cndmask_b32_e64 v75, 0, v75, s[44:45]
	v_add_u32_e32 v75, v38, v75
	v_and_b32_e32 v38, 63, v2
	v_cmp_eq_u32_e64 s[44:45], 63, v38
	s_and_saveexec_b64 s[46:47], s[44:45]
; %bb.66:
	v_lshlrev_b32_e32 v38, 2, v76
	ds_write_b32 v38, v75
; %bb.67:
	s_or_b64 exec, exec, s[46:47]
	v_cmp_gt_u32_e64 s[44:45], 16, v2
	v_lshlrev_b32_e32 v38, 2, v2
	s_waitcnt lgkmcnt(0)
	s_barrier
	s_and_saveexec_b64 s[46:47], s[44:45]
	s_cbranch_execz .LBB1874_69
; %bb.68:
	ds_read_b32 v77, v38
	s_waitcnt lgkmcnt(0)
	s_nop 0
	v_mov_b32_dpp v78, v77 row_shr:1 row_mask:0xf bank_mask:0xf
	v_cndmask_b32_e64 v78, v78, 0, s[34:35]
	v_add_u32_e32 v77, v78, v77
	s_nop 1
	v_mov_b32_dpp v78, v77 row_shr:2 row_mask:0xf bank_mask:0xf
	v_cndmask_b32_e64 v78, 0, v78, s[36:37]
	v_add_u32_e32 v77, v77, v78
	;; [unrolled: 4-line block ×4, first 2 shown]
	ds_write_b32 v38, v77
.LBB1874_69:
	s_or_b64 exec, exec, s[46:47]
	v_cmp_lt_u32_e64 s[34:35], 63, v2
	v_mov_b32_e32 v77, 0
	s_waitcnt lgkmcnt(0)
	s_barrier
	s_and_saveexec_b64 s[36:37], s[34:35]
; %bb.70:
	v_lshl_add_u32 v76, v76, 2, -4
	ds_read_b32 v77, v76
; %bb.71:
	s_or_b64 exec, exec, s[36:37]
	v_subrev_co_u32_e64 v76, s[34:35], 1, v12
	v_and_b32_e32 v78, 64, v12
	v_cmp_lt_i32_e64 s[36:37], v76, v78
	s_waitcnt lgkmcnt(0)
	v_add_u32_e32 v75, v77, v75
	s_movk_i32 s38, 0x100
	v_cndmask_b32_e64 v12, v76, v12, s[36:37]
	v_lshlrev_b32_e32 v12, 2, v12
	ds_bpermute_b32 v12, v12, v75
	v_cmp_gt_u32_e64 s[36:37], s38, v2
	s_waitcnt lgkmcnt(0)
	v_cndmask_b32_e64 v12, v12, v77, s[34:35]
	v_cmp_ne_u32_e64 s[34:35], 0, v2
	s_nop 1
	v_cndmask_b32_e64 v12, 0, v12, s[34:35]
	v_add_u32_e32 v10, v12, v10
	v_add_u32_e32 v11, v10, v11
	;; [unrolled: 1-line block ×4, first 2 shown]
	ds_write2_b32 v13, v12, v10 offset0:16 offset1:17
	ds_write2_b32 v13, v11, v8 offset0:18 offset1:19
	ds_write_b32 v13, v9 offset:80
	s_waitcnt lgkmcnt(0)
	s_barrier
	ds_read_b32 v84, v31 offset:64
	ds_read_b32 v75, v33 offset:64
	;; [unrolled: 1-line block ×16, first 2 shown]
	s_movk_i32 s34, 0xff
	v_cmp_lt_u32_e64 s[34:35], s34, v2
                                        ; implicit-def: $vgpr31
                                        ; implicit-def: $vgpr33
	s_and_saveexec_b64 s[40:41], s[36:37]
	s_cbranch_execz .LBB1874_75
; %bb.72:
	v_mul_u32_u24_e32 v8, 0x44, v2
	ds_read_b32 v31, v8 offset:64
	v_add_u32_e32 v9, 1, v2
	v_cmp_ne_u32_e64 s[38:39], s38, v9
	v_mov_b32_e32 v8, 0x4000
	s_and_saveexec_b64 s[44:45], s[38:39]
; %bb.73:
	v_mul_u32_u24_e32 v8, 0x44, v9
	ds_read_b32 v8, v8 offset:64
; %bb.74:
	s_or_b64 exec, exec, s[44:45]
	s_waitcnt lgkmcnt(0)
	v_sub_u32_e32 v33, v8, v31
.LBB1874_75:
	s_or_b64 exec, exec, s[40:41]
	v_mov_b32_e32 v9, 0
	s_waitcnt lgkmcnt(0)
	s_barrier
	s_and_saveexec_b64 s[38:39], s[36:37]
	s_cbranch_execz .LBB1874_85
; %bb.76:
	v_lshl_add_u32 v8, s2, 8, v2
	v_lshl_add_u64 v[10:11], v[8:9], 2, s[50:51]
	v_or_b32_e32 v8, 2.0, v33
	s_mov_b64 s[40:41], 0
	s_brev_b32 s48, -4
	s_mov_b32 s49, s2
	v_mov_b32_e32 v48, 0
	global_store_dword v[10:11], v8, off sc1
                                        ; implicit-def: $sgpr36_sgpr37
	s_branch .LBB1874_79
.LBB1874_77:                            ;   in Loop: Header=BB1874_79 Depth=1
	s_or_b64 exec, exec, s[46:47]
.LBB1874_78:                            ;   in Loop: Header=BB1874_79 Depth=1
	s_or_b64 exec, exec, s[44:45]
	v_and_b32_e32 v12, 0x3fffffff, v8
	v_add_u32_e32 v48, v12, v48
	v_cmp_gt_i32_e64 s[36:37], -2.0, v8
	s_and_b64 s[44:45], exec, s[36:37]
	s_or_b64 s[40:41], s[44:45], s[40:41]
	s_andn2_b64 exec, exec, s[40:41]
	s_cbranch_execz .LBB1874_84
.LBB1874_79:                            ; =>This Loop Header: Depth=1
                                        ;     Child Loop BB1874_82 Depth 2
	s_or_b64 s[36:37], s[36:37], exec
	s_cmp_eq_u32 s49, 0
	s_cbranch_scc1 .LBB1874_83
; %bb.80:                               ;   in Loop: Header=BB1874_79 Depth=1
	s_add_i32 s49, s49, -1
	v_lshl_or_b32 v8, s49, 8, v2
	v_lshl_add_u64 v[12:13], v[8:9], 2, s[50:51]
	global_load_dword v8, v[12:13], off sc1
	s_waitcnt vmcnt(0)
	v_cmp_gt_u32_e64 s[36:37], 2.0, v8
	s_and_saveexec_b64 s[44:45], s[36:37]
	s_cbranch_execz .LBB1874_78
; %bb.81:                               ;   in Loop: Header=BB1874_79 Depth=1
	s_mov_b64 s[46:47], 0
.LBB1874_82:                            ;   Parent Loop BB1874_79 Depth=1
                                        ; =>  This Inner Loop Header: Depth=2
	global_load_dword v8, v[12:13], off sc1
	s_waitcnt vmcnt(0)
	v_cmp_lt_u32_e64 s[36:37], s48, v8
	s_or_b64 s[46:47], s[36:37], s[46:47]
	s_andn2_b64 exec, exec, s[46:47]
	s_cbranch_execnz .LBB1874_82
	s_branch .LBB1874_77
.LBB1874_83:                            ;   in Loop: Header=BB1874_79 Depth=1
                                        ; implicit-def: $sgpr49
	s_and_b64 s[44:45], exec, s[36:37]
	s_or_b64 s[40:41], s[44:45], s[40:41]
	s_andn2_b64 exec, exec, s[40:41]
	s_cbranch_execnz .LBB1874_79
.LBB1874_84:
	s_or_b64 exec, exec, s[40:41]
	v_add_u32_e32 v8, v48, v33
	v_or_b32_e32 v8, 0x80000000, v8
	global_store_dword v[10:11], v8, off sc1
	global_load_dword v8, v38, s[60:61]
	v_sub_u32_e32 v9, v48, v31
	s_waitcnt vmcnt(0)
	v_add_u32_e32 v8, v9, v8
	ds_write_b32 v38, v8
.LBB1874_85:
	s_or_b64 exec, exec, s[38:39]
	v_add_u32_e32 v10, v84, v28
	v_add3_u32 v8, v29, v27, v75
	v_add3_u32 v9, v32, v30, v76
	;; [unrolled: 1-line block ×15, first 2 shown]
	v_mov_b32_e32 v87, 0x400
	s_movk_i32 s40, 0x400
	v_lshl_add_u32 v11, v11, 2, v87
	v_add3_u32 v12, v73, v43, v71
	v_lshl_add_u32 v13, v13, 2, v87
	v_add3_u32 v28, v70, v36, v68
	;; [unrolled: 2-line block ×15, first 2 shown]
	v_lshl_add_u32 v29, v10, 2, v87
	s_mov_b32 s41, 0
	s_mov_b32 s44, 0
	s_movk_i32 s45, 0x1000
	v_mov_b32_e32 v9, 0
	s_movk_i32 s46, 0x800
	s_movk_i32 s47, 0xc00
	v_mov_b32_e32 v58, v2
	s_mov_b32 s48, 0
	s_branch .LBB1874_87
.LBB1874_86:                            ;   in Loop: Header=BB1874_87 Depth=1
	s_or_b64 exec, exec, s[38:39]
	s_addk_i32 s48, 0xc000
	s_add_i32 s41, s41, 16
	s_addk_i32 s44, 0xf000
	s_cmp_eq_u32 s48, 0xffff0000
	v_add_u32_e32 v58, 0x1000, v58
	s_barrier
	s_cbranch_scc1 .LBB1874_127
.LBB1874_87:                            ; =>This Inner Loop Header: Depth=1
	v_add_u32_e32 v8, s44, v10
	v_cmp_gt_u32_e64 s[36:37], s45, v8
	s_and_saveexec_b64 s[38:39], s[36:37]
; %bb.88:                               ;   in Loop: Header=BB1874_87 Depth=1
	v_add_u32_e32 v8, s48, v29
	ds_write_b32 v8, v5
; %bb.89:                               ;   in Loop: Header=BB1874_87 Depth=1
	s_or_b64 exec, exec, s[38:39]
	v_add_u32_e32 v8, s44, v27
	v_cmp_gt_u32_e64 s[36:37], s45, v8
	s_and_saveexec_b64 s[38:39], s[36:37]
; %bb.90:                               ;   in Loop: Header=BB1874_87 Depth=1
	v_add_u32_e32 v8, s48, v32
	ds_write_b32 v8, v3
; %bb.91:                               ;   in Loop: Header=BB1874_87 Depth=1
	s_or_b64 exec, exec, s[38:39]
	;; [unrolled: 8-line block ×6, first 2 shown]
	v_add_u32_e32 v8, s44, v44
	v_cmp_gt_u32_e64 s[36:37], s45, v8
	s_and_saveexec_b64 s[38:39], s[36:37]
; %bb.100:                              ;   in Loop: Header=BB1874_87 Depth=1
	v_add_u32_e32 v8, s48, v49
	ds_write_b32 v8, v18
; %bb.101:                              ;   in Loop: Header=BB1874_87 Depth=1
	s_or_b64 exec, exec, s[38:39]
	v_add_u32_e32 v8, s44, v47
	v_cmp_gt_u32_e64 s[36:37], s45, v8
	s_and_saveexec_b64 s[38:39], s[36:37]
; %bb.102:                              ;   in Loop: Header=BB1874_87 Depth=1
	v_add_u32_e32 v8, s48, v52
	ds_write_b32 v8, v17
; %bb.103:                              ;   in Loop: Header=BB1874_87 Depth=1
	s_or_b64 exec, exec, s[38:39]
	;; [unrolled: 8-line block ×10, first 2 shown]
	v_cmp_gt_u32_e64 s[36:37], s3, v58
	s_waitcnt lgkmcnt(0)
	s_barrier
	s_and_saveexec_b64 s[38:39], s[36:37]
	s_cbranch_execz .LBB1874_121
; %bb.120:                              ;   in Loop: Header=BB1874_87 Depth=1
	ds_read_b32 v8, v38 offset:1024
	s_waitcnt lgkmcnt(0)
	v_lshrrev_b32_e32 v59, s64, v8
	v_and_b32_e32 v59, s68, v59
	v_lshlrev_b32_e32 v60, 2, v59
	ds_read_b32 v60, v60
	v_xor_b32_e32 v62, 0x7fffffff, v8
	s_waitcnt lgkmcnt(0)
	v_add_u32_e32 v8, v58, v60
	v_lshl_add_u64 v[60:61], v[8:9], 2, s[54:55]
	global_store_dword v[60:61], v62, off
	scratch_store_dword off, v59, s41
.LBB1874_121:                           ;   in Loop: Header=BB1874_87 Depth=1
	s_or_b64 exec, exec, s[38:39]
	v_add_u32_e32 v8, 0x400, v58
	v_cmp_gt_u32_e64 s[36:37], s3, v8
	s_and_saveexec_b64 s[38:39], s[36:37]
	s_cbranch_execz .LBB1874_123
; %bb.122:                              ;   in Loop: Header=BB1874_87 Depth=1
	ds_read_b32 v8, v38 offset:5120
	s_add_i32 s36, s41, 4
	s_waitcnt lgkmcnt(0)
	v_lshrrev_b32_e32 v59, s64, v8
	v_and_b32_e32 v59, s68, v59
	v_lshlrev_b32_e32 v60, 2, v59
	ds_read_b32 v60, v60
	v_xor_b32_e32 v62, 0x7fffffff, v8
	s_waitcnt lgkmcnt(0)
	v_add3_u32 v8, v58, v60, s40
	v_lshl_add_u64 v[60:61], v[8:9], 2, s[54:55]
	global_store_dword v[60:61], v62, off
	scratch_store_dword off, v59, s36
.LBB1874_123:                           ;   in Loop: Header=BB1874_87 Depth=1
	s_or_b64 exec, exec, s[38:39]
	v_add_u32_e32 v8, 0x800, v58
	v_cmp_gt_u32_e64 s[36:37], s3, v8
	s_and_saveexec_b64 s[38:39], s[36:37]
	s_cbranch_execz .LBB1874_125
; %bb.124:                              ;   in Loop: Header=BB1874_87 Depth=1
	ds_read_b32 v8, v38 offset:9216
	s_add_i32 s36, s41, 8
	s_waitcnt lgkmcnt(0)
	v_lshrrev_b32_e32 v59, s64, v8
	v_and_b32_e32 v59, s68, v59
	v_lshlrev_b32_e32 v60, 2, v59
	ds_read_b32 v60, v60
	v_xor_b32_e32 v62, 0x7fffffff, v8
	s_waitcnt lgkmcnt(0)
	v_add3_u32 v8, v58, v60, s46
	v_lshl_add_u64 v[60:61], v[8:9], 2, s[54:55]
	global_store_dword v[60:61], v62, off
	scratch_store_dword off, v59, s36
.LBB1874_125:                           ;   in Loop: Header=BB1874_87 Depth=1
	s_or_b64 exec, exec, s[38:39]
	v_add_u32_e32 v8, 0xc00, v58
	v_cmp_gt_u32_e64 s[36:37], s3, v8
	s_and_saveexec_b64 s[38:39], s[36:37]
	s_cbranch_execz .LBB1874_86
; %bb.126:                              ;   in Loop: Header=BB1874_87 Depth=1
	ds_read_b32 v8, v38 offset:13312
	s_add_i32 s36, s41, 12
	s_waitcnt lgkmcnt(0)
	v_lshrrev_b32_e32 v59, s64, v8
	v_and_b32_e32 v59, s68, v59
	v_lshlrev_b32_e32 v60, 2, v59
	ds_read_b32 v60, v60
	v_xor_b32_e32 v62, 0x7fffffff, v8
	s_waitcnt lgkmcnt(0)
	v_add3_u32 v8, v58, v60, s47
	v_lshl_add_u64 v[60:61], v[8:9], 2, s[54:55]
	global_store_dword v[60:61], v62, off
	scratch_store_dword off, v59, s36
	s_branch .LBB1874_86
.LBB1874_127:
	s_add_u32 s36, s56, s66
	s_addc_u32 s37, s57, s67
	v_mov_b32_e32 v5, 0
	v_lshl_add_u64 v[8:9], s[36:37], 0, v[4:5]
	v_mov_b32_e32 v7, v5
	v_lshl_add_u64 v[4:5], v[8:9], 0, v[6:7]
                                        ; implicit-def: $vgpr3
	s_and_saveexec_b64 s[36:37], vcc
	s_cbranch_execz .LBB1874_143
; %bb.128:
	global_load_dword v3, v[4:5], off
	s_or_b64 exec, exec, s[36:37]
                                        ; implicit-def: $vgpr6
	s_and_saveexec_b64 s[36:37], s[42:43]
	s_cbranch_execnz .LBB1874_144
.LBB1874_129:
	s_or_b64 exec, exec, s[36:37]
                                        ; implicit-def: $vgpr7
	s_and_saveexec_b64 s[36:37], s[4:5]
	s_cbranch_execz .LBB1874_145
.LBB1874_130:
	global_load_dword v7, v[4:5], off offset:512
	s_or_b64 exec, exec, s[36:37]
                                        ; implicit-def: $vgpr8
	s_and_saveexec_b64 s[4:5], s[6:7]
	s_cbranch_execnz .LBB1874_146
.LBB1874_131:
	s_or_b64 exec, exec, s[4:5]
                                        ; implicit-def: $vgpr9
	s_and_saveexec_b64 s[4:5], s[8:9]
	s_cbranch_execz .LBB1874_147
.LBB1874_132:
	global_load_dword v9, v[4:5], off offset:1024
	s_or_b64 exec, exec, s[4:5]
                                        ; implicit-def: $vgpr14
	s_and_saveexec_b64 s[4:5], s[10:11]
	s_cbranch_execnz .LBB1874_148
.LBB1874_133:
	s_or_b64 exec, exec, s[4:5]
                                        ; implicit-def: $vgpr15
	s_and_saveexec_b64 s[4:5], s[12:13]
	s_cbranch_execz .LBB1874_149
.LBB1874_134:
	global_load_dword v15, v[4:5], off offset:1536
	s_or_b64 exec, exec, s[4:5]
                                        ; implicit-def: $vgpr16
	s_and_saveexec_b64 s[4:5], s[14:15]
	s_cbranch_execnz .LBB1874_150
.LBB1874_135:
	s_or_b64 exec, exec, s[4:5]
                                        ; implicit-def: $vgpr17
	s_and_saveexec_b64 s[4:5], s[16:17]
	s_cbranch_execz .LBB1874_151
.LBB1874_136:
	global_load_dword v17, v[4:5], off offset:2048
	s_or_b64 exec, exec, s[4:5]
                                        ; implicit-def: $vgpr18
	s_and_saveexec_b64 s[4:5], s[18:19]
	s_cbranch_execnz .LBB1874_152
.LBB1874_137:
	s_or_b64 exec, exec, s[4:5]
                                        ; implicit-def: $vgpr19
	s_and_saveexec_b64 s[4:5], s[20:21]
	s_cbranch_execz .LBB1874_153
.LBB1874_138:
	global_load_dword v19, v[4:5], off offset:2560
	s_or_b64 exec, exec, s[4:5]
                                        ; implicit-def: $vgpr20
	s_and_saveexec_b64 s[4:5], s[22:23]
	s_cbranch_execnz .LBB1874_154
.LBB1874_139:
	s_or_b64 exec, exec, s[4:5]
                                        ; implicit-def: $vgpr21
	s_and_saveexec_b64 s[4:5], s[24:25]
	s_cbranch_execz .LBB1874_155
.LBB1874_140:
	global_load_dword v21, v[4:5], off offset:3072
	s_or_b64 exec, exec, s[4:5]
                                        ; implicit-def: $vgpr22
	s_and_saveexec_b64 s[4:5], s[26:27]
	s_cbranch_execnz .LBB1874_156
.LBB1874_141:
	s_or_b64 exec, exec, s[4:5]
                                        ; implicit-def: $vgpr23
	s_and_saveexec_b64 s[4:5], s[28:29]
	s_cbranch_execz .LBB1874_157
.LBB1874_142:
	global_load_dword v23, v[4:5], off offset:3584
	s_or_b64 exec, exec, s[4:5]
                                        ; implicit-def: $vgpr24
	s_and_saveexec_b64 s[4:5], s[30:31]
	s_cbranch_execnz .LBB1874_158
	s_branch .LBB1874_159
.LBB1874_143:
	s_or_b64 exec, exec, s[36:37]
                                        ; implicit-def: $vgpr6
	s_and_saveexec_b64 s[36:37], s[42:43]
	s_cbranch_execz .LBB1874_129
.LBB1874_144:
	global_load_dword v6, v[4:5], off offset:256
	s_or_b64 exec, exec, s[36:37]
                                        ; implicit-def: $vgpr7
	s_and_saveexec_b64 s[36:37], s[4:5]
	s_cbranch_execnz .LBB1874_130
.LBB1874_145:
	s_or_b64 exec, exec, s[36:37]
                                        ; implicit-def: $vgpr8
	s_and_saveexec_b64 s[4:5], s[6:7]
	s_cbranch_execz .LBB1874_131
.LBB1874_146:
	global_load_dword v8, v[4:5], off offset:768
	s_or_b64 exec, exec, s[4:5]
                                        ; implicit-def: $vgpr9
	s_and_saveexec_b64 s[4:5], s[8:9]
	s_cbranch_execnz .LBB1874_132
.LBB1874_147:
	s_or_b64 exec, exec, s[4:5]
                                        ; implicit-def: $vgpr14
	s_and_saveexec_b64 s[4:5], s[10:11]
	s_cbranch_execz .LBB1874_133
.LBB1874_148:
	global_load_dword v14, v[4:5], off offset:1280
	s_or_b64 exec, exec, s[4:5]
                                        ; implicit-def: $vgpr15
	s_and_saveexec_b64 s[4:5], s[12:13]
	s_cbranch_execnz .LBB1874_134
.LBB1874_149:
	s_or_b64 exec, exec, s[4:5]
                                        ; implicit-def: $vgpr16
	s_and_saveexec_b64 s[4:5], s[14:15]
	s_cbranch_execz .LBB1874_135
.LBB1874_150:
	global_load_dword v16, v[4:5], off offset:1792
	s_or_b64 exec, exec, s[4:5]
                                        ; implicit-def: $vgpr17
	s_and_saveexec_b64 s[4:5], s[16:17]
	s_cbranch_execnz .LBB1874_136
.LBB1874_151:
	s_or_b64 exec, exec, s[4:5]
                                        ; implicit-def: $vgpr18
	s_and_saveexec_b64 s[4:5], s[18:19]
	s_cbranch_execz .LBB1874_137
.LBB1874_152:
	global_load_dword v18, v[4:5], off offset:2304
	s_or_b64 exec, exec, s[4:5]
                                        ; implicit-def: $vgpr19
	s_and_saveexec_b64 s[4:5], s[20:21]
	s_cbranch_execnz .LBB1874_138
.LBB1874_153:
	s_or_b64 exec, exec, s[4:5]
                                        ; implicit-def: $vgpr20
	s_and_saveexec_b64 s[4:5], s[22:23]
	s_cbranch_execz .LBB1874_139
.LBB1874_154:
	global_load_dword v20, v[4:5], off offset:2816
	s_or_b64 exec, exec, s[4:5]
                                        ; implicit-def: $vgpr21
	s_and_saveexec_b64 s[4:5], s[24:25]
	s_cbranch_execnz .LBB1874_140
.LBB1874_155:
	s_or_b64 exec, exec, s[4:5]
                                        ; implicit-def: $vgpr22
	s_and_saveexec_b64 s[4:5], s[26:27]
	s_cbranch_execz .LBB1874_141
.LBB1874_156:
	global_load_dword v22, v[4:5], off offset:3328
	s_or_b64 exec, exec, s[4:5]
                                        ; implicit-def: $vgpr23
	s_and_saveexec_b64 s[4:5], s[28:29]
	s_cbranch_execnz .LBB1874_142
.LBB1874_157:
	s_or_b64 exec, exec, s[4:5]
                                        ; implicit-def: $vgpr24
	s_and_saveexec_b64 s[4:5], s[30:31]
	s_cbranch_execz .LBB1874_159
.LBB1874_158:
	global_load_dword v24, v[4:5], off offset:3840
.LBB1874_159:
	s_or_b64 exec, exec, s[4:5]
	s_mov_b32 s6, 0
	s_mov_b32 s7, 0
	s_movk_i32 s8, 0x1000
	v_mov_b32_e32 v5, 0
	s_movk_i32 s9, 0x400
	s_movk_i32 s10, 0x800
	;; [unrolled: 1-line block ×3, first 2 shown]
	s_mov_b32 s12, 0
	s_branch .LBB1874_161
.LBB1874_160:                           ;   in Loop: Header=BB1874_161 Depth=1
	s_or_b64 exec, exec, s[4:5]
	s_addk_i32 s12, 0xc000
	s_addk_i32 s7, 0xf000
	s_add_i32 s6, s6, 16
	s_cmp_eq_u32 s12, 0xffff0000
	v_add_u32_e32 v2, 0x1000, v2
	s_barrier
	s_cbranch_scc1 .LBB1874_201
.LBB1874_161:                           ; =>This Inner Loop Header: Depth=1
	v_add_u32_e32 v4, s7, v10
	v_cmp_gt_u32_e32 vcc, s8, v4
	s_and_saveexec_b64 s[4:5], vcc
	s_cbranch_execz .LBB1874_163
; %bb.162:                              ;   in Loop: Header=BB1874_161 Depth=1
	v_add_u32_e32 v4, s12, v29
	s_waitcnt vmcnt(0)
	ds_write_b32 v4, v3
.LBB1874_163:                           ;   in Loop: Header=BB1874_161 Depth=1
	s_or_b64 exec, exec, s[4:5]
	v_add_u32_e32 v4, s7, v27
	v_cmp_gt_u32_e32 vcc, s8, v4
	s_and_saveexec_b64 s[4:5], vcc
	s_cbranch_execz .LBB1874_165
; %bb.164:                              ;   in Loop: Header=BB1874_161 Depth=1
	v_add_u32_e32 v4, s12, v32
	s_waitcnt vmcnt(0)
	ds_write_b32 v4, v6
.LBB1874_165:                           ;   in Loop: Header=BB1874_161 Depth=1
	s_or_b64 exec, exec, s[4:5]
	;; [unrolled: 10-line block ×16, first 2 shown]
	v_cmp_gt_u32_e32 vcc, s3, v2
	s_waitcnt lgkmcnt(0)
	s_barrier
	s_and_saveexec_b64 s[4:5], vcc
	s_cbranch_execz .LBB1874_195
; %bb.194:                              ;   in Loop: Header=BB1874_161 Depth=1
	scratch_load_dword v4, off, s6
	s_waitcnt vmcnt(0)
	v_lshlrev_b32_e32 v4, 2, v4
	ds_read_b32 v4, v4
	ds_read_b32 v25, v38 offset:1024
	s_waitcnt lgkmcnt(1)
	v_add_u32_e32 v4, v2, v4
	v_lshl_add_u64 v[58:59], v[4:5], 2, s[58:59]
	s_waitcnt lgkmcnt(0)
	global_store_dword v[58:59], v25, off
.LBB1874_195:                           ;   in Loop: Header=BB1874_161 Depth=1
	s_or_b64 exec, exec, s[4:5]
	v_add_u32_e32 v4, 0x400, v2
	v_cmp_gt_u32_e32 vcc, s3, v4
	s_and_saveexec_b64 s[4:5], vcc
	s_cbranch_execz .LBB1874_197
; %bb.196:                              ;   in Loop: Header=BB1874_161 Depth=1
	s_add_i32 s13, s6, 4
	scratch_load_dword v4, off, s13
	s_waitcnt vmcnt(0)
	v_lshlrev_b32_e32 v4, 2, v4
	ds_read_b32 v4, v4
	ds_read_b32 v25, v38 offset:5120
	s_waitcnt lgkmcnt(1)
	v_add3_u32 v4, v2, v4, s9
	v_lshl_add_u64 v[58:59], v[4:5], 2, s[58:59]
	s_waitcnt lgkmcnt(0)
	global_store_dword v[58:59], v25, off
.LBB1874_197:                           ;   in Loop: Header=BB1874_161 Depth=1
	s_or_b64 exec, exec, s[4:5]
	v_add_u32_e32 v4, 0x800, v2
	v_cmp_gt_u32_e32 vcc, s3, v4
	s_and_saveexec_b64 s[4:5], vcc
	s_cbranch_execz .LBB1874_199
; %bb.198:                              ;   in Loop: Header=BB1874_161 Depth=1
	s_add_i32 s13, s6, 8
	scratch_load_dword v4, off, s13
	s_waitcnt vmcnt(0)
	v_lshlrev_b32_e32 v4, 2, v4
	ds_read_b32 v4, v4
	ds_read_b32 v25, v38 offset:9216
	s_waitcnt lgkmcnt(1)
	v_add3_u32 v4, v2, v4, s10
	v_lshl_add_u64 v[58:59], v[4:5], 2, s[58:59]
	s_waitcnt lgkmcnt(0)
	global_store_dword v[58:59], v25, off
.LBB1874_199:                           ;   in Loop: Header=BB1874_161 Depth=1
	s_or_b64 exec, exec, s[4:5]
	v_add_u32_e32 v4, 0xc00, v2
	v_cmp_gt_u32_e32 vcc, s3, v4
	s_and_saveexec_b64 s[4:5], vcc
	s_cbranch_execz .LBB1874_160
; %bb.200:                              ;   in Loop: Header=BB1874_161 Depth=1
	s_add_i32 s13, s6, 12
	scratch_load_dword v4, off, s13
	s_waitcnt vmcnt(0)
	v_lshlrev_b32_e32 v4, 2, v4
	ds_read_b32 v4, v4
	ds_read_b32 v25, v38 offset:13312
	s_waitcnt lgkmcnt(1)
	v_add3_u32 v4, v2, v4, s11
	v_lshl_add_u64 v[58:59], v[4:5], 2, s[58:59]
	s_waitcnt lgkmcnt(0)
	global_store_dword v[58:59], v25, off
	s_branch .LBB1874_160
.LBB1874_201:
	s_add_i32 s33, s33, -1
	s_cmp_eq_u32 s2, s33
	s_cselect_b64 s[4:5], -1, 0
	s_xor_b64 s[6:7], s[34:35], -1
	s_and_b64 s[6:7], s[6:7], s[4:5]
	s_and_saveexec_b64 s[4:5], s[6:7]
	s_cbranch_execz .LBB1874_203
; %bb.202:
	ds_read_b32 v2, v38
	s_waitcnt lgkmcnt(0)
	v_add3_u32 v2, v31, v33, v2
	global_store_dword v38, v2, s[62:63]
.LBB1874_203:
	s_or_b64 exec, exec, s[4:5]
	s_mov_b64 s[4:5], 0
.LBB1874_204:
	s_and_b64 vcc, exec, s[4:5]
	s_cbranch_vccz .LBB1874_327
; %bb.205:
	v_and_b32_e32 v2, 0x3ff, v0
	s_lshl_b32 s4, s2, 14
	s_mov_b32 s5, 0
	s_lshl_b64 s[10:11], s[4:5], 2
	v_mbcnt_hi_u32_b32 v10, -1, v1
	v_lshlrev_b32_e32 v1, 4, v2
	s_add_u32 s4, s52, s10
	s_waitcnt vmcnt(0)
	v_and_b32_e32 v3, 63, v10
	v_and_b32_e32 v6, 0x3c00, v1
	v_mov_b32_e32 v1, 0
	s_addc_u32 s5, s53, s11
	v_lshlrev_b32_e32 v4, 2, v3
	v_mov_b32_e32 v5, v1
	v_lshl_add_u64 v[8:9], s[4:5], 0, v[4:5]
	s_load_dword s3, s[0:1], 0x58
	s_load_dword s4, s[0:1], 0x64
	v_lshlrev_b32_e32 v6, 2, v6
	v_mov_b32_e32 v7, v1
	s_add_u32 s0, s0, 0x58
	v_lshl_add_u64 v[8:9], v[8:9], 0, v[6:7]
	s_addc_u32 s1, s1, 0
	s_waitcnt lgkmcnt(0)
	s_lshr_b32 s4, s4, 16
	global_load_dword v3, v[8:9], off
	s_cmp_lt_u32 s2, s3
	s_cselect_b32 s5, 12, 18
	s_add_u32 s0, s0, s5
	s_addc_u32 s1, s1, 0
	global_load_ushort v13, v1, s[0:1]
	v_mul_u32_u24_e32 v11, 20, v2
	ds_write2_b32 v11, v1, v1 offset0:16 offset1:17
	ds_write2_b32 v11, v1, v1 offset0:18 offset1:19
	ds_write_b32 v11, v1 offset:80
	global_load_dword v5, v[8:9], off offset:256
	global_load_dword v7, v[8:9], off offset:512
	;; [unrolled: 1-line block ×15, first 2 shown]
	v_bfe_u32 v14, v0, 10, 10
	v_bfe_u32 v0, v0, 20, 10
	v_mad_u32_u24 v8, v0, s4, v14
	s_lshl_b32 s0, -1, s65
	v_mov_b32_e32 v16, v1
	s_not_b32 s14, s0
	v_mov_b32_e32 v20, v1
	v_mov_b32_e32 v26, v1
	s_movk_i32 s8, 0x44
	s_waitcnt lgkmcnt(0)
	s_barrier
	s_waitcnt vmcnt(16)
	; wave barrier
	v_xor_b32_e32 v3, 0x7fffffff, v3
	v_lshrrev_b32_e32 v0, s64, v3
	v_bitop3_b32 v14, v0, s0, v0 bitop3:0x30
	v_and_b32_e32 v0, 1, v14
	v_lshlrev_b32_e32 v17, 30, v14
	v_lshlrev_b32_e32 v21, 29, v14
	s_waitcnt vmcnt(15)
	v_mad_u64_u32 v[8:9], s[0:1], v8, v13, v[2:3]
	v_lshl_add_u64 v[32:33], v[0:1], 0, -1
	v_cmp_ne_u32_e32 vcc, 0, v0
	v_not_b32_e32 v0, v17
	v_lshlrev_b32_e32 v27, 28, v14
	v_cmp_gt_i64_e64 s[0:1], 0, v[16:17]
	v_not_b32_e32 v9, v21
	v_lshrrev_b32_e32 v28, 6, v8
	v_xor_b32_e32 v8, vcc_hi, v33
	v_xor_b32_e32 v16, vcc_lo, v32
	v_ashrrev_i32_e32 v0, 31, v0
	v_cmp_gt_i64_e64 s[4:5], 0, v[20:21]
	v_not_b32_e32 v13, v27
	v_ashrrev_i32_e32 v9, 31, v9
	v_and_b32_e32 v8, exec_hi, v8
	v_and_b32_e32 v16, exec_lo, v16
	v_xor_b32_e32 v17, s1, v0
	v_xor_b32_e32 v0, s0, v0
	v_cmp_gt_i64_e64 s[6:7], 0, v[26:27]
	v_ashrrev_i32_e32 v13, 31, v13
	v_xor_b32_e32 v20, s5, v9
	v_xor_b32_e32 v9, s4, v9
	v_and_b32_e32 v8, v8, v17
	v_and_b32_e32 v0, v16, v0
	v_xor_b32_e32 v21, s7, v13
	v_and_b32_e32 v8, v8, v20
	v_and_b32_e32 v0, v0, v9
	;; [unrolled: 3-line block ×3, first 2 shown]
	v_lshlrev_b32_e32 v9, 27, v14
	v_mov_b32_e32 v8, v1
	v_cmp_gt_i64_e32 vcc, 0, v[8:9]
	v_not_b32_e32 v8, v9
	v_ashrrev_i32_e32 v8, 31, v8
	v_xor_b32_e32 v9, vcc_hi, v8
	v_xor_b32_e32 v8, vcc_lo, v8
	v_and_b32_e32 v13, v13, v9
	v_and_b32_e32 v0, v0, v8
	v_lshlrev_b32_e32 v9, 26, v14
	v_mov_b32_e32 v8, v1
	v_cmp_gt_i64_e32 vcc, 0, v[8:9]
	v_not_b32_e32 v8, v9
	v_ashrrev_i32_e32 v8, 31, v8
	v_xor_b32_e32 v9, vcc_hi, v8
	v_xor_b32_e32 v8, vcc_lo, v8
	v_and_b32_e32 v13, v13, v9
	v_and_b32_e32 v0, v0, v8
	;; [unrolled: 9-line block ×4, first 2 shown]
	v_mbcnt_lo_u32_b32 v0, v8, 0
	v_mul_lo_u32 v18, v14, s8
	v_mbcnt_hi_u32_b32 v14, v9, v0
	v_cmp_eq_u32_e32 vcc, 0, v14
	v_cmp_ne_u64_e64 s[0:1], 0, v[8:9]
	v_lshl_add_u32 v18, v28, 2, v18
	s_and_b64 s[4:5], s[0:1], vcc
	s_and_saveexec_b64 s[0:1], s[4:5]
; %bb.206:
	v_bcnt_u32_b32 v0, v8, 0
	v_bcnt_u32_b32 v0, v9, v0
	ds_write_b32 v18, v0 offset:64
; %bb.207:
	s_or_b64 exec, exec, s[0:1]
	s_waitcnt vmcnt(14)
	v_xor_b32_e32 v5, 0x7fffffff, v5
	v_lshrrev_b32_e32 v0, s64, v5
	v_and_b32_e32 v16, s14, v0
	v_mul_lo_u32 v0, v16, s8
	v_lshl_add_u32 v21, v28, 2, v0
	v_and_b32_e32 v0, 1, v16
	v_lshl_add_u64 v[8:9], v[0:1], 0, -1
	v_cmp_ne_u32_e32 vcc, 0, v0
	; wave barrier
	s_nop 1
	v_xor_b32_e32 v8, vcc_lo, v8
	v_xor_b32_e32 v0, vcc_hi, v9
	v_and_b32_e32 v17, exec_lo, v8
	v_lshlrev_b32_e32 v9, 30, v16
	v_mov_b32_e32 v8, v1
	v_cmp_gt_i64_e32 vcc, 0, v[8:9]
	v_not_b32_e32 v8, v9
	v_ashrrev_i32_e32 v8, 31, v8
	v_and_b32_e32 v0, exec_hi, v0
	v_xor_b32_e32 v9, vcc_hi, v8
	v_xor_b32_e32 v8, vcc_lo, v8
	v_and_b32_e32 v0, v0, v9
	v_and_b32_e32 v17, v17, v8
	v_lshlrev_b32_e32 v9, 29, v16
	v_mov_b32_e32 v8, v1
	v_cmp_gt_i64_e32 vcc, 0, v[8:9]
	v_not_b32_e32 v8, v9
	v_ashrrev_i32_e32 v8, 31, v8
	v_xor_b32_e32 v9, vcc_hi, v8
	v_xor_b32_e32 v8, vcc_lo, v8
	v_and_b32_e32 v0, v0, v9
	v_and_b32_e32 v17, v17, v8
	v_lshlrev_b32_e32 v9, 28, v16
	v_mov_b32_e32 v8, v1
	v_cmp_gt_i64_e32 vcc, 0, v[8:9]
	v_not_b32_e32 v8, v9
	v_ashrrev_i32_e32 v8, 31, v8
	;; [unrolled: 9-line block ×5, first 2 shown]
	v_xor_b32_e32 v9, vcc_hi, v8
	v_xor_b32_e32 v8, vcc_lo, v8
	v_and_b32_e32 v0, v0, v9
	v_lshlrev_b32_e32 v9, 24, v16
	v_and_b32_e32 v17, v17, v8
	v_mov_b32_e32 v8, v1
	v_not_b32_e32 v1, v9
	v_cmp_gt_i64_e32 vcc, 0, v[8:9]
	v_ashrrev_i32_e32 v1, 31, v1
	ds_read_b32 v13, v21 offset:64
	v_xor_b32_e32 v8, vcc_hi, v1
	v_xor_b32_e32 v9, vcc_lo, v1
	v_and_b32_e32 v1, v0, v8
	v_and_b32_e32 v0, v17, v9
	v_mbcnt_lo_u32_b32 v8, v0, 0
	v_mbcnt_hi_u32_b32 v16, v1, v8
	v_cmp_eq_u32_e32 vcc, 0, v16
	v_cmp_ne_u64_e64 s[0:1], 0, v[0:1]
	s_and_b64 s[4:5], s[0:1], vcc
	; wave barrier
	s_and_saveexec_b64 s[0:1], s[4:5]
	s_cbranch_execz .LBB1874_209
; %bb.208:
	v_bcnt_u32_b32 v0, v0, 0
	v_bcnt_u32_b32 v0, v1, v0
	s_waitcnt lgkmcnt(0)
	v_add_u32_e32 v0, v13, v0
	ds_write_b32 v21, v0 offset:64
.LBB1874_209:
	s_or_b64 exec, exec, s[0:1]
	s_waitcnt vmcnt(13)
	v_xor_b32_e32 v7, 0x7fffffff, v7
	v_lshrrev_b32_e32 v0, s64, v7
	v_and_b32_e32 v20, s14, v0
	s_movk_i32 s4, 0x44
	v_mul_lo_u32 v0, v20, s4
	v_lshl_add_u32 v26, v28, 2, v0
	v_and_b32_e32 v0, 1, v20
	v_mov_b32_e32 v1, 0
	v_lshl_add_u64 v[8:9], v[0:1], 0, -1
	v_cmp_ne_u32_e32 vcc, 0, v0
	; wave barrier
	s_nop 1
	v_xor_b32_e32 v8, vcc_lo, v8
	v_xor_b32_e32 v0, vcc_hi, v9
	v_and_b32_e32 v22, exec_lo, v8
	v_lshlrev_b32_e32 v9, 30, v20
	v_mov_b32_e32 v8, v1
	v_cmp_gt_i64_e32 vcc, 0, v[8:9]
	v_not_b32_e32 v8, v9
	v_ashrrev_i32_e32 v8, 31, v8
	v_and_b32_e32 v0, exec_hi, v0
	v_xor_b32_e32 v9, vcc_hi, v8
	v_xor_b32_e32 v8, vcc_lo, v8
	v_and_b32_e32 v0, v0, v9
	v_and_b32_e32 v22, v22, v8
	v_lshlrev_b32_e32 v9, 29, v20
	v_mov_b32_e32 v8, v1
	v_cmp_gt_i64_e32 vcc, 0, v[8:9]
	v_not_b32_e32 v8, v9
	v_ashrrev_i32_e32 v8, 31, v8
	v_xor_b32_e32 v9, vcc_hi, v8
	v_xor_b32_e32 v8, vcc_lo, v8
	v_and_b32_e32 v0, v0, v9
	v_and_b32_e32 v22, v22, v8
	v_lshlrev_b32_e32 v9, 28, v20
	v_mov_b32_e32 v8, v1
	v_cmp_gt_i64_e32 vcc, 0, v[8:9]
	v_not_b32_e32 v8, v9
	v_ashrrev_i32_e32 v8, 31, v8
	;; [unrolled: 9-line block ×6, first 2 shown]
	v_xor_b32_e32 v9, vcc_hi, v8
	v_xor_b32_e32 v8, vcc_lo, v8
	ds_read_b32 v17, v26 offset:64
	v_and_b32_e32 v8, v22, v8
	v_and_b32_e32 v9, v0, v9
	v_mbcnt_lo_u32_b32 v0, v8, 0
	v_mbcnt_hi_u32_b32 v20, v9, v0
	v_cmp_eq_u32_e32 vcc, 0, v20
	v_cmp_ne_u64_e64 s[0:1], 0, v[8:9]
	s_and_b64 s[6:7], s[0:1], vcc
	; wave barrier
	s_and_saveexec_b64 s[0:1], s[6:7]
	s_cbranch_execz .LBB1874_211
; %bb.210:
	v_bcnt_u32_b32 v0, v8, 0
	v_bcnt_u32_b32 v0, v9, v0
	s_waitcnt lgkmcnt(0)
	v_add_u32_e32 v0, v17, v0
	ds_write_b32 v26, v0 offset:64
.LBB1874_211:
	s_or_b64 exec, exec, s[0:1]
	s_waitcnt vmcnt(12)
	v_xor_b32_e32 v12, 0x7fffffff, v12
	v_lshrrev_b32_e32 v0, s64, v12
	v_and_b32_e32 v24, s14, v0
	v_mul_lo_u32 v0, v24, s4
	v_lshl_add_u32 v32, v28, 2, v0
	v_and_b32_e32 v0, 1, v24
	v_lshl_add_u64 v[8:9], v[0:1], 0, -1
	v_cmp_ne_u32_e32 vcc, 0, v0
	; wave barrier
	s_nop 1
	v_xor_b32_e32 v8, vcc_lo, v8
	v_xor_b32_e32 v0, vcc_hi, v9
	v_and_b32_e32 v27, exec_lo, v8
	v_lshlrev_b32_e32 v9, 30, v24
	v_mov_b32_e32 v8, v1
	v_cmp_gt_i64_e32 vcc, 0, v[8:9]
	v_not_b32_e32 v8, v9
	v_ashrrev_i32_e32 v8, 31, v8
	v_and_b32_e32 v0, exec_hi, v0
	v_xor_b32_e32 v9, vcc_hi, v8
	v_xor_b32_e32 v8, vcc_lo, v8
	v_and_b32_e32 v0, v0, v9
	v_and_b32_e32 v27, v27, v8
	v_lshlrev_b32_e32 v9, 29, v24
	v_mov_b32_e32 v8, v1
	v_cmp_gt_i64_e32 vcc, 0, v[8:9]
	v_not_b32_e32 v8, v9
	v_ashrrev_i32_e32 v8, 31, v8
	v_xor_b32_e32 v9, vcc_hi, v8
	v_xor_b32_e32 v8, vcc_lo, v8
	v_and_b32_e32 v0, v0, v9
	v_and_b32_e32 v27, v27, v8
	v_lshlrev_b32_e32 v9, 28, v24
	v_mov_b32_e32 v8, v1
	v_cmp_gt_i64_e32 vcc, 0, v[8:9]
	v_not_b32_e32 v8, v9
	v_ashrrev_i32_e32 v8, 31, v8
	v_xor_b32_e32 v9, vcc_hi, v8
	v_xor_b32_e32 v8, vcc_lo, v8
	v_and_b32_e32 v0, v0, v9
	v_and_b32_e32 v27, v27, v8
	v_lshlrev_b32_e32 v9, 27, v24
	v_mov_b32_e32 v8, v1
	v_cmp_gt_i64_e32 vcc, 0, v[8:9]
	v_not_b32_e32 v8, v9
	v_ashrrev_i32_e32 v8, 31, v8
	v_xor_b32_e32 v9, vcc_hi, v8
	v_xor_b32_e32 v8, vcc_lo, v8
	v_and_b32_e32 v0, v0, v9
	v_and_b32_e32 v27, v27, v8
	v_lshlrev_b32_e32 v9, 26, v24
	v_mov_b32_e32 v8, v1
	v_cmp_gt_i64_e32 vcc, 0, v[8:9]
	v_not_b32_e32 v8, v9
	v_ashrrev_i32_e32 v8, 31, v8
	v_xor_b32_e32 v9, vcc_hi, v8
	v_xor_b32_e32 v8, vcc_lo, v8
	v_and_b32_e32 v0, v0, v9
	v_and_b32_e32 v27, v27, v8
	v_lshlrev_b32_e32 v9, 25, v24
	v_mov_b32_e32 v8, v1
	v_cmp_gt_i64_e32 vcc, 0, v[8:9]
	v_not_b32_e32 v8, v9
	v_ashrrev_i32_e32 v8, 31, v8
	v_xor_b32_e32 v9, vcc_hi, v8
	v_xor_b32_e32 v8, vcc_lo, v8
	v_and_b32_e32 v0, v0, v9
	v_lshlrev_b32_e32 v9, 24, v24
	v_and_b32_e32 v27, v27, v8
	v_mov_b32_e32 v8, v1
	v_not_b32_e32 v1, v9
	v_cmp_gt_i64_e32 vcc, 0, v[8:9]
	v_ashrrev_i32_e32 v1, 31, v1
	ds_read_b32 v22, v32 offset:64
	v_xor_b32_e32 v8, vcc_hi, v1
	v_xor_b32_e32 v9, vcc_lo, v1
	v_and_b32_e32 v1, v0, v8
	v_and_b32_e32 v0, v27, v9
	v_mbcnt_lo_u32_b32 v8, v0, 0
	v_mbcnt_hi_u32_b32 v24, v1, v8
	v_cmp_eq_u32_e32 vcc, 0, v24
	v_cmp_ne_u64_e64 s[0:1], 0, v[0:1]
	s_and_b64 s[4:5], s[0:1], vcc
	; wave barrier
	s_and_saveexec_b64 s[0:1], s[4:5]
	s_cbranch_execz .LBB1874_213
; %bb.212:
	v_bcnt_u32_b32 v0, v0, 0
	v_bcnt_u32_b32 v0, v1, v0
	s_waitcnt lgkmcnt(0)
	v_add_u32_e32 v0, v22, v0
	ds_write_b32 v32, v0 offset:64
.LBB1874_213:
	s_or_b64 exec, exec, s[0:1]
	s_waitcnt vmcnt(11)
	v_xor_b32_e32 v15, 0x7fffffff, v15
	v_lshrrev_b32_e32 v0, s64, v15
	v_and_b32_e32 v30, s14, v0
	s_movk_i32 s4, 0x44
	v_mul_lo_u32 v0, v30, s4
	v_lshl_add_u32 v37, v28, 2, v0
	v_and_b32_e32 v0, 1, v30
	v_mov_b32_e32 v1, 0
	v_lshl_add_u64 v[8:9], v[0:1], 0, -1
	v_cmp_ne_u32_e32 vcc, 0, v0
	; wave barrier
	s_nop 1
	v_xor_b32_e32 v8, vcc_lo, v8
	v_xor_b32_e32 v0, vcc_hi, v9
	v_and_b32_e32 v33, exec_lo, v8
	v_lshlrev_b32_e32 v9, 30, v30
	v_mov_b32_e32 v8, v1
	v_cmp_gt_i64_e32 vcc, 0, v[8:9]
	v_not_b32_e32 v8, v9
	v_ashrrev_i32_e32 v8, 31, v8
	v_and_b32_e32 v0, exec_hi, v0
	v_xor_b32_e32 v9, vcc_hi, v8
	v_xor_b32_e32 v8, vcc_lo, v8
	v_and_b32_e32 v0, v0, v9
	v_and_b32_e32 v33, v33, v8
	v_lshlrev_b32_e32 v9, 29, v30
	v_mov_b32_e32 v8, v1
	v_cmp_gt_i64_e32 vcc, 0, v[8:9]
	v_not_b32_e32 v8, v9
	v_ashrrev_i32_e32 v8, 31, v8
	v_xor_b32_e32 v9, vcc_hi, v8
	v_xor_b32_e32 v8, vcc_lo, v8
	v_and_b32_e32 v0, v0, v9
	v_and_b32_e32 v33, v33, v8
	v_lshlrev_b32_e32 v9, 28, v30
	v_mov_b32_e32 v8, v1
	v_cmp_gt_i64_e32 vcc, 0, v[8:9]
	v_not_b32_e32 v8, v9
	v_ashrrev_i32_e32 v8, 31, v8
	;; [unrolled: 9-line block ×6, first 2 shown]
	v_xor_b32_e32 v9, vcc_hi, v8
	v_xor_b32_e32 v8, vcc_lo, v8
	ds_read_b32 v27, v37 offset:64
	v_and_b32_e32 v8, v33, v8
	v_and_b32_e32 v9, v0, v9
	v_mbcnt_lo_u32_b32 v0, v8, 0
	v_mbcnt_hi_u32_b32 v30, v9, v0
	v_cmp_eq_u32_e32 vcc, 0, v30
	v_cmp_ne_u64_e64 s[0:1], 0, v[8:9]
	s_and_b64 s[6:7], s[0:1], vcc
	; wave barrier
	s_and_saveexec_b64 s[0:1], s[6:7]
	s_cbranch_execz .LBB1874_215
; %bb.214:
	v_bcnt_u32_b32 v0, v8, 0
	v_bcnt_u32_b32 v0, v9, v0
	s_waitcnt lgkmcnt(0)
	v_add_u32_e32 v0, v27, v0
	ds_write_b32 v37, v0 offset:64
.LBB1874_215:
	s_or_b64 exec, exec, s[0:1]
	s_waitcnt vmcnt(10)
	v_xor_b32_e32 v19, 0x7fffffff, v19
	v_lshrrev_b32_e32 v0, s64, v19
	v_and_b32_e32 v35, s14, v0
	v_mul_lo_u32 v0, v35, s4
	v_lshl_add_u32 v41, v28, 2, v0
	v_and_b32_e32 v0, 1, v35
	v_lshl_add_u64 v[8:9], v[0:1], 0, -1
	v_cmp_ne_u32_e32 vcc, 0, v0
	; wave barrier
	s_nop 1
	v_xor_b32_e32 v8, vcc_lo, v8
	v_xor_b32_e32 v0, vcc_hi, v9
	v_and_b32_e32 v38, exec_lo, v8
	v_lshlrev_b32_e32 v9, 30, v35
	v_mov_b32_e32 v8, v1
	v_cmp_gt_i64_e32 vcc, 0, v[8:9]
	v_not_b32_e32 v8, v9
	v_ashrrev_i32_e32 v8, 31, v8
	v_and_b32_e32 v0, exec_hi, v0
	v_xor_b32_e32 v9, vcc_hi, v8
	v_xor_b32_e32 v8, vcc_lo, v8
	v_and_b32_e32 v0, v0, v9
	v_and_b32_e32 v38, v38, v8
	v_lshlrev_b32_e32 v9, 29, v35
	v_mov_b32_e32 v8, v1
	v_cmp_gt_i64_e32 vcc, 0, v[8:9]
	v_not_b32_e32 v8, v9
	v_ashrrev_i32_e32 v8, 31, v8
	v_xor_b32_e32 v9, vcc_hi, v8
	v_xor_b32_e32 v8, vcc_lo, v8
	v_and_b32_e32 v0, v0, v9
	v_and_b32_e32 v38, v38, v8
	v_lshlrev_b32_e32 v9, 28, v35
	v_mov_b32_e32 v8, v1
	v_cmp_gt_i64_e32 vcc, 0, v[8:9]
	v_not_b32_e32 v8, v9
	v_ashrrev_i32_e32 v8, 31, v8
	;; [unrolled: 9-line block ×5, first 2 shown]
	v_xor_b32_e32 v9, vcc_hi, v8
	v_xor_b32_e32 v8, vcc_lo, v8
	v_and_b32_e32 v0, v0, v9
	v_lshlrev_b32_e32 v9, 24, v35
	v_and_b32_e32 v38, v38, v8
	v_mov_b32_e32 v8, v1
	v_not_b32_e32 v1, v9
	v_cmp_gt_i64_e32 vcc, 0, v[8:9]
	v_ashrrev_i32_e32 v1, 31, v1
	ds_read_b32 v33, v41 offset:64
	v_xor_b32_e32 v8, vcc_hi, v1
	v_xor_b32_e32 v9, vcc_lo, v1
	v_and_b32_e32 v1, v0, v8
	v_and_b32_e32 v0, v38, v9
	v_mbcnt_lo_u32_b32 v8, v0, 0
	v_mbcnt_hi_u32_b32 v35, v1, v8
	v_cmp_eq_u32_e32 vcc, 0, v35
	v_cmp_ne_u64_e64 s[0:1], 0, v[0:1]
	s_and_b64 s[4:5], s[0:1], vcc
	; wave barrier
	s_and_saveexec_b64 s[0:1], s[4:5]
	s_cbranch_execz .LBB1874_217
; %bb.216:
	v_bcnt_u32_b32 v0, v0, 0
	v_bcnt_u32_b32 v0, v1, v0
	s_waitcnt lgkmcnt(0)
	v_add_u32_e32 v0, v33, v0
	ds_write_b32 v41, v0 offset:64
.LBB1874_217:
	s_or_b64 exec, exec, s[0:1]
	s_waitcnt vmcnt(9)
	v_xor_b32_e32 v23, 0x7fffffff, v23
	v_lshrrev_b32_e32 v0, s64, v23
	v_and_b32_e32 v42, s14, v0
	s_movk_i32 s4, 0x44
	v_mul_lo_u32 v0, v42, s4
	v_lshl_add_u32 v46, v28, 2, v0
	v_and_b32_e32 v0, 1, v42
	v_mov_b32_e32 v1, 0
	v_lshl_add_u64 v[8:9], v[0:1], 0, -1
	v_cmp_ne_u32_e32 vcc, 0, v0
	; wave barrier
	s_nop 1
	v_xor_b32_e32 v8, vcc_lo, v8
	v_xor_b32_e32 v0, vcc_hi, v9
	v_and_b32_e32 v43, exec_lo, v8
	v_lshlrev_b32_e32 v9, 30, v42
	v_mov_b32_e32 v8, v1
	v_cmp_gt_i64_e32 vcc, 0, v[8:9]
	v_not_b32_e32 v8, v9
	v_ashrrev_i32_e32 v8, 31, v8
	v_and_b32_e32 v0, exec_hi, v0
	v_xor_b32_e32 v9, vcc_hi, v8
	v_xor_b32_e32 v8, vcc_lo, v8
	v_and_b32_e32 v0, v0, v9
	v_and_b32_e32 v43, v43, v8
	v_lshlrev_b32_e32 v9, 29, v42
	v_mov_b32_e32 v8, v1
	v_cmp_gt_i64_e32 vcc, 0, v[8:9]
	v_not_b32_e32 v8, v9
	v_ashrrev_i32_e32 v8, 31, v8
	v_xor_b32_e32 v9, vcc_hi, v8
	v_xor_b32_e32 v8, vcc_lo, v8
	v_and_b32_e32 v0, v0, v9
	v_and_b32_e32 v43, v43, v8
	v_lshlrev_b32_e32 v9, 28, v42
	v_mov_b32_e32 v8, v1
	v_cmp_gt_i64_e32 vcc, 0, v[8:9]
	v_not_b32_e32 v8, v9
	v_ashrrev_i32_e32 v8, 31, v8
	;; [unrolled: 9-line block ×6, first 2 shown]
	v_xor_b32_e32 v9, vcc_hi, v8
	v_xor_b32_e32 v8, vcc_lo, v8
	ds_read_b32 v38, v46 offset:64
	v_and_b32_e32 v8, v43, v8
	v_and_b32_e32 v9, v0, v9
	v_mbcnt_lo_u32_b32 v0, v8, 0
	v_mbcnt_hi_u32_b32 v42, v9, v0
	v_cmp_eq_u32_e32 vcc, 0, v42
	v_cmp_ne_u64_e64 s[0:1], 0, v[8:9]
	s_and_b64 s[6:7], s[0:1], vcc
	; wave barrier
	s_and_saveexec_b64 s[0:1], s[6:7]
	s_cbranch_execz .LBB1874_219
; %bb.218:
	v_bcnt_u32_b32 v0, v8, 0
	v_bcnt_u32_b32 v0, v9, v0
	s_waitcnt lgkmcnt(0)
	v_add_u32_e32 v0, v38, v0
	ds_write_b32 v46, v0 offset:64
.LBB1874_219:
	s_or_b64 exec, exec, s[0:1]
	s_waitcnt vmcnt(8)
	v_xor_b32_e32 v29, 0x7fffffff, v29
	v_lshrrev_b32_e32 v0, s64, v29
	v_and_b32_e32 v47, s14, v0
	v_mul_lo_u32 v0, v47, s4
	v_lshl_add_u32 v49, v28, 2, v0
	v_and_b32_e32 v0, 1, v47
	v_lshl_add_u64 v[8:9], v[0:1], 0, -1
	v_cmp_ne_u32_e32 vcc, 0, v0
	; wave barrier
	s_nop 1
	v_xor_b32_e32 v8, vcc_lo, v8
	v_xor_b32_e32 v0, vcc_hi, v9
	v_and_b32_e32 v48, exec_lo, v8
	v_lshlrev_b32_e32 v9, 30, v47
	v_mov_b32_e32 v8, v1
	v_cmp_gt_i64_e32 vcc, 0, v[8:9]
	v_not_b32_e32 v8, v9
	v_ashrrev_i32_e32 v8, 31, v8
	v_and_b32_e32 v0, exec_hi, v0
	v_xor_b32_e32 v9, vcc_hi, v8
	v_xor_b32_e32 v8, vcc_lo, v8
	v_and_b32_e32 v0, v0, v9
	v_and_b32_e32 v48, v48, v8
	v_lshlrev_b32_e32 v9, 29, v47
	v_mov_b32_e32 v8, v1
	v_cmp_gt_i64_e32 vcc, 0, v[8:9]
	v_not_b32_e32 v8, v9
	v_ashrrev_i32_e32 v8, 31, v8
	v_xor_b32_e32 v9, vcc_hi, v8
	v_xor_b32_e32 v8, vcc_lo, v8
	v_and_b32_e32 v0, v0, v9
	v_and_b32_e32 v48, v48, v8
	v_lshlrev_b32_e32 v9, 28, v47
	v_mov_b32_e32 v8, v1
	v_cmp_gt_i64_e32 vcc, 0, v[8:9]
	v_not_b32_e32 v8, v9
	v_ashrrev_i32_e32 v8, 31, v8
	;; [unrolled: 9-line block ×5, first 2 shown]
	v_xor_b32_e32 v9, vcc_hi, v8
	v_xor_b32_e32 v8, vcc_lo, v8
	v_and_b32_e32 v0, v0, v9
	v_lshlrev_b32_e32 v9, 24, v47
	v_and_b32_e32 v48, v48, v8
	v_mov_b32_e32 v8, v1
	v_not_b32_e32 v1, v9
	v_cmp_gt_i64_e32 vcc, 0, v[8:9]
	v_ashrrev_i32_e32 v1, 31, v1
	ds_read_b32 v43, v49 offset:64
	v_xor_b32_e32 v8, vcc_hi, v1
	v_xor_b32_e32 v9, vcc_lo, v1
	v_and_b32_e32 v1, v0, v8
	v_and_b32_e32 v0, v48, v9
	v_mbcnt_lo_u32_b32 v8, v0, 0
	v_mbcnt_hi_u32_b32 v47, v1, v8
	v_cmp_eq_u32_e32 vcc, 0, v47
	v_cmp_ne_u64_e64 s[0:1], 0, v[0:1]
	s_and_b64 s[4:5], s[0:1], vcc
	; wave barrier
	s_and_saveexec_b64 s[0:1], s[4:5]
	s_cbranch_execz .LBB1874_221
; %bb.220:
	v_bcnt_u32_b32 v0, v0, 0
	v_bcnt_u32_b32 v0, v1, v0
	s_waitcnt lgkmcnt(0)
	v_add_u32_e32 v0, v43, v0
	ds_write_b32 v49, v0 offset:64
.LBB1874_221:
	s_or_b64 exec, exec, s[0:1]
	s_waitcnt vmcnt(7)
	v_xor_b32_e32 v34, 0x7fffffff, v34
	v_lshrrev_b32_e32 v0, s64, v34
	v_and_b32_e32 v50, s14, v0
	s_movk_i32 s4, 0x44
	v_mul_lo_u32 v0, v50, s4
	v_lshl_add_u32 v52, v28, 2, v0
	v_and_b32_e32 v0, 1, v50
	v_mov_b32_e32 v1, 0
	v_lshl_add_u64 v[8:9], v[0:1], 0, -1
	v_cmp_ne_u32_e32 vcc, 0, v0
	; wave barrier
	s_nop 1
	v_xor_b32_e32 v8, vcc_lo, v8
	v_xor_b32_e32 v0, vcc_hi, v9
	v_and_b32_e32 v51, exec_lo, v8
	v_lshlrev_b32_e32 v9, 30, v50
	v_mov_b32_e32 v8, v1
	v_cmp_gt_i64_e32 vcc, 0, v[8:9]
	v_not_b32_e32 v8, v9
	v_ashrrev_i32_e32 v8, 31, v8
	v_and_b32_e32 v0, exec_hi, v0
	v_xor_b32_e32 v9, vcc_hi, v8
	v_xor_b32_e32 v8, vcc_lo, v8
	v_and_b32_e32 v0, v0, v9
	v_and_b32_e32 v51, v51, v8
	v_lshlrev_b32_e32 v9, 29, v50
	v_mov_b32_e32 v8, v1
	v_cmp_gt_i64_e32 vcc, 0, v[8:9]
	v_not_b32_e32 v8, v9
	v_ashrrev_i32_e32 v8, 31, v8
	v_xor_b32_e32 v9, vcc_hi, v8
	v_xor_b32_e32 v8, vcc_lo, v8
	v_and_b32_e32 v0, v0, v9
	v_and_b32_e32 v51, v51, v8
	v_lshlrev_b32_e32 v9, 28, v50
	v_mov_b32_e32 v8, v1
	v_cmp_gt_i64_e32 vcc, 0, v[8:9]
	v_not_b32_e32 v8, v9
	v_ashrrev_i32_e32 v8, 31, v8
	;; [unrolled: 9-line block ×6, first 2 shown]
	v_xor_b32_e32 v9, vcc_hi, v8
	v_xor_b32_e32 v8, vcc_lo, v8
	ds_read_b32 v48, v52 offset:64
	v_and_b32_e32 v8, v51, v8
	v_and_b32_e32 v9, v0, v9
	v_mbcnt_lo_u32_b32 v0, v8, 0
	v_mbcnt_hi_u32_b32 v50, v9, v0
	v_cmp_eq_u32_e32 vcc, 0, v50
	v_cmp_ne_u64_e64 s[0:1], 0, v[8:9]
	s_and_b64 s[6:7], s[0:1], vcc
	; wave barrier
	s_and_saveexec_b64 s[0:1], s[6:7]
	s_cbranch_execz .LBB1874_223
; %bb.222:
	v_bcnt_u32_b32 v0, v8, 0
	v_bcnt_u32_b32 v0, v9, v0
	s_waitcnt lgkmcnt(0)
	v_add_u32_e32 v0, v48, v0
	ds_write_b32 v52, v0 offset:64
.LBB1874_223:
	s_or_b64 exec, exec, s[0:1]
	s_waitcnt vmcnt(6)
	v_xor_b32_e32 v39, 0x7fffffff, v39
	v_lshrrev_b32_e32 v0, s64, v39
	v_and_b32_e32 v53, s14, v0
	v_mul_lo_u32 v0, v53, s4
	v_lshl_add_u32 v55, v28, 2, v0
	v_and_b32_e32 v0, 1, v53
	v_lshl_add_u64 v[8:9], v[0:1], 0, -1
	v_cmp_ne_u32_e32 vcc, 0, v0
	; wave barrier
	s_nop 1
	v_xor_b32_e32 v8, vcc_lo, v8
	v_xor_b32_e32 v0, vcc_hi, v9
	v_and_b32_e32 v54, exec_lo, v8
	v_lshlrev_b32_e32 v9, 30, v53
	v_mov_b32_e32 v8, v1
	v_cmp_gt_i64_e32 vcc, 0, v[8:9]
	v_not_b32_e32 v8, v9
	v_ashrrev_i32_e32 v8, 31, v8
	v_and_b32_e32 v0, exec_hi, v0
	v_xor_b32_e32 v9, vcc_hi, v8
	v_xor_b32_e32 v8, vcc_lo, v8
	v_and_b32_e32 v0, v0, v9
	v_and_b32_e32 v54, v54, v8
	v_lshlrev_b32_e32 v9, 29, v53
	v_mov_b32_e32 v8, v1
	v_cmp_gt_i64_e32 vcc, 0, v[8:9]
	v_not_b32_e32 v8, v9
	v_ashrrev_i32_e32 v8, 31, v8
	v_xor_b32_e32 v9, vcc_hi, v8
	v_xor_b32_e32 v8, vcc_lo, v8
	v_and_b32_e32 v0, v0, v9
	v_and_b32_e32 v54, v54, v8
	v_lshlrev_b32_e32 v9, 28, v53
	v_mov_b32_e32 v8, v1
	v_cmp_gt_i64_e32 vcc, 0, v[8:9]
	v_not_b32_e32 v8, v9
	v_ashrrev_i32_e32 v8, 31, v8
	;; [unrolled: 9-line block ×5, first 2 shown]
	v_xor_b32_e32 v9, vcc_hi, v8
	v_xor_b32_e32 v8, vcc_lo, v8
	v_and_b32_e32 v0, v0, v9
	v_lshlrev_b32_e32 v9, 24, v53
	v_and_b32_e32 v54, v54, v8
	v_mov_b32_e32 v8, v1
	v_not_b32_e32 v1, v9
	v_cmp_gt_i64_e32 vcc, 0, v[8:9]
	v_ashrrev_i32_e32 v1, 31, v1
	ds_read_b32 v51, v55 offset:64
	v_xor_b32_e32 v8, vcc_hi, v1
	v_xor_b32_e32 v9, vcc_lo, v1
	v_and_b32_e32 v1, v0, v8
	v_and_b32_e32 v0, v54, v9
	v_mbcnt_lo_u32_b32 v8, v0, 0
	v_mbcnt_hi_u32_b32 v53, v1, v8
	v_cmp_eq_u32_e32 vcc, 0, v53
	v_cmp_ne_u64_e64 s[0:1], 0, v[0:1]
	s_and_b64 s[4:5], s[0:1], vcc
	; wave barrier
	s_and_saveexec_b64 s[0:1], s[4:5]
	s_cbranch_execz .LBB1874_225
; %bb.224:
	v_bcnt_u32_b32 v0, v0, 0
	v_bcnt_u32_b32 v0, v1, v0
	s_waitcnt lgkmcnt(0)
	v_add_u32_e32 v0, v51, v0
	ds_write_b32 v55, v0 offset:64
.LBB1874_225:
	s_or_b64 exec, exec, s[0:1]
	s_waitcnt vmcnt(5)
	v_xor_b32_e32 v44, 0x7fffffff, v44
	v_lshrrev_b32_e32 v0, s64, v44
	v_and_b32_e32 v56, s14, v0
	s_movk_i32 s4, 0x44
	v_mul_lo_u32 v0, v56, s4
	v_lshl_add_u32 v58, v28, 2, v0
	v_and_b32_e32 v0, 1, v56
	v_mov_b32_e32 v1, 0
	v_lshl_add_u64 v[8:9], v[0:1], 0, -1
	v_cmp_ne_u32_e32 vcc, 0, v0
	; wave barrier
	s_nop 1
	v_xor_b32_e32 v8, vcc_lo, v8
	v_xor_b32_e32 v0, vcc_hi, v9
	v_and_b32_e32 v57, exec_lo, v8
	v_lshlrev_b32_e32 v9, 30, v56
	v_mov_b32_e32 v8, v1
	v_cmp_gt_i64_e32 vcc, 0, v[8:9]
	v_not_b32_e32 v8, v9
	v_ashrrev_i32_e32 v8, 31, v8
	v_and_b32_e32 v0, exec_hi, v0
	v_xor_b32_e32 v9, vcc_hi, v8
	v_xor_b32_e32 v8, vcc_lo, v8
	v_and_b32_e32 v0, v0, v9
	v_and_b32_e32 v57, v57, v8
	v_lshlrev_b32_e32 v9, 29, v56
	v_mov_b32_e32 v8, v1
	v_cmp_gt_i64_e32 vcc, 0, v[8:9]
	v_not_b32_e32 v8, v9
	v_ashrrev_i32_e32 v8, 31, v8
	v_xor_b32_e32 v9, vcc_hi, v8
	v_xor_b32_e32 v8, vcc_lo, v8
	v_and_b32_e32 v0, v0, v9
	v_and_b32_e32 v57, v57, v8
	v_lshlrev_b32_e32 v9, 28, v56
	v_mov_b32_e32 v8, v1
	v_cmp_gt_i64_e32 vcc, 0, v[8:9]
	v_not_b32_e32 v8, v9
	v_ashrrev_i32_e32 v8, 31, v8
	;; [unrolled: 9-line block ×6, first 2 shown]
	v_xor_b32_e32 v9, vcc_hi, v8
	v_xor_b32_e32 v8, vcc_lo, v8
	ds_read_b32 v54, v58 offset:64
	v_and_b32_e32 v8, v57, v8
	v_and_b32_e32 v9, v0, v9
	v_mbcnt_lo_u32_b32 v0, v8, 0
	v_mbcnt_hi_u32_b32 v56, v9, v0
	v_cmp_eq_u32_e32 vcc, 0, v56
	v_cmp_ne_u64_e64 s[0:1], 0, v[8:9]
	s_and_b64 s[6:7], s[0:1], vcc
	; wave barrier
	s_and_saveexec_b64 s[0:1], s[6:7]
	s_cbranch_execz .LBB1874_227
; %bb.226:
	v_bcnt_u32_b32 v0, v8, 0
	v_bcnt_u32_b32 v0, v9, v0
	s_waitcnt lgkmcnt(0)
	v_add_u32_e32 v0, v54, v0
	ds_write_b32 v58, v0 offset:64
.LBB1874_227:
	s_or_b64 exec, exec, s[0:1]
	s_waitcnt vmcnt(4)
	v_xor_b32_e32 v45, 0x7fffffff, v45
	v_lshrrev_b32_e32 v0, s64, v45
	v_and_b32_e32 v59, s14, v0
	v_mul_lo_u32 v0, v59, s4
	v_lshl_add_u32 v62, v28, 2, v0
	v_and_b32_e32 v0, 1, v59
	v_lshl_add_u64 v[8:9], v[0:1], 0, -1
	v_cmp_ne_u32_e32 vcc, 0, v0
	; wave barrier
	s_nop 1
	v_xor_b32_e32 v8, vcc_lo, v8
	v_xor_b32_e32 v0, vcc_hi, v9
	v_and_b32_e32 v60, exec_lo, v8
	v_lshlrev_b32_e32 v9, 30, v59
	v_mov_b32_e32 v8, v1
	v_cmp_gt_i64_e32 vcc, 0, v[8:9]
	v_not_b32_e32 v8, v9
	v_ashrrev_i32_e32 v8, 31, v8
	v_and_b32_e32 v0, exec_hi, v0
	v_xor_b32_e32 v9, vcc_hi, v8
	v_xor_b32_e32 v8, vcc_lo, v8
	v_and_b32_e32 v0, v0, v9
	v_and_b32_e32 v60, v60, v8
	v_lshlrev_b32_e32 v9, 29, v59
	v_mov_b32_e32 v8, v1
	v_cmp_gt_i64_e32 vcc, 0, v[8:9]
	v_not_b32_e32 v8, v9
	v_ashrrev_i32_e32 v8, 31, v8
	v_xor_b32_e32 v9, vcc_hi, v8
	v_xor_b32_e32 v8, vcc_lo, v8
	v_and_b32_e32 v0, v0, v9
	v_and_b32_e32 v60, v60, v8
	v_lshlrev_b32_e32 v9, 28, v59
	v_mov_b32_e32 v8, v1
	v_cmp_gt_i64_e32 vcc, 0, v[8:9]
	v_not_b32_e32 v8, v9
	v_ashrrev_i32_e32 v8, 31, v8
	;; [unrolled: 9-line block ×5, first 2 shown]
	v_xor_b32_e32 v9, vcc_hi, v8
	v_xor_b32_e32 v8, vcc_lo, v8
	v_and_b32_e32 v0, v0, v9
	v_lshlrev_b32_e32 v9, 24, v59
	v_and_b32_e32 v60, v60, v8
	v_mov_b32_e32 v8, v1
	v_not_b32_e32 v1, v9
	v_cmp_gt_i64_e32 vcc, 0, v[8:9]
	v_ashrrev_i32_e32 v1, 31, v1
	ds_read_b32 v57, v62 offset:64
	v_xor_b32_e32 v8, vcc_hi, v1
	v_xor_b32_e32 v9, vcc_lo, v1
	v_and_b32_e32 v1, v0, v8
	v_and_b32_e32 v0, v60, v9
	v_mbcnt_lo_u32_b32 v8, v0, 0
	v_mbcnt_hi_u32_b32 v59, v1, v8
	v_cmp_eq_u32_e32 vcc, 0, v59
	v_cmp_ne_u64_e64 s[0:1], 0, v[0:1]
	s_and_b64 s[4:5], s[0:1], vcc
	; wave barrier
	s_and_saveexec_b64 s[0:1], s[4:5]
	s_cbranch_execz .LBB1874_229
; %bb.228:
	v_bcnt_u32_b32 v0, v0, 0
	v_bcnt_u32_b32 v0, v1, v0
	s_waitcnt lgkmcnt(0)
	v_add_u32_e32 v0, v57, v0
	ds_write_b32 v62, v0 offset:64
.LBB1874_229:
	s_or_b64 exec, exec, s[0:1]
	s_waitcnt vmcnt(3)
	v_xor_b32_e32 v40, 0x7fffffff, v40
	v_lshrrev_b32_e32 v0, s64, v40
	v_and_b32_e32 v61, s14, v0
	s_movk_i32 s4, 0x44
	v_mul_lo_u32 v0, v61, s4
	v_lshl_add_u32 v65, v28, 2, v0
	v_and_b32_e32 v0, 1, v61
	v_mov_b32_e32 v1, 0
	v_lshl_add_u64 v[8:9], v[0:1], 0, -1
	v_cmp_ne_u32_e32 vcc, 0, v0
	; wave barrier
	s_nop 1
	v_xor_b32_e32 v8, vcc_lo, v8
	v_xor_b32_e32 v0, vcc_hi, v9
	v_and_b32_e32 v63, exec_lo, v8
	v_lshlrev_b32_e32 v9, 30, v61
	v_mov_b32_e32 v8, v1
	v_cmp_gt_i64_e32 vcc, 0, v[8:9]
	v_not_b32_e32 v8, v9
	v_ashrrev_i32_e32 v8, 31, v8
	v_and_b32_e32 v0, exec_hi, v0
	v_xor_b32_e32 v9, vcc_hi, v8
	v_xor_b32_e32 v8, vcc_lo, v8
	v_and_b32_e32 v0, v0, v9
	v_and_b32_e32 v63, v63, v8
	v_lshlrev_b32_e32 v9, 29, v61
	v_mov_b32_e32 v8, v1
	v_cmp_gt_i64_e32 vcc, 0, v[8:9]
	v_not_b32_e32 v8, v9
	v_ashrrev_i32_e32 v8, 31, v8
	v_xor_b32_e32 v9, vcc_hi, v8
	v_xor_b32_e32 v8, vcc_lo, v8
	v_and_b32_e32 v0, v0, v9
	v_and_b32_e32 v63, v63, v8
	v_lshlrev_b32_e32 v9, 28, v61
	v_mov_b32_e32 v8, v1
	v_cmp_gt_i64_e32 vcc, 0, v[8:9]
	v_not_b32_e32 v8, v9
	v_ashrrev_i32_e32 v8, 31, v8
	;; [unrolled: 9-line block ×6, first 2 shown]
	v_xor_b32_e32 v9, vcc_hi, v8
	v_xor_b32_e32 v8, vcc_lo, v8
	ds_read_b32 v60, v65 offset:64
	v_and_b32_e32 v8, v63, v8
	v_and_b32_e32 v9, v0, v9
	v_mbcnt_lo_u32_b32 v0, v8, 0
	v_mbcnt_hi_u32_b32 v63, v9, v0
	v_cmp_eq_u32_e32 vcc, 0, v63
	v_cmp_ne_u64_e64 s[0:1], 0, v[8:9]
	s_and_b64 s[6:7], s[0:1], vcc
	; wave barrier
	s_and_saveexec_b64 s[0:1], s[6:7]
	s_cbranch_execz .LBB1874_231
; %bb.230:
	v_bcnt_u32_b32 v0, v8, 0
	v_bcnt_u32_b32 v0, v9, v0
	s_waitcnt lgkmcnt(0)
	v_add_u32_e32 v0, v60, v0
	ds_write_b32 v65, v0 offset:64
.LBB1874_231:
	s_or_b64 exec, exec, s[0:1]
	s_waitcnt vmcnt(2)
	v_xor_b32_e32 v36, 0x7fffffff, v36
	v_lshrrev_b32_e32 v0, s64, v36
	v_and_b32_e32 v61, s14, v0
	v_mul_lo_u32 v0, v61, s4
	v_lshl_add_u32 v68, v28, 2, v0
	v_and_b32_e32 v0, 1, v61
	v_lshl_add_u64 v[8:9], v[0:1], 0, -1
	v_cmp_ne_u32_e32 vcc, 0, v0
	; wave barrier
	s_nop 1
	v_xor_b32_e32 v8, vcc_lo, v8
	v_xor_b32_e32 v0, vcc_hi, v9
	v_and_b32_e32 v66, exec_lo, v8
	v_lshlrev_b32_e32 v9, 30, v61
	v_mov_b32_e32 v8, v1
	v_cmp_gt_i64_e32 vcc, 0, v[8:9]
	v_not_b32_e32 v8, v9
	v_ashrrev_i32_e32 v8, 31, v8
	v_and_b32_e32 v0, exec_hi, v0
	v_xor_b32_e32 v9, vcc_hi, v8
	v_xor_b32_e32 v8, vcc_lo, v8
	v_and_b32_e32 v0, v0, v9
	v_and_b32_e32 v66, v66, v8
	v_lshlrev_b32_e32 v9, 29, v61
	v_mov_b32_e32 v8, v1
	v_cmp_gt_i64_e32 vcc, 0, v[8:9]
	v_not_b32_e32 v8, v9
	v_ashrrev_i32_e32 v8, 31, v8
	v_xor_b32_e32 v9, vcc_hi, v8
	v_xor_b32_e32 v8, vcc_lo, v8
	v_and_b32_e32 v0, v0, v9
	v_and_b32_e32 v66, v66, v8
	v_lshlrev_b32_e32 v9, 28, v61
	v_mov_b32_e32 v8, v1
	v_cmp_gt_i64_e32 vcc, 0, v[8:9]
	v_not_b32_e32 v8, v9
	v_ashrrev_i32_e32 v8, 31, v8
	;; [unrolled: 9-line block ×5, first 2 shown]
	v_xor_b32_e32 v9, vcc_hi, v8
	v_xor_b32_e32 v8, vcc_lo, v8
	v_and_b32_e32 v0, v0, v9
	v_lshlrev_b32_e32 v9, 24, v61
	v_and_b32_e32 v66, v66, v8
	v_mov_b32_e32 v8, v1
	v_not_b32_e32 v1, v9
	v_cmp_gt_i64_e32 vcc, 0, v[8:9]
	v_ashrrev_i32_e32 v1, 31, v1
	ds_read_b32 v64, v68 offset:64
	v_xor_b32_e32 v8, vcc_hi, v1
	v_xor_b32_e32 v9, vcc_lo, v1
	v_and_b32_e32 v1, v0, v8
	v_and_b32_e32 v0, v66, v9
	v_mbcnt_lo_u32_b32 v8, v0, 0
	v_mbcnt_hi_u32_b32 v66, v1, v8
	v_cmp_eq_u32_e32 vcc, 0, v66
	v_cmp_ne_u64_e64 s[0:1], 0, v[0:1]
	s_and_b64 s[4:5], s[0:1], vcc
	; wave barrier
	s_and_saveexec_b64 s[0:1], s[4:5]
	s_cbranch_execz .LBB1874_233
; %bb.232:
	v_bcnt_u32_b32 v0, v0, 0
	v_bcnt_u32_b32 v0, v1, v0
	s_waitcnt lgkmcnt(0)
	v_add_u32_e32 v0, v64, v0
	ds_write_b32 v68, v0 offset:64
.LBB1874_233:
	s_or_b64 exec, exec, s[0:1]
	s_waitcnt vmcnt(1)
	v_xor_b32_e32 v31, 0x7fffffff, v31
	v_lshrrev_b32_e32 v0, s64, v31
	v_and_b32_e32 v61, s14, v0
	s_movk_i32 s4, 0x44
	v_mul_lo_u32 v0, v61, s4
	v_lshl_add_u32 v70, v28, 2, v0
	v_and_b32_e32 v0, 1, v61
	v_mov_b32_e32 v1, 0
	v_lshl_add_u64 v[8:9], v[0:1], 0, -1
	v_cmp_ne_u32_e32 vcc, 0, v0
	; wave barrier
	s_nop 1
	v_xor_b32_e32 v8, vcc_lo, v8
	v_xor_b32_e32 v0, vcc_hi, v9
	v_and_b32_e32 v69, exec_lo, v8
	v_lshlrev_b32_e32 v9, 30, v61
	v_mov_b32_e32 v8, v1
	v_cmp_gt_i64_e32 vcc, 0, v[8:9]
	v_not_b32_e32 v8, v9
	v_ashrrev_i32_e32 v8, 31, v8
	v_and_b32_e32 v0, exec_hi, v0
	v_xor_b32_e32 v9, vcc_hi, v8
	v_xor_b32_e32 v8, vcc_lo, v8
	v_and_b32_e32 v0, v0, v9
	v_and_b32_e32 v69, v69, v8
	v_lshlrev_b32_e32 v9, 29, v61
	v_mov_b32_e32 v8, v1
	v_cmp_gt_i64_e32 vcc, 0, v[8:9]
	v_not_b32_e32 v8, v9
	v_ashrrev_i32_e32 v8, 31, v8
	v_xor_b32_e32 v9, vcc_hi, v8
	v_xor_b32_e32 v8, vcc_lo, v8
	v_and_b32_e32 v0, v0, v9
	v_and_b32_e32 v69, v69, v8
	v_lshlrev_b32_e32 v9, 28, v61
	v_mov_b32_e32 v8, v1
	v_cmp_gt_i64_e32 vcc, 0, v[8:9]
	v_not_b32_e32 v8, v9
	v_ashrrev_i32_e32 v8, 31, v8
	;; [unrolled: 9-line block ×6, first 2 shown]
	v_xor_b32_e32 v9, vcc_hi, v8
	v_xor_b32_e32 v8, vcc_lo, v8
	ds_read_b32 v67, v70 offset:64
	v_and_b32_e32 v8, v69, v8
	v_and_b32_e32 v9, v0, v9
	v_mbcnt_lo_u32_b32 v0, v8, 0
	v_mbcnt_hi_u32_b32 v69, v9, v0
	v_cmp_eq_u32_e32 vcc, 0, v69
	v_cmp_ne_u64_e64 s[0:1], 0, v[8:9]
	s_and_b64 s[6:7], s[0:1], vcc
	; wave barrier
	s_and_saveexec_b64 s[0:1], s[6:7]
	s_cbranch_execz .LBB1874_235
; %bb.234:
	v_bcnt_u32_b32 v0, v8, 0
	v_bcnt_u32_b32 v0, v9, v0
	s_waitcnt lgkmcnt(0)
	v_add_u32_e32 v0, v67, v0
	ds_write_b32 v70, v0 offset:64
.LBB1874_235:
	s_or_b64 exec, exec, s[0:1]
	s_waitcnt vmcnt(0)
	v_xor_b32_e32 v61, 0x7fffffff, v25
	v_lshrrev_b32_e32 v0, s64, v61
	v_and_b32_e32 v25, s14, v0
	v_mul_lo_u32 v0, v25, s4
	v_lshl_add_u32 v72, v28, 2, v0
	v_and_b32_e32 v0, 1, v25
	v_lshl_add_u64 v[8:9], v[0:1], 0, -1
	v_cmp_ne_u32_e32 vcc, 0, v0
	; wave barrier
	s_nop 1
	v_xor_b32_e32 v8, vcc_lo, v8
	v_xor_b32_e32 v0, vcc_hi, v9
	v_and_b32_e32 v71, exec_lo, v8
	v_lshlrev_b32_e32 v9, 30, v25
	v_mov_b32_e32 v8, v1
	v_cmp_gt_i64_e32 vcc, 0, v[8:9]
	v_not_b32_e32 v8, v9
	v_ashrrev_i32_e32 v8, 31, v8
	v_and_b32_e32 v0, exec_hi, v0
	v_xor_b32_e32 v9, vcc_hi, v8
	v_xor_b32_e32 v8, vcc_lo, v8
	v_and_b32_e32 v0, v0, v9
	v_and_b32_e32 v71, v71, v8
	v_lshlrev_b32_e32 v9, 29, v25
	v_mov_b32_e32 v8, v1
	v_cmp_gt_i64_e32 vcc, 0, v[8:9]
	v_not_b32_e32 v8, v9
	v_ashrrev_i32_e32 v8, 31, v8
	v_xor_b32_e32 v9, vcc_hi, v8
	v_xor_b32_e32 v8, vcc_lo, v8
	v_and_b32_e32 v0, v0, v9
	v_and_b32_e32 v71, v71, v8
	v_lshlrev_b32_e32 v9, 28, v25
	v_mov_b32_e32 v8, v1
	v_cmp_gt_i64_e32 vcc, 0, v[8:9]
	v_not_b32_e32 v8, v9
	v_ashrrev_i32_e32 v8, 31, v8
	v_xor_b32_e32 v9, vcc_hi, v8
	v_xor_b32_e32 v8, vcc_lo, v8
	v_and_b32_e32 v0, v0, v9
	v_and_b32_e32 v71, v71, v8
	v_lshlrev_b32_e32 v9, 27, v25
	v_mov_b32_e32 v8, v1
	v_cmp_gt_i64_e32 vcc, 0, v[8:9]
	v_not_b32_e32 v8, v9
	v_ashrrev_i32_e32 v8, 31, v8
	v_xor_b32_e32 v9, vcc_hi, v8
	v_xor_b32_e32 v8, vcc_lo, v8
	v_and_b32_e32 v0, v0, v9
	v_and_b32_e32 v71, v71, v8
	v_lshlrev_b32_e32 v9, 26, v25
	v_mov_b32_e32 v8, v1
	v_cmp_gt_i64_e32 vcc, 0, v[8:9]
	v_not_b32_e32 v8, v9
	v_ashrrev_i32_e32 v8, 31, v8
	v_xor_b32_e32 v9, vcc_hi, v8
	v_xor_b32_e32 v8, vcc_lo, v8
	v_and_b32_e32 v0, v0, v9
	v_and_b32_e32 v71, v71, v8
	v_lshlrev_b32_e32 v9, 25, v25
	v_mov_b32_e32 v8, v1
	v_cmp_gt_i64_e32 vcc, 0, v[8:9]
	v_not_b32_e32 v8, v9
	v_ashrrev_i32_e32 v8, 31, v8
	v_xor_b32_e32 v9, vcc_hi, v8
	v_xor_b32_e32 v8, vcc_lo, v8
	v_and_b32_e32 v0, v0, v9
	v_lshlrev_b32_e32 v9, 24, v25
	v_and_b32_e32 v71, v71, v8
	v_mov_b32_e32 v8, v1
	v_not_b32_e32 v1, v9
	v_cmp_gt_i64_e32 vcc, 0, v[8:9]
	v_ashrrev_i32_e32 v1, 31, v1
	ds_read_b32 v28, v72 offset:64
	v_xor_b32_e32 v8, vcc_hi, v1
	v_xor_b32_e32 v9, vcc_lo, v1
	v_and_b32_e32 v1, v0, v8
	v_and_b32_e32 v0, v71, v9
	v_mbcnt_lo_u32_b32 v8, v0, 0
	v_mbcnt_hi_u32_b32 v71, v1, v8
	v_cmp_eq_u32_e32 vcc, 0, v71
	v_cmp_ne_u64_e64 s[0:1], 0, v[0:1]
	s_and_b64 s[4:5], s[0:1], vcc
	; wave barrier
	s_and_saveexec_b64 s[0:1], s[4:5]
	s_cbranch_execz .LBB1874_237
; %bb.236:
	v_bcnt_u32_b32 v0, v0, 0
	v_bcnt_u32_b32 v0, v1, v0
	s_waitcnt lgkmcnt(0)
	v_add_u32_e32 v0, v28, v0
	ds_write_b32 v72, v0 offset:64
.LBB1874_237:
	s_or_b64 exec, exec, s[0:1]
	; wave barrier
	s_waitcnt lgkmcnt(0)
	s_barrier
	ds_read2_b32 v[8:9], v11 offset0:16 offset1:17
	ds_read2_b32 v[0:1], v11 offset0:18 offset1:19
	ds_read_b32 v25, v11 offset:80
	v_cmp_lt_u32_e64 s[8:9], 31, v10
	s_waitcnt lgkmcnt(1)
	v_add3_u32 v73, v9, v8, v0
	s_waitcnt lgkmcnt(0)
	v_add3_u32 v25, v73, v1, v25
	v_and_b32_e32 v73, 15, v10
	v_cmp_eq_u32_e32 vcc, 0, v73
	v_mov_b32_dpp v74, v25 row_shr:1 row_mask:0xf bank_mask:0xf
	v_cmp_lt_u32_e64 s[0:1], 1, v73
	v_cndmask_b32_e64 v74, v74, 0, vcc
	v_add_u32_e32 v25, v74, v25
	v_cmp_lt_u32_e64 s[6:7], 3, v73
	v_cmp_lt_u32_e64 s[4:5], 7, v73
	v_mov_b32_dpp v74, v25 row_shr:2 row_mask:0xf bank_mask:0xf
	v_cndmask_b32_e64 v74, 0, v74, s[0:1]
	v_add_u32_e32 v25, v25, v74
	s_nop 1
	v_mov_b32_dpp v74, v25 row_shr:4 row_mask:0xf bank_mask:0xf
	v_cndmask_b32_e64 v74, 0, v74, s[6:7]
	v_add_u32_e32 v25, v25, v74
	s_nop 1
	v_mov_b32_dpp v74, v25 row_shr:8 row_mask:0xf bank_mask:0xf
	v_cndmask_b32_e64 v73, 0, v74, s[4:5]
	v_add_u32_e32 v25, v25, v73
	v_bfe_i32 v74, v10, 4, 1
	s_nop 0
	v_mov_b32_dpp v73, v25 row_bcast:15 row_mask:0xf bank_mask:0xf
	v_and_b32_e32 v73, v74, v73
	v_add_u32_e32 v25, v25, v73
	v_lshrrev_b32_e32 v74, 6, v2
	s_nop 0
	v_mov_b32_dpp v73, v25 row_bcast:31 row_mask:0xf bank_mask:0xf
	v_cndmask_b32_e64 v73, 0, v73, s[8:9]
	v_add_u32_e32 v73, v25, v73
	v_and_b32_e32 v25, 63, v2
	v_cmp_eq_u32_e64 s[8:9], 63, v25
	s_and_saveexec_b64 s[12:13], s[8:9]
; %bb.238:
	v_lshlrev_b32_e32 v25, 2, v74
	ds_write_b32 v25, v73
; %bb.239:
	s_or_b64 exec, exec, s[12:13]
	v_cmp_gt_u32_e64 s[8:9], 16, v2
	v_lshlrev_b32_e32 v25, 2, v2
	s_waitcnt lgkmcnt(0)
	s_barrier
	s_and_saveexec_b64 s[12:13], s[8:9]
	s_cbranch_execz .LBB1874_241
; %bb.240:
	ds_read_b32 v75, v25
	s_waitcnt lgkmcnt(0)
	s_nop 0
	v_mov_b32_dpp v76, v75 row_shr:1 row_mask:0xf bank_mask:0xf
	v_cndmask_b32_e64 v76, v76, 0, vcc
	v_add_u32_e32 v75, v76, v75
	s_nop 1
	v_mov_b32_dpp v76, v75 row_shr:2 row_mask:0xf bank_mask:0xf
	v_cndmask_b32_e64 v76, 0, v76, s[0:1]
	v_add_u32_e32 v75, v75, v76
	s_nop 1
	v_mov_b32_dpp v76, v75 row_shr:4 row_mask:0xf bank_mask:0xf
	v_cndmask_b32_e64 v76, 0, v76, s[6:7]
	;; [unrolled: 4-line block ×3, first 2 shown]
	v_add_u32_e32 v75, v75, v76
	ds_write_b32 v25, v75
.LBB1874_241:
	s_or_b64 exec, exec, s[12:13]
	v_cmp_lt_u32_e32 vcc, 63, v2
	v_mov_b32_e32 v75, 0
	s_waitcnt lgkmcnt(0)
	s_barrier
	s_and_saveexec_b64 s[0:1], vcc
; %bb.242:
	v_lshl_add_u32 v74, v74, 2, -4
	ds_read_b32 v75, v74
; %bb.243:
	s_or_b64 exec, exec, s[0:1]
	v_subrev_co_u32_e32 v74, vcc, 1, v10
	v_and_b32_e32 v76, 64, v10
	v_cmp_lt_i32_e64 s[0:1], v74, v76
	s_waitcnt lgkmcnt(0)
	v_add_u32_e32 v73, v75, v73
	s_movk_i32 s4, 0x100
	v_cndmask_b32_e64 v10, v74, v10, s[0:1]
	v_lshlrev_b32_e32 v10, 2, v10
	ds_bpermute_b32 v10, v10, v73
	s_movk_i32 s0, 0xff
	s_waitcnt lgkmcnt(0)
	v_cndmask_b32_e32 v10, v10, v75, vcc
	v_cmp_ne_u32_e32 vcc, 0, v2
	s_nop 1
	v_cndmask_b32_e32 v10, 0, v10, vcc
	v_add_u32_e32 v8, v10, v8
	v_add_u32_e32 v9, v8, v9
	;; [unrolled: 1-line block ×4, first 2 shown]
	ds_write2_b32 v11, v10, v8 offset0:16 offset1:17
	ds_write2_b32 v11, v9, v0 offset0:18 offset1:19
	ds_write_b32 v11, v1 offset:80
	s_waitcnt lgkmcnt(0)
	s_barrier
	ds_read_b32 v81, v18 offset:64
	ds_read_b32 v73, v21 offset:64
	;; [unrolled: 1-line block ×16, first 2 shown]
	v_cmp_lt_u32_e32 vcc, s0, v2
	v_cmp_gt_u32_e64 s[0:1], s4, v2
                                        ; implicit-def: $vgpr18
                                        ; implicit-def: $vgpr21
	s_and_saveexec_b64 s[6:7], s[0:1]
	s_cbranch_execz .LBB1874_247
; %bb.244:
	v_mul_u32_u24_e32 v0, 0x44, v2
	ds_read_b32 v18, v0 offset:64
	v_add_u32_e32 v1, 1, v2
	v_cmp_ne_u32_e64 s[4:5], s4, v1
	v_mov_b32_e32 v0, 0x4000
	s_and_saveexec_b64 s[8:9], s[4:5]
; %bb.245:
	v_mul_u32_u24_e32 v0, 0x44, v1
	ds_read_b32 v0, v0 offset:64
; %bb.246:
	s_or_b64 exec, exec, s[8:9]
	s_waitcnt lgkmcnt(0)
	v_sub_u32_e32 v21, v0, v18
.LBB1874_247:
	s_or_b64 exec, exec, s[6:7]
	v_mov_b32_e32 v1, 0
	s_waitcnt lgkmcnt(0)
	s_barrier
	s_and_saveexec_b64 s[4:5], s[0:1]
	s_cbranch_execz .LBB1874_257
; %bb.248:
	v_lshl_add_u32 v0, s2, 8, v2
	v_lshl_add_u64 v[8:9], v[0:1], 2, s[50:51]
	v_or_b32_e32 v0, 2.0, v21
	s_mov_b64 s[6:7], 0
	s_brev_b32 s15, -4
	s_mov_b32 s16, s2
	v_mov_b32_e32 v49, 0
	global_store_dword v[8:9], v0, off sc1
                                        ; implicit-def: $sgpr0_sgpr1
	s_branch .LBB1874_251
.LBB1874_249:                           ;   in Loop: Header=BB1874_251 Depth=1
	s_or_b64 exec, exec, s[12:13]
.LBB1874_250:                           ;   in Loop: Header=BB1874_251 Depth=1
	s_or_b64 exec, exec, s[8:9]
	v_and_b32_e32 v10, 0x3fffffff, v0
	v_add_u32_e32 v49, v10, v49
	v_cmp_gt_i32_e64 s[0:1], -2.0, v0
	s_and_b64 s[8:9], exec, s[0:1]
	s_or_b64 s[6:7], s[8:9], s[6:7]
	s_andn2_b64 exec, exec, s[6:7]
	s_cbranch_execz .LBB1874_256
.LBB1874_251:                           ; =>This Loop Header: Depth=1
                                        ;     Child Loop BB1874_254 Depth 2
	s_or_b64 s[0:1], s[0:1], exec
	s_cmp_eq_u32 s16, 0
	s_cbranch_scc1 .LBB1874_255
; %bb.252:                              ;   in Loop: Header=BB1874_251 Depth=1
	s_add_i32 s16, s16, -1
	v_lshl_or_b32 v0, s16, 8, v2
	v_lshl_add_u64 v[10:11], v[0:1], 2, s[50:51]
	global_load_dword v0, v[10:11], off sc1
	s_waitcnt vmcnt(0)
	v_cmp_gt_u32_e64 s[0:1], 2.0, v0
	s_and_saveexec_b64 s[8:9], s[0:1]
	s_cbranch_execz .LBB1874_250
; %bb.253:                              ;   in Loop: Header=BB1874_251 Depth=1
	s_mov_b64 s[12:13], 0
.LBB1874_254:                           ;   Parent Loop BB1874_251 Depth=1
                                        ; =>  This Inner Loop Header: Depth=2
	global_load_dword v0, v[10:11], off sc1
	s_waitcnt vmcnt(0)
	v_cmp_lt_u32_e64 s[0:1], s15, v0
	s_or_b64 s[12:13], s[0:1], s[12:13]
	s_andn2_b64 exec, exec, s[12:13]
	s_cbranch_execnz .LBB1874_254
	s_branch .LBB1874_249
.LBB1874_255:                           ;   in Loop: Header=BB1874_251 Depth=1
                                        ; implicit-def: $sgpr16
	s_and_b64 s[8:9], exec, s[0:1]
	s_or_b64 s[6:7], s[8:9], s[6:7]
	s_andn2_b64 exec, exec, s[6:7]
	s_cbranch_execnz .LBB1874_251
.LBB1874_256:
	s_or_b64 exec, exec, s[6:7]
	v_add_u32_e32 v0, v49, v21
	v_or_b32_e32 v0, 0x80000000, v0
	global_store_dword v[8:9], v0, off sc1
	global_load_dword v0, v25, s[60:61]
	v_sub_u32_e32 v1, v49, v18
	s_waitcnt vmcnt(0)
	v_add_u32_e32 v0, v1, v0
	ds_write_b32 v25, v0
.LBB1874_257:
	s_or_b64 exec, exec, s[4:5]
	v_add_u32_e32 v8, v81, v14
	v_add3_u32 v0, v16, v13, v73
	v_add3_u32 v1, v20, v17, v74
	;; [unrolled: 1-line block ×15, first 2 shown]
	v_mov_b32_e32 v85, 0x400
	s_mov_b32 s6, s64
	s_mov_b32 s7, s14
	s_movk_i32 s8, 0x400
	v_lshl_add_u32 v9, v9, 2, v85
	v_add3_u32 v10, v71, v41, v28
	v_lshl_add_u32 v11, v11, 2, v85
	v_add3_u32 v14, v69, v26, v67
	v_lshl_add_u32 v26, v84, 2, v85
	v_add3_u32 v28, v66, v32, v64
	v_lshl_add_u32 v32, v83, 2, v85
	v_add3_u32 v37, v63, v37, v60
	v_lshl_add_u32 v41, v82, 2, v85
	v_add3_u32 v46, v59, v46, v57
	v_lshl_add_u32 v49, v49, 2, v85
	v_add3_u32 v52, v56, v52, v54
	v_lshl_add_u32 v54, v81, 2, v85
	v_add3_u32 v51, v53, v55, v51
	v_lshl_add_u32 v53, v72, 2, v85
	v_add3_u32 v48, v50, v80, v48
	v_lshl_add_u32 v50, v70, 2, v85
	v_add3_u32 v43, v47, v79, v43
	v_lshl_add_u32 v47, v68, 2, v85
	v_add3_u32 v38, v42, v78, v38
	v_lshl_add_u32 v42, v65, 2, v85
	v_add3_u32 v33, v35, v77, v33
	v_lshl_add_u32 v35, v62, 2, v85
	v_add3_u32 v27, v30, v76, v27
	v_lshl_add_u32 v30, v58, 2, v85
	v_add3_u32 v22, v24, v75, v22
	v_lshl_add_u32 v24, v1, 2, v85
	v_add3_u32 v17, v20, v74, v17
	v_lshl_add_u32 v20, v0, 2, v85
	v_add3_u32 v13, v16, v73, v13
	v_lshl_add_u32 v16, v8, 2, v85
	s_mov_b32 s9, 0
	s_mov_b32 s12, 0
	s_movk_i32 s13, 0x1000
	v_mov_b32_e32 v1, 0
	s_movk_i32 s15, 0x800
	s_movk_i32 s16, 0xc00
	v_mov_b32_e32 v55, v2
	s_mov_b32 s17, 0
	s_branch .LBB1874_259
.LBB1874_258:                           ;   in Loop: Header=BB1874_259 Depth=1
	s_or_b64 exec, exec, s[4:5]
	s_waitcnt lgkmcnt(0)
	s_barrier
	ds_read2st64_b32 v[56:57], v25 offset0:4 offset1:20
	ds_read2st64_b32 v[62:63], v25 offset0:36 offset1:52
	s_addk_i32 s17, 0xc000
	s_addk_i32 s12, 0xf000
	s_waitcnt lgkmcnt(1)
	v_xor_b32_e32 v60, 0x7fffffff, v56
	v_lshrrev_b32_e32 v56, s64, v56
	v_lshrrev_b32_e32 v0, s6, v57
	v_and_b32_e32 v56, s14, v56
	v_xor_b32_e32 v66, 0x7fffffff, v57
	v_and_b32_e32 v57, s7, v0
	v_lshlrev_b32_e32 v0, 2, v56
	ds_read_b32 v0, v0
	s_waitcnt lgkmcnt(1)
	v_lshrrev_b32_e32 v58, s6, v63
	v_lshrrev_b32_e32 v65, s64, v62
	v_and_b32_e32 v59, s7, v58
	v_lshlrev_b32_e32 v64, 2, v57
	v_and_b32_e32 v58, s14, v65
	v_lshlrev_b32_e32 v67, 2, v59
	v_lshlrev_b32_e32 v65, 2, v58
	ds_read_b32 v68, v64
	ds_read_b32 v69, v65
	;; [unrolled: 1-line block ×3, first 2 shown]
	s_waitcnt lgkmcnt(3)
	v_add_u32_e32 v0, v55, v0
	v_lshl_add_u64 v[64:65], v[0:1], 2, s[54:55]
	s_waitcnt lgkmcnt(2)
	v_add3_u32 v0, v55, v68, s8
	global_store_dword v[64:65], v60, off
	v_lshl_add_u64 v[64:65], v[0:1], 2, s[54:55]
	s_waitcnt lgkmcnt(1)
	v_add3_u32 v0, v55, v69, s15
	global_store_dword v[64:65], v66, off
	v_xor_b32_e32 v60, 0x7fffffff, v62
	v_xor_b32_e32 v64, 0x7fffffff, v63
	v_lshl_add_u64 v[62:63], v[0:1], 2, s[54:55]
	s_waitcnt lgkmcnt(0)
	v_add3_u32 v0, v55, v67, s16
	global_store_dword v[62:63], v60, off
	v_lshl_add_u64 v[62:63], v[0:1], 2, s[54:55]
	global_store_dword v[62:63], v64, off
	scratch_store_dwordx4 off, v[56:59], s9
	s_add_i32 s9, s9, 16
	s_cmp_eq_u32 s17, 0xffff0000
	v_add_u32_e32 v55, 0x1000, v55
	s_barrier
	s_cbranch_scc1 .LBB1874_291
.LBB1874_259:                           ; =>This Inner Loop Header: Depth=1
	v_add_u32_e32 v0, s12, v8
	v_cmp_gt_u32_e64 s[0:1], s13, v0
	s_and_saveexec_b64 s[4:5], s[0:1]
; %bb.260:                              ;   in Loop: Header=BB1874_259 Depth=1
	v_add_u32_e32 v0, s17, v16
	ds_write_b32 v0, v3
; %bb.261:                              ;   in Loop: Header=BB1874_259 Depth=1
	s_or_b64 exec, exec, s[4:5]
	v_add_u32_e32 v0, s12, v13
	v_cmp_gt_u32_e64 s[0:1], s13, v0
	s_and_saveexec_b64 s[4:5], s[0:1]
; %bb.262:                              ;   in Loop: Header=BB1874_259 Depth=1
	v_add_u32_e32 v0, s17, v20
	ds_write_b32 v0, v5
; %bb.263:                              ;   in Loop: Header=BB1874_259 Depth=1
	s_or_b64 exec, exec, s[4:5]
	;; [unrolled: 8-line block ×15, first 2 shown]
	v_add_u32_e32 v0, s12, v10
	v_cmp_gt_u32_e64 s[0:1], s13, v0
	s_and_saveexec_b64 s[4:5], s[0:1]
	s_cbranch_execz .LBB1874_258
; %bb.290:                              ;   in Loop: Header=BB1874_259 Depth=1
	v_add_u32_e32 v0, s17, v9
	ds_write_b32 v0, v61
	s_branch .LBB1874_258
.LBB1874_291:
	s_add_u32 s0, s56, s10
	s_addc_u32 s1, s57, s11
	v_mov_b32_e32 v5, 0
	v_lshl_add_u64 v[0:1], s[0:1], 0, v[4:5]
	v_mov_b32_e32 v7, v5
	v_lshl_add_u64 v[44:45], v[0:1], 0, v[6:7]
	global_load_dword v0, v[44:45], off
	global_load_dword v1, v[44:45], off offset:256
	global_load_dword v3, v[44:45], off offset:512
	;; [unrolled: 1-line block ×14, first 2 shown]
	s_nop 0
	global_load_dword v44, v[44:45], off offset:3840
	s_mov_b32 s6, 0
	s_mov_b32 s7, 0
	s_movk_i32 s8, 0x1000
	s_movk_i32 s9, 0x400
	;; [unrolled: 1-line block ×4, first 2 shown]
	s_mov_b32 s12, 0
	s_branch .LBB1874_293
.LBB1874_292:                           ;   in Loop: Header=BB1874_293 Depth=1
	s_or_b64 exec, exec, s[4:5]
	s_waitcnt lgkmcnt(0)
	s_barrier
	scratch_load_dwordx4 v[56:59], off, s6
	ds_read2st64_b32 v[60:61], v25 offset0:4 offset1:20
	ds_read2st64_b32 v[62:63], v25 offset0:36 offset1:52
	s_addk_i32 s12, 0xc000
	s_addk_i32 s7, 0xf000
	s_add_i32 s6, s6, 16
	s_cmp_eq_u32 s12, 0xffff0000
	s_waitcnt vmcnt(0)
	v_lshlrev_b32_e32 v4, 2, v56
	ds_read_b32 v4, v4
	v_lshlrev_b32_e32 v45, 2, v57
	v_lshlrev_b32_e32 v55, 2, v58
	;; [unrolled: 1-line block ×3, first 2 shown]
	ds_read_b32 v45, v45
	ds_read_b32 v55, v55
	;; [unrolled: 1-line block ×3, first 2 shown]
	s_waitcnt lgkmcnt(3)
	v_add_u32_e32 v4, v2, v4
	v_lshl_add_u64 v[56:57], v[4:5], 2, s[58:59]
	s_waitcnt lgkmcnt(2)
	v_add3_u32 v4, v2, v45, s9
	global_store_dword v[56:57], v60, off
	v_lshl_add_u64 v[56:57], v[4:5], 2, s[58:59]
	s_waitcnt lgkmcnt(1)
	v_add3_u32 v4, v2, v55, s10
	global_store_dword v[56:57], v61, off
	v_lshl_add_u64 v[56:57], v[4:5], 2, s[58:59]
	s_waitcnt lgkmcnt(0)
	v_add3_u32 v4, v2, v58, s11
	global_store_dword v[56:57], v62, off
	v_lshl_add_u64 v[56:57], v[4:5], 2, s[58:59]
	v_add_u32_e32 v2, 0x1000, v2
	global_store_dword v[56:57], v63, off
	s_barrier
	s_cbranch_scc1 .LBB1874_325
.LBB1874_293:                           ; =>This Inner Loop Header: Depth=1
	v_add_u32_e32 v4, s7, v8
	v_cmp_gt_u32_e64 s[0:1], s8, v4
	s_and_saveexec_b64 s[4:5], s[0:1]
	s_cbranch_execz .LBB1874_295
; %bb.294:                              ;   in Loop: Header=BB1874_293 Depth=1
	v_add_u32_e32 v4, s12, v16
	s_waitcnt vmcnt(15)
	ds_write_b32 v4, v0
.LBB1874_295:                           ;   in Loop: Header=BB1874_293 Depth=1
	s_or_b64 exec, exec, s[4:5]
	v_add_u32_e32 v4, s7, v13
	v_cmp_gt_u32_e64 s[0:1], s8, v4
	s_and_saveexec_b64 s[4:5], s[0:1]
	s_cbranch_execz .LBB1874_297
; %bb.296:                              ;   in Loop: Header=BB1874_293 Depth=1
	v_add_u32_e32 v4, s12, v20
	s_waitcnt vmcnt(14)
	ds_write_b32 v4, v1
.LBB1874_297:                           ;   in Loop: Header=BB1874_293 Depth=1
	s_or_b64 exec, exec, s[4:5]
	;; [unrolled: 10-line block ×15, first 2 shown]
	v_add_u32_e32 v4, s7, v10
	v_cmp_gt_u32_e64 s[0:1], s8, v4
	s_and_saveexec_b64 s[4:5], s[0:1]
	s_cbranch_execz .LBB1874_292
; %bb.324:                              ;   in Loop: Header=BB1874_293 Depth=1
	v_add_u32_e32 v4, s12, v9
	s_waitcnt vmcnt(0)
	ds_write_b32 v4, v44
	s_branch .LBB1874_292
.LBB1874_325:
	s_add_i32 s3, s3, -1
	s_cmp_eq_u32 s2, s3
	s_cselect_b64 s[0:1], -1, 0
	s_xor_b64 s[2:3], vcc, -1
	s_and_b64 s[0:1], s[2:3], s[0:1]
	s_and_saveexec_b64 s[2:3], s[0:1]
	s_cbranch_execz .LBB1874_327
; %bb.326:
	ds_read_b32 v0, v25
	s_waitcnt lgkmcnt(0)
	v_add3_u32 v0, v18, v21, v0
	global_store_dword v25, v0, s[62:63]
.LBB1874_327:
	s_endpgm
	.section	.rodata,"a",@progbits
	.p2align	6, 0x0
	.amdhsa_kernel _ZN7rocprim17ROCPRIM_400000_NS6detail17trampoline_kernelINS0_14default_configENS1_35radix_sort_onesweep_config_selectorIiiEEZZNS1_29radix_sort_onesweep_iterationIS3_Lb1EN6thrust23THRUST_200600_302600_NS6detail15normal_iteratorINS8_10device_ptrIiEEEESD_SD_SD_jNS0_19identity_decomposerENS1_16block_id_wrapperIjLb0EEEEE10hipError_tT1_PNSt15iterator_traitsISI_E10value_typeET2_T3_PNSJ_ISO_E10value_typeET4_T5_PST_SU_PNS1_23onesweep_lookback_stateEbbT6_jjT7_P12ihipStream_tbENKUlT_T0_SI_SN_E_clISD_PiSD_S15_EEDaS11_S12_SI_SN_EUlS11_E_NS1_11comp_targetILNS1_3genE6ELNS1_11target_archE950ELNS1_3gpuE13ELNS1_3repE0EEENS1_47radix_sort_onesweep_sort_config_static_selectorELNS0_4arch9wavefront6targetE1EEEvSI_
		.amdhsa_group_segment_fixed_size 20552
		.amdhsa_private_segment_fixed_size 80
		.amdhsa_kernarg_size 344
		.amdhsa_user_sgpr_count 2
		.amdhsa_user_sgpr_dispatch_ptr 0
		.amdhsa_user_sgpr_queue_ptr 0
		.amdhsa_user_sgpr_kernarg_segment_ptr 1
		.amdhsa_user_sgpr_dispatch_id 0
		.amdhsa_user_sgpr_kernarg_preload_length 0
		.amdhsa_user_sgpr_kernarg_preload_offset 0
		.amdhsa_user_sgpr_private_segment_size 0
		.amdhsa_uses_dynamic_stack 0
		.amdhsa_enable_private_segment 1
		.amdhsa_system_sgpr_workgroup_id_x 1
		.amdhsa_system_sgpr_workgroup_id_y 0
		.amdhsa_system_sgpr_workgroup_id_z 0
		.amdhsa_system_sgpr_workgroup_info 0
		.amdhsa_system_vgpr_workitem_id 2
		.amdhsa_next_free_vgpr 88
		.amdhsa_next_free_sgpr 70
		.amdhsa_accum_offset 88
		.amdhsa_reserve_vcc 1
		.amdhsa_float_round_mode_32 0
		.amdhsa_float_round_mode_16_64 0
		.amdhsa_float_denorm_mode_32 3
		.amdhsa_float_denorm_mode_16_64 3
		.amdhsa_dx10_clamp 1
		.amdhsa_ieee_mode 1
		.amdhsa_fp16_overflow 0
		.amdhsa_tg_split 0
		.amdhsa_exception_fp_ieee_invalid_op 0
		.amdhsa_exception_fp_denorm_src 0
		.amdhsa_exception_fp_ieee_div_zero 0
		.amdhsa_exception_fp_ieee_overflow 0
		.amdhsa_exception_fp_ieee_underflow 0
		.amdhsa_exception_fp_ieee_inexact 0
		.amdhsa_exception_int_div_zero 0
	.end_amdhsa_kernel
	.section	.text._ZN7rocprim17ROCPRIM_400000_NS6detail17trampoline_kernelINS0_14default_configENS1_35radix_sort_onesweep_config_selectorIiiEEZZNS1_29radix_sort_onesweep_iterationIS3_Lb1EN6thrust23THRUST_200600_302600_NS6detail15normal_iteratorINS8_10device_ptrIiEEEESD_SD_SD_jNS0_19identity_decomposerENS1_16block_id_wrapperIjLb0EEEEE10hipError_tT1_PNSt15iterator_traitsISI_E10value_typeET2_T3_PNSJ_ISO_E10value_typeET4_T5_PST_SU_PNS1_23onesweep_lookback_stateEbbT6_jjT7_P12ihipStream_tbENKUlT_T0_SI_SN_E_clISD_PiSD_S15_EEDaS11_S12_SI_SN_EUlS11_E_NS1_11comp_targetILNS1_3genE6ELNS1_11target_archE950ELNS1_3gpuE13ELNS1_3repE0EEENS1_47radix_sort_onesweep_sort_config_static_selectorELNS0_4arch9wavefront6targetE1EEEvSI_,"axG",@progbits,_ZN7rocprim17ROCPRIM_400000_NS6detail17trampoline_kernelINS0_14default_configENS1_35radix_sort_onesweep_config_selectorIiiEEZZNS1_29radix_sort_onesweep_iterationIS3_Lb1EN6thrust23THRUST_200600_302600_NS6detail15normal_iteratorINS8_10device_ptrIiEEEESD_SD_SD_jNS0_19identity_decomposerENS1_16block_id_wrapperIjLb0EEEEE10hipError_tT1_PNSt15iterator_traitsISI_E10value_typeET2_T3_PNSJ_ISO_E10value_typeET4_T5_PST_SU_PNS1_23onesweep_lookback_stateEbbT6_jjT7_P12ihipStream_tbENKUlT_T0_SI_SN_E_clISD_PiSD_S15_EEDaS11_S12_SI_SN_EUlS11_E_NS1_11comp_targetILNS1_3genE6ELNS1_11target_archE950ELNS1_3gpuE13ELNS1_3repE0EEENS1_47radix_sort_onesweep_sort_config_static_selectorELNS0_4arch9wavefront6targetE1EEEvSI_,comdat
.Lfunc_end1874:
	.size	_ZN7rocprim17ROCPRIM_400000_NS6detail17trampoline_kernelINS0_14default_configENS1_35radix_sort_onesweep_config_selectorIiiEEZZNS1_29radix_sort_onesweep_iterationIS3_Lb1EN6thrust23THRUST_200600_302600_NS6detail15normal_iteratorINS8_10device_ptrIiEEEESD_SD_SD_jNS0_19identity_decomposerENS1_16block_id_wrapperIjLb0EEEEE10hipError_tT1_PNSt15iterator_traitsISI_E10value_typeET2_T3_PNSJ_ISO_E10value_typeET4_T5_PST_SU_PNS1_23onesweep_lookback_stateEbbT6_jjT7_P12ihipStream_tbENKUlT_T0_SI_SN_E_clISD_PiSD_S15_EEDaS11_S12_SI_SN_EUlS11_E_NS1_11comp_targetILNS1_3genE6ELNS1_11target_archE950ELNS1_3gpuE13ELNS1_3repE0EEENS1_47radix_sort_onesweep_sort_config_static_selectorELNS0_4arch9wavefront6targetE1EEEvSI_, .Lfunc_end1874-_ZN7rocprim17ROCPRIM_400000_NS6detail17trampoline_kernelINS0_14default_configENS1_35radix_sort_onesweep_config_selectorIiiEEZZNS1_29radix_sort_onesweep_iterationIS3_Lb1EN6thrust23THRUST_200600_302600_NS6detail15normal_iteratorINS8_10device_ptrIiEEEESD_SD_SD_jNS0_19identity_decomposerENS1_16block_id_wrapperIjLb0EEEEE10hipError_tT1_PNSt15iterator_traitsISI_E10value_typeET2_T3_PNSJ_ISO_E10value_typeET4_T5_PST_SU_PNS1_23onesweep_lookback_stateEbbT6_jjT7_P12ihipStream_tbENKUlT_T0_SI_SN_E_clISD_PiSD_S15_EEDaS11_S12_SI_SN_EUlS11_E_NS1_11comp_targetILNS1_3genE6ELNS1_11target_archE950ELNS1_3gpuE13ELNS1_3repE0EEENS1_47radix_sort_onesweep_sort_config_static_selectorELNS0_4arch9wavefront6targetE1EEEvSI_
                                        ; -- End function
	.set _ZN7rocprim17ROCPRIM_400000_NS6detail17trampoline_kernelINS0_14default_configENS1_35radix_sort_onesweep_config_selectorIiiEEZZNS1_29radix_sort_onesweep_iterationIS3_Lb1EN6thrust23THRUST_200600_302600_NS6detail15normal_iteratorINS8_10device_ptrIiEEEESD_SD_SD_jNS0_19identity_decomposerENS1_16block_id_wrapperIjLb0EEEEE10hipError_tT1_PNSt15iterator_traitsISI_E10value_typeET2_T3_PNSJ_ISO_E10value_typeET4_T5_PST_SU_PNS1_23onesweep_lookback_stateEbbT6_jjT7_P12ihipStream_tbENKUlT_T0_SI_SN_E_clISD_PiSD_S15_EEDaS11_S12_SI_SN_EUlS11_E_NS1_11comp_targetILNS1_3genE6ELNS1_11target_archE950ELNS1_3gpuE13ELNS1_3repE0EEENS1_47radix_sort_onesweep_sort_config_static_selectorELNS0_4arch9wavefront6targetE1EEEvSI_.num_vgpr, 88
	.set _ZN7rocprim17ROCPRIM_400000_NS6detail17trampoline_kernelINS0_14default_configENS1_35radix_sort_onesweep_config_selectorIiiEEZZNS1_29radix_sort_onesweep_iterationIS3_Lb1EN6thrust23THRUST_200600_302600_NS6detail15normal_iteratorINS8_10device_ptrIiEEEESD_SD_SD_jNS0_19identity_decomposerENS1_16block_id_wrapperIjLb0EEEEE10hipError_tT1_PNSt15iterator_traitsISI_E10value_typeET2_T3_PNSJ_ISO_E10value_typeET4_T5_PST_SU_PNS1_23onesweep_lookback_stateEbbT6_jjT7_P12ihipStream_tbENKUlT_T0_SI_SN_E_clISD_PiSD_S15_EEDaS11_S12_SI_SN_EUlS11_E_NS1_11comp_targetILNS1_3genE6ELNS1_11target_archE950ELNS1_3gpuE13ELNS1_3repE0EEENS1_47radix_sort_onesweep_sort_config_static_selectorELNS0_4arch9wavefront6targetE1EEEvSI_.num_agpr, 0
	.set _ZN7rocprim17ROCPRIM_400000_NS6detail17trampoline_kernelINS0_14default_configENS1_35radix_sort_onesweep_config_selectorIiiEEZZNS1_29radix_sort_onesweep_iterationIS3_Lb1EN6thrust23THRUST_200600_302600_NS6detail15normal_iteratorINS8_10device_ptrIiEEEESD_SD_SD_jNS0_19identity_decomposerENS1_16block_id_wrapperIjLb0EEEEE10hipError_tT1_PNSt15iterator_traitsISI_E10value_typeET2_T3_PNSJ_ISO_E10value_typeET4_T5_PST_SU_PNS1_23onesweep_lookback_stateEbbT6_jjT7_P12ihipStream_tbENKUlT_T0_SI_SN_E_clISD_PiSD_S15_EEDaS11_S12_SI_SN_EUlS11_E_NS1_11comp_targetILNS1_3genE6ELNS1_11target_archE950ELNS1_3gpuE13ELNS1_3repE0EEENS1_47radix_sort_onesweep_sort_config_static_selectorELNS0_4arch9wavefront6targetE1EEEvSI_.numbered_sgpr, 70
	.set _ZN7rocprim17ROCPRIM_400000_NS6detail17trampoline_kernelINS0_14default_configENS1_35radix_sort_onesweep_config_selectorIiiEEZZNS1_29radix_sort_onesweep_iterationIS3_Lb1EN6thrust23THRUST_200600_302600_NS6detail15normal_iteratorINS8_10device_ptrIiEEEESD_SD_SD_jNS0_19identity_decomposerENS1_16block_id_wrapperIjLb0EEEEE10hipError_tT1_PNSt15iterator_traitsISI_E10value_typeET2_T3_PNSJ_ISO_E10value_typeET4_T5_PST_SU_PNS1_23onesweep_lookback_stateEbbT6_jjT7_P12ihipStream_tbENKUlT_T0_SI_SN_E_clISD_PiSD_S15_EEDaS11_S12_SI_SN_EUlS11_E_NS1_11comp_targetILNS1_3genE6ELNS1_11target_archE950ELNS1_3gpuE13ELNS1_3repE0EEENS1_47radix_sort_onesweep_sort_config_static_selectorELNS0_4arch9wavefront6targetE1EEEvSI_.num_named_barrier, 0
	.set _ZN7rocprim17ROCPRIM_400000_NS6detail17trampoline_kernelINS0_14default_configENS1_35radix_sort_onesweep_config_selectorIiiEEZZNS1_29radix_sort_onesweep_iterationIS3_Lb1EN6thrust23THRUST_200600_302600_NS6detail15normal_iteratorINS8_10device_ptrIiEEEESD_SD_SD_jNS0_19identity_decomposerENS1_16block_id_wrapperIjLb0EEEEE10hipError_tT1_PNSt15iterator_traitsISI_E10value_typeET2_T3_PNSJ_ISO_E10value_typeET4_T5_PST_SU_PNS1_23onesweep_lookback_stateEbbT6_jjT7_P12ihipStream_tbENKUlT_T0_SI_SN_E_clISD_PiSD_S15_EEDaS11_S12_SI_SN_EUlS11_E_NS1_11comp_targetILNS1_3genE6ELNS1_11target_archE950ELNS1_3gpuE13ELNS1_3repE0EEENS1_47radix_sort_onesweep_sort_config_static_selectorELNS0_4arch9wavefront6targetE1EEEvSI_.private_seg_size, 80
	.set _ZN7rocprim17ROCPRIM_400000_NS6detail17trampoline_kernelINS0_14default_configENS1_35radix_sort_onesweep_config_selectorIiiEEZZNS1_29radix_sort_onesweep_iterationIS3_Lb1EN6thrust23THRUST_200600_302600_NS6detail15normal_iteratorINS8_10device_ptrIiEEEESD_SD_SD_jNS0_19identity_decomposerENS1_16block_id_wrapperIjLb0EEEEE10hipError_tT1_PNSt15iterator_traitsISI_E10value_typeET2_T3_PNSJ_ISO_E10value_typeET4_T5_PST_SU_PNS1_23onesweep_lookback_stateEbbT6_jjT7_P12ihipStream_tbENKUlT_T0_SI_SN_E_clISD_PiSD_S15_EEDaS11_S12_SI_SN_EUlS11_E_NS1_11comp_targetILNS1_3genE6ELNS1_11target_archE950ELNS1_3gpuE13ELNS1_3repE0EEENS1_47radix_sort_onesweep_sort_config_static_selectorELNS0_4arch9wavefront6targetE1EEEvSI_.uses_vcc, 1
	.set _ZN7rocprim17ROCPRIM_400000_NS6detail17trampoline_kernelINS0_14default_configENS1_35radix_sort_onesweep_config_selectorIiiEEZZNS1_29radix_sort_onesweep_iterationIS3_Lb1EN6thrust23THRUST_200600_302600_NS6detail15normal_iteratorINS8_10device_ptrIiEEEESD_SD_SD_jNS0_19identity_decomposerENS1_16block_id_wrapperIjLb0EEEEE10hipError_tT1_PNSt15iterator_traitsISI_E10value_typeET2_T3_PNSJ_ISO_E10value_typeET4_T5_PST_SU_PNS1_23onesweep_lookback_stateEbbT6_jjT7_P12ihipStream_tbENKUlT_T0_SI_SN_E_clISD_PiSD_S15_EEDaS11_S12_SI_SN_EUlS11_E_NS1_11comp_targetILNS1_3genE6ELNS1_11target_archE950ELNS1_3gpuE13ELNS1_3repE0EEENS1_47radix_sort_onesweep_sort_config_static_selectorELNS0_4arch9wavefront6targetE1EEEvSI_.uses_flat_scratch, 0
	.set _ZN7rocprim17ROCPRIM_400000_NS6detail17trampoline_kernelINS0_14default_configENS1_35radix_sort_onesweep_config_selectorIiiEEZZNS1_29radix_sort_onesweep_iterationIS3_Lb1EN6thrust23THRUST_200600_302600_NS6detail15normal_iteratorINS8_10device_ptrIiEEEESD_SD_SD_jNS0_19identity_decomposerENS1_16block_id_wrapperIjLb0EEEEE10hipError_tT1_PNSt15iterator_traitsISI_E10value_typeET2_T3_PNSJ_ISO_E10value_typeET4_T5_PST_SU_PNS1_23onesweep_lookback_stateEbbT6_jjT7_P12ihipStream_tbENKUlT_T0_SI_SN_E_clISD_PiSD_S15_EEDaS11_S12_SI_SN_EUlS11_E_NS1_11comp_targetILNS1_3genE6ELNS1_11target_archE950ELNS1_3gpuE13ELNS1_3repE0EEENS1_47radix_sort_onesweep_sort_config_static_selectorELNS0_4arch9wavefront6targetE1EEEvSI_.has_dyn_sized_stack, 0
	.set _ZN7rocprim17ROCPRIM_400000_NS6detail17trampoline_kernelINS0_14default_configENS1_35radix_sort_onesweep_config_selectorIiiEEZZNS1_29radix_sort_onesweep_iterationIS3_Lb1EN6thrust23THRUST_200600_302600_NS6detail15normal_iteratorINS8_10device_ptrIiEEEESD_SD_SD_jNS0_19identity_decomposerENS1_16block_id_wrapperIjLb0EEEEE10hipError_tT1_PNSt15iterator_traitsISI_E10value_typeET2_T3_PNSJ_ISO_E10value_typeET4_T5_PST_SU_PNS1_23onesweep_lookback_stateEbbT6_jjT7_P12ihipStream_tbENKUlT_T0_SI_SN_E_clISD_PiSD_S15_EEDaS11_S12_SI_SN_EUlS11_E_NS1_11comp_targetILNS1_3genE6ELNS1_11target_archE950ELNS1_3gpuE13ELNS1_3repE0EEENS1_47radix_sort_onesweep_sort_config_static_selectorELNS0_4arch9wavefront6targetE1EEEvSI_.has_recursion, 0
	.set _ZN7rocprim17ROCPRIM_400000_NS6detail17trampoline_kernelINS0_14default_configENS1_35radix_sort_onesweep_config_selectorIiiEEZZNS1_29radix_sort_onesweep_iterationIS3_Lb1EN6thrust23THRUST_200600_302600_NS6detail15normal_iteratorINS8_10device_ptrIiEEEESD_SD_SD_jNS0_19identity_decomposerENS1_16block_id_wrapperIjLb0EEEEE10hipError_tT1_PNSt15iterator_traitsISI_E10value_typeET2_T3_PNSJ_ISO_E10value_typeET4_T5_PST_SU_PNS1_23onesweep_lookback_stateEbbT6_jjT7_P12ihipStream_tbENKUlT_T0_SI_SN_E_clISD_PiSD_S15_EEDaS11_S12_SI_SN_EUlS11_E_NS1_11comp_targetILNS1_3genE6ELNS1_11target_archE950ELNS1_3gpuE13ELNS1_3repE0EEENS1_47radix_sort_onesweep_sort_config_static_selectorELNS0_4arch9wavefront6targetE1EEEvSI_.has_indirect_call, 0
	.section	.AMDGPU.csdata,"",@progbits
; Kernel info:
; codeLenInByte = 22584
; TotalNumSgprs: 76
; NumVgprs: 88
; NumAgprs: 0
; TotalNumVgprs: 88
; ScratchSize: 80
; MemoryBound: 0
; FloatMode: 240
; IeeeMode: 1
; LDSByteSize: 20552 bytes/workgroup (compile time only)
; SGPRBlocks: 9
; VGPRBlocks: 10
; NumSGPRsForWavesPerEU: 76
; NumVGPRsForWavesPerEU: 88
; AccumOffset: 88
; Occupancy: 5
; WaveLimiterHint : 1
; COMPUTE_PGM_RSRC2:SCRATCH_EN: 1
; COMPUTE_PGM_RSRC2:USER_SGPR: 2
; COMPUTE_PGM_RSRC2:TRAP_HANDLER: 0
; COMPUTE_PGM_RSRC2:TGID_X_EN: 1
; COMPUTE_PGM_RSRC2:TGID_Y_EN: 0
; COMPUTE_PGM_RSRC2:TGID_Z_EN: 0
; COMPUTE_PGM_RSRC2:TIDIG_COMP_CNT: 2
; COMPUTE_PGM_RSRC3_GFX90A:ACCUM_OFFSET: 21
; COMPUTE_PGM_RSRC3_GFX90A:TG_SPLIT: 0
	.section	.text._ZN7rocprim17ROCPRIM_400000_NS6detail17trampoline_kernelINS0_14default_configENS1_35radix_sort_onesweep_config_selectorIiiEEZZNS1_29radix_sort_onesweep_iterationIS3_Lb1EN6thrust23THRUST_200600_302600_NS6detail15normal_iteratorINS8_10device_ptrIiEEEESD_SD_SD_jNS0_19identity_decomposerENS1_16block_id_wrapperIjLb0EEEEE10hipError_tT1_PNSt15iterator_traitsISI_E10value_typeET2_T3_PNSJ_ISO_E10value_typeET4_T5_PST_SU_PNS1_23onesweep_lookback_stateEbbT6_jjT7_P12ihipStream_tbENKUlT_T0_SI_SN_E_clISD_PiSD_S15_EEDaS11_S12_SI_SN_EUlS11_E_NS1_11comp_targetILNS1_3genE5ELNS1_11target_archE942ELNS1_3gpuE9ELNS1_3repE0EEENS1_47radix_sort_onesweep_sort_config_static_selectorELNS0_4arch9wavefront6targetE1EEEvSI_,"axG",@progbits,_ZN7rocprim17ROCPRIM_400000_NS6detail17trampoline_kernelINS0_14default_configENS1_35radix_sort_onesweep_config_selectorIiiEEZZNS1_29radix_sort_onesweep_iterationIS3_Lb1EN6thrust23THRUST_200600_302600_NS6detail15normal_iteratorINS8_10device_ptrIiEEEESD_SD_SD_jNS0_19identity_decomposerENS1_16block_id_wrapperIjLb0EEEEE10hipError_tT1_PNSt15iterator_traitsISI_E10value_typeET2_T3_PNSJ_ISO_E10value_typeET4_T5_PST_SU_PNS1_23onesweep_lookback_stateEbbT6_jjT7_P12ihipStream_tbENKUlT_T0_SI_SN_E_clISD_PiSD_S15_EEDaS11_S12_SI_SN_EUlS11_E_NS1_11comp_targetILNS1_3genE5ELNS1_11target_archE942ELNS1_3gpuE9ELNS1_3repE0EEENS1_47radix_sort_onesweep_sort_config_static_selectorELNS0_4arch9wavefront6targetE1EEEvSI_,comdat
	.protected	_ZN7rocprim17ROCPRIM_400000_NS6detail17trampoline_kernelINS0_14default_configENS1_35radix_sort_onesweep_config_selectorIiiEEZZNS1_29radix_sort_onesweep_iterationIS3_Lb1EN6thrust23THRUST_200600_302600_NS6detail15normal_iteratorINS8_10device_ptrIiEEEESD_SD_SD_jNS0_19identity_decomposerENS1_16block_id_wrapperIjLb0EEEEE10hipError_tT1_PNSt15iterator_traitsISI_E10value_typeET2_T3_PNSJ_ISO_E10value_typeET4_T5_PST_SU_PNS1_23onesweep_lookback_stateEbbT6_jjT7_P12ihipStream_tbENKUlT_T0_SI_SN_E_clISD_PiSD_S15_EEDaS11_S12_SI_SN_EUlS11_E_NS1_11comp_targetILNS1_3genE5ELNS1_11target_archE942ELNS1_3gpuE9ELNS1_3repE0EEENS1_47radix_sort_onesweep_sort_config_static_selectorELNS0_4arch9wavefront6targetE1EEEvSI_ ; -- Begin function _ZN7rocprim17ROCPRIM_400000_NS6detail17trampoline_kernelINS0_14default_configENS1_35radix_sort_onesweep_config_selectorIiiEEZZNS1_29radix_sort_onesweep_iterationIS3_Lb1EN6thrust23THRUST_200600_302600_NS6detail15normal_iteratorINS8_10device_ptrIiEEEESD_SD_SD_jNS0_19identity_decomposerENS1_16block_id_wrapperIjLb0EEEEE10hipError_tT1_PNSt15iterator_traitsISI_E10value_typeET2_T3_PNSJ_ISO_E10value_typeET4_T5_PST_SU_PNS1_23onesweep_lookback_stateEbbT6_jjT7_P12ihipStream_tbENKUlT_T0_SI_SN_E_clISD_PiSD_S15_EEDaS11_S12_SI_SN_EUlS11_E_NS1_11comp_targetILNS1_3genE5ELNS1_11target_archE942ELNS1_3gpuE9ELNS1_3repE0EEENS1_47radix_sort_onesweep_sort_config_static_selectorELNS0_4arch9wavefront6targetE1EEEvSI_
	.globl	_ZN7rocprim17ROCPRIM_400000_NS6detail17trampoline_kernelINS0_14default_configENS1_35radix_sort_onesweep_config_selectorIiiEEZZNS1_29radix_sort_onesweep_iterationIS3_Lb1EN6thrust23THRUST_200600_302600_NS6detail15normal_iteratorINS8_10device_ptrIiEEEESD_SD_SD_jNS0_19identity_decomposerENS1_16block_id_wrapperIjLb0EEEEE10hipError_tT1_PNSt15iterator_traitsISI_E10value_typeET2_T3_PNSJ_ISO_E10value_typeET4_T5_PST_SU_PNS1_23onesweep_lookback_stateEbbT6_jjT7_P12ihipStream_tbENKUlT_T0_SI_SN_E_clISD_PiSD_S15_EEDaS11_S12_SI_SN_EUlS11_E_NS1_11comp_targetILNS1_3genE5ELNS1_11target_archE942ELNS1_3gpuE9ELNS1_3repE0EEENS1_47radix_sort_onesweep_sort_config_static_selectorELNS0_4arch9wavefront6targetE1EEEvSI_
	.p2align	8
	.type	_ZN7rocprim17ROCPRIM_400000_NS6detail17trampoline_kernelINS0_14default_configENS1_35radix_sort_onesweep_config_selectorIiiEEZZNS1_29radix_sort_onesweep_iterationIS3_Lb1EN6thrust23THRUST_200600_302600_NS6detail15normal_iteratorINS8_10device_ptrIiEEEESD_SD_SD_jNS0_19identity_decomposerENS1_16block_id_wrapperIjLb0EEEEE10hipError_tT1_PNSt15iterator_traitsISI_E10value_typeET2_T3_PNSJ_ISO_E10value_typeET4_T5_PST_SU_PNS1_23onesweep_lookback_stateEbbT6_jjT7_P12ihipStream_tbENKUlT_T0_SI_SN_E_clISD_PiSD_S15_EEDaS11_S12_SI_SN_EUlS11_E_NS1_11comp_targetILNS1_3genE5ELNS1_11target_archE942ELNS1_3gpuE9ELNS1_3repE0EEENS1_47radix_sort_onesweep_sort_config_static_selectorELNS0_4arch9wavefront6targetE1EEEvSI_,@function
_ZN7rocprim17ROCPRIM_400000_NS6detail17trampoline_kernelINS0_14default_configENS1_35radix_sort_onesweep_config_selectorIiiEEZZNS1_29radix_sort_onesweep_iterationIS3_Lb1EN6thrust23THRUST_200600_302600_NS6detail15normal_iteratorINS8_10device_ptrIiEEEESD_SD_SD_jNS0_19identity_decomposerENS1_16block_id_wrapperIjLb0EEEEE10hipError_tT1_PNSt15iterator_traitsISI_E10value_typeET2_T3_PNSJ_ISO_E10value_typeET4_T5_PST_SU_PNS1_23onesweep_lookback_stateEbbT6_jjT7_P12ihipStream_tbENKUlT_T0_SI_SN_E_clISD_PiSD_S15_EEDaS11_S12_SI_SN_EUlS11_E_NS1_11comp_targetILNS1_3genE5ELNS1_11target_archE942ELNS1_3gpuE9ELNS1_3repE0EEENS1_47radix_sort_onesweep_sort_config_static_selectorELNS0_4arch9wavefront6targetE1EEEvSI_: ; @_ZN7rocprim17ROCPRIM_400000_NS6detail17trampoline_kernelINS0_14default_configENS1_35radix_sort_onesweep_config_selectorIiiEEZZNS1_29radix_sort_onesweep_iterationIS3_Lb1EN6thrust23THRUST_200600_302600_NS6detail15normal_iteratorINS8_10device_ptrIiEEEESD_SD_SD_jNS0_19identity_decomposerENS1_16block_id_wrapperIjLb0EEEEE10hipError_tT1_PNSt15iterator_traitsISI_E10value_typeET2_T3_PNSJ_ISO_E10value_typeET4_T5_PST_SU_PNS1_23onesweep_lookback_stateEbbT6_jjT7_P12ihipStream_tbENKUlT_T0_SI_SN_E_clISD_PiSD_S15_EEDaS11_S12_SI_SN_EUlS11_E_NS1_11comp_targetILNS1_3genE5ELNS1_11target_archE942ELNS1_3gpuE9ELNS1_3repE0EEENS1_47radix_sort_onesweep_sort_config_static_selectorELNS0_4arch9wavefront6targetE1EEEvSI_
; %bb.0:
	.section	.rodata,"a",@progbits
	.p2align	6, 0x0
	.amdhsa_kernel _ZN7rocprim17ROCPRIM_400000_NS6detail17trampoline_kernelINS0_14default_configENS1_35radix_sort_onesweep_config_selectorIiiEEZZNS1_29radix_sort_onesweep_iterationIS3_Lb1EN6thrust23THRUST_200600_302600_NS6detail15normal_iteratorINS8_10device_ptrIiEEEESD_SD_SD_jNS0_19identity_decomposerENS1_16block_id_wrapperIjLb0EEEEE10hipError_tT1_PNSt15iterator_traitsISI_E10value_typeET2_T3_PNSJ_ISO_E10value_typeET4_T5_PST_SU_PNS1_23onesweep_lookback_stateEbbT6_jjT7_P12ihipStream_tbENKUlT_T0_SI_SN_E_clISD_PiSD_S15_EEDaS11_S12_SI_SN_EUlS11_E_NS1_11comp_targetILNS1_3genE5ELNS1_11target_archE942ELNS1_3gpuE9ELNS1_3repE0EEENS1_47radix_sort_onesweep_sort_config_static_selectorELNS0_4arch9wavefront6targetE1EEEvSI_
		.amdhsa_group_segment_fixed_size 0
		.amdhsa_private_segment_fixed_size 0
		.amdhsa_kernarg_size 88
		.amdhsa_user_sgpr_count 2
		.amdhsa_user_sgpr_dispatch_ptr 0
		.amdhsa_user_sgpr_queue_ptr 0
		.amdhsa_user_sgpr_kernarg_segment_ptr 1
		.amdhsa_user_sgpr_dispatch_id 0
		.amdhsa_user_sgpr_kernarg_preload_length 0
		.amdhsa_user_sgpr_kernarg_preload_offset 0
		.amdhsa_user_sgpr_private_segment_size 0
		.amdhsa_uses_dynamic_stack 0
		.amdhsa_enable_private_segment 0
		.amdhsa_system_sgpr_workgroup_id_x 1
		.amdhsa_system_sgpr_workgroup_id_y 0
		.amdhsa_system_sgpr_workgroup_id_z 0
		.amdhsa_system_sgpr_workgroup_info 0
		.amdhsa_system_vgpr_workitem_id 0
		.amdhsa_next_free_vgpr 1
		.amdhsa_next_free_sgpr 0
		.amdhsa_accum_offset 4
		.amdhsa_reserve_vcc 0
		.amdhsa_float_round_mode_32 0
		.amdhsa_float_round_mode_16_64 0
		.amdhsa_float_denorm_mode_32 3
		.amdhsa_float_denorm_mode_16_64 3
		.amdhsa_dx10_clamp 1
		.amdhsa_ieee_mode 1
		.amdhsa_fp16_overflow 0
		.amdhsa_tg_split 0
		.amdhsa_exception_fp_ieee_invalid_op 0
		.amdhsa_exception_fp_denorm_src 0
		.amdhsa_exception_fp_ieee_div_zero 0
		.amdhsa_exception_fp_ieee_overflow 0
		.amdhsa_exception_fp_ieee_underflow 0
		.amdhsa_exception_fp_ieee_inexact 0
		.amdhsa_exception_int_div_zero 0
	.end_amdhsa_kernel
	.section	.text._ZN7rocprim17ROCPRIM_400000_NS6detail17trampoline_kernelINS0_14default_configENS1_35radix_sort_onesweep_config_selectorIiiEEZZNS1_29radix_sort_onesweep_iterationIS3_Lb1EN6thrust23THRUST_200600_302600_NS6detail15normal_iteratorINS8_10device_ptrIiEEEESD_SD_SD_jNS0_19identity_decomposerENS1_16block_id_wrapperIjLb0EEEEE10hipError_tT1_PNSt15iterator_traitsISI_E10value_typeET2_T3_PNSJ_ISO_E10value_typeET4_T5_PST_SU_PNS1_23onesweep_lookback_stateEbbT6_jjT7_P12ihipStream_tbENKUlT_T0_SI_SN_E_clISD_PiSD_S15_EEDaS11_S12_SI_SN_EUlS11_E_NS1_11comp_targetILNS1_3genE5ELNS1_11target_archE942ELNS1_3gpuE9ELNS1_3repE0EEENS1_47radix_sort_onesweep_sort_config_static_selectorELNS0_4arch9wavefront6targetE1EEEvSI_,"axG",@progbits,_ZN7rocprim17ROCPRIM_400000_NS6detail17trampoline_kernelINS0_14default_configENS1_35radix_sort_onesweep_config_selectorIiiEEZZNS1_29radix_sort_onesweep_iterationIS3_Lb1EN6thrust23THRUST_200600_302600_NS6detail15normal_iteratorINS8_10device_ptrIiEEEESD_SD_SD_jNS0_19identity_decomposerENS1_16block_id_wrapperIjLb0EEEEE10hipError_tT1_PNSt15iterator_traitsISI_E10value_typeET2_T3_PNSJ_ISO_E10value_typeET4_T5_PST_SU_PNS1_23onesweep_lookback_stateEbbT6_jjT7_P12ihipStream_tbENKUlT_T0_SI_SN_E_clISD_PiSD_S15_EEDaS11_S12_SI_SN_EUlS11_E_NS1_11comp_targetILNS1_3genE5ELNS1_11target_archE942ELNS1_3gpuE9ELNS1_3repE0EEENS1_47radix_sort_onesweep_sort_config_static_selectorELNS0_4arch9wavefront6targetE1EEEvSI_,comdat
.Lfunc_end1875:
	.size	_ZN7rocprim17ROCPRIM_400000_NS6detail17trampoline_kernelINS0_14default_configENS1_35radix_sort_onesweep_config_selectorIiiEEZZNS1_29radix_sort_onesweep_iterationIS3_Lb1EN6thrust23THRUST_200600_302600_NS6detail15normal_iteratorINS8_10device_ptrIiEEEESD_SD_SD_jNS0_19identity_decomposerENS1_16block_id_wrapperIjLb0EEEEE10hipError_tT1_PNSt15iterator_traitsISI_E10value_typeET2_T3_PNSJ_ISO_E10value_typeET4_T5_PST_SU_PNS1_23onesweep_lookback_stateEbbT6_jjT7_P12ihipStream_tbENKUlT_T0_SI_SN_E_clISD_PiSD_S15_EEDaS11_S12_SI_SN_EUlS11_E_NS1_11comp_targetILNS1_3genE5ELNS1_11target_archE942ELNS1_3gpuE9ELNS1_3repE0EEENS1_47radix_sort_onesweep_sort_config_static_selectorELNS0_4arch9wavefront6targetE1EEEvSI_, .Lfunc_end1875-_ZN7rocprim17ROCPRIM_400000_NS6detail17trampoline_kernelINS0_14default_configENS1_35radix_sort_onesweep_config_selectorIiiEEZZNS1_29radix_sort_onesweep_iterationIS3_Lb1EN6thrust23THRUST_200600_302600_NS6detail15normal_iteratorINS8_10device_ptrIiEEEESD_SD_SD_jNS0_19identity_decomposerENS1_16block_id_wrapperIjLb0EEEEE10hipError_tT1_PNSt15iterator_traitsISI_E10value_typeET2_T3_PNSJ_ISO_E10value_typeET4_T5_PST_SU_PNS1_23onesweep_lookback_stateEbbT6_jjT7_P12ihipStream_tbENKUlT_T0_SI_SN_E_clISD_PiSD_S15_EEDaS11_S12_SI_SN_EUlS11_E_NS1_11comp_targetILNS1_3genE5ELNS1_11target_archE942ELNS1_3gpuE9ELNS1_3repE0EEENS1_47radix_sort_onesweep_sort_config_static_selectorELNS0_4arch9wavefront6targetE1EEEvSI_
                                        ; -- End function
	.set _ZN7rocprim17ROCPRIM_400000_NS6detail17trampoline_kernelINS0_14default_configENS1_35radix_sort_onesweep_config_selectorIiiEEZZNS1_29radix_sort_onesweep_iterationIS3_Lb1EN6thrust23THRUST_200600_302600_NS6detail15normal_iteratorINS8_10device_ptrIiEEEESD_SD_SD_jNS0_19identity_decomposerENS1_16block_id_wrapperIjLb0EEEEE10hipError_tT1_PNSt15iterator_traitsISI_E10value_typeET2_T3_PNSJ_ISO_E10value_typeET4_T5_PST_SU_PNS1_23onesweep_lookback_stateEbbT6_jjT7_P12ihipStream_tbENKUlT_T0_SI_SN_E_clISD_PiSD_S15_EEDaS11_S12_SI_SN_EUlS11_E_NS1_11comp_targetILNS1_3genE5ELNS1_11target_archE942ELNS1_3gpuE9ELNS1_3repE0EEENS1_47radix_sort_onesweep_sort_config_static_selectorELNS0_4arch9wavefront6targetE1EEEvSI_.num_vgpr, 0
	.set _ZN7rocprim17ROCPRIM_400000_NS6detail17trampoline_kernelINS0_14default_configENS1_35radix_sort_onesweep_config_selectorIiiEEZZNS1_29radix_sort_onesweep_iterationIS3_Lb1EN6thrust23THRUST_200600_302600_NS6detail15normal_iteratorINS8_10device_ptrIiEEEESD_SD_SD_jNS0_19identity_decomposerENS1_16block_id_wrapperIjLb0EEEEE10hipError_tT1_PNSt15iterator_traitsISI_E10value_typeET2_T3_PNSJ_ISO_E10value_typeET4_T5_PST_SU_PNS1_23onesweep_lookback_stateEbbT6_jjT7_P12ihipStream_tbENKUlT_T0_SI_SN_E_clISD_PiSD_S15_EEDaS11_S12_SI_SN_EUlS11_E_NS1_11comp_targetILNS1_3genE5ELNS1_11target_archE942ELNS1_3gpuE9ELNS1_3repE0EEENS1_47radix_sort_onesweep_sort_config_static_selectorELNS0_4arch9wavefront6targetE1EEEvSI_.num_agpr, 0
	.set _ZN7rocprim17ROCPRIM_400000_NS6detail17trampoline_kernelINS0_14default_configENS1_35radix_sort_onesweep_config_selectorIiiEEZZNS1_29radix_sort_onesweep_iterationIS3_Lb1EN6thrust23THRUST_200600_302600_NS6detail15normal_iteratorINS8_10device_ptrIiEEEESD_SD_SD_jNS0_19identity_decomposerENS1_16block_id_wrapperIjLb0EEEEE10hipError_tT1_PNSt15iterator_traitsISI_E10value_typeET2_T3_PNSJ_ISO_E10value_typeET4_T5_PST_SU_PNS1_23onesweep_lookback_stateEbbT6_jjT7_P12ihipStream_tbENKUlT_T0_SI_SN_E_clISD_PiSD_S15_EEDaS11_S12_SI_SN_EUlS11_E_NS1_11comp_targetILNS1_3genE5ELNS1_11target_archE942ELNS1_3gpuE9ELNS1_3repE0EEENS1_47radix_sort_onesweep_sort_config_static_selectorELNS0_4arch9wavefront6targetE1EEEvSI_.numbered_sgpr, 0
	.set _ZN7rocprim17ROCPRIM_400000_NS6detail17trampoline_kernelINS0_14default_configENS1_35radix_sort_onesweep_config_selectorIiiEEZZNS1_29radix_sort_onesweep_iterationIS3_Lb1EN6thrust23THRUST_200600_302600_NS6detail15normal_iteratorINS8_10device_ptrIiEEEESD_SD_SD_jNS0_19identity_decomposerENS1_16block_id_wrapperIjLb0EEEEE10hipError_tT1_PNSt15iterator_traitsISI_E10value_typeET2_T3_PNSJ_ISO_E10value_typeET4_T5_PST_SU_PNS1_23onesweep_lookback_stateEbbT6_jjT7_P12ihipStream_tbENKUlT_T0_SI_SN_E_clISD_PiSD_S15_EEDaS11_S12_SI_SN_EUlS11_E_NS1_11comp_targetILNS1_3genE5ELNS1_11target_archE942ELNS1_3gpuE9ELNS1_3repE0EEENS1_47radix_sort_onesweep_sort_config_static_selectorELNS0_4arch9wavefront6targetE1EEEvSI_.num_named_barrier, 0
	.set _ZN7rocprim17ROCPRIM_400000_NS6detail17trampoline_kernelINS0_14default_configENS1_35radix_sort_onesweep_config_selectorIiiEEZZNS1_29radix_sort_onesweep_iterationIS3_Lb1EN6thrust23THRUST_200600_302600_NS6detail15normal_iteratorINS8_10device_ptrIiEEEESD_SD_SD_jNS0_19identity_decomposerENS1_16block_id_wrapperIjLb0EEEEE10hipError_tT1_PNSt15iterator_traitsISI_E10value_typeET2_T3_PNSJ_ISO_E10value_typeET4_T5_PST_SU_PNS1_23onesweep_lookback_stateEbbT6_jjT7_P12ihipStream_tbENKUlT_T0_SI_SN_E_clISD_PiSD_S15_EEDaS11_S12_SI_SN_EUlS11_E_NS1_11comp_targetILNS1_3genE5ELNS1_11target_archE942ELNS1_3gpuE9ELNS1_3repE0EEENS1_47radix_sort_onesweep_sort_config_static_selectorELNS0_4arch9wavefront6targetE1EEEvSI_.private_seg_size, 0
	.set _ZN7rocprim17ROCPRIM_400000_NS6detail17trampoline_kernelINS0_14default_configENS1_35radix_sort_onesweep_config_selectorIiiEEZZNS1_29radix_sort_onesweep_iterationIS3_Lb1EN6thrust23THRUST_200600_302600_NS6detail15normal_iteratorINS8_10device_ptrIiEEEESD_SD_SD_jNS0_19identity_decomposerENS1_16block_id_wrapperIjLb0EEEEE10hipError_tT1_PNSt15iterator_traitsISI_E10value_typeET2_T3_PNSJ_ISO_E10value_typeET4_T5_PST_SU_PNS1_23onesweep_lookback_stateEbbT6_jjT7_P12ihipStream_tbENKUlT_T0_SI_SN_E_clISD_PiSD_S15_EEDaS11_S12_SI_SN_EUlS11_E_NS1_11comp_targetILNS1_3genE5ELNS1_11target_archE942ELNS1_3gpuE9ELNS1_3repE0EEENS1_47radix_sort_onesweep_sort_config_static_selectorELNS0_4arch9wavefront6targetE1EEEvSI_.uses_vcc, 0
	.set _ZN7rocprim17ROCPRIM_400000_NS6detail17trampoline_kernelINS0_14default_configENS1_35radix_sort_onesweep_config_selectorIiiEEZZNS1_29radix_sort_onesweep_iterationIS3_Lb1EN6thrust23THRUST_200600_302600_NS6detail15normal_iteratorINS8_10device_ptrIiEEEESD_SD_SD_jNS0_19identity_decomposerENS1_16block_id_wrapperIjLb0EEEEE10hipError_tT1_PNSt15iterator_traitsISI_E10value_typeET2_T3_PNSJ_ISO_E10value_typeET4_T5_PST_SU_PNS1_23onesweep_lookback_stateEbbT6_jjT7_P12ihipStream_tbENKUlT_T0_SI_SN_E_clISD_PiSD_S15_EEDaS11_S12_SI_SN_EUlS11_E_NS1_11comp_targetILNS1_3genE5ELNS1_11target_archE942ELNS1_3gpuE9ELNS1_3repE0EEENS1_47radix_sort_onesweep_sort_config_static_selectorELNS0_4arch9wavefront6targetE1EEEvSI_.uses_flat_scratch, 0
	.set _ZN7rocprim17ROCPRIM_400000_NS6detail17trampoline_kernelINS0_14default_configENS1_35radix_sort_onesweep_config_selectorIiiEEZZNS1_29radix_sort_onesweep_iterationIS3_Lb1EN6thrust23THRUST_200600_302600_NS6detail15normal_iteratorINS8_10device_ptrIiEEEESD_SD_SD_jNS0_19identity_decomposerENS1_16block_id_wrapperIjLb0EEEEE10hipError_tT1_PNSt15iterator_traitsISI_E10value_typeET2_T3_PNSJ_ISO_E10value_typeET4_T5_PST_SU_PNS1_23onesweep_lookback_stateEbbT6_jjT7_P12ihipStream_tbENKUlT_T0_SI_SN_E_clISD_PiSD_S15_EEDaS11_S12_SI_SN_EUlS11_E_NS1_11comp_targetILNS1_3genE5ELNS1_11target_archE942ELNS1_3gpuE9ELNS1_3repE0EEENS1_47radix_sort_onesweep_sort_config_static_selectorELNS0_4arch9wavefront6targetE1EEEvSI_.has_dyn_sized_stack, 0
	.set _ZN7rocprim17ROCPRIM_400000_NS6detail17trampoline_kernelINS0_14default_configENS1_35radix_sort_onesweep_config_selectorIiiEEZZNS1_29radix_sort_onesweep_iterationIS3_Lb1EN6thrust23THRUST_200600_302600_NS6detail15normal_iteratorINS8_10device_ptrIiEEEESD_SD_SD_jNS0_19identity_decomposerENS1_16block_id_wrapperIjLb0EEEEE10hipError_tT1_PNSt15iterator_traitsISI_E10value_typeET2_T3_PNSJ_ISO_E10value_typeET4_T5_PST_SU_PNS1_23onesweep_lookback_stateEbbT6_jjT7_P12ihipStream_tbENKUlT_T0_SI_SN_E_clISD_PiSD_S15_EEDaS11_S12_SI_SN_EUlS11_E_NS1_11comp_targetILNS1_3genE5ELNS1_11target_archE942ELNS1_3gpuE9ELNS1_3repE0EEENS1_47radix_sort_onesweep_sort_config_static_selectorELNS0_4arch9wavefront6targetE1EEEvSI_.has_recursion, 0
	.set _ZN7rocprim17ROCPRIM_400000_NS6detail17trampoline_kernelINS0_14default_configENS1_35radix_sort_onesweep_config_selectorIiiEEZZNS1_29radix_sort_onesweep_iterationIS3_Lb1EN6thrust23THRUST_200600_302600_NS6detail15normal_iteratorINS8_10device_ptrIiEEEESD_SD_SD_jNS0_19identity_decomposerENS1_16block_id_wrapperIjLb0EEEEE10hipError_tT1_PNSt15iterator_traitsISI_E10value_typeET2_T3_PNSJ_ISO_E10value_typeET4_T5_PST_SU_PNS1_23onesweep_lookback_stateEbbT6_jjT7_P12ihipStream_tbENKUlT_T0_SI_SN_E_clISD_PiSD_S15_EEDaS11_S12_SI_SN_EUlS11_E_NS1_11comp_targetILNS1_3genE5ELNS1_11target_archE942ELNS1_3gpuE9ELNS1_3repE0EEENS1_47radix_sort_onesweep_sort_config_static_selectorELNS0_4arch9wavefront6targetE1EEEvSI_.has_indirect_call, 0
	.section	.AMDGPU.csdata,"",@progbits
; Kernel info:
; codeLenInByte = 0
; TotalNumSgprs: 6
; NumVgprs: 0
; NumAgprs: 0
; TotalNumVgprs: 0
; ScratchSize: 0
; MemoryBound: 0
; FloatMode: 240
; IeeeMode: 1
; LDSByteSize: 0 bytes/workgroup (compile time only)
; SGPRBlocks: 0
; VGPRBlocks: 0
; NumSGPRsForWavesPerEU: 6
; NumVGPRsForWavesPerEU: 1
; AccumOffset: 4
; Occupancy: 8
; WaveLimiterHint : 0
; COMPUTE_PGM_RSRC2:SCRATCH_EN: 0
; COMPUTE_PGM_RSRC2:USER_SGPR: 2
; COMPUTE_PGM_RSRC2:TRAP_HANDLER: 0
; COMPUTE_PGM_RSRC2:TGID_X_EN: 1
; COMPUTE_PGM_RSRC2:TGID_Y_EN: 0
; COMPUTE_PGM_RSRC2:TGID_Z_EN: 0
; COMPUTE_PGM_RSRC2:TIDIG_COMP_CNT: 0
; COMPUTE_PGM_RSRC3_GFX90A:ACCUM_OFFSET: 0
; COMPUTE_PGM_RSRC3_GFX90A:TG_SPLIT: 0
	.section	.text._ZN7rocprim17ROCPRIM_400000_NS6detail17trampoline_kernelINS0_14default_configENS1_35radix_sort_onesweep_config_selectorIiiEEZZNS1_29radix_sort_onesweep_iterationIS3_Lb1EN6thrust23THRUST_200600_302600_NS6detail15normal_iteratorINS8_10device_ptrIiEEEESD_SD_SD_jNS0_19identity_decomposerENS1_16block_id_wrapperIjLb0EEEEE10hipError_tT1_PNSt15iterator_traitsISI_E10value_typeET2_T3_PNSJ_ISO_E10value_typeET4_T5_PST_SU_PNS1_23onesweep_lookback_stateEbbT6_jjT7_P12ihipStream_tbENKUlT_T0_SI_SN_E_clISD_PiSD_S15_EEDaS11_S12_SI_SN_EUlS11_E_NS1_11comp_targetILNS1_3genE2ELNS1_11target_archE906ELNS1_3gpuE6ELNS1_3repE0EEENS1_47radix_sort_onesweep_sort_config_static_selectorELNS0_4arch9wavefront6targetE1EEEvSI_,"axG",@progbits,_ZN7rocprim17ROCPRIM_400000_NS6detail17trampoline_kernelINS0_14default_configENS1_35radix_sort_onesweep_config_selectorIiiEEZZNS1_29radix_sort_onesweep_iterationIS3_Lb1EN6thrust23THRUST_200600_302600_NS6detail15normal_iteratorINS8_10device_ptrIiEEEESD_SD_SD_jNS0_19identity_decomposerENS1_16block_id_wrapperIjLb0EEEEE10hipError_tT1_PNSt15iterator_traitsISI_E10value_typeET2_T3_PNSJ_ISO_E10value_typeET4_T5_PST_SU_PNS1_23onesweep_lookback_stateEbbT6_jjT7_P12ihipStream_tbENKUlT_T0_SI_SN_E_clISD_PiSD_S15_EEDaS11_S12_SI_SN_EUlS11_E_NS1_11comp_targetILNS1_3genE2ELNS1_11target_archE906ELNS1_3gpuE6ELNS1_3repE0EEENS1_47radix_sort_onesweep_sort_config_static_selectorELNS0_4arch9wavefront6targetE1EEEvSI_,comdat
	.protected	_ZN7rocprim17ROCPRIM_400000_NS6detail17trampoline_kernelINS0_14default_configENS1_35radix_sort_onesweep_config_selectorIiiEEZZNS1_29radix_sort_onesweep_iterationIS3_Lb1EN6thrust23THRUST_200600_302600_NS6detail15normal_iteratorINS8_10device_ptrIiEEEESD_SD_SD_jNS0_19identity_decomposerENS1_16block_id_wrapperIjLb0EEEEE10hipError_tT1_PNSt15iterator_traitsISI_E10value_typeET2_T3_PNSJ_ISO_E10value_typeET4_T5_PST_SU_PNS1_23onesweep_lookback_stateEbbT6_jjT7_P12ihipStream_tbENKUlT_T0_SI_SN_E_clISD_PiSD_S15_EEDaS11_S12_SI_SN_EUlS11_E_NS1_11comp_targetILNS1_3genE2ELNS1_11target_archE906ELNS1_3gpuE6ELNS1_3repE0EEENS1_47radix_sort_onesweep_sort_config_static_selectorELNS0_4arch9wavefront6targetE1EEEvSI_ ; -- Begin function _ZN7rocprim17ROCPRIM_400000_NS6detail17trampoline_kernelINS0_14default_configENS1_35radix_sort_onesweep_config_selectorIiiEEZZNS1_29radix_sort_onesweep_iterationIS3_Lb1EN6thrust23THRUST_200600_302600_NS6detail15normal_iteratorINS8_10device_ptrIiEEEESD_SD_SD_jNS0_19identity_decomposerENS1_16block_id_wrapperIjLb0EEEEE10hipError_tT1_PNSt15iterator_traitsISI_E10value_typeET2_T3_PNSJ_ISO_E10value_typeET4_T5_PST_SU_PNS1_23onesweep_lookback_stateEbbT6_jjT7_P12ihipStream_tbENKUlT_T0_SI_SN_E_clISD_PiSD_S15_EEDaS11_S12_SI_SN_EUlS11_E_NS1_11comp_targetILNS1_3genE2ELNS1_11target_archE906ELNS1_3gpuE6ELNS1_3repE0EEENS1_47radix_sort_onesweep_sort_config_static_selectorELNS0_4arch9wavefront6targetE1EEEvSI_
	.globl	_ZN7rocprim17ROCPRIM_400000_NS6detail17trampoline_kernelINS0_14default_configENS1_35radix_sort_onesweep_config_selectorIiiEEZZNS1_29radix_sort_onesweep_iterationIS3_Lb1EN6thrust23THRUST_200600_302600_NS6detail15normal_iteratorINS8_10device_ptrIiEEEESD_SD_SD_jNS0_19identity_decomposerENS1_16block_id_wrapperIjLb0EEEEE10hipError_tT1_PNSt15iterator_traitsISI_E10value_typeET2_T3_PNSJ_ISO_E10value_typeET4_T5_PST_SU_PNS1_23onesweep_lookback_stateEbbT6_jjT7_P12ihipStream_tbENKUlT_T0_SI_SN_E_clISD_PiSD_S15_EEDaS11_S12_SI_SN_EUlS11_E_NS1_11comp_targetILNS1_3genE2ELNS1_11target_archE906ELNS1_3gpuE6ELNS1_3repE0EEENS1_47radix_sort_onesweep_sort_config_static_selectorELNS0_4arch9wavefront6targetE1EEEvSI_
	.p2align	8
	.type	_ZN7rocprim17ROCPRIM_400000_NS6detail17trampoline_kernelINS0_14default_configENS1_35radix_sort_onesweep_config_selectorIiiEEZZNS1_29radix_sort_onesweep_iterationIS3_Lb1EN6thrust23THRUST_200600_302600_NS6detail15normal_iteratorINS8_10device_ptrIiEEEESD_SD_SD_jNS0_19identity_decomposerENS1_16block_id_wrapperIjLb0EEEEE10hipError_tT1_PNSt15iterator_traitsISI_E10value_typeET2_T3_PNSJ_ISO_E10value_typeET4_T5_PST_SU_PNS1_23onesweep_lookback_stateEbbT6_jjT7_P12ihipStream_tbENKUlT_T0_SI_SN_E_clISD_PiSD_S15_EEDaS11_S12_SI_SN_EUlS11_E_NS1_11comp_targetILNS1_3genE2ELNS1_11target_archE906ELNS1_3gpuE6ELNS1_3repE0EEENS1_47radix_sort_onesweep_sort_config_static_selectorELNS0_4arch9wavefront6targetE1EEEvSI_,@function
_ZN7rocprim17ROCPRIM_400000_NS6detail17trampoline_kernelINS0_14default_configENS1_35radix_sort_onesweep_config_selectorIiiEEZZNS1_29radix_sort_onesweep_iterationIS3_Lb1EN6thrust23THRUST_200600_302600_NS6detail15normal_iteratorINS8_10device_ptrIiEEEESD_SD_SD_jNS0_19identity_decomposerENS1_16block_id_wrapperIjLb0EEEEE10hipError_tT1_PNSt15iterator_traitsISI_E10value_typeET2_T3_PNSJ_ISO_E10value_typeET4_T5_PST_SU_PNS1_23onesweep_lookback_stateEbbT6_jjT7_P12ihipStream_tbENKUlT_T0_SI_SN_E_clISD_PiSD_S15_EEDaS11_S12_SI_SN_EUlS11_E_NS1_11comp_targetILNS1_3genE2ELNS1_11target_archE906ELNS1_3gpuE6ELNS1_3repE0EEENS1_47radix_sort_onesweep_sort_config_static_selectorELNS0_4arch9wavefront6targetE1EEEvSI_: ; @_ZN7rocprim17ROCPRIM_400000_NS6detail17trampoline_kernelINS0_14default_configENS1_35radix_sort_onesweep_config_selectorIiiEEZZNS1_29radix_sort_onesweep_iterationIS3_Lb1EN6thrust23THRUST_200600_302600_NS6detail15normal_iteratorINS8_10device_ptrIiEEEESD_SD_SD_jNS0_19identity_decomposerENS1_16block_id_wrapperIjLb0EEEEE10hipError_tT1_PNSt15iterator_traitsISI_E10value_typeET2_T3_PNSJ_ISO_E10value_typeET4_T5_PST_SU_PNS1_23onesweep_lookback_stateEbbT6_jjT7_P12ihipStream_tbENKUlT_T0_SI_SN_E_clISD_PiSD_S15_EEDaS11_S12_SI_SN_EUlS11_E_NS1_11comp_targetILNS1_3genE2ELNS1_11target_archE906ELNS1_3gpuE6ELNS1_3repE0EEENS1_47radix_sort_onesweep_sort_config_static_selectorELNS0_4arch9wavefront6targetE1EEEvSI_
; %bb.0:
	.section	.rodata,"a",@progbits
	.p2align	6, 0x0
	.amdhsa_kernel _ZN7rocprim17ROCPRIM_400000_NS6detail17trampoline_kernelINS0_14default_configENS1_35radix_sort_onesweep_config_selectorIiiEEZZNS1_29radix_sort_onesweep_iterationIS3_Lb1EN6thrust23THRUST_200600_302600_NS6detail15normal_iteratorINS8_10device_ptrIiEEEESD_SD_SD_jNS0_19identity_decomposerENS1_16block_id_wrapperIjLb0EEEEE10hipError_tT1_PNSt15iterator_traitsISI_E10value_typeET2_T3_PNSJ_ISO_E10value_typeET4_T5_PST_SU_PNS1_23onesweep_lookback_stateEbbT6_jjT7_P12ihipStream_tbENKUlT_T0_SI_SN_E_clISD_PiSD_S15_EEDaS11_S12_SI_SN_EUlS11_E_NS1_11comp_targetILNS1_3genE2ELNS1_11target_archE906ELNS1_3gpuE6ELNS1_3repE0EEENS1_47radix_sort_onesweep_sort_config_static_selectorELNS0_4arch9wavefront6targetE1EEEvSI_
		.amdhsa_group_segment_fixed_size 0
		.amdhsa_private_segment_fixed_size 0
		.amdhsa_kernarg_size 88
		.amdhsa_user_sgpr_count 2
		.amdhsa_user_sgpr_dispatch_ptr 0
		.amdhsa_user_sgpr_queue_ptr 0
		.amdhsa_user_sgpr_kernarg_segment_ptr 1
		.amdhsa_user_sgpr_dispatch_id 0
		.amdhsa_user_sgpr_kernarg_preload_length 0
		.amdhsa_user_sgpr_kernarg_preload_offset 0
		.amdhsa_user_sgpr_private_segment_size 0
		.amdhsa_uses_dynamic_stack 0
		.amdhsa_enable_private_segment 0
		.amdhsa_system_sgpr_workgroup_id_x 1
		.amdhsa_system_sgpr_workgroup_id_y 0
		.amdhsa_system_sgpr_workgroup_id_z 0
		.amdhsa_system_sgpr_workgroup_info 0
		.amdhsa_system_vgpr_workitem_id 0
		.amdhsa_next_free_vgpr 1
		.amdhsa_next_free_sgpr 0
		.amdhsa_accum_offset 4
		.amdhsa_reserve_vcc 0
		.amdhsa_float_round_mode_32 0
		.amdhsa_float_round_mode_16_64 0
		.amdhsa_float_denorm_mode_32 3
		.amdhsa_float_denorm_mode_16_64 3
		.amdhsa_dx10_clamp 1
		.amdhsa_ieee_mode 1
		.amdhsa_fp16_overflow 0
		.amdhsa_tg_split 0
		.amdhsa_exception_fp_ieee_invalid_op 0
		.amdhsa_exception_fp_denorm_src 0
		.amdhsa_exception_fp_ieee_div_zero 0
		.amdhsa_exception_fp_ieee_overflow 0
		.amdhsa_exception_fp_ieee_underflow 0
		.amdhsa_exception_fp_ieee_inexact 0
		.amdhsa_exception_int_div_zero 0
	.end_amdhsa_kernel
	.section	.text._ZN7rocprim17ROCPRIM_400000_NS6detail17trampoline_kernelINS0_14default_configENS1_35radix_sort_onesweep_config_selectorIiiEEZZNS1_29radix_sort_onesweep_iterationIS3_Lb1EN6thrust23THRUST_200600_302600_NS6detail15normal_iteratorINS8_10device_ptrIiEEEESD_SD_SD_jNS0_19identity_decomposerENS1_16block_id_wrapperIjLb0EEEEE10hipError_tT1_PNSt15iterator_traitsISI_E10value_typeET2_T3_PNSJ_ISO_E10value_typeET4_T5_PST_SU_PNS1_23onesweep_lookback_stateEbbT6_jjT7_P12ihipStream_tbENKUlT_T0_SI_SN_E_clISD_PiSD_S15_EEDaS11_S12_SI_SN_EUlS11_E_NS1_11comp_targetILNS1_3genE2ELNS1_11target_archE906ELNS1_3gpuE6ELNS1_3repE0EEENS1_47radix_sort_onesweep_sort_config_static_selectorELNS0_4arch9wavefront6targetE1EEEvSI_,"axG",@progbits,_ZN7rocprim17ROCPRIM_400000_NS6detail17trampoline_kernelINS0_14default_configENS1_35radix_sort_onesweep_config_selectorIiiEEZZNS1_29radix_sort_onesweep_iterationIS3_Lb1EN6thrust23THRUST_200600_302600_NS6detail15normal_iteratorINS8_10device_ptrIiEEEESD_SD_SD_jNS0_19identity_decomposerENS1_16block_id_wrapperIjLb0EEEEE10hipError_tT1_PNSt15iterator_traitsISI_E10value_typeET2_T3_PNSJ_ISO_E10value_typeET4_T5_PST_SU_PNS1_23onesweep_lookback_stateEbbT6_jjT7_P12ihipStream_tbENKUlT_T0_SI_SN_E_clISD_PiSD_S15_EEDaS11_S12_SI_SN_EUlS11_E_NS1_11comp_targetILNS1_3genE2ELNS1_11target_archE906ELNS1_3gpuE6ELNS1_3repE0EEENS1_47radix_sort_onesweep_sort_config_static_selectorELNS0_4arch9wavefront6targetE1EEEvSI_,comdat
.Lfunc_end1876:
	.size	_ZN7rocprim17ROCPRIM_400000_NS6detail17trampoline_kernelINS0_14default_configENS1_35radix_sort_onesweep_config_selectorIiiEEZZNS1_29radix_sort_onesweep_iterationIS3_Lb1EN6thrust23THRUST_200600_302600_NS6detail15normal_iteratorINS8_10device_ptrIiEEEESD_SD_SD_jNS0_19identity_decomposerENS1_16block_id_wrapperIjLb0EEEEE10hipError_tT1_PNSt15iterator_traitsISI_E10value_typeET2_T3_PNSJ_ISO_E10value_typeET4_T5_PST_SU_PNS1_23onesweep_lookback_stateEbbT6_jjT7_P12ihipStream_tbENKUlT_T0_SI_SN_E_clISD_PiSD_S15_EEDaS11_S12_SI_SN_EUlS11_E_NS1_11comp_targetILNS1_3genE2ELNS1_11target_archE906ELNS1_3gpuE6ELNS1_3repE0EEENS1_47radix_sort_onesweep_sort_config_static_selectorELNS0_4arch9wavefront6targetE1EEEvSI_, .Lfunc_end1876-_ZN7rocprim17ROCPRIM_400000_NS6detail17trampoline_kernelINS0_14default_configENS1_35radix_sort_onesweep_config_selectorIiiEEZZNS1_29radix_sort_onesweep_iterationIS3_Lb1EN6thrust23THRUST_200600_302600_NS6detail15normal_iteratorINS8_10device_ptrIiEEEESD_SD_SD_jNS0_19identity_decomposerENS1_16block_id_wrapperIjLb0EEEEE10hipError_tT1_PNSt15iterator_traitsISI_E10value_typeET2_T3_PNSJ_ISO_E10value_typeET4_T5_PST_SU_PNS1_23onesweep_lookback_stateEbbT6_jjT7_P12ihipStream_tbENKUlT_T0_SI_SN_E_clISD_PiSD_S15_EEDaS11_S12_SI_SN_EUlS11_E_NS1_11comp_targetILNS1_3genE2ELNS1_11target_archE906ELNS1_3gpuE6ELNS1_3repE0EEENS1_47radix_sort_onesweep_sort_config_static_selectorELNS0_4arch9wavefront6targetE1EEEvSI_
                                        ; -- End function
	.set _ZN7rocprim17ROCPRIM_400000_NS6detail17trampoline_kernelINS0_14default_configENS1_35radix_sort_onesweep_config_selectorIiiEEZZNS1_29radix_sort_onesweep_iterationIS3_Lb1EN6thrust23THRUST_200600_302600_NS6detail15normal_iteratorINS8_10device_ptrIiEEEESD_SD_SD_jNS0_19identity_decomposerENS1_16block_id_wrapperIjLb0EEEEE10hipError_tT1_PNSt15iterator_traitsISI_E10value_typeET2_T3_PNSJ_ISO_E10value_typeET4_T5_PST_SU_PNS1_23onesweep_lookback_stateEbbT6_jjT7_P12ihipStream_tbENKUlT_T0_SI_SN_E_clISD_PiSD_S15_EEDaS11_S12_SI_SN_EUlS11_E_NS1_11comp_targetILNS1_3genE2ELNS1_11target_archE906ELNS1_3gpuE6ELNS1_3repE0EEENS1_47radix_sort_onesweep_sort_config_static_selectorELNS0_4arch9wavefront6targetE1EEEvSI_.num_vgpr, 0
	.set _ZN7rocprim17ROCPRIM_400000_NS6detail17trampoline_kernelINS0_14default_configENS1_35radix_sort_onesweep_config_selectorIiiEEZZNS1_29radix_sort_onesweep_iterationIS3_Lb1EN6thrust23THRUST_200600_302600_NS6detail15normal_iteratorINS8_10device_ptrIiEEEESD_SD_SD_jNS0_19identity_decomposerENS1_16block_id_wrapperIjLb0EEEEE10hipError_tT1_PNSt15iterator_traitsISI_E10value_typeET2_T3_PNSJ_ISO_E10value_typeET4_T5_PST_SU_PNS1_23onesweep_lookback_stateEbbT6_jjT7_P12ihipStream_tbENKUlT_T0_SI_SN_E_clISD_PiSD_S15_EEDaS11_S12_SI_SN_EUlS11_E_NS1_11comp_targetILNS1_3genE2ELNS1_11target_archE906ELNS1_3gpuE6ELNS1_3repE0EEENS1_47radix_sort_onesweep_sort_config_static_selectorELNS0_4arch9wavefront6targetE1EEEvSI_.num_agpr, 0
	.set _ZN7rocprim17ROCPRIM_400000_NS6detail17trampoline_kernelINS0_14default_configENS1_35radix_sort_onesweep_config_selectorIiiEEZZNS1_29radix_sort_onesweep_iterationIS3_Lb1EN6thrust23THRUST_200600_302600_NS6detail15normal_iteratorINS8_10device_ptrIiEEEESD_SD_SD_jNS0_19identity_decomposerENS1_16block_id_wrapperIjLb0EEEEE10hipError_tT1_PNSt15iterator_traitsISI_E10value_typeET2_T3_PNSJ_ISO_E10value_typeET4_T5_PST_SU_PNS1_23onesweep_lookback_stateEbbT6_jjT7_P12ihipStream_tbENKUlT_T0_SI_SN_E_clISD_PiSD_S15_EEDaS11_S12_SI_SN_EUlS11_E_NS1_11comp_targetILNS1_3genE2ELNS1_11target_archE906ELNS1_3gpuE6ELNS1_3repE0EEENS1_47radix_sort_onesweep_sort_config_static_selectorELNS0_4arch9wavefront6targetE1EEEvSI_.numbered_sgpr, 0
	.set _ZN7rocprim17ROCPRIM_400000_NS6detail17trampoline_kernelINS0_14default_configENS1_35radix_sort_onesweep_config_selectorIiiEEZZNS1_29radix_sort_onesweep_iterationIS3_Lb1EN6thrust23THRUST_200600_302600_NS6detail15normal_iteratorINS8_10device_ptrIiEEEESD_SD_SD_jNS0_19identity_decomposerENS1_16block_id_wrapperIjLb0EEEEE10hipError_tT1_PNSt15iterator_traitsISI_E10value_typeET2_T3_PNSJ_ISO_E10value_typeET4_T5_PST_SU_PNS1_23onesweep_lookback_stateEbbT6_jjT7_P12ihipStream_tbENKUlT_T0_SI_SN_E_clISD_PiSD_S15_EEDaS11_S12_SI_SN_EUlS11_E_NS1_11comp_targetILNS1_3genE2ELNS1_11target_archE906ELNS1_3gpuE6ELNS1_3repE0EEENS1_47radix_sort_onesweep_sort_config_static_selectorELNS0_4arch9wavefront6targetE1EEEvSI_.num_named_barrier, 0
	.set _ZN7rocprim17ROCPRIM_400000_NS6detail17trampoline_kernelINS0_14default_configENS1_35radix_sort_onesweep_config_selectorIiiEEZZNS1_29radix_sort_onesweep_iterationIS3_Lb1EN6thrust23THRUST_200600_302600_NS6detail15normal_iteratorINS8_10device_ptrIiEEEESD_SD_SD_jNS0_19identity_decomposerENS1_16block_id_wrapperIjLb0EEEEE10hipError_tT1_PNSt15iterator_traitsISI_E10value_typeET2_T3_PNSJ_ISO_E10value_typeET4_T5_PST_SU_PNS1_23onesweep_lookback_stateEbbT6_jjT7_P12ihipStream_tbENKUlT_T0_SI_SN_E_clISD_PiSD_S15_EEDaS11_S12_SI_SN_EUlS11_E_NS1_11comp_targetILNS1_3genE2ELNS1_11target_archE906ELNS1_3gpuE6ELNS1_3repE0EEENS1_47radix_sort_onesweep_sort_config_static_selectorELNS0_4arch9wavefront6targetE1EEEvSI_.private_seg_size, 0
	.set _ZN7rocprim17ROCPRIM_400000_NS6detail17trampoline_kernelINS0_14default_configENS1_35radix_sort_onesweep_config_selectorIiiEEZZNS1_29radix_sort_onesweep_iterationIS3_Lb1EN6thrust23THRUST_200600_302600_NS6detail15normal_iteratorINS8_10device_ptrIiEEEESD_SD_SD_jNS0_19identity_decomposerENS1_16block_id_wrapperIjLb0EEEEE10hipError_tT1_PNSt15iterator_traitsISI_E10value_typeET2_T3_PNSJ_ISO_E10value_typeET4_T5_PST_SU_PNS1_23onesweep_lookback_stateEbbT6_jjT7_P12ihipStream_tbENKUlT_T0_SI_SN_E_clISD_PiSD_S15_EEDaS11_S12_SI_SN_EUlS11_E_NS1_11comp_targetILNS1_3genE2ELNS1_11target_archE906ELNS1_3gpuE6ELNS1_3repE0EEENS1_47radix_sort_onesweep_sort_config_static_selectorELNS0_4arch9wavefront6targetE1EEEvSI_.uses_vcc, 0
	.set _ZN7rocprim17ROCPRIM_400000_NS6detail17trampoline_kernelINS0_14default_configENS1_35radix_sort_onesweep_config_selectorIiiEEZZNS1_29radix_sort_onesweep_iterationIS3_Lb1EN6thrust23THRUST_200600_302600_NS6detail15normal_iteratorINS8_10device_ptrIiEEEESD_SD_SD_jNS0_19identity_decomposerENS1_16block_id_wrapperIjLb0EEEEE10hipError_tT1_PNSt15iterator_traitsISI_E10value_typeET2_T3_PNSJ_ISO_E10value_typeET4_T5_PST_SU_PNS1_23onesweep_lookback_stateEbbT6_jjT7_P12ihipStream_tbENKUlT_T0_SI_SN_E_clISD_PiSD_S15_EEDaS11_S12_SI_SN_EUlS11_E_NS1_11comp_targetILNS1_3genE2ELNS1_11target_archE906ELNS1_3gpuE6ELNS1_3repE0EEENS1_47radix_sort_onesweep_sort_config_static_selectorELNS0_4arch9wavefront6targetE1EEEvSI_.uses_flat_scratch, 0
	.set _ZN7rocprim17ROCPRIM_400000_NS6detail17trampoline_kernelINS0_14default_configENS1_35radix_sort_onesweep_config_selectorIiiEEZZNS1_29radix_sort_onesweep_iterationIS3_Lb1EN6thrust23THRUST_200600_302600_NS6detail15normal_iteratorINS8_10device_ptrIiEEEESD_SD_SD_jNS0_19identity_decomposerENS1_16block_id_wrapperIjLb0EEEEE10hipError_tT1_PNSt15iterator_traitsISI_E10value_typeET2_T3_PNSJ_ISO_E10value_typeET4_T5_PST_SU_PNS1_23onesweep_lookback_stateEbbT6_jjT7_P12ihipStream_tbENKUlT_T0_SI_SN_E_clISD_PiSD_S15_EEDaS11_S12_SI_SN_EUlS11_E_NS1_11comp_targetILNS1_3genE2ELNS1_11target_archE906ELNS1_3gpuE6ELNS1_3repE0EEENS1_47radix_sort_onesweep_sort_config_static_selectorELNS0_4arch9wavefront6targetE1EEEvSI_.has_dyn_sized_stack, 0
	.set _ZN7rocprim17ROCPRIM_400000_NS6detail17trampoline_kernelINS0_14default_configENS1_35radix_sort_onesweep_config_selectorIiiEEZZNS1_29radix_sort_onesweep_iterationIS3_Lb1EN6thrust23THRUST_200600_302600_NS6detail15normal_iteratorINS8_10device_ptrIiEEEESD_SD_SD_jNS0_19identity_decomposerENS1_16block_id_wrapperIjLb0EEEEE10hipError_tT1_PNSt15iterator_traitsISI_E10value_typeET2_T3_PNSJ_ISO_E10value_typeET4_T5_PST_SU_PNS1_23onesweep_lookback_stateEbbT6_jjT7_P12ihipStream_tbENKUlT_T0_SI_SN_E_clISD_PiSD_S15_EEDaS11_S12_SI_SN_EUlS11_E_NS1_11comp_targetILNS1_3genE2ELNS1_11target_archE906ELNS1_3gpuE6ELNS1_3repE0EEENS1_47radix_sort_onesweep_sort_config_static_selectorELNS0_4arch9wavefront6targetE1EEEvSI_.has_recursion, 0
	.set _ZN7rocprim17ROCPRIM_400000_NS6detail17trampoline_kernelINS0_14default_configENS1_35radix_sort_onesweep_config_selectorIiiEEZZNS1_29radix_sort_onesweep_iterationIS3_Lb1EN6thrust23THRUST_200600_302600_NS6detail15normal_iteratorINS8_10device_ptrIiEEEESD_SD_SD_jNS0_19identity_decomposerENS1_16block_id_wrapperIjLb0EEEEE10hipError_tT1_PNSt15iterator_traitsISI_E10value_typeET2_T3_PNSJ_ISO_E10value_typeET4_T5_PST_SU_PNS1_23onesweep_lookback_stateEbbT6_jjT7_P12ihipStream_tbENKUlT_T0_SI_SN_E_clISD_PiSD_S15_EEDaS11_S12_SI_SN_EUlS11_E_NS1_11comp_targetILNS1_3genE2ELNS1_11target_archE906ELNS1_3gpuE6ELNS1_3repE0EEENS1_47radix_sort_onesweep_sort_config_static_selectorELNS0_4arch9wavefront6targetE1EEEvSI_.has_indirect_call, 0
	.section	.AMDGPU.csdata,"",@progbits
; Kernel info:
; codeLenInByte = 0
; TotalNumSgprs: 6
; NumVgprs: 0
; NumAgprs: 0
; TotalNumVgprs: 0
; ScratchSize: 0
; MemoryBound: 0
; FloatMode: 240
; IeeeMode: 1
; LDSByteSize: 0 bytes/workgroup (compile time only)
; SGPRBlocks: 0
; VGPRBlocks: 0
; NumSGPRsForWavesPerEU: 6
; NumVGPRsForWavesPerEU: 1
; AccumOffset: 4
; Occupancy: 8
; WaveLimiterHint : 0
; COMPUTE_PGM_RSRC2:SCRATCH_EN: 0
; COMPUTE_PGM_RSRC2:USER_SGPR: 2
; COMPUTE_PGM_RSRC2:TRAP_HANDLER: 0
; COMPUTE_PGM_RSRC2:TGID_X_EN: 1
; COMPUTE_PGM_RSRC2:TGID_Y_EN: 0
; COMPUTE_PGM_RSRC2:TGID_Z_EN: 0
; COMPUTE_PGM_RSRC2:TIDIG_COMP_CNT: 0
; COMPUTE_PGM_RSRC3_GFX90A:ACCUM_OFFSET: 0
; COMPUTE_PGM_RSRC3_GFX90A:TG_SPLIT: 0
	.section	.text._ZN7rocprim17ROCPRIM_400000_NS6detail17trampoline_kernelINS0_14default_configENS1_35radix_sort_onesweep_config_selectorIiiEEZZNS1_29radix_sort_onesweep_iterationIS3_Lb1EN6thrust23THRUST_200600_302600_NS6detail15normal_iteratorINS8_10device_ptrIiEEEESD_SD_SD_jNS0_19identity_decomposerENS1_16block_id_wrapperIjLb0EEEEE10hipError_tT1_PNSt15iterator_traitsISI_E10value_typeET2_T3_PNSJ_ISO_E10value_typeET4_T5_PST_SU_PNS1_23onesweep_lookback_stateEbbT6_jjT7_P12ihipStream_tbENKUlT_T0_SI_SN_E_clISD_PiSD_S15_EEDaS11_S12_SI_SN_EUlS11_E_NS1_11comp_targetILNS1_3genE4ELNS1_11target_archE910ELNS1_3gpuE8ELNS1_3repE0EEENS1_47radix_sort_onesweep_sort_config_static_selectorELNS0_4arch9wavefront6targetE1EEEvSI_,"axG",@progbits,_ZN7rocprim17ROCPRIM_400000_NS6detail17trampoline_kernelINS0_14default_configENS1_35radix_sort_onesweep_config_selectorIiiEEZZNS1_29radix_sort_onesweep_iterationIS3_Lb1EN6thrust23THRUST_200600_302600_NS6detail15normal_iteratorINS8_10device_ptrIiEEEESD_SD_SD_jNS0_19identity_decomposerENS1_16block_id_wrapperIjLb0EEEEE10hipError_tT1_PNSt15iterator_traitsISI_E10value_typeET2_T3_PNSJ_ISO_E10value_typeET4_T5_PST_SU_PNS1_23onesweep_lookback_stateEbbT6_jjT7_P12ihipStream_tbENKUlT_T0_SI_SN_E_clISD_PiSD_S15_EEDaS11_S12_SI_SN_EUlS11_E_NS1_11comp_targetILNS1_3genE4ELNS1_11target_archE910ELNS1_3gpuE8ELNS1_3repE0EEENS1_47radix_sort_onesweep_sort_config_static_selectorELNS0_4arch9wavefront6targetE1EEEvSI_,comdat
	.protected	_ZN7rocprim17ROCPRIM_400000_NS6detail17trampoline_kernelINS0_14default_configENS1_35radix_sort_onesweep_config_selectorIiiEEZZNS1_29radix_sort_onesweep_iterationIS3_Lb1EN6thrust23THRUST_200600_302600_NS6detail15normal_iteratorINS8_10device_ptrIiEEEESD_SD_SD_jNS0_19identity_decomposerENS1_16block_id_wrapperIjLb0EEEEE10hipError_tT1_PNSt15iterator_traitsISI_E10value_typeET2_T3_PNSJ_ISO_E10value_typeET4_T5_PST_SU_PNS1_23onesweep_lookback_stateEbbT6_jjT7_P12ihipStream_tbENKUlT_T0_SI_SN_E_clISD_PiSD_S15_EEDaS11_S12_SI_SN_EUlS11_E_NS1_11comp_targetILNS1_3genE4ELNS1_11target_archE910ELNS1_3gpuE8ELNS1_3repE0EEENS1_47radix_sort_onesweep_sort_config_static_selectorELNS0_4arch9wavefront6targetE1EEEvSI_ ; -- Begin function _ZN7rocprim17ROCPRIM_400000_NS6detail17trampoline_kernelINS0_14default_configENS1_35radix_sort_onesweep_config_selectorIiiEEZZNS1_29radix_sort_onesweep_iterationIS3_Lb1EN6thrust23THRUST_200600_302600_NS6detail15normal_iteratorINS8_10device_ptrIiEEEESD_SD_SD_jNS0_19identity_decomposerENS1_16block_id_wrapperIjLb0EEEEE10hipError_tT1_PNSt15iterator_traitsISI_E10value_typeET2_T3_PNSJ_ISO_E10value_typeET4_T5_PST_SU_PNS1_23onesweep_lookback_stateEbbT6_jjT7_P12ihipStream_tbENKUlT_T0_SI_SN_E_clISD_PiSD_S15_EEDaS11_S12_SI_SN_EUlS11_E_NS1_11comp_targetILNS1_3genE4ELNS1_11target_archE910ELNS1_3gpuE8ELNS1_3repE0EEENS1_47radix_sort_onesweep_sort_config_static_selectorELNS0_4arch9wavefront6targetE1EEEvSI_
	.globl	_ZN7rocprim17ROCPRIM_400000_NS6detail17trampoline_kernelINS0_14default_configENS1_35radix_sort_onesweep_config_selectorIiiEEZZNS1_29radix_sort_onesweep_iterationIS3_Lb1EN6thrust23THRUST_200600_302600_NS6detail15normal_iteratorINS8_10device_ptrIiEEEESD_SD_SD_jNS0_19identity_decomposerENS1_16block_id_wrapperIjLb0EEEEE10hipError_tT1_PNSt15iterator_traitsISI_E10value_typeET2_T3_PNSJ_ISO_E10value_typeET4_T5_PST_SU_PNS1_23onesweep_lookback_stateEbbT6_jjT7_P12ihipStream_tbENKUlT_T0_SI_SN_E_clISD_PiSD_S15_EEDaS11_S12_SI_SN_EUlS11_E_NS1_11comp_targetILNS1_3genE4ELNS1_11target_archE910ELNS1_3gpuE8ELNS1_3repE0EEENS1_47radix_sort_onesweep_sort_config_static_selectorELNS0_4arch9wavefront6targetE1EEEvSI_
	.p2align	8
	.type	_ZN7rocprim17ROCPRIM_400000_NS6detail17trampoline_kernelINS0_14default_configENS1_35radix_sort_onesweep_config_selectorIiiEEZZNS1_29radix_sort_onesweep_iterationIS3_Lb1EN6thrust23THRUST_200600_302600_NS6detail15normal_iteratorINS8_10device_ptrIiEEEESD_SD_SD_jNS0_19identity_decomposerENS1_16block_id_wrapperIjLb0EEEEE10hipError_tT1_PNSt15iterator_traitsISI_E10value_typeET2_T3_PNSJ_ISO_E10value_typeET4_T5_PST_SU_PNS1_23onesweep_lookback_stateEbbT6_jjT7_P12ihipStream_tbENKUlT_T0_SI_SN_E_clISD_PiSD_S15_EEDaS11_S12_SI_SN_EUlS11_E_NS1_11comp_targetILNS1_3genE4ELNS1_11target_archE910ELNS1_3gpuE8ELNS1_3repE0EEENS1_47radix_sort_onesweep_sort_config_static_selectorELNS0_4arch9wavefront6targetE1EEEvSI_,@function
_ZN7rocprim17ROCPRIM_400000_NS6detail17trampoline_kernelINS0_14default_configENS1_35radix_sort_onesweep_config_selectorIiiEEZZNS1_29radix_sort_onesweep_iterationIS3_Lb1EN6thrust23THRUST_200600_302600_NS6detail15normal_iteratorINS8_10device_ptrIiEEEESD_SD_SD_jNS0_19identity_decomposerENS1_16block_id_wrapperIjLb0EEEEE10hipError_tT1_PNSt15iterator_traitsISI_E10value_typeET2_T3_PNSJ_ISO_E10value_typeET4_T5_PST_SU_PNS1_23onesweep_lookback_stateEbbT6_jjT7_P12ihipStream_tbENKUlT_T0_SI_SN_E_clISD_PiSD_S15_EEDaS11_S12_SI_SN_EUlS11_E_NS1_11comp_targetILNS1_3genE4ELNS1_11target_archE910ELNS1_3gpuE8ELNS1_3repE0EEENS1_47radix_sort_onesweep_sort_config_static_selectorELNS0_4arch9wavefront6targetE1EEEvSI_: ; @_ZN7rocprim17ROCPRIM_400000_NS6detail17trampoline_kernelINS0_14default_configENS1_35radix_sort_onesweep_config_selectorIiiEEZZNS1_29radix_sort_onesweep_iterationIS3_Lb1EN6thrust23THRUST_200600_302600_NS6detail15normal_iteratorINS8_10device_ptrIiEEEESD_SD_SD_jNS0_19identity_decomposerENS1_16block_id_wrapperIjLb0EEEEE10hipError_tT1_PNSt15iterator_traitsISI_E10value_typeET2_T3_PNSJ_ISO_E10value_typeET4_T5_PST_SU_PNS1_23onesweep_lookback_stateEbbT6_jjT7_P12ihipStream_tbENKUlT_T0_SI_SN_E_clISD_PiSD_S15_EEDaS11_S12_SI_SN_EUlS11_E_NS1_11comp_targetILNS1_3genE4ELNS1_11target_archE910ELNS1_3gpuE8ELNS1_3repE0EEENS1_47radix_sort_onesweep_sort_config_static_selectorELNS0_4arch9wavefront6targetE1EEEvSI_
; %bb.0:
	.section	.rodata,"a",@progbits
	.p2align	6, 0x0
	.amdhsa_kernel _ZN7rocprim17ROCPRIM_400000_NS6detail17trampoline_kernelINS0_14default_configENS1_35radix_sort_onesweep_config_selectorIiiEEZZNS1_29radix_sort_onesweep_iterationIS3_Lb1EN6thrust23THRUST_200600_302600_NS6detail15normal_iteratorINS8_10device_ptrIiEEEESD_SD_SD_jNS0_19identity_decomposerENS1_16block_id_wrapperIjLb0EEEEE10hipError_tT1_PNSt15iterator_traitsISI_E10value_typeET2_T3_PNSJ_ISO_E10value_typeET4_T5_PST_SU_PNS1_23onesweep_lookback_stateEbbT6_jjT7_P12ihipStream_tbENKUlT_T0_SI_SN_E_clISD_PiSD_S15_EEDaS11_S12_SI_SN_EUlS11_E_NS1_11comp_targetILNS1_3genE4ELNS1_11target_archE910ELNS1_3gpuE8ELNS1_3repE0EEENS1_47radix_sort_onesweep_sort_config_static_selectorELNS0_4arch9wavefront6targetE1EEEvSI_
		.amdhsa_group_segment_fixed_size 0
		.amdhsa_private_segment_fixed_size 0
		.amdhsa_kernarg_size 88
		.amdhsa_user_sgpr_count 2
		.amdhsa_user_sgpr_dispatch_ptr 0
		.amdhsa_user_sgpr_queue_ptr 0
		.amdhsa_user_sgpr_kernarg_segment_ptr 1
		.amdhsa_user_sgpr_dispatch_id 0
		.amdhsa_user_sgpr_kernarg_preload_length 0
		.amdhsa_user_sgpr_kernarg_preload_offset 0
		.amdhsa_user_sgpr_private_segment_size 0
		.amdhsa_uses_dynamic_stack 0
		.amdhsa_enable_private_segment 0
		.amdhsa_system_sgpr_workgroup_id_x 1
		.amdhsa_system_sgpr_workgroup_id_y 0
		.amdhsa_system_sgpr_workgroup_id_z 0
		.amdhsa_system_sgpr_workgroup_info 0
		.amdhsa_system_vgpr_workitem_id 0
		.amdhsa_next_free_vgpr 1
		.amdhsa_next_free_sgpr 0
		.amdhsa_accum_offset 4
		.amdhsa_reserve_vcc 0
		.amdhsa_float_round_mode_32 0
		.amdhsa_float_round_mode_16_64 0
		.amdhsa_float_denorm_mode_32 3
		.amdhsa_float_denorm_mode_16_64 3
		.amdhsa_dx10_clamp 1
		.amdhsa_ieee_mode 1
		.amdhsa_fp16_overflow 0
		.amdhsa_tg_split 0
		.amdhsa_exception_fp_ieee_invalid_op 0
		.amdhsa_exception_fp_denorm_src 0
		.amdhsa_exception_fp_ieee_div_zero 0
		.amdhsa_exception_fp_ieee_overflow 0
		.amdhsa_exception_fp_ieee_underflow 0
		.amdhsa_exception_fp_ieee_inexact 0
		.amdhsa_exception_int_div_zero 0
	.end_amdhsa_kernel
	.section	.text._ZN7rocprim17ROCPRIM_400000_NS6detail17trampoline_kernelINS0_14default_configENS1_35radix_sort_onesweep_config_selectorIiiEEZZNS1_29radix_sort_onesweep_iterationIS3_Lb1EN6thrust23THRUST_200600_302600_NS6detail15normal_iteratorINS8_10device_ptrIiEEEESD_SD_SD_jNS0_19identity_decomposerENS1_16block_id_wrapperIjLb0EEEEE10hipError_tT1_PNSt15iterator_traitsISI_E10value_typeET2_T3_PNSJ_ISO_E10value_typeET4_T5_PST_SU_PNS1_23onesweep_lookback_stateEbbT6_jjT7_P12ihipStream_tbENKUlT_T0_SI_SN_E_clISD_PiSD_S15_EEDaS11_S12_SI_SN_EUlS11_E_NS1_11comp_targetILNS1_3genE4ELNS1_11target_archE910ELNS1_3gpuE8ELNS1_3repE0EEENS1_47radix_sort_onesweep_sort_config_static_selectorELNS0_4arch9wavefront6targetE1EEEvSI_,"axG",@progbits,_ZN7rocprim17ROCPRIM_400000_NS6detail17trampoline_kernelINS0_14default_configENS1_35radix_sort_onesweep_config_selectorIiiEEZZNS1_29radix_sort_onesweep_iterationIS3_Lb1EN6thrust23THRUST_200600_302600_NS6detail15normal_iteratorINS8_10device_ptrIiEEEESD_SD_SD_jNS0_19identity_decomposerENS1_16block_id_wrapperIjLb0EEEEE10hipError_tT1_PNSt15iterator_traitsISI_E10value_typeET2_T3_PNSJ_ISO_E10value_typeET4_T5_PST_SU_PNS1_23onesweep_lookback_stateEbbT6_jjT7_P12ihipStream_tbENKUlT_T0_SI_SN_E_clISD_PiSD_S15_EEDaS11_S12_SI_SN_EUlS11_E_NS1_11comp_targetILNS1_3genE4ELNS1_11target_archE910ELNS1_3gpuE8ELNS1_3repE0EEENS1_47radix_sort_onesweep_sort_config_static_selectorELNS0_4arch9wavefront6targetE1EEEvSI_,comdat
.Lfunc_end1877:
	.size	_ZN7rocprim17ROCPRIM_400000_NS6detail17trampoline_kernelINS0_14default_configENS1_35radix_sort_onesweep_config_selectorIiiEEZZNS1_29radix_sort_onesweep_iterationIS3_Lb1EN6thrust23THRUST_200600_302600_NS6detail15normal_iteratorINS8_10device_ptrIiEEEESD_SD_SD_jNS0_19identity_decomposerENS1_16block_id_wrapperIjLb0EEEEE10hipError_tT1_PNSt15iterator_traitsISI_E10value_typeET2_T3_PNSJ_ISO_E10value_typeET4_T5_PST_SU_PNS1_23onesweep_lookback_stateEbbT6_jjT7_P12ihipStream_tbENKUlT_T0_SI_SN_E_clISD_PiSD_S15_EEDaS11_S12_SI_SN_EUlS11_E_NS1_11comp_targetILNS1_3genE4ELNS1_11target_archE910ELNS1_3gpuE8ELNS1_3repE0EEENS1_47radix_sort_onesweep_sort_config_static_selectorELNS0_4arch9wavefront6targetE1EEEvSI_, .Lfunc_end1877-_ZN7rocprim17ROCPRIM_400000_NS6detail17trampoline_kernelINS0_14default_configENS1_35radix_sort_onesweep_config_selectorIiiEEZZNS1_29radix_sort_onesweep_iterationIS3_Lb1EN6thrust23THRUST_200600_302600_NS6detail15normal_iteratorINS8_10device_ptrIiEEEESD_SD_SD_jNS0_19identity_decomposerENS1_16block_id_wrapperIjLb0EEEEE10hipError_tT1_PNSt15iterator_traitsISI_E10value_typeET2_T3_PNSJ_ISO_E10value_typeET4_T5_PST_SU_PNS1_23onesweep_lookback_stateEbbT6_jjT7_P12ihipStream_tbENKUlT_T0_SI_SN_E_clISD_PiSD_S15_EEDaS11_S12_SI_SN_EUlS11_E_NS1_11comp_targetILNS1_3genE4ELNS1_11target_archE910ELNS1_3gpuE8ELNS1_3repE0EEENS1_47radix_sort_onesweep_sort_config_static_selectorELNS0_4arch9wavefront6targetE1EEEvSI_
                                        ; -- End function
	.set _ZN7rocprim17ROCPRIM_400000_NS6detail17trampoline_kernelINS0_14default_configENS1_35radix_sort_onesweep_config_selectorIiiEEZZNS1_29radix_sort_onesweep_iterationIS3_Lb1EN6thrust23THRUST_200600_302600_NS6detail15normal_iteratorINS8_10device_ptrIiEEEESD_SD_SD_jNS0_19identity_decomposerENS1_16block_id_wrapperIjLb0EEEEE10hipError_tT1_PNSt15iterator_traitsISI_E10value_typeET2_T3_PNSJ_ISO_E10value_typeET4_T5_PST_SU_PNS1_23onesweep_lookback_stateEbbT6_jjT7_P12ihipStream_tbENKUlT_T0_SI_SN_E_clISD_PiSD_S15_EEDaS11_S12_SI_SN_EUlS11_E_NS1_11comp_targetILNS1_3genE4ELNS1_11target_archE910ELNS1_3gpuE8ELNS1_3repE0EEENS1_47radix_sort_onesweep_sort_config_static_selectorELNS0_4arch9wavefront6targetE1EEEvSI_.num_vgpr, 0
	.set _ZN7rocprim17ROCPRIM_400000_NS6detail17trampoline_kernelINS0_14default_configENS1_35radix_sort_onesweep_config_selectorIiiEEZZNS1_29radix_sort_onesweep_iterationIS3_Lb1EN6thrust23THRUST_200600_302600_NS6detail15normal_iteratorINS8_10device_ptrIiEEEESD_SD_SD_jNS0_19identity_decomposerENS1_16block_id_wrapperIjLb0EEEEE10hipError_tT1_PNSt15iterator_traitsISI_E10value_typeET2_T3_PNSJ_ISO_E10value_typeET4_T5_PST_SU_PNS1_23onesweep_lookback_stateEbbT6_jjT7_P12ihipStream_tbENKUlT_T0_SI_SN_E_clISD_PiSD_S15_EEDaS11_S12_SI_SN_EUlS11_E_NS1_11comp_targetILNS1_3genE4ELNS1_11target_archE910ELNS1_3gpuE8ELNS1_3repE0EEENS1_47radix_sort_onesweep_sort_config_static_selectorELNS0_4arch9wavefront6targetE1EEEvSI_.num_agpr, 0
	.set _ZN7rocprim17ROCPRIM_400000_NS6detail17trampoline_kernelINS0_14default_configENS1_35radix_sort_onesweep_config_selectorIiiEEZZNS1_29radix_sort_onesweep_iterationIS3_Lb1EN6thrust23THRUST_200600_302600_NS6detail15normal_iteratorINS8_10device_ptrIiEEEESD_SD_SD_jNS0_19identity_decomposerENS1_16block_id_wrapperIjLb0EEEEE10hipError_tT1_PNSt15iterator_traitsISI_E10value_typeET2_T3_PNSJ_ISO_E10value_typeET4_T5_PST_SU_PNS1_23onesweep_lookback_stateEbbT6_jjT7_P12ihipStream_tbENKUlT_T0_SI_SN_E_clISD_PiSD_S15_EEDaS11_S12_SI_SN_EUlS11_E_NS1_11comp_targetILNS1_3genE4ELNS1_11target_archE910ELNS1_3gpuE8ELNS1_3repE0EEENS1_47radix_sort_onesweep_sort_config_static_selectorELNS0_4arch9wavefront6targetE1EEEvSI_.numbered_sgpr, 0
	.set _ZN7rocprim17ROCPRIM_400000_NS6detail17trampoline_kernelINS0_14default_configENS1_35radix_sort_onesweep_config_selectorIiiEEZZNS1_29radix_sort_onesweep_iterationIS3_Lb1EN6thrust23THRUST_200600_302600_NS6detail15normal_iteratorINS8_10device_ptrIiEEEESD_SD_SD_jNS0_19identity_decomposerENS1_16block_id_wrapperIjLb0EEEEE10hipError_tT1_PNSt15iterator_traitsISI_E10value_typeET2_T3_PNSJ_ISO_E10value_typeET4_T5_PST_SU_PNS1_23onesweep_lookback_stateEbbT6_jjT7_P12ihipStream_tbENKUlT_T0_SI_SN_E_clISD_PiSD_S15_EEDaS11_S12_SI_SN_EUlS11_E_NS1_11comp_targetILNS1_3genE4ELNS1_11target_archE910ELNS1_3gpuE8ELNS1_3repE0EEENS1_47radix_sort_onesweep_sort_config_static_selectorELNS0_4arch9wavefront6targetE1EEEvSI_.num_named_barrier, 0
	.set _ZN7rocprim17ROCPRIM_400000_NS6detail17trampoline_kernelINS0_14default_configENS1_35radix_sort_onesweep_config_selectorIiiEEZZNS1_29radix_sort_onesweep_iterationIS3_Lb1EN6thrust23THRUST_200600_302600_NS6detail15normal_iteratorINS8_10device_ptrIiEEEESD_SD_SD_jNS0_19identity_decomposerENS1_16block_id_wrapperIjLb0EEEEE10hipError_tT1_PNSt15iterator_traitsISI_E10value_typeET2_T3_PNSJ_ISO_E10value_typeET4_T5_PST_SU_PNS1_23onesweep_lookback_stateEbbT6_jjT7_P12ihipStream_tbENKUlT_T0_SI_SN_E_clISD_PiSD_S15_EEDaS11_S12_SI_SN_EUlS11_E_NS1_11comp_targetILNS1_3genE4ELNS1_11target_archE910ELNS1_3gpuE8ELNS1_3repE0EEENS1_47radix_sort_onesweep_sort_config_static_selectorELNS0_4arch9wavefront6targetE1EEEvSI_.private_seg_size, 0
	.set _ZN7rocprim17ROCPRIM_400000_NS6detail17trampoline_kernelINS0_14default_configENS1_35radix_sort_onesweep_config_selectorIiiEEZZNS1_29radix_sort_onesweep_iterationIS3_Lb1EN6thrust23THRUST_200600_302600_NS6detail15normal_iteratorINS8_10device_ptrIiEEEESD_SD_SD_jNS0_19identity_decomposerENS1_16block_id_wrapperIjLb0EEEEE10hipError_tT1_PNSt15iterator_traitsISI_E10value_typeET2_T3_PNSJ_ISO_E10value_typeET4_T5_PST_SU_PNS1_23onesweep_lookback_stateEbbT6_jjT7_P12ihipStream_tbENKUlT_T0_SI_SN_E_clISD_PiSD_S15_EEDaS11_S12_SI_SN_EUlS11_E_NS1_11comp_targetILNS1_3genE4ELNS1_11target_archE910ELNS1_3gpuE8ELNS1_3repE0EEENS1_47radix_sort_onesweep_sort_config_static_selectorELNS0_4arch9wavefront6targetE1EEEvSI_.uses_vcc, 0
	.set _ZN7rocprim17ROCPRIM_400000_NS6detail17trampoline_kernelINS0_14default_configENS1_35radix_sort_onesweep_config_selectorIiiEEZZNS1_29radix_sort_onesweep_iterationIS3_Lb1EN6thrust23THRUST_200600_302600_NS6detail15normal_iteratorINS8_10device_ptrIiEEEESD_SD_SD_jNS0_19identity_decomposerENS1_16block_id_wrapperIjLb0EEEEE10hipError_tT1_PNSt15iterator_traitsISI_E10value_typeET2_T3_PNSJ_ISO_E10value_typeET4_T5_PST_SU_PNS1_23onesweep_lookback_stateEbbT6_jjT7_P12ihipStream_tbENKUlT_T0_SI_SN_E_clISD_PiSD_S15_EEDaS11_S12_SI_SN_EUlS11_E_NS1_11comp_targetILNS1_3genE4ELNS1_11target_archE910ELNS1_3gpuE8ELNS1_3repE0EEENS1_47radix_sort_onesweep_sort_config_static_selectorELNS0_4arch9wavefront6targetE1EEEvSI_.uses_flat_scratch, 0
	.set _ZN7rocprim17ROCPRIM_400000_NS6detail17trampoline_kernelINS0_14default_configENS1_35radix_sort_onesweep_config_selectorIiiEEZZNS1_29radix_sort_onesweep_iterationIS3_Lb1EN6thrust23THRUST_200600_302600_NS6detail15normal_iteratorINS8_10device_ptrIiEEEESD_SD_SD_jNS0_19identity_decomposerENS1_16block_id_wrapperIjLb0EEEEE10hipError_tT1_PNSt15iterator_traitsISI_E10value_typeET2_T3_PNSJ_ISO_E10value_typeET4_T5_PST_SU_PNS1_23onesweep_lookback_stateEbbT6_jjT7_P12ihipStream_tbENKUlT_T0_SI_SN_E_clISD_PiSD_S15_EEDaS11_S12_SI_SN_EUlS11_E_NS1_11comp_targetILNS1_3genE4ELNS1_11target_archE910ELNS1_3gpuE8ELNS1_3repE0EEENS1_47radix_sort_onesweep_sort_config_static_selectorELNS0_4arch9wavefront6targetE1EEEvSI_.has_dyn_sized_stack, 0
	.set _ZN7rocprim17ROCPRIM_400000_NS6detail17trampoline_kernelINS0_14default_configENS1_35radix_sort_onesweep_config_selectorIiiEEZZNS1_29radix_sort_onesweep_iterationIS3_Lb1EN6thrust23THRUST_200600_302600_NS6detail15normal_iteratorINS8_10device_ptrIiEEEESD_SD_SD_jNS0_19identity_decomposerENS1_16block_id_wrapperIjLb0EEEEE10hipError_tT1_PNSt15iterator_traitsISI_E10value_typeET2_T3_PNSJ_ISO_E10value_typeET4_T5_PST_SU_PNS1_23onesweep_lookback_stateEbbT6_jjT7_P12ihipStream_tbENKUlT_T0_SI_SN_E_clISD_PiSD_S15_EEDaS11_S12_SI_SN_EUlS11_E_NS1_11comp_targetILNS1_3genE4ELNS1_11target_archE910ELNS1_3gpuE8ELNS1_3repE0EEENS1_47radix_sort_onesweep_sort_config_static_selectorELNS0_4arch9wavefront6targetE1EEEvSI_.has_recursion, 0
	.set _ZN7rocprim17ROCPRIM_400000_NS6detail17trampoline_kernelINS0_14default_configENS1_35radix_sort_onesweep_config_selectorIiiEEZZNS1_29radix_sort_onesweep_iterationIS3_Lb1EN6thrust23THRUST_200600_302600_NS6detail15normal_iteratorINS8_10device_ptrIiEEEESD_SD_SD_jNS0_19identity_decomposerENS1_16block_id_wrapperIjLb0EEEEE10hipError_tT1_PNSt15iterator_traitsISI_E10value_typeET2_T3_PNSJ_ISO_E10value_typeET4_T5_PST_SU_PNS1_23onesweep_lookback_stateEbbT6_jjT7_P12ihipStream_tbENKUlT_T0_SI_SN_E_clISD_PiSD_S15_EEDaS11_S12_SI_SN_EUlS11_E_NS1_11comp_targetILNS1_3genE4ELNS1_11target_archE910ELNS1_3gpuE8ELNS1_3repE0EEENS1_47radix_sort_onesweep_sort_config_static_selectorELNS0_4arch9wavefront6targetE1EEEvSI_.has_indirect_call, 0
	.section	.AMDGPU.csdata,"",@progbits
; Kernel info:
; codeLenInByte = 0
; TotalNumSgprs: 6
; NumVgprs: 0
; NumAgprs: 0
; TotalNumVgprs: 0
; ScratchSize: 0
; MemoryBound: 0
; FloatMode: 240
; IeeeMode: 1
; LDSByteSize: 0 bytes/workgroup (compile time only)
; SGPRBlocks: 0
; VGPRBlocks: 0
; NumSGPRsForWavesPerEU: 6
; NumVGPRsForWavesPerEU: 1
; AccumOffset: 4
; Occupancy: 8
; WaveLimiterHint : 0
; COMPUTE_PGM_RSRC2:SCRATCH_EN: 0
; COMPUTE_PGM_RSRC2:USER_SGPR: 2
; COMPUTE_PGM_RSRC2:TRAP_HANDLER: 0
; COMPUTE_PGM_RSRC2:TGID_X_EN: 1
; COMPUTE_PGM_RSRC2:TGID_Y_EN: 0
; COMPUTE_PGM_RSRC2:TGID_Z_EN: 0
; COMPUTE_PGM_RSRC2:TIDIG_COMP_CNT: 0
; COMPUTE_PGM_RSRC3_GFX90A:ACCUM_OFFSET: 0
; COMPUTE_PGM_RSRC3_GFX90A:TG_SPLIT: 0
	.section	.text._ZN7rocprim17ROCPRIM_400000_NS6detail17trampoline_kernelINS0_14default_configENS1_35radix_sort_onesweep_config_selectorIiiEEZZNS1_29radix_sort_onesweep_iterationIS3_Lb1EN6thrust23THRUST_200600_302600_NS6detail15normal_iteratorINS8_10device_ptrIiEEEESD_SD_SD_jNS0_19identity_decomposerENS1_16block_id_wrapperIjLb0EEEEE10hipError_tT1_PNSt15iterator_traitsISI_E10value_typeET2_T3_PNSJ_ISO_E10value_typeET4_T5_PST_SU_PNS1_23onesweep_lookback_stateEbbT6_jjT7_P12ihipStream_tbENKUlT_T0_SI_SN_E_clISD_PiSD_S15_EEDaS11_S12_SI_SN_EUlS11_E_NS1_11comp_targetILNS1_3genE3ELNS1_11target_archE908ELNS1_3gpuE7ELNS1_3repE0EEENS1_47radix_sort_onesweep_sort_config_static_selectorELNS0_4arch9wavefront6targetE1EEEvSI_,"axG",@progbits,_ZN7rocprim17ROCPRIM_400000_NS6detail17trampoline_kernelINS0_14default_configENS1_35radix_sort_onesweep_config_selectorIiiEEZZNS1_29radix_sort_onesweep_iterationIS3_Lb1EN6thrust23THRUST_200600_302600_NS6detail15normal_iteratorINS8_10device_ptrIiEEEESD_SD_SD_jNS0_19identity_decomposerENS1_16block_id_wrapperIjLb0EEEEE10hipError_tT1_PNSt15iterator_traitsISI_E10value_typeET2_T3_PNSJ_ISO_E10value_typeET4_T5_PST_SU_PNS1_23onesweep_lookback_stateEbbT6_jjT7_P12ihipStream_tbENKUlT_T0_SI_SN_E_clISD_PiSD_S15_EEDaS11_S12_SI_SN_EUlS11_E_NS1_11comp_targetILNS1_3genE3ELNS1_11target_archE908ELNS1_3gpuE7ELNS1_3repE0EEENS1_47radix_sort_onesweep_sort_config_static_selectorELNS0_4arch9wavefront6targetE1EEEvSI_,comdat
	.protected	_ZN7rocprim17ROCPRIM_400000_NS6detail17trampoline_kernelINS0_14default_configENS1_35radix_sort_onesweep_config_selectorIiiEEZZNS1_29radix_sort_onesweep_iterationIS3_Lb1EN6thrust23THRUST_200600_302600_NS6detail15normal_iteratorINS8_10device_ptrIiEEEESD_SD_SD_jNS0_19identity_decomposerENS1_16block_id_wrapperIjLb0EEEEE10hipError_tT1_PNSt15iterator_traitsISI_E10value_typeET2_T3_PNSJ_ISO_E10value_typeET4_T5_PST_SU_PNS1_23onesweep_lookback_stateEbbT6_jjT7_P12ihipStream_tbENKUlT_T0_SI_SN_E_clISD_PiSD_S15_EEDaS11_S12_SI_SN_EUlS11_E_NS1_11comp_targetILNS1_3genE3ELNS1_11target_archE908ELNS1_3gpuE7ELNS1_3repE0EEENS1_47radix_sort_onesweep_sort_config_static_selectorELNS0_4arch9wavefront6targetE1EEEvSI_ ; -- Begin function _ZN7rocprim17ROCPRIM_400000_NS6detail17trampoline_kernelINS0_14default_configENS1_35radix_sort_onesweep_config_selectorIiiEEZZNS1_29radix_sort_onesweep_iterationIS3_Lb1EN6thrust23THRUST_200600_302600_NS6detail15normal_iteratorINS8_10device_ptrIiEEEESD_SD_SD_jNS0_19identity_decomposerENS1_16block_id_wrapperIjLb0EEEEE10hipError_tT1_PNSt15iterator_traitsISI_E10value_typeET2_T3_PNSJ_ISO_E10value_typeET4_T5_PST_SU_PNS1_23onesweep_lookback_stateEbbT6_jjT7_P12ihipStream_tbENKUlT_T0_SI_SN_E_clISD_PiSD_S15_EEDaS11_S12_SI_SN_EUlS11_E_NS1_11comp_targetILNS1_3genE3ELNS1_11target_archE908ELNS1_3gpuE7ELNS1_3repE0EEENS1_47radix_sort_onesweep_sort_config_static_selectorELNS0_4arch9wavefront6targetE1EEEvSI_
	.globl	_ZN7rocprim17ROCPRIM_400000_NS6detail17trampoline_kernelINS0_14default_configENS1_35radix_sort_onesweep_config_selectorIiiEEZZNS1_29radix_sort_onesweep_iterationIS3_Lb1EN6thrust23THRUST_200600_302600_NS6detail15normal_iteratorINS8_10device_ptrIiEEEESD_SD_SD_jNS0_19identity_decomposerENS1_16block_id_wrapperIjLb0EEEEE10hipError_tT1_PNSt15iterator_traitsISI_E10value_typeET2_T3_PNSJ_ISO_E10value_typeET4_T5_PST_SU_PNS1_23onesweep_lookback_stateEbbT6_jjT7_P12ihipStream_tbENKUlT_T0_SI_SN_E_clISD_PiSD_S15_EEDaS11_S12_SI_SN_EUlS11_E_NS1_11comp_targetILNS1_3genE3ELNS1_11target_archE908ELNS1_3gpuE7ELNS1_3repE0EEENS1_47radix_sort_onesweep_sort_config_static_selectorELNS0_4arch9wavefront6targetE1EEEvSI_
	.p2align	8
	.type	_ZN7rocprim17ROCPRIM_400000_NS6detail17trampoline_kernelINS0_14default_configENS1_35radix_sort_onesweep_config_selectorIiiEEZZNS1_29radix_sort_onesweep_iterationIS3_Lb1EN6thrust23THRUST_200600_302600_NS6detail15normal_iteratorINS8_10device_ptrIiEEEESD_SD_SD_jNS0_19identity_decomposerENS1_16block_id_wrapperIjLb0EEEEE10hipError_tT1_PNSt15iterator_traitsISI_E10value_typeET2_T3_PNSJ_ISO_E10value_typeET4_T5_PST_SU_PNS1_23onesweep_lookback_stateEbbT6_jjT7_P12ihipStream_tbENKUlT_T0_SI_SN_E_clISD_PiSD_S15_EEDaS11_S12_SI_SN_EUlS11_E_NS1_11comp_targetILNS1_3genE3ELNS1_11target_archE908ELNS1_3gpuE7ELNS1_3repE0EEENS1_47radix_sort_onesweep_sort_config_static_selectorELNS0_4arch9wavefront6targetE1EEEvSI_,@function
_ZN7rocprim17ROCPRIM_400000_NS6detail17trampoline_kernelINS0_14default_configENS1_35radix_sort_onesweep_config_selectorIiiEEZZNS1_29radix_sort_onesweep_iterationIS3_Lb1EN6thrust23THRUST_200600_302600_NS6detail15normal_iteratorINS8_10device_ptrIiEEEESD_SD_SD_jNS0_19identity_decomposerENS1_16block_id_wrapperIjLb0EEEEE10hipError_tT1_PNSt15iterator_traitsISI_E10value_typeET2_T3_PNSJ_ISO_E10value_typeET4_T5_PST_SU_PNS1_23onesweep_lookback_stateEbbT6_jjT7_P12ihipStream_tbENKUlT_T0_SI_SN_E_clISD_PiSD_S15_EEDaS11_S12_SI_SN_EUlS11_E_NS1_11comp_targetILNS1_3genE3ELNS1_11target_archE908ELNS1_3gpuE7ELNS1_3repE0EEENS1_47radix_sort_onesweep_sort_config_static_selectorELNS0_4arch9wavefront6targetE1EEEvSI_: ; @_ZN7rocprim17ROCPRIM_400000_NS6detail17trampoline_kernelINS0_14default_configENS1_35radix_sort_onesweep_config_selectorIiiEEZZNS1_29radix_sort_onesweep_iterationIS3_Lb1EN6thrust23THRUST_200600_302600_NS6detail15normal_iteratorINS8_10device_ptrIiEEEESD_SD_SD_jNS0_19identity_decomposerENS1_16block_id_wrapperIjLb0EEEEE10hipError_tT1_PNSt15iterator_traitsISI_E10value_typeET2_T3_PNSJ_ISO_E10value_typeET4_T5_PST_SU_PNS1_23onesweep_lookback_stateEbbT6_jjT7_P12ihipStream_tbENKUlT_T0_SI_SN_E_clISD_PiSD_S15_EEDaS11_S12_SI_SN_EUlS11_E_NS1_11comp_targetILNS1_3genE3ELNS1_11target_archE908ELNS1_3gpuE7ELNS1_3repE0EEENS1_47radix_sort_onesweep_sort_config_static_selectorELNS0_4arch9wavefront6targetE1EEEvSI_
; %bb.0:
	.section	.rodata,"a",@progbits
	.p2align	6, 0x0
	.amdhsa_kernel _ZN7rocprim17ROCPRIM_400000_NS6detail17trampoline_kernelINS0_14default_configENS1_35radix_sort_onesweep_config_selectorIiiEEZZNS1_29radix_sort_onesweep_iterationIS3_Lb1EN6thrust23THRUST_200600_302600_NS6detail15normal_iteratorINS8_10device_ptrIiEEEESD_SD_SD_jNS0_19identity_decomposerENS1_16block_id_wrapperIjLb0EEEEE10hipError_tT1_PNSt15iterator_traitsISI_E10value_typeET2_T3_PNSJ_ISO_E10value_typeET4_T5_PST_SU_PNS1_23onesweep_lookback_stateEbbT6_jjT7_P12ihipStream_tbENKUlT_T0_SI_SN_E_clISD_PiSD_S15_EEDaS11_S12_SI_SN_EUlS11_E_NS1_11comp_targetILNS1_3genE3ELNS1_11target_archE908ELNS1_3gpuE7ELNS1_3repE0EEENS1_47radix_sort_onesweep_sort_config_static_selectorELNS0_4arch9wavefront6targetE1EEEvSI_
		.amdhsa_group_segment_fixed_size 0
		.amdhsa_private_segment_fixed_size 0
		.amdhsa_kernarg_size 88
		.amdhsa_user_sgpr_count 2
		.amdhsa_user_sgpr_dispatch_ptr 0
		.amdhsa_user_sgpr_queue_ptr 0
		.amdhsa_user_sgpr_kernarg_segment_ptr 1
		.amdhsa_user_sgpr_dispatch_id 0
		.amdhsa_user_sgpr_kernarg_preload_length 0
		.amdhsa_user_sgpr_kernarg_preload_offset 0
		.amdhsa_user_sgpr_private_segment_size 0
		.amdhsa_uses_dynamic_stack 0
		.amdhsa_enable_private_segment 0
		.amdhsa_system_sgpr_workgroup_id_x 1
		.amdhsa_system_sgpr_workgroup_id_y 0
		.amdhsa_system_sgpr_workgroup_id_z 0
		.amdhsa_system_sgpr_workgroup_info 0
		.amdhsa_system_vgpr_workitem_id 0
		.amdhsa_next_free_vgpr 1
		.amdhsa_next_free_sgpr 0
		.amdhsa_accum_offset 4
		.amdhsa_reserve_vcc 0
		.amdhsa_float_round_mode_32 0
		.amdhsa_float_round_mode_16_64 0
		.amdhsa_float_denorm_mode_32 3
		.amdhsa_float_denorm_mode_16_64 3
		.amdhsa_dx10_clamp 1
		.amdhsa_ieee_mode 1
		.amdhsa_fp16_overflow 0
		.amdhsa_tg_split 0
		.amdhsa_exception_fp_ieee_invalid_op 0
		.amdhsa_exception_fp_denorm_src 0
		.amdhsa_exception_fp_ieee_div_zero 0
		.amdhsa_exception_fp_ieee_overflow 0
		.amdhsa_exception_fp_ieee_underflow 0
		.amdhsa_exception_fp_ieee_inexact 0
		.amdhsa_exception_int_div_zero 0
	.end_amdhsa_kernel
	.section	.text._ZN7rocprim17ROCPRIM_400000_NS6detail17trampoline_kernelINS0_14default_configENS1_35radix_sort_onesweep_config_selectorIiiEEZZNS1_29radix_sort_onesweep_iterationIS3_Lb1EN6thrust23THRUST_200600_302600_NS6detail15normal_iteratorINS8_10device_ptrIiEEEESD_SD_SD_jNS0_19identity_decomposerENS1_16block_id_wrapperIjLb0EEEEE10hipError_tT1_PNSt15iterator_traitsISI_E10value_typeET2_T3_PNSJ_ISO_E10value_typeET4_T5_PST_SU_PNS1_23onesweep_lookback_stateEbbT6_jjT7_P12ihipStream_tbENKUlT_T0_SI_SN_E_clISD_PiSD_S15_EEDaS11_S12_SI_SN_EUlS11_E_NS1_11comp_targetILNS1_3genE3ELNS1_11target_archE908ELNS1_3gpuE7ELNS1_3repE0EEENS1_47radix_sort_onesweep_sort_config_static_selectorELNS0_4arch9wavefront6targetE1EEEvSI_,"axG",@progbits,_ZN7rocprim17ROCPRIM_400000_NS6detail17trampoline_kernelINS0_14default_configENS1_35radix_sort_onesweep_config_selectorIiiEEZZNS1_29radix_sort_onesweep_iterationIS3_Lb1EN6thrust23THRUST_200600_302600_NS6detail15normal_iteratorINS8_10device_ptrIiEEEESD_SD_SD_jNS0_19identity_decomposerENS1_16block_id_wrapperIjLb0EEEEE10hipError_tT1_PNSt15iterator_traitsISI_E10value_typeET2_T3_PNSJ_ISO_E10value_typeET4_T5_PST_SU_PNS1_23onesweep_lookback_stateEbbT6_jjT7_P12ihipStream_tbENKUlT_T0_SI_SN_E_clISD_PiSD_S15_EEDaS11_S12_SI_SN_EUlS11_E_NS1_11comp_targetILNS1_3genE3ELNS1_11target_archE908ELNS1_3gpuE7ELNS1_3repE0EEENS1_47radix_sort_onesweep_sort_config_static_selectorELNS0_4arch9wavefront6targetE1EEEvSI_,comdat
.Lfunc_end1878:
	.size	_ZN7rocprim17ROCPRIM_400000_NS6detail17trampoline_kernelINS0_14default_configENS1_35radix_sort_onesweep_config_selectorIiiEEZZNS1_29radix_sort_onesweep_iterationIS3_Lb1EN6thrust23THRUST_200600_302600_NS6detail15normal_iteratorINS8_10device_ptrIiEEEESD_SD_SD_jNS0_19identity_decomposerENS1_16block_id_wrapperIjLb0EEEEE10hipError_tT1_PNSt15iterator_traitsISI_E10value_typeET2_T3_PNSJ_ISO_E10value_typeET4_T5_PST_SU_PNS1_23onesweep_lookback_stateEbbT6_jjT7_P12ihipStream_tbENKUlT_T0_SI_SN_E_clISD_PiSD_S15_EEDaS11_S12_SI_SN_EUlS11_E_NS1_11comp_targetILNS1_3genE3ELNS1_11target_archE908ELNS1_3gpuE7ELNS1_3repE0EEENS1_47radix_sort_onesweep_sort_config_static_selectorELNS0_4arch9wavefront6targetE1EEEvSI_, .Lfunc_end1878-_ZN7rocprim17ROCPRIM_400000_NS6detail17trampoline_kernelINS0_14default_configENS1_35radix_sort_onesweep_config_selectorIiiEEZZNS1_29radix_sort_onesweep_iterationIS3_Lb1EN6thrust23THRUST_200600_302600_NS6detail15normal_iteratorINS8_10device_ptrIiEEEESD_SD_SD_jNS0_19identity_decomposerENS1_16block_id_wrapperIjLb0EEEEE10hipError_tT1_PNSt15iterator_traitsISI_E10value_typeET2_T3_PNSJ_ISO_E10value_typeET4_T5_PST_SU_PNS1_23onesweep_lookback_stateEbbT6_jjT7_P12ihipStream_tbENKUlT_T0_SI_SN_E_clISD_PiSD_S15_EEDaS11_S12_SI_SN_EUlS11_E_NS1_11comp_targetILNS1_3genE3ELNS1_11target_archE908ELNS1_3gpuE7ELNS1_3repE0EEENS1_47radix_sort_onesweep_sort_config_static_selectorELNS0_4arch9wavefront6targetE1EEEvSI_
                                        ; -- End function
	.set _ZN7rocprim17ROCPRIM_400000_NS6detail17trampoline_kernelINS0_14default_configENS1_35radix_sort_onesweep_config_selectorIiiEEZZNS1_29radix_sort_onesweep_iterationIS3_Lb1EN6thrust23THRUST_200600_302600_NS6detail15normal_iteratorINS8_10device_ptrIiEEEESD_SD_SD_jNS0_19identity_decomposerENS1_16block_id_wrapperIjLb0EEEEE10hipError_tT1_PNSt15iterator_traitsISI_E10value_typeET2_T3_PNSJ_ISO_E10value_typeET4_T5_PST_SU_PNS1_23onesweep_lookback_stateEbbT6_jjT7_P12ihipStream_tbENKUlT_T0_SI_SN_E_clISD_PiSD_S15_EEDaS11_S12_SI_SN_EUlS11_E_NS1_11comp_targetILNS1_3genE3ELNS1_11target_archE908ELNS1_3gpuE7ELNS1_3repE0EEENS1_47radix_sort_onesweep_sort_config_static_selectorELNS0_4arch9wavefront6targetE1EEEvSI_.num_vgpr, 0
	.set _ZN7rocprim17ROCPRIM_400000_NS6detail17trampoline_kernelINS0_14default_configENS1_35radix_sort_onesweep_config_selectorIiiEEZZNS1_29radix_sort_onesweep_iterationIS3_Lb1EN6thrust23THRUST_200600_302600_NS6detail15normal_iteratorINS8_10device_ptrIiEEEESD_SD_SD_jNS0_19identity_decomposerENS1_16block_id_wrapperIjLb0EEEEE10hipError_tT1_PNSt15iterator_traitsISI_E10value_typeET2_T3_PNSJ_ISO_E10value_typeET4_T5_PST_SU_PNS1_23onesweep_lookback_stateEbbT6_jjT7_P12ihipStream_tbENKUlT_T0_SI_SN_E_clISD_PiSD_S15_EEDaS11_S12_SI_SN_EUlS11_E_NS1_11comp_targetILNS1_3genE3ELNS1_11target_archE908ELNS1_3gpuE7ELNS1_3repE0EEENS1_47radix_sort_onesweep_sort_config_static_selectorELNS0_4arch9wavefront6targetE1EEEvSI_.num_agpr, 0
	.set _ZN7rocprim17ROCPRIM_400000_NS6detail17trampoline_kernelINS0_14default_configENS1_35radix_sort_onesweep_config_selectorIiiEEZZNS1_29radix_sort_onesweep_iterationIS3_Lb1EN6thrust23THRUST_200600_302600_NS6detail15normal_iteratorINS8_10device_ptrIiEEEESD_SD_SD_jNS0_19identity_decomposerENS1_16block_id_wrapperIjLb0EEEEE10hipError_tT1_PNSt15iterator_traitsISI_E10value_typeET2_T3_PNSJ_ISO_E10value_typeET4_T5_PST_SU_PNS1_23onesweep_lookback_stateEbbT6_jjT7_P12ihipStream_tbENKUlT_T0_SI_SN_E_clISD_PiSD_S15_EEDaS11_S12_SI_SN_EUlS11_E_NS1_11comp_targetILNS1_3genE3ELNS1_11target_archE908ELNS1_3gpuE7ELNS1_3repE0EEENS1_47radix_sort_onesweep_sort_config_static_selectorELNS0_4arch9wavefront6targetE1EEEvSI_.numbered_sgpr, 0
	.set _ZN7rocprim17ROCPRIM_400000_NS6detail17trampoline_kernelINS0_14default_configENS1_35radix_sort_onesweep_config_selectorIiiEEZZNS1_29radix_sort_onesweep_iterationIS3_Lb1EN6thrust23THRUST_200600_302600_NS6detail15normal_iteratorINS8_10device_ptrIiEEEESD_SD_SD_jNS0_19identity_decomposerENS1_16block_id_wrapperIjLb0EEEEE10hipError_tT1_PNSt15iterator_traitsISI_E10value_typeET2_T3_PNSJ_ISO_E10value_typeET4_T5_PST_SU_PNS1_23onesweep_lookback_stateEbbT6_jjT7_P12ihipStream_tbENKUlT_T0_SI_SN_E_clISD_PiSD_S15_EEDaS11_S12_SI_SN_EUlS11_E_NS1_11comp_targetILNS1_3genE3ELNS1_11target_archE908ELNS1_3gpuE7ELNS1_3repE0EEENS1_47radix_sort_onesweep_sort_config_static_selectorELNS0_4arch9wavefront6targetE1EEEvSI_.num_named_barrier, 0
	.set _ZN7rocprim17ROCPRIM_400000_NS6detail17trampoline_kernelINS0_14default_configENS1_35radix_sort_onesweep_config_selectorIiiEEZZNS1_29radix_sort_onesweep_iterationIS3_Lb1EN6thrust23THRUST_200600_302600_NS6detail15normal_iteratorINS8_10device_ptrIiEEEESD_SD_SD_jNS0_19identity_decomposerENS1_16block_id_wrapperIjLb0EEEEE10hipError_tT1_PNSt15iterator_traitsISI_E10value_typeET2_T3_PNSJ_ISO_E10value_typeET4_T5_PST_SU_PNS1_23onesweep_lookback_stateEbbT6_jjT7_P12ihipStream_tbENKUlT_T0_SI_SN_E_clISD_PiSD_S15_EEDaS11_S12_SI_SN_EUlS11_E_NS1_11comp_targetILNS1_3genE3ELNS1_11target_archE908ELNS1_3gpuE7ELNS1_3repE0EEENS1_47radix_sort_onesweep_sort_config_static_selectorELNS0_4arch9wavefront6targetE1EEEvSI_.private_seg_size, 0
	.set _ZN7rocprim17ROCPRIM_400000_NS6detail17trampoline_kernelINS0_14default_configENS1_35radix_sort_onesweep_config_selectorIiiEEZZNS1_29radix_sort_onesweep_iterationIS3_Lb1EN6thrust23THRUST_200600_302600_NS6detail15normal_iteratorINS8_10device_ptrIiEEEESD_SD_SD_jNS0_19identity_decomposerENS1_16block_id_wrapperIjLb0EEEEE10hipError_tT1_PNSt15iterator_traitsISI_E10value_typeET2_T3_PNSJ_ISO_E10value_typeET4_T5_PST_SU_PNS1_23onesweep_lookback_stateEbbT6_jjT7_P12ihipStream_tbENKUlT_T0_SI_SN_E_clISD_PiSD_S15_EEDaS11_S12_SI_SN_EUlS11_E_NS1_11comp_targetILNS1_3genE3ELNS1_11target_archE908ELNS1_3gpuE7ELNS1_3repE0EEENS1_47radix_sort_onesweep_sort_config_static_selectorELNS0_4arch9wavefront6targetE1EEEvSI_.uses_vcc, 0
	.set _ZN7rocprim17ROCPRIM_400000_NS6detail17trampoline_kernelINS0_14default_configENS1_35radix_sort_onesweep_config_selectorIiiEEZZNS1_29radix_sort_onesweep_iterationIS3_Lb1EN6thrust23THRUST_200600_302600_NS6detail15normal_iteratorINS8_10device_ptrIiEEEESD_SD_SD_jNS0_19identity_decomposerENS1_16block_id_wrapperIjLb0EEEEE10hipError_tT1_PNSt15iterator_traitsISI_E10value_typeET2_T3_PNSJ_ISO_E10value_typeET4_T5_PST_SU_PNS1_23onesweep_lookback_stateEbbT6_jjT7_P12ihipStream_tbENKUlT_T0_SI_SN_E_clISD_PiSD_S15_EEDaS11_S12_SI_SN_EUlS11_E_NS1_11comp_targetILNS1_3genE3ELNS1_11target_archE908ELNS1_3gpuE7ELNS1_3repE0EEENS1_47radix_sort_onesweep_sort_config_static_selectorELNS0_4arch9wavefront6targetE1EEEvSI_.uses_flat_scratch, 0
	.set _ZN7rocprim17ROCPRIM_400000_NS6detail17trampoline_kernelINS0_14default_configENS1_35radix_sort_onesweep_config_selectorIiiEEZZNS1_29radix_sort_onesweep_iterationIS3_Lb1EN6thrust23THRUST_200600_302600_NS6detail15normal_iteratorINS8_10device_ptrIiEEEESD_SD_SD_jNS0_19identity_decomposerENS1_16block_id_wrapperIjLb0EEEEE10hipError_tT1_PNSt15iterator_traitsISI_E10value_typeET2_T3_PNSJ_ISO_E10value_typeET4_T5_PST_SU_PNS1_23onesweep_lookback_stateEbbT6_jjT7_P12ihipStream_tbENKUlT_T0_SI_SN_E_clISD_PiSD_S15_EEDaS11_S12_SI_SN_EUlS11_E_NS1_11comp_targetILNS1_3genE3ELNS1_11target_archE908ELNS1_3gpuE7ELNS1_3repE0EEENS1_47radix_sort_onesweep_sort_config_static_selectorELNS0_4arch9wavefront6targetE1EEEvSI_.has_dyn_sized_stack, 0
	.set _ZN7rocprim17ROCPRIM_400000_NS6detail17trampoline_kernelINS0_14default_configENS1_35radix_sort_onesweep_config_selectorIiiEEZZNS1_29radix_sort_onesweep_iterationIS3_Lb1EN6thrust23THRUST_200600_302600_NS6detail15normal_iteratorINS8_10device_ptrIiEEEESD_SD_SD_jNS0_19identity_decomposerENS1_16block_id_wrapperIjLb0EEEEE10hipError_tT1_PNSt15iterator_traitsISI_E10value_typeET2_T3_PNSJ_ISO_E10value_typeET4_T5_PST_SU_PNS1_23onesweep_lookback_stateEbbT6_jjT7_P12ihipStream_tbENKUlT_T0_SI_SN_E_clISD_PiSD_S15_EEDaS11_S12_SI_SN_EUlS11_E_NS1_11comp_targetILNS1_3genE3ELNS1_11target_archE908ELNS1_3gpuE7ELNS1_3repE0EEENS1_47radix_sort_onesweep_sort_config_static_selectorELNS0_4arch9wavefront6targetE1EEEvSI_.has_recursion, 0
	.set _ZN7rocprim17ROCPRIM_400000_NS6detail17trampoline_kernelINS0_14default_configENS1_35radix_sort_onesweep_config_selectorIiiEEZZNS1_29radix_sort_onesweep_iterationIS3_Lb1EN6thrust23THRUST_200600_302600_NS6detail15normal_iteratorINS8_10device_ptrIiEEEESD_SD_SD_jNS0_19identity_decomposerENS1_16block_id_wrapperIjLb0EEEEE10hipError_tT1_PNSt15iterator_traitsISI_E10value_typeET2_T3_PNSJ_ISO_E10value_typeET4_T5_PST_SU_PNS1_23onesweep_lookback_stateEbbT6_jjT7_P12ihipStream_tbENKUlT_T0_SI_SN_E_clISD_PiSD_S15_EEDaS11_S12_SI_SN_EUlS11_E_NS1_11comp_targetILNS1_3genE3ELNS1_11target_archE908ELNS1_3gpuE7ELNS1_3repE0EEENS1_47radix_sort_onesweep_sort_config_static_selectorELNS0_4arch9wavefront6targetE1EEEvSI_.has_indirect_call, 0
	.section	.AMDGPU.csdata,"",@progbits
; Kernel info:
; codeLenInByte = 0
; TotalNumSgprs: 6
; NumVgprs: 0
; NumAgprs: 0
; TotalNumVgprs: 0
; ScratchSize: 0
; MemoryBound: 0
; FloatMode: 240
; IeeeMode: 1
; LDSByteSize: 0 bytes/workgroup (compile time only)
; SGPRBlocks: 0
; VGPRBlocks: 0
; NumSGPRsForWavesPerEU: 6
; NumVGPRsForWavesPerEU: 1
; AccumOffset: 4
; Occupancy: 8
; WaveLimiterHint : 0
; COMPUTE_PGM_RSRC2:SCRATCH_EN: 0
; COMPUTE_PGM_RSRC2:USER_SGPR: 2
; COMPUTE_PGM_RSRC2:TRAP_HANDLER: 0
; COMPUTE_PGM_RSRC2:TGID_X_EN: 1
; COMPUTE_PGM_RSRC2:TGID_Y_EN: 0
; COMPUTE_PGM_RSRC2:TGID_Z_EN: 0
; COMPUTE_PGM_RSRC2:TIDIG_COMP_CNT: 0
; COMPUTE_PGM_RSRC3_GFX90A:ACCUM_OFFSET: 0
; COMPUTE_PGM_RSRC3_GFX90A:TG_SPLIT: 0
	.section	.text._ZN7rocprim17ROCPRIM_400000_NS6detail17trampoline_kernelINS0_14default_configENS1_35radix_sort_onesweep_config_selectorIiiEEZZNS1_29radix_sort_onesweep_iterationIS3_Lb1EN6thrust23THRUST_200600_302600_NS6detail15normal_iteratorINS8_10device_ptrIiEEEESD_SD_SD_jNS0_19identity_decomposerENS1_16block_id_wrapperIjLb0EEEEE10hipError_tT1_PNSt15iterator_traitsISI_E10value_typeET2_T3_PNSJ_ISO_E10value_typeET4_T5_PST_SU_PNS1_23onesweep_lookback_stateEbbT6_jjT7_P12ihipStream_tbENKUlT_T0_SI_SN_E_clISD_PiSD_S15_EEDaS11_S12_SI_SN_EUlS11_E_NS1_11comp_targetILNS1_3genE10ELNS1_11target_archE1201ELNS1_3gpuE5ELNS1_3repE0EEENS1_47radix_sort_onesweep_sort_config_static_selectorELNS0_4arch9wavefront6targetE1EEEvSI_,"axG",@progbits,_ZN7rocprim17ROCPRIM_400000_NS6detail17trampoline_kernelINS0_14default_configENS1_35radix_sort_onesweep_config_selectorIiiEEZZNS1_29radix_sort_onesweep_iterationIS3_Lb1EN6thrust23THRUST_200600_302600_NS6detail15normal_iteratorINS8_10device_ptrIiEEEESD_SD_SD_jNS0_19identity_decomposerENS1_16block_id_wrapperIjLb0EEEEE10hipError_tT1_PNSt15iterator_traitsISI_E10value_typeET2_T3_PNSJ_ISO_E10value_typeET4_T5_PST_SU_PNS1_23onesweep_lookback_stateEbbT6_jjT7_P12ihipStream_tbENKUlT_T0_SI_SN_E_clISD_PiSD_S15_EEDaS11_S12_SI_SN_EUlS11_E_NS1_11comp_targetILNS1_3genE10ELNS1_11target_archE1201ELNS1_3gpuE5ELNS1_3repE0EEENS1_47radix_sort_onesweep_sort_config_static_selectorELNS0_4arch9wavefront6targetE1EEEvSI_,comdat
	.protected	_ZN7rocprim17ROCPRIM_400000_NS6detail17trampoline_kernelINS0_14default_configENS1_35radix_sort_onesweep_config_selectorIiiEEZZNS1_29radix_sort_onesweep_iterationIS3_Lb1EN6thrust23THRUST_200600_302600_NS6detail15normal_iteratorINS8_10device_ptrIiEEEESD_SD_SD_jNS0_19identity_decomposerENS1_16block_id_wrapperIjLb0EEEEE10hipError_tT1_PNSt15iterator_traitsISI_E10value_typeET2_T3_PNSJ_ISO_E10value_typeET4_T5_PST_SU_PNS1_23onesweep_lookback_stateEbbT6_jjT7_P12ihipStream_tbENKUlT_T0_SI_SN_E_clISD_PiSD_S15_EEDaS11_S12_SI_SN_EUlS11_E_NS1_11comp_targetILNS1_3genE10ELNS1_11target_archE1201ELNS1_3gpuE5ELNS1_3repE0EEENS1_47radix_sort_onesweep_sort_config_static_selectorELNS0_4arch9wavefront6targetE1EEEvSI_ ; -- Begin function _ZN7rocprim17ROCPRIM_400000_NS6detail17trampoline_kernelINS0_14default_configENS1_35radix_sort_onesweep_config_selectorIiiEEZZNS1_29radix_sort_onesweep_iterationIS3_Lb1EN6thrust23THRUST_200600_302600_NS6detail15normal_iteratorINS8_10device_ptrIiEEEESD_SD_SD_jNS0_19identity_decomposerENS1_16block_id_wrapperIjLb0EEEEE10hipError_tT1_PNSt15iterator_traitsISI_E10value_typeET2_T3_PNSJ_ISO_E10value_typeET4_T5_PST_SU_PNS1_23onesweep_lookback_stateEbbT6_jjT7_P12ihipStream_tbENKUlT_T0_SI_SN_E_clISD_PiSD_S15_EEDaS11_S12_SI_SN_EUlS11_E_NS1_11comp_targetILNS1_3genE10ELNS1_11target_archE1201ELNS1_3gpuE5ELNS1_3repE0EEENS1_47radix_sort_onesweep_sort_config_static_selectorELNS0_4arch9wavefront6targetE1EEEvSI_
	.globl	_ZN7rocprim17ROCPRIM_400000_NS6detail17trampoline_kernelINS0_14default_configENS1_35radix_sort_onesweep_config_selectorIiiEEZZNS1_29radix_sort_onesweep_iterationIS3_Lb1EN6thrust23THRUST_200600_302600_NS6detail15normal_iteratorINS8_10device_ptrIiEEEESD_SD_SD_jNS0_19identity_decomposerENS1_16block_id_wrapperIjLb0EEEEE10hipError_tT1_PNSt15iterator_traitsISI_E10value_typeET2_T3_PNSJ_ISO_E10value_typeET4_T5_PST_SU_PNS1_23onesweep_lookback_stateEbbT6_jjT7_P12ihipStream_tbENKUlT_T0_SI_SN_E_clISD_PiSD_S15_EEDaS11_S12_SI_SN_EUlS11_E_NS1_11comp_targetILNS1_3genE10ELNS1_11target_archE1201ELNS1_3gpuE5ELNS1_3repE0EEENS1_47radix_sort_onesweep_sort_config_static_selectorELNS0_4arch9wavefront6targetE1EEEvSI_
	.p2align	8
	.type	_ZN7rocprim17ROCPRIM_400000_NS6detail17trampoline_kernelINS0_14default_configENS1_35radix_sort_onesweep_config_selectorIiiEEZZNS1_29radix_sort_onesweep_iterationIS3_Lb1EN6thrust23THRUST_200600_302600_NS6detail15normal_iteratorINS8_10device_ptrIiEEEESD_SD_SD_jNS0_19identity_decomposerENS1_16block_id_wrapperIjLb0EEEEE10hipError_tT1_PNSt15iterator_traitsISI_E10value_typeET2_T3_PNSJ_ISO_E10value_typeET4_T5_PST_SU_PNS1_23onesweep_lookback_stateEbbT6_jjT7_P12ihipStream_tbENKUlT_T0_SI_SN_E_clISD_PiSD_S15_EEDaS11_S12_SI_SN_EUlS11_E_NS1_11comp_targetILNS1_3genE10ELNS1_11target_archE1201ELNS1_3gpuE5ELNS1_3repE0EEENS1_47radix_sort_onesweep_sort_config_static_selectorELNS0_4arch9wavefront6targetE1EEEvSI_,@function
_ZN7rocprim17ROCPRIM_400000_NS6detail17trampoline_kernelINS0_14default_configENS1_35radix_sort_onesweep_config_selectorIiiEEZZNS1_29radix_sort_onesweep_iterationIS3_Lb1EN6thrust23THRUST_200600_302600_NS6detail15normal_iteratorINS8_10device_ptrIiEEEESD_SD_SD_jNS0_19identity_decomposerENS1_16block_id_wrapperIjLb0EEEEE10hipError_tT1_PNSt15iterator_traitsISI_E10value_typeET2_T3_PNSJ_ISO_E10value_typeET4_T5_PST_SU_PNS1_23onesweep_lookback_stateEbbT6_jjT7_P12ihipStream_tbENKUlT_T0_SI_SN_E_clISD_PiSD_S15_EEDaS11_S12_SI_SN_EUlS11_E_NS1_11comp_targetILNS1_3genE10ELNS1_11target_archE1201ELNS1_3gpuE5ELNS1_3repE0EEENS1_47radix_sort_onesweep_sort_config_static_selectorELNS0_4arch9wavefront6targetE1EEEvSI_: ; @_ZN7rocprim17ROCPRIM_400000_NS6detail17trampoline_kernelINS0_14default_configENS1_35radix_sort_onesweep_config_selectorIiiEEZZNS1_29radix_sort_onesweep_iterationIS3_Lb1EN6thrust23THRUST_200600_302600_NS6detail15normal_iteratorINS8_10device_ptrIiEEEESD_SD_SD_jNS0_19identity_decomposerENS1_16block_id_wrapperIjLb0EEEEE10hipError_tT1_PNSt15iterator_traitsISI_E10value_typeET2_T3_PNSJ_ISO_E10value_typeET4_T5_PST_SU_PNS1_23onesweep_lookback_stateEbbT6_jjT7_P12ihipStream_tbENKUlT_T0_SI_SN_E_clISD_PiSD_S15_EEDaS11_S12_SI_SN_EUlS11_E_NS1_11comp_targetILNS1_3genE10ELNS1_11target_archE1201ELNS1_3gpuE5ELNS1_3repE0EEENS1_47radix_sort_onesweep_sort_config_static_selectorELNS0_4arch9wavefront6targetE1EEEvSI_
; %bb.0:
	.section	.rodata,"a",@progbits
	.p2align	6, 0x0
	.amdhsa_kernel _ZN7rocprim17ROCPRIM_400000_NS6detail17trampoline_kernelINS0_14default_configENS1_35radix_sort_onesweep_config_selectorIiiEEZZNS1_29radix_sort_onesweep_iterationIS3_Lb1EN6thrust23THRUST_200600_302600_NS6detail15normal_iteratorINS8_10device_ptrIiEEEESD_SD_SD_jNS0_19identity_decomposerENS1_16block_id_wrapperIjLb0EEEEE10hipError_tT1_PNSt15iterator_traitsISI_E10value_typeET2_T3_PNSJ_ISO_E10value_typeET4_T5_PST_SU_PNS1_23onesweep_lookback_stateEbbT6_jjT7_P12ihipStream_tbENKUlT_T0_SI_SN_E_clISD_PiSD_S15_EEDaS11_S12_SI_SN_EUlS11_E_NS1_11comp_targetILNS1_3genE10ELNS1_11target_archE1201ELNS1_3gpuE5ELNS1_3repE0EEENS1_47radix_sort_onesweep_sort_config_static_selectorELNS0_4arch9wavefront6targetE1EEEvSI_
		.amdhsa_group_segment_fixed_size 0
		.amdhsa_private_segment_fixed_size 0
		.amdhsa_kernarg_size 88
		.amdhsa_user_sgpr_count 2
		.amdhsa_user_sgpr_dispatch_ptr 0
		.amdhsa_user_sgpr_queue_ptr 0
		.amdhsa_user_sgpr_kernarg_segment_ptr 1
		.amdhsa_user_sgpr_dispatch_id 0
		.amdhsa_user_sgpr_kernarg_preload_length 0
		.amdhsa_user_sgpr_kernarg_preload_offset 0
		.amdhsa_user_sgpr_private_segment_size 0
		.amdhsa_uses_dynamic_stack 0
		.amdhsa_enable_private_segment 0
		.amdhsa_system_sgpr_workgroup_id_x 1
		.amdhsa_system_sgpr_workgroup_id_y 0
		.amdhsa_system_sgpr_workgroup_id_z 0
		.amdhsa_system_sgpr_workgroup_info 0
		.amdhsa_system_vgpr_workitem_id 0
		.amdhsa_next_free_vgpr 1
		.amdhsa_next_free_sgpr 0
		.amdhsa_accum_offset 4
		.amdhsa_reserve_vcc 0
		.amdhsa_float_round_mode_32 0
		.amdhsa_float_round_mode_16_64 0
		.amdhsa_float_denorm_mode_32 3
		.amdhsa_float_denorm_mode_16_64 3
		.amdhsa_dx10_clamp 1
		.amdhsa_ieee_mode 1
		.amdhsa_fp16_overflow 0
		.amdhsa_tg_split 0
		.amdhsa_exception_fp_ieee_invalid_op 0
		.amdhsa_exception_fp_denorm_src 0
		.amdhsa_exception_fp_ieee_div_zero 0
		.amdhsa_exception_fp_ieee_overflow 0
		.amdhsa_exception_fp_ieee_underflow 0
		.amdhsa_exception_fp_ieee_inexact 0
		.amdhsa_exception_int_div_zero 0
	.end_amdhsa_kernel
	.section	.text._ZN7rocprim17ROCPRIM_400000_NS6detail17trampoline_kernelINS0_14default_configENS1_35radix_sort_onesweep_config_selectorIiiEEZZNS1_29radix_sort_onesweep_iterationIS3_Lb1EN6thrust23THRUST_200600_302600_NS6detail15normal_iteratorINS8_10device_ptrIiEEEESD_SD_SD_jNS0_19identity_decomposerENS1_16block_id_wrapperIjLb0EEEEE10hipError_tT1_PNSt15iterator_traitsISI_E10value_typeET2_T3_PNSJ_ISO_E10value_typeET4_T5_PST_SU_PNS1_23onesweep_lookback_stateEbbT6_jjT7_P12ihipStream_tbENKUlT_T0_SI_SN_E_clISD_PiSD_S15_EEDaS11_S12_SI_SN_EUlS11_E_NS1_11comp_targetILNS1_3genE10ELNS1_11target_archE1201ELNS1_3gpuE5ELNS1_3repE0EEENS1_47radix_sort_onesweep_sort_config_static_selectorELNS0_4arch9wavefront6targetE1EEEvSI_,"axG",@progbits,_ZN7rocprim17ROCPRIM_400000_NS6detail17trampoline_kernelINS0_14default_configENS1_35radix_sort_onesweep_config_selectorIiiEEZZNS1_29radix_sort_onesweep_iterationIS3_Lb1EN6thrust23THRUST_200600_302600_NS6detail15normal_iteratorINS8_10device_ptrIiEEEESD_SD_SD_jNS0_19identity_decomposerENS1_16block_id_wrapperIjLb0EEEEE10hipError_tT1_PNSt15iterator_traitsISI_E10value_typeET2_T3_PNSJ_ISO_E10value_typeET4_T5_PST_SU_PNS1_23onesweep_lookback_stateEbbT6_jjT7_P12ihipStream_tbENKUlT_T0_SI_SN_E_clISD_PiSD_S15_EEDaS11_S12_SI_SN_EUlS11_E_NS1_11comp_targetILNS1_3genE10ELNS1_11target_archE1201ELNS1_3gpuE5ELNS1_3repE0EEENS1_47radix_sort_onesweep_sort_config_static_selectorELNS0_4arch9wavefront6targetE1EEEvSI_,comdat
.Lfunc_end1879:
	.size	_ZN7rocprim17ROCPRIM_400000_NS6detail17trampoline_kernelINS0_14default_configENS1_35radix_sort_onesweep_config_selectorIiiEEZZNS1_29radix_sort_onesweep_iterationIS3_Lb1EN6thrust23THRUST_200600_302600_NS6detail15normal_iteratorINS8_10device_ptrIiEEEESD_SD_SD_jNS0_19identity_decomposerENS1_16block_id_wrapperIjLb0EEEEE10hipError_tT1_PNSt15iterator_traitsISI_E10value_typeET2_T3_PNSJ_ISO_E10value_typeET4_T5_PST_SU_PNS1_23onesweep_lookback_stateEbbT6_jjT7_P12ihipStream_tbENKUlT_T0_SI_SN_E_clISD_PiSD_S15_EEDaS11_S12_SI_SN_EUlS11_E_NS1_11comp_targetILNS1_3genE10ELNS1_11target_archE1201ELNS1_3gpuE5ELNS1_3repE0EEENS1_47radix_sort_onesweep_sort_config_static_selectorELNS0_4arch9wavefront6targetE1EEEvSI_, .Lfunc_end1879-_ZN7rocprim17ROCPRIM_400000_NS6detail17trampoline_kernelINS0_14default_configENS1_35radix_sort_onesweep_config_selectorIiiEEZZNS1_29radix_sort_onesweep_iterationIS3_Lb1EN6thrust23THRUST_200600_302600_NS6detail15normal_iteratorINS8_10device_ptrIiEEEESD_SD_SD_jNS0_19identity_decomposerENS1_16block_id_wrapperIjLb0EEEEE10hipError_tT1_PNSt15iterator_traitsISI_E10value_typeET2_T3_PNSJ_ISO_E10value_typeET4_T5_PST_SU_PNS1_23onesweep_lookback_stateEbbT6_jjT7_P12ihipStream_tbENKUlT_T0_SI_SN_E_clISD_PiSD_S15_EEDaS11_S12_SI_SN_EUlS11_E_NS1_11comp_targetILNS1_3genE10ELNS1_11target_archE1201ELNS1_3gpuE5ELNS1_3repE0EEENS1_47radix_sort_onesweep_sort_config_static_selectorELNS0_4arch9wavefront6targetE1EEEvSI_
                                        ; -- End function
	.set _ZN7rocprim17ROCPRIM_400000_NS6detail17trampoline_kernelINS0_14default_configENS1_35radix_sort_onesweep_config_selectorIiiEEZZNS1_29radix_sort_onesweep_iterationIS3_Lb1EN6thrust23THRUST_200600_302600_NS6detail15normal_iteratorINS8_10device_ptrIiEEEESD_SD_SD_jNS0_19identity_decomposerENS1_16block_id_wrapperIjLb0EEEEE10hipError_tT1_PNSt15iterator_traitsISI_E10value_typeET2_T3_PNSJ_ISO_E10value_typeET4_T5_PST_SU_PNS1_23onesweep_lookback_stateEbbT6_jjT7_P12ihipStream_tbENKUlT_T0_SI_SN_E_clISD_PiSD_S15_EEDaS11_S12_SI_SN_EUlS11_E_NS1_11comp_targetILNS1_3genE10ELNS1_11target_archE1201ELNS1_3gpuE5ELNS1_3repE0EEENS1_47radix_sort_onesweep_sort_config_static_selectorELNS0_4arch9wavefront6targetE1EEEvSI_.num_vgpr, 0
	.set _ZN7rocprim17ROCPRIM_400000_NS6detail17trampoline_kernelINS0_14default_configENS1_35radix_sort_onesweep_config_selectorIiiEEZZNS1_29radix_sort_onesweep_iterationIS3_Lb1EN6thrust23THRUST_200600_302600_NS6detail15normal_iteratorINS8_10device_ptrIiEEEESD_SD_SD_jNS0_19identity_decomposerENS1_16block_id_wrapperIjLb0EEEEE10hipError_tT1_PNSt15iterator_traitsISI_E10value_typeET2_T3_PNSJ_ISO_E10value_typeET4_T5_PST_SU_PNS1_23onesweep_lookback_stateEbbT6_jjT7_P12ihipStream_tbENKUlT_T0_SI_SN_E_clISD_PiSD_S15_EEDaS11_S12_SI_SN_EUlS11_E_NS1_11comp_targetILNS1_3genE10ELNS1_11target_archE1201ELNS1_3gpuE5ELNS1_3repE0EEENS1_47radix_sort_onesweep_sort_config_static_selectorELNS0_4arch9wavefront6targetE1EEEvSI_.num_agpr, 0
	.set _ZN7rocprim17ROCPRIM_400000_NS6detail17trampoline_kernelINS0_14default_configENS1_35radix_sort_onesweep_config_selectorIiiEEZZNS1_29radix_sort_onesweep_iterationIS3_Lb1EN6thrust23THRUST_200600_302600_NS6detail15normal_iteratorINS8_10device_ptrIiEEEESD_SD_SD_jNS0_19identity_decomposerENS1_16block_id_wrapperIjLb0EEEEE10hipError_tT1_PNSt15iterator_traitsISI_E10value_typeET2_T3_PNSJ_ISO_E10value_typeET4_T5_PST_SU_PNS1_23onesweep_lookback_stateEbbT6_jjT7_P12ihipStream_tbENKUlT_T0_SI_SN_E_clISD_PiSD_S15_EEDaS11_S12_SI_SN_EUlS11_E_NS1_11comp_targetILNS1_3genE10ELNS1_11target_archE1201ELNS1_3gpuE5ELNS1_3repE0EEENS1_47radix_sort_onesweep_sort_config_static_selectorELNS0_4arch9wavefront6targetE1EEEvSI_.numbered_sgpr, 0
	.set _ZN7rocprim17ROCPRIM_400000_NS6detail17trampoline_kernelINS0_14default_configENS1_35radix_sort_onesweep_config_selectorIiiEEZZNS1_29radix_sort_onesweep_iterationIS3_Lb1EN6thrust23THRUST_200600_302600_NS6detail15normal_iteratorINS8_10device_ptrIiEEEESD_SD_SD_jNS0_19identity_decomposerENS1_16block_id_wrapperIjLb0EEEEE10hipError_tT1_PNSt15iterator_traitsISI_E10value_typeET2_T3_PNSJ_ISO_E10value_typeET4_T5_PST_SU_PNS1_23onesweep_lookback_stateEbbT6_jjT7_P12ihipStream_tbENKUlT_T0_SI_SN_E_clISD_PiSD_S15_EEDaS11_S12_SI_SN_EUlS11_E_NS1_11comp_targetILNS1_3genE10ELNS1_11target_archE1201ELNS1_3gpuE5ELNS1_3repE0EEENS1_47radix_sort_onesweep_sort_config_static_selectorELNS0_4arch9wavefront6targetE1EEEvSI_.num_named_barrier, 0
	.set _ZN7rocprim17ROCPRIM_400000_NS6detail17trampoline_kernelINS0_14default_configENS1_35radix_sort_onesweep_config_selectorIiiEEZZNS1_29radix_sort_onesweep_iterationIS3_Lb1EN6thrust23THRUST_200600_302600_NS6detail15normal_iteratorINS8_10device_ptrIiEEEESD_SD_SD_jNS0_19identity_decomposerENS1_16block_id_wrapperIjLb0EEEEE10hipError_tT1_PNSt15iterator_traitsISI_E10value_typeET2_T3_PNSJ_ISO_E10value_typeET4_T5_PST_SU_PNS1_23onesweep_lookback_stateEbbT6_jjT7_P12ihipStream_tbENKUlT_T0_SI_SN_E_clISD_PiSD_S15_EEDaS11_S12_SI_SN_EUlS11_E_NS1_11comp_targetILNS1_3genE10ELNS1_11target_archE1201ELNS1_3gpuE5ELNS1_3repE0EEENS1_47radix_sort_onesweep_sort_config_static_selectorELNS0_4arch9wavefront6targetE1EEEvSI_.private_seg_size, 0
	.set _ZN7rocprim17ROCPRIM_400000_NS6detail17trampoline_kernelINS0_14default_configENS1_35radix_sort_onesweep_config_selectorIiiEEZZNS1_29radix_sort_onesweep_iterationIS3_Lb1EN6thrust23THRUST_200600_302600_NS6detail15normal_iteratorINS8_10device_ptrIiEEEESD_SD_SD_jNS0_19identity_decomposerENS1_16block_id_wrapperIjLb0EEEEE10hipError_tT1_PNSt15iterator_traitsISI_E10value_typeET2_T3_PNSJ_ISO_E10value_typeET4_T5_PST_SU_PNS1_23onesweep_lookback_stateEbbT6_jjT7_P12ihipStream_tbENKUlT_T0_SI_SN_E_clISD_PiSD_S15_EEDaS11_S12_SI_SN_EUlS11_E_NS1_11comp_targetILNS1_3genE10ELNS1_11target_archE1201ELNS1_3gpuE5ELNS1_3repE0EEENS1_47radix_sort_onesweep_sort_config_static_selectorELNS0_4arch9wavefront6targetE1EEEvSI_.uses_vcc, 0
	.set _ZN7rocprim17ROCPRIM_400000_NS6detail17trampoline_kernelINS0_14default_configENS1_35radix_sort_onesweep_config_selectorIiiEEZZNS1_29radix_sort_onesweep_iterationIS3_Lb1EN6thrust23THRUST_200600_302600_NS6detail15normal_iteratorINS8_10device_ptrIiEEEESD_SD_SD_jNS0_19identity_decomposerENS1_16block_id_wrapperIjLb0EEEEE10hipError_tT1_PNSt15iterator_traitsISI_E10value_typeET2_T3_PNSJ_ISO_E10value_typeET4_T5_PST_SU_PNS1_23onesweep_lookback_stateEbbT6_jjT7_P12ihipStream_tbENKUlT_T0_SI_SN_E_clISD_PiSD_S15_EEDaS11_S12_SI_SN_EUlS11_E_NS1_11comp_targetILNS1_3genE10ELNS1_11target_archE1201ELNS1_3gpuE5ELNS1_3repE0EEENS1_47radix_sort_onesweep_sort_config_static_selectorELNS0_4arch9wavefront6targetE1EEEvSI_.uses_flat_scratch, 0
	.set _ZN7rocprim17ROCPRIM_400000_NS6detail17trampoline_kernelINS0_14default_configENS1_35radix_sort_onesweep_config_selectorIiiEEZZNS1_29radix_sort_onesweep_iterationIS3_Lb1EN6thrust23THRUST_200600_302600_NS6detail15normal_iteratorINS8_10device_ptrIiEEEESD_SD_SD_jNS0_19identity_decomposerENS1_16block_id_wrapperIjLb0EEEEE10hipError_tT1_PNSt15iterator_traitsISI_E10value_typeET2_T3_PNSJ_ISO_E10value_typeET4_T5_PST_SU_PNS1_23onesweep_lookback_stateEbbT6_jjT7_P12ihipStream_tbENKUlT_T0_SI_SN_E_clISD_PiSD_S15_EEDaS11_S12_SI_SN_EUlS11_E_NS1_11comp_targetILNS1_3genE10ELNS1_11target_archE1201ELNS1_3gpuE5ELNS1_3repE0EEENS1_47radix_sort_onesweep_sort_config_static_selectorELNS0_4arch9wavefront6targetE1EEEvSI_.has_dyn_sized_stack, 0
	.set _ZN7rocprim17ROCPRIM_400000_NS6detail17trampoline_kernelINS0_14default_configENS1_35radix_sort_onesweep_config_selectorIiiEEZZNS1_29radix_sort_onesweep_iterationIS3_Lb1EN6thrust23THRUST_200600_302600_NS6detail15normal_iteratorINS8_10device_ptrIiEEEESD_SD_SD_jNS0_19identity_decomposerENS1_16block_id_wrapperIjLb0EEEEE10hipError_tT1_PNSt15iterator_traitsISI_E10value_typeET2_T3_PNSJ_ISO_E10value_typeET4_T5_PST_SU_PNS1_23onesweep_lookback_stateEbbT6_jjT7_P12ihipStream_tbENKUlT_T0_SI_SN_E_clISD_PiSD_S15_EEDaS11_S12_SI_SN_EUlS11_E_NS1_11comp_targetILNS1_3genE10ELNS1_11target_archE1201ELNS1_3gpuE5ELNS1_3repE0EEENS1_47radix_sort_onesweep_sort_config_static_selectorELNS0_4arch9wavefront6targetE1EEEvSI_.has_recursion, 0
	.set _ZN7rocprim17ROCPRIM_400000_NS6detail17trampoline_kernelINS0_14default_configENS1_35radix_sort_onesweep_config_selectorIiiEEZZNS1_29radix_sort_onesweep_iterationIS3_Lb1EN6thrust23THRUST_200600_302600_NS6detail15normal_iteratorINS8_10device_ptrIiEEEESD_SD_SD_jNS0_19identity_decomposerENS1_16block_id_wrapperIjLb0EEEEE10hipError_tT1_PNSt15iterator_traitsISI_E10value_typeET2_T3_PNSJ_ISO_E10value_typeET4_T5_PST_SU_PNS1_23onesweep_lookback_stateEbbT6_jjT7_P12ihipStream_tbENKUlT_T0_SI_SN_E_clISD_PiSD_S15_EEDaS11_S12_SI_SN_EUlS11_E_NS1_11comp_targetILNS1_3genE10ELNS1_11target_archE1201ELNS1_3gpuE5ELNS1_3repE0EEENS1_47radix_sort_onesweep_sort_config_static_selectorELNS0_4arch9wavefront6targetE1EEEvSI_.has_indirect_call, 0
	.section	.AMDGPU.csdata,"",@progbits
; Kernel info:
; codeLenInByte = 0
; TotalNumSgprs: 6
; NumVgprs: 0
; NumAgprs: 0
; TotalNumVgprs: 0
; ScratchSize: 0
; MemoryBound: 0
; FloatMode: 240
; IeeeMode: 1
; LDSByteSize: 0 bytes/workgroup (compile time only)
; SGPRBlocks: 0
; VGPRBlocks: 0
; NumSGPRsForWavesPerEU: 6
; NumVGPRsForWavesPerEU: 1
; AccumOffset: 4
; Occupancy: 8
; WaveLimiterHint : 0
; COMPUTE_PGM_RSRC2:SCRATCH_EN: 0
; COMPUTE_PGM_RSRC2:USER_SGPR: 2
; COMPUTE_PGM_RSRC2:TRAP_HANDLER: 0
; COMPUTE_PGM_RSRC2:TGID_X_EN: 1
; COMPUTE_PGM_RSRC2:TGID_Y_EN: 0
; COMPUTE_PGM_RSRC2:TGID_Z_EN: 0
; COMPUTE_PGM_RSRC2:TIDIG_COMP_CNT: 0
; COMPUTE_PGM_RSRC3_GFX90A:ACCUM_OFFSET: 0
; COMPUTE_PGM_RSRC3_GFX90A:TG_SPLIT: 0
	.section	.text._ZN7rocprim17ROCPRIM_400000_NS6detail17trampoline_kernelINS0_14default_configENS1_35radix_sort_onesweep_config_selectorIiiEEZZNS1_29radix_sort_onesweep_iterationIS3_Lb1EN6thrust23THRUST_200600_302600_NS6detail15normal_iteratorINS8_10device_ptrIiEEEESD_SD_SD_jNS0_19identity_decomposerENS1_16block_id_wrapperIjLb0EEEEE10hipError_tT1_PNSt15iterator_traitsISI_E10value_typeET2_T3_PNSJ_ISO_E10value_typeET4_T5_PST_SU_PNS1_23onesweep_lookback_stateEbbT6_jjT7_P12ihipStream_tbENKUlT_T0_SI_SN_E_clISD_PiSD_S15_EEDaS11_S12_SI_SN_EUlS11_E_NS1_11comp_targetILNS1_3genE9ELNS1_11target_archE1100ELNS1_3gpuE3ELNS1_3repE0EEENS1_47radix_sort_onesweep_sort_config_static_selectorELNS0_4arch9wavefront6targetE1EEEvSI_,"axG",@progbits,_ZN7rocprim17ROCPRIM_400000_NS6detail17trampoline_kernelINS0_14default_configENS1_35radix_sort_onesweep_config_selectorIiiEEZZNS1_29radix_sort_onesweep_iterationIS3_Lb1EN6thrust23THRUST_200600_302600_NS6detail15normal_iteratorINS8_10device_ptrIiEEEESD_SD_SD_jNS0_19identity_decomposerENS1_16block_id_wrapperIjLb0EEEEE10hipError_tT1_PNSt15iterator_traitsISI_E10value_typeET2_T3_PNSJ_ISO_E10value_typeET4_T5_PST_SU_PNS1_23onesweep_lookback_stateEbbT6_jjT7_P12ihipStream_tbENKUlT_T0_SI_SN_E_clISD_PiSD_S15_EEDaS11_S12_SI_SN_EUlS11_E_NS1_11comp_targetILNS1_3genE9ELNS1_11target_archE1100ELNS1_3gpuE3ELNS1_3repE0EEENS1_47radix_sort_onesweep_sort_config_static_selectorELNS0_4arch9wavefront6targetE1EEEvSI_,comdat
	.protected	_ZN7rocprim17ROCPRIM_400000_NS6detail17trampoline_kernelINS0_14default_configENS1_35radix_sort_onesweep_config_selectorIiiEEZZNS1_29radix_sort_onesweep_iterationIS3_Lb1EN6thrust23THRUST_200600_302600_NS6detail15normal_iteratorINS8_10device_ptrIiEEEESD_SD_SD_jNS0_19identity_decomposerENS1_16block_id_wrapperIjLb0EEEEE10hipError_tT1_PNSt15iterator_traitsISI_E10value_typeET2_T3_PNSJ_ISO_E10value_typeET4_T5_PST_SU_PNS1_23onesweep_lookback_stateEbbT6_jjT7_P12ihipStream_tbENKUlT_T0_SI_SN_E_clISD_PiSD_S15_EEDaS11_S12_SI_SN_EUlS11_E_NS1_11comp_targetILNS1_3genE9ELNS1_11target_archE1100ELNS1_3gpuE3ELNS1_3repE0EEENS1_47radix_sort_onesweep_sort_config_static_selectorELNS0_4arch9wavefront6targetE1EEEvSI_ ; -- Begin function _ZN7rocprim17ROCPRIM_400000_NS6detail17trampoline_kernelINS0_14default_configENS1_35radix_sort_onesweep_config_selectorIiiEEZZNS1_29radix_sort_onesweep_iterationIS3_Lb1EN6thrust23THRUST_200600_302600_NS6detail15normal_iteratorINS8_10device_ptrIiEEEESD_SD_SD_jNS0_19identity_decomposerENS1_16block_id_wrapperIjLb0EEEEE10hipError_tT1_PNSt15iterator_traitsISI_E10value_typeET2_T3_PNSJ_ISO_E10value_typeET4_T5_PST_SU_PNS1_23onesweep_lookback_stateEbbT6_jjT7_P12ihipStream_tbENKUlT_T0_SI_SN_E_clISD_PiSD_S15_EEDaS11_S12_SI_SN_EUlS11_E_NS1_11comp_targetILNS1_3genE9ELNS1_11target_archE1100ELNS1_3gpuE3ELNS1_3repE0EEENS1_47radix_sort_onesweep_sort_config_static_selectorELNS0_4arch9wavefront6targetE1EEEvSI_
	.globl	_ZN7rocprim17ROCPRIM_400000_NS6detail17trampoline_kernelINS0_14default_configENS1_35radix_sort_onesweep_config_selectorIiiEEZZNS1_29radix_sort_onesweep_iterationIS3_Lb1EN6thrust23THRUST_200600_302600_NS6detail15normal_iteratorINS8_10device_ptrIiEEEESD_SD_SD_jNS0_19identity_decomposerENS1_16block_id_wrapperIjLb0EEEEE10hipError_tT1_PNSt15iterator_traitsISI_E10value_typeET2_T3_PNSJ_ISO_E10value_typeET4_T5_PST_SU_PNS1_23onesweep_lookback_stateEbbT6_jjT7_P12ihipStream_tbENKUlT_T0_SI_SN_E_clISD_PiSD_S15_EEDaS11_S12_SI_SN_EUlS11_E_NS1_11comp_targetILNS1_3genE9ELNS1_11target_archE1100ELNS1_3gpuE3ELNS1_3repE0EEENS1_47radix_sort_onesweep_sort_config_static_selectorELNS0_4arch9wavefront6targetE1EEEvSI_
	.p2align	8
	.type	_ZN7rocprim17ROCPRIM_400000_NS6detail17trampoline_kernelINS0_14default_configENS1_35radix_sort_onesweep_config_selectorIiiEEZZNS1_29radix_sort_onesweep_iterationIS3_Lb1EN6thrust23THRUST_200600_302600_NS6detail15normal_iteratorINS8_10device_ptrIiEEEESD_SD_SD_jNS0_19identity_decomposerENS1_16block_id_wrapperIjLb0EEEEE10hipError_tT1_PNSt15iterator_traitsISI_E10value_typeET2_T3_PNSJ_ISO_E10value_typeET4_T5_PST_SU_PNS1_23onesweep_lookback_stateEbbT6_jjT7_P12ihipStream_tbENKUlT_T0_SI_SN_E_clISD_PiSD_S15_EEDaS11_S12_SI_SN_EUlS11_E_NS1_11comp_targetILNS1_3genE9ELNS1_11target_archE1100ELNS1_3gpuE3ELNS1_3repE0EEENS1_47radix_sort_onesweep_sort_config_static_selectorELNS0_4arch9wavefront6targetE1EEEvSI_,@function
_ZN7rocprim17ROCPRIM_400000_NS6detail17trampoline_kernelINS0_14default_configENS1_35radix_sort_onesweep_config_selectorIiiEEZZNS1_29radix_sort_onesweep_iterationIS3_Lb1EN6thrust23THRUST_200600_302600_NS6detail15normal_iteratorINS8_10device_ptrIiEEEESD_SD_SD_jNS0_19identity_decomposerENS1_16block_id_wrapperIjLb0EEEEE10hipError_tT1_PNSt15iterator_traitsISI_E10value_typeET2_T3_PNSJ_ISO_E10value_typeET4_T5_PST_SU_PNS1_23onesweep_lookback_stateEbbT6_jjT7_P12ihipStream_tbENKUlT_T0_SI_SN_E_clISD_PiSD_S15_EEDaS11_S12_SI_SN_EUlS11_E_NS1_11comp_targetILNS1_3genE9ELNS1_11target_archE1100ELNS1_3gpuE3ELNS1_3repE0EEENS1_47radix_sort_onesweep_sort_config_static_selectorELNS0_4arch9wavefront6targetE1EEEvSI_: ; @_ZN7rocprim17ROCPRIM_400000_NS6detail17trampoline_kernelINS0_14default_configENS1_35radix_sort_onesweep_config_selectorIiiEEZZNS1_29radix_sort_onesweep_iterationIS3_Lb1EN6thrust23THRUST_200600_302600_NS6detail15normal_iteratorINS8_10device_ptrIiEEEESD_SD_SD_jNS0_19identity_decomposerENS1_16block_id_wrapperIjLb0EEEEE10hipError_tT1_PNSt15iterator_traitsISI_E10value_typeET2_T3_PNSJ_ISO_E10value_typeET4_T5_PST_SU_PNS1_23onesweep_lookback_stateEbbT6_jjT7_P12ihipStream_tbENKUlT_T0_SI_SN_E_clISD_PiSD_S15_EEDaS11_S12_SI_SN_EUlS11_E_NS1_11comp_targetILNS1_3genE9ELNS1_11target_archE1100ELNS1_3gpuE3ELNS1_3repE0EEENS1_47radix_sort_onesweep_sort_config_static_selectorELNS0_4arch9wavefront6targetE1EEEvSI_
; %bb.0:
	.section	.rodata,"a",@progbits
	.p2align	6, 0x0
	.amdhsa_kernel _ZN7rocprim17ROCPRIM_400000_NS6detail17trampoline_kernelINS0_14default_configENS1_35radix_sort_onesweep_config_selectorIiiEEZZNS1_29radix_sort_onesweep_iterationIS3_Lb1EN6thrust23THRUST_200600_302600_NS6detail15normal_iteratorINS8_10device_ptrIiEEEESD_SD_SD_jNS0_19identity_decomposerENS1_16block_id_wrapperIjLb0EEEEE10hipError_tT1_PNSt15iterator_traitsISI_E10value_typeET2_T3_PNSJ_ISO_E10value_typeET4_T5_PST_SU_PNS1_23onesweep_lookback_stateEbbT6_jjT7_P12ihipStream_tbENKUlT_T0_SI_SN_E_clISD_PiSD_S15_EEDaS11_S12_SI_SN_EUlS11_E_NS1_11comp_targetILNS1_3genE9ELNS1_11target_archE1100ELNS1_3gpuE3ELNS1_3repE0EEENS1_47radix_sort_onesweep_sort_config_static_selectorELNS0_4arch9wavefront6targetE1EEEvSI_
		.amdhsa_group_segment_fixed_size 0
		.amdhsa_private_segment_fixed_size 0
		.amdhsa_kernarg_size 88
		.amdhsa_user_sgpr_count 2
		.amdhsa_user_sgpr_dispatch_ptr 0
		.amdhsa_user_sgpr_queue_ptr 0
		.amdhsa_user_sgpr_kernarg_segment_ptr 1
		.amdhsa_user_sgpr_dispatch_id 0
		.amdhsa_user_sgpr_kernarg_preload_length 0
		.amdhsa_user_sgpr_kernarg_preload_offset 0
		.amdhsa_user_sgpr_private_segment_size 0
		.amdhsa_uses_dynamic_stack 0
		.amdhsa_enable_private_segment 0
		.amdhsa_system_sgpr_workgroup_id_x 1
		.amdhsa_system_sgpr_workgroup_id_y 0
		.amdhsa_system_sgpr_workgroup_id_z 0
		.amdhsa_system_sgpr_workgroup_info 0
		.amdhsa_system_vgpr_workitem_id 0
		.amdhsa_next_free_vgpr 1
		.amdhsa_next_free_sgpr 0
		.amdhsa_accum_offset 4
		.amdhsa_reserve_vcc 0
		.amdhsa_float_round_mode_32 0
		.amdhsa_float_round_mode_16_64 0
		.amdhsa_float_denorm_mode_32 3
		.amdhsa_float_denorm_mode_16_64 3
		.amdhsa_dx10_clamp 1
		.amdhsa_ieee_mode 1
		.amdhsa_fp16_overflow 0
		.amdhsa_tg_split 0
		.amdhsa_exception_fp_ieee_invalid_op 0
		.amdhsa_exception_fp_denorm_src 0
		.amdhsa_exception_fp_ieee_div_zero 0
		.amdhsa_exception_fp_ieee_overflow 0
		.amdhsa_exception_fp_ieee_underflow 0
		.amdhsa_exception_fp_ieee_inexact 0
		.amdhsa_exception_int_div_zero 0
	.end_amdhsa_kernel
	.section	.text._ZN7rocprim17ROCPRIM_400000_NS6detail17trampoline_kernelINS0_14default_configENS1_35radix_sort_onesweep_config_selectorIiiEEZZNS1_29radix_sort_onesweep_iterationIS3_Lb1EN6thrust23THRUST_200600_302600_NS6detail15normal_iteratorINS8_10device_ptrIiEEEESD_SD_SD_jNS0_19identity_decomposerENS1_16block_id_wrapperIjLb0EEEEE10hipError_tT1_PNSt15iterator_traitsISI_E10value_typeET2_T3_PNSJ_ISO_E10value_typeET4_T5_PST_SU_PNS1_23onesweep_lookback_stateEbbT6_jjT7_P12ihipStream_tbENKUlT_T0_SI_SN_E_clISD_PiSD_S15_EEDaS11_S12_SI_SN_EUlS11_E_NS1_11comp_targetILNS1_3genE9ELNS1_11target_archE1100ELNS1_3gpuE3ELNS1_3repE0EEENS1_47radix_sort_onesweep_sort_config_static_selectorELNS0_4arch9wavefront6targetE1EEEvSI_,"axG",@progbits,_ZN7rocprim17ROCPRIM_400000_NS6detail17trampoline_kernelINS0_14default_configENS1_35radix_sort_onesweep_config_selectorIiiEEZZNS1_29radix_sort_onesweep_iterationIS3_Lb1EN6thrust23THRUST_200600_302600_NS6detail15normal_iteratorINS8_10device_ptrIiEEEESD_SD_SD_jNS0_19identity_decomposerENS1_16block_id_wrapperIjLb0EEEEE10hipError_tT1_PNSt15iterator_traitsISI_E10value_typeET2_T3_PNSJ_ISO_E10value_typeET4_T5_PST_SU_PNS1_23onesweep_lookback_stateEbbT6_jjT7_P12ihipStream_tbENKUlT_T0_SI_SN_E_clISD_PiSD_S15_EEDaS11_S12_SI_SN_EUlS11_E_NS1_11comp_targetILNS1_3genE9ELNS1_11target_archE1100ELNS1_3gpuE3ELNS1_3repE0EEENS1_47radix_sort_onesweep_sort_config_static_selectorELNS0_4arch9wavefront6targetE1EEEvSI_,comdat
.Lfunc_end1880:
	.size	_ZN7rocprim17ROCPRIM_400000_NS6detail17trampoline_kernelINS0_14default_configENS1_35radix_sort_onesweep_config_selectorIiiEEZZNS1_29radix_sort_onesweep_iterationIS3_Lb1EN6thrust23THRUST_200600_302600_NS6detail15normal_iteratorINS8_10device_ptrIiEEEESD_SD_SD_jNS0_19identity_decomposerENS1_16block_id_wrapperIjLb0EEEEE10hipError_tT1_PNSt15iterator_traitsISI_E10value_typeET2_T3_PNSJ_ISO_E10value_typeET4_T5_PST_SU_PNS1_23onesweep_lookback_stateEbbT6_jjT7_P12ihipStream_tbENKUlT_T0_SI_SN_E_clISD_PiSD_S15_EEDaS11_S12_SI_SN_EUlS11_E_NS1_11comp_targetILNS1_3genE9ELNS1_11target_archE1100ELNS1_3gpuE3ELNS1_3repE0EEENS1_47radix_sort_onesweep_sort_config_static_selectorELNS0_4arch9wavefront6targetE1EEEvSI_, .Lfunc_end1880-_ZN7rocprim17ROCPRIM_400000_NS6detail17trampoline_kernelINS0_14default_configENS1_35radix_sort_onesweep_config_selectorIiiEEZZNS1_29radix_sort_onesweep_iterationIS3_Lb1EN6thrust23THRUST_200600_302600_NS6detail15normal_iteratorINS8_10device_ptrIiEEEESD_SD_SD_jNS0_19identity_decomposerENS1_16block_id_wrapperIjLb0EEEEE10hipError_tT1_PNSt15iterator_traitsISI_E10value_typeET2_T3_PNSJ_ISO_E10value_typeET4_T5_PST_SU_PNS1_23onesweep_lookback_stateEbbT6_jjT7_P12ihipStream_tbENKUlT_T0_SI_SN_E_clISD_PiSD_S15_EEDaS11_S12_SI_SN_EUlS11_E_NS1_11comp_targetILNS1_3genE9ELNS1_11target_archE1100ELNS1_3gpuE3ELNS1_3repE0EEENS1_47radix_sort_onesweep_sort_config_static_selectorELNS0_4arch9wavefront6targetE1EEEvSI_
                                        ; -- End function
	.set _ZN7rocprim17ROCPRIM_400000_NS6detail17trampoline_kernelINS0_14default_configENS1_35radix_sort_onesweep_config_selectorIiiEEZZNS1_29radix_sort_onesweep_iterationIS3_Lb1EN6thrust23THRUST_200600_302600_NS6detail15normal_iteratorINS8_10device_ptrIiEEEESD_SD_SD_jNS0_19identity_decomposerENS1_16block_id_wrapperIjLb0EEEEE10hipError_tT1_PNSt15iterator_traitsISI_E10value_typeET2_T3_PNSJ_ISO_E10value_typeET4_T5_PST_SU_PNS1_23onesweep_lookback_stateEbbT6_jjT7_P12ihipStream_tbENKUlT_T0_SI_SN_E_clISD_PiSD_S15_EEDaS11_S12_SI_SN_EUlS11_E_NS1_11comp_targetILNS1_3genE9ELNS1_11target_archE1100ELNS1_3gpuE3ELNS1_3repE0EEENS1_47radix_sort_onesweep_sort_config_static_selectorELNS0_4arch9wavefront6targetE1EEEvSI_.num_vgpr, 0
	.set _ZN7rocprim17ROCPRIM_400000_NS6detail17trampoline_kernelINS0_14default_configENS1_35radix_sort_onesweep_config_selectorIiiEEZZNS1_29radix_sort_onesweep_iterationIS3_Lb1EN6thrust23THRUST_200600_302600_NS6detail15normal_iteratorINS8_10device_ptrIiEEEESD_SD_SD_jNS0_19identity_decomposerENS1_16block_id_wrapperIjLb0EEEEE10hipError_tT1_PNSt15iterator_traitsISI_E10value_typeET2_T3_PNSJ_ISO_E10value_typeET4_T5_PST_SU_PNS1_23onesweep_lookback_stateEbbT6_jjT7_P12ihipStream_tbENKUlT_T0_SI_SN_E_clISD_PiSD_S15_EEDaS11_S12_SI_SN_EUlS11_E_NS1_11comp_targetILNS1_3genE9ELNS1_11target_archE1100ELNS1_3gpuE3ELNS1_3repE0EEENS1_47radix_sort_onesweep_sort_config_static_selectorELNS0_4arch9wavefront6targetE1EEEvSI_.num_agpr, 0
	.set _ZN7rocprim17ROCPRIM_400000_NS6detail17trampoline_kernelINS0_14default_configENS1_35radix_sort_onesweep_config_selectorIiiEEZZNS1_29radix_sort_onesweep_iterationIS3_Lb1EN6thrust23THRUST_200600_302600_NS6detail15normal_iteratorINS8_10device_ptrIiEEEESD_SD_SD_jNS0_19identity_decomposerENS1_16block_id_wrapperIjLb0EEEEE10hipError_tT1_PNSt15iterator_traitsISI_E10value_typeET2_T3_PNSJ_ISO_E10value_typeET4_T5_PST_SU_PNS1_23onesweep_lookback_stateEbbT6_jjT7_P12ihipStream_tbENKUlT_T0_SI_SN_E_clISD_PiSD_S15_EEDaS11_S12_SI_SN_EUlS11_E_NS1_11comp_targetILNS1_3genE9ELNS1_11target_archE1100ELNS1_3gpuE3ELNS1_3repE0EEENS1_47radix_sort_onesweep_sort_config_static_selectorELNS0_4arch9wavefront6targetE1EEEvSI_.numbered_sgpr, 0
	.set _ZN7rocprim17ROCPRIM_400000_NS6detail17trampoline_kernelINS0_14default_configENS1_35radix_sort_onesweep_config_selectorIiiEEZZNS1_29radix_sort_onesweep_iterationIS3_Lb1EN6thrust23THRUST_200600_302600_NS6detail15normal_iteratorINS8_10device_ptrIiEEEESD_SD_SD_jNS0_19identity_decomposerENS1_16block_id_wrapperIjLb0EEEEE10hipError_tT1_PNSt15iterator_traitsISI_E10value_typeET2_T3_PNSJ_ISO_E10value_typeET4_T5_PST_SU_PNS1_23onesweep_lookback_stateEbbT6_jjT7_P12ihipStream_tbENKUlT_T0_SI_SN_E_clISD_PiSD_S15_EEDaS11_S12_SI_SN_EUlS11_E_NS1_11comp_targetILNS1_3genE9ELNS1_11target_archE1100ELNS1_3gpuE3ELNS1_3repE0EEENS1_47radix_sort_onesweep_sort_config_static_selectorELNS0_4arch9wavefront6targetE1EEEvSI_.num_named_barrier, 0
	.set _ZN7rocprim17ROCPRIM_400000_NS6detail17trampoline_kernelINS0_14default_configENS1_35radix_sort_onesweep_config_selectorIiiEEZZNS1_29radix_sort_onesweep_iterationIS3_Lb1EN6thrust23THRUST_200600_302600_NS6detail15normal_iteratorINS8_10device_ptrIiEEEESD_SD_SD_jNS0_19identity_decomposerENS1_16block_id_wrapperIjLb0EEEEE10hipError_tT1_PNSt15iterator_traitsISI_E10value_typeET2_T3_PNSJ_ISO_E10value_typeET4_T5_PST_SU_PNS1_23onesweep_lookback_stateEbbT6_jjT7_P12ihipStream_tbENKUlT_T0_SI_SN_E_clISD_PiSD_S15_EEDaS11_S12_SI_SN_EUlS11_E_NS1_11comp_targetILNS1_3genE9ELNS1_11target_archE1100ELNS1_3gpuE3ELNS1_3repE0EEENS1_47radix_sort_onesweep_sort_config_static_selectorELNS0_4arch9wavefront6targetE1EEEvSI_.private_seg_size, 0
	.set _ZN7rocprim17ROCPRIM_400000_NS6detail17trampoline_kernelINS0_14default_configENS1_35radix_sort_onesweep_config_selectorIiiEEZZNS1_29radix_sort_onesweep_iterationIS3_Lb1EN6thrust23THRUST_200600_302600_NS6detail15normal_iteratorINS8_10device_ptrIiEEEESD_SD_SD_jNS0_19identity_decomposerENS1_16block_id_wrapperIjLb0EEEEE10hipError_tT1_PNSt15iterator_traitsISI_E10value_typeET2_T3_PNSJ_ISO_E10value_typeET4_T5_PST_SU_PNS1_23onesweep_lookback_stateEbbT6_jjT7_P12ihipStream_tbENKUlT_T0_SI_SN_E_clISD_PiSD_S15_EEDaS11_S12_SI_SN_EUlS11_E_NS1_11comp_targetILNS1_3genE9ELNS1_11target_archE1100ELNS1_3gpuE3ELNS1_3repE0EEENS1_47radix_sort_onesweep_sort_config_static_selectorELNS0_4arch9wavefront6targetE1EEEvSI_.uses_vcc, 0
	.set _ZN7rocprim17ROCPRIM_400000_NS6detail17trampoline_kernelINS0_14default_configENS1_35radix_sort_onesweep_config_selectorIiiEEZZNS1_29radix_sort_onesweep_iterationIS3_Lb1EN6thrust23THRUST_200600_302600_NS6detail15normal_iteratorINS8_10device_ptrIiEEEESD_SD_SD_jNS0_19identity_decomposerENS1_16block_id_wrapperIjLb0EEEEE10hipError_tT1_PNSt15iterator_traitsISI_E10value_typeET2_T3_PNSJ_ISO_E10value_typeET4_T5_PST_SU_PNS1_23onesweep_lookback_stateEbbT6_jjT7_P12ihipStream_tbENKUlT_T0_SI_SN_E_clISD_PiSD_S15_EEDaS11_S12_SI_SN_EUlS11_E_NS1_11comp_targetILNS1_3genE9ELNS1_11target_archE1100ELNS1_3gpuE3ELNS1_3repE0EEENS1_47radix_sort_onesweep_sort_config_static_selectorELNS0_4arch9wavefront6targetE1EEEvSI_.uses_flat_scratch, 0
	.set _ZN7rocprim17ROCPRIM_400000_NS6detail17trampoline_kernelINS0_14default_configENS1_35radix_sort_onesweep_config_selectorIiiEEZZNS1_29radix_sort_onesweep_iterationIS3_Lb1EN6thrust23THRUST_200600_302600_NS6detail15normal_iteratorINS8_10device_ptrIiEEEESD_SD_SD_jNS0_19identity_decomposerENS1_16block_id_wrapperIjLb0EEEEE10hipError_tT1_PNSt15iterator_traitsISI_E10value_typeET2_T3_PNSJ_ISO_E10value_typeET4_T5_PST_SU_PNS1_23onesweep_lookback_stateEbbT6_jjT7_P12ihipStream_tbENKUlT_T0_SI_SN_E_clISD_PiSD_S15_EEDaS11_S12_SI_SN_EUlS11_E_NS1_11comp_targetILNS1_3genE9ELNS1_11target_archE1100ELNS1_3gpuE3ELNS1_3repE0EEENS1_47radix_sort_onesweep_sort_config_static_selectorELNS0_4arch9wavefront6targetE1EEEvSI_.has_dyn_sized_stack, 0
	.set _ZN7rocprim17ROCPRIM_400000_NS6detail17trampoline_kernelINS0_14default_configENS1_35radix_sort_onesweep_config_selectorIiiEEZZNS1_29radix_sort_onesweep_iterationIS3_Lb1EN6thrust23THRUST_200600_302600_NS6detail15normal_iteratorINS8_10device_ptrIiEEEESD_SD_SD_jNS0_19identity_decomposerENS1_16block_id_wrapperIjLb0EEEEE10hipError_tT1_PNSt15iterator_traitsISI_E10value_typeET2_T3_PNSJ_ISO_E10value_typeET4_T5_PST_SU_PNS1_23onesweep_lookback_stateEbbT6_jjT7_P12ihipStream_tbENKUlT_T0_SI_SN_E_clISD_PiSD_S15_EEDaS11_S12_SI_SN_EUlS11_E_NS1_11comp_targetILNS1_3genE9ELNS1_11target_archE1100ELNS1_3gpuE3ELNS1_3repE0EEENS1_47radix_sort_onesweep_sort_config_static_selectorELNS0_4arch9wavefront6targetE1EEEvSI_.has_recursion, 0
	.set _ZN7rocprim17ROCPRIM_400000_NS6detail17trampoline_kernelINS0_14default_configENS1_35radix_sort_onesweep_config_selectorIiiEEZZNS1_29radix_sort_onesweep_iterationIS3_Lb1EN6thrust23THRUST_200600_302600_NS6detail15normal_iteratorINS8_10device_ptrIiEEEESD_SD_SD_jNS0_19identity_decomposerENS1_16block_id_wrapperIjLb0EEEEE10hipError_tT1_PNSt15iterator_traitsISI_E10value_typeET2_T3_PNSJ_ISO_E10value_typeET4_T5_PST_SU_PNS1_23onesweep_lookback_stateEbbT6_jjT7_P12ihipStream_tbENKUlT_T0_SI_SN_E_clISD_PiSD_S15_EEDaS11_S12_SI_SN_EUlS11_E_NS1_11comp_targetILNS1_3genE9ELNS1_11target_archE1100ELNS1_3gpuE3ELNS1_3repE0EEENS1_47radix_sort_onesweep_sort_config_static_selectorELNS0_4arch9wavefront6targetE1EEEvSI_.has_indirect_call, 0
	.section	.AMDGPU.csdata,"",@progbits
; Kernel info:
; codeLenInByte = 0
; TotalNumSgprs: 6
; NumVgprs: 0
; NumAgprs: 0
; TotalNumVgprs: 0
; ScratchSize: 0
; MemoryBound: 0
; FloatMode: 240
; IeeeMode: 1
; LDSByteSize: 0 bytes/workgroup (compile time only)
; SGPRBlocks: 0
; VGPRBlocks: 0
; NumSGPRsForWavesPerEU: 6
; NumVGPRsForWavesPerEU: 1
; AccumOffset: 4
; Occupancy: 8
; WaveLimiterHint : 0
; COMPUTE_PGM_RSRC2:SCRATCH_EN: 0
; COMPUTE_PGM_RSRC2:USER_SGPR: 2
; COMPUTE_PGM_RSRC2:TRAP_HANDLER: 0
; COMPUTE_PGM_RSRC2:TGID_X_EN: 1
; COMPUTE_PGM_RSRC2:TGID_Y_EN: 0
; COMPUTE_PGM_RSRC2:TGID_Z_EN: 0
; COMPUTE_PGM_RSRC2:TIDIG_COMP_CNT: 0
; COMPUTE_PGM_RSRC3_GFX90A:ACCUM_OFFSET: 0
; COMPUTE_PGM_RSRC3_GFX90A:TG_SPLIT: 0
	.section	.text._ZN7rocprim17ROCPRIM_400000_NS6detail17trampoline_kernelINS0_14default_configENS1_35radix_sort_onesweep_config_selectorIiiEEZZNS1_29radix_sort_onesweep_iterationIS3_Lb1EN6thrust23THRUST_200600_302600_NS6detail15normal_iteratorINS8_10device_ptrIiEEEESD_SD_SD_jNS0_19identity_decomposerENS1_16block_id_wrapperIjLb0EEEEE10hipError_tT1_PNSt15iterator_traitsISI_E10value_typeET2_T3_PNSJ_ISO_E10value_typeET4_T5_PST_SU_PNS1_23onesweep_lookback_stateEbbT6_jjT7_P12ihipStream_tbENKUlT_T0_SI_SN_E_clISD_PiSD_S15_EEDaS11_S12_SI_SN_EUlS11_E_NS1_11comp_targetILNS1_3genE8ELNS1_11target_archE1030ELNS1_3gpuE2ELNS1_3repE0EEENS1_47radix_sort_onesweep_sort_config_static_selectorELNS0_4arch9wavefront6targetE1EEEvSI_,"axG",@progbits,_ZN7rocprim17ROCPRIM_400000_NS6detail17trampoline_kernelINS0_14default_configENS1_35radix_sort_onesweep_config_selectorIiiEEZZNS1_29radix_sort_onesweep_iterationIS3_Lb1EN6thrust23THRUST_200600_302600_NS6detail15normal_iteratorINS8_10device_ptrIiEEEESD_SD_SD_jNS0_19identity_decomposerENS1_16block_id_wrapperIjLb0EEEEE10hipError_tT1_PNSt15iterator_traitsISI_E10value_typeET2_T3_PNSJ_ISO_E10value_typeET4_T5_PST_SU_PNS1_23onesweep_lookback_stateEbbT6_jjT7_P12ihipStream_tbENKUlT_T0_SI_SN_E_clISD_PiSD_S15_EEDaS11_S12_SI_SN_EUlS11_E_NS1_11comp_targetILNS1_3genE8ELNS1_11target_archE1030ELNS1_3gpuE2ELNS1_3repE0EEENS1_47radix_sort_onesweep_sort_config_static_selectorELNS0_4arch9wavefront6targetE1EEEvSI_,comdat
	.protected	_ZN7rocprim17ROCPRIM_400000_NS6detail17trampoline_kernelINS0_14default_configENS1_35radix_sort_onesweep_config_selectorIiiEEZZNS1_29radix_sort_onesweep_iterationIS3_Lb1EN6thrust23THRUST_200600_302600_NS6detail15normal_iteratorINS8_10device_ptrIiEEEESD_SD_SD_jNS0_19identity_decomposerENS1_16block_id_wrapperIjLb0EEEEE10hipError_tT1_PNSt15iterator_traitsISI_E10value_typeET2_T3_PNSJ_ISO_E10value_typeET4_T5_PST_SU_PNS1_23onesweep_lookback_stateEbbT6_jjT7_P12ihipStream_tbENKUlT_T0_SI_SN_E_clISD_PiSD_S15_EEDaS11_S12_SI_SN_EUlS11_E_NS1_11comp_targetILNS1_3genE8ELNS1_11target_archE1030ELNS1_3gpuE2ELNS1_3repE0EEENS1_47radix_sort_onesweep_sort_config_static_selectorELNS0_4arch9wavefront6targetE1EEEvSI_ ; -- Begin function _ZN7rocprim17ROCPRIM_400000_NS6detail17trampoline_kernelINS0_14default_configENS1_35radix_sort_onesweep_config_selectorIiiEEZZNS1_29radix_sort_onesweep_iterationIS3_Lb1EN6thrust23THRUST_200600_302600_NS6detail15normal_iteratorINS8_10device_ptrIiEEEESD_SD_SD_jNS0_19identity_decomposerENS1_16block_id_wrapperIjLb0EEEEE10hipError_tT1_PNSt15iterator_traitsISI_E10value_typeET2_T3_PNSJ_ISO_E10value_typeET4_T5_PST_SU_PNS1_23onesweep_lookback_stateEbbT6_jjT7_P12ihipStream_tbENKUlT_T0_SI_SN_E_clISD_PiSD_S15_EEDaS11_S12_SI_SN_EUlS11_E_NS1_11comp_targetILNS1_3genE8ELNS1_11target_archE1030ELNS1_3gpuE2ELNS1_3repE0EEENS1_47radix_sort_onesweep_sort_config_static_selectorELNS0_4arch9wavefront6targetE1EEEvSI_
	.globl	_ZN7rocprim17ROCPRIM_400000_NS6detail17trampoline_kernelINS0_14default_configENS1_35radix_sort_onesweep_config_selectorIiiEEZZNS1_29radix_sort_onesweep_iterationIS3_Lb1EN6thrust23THRUST_200600_302600_NS6detail15normal_iteratorINS8_10device_ptrIiEEEESD_SD_SD_jNS0_19identity_decomposerENS1_16block_id_wrapperIjLb0EEEEE10hipError_tT1_PNSt15iterator_traitsISI_E10value_typeET2_T3_PNSJ_ISO_E10value_typeET4_T5_PST_SU_PNS1_23onesweep_lookback_stateEbbT6_jjT7_P12ihipStream_tbENKUlT_T0_SI_SN_E_clISD_PiSD_S15_EEDaS11_S12_SI_SN_EUlS11_E_NS1_11comp_targetILNS1_3genE8ELNS1_11target_archE1030ELNS1_3gpuE2ELNS1_3repE0EEENS1_47radix_sort_onesweep_sort_config_static_selectorELNS0_4arch9wavefront6targetE1EEEvSI_
	.p2align	8
	.type	_ZN7rocprim17ROCPRIM_400000_NS6detail17trampoline_kernelINS0_14default_configENS1_35radix_sort_onesweep_config_selectorIiiEEZZNS1_29radix_sort_onesweep_iterationIS3_Lb1EN6thrust23THRUST_200600_302600_NS6detail15normal_iteratorINS8_10device_ptrIiEEEESD_SD_SD_jNS0_19identity_decomposerENS1_16block_id_wrapperIjLb0EEEEE10hipError_tT1_PNSt15iterator_traitsISI_E10value_typeET2_T3_PNSJ_ISO_E10value_typeET4_T5_PST_SU_PNS1_23onesweep_lookback_stateEbbT6_jjT7_P12ihipStream_tbENKUlT_T0_SI_SN_E_clISD_PiSD_S15_EEDaS11_S12_SI_SN_EUlS11_E_NS1_11comp_targetILNS1_3genE8ELNS1_11target_archE1030ELNS1_3gpuE2ELNS1_3repE0EEENS1_47radix_sort_onesweep_sort_config_static_selectorELNS0_4arch9wavefront6targetE1EEEvSI_,@function
_ZN7rocprim17ROCPRIM_400000_NS6detail17trampoline_kernelINS0_14default_configENS1_35radix_sort_onesweep_config_selectorIiiEEZZNS1_29radix_sort_onesweep_iterationIS3_Lb1EN6thrust23THRUST_200600_302600_NS6detail15normal_iteratorINS8_10device_ptrIiEEEESD_SD_SD_jNS0_19identity_decomposerENS1_16block_id_wrapperIjLb0EEEEE10hipError_tT1_PNSt15iterator_traitsISI_E10value_typeET2_T3_PNSJ_ISO_E10value_typeET4_T5_PST_SU_PNS1_23onesweep_lookback_stateEbbT6_jjT7_P12ihipStream_tbENKUlT_T0_SI_SN_E_clISD_PiSD_S15_EEDaS11_S12_SI_SN_EUlS11_E_NS1_11comp_targetILNS1_3genE8ELNS1_11target_archE1030ELNS1_3gpuE2ELNS1_3repE0EEENS1_47radix_sort_onesweep_sort_config_static_selectorELNS0_4arch9wavefront6targetE1EEEvSI_: ; @_ZN7rocprim17ROCPRIM_400000_NS6detail17trampoline_kernelINS0_14default_configENS1_35radix_sort_onesweep_config_selectorIiiEEZZNS1_29radix_sort_onesweep_iterationIS3_Lb1EN6thrust23THRUST_200600_302600_NS6detail15normal_iteratorINS8_10device_ptrIiEEEESD_SD_SD_jNS0_19identity_decomposerENS1_16block_id_wrapperIjLb0EEEEE10hipError_tT1_PNSt15iterator_traitsISI_E10value_typeET2_T3_PNSJ_ISO_E10value_typeET4_T5_PST_SU_PNS1_23onesweep_lookback_stateEbbT6_jjT7_P12ihipStream_tbENKUlT_T0_SI_SN_E_clISD_PiSD_S15_EEDaS11_S12_SI_SN_EUlS11_E_NS1_11comp_targetILNS1_3genE8ELNS1_11target_archE1030ELNS1_3gpuE2ELNS1_3repE0EEENS1_47radix_sort_onesweep_sort_config_static_selectorELNS0_4arch9wavefront6targetE1EEEvSI_
; %bb.0:
	.section	.rodata,"a",@progbits
	.p2align	6, 0x0
	.amdhsa_kernel _ZN7rocprim17ROCPRIM_400000_NS6detail17trampoline_kernelINS0_14default_configENS1_35radix_sort_onesweep_config_selectorIiiEEZZNS1_29radix_sort_onesweep_iterationIS3_Lb1EN6thrust23THRUST_200600_302600_NS6detail15normal_iteratorINS8_10device_ptrIiEEEESD_SD_SD_jNS0_19identity_decomposerENS1_16block_id_wrapperIjLb0EEEEE10hipError_tT1_PNSt15iterator_traitsISI_E10value_typeET2_T3_PNSJ_ISO_E10value_typeET4_T5_PST_SU_PNS1_23onesweep_lookback_stateEbbT6_jjT7_P12ihipStream_tbENKUlT_T0_SI_SN_E_clISD_PiSD_S15_EEDaS11_S12_SI_SN_EUlS11_E_NS1_11comp_targetILNS1_3genE8ELNS1_11target_archE1030ELNS1_3gpuE2ELNS1_3repE0EEENS1_47radix_sort_onesweep_sort_config_static_selectorELNS0_4arch9wavefront6targetE1EEEvSI_
		.amdhsa_group_segment_fixed_size 0
		.amdhsa_private_segment_fixed_size 0
		.amdhsa_kernarg_size 88
		.amdhsa_user_sgpr_count 2
		.amdhsa_user_sgpr_dispatch_ptr 0
		.amdhsa_user_sgpr_queue_ptr 0
		.amdhsa_user_sgpr_kernarg_segment_ptr 1
		.amdhsa_user_sgpr_dispatch_id 0
		.amdhsa_user_sgpr_kernarg_preload_length 0
		.amdhsa_user_sgpr_kernarg_preload_offset 0
		.amdhsa_user_sgpr_private_segment_size 0
		.amdhsa_uses_dynamic_stack 0
		.amdhsa_enable_private_segment 0
		.amdhsa_system_sgpr_workgroup_id_x 1
		.amdhsa_system_sgpr_workgroup_id_y 0
		.amdhsa_system_sgpr_workgroup_id_z 0
		.amdhsa_system_sgpr_workgroup_info 0
		.amdhsa_system_vgpr_workitem_id 0
		.amdhsa_next_free_vgpr 1
		.amdhsa_next_free_sgpr 0
		.amdhsa_accum_offset 4
		.amdhsa_reserve_vcc 0
		.amdhsa_float_round_mode_32 0
		.amdhsa_float_round_mode_16_64 0
		.amdhsa_float_denorm_mode_32 3
		.amdhsa_float_denorm_mode_16_64 3
		.amdhsa_dx10_clamp 1
		.amdhsa_ieee_mode 1
		.amdhsa_fp16_overflow 0
		.amdhsa_tg_split 0
		.amdhsa_exception_fp_ieee_invalid_op 0
		.amdhsa_exception_fp_denorm_src 0
		.amdhsa_exception_fp_ieee_div_zero 0
		.amdhsa_exception_fp_ieee_overflow 0
		.amdhsa_exception_fp_ieee_underflow 0
		.amdhsa_exception_fp_ieee_inexact 0
		.amdhsa_exception_int_div_zero 0
	.end_amdhsa_kernel
	.section	.text._ZN7rocprim17ROCPRIM_400000_NS6detail17trampoline_kernelINS0_14default_configENS1_35radix_sort_onesweep_config_selectorIiiEEZZNS1_29radix_sort_onesweep_iterationIS3_Lb1EN6thrust23THRUST_200600_302600_NS6detail15normal_iteratorINS8_10device_ptrIiEEEESD_SD_SD_jNS0_19identity_decomposerENS1_16block_id_wrapperIjLb0EEEEE10hipError_tT1_PNSt15iterator_traitsISI_E10value_typeET2_T3_PNSJ_ISO_E10value_typeET4_T5_PST_SU_PNS1_23onesweep_lookback_stateEbbT6_jjT7_P12ihipStream_tbENKUlT_T0_SI_SN_E_clISD_PiSD_S15_EEDaS11_S12_SI_SN_EUlS11_E_NS1_11comp_targetILNS1_3genE8ELNS1_11target_archE1030ELNS1_3gpuE2ELNS1_3repE0EEENS1_47radix_sort_onesweep_sort_config_static_selectorELNS0_4arch9wavefront6targetE1EEEvSI_,"axG",@progbits,_ZN7rocprim17ROCPRIM_400000_NS6detail17trampoline_kernelINS0_14default_configENS1_35radix_sort_onesweep_config_selectorIiiEEZZNS1_29radix_sort_onesweep_iterationIS3_Lb1EN6thrust23THRUST_200600_302600_NS6detail15normal_iteratorINS8_10device_ptrIiEEEESD_SD_SD_jNS0_19identity_decomposerENS1_16block_id_wrapperIjLb0EEEEE10hipError_tT1_PNSt15iterator_traitsISI_E10value_typeET2_T3_PNSJ_ISO_E10value_typeET4_T5_PST_SU_PNS1_23onesweep_lookback_stateEbbT6_jjT7_P12ihipStream_tbENKUlT_T0_SI_SN_E_clISD_PiSD_S15_EEDaS11_S12_SI_SN_EUlS11_E_NS1_11comp_targetILNS1_3genE8ELNS1_11target_archE1030ELNS1_3gpuE2ELNS1_3repE0EEENS1_47radix_sort_onesweep_sort_config_static_selectorELNS0_4arch9wavefront6targetE1EEEvSI_,comdat
.Lfunc_end1881:
	.size	_ZN7rocprim17ROCPRIM_400000_NS6detail17trampoline_kernelINS0_14default_configENS1_35radix_sort_onesweep_config_selectorIiiEEZZNS1_29radix_sort_onesweep_iterationIS3_Lb1EN6thrust23THRUST_200600_302600_NS6detail15normal_iteratorINS8_10device_ptrIiEEEESD_SD_SD_jNS0_19identity_decomposerENS1_16block_id_wrapperIjLb0EEEEE10hipError_tT1_PNSt15iterator_traitsISI_E10value_typeET2_T3_PNSJ_ISO_E10value_typeET4_T5_PST_SU_PNS1_23onesweep_lookback_stateEbbT6_jjT7_P12ihipStream_tbENKUlT_T0_SI_SN_E_clISD_PiSD_S15_EEDaS11_S12_SI_SN_EUlS11_E_NS1_11comp_targetILNS1_3genE8ELNS1_11target_archE1030ELNS1_3gpuE2ELNS1_3repE0EEENS1_47radix_sort_onesweep_sort_config_static_selectorELNS0_4arch9wavefront6targetE1EEEvSI_, .Lfunc_end1881-_ZN7rocprim17ROCPRIM_400000_NS6detail17trampoline_kernelINS0_14default_configENS1_35radix_sort_onesweep_config_selectorIiiEEZZNS1_29radix_sort_onesweep_iterationIS3_Lb1EN6thrust23THRUST_200600_302600_NS6detail15normal_iteratorINS8_10device_ptrIiEEEESD_SD_SD_jNS0_19identity_decomposerENS1_16block_id_wrapperIjLb0EEEEE10hipError_tT1_PNSt15iterator_traitsISI_E10value_typeET2_T3_PNSJ_ISO_E10value_typeET4_T5_PST_SU_PNS1_23onesweep_lookback_stateEbbT6_jjT7_P12ihipStream_tbENKUlT_T0_SI_SN_E_clISD_PiSD_S15_EEDaS11_S12_SI_SN_EUlS11_E_NS1_11comp_targetILNS1_3genE8ELNS1_11target_archE1030ELNS1_3gpuE2ELNS1_3repE0EEENS1_47radix_sort_onesweep_sort_config_static_selectorELNS0_4arch9wavefront6targetE1EEEvSI_
                                        ; -- End function
	.set _ZN7rocprim17ROCPRIM_400000_NS6detail17trampoline_kernelINS0_14default_configENS1_35radix_sort_onesweep_config_selectorIiiEEZZNS1_29radix_sort_onesweep_iterationIS3_Lb1EN6thrust23THRUST_200600_302600_NS6detail15normal_iteratorINS8_10device_ptrIiEEEESD_SD_SD_jNS0_19identity_decomposerENS1_16block_id_wrapperIjLb0EEEEE10hipError_tT1_PNSt15iterator_traitsISI_E10value_typeET2_T3_PNSJ_ISO_E10value_typeET4_T5_PST_SU_PNS1_23onesweep_lookback_stateEbbT6_jjT7_P12ihipStream_tbENKUlT_T0_SI_SN_E_clISD_PiSD_S15_EEDaS11_S12_SI_SN_EUlS11_E_NS1_11comp_targetILNS1_3genE8ELNS1_11target_archE1030ELNS1_3gpuE2ELNS1_3repE0EEENS1_47radix_sort_onesweep_sort_config_static_selectorELNS0_4arch9wavefront6targetE1EEEvSI_.num_vgpr, 0
	.set _ZN7rocprim17ROCPRIM_400000_NS6detail17trampoline_kernelINS0_14default_configENS1_35radix_sort_onesweep_config_selectorIiiEEZZNS1_29radix_sort_onesweep_iterationIS3_Lb1EN6thrust23THRUST_200600_302600_NS6detail15normal_iteratorINS8_10device_ptrIiEEEESD_SD_SD_jNS0_19identity_decomposerENS1_16block_id_wrapperIjLb0EEEEE10hipError_tT1_PNSt15iterator_traitsISI_E10value_typeET2_T3_PNSJ_ISO_E10value_typeET4_T5_PST_SU_PNS1_23onesweep_lookback_stateEbbT6_jjT7_P12ihipStream_tbENKUlT_T0_SI_SN_E_clISD_PiSD_S15_EEDaS11_S12_SI_SN_EUlS11_E_NS1_11comp_targetILNS1_3genE8ELNS1_11target_archE1030ELNS1_3gpuE2ELNS1_3repE0EEENS1_47radix_sort_onesweep_sort_config_static_selectorELNS0_4arch9wavefront6targetE1EEEvSI_.num_agpr, 0
	.set _ZN7rocprim17ROCPRIM_400000_NS6detail17trampoline_kernelINS0_14default_configENS1_35radix_sort_onesweep_config_selectorIiiEEZZNS1_29radix_sort_onesweep_iterationIS3_Lb1EN6thrust23THRUST_200600_302600_NS6detail15normal_iteratorINS8_10device_ptrIiEEEESD_SD_SD_jNS0_19identity_decomposerENS1_16block_id_wrapperIjLb0EEEEE10hipError_tT1_PNSt15iterator_traitsISI_E10value_typeET2_T3_PNSJ_ISO_E10value_typeET4_T5_PST_SU_PNS1_23onesweep_lookback_stateEbbT6_jjT7_P12ihipStream_tbENKUlT_T0_SI_SN_E_clISD_PiSD_S15_EEDaS11_S12_SI_SN_EUlS11_E_NS1_11comp_targetILNS1_3genE8ELNS1_11target_archE1030ELNS1_3gpuE2ELNS1_3repE0EEENS1_47radix_sort_onesweep_sort_config_static_selectorELNS0_4arch9wavefront6targetE1EEEvSI_.numbered_sgpr, 0
	.set _ZN7rocprim17ROCPRIM_400000_NS6detail17trampoline_kernelINS0_14default_configENS1_35radix_sort_onesweep_config_selectorIiiEEZZNS1_29radix_sort_onesweep_iterationIS3_Lb1EN6thrust23THRUST_200600_302600_NS6detail15normal_iteratorINS8_10device_ptrIiEEEESD_SD_SD_jNS0_19identity_decomposerENS1_16block_id_wrapperIjLb0EEEEE10hipError_tT1_PNSt15iterator_traitsISI_E10value_typeET2_T3_PNSJ_ISO_E10value_typeET4_T5_PST_SU_PNS1_23onesweep_lookback_stateEbbT6_jjT7_P12ihipStream_tbENKUlT_T0_SI_SN_E_clISD_PiSD_S15_EEDaS11_S12_SI_SN_EUlS11_E_NS1_11comp_targetILNS1_3genE8ELNS1_11target_archE1030ELNS1_3gpuE2ELNS1_3repE0EEENS1_47radix_sort_onesweep_sort_config_static_selectorELNS0_4arch9wavefront6targetE1EEEvSI_.num_named_barrier, 0
	.set _ZN7rocprim17ROCPRIM_400000_NS6detail17trampoline_kernelINS0_14default_configENS1_35radix_sort_onesweep_config_selectorIiiEEZZNS1_29radix_sort_onesweep_iterationIS3_Lb1EN6thrust23THRUST_200600_302600_NS6detail15normal_iteratorINS8_10device_ptrIiEEEESD_SD_SD_jNS0_19identity_decomposerENS1_16block_id_wrapperIjLb0EEEEE10hipError_tT1_PNSt15iterator_traitsISI_E10value_typeET2_T3_PNSJ_ISO_E10value_typeET4_T5_PST_SU_PNS1_23onesweep_lookback_stateEbbT6_jjT7_P12ihipStream_tbENKUlT_T0_SI_SN_E_clISD_PiSD_S15_EEDaS11_S12_SI_SN_EUlS11_E_NS1_11comp_targetILNS1_3genE8ELNS1_11target_archE1030ELNS1_3gpuE2ELNS1_3repE0EEENS1_47radix_sort_onesweep_sort_config_static_selectorELNS0_4arch9wavefront6targetE1EEEvSI_.private_seg_size, 0
	.set _ZN7rocprim17ROCPRIM_400000_NS6detail17trampoline_kernelINS0_14default_configENS1_35radix_sort_onesweep_config_selectorIiiEEZZNS1_29radix_sort_onesweep_iterationIS3_Lb1EN6thrust23THRUST_200600_302600_NS6detail15normal_iteratorINS8_10device_ptrIiEEEESD_SD_SD_jNS0_19identity_decomposerENS1_16block_id_wrapperIjLb0EEEEE10hipError_tT1_PNSt15iterator_traitsISI_E10value_typeET2_T3_PNSJ_ISO_E10value_typeET4_T5_PST_SU_PNS1_23onesweep_lookback_stateEbbT6_jjT7_P12ihipStream_tbENKUlT_T0_SI_SN_E_clISD_PiSD_S15_EEDaS11_S12_SI_SN_EUlS11_E_NS1_11comp_targetILNS1_3genE8ELNS1_11target_archE1030ELNS1_3gpuE2ELNS1_3repE0EEENS1_47radix_sort_onesweep_sort_config_static_selectorELNS0_4arch9wavefront6targetE1EEEvSI_.uses_vcc, 0
	.set _ZN7rocprim17ROCPRIM_400000_NS6detail17trampoline_kernelINS0_14default_configENS1_35radix_sort_onesweep_config_selectorIiiEEZZNS1_29radix_sort_onesweep_iterationIS3_Lb1EN6thrust23THRUST_200600_302600_NS6detail15normal_iteratorINS8_10device_ptrIiEEEESD_SD_SD_jNS0_19identity_decomposerENS1_16block_id_wrapperIjLb0EEEEE10hipError_tT1_PNSt15iterator_traitsISI_E10value_typeET2_T3_PNSJ_ISO_E10value_typeET4_T5_PST_SU_PNS1_23onesweep_lookback_stateEbbT6_jjT7_P12ihipStream_tbENKUlT_T0_SI_SN_E_clISD_PiSD_S15_EEDaS11_S12_SI_SN_EUlS11_E_NS1_11comp_targetILNS1_3genE8ELNS1_11target_archE1030ELNS1_3gpuE2ELNS1_3repE0EEENS1_47radix_sort_onesweep_sort_config_static_selectorELNS0_4arch9wavefront6targetE1EEEvSI_.uses_flat_scratch, 0
	.set _ZN7rocprim17ROCPRIM_400000_NS6detail17trampoline_kernelINS0_14default_configENS1_35radix_sort_onesweep_config_selectorIiiEEZZNS1_29radix_sort_onesweep_iterationIS3_Lb1EN6thrust23THRUST_200600_302600_NS6detail15normal_iteratorINS8_10device_ptrIiEEEESD_SD_SD_jNS0_19identity_decomposerENS1_16block_id_wrapperIjLb0EEEEE10hipError_tT1_PNSt15iterator_traitsISI_E10value_typeET2_T3_PNSJ_ISO_E10value_typeET4_T5_PST_SU_PNS1_23onesweep_lookback_stateEbbT6_jjT7_P12ihipStream_tbENKUlT_T0_SI_SN_E_clISD_PiSD_S15_EEDaS11_S12_SI_SN_EUlS11_E_NS1_11comp_targetILNS1_3genE8ELNS1_11target_archE1030ELNS1_3gpuE2ELNS1_3repE0EEENS1_47radix_sort_onesweep_sort_config_static_selectorELNS0_4arch9wavefront6targetE1EEEvSI_.has_dyn_sized_stack, 0
	.set _ZN7rocprim17ROCPRIM_400000_NS6detail17trampoline_kernelINS0_14default_configENS1_35radix_sort_onesweep_config_selectorIiiEEZZNS1_29radix_sort_onesweep_iterationIS3_Lb1EN6thrust23THRUST_200600_302600_NS6detail15normal_iteratorINS8_10device_ptrIiEEEESD_SD_SD_jNS0_19identity_decomposerENS1_16block_id_wrapperIjLb0EEEEE10hipError_tT1_PNSt15iterator_traitsISI_E10value_typeET2_T3_PNSJ_ISO_E10value_typeET4_T5_PST_SU_PNS1_23onesweep_lookback_stateEbbT6_jjT7_P12ihipStream_tbENKUlT_T0_SI_SN_E_clISD_PiSD_S15_EEDaS11_S12_SI_SN_EUlS11_E_NS1_11comp_targetILNS1_3genE8ELNS1_11target_archE1030ELNS1_3gpuE2ELNS1_3repE0EEENS1_47radix_sort_onesweep_sort_config_static_selectorELNS0_4arch9wavefront6targetE1EEEvSI_.has_recursion, 0
	.set _ZN7rocprim17ROCPRIM_400000_NS6detail17trampoline_kernelINS0_14default_configENS1_35radix_sort_onesweep_config_selectorIiiEEZZNS1_29radix_sort_onesweep_iterationIS3_Lb1EN6thrust23THRUST_200600_302600_NS6detail15normal_iteratorINS8_10device_ptrIiEEEESD_SD_SD_jNS0_19identity_decomposerENS1_16block_id_wrapperIjLb0EEEEE10hipError_tT1_PNSt15iterator_traitsISI_E10value_typeET2_T3_PNSJ_ISO_E10value_typeET4_T5_PST_SU_PNS1_23onesweep_lookback_stateEbbT6_jjT7_P12ihipStream_tbENKUlT_T0_SI_SN_E_clISD_PiSD_S15_EEDaS11_S12_SI_SN_EUlS11_E_NS1_11comp_targetILNS1_3genE8ELNS1_11target_archE1030ELNS1_3gpuE2ELNS1_3repE0EEENS1_47radix_sort_onesweep_sort_config_static_selectorELNS0_4arch9wavefront6targetE1EEEvSI_.has_indirect_call, 0
	.section	.AMDGPU.csdata,"",@progbits
; Kernel info:
; codeLenInByte = 0
; TotalNumSgprs: 6
; NumVgprs: 0
; NumAgprs: 0
; TotalNumVgprs: 0
; ScratchSize: 0
; MemoryBound: 0
; FloatMode: 240
; IeeeMode: 1
; LDSByteSize: 0 bytes/workgroup (compile time only)
; SGPRBlocks: 0
; VGPRBlocks: 0
; NumSGPRsForWavesPerEU: 6
; NumVGPRsForWavesPerEU: 1
; AccumOffset: 4
; Occupancy: 8
; WaveLimiterHint : 0
; COMPUTE_PGM_RSRC2:SCRATCH_EN: 0
; COMPUTE_PGM_RSRC2:USER_SGPR: 2
; COMPUTE_PGM_RSRC2:TRAP_HANDLER: 0
; COMPUTE_PGM_RSRC2:TGID_X_EN: 1
; COMPUTE_PGM_RSRC2:TGID_Y_EN: 0
; COMPUTE_PGM_RSRC2:TGID_Z_EN: 0
; COMPUTE_PGM_RSRC2:TIDIG_COMP_CNT: 0
; COMPUTE_PGM_RSRC3_GFX90A:ACCUM_OFFSET: 0
; COMPUTE_PGM_RSRC3_GFX90A:TG_SPLIT: 0
	.section	.text._ZN7rocprim17ROCPRIM_400000_NS6detail17trampoline_kernelINS0_14default_configENS1_35radix_sort_onesweep_config_selectorIiiEEZZNS1_29radix_sort_onesweep_iterationIS3_Lb1EN6thrust23THRUST_200600_302600_NS6detail15normal_iteratorINS8_10device_ptrIiEEEESD_SD_SD_jNS0_19identity_decomposerENS1_16block_id_wrapperIjLb0EEEEE10hipError_tT1_PNSt15iterator_traitsISI_E10value_typeET2_T3_PNSJ_ISO_E10value_typeET4_T5_PST_SU_PNS1_23onesweep_lookback_stateEbbT6_jjT7_P12ihipStream_tbENKUlT_T0_SI_SN_E_clIPiSD_S15_SD_EEDaS11_S12_SI_SN_EUlS11_E_NS1_11comp_targetILNS1_3genE0ELNS1_11target_archE4294967295ELNS1_3gpuE0ELNS1_3repE0EEENS1_47radix_sort_onesweep_sort_config_static_selectorELNS0_4arch9wavefront6targetE1EEEvSI_,"axG",@progbits,_ZN7rocprim17ROCPRIM_400000_NS6detail17trampoline_kernelINS0_14default_configENS1_35radix_sort_onesweep_config_selectorIiiEEZZNS1_29radix_sort_onesweep_iterationIS3_Lb1EN6thrust23THRUST_200600_302600_NS6detail15normal_iteratorINS8_10device_ptrIiEEEESD_SD_SD_jNS0_19identity_decomposerENS1_16block_id_wrapperIjLb0EEEEE10hipError_tT1_PNSt15iterator_traitsISI_E10value_typeET2_T3_PNSJ_ISO_E10value_typeET4_T5_PST_SU_PNS1_23onesweep_lookback_stateEbbT6_jjT7_P12ihipStream_tbENKUlT_T0_SI_SN_E_clIPiSD_S15_SD_EEDaS11_S12_SI_SN_EUlS11_E_NS1_11comp_targetILNS1_3genE0ELNS1_11target_archE4294967295ELNS1_3gpuE0ELNS1_3repE0EEENS1_47radix_sort_onesweep_sort_config_static_selectorELNS0_4arch9wavefront6targetE1EEEvSI_,comdat
	.protected	_ZN7rocprim17ROCPRIM_400000_NS6detail17trampoline_kernelINS0_14default_configENS1_35radix_sort_onesweep_config_selectorIiiEEZZNS1_29radix_sort_onesweep_iterationIS3_Lb1EN6thrust23THRUST_200600_302600_NS6detail15normal_iteratorINS8_10device_ptrIiEEEESD_SD_SD_jNS0_19identity_decomposerENS1_16block_id_wrapperIjLb0EEEEE10hipError_tT1_PNSt15iterator_traitsISI_E10value_typeET2_T3_PNSJ_ISO_E10value_typeET4_T5_PST_SU_PNS1_23onesweep_lookback_stateEbbT6_jjT7_P12ihipStream_tbENKUlT_T0_SI_SN_E_clIPiSD_S15_SD_EEDaS11_S12_SI_SN_EUlS11_E_NS1_11comp_targetILNS1_3genE0ELNS1_11target_archE4294967295ELNS1_3gpuE0ELNS1_3repE0EEENS1_47radix_sort_onesweep_sort_config_static_selectorELNS0_4arch9wavefront6targetE1EEEvSI_ ; -- Begin function _ZN7rocprim17ROCPRIM_400000_NS6detail17trampoline_kernelINS0_14default_configENS1_35radix_sort_onesweep_config_selectorIiiEEZZNS1_29radix_sort_onesweep_iterationIS3_Lb1EN6thrust23THRUST_200600_302600_NS6detail15normal_iteratorINS8_10device_ptrIiEEEESD_SD_SD_jNS0_19identity_decomposerENS1_16block_id_wrapperIjLb0EEEEE10hipError_tT1_PNSt15iterator_traitsISI_E10value_typeET2_T3_PNSJ_ISO_E10value_typeET4_T5_PST_SU_PNS1_23onesweep_lookback_stateEbbT6_jjT7_P12ihipStream_tbENKUlT_T0_SI_SN_E_clIPiSD_S15_SD_EEDaS11_S12_SI_SN_EUlS11_E_NS1_11comp_targetILNS1_3genE0ELNS1_11target_archE4294967295ELNS1_3gpuE0ELNS1_3repE0EEENS1_47radix_sort_onesweep_sort_config_static_selectorELNS0_4arch9wavefront6targetE1EEEvSI_
	.globl	_ZN7rocprim17ROCPRIM_400000_NS6detail17trampoline_kernelINS0_14default_configENS1_35radix_sort_onesweep_config_selectorIiiEEZZNS1_29radix_sort_onesweep_iterationIS3_Lb1EN6thrust23THRUST_200600_302600_NS6detail15normal_iteratorINS8_10device_ptrIiEEEESD_SD_SD_jNS0_19identity_decomposerENS1_16block_id_wrapperIjLb0EEEEE10hipError_tT1_PNSt15iterator_traitsISI_E10value_typeET2_T3_PNSJ_ISO_E10value_typeET4_T5_PST_SU_PNS1_23onesweep_lookback_stateEbbT6_jjT7_P12ihipStream_tbENKUlT_T0_SI_SN_E_clIPiSD_S15_SD_EEDaS11_S12_SI_SN_EUlS11_E_NS1_11comp_targetILNS1_3genE0ELNS1_11target_archE4294967295ELNS1_3gpuE0ELNS1_3repE0EEENS1_47radix_sort_onesweep_sort_config_static_selectorELNS0_4arch9wavefront6targetE1EEEvSI_
	.p2align	8
	.type	_ZN7rocprim17ROCPRIM_400000_NS6detail17trampoline_kernelINS0_14default_configENS1_35radix_sort_onesweep_config_selectorIiiEEZZNS1_29radix_sort_onesweep_iterationIS3_Lb1EN6thrust23THRUST_200600_302600_NS6detail15normal_iteratorINS8_10device_ptrIiEEEESD_SD_SD_jNS0_19identity_decomposerENS1_16block_id_wrapperIjLb0EEEEE10hipError_tT1_PNSt15iterator_traitsISI_E10value_typeET2_T3_PNSJ_ISO_E10value_typeET4_T5_PST_SU_PNS1_23onesweep_lookback_stateEbbT6_jjT7_P12ihipStream_tbENKUlT_T0_SI_SN_E_clIPiSD_S15_SD_EEDaS11_S12_SI_SN_EUlS11_E_NS1_11comp_targetILNS1_3genE0ELNS1_11target_archE4294967295ELNS1_3gpuE0ELNS1_3repE0EEENS1_47radix_sort_onesweep_sort_config_static_selectorELNS0_4arch9wavefront6targetE1EEEvSI_,@function
_ZN7rocprim17ROCPRIM_400000_NS6detail17trampoline_kernelINS0_14default_configENS1_35radix_sort_onesweep_config_selectorIiiEEZZNS1_29radix_sort_onesweep_iterationIS3_Lb1EN6thrust23THRUST_200600_302600_NS6detail15normal_iteratorINS8_10device_ptrIiEEEESD_SD_SD_jNS0_19identity_decomposerENS1_16block_id_wrapperIjLb0EEEEE10hipError_tT1_PNSt15iterator_traitsISI_E10value_typeET2_T3_PNSJ_ISO_E10value_typeET4_T5_PST_SU_PNS1_23onesweep_lookback_stateEbbT6_jjT7_P12ihipStream_tbENKUlT_T0_SI_SN_E_clIPiSD_S15_SD_EEDaS11_S12_SI_SN_EUlS11_E_NS1_11comp_targetILNS1_3genE0ELNS1_11target_archE4294967295ELNS1_3gpuE0ELNS1_3repE0EEENS1_47radix_sort_onesweep_sort_config_static_selectorELNS0_4arch9wavefront6targetE1EEEvSI_: ; @_ZN7rocprim17ROCPRIM_400000_NS6detail17trampoline_kernelINS0_14default_configENS1_35radix_sort_onesweep_config_selectorIiiEEZZNS1_29radix_sort_onesweep_iterationIS3_Lb1EN6thrust23THRUST_200600_302600_NS6detail15normal_iteratorINS8_10device_ptrIiEEEESD_SD_SD_jNS0_19identity_decomposerENS1_16block_id_wrapperIjLb0EEEEE10hipError_tT1_PNSt15iterator_traitsISI_E10value_typeET2_T3_PNSJ_ISO_E10value_typeET4_T5_PST_SU_PNS1_23onesweep_lookback_stateEbbT6_jjT7_P12ihipStream_tbENKUlT_T0_SI_SN_E_clIPiSD_S15_SD_EEDaS11_S12_SI_SN_EUlS11_E_NS1_11comp_targetILNS1_3genE0ELNS1_11target_archE4294967295ELNS1_3gpuE0ELNS1_3repE0EEENS1_47radix_sort_onesweep_sort_config_static_selectorELNS0_4arch9wavefront6targetE1EEEvSI_
; %bb.0:
	.section	.rodata,"a",@progbits
	.p2align	6, 0x0
	.amdhsa_kernel _ZN7rocprim17ROCPRIM_400000_NS6detail17trampoline_kernelINS0_14default_configENS1_35radix_sort_onesweep_config_selectorIiiEEZZNS1_29radix_sort_onesweep_iterationIS3_Lb1EN6thrust23THRUST_200600_302600_NS6detail15normal_iteratorINS8_10device_ptrIiEEEESD_SD_SD_jNS0_19identity_decomposerENS1_16block_id_wrapperIjLb0EEEEE10hipError_tT1_PNSt15iterator_traitsISI_E10value_typeET2_T3_PNSJ_ISO_E10value_typeET4_T5_PST_SU_PNS1_23onesweep_lookback_stateEbbT6_jjT7_P12ihipStream_tbENKUlT_T0_SI_SN_E_clIPiSD_S15_SD_EEDaS11_S12_SI_SN_EUlS11_E_NS1_11comp_targetILNS1_3genE0ELNS1_11target_archE4294967295ELNS1_3gpuE0ELNS1_3repE0EEENS1_47radix_sort_onesweep_sort_config_static_selectorELNS0_4arch9wavefront6targetE1EEEvSI_
		.amdhsa_group_segment_fixed_size 0
		.amdhsa_private_segment_fixed_size 0
		.amdhsa_kernarg_size 88
		.amdhsa_user_sgpr_count 2
		.amdhsa_user_sgpr_dispatch_ptr 0
		.amdhsa_user_sgpr_queue_ptr 0
		.amdhsa_user_sgpr_kernarg_segment_ptr 1
		.amdhsa_user_sgpr_dispatch_id 0
		.amdhsa_user_sgpr_kernarg_preload_length 0
		.amdhsa_user_sgpr_kernarg_preload_offset 0
		.amdhsa_user_sgpr_private_segment_size 0
		.amdhsa_uses_dynamic_stack 0
		.amdhsa_enable_private_segment 0
		.amdhsa_system_sgpr_workgroup_id_x 1
		.amdhsa_system_sgpr_workgroup_id_y 0
		.amdhsa_system_sgpr_workgroup_id_z 0
		.amdhsa_system_sgpr_workgroup_info 0
		.amdhsa_system_vgpr_workitem_id 0
		.amdhsa_next_free_vgpr 1
		.amdhsa_next_free_sgpr 0
		.amdhsa_accum_offset 4
		.amdhsa_reserve_vcc 0
		.amdhsa_float_round_mode_32 0
		.amdhsa_float_round_mode_16_64 0
		.amdhsa_float_denorm_mode_32 3
		.amdhsa_float_denorm_mode_16_64 3
		.amdhsa_dx10_clamp 1
		.amdhsa_ieee_mode 1
		.amdhsa_fp16_overflow 0
		.amdhsa_tg_split 0
		.amdhsa_exception_fp_ieee_invalid_op 0
		.amdhsa_exception_fp_denorm_src 0
		.amdhsa_exception_fp_ieee_div_zero 0
		.amdhsa_exception_fp_ieee_overflow 0
		.amdhsa_exception_fp_ieee_underflow 0
		.amdhsa_exception_fp_ieee_inexact 0
		.amdhsa_exception_int_div_zero 0
	.end_amdhsa_kernel
	.section	.text._ZN7rocprim17ROCPRIM_400000_NS6detail17trampoline_kernelINS0_14default_configENS1_35radix_sort_onesweep_config_selectorIiiEEZZNS1_29radix_sort_onesweep_iterationIS3_Lb1EN6thrust23THRUST_200600_302600_NS6detail15normal_iteratorINS8_10device_ptrIiEEEESD_SD_SD_jNS0_19identity_decomposerENS1_16block_id_wrapperIjLb0EEEEE10hipError_tT1_PNSt15iterator_traitsISI_E10value_typeET2_T3_PNSJ_ISO_E10value_typeET4_T5_PST_SU_PNS1_23onesweep_lookback_stateEbbT6_jjT7_P12ihipStream_tbENKUlT_T0_SI_SN_E_clIPiSD_S15_SD_EEDaS11_S12_SI_SN_EUlS11_E_NS1_11comp_targetILNS1_3genE0ELNS1_11target_archE4294967295ELNS1_3gpuE0ELNS1_3repE0EEENS1_47radix_sort_onesweep_sort_config_static_selectorELNS0_4arch9wavefront6targetE1EEEvSI_,"axG",@progbits,_ZN7rocprim17ROCPRIM_400000_NS6detail17trampoline_kernelINS0_14default_configENS1_35radix_sort_onesweep_config_selectorIiiEEZZNS1_29radix_sort_onesweep_iterationIS3_Lb1EN6thrust23THRUST_200600_302600_NS6detail15normal_iteratorINS8_10device_ptrIiEEEESD_SD_SD_jNS0_19identity_decomposerENS1_16block_id_wrapperIjLb0EEEEE10hipError_tT1_PNSt15iterator_traitsISI_E10value_typeET2_T3_PNSJ_ISO_E10value_typeET4_T5_PST_SU_PNS1_23onesweep_lookback_stateEbbT6_jjT7_P12ihipStream_tbENKUlT_T0_SI_SN_E_clIPiSD_S15_SD_EEDaS11_S12_SI_SN_EUlS11_E_NS1_11comp_targetILNS1_3genE0ELNS1_11target_archE4294967295ELNS1_3gpuE0ELNS1_3repE0EEENS1_47radix_sort_onesweep_sort_config_static_selectorELNS0_4arch9wavefront6targetE1EEEvSI_,comdat
.Lfunc_end1882:
	.size	_ZN7rocprim17ROCPRIM_400000_NS6detail17trampoline_kernelINS0_14default_configENS1_35radix_sort_onesweep_config_selectorIiiEEZZNS1_29radix_sort_onesweep_iterationIS3_Lb1EN6thrust23THRUST_200600_302600_NS6detail15normal_iteratorINS8_10device_ptrIiEEEESD_SD_SD_jNS0_19identity_decomposerENS1_16block_id_wrapperIjLb0EEEEE10hipError_tT1_PNSt15iterator_traitsISI_E10value_typeET2_T3_PNSJ_ISO_E10value_typeET4_T5_PST_SU_PNS1_23onesweep_lookback_stateEbbT6_jjT7_P12ihipStream_tbENKUlT_T0_SI_SN_E_clIPiSD_S15_SD_EEDaS11_S12_SI_SN_EUlS11_E_NS1_11comp_targetILNS1_3genE0ELNS1_11target_archE4294967295ELNS1_3gpuE0ELNS1_3repE0EEENS1_47radix_sort_onesweep_sort_config_static_selectorELNS0_4arch9wavefront6targetE1EEEvSI_, .Lfunc_end1882-_ZN7rocprim17ROCPRIM_400000_NS6detail17trampoline_kernelINS0_14default_configENS1_35radix_sort_onesweep_config_selectorIiiEEZZNS1_29radix_sort_onesweep_iterationIS3_Lb1EN6thrust23THRUST_200600_302600_NS6detail15normal_iteratorINS8_10device_ptrIiEEEESD_SD_SD_jNS0_19identity_decomposerENS1_16block_id_wrapperIjLb0EEEEE10hipError_tT1_PNSt15iterator_traitsISI_E10value_typeET2_T3_PNSJ_ISO_E10value_typeET4_T5_PST_SU_PNS1_23onesweep_lookback_stateEbbT6_jjT7_P12ihipStream_tbENKUlT_T0_SI_SN_E_clIPiSD_S15_SD_EEDaS11_S12_SI_SN_EUlS11_E_NS1_11comp_targetILNS1_3genE0ELNS1_11target_archE4294967295ELNS1_3gpuE0ELNS1_3repE0EEENS1_47radix_sort_onesweep_sort_config_static_selectorELNS0_4arch9wavefront6targetE1EEEvSI_
                                        ; -- End function
	.set _ZN7rocprim17ROCPRIM_400000_NS6detail17trampoline_kernelINS0_14default_configENS1_35radix_sort_onesweep_config_selectorIiiEEZZNS1_29radix_sort_onesweep_iterationIS3_Lb1EN6thrust23THRUST_200600_302600_NS6detail15normal_iteratorINS8_10device_ptrIiEEEESD_SD_SD_jNS0_19identity_decomposerENS1_16block_id_wrapperIjLb0EEEEE10hipError_tT1_PNSt15iterator_traitsISI_E10value_typeET2_T3_PNSJ_ISO_E10value_typeET4_T5_PST_SU_PNS1_23onesweep_lookback_stateEbbT6_jjT7_P12ihipStream_tbENKUlT_T0_SI_SN_E_clIPiSD_S15_SD_EEDaS11_S12_SI_SN_EUlS11_E_NS1_11comp_targetILNS1_3genE0ELNS1_11target_archE4294967295ELNS1_3gpuE0ELNS1_3repE0EEENS1_47radix_sort_onesweep_sort_config_static_selectorELNS0_4arch9wavefront6targetE1EEEvSI_.num_vgpr, 0
	.set _ZN7rocprim17ROCPRIM_400000_NS6detail17trampoline_kernelINS0_14default_configENS1_35radix_sort_onesweep_config_selectorIiiEEZZNS1_29radix_sort_onesweep_iterationIS3_Lb1EN6thrust23THRUST_200600_302600_NS6detail15normal_iteratorINS8_10device_ptrIiEEEESD_SD_SD_jNS0_19identity_decomposerENS1_16block_id_wrapperIjLb0EEEEE10hipError_tT1_PNSt15iterator_traitsISI_E10value_typeET2_T3_PNSJ_ISO_E10value_typeET4_T5_PST_SU_PNS1_23onesweep_lookback_stateEbbT6_jjT7_P12ihipStream_tbENKUlT_T0_SI_SN_E_clIPiSD_S15_SD_EEDaS11_S12_SI_SN_EUlS11_E_NS1_11comp_targetILNS1_3genE0ELNS1_11target_archE4294967295ELNS1_3gpuE0ELNS1_3repE0EEENS1_47radix_sort_onesweep_sort_config_static_selectorELNS0_4arch9wavefront6targetE1EEEvSI_.num_agpr, 0
	.set _ZN7rocprim17ROCPRIM_400000_NS6detail17trampoline_kernelINS0_14default_configENS1_35radix_sort_onesweep_config_selectorIiiEEZZNS1_29radix_sort_onesweep_iterationIS3_Lb1EN6thrust23THRUST_200600_302600_NS6detail15normal_iteratorINS8_10device_ptrIiEEEESD_SD_SD_jNS0_19identity_decomposerENS1_16block_id_wrapperIjLb0EEEEE10hipError_tT1_PNSt15iterator_traitsISI_E10value_typeET2_T3_PNSJ_ISO_E10value_typeET4_T5_PST_SU_PNS1_23onesweep_lookback_stateEbbT6_jjT7_P12ihipStream_tbENKUlT_T0_SI_SN_E_clIPiSD_S15_SD_EEDaS11_S12_SI_SN_EUlS11_E_NS1_11comp_targetILNS1_3genE0ELNS1_11target_archE4294967295ELNS1_3gpuE0ELNS1_3repE0EEENS1_47radix_sort_onesweep_sort_config_static_selectorELNS0_4arch9wavefront6targetE1EEEvSI_.numbered_sgpr, 0
	.set _ZN7rocprim17ROCPRIM_400000_NS6detail17trampoline_kernelINS0_14default_configENS1_35radix_sort_onesweep_config_selectorIiiEEZZNS1_29radix_sort_onesweep_iterationIS3_Lb1EN6thrust23THRUST_200600_302600_NS6detail15normal_iteratorINS8_10device_ptrIiEEEESD_SD_SD_jNS0_19identity_decomposerENS1_16block_id_wrapperIjLb0EEEEE10hipError_tT1_PNSt15iterator_traitsISI_E10value_typeET2_T3_PNSJ_ISO_E10value_typeET4_T5_PST_SU_PNS1_23onesweep_lookback_stateEbbT6_jjT7_P12ihipStream_tbENKUlT_T0_SI_SN_E_clIPiSD_S15_SD_EEDaS11_S12_SI_SN_EUlS11_E_NS1_11comp_targetILNS1_3genE0ELNS1_11target_archE4294967295ELNS1_3gpuE0ELNS1_3repE0EEENS1_47radix_sort_onesweep_sort_config_static_selectorELNS0_4arch9wavefront6targetE1EEEvSI_.num_named_barrier, 0
	.set _ZN7rocprim17ROCPRIM_400000_NS6detail17trampoline_kernelINS0_14default_configENS1_35radix_sort_onesweep_config_selectorIiiEEZZNS1_29radix_sort_onesweep_iterationIS3_Lb1EN6thrust23THRUST_200600_302600_NS6detail15normal_iteratorINS8_10device_ptrIiEEEESD_SD_SD_jNS0_19identity_decomposerENS1_16block_id_wrapperIjLb0EEEEE10hipError_tT1_PNSt15iterator_traitsISI_E10value_typeET2_T3_PNSJ_ISO_E10value_typeET4_T5_PST_SU_PNS1_23onesweep_lookback_stateEbbT6_jjT7_P12ihipStream_tbENKUlT_T0_SI_SN_E_clIPiSD_S15_SD_EEDaS11_S12_SI_SN_EUlS11_E_NS1_11comp_targetILNS1_3genE0ELNS1_11target_archE4294967295ELNS1_3gpuE0ELNS1_3repE0EEENS1_47radix_sort_onesweep_sort_config_static_selectorELNS0_4arch9wavefront6targetE1EEEvSI_.private_seg_size, 0
	.set _ZN7rocprim17ROCPRIM_400000_NS6detail17trampoline_kernelINS0_14default_configENS1_35radix_sort_onesweep_config_selectorIiiEEZZNS1_29radix_sort_onesweep_iterationIS3_Lb1EN6thrust23THRUST_200600_302600_NS6detail15normal_iteratorINS8_10device_ptrIiEEEESD_SD_SD_jNS0_19identity_decomposerENS1_16block_id_wrapperIjLb0EEEEE10hipError_tT1_PNSt15iterator_traitsISI_E10value_typeET2_T3_PNSJ_ISO_E10value_typeET4_T5_PST_SU_PNS1_23onesweep_lookback_stateEbbT6_jjT7_P12ihipStream_tbENKUlT_T0_SI_SN_E_clIPiSD_S15_SD_EEDaS11_S12_SI_SN_EUlS11_E_NS1_11comp_targetILNS1_3genE0ELNS1_11target_archE4294967295ELNS1_3gpuE0ELNS1_3repE0EEENS1_47radix_sort_onesweep_sort_config_static_selectorELNS0_4arch9wavefront6targetE1EEEvSI_.uses_vcc, 0
	.set _ZN7rocprim17ROCPRIM_400000_NS6detail17trampoline_kernelINS0_14default_configENS1_35radix_sort_onesweep_config_selectorIiiEEZZNS1_29radix_sort_onesweep_iterationIS3_Lb1EN6thrust23THRUST_200600_302600_NS6detail15normal_iteratorINS8_10device_ptrIiEEEESD_SD_SD_jNS0_19identity_decomposerENS1_16block_id_wrapperIjLb0EEEEE10hipError_tT1_PNSt15iterator_traitsISI_E10value_typeET2_T3_PNSJ_ISO_E10value_typeET4_T5_PST_SU_PNS1_23onesweep_lookback_stateEbbT6_jjT7_P12ihipStream_tbENKUlT_T0_SI_SN_E_clIPiSD_S15_SD_EEDaS11_S12_SI_SN_EUlS11_E_NS1_11comp_targetILNS1_3genE0ELNS1_11target_archE4294967295ELNS1_3gpuE0ELNS1_3repE0EEENS1_47radix_sort_onesweep_sort_config_static_selectorELNS0_4arch9wavefront6targetE1EEEvSI_.uses_flat_scratch, 0
	.set _ZN7rocprim17ROCPRIM_400000_NS6detail17trampoline_kernelINS0_14default_configENS1_35radix_sort_onesweep_config_selectorIiiEEZZNS1_29radix_sort_onesweep_iterationIS3_Lb1EN6thrust23THRUST_200600_302600_NS6detail15normal_iteratorINS8_10device_ptrIiEEEESD_SD_SD_jNS0_19identity_decomposerENS1_16block_id_wrapperIjLb0EEEEE10hipError_tT1_PNSt15iterator_traitsISI_E10value_typeET2_T3_PNSJ_ISO_E10value_typeET4_T5_PST_SU_PNS1_23onesweep_lookback_stateEbbT6_jjT7_P12ihipStream_tbENKUlT_T0_SI_SN_E_clIPiSD_S15_SD_EEDaS11_S12_SI_SN_EUlS11_E_NS1_11comp_targetILNS1_3genE0ELNS1_11target_archE4294967295ELNS1_3gpuE0ELNS1_3repE0EEENS1_47radix_sort_onesweep_sort_config_static_selectorELNS0_4arch9wavefront6targetE1EEEvSI_.has_dyn_sized_stack, 0
	.set _ZN7rocprim17ROCPRIM_400000_NS6detail17trampoline_kernelINS0_14default_configENS1_35radix_sort_onesweep_config_selectorIiiEEZZNS1_29radix_sort_onesweep_iterationIS3_Lb1EN6thrust23THRUST_200600_302600_NS6detail15normal_iteratorINS8_10device_ptrIiEEEESD_SD_SD_jNS0_19identity_decomposerENS1_16block_id_wrapperIjLb0EEEEE10hipError_tT1_PNSt15iterator_traitsISI_E10value_typeET2_T3_PNSJ_ISO_E10value_typeET4_T5_PST_SU_PNS1_23onesweep_lookback_stateEbbT6_jjT7_P12ihipStream_tbENKUlT_T0_SI_SN_E_clIPiSD_S15_SD_EEDaS11_S12_SI_SN_EUlS11_E_NS1_11comp_targetILNS1_3genE0ELNS1_11target_archE4294967295ELNS1_3gpuE0ELNS1_3repE0EEENS1_47radix_sort_onesweep_sort_config_static_selectorELNS0_4arch9wavefront6targetE1EEEvSI_.has_recursion, 0
	.set _ZN7rocprim17ROCPRIM_400000_NS6detail17trampoline_kernelINS0_14default_configENS1_35radix_sort_onesweep_config_selectorIiiEEZZNS1_29radix_sort_onesweep_iterationIS3_Lb1EN6thrust23THRUST_200600_302600_NS6detail15normal_iteratorINS8_10device_ptrIiEEEESD_SD_SD_jNS0_19identity_decomposerENS1_16block_id_wrapperIjLb0EEEEE10hipError_tT1_PNSt15iterator_traitsISI_E10value_typeET2_T3_PNSJ_ISO_E10value_typeET4_T5_PST_SU_PNS1_23onesweep_lookback_stateEbbT6_jjT7_P12ihipStream_tbENKUlT_T0_SI_SN_E_clIPiSD_S15_SD_EEDaS11_S12_SI_SN_EUlS11_E_NS1_11comp_targetILNS1_3genE0ELNS1_11target_archE4294967295ELNS1_3gpuE0ELNS1_3repE0EEENS1_47radix_sort_onesweep_sort_config_static_selectorELNS0_4arch9wavefront6targetE1EEEvSI_.has_indirect_call, 0
	.section	.AMDGPU.csdata,"",@progbits
; Kernel info:
; codeLenInByte = 0
; TotalNumSgprs: 6
; NumVgprs: 0
; NumAgprs: 0
; TotalNumVgprs: 0
; ScratchSize: 0
; MemoryBound: 0
; FloatMode: 240
; IeeeMode: 1
; LDSByteSize: 0 bytes/workgroup (compile time only)
; SGPRBlocks: 0
; VGPRBlocks: 0
; NumSGPRsForWavesPerEU: 6
; NumVGPRsForWavesPerEU: 1
; AccumOffset: 4
; Occupancy: 8
; WaveLimiterHint : 0
; COMPUTE_PGM_RSRC2:SCRATCH_EN: 0
; COMPUTE_PGM_RSRC2:USER_SGPR: 2
; COMPUTE_PGM_RSRC2:TRAP_HANDLER: 0
; COMPUTE_PGM_RSRC2:TGID_X_EN: 1
; COMPUTE_PGM_RSRC2:TGID_Y_EN: 0
; COMPUTE_PGM_RSRC2:TGID_Z_EN: 0
; COMPUTE_PGM_RSRC2:TIDIG_COMP_CNT: 0
; COMPUTE_PGM_RSRC3_GFX90A:ACCUM_OFFSET: 0
; COMPUTE_PGM_RSRC3_GFX90A:TG_SPLIT: 0
	.section	.text._ZN7rocprim17ROCPRIM_400000_NS6detail17trampoline_kernelINS0_14default_configENS1_35radix_sort_onesweep_config_selectorIiiEEZZNS1_29radix_sort_onesweep_iterationIS3_Lb1EN6thrust23THRUST_200600_302600_NS6detail15normal_iteratorINS8_10device_ptrIiEEEESD_SD_SD_jNS0_19identity_decomposerENS1_16block_id_wrapperIjLb0EEEEE10hipError_tT1_PNSt15iterator_traitsISI_E10value_typeET2_T3_PNSJ_ISO_E10value_typeET4_T5_PST_SU_PNS1_23onesweep_lookback_stateEbbT6_jjT7_P12ihipStream_tbENKUlT_T0_SI_SN_E_clIPiSD_S15_SD_EEDaS11_S12_SI_SN_EUlS11_E_NS1_11comp_targetILNS1_3genE6ELNS1_11target_archE950ELNS1_3gpuE13ELNS1_3repE0EEENS1_47radix_sort_onesweep_sort_config_static_selectorELNS0_4arch9wavefront6targetE1EEEvSI_,"axG",@progbits,_ZN7rocprim17ROCPRIM_400000_NS6detail17trampoline_kernelINS0_14default_configENS1_35radix_sort_onesweep_config_selectorIiiEEZZNS1_29radix_sort_onesweep_iterationIS3_Lb1EN6thrust23THRUST_200600_302600_NS6detail15normal_iteratorINS8_10device_ptrIiEEEESD_SD_SD_jNS0_19identity_decomposerENS1_16block_id_wrapperIjLb0EEEEE10hipError_tT1_PNSt15iterator_traitsISI_E10value_typeET2_T3_PNSJ_ISO_E10value_typeET4_T5_PST_SU_PNS1_23onesweep_lookback_stateEbbT6_jjT7_P12ihipStream_tbENKUlT_T0_SI_SN_E_clIPiSD_S15_SD_EEDaS11_S12_SI_SN_EUlS11_E_NS1_11comp_targetILNS1_3genE6ELNS1_11target_archE950ELNS1_3gpuE13ELNS1_3repE0EEENS1_47radix_sort_onesweep_sort_config_static_selectorELNS0_4arch9wavefront6targetE1EEEvSI_,comdat
	.protected	_ZN7rocprim17ROCPRIM_400000_NS6detail17trampoline_kernelINS0_14default_configENS1_35radix_sort_onesweep_config_selectorIiiEEZZNS1_29radix_sort_onesweep_iterationIS3_Lb1EN6thrust23THRUST_200600_302600_NS6detail15normal_iteratorINS8_10device_ptrIiEEEESD_SD_SD_jNS0_19identity_decomposerENS1_16block_id_wrapperIjLb0EEEEE10hipError_tT1_PNSt15iterator_traitsISI_E10value_typeET2_T3_PNSJ_ISO_E10value_typeET4_T5_PST_SU_PNS1_23onesweep_lookback_stateEbbT6_jjT7_P12ihipStream_tbENKUlT_T0_SI_SN_E_clIPiSD_S15_SD_EEDaS11_S12_SI_SN_EUlS11_E_NS1_11comp_targetILNS1_3genE6ELNS1_11target_archE950ELNS1_3gpuE13ELNS1_3repE0EEENS1_47radix_sort_onesweep_sort_config_static_selectorELNS0_4arch9wavefront6targetE1EEEvSI_ ; -- Begin function _ZN7rocprim17ROCPRIM_400000_NS6detail17trampoline_kernelINS0_14default_configENS1_35radix_sort_onesweep_config_selectorIiiEEZZNS1_29radix_sort_onesweep_iterationIS3_Lb1EN6thrust23THRUST_200600_302600_NS6detail15normal_iteratorINS8_10device_ptrIiEEEESD_SD_SD_jNS0_19identity_decomposerENS1_16block_id_wrapperIjLb0EEEEE10hipError_tT1_PNSt15iterator_traitsISI_E10value_typeET2_T3_PNSJ_ISO_E10value_typeET4_T5_PST_SU_PNS1_23onesweep_lookback_stateEbbT6_jjT7_P12ihipStream_tbENKUlT_T0_SI_SN_E_clIPiSD_S15_SD_EEDaS11_S12_SI_SN_EUlS11_E_NS1_11comp_targetILNS1_3genE6ELNS1_11target_archE950ELNS1_3gpuE13ELNS1_3repE0EEENS1_47radix_sort_onesweep_sort_config_static_selectorELNS0_4arch9wavefront6targetE1EEEvSI_
	.globl	_ZN7rocprim17ROCPRIM_400000_NS6detail17trampoline_kernelINS0_14default_configENS1_35radix_sort_onesweep_config_selectorIiiEEZZNS1_29radix_sort_onesweep_iterationIS3_Lb1EN6thrust23THRUST_200600_302600_NS6detail15normal_iteratorINS8_10device_ptrIiEEEESD_SD_SD_jNS0_19identity_decomposerENS1_16block_id_wrapperIjLb0EEEEE10hipError_tT1_PNSt15iterator_traitsISI_E10value_typeET2_T3_PNSJ_ISO_E10value_typeET4_T5_PST_SU_PNS1_23onesweep_lookback_stateEbbT6_jjT7_P12ihipStream_tbENKUlT_T0_SI_SN_E_clIPiSD_S15_SD_EEDaS11_S12_SI_SN_EUlS11_E_NS1_11comp_targetILNS1_3genE6ELNS1_11target_archE950ELNS1_3gpuE13ELNS1_3repE0EEENS1_47radix_sort_onesweep_sort_config_static_selectorELNS0_4arch9wavefront6targetE1EEEvSI_
	.p2align	8
	.type	_ZN7rocprim17ROCPRIM_400000_NS6detail17trampoline_kernelINS0_14default_configENS1_35radix_sort_onesweep_config_selectorIiiEEZZNS1_29radix_sort_onesweep_iterationIS3_Lb1EN6thrust23THRUST_200600_302600_NS6detail15normal_iteratorINS8_10device_ptrIiEEEESD_SD_SD_jNS0_19identity_decomposerENS1_16block_id_wrapperIjLb0EEEEE10hipError_tT1_PNSt15iterator_traitsISI_E10value_typeET2_T3_PNSJ_ISO_E10value_typeET4_T5_PST_SU_PNS1_23onesweep_lookback_stateEbbT6_jjT7_P12ihipStream_tbENKUlT_T0_SI_SN_E_clIPiSD_S15_SD_EEDaS11_S12_SI_SN_EUlS11_E_NS1_11comp_targetILNS1_3genE6ELNS1_11target_archE950ELNS1_3gpuE13ELNS1_3repE0EEENS1_47radix_sort_onesweep_sort_config_static_selectorELNS0_4arch9wavefront6targetE1EEEvSI_,@function
_ZN7rocprim17ROCPRIM_400000_NS6detail17trampoline_kernelINS0_14default_configENS1_35radix_sort_onesweep_config_selectorIiiEEZZNS1_29radix_sort_onesweep_iterationIS3_Lb1EN6thrust23THRUST_200600_302600_NS6detail15normal_iteratorINS8_10device_ptrIiEEEESD_SD_SD_jNS0_19identity_decomposerENS1_16block_id_wrapperIjLb0EEEEE10hipError_tT1_PNSt15iterator_traitsISI_E10value_typeET2_T3_PNSJ_ISO_E10value_typeET4_T5_PST_SU_PNS1_23onesweep_lookback_stateEbbT6_jjT7_P12ihipStream_tbENKUlT_T0_SI_SN_E_clIPiSD_S15_SD_EEDaS11_S12_SI_SN_EUlS11_E_NS1_11comp_targetILNS1_3genE6ELNS1_11target_archE950ELNS1_3gpuE13ELNS1_3repE0EEENS1_47radix_sort_onesweep_sort_config_static_selectorELNS0_4arch9wavefront6targetE1EEEvSI_: ; @_ZN7rocprim17ROCPRIM_400000_NS6detail17trampoline_kernelINS0_14default_configENS1_35radix_sort_onesweep_config_selectorIiiEEZZNS1_29radix_sort_onesweep_iterationIS3_Lb1EN6thrust23THRUST_200600_302600_NS6detail15normal_iteratorINS8_10device_ptrIiEEEESD_SD_SD_jNS0_19identity_decomposerENS1_16block_id_wrapperIjLb0EEEEE10hipError_tT1_PNSt15iterator_traitsISI_E10value_typeET2_T3_PNSJ_ISO_E10value_typeET4_T5_PST_SU_PNS1_23onesweep_lookback_stateEbbT6_jjT7_P12ihipStream_tbENKUlT_T0_SI_SN_E_clIPiSD_S15_SD_EEDaS11_S12_SI_SN_EUlS11_E_NS1_11comp_targetILNS1_3genE6ELNS1_11target_archE950ELNS1_3gpuE13ELNS1_3repE0EEENS1_47radix_sort_onesweep_sort_config_static_selectorELNS0_4arch9wavefront6targetE1EEEvSI_
; %bb.0:
	s_load_dwordx8 s[52:59], s[0:1], 0x0
	s_load_dwordx4 s[64:67], s[0:1], 0x44
	s_load_dwordx4 s[60:63], s[0:1], 0x28
	s_load_dwordx2 s[50:51], s[0:1], 0x38
	s_mov_b64 s[4:5], -1
	v_mbcnt_lo_u32_b32 v1, -1, 0
	s_waitcnt lgkmcnt(0)
	s_cmp_ge_u32 s2, s66
	s_cbranch_scc0 .LBB1883_204
; %bb.1:
	s_load_dword s3, s[0:1], 0x20
	s_lshl_b32 s6, s66, 14
	s_lshl_b32 s4, s2, 14
	s_mov_b32 s5, 0
	v_and_b32_e32 v2, 0x3ff, v0
	s_waitcnt lgkmcnt(0)
	s_sub_i32 s3, s3, s6
	s_lshl_b64 s[66:67], s[4:5], 2
	v_mbcnt_hi_u32_b32 v12, -1, v1
	s_add_u32 s4, s52, s66
	v_and_b32_e32 v10, 63, v12
	v_lshlrev_b32_e32 v4, 4, v2
	s_addc_u32 s5, s53, s67
	v_and_b32_e32 v11, 0x3c00, v4
	v_mov_b32_e32 v5, 0
	v_lshlrev_b32_e32 v4, 2, v10
	v_lshl_add_u64 v[8:9], s[4:5], 0, v[4:5]
	v_lshlrev_b32_e32 v6, 2, v11
	v_mov_b32_e32 v7, v5
	v_or_b32_e32 v10, v10, v11
	v_mov_b32_e32 v3, -1
	v_lshl_add_u64 v[8:9], v[8:9], 0, v[6:7]
	v_cmp_gt_u32_e32 vcc, s3, v10
	v_mov_b32_e32 v5, -1
	s_and_saveexec_b64 s[4:5], vcc
	s_cbranch_execz .LBB1883_3
; %bb.2:
	global_load_dword v5, v[8:9], off
	s_waitcnt vmcnt(0)
	v_xor_b32_e32 v5, 0x7fffffff, v5
.LBB1883_3:
	s_or_b64 exec, exec, s[4:5]
	v_or_b32_e32 v7, 64, v10
	v_cmp_gt_u32_e64 s[42:43], s3, v7
	s_and_saveexec_b64 s[4:5], s[42:43]
	s_cbranch_execz .LBB1883_5
; %bb.4:
	global_load_dword v3, v[8:9], off offset:256
	s_waitcnt vmcnt(0)
	v_xor_b32_e32 v3, 0x7fffffff, v3
.LBB1883_5:
	s_or_b64 exec, exec, s[4:5]
	v_or_b32_e32 v7, 0x80, v10
	v_cmp_gt_u32_e64 s[4:5], s3, v7
	v_mov_b32_e32 v7, -1
	v_mov_b32_e32 v14, -1
	s_and_saveexec_b64 s[6:7], s[4:5]
	s_cbranch_execz .LBB1883_7
; %bb.6:
	global_load_dword v11, v[8:9], off offset:512
	s_waitcnt vmcnt(0)
	v_xor_b32_e32 v14, 0x7fffffff, v11
.LBB1883_7:
	s_or_b64 exec, exec, s[6:7]
	v_or_b32_e32 v11, 0xc0, v10
	v_cmp_gt_u32_e64 s[6:7], s3, v11
	s_and_saveexec_b64 s[8:9], s[6:7]
	s_cbranch_execz .LBB1883_9
; %bb.8:
	global_load_dword v7, v[8:9], off offset:768
	s_waitcnt vmcnt(0)
	v_xor_b32_e32 v7, 0x7fffffff, v7
.LBB1883_9:
	s_or_b64 exec, exec, s[8:9]
	v_or_b32_e32 v11, 0x100, v10
	v_cmp_gt_u32_e64 s[8:9], s3, v11
	v_mov_b32_e32 v15, -1
	v_mov_b32_e32 v16, -1
	s_and_saveexec_b64 s[10:11], s[8:9]
	s_cbranch_execz .LBB1883_11
; %bb.10:
	global_load_dword v11, v[8:9], off offset:1024
	s_waitcnt vmcnt(0)
	v_xor_b32_e32 v16, 0x7fffffff, v11
.LBB1883_11:
	;; [unrolled: 22-line block ×7, first 2 shown]
	s_or_b64 exec, exec, s[30:31]
	v_or_b32_e32 v10, 0x3c0, v10
	v_cmp_gt_u32_e64 s[30:31], s3, v10
	s_and_saveexec_b64 s[34:35], s[30:31]
	s_cbranch_execz .LBB1883_33
; %bb.32:
	global_load_dword v8, v[8:9], off offset:3840
	s_waitcnt vmcnt(0)
	v_xor_b32_e32 v25, 0x7fffffff, v8
.LBB1883_33:
	s_or_b64 exec, exec, s[34:35]
	s_load_dword s34, s[0:1], 0x64
	s_load_dword s33, s[0:1], 0x58
	s_add_u32 s35, s0, 0x58
	s_addc_u32 s36, s1, 0
	v_mov_b32_e32 v9, 0
	s_waitcnt lgkmcnt(0)
	s_lshr_b32 s37, s34, 16
	s_cmp_lt_u32 s2, s33
	s_cselect_b32 s34, 12, 18
	s_add_u32 s34, s35, s34
	s_addc_u32 s35, s36, 0
	global_load_ushort v27, v9, s[34:35]
	v_lshrrev_b32_e32 v29, s64, v5
	s_lshl_b32 s34, -1, s65
	v_bfe_u32 v8, v0, 10, 10
	v_bfe_u32 v11, v0, 20, 10
	v_bitop3_b32 v38, v29, s34, v29 bitop3:0x30
	s_movk_i32 s69, 0x44
	v_mad_u32_u24 v40, v11, s37, v8
	v_and_b32_e32 v8, 1, v38
	v_lshlrev_b32_e32 v11, 30, v38
	v_mov_b32_e32 v10, v9
	v_mov_b32_e32 v30, v9
	s_not_b32 s68, s34
	v_mul_lo_u32 v42, v38, s69
	v_lshlrev_b32_e32 v29, 29, v38
	v_lshlrev_b32_e32 v31, 28, v38
	;; [unrolled: 1-line block ×6, first 2 shown]
	v_lshl_add_u64 v[38:39], v[8:9], 0, -1
	v_cmp_ne_u32_e64 s[34:35], 0, v8
	v_not_b32_e32 v8, v11
	v_mov_b32_e32 v28, v9
	v_mov_b32_e32 v32, v9
	v_cmp_gt_i64_e64 s[36:37], 0, v[10:11]
	v_not_b32_e32 v10, v29
	v_cmp_gt_i64_e64 s[40:41], 0, v[30:31]
	v_not_b32_e32 v11, v31
	v_xor_b32_e32 v31, s35, v39
	v_ashrrev_i32_e32 v8, 31, v8
	v_mov_b32_e32 v34, v9
	v_cmp_gt_i64_e64 s[38:39], 0, v[28:29]
	v_cmp_gt_i64_e64 s[44:45], 0, v[32:33]
	v_not_b32_e32 v28, v33
	v_xor_b32_e32 v32, s34, v38
	v_ashrrev_i32_e32 v10, 31, v10
	v_and_b32_e32 v31, exec_hi, v31
	v_xor_b32_e32 v33, s37, v8
	v_cmp_gt_i64_e64 s[46:47], 0, v[34:35]
	v_ashrrev_i32_e32 v11, 31, v11
	v_and_b32_e32 v32, exec_lo, v32
	v_xor_b32_e32 v8, s36, v8
	v_xor_b32_e32 v34, s39, v10
	v_and_b32_e32 v31, v31, v33
	v_mov_b32_e32 v36, v9
	v_not_b32_e32 v29, v35
	v_ashrrev_i32_e32 v28, 31, v28
	v_xor_b32_e32 v10, s38, v10
	v_xor_b32_e32 v35, s41, v11
	v_and_b32_e32 v8, v32, v8
	v_and_b32_e32 v31, v31, v34
	v_cmp_gt_i64_e64 s[48:49], 0, v[36:37]
	v_not_b32_e32 v30, v37
	v_ashrrev_i32_e32 v29, 31, v29
	v_xor_b32_e32 v36, s45, v28
	v_and_b32_e32 v8, v8, v10
	v_and_b32_e32 v10, v31, v35
	v_ashrrev_i32_e32 v30, 31, v30
	v_xor_b32_e32 v11, s40, v11
	v_xor_b32_e32 v37, s47, v29
	v_and_b32_e32 v10, v10, v36
	v_xor_b32_e32 v28, s44, v28
	v_xor_b32_e32 v38, s49, v30
	v_and_b32_e32 v8, v8, v11
	v_and_b32_e32 v10, v10, v37
	v_and_b32_e32 v8, v8, v28
	v_and_b32_e32 v28, v10, v38
	v_xor_b32_e32 v29, s46, v29
	v_xor_b32_e32 v30, s48, v30
	v_and_b32_e32 v8, v8, v29
	v_and_b32_e32 v8, v8, v30
	v_mul_u32_u24_e32 v13, 20, v2
	ds_write2_b32 v13, v9, v9 offset0:16 offset1:17
	ds_write2_b32 v13, v9, v9 offset0:18 offset1:19
	ds_write_b32 v13, v9 offset:80
	s_waitcnt lgkmcnt(0)
	s_barrier
	s_waitcnt vmcnt(0)
	; wave barrier
	v_mad_u64_u32 v[10:11], s[34:35], v40, v27, v[2:3]
	v_lshrrev_b32_e32 v38, 6, v10
	v_mov_b32_e32 v40, v9
	v_not_b32_e32 v10, v41
	v_cmp_gt_i64_e64 s[34:35], 0, v[40:41]
	v_ashrrev_i32_e32 v10, 31, v10
	v_lshl_add_u32 v31, v38, 2, v42
	v_xor_b32_e32 v11, s35, v10
	v_xor_b32_e32 v10, s34, v10
	v_and_b32_e32 v10, v8, v10
	v_and_b32_e32 v11, v28, v11
	v_mbcnt_lo_u32_b32 v8, v10, 0
	v_mbcnt_hi_u32_b32 v28, v11, v8
	v_cmp_eq_u32_e64 s[34:35], 0, v28
	v_cmp_ne_u64_e64 s[36:37], 0, v[10:11]
	s_and_b64 s[36:37], s[36:37], s[34:35]
	s_and_saveexec_b64 s[34:35], s[36:37]
; %bb.34:
	v_bcnt_u32_b32 v8, v10, 0
	v_bcnt_u32_b32 v8, v11, v8
	ds_write_b32 v31, v8 offset:64
; %bb.35:
	s_or_b64 exec, exec, s[34:35]
	v_lshrrev_b32_e32 v8, s64, v3
	v_and_b32_e32 v29, s68, v8
	v_mul_lo_u32 v8, v29, s69
	v_lshl_add_u32 v33, v38, 2, v8
	v_and_b32_e32 v8, 1, v29
	v_lshl_add_u64 v[10:11], v[8:9], 0, -1
	v_cmp_ne_u32_e64 s[34:35], 0, v8
	; wave barrier
	s_nop 1
	v_xor_b32_e32 v10, s34, v10
	v_xor_b32_e32 v8, s35, v11
	v_and_b32_e32 v30, exec_lo, v10
	v_lshlrev_b32_e32 v11, 30, v29
	v_mov_b32_e32 v10, v9
	v_cmp_gt_i64_e64 s[34:35], 0, v[10:11]
	v_not_b32_e32 v10, v11
	v_ashrrev_i32_e32 v10, 31, v10
	v_and_b32_e32 v8, exec_hi, v8
	v_xor_b32_e32 v11, s35, v10
	v_xor_b32_e32 v10, s34, v10
	v_and_b32_e32 v8, v8, v11
	v_and_b32_e32 v30, v30, v10
	v_lshlrev_b32_e32 v11, 29, v29
	v_mov_b32_e32 v10, v9
	v_cmp_gt_i64_e64 s[34:35], 0, v[10:11]
	v_not_b32_e32 v10, v11
	v_ashrrev_i32_e32 v10, 31, v10
	v_xor_b32_e32 v11, s35, v10
	v_xor_b32_e32 v10, s34, v10
	v_and_b32_e32 v8, v8, v11
	v_and_b32_e32 v30, v30, v10
	v_lshlrev_b32_e32 v11, 28, v29
	v_mov_b32_e32 v10, v9
	v_cmp_gt_i64_e64 s[34:35], 0, v[10:11]
	v_not_b32_e32 v10, v11
	v_ashrrev_i32_e32 v10, 31, v10
	;; [unrolled: 9-line block ×5, first 2 shown]
	v_xor_b32_e32 v11, s35, v10
	v_xor_b32_e32 v10, s34, v10
	v_and_b32_e32 v8, v8, v11
	v_lshlrev_b32_e32 v11, 24, v29
	v_and_b32_e32 v30, v30, v10
	v_mov_b32_e32 v10, v9
	v_not_b32_e32 v9, v11
	v_cmp_gt_i64_e64 s[34:35], 0, v[10:11]
	v_ashrrev_i32_e32 v9, 31, v9
	ds_read_b32 v27, v33 offset:64
	v_xor_b32_e32 v10, s35, v9
	v_xor_b32_e32 v11, s34, v9
	v_and_b32_e32 v9, v8, v10
	v_and_b32_e32 v8, v30, v11
	v_mbcnt_lo_u32_b32 v10, v8, 0
	v_mbcnt_hi_u32_b32 v29, v9, v10
	v_cmp_eq_u32_e64 s[34:35], 0, v29
	v_cmp_ne_u64_e64 s[36:37], 0, v[8:9]
	s_and_b64 s[36:37], s[36:37], s[34:35]
	; wave barrier
	s_and_saveexec_b64 s[34:35], s[36:37]
	s_cbranch_execz .LBB1883_37
; %bb.36:
	v_bcnt_u32_b32 v8, v8, 0
	v_bcnt_u32_b32 v8, v9, v8
	s_waitcnt lgkmcnt(0)
	v_add_u32_e32 v8, v27, v8
	ds_write_b32 v33, v8 offset:64
.LBB1883_37:
	s_or_b64 exec, exec, s[34:35]
	v_lshrrev_b32_e32 v8, s64, v14
	v_and_b32_e32 v32, s68, v8
	s_movk_i32 s38, 0x44
	v_mul_lo_u32 v8, v32, s38
	v_lshl_add_u32 v36, v38, 2, v8
	v_and_b32_e32 v8, 1, v32
	v_mov_b32_e32 v9, 0
	v_lshl_add_u64 v[10:11], v[8:9], 0, -1
	v_cmp_ne_u32_e64 s[34:35], 0, v8
	; wave barrier
	s_nop 1
	v_xor_b32_e32 v10, s34, v10
	v_xor_b32_e32 v8, s35, v11
	v_and_b32_e32 v34, exec_lo, v10
	v_lshlrev_b32_e32 v11, 30, v32
	v_mov_b32_e32 v10, v9
	v_cmp_gt_i64_e64 s[34:35], 0, v[10:11]
	v_not_b32_e32 v10, v11
	v_ashrrev_i32_e32 v10, 31, v10
	v_and_b32_e32 v8, exec_hi, v8
	v_xor_b32_e32 v11, s35, v10
	v_xor_b32_e32 v10, s34, v10
	v_and_b32_e32 v8, v8, v11
	v_and_b32_e32 v34, v34, v10
	v_lshlrev_b32_e32 v11, 29, v32
	v_mov_b32_e32 v10, v9
	v_cmp_gt_i64_e64 s[34:35], 0, v[10:11]
	v_not_b32_e32 v10, v11
	v_ashrrev_i32_e32 v10, 31, v10
	v_xor_b32_e32 v11, s35, v10
	v_xor_b32_e32 v10, s34, v10
	v_and_b32_e32 v8, v8, v11
	v_and_b32_e32 v34, v34, v10
	v_lshlrev_b32_e32 v11, 28, v32
	v_mov_b32_e32 v10, v9
	v_cmp_gt_i64_e64 s[34:35], 0, v[10:11]
	v_not_b32_e32 v10, v11
	v_ashrrev_i32_e32 v10, 31, v10
	;; [unrolled: 9-line block ×6, first 2 shown]
	v_xor_b32_e32 v11, s35, v10
	v_xor_b32_e32 v10, s34, v10
	ds_read_b32 v30, v36 offset:64
	v_and_b32_e32 v10, v34, v10
	v_and_b32_e32 v11, v8, v11
	v_mbcnt_lo_u32_b32 v8, v10, 0
	v_mbcnt_hi_u32_b32 v32, v11, v8
	v_cmp_eq_u32_e64 s[34:35], 0, v32
	v_cmp_ne_u64_e64 s[36:37], 0, v[10:11]
	s_and_b64 s[36:37], s[36:37], s[34:35]
	; wave barrier
	s_and_saveexec_b64 s[34:35], s[36:37]
	s_cbranch_execz .LBB1883_39
; %bb.38:
	v_bcnt_u32_b32 v8, v10, 0
	v_bcnt_u32_b32 v8, v11, v8
	s_waitcnt lgkmcnt(0)
	v_add_u32_e32 v8, v30, v8
	ds_write_b32 v36, v8 offset:64
.LBB1883_39:
	s_or_b64 exec, exec, s[34:35]
	v_lshrrev_b32_e32 v8, s64, v7
	v_and_b32_e32 v35, s68, v8
	v_mul_lo_u32 v8, v35, s38
	v_lshl_add_u32 v40, v38, 2, v8
	v_and_b32_e32 v8, 1, v35
	v_lshl_add_u64 v[10:11], v[8:9], 0, -1
	v_cmp_ne_u32_e64 s[34:35], 0, v8
	; wave barrier
	s_nop 1
	v_xor_b32_e32 v10, s34, v10
	v_xor_b32_e32 v8, s35, v11
	v_and_b32_e32 v37, exec_lo, v10
	v_lshlrev_b32_e32 v11, 30, v35
	v_mov_b32_e32 v10, v9
	v_cmp_gt_i64_e64 s[34:35], 0, v[10:11]
	v_not_b32_e32 v10, v11
	v_ashrrev_i32_e32 v10, 31, v10
	v_and_b32_e32 v8, exec_hi, v8
	v_xor_b32_e32 v11, s35, v10
	v_xor_b32_e32 v10, s34, v10
	v_and_b32_e32 v8, v8, v11
	v_and_b32_e32 v37, v37, v10
	v_lshlrev_b32_e32 v11, 29, v35
	v_mov_b32_e32 v10, v9
	v_cmp_gt_i64_e64 s[34:35], 0, v[10:11]
	v_not_b32_e32 v10, v11
	v_ashrrev_i32_e32 v10, 31, v10
	v_xor_b32_e32 v11, s35, v10
	v_xor_b32_e32 v10, s34, v10
	v_and_b32_e32 v8, v8, v11
	v_and_b32_e32 v37, v37, v10
	v_lshlrev_b32_e32 v11, 28, v35
	v_mov_b32_e32 v10, v9
	v_cmp_gt_i64_e64 s[34:35], 0, v[10:11]
	v_not_b32_e32 v10, v11
	v_ashrrev_i32_e32 v10, 31, v10
	;; [unrolled: 9-line block ×5, first 2 shown]
	v_xor_b32_e32 v11, s35, v10
	v_xor_b32_e32 v10, s34, v10
	v_and_b32_e32 v8, v8, v11
	v_lshlrev_b32_e32 v11, 24, v35
	v_and_b32_e32 v37, v37, v10
	v_mov_b32_e32 v10, v9
	v_not_b32_e32 v9, v11
	v_cmp_gt_i64_e64 s[34:35], 0, v[10:11]
	v_ashrrev_i32_e32 v9, 31, v9
	ds_read_b32 v34, v40 offset:64
	v_xor_b32_e32 v10, s35, v9
	v_xor_b32_e32 v11, s34, v9
	v_and_b32_e32 v9, v8, v10
	v_and_b32_e32 v8, v37, v11
	v_mbcnt_lo_u32_b32 v10, v8, 0
	v_mbcnt_hi_u32_b32 v35, v9, v10
	v_cmp_eq_u32_e64 s[34:35], 0, v35
	v_cmp_ne_u64_e64 s[36:37], 0, v[8:9]
	s_and_b64 s[36:37], s[36:37], s[34:35]
	; wave barrier
	s_and_saveexec_b64 s[34:35], s[36:37]
	s_cbranch_execz .LBB1883_41
; %bb.40:
	v_bcnt_u32_b32 v8, v8, 0
	v_bcnt_u32_b32 v8, v9, v8
	s_waitcnt lgkmcnt(0)
	v_add_u32_e32 v8, v34, v8
	ds_write_b32 v40, v8 offset:64
.LBB1883_41:
	s_or_b64 exec, exec, s[34:35]
	v_lshrrev_b32_e32 v8, s64, v16
	v_and_b32_e32 v39, s68, v8
	v_mul_lo_u32 v8, v39, s38
	v_lshl_add_u32 v43, v38, 2, v8
	v_and_b32_e32 v8, 1, v39
	v_mov_b32_e32 v9, 0
	v_lshl_add_u64 v[10:11], v[8:9], 0, -1
	v_cmp_ne_u32_e64 s[34:35], 0, v8
	; wave barrier
	s_nop 1
	v_xor_b32_e32 v10, s34, v10
	v_xor_b32_e32 v8, s35, v11
	v_and_b32_e32 v41, exec_lo, v10
	v_lshlrev_b32_e32 v11, 30, v39
	v_mov_b32_e32 v10, v9
	v_cmp_gt_i64_e64 s[34:35], 0, v[10:11]
	v_not_b32_e32 v10, v11
	v_ashrrev_i32_e32 v10, 31, v10
	v_and_b32_e32 v8, exec_hi, v8
	v_xor_b32_e32 v11, s35, v10
	v_xor_b32_e32 v10, s34, v10
	v_and_b32_e32 v8, v8, v11
	v_and_b32_e32 v41, v41, v10
	v_lshlrev_b32_e32 v11, 29, v39
	v_mov_b32_e32 v10, v9
	v_cmp_gt_i64_e64 s[34:35], 0, v[10:11]
	v_not_b32_e32 v10, v11
	v_ashrrev_i32_e32 v10, 31, v10
	v_xor_b32_e32 v11, s35, v10
	v_xor_b32_e32 v10, s34, v10
	v_and_b32_e32 v8, v8, v11
	v_and_b32_e32 v41, v41, v10
	v_lshlrev_b32_e32 v11, 28, v39
	v_mov_b32_e32 v10, v9
	v_cmp_gt_i64_e64 s[34:35], 0, v[10:11]
	v_not_b32_e32 v10, v11
	v_ashrrev_i32_e32 v10, 31, v10
	v_xor_b32_e32 v11, s35, v10
	v_xor_b32_e32 v10, s34, v10
	v_and_b32_e32 v8, v8, v11
	v_and_b32_e32 v41, v41, v10
	v_lshlrev_b32_e32 v11, 27, v39
	v_mov_b32_e32 v10, v9
	v_cmp_gt_i64_e64 s[34:35], 0, v[10:11]
	v_not_b32_e32 v10, v11
	v_ashrrev_i32_e32 v10, 31, v10
	v_xor_b32_e32 v11, s35, v10
	v_xor_b32_e32 v10, s34, v10
	v_and_b32_e32 v8, v8, v11
	v_and_b32_e32 v41, v41, v10
	v_lshlrev_b32_e32 v11, 26, v39
	v_mov_b32_e32 v10, v9
	v_cmp_gt_i64_e64 s[34:35], 0, v[10:11]
	v_not_b32_e32 v10, v11
	v_ashrrev_i32_e32 v10, 31, v10
	v_xor_b32_e32 v11, s35, v10
	v_xor_b32_e32 v10, s34, v10
	v_and_b32_e32 v8, v8, v11
	v_and_b32_e32 v41, v41, v10
	v_lshlrev_b32_e32 v11, 25, v39
	v_mov_b32_e32 v10, v9
	v_cmp_gt_i64_e64 s[34:35], 0, v[10:11]
	v_not_b32_e32 v10, v11
	v_ashrrev_i32_e32 v10, 31, v10
	v_xor_b32_e32 v11, s35, v10
	v_xor_b32_e32 v10, s34, v10
	v_and_b32_e32 v8, v8, v11
	v_and_b32_e32 v41, v41, v10
	v_lshlrev_b32_e32 v11, 24, v39
	v_mov_b32_e32 v10, v9
	v_cmp_gt_i64_e64 s[34:35], 0, v[10:11]
	v_not_b32_e32 v10, v11
	v_ashrrev_i32_e32 v10, 31, v10
	v_xor_b32_e32 v11, s35, v10
	v_xor_b32_e32 v10, s34, v10
	ds_read_b32 v37, v43 offset:64
	v_and_b32_e32 v10, v41, v10
	v_and_b32_e32 v11, v8, v11
	v_mbcnt_lo_u32_b32 v8, v10, 0
	v_mbcnt_hi_u32_b32 v39, v11, v8
	v_cmp_eq_u32_e64 s[34:35], 0, v39
	v_cmp_ne_u64_e64 s[36:37], 0, v[10:11]
	s_and_b64 s[36:37], s[36:37], s[34:35]
	; wave barrier
	s_and_saveexec_b64 s[34:35], s[36:37]
	s_cbranch_execz .LBB1883_43
; %bb.42:
	v_bcnt_u32_b32 v8, v10, 0
	v_bcnt_u32_b32 v8, v11, v8
	s_waitcnt lgkmcnt(0)
	v_add_u32_e32 v8, v37, v8
	ds_write_b32 v43, v8 offset:64
.LBB1883_43:
	s_or_b64 exec, exec, s[34:35]
	v_lshrrev_b32_e32 v8, s64, v15
	v_and_b32_e32 v42, s68, v8
	v_mul_lo_u32 v8, v42, s38
	v_lshl_add_u32 v45, v38, 2, v8
	v_and_b32_e32 v8, 1, v42
	v_lshl_add_u64 v[10:11], v[8:9], 0, -1
	v_cmp_ne_u32_e64 s[34:35], 0, v8
	; wave barrier
	s_nop 1
	v_xor_b32_e32 v10, s34, v10
	v_xor_b32_e32 v8, s35, v11
	v_and_b32_e32 v44, exec_lo, v10
	v_lshlrev_b32_e32 v11, 30, v42
	v_mov_b32_e32 v10, v9
	v_cmp_gt_i64_e64 s[34:35], 0, v[10:11]
	v_not_b32_e32 v10, v11
	v_ashrrev_i32_e32 v10, 31, v10
	v_and_b32_e32 v8, exec_hi, v8
	v_xor_b32_e32 v11, s35, v10
	v_xor_b32_e32 v10, s34, v10
	v_and_b32_e32 v8, v8, v11
	v_and_b32_e32 v44, v44, v10
	v_lshlrev_b32_e32 v11, 29, v42
	v_mov_b32_e32 v10, v9
	v_cmp_gt_i64_e64 s[34:35], 0, v[10:11]
	v_not_b32_e32 v10, v11
	v_ashrrev_i32_e32 v10, 31, v10
	v_xor_b32_e32 v11, s35, v10
	v_xor_b32_e32 v10, s34, v10
	v_and_b32_e32 v8, v8, v11
	v_and_b32_e32 v44, v44, v10
	v_lshlrev_b32_e32 v11, 28, v42
	v_mov_b32_e32 v10, v9
	v_cmp_gt_i64_e64 s[34:35], 0, v[10:11]
	v_not_b32_e32 v10, v11
	v_ashrrev_i32_e32 v10, 31, v10
	;; [unrolled: 9-line block ×5, first 2 shown]
	v_xor_b32_e32 v11, s35, v10
	v_xor_b32_e32 v10, s34, v10
	v_and_b32_e32 v8, v8, v11
	v_lshlrev_b32_e32 v11, 24, v42
	v_and_b32_e32 v44, v44, v10
	v_mov_b32_e32 v10, v9
	v_not_b32_e32 v9, v11
	v_cmp_gt_i64_e64 s[34:35], 0, v[10:11]
	v_ashrrev_i32_e32 v9, 31, v9
	ds_read_b32 v41, v45 offset:64
	v_xor_b32_e32 v10, s35, v9
	v_xor_b32_e32 v11, s34, v9
	v_and_b32_e32 v9, v8, v10
	v_and_b32_e32 v8, v44, v11
	v_mbcnt_lo_u32_b32 v10, v8, 0
	v_mbcnt_hi_u32_b32 v42, v9, v10
	v_cmp_eq_u32_e64 s[34:35], 0, v42
	v_cmp_ne_u64_e64 s[36:37], 0, v[8:9]
	s_and_b64 s[36:37], s[36:37], s[34:35]
	; wave barrier
	s_and_saveexec_b64 s[34:35], s[36:37]
	s_cbranch_execz .LBB1883_45
; %bb.44:
	v_bcnt_u32_b32 v8, v8, 0
	v_bcnt_u32_b32 v8, v9, v8
	s_waitcnt lgkmcnt(0)
	v_add_u32_e32 v8, v41, v8
	ds_write_b32 v45, v8 offset:64
.LBB1883_45:
	s_or_b64 exec, exec, s[34:35]
	v_lshrrev_b32_e32 v8, s64, v18
	v_and_b32_e32 v46, s68, v8
	v_mul_lo_u32 v8, v46, s38
	v_lshl_add_u32 v48, v38, 2, v8
	v_and_b32_e32 v8, 1, v46
	v_mov_b32_e32 v9, 0
	v_lshl_add_u64 v[10:11], v[8:9], 0, -1
	v_cmp_ne_u32_e64 s[34:35], 0, v8
	; wave barrier
	s_nop 1
	v_xor_b32_e32 v10, s34, v10
	v_xor_b32_e32 v8, s35, v11
	v_and_b32_e32 v47, exec_lo, v10
	v_lshlrev_b32_e32 v11, 30, v46
	v_mov_b32_e32 v10, v9
	v_cmp_gt_i64_e64 s[34:35], 0, v[10:11]
	v_not_b32_e32 v10, v11
	v_ashrrev_i32_e32 v10, 31, v10
	v_and_b32_e32 v8, exec_hi, v8
	v_xor_b32_e32 v11, s35, v10
	v_xor_b32_e32 v10, s34, v10
	v_and_b32_e32 v8, v8, v11
	v_and_b32_e32 v47, v47, v10
	v_lshlrev_b32_e32 v11, 29, v46
	v_mov_b32_e32 v10, v9
	v_cmp_gt_i64_e64 s[34:35], 0, v[10:11]
	v_not_b32_e32 v10, v11
	v_ashrrev_i32_e32 v10, 31, v10
	v_xor_b32_e32 v11, s35, v10
	v_xor_b32_e32 v10, s34, v10
	v_and_b32_e32 v8, v8, v11
	v_and_b32_e32 v47, v47, v10
	v_lshlrev_b32_e32 v11, 28, v46
	v_mov_b32_e32 v10, v9
	v_cmp_gt_i64_e64 s[34:35], 0, v[10:11]
	v_not_b32_e32 v10, v11
	v_ashrrev_i32_e32 v10, 31, v10
	;; [unrolled: 9-line block ×6, first 2 shown]
	v_xor_b32_e32 v11, s35, v10
	v_xor_b32_e32 v10, s34, v10
	ds_read_b32 v44, v48 offset:64
	v_and_b32_e32 v10, v47, v10
	v_and_b32_e32 v11, v8, v11
	v_mbcnt_lo_u32_b32 v8, v10, 0
	v_mbcnt_hi_u32_b32 v46, v11, v8
	v_cmp_eq_u32_e64 s[34:35], 0, v46
	v_cmp_ne_u64_e64 s[36:37], 0, v[10:11]
	s_and_b64 s[36:37], s[36:37], s[34:35]
	; wave barrier
	s_and_saveexec_b64 s[34:35], s[36:37]
	s_cbranch_execz .LBB1883_47
; %bb.46:
	v_bcnt_u32_b32 v8, v10, 0
	v_bcnt_u32_b32 v8, v11, v8
	s_waitcnt lgkmcnt(0)
	v_add_u32_e32 v8, v44, v8
	ds_write_b32 v48, v8 offset:64
.LBB1883_47:
	s_or_b64 exec, exec, s[34:35]
	v_lshrrev_b32_e32 v8, s64, v17
	v_and_b32_e32 v49, s68, v8
	v_mul_lo_u32 v8, v49, s38
	v_lshl_add_u32 v51, v38, 2, v8
	v_and_b32_e32 v8, 1, v49
	v_lshl_add_u64 v[10:11], v[8:9], 0, -1
	v_cmp_ne_u32_e64 s[34:35], 0, v8
	; wave barrier
	s_nop 1
	v_xor_b32_e32 v10, s34, v10
	v_xor_b32_e32 v8, s35, v11
	v_and_b32_e32 v50, exec_lo, v10
	v_lshlrev_b32_e32 v11, 30, v49
	v_mov_b32_e32 v10, v9
	v_cmp_gt_i64_e64 s[34:35], 0, v[10:11]
	v_not_b32_e32 v10, v11
	v_ashrrev_i32_e32 v10, 31, v10
	v_and_b32_e32 v8, exec_hi, v8
	v_xor_b32_e32 v11, s35, v10
	v_xor_b32_e32 v10, s34, v10
	v_and_b32_e32 v8, v8, v11
	v_and_b32_e32 v50, v50, v10
	v_lshlrev_b32_e32 v11, 29, v49
	v_mov_b32_e32 v10, v9
	v_cmp_gt_i64_e64 s[34:35], 0, v[10:11]
	v_not_b32_e32 v10, v11
	v_ashrrev_i32_e32 v10, 31, v10
	v_xor_b32_e32 v11, s35, v10
	v_xor_b32_e32 v10, s34, v10
	v_and_b32_e32 v8, v8, v11
	v_and_b32_e32 v50, v50, v10
	v_lshlrev_b32_e32 v11, 28, v49
	v_mov_b32_e32 v10, v9
	v_cmp_gt_i64_e64 s[34:35], 0, v[10:11]
	v_not_b32_e32 v10, v11
	v_ashrrev_i32_e32 v10, 31, v10
	;; [unrolled: 9-line block ×5, first 2 shown]
	v_xor_b32_e32 v11, s35, v10
	v_xor_b32_e32 v10, s34, v10
	v_and_b32_e32 v8, v8, v11
	v_lshlrev_b32_e32 v11, 24, v49
	v_and_b32_e32 v50, v50, v10
	v_mov_b32_e32 v10, v9
	v_not_b32_e32 v9, v11
	v_cmp_gt_i64_e64 s[34:35], 0, v[10:11]
	v_ashrrev_i32_e32 v9, 31, v9
	ds_read_b32 v47, v51 offset:64
	v_xor_b32_e32 v10, s35, v9
	v_xor_b32_e32 v11, s34, v9
	v_and_b32_e32 v9, v8, v10
	v_and_b32_e32 v8, v50, v11
	v_mbcnt_lo_u32_b32 v10, v8, 0
	v_mbcnt_hi_u32_b32 v49, v9, v10
	v_cmp_eq_u32_e64 s[34:35], 0, v49
	v_cmp_ne_u64_e64 s[36:37], 0, v[8:9]
	s_and_b64 s[36:37], s[36:37], s[34:35]
	; wave barrier
	s_and_saveexec_b64 s[34:35], s[36:37]
	s_cbranch_execz .LBB1883_49
; %bb.48:
	v_bcnt_u32_b32 v8, v8, 0
	v_bcnt_u32_b32 v8, v9, v8
	s_waitcnt lgkmcnt(0)
	v_add_u32_e32 v8, v47, v8
	ds_write_b32 v51, v8 offset:64
.LBB1883_49:
	s_or_b64 exec, exec, s[34:35]
	v_lshrrev_b32_e32 v8, s64, v20
	v_and_b32_e32 v52, s68, v8
	v_mul_lo_u32 v8, v52, s38
	v_lshl_add_u32 v54, v38, 2, v8
	v_and_b32_e32 v8, 1, v52
	v_mov_b32_e32 v9, 0
	v_lshl_add_u64 v[10:11], v[8:9], 0, -1
	v_cmp_ne_u32_e64 s[34:35], 0, v8
	; wave barrier
	s_nop 1
	v_xor_b32_e32 v10, s34, v10
	v_xor_b32_e32 v8, s35, v11
	v_and_b32_e32 v53, exec_lo, v10
	v_lshlrev_b32_e32 v11, 30, v52
	v_mov_b32_e32 v10, v9
	v_cmp_gt_i64_e64 s[34:35], 0, v[10:11]
	v_not_b32_e32 v10, v11
	v_ashrrev_i32_e32 v10, 31, v10
	v_and_b32_e32 v8, exec_hi, v8
	v_xor_b32_e32 v11, s35, v10
	v_xor_b32_e32 v10, s34, v10
	v_and_b32_e32 v8, v8, v11
	v_and_b32_e32 v53, v53, v10
	v_lshlrev_b32_e32 v11, 29, v52
	v_mov_b32_e32 v10, v9
	v_cmp_gt_i64_e64 s[34:35], 0, v[10:11]
	v_not_b32_e32 v10, v11
	v_ashrrev_i32_e32 v10, 31, v10
	v_xor_b32_e32 v11, s35, v10
	v_xor_b32_e32 v10, s34, v10
	v_and_b32_e32 v8, v8, v11
	v_and_b32_e32 v53, v53, v10
	v_lshlrev_b32_e32 v11, 28, v52
	v_mov_b32_e32 v10, v9
	v_cmp_gt_i64_e64 s[34:35], 0, v[10:11]
	v_not_b32_e32 v10, v11
	v_ashrrev_i32_e32 v10, 31, v10
	;; [unrolled: 9-line block ×6, first 2 shown]
	v_xor_b32_e32 v11, s35, v10
	v_xor_b32_e32 v10, s34, v10
	ds_read_b32 v50, v54 offset:64
	v_and_b32_e32 v10, v53, v10
	v_and_b32_e32 v11, v8, v11
	v_mbcnt_lo_u32_b32 v8, v10, 0
	v_mbcnt_hi_u32_b32 v52, v11, v8
	v_cmp_eq_u32_e64 s[34:35], 0, v52
	v_cmp_ne_u64_e64 s[36:37], 0, v[10:11]
	s_and_b64 s[36:37], s[36:37], s[34:35]
	; wave barrier
	s_and_saveexec_b64 s[34:35], s[36:37]
	s_cbranch_execz .LBB1883_51
; %bb.50:
	v_bcnt_u32_b32 v8, v10, 0
	v_bcnt_u32_b32 v8, v11, v8
	s_waitcnt lgkmcnt(0)
	v_add_u32_e32 v8, v50, v8
	ds_write_b32 v54, v8 offset:64
.LBB1883_51:
	s_or_b64 exec, exec, s[34:35]
	v_lshrrev_b32_e32 v8, s64, v19
	v_and_b32_e32 v55, s68, v8
	v_mul_lo_u32 v8, v55, s38
	v_lshl_add_u32 v57, v38, 2, v8
	v_and_b32_e32 v8, 1, v55
	v_lshl_add_u64 v[10:11], v[8:9], 0, -1
	v_cmp_ne_u32_e64 s[34:35], 0, v8
	; wave barrier
	s_nop 1
	v_xor_b32_e32 v10, s34, v10
	v_xor_b32_e32 v8, s35, v11
	v_and_b32_e32 v56, exec_lo, v10
	v_lshlrev_b32_e32 v11, 30, v55
	v_mov_b32_e32 v10, v9
	v_cmp_gt_i64_e64 s[34:35], 0, v[10:11]
	v_not_b32_e32 v10, v11
	v_ashrrev_i32_e32 v10, 31, v10
	v_and_b32_e32 v8, exec_hi, v8
	v_xor_b32_e32 v11, s35, v10
	v_xor_b32_e32 v10, s34, v10
	v_and_b32_e32 v8, v8, v11
	v_and_b32_e32 v56, v56, v10
	v_lshlrev_b32_e32 v11, 29, v55
	v_mov_b32_e32 v10, v9
	v_cmp_gt_i64_e64 s[34:35], 0, v[10:11]
	v_not_b32_e32 v10, v11
	v_ashrrev_i32_e32 v10, 31, v10
	v_xor_b32_e32 v11, s35, v10
	v_xor_b32_e32 v10, s34, v10
	v_and_b32_e32 v8, v8, v11
	v_and_b32_e32 v56, v56, v10
	v_lshlrev_b32_e32 v11, 28, v55
	v_mov_b32_e32 v10, v9
	v_cmp_gt_i64_e64 s[34:35], 0, v[10:11]
	v_not_b32_e32 v10, v11
	v_ashrrev_i32_e32 v10, 31, v10
	v_xor_b32_e32 v11, s35, v10
	v_xor_b32_e32 v10, s34, v10
	v_and_b32_e32 v8, v8, v11
	v_and_b32_e32 v56, v56, v10
	v_lshlrev_b32_e32 v11, 27, v55
	v_mov_b32_e32 v10, v9
	v_cmp_gt_i64_e64 s[34:35], 0, v[10:11]
	v_not_b32_e32 v10, v11
	v_ashrrev_i32_e32 v10, 31, v10
	v_xor_b32_e32 v11, s35, v10
	v_xor_b32_e32 v10, s34, v10
	v_and_b32_e32 v8, v8, v11
	v_and_b32_e32 v56, v56, v10
	v_lshlrev_b32_e32 v11, 26, v55
	v_mov_b32_e32 v10, v9
	v_cmp_gt_i64_e64 s[34:35], 0, v[10:11]
	v_not_b32_e32 v10, v11
	v_ashrrev_i32_e32 v10, 31, v10
	v_xor_b32_e32 v11, s35, v10
	v_xor_b32_e32 v10, s34, v10
	v_and_b32_e32 v8, v8, v11
	v_and_b32_e32 v56, v56, v10
	v_lshlrev_b32_e32 v11, 25, v55
	v_mov_b32_e32 v10, v9
	v_cmp_gt_i64_e64 s[34:35], 0, v[10:11]
	v_not_b32_e32 v10, v11
	v_ashrrev_i32_e32 v10, 31, v10
	v_xor_b32_e32 v11, s35, v10
	v_xor_b32_e32 v10, s34, v10
	v_and_b32_e32 v8, v8, v11
	v_lshlrev_b32_e32 v11, 24, v55
	v_and_b32_e32 v56, v56, v10
	v_mov_b32_e32 v10, v9
	v_not_b32_e32 v9, v11
	v_cmp_gt_i64_e64 s[34:35], 0, v[10:11]
	v_ashrrev_i32_e32 v9, 31, v9
	ds_read_b32 v53, v57 offset:64
	v_xor_b32_e32 v10, s35, v9
	v_xor_b32_e32 v11, s34, v9
	v_and_b32_e32 v9, v8, v10
	v_and_b32_e32 v8, v56, v11
	v_mbcnt_lo_u32_b32 v10, v8, 0
	v_mbcnt_hi_u32_b32 v55, v9, v10
	v_cmp_eq_u32_e64 s[34:35], 0, v55
	v_cmp_ne_u64_e64 s[36:37], 0, v[8:9]
	s_and_b64 s[36:37], s[36:37], s[34:35]
	; wave barrier
	s_and_saveexec_b64 s[34:35], s[36:37]
	s_cbranch_execz .LBB1883_53
; %bb.52:
	v_bcnt_u32_b32 v8, v8, 0
	v_bcnt_u32_b32 v8, v9, v8
	s_waitcnt lgkmcnt(0)
	v_add_u32_e32 v8, v53, v8
	ds_write_b32 v57, v8 offset:64
.LBB1883_53:
	s_or_b64 exec, exec, s[34:35]
	v_lshrrev_b32_e32 v8, s64, v22
	v_and_b32_e32 v58, s68, v8
	v_mul_lo_u32 v8, v58, s38
	v_lshl_add_u32 v60, v38, 2, v8
	v_and_b32_e32 v8, 1, v58
	v_mov_b32_e32 v9, 0
	v_lshl_add_u64 v[10:11], v[8:9], 0, -1
	v_cmp_ne_u32_e64 s[34:35], 0, v8
	; wave barrier
	s_nop 1
	v_xor_b32_e32 v10, s34, v10
	v_xor_b32_e32 v8, s35, v11
	v_and_b32_e32 v59, exec_lo, v10
	v_lshlrev_b32_e32 v11, 30, v58
	v_mov_b32_e32 v10, v9
	v_cmp_gt_i64_e64 s[34:35], 0, v[10:11]
	v_not_b32_e32 v10, v11
	v_ashrrev_i32_e32 v10, 31, v10
	v_and_b32_e32 v8, exec_hi, v8
	v_xor_b32_e32 v11, s35, v10
	v_xor_b32_e32 v10, s34, v10
	v_and_b32_e32 v8, v8, v11
	v_and_b32_e32 v59, v59, v10
	v_lshlrev_b32_e32 v11, 29, v58
	v_mov_b32_e32 v10, v9
	v_cmp_gt_i64_e64 s[34:35], 0, v[10:11]
	v_not_b32_e32 v10, v11
	v_ashrrev_i32_e32 v10, 31, v10
	v_xor_b32_e32 v11, s35, v10
	v_xor_b32_e32 v10, s34, v10
	v_and_b32_e32 v8, v8, v11
	v_and_b32_e32 v59, v59, v10
	v_lshlrev_b32_e32 v11, 28, v58
	v_mov_b32_e32 v10, v9
	v_cmp_gt_i64_e64 s[34:35], 0, v[10:11]
	v_not_b32_e32 v10, v11
	v_ashrrev_i32_e32 v10, 31, v10
	;; [unrolled: 9-line block ×6, first 2 shown]
	v_xor_b32_e32 v11, s35, v10
	v_xor_b32_e32 v10, s34, v10
	ds_read_b32 v56, v60 offset:64
	v_and_b32_e32 v10, v59, v10
	v_and_b32_e32 v11, v8, v11
	v_mbcnt_lo_u32_b32 v8, v10, 0
	v_mbcnt_hi_u32_b32 v58, v11, v8
	v_cmp_eq_u32_e64 s[34:35], 0, v58
	v_cmp_ne_u64_e64 s[36:37], 0, v[10:11]
	s_and_b64 s[36:37], s[36:37], s[34:35]
	; wave barrier
	s_and_saveexec_b64 s[34:35], s[36:37]
	s_cbranch_execz .LBB1883_55
; %bb.54:
	v_bcnt_u32_b32 v8, v10, 0
	v_bcnt_u32_b32 v8, v11, v8
	s_waitcnt lgkmcnt(0)
	v_add_u32_e32 v8, v56, v8
	ds_write_b32 v60, v8 offset:64
.LBB1883_55:
	s_or_b64 exec, exec, s[34:35]
	v_lshrrev_b32_e32 v8, s64, v21
	v_and_b32_e32 v61, s68, v8
	v_mul_lo_u32 v8, v61, s38
	v_lshl_add_u32 v63, v38, 2, v8
	v_and_b32_e32 v8, 1, v61
	v_lshl_add_u64 v[10:11], v[8:9], 0, -1
	v_cmp_ne_u32_e64 s[34:35], 0, v8
	; wave barrier
	s_nop 1
	v_xor_b32_e32 v10, s34, v10
	v_xor_b32_e32 v8, s35, v11
	v_and_b32_e32 v62, exec_lo, v10
	v_lshlrev_b32_e32 v11, 30, v61
	v_mov_b32_e32 v10, v9
	v_cmp_gt_i64_e64 s[34:35], 0, v[10:11]
	v_not_b32_e32 v10, v11
	v_ashrrev_i32_e32 v10, 31, v10
	v_and_b32_e32 v8, exec_hi, v8
	v_xor_b32_e32 v11, s35, v10
	v_xor_b32_e32 v10, s34, v10
	v_and_b32_e32 v8, v8, v11
	v_and_b32_e32 v62, v62, v10
	v_lshlrev_b32_e32 v11, 29, v61
	v_mov_b32_e32 v10, v9
	v_cmp_gt_i64_e64 s[34:35], 0, v[10:11]
	v_not_b32_e32 v10, v11
	v_ashrrev_i32_e32 v10, 31, v10
	v_xor_b32_e32 v11, s35, v10
	v_xor_b32_e32 v10, s34, v10
	v_and_b32_e32 v8, v8, v11
	v_and_b32_e32 v62, v62, v10
	v_lshlrev_b32_e32 v11, 28, v61
	v_mov_b32_e32 v10, v9
	v_cmp_gt_i64_e64 s[34:35], 0, v[10:11]
	v_not_b32_e32 v10, v11
	v_ashrrev_i32_e32 v10, 31, v10
	;; [unrolled: 9-line block ×5, first 2 shown]
	v_xor_b32_e32 v11, s35, v10
	v_xor_b32_e32 v10, s34, v10
	v_and_b32_e32 v8, v8, v11
	v_lshlrev_b32_e32 v11, 24, v61
	v_and_b32_e32 v62, v62, v10
	v_mov_b32_e32 v10, v9
	v_not_b32_e32 v9, v11
	v_cmp_gt_i64_e64 s[34:35], 0, v[10:11]
	v_ashrrev_i32_e32 v9, 31, v9
	ds_read_b32 v59, v63 offset:64
	v_xor_b32_e32 v10, s35, v9
	v_xor_b32_e32 v11, s34, v9
	v_and_b32_e32 v9, v8, v10
	v_and_b32_e32 v8, v62, v11
	v_mbcnt_lo_u32_b32 v10, v8, 0
	v_mbcnt_hi_u32_b32 v61, v9, v10
	v_cmp_eq_u32_e64 s[34:35], 0, v61
	v_cmp_ne_u64_e64 s[36:37], 0, v[8:9]
	s_and_b64 s[36:37], s[36:37], s[34:35]
	; wave barrier
	s_and_saveexec_b64 s[34:35], s[36:37]
	s_cbranch_execz .LBB1883_57
; %bb.56:
	v_bcnt_u32_b32 v8, v8, 0
	v_bcnt_u32_b32 v8, v9, v8
	s_waitcnt lgkmcnt(0)
	v_add_u32_e32 v8, v59, v8
	ds_write_b32 v63, v8 offset:64
.LBB1883_57:
	s_or_b64 exec, exec, s[34:35]
	v_lshrrev_b32_e32 v8, s64, v24
	v_and_b32_e32 v64, s68, v8
	v_mul_lo_u32 v8, v64, s38
	v_lshl_add_u32 v66, v38, 2, v8
	v_and_b32_e32 v8, 1, v64
	v_mov_b32_e32 v9, 0
	v_lshl_add_u64 v[10:11], v[8:9], 0, -1
	v_cmp_ne_u32_e64 s[34:35], 0, v8
	; wave barrier
	s_nop 1
	v_xor_b32_e32 v10, s34, v10
	v_xor_b32_e32 v8, s35, v11
	v_and_b32_e32 v65, exec_lo, v10
	v_lshlrev_b32_e32 v11, 30, v64
	v_mov_b32_e32 v10, v9
	v_cmp_gt_i64_e64 s[34:35], 0, v[10:11]
	v_not_b32_e32 v10, v11
	v_ashrrev_i32_e32 v10, 31, v10
	v_and_b32_e32 v8, exec_hi, v8
	v_xor_b32_e32 v11, s35, v10
	v_xor_b32_e32 v10, s34, v10
	v_and_b32_e32 v8, v8, v11
	v_and_b32_e32 v65, v65, v10
	v_lshlrev_b32_e32 v11, 29, v64
	v_mov_b32_e32 v10, v9
	v_cmp_gt_i64_e64 s[34:35], 0, v[10:11]
	v_not_b32_e32 v10, v11
	v_ashrrev_i32_e32 v10, 31, v10
	v_xor_b32_e32 v11, s35, v10
	v_xor_b32_e32 v10, s34, v10
	v_and_b32_e32 v8, v8, v11
	v_and_b32_e32 v65, v65, v10
	v_lshlrev_b32_e32 v11, 28, v64
	v_mov_b32_e32 v10, v9
	v_cmp_gt_i64_e64 s[34:35], 0, v[10:11]
	v_not_b32_e32 v10, v11
	v_ashrrev_i32_e32 v10, 31, v10
	;; [unrolled: 9-line block ×6, first 2 shown]
	v_xor_b32_e32 v11, s35, v10
	v_xor_b32_e32 v10, s34, v10
	ds_read_b32 v62, v66 offset:64
	v_and_b32_e32 v10, v65, v10
	v_and_b32_e32 v11, v8, v11
	v_mbcnt_lo_u32_b32 v8, v10, 0
	v_mbcnt_hi_u32_b32 v64, v11, v8
	v_cmp_eq_u32_e64 s[34:35], 0, v64
	v_cmp_ne_u64_e64 s[36:37], 0, v[10:11]
	s_and_b64 s[36:37], s[36:37], s[34:35]
	; wave barrier
	s_and_saveexec_b64 s[34:35], s[36:37]
	s_cbranch_execz .LBB1883_59
; %bb.58:
	v_bcnt_u32_b32 v8, v10, 0
	v_bcnt_u32_b32 v8, v11, v8
	s_waitcnt lgkmcnt(0)
	v_add_u32_e32 v8, v62, v8
	ds_write_b32 v66, v8 offset:64
.LBB1883_59:
	s_or_b64 exec, exec, s[34:35]
	v_lshrrev_b32_e32 v8, s64, v23
	v_and_b32_e32 v67, s68, v8
	v_mul_lo_u32 v8, v67, s38
	v_lshl_add_u32 v69, v38, 2, v8
	v_and_b32_e32 v8, 1, v67
	v_lshl_add_u64 v[10:11], v[8:9], 0, -1
	v_cmp_ne_u32_e64 s[34:35], 0, v8
	; wave barrier
	s_nop 1
	v_xor_b32_e32 v10, s34, v10
	v_xor_b32_e32 v8, s35, v11
	v_and_b32_e32 v68, exec_lo, v10
	v_lshlrev_b32_e32 v11, 30, v67
	v_mov_b32_e32 v10, v9
	v_cmp_gt_i64_e64 s[34:35], 0, v[10:11]
	v_not_b32_e32 v10, v11
	v_ashrrev_i32_e32 v10, 31, v10
	v_and_b32_e32 v8, exec_hi, v8
	v_xor_b32_e32 v11, s35, v10
	v_xor_b32_e32 v10, s34, v10
	v_and_b32_e32 v8, v8, v11
	v_and_b32_e32 v68, v68, v10
	v_lshlrev_b32_e32 v11, 29, v67
	v_mov_b32_e32 v10, v9
	v_cmp_gt_i64_e64 s[34:35], 0, v[10:11]
	v_not_b32_e32 v10, v11
	v_ashrrev_i32_e32 v10, 31, v10
	v_xor_b32_e32 v11, s35, v10
	v_xor_b32_e32 v10, s34, v10
	v_and_b32_e32 v8, v8, v11
	v_and_b32_e32 v68, v68, v10
	v_lshlrev_b32_e32 v11, 28, v67
	v_mov_b32_e32 v10, v9
	v_cmp_gt_i64_e64 s[34:35], 0, v[10:11]
	v_not_b32_e32 v10, v11
	v_ashrrev_i32_e32 v10, 31, v10
	;; [unrolled: 9-line block ×5, first 2 shown]
	v_xor_b32_e32 v11, s35, v10
	v_xor_b32_e32 v10, s34, v10
	v_and_b32_e32 v8, v8, v11
	v_lshlrev_b32_e32 v11, 24, v67
	v_and_b32_e32 v68, v68, v10
	v_mov_b32_e32 v10, v9
	v_not_b32_e32 v9, v11
	v_cmp_gt_i64_e64 s[34:35], 0, v[10:11]
	v_ashrrev_i32_e32 v9, 31, v9
	ds_read_b32 v65, v69 offset:64
	v_xor_b32_e32 v10, s35, v9
	v_xor_b32_e32 v11, s34, v9
	v_and_b32_e32 v9, v8, v10
	v_and_b32_e32 v8, v68, v11
	v_mbcnt_lo_u32_b32 v10, v8, 0
	v_mbcnt_hi_u32_b32 v67, v9, v10
	v_cmp_eq_u32_e64 s[34:35], 0, v67
	v_cmp_ne_u64_e64 s[36:37], 0, v[8:9]
	s_and_b64 s[36:37], s[36:37], s[34:35]
	; wave barrier
	s_and_saveexec_b64 s[34:35], s[36:37]
	s_cbranch_execz .LBB1883_61
; %bb.60:
	v_bcnt_u32_b32 v8, v8, 0
	v_bcnt_u32_b32 v8, v9, v8
	s_waitcnt lgkmcnt(0)
	v_add_u32_e32 v8, v65, v8
	ds_write_b32 v69, v8 offset:64
.LBB1883_61:
	s_or_b64 exec, exec, s[34:35]
	v_lshrrev_b32_e32 v8, s64, v26
	v_and_b32_e32 v70, s68, v8
	v_mul_lo_u32 v8, v70, s38
	v_lshl_add_u32 v72, v38, 2, v8
	v_and_b32_e32 v8, 1, v70
	v_mov_b32_e32 v9, 0
	v_lshl_add_u64 v[10:11], v[8:9], 0, -1
	v_cmp_ne_u32_e64 s[34:35], 0, v8
	; wave barrier
	s_nop 1
	v_xor_b32_e32 v10, s34, v10
	v_xor_b32_e32 v8, s35, v11
	v_and_b32_e32 v71, exec_lo, v10
	v_lshlrev_b32_e32 v11, 30, v70
	v_mov_b32_e32 v10, v9
	v_cmp_gt_i64_e64 s[34:35], 0, v[10:11]
	v_not_b32_e32 v10, v11
	v_ashrrev_i32_e32 v10, 31, v10
	v_and_b32_e32 v8, exec_hi, v8
	v_xor_b32_e32 v11, s35, v10
	v_xor_b32_e32 v10, s34, v10
	v_and_b32_e32 v8, v8, v11
	v_and_b32_e32 v71, v71, v10
	v_lshlrev_b32_e32 v11, 29, v70
	v_mov_b32_e32 v10, v9
	v_cmp_gt_i64_e64 s[34:35], 0, v[10:11]
	v_not_b32_e32 v10, v11
	v_ashrrev_i32_e32 v10, 31, v10
	v_xor_b32_e32 v11, s35, v10
	v_xor_b32_e32 v10, s34, v10
	v_and_b32_e32 v8, v8, v11
	v_and_b32_e32 v71, v71, v10
	v_lshlrev_b32_e32 v11, 28, v70
	v_mov_b32_e32 v10, v9
	v_cmp_gt_i64_e64 s[34:35], 0, v[10:11]
	v_not_b32_e32 v10, v11
	v_ashrrev_i32_e32 v10, 31, v10
	;; [unrolled: 9-line block ×6, first 2 shown]
	v_xor_b32_e32 v11, s35, v10
	v_xor_b32_e32 v10, s34, v10
	ds_read_b32 v68, v72 offset:64
	v_and_b32_e32 v10, v71, v10
	v_and_b32_e32 v11, v8, v11
	v_mbcnt_lo_u32_b32 v8, v10, 0
	v_mbcnt_hi_u32_b32 v70, v11, v8
	v_cmp_eq_u32_e64 s[34:35], 0, v70
	v_cmp_ne_u64_e64 s[36:37], 0, v[10:11]
	s_and_b64 s[36:37], s[36:37], s[34:35]
	; wave barrier
	s_and_saveexec_b64 s[34:35], s[36:37]
	s_cbranch_execz .LBB1883_63
; %bb.62:
	v_bcnt_u32_b32 v8, v10, 0
	v_bcnt_u32_b32 v8, v11, v8
	s_waitcnt lgkmcnt(0)
	v_add_u32_e32 v8, v68, v8
	ds_write_b32 v72, v8 offset:64
.LBB1883_63:
	s_or_b64 exec, exec, s[34:35]
	v_lshrrev_b32_e32 v8, s64, v25
	v_and_b32_e32 v73, s68, v8
	v_mul_lo_u32 v8, v73, s38
	v_lshl_add_u32 v74, v38, 2, v8
	v_and_b32_e32 v8, 1, v73
	v_lshl_add_u64 v[10:11], v[8:9], 0, -1
	v_cmp_ne_u32_e64 s[34:35], 0, v8
	; wave barrier
	s_nop 1
	v_xor_b32_e32 v10, s34, v10
	v_xor_b32_e32 v8, s35, v11
	v_and_b32_e32 v38, exec_lo, v10
	v_lshlrev_b32_e32 v11, 30, v73
	v_mov_b32_e32 v10, v9
	v_cmp_gt_i64_e64 s[34:35], 0, v[10:11]
	v_not_b32_e32 v10, v11
	v_ashrrev_i32_e32 v10, 31, v10
	v_and_b32_e32 v8, exec_hi, v8
	v_xor_b32_e32 v11, s35, v10
	v_xor_b32_e32 v10, s34, v10
	v_and_b32_e32 v8, v8, v11
	v_and_b32_e32 v38, v38, v10
	v_lshlrev_b32_e32 v11, 29, v73
	v_mov_b32_e32 v10, v9
	v_cmp_gt_i64_e64 s[34:35], 0, v[10:11]
	v_not_b32_e32 v10, v11
	v_ashrrev_i32_e32 v10, 31, v10
	v_xor_b32_e32 v11, s35, v10
	v_xor_b32_e32 v10, s34, v10
	v_and_b32_e32 v8, v8, v11
	v_and_b32_e32 v38, v38, v10
	v_lshlrev_b32_e32 v11, 28, v73
	v_mov_b32_e32 v10, v9
	v_cmp_gt_i64_e64 s[34:35], 0, v[10:11]
	v_not_b32_e32 v10, v11
	v_ashrrev_i32_e32 v10, 31, v10
	;; [unrolled: 9-line block ×5, first 2 shown]
	v_xor_b32_e32 v11, s35, v10
	v_xor_b32_e32 v10, s34, v10
	v_and_b32_e32 v8, v8, v11
	v_lshlrev_b32_e32 v11, 24, v73
	v_and_b32_e32 v38, v38, v10
	v_mov_b32_e32 v10, v9
	v_not_b32_e32 v9, v11
	v_cmp_gt_i64_e64 s[34:35], 0, v[10:11]
	v_ashrrev_i32_e32 v9, 31, v9
	ds_read_b32 v71, v74 offset:64
	v_xor_b32_e32 v10, s35, v9
	v_xor_b32_e32 v11, s34, v9
	v_and_b32_e32 v9, v8, v10
	v_and_b32_e32 v8, v38, v11
	v_mbcnt_lo_u32_b32 v10, v8, 0
	v_mbcnt_hi_u32_b32 v73, v9, v10
	v_cmp_eq_u32_e64 s[34:35], 0, v73
	v_cmp_ne_u64_e64 s[36:37], 0, v[8:9]
	s_and_b64 s[36:37], s[36:37], s[34:35]
	; wave barrier
	s_and_saveexec_b64 s[34:35], s[36:37]
	s_cbranch_execz .LBB1883_65
; %bb.64:
	v_bcnt_u32_b32 v8, v8, 0
	v_bcnt_u32_b32 v8, v9, v8
	s_waitcnt lgkmcnt(0)
	v_add_u32_e32 v8, v71, v8
	ds_write_b32 v74, v8 offset:64
.LBB1883_65:
	s_or_b64 exec, exec, s[34:35]
	; wave barrier
	s_waitcnt lgkmcnt(0)
	s_barrier
	ds_read2_b32 v[10:11], v13 offset0:16 offset1:17
	ds_read2_b32 v[8:9], v13 offset0:18 offset1:19
	ds_read_b32 v38, v13 offset:80
	v_cmp_lt_u32_e64 s[44:45], 31, v12
	s_waitcnt lgkmcnt(1)
	v_add3_u32 v75, v11, v10, v8
	s_waitcnt lgkmcnt(0)
	v_add3_u32 v38, v75, v9, v38
	v_and_b32_e32 v75, 15, v12
	v_cmp_eq_u32_e64 s[34:35], 0, v75
	v_mov_b32_dpp v76, v38 row_shr:1 row_mask:0xf bank_mask:0xf
	v_cmp_lt_u32_e64 s[36:37], 1, v75
	v_cndmask_b32_e64 v76, v76, 0, s[34:35]
	v_add_u32_e32 v38, v76, v38
	v_cmp_lt_u32_e64 s[38:39], 3, v75
	v_cmp_lt_u32_e64 s[40:41], 7, v75
	v_mov_b32_dpp v76, v38 row_shr:2 row_mask:0xf bank_mask:0xf
	v_cndmask_b32_e64 v76, 0, v76, s[36:37]
	v_add_u32_e32 v38, v38, v76
	s_nop 1
	v_mov_b32_dpp v76, v38 row_shr:4 row_mask:0xf bank_mask:0xf
	v_cndmask_b32_e64 v76, 0, v76, s[38:39]
	v_add_u32_e32 v38, v38, v76
	s_nop 1
	v_mov_b32_dpp v76, v38 row_shr:8 row_mask:0xf bank_mask:0xf
	v_cndmask_b32_e64 v75, 0, v76, s[40:41]
	v_add_u32_e32 v38, v38, v75
	v_bfe_i32 v76, v12, 4, 1
	s_nop 0
	v_mov_b32_dpp v75, v38 row_bcast:15 row_mask:0xf bank_mask:0xf
	v_and_b32_e32 v75, v76, v75
	v_add_u32_e32 v38, v38, v75
	v_lshrrev_b32_e32 v76, 6, v2
	s_nop 0
	v_mov_b32_dpp v75, v38 row_bcast:31 row_mask:0xf bank_mask:0xf
	v_cndmask_b32_e64 v75, 0, v75, s[44:45]
	v_add_u32_e32 v75, v38, v75
	v_and_b32_e32 v38, 63, v2
	v_cmp_eq_u32_e64 s[44:45], 63, v38
	s_and_saveexec_b64 s[46:47], s[44:45]
; %bb.66:
	v_lshlrev_b32_e32 v38, 2, v76
	ds_write_b32 v38, v75
; %bb.67:
	s_or_b64 exec, exec, s[46:47]
	v_cmp_gt_u32_e64 s[44:45], 16, v2
	v_lshlrev_b32_e32 v38, 2, v2
	s_waitcnt lgkmcnt(0)
	s_barrier
	s_and_saveexec_b64 s[46:47], s[44:45]
	s_cbranch_execz .LBB1883_69
; %bb.68:
	ds_read_b32 v77, v38
	s_waitcnt lgkmcnt(0)
	s_nop 0
	v_mov_b32_dpp v78, v77 row_shr:1 row_mask:0xf bank_mask:0xf
	v_cndmask_b32_e64 v78, v78, 0, s[34:35]
	v_add_u32_e32 v77, v78, v77
	s_nop 1
	v_mov_b32_dpp v78, v77 row_shr:2 row_mask:0xf bank_mask:0xf
	v_cndmask_b32_e64 v78, 0, v78, s[36:37]
	v_add_u32_e32 v77, v77, v78
	;; [unrolled: 4-line block ×4, first 2 shown]
	ds_write_b32 v38, v77
.LBB1883_69:
	s_or_b64 exec, exec, s[46:47]
	v_cmp_lt_u32_e64 s[34:35], 63, v2
	v_mov_b32_e32 v77, 0
	s_waitcnt lgkmcnt(0)
	s_barrier
	s_and_saveexec_b64 s[36:37], s[34:35]
; %bb.70:
	v_lshl_add_u32 v76, v76, 2, -4
	ds_read_b32 v77, v76
; %bb.71:
	s_or_b64 exec, exec, s[36:37]
	v_subrev_co_u32_e64 v76, s[34:35], 1, v12
	v_and_b32_e32 v78, 64, v12
	v_cmp_lt_i32_e64 s[36:37], v76, v78
	s_waitcnt lgkmcnt(0)
	v_add_u32_e32 v75, v77, v75
	s_movk_i32 s38, 0x100
	v_cndmask_b32_e64 v12, v76, v12, s[36:37]
	v_lshlrev_b32_e32 v12, 2, v12
	ds_bpermute_b32 v12, v12, v75
	v_cmp_gt_u32_e64 s[36:37], s38, v2
	s_waitcnt lgkmcnt(0)
	v_cndmask_b32_e64 v12, v12, v77, s[34:35]
	v_cmp_ne_u32_e64 s[34:35], 0, v2
	s_nop 1
	v_cndmask_b32_e64 v12, 0, v12, s[34:35]
	v_add_u32_e32 v10, v12, v10
	v_add_u32_e32 v11, v10, v11
	;; [unrolled: 1-line block ×4, first 2 shown]
	ds_write2_b32 v13, v12, v10 offset0:16 offset1:17
	ds_write2_b32 v13, v11, v8 offset0:18 offset1:19
	ds_write_b32 v13, v9 offset:80
	s_waitcnt lgkmcnt(0)
	s_barrier
	ds_read_b32 v84, v31 offset:64
	ds_read_b32 v75, v33 offset:64
	;; [unrolled: 1-line block ×16, first 2 shown]
	s_movk_i32 s34, 0xff
	v_cmp_lt_u32_e64 s[34:35], s34, v2
                                        ; implicit-def: $vgpr31
                                        ; implicit-def: $vgpr33
	s_and_saveexec_b64 s[40:41], s[36:37]
	s_cbranch_execz .LBB1883_75
; %bb.72:
	v_mul_u32_u24_e32 v8, 0x44, v2
	ds_read_b32 v31, v8 offset:64
	v_add_u32_e32 v9, 1, v2
	v_cmp_ne_u32_e64 s[38:39], s38, v9
	v_mov_b32_e32 v8, 0x4000
	s_and_saveexec_b64 s[44:45], s[38:39]
; %bb.73:
	v_mul_u32_u24_e32 v8, 0x44, v9
	ds_read_b32 v8, v8 offset:64
; %bb.74:
	s_or_b64 exec, exec, s[44:45]
	s_waitcnt lgkmcnt(0)
	v_sub_u32_e32 v33, v8, v31
.LBB1883_75:
	s_or_b64 exec, exec, s[40:41]
	v_mov_b32_e32 v9, 0
	s_waitcnt lgkmcnt(0)
	s_barrier
	s_and_saveexec_b64 s[38:39], s[36:37]
	s_cbranch_execz .LBB1883_85
; %bb.76:
	v_lshl_add_u32 v8, s2, 8, v2
	v_lshl_add_u64 v[10:11], v[8:9], 2, s[50:51]
	v_or_b32_e32 v8, 2.0, v33
	s_mov_b64 s[40:41], 0
	s_brev_b32 s48, -4
	s_mov_b32 s49, s2
	v_mov_b32_e32 v48, 0
	global_store_dword v[10:11], v8, off sc1
                                        ; implicit-def: $sgpr36_sgpr37
	s_branch .LBB1883_79
.LBB1883_77:                            ;   in Loop: Header=BB1883_79 Depth=1
	s_or_b64 exec, exec, s[46:47]
.LBB1883_78:                            ;   in Loop: Header=BB1883_79 Depth=1
	s_or_b64 exec, exec, s[44:45]
	v_and_b32_e32 v12, 0x3fffffff, v8
	v_add_u32_e32 v48, v12, v48
	v_cmp_gt_i32_e64 s[36:37], -2.0, v8
	s_and_b64 s[44:45], exec, s[36:37]
	s_or_b64 s[40:41], s[44:45], s[40:41]
	s_andn2_b64 exec, exec, s[40:41]
	s_cbranch_execz .LBB1883_84
.LBB1883_79:                            ; =>This Loop Header: Depth=1
                                        ;     Child Loop BB1883_82 Depth 2
	s_or_b64 s[36:37], s[36:37], exec
	s_cmp_eq_u32 s49, 0
	s_cbranch_scc1 .LBB1883_83
; %bb.80:                               ;   in Loop: Header=BB1883_79 Depth=1
	s_add_i32 s49, s49, -1
	v_lshl_or_b32 v8, s49, 8, v2
	v_lshl_add_u64 v[12:13], v[8:9], 2, s[50:51]
	global_load_dword v8, v[12:13], off sc1
	s_waitcnt vmcnt(0)
	v_cmp_gt_u32_e64 s[36:37], 2.0, v8
	s_and_saveexec_b64 s[44:45], s[36:37]
	s_cbranch_execz .LBB1883_78
; %bb.81:                               ;   in Loop: Header=BB1883_79 Depth=1
	s_mov_b64 s[46:47], 0
.LBB1883_82:                            ;   Parent Loop BB1883_79 Depth=1
                                        ; =>  This Inner Loop Header: Depth=2
	global_load_dword v8, v[12:13], off sc1
	s_waitcnt vmcnt(0)
	v_cmp_lt_u32_e64 s[36:37], s48, v8
	s_or_b64 s[46:47], s[36:37], s[46:47]
	s_andn2_b64 exec, exec, s[46:47]
	s_cbranch_execnz .LBB1883_82
	s_branch .LBB1883_77
.LBB1883_83:                            ;   in Loop: Header=BB1883_79 Depth=1
                                        ; implicit-def: $sgpr49
	s_and_b64 s[44:45], exec, s[36:37]
	s_or_b64 s[40:41], s[44:45], s[40:41]
	s_andn2_b64 exec, exec, s[40:41]
	s_cbranch_execnz .LBB1883_79
.LBB1883_84:
	s_or_b64 exec, exec, s[40:41]
	v_add_u32_e32 v8, v48, v33
	v_or_b32_e32 v8, 0x80000000, v8
	global_store_dword v[10:11], v8, off sc1
	global_load_dword v8, v38, s[60:61]
	v_sub_u32_e32 v9, v48, v31
	s_waitcnt vmcnt(0)
	v_add_u32_e32 v8, v9, v8
	ds_write_b32 v38, v8
.LBB1883_85:
	s_or_b64 exec, exec, s[38:39]
	v_add_u32_e32 v10, v84, v28
	v_add3_u32 v8, v29, v27, v75
	v_add3_u32 v9, v32, v30, v76
	;; [unrolled: 1-line block ×15, first 2 shown]
	v_mov_b32_e32 v87, 0x400
	s_movk_i32 s40, 0x400
	v_lshl_add_u32 v11, v11, 2, v87
	v_add3_u32 v12, v73, v43, v71
	v_lshl_add_u32 v13, v13, 2, v87
	v_add3_u32 v28, v70, v36, v68
	;; [unrolled: 2-line block ×15, first 2 shown]
	v_lshl_add_u32 v29, v10, 2, v87
	s_mov_b32 s41, 0
	s_mov_b32 s44, 0
	s_movk_i32 s45, 0x1000
	v_mov_b32_e32 v9, 0
	s_movk_i32 s46, 0x800
	s_movk_i32 s47, 0xc00
	v_mov_b32_e32 v58, v2
	s_mov_b32 s48, 0
	s_branch .LBB1883_87
.LBB1883_86:                            ;   in Loop: Header=BB1883_87 Depth=1
	s_or_b64 exec, exec, s[38:39]
	s_addk_i32 s48, 0xc000
	s_add_i32 s41, s41, 16
	s_addk_i32 s44, 0xf000
	s_cmp_eq_u32 s48, 0xffff0000
	v_add_u32_e32 v58, 0x1000, v58
	s_barrier
	s_cbranch_scc1 .LBB1883_127
.LBB1883_87:                            ; =>This Inner Loop Header: Depth=1
	v_add_u32_e32 v8, s44, v10
	v_cmp_gt_u32_e64 s[36:37], s45, v8
	s_and_saveexec_b64 s[38:39], s[36:37]
; %bb.88:                               ;   in Loop: Header=BB1883_87 Depth=1
	v_add_u32_e32 v8, s48, v29
	ds_write_b32 v8, v5
; %bb.89:                               ;   in Loop: Header=BB1883_87 Depth=1
	s_or_b64 exec, exec, s[38:39]
	v_add_u32_e32 v8, s44, v27
	v_cmp_gt_u32_e64 s[36:37], s45, v8
	s_and_saveexec_b64 s[38:39], s[36:37]
; %bb.90:                               ;   in Loop: Header=BB1883_87 Depth=1
	v_add_u32_e32 v8, s48, v32
	ds_write_b32 v8, v3
; %bb.91:                               ;   in Loop: Header=BB1883_87 Depth=1
	s_or_b64 exec, exec, s[38:39]
	;; [unrolled: 8-line block ×6, first 2 shown]
	v_add_u32_e32 v8, s44, v44
	v_cmp_gt_u32_e64 s[36:37], s45, v8
	s_and_saveexec_b64 s[38:39], s[36:37]
; %bb.100:                              ;   in Loop: Header=BB1883_87 Depth=1
	v_add_u32_e32 v8, s48, v49
	ds_write_b32 v8, v18
; %bb.101:                              ;   in Loop: Header=BB1883_87 Depth=1
	s_or_b64 exec, exec, s[38:39]
	v_add_u32_e32 v8, s44, v47
	v_cmp_gt_u32_e64 s[36:37], s45, v8
	s_and_saveexec_b64 s[38:39], s[36:37]
; %bb.102:                              ;   in Loop: Header=BB1883_87 Depth=1
	v_add_u32_e32 v8, s48, v52
	ds_write_b32 v8, v17
; %bb.103:                              ;   in Loop: Header=BB1883_87 Depth=1
	s_or_b64 exec, exec, s[38:39]
	;; [unrolled: 8-line block ×10, first 2 shown]
	v_cmp_gt_u32_e64 s[36:37], s3, v58
	s_waitcnt lgkmcnt(0)
	s_barrier
	s_and_saveexec_b64 s[38:39], s[36:37]
	s_cbranch_execz .LBB1883_121
; %bb.120:                              ;   in Loop: Header=BB1883_87 Depth=1
	ds_read_b32 v8, v38 offset:1024
	s_waitcnt lgkmcnt(0)
	v_lshrrev_b32_e32 v59, s64, v8
	v_and_b32_e32 v59, s68, v59
	v_lshlrev_b32_e32 v60, 2, v59
	ds_read_b32 v60, v60
	v_xor_b32_e32 v62, 0x7fffffff, v8
	s_waitcnt lgkmcnt(0)
	v_add_u32_e32 v8, v58, v60
	v_lshl_add_u64 v[60:61], v[8:9], 2, s[54:55]
	global_store_dword v[60:61], v62, off
	scratch_store_dword off, v59, s41
.LBB1883_121:                           ;   in Loop: Header=BB1883_87 Depth=1
	s_or_b64 exec, exec, s[38:39]
	v_add_u32_e32 v8, 0x400, v58
	v_cmp_gt_u32_e64 s[36:37], s3, v8
	s_and_saveexec_b64 s[38:39], s[36:37]
	s_cbranch_execz .LBB1883_123
; %bb.122:                              ;   in Loop: Header=BB1883_87 Depth=1
	ds_read_b32 v8, v38 offset:5120
	s_add_i32 s36, s41, 4
	s_waitcnt lgkmcnt(0)
	v_lshrrev_b32_e32 v59, s64, v8
	v_and_b32_e32 v59, s68, v59
	v_lshlrev_b32_e32 v60, 2, v59
	ds_read_b32 v60, v60
	v_xor_b32_e32 v62, 0x7fffffff, v8
	s_waitcnt lgkmcnt(0)
	v_add3_u32 v8, v58, v60, s40
	v_lshl_add_u64 v[60:61], v[8:9], 2, s[54:55]
	global_store_dword v[60:61], v62, off
	scratch_store_dword off, v59, s36
.LBB1883_123:                           ;   in Loop: Header=BB1883_87 Depth=1
	s_or_b64 exec, exec, s[38:39]
	v_add_u32_e32 v8, 0x800, v58
	v_cmp_gt_u32_e64 s[36:37], s3, v8
	s_and_saveexec_b64 s[38:39], s[36:37]
	s_cbranch_execz .LBB1883_125
; %bb.124:                              ;   in Loop: Header=BB1883_87 Depth=1
	ds_read_b32 v8, v38 offset:9216
	s_add_i32 s36, s41, 8
	s_waitcnt lgkmcnt(0)
	v_lshrrev_b32_e32 v59, s64, v8
	v_and_b32_e32 v59, s68, v59
	v_lshlrev_b32_e32 v60, 2, v59
	ds_read_b32 v60, v60
	v_xor_b32_e32 v62, 0x7fffffff, v8
	s_waitcnt lgkmcnt(0)
	v_add3_u32 v8, v58, v60, s46
	v_lshl_add_u64 v[60:61], v[8:9], 2, s[54:55]
	global_store_dword v[60:61], v62, off
	scratch_store_dword off, v59, s36
.LBB1883_125:                           ;   in Loop: Header=BB1883_87 Depth=1
	s_or_b64 exec, exec, s[38:39]
	v_add_u32_e32 v8, 0xc00, v58
	v_cmp_gt_u32_e64 s[36:37], s3, v8
	s_and_saveexec_b64 s[38:39], s[36:37]
	s_cbranch_execz .LBB1883_86
; %bb.126:                              ;   in Loop: Header=BB1883_87 Depth=1
	ds_read_b32 v8, v38 offset:13312
	s_add_i32 s36, s41, 12
	s_waitcnt lgkmcnt(0)
	v_lshrrev_b32_e32 v59, s64, v8
	v_and_b32_e32 v59, s68, v59
	v_lshlrev_b32_e32 v60, 2, v59
	ds_read_b32 v60, v60
	v_xor_b32_e32 v62, 0x7fffffff, v8
	s_waitcnt lgkmcnt(0)
	v_add3_u32 v8, v58, v60, s47
	v_lshl_add_u64 v[60:61], v[8:9], 2, s[54:55]
	global_store_dword v[60:61], v62, off
	scratch_store_dword off, v59, s36
	s_branch .LBB1883_86
.LBB1883_127:
	s_add_u32 s36, s56, s66
	s_addc_u32 s37, s57, s67
	v_mov_b32_e32 v5, 0
	v_lshl_add_u64 v[8:9], s[36:37], 0, v[4:5]
	v_mov_b32_e32 v7, v5
	v_lshl_add_u64 v[4:5], v[8:9], 0, v[6:7]
                                        ; implicit-def: $vgpr3
	s_and_saveexec_b64 s[36:37], vcc
	s_cbranch_execz .LBB1883_143
; %bb.128:
	global_load_dword v3, v[4:5], off
	s_or_b64 exec, exec, s[36:37]
                                        ; implicit-def: $vgpr6
	s_and_saveexec_b64 s[36:37], s[42:43]
	s_cbranch_execnz .LBB1883_144
.LBB1883_129:
	s_or_b64 exec, exec, s[36:37]
                                        ; implicit-def: $vgpr7
	s_and_saveexec_b64 s[36:37], s[4:5]
	s_cbranch_execz .LBB1883_145
.LBB1883_130:
	global_load_dword v7, v[4:5], off offset:512
	s_or_b64 exec, exec, s[36:37]
                                        ; implicit-def: $vgpr8
	s_and_saveexec_b64 s[4:5], s[6:7]
	s_cbranch_execnz .LBB1883_146
.LBB1883_131:
	s_or_b64 exec, exec, s[4:5]
                                        ; implicit-def: $vgpr9
	s_and_saveexec_b64 s[4:5], s[8:9]
	s_cbranch_execz .LBB1883_147
.LBB1883_132:
	global_load_dword v9, v[4:5], off offset:1024
	s_or_b64 exec, exec, s[4:5]
                                        ; implicit-def: $vgpr14
	s_and_saveexec_b64 s[4:5], s[10:11]
	s_cbranch_execnz .LBB1883_148
.LBB1883_133:
	s_or_b64 exec, exec, s[4:5]
                                        ; implicit-def: $vgpr15
	s_and_saveexec_b64 s[4:5], s[12:13]
	s_cbranch_execz .LBB1883_149
.LBB1883_134:
	global_load_dword v15, v[4:5], off offset:1536
	s_or_b64 exec, exec, s[4:5]
                                        ; implicit-def: $vgpr16
	s_and_saveexec_b64 s[4:5], s[14:15]
	s_cbranch_execnz .LBB1883_150
.LBB1883_135:
	s_or_b64 exec, exec, s[4:5]
                                        ; implicit-def: $vgpr17
	s_and_saveexec_b64 s[4:5], s[16:17]
	s_cbranch_execz .LBB1883_151
.LBB1883_136:
	global_load_dword v17, v[4:5], off offset:2048
	s_or_b64 exec, exec, s[4:5]
                                        ; implicit-def: $vgpr18
	s_and_saveexec_b64 s[4:5], s[18:19]
	s_cbranch_execnz .LBB1883_152
.LBB1883_137:
	s_or_b64 exec, exec, s[4:5]
                                        ; implicit-def: $vgpr19
	s_and_saveexec_b64 s[4:5], s[20:21]
	s_cbranch_execz .LBB1883_153
.LBB1883_138:
	global_load_dword v19, v[4:5], off offset:2560
	s_or_b64 exec, exec, s[4:5]
                                        ; implicit-def: $vgpr20
	s_and_saveexec_b64 s[4:5], s[22:23]
	s_cbranch_execnz .LBB1883_154
.LBB1883_139:
	s_or_b64 exec, exec, s[4:5]
                                        ; implicit-def: $vgpr21
	s_and_saveexec_b64 s[4:5], s[24:25]
	s_cbranch_execz .LBB1883_155
.LBB1883_140:
	global_load_dword v21, v[4:5], off offset:3072
	s_or_b64 exec, exec, s[4:5]
                                        ; implicit-def: $vgpr22
	s_and_saveexec_b64 s[4:5], s[26:27]
	s_cbranch_execnz .LBB1883_156
.LBB1883_141:
	s_or_b64 exec, exec, s[4:5]
                                        ; implicit-def: $vgpr23
	s_and_saveexec_b64 s[4:5], s[28:29]
	s_cbranch_execz .LBB1883_157
.LBB1883_142:
	global_load_dword v23, v[4:5], off offset:3584
	s_or_b64 exec, exec, s[4:5]
                                        ; implicit-def: $vgpr24
	s_and_saveexec_b64 s[4:5], s[30:31]
	s_cbranch_execnz .LBB1883_158
	s_branch .LBB1883_159
.LBB1883_143:
	s_or_b64 exec, exec, s[36:37]
                                        ; implicit-def: $vgpr6
	s_and_saveexec_b64 s[36:37], s[42:43]
	s_cbranch_execz .LBB1883_129
.LBB1883_144:
	global_load_dword v6, v[4:5], off offset:256
	s_or_b64 exec, exec, s[36:37]
                                        ; implicit-def: $vgpr7
	s_and_saveexec_b64 s[36:37], s[4:5]
	s_cbranch_execnz .LBB1883_130
.LBB1883_145:
	s_or_b64 exec, exec, s[36:37]
                                        ; implicit-def: $vgpr8
	s_and_saveexec_b64 s[4:5], s[6:7]
	s_cbranch_execz .LBB1883_131
.LBB1883_146:
	global_load_dword v8, v[4:5], off offset:768
	s_or_b64 exec, exec, s[4:5]
                                        ; implicit-def: $vgpr9
	s_and_saveexec_b64 s[4:5], s[8:9]
	s_cbranch_execnz .LBB1883_132
.LBB1883_147:
	s_or_b64 exec, exec, s[4:5]
                                        ; implicit-def: $vgpr14
	s_and_saveexec_b64 s[4:5], s[10:11]
	s_cbranch_execz .LBB1883_133
.LBB1883_148:
	global_load_dword v14, v[4:5], off offset:1280
	s_or_b64 exec, exec, s[4:5]
                                        ; implicit-def: $vgpr15
	s_and_saveexec_b64 s[4:5], s[12:13]
	s_cbranch_execnz .LBB1883_134
.LBB1883_149:
	s_or_b64 exec, exec, s[4:5]
                                        ; implicit-def: $vgpr16
	s_and_saveexec_b64 s[4:5], s[14:15]
	s_cbranch_execz .LBB1883_135
.LBB1883_150:
	global_load_dword v16, v[4:5], off offset:1792
	s_or_b64 exec, exec, s[4:5]
                                        ; implicit-def: $vgpr17
	s_and_saveexec_b64 s[4:5], s[16:17]
	s_cbranch_execnz .LBB1883_136
.LBB1883_151:
	s_or_b64 exec, exec, s[4:5]
                                        ; implicit-def: $vgpr18
	s_and_saveexec_b64 s[4:5], s[18:19]
	s_cbranch_execz .LBB1883_137
.LBB1883_152:
	global_load_dword v18, v[4:5], off offset:2304
	s_or_b64 exec, exec, s[4:5]
                                        ; implicit-def: $vgpr19
	s_and_saveexec_b64 s[4:5], s[20:21]
	s_cbranch_execnz .LBB1883_138
.LBB1883_153:
	s_or_b64 exec, exec, s[4:5]
                                        ; implicit-def: $vgpr20
	s_and_saveexec_b64 s[4:5], s[22:23]
	s_cbranch_execz .LBB1883_139
.LBB1883_154:
	global_load_dword v20, v[4:5], off offset:2816
	s_or_b64 exec, exec, s[4:5]
                                        ; implicit-def: $vgpr21
	s_and_saveexec_b64 s[4:5], s[24:25]
	s_cbranch_execnz .LBB1883_140
.LBB1883_155:
	s_or_b64 exec, exec, s[4:5]
                                        ; implicit-def: $vgpr22
	s_and_saveexec_b64 s[4:5], s[26:27]
	s_cbranch_execz .LBB1883_141
.LBB1883_156:
	global_load_dword v22, v[4:5], off offset:3328
	s_or_b64 exec, exec, s[4:5]
                                        ; implicit-def: $vgpr23
	s_and_saveexec_b64 s[4:5], s[28:29]
	s_cbranch_execnz .LBB1883_142
.LBB1883_157:
	s_or_b64 exec, exec, s[4:5]
                                        ; implicit-def: $vgpr24
	s_and_saveexec_b64 s[4:5], s[30:31]
	s_cbranch_execz .LBB1883_159
.LBB1883_158:
	global_load_dword v24, v[4:5], off offset:3840
.LBB1883_159:
	s_or_b64 exec, exec, s[4:5]
	s_mov_b32 s6, 0
	s_mov_b32 s7, 0
	s_movk_i32 s8, 0x1000
	v_mov_b32_e32 v5, 0
	s_movk_i32 s9, 0x400
	s_movk_i32 s10, 0x800
	;; [unrolled: 1-line block ×3, first 2 shown]
	s_mov_b32 s12, 0
	s_branch .LBB1883_161
.LBB1883_160:                           ;   in Loop: Header=BB1883_161 Depth=1
	s_or_b64 exec, exec, s[4:5]
	s_addk_i32 s12, 0xc000
	s_addk_i32 s7, 0xf000
	s_add_i32 s6, s6, 16
	s_cmp_eq_u32 s12, 0xffff0000
	v_add_u32_e32 v2, 0x1000, v2
	s_barrier
	s_cbranch_scc1 .LBB1883_201
.LBB1883_161:                           ; =>This Inner Loop Header: Depth=1
	v_add_u32_e32 v4, s7, v10
	v_cmp_gt_u32_e32 vcc, s8, v4
	s_and_saveexec_b64 s[4:5], vcc
	s_cbranch_execz .LBB1883_163
; %bb.162:                              ;   in Loop: Header=BB1883_161 Depth=1
	v_add_u32_e32 v4, s12, v29
	s_waitcnt vmcnt(0)
	ds_write_b32 v4, v3
.LBB1883_163:                           ;   in Loop: Header=BB1883_161 Depth=1
	s_or_b64 exec, exec, s[4:5]
	v_add_u32_e32 v4, s7, v27
	v_cmp_gt_u32_e32 vcc, s8, v4
	s_and_saveexec_b64 s[4:5], vcc
	s_cbranch_execz .LBB1883_165
; %bb.164:                              ;   in Loop: Header=BB1883_161 Depth=1
	v_add_u32_e32 v4, s12, v32
	s_waitcnt vmcnt(0)
	ds_write_b32 v4, v6
.LBB1883_165:                           ;   in Loop: Header=BB1883_161 Depth=1
	s_or_b64 exec, exec, s[4:5]
	;; [unrolled: 10-line block ×16, first 2 shown]
	v_cmp_gt_u32_e32 vcc, s3, v2
	s_waitcnt lgkmcnt(0)
	s_barrier
	s_and_saveexec_b64 s[4:5], vcc
	s_cbranch_execz .LBB1883_195
; %bb.194:                              ;   in Loop: Header=BB1883_161 Depth=1
	scratch_load_dword v4, off, s6
	s_waitcnt vmcnt(0)
	v_lshlrev_b32_e32 v4, 2, v4
	ds_read_b32 v4, v4
	ds_read_b32 v25, v38 offset:1024
	s_waitcnt lgkmcnt(1)
	v_add_u32_e32 v4, v2, v4
	v_lshl_add_u64 v[58:59], v[4:5], 2, s[58:59]
	s_waitcnt lgkmcnt(0)
	global_store_dword v[58:59], v25, off
.LBB1883_195:                           ;   in Loop: Header=BB1883_161 Depth=1
	s_or_b64 exec, exec, s[4:5]
	v_add_u32_e32 v4, 0x400, v2
	v_cmp_gt_u32_e32 vcc, s3, v4
	s_and_saveexec_b64 s[4:5], vcc
	s_cbranch_execz .LBB1883_197
; %bb.196:                              ;   in Loop: Header=BB1883_161 Depth=1
	s_add_i32 s13, s6, 4
	scratch_load_dword v4, off, s13
	s_waitcnt vmcnt(0)
	v_lshlrev_b32_e32 v4, 2, v4
	ds_read_b32 v4, v4
	ds_read_b32 v25, v38 offset:5120
	s_waitcnt lgkmcnt(1)
	v_add3_u32 v4, v2, v4, s9
	v_lshl_add_u64 v[58:59], v[4:5], 2, s[58:59]
	s_waitcnt lgkmcnt(0)
	global_store_dword v[58:59], v25, off
.LBB1883_197:                           ;   in Loop: Header=BB1883_161 Depth=1
	s_or_b64 exec, exec, s[4:5]
	v_add_u32_e32 v4, 0x800, v2
	v_cmp_gt_u32_e32 vcc, s3, v4
	s_and_saveexec_b64 s[4:5], vcc
	s_cbranch_execz .LBB1883_199
; %bb.198:                              ;   in Loop: Header=BB1883_161 Depth=1
	s_add_i32 s13, s6, 8
	scratch_load_dword v4, off, s13
	s_waitcnt vmcnt(0)
	v_lshlrev_b32_e32 v4, 2, v4
	ds_read_b32 v4, v4
	ds_read_b32 v25, v38 offset:9216
	s_waitcnt lgkmcnt(1)
	v_add3_u32 v4, v2, v4, s10
	v_lshl_add_u64 v[58:59], v[4:5], 2, s[58:59]
	s_waitcnt lgkmcnt(0)
	global_store_dword v[58:59], v25, off
.LBB1883_199:                           ;   in Loop: Header=BB1883_161 Depth=1
	s_or_b64 exec, exec, s[4:5]
	v_add_u32_e32 v4, 0xc00, v2
	v_cmp_gt_u32_e32 vcc, s3, v4
	s_and_saveexec_b64 s[4:5], vcc
	s_cbranch_execz .LBB1883_160
; %bb.200:                              ;   in Loop: Header=BB1883_161 Depth=1
	s_add_i32 s13, s6, 12
	scratch_load_dword v4, off, s13
	s_waitcnt vmcnt(0)
	v_lshlrev_b32_e32 v4, 2, v4
	ds_read_b32 v4, v4
	ds_read_b32 v25, v38 offset:13312
	s_waitcnt lgkmcnt(1)
	v_add3_u32 v4, v2, v4, s11
	v_lshl_add_u64 v[58:59], v[4:5], 2, s[58:59]
	s_waitcnt lgkmcnt(0)
	global_store_dword v[58:59], v25, off
	s_branch .LBB1883_160
.LBB1883_201:
	s_add_i32 s33, s33, -1
	s_cmp_eq_u32 s2, s33
	s_cselect_b64 s[4:5], -1, 0
	s_xor_b64 s[6:7], s[34:35], -1
	s_and_b64 s[6:7], s[6:7], s[4:5]
	s_and_saveexec_b64 s[4:5], s[6:7]
	s_cbranch_execz .LBB1883_203
; %bb.202:
	ds_read_b32 v2, v38
	s_waitcnt lgkmcnt(0)
	v_add3_u32 v2, v31, v33, v2
	global_store_dword v38, v2, s[62:63]
.LBB1883_203:
	s_or_b64 exec, exec, s[4:5]
	s_mov_b64 s[4:5], 0
.LBB1883_204:
	s_and_b64 vcc, exec, s[4:5]
	s_cbranch_vccz .LBB1883_327
; %bb.205:
	v_and_b32_e32 v2, 0x3ff, v0
	s_lshl_b32 s4, s2, 14
	s_mov_b32 s5, 0
	s_lshl_b64 s[10:11], s[4:5], 2
	v_mbcnt_hi_u32_b32 v10, -1, v1
	v_lshlrev_b32_e32 v1, 4, v2
	s_add_u32 s4, s52, s10
	s_waitcnt vmcnt(0)
	v_and_b32_e32 v3, 63, v10
	v_and_b32_e32 v6, 0x3c00, v1
	v_mov_b32_e32 v1, 0
	s_addc_u32 s5, s53, s11
	v_lshlrev_b32_e32 v4, 2, v3
	v_mov_b32_e32 v5, v1
	v_lshl_add_u64 v[8:9], s[4:5], 0, v[4:5]
	s_load_dword s3, s[0:1], 0x58
	s_load_dword s4, s[0:1], 0x64
	v_lshlrev_b32_e32 v6, 2, v6
	v_mov_b32_e32 v7, v1
	s_add_u32 s0, s0, 0x58
	v_lshl_add_u64 v[8:9], v[8:9], 0, v[6:7]
	s_addc_u32 s1, s1, 0
	s_waitcnt lgkmcnt(0)
	s_lshr_b32 s4, s4, 16
	global_load_dword v3, v[8:9], off
	s_cmp_lt_u32 s2, s3
	s_cselect_b32 s5, 12, 18
	s_add_u32 s0, s0, s5
	s_addc_u32 s1, s1, 0
	global_load_ushort v13, v1, s[0:1]
	v_mul_u32_u24_e32 v11, 20, v2
	ds_write2_b32 v11, v1, v1 offset0:16 offset1:17
	ds_write2_b32 v11, v1, v1 offset0:18 offset1:19
	ds_write_b32 v11, v1 offset:80
	global_load_dword v5, v[8:9], off offset:256
	global_load_dword v7, v[8:9], off offset:512
	;; [unrolled: 1-line block ×15, first 2 shown]
	v_bfe_u32 v14, v0, 10, 10
	v_bfe_u32 v0, v0, 20, 10
	v_mad_u32_u24 v8, v0, s4, v14
	s_lshl_b32 s0, -1, s65
	v_mov_b32_e32 v16, v1
	s_not_b32 s14, s0
	v_mov_b32_e32 v20, v1
	v_mov_b32_e32 v26, v1
	s_movk_i32 s8, 0x44
	s_waitcnt lgkmcnt(0)
	s_barrier
	s_waitcnt vmcnt(16)
	; wave barrier
	v_xor_b32_e32 v3, 0x7fffffff, v3
	v_lshrrev_b32_e32 v0, s64, v3
	v_bitop3_b32 v14, v0, s0, v0 bitop3:0x30
	v_and_b32_e32 v0, 1, v14
	v_lshlrev_b32_e32 v17, 30, v14
	v_lshlrev_b32_e32 v21, 29, v14
	s_waitcnt vmcnt(15)
	v_mad_u64_u32 v[8:9], s[0:1], v8, v13, v[2:3]
	v_lshl_add_u64 v[32:33], v[0:1], 0, -1
	v_cmp_ne_u32_e32 vcc, 0, v0
	v_not_b32_e32 v0, v17
	v_lshlrev_b32_e32 v27, 28, v14
	v_cmp_gt_i64_e64 s[0:1], 0, v[16:17]
	v_not_b32_e32 v9, v21
	v_lshrrev_b32_e32 v28, 6, v8
	v_xor_b32_e32 v8, vcc_hi, v33
	v_xor_b32_e32 v16, vcc_lo, v32
	v_ashrrev_i32_e32 v0, 31, v0
	v_cmp_gt_i64_e64 s[4:5], 0, v[20:21]
	v_not_b32_e32 v13, v27
	v_ashrrev_i32_e32 v9, 31, v9
	v_and_b32_e32 v8, exec_hi, v8
	v_and_b32_e32 v16, exec_lo, v16
	v_xor_b32_e32 v17, s1, v0
	v_xor_b32_e32 v0, s0, v0
	v_cmp_gt_i64_e64 s[6:7], 0, v[26:27]
	v_ashrrev_i32_e32 v13, 31, v13
	v_xor_b32_e32 v20, s5, v9
	v_xor_b32_e32 v9, s4, v9
	v_and_b32_e32 v8, v8, v17
	v_and_b32_e32 v0, v16, v0
	v_xor_b32_e32 v21, s7, v13
	v_and_b32_e32 v8, v8, v20
	v_and_b32_e32 v0, v0, v9
	;; [unrolled: 3-line block ×3, first 2 shown]
	v_lshlrev_b32_e32 v9, 27, v14
	v_mov_b32_e32 v8, v1
	v_cmp_gt_i64_e32 vcc, 0, v[8:9]
	v_not_b32_e32 v8, v9
	v_ashrrev_i32_e32 v8, 31, v8
	v_xor_b32_e32 v9, vcc_hi, v8
	v_xor_b32_e32 v8, vcc_lo, v8
	v_and_b32_e32 v13, v13, v9
	v_and_b32_e32 v0, v0, v8
	v_lshlrev_b32_e32 v9, 26, v14
	v_mov_b32_e32 v8, v1
	v_cmp_gt_i64_e32 vcc, 0, v[8:9]
	v_not_b32_e32 v8, v9
	v_ashrrev_i32_e32 v8, 31, v8
	v_xor_b32_e32 v9, vcc_hi, v8
	v_xor_b32_e32 v8, vcc_lo, v8
	v_and_b32_e32 v13, v13, v9
	v_and_b32_e32 v0, v0, v8
	;; [unrolled: 9-line block ×4, first 2 shown]
	v_mbcnt_lo_u32_b32 v0, v8, 0
	v_mul_lo_u32 v18, v14, s8
	v_mbcnt_hi_u32_b32 v14, v9, v0
	v_cmp_eq_u32_e32 vcc, 0, v14
	v_cmp_ne_u64_e64 s[0:1], 0, v[8:9]
	v_lshl_add_u32 v18, v28, 2, v18
	s_and_b64 s[4:5], s[0:1], vcc
	s_and_saveexec_b64 s[0:1], s[4:5]
; %bb.206:
	v_bcnt_u32_b32 v0, v8, 0
	v_bcnt_u32_b32 v0, v9, v0
	ds_write_b32 v18, v0 offset:64
; %bb.207:
	s_or_b64 exec, exec, s[0:1]
	s_waitcnt vmcnt(14)
	v_xor_b32_e32 v5, 0x7fffffff, v5
	v_lshrrev_b32_e32 v0, s64, v5
	v_and_b32_e32 v16, s14, v0
	v_mul_lo_u32 v0, v16, s8
	v_lshl_add_u32 v21, v28, 2, v0
	v_and_b32_e32 v0, 1, v16
	v_lshl_add_u64 v[8:9], v[0:1], 0, -1
	v_cmp_ne_u32_e32 vcc, 0, v0
	; wave barrier
	s_nop 1
	v_xor_b32_e32 v8, vcc_lo, v8
	v_xor_b32_e32 v0, vcc_hi, v9
	v_and_b32_e32 v17, exec_lo, v8
	v_lshlrev_b32_e32 v9, 30, v16
	v_mov_b32_e32 v8, v1
	v_cmp_gt_i64_e32 vcc, 0, v[8:9]
	v_not_b32_e32 v8, v9
	v_ashrrev_i32_e32 v8, 31, v8
	v_and_b32_e32 v0, exec_hi, v0
	v_xor_b32_e32 v9, vcc_hi, v8
	v_xor_b32_e32 v8, vcc_lo, v8
	v_and_b32_e32 v0, v0, v9
	v_and_b32_e32 v17, v17, v8
	v_lshlrev_b32_e32 v9, 29, v16
	v_mov_b32_e32 v8, v1
	v_cmp_gt_i64_e32 vcc, 0, v[8:9]
	v_not_b32_e32 v8, v9
	v_ashrrev_i32_e32 v8, 31, v8
	v_xor_b32_e32 v9, vcc_hi, v8
	v_xor_b32_e32 v8, vcc_lo, v8
	v_and_b32_e32 v0, v0, v9
	v_and_b32_e32 v17, v17, v8
	v_lshlrev_b32_e32 v9, 28, v16
	v_mov_b32_e32 v8, v1
	v_cmp_gt_i64_e32 vcc, 0, v[8:9]
	v_not_b32_e32 v8, v9
	v_ashrrev_i32_e32 v8, 31, v8
	;; [unrolled: 9-line block ×5, first 2 shown]
	v_xor_b32_e32 v9, vcc_hi, v8
	v_xor_b32_e32 v8, vcc_lo, v8
	v_and_b32_e32 v0, v0, v9
	v_lshlrev_b32_e32 v9, 24, v16
	v_and_b32_e32 v17, v17, v8
	v_mov_b32_e32 v8, v1
	v_not_b32_e32 v1, v9
	v_cmp_gt_i64_e32 vcc, 0, v[8:9]
	v_ashrrev_i32_e32 v1, 31, v1
	ds_read_b32 v13, v21 offset:64
	v_xor_b32_e32 v8, vcc_hi, v1
	v_xor_b32_e32 v9, vcc_lo, v1
	v_and_b32_e32 v1, v0, v8
	v_and_b32_e32 v0, v17, v9
	v_mbcnt_lo_u32_b32 v8, v0, 0
	v_mbcnt_hi_u32_b32 v16, v1, v8
	v_cmp_eq_u32_e32 vcc, 0, v16
	v_cmp_ne_u64_e64 s[0:1], 0, v[0:1]
	s_and_b64 s[4:5], s[0:1], vcc
	; wave barrier
	s_and_saveexec_b64 s[0:1], s[4:5]
	s_cbranch_execz .LBB1883_209
; %bb.208:
	v_bcnt_u32_b32 v0, v0, 0
	v_bcnt_u32_b32 v0, v1, v0
	s_waitcnt lgkmcnt(0)
	v_add_u32_e32 v0, v13, v0
	ds_write_b32 v21, v0 offset:64
.LBB1883_209:
	s_or_b64 exec, exec, s[0:1]
	s_waitcnt vmcnt(13)
	v_xor_b32_e32 v7, 0x7fffffff, v7
	v_lshrrev_b32_e32 v0, s64, v7
	v_and_b32_e32 v20, s14, v0
	s_movk_i32 s4, 0x44
	v_mul_lo_u32 v0, v20, s4
	v_lshl_add_u32 v26, v28, 2, v0
	v_and_b32_e32 v0, 1, v20
	v_mov_b32_e32 v1, 0
	v_lshl_add_u64 v[8:9], v[0:1], 0, -1
	v_cmp_ne_u32_e32 vcc, 0, v0
	; wave barrier
	s_nop 1
	v_xor_b32_e32 v8, vcc_lo, v8
	v_xor_b32_e32 v0, vcc_hi, v9
	v_and_b32_e32 v22, exec_lo, v8
	v_lshlrev_b32_e32 v9, 30, v20
	v_mov_b32_e32 v8, v1
	v_cmp_gt_i64_e32 vcc, 0, v[8:9]
	v_not_b32_e32 v8, v9
	v_ashrrev_i32_e32 v8, 31, v8
	v_and_b32_e32 v0, exec_hi, v0
	v_xor_b32_e32 v9, vcc_hi, v8
	v_xor_b32_e32 v8, vcc_lo, v8
	v_and_b32_e32 v0, v0, v9
	v_and_b32_e32 v22, v22, v8
	v_lshlrev_b32_e32 v9, 29, v20
	v_mov_b32_e32 v8, v1
	v_cmp_gt_i64_e32 vcc, 0, v[8:9]
	v_not_b32_e32 v8, v9
	v_ashrrev_i32_e32 v8, 31, v8
	v_xor_b32_e32 v9, vcc_hi, v8
	v_xor_b32_e32 v8, vcc_lo, v8
	v_and_b32_e32 v0, v0, v9
	v_and_b32_e32 v22, v22, v8
	v_lshlrev_b32_e32 v9, 28, v20
	v_mov_b32_e32 v8, v1
	v_cmp_gt_i64_e32 vcc, 0, v[8:9]
	v_not_b32_e32 v8, v9
	v_ashrrev_i32_e32 v8, 31, v8
	;; [unrolled: 9-line block ×6, first 2 shown]
	v_xor_b32_e32 v9, vcc_hi, v8
	v_xor_b32_e32 v8, vcc_lo, v8
	ds_read_b32 v17, v26 offset:64
	v_and_b32_e32 v8, v22, v8
	v_and_b32_e32 v9, v0, v9
	v_mbcnt_lo_u32_b32 v0, v8, 0
	v_mbcnt_hi_u32_b32 v20, v9, v0
	v_cmp_eq_u32_e32 vcc, 0, v20
	v_cmp_ne_u64_e64 s[0:1], 0, v[8:9]
	s_and_b64 s[6:7], s[0:1], vcc
	; wave barrier
	s_and_saveexec_b64 s[0:1], s[6:7]
	s_cbranch_execz .LBB1883_211
; %bb.210:
	v_bcnt_u32_b32 v0, v8, 0
	v_bcnt_u32_b32 v0, v9, v0
	s_waitcnt lgkmcnt(0)
	v_add_u32_e32 v0, v17, v0
	ds_write_b32 v26, v0 offset:64
.LBB1883_211:
	s_or_b64 exec, exec, s[0:1]
	s_waitcnt vmcnt(12)
	v_xor_b32_e32 v12, 0x7fffffff, v12
	v_lshrrev_b32_e32 v0, s64, v12
	v_and_b32_e32 v24, s14, v0
	v_mul_lo_u32 v0, v24, s4
	v_lshl_add_u32 v32, v28, 2, v0
	v_and_b32_e32 v0, 1, v24
	v_lshl_add_u64 v[8:9], v[0:1], 0, -1
	v_cmp_ne_u32_e32 vcc, 0, v0
	; wave barrier
	s_nop 1
	v_xor_b32_e32 v8, vcc_lo, v8
	v_xor_b32_e32 v0, vcc_hi, v9
	v_and_b32_e32 v27, exec_lo, v8
	v_lshlrev_b32_e32 v9, 30, v24
	v_mov_b32_e32 v8, v1
	v_cmp_gt_i64_e32 vcc, 0, v[8:9]
	v_not_b32_e32 v8, v9
	v_ashrrev_i32_e32 v8, 31, v8
	v_and_b32_e32 v0, exec_hi, v0
	v_xor_b32_e32 v9, vcc_hi, v8
	v_xor_b32_e32 v8, vcc_lo, v8
	v_and_b32_e32 v0, v0, v9
	v_and_b32_e32 v27, v27, v8
	v_lshlrev_b32_e32 v9, 29, v24
	v_mov_b32_e32 v8, v1
	v_cmp_gt_i64_e32 vcc, 0, v[8:9]
	v_not_b32_e32 v8, v9
	v_ashrrev_i32_e32 v8, 31, v8
	v_xor_b32_e32 v9, vcc_hi, v8
	v_xor_b32_e32 v8, vcc_lo, v8
	v_and_b32_e32 v0, v0, v9
	v_and_b32_e32 v27, v27, v8
	v_lshlrev_b32_e32 v9, 28, v24
	v_mov_b32_e32 v8, v1
	v_cmp_gt_i64_e32 vcc, 0, v[8:9]
	v_not_b32_e32 v8, v9
	v_ashrrev_i32_e32 v8, 31, v8
	v_xor_b32_e32 v9, vcc_hi, v8
	v_xor_b32_e32 v8, vcc_lo, v8
	v_and_b32_e32 v0, v0, v9
	v_and_b32_e32 v27, v27, v8
	v_lshlrev_b32_e32 v9, 27, v24
	v_mov_b32_e32 v8, v1
	v_cmp_gt_i64_e32 vcc, 0, v[8:9]
	v_not_b32_e32 v8, v9
	v_ashrrev_i32_e32 v8, 31, v8
	v_xor_b32_e32 v9, vcc_hi, v8
	v_xor_b32_e32 v8, vcc_lo, v8
	v_and_b32_e32 v0, v0, v9
	v_and_b32_e32 v27, v27, v8
	v_lshlrev_b32_e32 v9, 26, v24
	v_mov_b32_e32 v8, v1
	v_cmp_gt_i64_e32 vcc, 0, v[8:9]
	v_not_b32_e32 v8, v9
	v_ashrrev_i32_e32 v8, 31, v8
	v_xor_b32_e32 v9, vcc_hi, v8
	v_xor_b32_e32 v8, vcc_lo, v8
	v_and_b32_e32 v0, v0, v9
	v_and_b32_e32 v27, v27, v8
	v_lshlrev_b32_e32 v9, 25, v24
	v_mov_b32_e32 v8, v1
	v_cmp_gt_i64_e32 vcc, 0, v[8:9]
	v_not_b32_e32 v8, v9
	v_ashrrev_i32_e32 v8, 31, v8
	v_xor_b32_e32 v9, vcc_hi, v8
	v_xor_b32_e32 v8, vcc_lo, v8
	v_and_b32_e32 v0, v0, v9
	v_lshlrev_b32_e32 v9, 24, v24
	v_and_b32_e32 v27, v27, v8
	v_mov_b32_e32 v8, v1
	v_not_b32_e32 v1, v9
	v_cmp_gt_i64_e32 vcc, 0, v[8:9]
	v_ashrrev_i32_e32 v1, 31, v1
	ds_read_b32 v22, v32 offset:64
	v_xor_b32_e32 v8, vcc_hi, v1
	v_xor_b32_e32 v9, vcc_lo, v1
	v_and_b32_e32 v1, v0, v8
	v_and_b32_e32 v0, v27, v9
	v_mbcnt_lo_u32_b32 v8, v0, 0
	v_mbcnt_hi_u32_b32 v24, v1, v8
	v_cmp_eq_u32_e32 vcc, 0, v24
	v_cmp_ne_u64_e64 s[0:1], 0, v[0:1]
	s_and_b64 s[4:5], s[0:1], vcc
	; wave barrier
	s_and_saveexec_b64 s[0:1], s[4:5]
	s_cbranch_execz .LBB1883_213
; %bb.212:
	v_bcnt_u32_b32 v0, v0, 0
	v_bcnt_u32_b32 v0, v1, v0
	s_waitcnt lgkmcnt(0)
	v_add_u32_e32 v0, v22, v0
	ds_write_b32 v32, v0 offset:64
.LBB1883_213:
	s_or_b64 exec, exec, s[0:1]
	s_waitcnt vmcnt(11)
	v_xor_b32_e32 v15, 0x7fffffff, v15
	v_lshrrev_b32_e32 v0, s64, v15
	v_and_b32_e32 v30, s14, v0
	s_movk_i32 s4, 0x44
	v_mul_lo_u32 v0, v30, s4
	v_lshl_add_u32 v37, v28, 2, v0
	v_and_b32_e32 v0, 1, v30
	v_mov_b32_e32 v1, 0
	v_lshl_add_u64 v[8:9], v[0:1], 0, -1
	v_cmp_ne_u32_e32 vcc, 0, v0
	; wave barrier
	s_nop 1
	v_xor_b32_e32 v8, vcc_lo, v8
	v_xor_b32_e32 v0, vcc_hi, v9
	v_and_b32_e32 v33, exec_lo, v8
	v_lshlrev_b32_e32 v9, 30, v30
	v_mov_b32_e32 v8, v1
	v_cmp_gt_i64_e32 vcc, 0, v[8:9]
	v_not_b32_e32 v8, v9
	v_ashrrev_i32_e32 v8, 31, v8
	v_and_b32_e32 v0, exec_hi, v0
	v_xor_b32_e32 v9, vcc_hi, v8
	v_xor_b32_e32 v8, vcc_lo, v8
	v_and_b32_e32 v0, v0, v9
	v_and_b32_e32 v33, v33, v8
	v_lshlrev_b32_e32 v9, 29, v30
	v_mov_b32_e32 v8, v1
	v_cmp_gt_i64_e32 vcc, 0, v[8:9]
	v_not_b32_e32 v8, v9
	v_ashrrev_i32_e32 v8, 31, v8
	v_xor_b32_e32 v9, vcc_hi, v8
	v_xor_b32_e32 v8, vcc_lo, v8
	v_and_b32_e32 v0, v0, v9
	v_and_b32_e32 v33, v33, v8
	v_lshlrev_b32_e32 v9, 28, v30
	v_mov_b32_e32 v8, v1
	v_cmp_gt_i64_e32 vcc, 0, v[8:9]
	v_not_b32_e32 v8, v9
	v_ashrrev_i32_e32 v8, 31, v8
	;; [unrolled: 9-line block ×6, first 2 shown]
	v_xor_b32_e32 v9, vcc_hi, v8
	v_xor_b32_e32 v8, vcc_lo, v8
	ds_read_b32 v27, v37 offset:64
	v_and_b32_e32 v8, v33, v8
	v_and_b32_e32 v9, v0, v9
	v_mbcnt_lo_u32_b32 v0, v8, 0
	v_mbcnt_hi_u32_b32 v30, v9, v0
	v_cmp_eq_u32_e32 vcc, 0, v30
	v_cmp_ne_u64_e64 s[0:1], 0, v[8:9]
	s_and_b64 s[6:7], s[0:1], vcc
	; wave barrier
	s_and_saveexec_b64 s[0:1], s[6:7]
	s_cbranch_execz .LBB1883_215
; %bb.214:
	v_bcnt_u32_b32 v0, v8, 0
	v_bcnt_u32_b32 v0, v9, v0
	s_waitcnt lgkmcnt(0)
	v_add_u32_e32 v0, v27, v0
	ds_write_b32 v37, v0 offset:64
.LBB1883_215:
	s_or_b64 exec, exec, s[0:1]
	s_waitcnt vmcnt(10)
	v_xor_b32_e32 v19, 0x7fffffff, v19
	v_lshrrev_b32_e32 v0, s64, v19
	v_and_b32_e32 v35, s14, v0
	v_mul_lo_u32 v0, v35, s4
	v_lshl_add_u32 v41, v28, 2, v0
	v_and_b32_e32 v0, 1, v35
	v_lshl_add_u64 v[8:9], v[0:1], 0, -1
	v_cmp_ne_u32_e32 vcc, 0, v0
	; wave barrier
	s_nop 1
	v_xor_b32_e32 v8, vcc_lo, v8
	v_xor_b32_e32 v0, vcc_hi, v9
	v_and_b32_e32 v38, exec_lo, v8
	v_lshlrev_b32_e32 v9, 30, v35
	v_mov_b32_e32 v8, v1
	v_cmp_gt_i64_e32 vcc, 0, v[8:9]
	v_not_b32_e32 v8, v9
	v_ashrrev_i32_e32 v8, 31, v8
	v_and_b32_e32 v0, exec_hi, v0
	v_xor_b32_e32 v9, vcc_hi, v8
	v_xor_b32_e32 v8, vcc_lo, v8
	v_and_b32_e32 v0, v0, v9
	v_and_b32_e32 v38, v38, v8
	v_lshlrev_b32_e32 v9, 29, v35
	v_mov_b32_e32 v8, v1
	v_cmp_gt_i64_e32 vcc, 0, v[8:9]
	v_not_b32_e32 v8, v9
	v_ashrrev_i32_e32 v8, 31, v8
	v_xor_b32_e32 v9, vcc_hi, v8
	v_xor_b32_e32 v8, vcc_lo, v8
	v_and_b32_e32 v0, v0, v9
	v_and_b32_e32 v38, v38, v8
	v_lshlrev_b32_e32 v9, 28, v35
	v_mov_b32_e32 v8, v1
	v_cmp_gt_i64_e32 vcc, 0, v[8:9]
	v_not_b32_e32 v8, v9
	v_ashrrev_i32_e32 v8, 31, v8
	;; [unrolled: 9-line block ×5, first 2 shown]
	v_xor_b32_e32 v9, vcc_hi, v8
	v_xor_b32_e32 v8, vcc_lo, v8
	v_and_b32_e32 v0, v0, v9
	v_lshlrev_b32_e32 v9, 24, v35
	v_and_b32_e32 v38, v38, v8
	v_mov_b32_e32 v8, v1
	v_not_b32_e32 v1, v9
	v_cmp_gt_i64_e32 vcc, 0, v[8:9]
	v_ashrrev_i32_e32 v1, 31, v1
	ds_read_b32 v33, v41 offset:64
	v_xor_b32_e32 v8, vcc_hi, v1
	v_xor_b32_e32 v9, vcc_lo, v1
	v_and_b32_e32 v1, v0, v8
	v_and_b32_e32 v0, v38, v9
	v_mbcnt_lo_u32_b32 v8, v0, 0
	v_mbcnt_hi_u32_b32 v35, v1, v8
	v_cmp_eq_u32_e32 vcc, 0, v35
	v_cmp_ne_u64_e64 s[0:1], 0, v[0:1]
	s_and_b64 s[4:5], s[0:1], vcc
	; wave barrier
	s_and_saveexec_b64 s[0:1], s[4:5]
	s_cbranch_execz .LBB1883_217
; %bb.216:
	v_bcnt_u32_b32 v0, v0, 0
	v_bcnt_u32_b32 v0, v1, v0
	s_waitcnt lgkmcnt(0)
	v_add_u32_e32 v0, v33, v0
	ds_write_b32 v41, v0 offset:64
.LBB1883_217:
	s_or_b64 exec, exec, s[0:1]
	s_waitcnt vmcnt(9)
	v_xor_b32_e32 v23, 0x7fffffff, v23
	v_lshrrev_b32_e32 v0, s64, v23
	v_and_b32_e32 v42, s14, v0
	s_movk_i32 s4, 0x44
	v_mul_lo_u32 v0, v42, s4
	v_lshl_add_u32 v46, v28, 2, v0
	v_and_b32_e32 v0, 1, v42
	v_mov_b32_e32 v1, 0
	v_lshl_add_u64 v[8:9], v[0:1], 0, -1
	v_cmp_ne_u32_e32 vcc, 0, v0
	; wave barrier
	s_nop 1
	v_xor_b32_e32 v8, vcc_lo, v8
	v_xor_b32_e32 v0, vcc_hi, v9
	v_and_b32_e32 v43, exec_lo, v8
	v_lshlrev_b32_e32 v9, 30, v42
	v_mov_b32_e32 v8, v1
	v_cmp_gt_i64_e32 vcc, 0, v[8:9]
	v_not_b32_e32 v8, v9
	v_ashrrev_i32_e32 v8, 31, v8
	v_and_b32_e32 v0, exec_hi, v0
	v_xor_b32_e32 v9, vcc_hi, v8
	v_xor_b32_e32 v8, vcc_lo, v8
	v_and_b32_e32 v0, v0, v9
	v_and_b32_e32 v43, v43, v8
	v_lshlrev_b32_e32 v9, 29, v42
	v_mov_b32_e32 v8, v1
	v_cmp_gt_i64_e32 vcc, 0, v[8:9]
	v_not_b32_e32 v8, v9
	v_ashrrev_i32_e32 v8, 31, v8
	v_xor_b32_e32 v9, vcc_hi, v8
	v_xor_b32_e32 v8, vcc_lo, v8
	v_and_b32_e32 v0, v0, v9
	v_and_b32_e32 v43, v43, v8
	v_lshlrev_b32_e32 v9, 28, v42
	v_mov_b32_e32 v8, v1
	v_cmp_gt_i64_e32 vcc, 0, v[8:9]
	v_not_b32_e32 v8, v9
	v_ashrrev_i32_e32 v8, 31, v8
	;; [unrolled: 9-line block ×6, first 2 shown]
	v_xor_b32_e32 v9, vcc_hi, v8
	v_xor_b32_e32 v8, vcc_lo, v8
	ds_read_b32 v38, v46 offset:64
	v_and_b32_e32 v8, v43, v8
	v_and_b32_e32 v9, v0, v9
	v_mbcnt_lo_u32_b32 v0, v8, 0
	v_mbcnt_hi_u32_b32 v42, v9, v0
	v_cmp_eq_u32_e32 vcc, 0, v42
	v_cmp_ne_u64_e64 s[0:1], 0, v[8:9]
	s_and_b64 s[6:7], s[0:1], vcc
	; wave barrier
	s_and_saveexec_b64 s[0:1], s[6:7]
	s_cbranch_execz .LBB1883_219
; %bb.218:
	v_bcnt_u32_b32 v0, v8, 0
	v_bcnt_u32_b32 v0, v9, v0
	s_waitcnt lgkmcnt(0)
	v_add_u32_e32 v0, v38, v0
	ds_write_b32 v46, v0 offset:64
.LBB1883_219:
	s_or_b64 exec, exec, s[0:1]
	s_waitcnt vmcnt(8)
	v_xor_b32_e32 v29, 0x7fffffff, v29
	v_lshrrev_b32_e32 v0, s64, v29
	v_and_b32_e32 v47, s14, v0
	v_mul_lo_u32 v0, v47, s4
	v_lshl_add_u32 v49, v28, 2, v0
	v_and_b32_e32 v0, 1, v47
	v_lshl_add_u64 v[8:9], v[0:1], 0, -1
	v_cmp_ne_u32_e32 vcc, 0, v0
	; wave barrier
	s_nop 1
	v_xor_b32_e32 v8, vcc_lo, v8
	v_xor_b32_e32 v0, vcc_hi, v9
	v_and_b32_e32 v48, exec_lo, v8
	v_lshlrev_b32_e32 v9, 30, v47
	v_mov_b32_e32 v8, v1
	v_cmp_gt_i64_e32 vcc, 0, v[8:9]
	v_not_b32_e32 v8, v9
	v_ashrrev_i32_e32 v8, 31, v8
	v_and_b32_e32 v0, exec_hi, v0
	v_xor_b32_e32 v9, vcc_hi, v8
	v_xor_b32_e32 v8, vcc_lo, v8
	v_and_b32_e32 v0, v0, v9
	v_and_b32_e32 v48, v48, v8
	v_lshlrev_b32_e32 v9, 29, v47
	v_mov_b32_e32 v8, v1
	v_cmp_gt_i64_e32 vcc, 0, v[8:9]
	v_not_b32_e32 v8, v9
	v_ashrrev_i32_e32 v8, 31, v8
	v_xor_b32_e32 v9, vcc_hi, v8
	v_xor_b32_e32 v8, vcc_lo, v8
	v_and_b32_e32 v0, v0, v9
	v_and_b32_e32 v48, v48, v8
	v_lshlrev_b32_e32 v9, 28, v47
	v_mov_b32_e32 v8, v1
	v_cmp_gt_i64_e32 vcc, 0, v[8:9]
	v_not_b32_e32 v8, v9
	v_ashrrev_i32_e32 v8, 31, v8
	;; [unrolled: 9-line block ×5, first 2 shown]
	v_xor_b32_e32 v9, vcc_hi, v8
	v_xor_b32_e32 v8, vcc_lo, v8
	v_and_b32_e32 v0, v0, v9
	v_lshlrev_b32_e32 v9, 24, v47
	v_and_b32_e32 v48, v48, v8
	v_mov_b32_e32 v8, v1
	v_not_b32_e32 v1, v9
	v_cmp_gt_i64_e32 vcc, 0, v[8:9]
	v_ashrrev_i32_e32 v1, 31, v1
	ds_read_b32 v43, v49 offset:64
	v_xor_b32_e32 v8, vcc_hi, v1
	v_xor_b32_e32 v9, vcc_lo, v1
	v_and_b32_e32 v1, v0, v8
	v_and_b32_e32 v0, v48, v9
	v_mbcnt_lo_u32_b32 v8, v0, 0
	v_mbcnt_hi_u32_b32 v47, v1, v8
	v_cmp_eq_u32_e32 vcc, 0, v47
	v_cmp_ne_u64_e64 s[0:1], 0, v[0:1]
	s_and_b64 s[4:5], s[0:1], vcc
	; wave barrier
	s_and_saveexec_b64 s[0:1], s[4:5]
	s_cbranch_execz .LBB1883_221
; %bb.220:
	v_bcnt_u32_b32 v0, v0, 0
	v_bcnt_u32_b32 v0, v1, v0
	s_waitcnt lgkmcnt(0)
	v_add_u32_e32 v0, v43, v0
	ds_write_b32 v49, v0 offset:64
.LBB1883_221:
	s_or_b64 exec, exec, s[0:1]
	s_waitcnt vmcnt(7)
	v_xor_b32_e32 v34, 0x7fffffff, v34
	v_lshrrev_b32_e32 v0, s64, v34
	v_and_b32_e32 v50, s14, v0
	s_movk_i32 s4, 0x44
	v_mul_lo_u32 v0, v50, s4
	v_lshl_add_u32 v52, v28, 2, v0
	v_and_b32_e32 v0, 1, v50
	v_mov_b32_e32 v1, 0
	v_lshl_add_u64 v[8:9], v[0:1], 0, -1
	v_cmp_ne_u32_e32 vcc, 0, v0
	; wave barrier
	s_nop 1
	v_xor_b32_e32 v8, vcc_lo, v8
	v_xor_b32_e32 v0, vcc_hi, v9
	v_and_b32_e32 v51, exec_lo, v8
	v_lshlrev_b32_e32 v9, 30, v50
	v_mov_b32_e32 v8, v1
	v_cmp_gt_i64_e32 vcc, 0, v[8:9]
	v_not_b32_e32 v8, v9
	v_ashrrev_i32_e32 v8, 31, v8
	v_and_b32_e32 v0, exec_hi, v0
	v_xor_b32_e32 v9, vcc_hi, v8
	v_xor_b32_e32 v8, vcc_lo, v8
	v_and_b32_e32 v0, v0, v9
	v_and_b32_e32 v51, v51, v8
	v_lshlrev_b32_e32 v9, 29, v50
	v_mov_b32_e32 v8, v1
	v_cmp_gt_i64_e32 vcc, 0, v[8:9]
	v_not_b32_e32 v8, v9
	v_ashrrev_i32_e32 v8, 31, v8
	v_xor_b32_e32 v9, vcc_hi, v8
	v_xor_b32_e32 v8, vcc_lo, v8
	v_and_b32_e32 v0, v0, v9
	v_and_b32_e32 v51, v51, v8
	v_lshlrev_b32_e32 v9, 28, v50
	v_mov_b32_e32 v8, v1
	v_cmp_gt_i64_e32 vcc, 0, v[8:9]
	v_not_b32_e32 v8, v9
	v_ashrrev_i32_e32 v8, 31, v8
	;; [unrolled: 9-line block ×6, first 2 shown]
	v_xor_b32_e32 v9, vcc_hi, v8
	v_xor_b32_e32 v8, vcc_lo, v8
	ds_read_b32 v48, v52 offset:64
	v_and_b32_e32 v8, v51, v8
	v_and_b32_e32 v9, v0, v9
	v_mbcnt_lo_u32_b32 v0, v8, 0
	v_mbcnt_hi_u32_b32 v50, v9, v0
	v_cmp_eq_u32_e32 vcc, 0, v50
	v_cmp_ne_u64_e64 s[0:1], 0, v[8:9]
	s_and_b64 s[6:7], s[0:1], vcc
	; wave barrier
	s_and_saveexec_b64 s[0:1], s[6:7]
	s_cbranch_execz .LBB1883_223
; %bb.222:
	v_bcnt_u32_b32 v0, v8, 0
	v_bcnt_u32_b32 v0, v9, v0
	s_waitcnt lgkmcnt(0)
	v_add_u32_e32 v0, v48, v0
	ds_write_b32 v52, v0 offset:64
.LBB1883_223:
	s_or_b64 exec, exec, s[0:1]
	s_waitcnt vmcnt(6)
	v_xor_b32_e32 v39, 0x7fffffff, v39
	v_lshrrev_b32_e32 v0, s64, v39
	v_and_b32_e32 v53, s14, v0
	v_mul_lo_u32 v0, v53, s4
	v_lshl_add_u32 v55, v28, 2, v0
	v_and_b32_e32 v0, 1, v53
	v_lshl_add_u64 v[8:9], v[0:1], 0, -1
	v_cmp_ne_u32_e32 vcc, 0, v0
	; wave barrier
	s_nop 1
	v_xor_b32_e32 v8, vcc_lo, v8
	v_xor_b32_e32 v0, vcc_hi, v9
	v_and_b32_e32 v54, exec_lo, v8
	v_lshlrev_b32_e32 v9, 30, v53
	v_mov_b32_e32 v8, v1
	v_cmp_gt_i64_e32 vcc, 0, v[8:9]
	v_not_b32_e32 v8, v9
	v_ashrrev_i32_e32 v8, 31, v8
	v_and_b32_e32 v0, exec_hi, v0
	v_xor_b32_e32 v9, vcc_hi, v8
	v_xor_b32_e32 v8, vcc_lo, v8
	v_and_b32_e32 v0, v0, v9
	v_and_b32_e32 v54, v54, v8
	v_lshlrev_b32_e32 v9, 29, v53
	v_mov_b32_e32 v8, v1
	v_cmp_gt_i64_e32 vcc, 0, v[8:9]
	v_not_b32_e32 v8, v9
	v_ashrrev_i32_e32 v8, 31, v8
	v_xor_b32_e32 v9, vcc_hi, v8
	v_xor_b32_e32 v8, vcc_lo, v8
	v_and_b32_e32 v0, v0, v9
	v_and_b32_e32 v54, v54, v8
	v_lshlrev_b32_e32 v9, 28, v53
	v_mov_b32_e32 v8, v1
	v_cmp_gt_i64_e32 vcc, 0, v[8:9]
	v_not_b32_e32 v8, v9
	v_ashrrev_i32_e32 v8, 31, v8
	;; [unrolled: 9-line block ×5, first 2 shown]
	v_xor_b32_e32 v9, vcc_hi, v8
	v_xor_b32_e32 v8, vcc_lo, v8
	v_and_b32_e32 v0, v0, v9
	v_lshlrev_b32_e32 v9, 24, v53
	v_and_b32_e32 v54, v54, v8
	v_mov_b32_e32 v8, v1
	v_not_b32_e32 v1, v9
	v_cmp_gt_i64_e32 vcc, 0, v[8:9]
	v_ashrrev_i32_e32 v1, 31, v1
	ds_read_b32 v51, v55 offset:64
	v_xor_b32_e32 v8, vcc_hi, v1
	v_xor_b32_e32 v9, vcc_lo, v1
	v_and_b32_e32 v1, v0, v8
	v_and_b32_e32 v0, v54, v9
	v_mbcnt_lo_u32_b32 v8, v0, 0
	v_mbcnt_hi_u32_b32 v53, v1, v8
	v_cmp_eq_u32_e32 vcc, 0, v53
	v_cmp_ne_u64_e64 s[0:1], 0, v[0:1]
	s_and_b64 s[4:5], s[0:1], vcc
	; wave barrier
	s_and_saveexec_b64 s[0:1], s[4:5]
	s_cbranch_execz .LBB1883_225
; %bb.224:
	v_bcnt_u32_b32 v0, v0, 0
	v_bcnt_u32_b32 v0, v1, v0
	s_waitcnt lgkmcnt(0)
	v_add_u32_e32 v0, v51, v0
	ds_write_b32 v55, v0 offset:64
.LBB1883_225:
	s_or_b64 exec, exec, s[0:1]
	s_waitcnt vmcnt(5)
	v_xor_b32_e32 v44, 0x7fffffff, v44
	v_lshrrev_b32_e32 v0, s64, v44
	v_and_b32_e32 v56, s14, v0
	s_movk_i32 s4, 0x44
	v_mul_lo_u32 v0, v56, s4
	v_lshl_add_u32 v58, v28, 2, v0
	v_and_b32_e32 v0, 1, v56
	v_mov_b32_e32 v1, 0
	v_lshl_add_u64 v[8:9], v[0:1], 0, -1
	v_cmp_ne_u32_e32 vcc, 0, v0
	; wave barrier
	s_nop 1
	v_xor_b32_e32 v8, vcc_lo, v8
	v_xor_b32_e32 v0, vcc_hi, v9
	v_and_b32_e32 v57, exec_lo, v8
	v_lshlrev_b32_e32 v9, 30, v56
	v_mov_b32_e32 v8, v1
	v_cmp_gt_i64_e32 vcc, 0, v[8:9]
	v_not_b32_e32 v8, v9
	v_ashrrev_i32_e32 v8, 31, v8
	v_and_b32_e32 v0, exec_hi, v0
	v_xor_b32_e32 v9, vcc_hi, v8
	v_xor_b32_e32 v8, vcc_lo, v8
	v_and_b32_e32 v0, v0, v9
	v_and_b32_e32 v57, v57, v8
	v_lshlrev_b32_e32 v9, 29, v56
	v_mov_b32_e32 v8, v1
	v_cmp_gt_i64_e32 vcc, 0, v[8:9]
	v_not_b32_e32 v8, v9
	v_ashrrev_i32_e32 v8, 31, v8
	v_xor_b32_e32 v9, vcc_hi, v8
	v_xor_b32_e32 v8, vcc_lo, v8
	v_and_b32_e32 v0, v0, v9
	v_and_b32_e32 v57, v57, v8
	v_lshlrev_b32_e32 v9, 28, v56
	v_mov_b32_e32 v8, v1
	v_cmp_gt_i64_e32 vcc, 0, v[8:9]
	v_not_b32_e32 v8, v9
	v_ashrrev_i32_e32 v8, 31, v8
	;; [unrolled: 9-line block ×6, first 2 shown]
	v_xor_b32_e32 v9, vcc_hi, v8
	v_xor_b32_e32 v8, vcc_lo, v8
	ds_read_b32 v54, v58 offset:64
	v_and_b32_e32 v8, v57, v8
	v_and_b32_e32 v9, v0, v9
	v_mbcnt_lo_u32_b32 v0, v8, 0
	v_mbcnt_hi_u32_b32 v56, v9, v0
	v_cmp_eq_u32_e32 vcc, 0, v56
	v_cmp_ne_u64_e64 s[0:1], 0, v[8:9]
	s_and_b64 s[6:7], s[0:1], vcc
	; wave barrier
	s_and_saveexec_b64 s[0:1], s[6:7]
	s_cbranch_execz .LBB1883_227
; %bb.226:
	v_bcnt_u32_b32 v0, v8, 0
	v_bcnt_u32_b32 v0, v9, v0
	s_waitcnt lgkmcnt(0)
	v_add_u32_e32 v0, v54, v0
	ds_write_b32 v58, v0 offset:64
.LBB1883_227:
	s_or_b64 exec, exec, s[0:1]
	s_waitcnt vmcnt(4)
	v_xor_b32_e32 v45, 0x7fffffff, v45
	v_lshrrev_b32_e32 v0, s64, v45
	v_and_b32_e32 v59, s14, v0
	v_mul_lo_u32 v0, v59, s4
	v_lshl_add_u32 v62, v28, 2, v0
	v_and_b32_e32 v0, 1, v59
	v_lshl_add_u64 v[8:9], v[0:1], 0, -1
	v_cmp_ne_u32_e32 vcc, 0, v0
	; wave barrier
	s_nop 1
	v_xor_b32_e32 v8, vcc_lo, v8
	v_xor_b32_e32 v0, vcc_hi, v9
	v_and_b32_e32 v60, exec_lo, v8
	v_lshlrev_b32_e32 v9, 30, v59
	v_mov_b32_e32 v8, v1
	v_cmp_gt_i64_e32 vcc, 0, v[8:9]
	v_not_b32_e32 v8, v9
	v_ashrrev_i32_e32 v8, 31, v8
	v_and_b32_e32 v0, exec_hi, v0
	v_xor_b32_e32 v9, vcc_hi, v8
	v_xor_b32_e32 v8, vcc_lo, v8
	v_and_b32_e32 v0, v0, v9
	v_and_b32_e32 v60, v60, v8
	v_lshlrev_b32_e32 v9, 29, v59
	v_mov_b32_e32 v8, v1
	v_cmp_gt_i64_e32 vcc, 0, v[8:9]
	v_not_b32_e32 v8, v9
	v_ashrrev_i32_e32 v8, 31, v8
	v_xor_b32_e32 v9, vcc_hi, v8
	v_xor_b32_e32 v8, vcc_lo, v8
	v_and_b32_e32 v0, v0, v9
	v_and_b32_e32 v60, v60, v8
	v_lshlrev_b32_e32 v9, 28, v59
	v_mov_b32_e32 v8, v1
	v_cmp_gt_i64_e32 vcc, 0, v[8:9]
	v_not_b32_e32 v8, v9
	v_ashrrev_i32_e32 v8, 31, v8
	;; [unrolled: 9-line block ×5, first 2 shown]
	v_xor_b32_e32 v9, vcc_hi, v8
	v_xor_b32_e32 v8, vcc_lo, v8
	v_and_b32_e32 v0, v0, v9
	v_lshlrev_b32_e32 v9, 24, v59
	v_and_b32_e32 v60, v60, v8
	v_mov_b32_e32 v8, v1
	v_not_b32_e32 v1, v9
	v_cmp_gt_i64_e32 vcc, 0, v[8:9]
	v_ashrrev_i32_e32 v1, 31, v1
	ds_read_b32 v57, v62 offset:64
	v_xor_b32_e32 v8, vcc_hi, v1
	v_xor_b32_e32 v9, vcc_lo, v1
	v_and_b32_e32 v1, v0, v8
	v_and_b32_e32 v0, v60, v9
	v_mbcnt_lo_u32_b32 v8, v0, 0
	v_mbcnt_hi_u32_b32 v59, v1, v8
	v_cmp_eq_u32_e32 vcc, 0, v59
	v_cmp_ne_u64_e64 s[0:1], 0, v[0:1]
	s_and_b64 s[4:5], s[0:1], vcc
	; wave barrier
	s_and_saveexec_b64 s[0:1], s[4:5]
	s_cbranch_execz .LBB1883_229
; %bb.228:
	v_bcnt_u32_b32 v0, v0, 0
	v_bcnt_u32_b32 v0, v1, v0
	s_waitcnt lgkmcnt(0)
	v_add_u32_e32 v0, v57, v0
	ds_write_b32 v62, v0 offset:64
.LBB1883_229:
	s_or_b64 exec, exec, s[0:1]
	s_waitcnt vmcnt(3)
	v_xor_b32_e32 v40, 0x7fffffff, v40
	v_lshrrev_b32_e32 v0, s64, v40
	v_and_b32_e32 v61, s14, v0
	s_movk_i32 s4, 0x44
	v_mul_lo_u32 v0, v61, s4
	v_lshl_add_u32 v65, v28, 2, v0
	v_and_b32_e32 v0, 1, v61
	v_mov_b32_e32 v1, 0
	v_lshl_add_u64 v[8:9], v[0:1], 0, -1
	v_cmp_ne_u32_e32 vcc, 0, v0
	; wave barrier
	s_nop 1
	v_xor_b32_e32 v8, vcc_lo, v8
	v_xor_b32_e32 v0, vcc_hi, v9
	v_and_b32_e32 v63, exec_lo, v8
	v_lshlrev_b32_e32 v9, 30, v61
	v_mov_b32_e32 v8, v1
	v_cmp_gt_i64_e32 vcc, 0, v[8:9]
	v_not_b32_e32 v8, v9
	v_ashrrev_i32_e32 v8, 31, v8
	v_and_b32_e32 v0, exec_hi, v0
	v_xor_b32_e32 v9, vcc_hi, v8
	v_xor_b32_e32 v8, vcc_lo, v8
	v_and_b32_e32 v0, v0, v9
	v_and_b32_e32 v63, v63, v8
	v_lshlrev_b32_e32 v9, 29, v61
	v_mov_b32_e32 v8, v1
	v_cmp_gt_i64_e32 vcc, 0, v[8:9]
	v_not_b32_e32 v8, v9
	v_ashrrev_i32_e32 v8, 31, v8
	v_xor_b32_e32 v9, vcc_hi, v8
	v_xor_b32_e32 v8, vcc_lo, v8
	v_and_b32_e32 v0, v0, v9
	v_and_b32_e32 v63, v63, v8
	v_lshlrev_b32_e32 v9, 28, v61
	v_mov_b32_e32 v8, v1
	v_cmp_gt_i64_e32 vcc, 0, v[8:9]
	v_not_b32_e32 v8, v9
	v_ashrrev_i32_e32 v8, 31, v8
	;; [unrolled: 9-line block ×6, first 2 shown]
	v_xor_b32_e32 v9, vcc_hi, v8
	v_xor_b32_e32 v8, vcc_lo, v8
	ds_read_b32 v60, v65 offset:64
	v_and_b32_e32 v8, v63, v8
	v_and_b32_e32 v9, v0, v9
	v_mbcnt_lo_u32_b32 v0, v8, 0
	v_mbcnt_hi_u32_b32 v63, v9, v0
	v_cmp_eq_u32_e32 vcc, 0, v63
	v_cmp_ne_u64_e64 s[0:1], 0, v[8:9]
	s_and_b64 s[6:7], s[0:1], vcc
	; wave barrier
	s_and_saveexec_b64 s[0:1], s[6:7]
	s_cbranch_execz .LBB1883_231
; %bb.230:
	v_bcnt_u32_b32 v0, v8, 0
	v_bcnt_u32_b32 v0, v9, v0
	s_waitcnt lgkmcnt(0)
	v_add_u32_e32 v0, v60, v0
	ds_write_b32 v65, v0 offset:64
.LBB1883_231:
	s_or_b64 exec, exec, s[0:1]
	s_waitcnt vmcnt(2)
	v_xor_b32_e32 v36, 0x7fffffff, v36
	v_lshrrev_b32_e32 v0, s64, v36
	v_and_b32_e32 v61, s14, v0
	v_mul_lo_u32 v0, v61, s4
	v_lshl_add_u32 v68, v28, 2, v0
	v_and_b32_e32 v0, 1, v61
	v_lshl_add_u64 v[8:9], v[0:1], 0, -1
	v_cmp_ne_u32_e32 vcc, 0, v0
	; wave barrier
	s_nop 1
	v_xor_b32_e32 v8, vcc_lo, v8
	v_xor_b32_e32 v0, vcc_hi, v9
	v_and_b32_e32 v66, exec_lo, v8
	v_lshlrev_b32_e32 v9, 30, v61
	v_mov_b32_e32 v8, v1
	v_cmp_gt_i64_e32 vcc, 0, v[8:9]
	v_not_b32_e32 v8, v9
	v_ashrrev_i32_e32 v8, 31, v8
	v_and_b32_e32 v0, exec_hi, v0
	v_xor_b32_e32 v9, vcc_hi, v8
	v_xor_b32_e32 v8, vcc_lo, v8
	v_and_b32_e32 v0, v0, v9
	v_and_b32_e32 v66, v66, v8
	v_lshlrev_b32_e32 v9, 29, v61
	v_mov_b32_e32 v8, v1
	v_cmp_gt_i64_e32 vcc, 0, v[8:9]
	v_not_b32_e32 v8, v9
	v_ashrrev_i32_e32 v8, 31, v8
	v_xor_b32_e32 v9, vcc_hi, v8
	v_xor_b32_e32 v8, vcc_lo, v8
	v_and_b32_e32 v0, v0, v9
	v_and_b32_e32 v66, v66, v8
	v_lshlrev_b32_e32 v9, 28, v61
	v_mov_b32_e32 v8, v1
	v_cmp_gt_i64_e32 vcc, 0, v[8:9]
	v_not_b32_e32 v8, v9
	v_ashrrev_i32_e32 v8, 31, v8
	;; [unrolled: 9-line block ×5, first 2 shown]
	v_xor_b32_e32 v9, vcc_hi, v8
	v_xor_b32_e32 v8, vcc_lo, v8
	v_and_b32_e32 v0, v0, v9
	v_lshlrev_b32_e32 v9, 24, v61
	v_and_b32_e32 v66, v66, v8
	v_mov_b32_e32 v8, v1
	v_not_b32_e32 v1, v9
	v_cmp_gt_i64_e32 vcc, 0, v[8:9]
	v_ashrrev_i32_e32 v1, 31, v1
	ds_read_b32 v64, v68 offset:64
	v_xor_b32_e32 v8, vcc_hi, v1
	v_xor_b32_e32 v9, vcc_lo, v1
	v_and_b32_e32 v1, v0, v8
	v_and_b32_e32 v0, v66, v9
	v_mbcnt_lo_u32_b32 v8, v0, 0
	v_mbcnt_hi_u32_b32 v66, v1, v8
	v_cmp_eq_u32_e32 vcc, 0, v66
	v_cmp_ne_u64_e64 s[0:1], 0, v[0:1]
	s_and_b64 s[4:5], s[0:1], vcc
	; wave barrier
	s_and_saveexec_b64 s[0:1], s[4:5]
	s_cbranch_execz .LBB1883_233
; %bb.232:
	v_bcnt_u32_b32 v0, v0, 0
	v_bcnt_u32_b32 v0, v1, v0
	s_waitcnt lgkmcnt(0)
	v_add_u32_e32 v0, v64, v0
	ds_write_b32 v68, v0 offset:64
.LBB1883_233:
	s_or_b64 exec, exec, s[0:1]
	s_waitcnt vmcnt(1)
	v_xor_b32_e32 v31, 0x7fffffff, v31
	v_lshrrev_b32_e32 v0, s64, v31
	v_and_b32_e32 v61, s14, v0
	s_movk_i32 s4, 0x44
	v_mul_lo_u32 v0, v61, s4
	v_lshl_add_u32 v70, v28, 2, v0
	v_and_b32_e32 v0, 1, v61
	v_mov_b32_e32 v1, 0
	v_lshl_add_u64 v[8:9], v[0:1], 0, -1
	v_cmp_ne_u32_e32 vcc, 0, v0
	; wave barrier
	s_nop 1
	v_xor_b32_e32 v8, vcc_lo, v8
	v_xor_b32_e32 v0, vcc_hi, v9
	v_and_b32_e32 v69, exec_lo, v8
	v_lshlrev_b32_e32 v9, 30, v61
	v_mov_b32_e32 v8, v1
	v_cmp_gt_i64_e32 vcc, 0, v[8:9]
	v_not_b32_e32 v8, v9
	v_ashrrev_i32_e32 v8, 31, v8
	v_and_b32_e32 v0, exec_hi, v0
	v_xor_b32_e32 v9, vcc_hi, v8
	v_xor_b32_e32 v8, vcc_lo, v8
	v_and_b32_e32 v0, v0, v9
	v_and_b32_e32 v69, v69, v8
	v_lshlrev_b32_e32 v9, 29, v61
	v_mov_b32_e32 v8, v1
	v_cmp_gt_i64_e32 vcc, 0, v[8:9]
	v_not_b32_e32 v8, v9
	v_ashrrev_i32_e32 v8, 31, v8
	v_xor_b32_e32 v9, vcc_hi, v8
	v_xor_b32_e32 v8, vcc_lo, v8
	v_and_b32_e32 v0, v0, v9
	v_and_b32_e32 v69, v69, v8
	v_lshlrev_b32_e32 v9, 28, v61
	v_mov_b32_e32 v8, v1
	v_cmp_gt_i64_e32 vcc, 0, v[8:9]
	v_not_b32_e32 v8, v9
	v_ashrrev_i32_e32 v8, 31, v8
	;; [unrolled: 9-line block ×6, first 2 shown]
	v_xor_b32_e32 v9, vcc_hi, v8
	v_xor_b32_e32 v8, vcc_lo, v8
	ds_read_b32 v67, v70 offset:64
	v_and_b32_e32 v8, v69, v8
	v_and_b32_e32 v9, v0, v9
	v_mbcnt_lo_u32_b32 v0, v8, 0
	v_mbcnt_hi_u32_b32 v69, v9, v0
	v_cmp_eq_u32_e32 vcc, 0, v69
	v_cmp_ne_u64_e64 s[0:1], 0, v[8:9]
	s_and_b64 s[6:7], s[0:1], vcc
	; wave barrier
	s_and_saveexec_b64 s[0:1], s[6:7]
	s_cbranch_execz .LBB1883_235
; %bb.234:
	v_bcnt_u32_b32 v0, v8, 0
	v_bcnt_u32_b32 v0, v9, v0
	s_waitcnt lgkmcnt(0)
	v_add_u32_e32 v0, v67, v0
	ds_write_b32 v70, v0 offset:64
.LBB1883_235:
	s_or_b64 exec, exec, s[0:1]
	s_waitcnt vmcnt(0)
	v_xor_b32_e32 v61, 0x7fffffff, v25
	v_lshrrev_b32_e32 v0, s64, v61
	v_and_b32_e32 v25, s14, v0
	v_mul_lo_u32 v0, v25, s4
	v_lshl_add_u32 v72, v28, 2, v0
	v_and_b32_e32 v0, 1, v25
	v_lshl_add_u64 v[8:9], v[0:1], 0, -1
	v_cmp_ne_u32_e32 vcc, 0, v0
	; wave barrier
	s_nop 1
	v_xor_b32_e32 v8, vcc_lo, v8
	v_xor_b32_e32 v0, vcc_hi, v9
	v_and_b32_e32 v71, exec_lo, v8
	v_lshlrev_b32_e32 v9, 30, v25
	v_mov_b32_e32 v8, v1
	v_cmp_gt_i64_e32 vcc, 0, v[8:9]
	v_not_b32_e32 v8, v9
	v_ashrrev_i32_e32 v8, 31, v8
	v_and_b32_e32 v0, exec_hi, v0
	v_xor_b32_e32 v9, vcc_hi, v8
	v_xor_b32_e32 v8, vcc_lo, v8
	v_and_b32_e32 v0, v0, v9
	v_and_b32_e32 v71, v71, v8
	v_lshlrev_b32_e32 v9, 29, v25
	v_mov_b32_e32 v8, v1
	v_cmp_gt_i64_e32 vcc, 0, v[8:9]
	v_not_b32_e32 v8, v9
	v_ashrrev_i32_e32 v8, 31, v8
	v_xor_b32_e32 v9, vcc_hi, v8
	v_xor_b32_e32 v8, vcc_lo, v8
	v_and_b32_e32 v0, v0, v9
	v_and_b32_e32 v71, v71, v8
	v_lshlrev_b32_e32 v9, 28, v25
	v_mov_b32_e32 v8, v1
	v_cmp_gt_i64_e32 vcc, 0, v[8:9]
	v_not_b32_e32 v8, v9
	v_ashrrev_i32_e32 v8, 31, v8
	;; [unrolled: 9-line block ×5, first 2 shown]
	v_xor_b32_e32 v9, vcc_hi, v8
	v_xor_b32_e32 v8, vcc_lo, v8
	v_and_b32_e32 v0, v0, v9
	v_lshlrev_b32_e32 v9, 24, v25
	v_and_b32_e32 v71, v71, v8
	v_mov_b32_e32 v8, v1
	v_not_b32_e32 v1, v9
	v_cmp_gt_i64_e32 vcc, 0, v[8:9]
	v_ashrrev_i32_e32 v1, 31, v1
	ds_read_b32 v28, v72 offset:64
	v_xor_b32_e32 v8, vcc_hi, v1
	v_xor_b32_e32 v9, vcc_lo, v1
	v_and_b32_e32 v1, v0, v8
	v_and_b32_e32 v0, v71, v9
	v_mbcnt_lo_u32_b32 v8, v0, 0
	v_mbcnt_hi_u32_b32 v71, v1, v8
	v_cmp_eq_u32_e32 vcc, 0, v71
	v_cmp_ne_u64_e64 s[0:1], 0, v[0:1]
	s_and_b64 s[4:5], s[0:1], vcc
	; wave barrier
	s_and_saveexec_b64 s[0:1], s[4:5]
	s_cbranch_execz .LBB1883_237
; %bb.236:
	v_bcnt_u32_b32 v0, v0, 0
	v_bcnt_u32_b32 v0, v1, v0
	s_waitcnt lgkmcnt(0)
	v_add_u32_e32 v0, v28, v0
	ds_write_b32 v72, v0 offset:64
.LBB1883_237:
	s_or_b64 exec, exec, s[0:1]
	; wave barrier
	s_waitcnt lgkmcnt(0)
	s_barrier
	ds_read2_b32 v[8:9], v11 offset0:16 offset1:17
	ds_read2_b32 v[0:1], v11 offset0:18 offset1:19
	ds_read_b32 v25, v11 offset:80
	v_cmp_lt_u32_e64 s[8:9], 31, v10
	s_waitcnt lgkmcnt(1)
	v_add3_u32 v73, v9, v8, v0
	s_waitcnt lgkmcnt(0)
	v_add3_u32 v25, v73, v1, v25
	v_and_b32_e32 v73, 15, v10
	v_cmp_eq_u32_e32 vcc, 0, v73
	v_mov_b32_dpp v74, v25 row_shr:1 row_mask:0xf bank_mask:0xf
	v_cmp_lt_u32_e64 s[0:1], 1, v73
	v_cndmask_b32_e64 v74, v74, 0, vcc
	v_add_u32_e32 v25, v74, v25
	v_cmp_lt_u32_e64 s[6:7], 3, v73
	v_cmp_lt_u32_e64 s[4:5], 7, v73
	v_mov_b32_dpp v74, v25 row_shr:2 row_mask:0xf bank_mask:0xf
	v_cndmask_b32_e64 v74, 0, v74, s[0:1]
	v_add_u32_e32 v25, v25, v74
	s_nop 1
	v_mov_b32_dpp v74, v25 row_shr:4 row_mask:0xf bank_mask:0xf
	v_cndmask_b32_e64 v74, 0, v74, s[6:7]
	v_add_u32_e32 v25, v25, v74
	s_nop 1
	v_mov_b32_dpp v74, v25 row_shr:8 row_mask:0xf bank_mask:0xf
	v_cndmask_b32_e64 v73, 0, v74, s[4:5]
	v_add_u32_e32 v25, v25, v73
	v_bfe_i32 v74, v10, 4, 1
	s_nop 0
	v_mov_b32_dpp v73, v25 row_bcast:15 row_mask:0xf bank_mask:0xf
	v_and_b32_e32 v73, v74, v73
	v_add_u32_e32 v25, v25, v73
	v_lshrrev_b32_e32 v74, 6, v2
	s_nop 0
	v_mov_b32_dpp v73, v25 row_bcast:31 row_mask:0xf bank_mask:0xf
	v_cndmask_b32_e64 v73, 0, v73, s[8:9]
	v_add_u32_e32 v73, v25, v73
	v_and_b32_e32 v25, 63, v2
	v_cmp_eq_u32_e64 s[8:9], 63, v25
	s_and_saveexec_b64 s[12:13], s[8:9]
; %bb.238:
	v_lshlrev_b32_e32 v25, 2, v74
	ds_write_b32 v25, v73
; %bb.239:
	s_or_b64 exec, exec, s[12:13]
	v_cmp_gt_u32_e64 s[8:9], 16, v2
	v_lshlrev_b32_e32 v25, 2, v2
	s_waitcnt lgkmcnt(0)
	s_barrier
	s_and_saveexec_b64 s[12:13], s[8:9]
	s_cbranch_execz .LBB1883_241
; %bb.240:
	ds_read_b32 v75, v25
	s_waitcnt lgkmcnt(0)
	s_nop 0
	v_mov_b32_dpp v76, v75 row_shr:1 row_mask:0xf bank_mask:0xf
	v_cndmask_b32_e64 v76, v76, 0, vcc
	v_add_u32_e32 v75, v76, v75
	s_nop 1
	v_mov_b32_dpp v76, v75 row_shr:2 row_mask:0xf bank_mask:0xf
	v_cndmask_b32_e64 v76, 0, v76, s[0:1]
	v_add_u32_e32 v75, v75, v76
	s_nop 1
	v_mov_b32_dpp v76, v75 row_shr:4 row_mask:0xf bank_mask:0xf
	v_cndmask_b32_e64 v76, 0, v76, s[6:7]
	;; [unrolled: 4-line block ×3, first 2 shown]
	v_add_u32_e32 v75, v75, v76
	ds_write_b32 v25, v75
.LBB1883_241:
	s_or_b64 exec, exec, s[12:13]
	v_cmp_lt_u32_e32 vcc, 63, v2
	v_mov_b32_e32 v75, 0
	s_waitcnt lgkmcnt(0)
	s_barrier
	s_and_saveexec_b64 s[0:1], vcc
; %bb.242:
	v_lshl_add_u32 v74, v74, 2, -4
	ds_read_b32 v75, v74
; %bb.243:
	s_or_b64 exec, exec, s[0:1]
	v_subrev_co_u32_e32 v74, vcc, 1, v10
	v_and_b32_e32 v76, 64, v10
	v_cmp_lt_i32_e64 s[0:1], v74, v76
	s_waitcnt lgkmcnt(0)
	v_add_u32_e32 v73, v75, v73
	s_movk_i32 s4, 0x100
	v_cndmask_b32_e64 v10, v74, v10, s[0:1]
	v_lshlrev_b32_e32 v10, 2, v10
	ds_bpermute_b32 v10, v10, v73
	s_movk_i32 s0, 0xff
	s_waitcnt lgkmcnt(0)
	v_cndmask_b32_e32 v10, v10, v75, vcc
	v_cmp_ne_u32_e32 vcc, 0, v2
	s_nop 1
	v_cndmask_b32_e32 v10, 0, v10, vcc
	v_add_u32_e32 v8, v10, v8
	v_add_u32_e32 v9, v8, v9
	;; [unrolled: 1-line block ×4, first 2 shown]
	ds_write2_b32 v11, v10, v8 offset0:16 offset1:17
	ds_write2_b32 v11, v9, v0 offset0:18 offset1:19
	ds_write_b32 v11, v1 offset:80
	s_waitcnt lgkmcnt(0)
	s_barrier
	ds_read_b32 v81, v18 offset:64
	ds_read_b32 v73, v21 offset:64
	;; [unrolled: 1-line block ×16, first 2 shown]
	v_cmp_lt_u32_e32 vcc, s0, v2
	v_cmp_gt_u32_e64 s[0:1], s4, v2
                                        ; implicit-def: $vgpr18
                                        ; implicit-def: $vgpr21
	s_and_saveexec_b64 s[6:7], s[0:1]
	s_cbranch_execz .LBB1883_247
; %bb.244:
	v_mul_u32_u24_e32 v0, 0x44, v2
	ds_read_b32 v18, v0 offset:64
	v_add_u32_e32 v1, 1, v2
	v_cmp_ne_u32_e64 s[4:5], s4, v1
	v_mov_b32_e32 v0, 0x4000
	s_and_saveexec_b64 s[8:9], s[4:5]
; %bb.245:
	v_mul_u32_u24_e32 v0, 0x44, v1
	ds_read_b32 v0, v0 offset:64
; %bb.246:
	s_or_b64 exec, exec, s[8:9]
	s_waitcnt lgkmcnt(0)
	v_sub_u32_e32 v21, v0, v18
.LBB1883_247:
	s_or_b64 exec, exec, s[6:7]
	v_mov_b32_e32 v1, 0
	s_waitcnt lgkmcnt(0)
	s_barrier
	s_and_saveexec_b64 s[4:5], s[0:1]
	s_cbranch_execz .LBB1883_257
; %bb.248:
	v_lshl_add_u32 v0, s2, 8, v2
	v_lshl_add_u64 v[8:9], v[0:1], 2, s[50:51]
	v_or_b32_e32 v0, 2.0, v21
	s_mov_b64 s[6:7], 0
	s_brev_b32 s15, -4
	s_mov_b32 s16, s2
	v_mov_b32_e32 v49, 0
	global_store_dword v[8:9], v0, off sc1
                                        ; implicit-def: $sgpr0_sgpr1
	s_branch .LBB1883_251
.LBB1883_249:                           ;   in Loop: Header=BB1883_251 Depth=1
	s_or_b64 exec, exec, s[12:13]
.LBB1883_250:                           ;   in Loop: Header=BB1883_251 Depth=1
	s_or_b64 exec, exec, s[8:9]
	v_and_b32_e32 v10, 0x3fffffff, v0
	v_add_u32_e32 v49, v10, v49
	v_cmp_gt_i32_e64 s[0:1], -2.0, v0
	s_and_b64 s[8:9], exec, s[0:1]
	s_or_b64 s[6:7], s[8:9], s[6:7]
	s_andn2_b64 exec, exec, s[6:7]
	s_cbranch_execz .LBB1883_256
.LBB1883_251:                           ; =>This Loop Header: Depth=1
                                        ;     Child Loop BB1883_254 Depth 2
	s_or_b64 s[0:1], s[0:1], exec
	s_cmp_eq_u32 s16, 0
	s_cbranch_scc1 .LBB1883_255
; %bb.252:                              ;   in Loop: Header=BB1883_251 Depth=1
	s_add_i32 s16, s16, -1
	v_lshl_or_b32 v0, s16, 8, v2
	v_lshl_add_u64 v[10:11], v[0:1], 2, s[50:51]
	global_load_dword v0, v[10:11], off sc1
	s_waitcnt vmcnt(0)
	v_cmp_gt_u32_e64 s[0:1], 2.0, v0
	s_and_saveexec_b64 s[8:9], s[0:1]
	s_cbranch_execz .LBB1883_250
; %bb.253:                              ;   in Loop: Header=BB1883_251 Depth=1
	s_mov_b64 s[12:13], 0
.LBB1883_254:                           ;   Parent Loop BB1883_251 Depth=1
                                        ; =>  This Inner Loop Header: Depth=2
	global_load_dword v0, v[10:11], off sc1
	s_waitcnt vmcnt(0)
	v_cmp_lt_u32_e64 s[0:1], s15, v0
	s_or_b64 s[12:13], s[0:1], s[12:13]
	s_andn2_b64 exec, exec, s[12:13]
	s_cbranch_execnz .LBB1883_254
	s_branch .LBB1883_249
.LBB1883_255:                           ;   in Loop: Header=BB1883_251 Depth=1
                                        ; implicit-def: $sgpr16
	s_and_b64 s[8:9], exec, s[0:1]
	s_or_b64 s[6:7], s[8:9], s[6:7]
	s_andn2_b64 exec, exec, s[6:7]
	s_cbranch_execnz .LBB1883_251
.LBB1883_256:
	s_or_b64 exec, exec, s[6:7]
	v_add_u32_e32 v0, v49, v21
	v_or_b32_e32 v0, 0x80000000, v0
	global_store_dword v[8:9], v0, off sc1
	global_load_dword v0, v25, s[60:61]
	v_sub_u32_e32 v1, v49, v18
	s_waitcnt vmcnt(0)
	v_add_u32_e32 v0, v1, v0
	ds_write_b32 v25, v0
.LBB1883_257:
	s_or_b64 exec, exec, s[4:5]
	v_add_u32_e32 v8, v81, v14
	v_add3_u32 v0, v16, v13, v73
	v_add3_u32 v1, v20, v17, v74
	;; [unrolled: 1-line block ×15, first 2 shown]
	v_mov_b32_e32 v85, 0x400
	s_mov_b32 s6, s64
	s_mov_b32 s7, s14
	s_movk_i32 s8, 0x400
	v_lshl_add_u32 v9, v9, 2, v85
	v_add3_u32 v10, v71, v41, v28
	v_lshl_add_u32 v11, v11, 2, v85
	v_add3_u32 v14, v69, v26, v67
	;; [unrolled: 2-line block ×15, first 2 shown]
	v_lshl_add_u32 v16, v8, 2, v85
	s_mov_b32 s9, 0
	s_mov_b32 s12, 0
	s_movk_i32 s13, 0x1000
	v_mov_b32_e32 v1, 0
	s_movk_i32 s15, 0x800
	s_movk_i32 s16, 0xc00
	v_mov_b32_e32 v55, v2
	s_mov_b32 s17, 0
	s_branch .LBB1883_259
.LBB1883_258:                           ;   in Loop: Header=BB1883_259 Depth=1
	s_or_b64 exec, exec, s[4:5]
	s_waitcnt lgkmcnt(0)
	s_barrier
	ds_read2st64_b32 v[56:57], v25 offset0:4 offset1:20
	ds_read2st64_b32 v[62:63], v25 offset0:36 offset1:52
	s_addk_i32 s17, 0xc000
	s_addk_i32 s12, 0xf000
	s_waitcnt lgkmcnt(1)
	v_xor_b32_e32 v60, 0x7fffffff, v56
	v_lshrrev_b32_e32 v56, s64, v56
	v_lshrrev_b32_e32 v0, s6, v57
	v_and_b32_e32 v56, s14, v56
	v_xor_b32_e32 v66, 0x7fffffff, v57
	v_and_b32_e32 v57, s7, v0
	v_lshlrev_b32_e32 v0, 2, v56
	ds_read_b32 v0, v0
	s_waitcnt lgkmcnt(1)
	v_lshrrev_b32_e32 v58, s6, v63
	v_lshrrev_b32_e32 v65, s64, v62
	v_and_b32_e32 v59, s7, v58
	v_lshlrev_b32_e32 v64, 2, v57
	v_and_b32_e32 v58, s14, v65
	v_lshlrev_b32_e32 v67, 2, v59
	v_lshlrev_b32_e32 v65, 2, v58
	ds_read_b32 v68, v64
	ds_read_b32 v69, v65
	;; [unrolled: 1-line block ×3, first 2 shown]
	s_waitcnt lgkmcnt(3)
	v_add_u32_e32 v0, v55, v0
	v_lshl_add_u64 v[64:65], v[0:1], 2, s[54:55]
	s_waitcnt lgkmcnt(2)
	v_add3_u32 v0, v55, v68, s8
	global_store_dword v[64:65], v60, off
	v_lshl_add_u64 v[64:65], v[0:1], 2, s[54:55]
	s_waitcnt lgkmcnt(1)
	v_add3_u32 v0, v55, v69, s15
	global_store_dword v[64:65], v66, off
	v_xor_b32_e32 v60, 0x7fffffff, v62
	v_xor_b32_e32 v64, 0x7fffffff, v63
	v_lshl_add_u64 v[62:63], v[0:1], 2, s[54:55]
	s_waitcnt lgkmcnt(0)
	v_add3_u32 v0, v55, v67, s16
	global_store_dword v[62:63], v60, off
	v_lshl_add_u64 v[62:63], v[0:1], 2, s[54:55]
	global_store_dword v[62:63], v64, off
	scratch_store_dwordx4 off, v[56:59], s9
	s_add_i32 s9, s9, 16
	s_cmp_eq_u32 s17, 0xffff0000
	v_add_u32_e32 v55, 0x1000, v55
	s_barrier
	s_cbranch_scc1 .LBB1883_291
.LBB1883_259:                           ; =>This Inner Loop Header: Depth=1
	v_add_u32_e32 v0, s12, v8
	v_cmp_gt_u32_e64 s[0:1], s13, v0
	s_and_saveexec_b64 s[4:5], s[0:1]
; %bb.260:                              ;   in Loop: Header=BB1883_259 Depth=1
	v_add_u32_e32 v0, s17, v16
	ds_write_b32 v0, v3
; %bb.261:                              ;   in Loop: Header=BB1883_259 Depth=1
	s_or_b64 exec, exec, s[4:5]
	v_add_u32_e32 v0, s12, v13
	v_cmp_gt_u32_e64 s[0:1], s13, v0
	s_and_saveexec_b64 s[4:5], s[0:1]
; %bb.262:                              ;   in Loop: Header=BB1883_259 Depth=1
	v_add_u32_e32 v0, s17, v20
	ds_write_b32 v0, v5
; %bb.263:                              ;   in Loop: Header=BB1883_259 Depth=1
	s_or_b64 exec, exec, s[4:5]
	;; [unrolled: 8-line block ×15, first 2 shown]
	v_add_u32_e32 v0, s12, v10
	v_cmp_gt_u32_e64 s[0:1], s13, v0
	s_and_saveexec_b64 s[4:5], s[0:1]
	s_cbranch_execz .LBB1883_258
; %bb.290:                              ;   in Loop: Header=BB1883_259 Depth=1
	v_add_u32_e32 v0, s17, v9
	ds_write_b32 v0, v61
	s_branch .LBB1883_258
.LBB1883_291:
	s_add_u32 s0, s56, s10
	s_addc_u32 s1, s57, s11
	v_mov_b32_e32 v5, 0
	v_lshl_add_u64 v[0:1], s[0:1], 0, v[4:5]
	v_mov_b32_e32 v7, v5
	v_lshl_add_u64 v[44:45], v[0:1], 0, v[6:7]
	global_load_dword v0, v[44:45], off
	global_load_dword v1, v[44:45], off offset:256
	global_load_dword v3, v[44:45], off offset:512
	;; [unrolled: 1-line block ×14, first 2 shown]
	s_nop 0
	global_load_dword v44, v[44:45], off offset:3840
	s_mov_b32 s6, 0
	s_mov_b32 s7, 0
	s_movk_i32 s8, 0x1000
	s_movk_i32 s9, 0x400
	;; [unrolled: 1-line block ×4, first 2 shown]
	s_mov_b32 s12, 0
	s_branch .LBB1883_293
.LBB1883_292:                           ;   in Loop: Header=BB1883_293 Depth=1
	s_or_b64 exec, exec, s[4:5]
	s_waitcnt lgkmcnt(0)
	s_barrier
	scratch_load_dwordx4 v[56:59], off, s6
	ds_read2st64_b32 v[60:61], v25 offset0:4 offset1:20
	ds_read2st64_b32 v[62:63], v25 offset0:36 offset1:52
	s_addk_i32 s12, 0xc000
	s_addk_i32 s7, 0xf000
	s_add_i32 s6, s6, 16
	s_cmp_eq_u32 s12, 0xffff0000
	s_waitcnt vmcnt(0)
	v_lshlrev_b32_e32 v4, 2, v56
	ds_read_b32 v4, v4
	v_lshlrev_b32_e32 v45, 2, v57
	v_lshlrev_b32_e32 v55, 2, v58
	;; [unrolled: 1-line block ×3, first 2 shown]
	ds_read_b32 v45, v45
	ds_read_b32 v55, v55
	;; [unrolled: 1-line block ×3, first 2 shown]
	s_waitcnt lgkmcnt(3)
	v_add_u32_e32 v4, v2, v4
	v_lshl_add_u64 v[56:57], v[4:5], 2, s[58:59]
	s_waitcnt lgkmcnt(2)
	v_add3_u32 v4, v2, v45, s9
	global_store_dword v[56:57], v60, off
	v_lshl_add_u64 v[56:57], v[4:5], 2, s[58:59]
	s_waitcnt lgkmcnt(1)
	v_add3_u32 v4, v2, v55, s10
	global_store_dword v[56:57], v61, off
	;; [unrolled: 4-line block ×3, first 2 shown]
	v_lshl_add_u64 v[56:57], v[4:5], 2, s[58:59]
	v_add_u32_e32 v2, 0x1000, v2
	global_store_dword v[56:57], v63, off
	s_barrier
	s_cbranch_scc1 .LBB1883_325
.LBB1883_293:                           ; =>This Inner Loop Header: Depth=1
	v_add_u32_e32 v4, s7, v8
	v_cmp_gt_u32_e64 s[0:1], s8, v4
	s_and_saveexec_b64 s[4:5], s[0:1]
	s_cbranch_execz .LBB1883_295
; %bb.294:                              ;   in Loop: Header=BB1883_293 Depth=1
	v_add_u32_e32 v4, s12, v16
	s_waitcnt vmcnt(15)
	ds_write_b32 v4, v0
.LBB1883_295:                           ;   in Loop: Header=BB1883_293 Depth=1
	s_or_b64 exec, exec, s[4:5]
	v_add_u32_e32 v4, s7, v13
	v_cmp_gt_u32_e64 s[0:1], s8, v4
	s_and_saveexec_b64 s[4:5], s[0:1]
	s_cbranch_execz .LBB1883_297
; %bb.296:                              ;   in Loop: Header=BB1883_293 Depth=1
	v_add_u32_e32 v4, s12, v20
	s_waitcnt vmcnt(14)
	ds_write_b32 v4, v1
.LBB1883_297:                           ;   in Loop: Header=BB1883_293 Depth=1
	s_or_b64 exec, exec, s[4:5]
	;; [unrolled: 10-line block ×15, first 2 shown]
	v_add_u32_e32 v4, s7, v10
	v_cmp_gt_u32_e64 s[0:1], s8, v4
	s_and_saveexec_b64 s[4:5], s[0:1]
	s_cbranch_execz .LBB1883_292
; %bb.324:                              ;   in Loop: Header=BB1883_293 Depth=1
	v_add_u32_e32 v4, s12, v9
	s_waitcnt vmcnt(0)
	ds_write_b32 v4, v44
	s_branch .LBB1883_292
.LBB1883_325:
	s_add_i32 s3, s3, -1
	s_cmp_eq_u32 s2, s3
	s_cselect_b64 s[0:1], -1, 0
	s_xor_b64 s[2:3], vcc, -1
	s_and_b64 s[0:1], s[2:3], s[0:1]
	s_and_saveexec_b64 s[2:3], s[0:1]
	s_cbranch_execz .LBB1883_327
; %bb.326:
	ds_read_b32 v0, v25
	s_waitcnt lgkmcnt(0)
	v_add3_u32 v0, v18, v21, v0
	global_store_dword v25, v0, s[62:63]
.LBB1883_327:
	s_endpgm
	.section	.rodata,"a",@progbits
	.p2align	6, 0x0
	.amdhsa_kernel _ZN7rocprim17ROCPRIM_400000_NS6detail17trampoline_kernelINS0_14default_configENS1_35radix_sort_onesweep_config_selectorIiiEEZZNS1_29radix_sort_onesweep_iterationIS3_Lb1EN6thrust23THRUST_200600_302600_NS6detail15normal_iteratorINS8_10device_ptrIiEEEESD_SD_SD_jNS0_19identity_decomposerENS1_16block_id_wrapperIjLb0EEEEE10hipError_tT1_PNSt15iterator_traitsISI_E10value_typeET2_T3_PNSJ_ISO_E10value_typeET4_T5_PST_SU_PNS1_23onesweep_lookback_stateEbbT6_jjT7_P12ihipStream_tbENKUlT_T0_SI_SN_E_clIPiSD_S15_SD_EEDaS11_S12_SI_SN_EUlS11_E_NS1_11comp_targetILNS1_3genE6ELNS1_11target_archE950ELNS1_3gpuE13ELNS1_3repE0EEENS1_47radix_sort_onesweep_sort_config_static_selectorELNS0_4arch9wavefront6targetE1EEEvSI_
		.amdhsa_group_segment_fixed_size 20552
		.amdhsa_private_segment_fixed_size 80
		.amdhsa_kernarg_size 344
		.amdhsa_user_sgpr_count 2
		.amdhsa_user_sgpr_dispatch_ptr 0
		.amdhsa_user_sgpr_queue_ptr 0
		.amdhsa_user_sgpr_kernarg_segment_ptr 1
		.amdhsa_user_sgpr_dispatch_id 0
		.amdhsa_user_sgpr_kernarg_preload_length 0
		.amdhsa_user_sgpr_kernarg_preload_offset 0
		.amdhsa_user_sgpr_private_segment_size 0
		.amdhsa_uses_dynamic_stack 0
		.amdhsa_enable_private_segment 1
		.amdhsa_system_sgpr_workgroup_id_x 1
		.amdhsa_system_sgpr_workgroup_id_y 0
		.amdhsa_system_sgpr_workgroup_id_z 0
		.amdhsa_system_sgpr_workgroup_info 0
		.amdhsa_system_vgpr_workitem_id 2
		.amdhsa_next_free_vgpr 88
		.amdhsa_next_free_sgpr 70
		.amdhsa_accum_offset 88
		.amdhsa_reserve_vcc 1
		.amdhsa_float_round_mode_32 0
		.amdhsa_float_round_mode_16_64 0
		.amdhsa_float_denorm_mode_32 3
		.amdhsa_float_denorm_mode_16_64 3
		.amdhsa_dx10_clamp 1
		.amdhsa_ieee_mode 1
		.amdhsa_fp16_overflow 0
		.amdhsa_tg_split 0
		.amdhsa_exception_fp_ieee_invalid_op 0
		.amdhsa_exception_fp_denorm_src 0
		.amdhsa_exception_fp_ieee_div_zero 0
		.amdhsa_exception_fp_ieee_overflow 0
		.amdhsa_exception_fp_ieee_underflow 0
		.amdhsa_exception_fp_ieee_inexact 0
		.amdhsa_exception_int_div_zero 0
	.end_amdhsa_kernel
	.section	.text._ZN7rocprim17ROCPRIM_400000_NS6detail17trampoline_kernelINS0_14default_configENS1_35radix_sort_onesweep_config_selectorIiiEEZZNS1_29radix_sort_onesweep_iterationIS3_Lb1EN6thrust23THRUST_200600_302600_NS6detail15normal_iteratorINS8_10device_ptrIiEEEESD_SD_SD_jNS0_19identity_decomposerENS1_16block_id_wrapperIjLb0EEEEE10hipError_tT1_PNSt15iterator_traitsISI_E10value_typeET2_T3_PNSJ_ISO_E10value_typeET4_T5_PST_SU_PNS1_23onesweep_lookback_stateEbbT6_jjT7_P12ihipStream_tbENKUlT_T0_SI_SN_E_clIPiSD_S15_SD_EEDaS11_S12_SI_SN_EUlS11_E_NS1_11comp_targetILNS1_3genE6ELNS1_11target_archE950ELNS1_3gpuE13ELNS1_3repE0EEENS1_47radix_sort_onesweep_sort_config_static_selectorELNS0_4arch9wavefront6targetE1EEEvSI_,"axG",@progbits,_ZN7rocprim17ROCPRIM_400000_NS6detail17trampoline_kernelINS0_14default_configENS1_35radix_sort_onesweep_config_selectorIiiEEZZNS1_29radix_sort_onesweep_iterationIS3_Lb1EN6thrust23THRUST_200600_302600_NS6detail15normal_iteratorINS8_10device_ptrIiEEEESD_SD_SD_jNS0_19identity_decomposerENS1_16block_id_wrapperIjLb0EEEEE10hipError_tT1_PNSt15iterator_traitsISI_E10value_typeET2_T3_PNSJ_ISO_E10value_typeET4_T5_PST_SU_PNS1_23onesweep_lookback_stateEbbT6_jjT7_P12ihipStream_tbENKUlT_T0_SI_SN_E_clIPiSD_S15_SD_EEDaS11_S12_SI_SN_EUlS11_E_NS1_11comp_targetILNS1_3genE6ELNS1_11target_archE950ELNS1_3gpuE13ELNS1_3repE0EEENS1_47radix_sort_onesweep_sort_config_static_selectorELNS0_4arch9wavefront6targetE1EEEvSI_,comdat
.Lfunc_end1883:
	.size	_ZN7rocprim17ROCPRIM_400000_NS6detail17trampoline_kernelINS0_14default_configENS1_35radix_sort_onesweep_config_selectorIiiEEZZNS1_29radix_sort_onesweep_iterationIS3_Lb1EN6thrust23THRUST_200600_302600_NS6detail15normal_iteratorINS8_10device_ptrIiEEEESD_SD_SD_jNS0_19identity_decomposerENS1_16block_id_wrapperIjLb0EEEEE10hipError_tT1_PNSt15iterator_traitsISI_E10value_typeET2_T3_PNSJ_ISO_E10value_typeET4_T5_PST_SU_PNS1_23onesweep_lookback_stateEbbT6_jjT7_P12ihipStream_tbENKUlT_T0_SI_SN_E_clIPiSD_S15_SD_EEDaS11_S12_SI_SN_EUlS11_E_NS1_11comp_targetILNS1_3genE6ELNS1_11target_archE950ELNS1_3gpuE13ELNS1_3repE0EEENS1_47radix_sort_onesweep_sort_config_static_selectorELNS0_4arch9wavefront6targetE1EEEvSI_, .Lfunc_end1883-_ZN7rocprim17ROCPRIM_400000_NS6detail17trampoline_kernelINS0_14default_configENS1_35radix_sort_onesweep_config_selectorIiiEEZZNS1_29radix_sort_onesweep_iterationIS3_Lb1EN6thrust23THRUST_200600_302600_NS6detail15normal_iteratorINS8_10device_ptrIiEEEESD_SD_SD_jNS0_19identity_decomposerENS1_16block_id_wrapperIjLb0EEEEE10hipError_tT1_PNSt15iterator_traitsISI_E10value_typeET2_T3_PNSJ_ISO_E10value_typeET4_T5_PST_SU_PNS1_23onesweep_lookback_stateEbbT6_jjT7_P12ihipStream_tbENKUlT_T0_SI_SN_E_clIPiSD_S15_SD_EEDaS11_S12_SI_SN_EUlS11_E_NS1_11comp_targetILNS1_3genE6ELNS1_11target_archE950ELNS1_3gpuE13ELNS1_3repE0EEENS1_47radix_sort_onesweep_sort_config_static_selectorELNS0_4arch9wavefront6targetE1EEEvSI_
                                        ; -- End function
	.set _ZN7rocprim17ROCPRIM_400000_NS6detail17trampoline_kernelINS0_14default_configENS1_35radix_sort_onesweep_config_selectorIiiEEZZNS1_29radix_sort_onesweep_iterationIS3_Lb1EN6thrust23THRUST_200600_302600_NS6detail15normal_iteratorINS8_10device_ptrIiEEEESD_SD_SD_jNS0_19identity_decomposerENS1_16block_id_wrapperIjLb0EEEEE10hipError_tT1_PNSt15iterator_traitsISI_E10value_typeET2_T3_PNSJ_ISO_E10value_typeET4_T5_PST_SU_PNS1_23onesweep_lookback_stateEbbT6_jjT7_P12ihipStream_tbENKUlT_T0_SI_SN_E_clIPiSD_S15_SD_EEDaS11_S12_SI_SN_EUlS11_E_NS1_11comp_targetILNS1_3genE6ELNS1_11target_archE950ELNS1_3gpuE13ELNS1_3repE0EEENS1_47radix_sort_onesweep_sort_config_static_selectorELNS0_4arch9wavefront6targetE1EEEvSI_.num_vgpr, 88
	.set _ZN7rocprim17ROCPRIM_400000_NS6detail17trampoline_kernelINS0_14default_configENS1_35radix_sort_onesweep_config_selectorIiiEEZZNS1_29radix_sort_onesweep_iterationIS3_Lb1EN6thrust23THRUST_200600_302600_NS6detail15normal_iteratorINS8_10device_ptrIiEEEESD_SD_SD_jNS0_19identity_decomposerENS1_16block_id_wrapperIjLb0EEEEE10hipError_tT1_PNSt15iterator_traitsISI_E10value_typeET2_T3_PNSJ_ISO_E10value_typeET4_T5_PST_SU_PNS1_23onesweep_lookback_stateEbbT6_jjT7_P12ihipStream_tbENKUlT_T0_SI_SN_E_clIPiSD_S15_SD_EEDaS11_S12_SI_SN_EUlS11_E_NS1_11comp_targetILNS1_3genE6ELNS1_11target_archE950ELNS1_3gpuE13ELNS1_3repE0EEENS1_47radix_sort_onesweep_sort_config_static_selectorELNS0_4arch9wavefront6targetE1EEEvSI_.num_agpr, 0
	.set _ZN7rocprim17ROCPRIM_400000_NS6detail17trampoline_kernelINS0_14default_configENS1_35radix_sort_onesweep_config_selectorIiiEEZZNS1_29radix_sort_onesweep_iterationIS3_Lb1EN6thrust23THRUST_200600_302600_NS6detail15normal_iteratorINS8_10device_ptrIiEEEESD_SD_SD_jNS0_19identity_decomposerENS1_16block_id_wrapperIjLb0EEEEE10hipError_tT1_PNSt15iterator_traitsISI_E10value_typeET2_T3_PNSJ_ISO_E10value_typeET4_T5_PST_SU_PNS1_23onesweep_lookback_stateEbbT6_jjT7_P12ihipStream_tbENKUlT_T0_SI_SN_E_clIPiSD_S15_SD_EEDaS11_S12_SI_SN_EUlS11_E_NS1_11comp_targetILNS1_3genE6ELNS1_11target_archE950ELNS1_3gpuE13ELNS1_3repE0EEENS1_47radix_sort_onesweep_sort_config_static_selectorELNS0_4arch9wavefront6targetE1EEEvSI_.numbered_sgpr, 70
	.set _ZN7rocprim17ROCPRIM_400000_NS6detail17trampoline_kernelINS0_14default_configENS1_35radix_sort_onesweep_config_selectorIiiEEZZNS1_29radix_sort_onesweep_iterationIS3_Lb1EN6thrust23THRUST_200600_302600_NS6detail15normal_iteratorINS8_10device_ptrIiEEEESD_SD_SD_jNS0_19identity_decomposerENS1_16block_id_wrapperIjLb0EEEEE10hipError_tT1_PNSt15iterator_traitsISI_E10value_typeET2_T3_PNSJ_ISO_E10value_typeET4_T5_PST_SU_PNS1_23onesweep_lookback_stateEbbT6_jjT7_P12ihipStream_tbENKUlT_T0_SI_SN_E_clIPiSD_S15_SD_EEDaS11_S12_SI_SN_EUlS11_E_NS1_11comp_targetILNS1_3genE6ELNS1_11target_archE950ELNS1_3gpuE13ELNS1_3repE0EEENS1_47radix_sort_onesweep_sort_config_static_selectorELNS0_4arch9wavefront6targetE1EEEvSI_.num_named_barrier, 0
	.set _ZN7rocprim17ROCPRIM_400000_NS6detail17trampoline_kernelINS0_14default_configENS1_35radix_sort_onesweep_config_selectorIiiEEZZNS1_29radix_sort_onesweep_iterationIS3_Lb1EN6thrust23THRUST_200600_302600_NS6detail15normal_iteratorINS8_10device_ptrIiEEEESD_SD_SD_jNS0_19identity_decomposerENS1_16block_id_wrapperIjLb0EEEEE10hipError_tT1_PNSt15iterator_traitsISI_E10value_typeET2_T3_PNSJ_ISO_E10value_typeET4_T5_PST_SU_PNS1_23onesweep_lookback_stateEbbT6_jjT7_P12ihipStream_tbENKUlT_T0_SI_SN_E_clIPiSD_S15_SD_EEDaS11_S12_SI_SN_EUlS11_E_NS1_11comp_targetILNS1_3genE6ELNS1_11target_archE950ELNS1_3gpuE13ELNS1_3repE0EEENS1_47radix_sort_onesweep_sort_config_static_selectorELNS0_4arch9wavefront6targetE1EEEvSI_.private_seg_size, 80
	.set _ZN7rocprim17ROCPRIM_400000_NS6detail17trampoline_kernelINS0_14default_configENS1_35radix_sort_onesweep_config_selectorIiiEEZZNS1_29radix_sort_onesweep_iterationIS3_Lb1EN6thrust23THRUST_200600_302600_NS6detail15normal_iteratorINS8_10device_ptrIiEEEESD_SD_SD_jNS0_19identity_decomposerENS1_16block_id_wrapperIjLb0EEEEE10hipError_tT1_PNSt15iterator_traitsISI_E10value_typeET2_T3_PNSJ_ISO_E10value_typeET4_T5_PST_SU_PNS1_23onesweep_lookback_stateEbbT6_jjT7_P12ihipStream_tbENKUlT_T0_SI_SN_E_clIPiSD_S15_SD_EEDaS11_S12_SI_SN_EUlS11_E_NS1_11comp_targetILNS1_3genE6ELNS1_11target_archE950ELNS1_3gpuE13ELNS1_3repE0EEENS1_47radix_sort_onesweep_sort_config_static_selectorELNS0_4arch9wavefront6targetE1EEEvSI_.uses_vcc, 1
	.set _ZN7rocprim17ROCPRIM_400000_NS6detail17trampoline_kernelINS0_14default_configENS1_35radix_sort_onesweep_config_selectorIiiEEZZNS1_29radix_sort_onesweep_iterationIS3_Lb1EN6thrust23THRUST_200600_302600_NS6detail15normal_iteratorINS8_10device_ptrIiEEEESD_SD_SD_jNS0_19identity_decomposerENS1_16block_id_wrapperIjLb0EEEEE10hipError_tT1_PNSt15iterator_traitsISI_E10value_typeET2_T3_PNSJ_ISO_E10value_typeET4_T5_PST_SU_PNS1_23onesweep_lookback_stateEbbT6_jjT7_P12ihipStream_tbENKUlT_T0_SI_SN_E_clIPiSD_S15_SD_EEDaS11_S12_SI_SN_EUlS11_E_NS1_11comp_targetILNS1_3genE6ELNS1_11target_archE950ELNS1_3gpuE13ELNS1_3repE0EEENS1_47radix_sort_onesweep_sort_config_static_selectorELNS0_4arch9wavefront6targetE1EEEvSI_.uses_flat_scratch, 0
	.set _ZN7rocprim17ROCPRIM_400000_NS6detail17trampoline_kernelINS0_14default_configENS1_35radix_sort_onesweep_config_selectorIiiEEZZNS1_29radix_sort_onesweep_iterationIS3_Lb1EN6thrust23THRUST_200600_302600_NS6detail15normal_iteratorINS8_10device_ptrIiEEEESD_SD_SD_jNS0_19identity_decomposerENS1_16block_id_wrapperIjLb0EEEEE10hipError_tT1_PNSt15iterator_traitsISI_E10value_typeET2_T3_PNSJ_ISO_E10value_typeET4_T5_PST_SU_PNS1_23onesweep_lookback_stateEbbT6_jjT7_P12ihipStream_tbENKUlT_T0_SI_SN_E_clIPiSD_S15_SD_EEDaS11_S12_SI_SN_EUlS11_E_NS1_11comp_targetILNS1_3genE6ELNS1_11target_archE950ELNS1_3gpuE13ELNS1_3repE0EEENS1_47radix_sort_onesweep_sort_config_static_selectorELNS0_4arch9wavefront6targetE1EEEvSI_.has_dyn_sized_stack, 0
	.set _ZN7rocprim17ROCPRIM_400000_NS6detail17trampoline_kernelINS0_14default_configENS1_35radix_sort_onesweep_config_selectorIiiEEZZNS1_29radix_sort_onesweep_iterationIS3_Lb1EN6thrust23THRUST_200600_302600_NS6detail15normal_iteratorINS8_10device_ptrIiEEEESD_SD_SD_jNS0_19identity_decomposerENS1_16block_id_wrapperIjLb0EEEEE10hipError_tT1_PNSt15iterator_traitsISI_E10value_typeET2_T3_PNSJ_ISO_E10value_typeET4_T5_PST_SU_PNS1_23onesweep_lookback_stateEbbT6_jjT7_P12ihipStream_tbENKUlT_T0_SI_SN_E_clIPiSD_S15_SD_EEDaS11_S12_SI_SN_EUlS11_E_NS1_11comp_targetILNS1_3genE6ELNS1_11target_archE950ELNS1_3gpuE13ELNS1_3repE0EEENS1_47radix_sort_onesweep_sort_config_static_selectorELNS0_4arch9wavefront6targetE1EEEvSI_.has_recursion, 0
	.set _ZN7rocprim17ROCPRIM_400000_NS6detail17trampoline_kernelINS0_14default_configENS1_35radix_sort_onesweep_config_selectorIiiEEZZNS1_29radix_sort_onesweep_iterationIS3_Lb1EN6thrust23THRUST_200600_302600_NS6detail15normal_iteratorINS8_10device_ptrIiEEEESD_SD_SD_jNS0_19identity_decomposerENS1_16block_id_wrapperIjLb0EEEEE10hipError_tT1_PNSt15iterator_traitsISI_E10value_typeET2_T3_PNSJ_ISO_E10value_typeET4_T5_PST_SU_PNS1_23onesweep_lookback_stateEbbT6_jjT7_P12ihipStream_tbENKUlT_T0_SI_SN_E_clIPiSD_S15_SD_EEDaS11_S12_SI_SN_EUlS11_E_NS1_11comp_targetILNS1_3genE6ELNS1_11target_archE950ELNS1_3gpuE13ELNS1_3repE0EEENS1_47radix_sort_onesweep_sort_config_static_selectorELNS0_4arch9wavefront6targetE1EEEvSI_.has_indirect_call, 0
	.section	.AMDGPU.csdata,"",@progbits
; Kernel info:
; codeLenInByte = 22584
; TotalNumSgprs: 76
; NumVgprs: 88
; NumAgprs: 0
; TotalNumVgprs: 88
; ScratchSize: 80
; MemoryBound: 0
; FloatMode: 240
; IeeeMode: 1
; LDSByteSize: 20552 bytes/workgroup (compile time only)
; SGPRBlocks: 9
; VGPRBlocks: 10
; NumSGPRsForWavesPerEU: 76
; NumVGPRsForWavesPerEU: 88
; AccumOffset: 88
; Occupancy: 5
; WaveLimiterHint : 1
; COMPUTE_PGM_RSRC2:SCRATCH_EN: 1
; COMPUTE_PGM_RSRC2:USER_SGPR: 2
; COMPUTE_PGM_RSRC2:TRAP_HANDLER: 0
; COMPUTE_PGM_RSRC2:TGID_X_EN: 1
; COMPUTE_PGM_RSRC2:TGID_Y_EN: 0
; COMPUTE_PGM_RSRC2:TGID_Z_EN: 0
; COMPUTE_PGM_RSRC2:TIDIG_COMP_CNT: 2
; COMPUTE_PGM_RSRC3_GFX90A:ACCUM_OFFSET: 21
; COMPUTE_PGM_RSRC3_GFX90A:TG_SPLIT: 0
	.section	.text._ZN7rocprim17ROCPRIM_400000_NS6detail17trampoline_kernelINS0_14default_configENS1_35radix_sort_onesweep_config_selectorIiiEEZZNS1_29radix_sort_onesweep_iterationIS3_Lb1EN6thrust23THRUST_200600_302600_NS6detail15normal_iteratorINS8_10device_ptrIiEEEESD_SD_SD_jNS0_19identity_decomposerENS1_16block_id_wrapperIjLb0EEEEE10hipError_tT1_PNSt15iterator_traitsISI_E10value_typeET2_T3_PNSJ_ISO_E10value_typeET4_T5_PST_SU_PNS1_23onesweep_lookback_stateEbbT6_jjT7_P12ihipStream_tbENKUlT_T0_SI_SN_E_clIPiSD_S15_SD_EEDaS11_S12_SI_SN_EUlS11_E_NS1_11comp_targetILNS1_3genE5ELNS1_11target_archE942ELNS1_3gpuE9ELNS1_3repE0EEENS1_47radix_sort_onesweep_sort_config_static_selectorELNS0_4arch9wavefront6targetE1EEEvSI_,"axG",@progbits,_ZN7rocprim17ROCPRIM_400000_NS6detail17trampoline_kernelINS0_14default_configENS1_35radix_sort_onesweep_config_selectorIiiEEZZNS1_29radix_sort_onesweep_iterationIS3_Lb1EN6thrust23THRUST_200600_302600_NS6detail15normal_iteratorINS8_10device_ptrIiEEEESD_SD_SD_jNS0_19identity_decomposerENS1_16block_id_wrapperIjLb0EEEEE10hipError_tT1_PNSt15iterator_traitsISI_E10value_typeET2_T3_PNSJ_ISO_E10value_typeET4_T5_PST_SU_PNS1_23onesweep_lookback_stateEbbT6_jjT7_P12ihipStream_tbENKUlT_T0_SI_SN_E_clIPiSD_S15_SD_EEDaS11_S12_SI_SN_EUlS11_E_NS1_11comp_targetILNS1_3genE5ELNS1_11target_archE942ELNS1_3gpuE9ELNS1_3repE0EEENS1_47radix_sort_onesweep_sort_config_static_selectorELNS0_4arch9wavefront6targetE1EEEvSI_,comdat
	.protected	_ZN7rocprim17ROCPRIM_400000_NS6detail17trampoline_kernelINS0_14default_configENS1_35radix_sort_onesweep_config_selectorIiiEEZZNS1_29radix_sort_onesweep_iterationIS3_Lb1EN6thrust23THRUST_200600_302600_NS6detail15normal_iteratorINS8_10device_ptrIiEEEESD_SD_SD_jNS0_19identity_decomposerENS1_16block_id_wrapperIjLb0EEEEE10hipError_tT1_PNSt15iterator_traitsISI_E10value_typeET2_T3_PNSJ_ISO_E10value_typeET4_T5_PST_SU_PNS1_23onesweep_lookback_stateEbbT6_jjT7_P12ihipStream_tbENKUlT_T0_SI_SN_E_clIPiSD_S15_SD_EEDaS11_S12_SI_SN_EUlS11_E_NS1_11comp_targetILNS1_3genE5ELNS1_11target_archE942ELNS1_3gpuE9ELNS1_3repE0EEENS1_47radix_sort_onesweep_sort_config_static_selectorELNS0_4arch9wavefront6targetE1EEEvSI_ ; -- Begin function _ZN7rocprim17ROCPRIM_400000_NS6detail17trampoline_kernelINS0_14default_configENS1_35radix_sort_onesweep_config_selectorIiiEEZZNS1_29radix_sort_onesweep_iterationIS3_Lb1EN6thrust23THRUST_200600_302600_NS6detail15normal_iteratorINS8_10device_ptrIiEEEESD_SD_SD_jNS0_19identity_decomposerENS1_16block_id_wrapperIjLb0EEEEE10hipError_tT1_PNSt15iterator_traitsISI_E10value_typeET2_T3_PNSJ_ISO_E10value_typeET4_T5_PST_SU_PNS1_23onesweep_lookback_stateEbbT6_jjT7_P12ihipStream_tbENKUlT_T0_SI_SN_E_clIPiSD_S15_SD_EEDaS11_S12_SI_SN_EUlS11_E_NS1_11comp_targetILNS1_3genE5ELNS1_11target_archE942ELNS1_3gpuE9ELNS1_3repE0EEENS1_47radix_sort_onesweep_sort_config_static_selectorELNS0_4arch9wavefront6targetE1EEEvSI_
	.globl	_ZN7rocprim17ROCPRIM_400000_NS6detail17trampoline_kernelINS0_14default_configENS1_35radix_sort_onesweep_config_selectorIiiEEZZNS1_29radix_sort_onesweep_iterationIS3_Lb1EN6thrust23THRUST_200600_302600_NS6detail15normal_iteratorINS8_10device_ptrIiEEEESD_SD_SD_jNS0_19identity_decomposerENS1_16block_id_wrapperIjLb0EEEEE10hipError_tT1_PNSt15iterator_traitsISI_E10value_typeET2_T3_PNSJ_ISO_E10value_typeET4_T5_PST_SU_PNS1_23onesweep_lookback_stateEbbT6_jjT7_P12ihipStream_tbENKUlT_T0_SI_SN_E_clIPiSD_S15_SD_EEDaS11_S12_SI_SN_EUlS11_E_NS1_11comp_targetILNS1_3genE5ELNS1_11target_archE942ELNS1_3gpuE9ELNS1_3repE0EEENS1_47radix_sort_onesweep_sort_config_static_selectorELNS0_4arch9wavefront6targetE1EEEvSI_
	.p2align	8
	.type	_ZN7rocprim17ROCPRIM_400000_NS6detail17trampoline_kernelINS0_14default_configENS1_35radix_sort_onesweep_config_selectorIiiEEZZNS1_29radix_sort_onesweep_iterationIS3_Lb1EN6thrust23THRUST_200600_302600_NS6detail15normal_iteratorINS8_10device_ptrIiEEEESD_SD_SD_jNS0_19identity_decomposerENS1_16block_id_wrapperIjLb0EEEEE10hipError_tT1_PNSt15iterator_traitsISI_E10value_typeET2_T3_PNSJ_ISO_E10value_typeET4_T5_PST_SU_PNS1_23onesweep_lookback_stateEbbT6_jjT7_P12ihipStream_tbENKUlT_T0_SI_SN_E_clIPiSD_S15_SD_EEDaS11_S12_SI_SN_EUlS11_E_NS1_11comp_targetILNS1_3genE5ELNS1_11target_archE942ELNS1_3gpuE9ELNS1_3repE0EEENS1_47radix_sort_onesweep_sort_config_static_selectorELNS0_4arch9wavefront6targetE1EEEvSI_,@function
_ZN7rocprim17ROCPRIM_400000_NS6detail17trampoline_kernelINS0_14default_configENS1_35radix_sort_onesweep_config_selectorIiiEEZZNS1_29radix_sort_onesweep_iterationIS3_Lb1EN6thrust23THRUST_200600_302600_NS6detail15normal_iteratorINS8_10device_ptrIiEEEESD_SD_SD_jNS0_19identity_decomposerENS1_16block_id_wrapperIjLb0EEEEE10hipError_tT1_PNSt15iterator_traitsISI_E10value_typeET2_T3_PNSJ_ISO_E10value_typeET4_T5_PST_SU_PNS1_23onesweep_lookback_stateEbbT6_jjT7_P12ihipStream_tbENKUlT_T0_SI_SN_E_clIPiSD_S15_SD_EEDaS11_S12_SI_SN_EUlS11_E_NS1_11comp_targetILNS1_3genE5ELNS1_11target_archE942ELNS1_3gpuE9ELNS1_3repE0EEENS1_47radix_sort_onesweep_sort_config_static_selectorELNS0_4arch9wavefront6targetE1EEEvSI_: ; @_ZN7rocprim17ROCPRIM_400000_NS6detail17trampoline_kernelINS0_14default_configENS1_35radix_sort_onesweep_config_selectorIiiEEZZNS1_29radix_sort_onesweep_iterationIS3_Lb1EN6thrust23THRUST_200600_302600_NS6detail15normal_iteratorINS8_10device_ptrIiEEEESD_SD_SD_jNS0_19identity_decomposerENS1_16block_id_wrapperIjLb0EEEEE10hipError_tT1_PNSt15iterator_traitsISI_E10value_typeET2_T3_PNSJ_ISO_E10value_typeET4_T5_PST_SU_PNS1_23onesweep_lookback_stateEbbT6_jjT7_P12ihipStream_tbENKUlT_T0_SI_SN_E_clIPiSD_S15_SD_EEDaS11_S12_SI_SN_EUlS11_E_NS1_11comp_targetILNS1_3genE5ELNS1_11target_archE942ELNS1_3gpuE9ELNS1_3repE0EEENS1_47radix_sort_onesweep_sort_config_static_selectorELNS0_4arch9wavefront6targetE1EEEvSI_
; %bb.0:
	.section	.rodata,"a",@progbits
	.p2align	6, 0x0
	.amdhsa_kernel _ZN7rocprim17ROCPRIM_400000_NS6detail17trampoline_kernelINS0_14default_configENS1_35radix_sort_onesweep_config_selectorIiiEEZZNS1_29radix_sort_onesweep_iterationIS3_Lb1EN6thrust23THRUST_200600_302600_NS6detail15normal_iteratorINS8_10device_ptrIiEEEESD_SD_SD_jNS0_19identity_decomposerENS1_16block_id_wrapperIjLb0EEEEE10hipError_tT1_PNSt15iterator_traitsISI_E10value_typeET2_T3_PNSJ_ISO_E10value_typeET4_T5_PST_SU_PNS1_23onesweep_lookback_stateEbbT6_jjT7_P12ihipStream_tbENKUlT_T0_SI_SN_E_clIPiSD_S15_SD_EEDaS11_S12_SI_SN_EUlS11_E_NS1_11comp_targetILNS1_3genE5ELNS1_11target_archE942ELNS1_3gpuE9ELNS1_3repE0EEENS1_47radix_sort_onesweep_sort_config_static_selectorELNS0_4arch9wavefront6targetE1EEEvSI_
		.amdhsa_group_segment_fixed_size 0
		.amdhsa_private_segment_fixed_size 0
		.amdhsa_kernarg_size 88
		.amdhsa_user_sgpr_count 2
		.amdhsa_user_sgpr_dispatch_ptr 0
		.amdhsa_user_sgpr_queue_ptr 0
		.amdhsa_user_sgpr_kernarg_segment_ptr 1
		.amdhsa_user_sgpr_dispatch_id 0
		.amdhsa_user_sgpr_kernarg_preload_length 0
		.amdhsa_user_sgpr_kernarg_preload_offset 0
		.amdhsa_user_sgpr_private_segment_size 0
		.amdhsa_uses_dynamic_stack 0
		.amdhsa_enable_private_segment 0
		.amdhsa_system_sgpr_workgroup_id_x 1
		.amdhsa_system_sgpr_workgroup_id_y 0
		.amdhsa_system_sgpr_workgroup_id_z 0
		.amdhsa_system_sgpr_workgroup_info 0
		.amdhsa_system_vgpr_workitem_id 0
		.amdhsa_next_free_vgpr 1
		.amdhsa_next_free_sgpr 0
		.amdhsa_accum_offset 4
		.amdhsa_reserve_vcc 0
		.amdhsa_float_round_mode_32 0
		.amdhsa_float_round_mode_16_64 0
		.amdhsa_float_denorm_mode_32 3
		.amdhsa_float_denorm_mode_16_64 3
		.amdhsa_dx10_clamp 1
		.amdhsa_ieee_mode 1
		.amdhsa_fp16_overflow 0
		.amdhsa_tg_split 0
		.amdhsa_exception_fp_ieee_invalid_op 0
		.amdhsa_exception_fp_denorm_src 0
		.amdhsa_exception_fp_ieee_div_zero 0
		.amdhsa_exception_fp_ieee_overflow 0
		.amdhsa_exception_fp_ieee_underflow 0
		.amdhsa_exception_fp_ieee_inexact 0
		.amdhsa_exception_int_div_zero 0
	.end_amdhsa_kernel
	.section	.text._ZN7rocprim17ROCPRIM_400000_NS6detail17trampoline_kernelINS0_14default_configENS1_35radix_sort_onesweep_config_selectorIiiEEZZNS1_29radix_sort_onesweep_iterationIS3_Lb1EN6thrust23THRUST_200600_302600_NS6detail15normal_iteratorINS8_10device_ptrIiEEEESD_SD_SD_jNS0_19identity_decomposerENS1_16block_id_wrapperIjLb0EEEEE10hipError_tT1_PNSt15iterator_traitsISI_E10value_typeET2_T3_PNSJ_ISO_E10value_typeET4_T5_PST_SU_PNS1_23onesweep_lookback_stateEbbT6_jjT7_P12ihipStream_tbENKUlT_T0_SI_SN_E_clIPiSD_S15_SD_EEDaS11_S12_SI_SN_EUlS11_E_NS1_11comp_targetILNS1_3genE5ELNS1_11target_archE942ELNS1_3gpuE9ELNS1_3repE0EEENS1_47radix_sort_onesweep_sort_config_static_selectorELNS0_4arch9wavefront6targetE1EEEvSI_,"axG",@progbits,_ZN7rocprim17ROCPRIM_400000_NS6detail17trampoline_kernelINS0_14default_configENS1_35radix_sort_onesweep_config_selectorIiiEEZZNS1_29radix_sort_onesweep_iterationIS3_Lb1EN6thrust23THRUST_200600_302600_NS6detail15normal_iteratorINS8_10device_ptrIiEEEESD_SD_SD_jNS0_19identity_decomposerENS1_16block_id_wrapperIjLb0EEEEE10hipError_tT1_PNSt15iterator_traitsISI_E10value_typeET2_T3_PNSJ_ISO_E10value_typeET4_T5_PST_SU_PNS1_23onesweep_lookback_stateEbbT6_jjT7_P12ihipStream_tbENKUlT_T0_SI_SN_E_clIPiSD_S15_SD_EEDaS11_S12_SI_SN_EUlS11_E_NS1_11comp_targetILNS1_3genE5ELNS1_11target_archE942ELNS1_3gpuE9ELNS1_3repE0EEENS1_47radix_sort_onesweep_sort_config_static_selectorELNS0_4arch9wavefront6targetE1EEEvSI_,comdat
.Lfunc_end1884:
	.size	_ZN7rocprim17ROCPRIM_400000_NS6detail17trampoline_kernelINS0_14default_configENS1_35radix_sort_onesweep_config_selectorIiiEEZZNS1_29radix_sort_onesweep_iterationIS3_Lb1EN6thrust23THRUST_200600_302600_NS6detail15normal_iteratorINS8_10device_ptrIiEEEESD_SD_SD_jNS0_19identity_decomposerENS1_16block_id_wrapperIjLb0EEEEE10hipError_tT1_PNSt15iterator_traitsISI_E10value_typeET2_T3_PNSJ_ISO_E10value_typeET4_T5_PST_SU_PNS1_23onesweep_lookback_stateEbbT6_jjT7_P12ihipStream_tbENKUlT_T0_SI_SN_E_clIPiSD_S15_SD_EEDaS11_S12_SI_SN_EUlS11_E_NS1_11comp_targetILNS1_3genE5ELNS1_11target_archE942ELNS1_3gpuE9ELNS1_3repE0EEENS1_47radix_sort_onesweep_sort_config_static_selectorELNS0_4arch9wavefront6targetE1EEEvSI_, .Lfunc_end1884-_ZN7rocprim17ROCPRIM_400000_NS6detail17trampoline_kernelINS0_14default_configENS1_35radix_sort_onesweep_config_selectorIiiEEZZNS1_29radix_sort_onesweep_iterationIS3_Lb1EN6thrust23THRUST_200600_302600_NS6detail15normal_iteratorINS8_10device_ptrIiEEEESD_SD_SD_jNS0_19identity_decomposerENS1_16block_id_wrapperIjLb0EEEEE10hipError_tT1_PNSt15iterator_traitsISI_E10value_typeET2_T3_PNSJ_ISO_E10value_typeET4_T5_PST_SU_PNS1_23onesweep_lookback_stateEbbT6_jjT7_P12ihipStream_tbENKUlT_T0_SI_SN_E_clIPiSD_S15_SD_EEDaS11_S12_SI_SN_EUlS11_E_NS1_11comp_targetILNS1_3genE5ELNS1_11target_archE942ELNS1_3gpuE9ELNS1_3repE0EEENS1_47radix_sort_onesweep_sort_config_static_selectorELNS0_4arch9wavefront6targetE1EEEvSI_
                                        ; -- End function
	.set _ZN7rocprim17ROCPRIM_400000_NS6detail17trampoline_kernelINS0_14default_configENS1_35radix_sort_onesweep_config_selectorIiiEEZZNS1_29radix_sort_onesweep_iterationIS3_Lb1EN6thrust23THRUST_200600_302600_NS6detail15normal_iteratorINS8_10device_ptrIiEEEESD_SD_SD_jNS0_19identity_decomposerENS1_16block_id_wrapperIjLb0EEEEE10hipError_tT1_PNSt15iterator_traitsISI_E10value_typeET2_T3_PNSJ_ISO_E10value_typeET4_T5_PST_SU_PNS1_23onesweep_lookback_stateEbbT6_jjT7_P12ihipStream_tbENKUlT_T0_SI_SN_E_clIPiSD_S15_SD_EEDaS11_S12_SI_SN_EUlS11_E_NS1_11comp_targetILNS1_3genE5ELNS1_11target_archE942ELNS1_3gpuE9ELNS1_3repE0EEENS1_47radix_sort_onesweep_sort_config_static_selectorELNS0_4arch9wavefront6targetE1EEEvSI_.num_vgpr, 0
	.set _ZN7rocprim17ROCPRIM_400000_NS6detail17trampoline_kernelINS0_14default_configENS1_35radix_sort_onesweep_config_selectorIiiEEZZNS1_29radix_sort_onesweep_iterationIS3_Lb1EN6thrust23THRUST_200600_302600_NS6detail15normal_iteratorINS8_10device_ptrIiEEEESD_SD_SD_jNS0_19identity_decomposerENS1_16block_id_wrapperIjLb0EEEEE10hipError_tT1_PNSt15iterator_traitsISI_E10value_typeET2_T3_PNSJ_ISO_E10value_typeET4_T5_PST_SU_PNS1_23onesweep_lookback_stateEbbT6_jjT7_P12ihipStream_tbENKUlT_T0_SI_SN_E_clIPiSD_S15_SD_EEDaS11_S12_SI_SN_EUlS11_E_NS1_11comp_targetILNS1_3genE5ELNS1_11target_archE942ELNS1_3gpuE9ELNS1_3repE0EEENS1_47radix_sort_onesweep_sort_config_static_selectorELNS0_4arch9wavefront6targetE1EEEvSI_.num_agpr, 0
	.set _ZN7rocprim17ROCPRIM_400000_NS6detail17trampoline_kernelINS0_14default_configENS1_35radix_sort_onesweep_config_selectorIiiEEZZNS1_29radix_sort_onesweep_iterationIS3_Lb1EN6thrust23THRUST_200600_302600_NS6detail15normal_iteratorINS8_10device_ptrIiEEEESD_SD_SD_jNS0_19identity_decomposerENS1_16block_id_wrapperIjLb0EEEEE10hipError_tT1_PNSt15iterator_traitsISI_E10value_typeET2_T3_PNSJ_ISO_E10value_typeET4_T5_PST_SU_PNS1_23onesweep_lookback_stateEbbT6_jjT7_P12ihipStream_tbENKUlT_T0_SI_SN_E_clIPiSD_S15_SD_EEDaS11_S12_SI_SN_EUlS11_E_NS1_11comp_targetILNS1_3genE5ELNS1_11target_archE942ELNS1_3gpuE9ELNS1_3repE0EEENS1_47radix_sort_onesweep_sort_config_static_selectorELNS0_4arch9wavefront6targetE1EEEvSI_.numbered_sgpr, 0
	.set _ZN7rocprim17ROCPRIM_400000_NS6detail17trampoline_kernelINS0_14default_configENS1_35radix_sort_onesweep_config_selectorIiiEEZZNS1_29radix_sort_onesweep_iterationIS3_Lb1EN6thrust23THRUST_200600_302600_NS6detail15normal_iteratorINS8_10device_ptrIiEEEESD_SD_SD_jNS0_19identity_decomposerENS1_16block_id_wrapperIjLb0EEEEE10hipError_tT1_PNSt15iterator_traitsISI_E10value_typeET2_T3_PNSJ_ISO_E10value_typeET4_T5_PST_SU_PNS1_23onesweep_lookback_stateEbbT6_jjT7_P12ihipStream_tbENKUlT_T0_SI_SN_E_clIPiSD_S15_SD_EEDaS11_S12_SI_SN_EUlS11_E_NS1_11comp_targetILNS1_3genE5ELNS1_11target_archE942ELNS1_3gpuE9ELNS1_3repE0EEENS1_47radix_sort_onesweep_sort_config_static_selectorELNS0_4arch9wavefront6targetE1EEEvSI_.num_named_barrier, 0
	.set _ZN7rocprim17ROCPRIM_400000_NS6detail17trampoline_kernelINS0_14default_configENS1_35radix_sort_onesweep_config_selectorIiiEEZZNS1_29radix_sort_onesweep_iterationIS3_Lb1EN6thrust23THRUST_200600_302600_NS6detail15normal_iteratorINS8_10device_ptrIiEEEESD_SD_SD_jNS0_19identity_decomposerENS1_16block_id_wrapperIjLb0EEEEE10hipError_tT1_PNSt15iterator_traitsISI_E10value_typeET2_T3_PNSJ_ISO_E10value_typeET4_T5_PST_SU_PNS1_23onesweep_lookback_stateEbbT6_jjT7_P12ihipStream_tbENKUlT_T0_SI_SN_E_clIPiSD_S15_SD_EEDaS11_S12_SI_SN_EUlS11_E_NS1_11comp_targetILNS1_3genE5ELNS1_11target_archE942ELNS1_3gpuE9ELNS1_3repE0EEENS1_47radix_sort_onesweep_sort_config_static_selectorELNS0_4arch9wavefront6targetE1EEEvSI_.private_seg_size, 0
	.set _ZN7rocprim17ROCPRIM_400000_NS6detail17trampoline_kernelINS0_14default_configENS1_35radix_sort_onesweep_config_selectorIiiEEZZNS1_29radix_sort_onesweep_iterationIS3_Lb1EN6thrust23THRUST_200600_302600_NS6detail15normal_iteratorINS8_10device_ptrIiEEEESD_SD_SD_jNS0_19identity_decomposerENS1_16block_id_wrapperIjLb0EEEEE10hipError_tT1_PNSt15iterator_traitsISI_E10value_typeET2_T3_PNSJ_ISO_E10value_typeET4_T5_PST_SU_PNS1_23onesweep_lookback_stateEbbT6_jjT7_P12ihipStream_tbENKUlT_T0_SI_SN_E_clIPiSD_S15_SD_EEDaS11_S12_SI_SN_EUlS11_E_NS1_11comp_targetILNS1_3genE5ELNS1_11target_archE942ELNS1_3gpuE9ELNS1_3repE0EEENS1_47radix_sort_onesweep_sort_config_static_selectorELNS0_4arch9wavefront6targetE1EEEvSI_.uses_vcc, 0
	.set _ZN7rocprim17ROCPRIM_400000_NS6detail17trampoline_kernelINS0_14default_configENS1_35radix_sort_onesweep_config_selectorIiiEEZZNS1_29radix_sort_onesweep_iterationIS3_Lb1EN6thrust23THRUST_200600_302600_NS6detail15normal_iteratorINS8_10device_ptrIiEEEESD_SD_SD_jNS0_19identity_decomposerENS1_16block_id_wrapperIjLb0EEEEE10hipError_tT1_PNSt15iterator_traitsISI_E10value_typeET2_T3_PNSJ_ISO_E10value_typeET4_T5_PST_SU_PNS1_23onesweep_lookback_stateEbbT6_jjT7_P12ihipStream_tbENKUlT_T0_SI_SN_E_clIPiSD_S15_SD_EEDaS11_S12_SI_SN_EUlS11_E_NS1_11comp_targetILNS1_3genE5ELNS1_11target_archE942ELNS1_3gpuE9ELNS1_3repE0EEENS1_47radix_sort_onesweep_sort_config_static_selectorELNS0_4arch9wavefront6targetE1EEEvSI_.uses_flat_scratch, 0
	.set _ZN7rocprim17ROCPRIM_400000_NS6detail17trampoline_kernelINS0_14default_configENS1_35radix_sort_onesweep_config_selectorIiiEEZZNS1_29radix_sort_onesweep_iterationIS3_Lb1EN6thrust23THRUST_200600_302600_NS6detail15normal_iteratorINS8_10device_ptrIiEEEESD_SD_SD_jNS0_19identity_decomposerENS1_16block_id_wrapperIjLb0EEEEE10hipError_tT1_PNSt15iterator_traitsISI_E10value_typeET2_T3_PNSJ_ISO_E10value_typeET4_T5_PST_SU_PNS1_23onesweep_lookback_stateEbbT6_jjT7_P12ihipStream_tbENKUlT_T0_SI_SN_E_clIPiSD_S15_SD_EEDaS11_S12_SI_SN_EUlS11_E_NS1_11comp_targetILNS1_3genE5ELNS1_11target_archE942ELNS1_3gpuE9ELNS1_3repE0EEENS1_47radix_sort_onesweep_sort_config_static_selectorELNS0_4arch9wavefront6targetE1EEEvSI_.has_dyn_sized_stack, 0
	.set _ZN7rocprim17ROCPRIM_400000_NS6detail17trampoline_kernelINS0_14default_configENS1_35radix_sort_onesweep_config_selectorIiiEEZZNS1_29radix_sort_onesweep_iterationIS3_Lb1EN6thrust23THRUST_200600_302600_NS6detail15normal_iteratorINS8_10device_ptrIiEEEESD_SD_SD_jNS0_19identity_decomposerENS1_16block_id_wrapperIjLb0EEEEE10hipError_tT1_PNSt15iterator_traitsISI_E10value_typeET2_T3_PNSJ_ISO_E10value_typeET4_T5_PST_SU_PNS1_23onesweep_lookback_stateEbbT6_jjT7_P12ihipStream_tbENKUlT_T0_SI_SN_E_clIPiSD_S15_SD_EEDaS11_S12_SI_SN_EUlS11_E_NS1_11comp_targetILNS1_3genE5ELNS1_11target_archE942ELNS1_3gpuE9ELNS1_3repE0EEENS1_47radix_sort_onesweep_sort_config_static_selectorELNS0_4arch9wavefront6targetE1EEEvSI_.has_recursion, 0
	.set _ZN7rocprim17ROCPRIM_400000_NS6detail17trampoline_kernelINS0_14default_configENS1_35radix_sort_onesweep_config_selectorIiiEEZZNS1_29radix_sort_onesweep_iterationIS3_Lb1EN6thrust23THRUST_200600_302600_NS6detail15normal_iteratorINS8_10device_ptrIiEEEESD_SD_SD_jNS0_19identity_decomposerENS1_16block_id_wrapperIjLb0EEEEE10hipError_tT1_PNSt15iterator_traitsISI_E10value_typeET2_T3_PNSJ_ISO_E10value_typeET4_T5_PST_SU_PNS1_23onesweep_lookback_stateEbbT6_jjT7_P12ihipStream_tbENKUlT_T0_SI_SN_E_clIPiSD_S15_SD_EEDaS11_S12_SI_SN_EUlS11_E_NS1_11comp_targetILNS1_3genE5ELNS1_11target_archE942ELNS1_3gpuE9ELNS1_3repE0EEENS1_47radix_sort_onesweep_sort_config_static_selectorELNS0_4arch9wavefront6targetE1EEEvSI_.has_indirect_call, 0
	.section	.AMDGPU.csdata,"",@progbits
; Kernel info:
; codeLenInByte = 0
; TotalNumSgprs: 6
; NumVgprs: 0
; NumAgprs: 0
; TotalNumVgprs: 0
; ScratchSize: 0
; MemoryBound: 0
; FloatMode: 240
; IeeeMode: 1
; LDSByteSize: 0 bytes/workgroup (compile time only)
; SGPRBlocks: 0
; VGPRBlocks: 0
; NumSGPRsForWavesPerEU: 6
; NumVGPRsForWavesPerEU: 1
; AccumOffset: 4
; Occupancy: 8
; WaveLimiterHint : 0
; COMPUTE_PGM_RSRC2:SCRATCH_EN: 0
; COMPUTE_PGM_RSRC2:USER_SGPR: 2
; COMPUTE_PGM_RSRC2:TRAP_HANDLER: 0
; COMPUTE_PGM_RSRC2:TGID_X_EN: 1
; COMPUTE_PGM_RSRC2:TGID_Y_EN: 0
; COMPUTE_PGM_RSRC2:TGID_Z_EN: 0
; COMPUTE_PGM_RSRC2:TIDIG_COMP_CNT: 0
; COMPUTE_PGM_RSRC3_GFX90A:ACCUM_OFFSET: 0
; COMPUTE_PGM_RSRC3_GFX90A:TG_SPLIT: 0
	.section	.text._ZN7rocprim17ROCPRIM_400000_NS6detail17trampoline_kernelINS0_14default_configENS1_35radix_sort_onesweep_config_selectorIiiEEZZNS1_29radix_sort_onesweep_iterationIS3_Lb1EN6thrust23THRUST_200600_302600_NS6detail15normal_iteratorINS8_10device_ptrIiEEEESD_SD_SD_jNS0_19identity_decomposerENS1_16block_id_wrapperIjLb0EEEEE10hipError_tT1_PNSt15iterator_traitsISI_E10value_typeET2_T3_PNSJ_ISO_E10value_typeET4_T5_PST_SU_PNS1_23onesweep_lookback_stateEbbT6_jjT7_P12ihipStream_tbENKUlT_T0_SI_SN_E_clIPiSD_S15_SD_EEDaS11_S12_SI_SN_EUlS11_E_NS1_11comp_targetILNS1_3genE2ELNS1_11target_archE906ELNS1_3gpuE6ELNS1_3repE0EEENS1_47radix_sort_onesweep_sort_config_static_selectorELNS0_4arch9wavefront6targetE1EEEvSI_,"axG",@progbits,_ZN7rocprim17ROCPRIM_400000_NS6detail17trampoline_kernelINS0_14default_configENS1_35radix_sort_onesweep_config_selectorIiiEEZZNS1_29radix_sort_onesweep_iterationIS3_Lb1EN6thrust23THRUST_200600_302600_NS6detail15normal_iteratorINS8_10device_ptrIiEEEESD_SD_SD_jNS0_19identity_decomposerENS1_16block_id_wrapperIjLb0EEEEE10hipError_tT1_PNSt15iterator_traitsISI_E10value_typeET2_T3_PNSJ_ISO_E10value_typeET4_T5_PST_SU_PNS1_23onesweep_lookback_stateEbbT6_jjT7_P12ihipStream_tbENKUlT_T0_SI_SN_E_clIPiSD_S15_SD_EEDaS11_S12_SI_SN_EUlS11_E_NS1_11comp_targetILNS1_3genE2ELNS1_11target_archE906ELNS1_3gpuE6ELNS1_3repE0EEENS1_47radix_sort_onesweep_sort_config_static_selectorELNS0_4arch9wavefront6targetE1EEEvSI_,comdat
	.protected	_ZN7rocprim17ROCPRIM_400000_NS6detail17trampoline_kernelINS0_14default_configENS1_35radix_sort_onesweep_config_selectorIiiEEZZNS1_29radix_sort_onesweep_iterationIS3_Lb1EN6thrust23THRUST_200600_302600_NS6detail15normal_iteratorINS8_10device_ptrIiEEEESD_SD_SD_jNS0_19identity_decomposerENS1_16block_id_wrapperIjLb0EEEEE10hipError_tT1_PNSt15iterator_traitsISI_E10value_typeET2_T3_PNSJ_ISO_E10value_typeET4_T5_PST_SU_PNS1_23onesweep_lookback_stateEbbT6_jjT7_P12ihipStream_tbENKUlT_T0_SI_SN_E_clIPiSD_S15_SD_EEDaS11_S12_SI_SN_EUlS11_E_NS1_11comp_targetILNS1_3genE2ELNS1_11target_archE906ELNS1_3gpuE6ELNS1_3repE0EEENS1_47radix_sort_onesweep_sort_config_static_selectorELNS0_4arch9wavefront6targetE1EEEvSI_ ; -- Begin function _ZN7rocprim17ROCPRIM_400000_NS6detail17trampoline_kernelINS0_14default_configENS1_35radix_sort_onesweep_config_selectorIiiEEZZNS1_29radix_sort_onesweep_iterationIS3_Lb1EN6thrust23THRUST_200600_302600_NS6detail15normal_iteratorINS8_10device_ptrIiEEEESD_SD_SD_jNS0_19identity_decomposerENS1_16block_id_wrapperIjLb0EEEEE10hipError_tT1_PNSt15iterator_traitsISI_E10value_typeET2_T3_PNSJ_ISO_E10value_typeET4_T5_PST_SU_PNS1_23onesweep_lookback_stateEbbT6_jjT7_P12ihipStream_tbENKUlT_T0_SI_SN_E_clIPiSD_S15_SD_EEDaS11_S12_SI_SN_EUlS11_E_NS1_11comp_targetILNS1_3genE2ELNS1_11target_archE906ELNS1_3gpuE6ELNS1_3repE0EEENS1_47radix_sort_onesweep_sort_config_static_selectorELNS0_4arch9wavefront6targetE1EEEvSI_
	.globl	_ZN7rocprim17ROCPRIM_400000_NS6detail17trampoline_kernelINS0_14default_configENS1_35radix_sort_onesweep_config_selectorIiiEEZZNS1_29radix_sort_onesweep_iterationIS3_Lb1EN6thrust23THRUST_200600_302600_NS6detail15normal_iteratorINS8_10device_ptrIiEEEESD_SD_SD_jNS0_19identity_decomposerENS1_16block_id_wrapperIjLb0EEEEE10hipError_tT1_PNSt15iterator_traitsISI_E10value_typeET2_T3_PNSJ_ISO_E10value_typeET4_T5_PST_SU_PNS1_23onesweep_lookback_stateEbbT6_jjT7_P12ihipStream_tbENKUlT_T0_SI_SN_E_clIPiSD_S15_SD_EEDaS11_S12_SI_SN_EUlS11_E_NS1_11comp_targetILNS1_3genE2ELNS1_11target_archE906ELNS1_3gpuE6ELNS1_3repE0EEENS1_47radix_sort_onesweep_sort_config_static_selectorELNS0_4arch9wavefront6targetE1EEEvSI_
	.p2align	8
	.type	_ZN7rocprim17ROCPRIM_400000_NS6detail17trampoline_kernelINS0_14default_configENS1_35radix_sort_onesweep_config_selectorIiiEEZZNS1_29radix_sort_onesweep_iterationIS3_Lb1EN6thrust23THRUST_200600_302600_NS6detail15normal_iteratorINS8_10device_ptrIiEEEESD_SD_SD_jNS0_19identity_decomposerENS1_16block_id_wrapperIjLb0EEEEE10hipError_tT1_PNSt15iterator_traitsISI_E10value_typeET2_T3_PNSJ_ISO_E10value_typeET4_T5_PST_SU_PNS1_23onesweep_lookback_stateEbbT6_jjT7_P12ihipStream_tbENKUlT_T0_SI_SN_E_clIPiSD_S15_SD_EEDaS11_S12_SI_SN_EUlS11_E_NS1_11comp_targetILNS1_3genE2ELNS1_11target_archE906ELNS1_3gpuE6ELNS1_3repE0EEENS1_47radix_sort_onesweep_sort_config_static_selectorELNS0_4arch9wavefront6targetE1EEEvSI_,@function
_ZN7rocprim17ROCPRIM_400000_NS6detail17trampoline_kernelINS0_14default_configENS1_35radix_sort_onesweep_config_selectorIiiEEZZNS1_29radix_sort_onesweep_iterationIS3_Lb1EN6thrust23THRUST_200600_302600_NS6detail15normal_iteratorINS8_10device_ptrIiEEEESD_SD_SD_jNS0_19identity_decomposerENS1_16block_id_wrapperIjLb0EEEEE10hipError_tT1_PNSt15iterator_traitsISI_E10value_typeET2_T3_PNSJ_ISO_E10value_typeET4_T5_PST_SU_PNS1_23onesweep_lookback_stateEbbT6_jjT7_P12ihipStream_tbENKUlT_T0_SI_SN_E_clIPiSD_S15_SD_EEDaS11_S12_SI_SN_EUlS11_E_NS1_11comp_targetILNS1_3genE2ELNS1_11target_archE906ELNS1_3gpuE6ELNS1_3repE0EEENS1_47radix_sort_onesweep_sort_config_static_selectorELNS0_4arch9wavefront6targetE1EEEvSI_: ; @_ZN7rocprim17ROCPRIM_400000_NS6detail17trampoline_kernelINS0_14default_configENS1_35radix_sort_onesweep_config_selectorIiiEEZZNS1_29radix_sort_onesweep_iterationIS3_Lb1EN6thrust23THRUST_200600_302600_NS6detail15normal_iteratorINS8_10device_ptrIiEEEESD_SD_SD_jNS0_19identity_decomposerENS1_16block_id_wrapperIjLb0EEEEE10hipError_tT1_PNSt15iterator_traitsISI_E10value_typeET2_T3_PNSJ_ISO_E10value_typeET4_T5_PST_SU_PNS1_23onesweep_lookback_stateEbbT6_jjT7_P12ihipStream_tbENKUlT_T0_SI_SN_E_clIPiSD_S15_SD_EEDaS11_S12_SI_SN_EUlS11_E_NS1_11comp_targetILNS1_3genE2ELNS1_11target_archE906ELNS1_3gpuE6ELNS1_3repE0EEENS1_47radix_sort_onesweep_sort_config_static_selectorELNS0_4arch9wavefront6targetE1EEEvSI_
; %bb.0:
	.section	.rodata,"a",@progbits
	.p2align	6, 0x0
	.amdhsa_kernel _ZN7rocprim17ROCPRIM_400000_NS6detail17trampoline_kernelINS0_14default_configENS1_35radix_sort_onesweep_config_selectorIiiEEZZNS1_29radix_sort_onesweep_iterationIS3_Lb1EN6thrust23THRUST_200600_302600_NS6detail15normal_iteratorINS8_10device_ptrIiEEEESD_SD_SD_jNS0_19identity_decomposerENS1_16block_id_wrapperIjLb0EEEEE10hipError_tT1_PNSt15iterator_traitsISI_E10value_typeET2_T3_PNSJ_ISO_E10value_typeET4_T5_PST_SU_PNS1_23onesweep_lookback_stateEbbT6_jjT7_P12ihipStream_tbENKUlT_T0_SI_SN_E_clIPiSD_S15_SD_EEDaS11_S12_SI_SN_EUlS11_E_NS1_11comp_targetILNS1_3genE2ELNS1_11target_archE906ELNS1_3gpuE6ELNS1_3repE0EEENS1_47radix_sort_onesweep_sort_config_static_selectorELNS0_4arch9wavefront6targetE1EEEvSI_
		.amdhsa_group_segment_fixed_size 0
		.amdhsa_private_segment_fixed_size 0
		.amdhsa_kernarg_size 88
		.amdhsa_user_sgpr_count 2
		.amdhsa_user_sgpr_dispatch_ptr 0
		.amdhsa_user_sgpr_queue_ptr 0
		.amdhsa_user_sgpr_kernarg_segment_ptr 1
		.amdhsa_user_sgpr_dispatch_id 0
		.amdhsa_user_sgpr_kernarg_preload_length 0
		.amdhsa_user_sgpr_kernarg_preload_offset 0
		.amdhsa_user_sgpr_private_segment_size 0
		.amdhsa_uses_dynamic_stack 0
		.amdhsa_enable_private_segment 0
		.amdhsa_system_sgpr_workgroup_id_x 1
		.amdhsa_system_sgpr_workgroup_id_y 0
		.amdhsa_system_sgpr_workgroup_id_z 0
		.amdhsa_system_sgpr_workgroup_info 0
		.amdhsa_system_vgpr_workitem_id 0
		.amdhsa_next_free_vgpr 1
		.amdhsa_next_free_sgpr 0
		.amdhsa_accum_offset 4
		.amdhsa_reserve_vcc 0
		.amdhsa_float_round_mode_32 0
		.amdhsa_float_round_mode_16_64 0
		.amdhsa_float_denorm_mode_32 3
		.amdhsa_float_denorm_mode_16_64 3
		.amdhsa_dx10_clamp 1
		.amdhsa_ieee_mode 1
		.amdhsa_fp16_overflow 0
		.amdhsa_tg_split 0
		.amdhsa_exception_fp_ieee_invalid_op 0
		.amdhsa_exception_fp_denorm_src 0
		.amdhsa_exception_fp_ieee_div_zero 0
		.amdhsa_exception_fp_ieee_overflow 0
		.amdhsa_exception_fp_ieee_underflow 0
		.amdhsa_exception_fp_ieee_inexact 0
		.amdhsa_exception_int_div_zero 0
	.end_amdhsa_kernel
	.section	.text._ZN7rocprim17ROCPRIM_400000_NS6detail17trampoline_kernelINS0_14default_configENS1_35radix_sort_onesweep_config_selectorIiiEEZZNS1_29radix_sort_onesweep_iterationIS3_Lb1EN6thrust23THRUST_200600_302600_NS6detail15normal_iteratorINS8_10device_ptrIiEEEESD_SD_SD_jNS0_19identity_decomposerENS1_16block_id_wrapperIjLb0EEEEE10hipError_tT1_PNSt15iterator_traitsISI_E10value_typeET2_T3_PNSJ_ISO_E10value_typeET4_T5_PST_SU_PNS1_23onesweep_lookback_stateEbbT6_jjT7_P12ihipStream_tbENKUlT_T0_SI_SN_E_clIPiSD_S15_SD_EEDaS11_S12_SI_SN_EUlS11_E_NS1_11comp_targetILNS1_3genE2ELNS1_11target_archE906ELNS1_3gpuE6ELNS1_3repE0EEENS1_47radix_sort_onesweep_sort_config_static_selectorELNS0_4arch9wavefront6targetE1EEEvSI_,"axG",@progbits,_ZN7rocprim17ROCPRIM_400000_NS6detail17trampoline_kernelINS0_14default_configENS1_35radix_sort_onesweep_config_selectorIiiEEZZNS1_29radix_sort_onesweep_iterationIS3_Lb1EN6thrust23THRUST_200600_302600_NS6detail15normal_iteratorINS8_10device_ptrIiEEEESD_SD_SD_jNS0_19identity_decomposerENS1_16block_id_wrapperIjLb0EEEEE10hipError_tT1_PNSt15iterator_traitsISI_E10value_typeET2_T3_PNSJ_ISO_E10value_typeET4_T5_PST_SU_PNS1_23onesweep_lookback_stateEbbT6_jjT7_P12ihipStream_tbENKUlT_T0_SI_SN_E_clIPiSD_S15_SD_EEDaS11_S12_SI_SN_EUlS11_E_NS1_11comp_targetILNS1_3genE2ELNS1_11target_archE906ELNS1_3gpuE6ELNS1_3repE0EEENS1_47radix_sort_onesweep_sort_config_static_selectorELNS0_4arch9wavefront6targetE1EEEvSI_,comdat
.Lfunc_end1885:
	.size	_ZN7rocprim17ROCPRIM_400000_NS6detail17trampoline_kernelINS0_14default_configENS1_35radix_sort_onesweep_config_selectorIiiEEZZNS1_29radix_sort_onesweep_iterationIS3_Lb1EN6thrust23THRUST_200600_302600_NS6detail15normal_iteratorINS8_10device_ptrIiEEEESD_SD_SD_jNS0_19identity_decomposerENS1_16block_id_wrapperIjLb0EEEEE10hipError_tT1_PNSt15iterator_traitsISI_E10value_typeET2_T3_PNSJ_ISO_E10value_typeET4_T5_PST_SU_PNS1_23onesweep_lookback_stateEbbT6_jjT7_P12ihipStream_tbENKUlT_T0_SI_SN_E_clIPiSD_S15_SD_EEDaS11_S12_SI_SN_EUlS11_E_NS1_11comp_targetILNS1_3genE2ELNS1_11target_archE906ELNS1_3gpuE6ELNS1_3repE0EEENS1_47radix_sort_onesweep_sort_config_static_selectorELNS0_4arch9wavefront6targetE1EEEvSI_, .Lfunc_end1885-_ZN7rocprim17ROCPRIM_400000_NS6detail17trampoline_kernelINS0_14default_configENS1_35radix_sort_onesweep_config_selectorIiiEEZZNS1_29radix_sort_onesweep_iterationIS3_Lb1EN6thrust23THRUST_200600_302600_NS6detail15normal_iteratorINS8_10device_ptrIiEEEESD_SD_SD_jNS0_19identity_decomposerENS1_16block_id_wrapperIjLb0EEEEE10hipError_tT1_PNSt15iterator_traitsISI_E10value_typeET2_T3_PNSJ_ISO_E10value_typeET4_T5_PST_SU_PNS1_23onesweep_lookback_stateEbbT6_jjT7_P12ihipStream_tbENKUlT_T0_SI_SN_E_clIPiSD_S15_SD_EEDaS11_S12_SI_SN_EUlS11_E_NS1_11comp_targetILNS1_3genE2ELNS1_11target_archE906ELNS1_3gpuE6ELNS1_3repE0EEENS1_47radix_sort_onesweep_sort_config_static_selectorELNS0_4arch9wavefront6targetE1EEEvSI_
                                        ; -- End function
	.set _ZN7rocprim17ROCPRIM_400000_NS6detail17trampoline_kernelINS0_14default_configENS1_35radix_sort_onesweep_config_selectorIiiEEZZNS1_29radix_sort_onesweep_iterationIS3_Lb1EN6thrust23THRUST_200600_302600_NS6detail15normal_iteratorINS8_10device_ptrIiEEEESD_SD_SD_jNS0_19identity_decomposerENS1_16block_id_wrapperIjLb0EEEEE10hipError_tT1_PNSt15iterator_traitsISI_E10value_typeET2_T3_PNSJ_ISO_E10value_typeET4_T5_PST_SU_PNS1_23onesweep_lookback_stateEbbT6_jjT7_P12ihipStream_tbENKUlT_T0_SI_SN_E_clIPiSD_S15_SD_EEDaS11_S12_SI_SN_EUlS11_E_NS1_11comp_targetILNS1_3genE2ELNS1_11target_archE906ELNS1_3gpuE6ELNS1_3repE0EEENS1_47radix_sort_onesweep_sort_config_static_selectorELNS0_4arch9wavefront6targetE1EEEvSI_.num_vgpr, 0
	.set _ZN7rocprim17ROCPRIM_400000_NS6detail17trampoline_kernelINS0_14default_configENS1_35radix_sort_onesweep_config_selectorIiiEEZZNS1_29radix_sort_onesweep_iterationIS3_Lb1EN6thrust23THRUST_200600_302600_NS6detail15normal_iteratorINS8_10device_ptrIiEEEESD_SD_SD_jNS0_19identity_decomposerENS1_16block_id_wrapperIjLb0EEEEE10hipError_tT1_PNSt15iterator_traitsISI_E10value_typeET2_T3_PNSJ_ISO_E10value_typeET4_T5_PST_SU_PNS1_23onesweep_lookback_stateEbbT6_jjT7_P12ihipStream_tbENKUlT_T0_SI_SN_E_clIPiSD_S15_SD_EEDaS11_S12_SI_SN_EUlS11_E_NS1_11comp_targetILNS1_3genE2ELNS1_11target_archE906ELNS1_3gpuE6ELNS1_3repE0EEENS1_47radix_sort_onesweep_sort_config_static_selectorELNS0_4arch9wavefront6targetE1EEEvSI_.num_agpr, 0
	.set _ZN7rocprim17ROCPRIM_400000_NS6detail17trampoline_kernelINS0_14default_configENS1_35radix_sort_onesweep_config_selectorIiiEEZZNS1_29radix_sort_onesweep_iterationIS3_Lb1EN6thrust23THRUST_200600_302600_NS6detail15normal_iteratorINS8_10device_ptrIiEEEESD_SD_SD_jNS0_19identity_decomposerENS1_16block_id_wrapperIjLb0EEEEE10hipError_tT1_PNSt15iterator_traitsISI_E10value_typeET2_T3_PNSJ_ISO_E10value_typeET4_T5_PST_SU_PNS1_23onesweep_lookback_stateEbbT6_jjT7_P12ihipStream_tbENKUlT_T0_SI_SN_E_clIPiSD_S15_SD_EEDaS11_S12_SI_SN_EUlS11_E_NS1_11comp_targetILNS1_3genE2ELNS1_11target_archE906ELNS1_3gpuE6ELNS1_3repE0EEENS1_47radix_sort_onesweep_sort_config_static_selectorELNS0_4arch9wavefront6targetE1EEEvSI_.numbered_sgpr, 0
	.set _ZN7rocprim17ROCPRIM_400000_NS6detail17trampoline_kernelINS0_14default_configENS1_35radix_sort_onesweep_config_selectorIiiEEZZNS1_29radix_sort_onesweep_iterationIS3_Lb1EN6thrust23THRUST_200600_302600_NS6detail15normal_iteratorINS8_10device_ptrIiEEEESD_SD_SD_jNS0_19identity_decomposerENS1_16block_id_wrapperIjLb0EEEEE10hipError_tT1_PNSt15iterator_traitsISI_E10value_typeET2_T3_PNSJ_ISO_E10value_typeET4_T5_PST_SU_PNS1_23onesweep_lookback_stateEbbT6_jjT7_P12ihipStream_tbENKUlT_T0_SI_SN_E_clIPiSD_S15_SD_EEDaS11_S12_SI_SN_EUlS11_E_NS1_11comp_targetILNS1_3genE2ELNS1_11target_archE906ELNS1_3gpuE6ELNS1_3repE0EEENS1_47radix_sort_onesweep_sort_config_static_selectorELNS0_4arch9wavefront6targetE1EEEvSI_.num_named_barrier, 0
	.set _ZN7rocprim17ROCPRIM_400000_NS6detail17trampoline_kernelINS0_14default_configENS1_35radix_sort_onesweep_config_selectorIiiEEZZNS1_29radix_sort_onesweep_iterationIS3_Lb1EN6thrust23THRUST_200600_302600_NS6detail15normal_iteratorINS8_10device_ptrIiEEEESD_SD_SD_jNS0_19identity_decomposerENS1_16block_id_wrapperIjLb0EEEEE10hipError_tT1_PNSt15iterator_traitsISI_E10value_typeET2_T3_PNSJ_ISO_E10value_typeET4_T5_PST_SU_PNS1_23onesweep_lookback_stateEbbT6_jjT7_P12ihipStream_tbENKUlT_T0_SI_SN_E_clIPiSD_S15_SD_EEDaS11_S12_SI_SN_EUlS11_E_NS1_11comp_targetILNS1_3genE2ELNS1_11target_archE906ELNS1_3gpuE6ELNS1_3repE0EEENS1_47radix_sort_onesweep_sort_config_static_selectorELNS0_4arch9wavefront6targetE1EEEvSI_.private_seg_size, 0
	.set _ZN7rocprim17ROCPRIM_400000_NS6detail17trampoline_kernelINS0_14default_configENS1_35radix_sort_onesweep_config_selectorIiiEEZZNS1_29radix_sort_onesweep_iterationIS3_Lb1EN6thrust23THRUST_200600_302600_NS6detail15normal_iteratorINS8_10device_ptrIiEEEESD_SD_SD_jNS0_19identity_decomposerENS1_16block_id_wrapperIjLb0EEEEE10hipError_tT1_PNSt15iterator_traitsISI_E10value_typeET2_T3_PNSJ_ISO_E10value_typeET4_T5_PST_SU_PNS1_23onesweep_lookback_stateEbbT6_jjT7_P12ihipStream_tbENKUlT_T0_SI_SN_E_clIPiSD_S15_SD_EEDaS11_S12_SI_SN_EUlS11_E_NS1_11comp_targetILNS1_3genE2ELNS1_11target_archE906ELNS1_3gpuE6ELNS1_3repE0EEENS1_47radix_sort_onesweep_sort_config_static_selectorELNS0_4arch9wavefront6targetE1EEEvSI_.uses_vcc, 0
	.set _ZN7rocprim17ROCPRIM_400000_NS6detail17trampoline_kernelINS0_14default_configENS1_35radix_sort_onesweep_config_selectorIiiEEZZNS1_29radix_sort_onesweep_iterationIS3_Lb1EN6thrust23THRUST_200600_302600_NS6detail15normal_iteratorINS8_10device_ptrIiEEEESD_SD_SD_jNS0_19identity_decomposerENS1_16block_id_wrapperIjLb0EEEEE10hipError_tT1_PNSt15iterator_traitsISI_E10value_typeET2_T3_PNSJ_ISO_E10value_typeET4_T5_PST_SU_PNS1_23onesweep_lookback_stateEbbT6_jjT7_P12ihipStream_tbENKUlT_T0_SI_SN_E_clIPiSD_S15_SD_EEDaS11_S12_SI_SN_EUlS11_E_NS1_11comp_targetILNS1_3genE2ELNS1_11target_archE906ELNS1_3gpuE6ELNS1_3repE0EEENS1_47radix_sort_onesweep_sort_config_static_selectorELNS0_4arch9wavefront6targetE1EEEvSI_.uses_flat_scratch, 0
	.set _ZN7rocprim17ROCPRIM_400000_NS6detail17trampoline_kernelINS0_14default_configENS1_35radix_sort_onesweep_config_selectorIiiEEZZNS1_29radix_sort_onesweep_iterationIS3_Lb1EN6thrust23THRUST_200600_302600_NS6detail15normal_iteratorINS8_10device_ptrIiEEEESD_SD_SD_jNS0_19identity_decomposerENS1_16block_id_wrapperIjLb0EEEEE10hipError_tT1_PNSt15iterator_traitsISI_E10value_typeET2_T3_PNSJ_ISO_E10value_typeET4_T5_PST_SU_PNS1_23onesweep_lookback_stateEbbT6_jjT7_P12ihipStream_tbENKUlT_T0_SI_SN_E_clIPiSD_S15_SD_EEDaS11_S12_SI_SN_EUlS11_E_NS1_11comp_targetILNS1_3genE2ELNS1_11target_archE906ELNS1_3gpuE6ELNS1_3repE0EEENS1_47radix_sort_onesweep_sort_config_static_selectorELNS0_4arch9wavefront6targetE1EEEvSI_.has_dyn_sized_stack, 0
	.set _ZN7rocprim17ROCPRIM_400000_NS6detail17trampoline_kernelINS0_14default_configENS1_35radix_sort_onesweep_config_selectorIiiEEZZNS1_29radix_sort_onesweep_iterationIS3_Lb1EN6thrust23THRUST_200600_302600_NS6detail15normal_iteratorINS8_10device_ptrIiEEEESD_SD_SD_jNS0_19identity_decomposerENS1_16block_id_wrapperIjLb0EEEEE10hipError_tT1_PNSt15iterator_traitsISI_E10value_typeET2_T3_PNSJ_ISO_E10value_typeET4_T5_PST_SU_PNS1_23onesweep_lookback_stateEbbT6_jjT7_P12ihipStream_tbENKUlT_T0_SI_SN_E_clIPiSD_S15_SD_EEDaS11_S12_SI_SN_EUlS11_E_NS1_11comp_targetILNS1_3genE2ELNS1_11target_archE906ELNS1_3gpuE6ELNS1_3repE0EEENS1_47radix_sort_onesweep_sort_config_static_selectorELNS0_4arch9wavefront6targetE1EEEvSI_.has_recursion, 0
	.set _ZN7rocprim17ROCPRIM_400000_NS6detail17trampoline_kernelINS0_14default_configENS1_35radix_sort_onesweep_config_selectorIiiEEZZNS1_29radix_sort_onesweep_iterationIS3_Lb1EN6thrust23THRUST_200600_302600_NS6detail15normal_iteratorINS8_10device_ptrIiEEEESD_SD_SD_jNS0_19identity_decomposerENS1_16block_id_wrapperIjLb0EEEEE10hipError_tT1_PNSt15iterator_traitsISI_E10value_typeET2_T3_PNSJ_ISO_E10value_typeET4_T5_PST_SU_PNS1_23onesweep_lookback_stateEbbT6_jjT7_P12ihipStream_tbENKUlT_T0_SI_SN_E_clIPiSD_S15_SD_EEDaS11_S12_SI_SN_EUlS11_E_NS1_11comp_targetILNS1_3genE2ELNS1_11target_archE906ELNS1_3gpuE6ELNS1_3repE0EEENS1_47radix_sort_onesweep_sort_config_static_selectorELNS0_4arch9wavefront6targetE1EEEvSI_.has_indirect_call, 0
	.section	.AMDGPU.csdata,"",@progbits
; Kernel info:
; codeLenInByte = 0
; TotalNumSgprs: 6
; NumVgprs: 0
; NumAgprs: 0
; TotalNumVgprs: 0
; ScratchSize: 0
; MemoryBound: 0
; FloatMode: 240
; IeeeMode: 1
; LDSByteSize: 0 bytes/workgroup (compile time only)
; SGPRBlocks: 0
; VGPRBlocks: 0
; NumSGPRsForWavesPerEU: 6
; NumVGPRsForWavesPerEU: 1
; AccumOffset: 4
; Occupancy: 8
; WaveLimiterHint : 0
; COMPUTE_PGM_RSRC2:SCRATCH_EN: 0
; COMPUTE_PGM_RSRC2:USER_SGPR: 2
; COMPUTE_PGM_RSRC2:TRAP_HANDLER: 0
; COMPUTE_PGM_RSRC2:TGID_X_EN: 1
; COMPUTE_PGM_RSRC2:TGID_Y_EN: 0
; COMPUTE_PGM_RSRC2:TGID_Z_EN: 0
; COMPUTE_PGM_RSRC2:TIDIG_COMP_CNT: 0
; COMPUTE_PGM_RSRC3_GFX90A:ACCUM_OFFSET: 0
; COMPUTE_PGM_RSRC3_GFX90A:TG_SPLIT: 0
	.section	.text._ZN7rocprim17ROCPRIM_400000_NS6detail17trampoline_kernelINS0_14default_configENS1_35radix_sort_onesweep_config_selectorIiiEEZZNS1_29radix_sort_onesweep_iterationIS3_Lb1EN6thrust23THRUST_200600_302600_NS6detail15normal_iteratorINS8_10device_ptrIiEEEESD_SD_SD_jNS0_19identity_decomposerENS1_16block_id_wrapperIjLb0EEEEE10hipError_tT1_PNSt15iterator_traitsISI_E10value_typeET2_T3_PNSJ_ISO_E10value_typeET4_T5_PST_SU_PNS1_23onesweep_lookback_stateEbbT6_jjT7_P12ihipStream_tbENKUlT_T0_SI_SN_E_clIPiSD_S15_SD_EEDaS11_S12_SI_SN_EUlS11_E_NS1_11comp_targetILNS1_3genE4ELNS1_11target_archE910ELNS1_3gpuE8ELNS1_3repE0EEENS1_47radix_sort_onesweep_sort_config_static_selectorELNS0_4arch9wavefront6targetE1EEEvSI_,"axG",@progbits,_ZN7rocprim17ROCPRIM_400000_NS6detail17trampoline_kernelINS0_14default_configENS1_35radix_sort_onesweep_config_selectorIiiEEZZNS1_29radix_sort_onesweep_iterationIS3_Lb1EN6thrust23THRUST_200600_302600_NS6detail15normal_iteratorINS8_10device_ptrIiEEEESD_SD_SD_jNS0_19identity_decomposerENS1_16block_id_wrapperIjLb0EEEEE10hipError_tT1_PNSt15iterator_traitsISI_E10value_typeET2_T3_PNSJ_ISO_E10value_typeET4_T5_PST_SU_PNS1_23onesweep_lookback_stateEbbT6_jjT7_P12ihipStream_tbENKUlT_T0_SI_SN_E_clIPiSD_S15_SD_EEDaS11_S12_SI_SN_EUlS11_E_NS1_11comp_targetILNS1_3genE4ELNS1_11target_archE910ELNS1_3gpuE8ELNS1_3repE0EEENS1_47radix_sort_onesweep_sort_config_static_selectorELNS0_4arch9wavefront6targetE1EEEvSI_,comdat
	.protected	_ZN7rocprim17ROCPRIM_400000_NS6detail17trampoline_kernelINS0_14default_configENS1_35radix_sort_onesweep_config_selectorIiiEEZZNS1_29radix_sort_onesweep_iterationIS3_Lb1EN6thrust23THRUST_200600_302600_NS6detail15normal_iteratorINS8_10device_ptrIiEEEESD_SD_SD_jNS0_19identity_decomposerENS1_16block_id_wrapperIjLb0EEEEE10hipError_tT1_PNSt15iterator_traitsISI_E10value_typeET2_T3_PNSJ_ISO_E10value_typeET4_T5_PST_SU_PNS1_23onesweep_lookback_stateEbbT6_jjT7_P12ihipStream_tbENKUlT_T0_SI_SN_E_clIPiSD_S15_SD_EEDaS11_S12_SI_SN_EUlS11_E_NS1_11comp_targetILNS1_3genE4ELNS1_11target_archE910ELNS1_3gpuE8ELNS1_3repE0EEENS1_47radix_sort_onesweep_sort_config_static_selectorELNS0_4arch9wavefront6targetE1EEEvSI_ ; -- Begin function _ZN7rocprim17ROCPRIM_400000_NS6detail17trampoline_kernelINS0_14default_configENS1_35radix_sort_onesweep_config_selectorIiiEEZZNS1_29radix_sort_onesweep_iterationIS3_Lb1EN6thrust23THRUST_200600_302600_NS6detail15normal_iteratorINS8_10device_ptrIiEEEESD_SD_SD_jNS0_19identity_decomposerENS1_16block_id_wrapperIjLb0EEEEE10hipError_tT1_PNSt15iterator_traitsISI_E10value_typeET2_T3_PNSJ_ISO_E10value_typeET4_T5_PST_SU_PNS1_23onesweep_lookback_stateEbbT6_jjT7_P12ihipStream_tbENKUlT_T0_SI_SN_E_clIPiSD_S15_SD_EEDaS11_S12_SI_SN_EUlS11_E_NS1_11comp_targetILNS1_3genE4ELNS1_11target_archE910ELNS1_3gpuE8ELNS1_3repE0EEENS1_47radix_sort_onesweep_sort_config_static_selectorELNS0_4arch9wavefront6targetE1EEEvSI_
	.globl	_ZN7rocprim17ROCPRIM_400000_NS6detail17trampoline_kernelINS0_14default_configENS1_35radix_sort_onesweep_config_selectorIiiEEZZNS1_29radix_sort_onesweep_iterationIS3_Lb1EN6thrust23THRUST_200600_302600_NS6detail15normal_iteratorINS8_10device_ptrIiEEEESD_SD_SD_jNS0_19identity_decomposerENS1_16block_id_wrapperIjLb0EEEEE10hipError_tT1_PNSt15iterator_traitsISI_E10value_typeET2_T3_PNSJ_ISO_E10value_typeET4_T5_PST_SU_PNS1_23onesweep_lookback_stateEbbT6_jjT7_P12ihipStream_tbENKUlT_T0_SI_SN_E_clIPiSD_S15_SD_EEDaS11_S12_SI_SN_EUlS11_E_NS1_11comp_targetILNS1_3genE4ELNS1_11target_archE910ELNS1_3gpuE8ELNS1_3repE0EEENS1_47radix_sort_onesweep_sort_config_static_selectorELNS0_4arch9wavefront6targetE1EEEvSI_
	.p2align	8
	.type	_ZN7rocprim17ROCPRIM_400000_NS6detail17trampoline_kernelINS0_14default_configENS1_35radix_sort_onesweep_config_selectorIiiEEZZNS1_29radix_sort_onesweep_iterationIS3_Lb1EN6thrust23THRUST_200600_302600_NS6detail15normal_iteratorINS8_10device_ptrIiEEEESD_SD_SD_jNS0_19identity_decomposerENS1_16block_id_wrapperIjLb0EEEEE10hipError_tT1_PNSt15iterator_traitsISI_E10value_typeET2_T3_PNSJ_ISO_E10value_typeET4_T5_PST_SU_PNS1_23onesweep_lookback_stateEbbT6_jjT7_P12ihipStream_tbENKUlT_T0_SI_SN_E_clIPiSD_S15_SD_EEDaS11_S12_SI_SN_EUlS11_E_NS1_11comp_targetILNS1_3genE4ELNS1_11target_archE910ELNS1_3gpuE8ELNS1_3repE0EEENS1_47radix_sort_onesweep_sort_config_static_selectorELNS0_4arch9wavefront6targetE1EEEvSI_,@function
_ZN7rocprim17ROCPRIM_400000_NS6detail17trampoline_kernelINS0_14default_configENS1_35radix_sort_onesweep_config_selectorIiiEEZZNS1_29radix_sort_onesweep_iterationIS3_Lb1EN6thrust23THRUST_200600_302600_NS6detail15normal_iteratorINS8_10device_ptrIiEEEESD_SD_SD_jNS0_19identity_decomposerENS1_16block_id_wrapperIjLb0EEEEE10hipError_tT1_PNSt15iterator_traitsISI_E10value_typeET2_T3_PNSJ_ISO_E10value_typeET4_T5_PST_SU_PNS1_23onesweep_lookback_stateEbbT6_jjT7_P12ihipStream_tbENKUlT_T0_SI_SN_E_clIPiSD_S15_SD_EEDaS11_S12_SI_SN_EUlS11_E_NS1_11comp_targetILNS1_3genE4ELNS1_11target_archE910ELNS1_3gpuE8ELNS1_3repE0EEENS1_47radix_sort_onesweep_sort_config_static_selectorELNS0_4arch9wavefront6targetE1EEEvSI_: ; @_ZN7rocprim17ROCPRIM_400000_NS6detail17trampoline_kernelINS0_14default_configENS1_35radix_sort_onesweep_config_selectorIiiEEZZNS1_29radix_sort_onesweep_iterationIS3_Lb1EN6thrust23THRUST_200600_302600_NS6detail15normal_iteratorINS8_10device_ptrIiEEEESD_SD_SD_jNS0_19identity_decomposerENS1_16block_id_wrapperIjLb0EEEEE10hipError_tT1_PNSt15iterator_traitsISI_E10value_typeET2_T3_PNSJ_ISO_E10value_typeET4_T5_PST_SU_PNS1_23onesweep_lookback_stateEbbT6_jjT7_P12ihipStream_tbENKUlT_T0_SI_SN_E_clIPiSD_S15_SD_EEDaS11_S12_SI_SN_EUlS11_E_NS1_11comp_targetILNS1_3genE4ELNS1_11target_archE910ELNS1_3gpuE8ELNS1_3repE0EEENS1_47radix_sort_onesweep_sort_config_static_selectorELNS0_4arch9wavefront6targetE1EEEvSI_
; %bb.0:
	.section	.rodata,"a",@progbits
	.p2align	6, 0x0
	.amdhsa_kernel _ZN7rocprim17ROCPRIM_400000_NS6detail17trampoline_kernelINS0_14default_configENS1_35radix_sort_onesweep_config_selectorIiiEEZZNS1_29radix_sort_onesweep_iterationIS3_Lb1EN6thrust23THRUST_200600_302600_NS6detail15normal_iteratorINS8_10device_ptrIiEEEESD_SD_SD_jNS0_19identity_decomposerENS1_16block_id_wrapperIjLb0EEEEE10hipError_tT1_PNSt15iterator_traitsISI_E10value_typeET2_T3_PNSJ_ISO_E10value_typeET4_T5_PST_SU_PNS1_23onesweep_lookback_stateEbbT6_jjT7_P12ihipStream_tbENKUlT_T0_SI_SN_E_clIPiSD_S15_SD_EEDaS11_S12_SI_SN_EUlS11_E_NS1_11comp_targetILNS1_3genE4ELNS1_11target_archE910ELNS1_3gpuE8ELNS1_3repE0EEENS1_47radix_sort_onesweep_sort_config_static_selectorELNS0_4arch9wavefront6targetE1EEEvSI_
		.amdhsa_group_segment_fixed_size 0
		.amdhsa_private_segment_fixed_size 0
		.amdhsa_kernarg_size 88
		.amdhsa_user_sgpr_count 2
		.amdhsa_user_sgpr_dispatch_ptr 0
		.amdhsa_user_sgpr_queue_ptr 0
		.amdhsa_user_sgpr_kernarg_segment_ptr 1
		.amdhsa_user_sgpr_dispatch_id 0
		.amdhsa_user_sgpr_kernarg_preload_length 0
		.amdhsa_user_sgpr_kernarg_preload_offset 0
		.amdhsa_user_sgpr_private_segment_size 0
		.amdhsa_uses_dynamic_stack 0
		.amdhsa_enable_private_segment 0
		.amdhsa_system_sgpr_workgroup_id_x 1
		.amdhsa_system_sgpr_workgroup_id_y 0
		.amdhsa_system_sgpr_workgroup_id_z 0
		.amdhsa_system_sgpr_workgroup_info 0
		.amdhsa_system_vgpr_workitem_id 0
		.amdhsa_next_free_vgpr 1
		.amdhsa_next_free_sgpr 0
		.amdhsa_accum_offset 4
		.amdhsa_reserve_vcc 0
		.amdhsa_float_round_mode_32 0
		.amdhsa_float_round_mode_16_64 0
		.amdhsa_float_denorm_mode_32 3
		.amdhsa_float_denorm_mode_16_64 3
		.amdhsa_dx10_clamp 1
		.amdhsa_ieee_mode 1
		.amdhsa_fp16_overflow 0
		.amdhsa_tg_split 0
		.amdhsa_exception_fp_ieee_invalid_op 0
		.amdhsa_exception_fp_denorm_src 0
		.amdhsa_exception_fp_ieee_div_zero 0
		.amdhsa_exception_fp_ieee_overflow 0
		.amdhsa_exception_fp_ieee_underflow 0
		.amdhsa_exception_fp_ieee_inexact 0
		.amdhsa_exception_int_div_zero 0
	.end_amdhsa_kernel
	.section	.text._ZN7rocprim17ROCPRIM_400000_NS6detail17trampoline_kernelINS0_14default_configENS1_35radix_sort_onesweep_config_selectorIiiEEZZNS1_29radix_sort_onesweep_iterationIS3_Lb1EN6thrust23THRUST_200600_302600_NS6detail15normal_iteratorINS8_10device_ptrIiEEEESD_SD_SD_jNS0_19identity_decomposerENS1_16block_id_wrapperIjLb0EEEEE10hipError_tT1_PNSt15iterator_traitsISI_E10value_typeET2_T3_PNSJ_ISO_E10value_typeET4_T5_PST_SU_PNS1_23onesweep_lookback_stateEbbT6_jjT7_P12ihipStream_tbENKUlT_T0_SI_SN_E_clIPiSD_S15_SD_EEDaS11_S12_SI_SN_EUlS11_E_NS1_11comp_targetILNS1_3genE4ELNS1_11target_archE910ELNS1_3gpuE8ELNS1_3repE0EEENS1_47radix_sort_onesweep_sort_config_static_selectorELNS0_4arch9wavefront6targetE1EEEvSI_,"axG",@progbits,_ZN7rocprim17ROCPRIM_400000_NS6detail17trampoline_kernelINS0_14default_configENS1_35radix_sort_onesweep_config_selectorIiiEEZZNS1_29radix_sort_onesweep_iterationIS3_Lb1EN6thrust23THRUST_200600_302600_NS6detail15normal_iteratorINS8_10device_ptrIiEEEESD_SD_SD_jNS0_19identity_decomposerENS1_16block_id_wrapperIjLb0EEEEE10hipError_tT1_PNSt15iterator_traitsISI_E10value_typeET2_T3_PNSJ_ISO_E10value_typeET4_T5_PST_SU_PNS1_23onesweep_lookback_stateEbbT6_jjT7_P12ihipStream_tbENKUlT_T0_SI_SN_E_clIPiSD_S15_SD_EEDaS11_S12_SI_SN_EUlS11_E_NS1_11comp_targetILNS1_3genE4ELNS1_11target_archE910ELNS1_3gpuE8ELNS1_3repE0EEENS1_47radix_sort_onesweep_sort_config_static_selectorELNS0_4arch9wavefront6targetE1EEEvSI_,comdat
.Lfunc_end1886:
	.size	_ZN7rocprim17ROCPRIM_400000_NS6detail17trampoline_kernelINS0_14default_configENS1_35radix_sort_onesweep_config_selectorIiiEEZZNS1_29radix_sort_onesweep_iterationIS3_Lb1EN6thrust23THRUST_200600_302600_NS6detail15normal_iteratorINS8_10device_ptrIiEEEESD_SD_SD_jNS0_19identity_decomposerENS1_16block_id_wrapperIjLb0EEEEE10hipError_tT1_PNSt15iterator_traitsISI_E10value_typeET2_T3_PNSJ_ISO_E10value_typeET4_T5_PST_SU_PNS1_23onesweep_lookback_stateEbbT6_jjT7_P12ihipStream_tbENKUlT_T0_SI_SN_E_clIPiSD_S15_SD_EEDaS11_S12_SI_SN_EUlS11_E_NS1_11comp_targetILNS1_3genE4ELNS1_11target_archE910ELNS1_3gpuE8ELNS1_3repE0EEENS1_47radix_sort_onesweep_sort_config_static_selectorELNS0_4arch9wavefront6targetE1EEEvSI_, .Lfunc_end1886-_ZN7rocprim17ROCPRIM_400000_NS6detail17trampoline_kernelINS0_14default_configENS1_35radix_sort_onesweep_config_selectorIiiEEZZNS1_29radix_sort_onesweep_iterationIS3_Lb1EN6thrust23THRUST_200600_302600_NS6detail15normal_iteratorINS8_10device_ptrIiEEEESD_SD_SD_jNS0_19identity_decomposerENS1_16block_id_wrapperIjLb0EEEEE10hipError_tT1_PNSt15iterator_traitsISI_E10value_typeET2_T3_PNSJ_ISO_E10value_typeET4_T5_PST_SU_PNS1_23onesweep_lookback_stateEbbT6_jjT7_P12ihipStream_tbENKUlT_T0_SI_SN_E_clIPiSD_S15_SD_EEDaS11_S12_SI_SN_EUlS11_E_NS1_11comp_targetILNS1_3genE4ELNS1_11target_archE910ELNS1_3gpuE8ELNS1_3repE0EEENS1_47radix_sort_onesweep_sort_config_static_selectorELNS0_4arch9wavefront6targetE1EEEvSI_
                                        ; -- End function
	.set _ZN7rocprim17ROCPRIM_400000_NS6detail17trampoline_kernelINS0_14default_configENS1_35radix_sort_onesweep_config_selectorIiiEEZZNS1_29radix_sort_onesweep_iterationIS3_Lb1EN6thrust23THRUST_200600_302600_NS6detail15normal_iteratorINS8_10device_ptrIiEEEESD_SD_SD_jNS0_19identity_decomposerENS1_16block_id_wrapperIjLb0EEEEE10hipError_tT1_PNSt15iterator_traitsISI_E10value_typeET2_T3_PNSJ_ISO_E10value_typeET4_T5_PST_SU_PNS1_23onesweep_lookback_stateEbbT6_jjT7_P12ihipStream_tbENKUlT_T0_SI_SN_E_clIPiSD_S15_SD_EEDaS11_S12_SI_SN_EUlS11_E_NS1_11comp_targetILNS1_3genE4ELNS1_11target_archE910ELNS1_3gpuE8ELNS1_3repE0EEENS1_47radix_sort_onesweep_sort_config_static_selectorELNS0_4arch9wavefront6targetE1EEEvSI_.num_vgpr, 0
	.set _ZN7rocprim17ROCPRIM_400000_NS6detail17trampoline_kernelINS0_14default_configENS1_35radix_sort_onesweep_config_selectorIiiEEZZNS1_29radix_sort_onesweep_iterationIS3_Lb1EN6thrust23THRUST_200600_302600_NS6detail15normal_iteratorINS8_10device_ptrIiEEEESD_SD_SD_jNS0_19identity_decomposerENS1_16block_id_wrapperIjLb0EEEEE10hipError_tT1_PNSt15iterator_traitsISI_E10value_typeET2_T3_PNSJ_ISO_E10value_typeET4_T5_PST_SU_PNS1_23onesweep_lookback_stateEbbT6_jjT7_P12ihipStream_tbENKUlT_T0_SI_SN_E_clIPiSD_S15_SD_EEDaS11_S12_SI_SN_EUlS11_E_NS1_11comp_targetILNS1_3genE4ELNS1_11target_archE910ELNS1_3gpuE8ELNS1_3repE0EEENS1_47radix_sort_onesweep_sort_config_static_selectorELNS0_4arch9wavefront6targetE1EEEvSI_.num_agpr, 0
	.set _ZN7rocprim17ROCPRIM_400000_NS6detail17trampoline_kernelINS0_14default_configENS1_35radix_sort_onesweep_config_selectorIiiEEZZNS1_29radix_sort_onesweep_iterationIS3_Lb1EN6thrust23THRUST_200600_302600_NS6detail15normal_iteratorINS8_10device_ptrIiEEEESD_SD_SD_jNS0_19identity_decomposerENS1_16block_id_wrapperIjLb0EEEEE10hipError_tT1_PNSt15iterator_traitsISI_E10value_typeET2_T3_PNSJ_ISO_E10value_typeET4_T5_PST_SU_PNS1_23onesweep_lookback_stateEbbT6_jjT7_P12ihipStream_tbENKUlT_T0_SI_SN_E_clIPiSD_S15_SD_EEDaS11_S12_SI_SN_EUlS11_E_NS1_11comp_targetILNS1_3genE4ELNS1_11target_archE910ELNS1_3gpuE8ELNS1_3repE0EEENS1_47radix_sort_onesweep_sort_config_static_selectorELNS0_4arch9wavefront6targetE1EEEvSI_.numbered_sgpr, 0
	.set _ZN7rocprim17ROCPRIM_400000_NS6detail17trampoline_kernelINS0_14default_configENS1_35radix_sort_onesweep_config_selectorIiiEEZZNS1_29radix_sort_onesweep_iterationIS3_Lb1EN6thrust23THRUST_200600_302600_NS6detail15normal_iteratorINS8_10device_ptrIiEEEESD_SD_SD_jNS0_19identity_decomposerENS1_16block_id_wrapperIjLb0EEEEE10hipError_tT1_PNSt15iterator_traitsISI_E10value_typeET2_T3_PNSJ_ISO_E10value_typeET4_T5_PST_SU_PNS1_23onesweep_lookback_stateEbbT6_jjT7_P12ihipStream_tbENKUlT_T0_SI_SN_E_clIPiSD_S15_SD_EEDaS11_S12_SI_SN_EUlS11_E_NS1_11comp_targetILNS1_3genE4ELNS1_11target_archE910ELNS1_3gpuE8ELNS1_3repE0EEENS1_47radix_sort_onesweep_sort_config_static_selectorELNS0_4arch9wavefront6targetE1EEEvSI_.num_named_barrier, 0
	.set _ZN7rocprim17ROCPRIM_400000_NS6detail17trampoline_kernelINS0_14default_configENS1_35radix_sort_onesweep_config_selectorIiiEEZZNS1_29radix_sort_onesweep_iterationIS3_Lb1EN6thrust23THRUST_200600_302600_NS6detail15normal_iteratorINS8_10device_ptrIiEEEESD_SD_SD_jNS0_19identity_decomposerENS1_16block_id_wrapperIjLb0EEEEE10hipError_tT1_PNSt15iterator_traitsISI_E10value_typeET2_T3_PNSJ_ISO_E10value_typeET4_T5_PST_SU_PNS1_23onesweep_lookback_stateEbbT6_jjT7_P12ihipStream_tbENKUlT_T0_SI_SN_E_clIPiSD_S15_SD_EEDaS11_S12_SI_SN_EUlS11_E_NS1_11comp_targetILNS1_3genE4ELNS1_11target_archE910ELNS1_3gpuE8ELNS1_3repE0EEENS1_47radix_sort_onesweep_sort_config_static_selectorELNS0_4arch9wavefront6targetE1EEEvSI_.private_seg_size, 0
	.set _ZN7rocprim17ROCPRIM_400000_NS6detail17trampoline_kernelINS0_14default_configENS1_35radix_sort_onesweep_config_selectorIiiEEZZNS1_29radix_sort_onesweep_iterationIS3_Lb1EN6thrust23THRUST_200600_302600_NS6detail15normal_iteratorINS8_10device_ptrIiEEEESD_SD_SD_jNS0_19identity_decomposerENS1_16block_id_wrapperIjLb0EEEEE10hipError_tT1_PNSt15iterator_traitsISI_E10value_typeET2_T3_PNSJ_ISO_E10value_typeET4_T5_PST_SU_PNS1_23onesweep_lookback_stateEbbT6_jjT7_P12ihipStream_tbENKUlT_T0_SI_SN_E_clIPiSD_S15_SD_EEDaS11_S12_SI_SN_EUlS11_E_NS1_11comp_targetILNS1_3genE4ELNS1_11target_archE910ELNS1_3gpuE8ELNS1_3repE0EEENS1_47radix_sort_onesweep_sort_config_static_selectorELNS0_4arch9wavefront6targetE1EEEvSI_.uses_vcc, 0
	.set _ZN7rocprim17ROCPRIM_400000_NS6detail17trampoline_kernelINS0_14default_configENS1_35radix_sort_onesweep_config_selectorIiiEEZZNS1_29radix_sort_onesweep_iterationIS3_Lb1EN6thrust23THRUST_200600_302600_NS6detail15normal_iteratorINS8_10device_ptrIiEEEESD_SD_SD_jNS0_19identity_decomposerENS1_16block_id_wrapperIjLb0EEEEE10hipError_tT1_PNSt15iterator_traitsISI_E10value_typeET2_T3_PNSJ_ISO_E10value_typeET4_T5_PST_SU_PNS1_23onesweep_lookback_stateEbbT6_jjT7_P12ihipStream_tbENKUlT_T0_SI_SN_E_clIPiSD_S15_SD_EEDaS11_S12_SI_SN_EUlS11_E_NS1_11comp_targetILNS1_3genE4ELNS1_11target_archE910ELNS1_3gpuE8ELNS1_3repE0EEENS1_47radix_sort_onesweep_sort_config_static_selectorELNS0_4arch9wavefront6targetE1EEEvSI_.uses_flat_scratch, 0
	.set _ZN7rocprim17ROCPRIM_400000_NS6detail17trampoline_kernelINS0_14default_configENS1_35radix_sort_onesweep_config_selectorIiiEEZZNS1_29radix_sort_onesweep_iterationIS3_Lb1EN6thrust23THRUST_200600_302600_NS6detail15normal_iteratorINS8_10device_ptrIiEEEESD_SD_SD_jNS0_19identity_decomposerENS1_16block_id_wrapperIjLb0EEEEE10hipError_tT1_PNSt15iterator_traitsISI_E10value_typeET2_T3_PNSJ_ISO_E10value_typeET4_T5_PST_SU_PNS1_23onesweep_lookback_stateEbbT6_jjT7_P12ihipStream_tbENKUlT_T0_SI_SN_E_clIPiSD_S15_SD_EEDaS11_S12_SI_SN_EUlS11_E_NS1_11comp_targetILNS1_3genE4ELNS1_11target_archE910ELNS1_3gpuE8ELNS1_3repE0EEENS1_47radix_sort_onesweep_sort_config_static_selectorELNS0_4arch9wavefront6targetE1EEEvSI_.has_dyn_sized_stack, 0
	.set _ZN7rocprim17ROCPRIM_400000_NS6detail17trampoline_kernelINS0_14default_configENS1_35radix_sort_onesweep_config_selectorIiiEEZZNS1_29radix_sort_onesweep_iterationIS3_Lb1EN6thrust23THRUST_200600_302600_NS6detail15normal_iteratorINS8_10device_ptrIiEEEESD_SD_SD_jNS0_19identity_decomposerENS1_16block_id_wrapperIjLb0EEEEE10hipError_tT1_PNSt15iterator_traitsISI_E10value_typeET2_T3_PNSJ_ISO_E10value_typeET4_T5_PST_SU_PNS1_23onesweep_lookback_stateEbbT6_jjT7_P12ihipStream_tbENKUlT_T0_SI_SN_E_clIPiSD_S15_SD_EEDaS11_S12_SI_SN_EUlS11_E_NS1_11comp_targetILNS1_3genE4ELNS1_11target_archE910ELNS1_3gpuE8ELNS1_3repE0EEENS1_47radix_sort_onesweep_sort_config_static_selectorELNS0_4arch9wavefront6targetE1EEEvSI_.has_recursion, 0
	.set _ZN7rocprim17ROCPRIM_400000_NS6detail17trampoline_kernelINS0_14default_configENS1_35radix_sort_onesweep_config_selectorIiiEEZZNS1_29radix_sort_onesweep_iterationIS3_Lb1EN6thrust23THRUST_200600_302600_NS6detail15normal_iteratorINS8_10device_ptrIiEEEESD_SD_SD_jNS0_19identity_decomposerENS1_16block_id_wrapperIjLb0EEEEE10hipError_tT1_PNSt15iterator_traitsISI_E10value_typeET2_T3_PNSJ_ISO_E10value_typeET4_T5_PST_SU_PNS1_23onesweep_lookback_stateEbbT6_jjT7_P12ihipStream_tbENKUlT_T0_SI_SN_E_clIPiSD_S15_SD_EEDaS11_S12_SI_SN_EUlS11_E_NS1_11comp_targetILNS1_3genE4ELNS1_11target_archE910ELNS1_3gpuE8ELNS1_3repE0EEENS1_47radix_sort_onesweep_sort_config_static_selectorELNS0_4arch9wavefront6targetE1EEEvSI_.has_indirect_call, 0
	.section	.AMDGPU.csdata,"",@progbits
; Kernel info:
; codeLenInByte = 0
; TotalNumSgprs: 6
; NumVgprs: 0
; NumAgprs: 0
; TotalNumVgprs: 0
; ScratchSize: 0
; MemoryBound: 0
; FloatMode: 240
; IeeeMode: 1
; LDSByteSize: 0 bytes/workgroup (compile time only)
; SGPRBlocks: 0
; VGPRBlocks: 0
; NumSGPRsForWavesPerEU: 6
; NumVGPRsForWavesPerEU: 1
; AccumOffset: 4
; Occupancy: 8
; WaveLimiterHint : 0
; COMPUTE_PGM_RSRC2:SCRATCH_EN: 0
; COMPUTE_PGM_RSRC2:USER_SGPR: 2
; COMPUTE_PGM_RSRC2:TRAP_HANDLER: 0
; COMPUTE_PGM_RSRC2:TGID_X_EN: 1
; COMPUTE_PGM_RSRC2:TGID_Y_EN: 0
; COMPUTE_PGM_RSRC2:TGID_Z_EN: 0
; COMPUTE_PGM_RSRC2:TIDIG_COMP_CNT: 0
; COMPUTE_PGM_RSRC3_GFX90A:ACCUM_OFFSET: 0
; COMPUTE_PGM_RSRC3_GFX90A:TG_SPLIT: 0
	.section	.text._ZN7rocprim17ROCPRIM_400000_NS6detail17trampoline_kernelINS0_14default_configENS1_35radix_sort_onesweep_config_selectorIiiEEZZNS1_29radix_sort_onesweep_iterationIS3_Lb1EN6thrust23THRUST_200600_302600_NS6detail15normal_iteratorINS8_10device_ptrIiEEEESD_SD_SD_jNS0_19identity_decomposerENS1_16block_id_wrapperIjLb0EEEEE10hipError_tT1_PNSt15iterator_traitsISI_E10value_typeET2_T3_PNSJ_ISO_E10value_typeET4_T5_PST_SU_PNS1_23onesweep_lookback_stateEbbT6_jjT7_P12ihipStream_tbENKUlT_T0_SI_SN_E_clIPiSD_S15_SD_EEDaS11_S12_SI_SN_EUlS11_E_NS1_11comp_targetILNS1_3genE3ELNS1_11target_archE908ELNS1_3gpuE7ELNS1_3repE0EEENS1_47radix_sort_onesweep_sort_config_static_selectorELNS0_4arch9wavefront6targetE1EEEvSI_,"axG",@progbits,_ZN7rocprim17ROCPRIM_400000_NS6detail17trampoline_kernelINS0_14default_configENS1_35radix_sort_onesweep_config_selectorIiiEEZZNS1_29radix_sort_onesweep_iterationIS3_Lb1EN6thrust23THRUST_200600_302600_NS6detail15normal_iteratorINS8_10device_ptrIiEEEESD_SD_SD_jNS0_19identity_decomposerENS1_16block_id_wrapperIjLb0EEEEE10hipError_tT1_PNSt15iterator_traitsISI_E10value_typeET2_T3_PNSJ_ISO_E10value_typeET4_T5_PST_SU_PNS1_23onesweep_lookback_stateEbbT6_jjT7_P12ihipStream_tbENKUlT_T0_SI_SN_E_clIPiSD_S15_SD_EEDaS11_S12_SI_SN_EUlS11_E_NS1_11comp_targetILNS1_3genE3ELNS1_11target_archE908ELNS1_3gpuE7ELNS1_3repE0EEENS1_47radix_sort_onesweep_sort_config_static_selectorELNS0_4arch9wavefront6targetE1EEEvSI_,comdat
	.protected	_ZN7rocprim17ROCPRIM_400000_NS6detail17trampoline_kernelINS0_14default_configENS1_35radix_sort_onesweep_config_selectorIiiEEZZNS1_29radix_sort_onesweep_iterationIS3_Lb1EN6thrust23THRUST_200600_302600_NS6detail15normal_iteratorINS8_10device_ptrIiEEEESD_SD_SD_jNS0_19identity_decomposerENS1_16block_id_wrapperIjLb0EEEEE10hipError_tT1_PNSt15iterator_traitsISI_E10value_typeET2_T3_PNSJ_ISO_E10value_typeET4_T5_PST_SU_PNS1_23onesweep_lookback_stateEbbT6_jjT7_P12ihipStream_tbENKUlT_T0_SI_SN_E_clIPiSD_S15_SD_EEDaS11_S12_SI_SN_EUlS11_E_NS1_11comp_targetILNS1_3genE3ELNS1_11target_archE908ELNS1_3gpuE7ELNS1_3repE0EEENS1_47radix_sort_onesweep_sort_config_static_selectorELNS0_4arch9wavefront6targetE1EEEvSI_ ; -- Begin function _ZN7rocprim17ROCPRIM_400000_NS6detail17trampoline_kernelINS0_14default_configENS1_35radix_sort_onesweep_config_selectorIiiEEZZNS1_29radix_sort_onesweep_iterationIS3_Lb1EN6thrust23THRUST_200600_302600_NS6detail15normal_iteratorINS8_10device_ptrIiEEEESD_SD_SD_jNS0_19identity_decomposerENS1_16block_id_wrapperIjLb0EEEEE10hipError_tT1_PNSt15iterator_traitsISI_E10value_typeET2_T3_PNSJ_ISO_E10value_typeET4_T5_PST_SU_PNS1_23onesweep_lookback_stateEbbT6_jjT7_P12ihipStream_tbENKUlT_T0_SI_SN_E_clIPiSD_S15_SD_EEDaS11_S12_SI_SN_EUlS11_E_NS1_11comp_targetILNS1_3genE3ELNS1_11target_archE908ELNS1_3gpuE7ELNS1_3repE0EEENS1_47radix_sort_onesweep_sort_config_static_selectorELNS0_4arch9wavefront6targetE1EEEvSI_
	.globl	_ZN7rocprim17ROCPRIM_400000_NS6detail17trampoline_kernelINS0_14default_configENS1_35radix_sort_onesweep_config_selectorIiiEEZZNS1_29radix_sort_onesweep_iterationIS3_Lb1EN6thrust23THRUST_200600_302600_NS6detail15normal_iteratorINS8_10device_ptrIiEEEESD_SD_SD_jNS0_19identity_decomposerENS1_16block_id_wrapperIjLb0EEEEE10hipError_tT1_PNSt15iterator_traitsISI_E10value_typeET2_T3_PNSJ_ISO_E10value_typeET4_T5_PST_SU_PNS1_23onesweep_lookback_stateEbbT6_jjT7_P12ihipStream_tbENKUlT_T0_SI_SN_E_clIPiSD_S15_SD_EEDaS11_S12_SI_SN_EUlS11_E_NS1_11comp_targetILNS1_3genE3ELNS1_11target_archE908ELNS1_3gpuE7ELNS1_3repE0EEENS1_47radix_sort_onesweep_sort_config_static_selectorELNS0_4arch9wavefront6targetE1EEEvSI_
	.p2align	8
	.type	_ZN7rocprim17ROCPRIM_400000_NS6detail17trampoline_kernelINS0_14default_configENS1_35radix_sort_onesweep_config_selectorIiiEEZZNS1_29radix_sort_onesweep_iterationIS3_Lb1EN6thrust23THRUST_200600_302600_NS6detail15normal_iteratorINS8_10device_ptrIiEEEESD_SD_SD_jNS0_19identity_decomposerENS1_16block_id_wrapperIjLb0EEEEE10hipError_tT1_PNSt15iterator_traitsISI_E10value_typeET2_T3_PNSJ_ISO_E10value_typeET4_T5_PST_SU_PNS1_23onesweep_lookback_stateEbbT6_jjT7_P12ihipStream_tbENKUlT_T0_SI_SN_E_clIPiSD_S15_SD_EEDaS11_S12_SI_SN_EUlS11_E_NS1_11comp_targetILNS1_3genE3ELNS1_11target_archE908ELNS1_3gpuE7ELNS1_3repE0EEENS1_47radix_sort_onesweep_sort_config_static_selectorELNS0_4arch9wavefront6targetE1EEEvSI_,@function
_ZN7rocprim17ROCPRIM_400000_NS6detail17trampoline_kernelINS0_14default_configENS1_35radix_sort_onesweep_config_selectorIiiEEZZNS1_29radix_sort_onesweep_iterationIS3_Lb1EN6thrust23THRUST_200600_302600_NS6detail15normal_iteratorINS8_10device_ptrIiEEEESD_SD_SD_jNS0_19identity_decomposerENS1_16block_id_wrapperIjLb0EEEEE10hipError_tT1_PNSt15iterator_traitsISI_E10value_typeET2_T3_PNSJ_ISO_E10value_typeET4_T5_PST_SU_PNS1_23onesweep_lookback_stateEbbT6_jjT7_P12ihipStream_tbENKUlT_T0_SI_SN_E_clIPiSD_S15_SD_EEDaS11_S12_SI_SN_EUlS11_E_NS1_11comp_targetILNS1_3genE3ELNS1_11target_archE908ELNS1_3gpuE7ELNS1_3repE0EEENS1_47radix_sort_onesweep_sort_config_static_selectorELNS0_4arch9wavefront6targetE1EEEvSI_: ; @_ZN7rocprim17ROCPRIM_400000_NS6detail17trampoline_kernelINS0_14default_configENS1_35radix_sort_onesweep_config_selectorIiiEEZZNS1_29radix_sort_onesweep_iterationIS3_Lb1EN6thrust23THRUST_200600_302600_NS6detail15normal_iteratorINS8_10device_ptrIiEEEESD_SD_SD_jNS0_19identity_decomposerENS1_16block_id_wrapperIjLb0EEEEE10hipError_tT1_PNSt15iterator_traitsISI_E10value_typeET2_T3_PNSJ_ISO_E10value_typeET4_T5_PST_SU_PNS1_23onesweep_lookback_stateEbbT6_jjT7_P12ihipStream_tbENKUlT_T0_SI_SN_E_clIPiSD_S15_SD_EEDaS11_S12_SI_SN_EUlS11_E_NS1_11comp_targetILNS1_3genE3ELNS1_11target_archE908ELNS1_3gpuE7ELNS1_3repE0EEENS1_47radix_sort_onesweep_sort_config_static_selectorELNS0_4arch9wavefront6targetE1EEEvSI_
; %bb.0:
	.section	.rodata,"a",@progbits
	.p2align	6, 0x0
	.amdhsa_kernel _ZN7rocprim17ROCPRIM_400000_NS6detail17trampoline_kernelINS0_14default_configENS1_35radix_sort_onesweep_config_selectorIiiEEZZNS1_29radix_sort_onesweep_iterationIS3_Lb1EN6thrust23THRUST_200600_302600_NS6detail15normal_iteratorINS8_10device_ptrIiEEEESD_SD_SD_jNS0_19identity_decomposerENS1_16block_id_wrapperIjLb0EEEEE10hipError_tT1_PNSt15iterator_traitsISI_E10value_typeET2_T3_PNSJ_ISO_E10value_typeET4_T5_PST_SU_PNS1_23onesweep_lookback_stateEbbT6_jjT7_P12ihipStream_tbENKUlT_T0_SI_SN_E_clIPiSD_S15_SD_EEDaS11_S12_SI_SN_EUlS11_E_NS1_11comp_targetILNS1_3genE3ELNS1_11target_archE908ELNS1_3gpuE7ELNS1_3repE0EEENS1_47radix_sort_onesweep_sort_config_static_selectorELNS0_4arch9wavefront6targetE1EEEvSI_
		.amdhsa_group_segment_fixed_size 0
		.amdhsa_private_segment_fixed_size 0
		.amdhsa_kernarg_size 88
		.amdhsa_user_sgpr_count 2
		.amdhsa_user_sgpr_dispatch_ptr 0
		.amdhsa_user_sgpr_queue_ptr 0
		.amdhsa_user_sgpr_kernarg_segment_ptr 1
		.amdhsa_user_sgpr_dispatch_id 0
		.amdhsa_user_sgpr_kernarg_preload_length 0
		.amdhsa_user_sgpr_kernarg_preload_offset 0
		.amdhsa_user_sgpr_private_segment_size 0
		.amdhsa_uses_dynamic_stack 0
		.amdhsa_enable_private_segment 0
		.amdhsa_system_sgpr_workgroup_id_x 1
		.amdhsa_system_sgpr_workgroup_id_y 0
		.amdhsa_system_sgpr_workgroup_id_z 0
		.amdhsa_system_sgpr_workgroup_info 0
		.amdhsa_system_vgpr_workitem_id 0
		.amdhsa_next_free_vgpr 1
		.amdhsa_next_free_sgpr 0
		.amdhsa_accum_offset 4
		.amdhsa_reserve_vcc 0
		.amdhsa_float_round_mode_32 0
		.amdhsa_float_round_mode_16_64 0
		.amdhsa_float_denorm_mode_32 3
		.amdhsa_float_denorm_mode_16_64 3
		.amdhsa_dx10_clamp 1
		.amdhsa_ieee_mode 1
		.amdhsa_fp16_overflow 0
		.amdhsa_tg_split 0
		.amdhsa_exception_fp_ieee_invalid_op 0
		.amdhsa_exception_fp_denorm_src 0
		.amdhsa_exception_fp_ieee_div_zero 0
		.amdhsa_exception_fp_ieee_overflow 0
		.amdhsa_exception_fp_ieee_underflow 0
		.amdhsa_exception_fp_ieee_inexact 0
		.amdhsa_exception_int_div_zero 0
	.end_amdhsa_kernel
	.section	.text._ZN7rocprim17ROCPRIM_400000_NS6detail17trampoline_kernelINS0_14default_configENS1_35radix_sort_onesweep_config_selectorIiiEEZZNS1_29radix_sort_onesweep_iterationIS3_Lb1EN6thrust23THRUST_200600_302600_NS6detail15normal_iteratorINS8_10device_ptrIiEEEESD_SD_SD_jNS0_19identity_decomposerENS1_16block_id_wrapperIjLb0EEEEE10hipError_tT1_PNSt15iterator_traitsISI_E10value_typeET2_T3_PNSJ_ISO_E10value_typeET4_T5_PST_SU_PNS1_23onesweep_lookback_stateEbbT6_jjT7_P12ihipStream_tbENKUlT_T0_SI_SN_E_clIPiSD_S15_SD_EEDaS11_S12_SI_SN_EUlS11_E_NS1_11comp_targetILNS1_3genE3ELNS1_11target_archE908ELNS1_3gpuE7ELNS1_3repE0EEENS1_47radix_sort_onesweep_sort_config_static_selectorELNS0_4arch9wavefront6targetE1EEEvSI_,"axG",@progbits,_ZN7rocprim17ROCPRIM_400000_NS6detail17trampoline_kernelINS0_14default_configENS1_35radix_sort_onesweep_config_selectorIiiEEZZNS1_29radix_sort_onesweep_iterationIS3_Lb1EN6thrust23THRUST_200600_302600_NS6detail15normal_iteratorINS8_10device_ptrIiEEEESD_SD_SD_jNS0_19identity_decomposerENS1_16block_id_wrapperIjLb0EEEEE10hipError_tT1_PNSt15iterator_traitsISI_E10value_typeET2_T3_PNSJ_ISO_E10value_typeET4_T5_PST_SU_PNS1_23onesweep_lookback_stateEbbT6_jjT7_P12ihipStream_tbENKUlT_T0_SI_SN_E_clIPiSD_S15_SD_EEDaS11_S12_SI_SN_EUlS11_E_NS1_11comp_targetILNS1_3genE3ELNS1_11target_archE908ELNS1_3gpuE7ELNS1_3repE0EEENS1_47radix_sort_onesweep_sort_config_static_selectorELNS0_4arch9wavefront6targetE1EEEvSI_,comdat
.Lfunc_end1887:
	.size	_ZN7rocprim17ROCPRIM_400000_NS6detail17trampoline_kernelINS0_14default_configENS1_35radix_sort_onesweep_config_selectorIiiEEZZNS1_29radix_sort_onesweep_iterationIS3_Lb1EN6thrust23THRUST_200600_302600_NS6detail15normal_iteratorINS8_10device_ptrIiEEEESD_SD_SD_jNS0_19identity_decomposerENS1_16block_id_wrapperIjLb0EEEEE10hipError_tT1_PNSt15iterator_traitsISI_E10value_typeET2_T3_PNSJ_ISO_E10value_typeET4_T5_PST_SU_PNS1_23onesweep_lookback_stateEbbT6_jjT7_P12ihipStream_tbENKUlT_T0_SI_SN_E_clIPiSD_S15_SD_EEDaS11_S12_SI_SN_EUlS11_E_NS1_11comp_targetILNS1_3genE3ELNS1_11target_archE908ELNS1_3gpuE7ELNS1_3repE0EEENS1_47radix_sort_onesweep_sort_config_static_selectorELNS0_4arch9wavefront6targetE1EEEvSI_, .Lfunc_end1887-_ZN7rocprim17ROCPRIM_400000_NS6detail17trampoline_kernelINS0_14default_configENS1_35radix_sort_onesweep_config_selectorIiiEEZZNS1_29radix_sort_onesweep_iterationIS3_Lb1EN6thrust23THRUST_200600_302600_NS6detail15normal_iteratorINS8_10device_ptrIiEEEESD_SD_SD_jNS0_19identity_decomposerENS1_16block_id_wrapperIjLb0EEEEE10hipError_tT1_PNSt15iterator_traitsISI_E10value_typeET2_T3_PNSJ_ISO_E10value_typeET4_T5_PST_SU_PNS1_23onesweep_lookback_stateEbbT6_jjT7_P12ihipStream_tbENKUlT_T0_SI_SN_E_clIPiSD_S15_SD_EEDaS11_S12_SI_SN_EUlS11_E_NS1_11comp_targetILNS1_3genE3ELNS1_11target_archE908ELNS1_3gpuE7ELNS1_3repE0EEENS1_47radix_sort_onesweep_sort_config_static_selectorELNS0_4arch9wavefront6targetE1EEEvSI_
                                        ; -- End function
	.set _ZN7rocprim17ROCPRIM_400000_NS6detail17trampoline_kernelINS0_14default_configENS1_35radix_sort_onesweep_config_selectorIiiEEZZNS1_29radix_sort_onesweep_iterationIS3_Lb1EN6thrust23THRUST_200600_302600_NS6detail15normal_iteratorINS8_10device_ptrIiEEEESD_SD_SD_jNS0_19identity_decomposerENS1_16block_id_wrapperIjLb0EEEEE10hipError_tT1_PNSt15iterator_traitsISI_E10value_typeET2_T3_PNSJ_ISO_E10value_typeET4_T5_PST_SU_PNS1_23onesweep_lookback_stateEbbT6_jjT7_P12ihipStream_tbENKUlT_T0_SI_SN_E_clIPiSD_S15_SD_EEDaS11_S12_SI_SN_EUlS11_E_NS1_11comp_targetILNS1_3genE3ELNS1_11target_archE908ELNS1_3gpuE7ELNS1_3repE0EEENS1_47radix_sort_onesweep_sort_config_static_selectorELNS0_4arch9wavefront6targetE1EEEvSI_.num_vgpr, 0
	.set _ZN7rocprim17ROCPRIM_400000_NS6detail17trampoline_kernelINS0_14default_configENS1_35radix_sort_onesweep_config_selectorIiiEEZZNS1_29radix_sort_onesweep_iterationIS3_Lb1EN6thrust23THRUST_200600_302600_NS6detail15normal_iteratorINS8_10device_ptrIiEEEESD_SD_SD_jNS0_19identity_decomposerENS1_16block_id_wrapperIjLb0EEEEE10hipError_tT1_PNSt15iterator_traitsISI_E10value_typeET2_T3_PNSJ_ISO_E10value_typeET4_T5_PST_SU_PNS1_23onesweep_lookback_stateEbbT6_jjT7_P12ihipStream_tbENKUlT_T0_SI_SN_E_clIPiSD_S15_SD_EEDaS11_S12_SI_SN_EUlS11_E_NS1_11comp_targetILNS1_3genE3ELNS1_11target_archE908ELNS1_3gpuE7ELNS1_3repE0EEENS1_47radix_sort_onesweep_sort_config_static_selectorELNS0_4arch9wavefront6targetE1EEEvSI_.num_agpr, 0
	.set _ZN7rocprim17ROCPRIM_400000_NS6detail17trampoline_kernelINS0_14default_configENS1_35radix_sort_onesweep_config_selectorIiiEEZZNS1_29radix_sort_onesweep_iterationIS3_Lb1EN6thrust23THRUST_200600_302600_NS6detail15normal_iteratorINS8_10device_ptrIiEEEESD_SD_SD_jNS0_19identity_decomposerENS1_16block_id_wrapperIjLb0EEEEE10hipError_tT1_PNSt15iterator_traitsISI_E10value_typeET2_T3_PNSJ_ISO_E10value_typeET4_T5_PST_SU_PNS1_23onesweep_lookback_stateEbbT6_jjT7_P12ihipStream_tbENKUlT_T0_SI_SN_E_clIPiSD_S15_SD_EEDaS11_S12_SI_SN_EUlS11_E_NS1_11comp_targetILNS1_3genE3ELNS1_11target_archE908ELNS1_3gpuE7ELNS1_3repE0EEENS1_47radix_sort_onesweep_sort_config_static_selectorELNS0_4arch9wavefront6targetE1EEEvSI_.numbered_sgpr, 0
	.set _ZN7rocprim17ROCPRIM_400000_NS6detail17trampoline_kernelINS0_14default_configENS1_35radix_sort_onesweep_config_selectorIiiEEZZNS1_29radix_sort_onesweep_iterationIS3_Lb1EN6thrust23THRUST_200600_302600_NS6detail15normal_iteratorINS8_10device_ptrIiEEEESD_SD_SD_jNS0_19identity_decomposerENS1_16block_id_wrapperIjLb0EEEEE10hipError_tT1_PNSt15iterator_traitsISI_E10value_typeET2_T3_PNSJ_ISO_E10value_typeET4_T5_PST_SU_PNS1_23onesweep_lookback_stateEbbT6_jjT7_P12ihipStream_tbENKUlT_T0_SI_SN_E_clIPiSD_S15_SD_EEDaS11_S12_SI_SN_EUlS11_E_NS1_11comp_targetILNS1_3genE3ELNS1_11target_archE908ELNS1_3gpuE7ELNS1_3repE0EEENS1_47radix_sort_onesweep_sort_config_static_selectorELNS0_4arch9wavefront6targetE1EEEvSI_.num_named_barrier, 0
	.set _ZN7rocprim17ROCPRIM_400000_NS6detail17trampoline_kernelINS0_14default_configENS1_35radix_sort_onesweep_config_selectorIiiEEZZNS1_29radix_sort_onesweep_iterationIS3_Lb1EN6thrust23THRUST_200600_302600_NS6detail15normal_iteratorINS8_10device_ptrIiEEEESD_SD_SD_jNS0_19identity_decomposerENS1_16block_id_wrapperIjLb0EEEEE10hipError_tT1_PNSt15iterator_traitsISI_E10value_typeET2_T3_PNSJ_ISO_E10value_typeET4_T5_PST_SU_PNS1_23onesweep_lookback_stateEbbT6_jjT7_P12ihipStream_tbENKUlT_T0_SI_SN_E_clIPiSD_S15_SD_EEDaS11_S12_SI_SN_EUlS11_E_NS1_11comp_targetILNS1_3genE3ELNS1_11target_archE908ELNS1_3gpuE7ELNS1_3repE0EEENS1_47radix_sort_onesweep_sort_config_static_selectorELNS0_4arch9wavefront6targetE1EEEvSI_.private_seg_size, 0
	.set _ZN7rocprim17ROCPRIM_400000_NS6detail17trampoline_kernelINS0_14default_configENS1_35radix_sort_onesweep_config_selectorIiiEEZZNS1_29radix_sort_onesweep_iterationIS3_Lb1EN6thrust23THRUST_200600_302600_NS6detail15normal_iteratorINS8_10device_ptrIiEEEESD_SD_SD_jNS0_19identity_decomposerENS1_16block_id_wrapperIjLb0EEEEE10hipError_tT1_PNSt15iterator_traitsISI_E10value_typeET2_T3_PNSJ_ISO_E10value_typeET4_T5_PST_SU_PNS1_23onesweep_lookback_stateEbbT6_jjT7_P12ihipStream_tbENKUlT_T0_SI_SN_E_clIPiSD_S15_SD_EEDaS11_S12_SI_SN_EUlS11_E_NS1_11comp_targetILNS1_3genE3ELNS1_11target_archE908ELNS1_3gpuE7ELNS1_3repE0EEENS1_47radix_sort_onesweep_sort_config_static_selectorELNS0_4arch9wavefront6targetE1EEEvSI_.uses_vcc, 0
	.set _ZN7rocprim17ROCPRIM_400000_NS6detail17trampoline_kernelINS0_14default_configENS1_35radix_sort_onesweep_config_selectorIiiEEZZNS1_29radix_sort_onesweep_iterationIS3_Lb1EN6thrust23THRUST_200600_302600_NS6detail15normal_iteratorINS8_10device_ptrIiEEEESD_SD_SD_jNS0_19identity_decomposerENS1_16block_id_wrapperIjLb0EEEEE10hipError_tT1_PNSt15iterator_traitsISI_E10value_typeET2_T3_PNSJ_ISO_E10value_typeET4_T5_PST_SU_PNS1_23onesweep_lookback_stateEbbT6_jjT7_P12ihipStream_tbENKUlT_T0_SI_SN_E_clIPiSD_S15_SD_EEDaS11_S12_SI_SN_EUlS11_E_NS1_11comp_targetILNS1_3genE3ELNS1_11target_archE908ELNS1_3gpuE7ELNS1_3repE0EEENS1_47radix_sort_onesweep_sort_config_static_selectorELNS0_4arch9wavefront6targetE1EEEvSI_.uses_flat_scratch, 0
	.set _ZN7rocprim17ROCPRIM_400000_NS6detail17trampoline_kernelINS0_14default_configENS1_35radix_sort_onesweep_config_selectorIiiEEZZNS1_29radix_sort_onesweep_iterationIS3_Lb1EN6thrust23THRUST_200600_302600_NS6detail15normal_iteratorINS8_10device_ptrIiEEEESD_SD_SD_jNS0_19identity_decomposerENS1_16block_id_wrapperIjLb0EEEEE10hipError_tT1_PNSt15iterator_traitsISI_E10value_typeET2_T3_PNSJ_ISO_E10value_typeET4_T5_PST_SU_PNS1_23onesweep_lookback_stateEbbT6_jjT7_P12ihipStream_tbENKUlT_T0_SI_SN_E_clIPiSD_S15_SD_EEDaS11_S12_SI_SN_EUlS11_E_NS1_11comp_targetILNS1_3genE3ELNS1_11target_archE908ELNS1_3gpuE7ELNS1_3repE0EEENS1_47radix_sort_onesweep_sort_config_static_selectorELNS0_4arch9wavefront6targetE1EEEvSI_.has_dyn_sized_stack, 0
	.set _ZN7rocprim17ROCPRIM_400000_NS6detail17trampoline_kernelINS0_14default_configENS1_35radix_sort_onesweep_config_selectorIiiEEZZNS1_29radix_sort_onesweep_iterationIS3_Lb1EN6thrust23THRUST_200600_302600_NS6detail15normal_iteratorINS8_10device_ptrIiEEEESD_SD_SD_jNS0_19identity_decomposerENS1_16block_id_wrapperIjLb0EEEEE10hipError_tT1_PNSt15iterator_traitsISI_E10value_typeET2_T3_PNSJ_ISO_E10value_typeET4_T5_PST_SU_PNS1_23onesweep_lookback_stateEbbT6_jjT7_P12ihipStream_tbENKUlT_T0_SI_SN_E_clIPiSD_S15_SD_EEDaS11_S12_SI_SN_EUlS11_E_NS1_11comp_targetILNS1_3genE3ELNS1_11target_archE908ELNS1_3gpuE7ELNS1_3repE0EEENS1_47radix_sort_onesweep_sort_config_static_selectorELNS0_4arch9wavefront6targetE1EEEvSI_.has_recursion, 0
	.set _ZN7rocprim17ROCPRIM_400000_NS6detail17trampoline_kernelINS0_14default_configENS1_35radix_sort_onesweep_config_selectorIiiEEZZNS1_29radix_sort_onesweep_iterationIS3_Lb1EN6thrust23THRUST_200600_302600_NS6detail15normal_iteratorINS8_10device_ptrIiEEEESD_SD_SD_jNS0_19identity_decomposerENS1_16block_id_wrapperIjLb0EEEEE10hipError_tT1_PNSt15iterator_traitsISI_E10value_typeET2_T3_PNSJ_ISO_E10value_typeET4_T5_PST_SU_PNS1_23onesweep_lookback_stateEbbT6_jjT7_P12ihipStream_tbENKUlT_T0_SI_SN_E_clIPiSD_S15_SD_EEDaS11_S12_SI_SN_EUlS11_E_NS1_11comp_targetILNS1_3genE3ELNS1_11target_archE908ELNS1_3gpuE7ELNS1_3repE0EEENS1_47radix_sort_onesweep_sort_config_static_selectorELNS0_4arch9wavefront6targetE1EEEvSI_.has_indirect_call, 0
	.section	.AMDGPU.csdata,"",@progbits
; Kernel info:
; codeLenInByte = 0
; TotalNumSgprs: 6
; NumVgprs: 0
; NumAgprs: 0
; TotalNumVgprs: 0
; ScratchSize: 0
; MemoryBound: 0
; FloatMode: 240
; IeeeMode: 1
; LDSByteSize: 0 bytes/workgroup (compile time only)
; SGPRBlocks: 0
; VGPRBlocks: 0
; NumSGPRsForWavesPerEU: 6
; NumVGPRsForWavesPerEU: 1
; AccumOffset: 4
; Occupancy: 8
; WaveLimiterHint : 0
; COMPUTE_PGM_RSRC2:SCRATCH_EN: 0
; COMPUTE_PGM_RSRC2:USER_SGPR: 2
; COMPUTE_PGM_RSRC2:TRAP_HANDLER: 0
; COMPUTE_PGM_RSRC2:TGID_X_EN: 1
; COMPUTE_PGM_RSRC2:TGID_Y_EN: 0
; COMPUTE_PGM_RSRC2:TGID_Z_EN: 0
; COMPUTE_PGM_RSRC2:TIDIG_COMP_CNT: 0
; COMPUTE_PGM_RSRC3_GFX90A:ACCUM_OFFSET: 0
; COMPUTE_PGM_RSRC3_GFX90A:TG_SPLIT: 0
	.section	.text._ZN7rocprim17ROCPRIM_400000_NS6detail17trampoline_kernelINS0_14default_configENS1_35radix_sort_onesweep_config_selectorIiiEEZZNS1_29radix_sort_onesweep_iterationIS3_Lb1EN6thrust23THRUST_200600_302600_NS6detail15normal_iteratorINS8_10device_ptrIiEEEESD_SD_SD_jNS0_19identity_decomposerENS1_16block_id_wrapperIjLb0EEEEE10hipError_tT1_PNSt15iterator_traitsISI_E10value_typeET2_T3_PNSJ_ISO_E10value_typeET4_T5_PST_SU_PNS1_23onesweep_lookback_stateEbbT6_jjT7_P12ihipStream_tbENKUlT_T0_SI_SN_E_clIPiSD_S15_SD_EEDaS11_S12_SI_SN_EUlS11_E_NS1_11comp_targetILNS1_3genE10ELNS1_11target_archE1201ELNS1_3gpuE5ELNS1_3repE0EEENS1_47radix_sort_onesweep_sort_config_static_selectorELNS0_4arch9wavefront6targetE1EEEvSI_,"axG",@progbits,_ZN7rocprim17ROCPRIM_400000_NS6detail17trampoline_kernelINS0_14default_configENS1_35radix_sort_onesweep_config_selectorIiiEEZZNS1_29radix_sort_onesweep_iterationIS3_Lb1EN6thrust23THRUST_200600_302600_NS6detail15normal_iteratorINS8_10device_ptrIiEEEESD_SD_SD_jNS0_19identity_decomposerENS1_16block_id_wrapperIjLb0EEEEE10hipError_tT1_PNSt15iterator_traitsISI_E10value_typeET2_T3_PNSJ_ISO_E10value_typeET4_T5_PST_SU_PNS1_23onesweep_lookback_stateEbbT6_jjT7_P12ihipStream_tbENKUlT_T0_SI_SN_E_clIPiSD_S15_SD_EEDaS11_S12_SI_SN_EUlS11_E_NS1_11comp_targetILNS1_3genE10ELNS1_11target_archE1201ELNS1_3gpuE5ELNS1_3repE0EEENS1_47radix_sort_onesweep_sort_config_static_selectorELNS0_4arch9wavefront6targetE1EEEvSI_,comdat
	.protected	_ZN7rocprim17ROCPRIM_400000_NS6detail17trampoline_kernelINS0_14default_configENS1_35radix_sort_onesweep_config_selectorIiiEEZZNS1_29radix_sort_onesweep_iterationIS3_Lb1EN6thrust23THRUST_200600_302600_NS6detail15normal_iteratorINS8_10device_ptrIiEEEESD_SD_SD_jNS0_19identity_decomposerENS1_16block_id_wrapperIjLb0EEEEE10hipError_tT1_PNSt15iterator_traitsISI_E10value_typeET2_T3_PNSJ_ISO_E10value_typeET4_T5_PST_SU_PNS1_23onesweep_lookback_stateEbbT6_jjT7_P12ihipStream_tbENKUlT_T0_SI_SN_E_clIPiSD_S15_SD_EEDaS11_S12_SI_SN_EUlS11_E_NS1_11comp_targetILNS1_3genE10ELNS1_11target_archE1201ELNS1_3gpuE5ELNS1_3repE0EEENS1_47radix_sort_onesweep_sort_config_static_selectorELNS0_4arch9wavefront6targetE1EEEvSI_ ; -- Begin function _ZN7rocprim17ROCPRIM_400000_NS6detail17trampoline_kernelINS0_14default_configENS1_35radix_sort_onesweep_config_selectorIiiEEZZNS1_29radix_sort_onesweep_iterationIS3_Lb1EN6thrust23THRUST_200600_302600_NS6detail15normal_iteratorINS8_10device_ptrIiEEEESD_SD_SD_jNS0_19identity_decomposerENS1_16block_id_wrapperIjLb0EEEEE10hipError_tT1_PNSt15iterator_traitsISI_E10value_typeET2_T3_PNSJ_ISO_E10value_typeET4_T5_PST_SU_PNS1_23onesweep_lookback_stateEbbT6_jjT7_P12ihipStream_tbENKUlT_T0_SI_SN_E_clIPiSD_S15_SD_EEDaS11_S12_SI_SN_EUlS11_E_NS1_11comp_targetILNS1_3genE10ELNS1_11target_archE1201ELNS1_3gpuE5ELNS1_3repE0EEENS1_47radix_sort_onesweep_sort_config_static_selectorELNS0_4arch9wavefront6targetE1EEEvSI_
	.globl	_ZN7rocprim17ROCPRIM_400000_NS6detail17trampoline_kernelINS0_14default_configENS1_35radix_sort_onesweep_config_selectorIiiEEZZNS1_29radix_sort_onesweep_iterationIS3_Lb1EN6thrust23THRUST_200600_302600_NS6detail15normal_iteratorINS8_10device_ptrIiEEEESD_SD_SD_jNS0_19identity_decomposerENS1_16block_id_wrapperIjLb0EEEEE10hipError_tT1_PNSt15iterator_traitsISI_E10value_typeET2_T3_PNSJ_ISO_E10value_typeET4_T5_PST_SU_PNS1_23onesweep_lookback_stateEbbT6_jjT7_P12ihipStream_tbENKUlT_T0_SI_SN_E_clIPiSD_S15_SD_EEDaS11_S12_SI_SN_EUlS11_E_NS1_11comp_targetILNS1_3genE10ELNS1_11target_archE1201ELNS1_3gpuE5ELNS1_3repE0EEENS1_47radix_sort_onesweep_sort_config_static_selectorELNS0_4arch9wavefront6targetE1EEEvSI_
	.p2align	8
	.type	_ZN7rocprim17ROCPRIM_400000_NS6detail17trampoline_kernelINS0_14default_configENS1_35radix_sort_onesweep_config_selectorIiiEEZZNS1_29radix_sort_onesweep_iterationIS3_Lb1EN6thrust23THRUST_200600_302600_NS6detail15normal_iteratorINS8_10device_ptrIiEEEESD_SD_SD_jNS0_19identity_decomposerENS1_16block_id_wrapperIjLb0EEEEE10hipError_tT1_PNSt15iterator_traitsISI_E10value_typeET2_T3_PNSJ_ISO_E10value_typeET4_T5_PST_SU_PNS1_23onesweep_lookback_stateEbbT6_jjT7_P12ihipStream_tbENKUlT_T0_SI_SN_E_clIPiSD_S15_SD_EEDaS11_S12_SI_SN_EUlS11_E_NS1_11comp_targetILNS1_3genE10ELNS1_11target_archE1201ELNS1_3gpuE5ELNS1_3repE0EEENS1_47radix_sort_onesweep_sort_config_static_selectorELNS0_4arch9wavefront6targetE1EEEvSI_,@function
_ZN7rocprim17ROCPRIM_400000_NS6detail17trampoline_kernelINS0_14default_configENS1_35radix_sort_onesweep_config_selectorIiiEEZZNS1_29radix_sort_onesweep_iterationIS3_Lb1EN6thrust23THRUST_200600_302600_NS6detail15normal_iteratorINS8_10device_ptrIiEEEESD_SD_SD_jNS0_19identity_decomposerENS1_16block_id_wrapperIjLb0EEEEE10hipError_tT1_PNSt15iterator_traitsISI_E10value_typeET2_T3_PNSJ_ISO_E10value_typeET4_T5_PST_SU_PNS1_23onesweep_lookback_stateEbbT6_jjT7_P12ihipStream_tbENKUlT_T0_SI_SN_E_clIPiSD_S15_SD_EEDaS11_S12_SI_SN_EUlS11_E_NS1_11comp_targetILNS1_3genE10ELNS1_11target_archE1201ELNS1_3gpuE5ELNS1_3repE0EEENS1_47radix_sort_onesweep_sort_config_static_selectorELNS0_4arch9wavefront6targetE1EEEvSI_: ; @_ZN7rocprim17ROCPRIM_400000_NS6detail17trampoline_kernelINS0_14default_configENS1_35radix_sort_onesweep_config_selectorIiiEEZZNS1_29radix_sort_onesweep_iterationIS3_Lb1EN6thrust23THRUST_200600_302600_NS6detail15normal_iteratorINS8_10device_ptrIiEEEESD_SD_SD_jNS0_19identity_decomposerENS1_16block_id_wrapperIjLb0EEEEE10hipError_tT1_PNSt15iterator_traitsISI_E10value_typeET2_T3_PNSJ_ISO_E10value_typeET4_T5_PST_SU_PNS1_23onesweep_lookback_stateEbbT6_jjT7_P12ihipStream_tbENKUlT_T0_SI_SN_E_clIPiSD_S15_SD_EEDaS11_S12_SI_SN_EUlS11_E_NS1_11comp_targetILNS1_3genE10ELNS1_11target_archE1201ELNS1_3gpuE5ELNS1_3repE0EEENS1_47radix_sort_onesweep_sort_config_static_selectorELNS0_4arch9wavefront6targetE1EEEvSI_
; %bb.0:
	.section	.rodata,"a",@progbits
	.p2align	6, 0x0
	.amdhsa_kernel _ZN7rocprim17ROCPRIM_400000_NS6detail17trampoline_kernelINS0_14default_configENS1_35radix_sort_onesweep_config_selectorIiiEEZZNS1_29radix_sort_onesweep_iterationIS3_Lb1EN6thrust23THRUST_200600_302600_NS6detail15normal_iteratorINS8_10device_ptrIiEEEESD_SD_SD_jNS0_19identity_decomposerENS1_16block_id_wrapperIjLb0EEEEE10hipError_tT1_PNSt15iterator_traitsISI_E10value_typeET2_T3_PNSJ_ISO_E10value_typeET4_T5_PST_SU_PNS1_23onesweep_lookback_stateEbbT6_jjT7_P12ihipStream_tbENKUlT_T0_SI_SN_E_clIPiSD_S15_SD_EEDaS11_S12_SI_SN_EUlS11_E_NS1_11comp_targetILNS1_3genE10ELNS1_11target_archE1201ELNS1_3gpuE5ELNS1_3repE0EEENS1_47radix_sort_onesweep_sort_config_static_selectorELNS0_4arch9wavefront6targetE1EEEvSI_
		.amdhsa_group_segment_fixed_size 0
		.amdhsa_private_segment_fixed_size 0
		.amdhsa_kernarg_size 88
		.amdhsa_user_sgpr_count 2
		.amdhsa_user_sgpr_dispatch_ptr 0
		.amdhsa_user_sgpr_queue_ptr 0
		.amdhsa_user_sgpr_kernarg_segment_ptr 1
		.amdhsa_user_sgpr_dispatch_id 0
		.amdhsa_user_sgpr_kernarg_preload_length 0
		.amdhsa_user_sgpr_kernarg_preload_offset 0
		.amdhsa_user_sgpr_private_segment_size 0
		.amdhsa_uses_dynamic_stack 0
		.amdhsa_enable_private_segment 0
		.amdhsa_system_sgpr_workgroup_id_x 1
		.amdhsa_system_sgpr_workgroup_id_y 0
		.amdhsa_system_sgpr_workgroup_id_z 0
		.amdhsa_system_sgpr_workgroup_info 0
		.amdhsa_system_vgpr_workitem_id 0
		.amdhsa_next_free_vgpr 1
		.amdhsa_next_free_sgpr 0
		.amdhsa_accum_offset 4
		.amdhsa_reserve_vcc 0
		.amdhsa_float_round_mode_32 0
		.amdhsa_float_round_mode_16_64 0
		.amdhsa_float_denorm_mode_32 3
		.amdhsa_float_denorm_mode_16_64 3
		.amdhsa_dx10_clamp 1
		.amdhsa_ieee_mode 1
		.amdhsa_fp16_overflow 0
		.amdhsa_tg_split 0
		.amdhsa_exception_fp_ieee_invalid_op 0
		.amdhsa_exception_fp_denorm_src 0
		.amdhsa_exception_fp_ieee_div_zero 0
		.amdhsa_exception_fp_ieee_overflow 0
		.amdhsa_exception_fp_ieee_underflow 0
		.amdhsa_exception_fp_ieee_inexact 0
		.amdhsa_exception_int_div_zero 0
	.end_amdhsa_kernel
	.section	.text._ZN7rocprim17ROCPRIM_400000_NS6detail17trampoline_kernelINS0_14default_configENS1_35radix_sort_onesweep_config_selectorIiiEEZZNS1_29radix_sort_onesweep_iterationIS3_Lb1EN6thrust23THRUST_200600_302600_NS6detail15normal_iteratorINS8_10device_ptrIiEEEESD_SD_SD_jNS0_19identity_decomposerENS1_16block_id_wrapperIjLb0EEEEE10hipError_tT1_PNSt15iterator_traitsISI_E10value_typeET2_T3_PNSJ_ISO_E10value_typeET4_T5_PST_SU_PNS1_23onesweep_lookback_stateEbbT6_jjT7_P12ihipStream_tbENKUlT_T0_SI_SN_E_clIPiSD_S15_SD_EEDaS11_S12_SI_SN_EUlS11_E_NS1_11comp_targetILNS1_3genE10ELNS1_11target_archE1201ELNS1_3gpuE5ELNS1_3repE0EEENS1_47radix_sort_onesweep_sort_config_static_selectorELNS0_4arch9wavefront6targetE1EEEvSI_,"axG",@progbits,_ZN7rocprim17ROCPRIM_400000_NS6detail17trampoline_kernelINS0_14default_configENS1_35radix_sort_onesweep_config_selectorIiiEEZZNS1_29radix_sort_onesweep_iterationIS3_Lb1EN6thrust23THRUST_200600_302600_NS6detail15normal_iteratorINS8_10device_ptrIiEEEESD_SD_SD_jNS0_19identity_decomposerENS1_16block_id_wrapperIjLb0EEEEE10hipError_tT1_PNSt15iterator_traitsISI_E10value_typeET2_T3_PNSJ_ISO_E10value_typeET4_T5_PST_SU_PNS1_23onesweep_lookback_stateEbbT6_jjT7_P12ihipStream_tbENKUlT_T0_SI_SN_E_clIPiSD_S15_SD_EEDaS11_S12_SI_SN_EUlS11_E_NS1_11comp_targetILNS1_3genE10ELNS1_11target_archE1201ELNS1_3gpuE5ELNS1_3repE0EEENS1_47radix_sort_onesweep_sort_config_static_selectorELNS0_4arch9wavefront6targetE1EEEvSI_,comdat
.Lfunc_end1888:
	.size	_ZN7rocprim17ROCPRIM_400000_NS6detail17trampoline_kernelINS0_14default_configENS1_35radix_sort_onesweep_config_selectorIiiEEZZNS1_29radix_sort_onesweep_iterationIS3_Lb1EN6thrust23THRUST_200600_302600_NS6detail15normal_iteratorINS8_10device_ptrIiEEEESD_SD_SD_jNS0_19identity_decomposerENS1_16block_id_wrapperIjLb0EEEEE10hipError_tT1_PNSt15iterator_traitsISI_E10value_typeET2_T3_PNSJ_ISO_E10value_typeET4_T5_PST_SU_PNS1_23onesweep_lookback_stateEbbT6_jjT7_P12ihipStream_tbENKUlT_T0_SI_SN_E_clIPiSD_S15_SD_EEDaS11_S12_SI_SN_EUlS11_E_NS1_11comp_targetILNS1_3genE10ELNS1_11target_archE1201ELNS1_3gpuE5ELNS1_3repE0EEENS1_47radix_sort_onesweep_sort_config_static_selectorELNS0_4arch9wavefront6targetE1EEEvSI_, .Lfunc_end1888-_ZN7rocprim17ROCPRIM_400000_NS6detail17trampoline_kernelINS0_14default_configENS1_35radix_sort_onesweep_config_selectorIiiEEZZNS1_29radix_sort_onesweep_iterationIS3_Lb1EN6thrust23THRUST_200600_302600_NS6detail15normal_iteratorINS8_10device_ptrIiEEEESD_SD_SD_jNS0_19identity_decomposerENS1_16block_id_wrapperIjLb0EEEEE10hipError_tT1_PNSt15iterator_traitsISI_E10value_typeET2_T3_PNSJ_ISO_E10value_typeET4_T5_PST_SU_PNS1_23onesweep_lookback_stateEbbT6_jjT7_P12ihipStream_tbENKUlT_T0_SI_SN_E_clIPiSD_S15_SD_EEDaS11_S12_SI_SN_EUlS11_E_NS1_11comp_targetILNS1_3genE10ELNS1_11target_archE1201ELNS1_3gpuE5ELNS1_3repE0EEENS1_47radix_sort_onesweep_sort_config_static_selectorELNS0_4arch9wavefront6targetE1EEEvSI_
                                        ; -- End function
	.set _ZN7rocprim17ROCPRIM_400000_NS6detail17trampoline_kernelINS0_14default_configENS1_35radix_sort_onesweep_config_selectorIiiEEZZNS1_29radix_sort_onesweep_iterationIS3_Lb1EN6thrust23THRUST_200600_302600_NS6detail15normal_iteratorINS8_10device_ptrIiEEEESD_SD_SD_jNS0_19identity_decomposerENS1_16block_id_wrapperIjLb0EEEEE10hipError_tT1_PNSt15iterator_traitsISI_E10value_typeET2_T3_PNSJ_ISO_E10value_typeET4_T5_PST_SU_PNS1_23onesweep_lookback_stateEbbT6_jjT7_P12ihipStream_tbENKUlT_T0_SI_SN_E_clIPiSD_S15_SD_EEDaS11_S12_SI_SN_EUlS11_E_NS1_11comp_targetILNS1_3genE10ELNS1_11target_archE1201ELNS1_3gpuE5ELNS1_3repE0EEENS1_47radix_sort_onesweep_sort_config_static_selectorELNS0_4arch9wavefront6targetE1EEEvSI_.num_vgpr, 0
	.set _ZN7rocprim17ROCPRIM_400000_NS6detail17trampoline_kernelINS0_14default_configENS1_35radix_sort_onesweep_config_selectorIiiEEZZNS1_29radix_sort_onesweep_iterationIS3_Lb1EN6thrust23THRUST_200600_302600_NS6detail15normal_iteratorINS8_10device_ptrIiEEEESD_SD_SD_jNS0_19identity_decomposerENS1_16block_id_wrapperIjLb0EEEEE10hipError_tT1_PNSt15iterator_traitsISI_E10value_typeET2_T3_PNSJ_ISO_E10value_typeET4_T5_PST_SU_PNS1_23onesweep_lookback_stateEbbT6_jjT7_P12ihipStream_tbENKUlT_T0_SI_SN_E_clIPiSD_S15_SD_EEDaS11_S12_SI_SN_EUlS11_E_NS1_11comp_targetILNS1_3genE10ELNS1_11target_archE1201ELNS1_3gpuE5ELNS1_3repE0EEENS1_47radix_sort_onesweep_sort_config_static_selectorELNS0_4arch9wavefront6targetE1EEEvSI_.num_agpr, 0
	.set _ZN7rocprim17ROCPRIM_400000_NS6detail17trampoline_kernelINS0_14default_configENS1_35radix_sort_onesweep_config_selectorIiiEEZZNS1_29radix_sort_onesweep_iterationIS3_Lb1EN6thrust23THRUST_200600_302600_NS6detail15normal_iteratorINS8_10device_ptrIiEEEESD_SD_SD_jNS0_19identity_decomposerENS1_16block_id_wrapperIjLb0EEEEE10hipError_tT1_PNSt15iterator_traitsISI_E10value_typeET2_T3_PNSJ_ISO_E10value_typeET4_T5_PST_SU_PNS1_23onesweep_lookback_stateEbbT6_jjT7_P12ihipStream_tbENKUlT_T0_SI_SN_E_clIPiSD_S15_SD_EEDaS11_S12_SI_SN_EUlS11_E_NS1_11comp_targetILNS1_3genE10ELNS1_11target_archE1201ELNS1_3gpuE5ELNS1_3repE0EEENS1_47radix_sort_onesweep_sort_config_static_selectorELNS0_4arch9wavefront6targetE1EEEvSI_.numbered_sgpr, 0
	.set _ZN7rocprim17ROCPRIM_400000_NS6detail17trampoline_kernelINS0_14default_configENS1_35radix_sort_onesweep_config_selectorIiiEEZZNS1_29radix_sort_onesweep_iterationIS3_Lb1EN6thrust23THRUST_200600_302600_NS6detail15normal_iteratorINS8_10device_ptrIiEEEESD_SD_SD_jNS0_19identity_decomposerENS1_16block_id_wrapperIjLb0EEEEE10hipError_tT1_PNSt15iterator_traitsISI_E10value_typeET2_T3_PNSJ_ISO_E10value_typeET4_T5_PST_SU_PNS1_23onesweep_lookback_stateEbbT6_jjT7_P12ihipStream_tbENKUlT_T0_SI_SN_E_clIPiSD_S15_SD_EEDaS11_S12_SI_SN_EUlS11_E_NS1_11comp_targetILNS1_3genE10ELNS1_11target_archE1201ELNS1_3gpuE5ELNS1_3repE0EEENS1_47radix_sort_onesweep_sort_config_static_selectorELNS0_4arch9wavefront6targetE1EEEvSI_.num_named_barrier, 0
	.set _ZN7rocprim17ROCPRIM_400000_NS6detail17trampoline_kernelINS0_14default_configENS1_35radix_sort_onesweep_config_selectorIiiEEZZNS1_29radix_sort_onesweep_iterationIS3_Lb1EN6thrust23THRUST_200600_302600_NS6detail15normal_iteratorINS8_10device_ptrIiEEEESD_SD_SD_jNS0_19identity_decomposerENS1_16block_id_wrapperIjLb0EEEEE10hipError_tT1_PNSt15iterator_traitsISI_E10value_typeET2_T3_PNSJ_ISO_E10value_typeET4_T5_PST_SU_PNS1_23onesweep_lookback_stateEbbT6_jjT7_P12ihipStream_tbENKUlT_T0_SI_SN_E_clIPiSD_S15_SD_EEDaS11_S12_SI_SN_EUlS11_E_NS1_11comp_targetILNS1_3genE10ELNS1_11target_archE1201ELNS1_3gpuE5ELNS1_3repE0EEENS1_47radix_sort_onesweep_sort_config_static_selectorELNS0_4arch9wavefront6targetE1EEEvSI_.private_seg_size, 0
	.set _ZN7rocprim17ROCPRIM_400000_NS6detail17trampoline_kernelINS0_14default_configENS1_35radix_sort_onesweep_config_selectorIiiEEZZNS1_29radix_sort_onesweep_iterationIS3_Lb1EN6thrust23THRUST_200600_302600_NS6detail15normal_iteratorINS8_10device_ptrIiEEEESD_SD_SD_jNS0_19identity_decomposerENS1_16block_id_wrapperIjLb0EEEEE10hipError_tT1_PNSt15iterator_traitsISI_E10value_typeET2_T3_PNSJ_ISO_E10value_typeET4_T5_PST_SU_PNS1_23onesweep_lookback_stateEbbT6_jjT7_P12ihipStream_tbENKUlT_T0_SI_SN_E_clIPiSD_S15_SD_EEDaS11_S12_SI_SN_EUlS11_E_NS1_11comp_targetILNS1_3genE10ELNS1_11target_archE1201ELNS1_3gpuE5ELNS1_3repE0EEENS1_47radix_sort_onesweep_sort_config_static_selectorELNS0_4arch9wavefront6targetE1EEEvSI_.uses_vcc, 0
	.set _ZN7rocprim17ROCPRIM_400000_NS6detail17trampoline_kernelINS0_14default_configENS1_35radix_sort_onesweep_config_selectorIiiEEZZNS1_29radix_sort_onesweep_iterationIS3_Lb1EN6thrust23THRUST_200600_302600_NS6detail15normal_iteratorINS8_10device_ptrIiEEEESD_SD_SD_jNS0_19identity_decomposerENS1_16block_id_wrapperIjLb0EEEEE10hipError_tT1_PNSt15iterator_traitsISI_E10value_typeET2_T3_PNSJ_ISO_E10value_typeET4_T5_PST_SU_PNS1_23onesweep_lookback_stateEbbT6_jjT7_P12ihipStream_tbENKUlT_T0_SI_SN_E_clIPiSD_S15_SD_EEDaS11_S12_SI_SN_EUlS11_E_NS1_11comp_targetILNS1_3genE10ELNS1_11target_archE1201ELNS1_3gpuE5ELNS1_3repE0EEENS1_47radix_sort_onesweep_sort_config_static_selectorELNS0_4arch9wavefront6targetE1EEEvSI_.uses_flat_scratch, 0
	.set _ZN7rocprim17ROCPRIM_400000_NS6detail17trampoline_kernelINS0_14default_configENS1_35radix_sort_onesweep_config_selectorIiiEEZZNS1_29radix_sort_onesweep_iterationIS3_Lb1EN6thrust23THRUST_200600_302600_NS6detail15normal_iteratorINS8_10device_ptrIiEEEESD_SD_SD_jNS0_19identity_decomposerENS1_16block_id_wrapperIjLb0EEEEE10hipError_tT1_PNSt15iterator_traitsISI_E10value_typeET2_T3_PNSJ_ISO_E10value_typeET4_T5_PST_SU_PNS1_23onesweep_lookback_stateEbbT6_jjT7_P12ihipStream_tbENKUlT_T0_SI_SN_E_clIPiSD_S15_SD_EEDaS11_S12_SI_SN_EUlS11_E_NS1_11comp_targetILNS1_3genE10ELNS1_11target_archE1201ELNS1_3gpuE5ELNS1_3repE0EEENS1_47radix_sort_onesweep_sort_config_static_selectorELNS0_4arch9wavefront6targetE1EEEvSI_.has_dyn_sized_stack, 0
	.set _ZN7rocprim17ROCPRIM_400000_NS6detail17trampoline_kernelINS0_14default_configENS1_35radix_sort_onesweep_config_selectorIiiEEZZNS1_29radix_sort_onesweep_iterationIS3_Lb1EN6thrust23THRUST_200600_302600_NS6detail15normal_iteratorINS8_10device_ptrIiEEEESD_SD_SD_jNS0_19identity_decomposerENS1_16block_id_wrapperIjLb0EEEEE10hipError_tT1_PNSt15iterator_traitsISI_E10value_typeET2_T3_PNSJ_ISO_E10value_typeET4_T5_PST_SU_PNS1_23onesweep_lookback_stateEbbT6_jjT7_P12ihipStream_tbENKUlT_T0_SI_SN_E_clIPiSD_S15_SD_EEDaS11_S12_SI_SN_EUlS11_E_NS1_11comp_targetILNS1_3genE10ELNS1_11target_archE1201ELNS1_3gpuE5ELNS1_3repE0EEENS1_47radix_sort_onesweep_sort_config_static_selectorELNS0_4arch9wavefront6targetE1EEEvSI_.has_recursion, 0
	.set _ZN7rocprim17ROCPRIM_400000_NS6detail17trampoline_kernelINS0_14default_configENS1_35radix_sort_onesweep_config_selectorIiiEEZZNS1_29radix_sort_onesweep_iterationIS3_Lb1EN6thrust23THRUST_200600_302600_NS6detail15normal_iteratorINS8_10device_ptrIiEEEESD_SD_SD_jNS0_19identity_decomposerENS1_16block_id_wrapperIjLb0EEEEE10hipError_tT1_PNSt15iterator_traitsISI_E10value_typeET2_T3_PNSJ_ISO_E10value_typeET4_T5_PST_SU_PNS1_23onesweep_lookback_stateEbbT6_jjT7_P12ihipStream_tbENKUlT_T0_SI_SN_E_clIPiSD_S15_SD_EEDaS11_S12_SI_SN_EUlS11_E_NS1_11comp_targetILNS1_3genE10ELNS1_11target_archE1201ELNS1_3gpuE5ELNS1_3repE0EEENS1_47radix_sort_onesweep_sort_config_static_selectorELNS0_4arch9wavefront6targetE1EEEvSI_.has_indirect_call, 0
	.section	.AMDGPU.csdata,"",@progbits
; Kernel info:
; codeLenInByte = 0
; TotalNumSgprs: 6
; NumVgprs: 0
; NumAgprs: 0
; TotalNumVgprs: 0
; ScratchSize: 0
; MemoryBound: 0
; FloatMode: 240
; IeeeMode: 1
; LDSByteSize: 0 bytes/workgroup (compile time only)
; SGPRBlocks: 0
; VGPRBlocks: 0
; NumSGPRsForWavesPerEU: 6
; NumVGPRsForWavesPerEU: 1
; AccumOffset: 4
; Occupancy: 8
; WaveLimiterHint : 0
; COMPUTE_PGM_RSRC2:SCRATCH_EN: 0
; COMPUTE_PGM_RSRC2:USER_SGPR: 2
; COMPUTE_PGM_RSRC2:TRAP_HANDLER: 0
; COMPUTE_PGM_RSRC2:TGID_X_EN: 1
; COMPUTE_PGM_RSRC2:TGID_Y_EN: 0
; COMPUTE_PGM_RSRC2:TGID_Z_EN: 0
; COMPUTE_PGM_RSRC2:TIDIG_COMP_CNT: 0
; COMPUTE_PGM_RSRC3_GFX90A:ACCUM_OFFSET: 0
; COMPUTE_PGM_RSRC3_GFX90A:TG_SPLIT: 0
	.section	.text._ZN7rocprim17ROCPRIM_400000_NS6detail17trampoline_kernelINS0_14default_configENS1_35radix_sort_onesweep_config_selectorIiiEEZZNS1_29radix_sort_onesweep_iterationIS3_Lb1EN6thrust23THRUST_200600_302600_NS6detail15normal_iteratorINS8_10device_ptrIiEEEESD_SD_SD_jNS0_19identity_decomposerENS1_16block_id_wrapperIjLb0EEEEE10hipError_tT1_PNSt15iterator_traitsISI_E10value_typeET2_T3_PNSJ_ISO_E10value_typeET4_T5_PST_SU_PNS1_23onesweep_lookback_stateEbbT6_jjT7_P12ihipStream_tbENKUlT_T0_SI_SN_E_clIPiSD_S15_SD_EEDaS11_S12_SI_SN_EUlS11_E_NS1_11comp_targetILNS1_3genE9ELNS1_11target_archE1100ELNS1_3gpuE3ELNS1_3repE0EEENS1_47radix_sort_onesweep_sort_config_static_selectorELNS0_4arch9wavefront6targetE1EEEvSI_,"axG",@progbits,_ZN7rocprim17ROCPRIM_400000_NS6detail17trampoline_kernelINS0_14default_configENS1_35radix_sort_onesweep_config_selectorIiiEEZZNS1_29radix_sort_onesweep_iterationIS3_Lb1EN6thrust23THRUST_200600_302600_NS6detail15normal_iteratorINS8_10device_ptrIiEEEESD_SD_SD_jNS0_19identity_decomposerENS1_16block_id_wrapperIjLb0EEEEE10hipError_tT1_PNSt15iterator_traitsISI_E10value_typeET2_T3_PNSJ_ISO_E10value_typeET4_T5_PST_SU_PNS1_23onesweep_lookback_stateEbbT6_jjT7_P12ihipStream_tbENKUlT_T0_SI_SN_E_clIPiSD_S15_SD_EEDaS11_S12_SI_SN_EUlS11_E_NS1_11comp_targetILNS1_3genE9ELNS1_11target_archE1100ELNS1_3gpuE3ELNS1_3repE0EEENS1_47radix_sort_onesweep_sort_config_static_selectorELNS0_4arch9wavefront6targetE1EEEvSI_,comdat
	.protected	_ZN7rocprim17ROCPRIM_400000_NS6detail17trampoline_kernelINS0_14default_configENS1_35radix_sort_onesweep_config_selectorIiiEEZZNS1_29radix_sort_onesweep_iterationIS3_Lb1EN6thrust23THRUST_200600_302600_NS6detail15normal_iteratorINS8_10device_ptrIiEEEESD_SD_SD_jNS0_19identity_decomposerENS1_16block_id_wrapperIjLb0EEEEE10hipError_tT1_PNSt15iterator_traitsISI_E10value_typeET2_T3_PNSJ_ISO_E10value_typeET4_T5_PST_SU_PNS1_23onesweep_lookback_stateEbbT6_jjT7_P12ihipStream_tbENKUlT_T0_SI_SN_E_clIPiSD_S15_SD_EEDaS11_S12_SI_SN_EUlS11_E_NS1_11comp_targetILNS1_3genE9ELNS1_11target_archE1100ELNS1_3gpuE3ELNS1_3repE0EEENS1_47radix_sort_onesweep_sort_config_static_selectorELNS0_4arch9wavefront6targetE1EEEvSI_ ; -- Begin function _ZN7rocprim17ROCPRIM_400000_NS6detail17trampoline_kernelINS0_14default_configENS1_35radix_sort_onesweep_config_selectorIiiEEZZNS1_29radix_sort_onesweep_iterationIS3_Lb1EN6thrust23THRUST_200600_302600_NS6detail15normal_iteratorINS8_10device_ptrIiEEEESD_SD_SD_jNS0_19identity_decomposerENS1_16block_id_wrapperIjLb0EEEEE10hipError_tT1_PNSt15iterator_traitsISI_E10value_typeET2_T3_PNSJ_ISO_E10value_typeET4_T5_PST_SU_PNS1_23onesweep_lookback_stateEbbT6_jjT7_P12ihipStream_tbENKUlT_T0_SI_SN_E_clIPiSD_S15_SD_EEDaS11_S12_SI_SN_EUlS11_E_NS1_11comp_targetILNS1_3genE9ELNS1_11target_archE1100ELNS1_3gpuE3ELNS1_3repE0EEENS1_47radix_sort_onesweep_sort_config_static_selectorELNS0_4arch9wavefront6targetE1EEEvSI_
	.globl	_ZN7rocprim17ROCPRIM_400000_NS6detail17trampoline_kernelINS0_14default_configENS1_35radix_sort_onesweep_config_selectorIiiEEZZNS1_29radix_sort_onesweep_iterationIS3_Lb1EN6thrust23THRUST_200600_302600_NS6detail15normal_iteratorINS8_10device_ptrIiEEEESD_SD_SD_jNS0_19identity_decomposerENS1_16block_id_wrapperIjLb0EEEEE10hipError_tT1_PNSt15iterator_traitsISI_E10value_typeET2_T3_PNSJ_ISO_E10value_typeET4_T5_PST_SU_PNS1_23onesweep_lookback_stateEbbT6_jjT7_P12ihipStream_tbENKUlT_T0_SI_SN_E_clIPiSD_S15_SD_EEDaS11_S12_SI_SN_EUlS11_E_NS1_11comp_targetILNS1_3genE9ELNS1_11target_archE1100ELNS1_3gpuE3ELNS1_3repE0EEENS1_47radix_sort_onesweep_sort_config_static_selectorELNS0_4arch9wavefront6targetE1EEEvSI_
	.p2align	8
	.type	_ZN7rocprim17ROCPRIM_400000_NS6detail17trampoline_kernelINS0_14default_configENS1_35radix_sort_onesweep_config_selectorIiiEEZZNS1_29radix_sort_onesweep_iterationIS3_Lb1EN6thrust23THRUST_200600_302600_NS6detail15normal_iteratorINS8_10device_ptrIiEEEESD_SD_SD_jNS0_19identity_decomposerENS1_16block_id_wrapperIjLb0EEEEE10hipError_tT1_PNSt15iterator_traitsISI_E10value_typeET2_T3_PNSJ_ISO_E10value_typeET4_T5_PST_SU_PNS1_23onesweep_lookback_stateEbbT6_jjT7_P12ihipStream_tbENKUlT_T0_SI_SN_E_clIPiSD_S15_SD_EEDaS11_S12_SI_SN_EUlS11_E_NS1_11comp_targetILNS1_3genE9ELNS1_11target_archE1100ELNS1_3gpuE3ELNS1_3repE0EEENS1_47radix_sort_onesweep_sort_config_static_selectorELNS0_4arch9wavefront6targetE1EEEvSI_,@function
_ZN7rocprim17ROCPRIM_400000_NS6detail17trampoline_kernelINS0_14default_configENS1_35radix_sort_onesweep_config_selectorIiiEEZZNS1_29radix_sort_onesweep_iterationIS3_Lb1EN6thrust23THRUST_200600_302600_NS6detail15normal_iteratorINS8_10device_ptrIiEEEESD_SD_SD_jNS0_19identity_decomposerENS1_16block_id_wrapperIjLb0EEEEE10hipError_tT1_PNSt15iterator_traitsISI_E10value_typeET2_T3_PNSJ_ISO_E10value_typeET4_T5_PST_SU_PNS1_23onesweep_lookback_stateEbbT6_jjT7_P12ihipStream_tbENKUlT_T0_SI_SN_E_clIPiSD_S15_SD_EEDaS11_S12_SI_SN_EUlS11_E_NS1_11comp_targetILNS1_3genE9ELNS1_11target_archE1100ELNS1_3gpuE3ELNS1_3repE0EEENS1_47radix_sort_onesweep_sort_config_static_selectorELNS0_4arch9wavefront6targetE1EEEvSI_: ; @_ZN7rocprim17ROCPRIM_400000_NS6detail17trampoline_kernelINS0_14default_configENS1_35radix_sort_onesweep_config_selectorIiiEEZZNS1_29radix_sort_onesweep_iterationIS3_Lb1EN6thrust23THRUST_200600_302600_NS6detail15normal_iteratorINS8_10device_ptrIiEEEESD_SD_SD_jNS0_19identity_decomposerENS1_16block_id_wrapperIjLb0EEEEE10hipError_tT1_PNSt15iterator_traitsISI_E10value_typeET2_T3_PNSJ_ISO_E10value_typeET4_T5_PST_SU_PNS1_23onesweep_lookback_stateEbbT6_jjT7_P12ihipStream_tbENKUlT_T0_SI_SN_E_clIPiSD_S15_SD_EEDaS11_S12_SI_SN_EUlS11_E_NS1_11comp_targetILNS1_3genE9ELNS1_11target_archE1100ELNS1_3gpuE3ELNS1_3repE0EEENS1_47radix_sort_onesweep_sort_config_static_selectorELNS0_4arch9wavefront6targetE1EEEvSI_
; %bb.0:
	.section	.rodata,"a",@progbits
	.p2align	6, 0x0
	.amdhsa_kernel _ZN7rocprim17ROCPRIM_400000_NS6detail17trampoline_kernelINS0_14default_configENS1_35radix_sort_onesweep_config_selectorIiiEEZZNS1_29radix_sort_onesweep_iterationIS3_Lb1EN6thrust23THRUST_200600_302600_NS6detail15normal_iteratorINS8_10device_ptrIiEEEESD_SD_SD_jNS0_19identity_decomposerENS1_16block_id_wrapperIjLb0EEEEE10hipError_tT1_PNSt15iterator_traitsISI_E10value_typeET2_T3_PNSJ_ISO_E10value_typeET4_T5_PST_SU_PNS1_23onesweep_lookback_stateEbbT6_jjT7_P12ihipStream_tbENKUlT_T0_SI_SN_E_clIPiSD_S15_SD_EEDaS11_S12_SI_SN_EUlS11_E_NS1_11comp_targetILNS1_3genE9ELNS1_11target_archE1100ELNS1_3gpuE3ELNS1_3repE0EEENS1_47radix_sort_onesweep_sort_config_static_selectorELNS0_4arch9wavefront6targetE1EEEvSI_
		.amdhsa_group_segment_fixed_size 0
		.amdhsa_private_segment_fixed_size 0
		.amdhsa_kernarg_size 88
		.amdhsa_user_sgpr_count 2
		.amdhsa_user_sgpr_dispatch_ptr 0
		.amdhsa_user_sgpr_queue_ptr 0
		.amdhsa_user_sgpr_kernarg_segment_ptr 1
		.amdhsa_user_sgpr_dispatch_id 0
		.amdhsa_user_sgpr_kernarg_preload_length 0
		.amdhsa_user_sgpr_kernarg_preload_offset 0
		.amdhsa_user_sgpr_private_segment_size 0
		.amdhsa_uses_dynamic_stack 0
		.amdhsa_enable_private_segment 0
		.amdhsa_system_sgpr_workgroup_id_x 1
		.amdhsa_system_sgpr_workgroup_id_y 0
		.amdhsa_system_sgpr_workgroup_id_z 0
		.amdhsa_system_sgpr_workgroup_info 0
		.amdhsa_system_vgpr_workitem_id 0
		.amdhsa_next_free_vgpr 1
		.amdhsa_next_free_sgpr 0
		.amdhsa_accum_offset 4
		.amdhsa_reserve_vcc 0
		.amdhsa_float_round_mode_32 0
		.amdhsa_float_round_mode_16_64 0
		.amdhsa_float_denorm_mode_32 3
		.amdhsa_float_denorm_mode_16_64 3
		.amdhsa_dx10_clamp 1
		.amdhsa_ieee_mode 1
		.amdhsa_fp16_overflow 0
		.amdhsa_tg_split 0
		.amdhsa_exception_fp_ieee_invalid_op 0
		.amdhsa_exception_fp_denorm_src 0
		.amdhsa_exception_fp_ieee_div_zero 0
		.amdhsa_exception_fp_ieee_overflow 0
		.amdhsa_exception_fp_ieee_underflow 0
		.amdhsa_exception_fp_ieee_inexact 0
		.amdhsa_exception_int_div_zero 0
	.end_amdhsa_kernel
	.section	.text._ZN7rocprim17ROCPRIM_400000_NS6detail17trampoline_kernelINS0_14default_configENS1_35radix_sort_onesweep_config_selectorIiiEEZZNS1_29radix_sort_onesweep_iterationIS3_Lb1EN6thrust23THRUST_200600_302600_NS6detail15normal_iteratorINS8_10device_ptrIiEEEESD_SD_SD_jNS0_19identity_decomposerENS1_16block_id_wrapperIjLb0EEEEE10hipError_tT1_PNSt15iterator_traitsISI_E10value_typeET2_T3_PNSJ_ISO_E10value_typeET4_T5_PST_SU_PNS1_23onesweep_lookback_stateEbbT6_jjT7_P12ihipStream_tbENKUlT_T0_SI_SN_E_clIPiSD_S15_SD_EEDaS11_S12_SI_SN_EUlS11_E_NS1_11comp_targetILNS1_3genE9ELNS1_11target_archE1100ELNS1_3gpuE3ELNS1_3repE0EEENS1_47radix_sort_onesweep_sort_config_static_selectorELNS0_4arch9wavefront6targetE1EEEvSI_,"axG",@progbits,_ZN7rocprim17ROCPRIM_400000_NS6detail17trampoline_kernelINS0_14default_configENS1_35radix_sort_onesweep_config_selectorIiiEEZZNS1_29radix_sort_onesweep_iterationIS3_Lb1EN6thrust23THRUST_200600_302600_NS6detail15normal_iteratorINS8_10device_ptrIiEEEESD_SD_SD_jNS0_19identity_decomposerENS1_16block_id_wrapperIjLb0EEEEE10hipError_tT1_PNSt15iterator_traitsISI_E10value_typeET2_T3_PNSJ_ISO_E10value_typeET4_T5_PST_SU_PNS1_23onesweep_lookback_stateEbbT6_jjT7_P12ihipStream_tbENKUlT_T0_SI_SN_E_clIPiSD_S15_SD_EEDaS11_S12_SI_SN_EUlS11_E_NS1_11comp_targetILNS1_3genE9ELNS1_11target_archE1100ELNS1_3gpuE3ELNS1_3repE0EEENS1_47radix_sort_onesweep_sort_config_static_selectorELNS0_4arch9wavefront6targetE1EEEvSI_,comdat
.Lfunc_end1889:
	.size	_ZN7rocprim17ROCPRIM_400000_NS6detail17trampoline_kernelINS0_14default_configENS1_35radix_sort_onesweep_config_selectorIiiEEZZNS1_29radix_sort_onesweep_iterationIS3_Lb1EN6thrust23THRUST_200600_302600_NS6detail15normal_iteratorINS8_10device_ptrIiEEEESD_SD_SD_jNS0_19identity_decomposerENS1_16block_id_wrapperIjLb0EEEEE10hipError_tT1_PNSt15iterator_traitsISI_E10value_typeET2_T3_PNSJ_ISO_E10value_typeET4_T5_PST_SU_PNS1_23onesweep_lookback_stateEbbT6_jjT7_P12ihipStream_tbENKUlT_T0_SI_SN_E_clIPiSD_S15_SD_EEDaS11_S12_SI_SN_EUlS11_E_NS1_11comp_targetILNS1_3genE9ELNS1_11target_archE1100ELNS1_3gpuE3ELNS1_3repE0EEENS1_47radix_sort_onesweep_sort_config_static_selectorELNS0_4arch9wavefront6targetE1EEEvSI_, .Lfunc_end1889-_ZN7rocprim17ROCPRIM_400000_NS6detail17trampoline_kernelINS0_14default_configENS1_35radix_sort_onesweep_config_selectorIiiEEZZNS1_29radix_sort_onesweep_iterationIS3_Lb1EN6thrust23THRUST_200600_302600_NS6detail15normal_iteratorINS8_10device_ptrIiEEEESD_SD_SD_jNS0_19identity_decomposerENS1_16block_id_wrapperIjLb0EEEEE10hipError_tT1_PNSt15iterator_traitsISI_E10value_typeET2_T3_PNSJ_ISO_E10value_typeET4_T5_PST_SU_PNS1_23onesweep_lookback_stateEbbT6_jjT7_P12ihipStream_tbENKUlT_T0_SI_SN_E_clIPiSD_S15_SD_EEDaS11_S12_SI_SN_EUlS11_E_NS1_11comp_targetILNS1_3genE9ELNS1_11target_archE1100ELNS1_3gpuE3ELNS1_3repE0EEENS1_47radix_sort_onesweep_sort_config_static_selectorELNS0_4arch9wavefront6targetE1EEEvSI_
                                        ; -- End function
	.set _ZN7rocprim17ROCPRIM_400000_NS6detail17trampoline_kernelINS0_14default_configENS1_35radix_sort_onesweep_config_selectorIiiEEZZNS1_29radix_sort_onesweep_iterationIS3_Lb1EN6thrust23THRUST_200600_302600_NS6detail15normal_iteratorINS8_10device_ptrIiEEEESD_SD_SD_jNS0_19identity_decomposerENS1_16block_id_wrapperIjLb0EEEEE10hipError_tT1_PNSt15iterator_traitsISI_E10value_typeET2_T3_PNSJ_ISO_E10value_typeET4_T5_PST_SU_PNS1_23onesweep_lookback_stateEbbT6_jjT7_P12ihipStream_tbENKUlT_T0_SI_SN_E_clIPiSD_S15_SD_EEDaS11_S12_SI_SN_EUlS11_E_NS1_11comp_targetILNS1_3genE9ELNS1_11target_archE1100ELNS1_3gpuE3ELNS1_3repE0EEENS1_47radix_sort_onesweep_sort_config_static_selectorELNS0_4arch9wavefront6targetE1EEEvSI_.num_vgpr, 0
	.set _ZN7rocprim17ROCPRIM_400000_NS6detail17trampoline_kernelINS0_14default_configENS1_35radix_sort_onesweep_config_selectorIiiEEZZNS1_29radix_sort_onesweep_iterationIS3_Lb1EN6thrust23THRUST_200600_302600_NS6detail15normal_iteratorINS8_10device_ptrIiEEEESD_SD_SD_jNS0_19identity_decomposerENS1_16block_id_wrapperIjLb0EEEEE10hipError_tT1_PNSt15iterator_traitsISI_E10value_typeET2_T3_PNSJ_ISO_E10value_typeET4_T5_PST_SU_PNS1_23onesweep_lookback_stateEbbT6_jjT7_P12ihipStream_tbENKUlT_T0_SI_SN_E_clIPiSD_S15_SD_EEDaS11_S12_SI_SN_EUlS11_E_NS1_11comp_targetILNS1_3genE9ELNS1_11target_archE1100ELNS1_3gpuE3ELNS1_3repE0EEENS1_47radix_sort_onesweep_sort_config_static_selectorELNS0_4arch9wavefront6targetE1EEEvSI_.num_agpr, 0
	.set _ZN7rocprim17ROCPRIM_400000_NS6detail17trampoline_kernelINS0_14default_configENS1_35radix_sort_onesweep_config_selectorIiiEEZZNS1_29radix_sort_onesweep_iterationIS3_Lb1EN6thrust23THRUST_200600_302600_NS6detail15normal_iteratorINS8_10device_ptrIiEEEESD_SD_SD_jNS0_19identity_decomposerENS1_16block_id_wrapperIjLb0EEEEE10hipError_tT1_PNSt15iterator_traitsISI_E10value_typeET2_T3_PNSJ_ISO_E10value_typeET4_T5_PST_SU_PNS1_23onesweep_lookback_stateEbbT6_jjT7_P12ihipStream_tbENKUlT_T0_SI_SN_E_clIPiSD_S15_SD_EEDaS11_S12_SI_SN_EUlS11_E_NS1_11comp_targetILNS1_3genE9ELNS1_11target_archE1100ELNS1_3gpuE3ELNS1_3repE0EEENS1_47radix_sort_onesweep_sort_config_static_selectorELNS0_4arch9wavefront6targetE1EEEvSI_.numbered_sgpr, 0
	.set _ZN7rocprim17ROCPRIM_400000_NS6detail17trampoline_kernelINS0_14default_configENS1_35radix_sort_onesweep_config_selectorIiiEEZZNS1_29radix_sort_onesweep_iterationIS3_Lb1EN6thrust23THRUST_200600_302600_NS6detail15normal_iteratorINS8_10device_ptrIiEEEESD_SD_SD_jNS0_19identity_decomposerENS1_16block_id_wrapperIjLb0EEEEE10hipError_tT1_PNSt15iterator_traitsISI_E10value_typeET2_T3_PNSJ_ISO_E10value_typeET4_T5_PST_SU_PNS1_23onesweep_lookback_stateEbbT6_jjT7_P12ihipStream_tbENKUlT_T0_SI_SN_E_clIPiSD_S15_SD_EEDaS11_S12_SI_SN_EUlS11_E_NS1_11comp_targetILNS1_3genE9ELNS1_11target_archE1100ELNS1_3gpuE3ELNS1_3repE0EEENS1_47radix_sort_onesweep_sort_config_static_selectorELNS0_4arch9wavefront6targetE1EEEvSI_.num_named_barrier, 0
	.set _ZN7rocprim17ROCPRIM_400000_NS6detail17trampoline_kernelINS0_14default_configENS1_35radix_sort_onesweep_config_selectorIiiEEZZNS1_29radix_sort_onesweep_iterationIS3_Lb1EN6thrust23THRUST_200600_302600_NS6detail15normal_iteratorINS8_10device_ptrIiEEEESD_SD_SD_jNS0_19identity_decomposerENS1_16block_id_wrapperIjLb0EEEEE10hipError_tT1_PNSt15iterator_traitsISI_E10value_typeET2_T3_PNSJ_ISO_E10value_typeET4_T5_PST_SU_PNS1_23onesweep_lookback_stateEbbT6_jjT7_P12ihipStream_tbENKUlT_T0_SI_SN_E_clIPiSD_S15_SD_EEDaS11_S12_SI_SN_EUlS11_E_NS1_11comp_targetILNS1_3genE9ELNS1_11target_archE1100ELNS1_3gpuE3ELNS1_3repE0EEENS1_47radix_sort_onesweep_sort_config_static_selectorELNS0_4arch9wavefront6targetE1EEEvSI_.private_seg_size, 0
	.set _ZN7rocprim17ROCPRIM_400000_NS6detail17trampoline_kernelINS0_14default_configENS1_35radix_sort_onesweep_config_selectorIiiEEZZNS1_29radix_sort_onesweep_iterationIS3_Lb1EN6thrust23THRUST_200600_302600_NS6detail15normal_iteratorINS8_10device_ptrIiEEEESD_SD_SD_jNS0_19identity_decomposerENS1_16block_id_wrapperIjLb0EEEEE10hipError_tT1_PNSt15iterator_traitsISI_E10value_typeET2_T3_PNSJ_ISO_E10value_typeET4_T5_PST_SU_PNS1_23onesweep_lookback_stateEbbT6_jjT7_P12ihipStream_tbENKUlT_T0_SI_SN_E_clIPiSD_S15_SD_EEDaS11_S12_SI_SN_EUlS11_E_NS1_11comp_targetILNS1_3genE9ELNS1_11target_archE1100ELNS1_3gpuE3ELNS1_3repE0EEENS1_47radix_sort_onesweep_sort_config_static_selectorELNS0_4arch9wavefront6targetE1EEEvSI_.uses_vcc, 0
	.set _ZN7rocprim17ROCPRIM_400000_NS6detail17trampoline_kernelINS0_14default_configENS1_35radix_sort_onesweep_config_selectorIiiEEZZNS1_29radix_sort_onesweep_iterationIS3_Lb1EN6thrust23THRUST_200600_302600_NS6detail15normal_iteratorINS8_10device_ptrIiEEEESD_SD_SD_jNS0_19identity_decomposerENS1_16block_id_wrapperIjLb0EEEEE10hipError_tT1_PNSt15iterator_traitsISI_E10value_typeET2_T3_PNSJ_ISO_E10value_typeET4_T5_PST_SU_PNS1_23onesweep_lookback_stateEbbT6_jjT7_P12ihipStream_tbENKUlT_T0_SI_SN_E_clIPiSD_S15_SD_EEDaS11_S12_SI_SN_EUlS11_E_NS1_11comp_targetILNS1_3genE9ELNS1_11target_archE1100ELNS1_3gpuE3ELNS1_3repE0EEENS1_47radix_sort_onesweep_sort_config_static_selectorELNS0_4arch9wavefront6targetE1EEEvSI_.uses_flat_scratch, 0
	.set _ZN7rocprim17ROCPRIM_400000_NS6detail17trampoline_kernelINS0_14default_configENS1_35radix_sort_onesweep_config_selectorIiiEEZZNS1_29radix_sort_onesweep_iterationIS3_Lb1EN6thrust23THRUST_200600_302600_NS6detail15normal_iteratorINS8_10device_ptrIiEEEESD_SD_SD_jNS0_19identity_decomposerENS1_16block_id_wrapperIjLb0EEEEE10hipError_tT1_PNSt15iterator_traitsISI_E10value_typeET2_T3_PNSJ_ISO_E10value_typeET4_T5_PST_SU_PNS1_23onesweep_lookback_stateEbbT6_jjT7_P12ihipStream_tbENKUlT_T0_SI_SN_E_clIPiSD_S15_SD_EEDaS11_S12_SI_SN_EUlS11_E_NS1_11comp_targetILNS1_3genE9ELNS1_11target_archE1100ELNS1_3gpuE3ELNS1_3repE0EEENS1_47radix_sort_onesweep_sort_config_static_selectorELNS0_4arch9wavefront6targetE1EEEvSI_.has_dyn_sized_stack, 0
	.set _ZN7rocprim17ROCPRIM_400000_NS6detail17trampoline_kernelINS0_14default_configENS1_35radix_sort_onesweep_config_selectorIiiEEZZNS1_29radix_sort_onesweep_iterationIS3_Lb1EN6thrust23THRUST_200600_302600_NS6detail15normal_iteratorINS8_10device_ptrIiEEEESD_SD_SD_jNS0_19identity_decomposerENS1_16block_id_wrapperIjLb0EEEEE10hipError_tT1_PNSt15iterator_traitsISI_E10value_typeET2_T3_PNSJ_ISO_E10value_typeET4_T5_PST_SU_PNS1_23onesweep_lookback_stateEbbT6_jjT7_P12ihipStream_tbENKUlT_T0_SI_SN_E_clIPiSD_S15_SD_EEDaS11_S12_SI_SN_EUlS11_E_NS1_11comp_targetILNS1_3genE9ELNS1_11target_archE1100ELNS1_3gpuE3ELNS1_3repE0EEENS1_47radix_sort_onesweep_sort_config_static_selectorELNS0_4arch9wavefront6targetE1EEEvSI_.has_recursion, 0
	.set _ZN7rocprim17ROCPRIM_400000_NS6detail17trampoline_kernelINS0_14default_configENS1_35radix_sort_onesweep_config_selectorIiiEEZZNS1_29radix_sort_onesweep_iterationIS3_Lb1EN6thrust23THRUST_200600_302600_NS6detail15normal_iteratorINS8_10device_ptrIiEEEESD_SD_SD_jNS0_19identity_decomposerENS1_16block_id_wrapperIjLb0EEEEE10hipError_tT1_PNSt15iterator_traitsISI_E10value_typeET2_T3_PNSJ_ISO_E10value_typeET4_T5_PST_SU_PNS1_23onesweep_lookback_stateEbbT6_jjT7_P12ihipStream_tbENKUlT_T0_SI_SN_E_clIPiSD_S15_SD_EEDaS11_S12_SI_SN_EUlS11_E_NS1_11comp_targetILNS1_3genE9ELNS1_11target_archE1100ELNS1_3gpuE3ELNS1_3repE0EEENS1_47radix_sort_onesweep_sort_config_static_selectorELNS0_4arch9wavefront6targetE1EEEvSI_.has_indirect_call, 0
	.section	.AMDGPU.csdata,"",@progbits
; Kernel info:
; codeLenInByte = 0
; TotalNumSgprs: 6
; NumVgprs: 0
; NumAgprs: 0
; TotalNumVgprs: 0
; ScratchSize: 0
; MemoryBound: 0
; FloatMode: 240
; IeeeMode: 1
; LDSByteSize: 0 bytes/workgroup (compile time only)
; SGPRBlocks: 0
; VGPRBlocks: 0
; NumSGPRsForWavesPerEU: 6
; NumVGPRsForWavesPerEU: 1
; AccumOffset: 4
; Occupancy: 8
; WaveLimiterHint : 0
; COMPUTE_PGM_RSRC2:SCRATCH_EN: 0
; COMPUTE_PGM_RSRC2:USER_SGPR: 2
; COMPUTE_PGM_RSRC2:TRAP_HANDLER: 0
; COMPUTE_PGM_RSRC2:TGID_X_EN: 1
; COMPUTE_PGM_RSRC2:TGID_Y_EN: 0
; COMPUTE_PGM_RSRC2:TGID_Z_EN: 0
; COMPUTE_PGM_RSRC2:TIDIG_COMP_CNT: 0
; COMPUTE_PGM_RSRC3_GFX90A:ACCUM_OFFSET: 0
; COMPUTE_PGM_RSRC3_GFX90A:TG_SPLIT: 0
	.section	.text._ZN7rocprim17ROCPRIM_400000_NS6detail17trampoline_kernelINS0_14default_configENS1_35radix_sort_onesweep_config_selectorIiiEEZZNS1_29radix_sort_onesweep_iterationIS3_Lb1EN6thrust23THRUST_200600_302600_NS6detail15normal_iteratorINS8_10device_ptrIiEEEESD_SD_SD_jNS0_19identity_decomposerENS1_16block_id_wrapperIjLb0EEEEE10hipError_tT1_PNSt15iterator_traitsISI_E10value_typeET2_T3_PNSJ_ISO_E10value_typeET4_T5_PST_SU_PNS1_23onesweep_lookback_stateEbbT6_jjT7_P12ihipStream_tbENKUlT_T0_SI_SN_E_clIPiSD_S15_SD_EEDaS11_S12_SI_SN_EUlS11_E_NS1_11comp_targetILNS1_3genE8ELNS1_11target_archE1030ELNS1_3gpuE2ELNS1_3repE0EEENS1_47radix_sort_onesweep_sort_config_static_selectorELNS0_4arch9wavefront6targetE1EEEvSI_,"axG",@progbits,_ZN7rocprim17ROCPRIM_400000_NS6detail17trampoline_kernelINS0_14default_configENS1_35radix_sort_onesweep_config_selectorIiiEEZZNS1_29radix_sort_onesweep_iterationIS3_Lb1EN6thrust23THRUST_200600_302600_NS6detail15normal_iteratorINS8_10device_ptrIiEEEESD_SD_SD_jNS0_19identity_decomposerENS1_16block_id_wrapperIjLb0EEEEE10hipError_tT1_PNSt15iterator_traitsISI_E10value_typeET2_T3_PNSJ_ISO_E10value_typeET4_T5_PST_SU_PNS1_23onesweep_lookback_stateEbbT6_jjT7_P12ihipStream_tbENKUlT_T0_SI_SN_E_clIPiSD_S15_SD_EEDaS11_S12_SI_SN_EUlS11_E_NS1_11comp_targetILNS1_3genE8ELNS1_11target_archE1030ELNS1_3gpuE2ELNS1_3repE0EEENS1_47radix_sort_onesweep_sort_config_static_selectorELNS0_4arch9wavefront6targetE1EEEvSI_,comdat
	.protected	_ZN7rocprim17ROCPRIM_400000_NS6detail17trampoline_kernelINS0_14default_configENS1_35radix_sort_onesweep_config_selectorIiiEEZZNS1_29radix_sort_onesweep_iterationIS3_Lb1EN6thrust23THRUST_200600_302600_NS6detail15normal_iteratorINS8_10device_ptrIiEEEESD_SD_SD_jNS0_19identity_decomposerENS1_16block_id_wrapperIjLb0EEEEE10hipError_tT1_PNSt15iterator_traitsISI_E10value_typeET2_T3_PNSJ_ISO_E10value_typeET4_T5_PST_SU_PNS1_23onesweep_lookback_stateEbbT6_jjT7_P12ihipStream_tbENKUlT_T0_SI_SN_E_clIPiSD_S15_SD_EEDaS11_S12_SI_SN_EUlS11_E_NS1_11comp_targetILNS1_3genE8ELNS1_11target_archE1030ELNS1_3gpuE2ELNS1_3repE0EEENS1_47radix_sort_onesweep_sort_config_static_selectorELNS0_4arch9wavefront6targetE1EEEvSI_ ; -- Begin function _ZN7rocprim17ROCPRIM_400000_NS6detail17trampoline_kernelINS0_14default_configENS1_35radix_sort_onesweep_config_selectorIiiEEZZNS1_29radix_sort_onesweep_iterationIS3_Lb1EN6thrust23THRUST_200600_302600_NS6detail15normal_iteratorINS8_10device_ptrIiEEEESD_SD_SD_jNS0_19identity_decomposerENS1_16block_id_wrapperIjLb0EEEEE10hipError_tT1_PNSt15iterator_traitsISI_E10value_typeET2_T3_PNSJ_ISO_E10value_typeET4_T5_PST_SU_PNS1_23onesweep_lookback_stateEbbT6_jjT7_P12ihipStream_tbENKUlT_T0_SI_SN_E_clIPiSD_S15_SD_EEDaS11_S12_SI_SN_EUlS11_E_NS1_11comp_targetILNS1_3genE8ELNS1_11target_archE1030ELNS1_3gpuE2ELNS1_3repE0EEENS1_47radix_sort_onesweep_sort_config_static_selectorELNS0_4arch9wavefront6targetE1EEEvSI_
	.globl	_ZN7rocprim17ROCPRIM_400000_NS6detail17trampoline_kernelINS0_14default_configENS1_35radix_sort_onesweep_config_selectorIiiEEZZNS1_29radix_sort_onesweep_iterationIS3_Lb1EN6thrust23THRUST_200600_302600_NS6detail15normal_iteratorINS8_10device_ptrIiEEEESD_SD_SD_jNS0_19identity_decomposerENS1_16block_id_wrapperIjLb0EEEEE10hipError_tT1_PNSt15iterator_traitsISI_E10value_typeET2_T3_PNSJ_ISO_E10value_typeET4_T5_PST_SU_PNS1_23onesweep_lookback_stateEbbT6_jjT7_P12ihipStream_tbENKUlT_T0_SI_SN_E_clIPiSD_S15_SD_EEDaS11_S12_SI_SN_EUlS11_E_NS1_11comp_targetILNS1_3genE8ELNS1_11target_archE1030ELNS1_3gpuE2ELNS1_3repE0EEENS1_47radix_sort_onesweep_sort_config_static_selectorELNS0_4arch9wavefront6targetE1EEEvSI_
	.p2align	8
	.type	_ZN7rocprim17ROCPRIM_400000_NS6detail17trampoline_kernelINS0_14default_configENS1_35radix_sort_onesweep_config_selectorIiiEEZZNS1_29radix_sort_onesweep_iterationIS3_Lb1EN6thrust23THRUST_200600_302600_NS6detail15normal_iteratorINS8_10device_ptrIiEEEESD_SD_SD_jNS0_19identity_decomposerENS1_16block_id_wrapperIjLb0EEEEE10hipError_tT1_PNSt15iterator_traitsISI_E10value_typeET2_T3_PNSJ_ISO_E10value_typeET4_T5_PST_SU_PNS1_23onesweep_lookback_stateEbbT6_jjT7_P12ihipStream_tbENKUlT_T0_SI_SN_E_clIPiSD_S15_SD_EEDaS11_S12_SI_SN_EUlS11_E_NS1_11comp_targetILNS1_3genE8ELNS1_11target_archE1030ELNS1_3gpuE2ELNS1_3repE0EEENS1_47radix_sort_onesweep_sort_config_static_selectorELNS0_4arch9wavefront6targetE1EEEvSI_,@function
_ZN7rocprim17ROCPRIM_400000_NS6detail17trampoline_kernelINS0_14default_configENS1_35radix_sort_onesweep_config_selectorIiiEEZZNS1_29radix_sort_onesweep_iterationIS3_Lb1EN6thrust23THRUST_200600_302600_NS6detail15normal_iteratorINS8_10device_ptrIiEEEESD_SD_SD_jNS0_19identity_decomposerENS1_16block_id_wrapperIjLb0EEEEE10hipError_tT1_PNSt15iterator_traitsISI_E10value_typeET2_T3_PNSJ_ISO_E10value_typeET4_T5_PST_SU_PNS1_23onesweep_lookback_stateEbbT6_jjT7_P12ihipStream_tbENKUlT_T0_SI_SN_E_clIPiSD_S15_SD_EEDaS11_S12_SI_SN_EUlS11_E_NS1_11comp_targetILNS1_3genE8ELNS1_11target_archE1030ELNS1_3gpuE2ELNS1_3repE0EEENS1_47radix_sort_onesweep_sort_config_static_selectorELNS0_4arch9wavefront6targetE1EEEvSI_: ; @_ZN7rocprim17ROCPRIM_400000_NS6detail17trampoline_kernelINS0_14default_configENS1_35radix_sort_onesweep_config_selectorIiiEEZZNS1_29radix_sort_onesweep_iterationIS3_Lb1EN6thrust23THRUST_200600_302600_NS6detail15normal_iteratorINS8_10device_ptrIiEEEESD_SD_SD_jNS0_19identity_decomposerENS1_16block_id_wrapperIjLb0EEEEE10hipError_tT1_PNSt15iterator_traitsISI_E10value_typeET2_T3_PNSJ_ISO_E10value_typeET4_T5_PST_SU_PNS1_23onesweep_lookback_stateEbbT6_jjT7_P12ihipStream_tbENKUlT_T0_SI_SN_E_clIPiSD_S15_SD_EEDaS11_S12_SI_SN_EUlS11_E_NS1_11comp_targetILNS1_3genE8ELNS1_11target_archE1030ELNS1_3gpuE2ELNS1_3repE0EEENS1_47radix_sort_onesweep_sort_config_static_selectorELNS0_4arch9wavefront6targetE1EEEvSI_
; %bb.0:
	.section	.rodata,"a",@progbits
	.p2align	6, 0x0
	.amdhsa_kernel _ZN7rocprim17ROCPRIM_400000_NS6detail17trampoline_kernelINS0_14default_configENS1_35radix_sort_onesweep_config_selectorIiiEEZZNS1_29radix_sort_onesweep_iterationIS3_Lb1EN6thrust23THRUST_200600_302600_NS6detail15normal_iteratorINS8_10device_ptrIiEEEESD_SD_SD_jNS0_19identity_decomposerENS1_16block_id_wrapperIjLb0EEEEE10hipError_tT1_PNSt15iterator_traitsISI_E10value_typeET2_T3_PNSJ_ISO_E10value_typeET4_T5_PST_SU_PNS1_23onesweep_lookback_stateEbbT6_jjT7_P12ihipStream_tbENKUlT_T0_SI_SN_E_clIPiSD_S15_SD_EEDaS11_S12_SI_SN_EUlS11_E_NS1_11comp_targetILNS1_3genE8ELNS1_11target_archE1030ELNS1_3gpuE2ELNS1_3repE0EEENS1_47radix_sort_onesweep_sort_config_static_selectorELNS0_4arch9wavefront6targetE1EEEvSI_
		.amdhsa_group_segment_fixed_size 0
		.amdhsa_private_segment_fixed_size 0
		.amdhsa_kernarg_size 88
		.amdhsa_user_sgpr_count 2
		.amdhsa_user_sgpr_dispatch_ptr 0
		.amdhsa_user_sgpr_queue_ptr 0
		.amdhsa_user_sgpr_kernarg_segment_ptr 1
		.amdhsa_user_sgpr_dispatch_id 0
		.amdhsa_user_sgpr_kernarg_preload_length 0
		.amdhsa_user_sgpr_kernarg_preload_offset 0
		.amdhsa_user_sgpr_private_segment_size 0
		.amdhsa_uses_dynamic_stack 0
		.amdhsa_enable_private_segment 0
		.amdhsa_system_sgpr_workgroup_id_x 1
		.amdhsa_system_sgpr_workgroup_id_y 0
		.amdhsa_system_sgpr_workgroup_id_z 0
		.amdhsa_system_sgpr_workgroup_info 0
		.amdhsa_system_vgpr_workitem_id 0
		.amdhsa_next_free_vgpr 1
		.amdhsa_next_free_sgpr 0
		.amdhsa_accum_offset 4
		.amdhsa_reserve_vcc 0
		.amdhsa_float_round_mode_32 0
		.amdhsa_float_round_mode_16_64 0
		.amdhsa_float_denorm_mode_32 3
		.amdhsa_float_denorm_mode_16_64 3
		.amdhsa_dx10_clamp 1
		.amdhsa_ieee_mode 1
		.amdhsa_fp16_overflow 0
		.amdhsa_tg_split 0
		.amdhsa_exception_fp_ieee_invalid_op 0
		.amdhsa_exception_fp_denorm_src 0
		.amdhsa_exception_fp_ieee_div_zero 0
		.amdhsa_exception_fp_ieee_overflow 0
		.amdhsa_exception_fp_ieee_underflow 0
		.amdhsa_exception_fp_ieee_inexact 0
		.amdhsa_exception_int_div_zero 0
	.end_amdhsa_kernel
	.section	.text._ZN7rocprim17ROCPRIM_400000_NS6detail17trampoline_kernelINS0_14default_configENS1_35radix_sort_onesweep_config_selectorIiiEEZZNS1_29radix_sort_onesweep_iterationIS3_Lb1EN6thrust23THRUST_200600_302600_NS6detail15normal_iteratorINS8_10device_ptrIiEEEESD_SD_SD_jNS0_19identity_decomposerENS1_16block_id_wrapperIjLb0EEEEE10hipError_tT1_PNSt15iterator_traitsISI_E10value_typeET2_T3_PNSJ_ISO_E10value_typeET4_T5_PST_SU_PNS1_23onesweep_lookback_stateEbbT6_jjT7_P12ihipStream_tbENKUlT_T0_SI_SN_E_clIPiSD_S15_SD_EEDaS11_S12_SI_SN_EUlS11_E_NS1_11comp_targetILNS1_3genE8ELNS1_11target_archE1030ELNS1_3gpuE2ELNS1_3repE0EEENS1_47radix_sort_onesweep_sort_config_static_selectorELNS0_4arch9wavefront6targetE1EEEvSI_,"axG",@progbits,_ZN7rocprim17ROCPRIM_400000_NS6detail17trampoline_kernelINS0_14default_configENS1_35radix_sort_onesweep_config_selectorIiiEEZZNS1_29radix_sort_onesweep_iterationIS3_Lb1EN6thrust23THRUST_200600_302600_NS6detail15normal_iteratorINS8_10device_ptrIiEEEESD_SD_SD_jNS0_19identity_decomposerENS1_16block_id_wrapperIjLb0EEEEE10hipError_tT1_PNSt15iterator_traitsISI_E10value_typeET2_T3_PNSJ_ISO_E10value_typeET4_T5_PST_SU_PNS1_23onesweep_lookback_stateEbbT6_jjT7_P12ihipStream_tbENKUlT_T0_SI_SN_E_clIPiSD_S15_SD_EEDaS11_S12_SI_SN_EUlS11_E_NS1_11comp_targetILNS1_3genE8ELNS1_11target_archE1030ELNS1_3gpuE2ELNS1_3repE0EEENS1_47radix_sort_onesweep_sort_config_static_selectorELNS0_4arch9wavefront6targetE1EEEvSI_,comdat
.Lfunc_end1890:
	.size	_ZN7rocprim17ROCPRIM_400000_NS6detail17trampoline_kernelINS0_14default_configENS1_35radix_sort_onesweep_config_selectorIiiEEZZNS1_29radix_sort_onesweep_iterationIS3_Lb1EN6thrust23THRUST_200600_302600_NS6detail15normal_iteratorINS8_10device_ptrIiEEEESD_SD_SD_jNS0_19identity_decomposerENS1_16block_id_wrapperIjLb0EEEEE10hipError_tT1_PNSt15iterator_traitsISI_E10value_typeET2_T3_PNSJ_ISO_E10value_typeET4_T5_PST_SU_PNS1_23onesweep_lookback_stateEbbT6_jjT7_P12ihipStream_tbENKUlT_T0_SI_SN_E_clIPiSD_S15_SD_EEDaS11_S12_SI_SN_EUlS11_E_NS1_11comp_targetILNS1_3genE8ELNS1_11target_archE1030ELNS1_3gpuE2ELNS1_3repE0EEENS1_47radix_sort_onesweep_sort_config_static_selectorELNS0_4arch9wavefront6targetE1EEEvSI_, .Lfunc_end1890-_ZN7rocprim17ROCPRIM_400000_NS6detail17trampoline_kernelINS0_14default_configENS1_35radix_sort_onesweep_config_selectorIiiEEZZNS1_29radix_sort_onesweep_iterationIS3_Lb1EN6thrust23THRUST_200600_302600_NS6detail15normal_iteratorINS8_10device_ptrIiEEEESD_SD_SD_jNS0_19identity_decomposerENS1_16block_id_wrapperIjLb0EEEEE10hipError_tT1_PNSt15iterator_traitsISI_E10value_typeET2_T3_PNSJ_ISO_E10value_typeET4_T5_PST_SU_PNS1_23onesweep_lookback_stateEbbT6_jjT7_P12ihipStream_tbENKUlT_T0_SI_SN_E_clIPiSD_S15_SD_EEDaS11_S12_SI_SN_EUlS11_E_NS1_11comp_targetILNS1_3genE8ELNS1_11target_archE1030ELNS1_3gpuE2ELNS1_3repE0EEENS1_47radix_sort_onesweep_sort_config_static_selectorELNS0_4arch9wavefront6targetE1EEEvSI_
                                        ; -- End function
	.set _ZN7rocprim17ROCPRIM_400000_NS6detail17trampoline_kernelINS0_14default_configENS1_35radix_sort_onesweep_config_selectorIiiEEZZNS1_29radix_sort_onesweep_iterationIS3_Lb1EN6thrust23THRUST_200600_302600_NS6detail15normal_iteratorINS8_10device_ptrIiEEEESD_SD_SD_jNS0_19identity_decomposerENS1_16block_id_wrapperIjLb0EEEEE10hipError_tT1_PNSt15iterator_traitsISI_E10value_typeET2_T3_PNSJ_ISO_E10value_typeET4_T5_PST_SU_PNS1_23onesweep_lookback_stateEbbT6_jjT7_P12ihipStream_tbENKUlT_T0_SI_SN_E_clIPiSD_S15_SD_EEDaS11_S12_SI_SN_EUlS11_E_NS1_11comp_targetILNS1_3genE8ELNS1_11target_archE1030ELNS1_3gpuE2ELNS1_3repE0EEENS1_47radix_sort_onesweep_sort_config_static_selectorELNS0_4arch9wavefront6targetE1EEEvSI_.num_vgpr, 0
	.set _ZN7rocprim17ROCPRIM_400000_NS6detail17trampoline_kernelINS0_14default_configENS1_35radix_sort_onesweep_config_selectorIiiEEZZNS1_29radix_sort_onesweep_iterationIS3_Lb1EN6thrust23THRUST_200600_302600_NS6detail15normal_iteratorINS8_10device_ptrIiEEEESD_SD_SD_jNS0_19identity_decomposerENS1_16block_id_wrapperIjLb0EEEEE10hipError_tT1_PNSt15iterator_traitsISI_E10value_typeET2_T3_PNSJ_ISO_E10value_typeET4_T5_PST_SU_PNS1_23onesweep_lookback_stateEbbT6_jjT7_P12ihipStream_tbENKUlT_T0_SI_SN_E_clIPiSD_S15_SD_EEDaS11_S12_SI_SN_EUlS11_E_NS1_11comp_targetILNS1_3genE8ELNS1_11target_archE1030ELNS1_3gpuE2ELNS1_3repE0EEENS1_47radix_sort_onesweep_sort_config_static_selectorELNS0_4arch9wavefront6targetE1EEEvSI_.num_agpr, 0
	.set _ZN7rocprim17ROCPRIM_400000_NS6detail17trampoline_kernelINS0_14default_configENS1_35radix_sort_onesweep_config_selectorIiiEEZZNS1_29radix_sort_onesweep_iterationIS3_Lb1EN6thrust23THRUST_200600_302600_NS6detail15normal_iteratorINS8_10device_ptrIiEEEESD_SD_SD_jNS0_19identity_decomposerENS1_16block_id_wrapperIjLb0EEEEE10hipError_tT1_PNSt15iterator_traitsISI_E10value_typeET2_T3_PNSJ_ISO_E10value_typeET4_T5_PST_SU_PNS1_23onesweep_lookback_stateEbbT6_jjT7_P12ihipStream_tbENKUlT_T0_SI_SN_E_clIPiSD_S15_SD_EEDaS11_S12_SI_SN_EUlS11_E_NS1_11comp_targetILNS1_3genE8ELNS1_11target_archE1030ELNS1_3gpuE2ELNS1_3repE0EEENS1_47radix_sort_onesweep_sort_config_static_selectorELNS0_4arch9wavefront6targetE1EEEvSI_.numbered_sgpr, 0
	.set _ZN7rocprim17ROCPRIM_400000_NS6detail17trampoline_kernelINS0_14default_configENS1_35radix_sort_onesweep_config_selectorIiiEEZZNS1_29radix_sort_onesweep_iterationIS3_Lb1EN6thrust23THRUST_200600_302600_NS6detail15normal_iteratorINS8_10device_ptrIiEEEESD_SD_SD_jNS0_19identity_decomposerENS1_16block_id_wrapperIjLb0EEEEE10hipError_tT1_PNSt15iterator_traitsISI_E10value_typeET2_T3_PNSJ_ISO_E10value_typeET4_T5_PST_SU_PNS1_23onesweep_lookback_stateEbbT6_jjT7_P12ihipStream_tbENKUlT_T0_SI_SN_E_clIPiSD_S15_SD_EEDaS11_S12_SI_SN_EUlS11_E_NS1_11comp_targetILNS1_3genE8ELNS1_11target_archE1030ELNS1_3gpuE2ELNS1_3repE0EEENS1_47radix_sort_onesweep_sort_config_static_selectorELNS0_4arch9wavefront6targetE1EEEvSI_.num_named_barrier, 0
	.set _ZN7rocprim17ROCPRIM_400000_NS6detail17trampoline_kernelINS0_14default_configENS1_35radix_sort_onesweep_config_selectorIiiEEZZNS1_29radix_sort_onesweep_iterationIS3_Lb1EN6thrust23THRUST_200600_302600_NS6detail15normal_iteratorINS8_10device_ptrIiEEEESD_SD_SD_jNS0_19identity_decomposerENS1_16block_id_wrapperIjLb0EEEEE10hipError_tT1_PNSt15iterator_traitsISI_E10value_typeET2_T3_PNSJ_ISO_E10value_typeET4_T5_PST_SU_PNS1_23onesweep_lookback_stateEbbT6_jjT7_P12ihipStream_tbENKUlT_T0_SI_SN_E_clIPiSD_S15_SD_EEDaS11_S12_SI_SN_EUlS11_E_NS1_11comp_targetILNS1_3genE8ELNS1_11target_archE1030ELNS1_3gpuE2ELNS1_3repE0EEENS1_47radix_sort_onesweep_sort_config_static_selectorELNS0_4arch9wavefront6targetE1EEEvSI_.private_seg_size, 0
	.set _ZN7rocprim17ROCPRIM_400000_NS6detail17trampoline_kernelINS0_14default_configENS1_35radix_sort_onesweep_config_selectorIiiEEZZNS1_29radix_sort_onesweep_iterationIS3_Lb1EN6thrust23THRUST_200600_302600_NS6detail15normal_iteratorINS8_10device_ptrIiEEEESD_SD_SD_jNS0_19identity_decomposerENS1_16block_id_wrapperIjLb0EEEEE10hipError_tT1_PNSt15iterator_traitsISI_E10value_typeET2_T3_PNSJ_ISO_E10value_typeET4_T5_PST_SU_PNS1_23onesweep_lookback_stateEbbT6_jjT7_P12ihipStream_tbENKUlT_T0_SI_SN_E_clIPiSD_S15_SD_EEDaS11_S12_SI_SN_EUlS11_E_NS1_11comp_targetILNS1_3genE8ELNS1_11target_archE1030ELNS1_3gpuE2ELNS1_3repE0EEENS1_47radix_sort_onesweep_sort_config_static_selectorELNS0_4arch9wavefront6targetE1EEEvSI_.uses_vcc, 0
	.set _ZN7rocprim17ROCPRIM_400000_NS6detail17trampoline_kernelINS0_14default_configENS1_35radix_sort_onesweep_config_selectorIiiEEZZNS1_29radix_sort_onesweep_iterationIS3_Lb1EN6thrust23THRUST_200600_302600_NS6detail15normal_iteratorINS8_10device_ptrIiEEEESD_SD_SD_jNS0_19identity_decomposerENS1_16block_id_wrapperIjLb0EEEEE10hipError_tT1_PNSt15iterator_traitsISI_E10value_typeET2_T3_PNSJ_ISO_E10value_typeET4_T5_PST_SU_PNS1_23onesweep_lookback_stateEbbT6_jjT7_P12ihipStream_tbENKUlT_T0_SI_SN_E_clIPiSD_S15_SD_EEDaS11_S12_SI_SN_EUlS11_E_NS1_11comp_targetILNS1_3genE8ELNS1_11target_archE1030ELNS1_3gpuE2ELNS1_3repE0EEENS1_47radix_sort_onesweep_sort_config_static_selectorELNS0_4arch9wavefront6targetE1EEEvSI_.uses_flat_scratch, 0
	.set _ZN7rocprim17ROCPRIM_400000_NS6detail17trampoline_kernelINS0_14default_configENS1_35radix_sort_onesweep_config_selectorIiiEEZZNS1_29radix_sort_onesweep_iterationIS3_Lb1EN6thrust23THRUST_200600_302600_NS6detail15normal_iteratorINS8_10device_ptrIiEEEESD_SD_SD_jNS0_19identity_decomposerENS1_16block_id_wrapperIjLb0EEEEE10hipError_tT1_PNSt15iterator_traitsISI_E10value_typeET2_T3_PNSJ_ISO_E10value_typeET4_T5_PST_SU_PNS1_23onesweep_lookback_stateEbbT6_jjT7_P12ihipStream_tbENKUlT_T0_SI_SN_E_clIPiSD_S15_SD_EEDaS11_S12_SI_SN_EUlS11_E_NS1_11comp_targetILNS1_3genE8ELNS1_11target_archE1030ELNS1_3gpuE2ELNS1_3repE0EEENS1_47radix_sort_onesweep_sort_config_static_selectorELNS0_4arch9wavefront6targetE1EEEvSI_.has_dyn_sized_stack, 0
	.set _ZN7rocprim17ROCPRIM_400000_NS6detail17trampoline_kernelINS0_14default_configENS1_35radix_sort_onesweep_config_selectorIiiEEZZNS1_29radix_sort_onesweep_iterationIS3_Lb1EN6thrust23THRUST_200600_302600_NS6detail15normal_iteratorINS8_10device_ptrIiEEEESD_SD_SD_jNS0_19identity_decomposerENS1_16block_id_wrapperIjLb0EEEEE10hipError_tT1_PNSt15iterator_traitsISI_E10value_typeET2_T3_PNSJ_ISO_E10value_typeET4_T5_PST_SU_PNS1_23onesweep_lookback_stateEbbT6_jjT7_P12ihipStream_tbENKUlT_T0_SI_SN_E_clIPiSD_S15_SD_EEDaS11_S12_SI_SN_EUlS11_E_NS1_11comp_targetILNS1_3genE8ELNS1_11target_archE1030ELNS1_3gpuE2ELNS1_3repE0EEENS1_47radix_sort_onesweep_sort_config_static_selectorELNS0_4arch9wavefront6targetE1EEEvSI_.has_recursion, 0
	.set _ZN7rocprim17ROCPRIM_400000_NS6detail17trampoline_kernelINS0_14default_configENS1_35radix_sort_onesweep_config_selectorIiiEEZZNS1_29radix_sort_onesweep_iterationIS3_Lb1EN6thrust23THRUST_200600_302600_NS6detail15normal_iteratorINS8_10device_ptrIiEEEESD_SD_SD_jNS0_19identity_decomposerENS1_16block_id_wrapperIjLb0EEEEE10hipError_tT1_PNSt15iterator_traitsISI_E10value_typeET2_T3_PNSJ_ISO_E10value_typeET4_T5_PST_SU_PNS1_23onesweep_lookback_stateEbbT6_jjT7_P12ihipStream_tbENKUlT_T0_SI_SN_E_clIPiSD_S15_SD_EEDaS11_S12_SI_SN_EUlS11_E_NS1_11comp_targetILNS1_3genE8ELNS1_11target_archE1030ELNS1_3gpuE2ELNS1_3repE0EEENS1_47radix_sort_onesweep_sort_config_static_selectorELNS0_4arch9wavefront6targetE1EEEvSI_.has_indirect_call, 0
	.section	.AMDGPU.csdata,"",@progbits
; Kernel info:
; codeLenInByte = 0
; TotalNumSgprs: 6
; NumVgprs: 0
; NumAgprs: 0
; TotalNumVgprs: 0
; ScratchSize: 0
; MemoryBound: 0
; FloatMode: 240
; IeeeMode: 1
; LDSByteSize: 0 bytes/workgroup (compile time only)
; SGPRBlocks: 0
; VGPRBlocks: 0
; NumSGPRsForWavesPerEU: 6
; NumVGPRsForWavesPerEU: 1
; AccumOffset: 4
; Occupancy: 8
; WaveLimiterHint : 0
; COMPUTE_PGM_RSRC2:SCRATCH_EN: 0
; COMPUTE_PGM_RSRC2:USER_SGPR: 2
; COMPUTE_PGM_RSRC2:TRAP_HANDLER: 0
; COMPUTE_PGM_RSRC2:TGID_X_EN: 1
; COMPUTE_PGM_RSRC2:TGID_Y_EN: 0
; COMPUTE_PGM_RSRC2:TGID_Z_EN: 0
; COMPUTE_PGM_RSRC2:TIDIG_COMP_CNT: 0
; COMPUTE_PGM_RSRC3_GFX90A:ACCUM_OFFSET: 0
; COMPUTE_PGM_RSRC3_GFX90A:TG_SPLIT: 0
	.section	.text._ZN7rocprim17ROCPRIM_400000_NS6detail17trampoline_kernelINS0_13kernel_configILj256ELj4ELj4294967295EEENS1_37radix_sort_block_sort_config_selectorIbiEEZNS1_21radix_sort_block_sortIS4_Lb0EN6thrust23THRUST_200600_302600_NS6detail15normal_iteratorINS9_10device_ptrIbEEEESE_NSB_INSC_IiEEEESG_NS0_19identity_decomposerEEE10hipError_tT1_T2_T3_T4_jRjT5_jjP12ihipStream_tbEUlT_E_NS1_11comp_targetILNS1_3genE0ELNS1_11target_archE4294967295ELNS1_3gpuE0ELNS1_3repE0EEENS1_44radix_sort_block_sort_config_static_selectorELNS0_4arch9wavefront6targetE1EEEvSJ_,"axG",@progbits,_ZN7rocprim17ROCPRIM_400000_NS6detail17trampoline_kernelINS0_13kernel_configILj256ELj4ELj4294967295EEENS1_37radix_sort_block_sort_config_selectorIbiEEZNS1_21radix_sort_block_sortIS4_Lb0EN6thrust23THRUST_200600_302600_NS6detail15normal_iteratorINS9_10device_ptrIbEEEESE_NSB_INSC_IiEEEESG_NS0_19identity_decomposerEEE10hipError_tT1_T2_T3_T4_jRjT5_jjP12ihipStream_tbEUlT_E_NS1_11comp_targetILNS1_3genE0ELNS1_11target_archE4294967295ELNS1_3gpuE0ELNS1_3repE0EEENS1_44radix_sort_block_sort_config_static_selectorELNS0_4arch9wavefront6targetE1EEEvSJ_,comdat
	.protected	_ZN7rocprim17ROCPRIM_400000_NS6detail17trampoline_kernelINS0_13kernel_configILj256ELj4ELj4294967295EEENS1_37radix_sort_block_sort_config_selectorIbiEEZNS1_21radix_sort_block_sortIS4_Lb0EN6thrust23THRUST_200600_302600_NS6detail15normal_iteratorINS9_10device_ptrIbEEEESE_NSB_INSC_IiEEEESG_NS0_19identity_decomposerEEE10hipError_tT1_T2_T3_T4_jRjT5_jjP12ihipStream_tbEUlT_E_NS1_11comp_targetILNS1_3genE0ELNS1_11target_archE4294967295ELNS1_3gpuE0ELNS1_3repE0EEENS1_44radix_sort_block_sort_config_static_selectorELNS0_4arch9wavefront6targetE1EEEvSJ_ ; -- Begin function _ZN7rocprim17ROCPRIM_400000_NS6detail17trampoline_kernelINS0_13kernel_configILj256ELj4ELj4294967295EEENS1_37radix_sort_block_sort_config_selectorIbiEEZNS1_21radix_sort_block_sortIS4_Lb0EN6thrust23THRUST_200600_302600_NS6detail15normal_iteratorINS9_10device_ptrIbEEEESE_NSB_INSC_IiEEEESG_NS0_19identity_decomposerEEE10hipError_tT1_T2_T3_T4_jRjT5_jjP12ihipStream_tbEUlT_E_NS1_11comp_targetILNS1_3genE0ELNS1_11target_archE4294967295ELNS1_3gpuE0ELNS1_3repE0EEENS1_44radix_sort_block_sort_config_static_selectorELNS0_4arch9wavefront6targetE1EEEvSJ_
	.globl	_ZN7rocprim17ROCPRIM_400000_NS6detail17trampoline_kernelINS0_13kernel_configILj256ELj4ELj4294967295EEENS1_37radix_sort_block_sort_config_selectorIbiEEZNS1_21radix_sort_block_sortIS4_Lb0EN6thrust23THRUST_200600_302600_NS6detail15normal_iteratorINS9_10device_ptrIbEEEESE_NSB_INSC_IiEEEESG_NS0_19identity_decomposerEEE10hipError_tT1_T2_T3_T4_jRjT5_jjP12ihipStream_tbEUlT_E_NS1_11comp_targetILNS1_3genE0ELNS1_11target_archE4294967295ELNS1_3gpuE0ELNS1_3repE0EEENS1_44radix_sort_block_sort_config_static_selectorELNS0_4arch9wavefront6targetE1EEEvSJ_
	.p2align	8
	.type	_ZN7rocprim17ROCPRIM_400000_NS6detail17trampoline_kernelINS0_13kernel_configILj256ELj4ELj4294967295EEENS1_37radix_sort_block_sort_config_selectorIbiEEZNS1_21radix_sort_block_sortIS4_Lb0EN6thrust23THRUST_200600_302600_NS6detail15normal_iteratorINS9_10device_ptrIbEEEESE_NSB_INSC_IiEEEESG_NS0_19identity_decomposerEEE10hipError_tT1_T2_T3_T4_jRjT5_jjP12ihipStream_tbEUlT_E_NS1_11comp_targetILNS1_3genE0ELNS1_11target_archE4294967295ELNS1_3gpuE0ELNS1_3repE0EEENS1_44radix_sort_block_sort_config_static_selectorELNS0_4arch9wavefront6targetE1EEEvSJ_,@function
_ZN7rocprim17ROCPRIM_400000_NS6detail17trampoline_kernelINS0_13kernel_configILj256ELj4ELj4294967295EEENS1_37radix_sort_block_sort_config_selectorIbiEEZNS1_21radix_sort_block_sortIS4_Lb0EN6thrust23THRUST_200600_302600_NS6detail15normal_iteratorINS9_10device_ptrIbEEEESE_NSB_INSC_IiEEEESG_NS0_19identity_decomposerEEE10hipError_tT1_T2_T3_T4_jRjT5_jjP12ihipStream_tbEUlT_E_NS1_11comp_targetILNS1_3genE0ELNS1_11target_archE4294967295ELNS1_3gpuE0ELNS1_3repE0EEENS1_44radix_sort_block_sort_config_static_selectorELNS0_4arch9wavefront6targetE1EEEvSJ_: ; @_ZN7rocprim17ROCPRIM_400000_NS6detail17trampoline_kernelINS0_13kernel_configILj256ELj4ELj4294967295EEENS1_37radix_sort_block_sort_config_selectorIbiEEZNS1_21radix_sort_block_sortIS4_Lb0EN6thrust23THRUST_200600_302600_NS6detail15normal_iteratorINS9_10device_ptrIbEEEESE_NSB_INSC_IiEEEESG_NS0_19identity_decomposerEEE10hipError_tT1_T2_T3_T4_jRjT5_jjP12ihipStream_tbEUlT_E_NS1_11comp_targetILNS1_3genE0ELNS1_11target_archE4294967295ELNS1_3gpuE0ELNS1_3repE0EEENS1_44radix_sort_block_sort_config_static_selectorELNS0_4arch9wavefront6targetE1EEEvSJ_
; %bb.0:
	s_load_dword s4, s[0:1], 0x20
	s_load_dwordx8 s[36:43], s[0:1], 0x0
	s_lshl_b32 s28, s2, 10
	v_mbcnt_lo_u32_b32 v1, -1, 0
	v_and_b32_e32 v8, 0x3ff, v0
	s_waitcnt lgkmcnt(0)
	s_lshr_b32 s3, s4, 10
	s_cmp_lg_u32 s2, s3
	s_cselect_b64 s[30:31], -1, 0
	s_add_u32 s6, s36, s28
	v_mbcnt_hi_u32_b32 v1, -1, v1
	s_addc_u32 s7, s37, 0
	v_and_b32_e32 v10, 63, v1
	v_lshlrev_b32_e32 v14, 2, v8
	v_mov_b32_e32 v11, 0
	v_and_b32_e32 v12, 0x300, v14
	v_lshl_add_u64 v[2:3], s[6:7], 0, v[10:11]
	v_mov_b32_e32 v13, v11
	s_mov_b32 s29, 0
	s_cmp_eq_u32 s2, s3
	v_lshl_add_u64 v[6:7], v[2:3], 0, v[12:13]
	v_lshlrev_b32_e32 v2, 2, v10
	v_lshlrev_b32_e32 v4, 2, v12
	v_or_b32_e32 v13, v10, v12
	s_cbranch_scc1 .LBB1891_2
; %bb.1:
	s_lshl_b64 s[2:3], s[28:29], 2
	s_add_u32 s2, s40, s2
	s_addc_u32 s3, s41, s3
	v_mov_b32_e32 v3, v11
	v_lshl_add_u64 v[20:21], s[2:3], 0, v[2:3]
	v_mov_b32_e32 v5, v11
	v_lshl_add_u64 v[20:21], v[20:21], 0, v[4:5]
	global_load_ubyte v17, v[6:7], off offset:192
	global_load_ubyte v9, v[6:7], off offset:128
	;; [unrolled: 1-line block ×3, first 2 shown]
	global_load_ubyte v16, v[6:7], off
	global_load_dword v30, v[20:21], off
	global_load_dword v31, v[20:21], off offset:256
	global_load_dword v32, v[20:21], off offset:512
	;; [unrolled: 1-line block ×3, first 2 shown]
	v_or_b32_e32 v19, v10, v12
	s_load_dwordx2 s[34:35], s[0:1], 0x28
	s_sub_i32 s33, s4, s28
	s_cbranch_execz .LBB1891_3
	s_branch .LBB1891_17
.LBB1891_2:
                                        ; implicit-def: $vgpr16
                                        ; implicit-def: $vgpr18
                                        ; implicit-def: $vgpr9
                                        ; implicit-def: $vgpr17
                                        ; implicit-def: $vgpr30_vgpr31_vgpr32_vgpr33
                                        ; implicit-def: $vgpr19
	s_load_dwordx2 s[34:35], s[0:1], 0x28
	s_sub_i32 s33, s4, s28
.LBB1891_3:
	v_cmp_gt_u32_e32 vcc, s33, v13
	s_waitcnt vmcnt(6)
	v_mov_b32_e32 v9, 1
	s_waitcnt vmcnt(4)
	v_mov_b32_e32 v16, 1
	v_mov_b32_e32 v17, 1
	s_and_saveexec_b64 s[2:3], vcc
	s_cbranch_execz .LBB1891_5
; %bb.4:
	global_load_ubyte v16, v[6:7], off
	v_mov_b32_e32 v17, 1
.LBB1891_5:
	s_or_b64 exec, exec, s[2:3]
	v_or_b32_e32 v3, 64, v13
	v_cmp_gt_u32_e64 s[2:3], s33, v3
	v_mov_b32_e32 v18, v9
	s_and_saveexec_b64 s[4:5], s[2:3]
	s_cbranch_execz .LBB1891_7
; %bb.6:
	global_load_ubyte v18, v[6:7], off offset:64
.LBB1891_7:
	s_or_b64 exec, exec, s[4:5]
	v_or_b32_e32 v3, 0x80, v13
	v_cmp_gt_u32_e64 s[4:5], s33, v3
	s_and_saveexec_b64 s[6:7], s[4:5]
	s_cbranch_execz .LBB1891_9
; %bb.8:
	global_load_ubyte v9, v[6:7], off offset:128
.LBB1891_9:
	s_or_b64 exec, exec, s[6:7]
	v_or_b32_e32 v3, 0xc0, v13
	v_cmp_gt_u32_e64 s[6:7], s33, v3
	s_and_saveexec_b64 s[8:9], s[6:7]
	s_cbranch_execz .LBB1891_11
; %bb.10:
	global_load_ubyte v17, v[6:7], off offset:192
.LBB1891_11:
	s_or_b64 exec, exec, s[8:9]
	s_lshl_b64 s[8:9], s[28:29], 2
	s_add_u32 s8, s40, s8
	s_addc_u32 s9, s41, s9
	v_mov_b32_e32 v3, 0
	v_lshl_add_u64 v[6:7], s[8:9], 0, v[2:3]
	v_mov_b32_e32 v5, v3
	v_lshl_add_u64 v[6:7], v[6:7], 0, v[4:5]
	v_mov_b32_e32 v2, v3
	v_mov_b32_e32 v4, v3
	s_and_saveexec_b64 s[8:9], vcc
	s_cbranch_execnz .LBB1891_54
; %bb.12:
	s_or_b64 exec, exec, s[8:9]
	s_and_saveexec_b64 s[8:9], s[2:3]
	s_cbranch_execnz .LBB1891_55
.LBB1891_13:
	s_or_b64 exec, exec, s[8:9]
	s_and_saveexec_b64 s[2:3], s[4:5]
	s_cbranch_execnz .LBB1891_56
.LBB1891_14:
	s_or_b64 exec, exec, s[2:3]
	s_and_saveexec_b64 s[2:3], s[6:7]
	s_cbranch_execz .LBB1891_16
.LBB1891_15:
	global_load_dword v5, v[6:7], off offset:768
.LBB1891_16:
	s_or_b64 exec, exec, s[2:3]
	s_waitcnt vmcnt(0)
	v_mov_b64_e32 v[32:33], v[4:5]
	v_mov_b64_e32 v[30:31], v[2:3]
	v_mov_b32_e32 v19, v13
.LBB1891_17:
	s_load_dword s2, s[0:1], 0x3c
	s_waitcnt lgkmcnt(0)
	s_add_i32 s36, s35, s34
	s_getpc_b64 s[0:1]
	s_add_u32 s0, s0, _ZN7rocprim17ROCPRIM_400000_NS16block_radix_sortIbLj256ELj4EiLj1ELj1ELj0ELNS0_26block_radix_rank_algorithmE1ELNS0_18block_padding_hintE2ELNS0_4arch9wavefront6targetE1EE19radix_bits_per_passE@rel32@lo+4
	s_addc_u32 s1, s1, _ZN7rocprim17ROCPRIM_400000_NS16block_radix_sortIbLj256ELj4EiLj1ELj1ELj0ELNS0_26block_radix_rank_algorithmE1ELNS0_18block_padding_hintE2ELNS0_4arch9wavefront6targetE1EE19radix_bits_per_passE@rel32@hi+12
	s_load_dword s37, s[0:1], 0x0
	v_bfe_u32 v2, v0, 10, 10
	s_lshr_b32 s0, s2, 16
	v_bfe_u32 v0, v0, 20, 10
	s_and_b32 s1, s2, 0xffff
	v_mad_u32_u24 v0, v0, s0, v2
	s_waitcnt vmcnt(6)
	v_mad_u64_u32 v[2:3], s[0:1], v0, s1, v[8:9]
	v_lshrrev_b32_e32 v0, 4, v2
	v_and_b32_e32 v22, 0xffffffc, v0
	v_and_b32_e32 v0, 15, v1
	v_cmp_eq_u32_e64 s[0:1], 0, v0
	v_cmp_lt_u32_e64 s[2:3], 1, v0
	v_cmp_lt_u32_e64 s[4:5], 3, v0
	v_cmp_lt_u32_e64 s[6:7], 7, v0
	v_and_b32_e32 v0, 16, v1
	v_cmp_eq_u32_e64 s[8:9], 0, v0
	v_and_b32_e32 v0, 0x3c0, v8
	v_min_u32_e32 v0, 0xc0, v0
	v_or_b32_e32 v0, 63, v0
	v_cmp_eq_u32_e64 s[12:13], v8, v0
	v_subrev_co_u32_e64 v0, s[18:19], 1, v1
	v_and_b32_e32 v2, 64, v1
	v_cmp_lt_i32_e32 vcc, v0, v2
	s_mov_b32 s26, 0
	s_mov_b32 s27, s26
	v_cndmask_b32_e32 v0, v0, v1, vcc
	v_lshlrev_b32_e32 v23, 2, v0
	v_lshrrev_b32_e32 v0, 4, v8
	v_and_b32_e32 v24, 60, v0
	v_and_b32_e32 v0, 3, v1
	v_cmp_eq_u32_e64 s[22:23], 0, v0
	v_cmp_lt_u32_e64 s[24:25], 1, v0
	v_mul_i32_i24_e32 v0, 3, v19
	s_mov_b32 s40, s26
	s_mov_b32 s41, s26
	v_lshlrev_b32_e32 v20, 2, v14
	v_cmp_lt_u32_e64 s[10:11], 31, v1
	v_cmp_gt_u32_e64 s[14:15], 4, v8
	v_cmp_lt_u32_e64 s[16:17], 63, v8
	v_cmp_eq_u32_e64 s[20:21], 0, v8
	v_mul_i32_i24_e32 v21, -12, v8
	v_add_u32_e32 v25, -4, v24
	v_mov_b64_e32 v[10:11], s[26:27]
	v_mov_b64_e32 v[12:13], s[40:41]
	v_mov_b32_e32 v15, 0
	v_add_u32_e32 v26, v19, v0
	s_branch .LBB1891_19
.LBB1891_18:                            ;   in Loop: Header=BB1891_19 Depth=1
	s_andn2_b64 vcc, exec, s[26:27]
	s_cbranch_vccz .LBB1891_35
.LBB1891_19:                            ; =>This Inner Loop Header: Depth=1
	s_waitcnt lgkmcnt(0)
	s_min_u32 s26, s37, s35
	s_lshl_b32 s40, -1, s26
	s_waitcnt vmcnt(4)
	v_lshrrev_b32_sdwa v4, s34, v16 dst_sel:DWORD dst_unused:UNUSED_PAD src0_sel:DWORD src1_sel:BYTE_0
	v_bitop3_b32 v14, v4, s40, v4 bitop3:0x30
	v_cmp_ne_u32_e32 vcc, 0, v14
	v_lshl_add_u64 v[4:5], v[14:15], 0, -1
	s_waitcnt vmcnt(0)
	v_mov_b64_e32 v[0:1], v[30:31]
	v_xor_b32_e32 v4, vcc_lo, v4
	v_xor_b32_e32 v5, vcc_hi, v5
	v_and_b32_e32 v4, exec_lo, v4
	v_and_b32_e32 v5, exec_hi, v5
	v_mbcnt_lo_u32_b32 v7, v4, 0
	v_mbcnt_hi_u32_b32 v27, v5, v7
	v_lshlrev_b32_e32 v6, 4, v14
	v_cmp_eq_u32_e32 vcc, 0, v27
	v_cmp_ne_u64_e64 s[26:27], 0, v[4:5]
	v_mov_b64_e32 v[2:3], v[32:33]
	s_and_b64 s[44:45], s[26:27], vcc
	v_add_u32_e32 v28, v22, v6
	ds_write2_b64 v20, v[10:11], v[12:13] offset0:2 offset1:3
	s_waitcnt lgkmcnt(0)
	s_barrier
	; wave barrier
	s_and_saveexec_b64 s[26:27], s[44:45]
; %bb.20:                               ;   in Loop: Header=BB1891_19 Depth=1
	v_bcnt_u32_b32 v4, v4, 0
	v_bcnt_u32_b32 v4, v5, v4
	ds_write_b32 v28, v4 offset:16
; %bb.21:                               ;   in Loop: Header=BB1891_19 Depth=1
	s_or_b64 exec, exec, s[26:27]
	s_not_b32 s40, s40
	v_lshrrev_b32_sdwa v4, s34, v18 dst_sel:DWORD dst_unused:UNUSED_PAD src0_sel:DWORD src1_sel:BYTE_0
	v_and_b32_e32 v14, s40, v4
	v_lshlrev_b32_e32 v4, 4, v14
	v_add_u32_e32 v30, v22, v4
	v_cmp_ne_u32_e32 vcc, 0, v14
	v_lshl_add_u64 v[4:5], v[14:15], 0, -1
	s_nop 0
	v_xor_b32_e32 v4, vcc_lo, v4
	; wave barrier
	ds_read_b32 v29, v30 offset:16
	v_xor_b32_e32 v5, vcc_hi, v5
	v_and_b32_e32 v4, exec_lo, v4
	v_and_b32_e32 v5, exec_hi, v5
	v_mbcnt_lo_u32_b32 v6, v4, 0
	v_mbcnt_hi_u32_b32 v31, v5, v6
	v_cmp_eq_u32_e32 vcc, 0, v31
	v_cmp_ne_u64_e64 s[26:27], 0, v[4:5]
	s_and_b64 s[44:45], s[26:27], vcc
	; wave barrier
	s_and_saveexec_b64 s[26:27], s[44:45]
	s_cbranch_execz .LBB1891_23
; %bb.22:                               ;   in Loop: Header=BB1891_19 Depth=1
	v_bcnt_u32_b32 v4, v4, 0
	v_bcnt_u32_b32 v4, v5, v4
	s_waitcnt lgkmcnt(0)
	v_add_u32_e32 v4, v29, v4
	ds_write_b32 v30, v4 offset:16
.LBB1891_23:                            ;   in Loop: Header=BB1891_19 Depth=1
	s_or_b64 exec, exec, s[26:27]
	v_lshrrev_b32_sdwa v4, s34, v9 dst_sel:DWORD dst_unused:UNUSED_PAD src0_sel:DWORD src1_sel:BYTE_0
	v_and_b32_e32 v14, s40, v4
	v_lshlrev_b32_e32 v4, 4, v14
	v_add_u32_e32 v33, v22, v4
	v_cmp_ne_u32_e32 vcc, 0, v14
	v_lshl_add_u64 v[4:5], v[14:15], 0, -1
	s_nop 0
	v_xor_b32_e32 v4, vcc_lo, v4
	; wave barrier
	ds_read_b32 v32, v33 offset:16
	v_xor_b32_e32 v5, vcc_hi, v5
	v_and_b32_e32 v4, exec_lo, v4
	v_and_b32_e32 v5, exec_hi, v5
	v_mbcnt_lo_u32_b32 v6, v4, 0
	v_mbcnt_hi_u32_b32 v34, v5, v6
	v_cmp_eq_u32_e32 vcc, 0, v34
	v_cmp_ne_u64_e64 s[26:27], 0, v[4:5]
	s_and_b64 s[44:45], s[26:27], vcc
	; wave barrier
	s_and_saveexec_b64 s[26:27], s[44:45]
	s_cbranch_execz .LBB1891_25
; %bb.24:                               ;   in Loop: Header=BB1891_19 Depth=1
	v_bcnt_u32_b32 v4, v4, 0
	v_bcnt_u32_b32 v4, v5, v4
	s_waitcnt lgkmcnt(0)
	v_add_u32_e32 v4, v32, v4
	ds_write_b32 v33, v4 offset:16
.LBB1891_25:                            ;   in Loop: Header=BB1891_19 Depth=1
	s_or_b64 exec, exec, s[26:27]
	;; [unrolled: 29-line block ×3, first 2 shown]
	; wave barrier
	s_waitcnt lgkmcnt(0)
	s_barrier
	ds_read2_b64 v[4:7], v20 offset0:2 offset1:3
	s_waitcnt lgkmcnt(0)
	v_add_u32_e32 v14, v5, v4
	v_add3_u32 v7, v14, v6, v7
	s_nop 1
	v_mov_b32_dpp v14, v7 row_shr:1 row_mask:0xf bank_mask:0xf
	v_cndmask_b32_e64 v14, v14, 0, s[0:1]
	v_add_u32_e32 v7, v14, v7
	s_nop 1
	v_mov_b32_dpp v14, v7 row_shr:2 row_mask:0xf bank_mask:0xf
	v_cndmask_b32_e64 v14, 0, v14, s[2:3]
	v_add_u32_e32 v7, v7, v14
	;; [unrolled: 4-line block ×4, first 2 shown]
	s_nop 1
	v_mov_b32_dpp v14, v7 row_bcast:15 row_mask:0xf bank_mask:0xf
	v_cndmask_b32_e64 v14, v14, 0, s[8:9]
	v_add_u32_e32 v7, v7, v14
	s_nop 1
	v_mov_b32_dpp v14, v7 row_bcast:31 row_mask:0xf bank_mask:0xf
	v_cndmask_b32_e64 v14, 0, v14, s[10:11]
	v_add_u32_e32 v7, v7, v14
	s_and_saveexec_b64 s[26:27], s[12:13]
; %bb.28:                               ;   in Loop: Header=BB1891_19 Depth=1
	ds_write_b32 v24, v7
; %bb.29:                               ;   in Loop: Header=BB1891_19 Depth=1
	s_or_b64 exec, exec, s[26:27]
	s_waitcnt lgkmcnt(0)
	s_barrier
	s_and_saveexec_b64 s[26:27], s[14:15]
	s_cbranch_execz .LBB1891_31
; %bb.30:                               ;   in Loop: Header=BB1891_19 Depth=1
	v_add_u32_e32 v14, v20, v21
	ds_read_b32 v38, v14
	s_waitcnt lgkmcnt(0)
	s_nop 0
	v_mov_b32_dpp v39, v38 row_shr:1 row_mask:0xf bank_mask:0xf
	v_cndmask_b32_e64 v39, v39, 0, s[22:23]
	v_add_u32_e32 v38, v39, v38
	s_nop 1
	v_mov_b32_dpp v39, v38 row_shr:2 row_mask:0xf bank_mask:0xf
	v_cndmask_b32_e64 v39, 0, v39, s[24:25]
	v_add_u32_e32 v38, v38, v39
	ds_write_b32 v14, v38
.LBB1891_31:                            ;   in Loop: Header=BB1891_19 Depth=1
	s_or_b64 exec, exec, s[26:27]
	v_mov_b32_e32 v14, 0
	s_waitcnt lgkmcnt(0)
	s_barrier
	s_and_saveexec_b64 s[26:27], s[16:17]
; %bb.32:                               ;   in Loop: Header=BB1891_19 Depth=1
	ds_read_b32 v14, v25
; %bb.33:                               ;   in Loop: Header=BB1891_19 Depth=1
	s_or_b64 exec, exec, s[26:27]
	s_waitcnt lgkmcnt(0)
	v_add_u32_e32 v7, v14, v7
	ds_bpermute_b32 v40, v23, v7
	s_add_i32 s34, s34, 8
	v_mov_b32_e32 v7, v16
	v_mov_b32_e32 v38, v18
	;; [unrolled: 1-line block ×3, first 2 shown]
	s_waitcnt lgkmcnt(0)
	v_cndmask_b32_e64 v14, v40, v14, s[18:19]
	v_cndmask_b32_e64 v40, v14, 0, s[20:21]
	v_add_u32_e32 v41, v40, v4
	v_add_u32_e32 v4, v41, v5
	;; [unrolled: 1-line block ×3, first 2 shown]
	ds_write2_b64 v20, v[40:41], v[4:5] offset0:2 offset1:3
	s_waitcnt lgkmcnt(0)
	s_barrier
	ds_read_b32 v4, v28 offset:16
	ds_read_b32 v6, v30 offset:16
	;; [unrolled: 1-line block ×4, first 2 shown]
	v_mov_b32_e32 v28, v17
	s_waitcnt lgkmcnt(3)
	v_add_u32_e32 v5, v4, v27
	s_waitcnt lgkmcnt(2)
	v_add3_u32 v14, v31, v29, v6
	s_waitcnt lgkmcnt(1)
	v_add3_u32 v6, v34, v32, v30
	;; [unrolled: 2-line block ×3, first 2 shown]
	s_cmp_ge_u32 s34, s36
	v_lshl_add_u32 v27, v5, 1, v5
	s_mov_b64 s[26:27], -1
                                        ; implicit-def: $vgpr30_vgpr31_vgpr32_vgpr33
	s_cbranch_scc1 .LBB1891_18
; %bb.34:                               ;   in Loop: Header=BB1891_19 Depth=1
	v_add_u32_e32 v29, v5, v27
	v_mad_u64_u32 v[30:31], s[26:27], v14, 3, v[14:15]
	s_barrier
	ds_write_b8 v5, v16
	ds_write_b8 v14, v18
	;; [unrolled: 1-line block ×4, first 2 shown]
	s_waitcnt lgkmcnt(0)
	s_barrier
	ds_read_u8 v17, v19 offset:192
	ds_read_u8 v9, v19 offset:128
	;; [unrolled: 1-line block ×3, first 2 shown]
	ds_read_u8 v16, v19
	s_waitcnt lgkmcnt(0)
	s_barrier
	ds_write_b32 v29, v0
	ds_write_b32 v30, v1
	v_mad_u64_u32 v[30:31], s[26:27], v6, 3, v[6:7]
	ds_write_b32 v30, v2
	v_mad_u64_u32 v[30:31], s[26:27], v4, 3, v[4:5]
	ds_write_b32 v30, v3
	s_waitcnt lgkmcnt(0)
	s_barrier
	ds_read2st64_b32 v[30:31], v26 offset1:1
	ds_read2st64_b32 v[32:33], v26 offset0:2 offset1:3
	s_add_i32 s35, s35, -8
	s_mov_b64 s[26:27], 0
	s_waitcnt lgkmcnt(0)
	s_barrier
	s_branch .LBB1891_18
.LBB1891_35:
	s_barrier
	ds_write_b8 v5, v7
	ds_write_b8 v14, v38
	;; [unrolled: 1-line block ×4, first 2 shown]
	v_add_u32_e32 v5, v5, v27
	v_mad_u64_u32 v[14:15], s[0:1], v14, 3, v[14:15]
	s_waitcnt lgkmcnt(0)
	s_barrier
	ds_read_u8 v13, v8
	ds_read_u8 v12, v8 offset:256
	ds_read_u8 v11, v8 offset:512
	;; [unrolled: 1-line block ×3, first 2 shown]
	s_waitcnt lgkmcnt(0)
	s_barrier
	ds_write_b32 v5, v0
	ds_write_b32 v14, v1
	v_mad_u64_u32 v[0:1], s[0:1], v6, 3, v[6:7]
	ds_write_b32 v0, v2
	v_mad_u64_u32 v[0:1], s[0:1], v4, 3, v[4:5]
	ds_write_b32 v0, v3
	v_add_u32_e32 v0, v20, v21
	s_waitcnt lgkmcnt(0)
	s_barrier
	ds_read2st64_b32 v[4:5], v0 offset1:4
	ds_read2st64_b32 v[0:1], v0 offset0:8 offset1:12
	s_add_u32 s0, s38, s28
	s_addc_u32 s1, s39, 0
	v_mov_b32_e32 v9, 0
	v_lshl_add_u64 v[6:7], s[0:1], 0, v[8:9]
	s_andn2_b64 vcc, exec, s[30:31]
	v_lshlrev_b32_e32 v2, 2, v8
	s_cbranch_vccnz .LBB1891_37
; %bb.36:
	s_lshl_b64 s[0:1], s[28:29], 2
	s_add_u32 s0, s42, s0
	s_addc_u32 s1, s43, s1
	global_store_byte v[6:7], v13, off
	global_store_byte v[6:7], v12, off offset:256
	global_store_byte v[6:7], v11, off offset:512
	;; [unrolled: 1-line block ×3, first 2 shown]
	s_waitcnt lgkmcnt(1)
	global_store_dword v2, v4, s[0:1]
	global_store_dword v2, v5, s[0:1] offset:1024
	s_waitcnt lgkmcnt(0)
	global_store_dword v2, v0, s[0:1] offset:2048
	s_mov_b64 s[4:5], -1
	s_cbranch_execz .LBB1891_38
	s_branch .LBB1891_51
.LBB1891_37:
	s_mov_b64 s[4:5], 0
.LBB1891_38:
	v_cmp_gt_u32_e32 vcc, s33, v8
	s_and_saveexec_b64 s[0:1], vcc
	s_cbranch_execz .LBB1891_40
; %bb.39:
	global_store_byte v[6:7], v13, off
.LBB1891_40:
	s_or_b64 exec, exec, s[0:1]
	v_add_u32_e32 v3, 0x100, v8
	v_cmp_gt_u32_e64 s[0:1], s33, v3
	s_and_saveexec_b64 s[2:3], s[0:1]
	s_cbranch_execz .LBB1891_42
; %bb.41:
	global_store_byte v[6:7], v12, off offset:256
.LBB1891_42:
	s_or_b64 exec, exec, s[2:3]
	v_add_u32_e32 v3, 0x200, v8
	v_cmp_gt_u32_e64 s[2:3], s33, v3
	s_and_saveexec_b64 s[4:5], s[2:3]
	s_cbranch_execz .LBB1891_44
; %bb.43:
	global_store_byte v[6:7], v11, off offset:512
.LBB1891_44:
	;; [unrolled: 8-line block ×3, first 2 shown]
	s_or_b64 exec, exec, s[6:7]
	s_lshl_b64 s[6:7], s[28:29], 2
	s_add_u32 s6, s42, s6
	s_addc_u32 s7, s43, s7
	v_mov_b32_e32 v3, 0
	v_lshl_add_u64 v[6:7], s[6:7], 0, v[2:3]
	s_and_saveexec_b64 s[6:7], vcc
	s_cbranch_execnz .LBB1891_57
; %bb.47:
	s_or_b64 exec, exec, s[6:7]
	s_and_saveexec_b64 s[6:7], s[0:1]
	s_cbranch_execnz .LBB1891_58
.LBB1891_48:
	s_or_b64 exec, exec, s[6:7]
	s_and_saveexec_b64 s[0:1], s[2:3]
	s_cbranch_execz .LBB1891_50
.LBB1891_49:
	s_waitcnt lgkmcnt(0)
	global_store_dword v[6:7], v0, off offset:2048
.LBB1891_50:
	s_or_b64 exec, exec, s[0:1]
.LBB1891_51:
	s_and_saveexec_b64 s[0:1], s[4:5]
	s_cbranch_execnz .LBB1891_53
; %bb.52:
	s_endpgm
.LBB1891_53:
	s_lshl_b64 s[0:1], s[28:29], 2
	s_add_u32 s0, s42, s0
	s_addc_u32 s1, s43, s1
	s_waitcnt lgkmcnt(0)
	global_store_dword v2, v1, s[0:1] offset:3072
	s_endpgm
.LBB1891_54:
	global_load_dword v2, v[6:7], off
	v_mov_b32_e32 v4, v3
	v_mov_b32_e32 v5, v3
	s_or_b64 exec, exec, s[8:9]
	s_and_saveexec_b64 s[8:9], s[2:3]
	s_cbranch_execz .LBB1891_13
.LBB1891_55:
	global_load_dword v3, v[6:7], off offset:256
	s_or_b64 exec, exec, s[8:9]
	s_and_saveexec_b64 s[2:3], s[4:5]
	s_cbranch_execz .LBB1891_14
.LBB1891_56:
	global_load_dword v4, v[6:7], off offset:512
	s_or_b64 exec, exec, s[2:3]
	s_and_saveexec_b64 s[2:3], s[6:7]
	s_cbranch_execnz .LBB1891_15
	s_branch .LBB1891_16
.LBB1891_57:
	s_waitcnt lgkmcnt(1)
	global_store_dword v[6:7], v4, off
	s_or_b64 exec, exec, s[6:7]
	s_and_saveexec_b64 s[6:7], s[0:1]
	s_cbranch_execz .LBB1891_48
.LBB1891_58:
	s_waitcnt lgkmcnt(1)
	global_store_dword v[6:7], v5, off offset:1024
	s_or_b64 exec, exec, s[6:7]
	s_and_saveexec_b64 s[0:1], s[2:3]
	s_cbranch_execnz .LBB1891_49
	s_branch .LBB1891_50
	.section	.rodata,"a",@progbits
	.p2align	6, 0x0
	.amdhsa_kernel _ZN7rocprim17ROCPRIM_400000_NS6detail17trampoline_kernelINS0_13kernel_configILj256ELj4ELj4294967295EEENS1_37radix_sort_block_sort_config_selectorIbiEEZNS1_21radix_sort_block_sortIS4_Lb0EN6thrust23THRUST_200600_302600_NS6detail15normal_iteratorINS9_10device_ptrIbEEEESE_NSB_INSC_IiEEEESG_NS0_19identity_decomposerEEE10hipError_tT1_T2_T3_T4_jRjT5_jjP12ihipStream_tbEUlT_E_NS1_11comp_targetILNS1_3genE0ELNS1_11target_archE4294967295ELNS1_3gpuE0ELNS1_3repE0EEENS1_44radix_sort_block_sort_config_static_selectorELNS0_4arch9wavefront6targetE1EEEvSJ_
		.amdhsa_group_segment_fixed_size 4112
		.amdhsa_private_segment_fixed_size 0
		.amdhsa_kernarg_size 304
		.amdhsa_user_sgpr_count 2
		.amdhsa_user_sgpr_dispatch_ptr 0
		.amdhsa_user_sgpr_queue_ptr 0
		.amdhsa_user_sgpr_kernarg_segment_ptr 1
		.amdhsa_user_sgpr_dispatch_id 0
		.amdhsa_user_sgpr_kernarg_preload_length 0
		.amdhsa_user_sgpr_kernarg_preload_offset 0
		.amdhsa_user_sgpr_private_segment_size 0
		.amdhsa_uses_dynamic_stack 0
		.amdhsa_enable_private_segment 0
		.amdhsa_system_sgpr_workgroup_id_x 1
		.amdhsa_system_sgpr_workgroup_id_y 0
		.amdhsa_system_sgpr_workgroup_id_z 0
		.amdhsa_system_sgpr_workgroup_info 0
		.amdhsa_system_vgpr_workitem_id 2
		.amdhsa_next_free_vgpr 42
		.amdhsa_next_free_sgpr 46
		.amdhsa_accum_offset 44
		.amdhsa_reserve_vcc 1
		.amdhsa_float_round_mode_32 0
		.amdhsa_float_round_mode_16_64 0
		.amdhsa_float_denorm_mode_32 3
		.amdhsa_float_denorm_mode_16_64 3
		.amdhsa_dx10_clamp 1
		.amdhsa_ieee_mode 1
		.amdhsa_fp16_overflow 0
		.amdhsa_tg_split 0
		.amdhsa_exception_fp_ieee_invalid_op 0
		.amdhsa_exception_fp_denorm_src 0
		.amdhsa_exception_fp_ieee_div_zero 0
		.amdhsa_exception_fp_ieee_overflow 0
		.amdhsa_exception_fp_ieee_underflow 0
		.amdhsa_exception_fp_ieee_inexact 0
		.amdhsa_exception_int_div_zero 0
	.end_amdhsa_kernel
	.section	.text._ZN7rocprim17ROCPRIM_400000_NS6detail17trampoline_kernelINS0_13kernel_configILj256ELj4ELj4294967295EEENS1_37radix_sort_block_sort_config_selectorIbiEEZNS1_21radix_sort_block_sortIS4_Lb0EN6thrust23THRUST_200600_302600_NS6detail15normal_iteratorINS9_10device_ptrIbEEEESE_NSB_INSC_IiEEEESG_NS0_19identity_decomposerEEE10hipError_tT1_T2_T3_T4_jRjT5_jjP12ihipStream_tbEUlT_E_NS1_11comp_targetILNS1_3genE0ELNS1_11target_archE4294967295ELNS1_3gpuE0ELNS1_3repE0EEENS1_44radix_sort_block_sort_config_static_selectorELNS0_4arch9wavefront6targetE1EEEvSJ_,"axG",@progbits,_ZN7rocprim17ROCPRIM_400000_NS6detail17trampoline_kernelINS0_13kernel_configILj256ELj4ELj4294967295EEENS1_37radix_sort_block_sort_config_selectorIbiEEZNS1_21radix_sort_block_sortIS4_Lb0EN6thrust23THRUST_200600_302600_NS6detail15normal_iteratorINS9_10device_ptrIbEEEESE_NSB_INSC_IiEEEESG_NS0_19identity_decomposerEEE10hipError_tT1_T2_T3_T4_jRjT5_jjP12ihipStream_tbEUlT_E_NS1_11comp_targetILNS1_3genE0ELNS1_11target_archE4294967295ELNS1_3gpuE0ELNS1_3repE0EEENS1_44radix_sort_block_sort_config_static_selectorELNS0_4arch9wavefront6targetE1EEEvSJ_,comdat
.Lfunc_end1891:
	.size	_ZN7rocprim17ROCPRIM_400000_NS6detail17trampoline_kernelINS0_13kernel_configILj256ELj4ELj4294967295EEENS1_37radix_sort_block_sort_config_selectorIbiEEZNS1_21radix_sort_block_sortIS4_Lb0EN6thrust23THRUST_200600_302600_NS6detail15normal_iteratorINS9_10device_ptrIbEEEESE_NSB_INSC_IiEEEESG_NS0_19identity_decomposerEEE10hipError_tT1_T2_T3_T4_jRjT5_jjP12ihipStream_tbEUlT_E_NS1_11comp_targetILNS1_3genE0ELNS1_11target_archE4294967295ELNS1_3gpuE0ELNS1_3repE0EEENS1_44radix_sort_block_sort_config_static_selectorELNS0_4arch9wavefront6targetE1EEEvSJ_, .Lfunc_end1891-_ZN7rocprim17ROCPRIM_400000_NS6detail17trampoline_kernelINS0_13kernel_configILj256ELj4ELj4294967295EEENS1_37radix_sort_block_sort_config_selectorIbiEEZNS1_21radix_sort_block_sortIS4_Lb0EN6thrust23THRUST_200600_302600_NS6detail15normal_iteratorINS9_10device_ptrIbEEEESE_NSB_INSC_IiEEEESG_NS0_19identity_decomposerEEE10hipError_tT1_T2_T3_T4_jRjT5_jjP12ihipStream_tbEUlT_E_NS1_11comp_targetILNS1_3genE0ELNS1_11target_archE4294967295ELNS1_3gpuE0ELNS1_3repE0EEENS1_44radix_sort_block_sort_config_static_selectorELNS0_4arch9wavefront6targetE1EEEvSJ_
                                        ; -- End function
	.set _ZN7rocprim17ROCPRIM_400000_NS6detail17trampoline_kernelINS0_13kernel_configILj256ELj4ELj4294967295EEENS1_37radix_sort_block_sort_config_selectorIbiEEZNS1_21radix_sort_block_sortIS4_Lb0EN6thrust23THRUST_200600_302600_NS6detail15normal_iteratorINS9_10device_ptrIbEEEESE_NSB_INSC_IiEEEESG_NS0_19identity_decomposerEEE10hipError_tT1_T2_T3_T4_jRjT5_jjP12ihipStream_tbEUlT_E_NS1_11comp_targetILNS1_3genE0ELNS1_11target_archE4294967295ELNS1_3gpuE0ELNS1_3repE0EEENS1_44radix_sort_block_sort_config_static_selectorELNS0_4arch9wavefront6targetE1EEEvSJ_.num_vgpr, 42
	.set _ZN7rocprim17ROCPRIM_400000_NS6detail17trampoline_kernelINS0_13kernel_configILj256ELj4ELj4294967295EEENS1_37radix_sort_block_sort_config_selectorIbiEEZNS1_21radix_sort_block_sortIS4_Lb0EN6thrust23THRUST_200600_302600_NS6detail15normal_iteratorINS9_10device_ptrIbEEEESE_NSB_INSC_IiEEEESG_NS0_19identity_decomposerEEE10hipError_tT1_T2_T3_T4_jRjT5_jjP12ihipStream_tbEUlT_E_NS1_11comp_targetILNS1_3genE0ELNS1_11target_archE4294967295ELNS1_3gpuE0ELNS1_3repE0EEENS1_44radix_sort_block_sort_config_static_selectorELNS0_4arch9wavefront6targetE1EEEvSJ_.num_agpr, 0
	.set _ZN7rocprim17ROCPRIM_400000_NS6detail17trampoline_kernelINS0_13kernel_configILj256ELj4ELj4294967295EEENS1_37radix_sort_block_sort_config_selectorIbiEEZNS1_21radix_sort_block_sortIS4_Lb0EN6thrust23THRUST_200600_302600_NS6detail15normal_iteratorINS9_10device_ptrIbEEEESE_NSB_INSC_IiEEEESG_NS0_19identity_decomposerEEE10hipError_tT1_T2_T3_T4_jRjT5_jjP12ihipStream_tbEUlT_E_NS1_11comp_targetILNS1_3genE0ELNS1_11target_archE4294967295ELNS1_3gpuE0ELNS1_3repE0EEENS1_44radix_sort_block_sort_config_static_selectorELNS0_4arch9wavefront6targetE1EEEvSJ_.numbered_sgpr, 46
	.set _ZN7rocprim17ROCPRIM_400000_NS6detail17trampoline_kernelINS0_13kernel_configILj256ELj4ELj4294967295EEENS1_37radix_sort_block_sort_config_selectorIbiEEZNS1_21radix_sort_block_sortIS4_Lb0EN6thrust23THRUST_200600_302600_NS6detail15normal_iteratorINS9_10device_ptrIbEEEESE_NSB_INSC_IiEEEESG_NS0_19identity_decomposerEEE10hipError_tT1_T2_T3_T4_jRjT5_jjP12ihipStream_tbEUlT_E_NS1_11comp_targetILNS1_3genE0ELNS1_11target_archE4294967295ELNS1_3gpuE0ELNS1_3repE0EEENS1_44radix_sort_block_sort_config_static_selectorELNS0_4arch9wavefront6targetE1EEEvSJ_.num_named_barrier, 0
	.set _ZN7rocprim17ROCPRIM_400000_NS6detail17trampoline_kernelINS0_13kernel_configILj256ELj4ELj4294967295EEENS1_37radix_sort_block_sort_config_selectorIbiEEZNS1_21radix_sort_block_sortIS4_Lb0EN6thrust23THRUST_200600_302600_NS6detail15normal_iteratorINS9_10device_ptrIbEEEESE_NSB_INSC_IiEEEESG_NS0_19identity_decomposerEEE10hipError_tT1_T2_T3_T4_jRjT5_jjP12ihipStream_tbEUlT_E_NS1_11comp_targetILNS1_3genE0ELNS1_11target_archE4294967295ELNS1_3gpuE0ELNS1_3repE0EEENS1_44radix_sort_block_sort_config_static_selectorELNS0_4arch9wavefront6targetE1EEEvSJ_.private_seg_size, 0
	.set _ZN7rocprim17ROCPRIM_400000_NS6detail17trampoline_kernelINS0_13kernel_configILj256ELj4ELj4294967295EEENS1_37radix_sort_block_sort_config_selectorIbiEEZNS1_21radix_sort_block_sortIS4_Lb0EN6thrust23THRUST_200600_302600_NS6detail15normal_iteratorINS9_10device_ptrIbEEEESE_NSB_INSC_IiEEEESG_NS0_19identity_decomposerEEE10hipError_tT1_T2_T3_T4_jRjT5_jjP12ihipStream_tbEUlT_E_NS1_11comp_targetILNS1_3genE0ELNS1_11target_archE4294967295ELNS1_3gpuE0ELNS1_3repE0EEENS1_44radix_sort_block_sort_config_static_selectorELNS0_4arch9wavefront6targetE1EEEvSJ_.uses_vcc, 1
	.set _ZN7rocprim17ROCPRIM_400000_NS6detail17trampoline_kernelINS0_13kernel_configILj256ELj4ELj4294967295EEENS1_37radix_sort_block_sort_config_selectorIbiEEZNS1_21radix_sort_block_sortIS4_Lb0EN6thrust23THRUST_200600_302600_NS6detail15normal_iteratorINS9_10device_ptrIbEEEESE_NSB_INSC_IiEEEESG_NS0_19identity_decomposerEEE10hipError_tT1_T2_T3_T4_jRjT5_jjP12ihipStream_tbEUlT_E_NS1_11comp_targetILNS1_3genE0ELNS1_11target_archE4294967295ELNS1_3gpuE0ELNS1_3repE0EEENS1_44radix_sort_block_sort_config_static_selectorELNS0_4arch9wavefront6targetE1EEEvSJ_.uses_flat_scratch, 0
	.set _ZN7rocprim17ROCPRIM_400000_NS6detail17trampoline_kernelINS0_13kernel_configILj256ELj4ELj4294967295EEENS1_37radix_sort_block_sort_config_selectorIbiEEZNS1_21radix_sort_block_sortIS4_Lb0EN6thrust23THRUST_200600_302600_NS6detail15normal_iteratorINS9_10device_ptrIbEEEESE_NSB_INSC_IiEEEESG_NS0_19identity_decomposerEEE10hipError_tT1_T2_T3_T4_jRjT5_jjP12ihipStream_tbEUlT_E_NS1_11comp_targetILNS1_3genE0ELNS1_11target_archE4294967295ELNS1_3gpuE0ELNS1_3repE0EEENS1_44radix_sort_block_sort_config_static_selectorELNS0_4arch9wavefront6targetE1EEEvSJ_.has_dyn_sized_stack, 0
	.set _ZN7rocprim17ROCPRIM_400000_NS6detail17trampoline_kernelINS0_13kernel_configILj256ELj4ELj4294967295EEENS1_37radix_sort_block_sort_config_selectorIbiEEZNS1_21radix_sort_block_sortIS4_Lb0EN6thrust23THRUST_200600_302600_NS6detail15normal_iteratorINS9_10device_ptrIbEEEESE_NSB_INSC_IiEEEESG_NS0_19identity_decomposerEEE10hipError_tT1_T2_T3_T4_jRjT5_jjP12ihipStream_tbEUlT_E_NS1_11comp_targetILNS1_3genE0ELNS1_11target_archE4294967295ELNS1_3gpuE0ELNS1_3repE0EEENS1_44radix_sort_block_sort_config_static_selectorELNS0_4arch9wavefront6targetE1EEEvSJ_.has_recursion, 0
	.set _ZN7rocprim17ROCPRIM_400000_NS6detail17trampoline_kernelINS0_13kernel_configILj256ELj4ELj4294967295EEENS1_37radix_sort_block_sort_config_selectorIbiEEZNS1_21radix_sort_block_sortIS4_Lb0EN6thrust23THRUST_200600_302600_NS6detail15normal_iteratorINS9_10device_ptrIbEEEESE_NSB_INSC_IiEEEESG_NS0_19identity_decomposerEEE10hipError_tT1_T2_T3_T4_jRjT5_jjP12ihipStream_tbEUlT_E_NS1_11comp_targetILNS1_3genE0ELNS1_11target_archE4294967295ELNS1_3gpuE0ELNS1_3repE0EEENS1_44radix_sort_block_sort_config_static_selectorELNS0_4arch9wavefront6targetE1EEEvSJ_.has_indirect_call, 0
	.section	.AMDGPU.csdata,"",@progbits
; Kernel info:
; codeLenInByte = 2780
; TotalNumSgprs: 52
; NumVgprs: 42
; NumAgprs: 0
; TotalNumVgprs: 42
; ScratchSize: 0
; MemoryBound: 0
; FloatMode: 240
; IeeeMode: 1
; LDSByteSize: 4112 bytes/workgroup (compile time only)
; SGPRBlocks: 6
; VGPRBlocks: 5
; NumSGPRsForWavesPerEU: 52
; NumVGPRsForWavesPerEU: 42
; AccumOffset: 44
; Occupancy: 8
; WaveLimiterHint : 1
; COMPUTE_PGM_RSRC2:SCRATCH_EN: 0
; COMPUTE_PGM_RSRC2:USER_SGPR: 2
; COMPUTE_PGM_RSRC2:TRAP_HANDLER: 0
; COMPUTE_PGM_RSRC2:TGID_X_EN: 1
; COMPUTE_PGM_RSRC2:TGID_Y_EN: 0
; COMPUTE_PGM_RSRC2:TGID_Z_EN: 0
; COMPUTE_PGM_RSRC2:TIDIG_COMP_CNT: 2
; COMPUTE_PGM_RSRC3_GFX90A:ACCUM_OFFSET: 10
; COMPUTE_PGM_RSRC3_GFX90A:TG_SPLIT: 0
	.section	.text._ZN7rocprim17ROCPRIM_400000_NS6detail17trampoline_kernelINS0_13kernel_configILj256ELj4ELj4294967295EEENS1_37radix_sort_block_sort_config_selectorIbiEEZNS1_21radix_sort_block_sortIS4_Lb0EN6thrust23THRUST_200600_302600_NS6detail15normal_iteratorINS9_10device_ptrIbEEEESE_NSB_INSC_IiEEEESG_NS0_19identity_decomposerEEE10hipError_tT1_T2_T3_T4_jRjT5_jjP12ihipStream_tbEUlT_E_NS1_11comp_targetILNS1_3genE5ELNS1_11target_archE942ELNS1_3gpuE9ELNS1_3repE0EEENS1_44radix_sort_block_sort_config_static_selectorELNS0_4arch9wavefront6targetE1EEEvSJ_,"axG",@progbits,_ZN7rocprim17ROCPRIM_400000_NS6detail17trampoline_kernelINS0_13kernel_configILj256ELj4ELj4294967295EEENS1_37radix_sort_block_sort_config_selectorIbiEEZNS1_21radix_sort_block_sortIS4_Lb0EN6thrust23THRUST_200600_302600_NS6detail15normal_iteratorINS9_10device_ptrIbEEEESE_NSB_INSC_IiEEEESG_NS0_19identity_decomposerEEE10hipError_tT1_T2_T3_T4_jRjT5_jjP12ihipStream_tbEUlT_E_NS1_11comp_targetILNS1_3genE5ELNS1_11target_archE942ELNS1_3gpuE9ELNS1_3repE0EEENS1_44radix_sort_block_sort_config_static_selectorELNS0_4arch9wavefront6targetE1EEEvSJ_,comdat
	.protected	_ZN7rocprim17ROCPRIM_400000_NS6detail17trampoline_kernelINS0_13kernel_configILj256ELj4ELj4294967295EEENS1_37radix_sort_block_sort_config_selectorIbiEEZNS1_21radix_sort_block_sortIS4_Lb0EN6thrust23THRUST_200600_302600_NS6detail15normal_iteratorINS9_10device_ptrIbEEEESE_NSB_INSC_IiEEEESG_NS0_19identity_decomposerEEE10hipError_tT1_T2_T3_T4_jRjT5_jjP12ihipStream_tbEUlT_E_NS1_11comp_targetILNS1_3genE5ELNS1_11target_archE942ELNS1_3gpuE9ELNS1_3repE0EEENS1_44radix_sort_block_sort_config_static_selectorELNS0_4arch9wavefront6targetE1EEEvSJ_ ; -- Begin function _ZN7rocprim17ROCPRIM_400000_NS6detail17trampoline_kernelINS0_13kernel_configILj256ELj4ELj4294967295EEENS1_37radix_sort_block_sort_config_selectorIbiEEZNS1_21radix_sort_block_sortIS4_Lb0EN6thrust23THRUST_200600_302600_NS6detail15normal_iteratorINS9_10device_ptrIbEEEESE_NSB_INSC_IiEEEESG_NS0_19identity_decomposerEEE10hipError_tT1_T2_T3_T4_jRjT5_jjP12ihipStream_tbEUlT_E_NS1_11comp_targetILNS1_3genE5ELNS1_11target_archE942ELNS1_3gpuE9ELNS1_3repE0EEENS1_44radix_sort_block_sort_config_static_selectorELNS0_4arch9wavefront6targetE1EEEvSJ_
	.globl	_ZN7rocprim17ROCPRIM_400000_NS6detail17trampoline_kernelINS0_13kernel_configILj256ELj4ELj4294967295EEENS1_37radix_sort_block_sort_config_selectorIbiEEZNS1_21radix_sort_block_sortIS4_Lb0EN6thrust23THRUST_200600_302600_NS6detail15normal_iteratorINS9_10device_ptrIbEEEESE_NSB_INSC_IiEEEESG_NS0_19identity_decomposerEEE10hipError_tT1_T2_T3_T4_jRjT5_jjP12ihipStream_tbEUlT_E_NS1_11comp_targetILNS1_3genE5ELNS1_11target_archE942ELNS1_3gpuE9ELNS1_3repE0EEENS1_44radix_sort_block_sort_config_static_selectorELNS0_4arch9wavefront6targetE1EEEvSJ_
	.p2align	8
	.type	_ZN7rocprim17ROCPRIM_400000_NS6detail17trampoline_kernelINS0_13kernel_configILj256ELj4ELj4294967295EEENS1_37radix_sort_block_sort_config_selectorIbiEEZNS1_21radix_sort_block_sortIS4_Lb0EN6thrust23THRUST_200600_302600_NS6detail15normal_iteratorINS9_10device_ptrIbEEEESE_NSB_INSC_IiEEEESG_NS0_19identity_decomposerEEE10hipError_tT1_T2_T3_T4_jRjT5_jjP12ihipStream_tbEUlT_E_NS1_11comp_targetILNS1_3genE5ELNS1_11target_archE942ELNS1_3gpuE9ELNS1_3repE0EEENS1_44radix_sort_block_sort_config_static_selectorELNS0_4arch9wavefront6targetE1EEEvSJ_,@function
_ZN7rocprim17ROCPRIM_400000_NS6detail17trampoline_kernelINS0_13kernel_configILj256ELj4ELj4294967295EEENS1_37radix_sort_block_sort_config_selectorIbiEEZNS1_21radix_sort_block_sortIS4_Lb0EN6thrust23THRUST_200600_302600_NS6detail15normal_iteratorINS9_10device_ptrIbEEEESE_NSB_INSC_IiEEEESG_NS0_19identity_decomposerEEE10hipError_tT1_T2_T3_T4_jRjT5_jjP12ihipStream_tbEUlT_E_NS1_11comp_targetILNS1_3genE5ELNS1_11target_archE942ELNS1_3gpuE9ELNS1_3repE0EEENS1_44radix_sort_block_sort_config_static_selectorELNS0_4arch9wavefront6targetE1EEEvSJ_: ; @_ZN7rocprim17ROCPRIM_400000_NS6detail17trampoline_kernelINS0_13kernel_configILj256ELj4ELj4294967295EEENS1_37radix_sort_block_sort_config_selectorIbiEEZNS1_21radix_sort_block_sortIS4_Lb0EN6thrust23THRUST_200600_302600_NS6detail15normal_iteratorINS9_10device_ptrIbEEEESE_NSB_INSC_IiEEEESG_NS0_19identity_decomposerEEE10hipError_tT1_T2_T3_T4_jRjT5_jjP12ihipStream_tbEUlT_E_NS1_11comp_targetILNS1_3genE5ELNS1_11target_archE942ELNS1_3gpuE9ELNS1_3repE0EEENS1_44radix_sort_block_sort_config_static_selectorELNS0_4arch9wavefront6targetE1EEEvSJ_
; %bb.0:
	.section	.rodata,"a",@progbits
	.p2align	6, 0x0
	.amdhsa_kernel _ZN7rocprim17ROCPRIM_400000_NS6detail17trampoline_kernelINS0_13kernel_configILj256ELj4ELj4294967295EEENS1_37radix_sort_block_sort_config_selectorIbiEEZNS1_21radix_sort_block_sortIS4_Lb0EN6thrust23THRUST_200600_302600_NS6detail15normal_iteratorINS9_10device_ptrIbEEEESE_NSB_INSC_IiEEEESG_NS0_19identity_decomposerEEE10hipError_tT1_T2_T3_T4_jRjT5_jjP12ihipStream_tbEUlT_E_NS1_11comp_targetILNS1_3genE5ELNS1_11target_archE942ELNS1_3gpuE9ELNS1_3repE0EEENS1_44radix_sort_block_sort_config_static_selectorELNS0_4arch9wavefront6targetE1EEEvSJ_
		.amdhsa_group_segment_fixed_size 0
		.amdhsa_private_segment_fixed_size 0
		.amdhsa_kernarg_size 48
		.amdhsa_user_sgpr_count 2
		.amdhsa_user_sgpr_dispatch_ptr 0
		.amdhsa_user_sgpr_queue_ptr 0
		.amdhsa_user_sgpr_kernarg_segment_ptr 1
		.amdhsa_user_sgpr_dispatch_id 0
		.amdhsa_user_sgpr_kernarg_preload_length 0
		.amdhsa_user_sgpr_kernarg_preload_offset 0
		.amdhsa_user_sgpr_private_segment_size 0
		.amdhsa_uses_dynamic_stack 0
		.amdhsa_enable_private_segment 0
		.amdhsa_system_sgpr_workgroup_id_x 1
		.amdhsa_system_sgpr_workgroup_id_y 0
		.amdhsa_system_sgpr_workgroup_id_z 0
		.amdhsa_system_sgpr_workgroup_info 0
		.amdhsa_system_vgpr_workitem_id 0
		.amdhsa_next_free_vgpr 1
		.amdhsa_next_free_sgpr 0
		.amdhsa_accum_offset 4
		.amdhsa_reserve_vcc 0
		.amdhsa_float_round_mode_32 0
		.amdhsa_float_round_mode_16_64 0
		.amdhsa_float_denorm_mode_32 3
		.amdhsa_float_denorm_mode_16_64 3
		.amdhsa_dx10_clamp 1
		.amdhsa_ieee_mode 1
		.amdhsa_fp16_overflow 0
		.amdhsa_tg_split 0
		.amdhsa_exception_fp_ieee_invalid_op 0
		.amdhsa_exception_fp_denorm_src 0
		.amdhsa_exception_fp_ieee_div_zero 0
		.amdhsa_exception_fp_ieee_overflow 0
		.amdhsa_exception_fp_ieee_underflow 0
		.amdhsa_exception_fp_ieee_inexact 0
		.amdhsa_exception_int_div_zero 0
	.end_amdhsa_kernel
	.section	.text._ZN7rocprim17ROCPRIM_400000_NS6detail17trampoline_kernelINS0_13kernel_configILj256ELj4ELj4294967295EEENS1_37radix_sort_block_sort_config_selectorIbiEEZNS1_21radix_sort_block_sortIS4_Lb0EN6thrust23THRUST_200600_302600_NS6detail15normal_iteratorINS9_10device_ptrIbEEEESE_NSB_INSC_IiEEEESG_NS0_19identity_decomposerEEE10hipError_tT1_T2_T3_T4_jRjT5_jjP12ihipStream_tbEUlT_E_NS1_11comp_targetILNS1_3genE5ELNS1_11target_archE942ELNS1_3gpuE9ELNS1_3repE0EEENS1_44radix_sort_block_sort_config_static_selectorELNS0_4arch9wavefront6targetE1EEEvSJ_,"axG",@progbits,_ZN7rocprim17ROCPRIM_400000_NS6detail17trampoline_kernelINS0_13kernel_configILj256ELj4ELj4294967295EEENS1_37radix_sort_block_sort_config_selectorIbiEEZNS1_21radix_sort_block_sortIS4_Lb0EN6thrust23THRUST_200600_302600_NS6detail15normal_iteratorINS9_10device_ptrIbEEEESE_NSB_INSC_IiEEEESG_NS0_19identity_decomposerEEE10hipError_tT1_T2_T3_T4_jRjT5_jjP12ihipStream_tbEUlT_E_NS1_11comp_targetILNS1_3genE5ELNS1_11target_archE942ELNS1_3gpuE9ELNS1_3repE0EEENS1_44radix_sort_block_sort_config_static_selectorELNS0_4arch9wavefront6targetE1EEEvSJ_,comdat
.Lfunc_end1892:
	.size	_ZN7rocprim17ROCPRIM_400000_NS6detail17trampoline_kernelINS0_13kernel_configILj256ELj4ELj4294967295EEENS1_37radix_sort_block_sort_config_selectorIbiEEZNS1_21radix_sort_block_sortIS4_Lb0EN6thrust23THRUST_200600_302600_NS6detail15normal_iteratorINS9_10device_ptrIbEEEESE_NSB_INSC_IiEEEESG_NS0_19identity_decomposerEEE10hipError_tT1_T2_T3_T4_jRjT5_jjP12ihipStream_tbEUlT_E_NS1_11comp_targetILNS1_3genE5ELNS1_11target_archE942ELNS1_3gpuE9ELNS1_3repE0EEENS1_44radix_sort_block_sort_config_static_selectorELNS0_4arch9wavefront6targetE1EEEvSJ_, .Lfunc_end1892-_ZN7rocprim17ROCPRIM_400000_NS6detail17trampoline_kernelINS0_13kernel_configILj256ELj4ELj4294967295EEENS1_37radix_sort_block_sort_config_selectorIbiEEZNS1_21radix_sort_block_sortIS4_Lb0EN6thrust23THRUST_200600_302600_NS6detail15normal_iteratorINS9_10device_ptrIbEEEESE_NSB_INSC_IiEEEESG_NS0_19identity_decomposerEEE10hipError_tT1_T2_T3_T4_jRjT5_jjP12ihipStream_tbEUlT_E_NS1_11comp_targetILNS1_3genE5ELNS1_11target_archE942ELNS1_3gpuE9ELNS1_3repE0EEENS1_44radix_sort_block_sort_config_static_selectorELNS0_4arch9wavefront6targetE1EEEvSJ_
                                        ; -- End function
	.set _ZN7rocprim17ROCPRIM_400000_NS6detail17trampoline_kernelINS0_13kernel_configILj256ELj4ELj4294967295EEENS1_37radix_sort_block_sort_config_selectorIbiEEZNS1_21radix_sort_block_sortIS4_Lb0EN6thrust23THRUST_200600_302600_NS6detail15normal_iteratorINS9_10device_ptrIbEEEESE_NSB_INSC_IiEEEESG_NS0_19identity_decomposerEEE10hipError_tT1_T2_T3_T4_jRjT5_jjP12ihipStream_tbEUlT_E_NS1_11comp_targetILNS1_3genE5ELNS1_11target_archE942ELNS1_3gpuE9ELNS1_3repE0EEENS1_44radix_sort_block_sort_config_static_selectorELNS0_4arch9wavefront6targetE1EEEvSJ_.num_vgpr, 0
	.set _ZN7rocprim17ROCPRIM_400000_NS6detail17trampoline_kernelINS0_13kernel_configILj256ELj4ELj4294967295EEENS1_37radix_sort_block_sort_config_selectorIbiEEZNS1_21radix_sort_block_sortIS4_Lb0EN6thrust23THRUST_200600_302600_NS6detail15normal_iteratorINS9_10device_ptrIbEEEESE_NSB_INSC_IiEEEESG_NS0_19identity_decomposerEEE10hipError_tT1_T2_T3_T4_jRjT5_jjP12ihipStream_tbEUlT_E_NS1_11comp_targetILNS1_3genE5ELNS1_11target_archE942ELNS1_3gpuE9ELNS1_3repE0EEENS1_44radix_sort_block_sort_config_static_selectorELNS0_4arch9wavefront6targetE1EEEvSJ_.num_agpr, 0
	.set _ZN7rocprim17ROCPRIM_400000_NS6detail17trampoline_kernelINS0_13kernel_configILj256ELj4ELj4294967295EEENS1_37radix_sort_block_sort_config_selectorIbiEEZNS1_21radix_sort_block_sortIS4_Lb0EN6thrust23THRUST_200600_302600_NS6detail15normal_iteratorINS9_10device_ptrIbEEEESE_NSB_INSC_IiEEEESG_NS0_19identity_decomposerEEE10hipError_tT1_T2_T3_T4_jRjT5_jjP12ihipStream_tbEUlT_E_NS1_11comp_targetILNS1_3genE5ELNS1_11target_archE942ELNS1_3gpuE9ELNS1_3repE0EEENS1_44radix_sort_block_sort_config_static_selectorELNS0_4arch9wavefront6targetE1EEEvSJ_.numbered_sgpr, 0
	.set _ZN7rocprim17ROCPRIM_400000_NS6detail17trampoline_kernelINS0_13kernel_configILj256ELj4ELj4294967295EEENS1_37radix_sort_block_sort_config_selectorIbiEEZNS1_21radix_sort_block_sortIS4_Lb0EN6thrust23THRUST_200600_302600_NS6detail15normal_iteratorINS9_10device_ptrIbEEEESE_NSB_INSC_IiEEEESG_NS0_19identity_decomposerEEE10hipError_tT1_T2_T3_T4_jRjT5_jjP12ihipStream_tbEUlT_E_NS1_11comp_targetILNS1_3genE5ELNS1_11target_archE942ELNS1_3gpuE9ELNS1_3repE0EEENS1_44radix_sort_block_sort_config_static_selectorELNS0_4arch9wavefront6targetE1EEEvSJ_.num_named_barrier, 0
	.set _ZN7rocprim17ROCPRIM_400000_NS6detail17trampoline_kernelINS0_13kernel_configILj256ELj4ELj4294967295EEENS1_37radix_sort_block_sort_config_selectorIbiEEZNS1_21radix_sort_block_sortIS4_Lb0EN6thrust23THRUST_200600_302600_NS6detail15normal_iteratorINS9_10device_ptrIbEEEESE_NSB_INSC_IiEEEESG_NS0_19identity_decomposerEEE10hipError_tT1_T2_T3_T4_jRjT5_jjP12ihipStream_tbEUlT_E_NS1_11comp_targetILNS1_3genE5ELNS1_11target_archE942ELNS1_3gpuE9ELNS1_3repE0EEENS1_44radix_sort_block_sort_config_static_selectorELNS0_4arch9wavefront6targetE1EEEvSJ_.private_seg_size, 0
	.set _ZN7rocprim17ROCPRIM_400000_NS6detail17trampoline_kernelINS0_13kernel_configILj256ELj4ELj4294967295EEENS1_37radix_sort_block_sort_config_selectorIbiEEZNS1_21radix_sort_block_sortIS4_Lb0EN6thrust23THRUST_200600_302600_NS6detail15normal_iteratorINS9_10device_ptrIbEEEESE_NSB_INSC_IiEEEESG_NS0_19identity_decomposerEEE10hipError_tT1_T2_T3_T4_jRjT5_jjP12ihipStream_tbEUlT_E_NS1_11comp_targetILNS1_3genE5ELNS1_11target_archE942ELNS1_3gpuE9ELNS1_3repE0EEENS1_44radix_sort_block_sort_config_static_selectorELNS0_4arch9wavefront6targetE1EEEvSJ_.uses_vcc, 0
	.set _ZN7rocprim17ROCPRIM_400000_NS6detail17trampoline_kernelINS0_13kernel_configILj256ELj4ELj4294967295EEENS1_37radix_sort_block_sort_config_selectorIbiEEZNS1_21radix_sort_block_sortIS4_Lb0EN6thrust23THRUST_200600_302600_NS6detail15normal_iteratorINS9_10device_ptrIbEEEESE_NSB_INSC_IiEEEESG_NS0_19identity_decomposerEEE10hipError_tT1_T2_T3_T4_jRjT5_jjP12ihipStream_tbEUlT_E_NS1_11comp_targetILNS1_3genE5ELNS1_11target_archE942ELNS1_3gpuE9ELNS1_3repE0EEENS1_44radix_sort_block_sort_config_static_selectorELNS0_4arch9wavefront6targetE1EEEvSJ_.uses_flat_scratch, 0
	.set _ZN7rocprim17ROCPRIM_400000_NS6detail17trampoline_kernelINS0_13kernel_configILj256ELj4ELj4294967295EEENS1_37radix_sort_block_sort_config_selectorIbiEEZNS1_21radix_sort_block_sortIS4_Lb0EN6thrust23THRUST_200600_302600_NS6detail15normal_iteratorINS9_10device_ptrIbEEEESE_NSB_INSC_IiEEEESG_NS0_19identity_decomposerEEE10hipError_tT1_T2_T3_T4_jRjT5_jjP12ihipStream_tbEUlT_E_NS1_11comp_targetILNS1_3genE5ELNS1_11target_archE942ELNS1_3gpuE9ELNS1_3repE0EEENS1_44radix_sort_block_sort_config_static_selectorELNS0_4arch9wavefront6targetE1EEEvSJ_.has_dyn_sized_stack, 0
	.set _ZN7rocprim17ROCPRIM_400000_NS6detail17trampoline_kernelINS0_13kernel_configILj256ELj4ELj4294967295EEENS1_37radix_sort_block_sort_config_selectorIbiEEZNS1_21radix_sort_block_sortIS4_Lb0EN6thrust23THRUST_200600_302600_NS6detail15normal_iteratorINS9_10device_ptrIbEEEESE_NSB_INSC_IiEEEESG_NS0_19identity_decomposerEEE10hipError_tT1_T2_T3_T4_jRjT5_jjP12ihipStream_tbEUlT_E_NS1_11comp_targetILNS1_3genE5ELNS1_11target_archE942ELNS1_3gpuE9ELNS1_3repE0EEENS1_44radix_sort_block_sort_config_static_selectorELNS0_4arch9wavefront6targetE1EEEvSJ_.has_recursion, 0
	.set _ZN7rocprim17ROCPRIM_400000_NS6detail17trampoline_kernelINS0_13kernel_configILj256ELj4ELj4294967295EEENS1_37radix_sort_block_sort_config_selectorIbiEEZNS1_21radix_sort_block_sortIS4_Lb0EN6thrust23THRUST_200600_302600_NS6detail15normal_iteratorINS9_10device_ptrIbEEEESE_NSB_INSC_IiEEEESG_NS0_19identity_decomposerEEE10hipError_tT1_T2_T3_T4_jRjT5_jjP12ihipStream_tbEUlT_E_NS1_11comp_targetILNS1_3genE5ELNS1_11target_archE942ELNS1_3gpuE9ELNS1_3repE0EEENS1_44radix_sort_block_sort_config_static_selectorELNS0_4arch9wavefront6targetE1EEEvSJ_.has_indirect_call, 0
	.section	.AMDGPU.csdata,"",@progbits
; Kernel info:
; codeLenInByte = 0
; TotalNumSgprs: 6
; NumVgprs: 0
; NumAgprs: 0
; TotalNumVgprs: 0
; ScratchSize: 0
; MemoryBound: 0
; FloatMode: 240
; IeeeMode: 1
; LDSByteSize: 0 bytes/workgroup (compile time only)
; SGPRBlocks: 0
; VGPRBlocks: 0
; NumSGPRsForWavesPerEU: 6
; NumVGPRsForWavesPerEU: 1
; AccumOffset: 4
; Occupancy: 8
; WaveLimiterHint : 0
; COMPUTE_PGM_RSRC2:SCRATCH_EN: 0
; COMPUTE_PGM_RSRC2:USER_SGPR: 2
; COMPUTE_PGM_RSRC2:TRAP_HANDLER: 0
; COMPUTE_PGM_RSRC2:TGID_X_EN: 1
; COMPUTE_PGM_RSRC2:TGID_Y_EN: 0
; COMPUTE_PGM_RSRC2:TGID_Z_EN: 0
; COMPUTE_PGM_RSRC2:TIDIG_COMP_CNT: 0
; COMPUTE_PGM_RSRC3_GFX90A:ACCUM_OFFSET: 0
; COMPUTE_PGM_RSRC3_GFX90A:TG_SPLIT: 0
	.section	.text._ZN7rocprim17ROCPRIM_400000_NS6detail17trampoline_kernelINS0_13kernel_configILj256ELj4ELj4294967295EEENS1_37radix_sort_block_sort_config_selectorIbiEEZNS1_21radix_sort_block_sortIS4_Lb0EN6thrust23THRUST_200600_302600_NS6detail15normal_iteratorINS9_10device_ptrIbEEEESE_NSB_INSC_IiEEEESG_NS0_19identity_decomposerEEE10hipError_tT1_T2_T3_T4_jRjT5_jjP12ihipStream_tbEUlT_E_NS1_11comp_targetILNS1_3genE4ELNS1_11target_archE910ELNS1_3gpuE8ELNS1_3repE0EEENS1_44radix_sort_block_sort_config_static_selectorELNS0_4arch9wavefront6targetE1EEEvSJ_,"axG",@progbits,_ZN7rocprim17ROCPRIM_400000_NS6detail17trampoline_kernelINS0_13kernel_configILj256ELj4ELj4294967295EEENS1_37radix_sort_block_sort_config_selectorIbiEEZNS1_21radix_sort_block_sortIS4_Lb0EN6thrust23THRUST_200600_302600_NS6detail15normal_iteratorINS9_10device_ptrIbEEEESE_NSB_INSC_IiEEEESG_NS0_19identity_decomposerEEE10hipError_tT1_T2_T3_T4_jRjT5_jjP12ihipStream_tbEUlT_E_NS1_11comp_targetILNS1_3genE4ELNS1_11target_archE910ELNS1_3gpuE8ELNS1_3repE0EEENS1_44radix_sort_block_sort_config_static_selectorELNS0_4arch9wavefront6targetE1EEEvSJ_,comdat
	.protected	_ZN7rocprim17ROCPRIM_400000_NS6detail17trampoline_kernelINS0_13kernel_configILj256ELj4ELj4294967295EEENS1_37radix_sort_block_sort_config_selectorIbiEEZNS1_21radix_sort_block_sortIS4_Lb0EN6thrust23THRUST_200600_302600_NS6detail15normal_iteratorINS9_10device_ptrIbEEEESE_NSB_INSC_IiEEEESG_NS0_19identity_decomposerEEE10hipError_tT1_T2_T3_T4_jRjT5_jjP12ihipStream_tbEUlT_E_NS1_11comp_targetILNS1_3genE4ELNS1_11target_archE910ELNS1_3gpuE8ELNS1_3repE0EEENS1_44radix_sort_block_sort_config_static_selectorELNS0_4arch9wavefront6targetE1EEEvSJ_ ; -- Begin function _ZN7rocprim17ROCPRIM_400000_NS6detail17trampoline_kernelINS0_13kernel_configILj256ELj4ELj4294967295EEENS1_37radix_sort_block_sort_config_selectorIbiEEZNS1_21radix_sort_block_sortIS4_Lb0EN6thrust23THRUST_200600_302600_NS6detail15normal_iteratorINS9_10device_ptrIbEEEESE_NSB_INSC_IiEEEESG_NS0_19identity_decomposerEEE10hipError_tT1_T2_T3_T4_jRjT5_jjP12ihipStream_tbEUlT_E_NS1_11comp_targetILNS1_3genE4ELNS1_11target_archE910ELNS1_3gpuE8ELNS1_3repE0EEENS1_44radix_sort_block_sort_config_static_selectorELNS0_4arch9wavefront6targetE1EEEvSJ_
	.globl	_ZN7rocprim17ROCPRIM_400000_NS6detail17trampoline_kernelINS0_13kernel_configILj256ELj4ELj4294967295EEENS1_37radix_sort_block_sort_config_selectorIbiEEZNS1_21radix_sort_block_sortIS4_Lb0EN6thrust23THRUST_200600_302600_NS6detail15normal_iteratorINS9_10device_ptrIbEEEESE_NSB_INSC_IiEEEESG_NS0_19identity_decomposerEEE10hipError_tT1_T2_T3_T4_jRjT5_jjP12ihipStream_tbEUlT_E_NS1_11comp_targetILNS1_3genE4ELNS1_11target_archE910ELNS1_3gpuE8ELNS1_3repE0EEENS1_44radix_sort_block_sort_config_static_selectorELNS0_4arch9wavefront6targetE1EEEvSJ_
	.p2align	8
	.type	_ZN7rocprim17ROCPRIM_400000_NS6detail17trampoline_kernelINS0_13kernel_configILj256ELj4ELj4294967295EEENS1_37radix_sort_block_sort_config_selectorIbiEEZNS1_21radix_sort_block_sortIS4_Lb0EN6thrust23THRUST_200600_302600_NS6detail15normal_iteratorINS9_10device_ptrIbEEEESE_NSB_INSC_IiEEEESG_NS0_19identity_decomposerEEE10hipError_tT1_T2_T3_T4_jRjT5_jjP12ihipStream_tbEUlT_E_NS1_11comp_targetILNS1_3genE4ELNS1_11target_archE910ELNS1_3gpuE8ELNS1_3repE0EEENS1_44radix_sort_block_sort_config_static_selectorELNS0_4arch9wavefront6targetE1EEEvSJ_,@function
_ZN7rocprim17ROCPRIM_400000_NS6detail17trampoline_kernelINS0_13kernel_configILj256ELj4ELj4294967295EEENS1_37radix_sort_block_sort_config_selectorIbiEEZNS1_21radix_sort_block_sortIS4_Lb0EN6thrust23THRUST_200600_302600_NS6detail15normal_iteratorINS9_10device_ptrIbEEEESE_NSB_INSC_IiEEEESG_NS0_19identity_decomposerEEE10hipError_tT1_T2_T3_T4_jRjT5_jjP12ihipStream_tbEUlT_E_NS1_11comp_targetILNS1_3genE4ELNS1_11target_archE910ELNS1_3gpuE8ELNS1_3repE0EEENS1_44radix_sort_block_sort_config_static_selectorELNS0_4arch9wavefront6targetE1EEEvSJ_: ; @_ZN7rocprim17ROCPRIM_400000_NS6detail17trampoline_kernelINS0_13kernel_configILj256ELj4ELj4294967295EEENS1_37radix_sort_block_sort_config_selectorIbiEEZNS1_21radix_sort_block_sortIS4_Lb0EN6thrust23THRUST_200600_302600_NS6detail15normal_iteratorINS9_10device_ptrIbEEEESE_NSB_INSC_IiEEEESG_NS0_19identity_decomposerEEE10hipError_tT1_T2_T3_T4_jRjT5_jjP12ihipStream_tbEUlT_E_NS1_11comp_targetILNS1_3genE4ELNS1_11target_archE910ELNS1_3gpuE8ELNS1_3repE0EEENS1_44radix_sort_block_sort_config_static_selectorELNS0_4arch9wavefront6targetE1EEEvSJ_
; %bb.0:
	.section	.rodata,"a",@progbits
	.p2align	6, 0x0
	.amdhsa_kernel _ZN7rocprim17ROCPRIM_400000_NS6detail17trampoline_kernelINS0_13kernel_configILj256ELj4ELj4294967295EEENS1_37radix_sort_block_sort_config_selectorIbiEEZNS1_21radix_sort_block_sortIS4_Lb0EN6thrust23THRUST_200600_302600_NS6detail15normal_iteratorINS9_10device_ptrIbEEEESE_NSB_INSC_IiEEEESG_NS0_19identity_decomposerEEE10hipError_tT1_T2_T3_T4_jRjT5_jjP12ihipStream_tbEUlT_E_NS1_11comp_targetILNS1_3genE4ELNS1_11target_archE910ELNS1_3gpuE8ELNS1_3repE0EEENS1_44radix_sort_block_sort_config_static_selectorELNS0_4arch9wavefront6targetE1EEEvSJ_
		.amdhsa_group_segment_fixed_size 0
		.amdhsa_private_segment_fixed_size 0
		.amdhsa_kernarg_size 48
		.amdhsa_user_sgpr_count 2
		.amdhsa_user_sgpr_dispatch_ptr 0
		.amdhsa_user_sgpr_queue_ptr 0
		.amdhsa_user_sgpr_kernarg_segment_ptr 1
		.amdhsa_user_sgpr_dispatch_id 0
		.amdhsa_user_sgpr_kernarg_preload_length 0
		.amdhsa_user_sgpr_kernarg_preload_offset 0
		.amdhsa_user_sgpr_private_segment_size 0
		.amdhsa_uses_dynamic_stack 0
		.amdhsa_enable_private_segment 0
		.amdhsa_system_sgpr_workgroup_id_x 1
		.amdhsa_system_sgpr_workgroup_id_y 0
		.amdhsa_system_sgpr_workgroup_id_z 0
		.amdhsa_system_sgpr_workgroup_info 0
		.amdhsa_system_vgpr_workitem_id 0
		.amdhsa_next_free_vgpr 1
		.amdhsa_next_free_sgpr 0
		.amdhsa_accum_offset 4
		.amdhsa_reserve_vcc 0
		.amdhsa_float_round_mode_32 0
		.amdhsa_float_round_mode_16_64 0
		.amdhsa_float_denorm_mode_32 3
		.amdhsa_float_denorm_mode_16_64 3
		.amdhsa_dx10_clamp 1
		.amdhsa_ieee_mode 1
		.amdhsa_fp16_overflow 0
		.amdhsa_tg_split 0
		.amdhsa_exception_fp_ieee_invalid_op 0
		.amdhsa_exception_fp_denorm_src 0
		.amdhsa_exception_fp_ieee_div_zero 0
		.amdhsa_exception_fp_ieee_overflow 0
		.amdhsa_exception_fp_ieee_underflow 0
		.amdhsa_exception_fp_ieee_inexact 0
		.amdhsa_exception_int_div_zero 0
	.end_amdhsa_kernel
	.section	.text._ZN7rocprim17ROCPRIM_400000_NS6detail17trampoline_kernelINS0_13kernel_configILj256ELj4ELj4294967295EEENS1_37radix_sort_block_sort_config_selectorIbiEEZNS1_21radix_sort_block_sortIS4_Lb0EN6thrust23THRUST_200600_302600_NS6detail15normal_iteratorINS9_10device_ptrIbEEEESE_NSB_INSC_IiEEEESG_NS0_19identity_decomposerEEE10hipError_tT1_T2_T3_T4_jRjT5_jjP12ihipStream_tbEUlT_E_NS1_11comp_targetILNS1_3genE4ELNS1_11target_archE910ELNS1_3gpuE8ELNS1_3repE0EEENS1_44radix_sort_block_sort_config_static_selectorELNS0_4arch9wavefront6targetE1EEEvSJ_,"axG",@progbits,_ZN7rocprim17ROCPRIM_400000_NS6detail17trampoline_kernelINS0_13kernel_configILj256ELj4ELj4294967295EEENS1_37radix_sort_block_sort_config_selectorIbiEEZNS1_21radix_sort_block_sortIS4_Lb0EN6thrust23THRUST_200600_302600_NS6detail15normal_iteratorINS9_10device_ptrIbEEEESE_NSB_INSC_IiEEEESG_NS0_19identity_decomposerEEE10hipError_tT1_T2_T3_T4_jRjT5_jjP12ihipStream_tbEUlT_E_NS1_11comp_targetILNS1_3genE4ELNS1_11target_archE910ELNS1_3gpuE8ELNS1_3repE0EEENS1_44radix_sort_block_sort_config_static_selectorELNS0_4arch9wavefront6targetE1EEEvSJ_,comdat
.Lfunc_end1893:
	.size	_ZN7rocprim17ROCPRIM_400000_NS6detail17trampoline_kernelINS0_13kernel_configILj256ELj4ELj4294967295EEENS1_37radix_sort_block_sort_config_selectorIbiEEZNS1_21radix_sort_block_sortIS4_Lb0EN6thrust23THRUST_200600_302600_NS6detail15normal_iteratorINS9_10device_ptrIbEEEESE_NSB_INSC_IiEEEESG_NS0_19identity_decomposerEEE10hipError_tT1_T2_T3_T4_jRjT5_jjP12ihipStream_tbEUlT_E_NS1_11comp_targetILNS1_3genE4ELNS1_11target_archE910ELNS1_3gpuE8ELNS1_3repE0EEENS1_44radix_sort_block_sort_config_static_selectorELNS0_4arch9wavefront6targetE1EEEvSJ_, .Lfunc_end1893-_ZN7rocprim17ROCPRIM_400000_NS6detail17trampoline_kernelINS0_13kernel_configILj256ELj4ELj4294967295EEENS1_37radix_sort_block_sort_config_selectorIbiEEZNS1_21radix_sort_block_sortIS4_Lb0EN6thrust23THRUST_200600_302600_NS6detail15normal_iteratorINS9_10device_ptrIbEEEESE_NSB_INSC_IiEEEESG_NS0_19identity_decomposerEEE10hipError_tT1_T2_T3_T4_jRjT5_jjP12ihipStream_tbEUlT_E_NS1_11comp_targetILNS1_3genE4ELNS1_11target_archE910ELNS1_3gpuE8ELNS1_3repE0EEENS1_44radix_sort_block_sort_config_static_selectorELNS0_4arch9wavefront6targetE1EEEvSJ_
                                        ; -- End function
	.set _ZN7rocprim17ROCPRIM_400000_NS6detail17trampoline_kernelINS0_13kernel_configILj256ELj4ELj4294967295EEENS1_37radix_sort_block_sort_config_selectorIbiEEZNS1_21radix_sort_block_sortIS4_Lb0EN6thrust23THRUST_200600_302600_NS6detail15normal_iteratorINS9_10device_ptrIbEEEESE_NSB_INSC_IiEEEESG_NS0_19identity_decomposerEEE10hipError_tT1_T2_T3_T4_jRjT5_jjP12ihipStream_tbEUlT_E_NS1_11comp_targetILNS1_3genE4ELNS1_11target_archE910ELNS1_3gpuE8ELNS1_3repE0EEENS1_44radix_sort_block_sort_config_static_selectorELNS0_4arch9wavefront6targetE1EEEvSJ_.num_vgpr, 0
	.set _ZN7rocprim17ROCPRIM_400000_NS6detail17trampoline_kernelINS0_13kernel_configILj256ELj4ELj4294967295EEENS1_37radix_sort_block_sort_config_selectorIbiEEZNS1_21radix_sort_block_sortIS4_Lb0EN6thrust23THRUST_200600_302600_NS6detail15normal_iteratorINS9_10device_ptrIbEEEESE_NSB_INSC_IiEEEESG_NS0_19identity_decomposerEEE10hipError_tT1_T2_T3_T4_jRjT5_jjP12ihipStream_tbEUlT_E_NS1_11comp_targetILNS1_3genE4ELNS1_11target_archE910ELNS1_3gpuE8ELNS1_3repE0EEENS1_44radix_sort_block_sort_config_static_selectorELNS0_4arch9wavefront6targetE1EEEvSJ_.num_agpr, 0
	.set _ZN7rocprim17ROCPRIM_400000_NS6detail17trampoline_kernelINS0_13kernel_configILj256ELj4ELj4294967295EEENS1_37radix_sort_block_sort_config_selectorIbiEEZNS1_21radix_sort_block_sortIS4_Lb0EN6thrust23THRUST_200600_302600_NS6detail15normal_iteratorINS9_10device_ptrIbEEEESE_NSB_INSC_IiEEEESG_NS0_19identity_decomposerEEE10hipError_tT1_T2_T3_T4_jRjT5_jjP12ihipStream_tbEUlT_E_NS1_11comp_targetILNS1_3genE4ELNS1_11target_archE910ELNS1_3gpuE8ELNS1_3repE0EEENS1_44radix_sort_block_sort_config_static_selectorELNS0_4arch9wavefront6targetE1EEEvSJ_.numbered_sgpr, 0
	.set _ZN7rocprim17ROCPRIM_400000_NS6detail17trampoline_kernelINS0_13kernel_configILj256ELj4ELj4294967295EEENS1_37radix_sort_block_sort_config_selectorIbiEEZNS1_21radix_sort_block_sortIS4_Lb0EN6thrust23THRUST_200600_302600_NS6detail15normal_iteratorINS9_10device_ptrIbEEEESE_NSB_INSC_IiEEEESG_NS0_19identity_decomposerEEE10hipError_tT1_T2_T3_T4_jRjT5_jjP12ihipStream_tbEUlT_E_NS1_11comp_targetILNS1_3genE4ELNS1_11target_archE910ELNS1_3gpuE8ELNS1_3repE0EEENS1_44radix_sort_block_sort_config_static_selectorELNS0_4arch9wavefront6targetE1EEEvSJ_.num_named_barrier, 0
	.set _ZN7rocprim17ROCPRIM_400000_NS6detail17trampoline_kernelINS0_13kernel_configILj256ELj4ELj4294967295EEENS1_37radix_sort_block_sort_config_selectorIbiEEZNS1_21radix_sort_block_sortIS4_Lb0EN6thrust23THRUST_200600_302600_NS6detail15normal_iteratorINS9_10device_ptrIbEEEESE_NSB_INSC_IiEEEESG_NS0_19identity_decomposerEEE10hipError_tT1_T2_T3_T4_jRjT5_jjP12ihipStream_tbEUlT_E_NS1_11comp_targetILNS1_3genE4ELNS1_11target_archE910ELNS1_3gpuE8ELNS1_3repE0EEENS1_44radix_sort_block_sort_config_static_selectorELNS0_4arch9wavefront6targetE1EEEvSJ_.private_seg_size, 0
	.set _ZN7rocprim17ROCPRIM_400000_NS6detail17trampoline_kernelINS0_13kernel_configILj256ELj4ELj4294967295EEENS1_37radix_sort_block_sort_config_selectorIbiEEZNS1_21radix_sort_block_sortIS4_Lb0EN6thrust23THRUST_200600_302600_NS6detail15normal_iteratorINS9_10device_ptrIbEEEESE_NSB_INSC_IiEEEESG_NS0_19identity_decomposerEEE10hipError_tT1_T2_T3_T4_jRjT5_jjP12ihipStream_tbEUlT_E_NS1_11comp_targetILNS1_3genE4ELNS1_11target_archE910ELNS1_3gpuE8ELNS1_3repE0EEENS1_44radix_sort_block_sort_config_static_selectorELNS0_4arch9wavefront6targetE1EEEvSJ_.uses_vcc, 0
	.set _ZN7rocprim17ROCPRIM_400000_NS6detail17trampoline_kernelINS0_13kernel_configILj256ELj4ELj4294967295EEENS1_37radix_sort_block_sort_config_selectorIbiEEZNS1_21radix_sort_block_sortIS4_Lb0EN6thrust23THRUST_200600_302600_NS6detail15normal_iteratorINS9_10device_ptrIbEEEESE_NSB_INSC_IiEEEESG_NS0_19identity_decomposerEEE10hipError_tT1_T2_T3_T4_jRjT5_jjP12ihipStream_tbEUlT_E_NS1_11comp_targetILNS1_3genE4ELNS1_11target_archE910ELNS1_3gpuE8ELNS1_3repE0EEENS1_44radix_sort_block_sort_config_static_selectorELNS0_4arch9wavefront6targetE1EEEvSJ_.uses_flat_scratch, 0
	.set _ZN7rocprim17ROCPRIM_400000_NS6detail17trampoline_kernelINS0_13kernel_configILj256ELj4ELj4294967295EEENS1_37radix_sort_block_sort_config_selectorIbiEEZNS1_21radix_sort_block_sortIS4_Lb0EN6thrust23THRUST_200600_302600_NS6detail15normal_iteratorINS9_10device_ptrIbEEEESE_NSB_INSC_IiEEEESG_NS0_19identity_decomposerEEE10hipError_tT1_T2_T3_T4_jRjT5_jjP12ihipStream_tbEUlT_E_NS1_11comp_targetILNS1_3genE4ELNS1_11target_archE910ELNS1_3gpuE8ELNS1_3repE0EEENS1_44radix_sort_block_sort_config_static_selectorELNS0_4arch9wavefront6targetE1EEEvSJ_.has_dyn_sized_stack, 0
	.set _ZN7rocprim17ROCPRIM_400000_NS6detail17trampoline_kernelINS0_13kernel_configILj256ELj4ELj4294967295EEENS1_37radix_sort_block_sort_config_selectorIbiEEZNS1_21radix_sort_block_sortIS4_Lb0EN6thrust23THRUST_200600_302600_NS6detail15normal_iteratorINS9_10device_ptrIbEEEESE_NSB_INSC_IiEEEESG_NS0_19identity_decomposerEEE10hipError_tT1_T2_T3_T4_jRjT5_jjP12ihipStream_tbEUlT_E_NS1_11comp_targetILNS1_3genE4ELNS1_11target_archE910ELNS1_3gpuE8ELNS1_3repE0EEENS1_44radix_sort_block_sort_config_static_selectorELNS0_4arch9wavefront6targetE1EEEvSJ_.has_recursion, 0
	.set _ZN7rocprim17ROCPRIM_400000_NS6detail17trampoline_kernelINS0_13kernel_configILj256ELj4ELj4294967295EEENS1_37radix_sort_block_sort_config_selectorIbiEEZNS1_21radix_sort_block_sortIS4_Lb0EN6thrust23THRUST_200600_302600_NS6detail15normal_iteratorINS9_10device_ptrIbEEEESE_NSB_INSC_IiEEEESG_NS0_19identity_decomposerEEE10hipError_tT1_T2_T3_T4_jRjT5_jjP12ihipStream_tbEUlT_E_NS1_11comp_targetILNS1_3genE4ELNS1_11target_archE910ELNS1_3gpuE8ELNS1_3repE0EEENS1_44radix_sort_block_sort_config_static_selectorELNS0_4arch9wavefront6targetE1EEEvSJ_.has_indirect_call, 0
	.section	.AMDGPU.csdata,"",@progbits
; Kernel info:
; codeLenInByte = 0
; TotalNumSgprs: 6
; NumVgprs: 0
; NumAgprs: 0
; TotalNumVgprs: 0
; ScratchSize: 0
; MemoryBound: 0
; FloatMode: 240
; IeeeMode: 1
; LDSByteSize: 0 bytes/workgroup (compile time only)
; SGPRBlocks: 0
; VGPRBlocks: 0
; NumSGPRsForWavesPerEU: 6
; NumVGPRsForWavesPerEU: 1
; AccumOffset: 4
; Occupancy: 8
; WaveLimiterHint : 0
; COMPUTE_PGM_RSRC2:SCRATCH_EN: 0
; COMPUTE_PGM_RSRC2:USER_SGPR: 2
; COMPUTE_PGM_RSRC2:TRAP_HANDLER: 0
; COMPUTE_PGM_RSRC2:TGID_X_EN: 1
; COMPUTE_PGM_RSRC2:TGID_Y_EN: 0
; COMPUTE_PGM_RSRC2:TGID_Z_EN: 0
; COMPUTE_PGM_RSRC2:TIDIG_COMP_CNT: 0
; COMPUTE_PGM_RSRC3_GFX90A:ACCUM_OFFSET: 0
; COMPUTE_PGM_RSRC3_GFX90A:TG_SPLIT: 0
	.section	.text._ZN7rocprim17ROCPRIM_400000_NS6detail17trampoline_kernelINS0_13kernel_configILj256ELj4ELj4294967295EEENS1_37radix_sort_block_sort_config_selectorIbiEEZNS1_21radix_sort_block_sortIS4_Lb0EN6thrust23THRUST_200600_302600_NS6detail15normal_iteratorINS9_10device_ptrIbEEEESE_NSB_INSC_IiEEEESG_NS0_19identity_decomposerEEE10hipError_tT1_T2_T3_T4_jRjT5_jjP12ihipStream_tbEUlT_E_NS1_11comp_targetILNS1_3genE3ELNS1_11target_archE908ELNS1_3gpuE7ELNS1_3repE0EEENS1_44radix_sort_block_sort_config_static_selectorELNS0_4arch9wavefront6targetE1EEEvSJ_,"axG",@progbits,_ZN7rocprim17ROCPRIM_400000_NS6detail17trampoline_kernelINS0_13kernel_configILj256ELj4ELj4294967295EEENS1_37radix_sort_block_sort_config_selectorIbiEEZNS1_21radix_sort_block_sortIS4_Lb0EN6thrust23THRUST_200600_302600_NS6detail15normal_iteratorINS9_10device_ptrIbEEEESE_NSB_INSC_IiEEEESG_NS0_19identity_decomposerEEE10hipError_tT1_T2_T3_T4_jRjT5_jjP12ihipStream_tbEUlT_E_NS1_11comp_targetILNS1_3genE3ELNS1_11target_archE908ELNS1_3gpuE7ELNS1_3repE0EEENS1_44radix_sort_block_sort_config_static_selectorELNS0_4arch9wavefront6targetE1EEEvSJ_,comdat
	.protected	_ZN7rocprim17ROCPRIM_400000_NS6detail17trampoline_kernelINS0_13kernel_configILj256ELj4ELj4294967295EEENS1_37radix_sort_block_sort_config_selectorIbiEEZNS1_21radix_sort_block_sortIS4_Lb0EN6thrust23THRUST_200600_302600_NS6detail15normal_iteratorINS9_10device_ptrIbEEEESE_NSB_INSC_IiEEEESG_NS0_19identity_decomposerEEE10hipError_tT1_T2_T3_T4_jRjT5_jjP12ihipStream_tbEUlT_E_NS1_11comp_targetILNS1_3genE3ELNS1_11target_archE908ELNS1_3gpuE7ELNS1_3repE0EEENS1_44radix_sort_block_sort_config_static_selectorELNS0_4arch9wavefront6targetE1EEEvSJ_ ; -- Begin function _ZN7rocprim17ROCPRIM_400000_NS6detail17trampoline_kernelINS0_13kernel_configILj256ELj4ELj4294967295EEENS1_37radix_sort_block_sort_config_selectorIbiEEZNS1_21radix_sort_block_sortIS4_Lb0EN6thrust23THRUST_200600_302600_NS6detail15normal_iteratorINS9_10device_ptrIbEEEESE_NSB_INSC_IiEEEESG_NS0_19identity_decomposerEEE10hipError_tT1_T2_T3_T4_jRjT5_jjP12ihipStream_tbEUlT_E_NS1_11comp_targetILNS1_3genE3ELNS1_11target_archE908ELNS1_3gpuE7ELNS1_3repE0EEENS1_44radix_sort_block_sort_config_static_selectorELNS0_4arch9wavefront6targetE1EEEvSJ_
	.globl	_ZN7rocprim17ROCPRIM_400000_NS6detail17trampoline_kernelINS0_13kernel_configILj256ELj4ELj4294967295EEENS1_37radix_sort_block_sort_config_selectorIbiEEZNS1_21radix_sort_block_sortIS4_Lb0EN6thrust23THRUST_200600_302600_NS6detail15normal_iteratorINS9_10device_ptrIbEEEESE_NSB_INSC_IiEEEESG_NS0_19identity_decomposerEEE10hipError_tT1_T2_T3_T4_jRjT5_jjP12ihipStream_tbEUlT_E_NS1_11comp_targetILNS1_3genE3ELNS1_11target_archE908ELNS1_3gpuE7ELNS1_3repE0EEENS1_44radix_sort_block_sort_config_static_selectorELNS0_4arch9wavefront6targetE1EEEvSJ_
	.p2align	8
	.type	_ZN7rocprim17ROCPRIM_400000_NS6detail17trampoline_kernelINS0_13kernel_configILj256ELj4ELj4294967295EEENS1_37radix_sort_block_sort_config_selectorIbiEEZNS1_21radix_sort_block_sortIS4_Lb0EN6thrust23THRUST_200600_302600_NS6detail15normal_iteratorINS9_10device_ptrIbEEEESE_NSB_INSC_IiEEEESG_NS0_19identity_decomposerEEE10hipError_tT1_T2_T3_T4_jRjT5_jjP12ihipStream_tbEUlT_E_NS1_11comp_targetILNS1_3genE3ELNS1_11target_archE908ELNS1_3gpuE7ELNS1_3repE0EEENS1_44radix_sort_block_sort_config_static_selectorELNS0_4arch9wavefront6targetE1EEEvSJ_,@function
_ZN7rocprim17ROCPRIM_400000_NS6detail17trampoline_kernelINS0_13kernel_configILj256ELj4ELj4294967295EEENS1_37radix_sort_block_sort_config_selectorIbiEEZNS1_21radix_sort_block_sortIS4_Lb0EN6thrust23THRUST_200600_302600_NS6detail15normal_iteratorINS9_10device_ptrIbEEEESE_NSB_INSC_IiEEEESG_NS0_19identity_decomposerEEE10hipError_tT1_T2_T3_T4_jRjT5_jjP12ihipStream_tbEUlT_E_NS1_11comp_targetILNS1_3genE3ELNS1_11target_archE908ELNS1_3gpuE7ELNS1_3repE0EEENS1_44radix_sort_block_sort_config_static_selectorELNS0_4arch9wavefront6targetE1EEEvSJ_: ; @_ZN7rocprim17ROCPRIM_400000_NS6detail17trampoline_kernelINS0_13kernel_configILj256ELj4ELj4294967295EEENS1_37radix_sort_block_sort_config_selectorIbiEEZNS1_21radix_sort_block_sortIS4_Lb0EN6thrust23THRUST_200600_302600_NS6detail15normal_iteratorINS9_10device_ptrIbEEEESE_NSB_INSC_IiEEEESG_NS0_19identity_decomposerEEE10hipError_tT1_T2_T3_T4_jRjT5_jjP12ihipStream_tbEUlT_E_NS1_11comp_targetILNS1_3genE3ELNS1_11target_archE908ELNS1_3gpuE7ELNS1_3repE0EEENS1_44radix_sort_block_sort_config_static_selectorELNS0_4arch9wavefront6targetE1EEEvSJ_
; %bb.0:
	.section	.rodata,"a",@progbits
	.p2align	6, 0x0
	.amdhsa_kernel _ZN7rocprim17ROCPRIM_400000_NS6detail17trampoline_kernelINS0_13kernel_configILj256ELj4ELj4294967295EEENS1_37radix_sort_block_sort_config_selectorIbiEEZNS1_21radix_sort_block_sortIS4_Lb0EN6thrust23THRUST_200600_302600_NS6detail15normal_iteratorINS9_10device_ptrIbEEEESE_NSB_INSC_IiEEEESG_NS0_19identity_decomposerEEE10hipError_tT1_T2_T3_T4_jRjT5_jjP12ihipStream_tbEUlT_E_NS1_11comp_targetILNS1_3genE3ELNS1_11target_archE908ELNS1_3gpuE7ELNS1_3repE0EEENS1_44radix_sort_block_sort_config_static_selectorELNS0_4arch9wavefront6targetE1EEEvSJ_
		.amdhsa_group_segment_fixed_size 0
		.amdhsa_private_segment_fixed_size 0
		.amdhsa_kernarg_size 48
		.amdhsa_user_sgpr_count 2
		.amdhsa_user_sgpr_dispatch_ptr 0
		.amdhsa_user_sgpr_queue_ptr 0
		.amdhsa_user_sgpr_kernarg_segment_ptr 1
		.amdhsa_user_sgpr_dispatch_id 0
		.amdhsa_user_sgpr_kernarg_preload_length 0
		.amdhsa_user_sgpr_kernarg_preload_offset 0
		.amdhsa_user_sgpr_private_segment_size 0
		.amdhsa_uses_dynamic_stack 0
		.amdhsa_enable_private_segment 0
		.amdhsa_system_sgpr_workgroup_id_x 1
		.amdhsa_system_sgpr_workgroup_id_y 0
		.amdhsa_system_sgpr_workgroup_id_z 0
		.amdhsa_system_sgpr_workgroup_info 0
		.amdhsa_system_vgpr_workitem_id 0
		.amdhsa_next_free_vgpr 1
		.amdhsa_next_free_sgpr 0
		.amdhsa_accum_offset 4
		.amdhsa_reserve_vcc 0
		.amdhsa_float_round_mode_32 0
		.amdhsa_float_round_mode_16_64 0
		.amdhsa_float_denorm_mode_32 3
		.amdhsa_float_denorm_mode_16_64 3
		.amdhsa_dx10_clamp 1
		.amdhsa_ieee_mode 1
		.amdhsa_fp16_overflow 0
		.amdhsa_tg_split 0
		.amdhsa_exception_fp_ieee_invalid_op 0
		.amdhsa_exception_fp_denorm_src 0
		.amdhsa_exception_fp_ieee_div_zero 0
		.amdhsa_exception_fp_ieee_overflow 0
		.amdhsa_exception_fp_ieee_underflow 0
		.amdhsa_exception_fp_ieee_inexact 0
		.amdhsa_exception_int_div_zero 0
	.end_amdhsa_kernel
	.section	.text._ZN7rocprim17ROCPRIM_400000_NS6detail17trampoline_kernelINS0_13kernel_configILj256ELj4ELj4294967295EEENS1_37radix_sort_block_sort_config_selectorIbiEEZNS1_21radix_sort_block_sortIS4_Lb0EN6thrust23THRUST_200600_302600_NS6detail15normal_iteratorINS9_10device_ptrIbEEEESE_NSB_INSC_IiEEEESG_NS0_19identity_decomposerEEE10hipError_tT1_T2_T3_T4_jRjT5_jjP12ihipStream_tbEUlT_E_NS1_11comp_targetILNS1_3genE3ELNS1_11target_archE908ELNS1_3gpuE7ELNS1_3repE0EEENS1_44radix_sort_block_sort_config_static_selectorELNS0_4arch9wavefront6targetE1EEEvSJ_,"axG",@progbits,_ZN7rocprim17ROCPRIM_400000_NS6detail17trampoline_kernelINS0_13kernel_configILj256ELj4ELj4294967295EEENS1_37radix_sort_block_sort_config_selectorIbiEEZNS1_21radix_sort_block_sortIS4_Lb0EN6thrust23THRUST_200600_302600_NS6detail15normal_iteratorINS9_10device_ptrIbEEEESE_NSB_INSC_IiEEEESG_NS0_19identity_decomposerEEE10hipError_tT1_T2_T3_T4_jRjT5_jjP12ihipStream_tbEUlT_E_NS1_11comp_targetILNS1_3genE3ELNS1_11target_archE908ELNS1_3gpuE7ELNS1_3repE0EEENS1_44radix_sort_block_sort_config_static_selectorELNS0_4arch9wavefront6targetE1EEEvSJ_,comdat
.Lfunc_end1894:
	.size	_ZN7rocprim17ROCPRIM_400000_NS6detail17trampoline_kernelINS0_13kernel_configILj256ELj4ELj4294967295EEENS1_37radix_sort_block_sort_config_selectorIbiEEZNS1_21radix_sort_block_sortIS4_Lb0EN6thrust23THRUST_200600_302600_NS6detail15normal_iteratorINS9_10device_ptrIbEEEESE_NSB_INSC_IiEEEESG_NS0_19identity_decomposerEEE10hipError_tT1_T2_T3_T4_jRjT5_jjP12ihipStream_tbEUlT_E_NS1_11comp_targetILNS1_3genE3ELNS1_11target_archE908ELNS1_3gpuE7ELNS1_3repE0EEENS1_44radix_sort_block_sort_config_static_selectorELNS0_4arch9wavefront6targetE1EEEvSJ_, .Lfunc_end1894-_ZN7rocprim17ROCPRIM_400000_NS6detail17trampoline_kernelINS0_13kernel_configILj256ELj4ELj4294967295EEENS1_37radix_sort_block_sort_config_selectorIbiEEZNS1_21radix_sort_block_sortIS4_Lb0EN6thrust23THRUST_200600_302600_NS6detail15normal_iteratorINS9_10device_ptrIbEEEESE_NSB_INSC_IiEEEESG_NS0_19identity_decomposerEEE10hipError_tT1_T2_T3_T4_jRjT5_jjP12ihipStream_tbEUlT_E_NS1_11comp_targetILNS1_3genE3ELNS1_11target_archE908ELNS1_3gpuE7ELNS1_3repE0EEENS1_44radix_sort_block_sort_config_static_selectorELNS0_4arch9wavefront6targetE1EEEvSJ_
                                        ; -- End function
	.set _ZN7rocprim17ROCPRIM_400000_NS6detail17trampoline_kernelINS0_13kernel_configILj256ELj4ELj4294967295EEENS1_37radix_sort_block_sort_config_selectorIbiEEZNS1_21radix_sort_block_sortIS4_Lb0EN6thrust23THRUST_200600_302600_NS6detail15normal_iteratorINS9_10device_ptrIbEEEESE_NSB_INSC_IiEEEESG_NS0_19identity_decomposerEEE10hipError_tT1_T2_T3_T4_jRjT5_jjP12ihipStream_tbEUlT_E_NS1_11comp_targetILNS1_3genE3ELNS1_11target_archE908ELNS1_3gpuE7ELNS1_3repE0EEENS1_44radix_sort_block_sort_config_static_selectorELNS0_4arch9wavefront6targetE1EEEvSJ_.num_vgpr, 0
	.set _ZN7rocprim17ROCPRIM_400000_NS6detail17trampoline_kernelINS0_13kernel_configILj256ELj4ELj4294967295EEENS1_37radix_sort_block_sort_config_selectorIbiEEZNS1_21radix_sort_block_sortIS4_Lb0EN6thrust23THRUST_200600_302600_NS6detail15normal_iteratorINS9_10device_ptrIbEEEESE_NSB_INSC_IiEEEESG_NS0_19identity_decomposerEEE10hipError_tT1_T2_T3_T4_jRjT5_jjP12ihipStream_tbEUlT_E_NS1_11comp_targetILNS1_3genE3ELNS1_11target_archE908ELNS1_3gpuE7ELNS1_3repE0EEENS1_44radix_sort_block_sort_config_static_selectorELNS0_4arch9wavefront6targetE1EEEvSJ_.num_agpr, 0
	.set _ZN7rocprim17ROCPRIM_400000_NS6detail17trampoline_kernelINS0_13kernel_configILj256ELj4ELj4294967295EEENS1_37radix_sort_block_sort_config_selectorIbiEEZNS1_21radix_sort_block_sortIS4_Lb0EN6thrust23THRUST_200600_302600_NS6detail15normal_iteratorINS9_10device_ptrIbEEEESE_NSB_INSC_IiEEEESG_NS0_19identity_decomposerEEE10hipError_tT1_T2_T3_T4_jRjT5_jjP12ihipStream_tbEUlT_E_NS1_11comp_targetILNS1_3genE3ELNS1_11target_archE908ELNS1_3gpuE7ELNS1_3repE0EEENS1_44radix_sort_block_sort_config_static_selectorELNS0_4arch9wavefront6targetE1EEEvSJ_.numbered_sgpr, 0
	.set _ZN7rocprim17ROCPRIM_400000_NS6detail17trampoline_kernelINS0_13kernel_configILj256ELj4ELj4294967295EEENS1_37radix_sort_block_sort_config_selectorIbiEEZNS1_21radix_sort_block_sortIS4_Lb0EN6thrust23THRUST_200600_302600_NS6detail15normal_iteratorINS9_10device_ptrIbEEEESE_NSB_INSC_IiEEEESG_NS0_19identity_decomposerEEE10hipError_tT1_T2_T3_T4_jRjT5_jjP12ihipStream_tbEUlT_E_NS1_11comp_targetILNS1_3genE3ELNS1_11target_archE908ELNS1_3gpuE7ELNS1_3repE0EEENS1_44radix_sort_block_sort_config_static_selectorELNS0_4arch9wavefront6targetE1EEEvSJ_.num_named_barrier, 0
	.set _ZN7rocprim17ROCPRIM_400000_NS6detail17trampoline_kernelINS0_13kernel_configILj256ELj4ELj4294967295EEENS1_37radix_sort_block_sort_config_selectorIbiEEZNS1_21radix_sort_block_sortIS4_Lb0EN6thrust23THRUST_200600_302600_NS6detail15normal_iteratorINS9_10device_ptrIbEEEESE_NSB_INSC_IiEEEESG_NS0_19identity_decomposerEEE10hipError_tT1_T2_T3_T4_jRjT5_jjP12ihipStream_tbEUlT_E_NS1_11comp_targetILNS1_3genE3ELNS1_11target_archE908ELNS1_3gpuE7ELNS1_3repE0EEENS1_44radix_sort_block_sort_config_static_selectorELNS0_4arch9wavefront6targetE1EEEvSJ_.private_seg_size, 0
	.set _ZN7rocprim17ROCPRIM_400000_NS6detail17trampoline_kernelINS0_13kernel_configILj256ELj4ELj4294967295EEENS1_37radix_sort_block_sort_config_selectorIbiEEZNS1_21radix_sort_block_sortIS4_Lb0EN6thrust23THRUST_200600_302600_NS6detail15normal_iteratorINS9_10device_ptrIbEEEESE_NSB_INSC_IiEEEESG_NS0_19identity_decomposerEEE10hipError_tT1_T2_T3_T4_jRjT5_jjP12ihipStream_tbEUlT_E_NS1_11comp_targetILNS1_3genE3ELNS1_11target_archE908ELNS1_3gpuE7ELNS1_3repE0EEENS1_44radix_sort_block_sort_config_static_selectorELNS0_4arch9wavefront6targetE1EEEvSJ_.uses_vcc, 0
	.set _ZN7rocprim17ROCPRIM_400000_NS6detail17trampoline_kernelINS0_13kernel_configILj256ELj4ELj4294967295EEENS1_37radix_sort_block_sort_config_selectorIbiEEZNS1_21radix_sort_block_sortIS4_Lb0EN6thrust23THRUST_200600_302600_NS6detail15normal_iteratorINS9_10device_ptrIbEEEESE_NSB_INSC_IiEEEESG_NS0_19identity_decomposerEEE10hipError_tT1_T2_T3_T4_jRjT5_jjP12ihipStream_tbEUlT_E_NS1_11comp_targetILNS1_3genE3ELNS1_11target_archE908ELNS1_3gpuE7ELNS1_3repE0EEENS1_44radix_sort_block_sort_config_static_selectorELNS0_4arch9wavefront6targetE1EEEvSJ_.uses_flat_scratch, 0
	.set _ZN7rocprim17ROCPRIM_400000_NS6detail17trampoline_kernelINS0_13kernel_configILj256ELj4ELj4294967295EEENS1_37radix_sort_block_sort_config_selectorIbiEEZNS1_21radix_sort_block_sortIS4_Lb0EN6thrust23THRUST_200600_302600_NS6detail15normal_iteratorINS9_10device_ptrIbEEEESE_NSB_INSC_IiEEEESG_NS0_19identity_decomposerEEE10hipError_tT1_T2_T3_T4_jRjT5_jjP12ihipStream_tbEUlT_E_NS1_11comp_targetILNS1_3genE3ELNS1_11target_archE908ELNS1_3gpuE7ELNS1_3repE0EEENS1_44radix_sort_block_sort_config_static_selectorELNS0_4arch9wavefront6targetE1EEEvSJ_.has_dyn_sized_stack, 0
	.set _ZN7rocprim17ROCPRIM_400000_NS6detail17trampoline_kernelINS0_13kernel_configILj256ELj4ELj4294967295EEENS1_37radix_sort_block_sort_config_selectorIbiEEZNS1_21radix_sort_block_sortIS4_Lb0EN6thrust23THRUST_200600_302600_NS6detail15normal_iteratorINS9_10device_ptrIbEEEESE_NSB_INSC_IiEEEESG_NS0_19identity_decomposerEEE10hipError_tT1_T2_T3_T4_jRjT5_jjP12ihipStream_tbEUlT_E_NS1_11comp_targetILNS1_3genE3ELNS1_11target_archE908ELNS1_3gpuE7ELNS1_3repE0EEENS1_44radix_sort_block_sort_config_static_selectorELNS0_4arch9wavefront6targetE1EEEvSJ_.has_recursion, 0
	.set _ZN7rocprim17ROCPRIM_400000_NS6detail17trampoline_kernelINS0_13kernel_configILj256ELj4ELj4294967295EEENS1_37radix_sort_block_sort_config_selectorIbiEEZNS1_21radix_sort_block_sortIS4_Lb0EN6thrust23THRUST_200600_302600_NS6detail15normal_iteratorINS9_10device_ptrIbEEEESE_NSB_INSC_IiEEEESG_NS0_19identity_decomposerEEE10hipError_tT1_T2_T3_T4_jRjT5_jjP12ihipStream_tbEUlT_E_NS1_11comp_targetILNS1_3genE3ELNS1_11target_archE908ELNS1_3gpuE7ELNS1_3repE0EEENS1_44radix_sort_block_sort_config_static_selectorELNS0_4arch9wavefront6targetE1EEEvSJ_.has_indirect_call, 0
	.section	.AMDGPU.csdata,"",@progbits
; Kernel info:
; codeLenInByte = 0
; TotalNumSgprs: 6
; NumVgprs: 0
; NumAgprs: 0
; TotalNumVgprs: 0
; ScratchSize: 0
; MemoryBound: 0
; FloatMode: 240
; IeeeMode: 1
; LDSByteSize: 0 bytes/workgroup (compile time only)
; SGPRBlocks: 0
; VGPRBlocks: 0
; NumSGPRsForWavesPerEU: 6
; NumVGPRsForWavesPerEU: 1
; AccumOffset: 4
; Occupancy: 8
; WaveLimiterHint : 0
; COMPUTE_PGM_RSRC2:SCRATCH_EN: 0
; COMPUTE_PGM_RSRC2:USER_SGPR: 2
; COMPUTE_PGM_RSRC2:TRAP_HANDLER: 0
; COMPUTE_PGM_RSRC2:TGID_X_EN: 1
; COMPUTE_PGM_RSRC2:TGID_Y_EN: 0
; COMPUTE_PGM_RSRC2:TGID_Z_EN: 0
; COMPUTE_PGM_RSRC2:TIDIG_COMP_CNT: 0
; COMPUTE_PGM_RSRC3_GFX90A:ACCUM_OFFSET: 0
; COMPUTE_PGM_RSRC3_GFX90A:TG_SPLIT: 0
	.section	.text._ZN7rocprim17ROCPRIM_400000_NS6detail17trampoline_kernelINS0_13kernel_configILj256ELj4ELj4294967295EEENS1_37radix_sort_block_sort_config_selectorIbiEEZNS1_21radix_sort_block_sortIS4_Lb0EN6thrust23THRUST_200600_302600_NS6detail15normal_iteratorINS9_10device_ptrIbEEEESE_NSB_INSC_IiEEEESG_NS0_19identity_decomposerEEE10hipError_tT1_T2_T3_T4_jRjT5_jjP12ihipStream_tbEUlT_E_NS1_11comp_targetILNS1_3genE2ELNS1_11target_archE906ELNS1_3gpuE6ELNS1_3repE0EEENS1_44radix_sort_block_sort_config_static_selectorELNS0_4arch9wavefront6targetE1EEEvSJ_,"axG",@progbits,_ZN7rocprim17ROCPRIM_400000_NS6detail17trampoline_kernelINS0_13kernel_configILj256ELj4ELj4294967295EEENS1_37radix_sort_block_sort_config_selectorIbiEEZNS1_21radix_sort_block_sortIS4_Lb0EN6thrust23THRUST_200600_302600_NS6detail15normal_iteratorINS9_10device_ptrIbEEEESE_NSB_INSC_IiEEEESG_NS0_19identity_decomposerEEE10hipError_tT1_T2_T3_T4_jRjT5_jjP12ihipStream_tbEUlT_E_NS1_11comp_targetILNS1_3genE2ELNS1_11target_archE906ELNS1_3gpuE6ELNS1_3repE0EEENS1_44radix_sort_block_sort_config_static_selectorELNS0_4arch9wavefront6targetE1EEEvSJ_,comdat
	.protected	_ZN7rocprim17ROCPRIM_400000_NS6detail17trampoline_kernelINS0_13kernel_configILj256ELj4ELj4294967295EEENS1_37radix_sort_block_sort_config_selectorIbiEEZNS1_21radix_sort_block_sortIS4_Lb0EN6thrust23THRUST_200600_302600_NS6detail15normal_iteratorINS9_10device_ptrIbEEEESE_NSB_INSC_IiEEEESG_NS0_19identity_decomposerEEE10hipError_tT1_T2_T3_T4_jRjT5_jjP12ihipStream_tbEUlT_E_NS1_11comp_targetILNS1_3genE2ELNS1_11target_archE906ELNS1_3gpuE6ELNS1_3repE0EEENS1_44radix_sort_block_sort_config_static_selectorELNS0_4arch9wavefront6targetE1EEEvSJ_ ; -- Begin function _ZN7rocprim17ROCPRIM_400000_NS6detail17trampoline_kernelINS0_13kernel_configILj256ELj4ELj4294967295EEENS1_37radix_sort_block_sort_config_selectorIbiEEZNS1_21radix_sort_block_sortIS4_Lb0EN6thrust23THRUST_200600_302600_NS6detail15normal_iteratorINS9_10device_ptrIbEEEESE_NSB_INSC_IiEEEESG_NS0_19identity_decomposerEEE10hipError_tT1_T2_T3_T4_jRjT5_jjP12ihipStream_tbEUlT_E_NS1_11comp_targetILNS1_3genE2ELNS1_11target_archE906ELNS1_3gpuE6ELNS1_3repE0EEENS1_44radix_sort_block_sort_config_static_selectorELNS0_4arch9wavefront6targetE1EEEvSJ_
	.globl	_ZN7rocprim17ROCPRIM_400000_NS6detail17trampoline_kernelINS0_13kernel_configILj256ELj4ELj4294967295EEENS1_37radix_sort_block_sort_config_selectorIbiEEZNS1_21radix_sort_block_sortIS4_Lb0EN6thrust23THRUST_200600_302600_NS6detail15normal_iteratorINS9_10device_ptrIbEEEESE_NSB_INSC_IiEEEESG_NS0_19identity_decomposerEEE10hipError_tT1_T2_T3_T4_jRjT5_jjP12ihipStream_tbEUlT_E_NS1_11comp_targetILNS1_3genE2ELNS1_11target_archE906ELNS1_3gpuE6ELNS1_3repE0EEENS1_44radix_sort_block_sort_config_static_selectorELNS0_4arch9wavefront6targetE1EEEvSJ_
	.p2align	8
	.type	_ZN7rocprim17ROCPRIM_400000_NS6detail17trampoline_kernelINS0_13kernel_configILj256ELj4ELj4294967295EEENS1_37radix_sort_block_sort_config_selectorIbiEEZNS1_21radix_sort_block_sortIS4_Lb0EN6thrust23THRUST_200600_302600_NS6detail15normal_iteratorINS9_10device_ptrIbEEEESE_NSB_INSC_IiEEEESG_NS0_19identity_decomposerEEE10hipError_tT1_T2_T3_T4_jRjT5_jjP12ihipStream_tbEUlT_E_NS1_11comp_targetILNS1_3genE2ELNS1_11target_archE906ELNS1_3gpuE6ELNS1_3repE0EEENS1_44radix_sort_block_sort_config_static_selectorELNS0_4arch9wavefront6targetE1EEEvSJ_,@function
_ZN7rocprim17ROCPRIM_400000_NS6detail17trampoline_kernelINS0_13kernel_configILj256ELj4ELj4294967295EEENS1_37radix_sort_block_sort_config_selectorIbiEEZNS1_21radix_sort_block_sortIS4_Lb0EN6thrust23THRUST_200600_302600_NS6detail15normal_iteratorINS9_10device_ptrIbEEEESE_NSB_INSC_IiEEEESG_NS0_19identity_decomposerEEE10hipError_tT1_T2_T3_T4_jRjT5_jjP12ihipStream_tbEUlT_E_NS1_11comp_targetILNS1_3genE2ELNS1_11target_archE906ELNS1_3gpuE6ELNS1_3repE0EEENS1_44radix_sort_block_sort_config_static_selectorELNS0_4arch9wavefront6targetE1EEEvSJ_: ; @_ZN7rocprim17ROCPRIM_400000_NS6detail17trampoline_kernelINS0_13kernel_configILj256ELj4ELj4294967295EEENS1_37radix_sort_block_sort_config_selectorIbiEEZNS1_21radix_sort_block_sortIS4_Lb0EN6thrust23THRUST_200600_302600_NS6detail15normal_iteratorINS9_10device_ptrIbEEEESE_NSB_INSC_IiEEEESG_NS0_19identity_decomposerEEE10hipError_tT1_T2_T3_T4_jRjT5_jjP12ihipStream_tbEUlT_E_NS1_11comp_targetILNS1_3genE2ELNS1_11target_archE906ELNS1_3gpuE6ELNS1_3repE0EEENS1_44radix_sort_block_sort_config_static_selectorELNS0_4arch9wavefront6targetE1EEEvSJ_
; %bb.0:
	.section	.rodata,"a",@progbits
	.p2align	6, 0x0
	.amdhsa_kernel _ZN7rocprim17ROCPRIM_400000_NS6detail17trampoline_kernelINS0_13kernel_configILj256ELj4ELj4294967295EEENS1_37radix_sort_block_sort_config_selectorIbiEEZNS1_21radix_sort_block_sortIS4_Lb0EN6thrust23THRUST_200600_302600_NS6detail15normal_iteratorINS9_10device_ptrIbEEEESE_NSB_INSC_IiEEEESG_NS0_19identity_decomposerEEE10hipError_tT1_T2_T3_T4_jRjT5_jjP12ihipStream_tbEUlT_E_NS1_11comp_targetILNS1_3genE2ELNS1_11target_archE906ELNS1_3gpuE6ELNS1_3repE0EEENS1_44radix_sort_block_sort_config_static_selectorELNS0_4arch9wavefront6targetE1EEEvSJ_
		.amdhsa_group_segment_fixed_size 0
		.amdhsa_private_segment_fixed_size 0
		.amdhsa_kernarg_size 48
		.amdhsa_user_sgpr_count 2
		.amdhsa_user_sgpr_dispatch_ptr 0
		.amdhsa_user_sgpr_queue_ptr 0
		.amdhsa_user_sgpr_kernarg_segment_ptr 1
		.amdhsa_user_sgpr_dispatch_id 0
		.amdhsa_user_sgpr_kernarg_preload_length 0
		.amdhsa_user_sgpr_kernarg_preload_offset 0
		.amdhsa_user_sgpr_private_segment_size 0
		.amdhsa_uses_dynamic_stack 0
		.amdhsa_enable_private_segment 0
		.amdhsa_system_sgpr_workgroup_id_x 1
		.amdhsa_system_sgpr_workgroup_id_y 0
		.amdhsa_system_sgpr_workgroup_id_z 0
		.amdhsa_system_sgpr_workgroup_info 0
		.amdhsa_system_vgpr_workitem_id 0
		.amdhsa_next_free_vgpr 1
		.amdhsa_next_free_sgpr 0
		.amdhsa_accum_offset 4
		.amdhsa_reserve_vcc 0
		.amdhsa_float_round_mode_32 0
		.amdhsa_float_round_mode_16_64 0
		.amdhsa_float_denorm_mode_32 3
		.amdhsa_float_denorm_mode_16_64 3
		.amdhsa_dx10_clamp 1
		.amdhsa_ieee_mode 1
		.amdhsa_fp16_overflow 0
		.amdhsa_tg_split 0
		.amdhsa_exception_fp_ieee_invalid_op 0
		.amdhsa_exception_fp_denorm_src 0
		.amdhsa_exception_fp_ieee_div_zero 0
		.amdhsa_exception_fp_ieee_overflow 0
		.amdhsa_exception_fp_ieee_underflow 0
		.amdhsa_exception_fp_ieee_inexact 0
		.amdhsa_exception_int_div_zero 0
	.end_amdhsa_kernel
	.section	.text._ZN7rocprim17ROCPRIM_400000_NS6detail17trampoline_kernelINS0_13kernel_configILj256ELj4ELj4294967295EEENS1_37radix_sort_block_sort_config_selectorIbiEEZNS1_21radix_sort_block_sortIS4_Lb0EN6thrust23THRUST_200600_302600_NS6detail15normal_iteratorINS9_10device_ptrIbEEEESE_NSB_INSC_IiEEEESG_NS0_19identity_decomposerEEE10hipError_tT1_T2_T3_T4_jRjT5_jjP12ihipStream_tbEUlT_E_NS1_11comp_targetILNS1_3genE2ELNS1_11target_archE906ELNS1_3gpuE6ELNS1_3repE0EEENS1_44radix_sort_block_sort_config_static_selectorELNS0_4arch9wavefront6targetE1EEEvSJ_,"axG",@progbits,_ZN7rocprim17ROCPRIM_400000_NS6detail17trampoline_kernelINS0_13kernel_configILj256ELj4ELj4294967295EEENS1_37radix_sort_block_sort_config_selectorIbiEEZNS1_21radix_sort_block_sortIS4_Lb0EN6thrust23THRUST_200600_302600_NS6detail15normal_iteratorINS9_10device_ptrIbEEEESE_NSB_INSC_IiEEEESG_NS0_19identity_decomposerEEE10hipError_tT1_T2_T3_T4_jRjT5_jjP12ihipStream_tbEUlT_E_NS1_11comp_targetILNS1_3genE2ELNS1_11target_archE906ELNS1_3gpuE6ELNS1_3repE0EEENS1_44radix_sort_block_sort_config_static_selectorELNS0_4arch9wavefront6targetE1EEEvSJ_,comdat
.Lfunc_end1895:
	.size	_ZN7rocprim17ROCPRIM_400000_NS6detail17trampoline_kernelINS0_13kernel_configILj256ELj4ELj4294967295EEENS1_37radix_sort_block_sort_config_selectorIbiEEZNS1_21radix_sort_block_sortIS4_Lb0EN6thrust23THRUST_200600_302600_NS6detail15normal_iteratorINS9_10device_ptrIbEEEESE_NSB_INSC_IiEEEESG_NS0_19identity_decomposerEEE10hipError_tT1_T2_T3_T4_jRjT5_jjP12ihipStream_tbEUlT_E_NS1_11comp_targetILNS1_3genE2ELNS1_11target_archE906ELNS1_3gpuE6ELNS1_3repE0EEENS1_44radix_sort_block_sort_config_static_selectorELNS0_4arch9wavefront6targetE1EEEvSJ_, .Lfunc_end1895-_ZN7rocprim17ROCPRIM_400000_NS6detail17trampoline_kernelINS0_13kernel_configILj256ELj4ELj4294967295EEENS1_37radix_sort_block_sort_config_selectorIbiEEZNS1_21radix_sort_block_sortIS4_Lb0EN6thrust23THRUST_200600_302600_NS6detail15normal_iteratorINS9_10device_ptrIbEEEESE_NSB_INSC_IiEEEESG_NS0_19identity_decomposerEEE10hipError_tT1_T2_T3_T4_jRjT5_jjP12ihipStream_tbEUlT_E_NS1_11comp_targetILNS1_3genE2ELNS1_11target_archE906ELNS1_3gpuE6ELNS1_3repE0EEENS1_44radix_sort_block_sort_config_static_selectorELNS0_4arch9wavefront6targetE1EEEvSJ_
                                        ; -- End function
	.set _ZN7rocprim17ROCPRIM_400000_NS6detail17trampoline_kernelINS0_13kernel_configILj256ELj4ELj4294967295EEENS1_37radix_sort_block_sort_config_selectorIbiEEZNS1_21radix_sort_block_sortIS4_Lb0EN6thrust23THRUST_200600_302600_NS6detail15normal_iteratorINS9_10device_ptrIbEEEESE_NSB_INSC_IiEEEESG_NS0_19identity_decomposerEEE10hipError_tT1_T2_T3_T4_jRjT5_jjP12ihipStream_tbEUlT_E_NS1_11comp_targetILNS1_3genE2ELNS1_11target_archE906ELNS1_3gpuE6ELNS1_3repE0EEENS1_44radix_sort_block_sort_config_static_selectorELNS0_4arch9wavefront6targetE1EEEvSJ_.num_vgpr, 0
	.set _ZN7rocprim17ROCPRIM_400000_NS6detail17trampoline_kernelINS0_13kernel_configILj256ELj4ELj4294967295EEENS1_37radix_sort_block_sort_config_selectorIbiEEZNS1_21radix_sort_block_sortIS4_Lb0EN6thrust23THRUST_200600_302600_NS6detail15normal_iteratorINS9_10device_ptrIbEEEESE_NSB_INSC_IiEEEESG_NS0_19identity_decomposerEEE10hipError_tT1_T2_T3_T4_jRjT5_jjP12ihipStream_tbEUlT_E_NS1_11comp_targetILNS1_3genE2ELNS1_11target_archE906ELNS1_3gpuE6ELNS1_3repE0EEENS1_44radix_sort_block_sort_config_static_selectorELNS0_4arch9wavefront6targetE1EEEvSJ_.num_agpr, 0
	.set _ZN7rocprim17ROCPRIM_400000_NS6detail17trampoline_kernelINS0_13kernel_configILj256ELj4ELj4294967295EEENS1_37radix_sort_block_sort_config_selectorIbiEEZNS1_21radix_sort_block_sortIS4_Lb0EN6thrust23THRUST_200600_302600_NS6detail15normal_iteratorINS9_10device_ptrIbEEEESE_NSB_INSC_IiEEEESG_NS0_19identity_decomposerEEE10hipError_tT1_T2_T3_T4_jRjT5_jjP12ihipStream_tbEUlT_E_NS1_11comp_targetILNS1_3genE2ELNS1_11target_archE906ELNS1_3gpuE6ELNS1_3repE0EEENS1_44radix_sort_block_sort_config_static_selectorELNS0_4arch9wavefront6targetE1EEEvSJ_.numbered_sgpr, 0
	.set _ZN7rocprim17ROCPRIM_400000_NS6detail17trampoline_kernelINS0_13kernel_configILj256ELj4ELj4294967295EEENS1_37radix_sort_block_sort_config_selectorIbiEEZNS1_21radix_sort_block_sortIS4_Lb0EN6thrust23THRUST_200600_302600_NS6detail15normal_iteratorINS9_10device_ptrIbEEEESE_NSB_INSC_IiEEEESG_NS0_19identity_decomposerEEE10hipError_tT1_T2_T3_T4_jRjT5_jjP12ihipStream_tbEUlT_E_NS1_11comp_targetILNS1_3genE2ELNS1_11target_archE906ELNS1_3gpuE6ELNS1_3repE0EEENS1_44radix_sort_block_sort_config_static_selectorELNS0_4arch9wavefront6targetE1EEEvSJ_.num_named_barrier, 0
	.set _ZN7rocprim17ROCPRIM_400000_NS6detail17trampoline_kernelINS0_13kernel_configILj256ELj4ELj4294967295EEENS1_37radix_sort_block_sort_config_selectorIbiEEZNS1_21radix_sort_block_sortIS4_Lb0EN6thrust23THRUST_200600_302600_NS6detail15normal_iteratorINS9_10device_ptrIbEEEESE_NSB_INSC_IiEEEESG_NS0_19identity_decomposerEEE10hipError_tT1_T2_T3_T4_jRjT5_jjP12ihipStream_tbEUlT_E_NS1_11comp_targetILNS1_3genE2ELNS1_11target_archE906ELNS1_3gpuE6ELNS1_3repE0EEENS1_44radix_sort_block_sort_config_static_selectorELNS0_4arch9wavefront6targetE1EEEvSJ_.private_seg_size, 0
	.set _ZN7rocprim17ROCPRIM_400000_NS6detail17trampoline_kernelINS0_13kernel_configILj256ELj4ELj4294967295EEENS1_37radix_sort_block_sort_config_selectorIbiEEZNS1_21radix_sort_block_sortIS4_Lb0EN6thrust23THRUST_200600_302600_NS6detail15normal_iteratorINS9_10device_ptrIbEEEESE_NSB_INSC_IiEEEESG_NS0_19identity_decomposerEEE10hipError_tT1_T2_T3_T4_jRjT5_jjP12ihipStream_tbEUlT_E_NS1_11comp_targetILNS1_3genE2ELNS1_11target_archE906ELNS1_3gpuE6ELNS1_3repE0EEENS1_44radix_sort_block_sort_config_static_selectorELNS0_4arch9wavefront6targetE1EEEvSJ_.uses_vcc, 0
	.set _ZN7rocprim17ROCPRIM_400000_NS6detail17trampoline_kernelINS0_13kernel_configILj256ELj4ELj4294967295EEENS1_37radix_sort_block_sort_config_selectorIbiEEZNS1_21radix_sort_block_sortIS4_Lb0EN6thrust23THRUST_200600_302600_NS6detail15normal_iteratorINS9_10device_ptrIbEEEESE_NSB_INSC_IiEEEESG_NS0_19identity_decomposerEEE10hipError_tT1_T2_T3_T4_jRjT5_jjP12ihipStream_tbEUlT_E_NS1_11comp_targetILNS1_3genE2ELNS1_11target_archE906ELNS1_3gpuE6ELNS1_3repE0EEENS1_44radix_sort_block_sort_config_static_selectorELNS0_4arch9wavefront6targetE1EEEvSJ_.uses_flat_scratch, 0
	.set _ZN7rocprim17ROCPRIM_400000_NS6detail17trampoline_kernelINS0_13kernel_configILj256ELj4ELj4294967295EEENS1_37radix_sort_block_sort_config_selectorIbiEEZNS1_21radix_sort_block_sortIS4_Lb0EN6thrust23THRUST_200600_302600_NS6detail15normal_iteratorINS9_10device_ptrIbEEEESE_NSB_INSC_IiEEEESG_NS0_19identity_decomposerEEE10hipError_tT1_T2_T3_T4_jRjT5_jjP12ihipStream_tbEUlT_E_NS1_11comp_targetILNS1_3genE2ELNS1_11target_archE906ELNS1_3gpuE6ELNS1_3repE0EEENS1_44radix_sort_block_sort_config_static_selectorELNS0_4arch9wavefront6targetE1EEEvSJ_.has_dyn_sized_stack, 0
	.set _ZN7rocprim17ROCPRIM_400000_NS6detail17trampoline_kernelINS0_13kernel_configILj256ELj4ELj4294967295EEENS1_37radix_sort_block_sort_config_selectorIbiEEZNS1_21radix_sort_block_sortIS4_Lb0EN6thrust23THRUST_200600_302600_NS6detail15normal_iteratorINS9_10device_ptrIbEEEESE_NSB_INSC_IiEEEESG_NS0_19identity_decomposerEEE10hipError_tT1_T2_T3_T4_jRjT5_jjP12ihipStream_tbEUlT_E_NS1_11comp_targetILNS1_3genE2ELNS1_11target_archE906ELNS1_3gpuE6ELNS1_3repE0EEENS1_44radix_sort_block_sort_config_static_selectorELNS0_4arch9wavefront6targetE1EEEvSJ_.has_recursion, 0
	.set _ZN7rocprim17ROCPRIM_400000_NS6detail17trampoline_kernelINS0_13kernel_configILj256ELj4ELj4294967295EEENS1_37radix_sort_block_sort_config_selectorIbiEEZNS1_21radix_sort_block_sortIS4_Lb0EN6thrust23THRUST_200600_302600_NS6detail15normal_iteratorINS9_10device_ptrIbEEEESE_NSB_INSC_IiEEEESG_NS0_19identity_decomposerEEE10hipError_tT1_T2_T3_T4_jRjT5_jjP12ihipStream_tbEUlT_E_NS1_11comp_targetILNS1_3genE2ELNS1_11target_archE906ELNS1_3gpuE6ELNS1_3repE0EEENS1_44radix_sort_block_sort_config_static_selectorELNS0_4arch9wavefront6targetE1EEEvSJ_.has_indirect_call, 0
	.section	.AMDGPU.csdata,"",@progbits
; Kernel info:
; codeLenInByte = 0
; TotalNumSgprs: 6
; NumVgprs: 0
; NumAgprs: 0
; TotalNumVgprs: 0
; ScratchSize: 0
; MemoryBound: 0
; FloatMode: 240
; IeeeMode: 1
; LDSByteSize: 0 bytes/workgroup (compile time only)
; SGPRBlocks: 0
; VGPRBlocks: 0
; NumSGPRsForWavesPerEU: 6
; NumVGPRsForWavesPerEU: 1
; AccumOffset: 4
; Occupancy: 8
; WaveLimiterHint : 0
; COMPUTE_PGM_RSRC2:SCRATCH_EN: 0
; COMPUTE_PGM_RSRC2:USER_SGPR: 2
; COMPUTE_PGM_RSRC2:TRAP_HANDLER: 0
; COMPUTE_PGM_RSRC2:TGID_X_EN: 1
; COMPUTE_PGM_RSRC2:TGID_Y_EN: 0
; COMPUTE_PGM_RSRC2:TGID_Z_EN: 0
; COMPUTE_PGM_RSRC2:TIDIG_COMP_CNT: 0
; COMPUTE_PGM_RSRC3_GFX90A:ACCUM_OFFSET: 0
; COMPUTE_PGM_RSRC3_GFX90A:TG_SPLIT: 0
	.section	.text._ZN7rocprim17ROCPRIM_400000_NS6detail17trampoline_kernelINS0_13kernel_configILj256ELj4ELj4294967295EEENS1_37radix_sort_block_sort_config_selectorIbiEEZNS1_21radix_sort_block_sortIS4_Lb0EN6thrust23THRUST_200600_302600_NS6detail15normal_iteratorINS9_10device_ptrIbEEEESE_NSB_INSC_IiEEEESG_NS0_19identity_decomposerEEE10hipError_tT1_T2_T3_T4_jRjT5_jjP12ihipStream_tbEUlT_E_NS1_11comp_targetILNS1_3genE10ELNS1_11target_archE1201ELNS1_3gpuE5ELNS1_3repE0EEENS1_44radix_sort_block_sort_config_static_selectorELNS0_4arch9wavefront6targetE1EEEvSJ_,"axG",@progbits,_ZN7rocprim17ROCPRIM_400000_NS6detail17trampoline_kernelINS0_13kernel_configILj256ELj4ELj4294967295EEENS1_37radix_sort_block_sort_config_selectorIbiEEZNS1_21radix_sort_block_sortIS4_Lb0EN6thrust23THRUST_200600_302600_NS6detail15normal_iteratorINS9_10device_ptrIbEEEESE_NSB_INSC_IiEEEESG_NS0_19identity_decomposerEEE10hipError_tT1_T2_T3_T4_jRjT5_jjP12ihipStream_tbEUlT_E_NS1_11comp_targetILNS1_3genE10ELNS1_11target_archE1201ELNS1_3gpuE5ELNS1_3repE0EEENS1_44radix_sort_block_sort_config_static_selectorELNS0_4arch9wavefront6targetE1EEEvSJ_,comdat
	.protected	_ZN7rocprim17ROCPRIM_400000_NS6detail17trampoline_kernelINS0_13kernel_configILj256ELj4ELj4294967295EEENS1_37radix_sort_block_sort_config_selectorIbiEEZNS1_21radix_sort_block_sortIS4_Lb0EN6thrust23THRUST_200600_302600_NS6detail15normal_iteratorINS9_10device_ptrIbEEEESE_NSB_INSC_IiEEEESG_NS0_19identity_decomposerEEE10hipError_tT1_T2_T3_T4_jRjT5_jjP12ihipStream_tbEUlT_E_NS1_11comp_targetILNS1_3genE10ELNS1_11target_archE1201ELNS1_3gpuE5ELNS1_3repE0EEENS1_44radix_sort_block_sort_config_static_selectorELNS0_4arch9wavefront6targetE1EEEvSJ_ ; -- Begin function _ZN7rocprim17ROCPRIM_400000_NS6detail17trampoline_kernelINS0_13kernel_configILj256ELj4ELj4294967295EEENS1_37radix_sort_block_sort_config_selectorIbiEEZNS1_21radix_sort_block_sortIS4_Lb0EN6thrust23THRUST_200600_302600_NS6detail15normal_iteratorINS9_10device_ptrIbEEEESE_NSB_INSC_IiEEEESG_NS0_19identity_decomposerEEE10hipError_tT1_T2_T3_T4_jRjT5_jjP12ihipStream_tbEUlT_E_NS1_11comp_targetILNS1_3genE10ELNS1_11target_archE1201ELNS1_3gpuE5ELNS1_3repE0EEENS1_44radix_sort_block_sort_config_static_selectorELNS0_4arch9wavefront6targetE1EEEvSJ_
	.globl	_ZN7rocprim17ROCPRIM_400000_NS6detail17trampoline_kernelINS0_13kernel_configILj256ELj4ELj4294967295EEENS1_37radix_sort_block_sort_config_selectorIbiEEZNS1_21radix_sort_block_sortIS4_Lb0EN6thrust23THRUST_200600_302600_NS6detail15normal_iteratorINS9_10device_ptrIbEEEESE_NSB_INSC_IiEEEESG_NS0_19identity_decomposerEEE10hipError_tT1_T2_T3_T4_jRjT5_jjP12ihipStream_tbEUlT_E_NS1_11comp_targetILNS1_3genE10ELNS1_11target_archE1201ELNS1_3gpuE5ELNS1_3repE0EEENS1_44radix_sort_block_sort_config_static_selectorELNS0_4arch9wavefront6targetE1EEEvSJ_
	.p2align	8
	.type	_ZN7rocprim17ROCPRIM_400000_NS6detail17trampoline_kernelINS0_13kernel_configILj256ELj4ELj4294967295EEENS1_37radix_sort_block_sort_config_selectorIbiEEZNS1_21radix_sort_block_sortIS4_Lb0EN6thrust23THRUST_200600_302600_NS6detail15normal_iteratorINS9_10device_ptrIbEEEESE_NSB_INSC_IiEEEESG_NS0_19identity_decomposerEEE10hipError_tT1_T2_T3_T4_jRjT5_jjP12ihipStream_tbEUlT_E_NS1_11comp_targetILNS1_3genE10ELNS1_11target_archE1201ELNS1_3gpuE5ELNS1_3repE0EEENS1_44radix_sort_block_sort_config_static_selectorELNS0_4arch9wavefront6targetE1EEEvSJ_,@function
_ZN7rocprim17ROCPRIM_400000_NS6detail17trampoline_kernelINS0_13kernel_configILj256ELj4ELj4294967295EEENS1_37radix_sort_block_sort_config_selectorIbiEEZNS1_21radix_sort_block_sortIS4_Lb0EN6thrust23THRUST_200600_302600_NS6detail15normal_iteratorINS9_10device_ptrIbEEEESE_NSB_INSC_IiEEEESG_NS0_19identity_decomposerEEE10hipError_tT1_T2_T3_T4_jRjT5_jjP12ihipStream_tbEUlT_E_NS1_11comp_targetILNS1_3genE10ELNS1_11target_archE1201ELNS1_3gpuE5ELNS1_3repE0EEENS1_44radix_sort_block_sort_config_static_selectorELNS0_4arch9wavefront6targetE1EEEvSJ_: ; @_ZN7rocprim17ROCPRIM_400000_NS6detail17trampoline_kernelINS0_13kernel_configILj256ELj4ELj4294967295EEENS1_37radix_sort_block_sort_config_selectorIbiEEZNS1_21radix_sort_block_sortIS4_Lb0EN6thrust23THRUST_200600_302600_NS6detail15normal_iteratorINS9_10device_ptrIbEEEESE_NSB_INSC_IiEEEESG_NS0_19identity_decomposerEEE10hipError_tT1_T2_T3_T4_jRjT5_jjP12ihipStream_tbEUlT_E_NS1_11comp_targetILNS1_3genE10ELNS1_11target_archE1201ELNS1_3gpuE5ELNS1_3repE0EEENS1_44radix_sort_block_sort_config_static_selectorELNS0_4arch9wavefront6targetE1EEEvSJ_
; %bb.0:
	.section	.rodata,"a",@progbits
	.p2align	6, 0x0
	.amdhsa_kernel _ZN7rocprim17ROCPRIM_400000_NS6detail17trampoline_kernelINS0_13kernel_configILj256ELj4ELj4294967295EEENS1_37radix_sort_block_sort_config_selectorIbiEEZNS1_21radix_sort_block_sortIS4_Lb0EN6thrust23THRUST_200600_302600_NS6detail15normal_iteratorINS9_10device_ptrIbEEEESE_NSB_INSC_IiEEEESG_NS0_19identity_decomposerEEE10hipError_tT1_T2_T3_T4_jRjT5_jjP12ihipStream_tbEUlT_E_NS1_11comp_targetILNS1_3genE10ELNS1_11target_archE1201ELNS1_3gpuE5ELNS1_3repE0EEENS1_44radix_sort_block_sort_config_static_selectorELNS0_4arch9wavefront6targetE1EEEvSJ_
		.amdhsa_group_segment_fixed_size 0
		.amdhsa_private_segment_fixed_size 0
		.amdhsa_kernarg_size 48
		.amdhsa_user_sgpr_count 2
		.amdhsa_user_sgpr_dispatch_ptr 0
		.amdhsa_user_sgpr_queue_ptr 0
		.amdhsa_user_sgpr_kernarg_segment_ptr 1
		.amdhsa_user_sgpr_dispatch_id 0
		.amdhsa_user_sgpr_kernarg_preload_length 0
		.amdhsa_user_sgpr_kernarg_preload_offset 0
		.amdhsa_user_sgpr_private_segment_size 0
		.amdhsa_uses_dynamic_stack 0
		.amdhsa_enable_private_segment 0
		.amdhsa_system_sgpr_workgroup_id_x 1
		.amdhsa_system_sgpr_workgroup_id_y 0
		.amdhsa_system_sgpr_workgroup_id_z 0
		.amdhsa_system_sgpr_workgroup_info 0
		.amdhsa_system_vgpr_workitem_id 0
		.amdhsa_next_free_vgpr 1
		.amdhsa_next_free_sgpr 0
		.amdhsa_accum_offset 4
		.amdhsa_reserve_vcc 0
		.amdhsa_float_round_mode_32 0
		.amdhsa_float_round_mode_16_64 0
		.amdhsa_float_denorm_mode_32 3
		.amdhsa_float_denorm_mode_16_64 3
		.amdhsa_dx10_clamp 1
		.amdhsa_ieee_mode 1
		.amdhsa_fp16_overflow 0
		.amdhsa_tg_split 0
		.amdhsa_exception_fp_ieee_invalid_op 0
		.amdhsa_exception_fp_denorm_src 0
		.amdhsa_exception_fp_ieee_div_zero 0
		.amdhsa_exception_fp_ieee_overflow 0
		.amdhsa_exception_fp_ieee_underflow 0
		.amdhsa_exception_fp_ieee_inexact 0
		.amdhsa_exception_int_div_zero 0
	.end_amdhsa_kernel
	.section	.text._ZN7rocprim17ROCPRIM_400000_NS6detail17trampoline_kernelINS0_13kernel_configILj256ELj4ELj4294967295EEENS1_37radix_sort_block_sort_config_selectorIbiEEZNS1_21radix_sort_block_sortIS4_Lb0EN6thrust23THRUST_200600_302600_NS6detail15normal_iteratorINS9_10device_ptrIbEEEESE_NSB_INSC_IiEEEESG_NS0_19identity_decomposerEEE10hipError_tT1_T2_T3_T4_jRjT5_jjP12ihipStream_tbEUlT_E_NS1_11comp_targetILNS1_3genE10ELNS1_11target_archE1201ELNS1_3gpuE5ELNS1_3repE0EEENS1_44radix_sort_block_sort_config_static_selectorELNS0_4arch9wavefront6targetE1EEEvSJ_,"axG",@progbits,_ZN7rocprim17ROCPRIM_400000_NS6detail17trampoline_kernelINS0_13kernel_configILj256ELj4ELj4294967295EEENS1_37radix_sort_block_sort_config_selectorIbiEEZNS1_21radix_sort_block_sortIS4_Lb0EN6thrust23THRUST_200600_302600_NS6detail15normal_iteratorINS9_10device_ptrIbEEEESE_NSB_INSC_IiEEEESG_NS0_19identity_decomposerEEE10hipError_tT1_T2_T3_T4_jRjT5_jjP12ihipStream_tbEUlT_E_NS1_11comp_targetILNS1_3genE10ELNS1_11target_archE1201ELNS1_3gpuE5ELNS1_3repE0EEENS1_44radix_sort_block_sort_config_static_selectorELNS0_4arch9wavefront6targetE1EEEvSJ_,comdat
.Lfunc_end1896:
	.size	_ZN7rocprim17ROCPRIM_400000_NS6detail17trampoline_kernelINS0_13kernel_configILj256ELj4ELj4294967295EEENS1_37radix_sort_block_sort_config_selectorIbiEEZNS1_21radix_sort_block_sortIS4_Lb0EN6thrust23THRUST_200600_302600_NS6detail15normal_iteratorINS9_10device_ptrIbEEEESE_NSB_INSC_IiEEEESG_NS0_19identity_decomposerEEE10hipError_tT1_T2_T3_T4_jRjT5_jjP12ihipStream_tbEUlT_E_NS1_11comp_targetILNS1_3genE10ELNS1_11target_archE1201ELNS1_3gpuE5ELNS1_3repE0EEENS1_44radix_sort_block_sort_config_static_selectorELNS0_4arch9wavefront6targetE1EEEvSJ_, .Lfunc_end1896-_ZN7rocprim17ROCPRIM_400000_NS6detail17trampoline_kernelINS0_13kernel_configILj256ELj4ELj4294967295EEENS1_37radix_sort_block_sort_config_selectorIbiEEZNS1_21radix_sort_block_sortIS4_Lb0EN6thrust23THRUST_200600_302600_NS6detail15normal_iteratorINS9_10device_ptrIbEEEESE_NSB_INSC_IiEEEESG_NS0_19identity_decomposerEEE10hipError_tT1_T2_T3_T4_jRjT5_jjP12ihipStream_tbEUlT_E_NS1_11comp_targetILNS1_3genE10ELNS1_11target_archE1201ELNS1_3gpuE5ELNS1_3repE0EEENS1_44radix_sort_block_sort_config_static_selectorELNS0_4arch9wavefront6targetE1EEEvSJ_
                                        ; -- End function
	.set _ZN7rocprim17ROCPRIM_400000_NS6detail17trampoline_kernelINS0_13kernel_configILj256ELj4ELj4294967295EEENS1_37radix_sort_block_sort_config_selectorIbiEEZNS1_21radix_sort_block_sortIS4_Lb0EN6thrust23THRUST_200600_302600_NS6detail15normal_iteratorINS9_10device_ptrIbEEEESE_NSB_INSC_IiEEEESG_NS0_19identity_decomposerEEE10hipError_tT1_T2_T3_T4_jRjT5_jjP12ihipStream_tbEUlT_E_NS1_11comp_targetILNS1_3genE10ELNS1_11target_archE1201ELNS1_3gpuE5ELNS1_3repE0EEENS1_44radix_sort_block_sort_config_static_selectorELNS0_4arch9wavefront6targetE1EEEvSJ_.num_vgpr, 0
	.set _ZN7rocprim17ROCPRIM_400000_NS6detail17trampoline_kernelINS0_13kernel_configILj256ELj4ELj4294967295EEENS1_37radix_sort_block_sort_config_selectorIbiEEZNS1_21radix_sort_block_sortIS4_Lb0EN6thrust23THRUST_200600_302600_NS6detail15normal_iteratorINS9_10device_ptrIbEEEESE_NSB_INSC_IiEEEESG_NS0_19identity_decomposerEEE10hipError_tT1_T2_T3_T4_jRjT5_jjP12ihipStream_tbEUlT_E_NS1_11comp_targetILNS1_3genE10ELNS1_11target_archE1201ELNS1_3gpuE5ELNS1_3repE0EEENS1_44radix_sort_block_sort_config_static_selectorELNS0_4arch9wavefront6targetE1EEEvSJ_.num_agpr, 0
	.set _ZN7rocprim17ROCPRIM_400000_NS6detail17trampoline_kernelINS0_13kernel_configILj256ELj4ELj4294967295EEENS1_37radix_sort_block_sort_config_selectorIbiEEZNS1_21radix_sort_block_sortIS4_Lb0EN6thrust23THRUST_200600_302600_NS6detail15normal_iteratorINS9_10device_ptrIbEEEESE_NSB_INSC_IiEEEESG_NS0_19identity_decomposerEEE10hipError_tT1_T2_T3_T4_jRjT5_jjP12ihipStream_tbEUlT_E_NS1_11comp_targetILNS1_3genE10ELNS1_11target_archE1201ELNS1_3gpuE5ELNS1_3repE0EEENS1_44radix_sort_block_sort_config_static_selectorELNS0_4arch9wavefront6targetE1EEEvSJ_.numbered_sgpr, 0
	.set _ZN7rocprim17ROCPRIM_400000_NS6detail17trampoline_kernelINS0_13kernel_configILj256ELj4ELj4294967295EEENS1_37radix_sort_block_sort_config_selectorIbiEEZNS1_21radix_sort_block_sortIS4_Lb0EN6thrust23THRUST_200600_302600_NS6detail15normal_iteratorINS9_10device_ptrIbEEEESE_NSB_INSC_IiEEEESG_NS0_19identity_decomposerEEE10hipError_tT1_T2_T3_T4_jRjT5_jjP12ihipStream_tbEUlT_E_NS1_11comp_targetILNS1_3genE10ELNS1_11target_archE1201ELNS1_3gpuE5ELNS1_3repE0EEENS1_44radix_sort_block_sort_config_static_selectorELNS0_4arch9wavefront6targetE1EEEvSJ_.num_named_barrier, 0
	.set _ZN7rocprim17ROCPRIM_400000_NS6detail17trampoline_kernelINS0_13kernel_configILj256ELj4ELj4294967295EEENS1_37radix_sort_block_sort_config_selectorIbiEEZNS1_21radix_sort_block_sortIS4_Lb0EN6thrust23THRUST_200600_302600_NS6detail15normal_iteratorINS9_10device_ptrIbEEEESE_NSB_INSC_IiEEEESG_NS0_19identity_decomposerEEE10hipError_tT1_T2_T3_T4_jRjT5_jjP12ihipStream_tbEUlT_E_NS1_11comp_targetILNS1_3genE10ELNS1_11target_archE1201ELNS1_3gpuE5ELNS1_3repE0EEENS1_44radix_sort_block_sort_config_static_selectorELNS0_4arch9wavefront6targetE1EEEvSJ_.private_seg_size, 0
	.set _ZN7rocprim17ROCPRIM_400000_NS6detail17trampoline_kernelINS0_13kernel_configILj256ELj4ELj4294967295EEENS1_37radix_sort_block_sort_config_selectorIbiEEZNS1_21radix_sort_block_sortIS4_Lb0EN6thrust23THRUST_200600_302600_NS6detail15normal_iteratorINS9_10device_ptrIbEEEESE_NSB_INSC_IiEEEESG_NS0_19identity_decomposerEEE10hipError_tT1_T2_T3_T4_jRjT5_jjP12ihipStream_tbEUlT_E_NS1_11comp_targetILNS1_3genE10ELNS1_11target_archE1201ELNS1_3gpuE5ELNS1_3repE0EEENS1_44radix_sort_block_sort_config_static_selectorELNS0_4arch9wavefront6targetE1EEEvSJ_.uses_vcc, 0
	.set _ZN7rocprim17ROCPRIM_400000_NS6detail17trampoline_kernelINS0_13kernel_configILj256ELj4ELj4294967295EEENS1_37radix_sort_block_sort_config_selectorIbiEEZNS1_21radix_sort_block_sortIS4_Lb0EN6thrust23THRUST_200600_302600_NS6detail15normal_iteratorINS9_10device_ptrIbEEEESE_NSB_INSC_IiEEEESG_NS0_19identity_decomposerEEE10hipError_tT1_T2_T3_T4_jRjT5_jjP12ihipStream_tbEUlT_E_NS1_11comp_targetILNS1_3genE10ELNS1_11target_archE1201ELNS1_3gpuE5ELNS1_3repE0EEENS1_44radix_sort_block_sort_config_static_selectorELNS0_4arch9wavefront6targetE1EEEvSJ_.uses_flat_scratch, 0
	.set _ZN7rocprim17ROCPRIM_400000_NS6detail17trampoline_kernelINS0_13kernel_configILj256ELj4ELj4294967295EEENS1_37radix_sort_block_sort_config_selectorIbiEEZNS1_21radix_sort_block_sortIS4_Lb0EN6thrust23THRUST_200600_302600_NS6detail15normal_iteratorINS9_10device_ptrIbEEEESE_NSB_INSC_IiEEEESG_NS0_19identity_decomposerEEE10hipError_tT1_T2_T3_T4_jRjT5_jjP12ihipStream_tbEUlT_E_NS1_11comp_targetILNS1_3genE10ELNS1_11target_archE1201ELNS1_3gpuE5ELNS1_3repE0EEENS1_44radix_sort_block_sort_config_static_selectorELNS0_4arch9wavefront6targetE1EEEvSJ_.has_dyn_sized_stack, 0
	.set _ZN7rocprim17ROCPRIM_400000_NS6detail17trampoline_kernelINS0_13kernel_configILj256ELj4ELj4294967295EEENS1_37radix_sort_block_sort_config_selectorIbiEEZNS1_21radix_sort_block_sortIS4_Lb0EN6thrust23THRUST_200600_302600_NS6detail15normal_iteratorINS9_10device_ptrIbEEEESE_NSB_INSC_IiEEEESG_NS0_19identity_decomposerEEE10hipError_tT1_T2_T3_T4_jRjT5_jjP12ihipStream_tbEUlT_E_NS1_11comp_targetILNS1_3genE10ELNS1_11target_archE1201ELNS1_3gpuE5ELNS1_3repE0EEENS1_44radix_sort_block_sort_config_static_selectorELNS0_4arch9wavefront6targetE1EEEvSJ_.has_recursion, 0
	.set _ZN7rocprim17ROCPRIM_400000_NS6detail17trampoline_kernelINS0_13kernel_configILj256ELj4ELj4294967295EEENS1_37radix_sort_block_sort_config_selectorIbiEEZNS1_21radix_sort_block_sortIS4_Lb0EN6thrust23THRUST_200600_302600_NS6detail15normal_iteratorINS9_10device_ptrIbEEEESE_NSB_INSC_IiEEEESG_NS0_19identity_decomposerEEE10hipError_tT1_T2_T3_T4_jRjT5_jjP12ihipStream_tbEUlT_E_NS1_11comp_targetILNS1_3genE10ELNS1_11target_archE1201ELNS1_3gpuE5ELNS1_3repE0EEENS1_44radix_sort_block_sort_config_static_selectorELNS0_4arch9wavefront6targetE1EEEvSJ_.has_indirect_call, 0
	.section	.AMDGPU.csdata,"",@progbits
; Kernel info:
; codeLenInByte = 0
; TotalNumSgprs: 6
; NumVgprs: 0
; NumAgprs: 0
; TotalNumVgprs: 0
; ScratchSize: 0
; MemoryBound: 0
; FloatMode: 240
; IeeeMode: 1
; LDSByteSize: 0 bytes/workgroup (compile time only)
; SGPRBlocks: 0
; VGPRBlocks: 0
; NumSGPRsForWavesPerEU: 6
; NumVGPRsForWavesPerEU: 1
; AccumOffset: 4
; Occupancy: 8
; WaveLimiterHint : 0
; COMPUTE_PGM_RSRC2:SCRATCH_EN: 0
; COMPUTE_PGM_RSRC2:USER_SGPR: 2
; COMPUTE_PGM_RSRC2:TRAP_HANDLER: 0
; COMPUTE_PGM_RSRC2:TGID_X_EN: 1
; COMPUTE_PGM_RSRC2:TGID_Y_EN: 0
; COMPUTE_PGM_RSRC2:TGID_Z_EN: 0
; COMPUTE_PGM_RSRC2:TIDIG_COMP_CNT: 0
; COMPUTE_PGM_RSRC3_GFX90A:ACCUM_OFFSET: 0
; COMPUTE_PGM_RSRC3_GFX90A:TG_SPLIT: 0
	.section	.text._ZN7rocprim17ROCPRIM_400000_NS6detail17trampoline_kernelINS0_13kernel_configILj256ELj4ELj4294967295EEENS1_37radix_sort_block_sort_config_selectorIbiEEZNS1_21radix_sort_block_sortIS4_Lb0EN6thrust23THRUST_200600_302600_NS6detail15normal_iteratorINS9_10device_ptrIbEEEESE_NSB_INSC_IiEEEESG_NS0_19identity_decomposerEEE10hipError_tT1_T2_T3_T4_jRjT5_jjP12ihipStream_tbEUlT_E_NS1_11comp_targetILNS1_3genE10ELNS1_11target_archE1200ELNS1_3gpuE4ELNS1_3repE0EEENS1_44radix_sort_block_sort_config_static_selectorELNS0_4arch9wavefront6targetE1EEEvSJ_,"axG",@progbits,_ZN7rocprim17ROCPRIM_400000_NS6detail17trampoline_kernelINS0_13kernel_configILj256ELj4ELj4294967295EEENS1_37radix_sort_block_sort_config_selectorIbiEEZNS1_21radix_sort_block_sortIS4_Lb0EN6thrust23THRUST_200600_302600_NS6detail15normal_iteratorINS9_10device_ptrIbEEEESE_NSB_INSC_IiEEEESG_NS0_19identity_decomposerEEE10hipError_tT1_T2_T3_T4_jRjT5_jjP12ihipStream_tbEUlT_E_NS1_11comp_targetILNS1_3genE10ELNS1_11target_archE1200ELNS1_3gpuE4ELNS1_3repE0EEENS1_44radix_sort_block_sort_config_static_selectorELNS0_4arch9wavefront6targetE1EEEvSJ_,comdat
	.protected	_ZN7rocprim17ROCPRIM_400000_NS6detail17trampoline_kernelINS0_13kernel_configILj256ELj4ELj4294967295EEENS1_37radix_sort_block_sort_config_selectorIbiEEZNS1_21radix_sort_block_sortIS4_Lb0EN6thrust23THRUST_200600_302600_NS6detail15normal_iteratorINS9_10device_ptrIbEEEESE_NSB_INSC_IiEEEESG_NS0_19identity_decomposerEEE10hipError_tT1_T2_T3_T4_jRjT5_jjP12ihipStream_tbEUlT_E_NS1_11comp_targetILNS1_3genE10ELNS1_11target_archE1200ELNS1_3gpuE4ELNS1_3repE0EEENS1_44radix_sort_block_sort_config_static_selectorELNS0_4arch9wavefront6targetE1EEEvSJ_ ; -- Begin function _ZN7rocprim17ROCPRIM_400000_NS6detail17trampoline_kernelINS0_13kernel_configILj256ELj4ELj4294967295EEENS1_37radix_sort_block_sort_config_selectorIbiEEZNS1_21radix_sort_block_sortIS4_Lb0EN6thrust23THRUST_200600_302600_NS6detail15normal_iteratorINS9_10device_ptrIbEEEESE_NSB_INSC_IiEEEESG_NS0_19identity_decomposerEEE10hipError_tT1_T2_T3_T4_jRjT5_jjP12ihipStream_tbEUlT_E_NS1_11comp_targetILNS1_3genE10ELNS1_11target_archE1200ELNS1_3gpuE4ELNS1_3repE0EEENS1_44radix_sort_block_sort_config_static_selectorELNS0_4arch9wavefront6targetE1EEEvSJ_
	.globl	_ZN7rocprim17ROCPRIM_400000_NS6detail17trampoline_kernelINS0_13kernel_configILj256ELj4ELj4294967295EEENS1_37radix_sort_block_sort_config_selectorIbiEEZNS1_21radix_sort_block_sortIS4_Lb0EN6thrust23THRUST_200600_302600_NS6detail15normal_iteratorINS9_10device_ptrIbEEEESE_NSB_INSC_IiEEEESG_NS0_19identity_decomposerEEE10hipError_tT1_T2_T3_T4_jRjT5_jjP12ihipStream_tbEUlT_E_NS1_11comp_targetILNS1_3genE10ELNS1_11target_archE1200ELNS1_3gpuE4ELNS1_3repE0EEENS1_44radix_sort_block_sort_config_static_selectorELNS0_4arch9wavefront6targetE1EEEvSJ_
	.p2align	8
	.type	_ZN7rocprim17ROCPRIM_400000_NS6detail17trampoline_kernelINS0_13kernel_configILj256ELj4ELj4294967295EEENS1_37radix_sort_block_sort_config_selectorIbiEEZNS1_21radix_sort_block_sortIS4_Lb0EN6thrust23THRUST_200600_302600_NS6detail15normal_iteratorINS9_10device_ptrIbEEEESE_NSB_INSC_IiEEEESG_NS0_19identity_decomposerEEE10hipError_tT1_T2_T3_T4_jRjT5_jjP12ihipStream_tbEUlT_E_NS1_11comp_targetILNS1_3genE10ELNS1_11target_archE1200ELNS1_3gpuE4ELNS1_3repE0EEENS1_44radix_sort_block_sort_config_static_selectorELNS0_4arch9wavefront6targetE1EEEvSJ_,@function
_ZN7rocprim17ROCPRIM_400000_NS6detail17trampoline_kernelINS0_13kernel_configILj256ELj4ELj4294967295EEENS1_37radix_sort_block_sort_config_selectorIbiEEZNS1_21radix_sort_block_sortIS4_Lb0EN6thrust23THRUST_200600_302600_NS6detail15normal_iteratorINS9_10device_ptrIbEEEESE_NSB_INSC_IiEEEESG_NS0_19identity_decomposerEEE10hipError_tT1_T2_T3_T4_jRjT5_jjP12ihipStream_tbEUlT_E_NS1_11comp_targetILNS1_3genE10ELNS1_11target_archE1200ELNS1_3gpuE4ELNS1_3repE0EEENS1_44radix_sort_block_sort_config_static_selectorELNS0_4arch9wavefront6targetE1EEEvSJ_: ; @_ZN7rocprim17ROCPRIM_400000_NS6detail17trampoline_kernelINS0_13kernel_configILj256ELj4ELj4294967295EEENS1_37radix_sort_block_sort_config_selectorIbiEEZNS1_21radix_sort_block_sortIS4_Lb0EN6thrust23THRUST_200600_302600_NS6detail15normal_iteratorINS9_10device_ptrIbEEEESE_NSB_INSC_IiEEEESG_NS0_19identity_decomposerEEE10hipError_tT1_T2_T3_T4_jRjT5_jjP12ihipStream_tbEUlT_E_NS1_11comp_targetILNS1_3genE10ELNS1_11target_archE1200ELNS1_3gpuE4ELNS1_3repE0EEENS1_44radix_sort_block_sort_config_static_selectorELNS0_4arch9wavefront6targetE1EEEvSJ_
; %bb.0:
	.section	.rodata,"a",@progbits
	.p2align	6, 0x0
	.amdhsa_kernel _ZN7rocprim17ROCPRIM_400000_NS6detail17trampoline_kernelINS0_13kernel_configILj256ELj4ELj4294967295EEENS1_37radix_sort_block_sort_config_selectorIbiEEZNS1_21radix_sort_block_sortIS4_Lb0EN6thrust23THRUST_200600_302600_NS6detail15normal_iteratorINS9_10device_ptrIbEEEESE_NSB_INSC_IiEEEESG_NS0_19identity_decomposerEEE10hipError_tT1_T2_T3_T4_jRjT5_jjP12ihipStream_tbEUlT_E_NS1_11comp_targetILNS1_3genE10ELNS1_11target_archE1200ELNS1_3gpuE4ELNS1_3repE0EEENS1_44radix_sort_block_sort_config_static_selectorELNS0_4arch9wavefront6targetE1EEEvSJ_
		.amdhsa_group_segment_fixed_size 0
		.amdhsa_private_segment_fixed_size 0
		.amdhsa_kernarg_size 48
		.amdhsa_user_sgpr_count 2
		.amdhsa_user_sgpr_dispatch_ptr 0
		.amdhsa_user_sgpr_queue_ptr 0
		.amdhsa_user_sgpr_kernarg_segment_ptr 1
		.amdhsa_user_sgpr_dispatch_id 0
		.amdhsa_user_sgpr_kernarg_preload_length 0
		.amdhsa_user_sgpr_kernarg_preload_offset 0
		.amdhsa_user_sgpr_private_segment_size 0
		.amdhsa_uses_dynamic_stack 0
		.amdhsa_enable_private_segment 0
		.amdhsa_system_sgpr_workgroup_id_x 1
		.amdhsa_system_sgpr_workgroup_id_y 0
		.amdhsa_system_sgpr_workgroup_id_z 0
		.amdhsa_system_sgpr_workgroup_info 0
		.amdhsa_system_vgpr_workitem_id 0
		.amdhsa_next_free_vgpr 1
		.amdhsa_next_free_sgpr 0
		.amdhsa_accum_offset 4
		.amdhsa_reserve_vcc 0
		.amdhsa_float_round_mode_32 0
		.amdhsa_float_round_mode_16_64 0
		.amdhsa_float_denorm_mode_32 3
		.amdhsa_float_denorm_mode_16_64 3
		.amdhsa_dx10_clamp 1
		.amdhsa_ieee_mode 1
		.amdhsa_fp16_overflow 0
		.amdhsa_tg_split 0
		.amdhsa_exception_fp_ieee_invalid_op 0
		.amdhsa_exception_fp_denorm_src 0
		.amdhsa_exception_fp_ieee_div_zero 0
		.amdhsa_exception_fp_ieee_overflow 0
		.amdhsa_exception_fp_ieee_underflow 0
		.amdhsa_exception_fp_ieee_inexact 0
		.amdhsa_exception_int_div_zero 0
	.end_amdhsa_kernel
	.section	.text._ZN7rocprim17ROCPRIM_400000_NS6detail17trampoline_kernelINS0_13kernel_configILj256ELj4ELj4294967295EEENS1_37radix_sort_block_sort_config_selectorIbiEEZNS1_21radix_sort_block_sortIS4_Lb0EN6thrust23THRUST_200600_302600_NS6detail15normal_iteratorINS9_10device_ptrIbEEEESE_NSB_INSC_IiEEEESG_NS0_19identity_decomposerEEE10hipError_tT1_T2_T3_T4_jRjT5_jjP12ihipStream_tbEUlT_E_NS1_11comp_targetILNS1_3genE10ELNS1_11target_archE1200ELNS1_3gpuE4ELNS1_3repE0EEENS1_44radix_sort_block_sort_config_static_selectorELNS0_4arch9wavefront6targetE1EEEvSJ_,"axG",@progbits,_ZN7rocprim17ROCPRIM_400000_NS6detail17trampoline_kernelINS0_13kernel_configILj256ELj4ELj4294967295EEENS1_37radix_sort_block_sort_config_selectorIbiEEZNS1_21radix_sort_block_sortIS4_Lb0EN6thrust23THRUST_200600_302600_NS6detail15normal_iteratorINS9_10device_ptrIbEEEESE_NSB_INSC_IiEEEESG_NS0_19identity_decomposerEEE10hipError_tT1_T2_T3_T4_jRjT5_jjP12ihipStream_tbEUlT_E_NS1_11comp_targetILNS1_3genE10ELNS1_11target_archE1200ELNS1_3gpuE4ELNS1_3repE0EEENS1_44radix_sort_block_sort_config_static_selectorELNS0_4arch9wavefront6targetE1EEEvSJ_,comdat
.Lfunc_end1897:
	.size	_ZN7rocprim17ROCPRIM_400000_NS6detail17trampoline_kernelINS0_13kernel_configILj256ELj4ELj4294967295EEENS1_37radix_sort_block_sort_config_selectorIbiEEZNS1_21radix_sort_block_sortIS4_Lb0EN6thrust23THRUST_200600_302600_NS6detail15normal_iteratorINS9_10device_ptrIbEEEESE_NSB_INSC_IiEEEESG_NS0_19identity_decomposerEEE10hipError_tT1_T2_T3_T4_jRjT5_jjP12ihipStream_tbEUlT_E_NS1_11comp_targetILNS1_3genE10ELNS1_11target_archE1200ELNS1_3gpuE4ELNS1_3repE0EEENS1_44radix_sort_block_sort_config_static_selectorELNS0_4arch9wavefront6targetE1EEEvSJ_, .Lfunc_end1897-_ZN7rocprim17ROCPRIM_400000_NS6detail17trampoline_kernelINS0_13kernel_configILj256ELj4ELj4294967295EEENS1_37radix_sort_block_sort_config_selectorIbiEEZNS1_21radix_sort_block_sortIS4_Lb0EN6thrust23THRUST_200600_302600_NS6detail15normal_iteratorINS9_10device_ptrIbEEEESE_NSB_INSC_IiEEEESG_NS0_19identity_decomposerEEE10hipError_tT1_T2_T3_T4_jRjT5_jjP12ihipStream_tbEUlT_E_NS1_11comp_targetILNS1_3genE10ELNS1_11target_archE1200ELNS1_3gpuE4ELNS1_3repE0EEENS1_44radix_sort_block_sort_config_static_selectorELNS0_4arch9wavefront6targetE1EEEvSJ_
                                        ; -- End function
	.set _ZN7rocprim17ROCPRIM_400000_NS6detail17trampoline_kernelINS0_13kernel_configILj256ELj4ELj4294967295EEENS1_37radix_sort_block_sort_config_selectorIbiEEZNS1_21radix_sort_block_sortIS4_Lb0EN6thrust23THRUST_200600_302600_NS6detail15normal_iteratorINS9_10device_ptrIbEEEESE_NSB_INSC_IiEEEESG_NS0_19identity_decomposerEEE10hipError_tT1_T2_T3_T4_jRjT5_jjP12ihipStream_tbEUlT_E_NS1_11comp_targetILNS1_3genE10ELNS1_11target_archE1200ELNS1_3gpuE4ELNS1_3repE0EEENS1_44radix_sort_block_sort_config_static_selectorELNS0_4arch9wavefront6targetE1EEEvSJ_.num_vgpr, 0
	.set _ZN7rocprim17ROCPRIM_400000_NS6detail17trampoline_kernelINS0_13kernel_configILj256ELj4ELj4294967295EEENS1_37radix_sort_block_sort_config_selectorIbiEEZNS1_21radix_sort_block_sortIS4_Lb0EN6thrust23THRUST_200600_302600_NS6detail15normal_iteratorINS9_10device_ptrIbEEEESE_NSB_INSC_IiEEEESG_NS0_19identity_decomposerEEE10hipError_tT1_T2_T3_T4_jRjT5_jjP12ihipStream_tbEUlT_E_NS1_11comp_targetILNS1_3genE10ELNS1_11target_archE1200ELNS1_3gpuE4ELNS1_3repE0EEENS1_44radix_sort_block_sort_config_static_selectorELNS0_4arch9wavefront6targetE1EEEvSJ_.num_agpr, 0
	.set _ZN7rocprim17ROCPRIM_400000_NS6detail17trampoline_kernelINS0_13kernel_configILj256ELj4ELj4294967295EEENS1_37radix_sort_block_sort_config_selectorIbiEEZNS1_21radix_sort_block_sortIS4_Lb0EN6thrust23THRUST_200600_302600_NS6detail15normal_iteratorINS9_10device_ptrIbEEEESE_NSB_INSC_IiEEEESG_NS0_19identity_decomposerEEE10hipError_tT1_T2_T3_T4_jRjT5_jjP12ihipStream_tbEUlT_E_NS1_11comp_targetILNS1_3genE10ELNS1_11target_archE1200ELNS1_3gpuE4ELNS1_3repE0EEENS1_44radix_sort_block_sort_config_static_selectorELNS0_4arch9wavefront6targetE1EEEvSJ_.numbered_sgpr, 0
	.set _ZN7rocprim17ROCPRIM_400000_NS6detail17trampoline_kernelINS0_13kernel_configILj256ELj4ELj4294967295EEENS1_37radix_sort_block_sort_config_selectorIbiEEZNS1_21radix_sort_block_sortIS4_Lb0EN6thrust23THRUST_200600_302600_NS6detail15normal_iteratorINS9_10device_ptrIbEEEESE_NSB_INSC_IiEEEESG_NS0_19identity_decomposerEEE10hipError_tT1_T2_T3_T4_jRjT5_jjP12ihipStream_tbEUlT_E_NS1_11comp_targetILNS1_3genE10ELNS1_11target_archE1200ELNS1_3gpuE4ELNS1_3repE0EEENS1_44radix_sort_block_sort_config_static_selectorELNS0_4arch9wavefront6targetE1EEEvSJ_.num_named_barrier, 0
	.set _ZN7rocprim17ROCPRIM_400000_NS6detail17trampoline_kernelINS0_13kernel_configILj256ELj4ELj4294967295EEENS1_37radix_sort_block_sort_config_selectorIbiEEZNS1_21radix_sort_block_sortIS4_Lb0EN6thrust23THRUST_200600_302600_NS6detail15normal_iteratorINS9_10device_ptrIbEEEESE_NSB_INSC_IiEEEESG_NS0_19identity_decomposerEEE10hipError_tT1_T2_T3_T4_jRjT5_jjP12ihipStream_tbEUlT_E_NS1_11comp_targetILNS1_3genE10ELNS1_11target_archE1200ELNS1_3gpuE4ELNS1_3repE0EEENS1_44radix_sort_block_sort_config_static_selectorELNS0_4arch9wavefront6targetE1EEEvSJ_.private_seg_size, 0
	.set _ZN7rocprim17ROCPRIM_400000_NS6detail17trampoline_kernelINS0_13kernel_configILj256ELj4ELj4294967295EEENS1_37radix_sort_block_sort_config_selectorIbiEEZNS1_21radix_sort_block_sortIS4_Lb0EN6thrust23THRUST_200600_302600_NS6detail15normal_iteratorINS9_10device_ptrIbEEEESE_NSB_INSC_IiEEEESG_NS0_19identity_decomposerEEE10hipError_tT1_T2_T3_T4_jRjT5_jjP12ihipStream_tbEUlT_E_NS1_11comp_targetILNS1_3genE10ELNS1_11target_archE1200ELNS1_3gpuE4ELNS1_3repE0EEENS1_44radix_sort_block_sort_config_static_selectorELNS0_4arch9wavefront6targetE1EEEvSJ_.uses_vcc, 0
	.set _ZN7rocprim17ROCPRIM_400000_NS6detail17trampoline_kernelINS0_13kernel_configILj256ELj4ELj4294967295EEENS1_37radix_sort_block_sort_config_selectorIbiEEZNS1_21radix_sort_block_sortIS4_Lb0EN6thrust23THRUST_200600_302600_NS6detail15normal_iteratorINS9_10device_ptrIbEEEESE_NSB_INSC_IiEEEESG_NS0_19identity_decomposerEEE10hipError_tT1_T2_T3_T4_jRjT5_jjP12ihipStream_tbEUlT_E_NS1_11comp_targetILNS1_3genE10ELNS1_11target_archE1200ELNS1_3gpuE4ELNS1_3repE0EEENS1_44radix_sort_block_sort_config_static_selectorELNS0_4arch9wavefront6targetE1EEEvSJ_.uses_flat_scratch, 0
	.set _ZN7rocprim17ROCPRIM_400000_NS6detail17trampoline_kernelINS0_13kernel_configILj256ELj4ELj4294967295EEENS1_37radix_sort_block_sort_config_selectorIbiEEZNS1_21radix_sort_block_sortIS4_Lb0EN6thrust23THRUST_200600_302600_NS6detail15normal_iteratorINS9_10device_ptrIbEEEESE_NSB_INSC_IiEEEESG_NS0_19identity_decomposerEEE10hipError_tT1_T2_T3_T4_jRjT5_jjP12ihipStream_tbEUlT_E_NS1_11comp_targetILNS1_3genE10ELNS1_11target_archE1200ELNS1_3gpuE4ELNS1_3repE0EEENS1_44radix_sort_block_sort_config_static_selectorELNS0_4arch9wavefront6targetE1EEEvSJ_.has_dyn_sized_stack, 0
	.set _ZN7rocprim17ROCPRIM_400000_NS6detail17trampoline_kernelINS0_13kernel_configILj256ELj4ELj4294967295EEENS1_37radix_sort_block_sort_config_selectorIbiEEZNS1_21radix_sort_block_sortIS4_Lb0EN6thrust23THRUST_200600_302600_NS6detail15normal_iteratorINS9_10device_ptrIbEEEESE_NSB_INSC_IiEEEESG_NS0_19identity_decomposerEEE10hipError_tT1_T2_T3_T4_jRjT5_jjP12ihipStream_tbEUlT_E_NS1_11comp_targetILNS1_3genE10ELNS1_11target_archE1200ELNS1_3gpuE4ELNS1_3repE0EEENS1_44radix_sort_block_sort_config_static_selectorELNS0_4arch9wavefront6targetE1EEEvSJ_.has_recursion, 0
	.set _ZN7rocprim17ROCPRIM_400000_NS6detail17trampoline_kernelINS0_13kernel_configILj256ELj4ELj4294967295EEENS1_37radix_sort_block_sort_config_selectorIbiEEZNS1_21radix_sort_block_sortIS4_Lb0EN6thrust23THRUST_200600_302600_NS6detail15normal_iteratorINS9_10device_ptrIbEEEESE_NSB_INSC_IiEEEESG_NS0_19identity_decomposerEEE10hipError_tT1_T2_T3_T4_jRjT5_jjP12ihipStream_tbEUlT_E_NS1_11comp_targetILNS1_3genE10ELNS1_11target_archE1200ELNS1_3gpuE4ELNS1_3repE0EEENS1_44radix_sort_block_sort_config_static_selectorELNS0_4arch9wavefront6targetE1EEEvSJ_.has_indirect_call, 0
	.section	.AMDGPU.csdata,"",@progbits
; Kernel info:
; codeLenInByte = 0
; TotalNumSgprs: 6
; NumVgprs: 0
; NumAgprs: 0
; TotalNumVgprs: 0
; ScratchSize: 0
; MemoryBound: 0
; FloatMode: 240
; IeeeMode: 1
; LDSByteSize: 0 bytes/workgroup (compile time only)
; SGPRBlocks: 0
; VGPRBlocks: 0
; NumSGPRsForWavesPerEU: 6
; NumVGPRsForWavesPerEU: 1
; AccumOffset: 4
; Occupancy: 8
; WaveLimiterHint : 0
; COMPUTE_PGM_RSRC2:SCRATCH_EN: 0
; COMPUTE_PGM_RSRC2:USER_SGPR: 2
; COMPUTE_PGM_RSRC2:TRAP_HANDLER: 0
; COMPUTE_PGM_RSRC2:TGID_X_EN: 1
; COMPUTE_PGM_RSRC2:TGID_Y_EN: 0
; COMPUTE_PGM_RSRC2:TGID_Z_EN: 0
; COMPUTE_PGM_RSRC2:TIDIG_COMP_CNT: 0
; COMPUTE_PGM_RSRC3_GFX90A:ACCUM_OFFSET: 0
; COMPUTE_PGM_RSRC3_GFX90A:TG_SPLIT: 0
	.section	.text._ZN7rocprim17ROCPRIM_400000_NS6detail17trampoline_kernelINS0_13kernel_configILj256ELj4ELj4294967295EEENS1_37radix_sort_block_sort_config_selectorIbiEEZNS1_21radix_sort_block_sortIS4_Lb0EN6thrust23THRUST_200600_302600_NS6detail15normal_iteratorINS9_10device_ptrIbEEEESE_NSB_INSC_IiEEEESG_NS0_19identity_decomposerEEE10hipError_tT1_T2_T3_T4_jRjT5_jjP12ihipStream_tbEUlT_E_NS1_11comp_targetILNS1_3genE9ELNS1_11target_archE1100ELNS1_3gpuE3ELNS1_3repE0EEENS1_44radix_sort_block_sort_config_static_selectorELNS0_4arch9wavefront6targetE1EEEvSJ_,"axG",@progbits,_ZN7rocprim17ROCPRIM_400000_NS6detail17trampoline_kernelINS0_13kernel_configILj256ELj4ELj4294967295EEENS1_37radix_sort_block_sort_config_selectorIbiEEZNS1_21radix_sort_block_sortIS4_Lb0EN6thrust23THRUST_200600_302600_NS6detail15normal_iteratorINS9_10device_ptrIbEEEESE_NSB_INSC_IiEEEESG_NS0_19identity_decomposerEEE10hipError_tT1_T2_T3_T4_jRjT5_jjP12ihipStream_tbEUlT_E_NS1_11comp_targetILNS1_3genE9ELNS1_11target_archE1100ELNS1_3gpuE3ELNS1_3repE0EEENS1_44radix_sort_block_sort_config_static_selectorELNS0_4arch9wavefront6targetE1EEEvSJ_,comdat
	.protected	_ZN7rocprim17ROCPRIM_400000_NS6detail17trampoline_kernelINS0_13kernel_configILj256ELj4ELj4294967295EEENS1_37radix_sort_block_sort_config_selectorIbiEEZNS1_21radix_sort_block_sortIS4_Lb0EN6thrust23THRUST_200600_302600_NS6detail15normal_iteratorINS9_10device_ptrIbEEEESE_NSB_INSC_IiEEEESG_NS0_19identity_decomposerEEE10hipError_tT1_T2_T3_T4_jRjT5_jjP12ihipStream_tbEUlT_E_NS1_11comp_targetILNS1_3genE9ELNS1_11target_archE1100ELNS1_3gpuE3ELNS1_3repE0EEENS1_44radix_sort_block_sort_config_static_selectorELNS0_4arch9wavefront6targetE1EEEvSJ_ ; -- Begin function _ZN7rocprim17ROCPRIM_400000_NS6detail17trampoline_kernelINS0_13kernel_configILj256ELj4ELj4294967295EEENS1_37radix_sort_block_sort_config_selectorIbiEEZNS1_21radix_sort_block_sortIS4_Lb0EN6thrust23THRUST_200600_302600_NS6detail15normal_iteratorINS9_10device_ptrIbEEEESE_NSB_INSC_IiEEEESG_NS0_19identity_decomposerEEE10hipError_tT1_T2_T3_T4_jRjT5_jjP12ihipStream_tbEUlT_E_NS1_11comp_targetILNS1_3genE9ELNS1_11target_archE1100ELNS1_3gpuE3ELNS1_3repE0EEENS1_44radix_sort_block_sort_config_static_selectorELNS0_4arch9wavefront6targetE1EEEvSJ_
	.globl	_ZN7rocprim17ROCPRIM_400000_NS6detail17trampoline_kernelINS0_13kernel_configILj256ELj4ELj4294967295EEENS1_37radix_sort_block_sort_config_selectorIbiEEZNS1_21radix_sort_block_sortIS4_Lb0EN6thrust23THRUST_200600_302600_NS6detail15normal_iteratorINS9_10device_ptrIbEEEESE_NSB_INSC_IiEEEESG_NS0_19identity_decomposerEEE10hipError_tT1_T2_T3_T4_jRjT5_jjP12ihipStream_tbEUlT_E_NS1_11comp_targetILNS1_3genE9ELNS1_11target_archE1100ELNS1_3gpuE3ELNS1_3repE0EEENS1_44radix_sort_block_sort_config_static_selectorELNS0_4arch9wavefront6targetE1EEEvSJ_
	.p2align	8
	.type	_ZN7rocprim17ROCPRIM_400000_NS6detail17trampoline_kernelINS0_13kernel_configILj256ELj4ELj4294967295EEENS1_37radix_sort_block_sort_config_selectorIbiEEZNS1_21radix_sort_block_sortIS4_Lb0EN6thrust23THRUST_200600_302600_NS6detail15normal_iteratorINS9_10device_ptrIbEEEESE_NSB_INSC_IiEEEESG_NS0_19identity_decomposerEEE10hipError_tT1_T2_T3_T4_jRjT5_jjP12ihipStream_tbEUlT_E_NS1_11comp_targetILNS1_3genE9ELNS1_11target_archE1100ELNS1_3gpuE3ELNS1_3repE0EEENS1_44radix_sort_block_sort_config_static_selectorELNS0_4arch9wavefront6targetE1EEEvSJ_,@function
_ZN7rocprim17ROCPRIM_400000_NS6detail17trampoline_kernelINS0_13kernel_configILj256ELj4ELj4294967295EEENS1_37radix_sort_block_sort_config_selectorIbiEEZNS1_21radix_sort_block_sortIS4_Lb0EN6thrust23THRUST_200600_302600_NS6detail15normal_iteratorINS9_10device_ptrIbEEEESE_NSB_INSC_IiEEEESG_NS0_19identity_decomposerEEE10hipError_tT1_T2_T3_T4_jRjT5_jjP12ihipStream_tbEUlT_E_NS1_11comp_targetILNS1_3genE9ELNS1_11target_archE1100ELNS1_3gpuE3ELNS1_3repE0EEENS1_44radix_sort_block_sort_config_static_selectorELNS0_4arch9wavefront6targetE1EEEvSJ_: ; @_ZN7rocprim17ROCPRIM_400000_NS6detail17trampoline_kernelINS0_13kernel_configILj256ELj4ELj4294967295EEENS1_37radix_sort_block_sort_config_selectorIbiEEZNS1_21radix_sort_block_sortIS4_Lb0EN6thrust23THRUST_200600_302600_NS6detail15normal_iteratorINS9_10device_ptrIbEEEESE_NSB_INSC_IiEEEESG_NS0_19identity_decomposerEEE10hipError_tT1_T2_T3_T4_jRjT5_jjP12ihipStream_tbEUlT_E_NS1_11comp_targetILNS1_3genE9ELNS1_11target_archE1100ELNS1_3gpuE3ELNS1_3repE0EEENS1_44radix_sort_block_sort_config_static_selectorELNS0_4arch9wavefront6targetE1EEEvSJ_
; %bb.0:
	.section	.rodata,"a",@progbits
	.p2align	6, 0x0
	.amdhsa_kernel _ZN7rocprim17ROCPRIM_400000_NS6detail17trampoline_kernelINS0_13kernel_configILj256ELj4ELj4294967295EEENS1_37radix_sort_block_sort_config_selectorIbiEEZNS1_21radix_sort_block_sortIS4_Lb0EN6thrust23THRUST_200600_302600_NS6detail15normal_iteratorINS9_10device_ptrIbEEEESE_NSB_INSC_IiEEEESG_NS0_19identity_decomposerEEE10hipError_tT1_T2_T3_T4_jRjT5_jjP12ihipStream_tbEUlT_E_NS1_11comp_targetILNS1_3genE9ELNS1_11target_archE1100ELNS1_3gpuE3ELNS1_3repE0EEENS1_44radix_sort_block_sort_config_static_selectorELNS0_4arch9wavefront6targetE1EEEvSJ_
		.amdhsa_group_segment_fixed_size 0
		.amdhsa_private_segment_fixed_size 0
		.amdhsa_kernarg_size 48
		.amdhsa_user_sgpr_count 2
		.amdhsa_user_sgpr_dispatch_ptr 0
		.amdhsa_user_sgpr_queue_ptr 0
		.amdhsa_user_sgpr_kernarg_segment_ptr 1
		.amdhsa_user_sgpr_dispatch_id 0
		.amdhsa_user_sgpr_kernarg_preload_length 0
		.amdhsa_user_sgpr_kernarg_preload_offset 0
		.amdhsa_user_sgpr_private_segment_size 0
		.amdhsa_uses_dynamic_stack 0
		.amdhsa_enable_private_segment 0
		.amdhsa_system_sgpr_workgroup_id_x 1
		.amdhsa_system_sgpr_workgroup_id_y 0
		.amdhsa_system_sgpr_workgroup_id_z 0
		.amdhsa_system_sgpr_workgroup_info 0
		.amdhsa_system_vgpr_workitem_id 0
		.amdhsa_next_free_vgpr 1
		.amdhsa_next_free_sgpr 0
		.amdhsa_accum_offset 4
		.amdhsa_reserve_vcc 0
		.amdhsa_float_round_mode_32 0
		.amdhsa_float_round_mode_16_64 0
		.amdhsa_float_denorm_mode_32 3
		.amdhsa_float_denorm_mode_16_64 3
		.amdhsa_dx10_clamp 1
		.amdhsa_ieee_mode 1
		.amdhsa_fp16_overflow 0
		.amdhsa_tg_split 0
		.amdhsa_exception_fp_ieee_invalid_op 0
		.amdhsa_exception_fp_denorm_src 0
		.amdhsa_exception_fp_ieee_div_zero 0
		.amdhsa_exception_fp_ieee_overflow 0
		.amdhsa_exception_fp_ieee_underflow 0
		.amdhsa_exception_fp_ieee_inexact 0
		.amdhsa_exception_int_div_zero 0
	.end_amdhsa_kernel
	.section	.text._ZN7rocprim17ROCPRIM_400000_NS6detail17trampoline_kernelINS0_13kernel_configILj256ELj4ELj4294967295EEENS1_37radix_sort_block_sort_config_selectorIbiEEZNS1_21radix_sort_block_sortIS4_Lb0EN6thrust23THRUST_200600_302600_NS6detail15normal_iteratorINS9_10device_ptrIbEEEESE_NSB_INSC_IiEEEESG_NS0_19identity_decomposerEEE10hipError_tT1_T2_T3_T4_jRjT5_jjP12ihipStream_tbEUlT_E_NS1_11comp_targetILNS1_3genE9ELNS1_11target_archE1100ELNS1_3gpuE3ELNS1_3repE0EEENS1_44radix_sort_block_sort_config_static_selectorELNS0_4arch9wavefront6targetE1EEEvSJ_,"axG",@progbits,_ZN7rocprim17ROCPRIM_400000_NS6detail17trampoline_kernelINS0_13kernel_configILj256ELj4ELj4294967295EEENS1_37radix_sort_block_sort_config_selectorIbiEEZNS1_21radix_sort_block_sortIS4_Lb0EN6thrust23THRUST_200600_302600_NS6detail15normal_iteratorINS9_10device_ptrIbEEEESE_NSB_INSC_IiEEEESG_NS0_19identity_decomposerEEE10hipError_tT1_T2_T3_T4_jRjT5_jjP12ihipStream_tbEUlT_E_NS1_11comp_targetILNS1_3genE9ELNS1_11target_archE1100ELNS1_3gpuE3ELNS1_3repE0EEENS1_44radix_sort_block_sort_config_static_selectorELNS0_4arch9wavefront6targetE1EEEvSJ_,comdat
.Lfunc_end1898:
	.size	_ZN7rocprim17ROCPRIM_400000_NS6detail17trampoline_kernelINS0_13kernel_configILj256ELj4ELj4294967295EEENS1_37radix_sort_block_sort_config_selectorIbiEEZNS1_21radix_sort_block_sortIS4_Lb0EN6thrust23THRUST_200600_302600_NS6detail15normal_iteratorINS9_10device_ptrIbEEEESE_NSB_INSC_IiEEEESG_NS0_19identity_decomposerEEE10hipError_tT1_T2_T3_T4_jRjT5_jjP12ihipStream_tbEUlT_E_NS1_11comp_targetILNS1_3genE9ELNS1_11target_archE1100ELNS1_3gpuE3ELNS1_3repE0EEENS1_44radix_sort_block_sort_config_static_selectorELNS0_4arch9wavefront6targetE1EEEvSJ_, .Lfunc_end1898-_ZN7rocprim17ROCPRIM_400000_NS6detail17trampoline_kernelINS0_13kernel_configILj256ELj4ELj4294967295EEENS1_37radix_sort_block_sort_config_selectorIbiEEZNS1_21radix_sort_block_sortIS4_Lb0EN6thrust23THRUST_200600_302600_NS6detail15normal_iteratorINS9_10device_ptrIbEEEESE_NSB_INSC_IiEEEESG_NS0_19identity_decomposerEEE10hipError_tT1_T2_T3_T4_jRjT5_jjP12ihipStream_tbEUlT_E_NS1_11comp_targetILNS1_3genE9ELNS1_11target_archE1100ELNS1_3gpuE3ELNS1_3repE0EEENS1_44radix_sort_block_sort_config_static_selectorELNS0_4arch9wavefront6targetE1EEEvSJ_
                                        ; -- End function
	.set _ZN7rocprim17ROCPRIM_400000_NS6detail17trampoline_kernelINS0_13kernel_configILj256ELj4ELj4294967295EEENS1_37radix_sort_block_sort_config_selectorIbiEEZNS1_21radix_sort_block_sortIS4_Lb0EN6thrust23THRUST_200600_302600_NS6detail15normal_iteratorINS9_10device_ptrIbEEEESE_NSB_INSC_IiEEEESG_NS0_19identity_decomposerEEE10hipError_tT1_T2_T3_T4_jRjT5_jjP12ihipStream_tbEUlT_E_NS1_11comp_targetILNS1_3genE9ELNS1_11target_archE1100ELNS1_3gpuE3ELNS1_3repE0EEENS1_44radix_sort_block_sort_config_static_selectorELNS0_4arch9wavefront6targetE1EEEvSJ_.num_vgpr, 0
	.set _ZN7rocprim17ROCPRIM_400000_NS6detail17trampoline_kernelINS0_13kernel_configILj256ELj4ELj4294967295EEENS1_37radix_sort_block_sort_config_selectorIbiEEZNS1_21radix_sort_block_sortIS4_Lb0EN6thrust23THRUST_200600_302600_NS6detail15normal_iteratorINS9_10device_ptrIbEEEESE_NSB_INSC_IiEEEESG_NS0_19identity_decomposerEEE10hipError_tT1_T2_T3_T4_jRjT5_jjP12ihipStream_tbEUlT_E_NS1_11comp_targetILNS1_3genE9ELNS1_11target_archE1100ELNS1_3gpuE3ELNS1_3repE0EEENS1_44radix_sort_block_sort_config_static_selectorELNS0_4arch9wavefront6targetE1EEEvSJ_.num_agpr, 0
	.set _ZN7rocprim17ROCPRIM_400000_NS6detail17trampoline_kernelINS0_13kernel_configILj256ELj4ELj4294967295EEENS1_37radix_sort_block_sort_config_selectorIbiEEZNS1_21radix_sort_block_sortIS4_Lb0EN6thrust23THRUST_200600_302600_NS6detail15normal_iteratorINS9_10device_ptrIbEEEESE_NSB_INSC_IiEEEESG_NS0_19identity_decomposerEEE10hipError_tT1_T2_T3_T4_jRjT5_jjP12ihipStream_tbEUlT_E_NS1_11comp_targetILNS1_3genE9ELNS1_11target_archE1100ELNS1_3gpuE3ELNS1_3repE0EEENS1_44radix_sort_block_sort_config_static_selectorELNS0_4arch9wavefront6targetE1EEEvSJ_.numbered_sgpr, 0
	.set _ZN7rocprim17ROCPRIM_400000_NS6detail17trampoline_kernelINS0_13kernel_configILj256ELj4ELj4294967295EEENS1_37radix_sort_block_sort_config_selectorIbiEEZNS1_21radix_sort_block_sortIS4_Lb0EN6thrust23THRUST_200600_302600_NS6detail15normal_iteratorINS9_10device_ptrIbEEEESE_NSB_INSC_IiEEEESG_NS0_19identity_decomposerEEE10hipError_tT1_T2_T3_T4_jRjT5_jjP12ihipStream_tbEUlT_E_NS1_11comp_targetILNS1_3genE9ELNS1_11target_archE1100ELNS1_3gpuE3ELNS1_3repE0EEENS1_44radix_sort_block_sort_config_static_selectorELNS0_4arch9wavefront6targetE1EEEvSJ_.num_named_barrier, 0
	.set _ZN7rocprim17ROCPRIM_400000_NS6detail17trampoline_kernelINS0_13kernel_configILj256ELj4ELj4294967295EEENS1_37radix_sort_block_sort_config_selectorIbiEEZNS1_21radix_sort_block_sortIS4_Lb0EN6thrust23THRUST_200600_302600_NS6detail15normal_iteratorINS9_10device_ptrIbEEEESE_NSB_INSC_IiEEEESG_NS0_19identity_decomposerEEE10hipError_tT1_T2_T3_T4_jRjT5_jjP12ihipStream_tbEUlT_E_NS1_11comp_targetILNS1_3genE9ELNS1_11target_archE1100ELNS1_3gpuE3ELNS1_3repE0EEENS1_44radix_sort_block_sort_config_static_selectorELNS0_4arch9wavefront6targetE1EEEvSJ_.private_seg_size, 0
	.set _ZN7rocprim17ROCPRIM_400000_NS6detail17trampoline_kernelINS0_13kernel_configILj256ELj4ELj4294967295EEENS1_37radix_sort_block_sort_config_selectorIbiEEZNS1_21radix_sort_block_sortIS4_Lb0EN6thrust23THRUST_200600_302600_NS6detail15normal_iteratorINS9_10device_ptrIbEEEESE_NSB_INSC_IiEEEESG_NS0_19identity_decomposerEEE10hipError_tT1_T2_T3_T4_jRjT5_jjP12ihipStream_tbEUlT_E_NS1_11comp_targetILNS1_3genE9ELNS1_11target_archE1100ELNS1_3gpuE3ELNS1_3repE0EEENS1_44radix_sort_block_sort_config_static_selectorELNS0_4arch9wavefront6targetE1EEEvSJ_.uses_vcc, 0
	.set _ZN7rocprim17ROCPRIM_400000_NS6detail17trampoline_kernelINS0_13kernel_configILj256ELj4ELj4294967295EEENS1_37radix_sort_block_sort_config_selectorIbiEEZNS1_21radix_sort_block_sortIS4_Lb0EN6thrust23THRUST_200600_302600_NS6detail15normal_iteratorINS9_10device_ptrIbEEEESE_NSB_INSC_IiEEEESG_NS0_19identity_decomposerEEE10hipError_tT1_T2_T3_T4_jRjT5_jjP12ihipStream_tbEUlT_E_NS1_11comp_targetILNS1_3genE9ELNS1_11target_archE1100ELNS1_3gpuE3ELNS1_3repE0EEENS1_44radix_sort_block_sort_config_static_selectorELNS0_4arch9wavefront6targetE1EEEvSJ_.uses_flat_scratch, 0
	.set _ZN7rocprim17ROCPRIM_400000_NS6detail17trampoline_kernelINS0_13kernel_configILj256ELj4ELj4294967295EEENS1_37radix_sort_block_sort_config_selectorIbiEEZNS1_21radix_sort_block_sortIS4_Lb0EN6thrust23THRUST_200600_302600_NS6detail15normal_iteratorINS9_10device_ptrIbEEEESE_NSB_INSC_IiEEEESG_NS0_19identity_decomposerEEE10hipError_tT1_T2_T3_T4_jRjT5_jjP12ihipStream_tbEUlT_E_NS1_11comp_targetILNS1_3genE9ELNS1_11target_archE1100ELNS1_3gpuE3ELNS1_3repE0EEENS1_44radix_sort_block_sort_config_static_selectorELNS0_4arch9wavefront6targetE1EEEvSJ_.has_dyn_sized_stack, 0
	.set _ZN7rocprim17ROCPRIM_400000_NS6detail17trampoline_kernelINS0_13kernel_configILj256ELj4ELj4294967295EEENS1_37radix_sort_block_sort_config_selectorIbiEEZNS1_21radix_sort_block_sortIS4_Lb0EN6thrust23THRUST_200600_302600_NS6detail15normal_iteratorINS9_10device_ptrIbEEEESE_NSB_INSC_IiEEEESG_NS0_19identity_decomposerEEE10hipError_tT1_T2_T3_T4_jRjT5_jjP12ihipStream_tbEUlT_E_NS1_11comp_targetILNS1_3genE9ELNS1_11target_archE1100ELNS1_3gpuE3ELNS1_3repE0EEENS1_44radix_sort_block_sort_config_static_selectorELNS0_4arch9wavefront6targetE1EEEvSJ_.has_recursion, 0
	.set _ZN7rocprim17ROCPRIM_400000_NS6detail17trampoline_kernelINS0_13kernel_configILj256ELj4ELj4294967295EEENS1_37radix_sort_block_sort_config_selectorIbiEEZNS1_21radix_sort_block_sortIS4_Lb0EN6thrust23THRUST_200600_302600_NS6detail15normal_iteratorINS9_10device_ptrIbEEEESE_NSB_INSC_IiEEEESG_NS0_19identity_decomposerEEE10hipError_tT1_T2_T3_T4_jRjT5_jjP12ihipStream_tbEUlT_E_NS1_11comp_targetILNS1_3genE9ELNS1_11target_archE1100ELNS1_3gpuE3ELNS1_3repE0EEENS1_44radix_sort_block_sort_config_static_selectorELNS0_4arch9wavefront6targetE1EEEvSJ_.has_indirect_call, 0
	.section	.AMDGPU.csdata,"",@progbits
; Kernel info:
; codeLenInByte = 0
; TotalNumSgprs: 6
; NumVgprs: 0
; NumAgprs: 0
; TotalNumVgprs: 0
; ScratchSize: 0
; MemoryBound: 0
; FloatMode: 240
; IeeeMode: 1
; LDSByteSize: 0 bytes/workgroup (compile time only)
; SGPRBlocks: 0
; VGPRBlocks: 0
; NumSGPRsForWavesPerEU: 6
; NumVGPRsForWavesPerEU: 1
; AccumOffset: 4
; Occupancy: 8
; WaveLimiterHint : 0
; COMPUTE_PGM_RSRC2:SCRATCH_EN: 0
; COMPUTE_PGM_RSRC2:USER_SGPR: 2
; COMPUTE_PGM_RSRC2:TRAP_HANDLER: 0
; COMPUTE_PGM_RSRC2:TGID_X_EN: 1
; COMPUTE_PGM_RSRC2:TGID_Y_EN: 0
; COMPUTE_PGM_RSRC2:TGID_Z_EN: 0
; COMPUTE_PGM_RSRC2:TIDIG_COMP_CNT: 0
; COMPUTE_PGM_RSRC3_GFX90A:ACCUM_OFFSET: 0
; COMPUTE_PGM_RSRC3_GFX90A:TG_SPLIT: 0
	.section	.text._ZN7rocprim17ROCPRIM_400000_NS6detail17trampoline_kernelINS0_13kernel_configILj256ELj4ELj4294967295EEENS1_37radix_sort_block_sort_config_selectorIbiEEZNS1_21radix_sort_block_sortIS4_Lb0EN6thrust23THRUST_200600_302600_NS6detail15normal_iteratorINS9_10device_ptrIbEEEESE_NSB_INSC_IiEEEESG_NS0_19identity_decomposerEEE10hipError_tT1_T2_T3_T4_jRjT5_jjP12ihipStream_tbEUlT_E_NS1_11comp_targetILNS1_3genE8ELNS1_11target_archE1030ELNS1_3gpuE2ELNS1_3repE0EEENS1_44radix_sort_block_sort_config_static_selectorELNS0_4arch9wavefront6targetE1EEEvSJ_,"axG",@progbits,_ZN7rocprim17ROCPRIM_400000_NS6detail17trampoline_kernelINS0_13kernel_configILj256ELj4ELj4294967295EEENS1_37radix_sort_block_sort_config_selectorIbiEEZNS1_21radix_sort_block_sortIS4_Lb0EN6thrust23THRUST_200600_302600_NS6detail15normal_iteratorINS9_10device_ptrIbEEEESE_NSB_INSC_IiEEEESG_NS0_19identity_decomposerEEE10hipError_tT1_T2_T3_T4_jRjT5_jjP12ihipStream_tbEUlT_E_NS1_11comp_targetILNS1_3genE8ELNS1_11target_archE1030ELNS1_3gpuE2ELNS1_3repE0EEENS1_44radix_sort_block_sort_config_static_selectorELNS0_4arch9wavefront6targetE1EEEvSJ_,comdat
	.protected	_ZN7rocprim17ROCPRIM_400000_NS6detail17trampoline_kernelINS0_13kernel_configILj256ELj4ELj4294967295EEENS1_37radix_sort_block_sort_config_selectorIbiEEZNS1_21radix_sort_block_sortIS4_Lb0EN6thrust23THRUST_200600_302600_NS6detail15normal_iteratorINS9_10device_ptrIbEEEESE_NSB_INSC_IiEEEESG_NS0_19identity_decomposerEEE10hipError_tT1_T2_T3_T4_jRjT5_jjP12ihipStream_tbEUlT_E_NS1_11comp_targetILNS1_3genE8ELNS1_11target_archE1030ELNS1_3gpuE2ELNS1_3repE0EEENS1_44radix_sort_block_sort_config_static_selectorELNS0_4arch9wavefront6targetE1EEEvSJ_ ; -- Begin function _ZN7rocprim17ROCPRIM_400000_NS6detail17trampoline_kernelINS0_13kernel_configILj256ELj4ELj4294967295EEENS1_37radix_sort_block_sort_config_selectorIbiEEZNS1_21radix_sort_block_sortIS4_Lb0EN6thrust23THRUST_200600_302600_NS6detail15normal_iteratorINS9_10device_ptrIbEEEESE_NSB_INSC_IiEEEESG_NS0_19identity_decomposerEEE10hipError_tT1_T2_T3_T4_jRjT5_jjP12ihipStream_tbEUlT_E_NS1_11comp_targetILNS1_3genE8ELNS1_11target_archE1030ELNS1_3gpuE2ELNS1_3repE0EEENS1_44radix_sort_block_sort_config_static_selectorELNS0_4arch9wavefront6targetE1EEEvSJ_
	.globl	_ZN7rocprim17ROCPRIM_400000_NS6detail17trampoline_kernelINS0_13kernel_configILj256ELj4ELj4294967295EEENS1_37radix_sort_block_sort_config_selectorIbiEEZNS1_21radix_sort_block_sortIS4_Lb0EN6thrust23THRUST_200600_302600_NS6detail15normal_iteratorINS9_10device_ptrIbEEEESE_NSB_INSC_IiEEEESG_NS0_19identity_decomposerEEE10hipError_tT1_T2_T3_T4_jRjT5_jjP12ihipStream_tbEUlT_E_NS1_11comp_targetILNS1_3genE8ELNS1_11target_archE1030ELNS1_3gpuE2ELNS1_3repE0EEENS1_44radix_sort_block_sort_config_static_selectorELNS0_4arch9wavefront6targetE1EEEvSJ_
	.p2align	8
	.type	_ZN7rocprim17ROCPRIM_400000_NS6detail17trampoline_kernelINS0_13kernel_configILj256ELj4ELj4294967295EEENS1_37radix_sort_block_sort_config_selectorIbiEEZNS1_21radix_sort_block_sortIS4_Lb0EN6thrust23THRUST_200600_302600_NS6detail15normal_iteratorINS9_10device_ptrIbEEEESE_NSB_INSC_IiEEEESG_NS0_19identity_decomposerEEE10hipError_tT1_T2_T3_T4_jRjT5_jjP12ihipStream_tbEUlT_E_NS1_11comp_targetILNS1_3genE8ELNS1_11target_archE1030ELNS1_3gpuE2ELNS1_3repE0EEENS1_44radix_sort_block_sort_config_static_selectorELNS0_4arch9wavefront6targetE1EEEvSJ_,@function
_ZN7rocprim17ROCPRIM_400000_NS6detail17trampoline_kernelINS0_13kernel_configILj256ELj4ELj4294967295EEENS1_37radix_sort_block_sort_config_selectorIbiEEZNS1_21radix_sort_block_sortIS4_Lb0EN6thrust23THRUST_200600_302600_NS6detail15normal_iteratorINS9_10device_ptrIbEEEESE_NSB_INSC_IiEEEESG_NS0_19identity_decomposerEEE10hipError_tT1_T2_T3_T4_jRjT5_jjP12ihipStream_tbEUlT_E_NS1_11comp_targetILNS1_3genE8ELNS1_11target_archE1030ELNS1_3gpuE2ELNS1_3repE0EEENS1_44radix_sort_block_sort_config_static_selectorELNS0_4arch9wavefront6targetE1EEEvSJ_: ; @_ZN7rocprim17ROCPRIM_400000_NS6detail17trampoline_kernelINS0_13kernel_configILj256ELj4ELj4294967295EEENS1_37radix_sort_block_sort_config_selectorIbiEEZNS1_21radix_sort_block_sortIS4_Lb0EN6thrust23THRUST_200600_302600_NS6detail15normal_iteratorINS9_10device_ptrIbEEEESE_NSB_INSC_IiEEEESG_NS0_19identity_decomposerEEE10hipError_tT1_T2_T3_T4_jRjT5_jjP12ihipStream_tbEUlT_E_NS1_11comp_targetILNS1_3genE8ELNS1_11target_archE1030ELNS1_3gpuE2ELNS1_3repE0EEENS1_44radix_sort_block_sort_config_static_selectorELNS0_4arch9wavefront6targetE1EEEvSJ_
; %bb.0:
	.section	.rodata,"a",@progbits
	.p2align	6, 0x0
	.amdhsa_kernel _ZN7rocprim17ROCPRIM_400000_NS6detail17trampoline_kernelINS0_13kernel_configILj256ELj4ELj4294967295EEENS1_37radix_sort_block_sort_config_selectorIbiEEZNS1_21radix_sort_block_sortIS4_Lb0EN6thrust23THRUST_200600_302600_NS6detail15normal_iteratorINS9_10device_ptrIbEEEESE_NSB_INSC_IiEEEESG_NS0_19identity_decomposerEEE10hipError_tT1_T2_T3_T4_jRjT5_jjP12ihipStream_tbEUlT_E_NS1_11comp_targetILNS1_3genE8ELNS1_11target_archE1030ELNS1_3gpuE2ELNS1_3repE0EEENS1_44radix_sort_block_sort_config_static_selectorELNS0_4arch9wavefront6targetE1EEEvSJ_
		.amdhsa_group_segment_fixed_size 0
		.amdhsa_private_segment_fixed_size 0
		.amdhsa_kernarg_size 48
		.amdhsa_user_sgpr_count 2
		.amdhsa_user_sgpr_dispatch_ptr 0
		.amdhsa_user_sgpr_queue_ptr 0
		.amdhsa_user_sgpr_kernarg_segment_ptr 1
		.amdhsa_user_sgpr_dispatch_id 0
		.amdhsa_user_sgpr_kernarg_preload_length 0
		.amdhsa_user_sgpr_kernarg_preload_offset 0
		.amdhsa_user_sgpr_private_segment_size 0
		.amdhsa_uses_dynamic_stack 0
		.amdhsa_enable_private_segment 0
		.amdhsa_system_sgpr_workgroup_id_x 1
		.amdhsa_system_sgpr_workgroup_id_y 0
		.amdhsa_system_sgpr_workgroup_id_z 0
		.amdhsa_system_sgpr_workgroup_info 0
		.amdhsa_system_vgpr_workitem_id 0
		.amdhsa_next_free_vgpr 1
		.amdhsa_next_free_sgpr 0
		.amdhsa_accum_offset 4
		.amdhsa_reserve_vcc 0
		.amdhsa_float_round_mode_32 0
		.amdhsa_float_round_mode_16_64 0
		.amdhsa_float_denorm_mode_32 3
		.amdhsa_float_denorm_mode_16_64 3
		.amdhsa_dx10_clamp 1
		.amdhsa_ieee_mode 1
		.amdhsa_fp16_overflow 0
		.amdhsa_tg_split 0
		.amdhsa_exception_fp_ieee_invalid_op 0
		.amdhsa_exception_fp_denorm_src 0
		.amdhsa_exception_fp_ieee_div_zero 0
		.amdhsa_exception_fp_ieee_overflow 0
		.amdhsa_exception_fp_ieee_underflow 0
		.amdhsa_exception_fp_ieee_inexact 0
		.amdhsa_exception_int_div_zero 0
	.end_amdhsa_kernel
	.section	.text._ZN7rocprim17ROCPRIM_400000_NS6detail17trampoline_kernelINS0_13kernel_configILj256ELj4ELj4294967295EEENS1_37radix_sort_block_sort_config_selectorIbiEEZNS1_21radix_sort_block_sortIS4_Lb0EN6thrust23THRUST_200600_302600_NS6detail15normal_iteratorINS9_10device_ptrIbEEEESE_NSB_INSC_IiEEEESG_NS0_19identity_decomposerEEE10hipError_tT1_T2_T3_T4_jRjT5_jjP12ihipStream_tbEUlT_E_NS1_11comp_targetILNS1_3genE8ELNS1_11target_archE1030ELNS1_3gpuE2ELNS1_3repE0EEENS1_44radix_sort_block_sort_config_static_selectorELNS0_4arch9wavefront6targetE1EEEvSJ_,"axG",@progbits,_ZN7rocprim17ROCPRIM_400000_NS6detail17trampoline_kernelINS0_13kernel_configILj256ELj4ELj4294967295EEENS1_37radix_sort_block_sort_config_selectorIbiEEZNS1_21radix_sort_block_sortIS4_Lb0EN6thrust23THRUST_200600_302600_NS6detail15normal_iteratorINS9_10device_ptrIbEEEESE_NSB_INSC_IiEEEESG_NS0_19identity_decomposerEEE10hipError_tT1_T2_T3_T4_jRjT5_jjP12ihipStream_tbEUlT_E_NS1_11comp_targetILNS1_3genE8ELNS1_11target_archE1030ELNS1_3gpuE2ELNS1_3repE0EEENS1_44radix_sort_block_sort_config_static_selectorELNS0_4arch9wavefront6targetE1EEEvSJ_,comdat
.Lfunc_end1899:
	.size	_ZN7rocprim17ROCPRIM_400000_NS6detail17trampoline_kernelINS0_13kernel_configILj256ELj4ELj4294967295EEENS1_37radix_sort_block_sort_config_selectorIbiEEZNS1_21radix_sort_block_sortIS4_Lb0EN6thrust23THRUST_200600_302600_NS6detail15normal_iteratorINS9_10device_ptrIbEEEESE_NSB_INSC_IiEEEESG_NS0_19identity_decomposerEEE10hipError_tT1_T2_T3_T4_jRjT5_jjP12ihipStream_tbEUlT_E_NS1_11comp_targetILNS1_3genE8ELNS1_11target_archE1030ELNS1_3gpuE2ELNS1_3repE0EEENS1_44radix_sort_block_sort_config_static_selectorELNS0_4arch9wavefront6targetE1EEEvSJ_, .Lfunc_end1899-_ZN7rocprim17ROCPRIM_400000_NS6detail17trampoline_kernelINS0_13kernel_configILj256ELj4ELj4294967295EEENS1_37radix_sort_block_sort_config_selectorIbiEEZNS1_21radix_sort_block_sortIS4_Lb0EN6thrust23THRUST_200600_302600_NS6detail15normal_iteratorINS9_10device_ptrIbEEEESE_NSB_INSC_IiEEEESG_NS0_19identity_decomposerEEE10hipError_tT1_T2_T3_T4_jRjT5_jjP12ihipStream_tbEUlT_E_NS1_11comp_targetILNS1_3genE8ELNS1_11target_archE1030ELNS1_3gpuE2ELNS1_3repE0EEENS1_44radix_sort_block_sort_config_static_selectorELNS0_4arch9wavefront6targetE1EEEvSJ_
                                        ; -- End function
	.set _ZN7rocprim17ROCPRIM_400000_NS6detail17trampoline_kernelINS0_13kernel_configILj256ELj4ELj4294967295EEENS1_37radix_sort_block_sort_config_selectorIbiEEZNS1_21radix_sort_block_sortIS4_Lb0EN6thrust23THRUST_200600_302600_NS6detail15normal_iteratorINS9_10device_ptrIbEEEESE_NSB_INSC_IiEEEESG_NS0_19identity_decomposerEEE10hipError_tT1_T2_T3_T4_jRjT5_jjP12ihipStream_tbEUlT_E_NS1_11comp_targetILNS1_3genE8ELNS1_11target_archE1030ELNS1_3gpuE2ELNS1_3repE0EEENS1_44radix_sort_block_sort_config_static_selectorELNS0_4arch9wavefront6targetE1EEEvSJ_.num_vgpr, 0
	.set _ZN7rocprim17ROCPRIM_400000_NS6detail17trampoline_kernelINS0_13kernel_configILj256ELj4ELj4294967295EEENS1_37radix_sort_block_sort_config_selectorIbiEEZNS1_21radix_sort_block_sortIS4_Lb0EN6thrust23THRUST_200600_302600_NS6detail15normal_iteratorINS9_10device_ptrIbEEEESE_NSB_INSC_IiEEEESG_NS0_19identity_decomposerEEE10hipError_tT1_T2_T3_T4_jRjT5_jjP12ihipStream_tbEUlT_E_NS1_11comp_targetILNS1_3genE8ELNS1_11target_archE1030ELNS1_3gpuE2ELNS1_3repE0EEENS1_44radix_sort_block_sort_config_static_selectorELNS0_4arch9wavefront6targetE1EEEvSJ_.num_agpr, 0
	.set _ZN7rocprim17ROCPRIM_400000_NS6detail17trampoline_kernelINS0_13kernel_configILj256ELj4ELj4294967295EEENS1_37radix_sort_block_sort_config_selectorIbiEEZNS1_21radix_sort_block_sortIS4_Lb0EN6thrust23THRUST_200600_302600_NS6detail15normal_iteratorINS9_10device_ptrIbEEEESE_NSB_INSC_IiEEEESG_NS0_19identity_decomposerEEE10hipError_tT1_T2_T3_T4_jRjT5_jjP12ihipStream_tbEUlT_E_NS1_11comp_targetILNS1_3genE8ELNS1_11target_archE1030ELNS1_3gpuE2ELNS1_3repE0EEENS1_44radix_sort_block_sort_config_static_selectorELNS0_4arch9wavefront6targetE1EEEvSJ_.numbered_sgpr, 0
	.set _ZN7rocprim17ROCPRIM_400000_NS6detail17trampoline_kernelINS0_13kernel_configILj256ELj4ELj4294967295EEENS1_37radix_sort_block_sort_config_selectorIbiEEZNS1_21radix_sort_block_sortIS4_Lb0EN6thrust23THRUST_200600_302600_NS6detail15normal_iteratorINS9_10device_ptrIbEEEESE_NSB_INSC_IiEEEESG_NS0_19identity_decomposerEEE10hipError_tT1_T2_T3_T4_jRjT5_jjP12ihipStream_tbEUlT_E_NS1_11comp_targetILNS1_3genE8ELNS1_11target_archE1030ELNS1_3gpuE2ELNS1_3repE0EEENS1_44radix_sort_block_sort_config_static_selectorELNS0_4arch9wavefront6targetE1EEEvSJ_.num_named_barrier, 0
	.set _ZN7rocprim17ROCPRIM_400000_NS6detail17trampoline_kernelINS0_13kernel_configILj256ELj4ELj4294967295EEENS1_37radix_sort_block_sort_config_selectorIbiEEZNS1_21radix_sort_block_sortIS4_Lb0EN6thrust23THRUST_200600_302600_NS6detail15normal_iteratorINS9_10device_ptrIbEEEESE_NSB_INSC_IiEEEESG_NS0_19identity_decomposerEEE10hipError_tT1_T2_T3_T4_jRjT5_jjP12ihipStream_tbEUlT_E_NS1_11comp_targetILNS1_3genE8ELNS1_11target_archE1030ELNS1_3gpuE2ELNS1_3repE0EEENS1_44radix_sort_block_sort_config_static_selectorELNS0_4arch9wavefront6targetE1EEEvSJ_.private_seg_size, 0
	.set _ZN7rocprim17ROCPRIM_400000_NS6detail17trampoline_kernelINS0_13kernel_configILj256ELj4ELj4294967295EEENS1_37radix_sort_block_sort_config_selectorIbiEEZNS1_21radix_sort_block_sortIS4_Lb0EN6thrust23THRUST_200600_302600_NS6detail15normal_iteratorINS9_10device_ptrIbEEEESE_NSB_INSC_IiEEEESG_NS0_19identity_decomposerEEE10hipError_tT1_T2_T3_T4_jRjT5_jjP12ihipStream_tbEUlT_E_NS1_11comp_targetILNS1_3genE8ELNS1_11target_archE1030ELNS1_3gpuE2ELNS1_3repE0EEENS1_44radix_sort_block_sort_config_static_selectorELNS0_4arch9wavefront6targetE1EEEvSJ_.uses_vcc, 0
	.set _ZN7rocprim17ROCPRIM_400000_NS6detail17trampoline_kernelINS0_13kernel_configILj256ELj4ELj4294967295EEENS1_37radix_sort_block_sort_config_selectorIbiEEZNS1_21radix_sort_block_sortIS4_Lb0EN6thrust23THRUST_200600_302600_NS6detail15normal_iteratorINS9_10device_ptrIbEEEESE_NSB_INSC_IiEEEESG_NS0_19identity_decomposerEEE10hipError_tT1_T2_T3_T4_jRjT5_jjP12ihipStream_tbEUlT_E_NS1_11comp_targetILNS1_3genE8ELNS1_11target_archE1030ELNS1_3gpuE2ELNS1_3repE0EEENS1_44radix_sort_block_sort_config_static_selectorELNS0_4arch9wavefront6targetE1EEEvSJ_.uses_flat_scratch, 0
	.set _ZN7rocprim17ROCPRIM_400000_NS6detail17trampoline_kernelINS0_13kernel_configILj256ELj4ELj4294967295EEENS1_37radix_sort_block_sort_config_selectorIbiEEZNS1_21radix_sort_block_sortIS4_Lb0EN6thrust23THRUST_200600_302600_NS6detail15normal_iteratorINS9_10device_ptrIbEEEESE_NSB_INSC_IiEEEESG_NS0_19identity_decomposerEEE10hipError_tT1_T2_T3_T4_jRjT5_jjP12ihipStream_tbEUlT_E_NS1_11comp_targetILNS1_3genE8ELNS1_11target_archE1030ELNS1_3gpuE2ELNS1_3repE0EEENS1_44radix_sort_block_sort_config_static_selectorELNS0_4arch9wavefront6targetE1EEEvSJ_.has_dyn_sized_stack, 0
	.set _ZN7rocprim17ROCPRIM_400000_NS6detail17trampoline_kernelINS0_13kernel_configILj256ELj4ELj4294967295EEENS1_37radix_sort_block_sort_config_selectorIbiEEZNS1_21radix_sort_block_sortIS4_Lb0EN6thrust23THRUST_200600_302600_NS6detail15normal_iteratorINS9_10device_ptrIbEEEESE_NSB_INSC_IiEEEESG_NS0_19identity_decomposerEEE10hipError_tT1_T2_T3_T4_jRjT5_jjP12ihipStream_tbEUlT_E_NS1_11comp_targetILNS1_3genE8ELNS1_11target_archE1030ELNS1_3gpuE2ELNS1_3repE0EEENS1_44radix_sort_block_sort_config_static_selectorELNS0_4arch9wavefront6targetE1EEEvSJ_.has_recursion, 0
	.set _ZN7rocprim17ROCPRIM_400000_NS6detail17trampoline_kernelINS0_13kernel_configILj256ELj4ELj4294967295EEENS1_37radix_sort_block_sort_config_selectorIbiEEZNS1_21radix_sort_block_sortIS4_Lb0EN6thrust23THRUST_200600_302600_NS6detail15normal_iteratorINS9_10device_ptrIbEEEESE_NSB_INSC_IiEEEESG_NS0_19identity_decomposerEEE10hipError_tT1_T2_T3_T4_jRjT5_jjP12ihipStream_tbEUlT_E_NS1_11comp_targetILNS1_3genE8ELNS1_11target_archE1030ELNS1_3gpuE2ELNS1_3repE0EEENS1_44radix_sort_block_sort_config_static_selectorELNS0_4arch9wavefront6targetE1EEEvSJ_.has_indirect_call, 0
	.section	.AMDGPU.csdata,"",@progbits
; Kernel info:
; codeLenInByte = 0
; TotalNumSgprs: 6
; NumVgprs: 0
; NumAgprs: 0
; TotalNumVgprs: 0
; ScratchSize: 0
; MemoryBound: 0
; FloatMode: 240
; IeeeMode: 1
; LDSByteSize: 0 bytes/workgroup (compile time only)
; SGPRBlocks: 0
; VGPRBlocks: 0
; NumSGPRsForWavesPerEU: 6
; NumVGPRsForWavesPerEU: 1
; AccumOffset: 4
; Occupancy: 8
; WaveLimiterHint : 0
; COMPUTE_PGM_RSRC2:SCRATCH_EN: 0
; COMPUTE_PGM_RSRC2:USER_SGPR: 2
; COMPUTE_PGM_RSRC2:TRAP_HANDLER: 0
; COMPUTE_PGM_RSRC2:TGID_X_EN: 1
; COMPUTE_PGM_RSRC2:TGID_Y_EN: 0
; COMPUTE_PGM_RSRC2:TGID_Z_EN: 0
; COMPUTE_PGM_RSRC2:TIDIG_COMP_CNT: 0
; COMPUTE_PGM_RSRC3_GFX90A:ACCUM_OFFSET: 0
; COMPUTE_PGM_RSRC3_GFX90A:TG_SPLIT: 0
	.section	.text._ZN7rocprim17ROCPRIM_400000_NS6detail44device_merge_sort_compile_time_verifier_archINS1_11comp_targetILNS1_3genE0ELNS1_11target_archE4294967295ELNS1_3gpuE0ELNS1_3repE0EEES8_NS1_28merge_sort_block_sort_configILj256ELj4ELNS0_20block_sort_algorithmE0EEENS0_14default_configENS1_37merge_sort_block_sort_config_selectorIbiEENS1_38merge_sort_block_merge_config_selectorIbiEEEEvv,"axG",@progbits,_ZN7rocprim17ROCPRIM_400000_NS6detail44device_merge_sort_compile_time_verifier_archINS1_11comp_targetILNS1_3genE0ELNS1_11target_archE4294967295ELNS1_3gpuE0ELNS1_3repE0EEES8_NS1_28merge_sort_block_sort_configILj256ELj4ELNS0_20block_sort_algorithmE0EEENS0_14default_configENS1_37merge_sort_block_sort_config_selectorIbiEENS1_38merge_sort_block_merge_config_selectorIbiEEEEvv,comdat
	.protected	_ZN7rocprim17ROCPRIM_400000_NS6detail44device_merge_sort_compile_time_verifier_archINS1_11comp_targetILNS1_3genE0ELNS1_11target_archE4294967295ELNS1_3gpuE0ELNS1_3repE0EEES8_NS1_28merge_sort_block_sort_configILj256ELj4ELNS0_20block_sort_algorithmE0EEENS0_14default_configENS1_37merge_sort_block_sort_config_selectorIbiEENS1_38merge_sort_block_merge_config_selectorIbiEEEEvv ; -- Begin function _ZN7rocprim17ROCPRIM_400000_NS6detail44device_merge_sort_compile_time_verifier_archINS1_11comp_targetILNS1_3genE0ELNS1_11target_archE4294967295ELNS1_3gpuE0ELNS1_3repE0EEES8_NS1_28merge_sort_block_sort_configILj256ELj4ELNS0_20block_sort_algorithmE0EEENS0_14default_configENS1_37merge_sort_block_sort_config_selectorIbiEENS1_38merge_sort_block_merge_config_selectorIbiEEEEvv
	.globl	_ZN7rocprim17ROCPRIM_400000_NS6detail44device_merge_sort_compile_time_verifier_archINS1_11comp_targetILNS1_3genE0ELNS1_11target_archE4294967295ELNS1_3gpuE0ELNS1_3repE0EEES8_NS1_28merge_sort_block_sort_configILj256ELj4ELNS0_20block_sort_algorithmE0EEENS0_14default_configENS1_37merge_sort_block_sort_config_selectorIbiEENS1_38merge_sort_block_merge_config_selectorIbiEEEEvv
	.p2align	8
	.type	_ZN7rocprim17ROCPRIM_400000_NS6detail44device_merge_sort_compile_time_verifier_archINS1_11comp_targetILNS1_3genE0ELNS1_11target_archE4294967295ELNS1_3gpuE0ELNS1_3repE0EEES8_NS1_28merge_sort_block_sort_configILj256ELj4ELNS0_20block_sort_algorithmE0EEENS0_14default_configENS1_37merge_sort_block_sort_config_selectorIbiEENS1_38merge_sort_block_merge_config_selectorIbiEEEEvv,@function
_ZN7rocprim17ROCPRIM_400000_NS6detail44device_merge_sort_compile_time_verifier_archINS1_11comp_targetILNS1_3genE0ELNS1_11target_archE4294967295ELNS1_3gpuE0ELNS1_3repE0EEES8_NS1_28merge_sort_block_sort_configILj256ELj4ELNS0_20block_sort_algorithmE0EEENS0_14default_configENS1_37merge_sort_block_sort_config_selectorIbiEENS1_38merge_sort_block_merge_config_selectorIbiEEEEvv: ; @_ZN7rocprim17ROCPRIM_400000_NS6detail44device_merge_sort_compile_time_verifier_archINS1_11comp_targetILNS1_3genE0ELNS1_11target_archE4294967295ELNS1_3gpuE0ELNS1_3repE0EEES8_NS1_28merge_sort_block_sort_configILj256ELj4ELNS0_20block_sort_algorithmE0EEENS0_14default_configENS1_37merge_sort_block_sort_config_selectorIbiEENS1_38merge_sort_block_merge_config_selectorIbiEEEEvv
; %bb.0:
	s_endpgm
	.section	.rodata,"a",@progbits
	.p2align	6, 0x0
	.amdhsa_kernel _ZN7rocprim17ROCPRIM_400000_NS6detail44device_merge_sort_compile_time_verifier_archINS1_11comp_targetILNS1_3genE0ELNS1_11target_archE4294967295ELNS1_3gpuE0ELNS1_3repE0EEES8_NS1_28merge_sort_block_sort_configILj256ELj4ELNS0_20block_sort_algorithmE0EEENS0_14default_configENS1_37merge_sort_block_sort_config_selectorIbiEENS1_38merge_sort_block_merge_config_selectorIbiEEEEvv
		.amdhsa_group_segment_fixed_size 0
		.amdhsa_private_segment_fixed_size 0
		.amdhsa_kernarg_size 0
		.amdhsa_user_sgpr_count 0
		.amdhsa_user_sgpr_dispatch_ptr 0
		.amdhsa_user_sgpr_queue_ptr 0
		.amdhsa_user_sgpr_kernarg_segment_ptr 0
		.amdhsa_user_sgpr_dispatch_id 0
		.amdhsa_user_sgpr_kernarg_preload_length 0
		.amdhsa_user_sgpr_kernarg_preload_offset 0
		.amdhsa_user_sgpr_private_segment_size 0
		.amdhsa_uses_dynamic_stack 0
		.amdhsa_enable_private_segment 0
		.amdhsa_system_sgpr_workgroup_id_x 1
		.amdhsa_system_sgpr_workgroup_id_y 0
		.amdhsa_system_sgpr_workgroup_id_z 0
		.amdhsa_system_sgpr_workgroup_info 0
		.amdhsa_system_vgpr_workitem_id 0
		.amdhsa_next_free_vgpr 1
		.amdhsa_next_free_sgpr 0
		.amdhsa_accum_offset 4
		.amdhsa_reserve_vcc 0
		.amdhsa_float_round_mode_32 0
		.amdhsa_float_round_mode_16_64 0
		.amdhsa_float_denorm_mode_32 3
		.amdhsa_float_denorm_mode_16_64 3
		.amdhsa_dx10_clamp 1
		.amdhsa_ieee_mode 1
		.amdhsa_fp16_overflow 0
		.amdhsa_tg_split 0
		.amdhsa_exception_fp_ieee_invalid_op 0
		.amdhsa_exception_fp_denorm_src 0
		.amdhsa_exception_fp_ieee_div_zero 0
		.amdhsa_exception_fp_ieee_overflow 0
		.amdhsa_exception_fp_ieee_underflow 0
		.amdhsa_exception_fp_ieee_inexact 0
		.amdhsa_exception_int_div_zero 0
	.end_amdhsa_kernel
	.section	.text._ZN7rocprim17ROCPRIM_400000_NS6detail44device_merge_sort_compile_time_verifier_archINS1_11comp_targetILNS1_3genE0ELNS1_11target_archE4294967295ELNS1_3gpuE0ELNS1_3repE0EEES8_NS1_28merge_sort_block_sort_configILj256ELj4ELNS0_20block_sort_algorithmE0EEENS0_14default_configENS1_37merge_sort_block_sort_config_selectorIbiEENS1_38merge_sort_block_merge_config_selectorIbiEEEEvv,"axG",@progbits,_ZN7rocprim17ROCPRIM_400000_NS6detail44device_merge_sort_compile_time_verifier_archINS1_11comp_targetILNS1_3genE0ELNS1_11target_archE4294967295ELNS1_3gpuE0ELNS1_3repE0EEES8_NS1_28merge_sort_block_sort_configILj256ELj4ELNS0_20block_sort_algorithmE0EEENS0_14default_configENS1_37merge_sort_block_sort_config_selectorIbiEENS1_38merge_sort_block_merge_config_selectorIbiEEEEvv,comdat
.Lfunc_end1900:
	.size	_ZN7rocprim17ROCPRIM_400000_NS6detail44device_merge_sort_compile_time_verifier_archINS1_11comp_targetILNS1_3genE0ELNS1_11target_archE4294967295ELNS1_3gpuE0ELNS1_3repE0EEES8_NS1_28merge_sort_block_sort_configILj256ELj4ELNS0_20block_sort_algorithmE0EEENS0_14default_configENS1_37merge_sort_block_sort_config_selectorIbiEENS1_38merge_sort_block_merge_config_selectorIbiEEEEvv, .Lfunc_end1900-_ZN7rocprim17ROCPRIM_400000_NS6detail44device_merge_sort_compile_time_verifier_archINS1_11comp_targetILNS1_3genE0ELNS1_11target_archE4294967295ELNS1_3gpuE0ELNS1_3repE0EEES8_NS1_28merge_sort_block_sort_configILj256ELj4ELNS0_20block_sort_algorithmE0EEENS0_14default_configENS1_37merge_sort_block_sort_config_selectorIbiEENS1_38merge_sort_block_merge_config_selectorIbiEEEEvv
                                        ; -- End function
	.set _ZN7rocprim17ROCPRIM_400000_NS6detail44device_merge_sort_compile_time_verifier_archINS1_11comp_targetILNS1_3genE0ELNS1_11target_archE4294967295ELNS1_3gpuE0ELNS1_3repE0EEES8_NS1_28merge_sort_block_sort_configILj256ELj4ELNS0_20block_sort_algorithmE0EEENS0_14default_configENS1_37merge_sort_block_sort_config_selectorIbiEENS1_38merge_sort_block_merge_config_selectorIbiEEEEvv.num_vgpr, 0
	.set _ZN7rocprim17ROCPRIM_400000_NS6detail44device_merge_sort_compile_time_verifier_archINS1_11comp_targetILNS1_3genE0ELNS1_11target_archE4294967295ELNS1_3gpuE0ELNS1_3repE0EEES8_NS1_28merge_sort_block_sort_configILj256ELj4ELNS0_20block_sort_algorithmE0EEENS0_14default_configENS1_37merge_sort_block_sort_config_selectorIbiEENS1_38merge_sort_block_merge_config_selectorIbiEEEEvv.num_agpr, 0
	.set _ZN7rocprim17ROCPRIM_400000_NS6detail44device_merge_sort_compile_time_verifier_archINS1_11comp_targetILNS1_3genE0ELNS1_11target_archE4294967295ELNS1_3gpuE0ELNS1_3repE0EEES8_NS1_28merge_sort_block_sort_configILj256ELj4ELNS0_20block_sort_algorithmE0EEENS0_14default_configENS1_37merge_sort_block_sort_config_selectorIbiEENS1_38merge_sort_block_merge_config_selectorIbiEEEEvv.numbered_sgpr, 0
	.set _ZN7rocprim17ROCPRIM_400000_NS6detail44device_merge_sort_compile_time_verifier_archINS1_11comp_targetILNS1_3genE0ELNS1_11target_archE4294967295ELNS1_3gpuE0ELNS1_3repE0EEES8_NS1_28merge_sort_block_sort_configILj256ELj4ELNS0_20block_sort_algorithmE0EEENS0_14default_configENS1_37merge_sort_block_sort_config_selectorIbiEENS1_38merge_sort_block_merge_config_selectorIbiEEEEvv.num_named_barrier, 0
	.set _ZN7rocprim17ROCPRIM_400000_NS6detail44device_merge_sort_compile_time_verifier_archINS1_11comp_targetILNS1_3genE0ELNS1_11target_archE4294967295ELNS1_3gpuE0ELNS1_3repE0EEES8_NS1_28merge_sort_block_sort_configILj256ELj4ELNS0_20block_sort_algorithmE0EEENS0_14default_configENS1_37merge_sort_block_sort_config_selectorIbiEENS1_38merge_sort_block_merge_config_selectorIbiEEEEvv.private_seg_size, 0
	.set _ZN7rocprim17ROCPRIM_400000_NS6detail44device_merge_sort_compile_time_verifier_archINS1_11comp_targetILNS1_3genE0ELNS1_11target_archE4294967295ELNS1_3gpuE0ELNS1_3repE0EEES8_NS1_28merge_sort_block_sort_configILj256ELj4ELNS0_20block_sort_algorithmE0EEENS0_14default_configENS1_37merge_sort_block_sort_config_selectorIbiEENS1_38merge_sort_block_merge_config_selectorIbiEEEEvv.uses_vcc, 0
	.set _ZN7rocprim17ROCPRIM_400000_NS6detail44device_merge_sort_compile_time_verifier_archINS1_11comp_targetILNS1_3genE0ELNS1_11target_archE4294967295ELNS1_3gpuE0ELNS1_3repE0EEES8_NS1_28merge_sort_block_sort_configILj256ELj4ELNS0_20block_sort_algorithmE0EEENS0_14default_configENS1_37merge_sort_block_sort_config_selectorIbiEENS1_38merge_sort_block_merge_config_selectorIbiEEEEvv.uses_flat_scratch, 0
	.set _ZN7rocprim17ROCPRIM_400000_NS6detail44device_merge_sort_compile_time_verifier_archINS1_11comp_targetILNS1_3genE0ELNS1_11target_archE4294967295ELNS1_3gpuE0ELNS1_3repE0EEES8_NS1_28merge_sort_block_sort_configILj256ELj4ELNS0_20block_sort_algorithmE0EEENS0_14default_configENS1_37merge_sort_block_sort_config_selectorIbiEENS1_38merge_sort_block_merge_config_selectorIbiEEEEvv.has_dyn_sized_stack, 0
	.set _ZN7rocprim17ROCPRIM_400000_NS6detail44device_merge_sort_compile_time_verifier_archINS1_11comp_targetILNS1_3genE0ELNS1_11target_archE4294967295ELNS1_3gpuE0ELNS1_3repE0EEES8_NS1_28merge_sort_block_sort_configILj256ELj4ELNS0_20block_sort_algorithmE0EEENS0_14default_configENS1_37merge_sort_block_sort_config_selectorIbiEENS1_38merge_sort_block_merge_config_selectorIbiEEEEvv.has_recursion, 0
	.set _ZN7rocprim17ROCPRIM_400000_NS6detail44device_merge_sort_compile_time_verifier_archINS1_11comp_targetILNS1_3genE0ELNS1_11target_archE4294967295ELNS1_3gpuE0ELNS1_3repE0EEES8_NS1_28merge_sort_block_sort_configILj256ELj4ELNS0_20block_sort_algorithmE0EEENS0_14default_configENS1_37merge_sort_block_sort_config_selectorIbiEENS1_38merge_sort_block_merge_config_selectorIbiEEEEvv.has_indirect_call, 0
	.section	.AMDGPU.csdata,"",@progbits
; Kernel info:
; codeLenInByte = 4
; TotalNumSgprs: 6
; NumVgprs: 0
; NumAgprs: 0
; TotalNumVgprs: 0
; ScratchSize: 0
; MemoryBound: 0
; FloatMode: 240
; IeeeMode: 1
; LDSByteSize: 0 bytes/workgroup (compile time only)
; SGPRBlocks: 0
; VGPRBlocks: 0
; NumSGPRsForWavesPerEU: 6
; NumVGPRsForWavesPerEU: 1
; AccumOffset: 4
; Occupancy: 8
; WaveLimiterHint : 0
; COMPUTE_PGM_RSRC2:SCRATCH_EN: 0
; COMPUTE_PGM_RSRC2:USER_SGPR: 0
; COMPUTE_PGM_RSRC2:TRAP_HANDLER: 0
; COMPUTE_PGM_RSRC2:TGID_X_EN: 1
; COMPUTE_PGM_RSRC2:TGID_Y_EN: 0
; COMPUTE_PGM_RSRC2:TGID_Z_EN: 0
; COMPUTE_PGM_RSRC2:TIDIG_COMP_CNT: 0
; COMPUTE_PGM_RSRC3_GFX90A:ACCUM_OFFSET: 0
; COMPUTE_PGM_RSRC3_GFX90A:TG_SPLIT: 0
	.section	.text._ZN7rocprim17ROCPRIM_400000_NS6detail44device_merge_sort_compile_time_verifier_archINS1_11comp_targetILNS1_3genE5ELNS1_11target_archE942ELNS1_3gpuE9ELNS1_3repE0EEES8_NS1_28merge_sort_block_sort_configILj256ELj4ELNS0_20block_sort_algorithmE0EEENS0_14default_configENS1_37merge_sort_block_sort_config_selectorIbiEENS1_38merge_sort_block_merge_config_selectorIbiEEEEvv,"axG",@progbits,_ZN7rocprim17ROCPRIM_400000_NS6detail44device_merge_sort_compile_time_verifier_archINS1_11comp_targetILNS1_3genE5ELNS1_11target_archE942ELNS1_3gpuE9ELNS1_3repE0EEES8_NS1_28merge_sort_block_sort_configILj256ELj4ELNS0_20block_sort_algorithmE0EEENS0_14default_configENS1_37merge_sort_block_sort_config_selectorIbiEENS1_38merge_sort_block_merge_config_selectorIbiEEEEvv,comdat
	.protected	_ZN7rocprim17ROCPRIM_400000_NS6detail44device_merge_sort_compile_time_verifier_archINS1_11comp_targetILNS1_3genE5ELNS1_11target_archE942ELNS1_3gpuE9ELNS1_3repE0EEES8_NS1_28merge_sort_block_sort_configILj256ELj4ELNS0_20block_sort_algorithmE0EEENS0_14default_configENS1_37merge_sort_block_sort_config_selectorIbiEENS1_38merge_sort_block_merge_config_selectorIbiEEEEvv ; -- Begin function _ZN7rocprim17ROCPRIM_400000_NS6detail44device_merge_sort_compile_time_verifier_archINS1_11comp_targetILNS1_3genE5ELNS1_11target_archE942ELNS1_3gpuE9ELNS1_3repE0EEES8_NS1_28merge_sort_block_sort_configILj256ELj4ELNS0_20block_sort_algorithmE0EEENS0_14default_configENS1_37merge_sort_block_sort_config_selectorIbiEENS1_38merge_sort_block_merge_config_selectorIbiEEEEvv
	.globl	_ZN7rocprim17ROCPRIM_400000_NS6detail44device_merge_sort_compile_time_verifier_archINS1_11comp_targetILNS1_3genE5ELNS1_11target_archE942ELNS1_3gpuE9ELNS1_3repE0EEES8_NS1_28merge_sort_block_sort_configILj256ELj4ELNS0_20block_sort_algorithmE0EEENS0_14default_configENS1_37merge_sort_block_sort_config_selectorIbiEENS1_38merge_sort_block_merge_config_selectorIbiEEEEvv
	.p2align	8
	.type	_ZN7rocprim17ROCPRIM_400000_NS6detail44device_merge_sort_compile_time_verifier_archINS1_11comp_targetILNS1_3genE5ELNS1_11target_archE942ELNS1_3gpuE9ELNS1_3repE0EEES8_NS1_28merge_sort_block_sort_configILj256ELj4ELNS0_20block_sort_algorithmE0EEENS0_14default_configENS1_37merge_sort_block_sort_config_selectorIbiEENS1_38merge_sort_block_merge_config_selectorIbiEEEEvv,@function
_ZN7rocprim17ROCPRIM_400000_NS6detail44device_merge_sort_compile_time_verifier_archINS1_11comp_targetILNS1_3genE5ELNS1_11target_archE942ELNS1_3gpuE9ELNS1_3repE0EEES8_NS1_28merge_sort_block_sort_configILj256ELj4ELNS0_20block_sort_algorithmE0EEENS0_14default_configENS1_37merge_sort_block_sort_config_selectorIbiEENS1_38merge_sort_block_merge_config_selectorIbiEEEEvv: ; @_ZN7rocprim17ROCPRIM_400000_NS6detail44device_merge_sort_compile_time_verifier_archINS1_11comp_targetILNS1_3genE5ELNS1_11target_archE942ELNS1_3gpuE9ELNS1_3repE0EEES8_NS1_28merge_sort_block_sort_configILj256ELj4ELNS0_20block_sort_algorithmE0EEENS0_14default_configENS1_37merge_sort_block_sort_config_selectorIbiEENS1_38merge_sort_block_merge_config_selectorIbiEEEEvv
; %bb.0:
	s_endpgm
	.section	.rodata,"a",@progbits
	.p2align	6, 0x0
	.amdhsa_kernel _ZN7rocprim17ROCPRIM_400000_NS6detail44device_merge_sort_compile_time_verifier_archINS1_11comp_targetILNS1_3genE5ELNS1_11target_archE942ELNS1_3gpuE9ELNS1_3repE0EEES8_NS1_28merge_sort_block_sort_configILj256ELj4ELNS0_20block_sort_algorithmE0EEENS0_14default_configENS1_37merge_sort_block_sort_config_selectorIbiEENS1_38merge_sort_block_merge_config_selectorIbiEEEEvv
		.amdhsa_group_segment_fixed_size 0
		.amdhsa_private_segment_fixed_size 0
		.amdhsa_kernarg_size 0
		.amdhsa_user_sgpr_count 0
		.amdhsa_user_sgpr_dispatch_ptr 0
		.amdhsa_user_sgpr_queue_ptr 0
		.amdhsa_user_sgpr_kernarg_segment_ptr 0
		.amdhsa_user_sgpr_dispatch_id 0
		.amdhsa_user_sgpr_kernarg_preload_length 0
		.amdhsa_user_sgpr_kernarg_preload_offset 0
		.amdhsa_user_sgpr_private_segment_size 0
		.amdhsa_uses_dynamic_stack 0
		.amdhsa_enable_private_segment 0
		.amdhsa_system_sgpr_workgroup_id_x 1
		.amdhsa_system_sgpr_workgroup_id_y 0
		.amdhsa_system_sgpr_workgroup_id_z 0
		.amdhsa_system_sgpr_workgroup_info 0
		.amdhsa_system_vgpr_workitem_id 0
		.amdhsa_next_free_vgpr 1
		.amdhsa_next_free_sgpr 0
		.amdhsa_accum_offset 4
		.amdhsa_reserve_vcc 0
		.amdhsa_float_round_mode_32 0
		.amdhsa_float_round_mode_16_64 0
		.amdhsa_float_denorm_mode_32 3
		.amdhsa_float_denorm_mode_16_64 3
		.amdhsa_dx10_clamp 1
		.amdhsa_ieee_mode 1
		.amdhsa_fp16_overflow 0
		.amdhsa_tg_split 0
		.amdhsa_exception_fp_ieee_invalid_op 0
		.amdhsa_exception_fp_denorm_src 0
		.amdhsa_exception_fp_ieee_div_zero 0
		.amdhsa_exception_fp_ieee_overflow 0
		.amdhsa_exception_fp_ieee_underflow 0
		.amdhsa_exception_fp_ieee_inexact 0
		.amdhsa_exception_int_div_zero 0
	.end_amdhsa_kernel
	.section	.text._ZN7rocprim17ROCPRIM_400000_NS6detail44device_merge_sort_compile_time_verifier_archINS1_11comp_targetILNS1_3genE5ELNS1_11target_archE942ELNS1_3gpuE9ELNS1_3repE0EEES8_NS1_28merge_sort_block_sort_configILj256ELj4ELNS0_20block_sort_algorithmE0EEENS0_14default_configENS1_37merge_sort_block_sort_config_selectorIbiEENS1_38merge_sort_block_merge_config_selectorIbiEEEEvv,"axG",@progbits,_ZN7rocprim17ROCPRIM_400000_NS6detail44device_merge_sort_compile_time_verifier_archINS1_11comp_targetILNS1_3genE5ELNS1_11target_archE942ELNS1_3gpuE9ELNS1_3repE0EEES8_NS1_28merge_sort_block_sort_configILj256ELj4ELNS0_20block_sort_algorithmE0EEENS0_14default_configENS1_37merge_sort_block_sort_config_selectorIbiEENS1_38merge_sort_block_merge_config_selectorIbiEEEEvv,comdat
.Lfunc_end1901:
	.size	_ZN7rocprim17ROCPRIM_400000_NS6detail44device_merge_sort_compile_time_verifier_archINS1_11comp_targetILNS1_3genE5ELNS1_11target_archE942ELNS1_3gpuE9ELNS1_3repE0EEES8_NS1_28merge_sort_block_sort_configILj256ELj4ELNS0_20block_sort_algorithmE0EEENS0_14default_configENS1_37merge_sort_block_sort_config_selectorIbiEENS1_38merge_sort_block_merge_config_selectorIbiEEEEvv, .Lfunc_end1901-_ZN7rocprim17ROCPRIM_400000_NS6detail44device_merge_sort_compile_time_verifier_archINS1_11comp_targetILNS1_3genE5ELNS1_11target_archE942ELNS1_3gpuE9ELNS1_3repE0EEES8_NS1_28merge_sort_block_sort_configILj256ELj4ELNS0_20block_sort_algorithmE0EEENS0_14default_configENS1_37merge_sort_block_sort_config_selectorIbiEENS1_38merge_sort_block_merge_config_selectorIbiEEEEvv
                                        ; -- End function
	.set _ZN7rocprim17ROCPRIM_400000_NS6detail44device_merge_sort_compile_time_verifier_archINS1_11comp_targetILNS1_3genE5ELNS1_11target_archE942ELNS1_3gpuE9ELNS1_3repE0EEES8_NS1_28merge_sort_block_sort_configILj256ELj4ELNS0_20block_sort_algorithmE0EEENS0_14default_configENS1_37merge_sort_block_sort_config_selectorIbiEENS1_38merge_sort_block_merge_config_selectorIbiEEEEvv.num_vgpr, 0
	.set _ZN7rocprim17ROCPRIM_400000_NS6detail44device_merge_sort_compile_time_verifier_archINS1_11comp_targetILNS1_3genE5ELNS1_11target_archE942ELNS1_3gpuE9ELNS1_3repE0EEES8_NS1_28merge_sort_block_sort_configILj256ELj4ELNS0_20block_sort_algorithmE0EEENS0_14default_configENS1_37merge_sort_block_sort_config_selectorIbiEENS1_38merge_sort_block_merge_config_selectorIbiEEEEvv.num_agpr, 0
	.set _ZN7rocprim17ROCPRIM_400000_NS6detail44device_merge_sort_compile_time_verifier_archINS1_11comp_targetILNS1_3genE5ELNS1_11target_archE942ELNS1_3gpuE9ELNS1_3repE0EEES8_NS1_28merge_sort_block_sort_configILj256ELj4ELNS0_20block_sort_algorithmE0EEENS0_14default_configENS1_37merge_sort_block_sort_config_selectorIbiEENS1_38merge_sort_block_merge_config_selectorIbiEEEEvv.numbered_sgpr, 0
	.set _ZN7rocprim17ROCPRIM_400000_NS6detail44device_merge_sort_compile_time_verifier_archINS1_11comp_targetILNS1_3genE5ELNS1_11target_archE942ELNS1_3gpuE9ELNS1_3repE0EEES8_NS1_28merge_sort_block_sort_configILj256ELj4ELNS0_20block_sort_algorithmE0EEENS0_14default_configENS1_37merge_sort_block_sort_config_selectorIbiEENS1_38merge_sort_block_merge_config_selectorIbiEEEEvv.num_named_barrier, 0
	.set _ZN7rocprim17ROCPRIM_400000_NS6detail44device_merge_sort_compile_time_verifier_archINS1_11comp_targetILNS1_3genE5ELNS1_11target_archE942ELNS1_3gpuE9ELNS1_3repE0EEES8_NS1_28merge_sort_block_sort_configILj256ELj4ELNS0_20block_sort_algorithmE0EEENS0_14default_configENS1_37merge_sort_block_sort_config_selectorIbiEENS1_38merge_sort_block_merge_config_selectorIbiEEEEvv.private_seg_size, 0
	.set _ZN7rocprim17ROCPRIM_400000_NS6detail44device_merge_sort_compile_time_verifier_archINS1_11comp_targetILNS1_3genE5ELNS1_11target_archE942ELNS1_3gpuE9ELNS1_3repE0EEES8_NS1_28merge_sort_block_sort_configILj256ELj4ELNS0_20block_sort_algorithmE0EEENS0_14default_configENS1_37merge_sort_block_sort_config_selectorIbiEENS1_38merge_sort_block_merge_config_selectorIbiEEEEvv.uses_vcc, 0
	.set _ZN7rocprim17ROCPRIM_400000_NS6detail44device_merge_sort_compile_time_verifier_archINS1_11comp_targetILNS1_3genE5ELNS1_11target_archE942ELNS1_3gpuE9ELNS1_3repE0EEES8_NS1_28merge_sort_block_sort_configILj256ELj4ELNS0_20block_sort_algorithmE0EEENS0_14default_configENS1_37merge_sort_block_sort_config_selectorIbiEENS1_38merge_sort_block_merge_config_selectorIbiEEEEvv.uses_flat_scratch, 0
	.set _ZN7rocprim17ROCPRIM_400000_NS6detail44device_merge_sort_compile_time_verifier_archINS1_11comp_targetILNS1_3genE5ELNS1_11target_archE942ELNS1_3gpuE9ELNS1_3repE0EEES8_NS1_28merge_sort_block_sort_configILj256ELj4ELNS0_20block_sort_algorithmE0EEENS0_14default_configENS1_37merge_sort_block_sort_config_selectorIbiEENS1_38merge_sort_block_merge_config_selectorIbiEEEEvv.has_dyn_sized_stack, 0
	.set _ZN7rocprim17ROCPRIM_400000_NS6detail44device_merge_sort_compile_time_verifier_archINS1_11comp_targetILNS1_3genE5ELNS1_11target_archE942ELNS1_3gpuE9ELNS1_3repE0EEES8_NS1_28merge_sort_block_sort_configILj256ELj4ELNS0_20block_sort_algorithmE0EEENS0_14default_configENS1_37merge_sort_block_sort_config_selectorIbiEENS1_38merge_sort_block_merge_config_selectorIbiEEEEvv.has_recursion, 0
	.set _ZN7rocprim17ROCPRIM_400000_NS6detail44device_merge_sort_compile_time_verifier_archINS1_11comp_targetILNS1_3genE5ELNS1_11target_archE942ELNS1_3gpuE9ELNS1_3repE0EEES8_NS1_28merge_sort_block_sort_configILj256ELj4ELNS0_20block_sort_algorithmE0EEENS0_14default_configENS1_37merge_sort_block_sort_config_selectorIbiEENS1_38merge_sort_block_merge_config_selectorIbiEEEEvv.has_indirect_call, 0
	.section	.AMDGPU.csdata,"",@progbits
; Kernel info:
; codeLenInByte = 4
; TotalNumSgprs: 6
; NumVgprs: 0
; NumAgprs: 0
; TotalNumVgprs: 0
; ScratchSize: 0
; MemoryBound: 0
; FloatMode: 240
; IeeeMode: 1
; LDSByteSize: 0 bytes/workgroup (compile time only)
; SGPRBlocks: 0
; VGPRBlocks: 0
; NumSGPRsForWavesPerEU: 6
; NumVGPRsForWavesPerEU: 1
; AccumOffset: 4
; Occupancy: 8
; WaveLimiterHint : 0
; COMPUTE_PGM_RSRC2:SCRATCH_EN: 0
; COMPUTE_PGM_RSRC2:USER_SGPR: 0
; COMPUTE_PGM_RSRC2:TRAP_HANDLER: 0
; COMPUTE_PGM_RSRC2:TGID_X_EN: 1
; COMPUTE_PGM_RSRC2:TGID_Y_EN: 0
; COMPUTE_PGM_RSRC2:TGID_Z_EN: 0
; COMPUTE_PGM_RSRC2:TIDIG_COMP_CNT: 0
; COMPUTE_PGM_RSRC3_GFX90A:ACCUM_OFFSET: 0
; COMPUTE_PGM_RSRC3_GFX90A:TG_SPLIT: 0
	.section	.text._ZN7rocprim17ROCPRIM_400000_NS6detail44device_merge_sort_compile_time_verifier_archINS1_11comp_targetILNS1_3genE4ELNS1_11target_archE910ELNS1_3gpuE8ELNS1_3repE0EEES8_NS1_28merge_sort_block_sort_configILj256ELj4ELNS0_20block_sort_algorithmE0EEENS0_14default_configENS1_37merge_sort_block_sort_config_selectorIbiEENS1_38merge_sort_block_merge_config_selectorIbiEEEEvv,"axG",@progbits,_ZN7rocprim17ROCPRIM_400000_NS6detail44device_merge_sort_compile_time_verifier_archINS1_11comp_targetILNS1_3genE4ELNS1_11target_archE910ELNS1_3gpuE8ELNS1_3repE0EEES8_NS1_28merge_sort_block_sort_configILj256ELj4ELNS0_20block_sort_algorithmE0EEENS0_14default_configENS1_37merge_sort_block_sort_config_selectorIbiEENS1_38merge_sort_block_merge_config_selectorIbiEEEEvv,comdat
	.protected	_ZN7rocprim17ROCPRIM_400000_NS6detail44device_merge_sort_compile_time_verifier_archINS1_11comp_targetILNS1_3genE4ELNS1_11target_archE910ELNS1_3gpuE8ELNS1_3repE0EEES8_NS1_28merge_sort_block_sort_configILj256ELj4ELNS0_20block_sort_algorithmE0EEENS0_14default_configENS1_37merge_sort_block_sort_config_selectorIbiEENS1_38merge_sort_block_merge_config_selectorIbiEEEEvv ; -- Begin function _ZN7rocprim17ROCPRIM_400000_NS6detail44device_merge_sort_compile_time_verifier_archINS1_11comp_targetILNS1_3genE4ELNS1_11target_archE910ELNS1_3gpuE8ELNS1_3repE0EEES8_NS1_28merge_sort_block_sort_configILj256ELj4ELNS0_20block_sort_algorithmE0EEENS0_14default_configENS1_37merge_sort_block_sort_config_selectorIbiEENS1_38merge_sort_block_merge_config_selectorIbiEEEEvv
	.globl	_ZN7rocprim17ROCPRIM_400000_NS6detail44device_merge_sort_compile_time_verifier_archINS1_11comp_targetILNS1_3genE4ELNS1_11target_archE910ELNS1_3gpuE8ELNS1_3repE0EEES8_NS1_28merge_sort_block_sort_configILj256ELj4ELNS0_20block_sort_algorithmE0EEENS0_14default_configENS1_37merge_sort_block_sort_config_selectorIbiEENS1_38merge_sort_block_merge_config_selectorIbiEEEEvv
	.p2align	8
	.type	_ZN7rocprim17ROCPRIM_400000_NS6detail44device_merge_sort_compile_time_verifier_archINS1_11comp_targetILNS1_3genE4ELNS1_11target_archE910ELNS1_3gpuE8ELNS1_3repE0EEES8_NS1_28merge_sort_block_sort_configILj256ELj4ELNS0_20block_sort_algorithmE0EEENS0_14default_configENS1_37merge_sort_block_sort_config_selectorIbiEENS1_38merge_sort_block_merge_config_selectorIbiEEEEvv,@function
_ZN7rocprim17ROCPRIM_400000_NS6detail44device_merge_sort_compile_time_verifier_archINS1_11comp_targetILNS1_3genE4ELNS1_11target_archE910ELNS1_3gpuE8ELNS1_3repE0EEES8_NS1_28merge_sort_block_sort_configILj256ELj4ELNS0_20block_sort_algorithmE0EEENS0_14default_configENS1_37merge_sort_block_sort_config_selectorIbiEENS1_38merge_sort_block_merge_config_selectorIbiEEEEvv: ; @_ZN7rocprim17ROCPRIM_400000_NS6detail44device_merge_sort_compile_time_verifier_archINS1_11comp_targetILNS1_3genE4ELNS1_11target_archE910ELNS1_3gpuE8ELNS1_3repE0EEES8_NS1_28merge_sort_block_sort_configILj256ELj4ELNS0_20block_sort_algorithmE0EEENS0_14default_configENS1_37merge_sort_block_sort_config_selectorIbiEENS1_38merge_sort_block_merge_config_selectorIbiEEEEvv
; %bb.0:
	s_endpgm
	.section	.rodata,"a",@progbits
	.p2align	6, 0x0
	.amdhsa_kernel _ZN7rocprim17ROCPRIM_400000_NS6detail44device_merge_sort_compile_time_verifier_archINS1_11comp_targetILNS1_3genE4ELNS1_11target_archE910ELNS1_3gpuE8ELNS1_3repE0EEES8_NS1_28merge_sort_block_sort_configILj256ELj4ELNS0_20block_sort_algorithmE0EEENS0_14default_configENS1_37merge_sort_block_sort_config_selectorIbiEENS1_38merge_sort_block_merge_config_selectorIbiEEEEvv
		.amdhsa_group_segment_fixed_size 0
		.amdhsa_private_segment_fixed_size 0
		.amdhsa_kernarg_size 0
		.amdhsa_user_sgpr_count 0
		.amdhsa_user_sgpr_dispatch_ptr 0
		.amdhsa_user_sgpr_queue_ptr 0
		.amdhsa_user_sgpr_kernarg_segment_ptr 0
		.amdhsa_user_sgpr_dispatch_id 0
		.amdhsa_user_sgpr_kernarg_preload_length 0
		.amdhsa_user_sgpr_kernarg_preload_offset 0
		.amdhsa_user_sgpr_private_segment_size 0
		.amdhsa_uses_dynamic_stack 0
		.amdhsa_enable_private_segment 0
		.amdhsa_system_sgpr_workgroup_id_x 1
		.amdhsa_system_sgpr_workgroup_id_y 0
		.amdhsa_system_sgpr_workgroup_id_z 0
		.amdhsa_system_sgpr_workgroup_info 0
		.amdhsa_system_vgpr_workitem_id 0
		.amdhsa_next_free_vgpr 1
		.amdhsa_next_free_sgpr 0
		.amdhsa_accum_offset 4
		.amdhsa_reserve_vcc 0
		.amdhsa_float_round_mode_32 0
		.amdhsa_float_round_mode_16_64 0
		.amdhsa_float_denorm_mode_32 3
		.amdhsa_float_denorm_mode_16_64 3
		.amdhsa_dx10_clamp 1
		.amdhsa_ieee_mode 1
		.amdhsa_fp16_overflow 0
		.amdhsa_tg_split 0
		.amdhsa_exception_fp_ieee_invalid_op 0
		.amdhsa_exception_fp_denorm_src 0
		.amdhsa_exception_fp_ieee_div_zero 0
		.amdhsa_exception_fp_ieee_overflow 0
		.amdhsa_exception_fp_ieee_underflow 0
		.amdhsa_exception_fp_ieee_inexact 0
		.amdhsa_exception_int_div_zero 0
	.end_amdhsa_kernel
	.section	.text._ZN7rocprim17ROCPRIM_400000_NS6detail44device_merge_sort_compile_time_verifier_archINS1_11comp_targetILNS1_3genE4ELNS1_11target_archE910ELNS1_3gpuE8ELNS1_3repE0EEES8_NS1_28merge_sort_block_sort_configILj256ELj4ELNS0_20block_sort_algorithmE0EEENS0_14default_configENS1_37merge_sort_block_sort_config_selectorIbiEENS1_38merge_sort_block_merge_config_selectorIbiEEEEvv,"axG",@progbits,_ZN7rocprim17ROCPRIM_400000_NS6detail44device_merge_sort_compile_time_verifier_archINS1_11comp_targetILNS1_3genE4ELNS1_11target_archE910ELNS1_3gpuE8ELNS1_3repE0EEES8_NS1_28merge_sort_block_sort_configILj256ELj4ELNS0_20block_sort_algorithmE0EEENS0_14default_configENS1_37merge_sort_block_sort_config_selectorIbiEENS1_38merge_sort_block_merge_config_selectorIbiEEEEvv,comdat
.Lfunc_end1902:
	.size	_ZN7rocprim17ROCPRIM_400000_NS6detail44device_merge_sort_compile_time_verifier_archINS1_11comp_targetILNS1_3genE4ELNS1_11target_archE910ELNS1_3gpuE8ELNS1_3repE0EEES8_NS1_28merge_sort_block_sort_configILj256ELj4ELNS0_20block_sort_algorithmE0EEENS0_14default_configENS1_37merge_sort_block_sort_config_selectorIbiEENS1_38merge_sort_block_merge_config_selectorIbiEEEEvv, .Lfunc_end1902-_ZN7rocprim17ROCPRIM_400000_NS6detail44device_merge_sort_compile_time_verifier_archINS1_11comp_targetILNS1_3genE4ELNS1_11target_archE910ELNS1_3gpuE8ELNS1_3repE0EEES8_NS1_28merge_sort_block_sort_configILj256ELj4ELNS0_20block_sort_algorithmE0EEENS0_14default_configENS1_37merge_sort_block_sort_config_selectorIbiEENS1_38merge_sort_block_merge_config_selectorIbiEEEEvv
                                        ; -- End function
	.set _ZN7rocprim17ROCPRIM_400000_NS6detail44device_merge_sort_compile_time_verifier_archINS1_11comp_targetILNS1_3genE4ELNS1_11target_archE910ELNS1_3gpuE8ELNS1_3repE0EEES8_NS1_28merge_sort_block_sort_configILj256ELj4ELNS0_20block_sort_algorithmE0EEENS0_14default_configENS1_37merge_sort_block_sort_config_selectorIbiEENS1_38merge_sort_block_merge_config_selectorIbiEEEEvv.num_vgpr, 0
	.set _ZN7rocprim17ROCPRIM_400000_NS6detail44device_merge_sort_compile_time_verifier_archINS1_11comp_targetILNS1_3genE4ELNS1_11target_archE910ELNS1_3gpuE8ELNS1_3repE0EEES8_NS1_28merge_sort_block_sort_configILj256ELj4ELNS0_20block_sort_algorithmE0EEENS0_14default_configENS1_37merge_sort_block_sort_config_selectorIbiEENS1_38merge_sort_block_merge_config_selectorIbiEEEEvv.num_agpr, 0
	.set _ZN7rocprim17ROCPRIM_400000_NS6detail44device_merge_sort_compile_time_verifier_archINS1_11comp_targetILNS1_3genE4ELNS1_11target_archE910ELNS1_3gpuE8ELNS1_3repE0EEES8_NS1_28merge_sort_block_sort_configILj256ELj4ELNS0_20block_sort_algorithmE0EEENS0_14default_configENS1_37merge_sort_block_sort_config_selectorIbiEENS1_38merge_sort_block_merge_config_selectorIbiEEEEvv.numbered_sgpr, 0
	.set _ZN7rocprim17ROCPRIM_400000_NS6detail44device_merge_sort_compile_time_verifier_archINS1_11comp_targetILNS1_3genE4ELNS1_11target_archE910ELNS1_3gpuE8ELNS1_3repE0EEES8_NS1_28merge_sort_block_sort_configILj256ELj4ELNS0_20block_sort_algorithmE0EEENS0_14default_configENS1_37merge_sort_block_sort_config_selectorIbiEENS1_38merge_sort_block_merge_config_selectorIbiEEEEvv.num_named_barrier, 0
	.set _ZN7rocprim17ROCPRIM_400000_NS6detail44device_merge_sort_compile_time_verifier_archINS1_11comp_targetILNS1_3genE4ELNS1_11target_archE910ELNS1_3gpuE8ELNS1_3repE0EEES8_NS1_28merge_sort_block_sort_configILj256ELj4ELNS0_20block_sort_algorithmE0EEENS0_14default_configENS1_37merge_sort_block_sort_config_selectorIbiEENS1_38merge_sort_block_merge_config_selectorIbiEEEEvv.private_seg_size, 0
	.set _ZN7rocprim17ROCPRIM_400000_NS6detail44device_merge_sort_compile_time_verifier_archINS1_11comp_targetILNS1_3genE4ELNS1_11target_archE910ELNS1_3gpuE8ELNS1_3repE0EEES8_NS1_28merge_sort_block_sort_configILj256ELj4ELNS0_20block_sort_algorithmE0EEENS0_14default_configENS1_37merge_sort_block_sort_config_selectorIbiEENS1_38merge_sort_block_merge_config_selectorIbiEEEEvv.uses_vcc, 0
	.set _ZN7rocprim17ROCPRIM_400000_NS6detail44device_merge_sort_compile_time_verifier_archINS1_11comp_targetILNS1_3genE4ELNS1_11target_archE910ELNS1_3gpuE8ELNS1_3repE0EEES8_NS1_28merge_sort_block_sort_configILj256ELj4ELNS0_20block_sort_algorithmE0EEENS0_14default_configENS1_37merge_sort_block_sort_config_selectorIbiEENS1_38merge_sort_block_merge_config_selectorIbiEEEEvv.uses_flat_scratch, 0
	.set _ZN7rocprim17ROCPRIM_400000_NS6detail44device_merge_sort_compile_time_verifier_archINS1_11comp_targetILNS1_3genE4ELNS1_11target_archE910ELNS1_3gpuE8ELNS1_3repE0EEES8_NS1_28merge_sort_block_sort_configILj256ELj4ELNS0_20block_sort_algorithmE0EEENS0_14default_configENS1_37merge_sort_block_sort_config_selectorIbiEENS1_38merge_sort_block_merge_config_selectorIbiEEEEvv.has_dyn_sized_stack, 0
	.set _ZN7rocprim17ROCPRIM_400000_NS6detail44device_merge_sort_compile_time_verifier_archINS1_11comp_targetILNS1_3genE4ELNS1_11target_archE910ELNS1_3gpuE8ELNS1_3repE0EEES8_NS1_28merge_sort_block_sort_configILj256ELj4ELNS0_20block_sort_algorithmE0EEENS0_14default_configENS1_37merge_sort_block_sort_config_selectorIbiEENS1_38merge_sort_block_merge_config_selectorIbiEEEEvv.has_recursion, 0
	.set _ZN7rocprim17ROCPRIM_400000_NS6detail44device_merge_sort_compile_time_verifier_archINS1_11comp_targetILNS1_3genE4ELNS1_11target_archE910ELNS1_3gpuE8ELNS1_3repE0EEES8_NS1_28merge_sort_block_sort_configILj256ELj4ELNS0_20block_sort_algorithmE0EEENS0_14default_configENS1_37merge_sort_block_sort_config_selectorIbiEENS1_38merge_sort_block_merge_config_selectorIbiEEEEvv.has_indirect_call, 0
	.section	.AMDGPU.csdata,"",@progbits
; Kernel info:
; codeLenInByte = 4
; TotalNumSgprs: 6
; NumVgprs: 0
; NumAgprs: 0
; TotalNumVgprs: 0
; ScratchSize: 0
; MemoryBound: 0
; FloatMode: 240
; IeeeMode: 1
; LDSByteSize: 0 bytes/workgroup (compile time only)
; SGPRBlocks: 0
; VGPRBlocks: 0
; NumSGPRsForWavesPerEU: 6
; NumVGPRsForWavesPerEU: 1
; AccumOffset: 4
; Occupancy: 8
; WaveLimiterHint : 0
; COMPUTE_PGM_RSRC2:SCRATCH_EN: 0
; COMPUTE_PGM_RSRC2:USER_SGPR: 0
; COMPUTE_PGM_RSRC2:TRAP_HANDLER: 0
; COMPUTE_PGM_RSRC2:TGID_X_EN: 1
; COMPUTE_PGM_RSRC2:TGID_Y_EN: 0
; COMPUTE_PGM_RSRC2:TGID_Z_EN: 0
; COMPUTE_PGM_RSRC2:TIDIG_COMP_CNT: 0
; COMPUTE_PGM_RSRC3_GFX90A:ACCUM_OFFSET: 0
; COMPUTE_PGM_RSRC3_GFX90A:TG_SPLIT: 0
	.section	.text._ZN7rocprim17ROCPRIM_400000_NS6detail44device_merge_sort_compile_time_verifier_archINS1_11comp_targetILNS1_3genE3ELNS1_11target_archE908ELNS1_3gpuE7ELNS1_3repE0EEES8_NS1_28merge_sort_block_sort_configILj256ELj4ELNS0_20block_sort_algorithmE0EEENS0_14default_configENS1_37merge_sort_block_sort_config_selectorIbiEENS1_38merge_sort_block_merge_config_selectorIbiEEEEvv,"axG",@progbits,_ZN7rocprim17ROCPRIM_400000_NS6detail44device_merge_sort_compile_time_verifier_archINS1_11comp_targetILNS1_3genE3ELNS1_11target_archE908ELNS1_3gpuE7ELNS1_3repE0EEES8_NS1_28merge_sort_block_sort_configILj256ELj4ELNS0_20block_sort_algorithmE0EEENS0_14default_configENS1_37merge_sort_block_sort_config_selectorIbiEENS1_38merge_sort_block_merge_config_selectorIbiEEEEvv,comdat
	.protected	_ZN7rocprim17ROCPRIM_400000_NS6detail44device_merge_sort_compile_time_verifier_archINS1_11comp_targetILNS1_3genE3ELNS1_11target_archE908ELNS1_3gpuE7ELNS1_3repE0EEES8_NS1_28merge_sort_block_sort_configILj256ELj4ELNS0_20block_sort_algorithmE0EEENS0_14default_configENS1_37merge_sort_block_sort_config_selectorIbiEENS1_38merge_sort_block_merge_config_selectorIbiEEEEvv ; -- Begin function _ZN7rocprim17ROCPRIM_400000_NS6detail44device_merge_sort_compile_time_verifier_archINS1_11comp_targetILNS1_3genE3ELNS1_11target_archE908ELNS1_3gpuE7ELNS1_3repE0EEES8_NS1_28merge_sort_block_sort_configILj256ELj4ELNS0_20block_sort_algorithmE0EEENS0_14default_configENS1_37merge_sort_block_sort_config_selectorIbiEENS1_38merge_sort_block_merge_config_selectorIbiEEEEvv
	.globl	_ZN7rocprim17ROCPRIM_400000_NS6detail44device_merge_sort_compile_time_verifier_archINS1_11comp_targetILNS1_3genE3ELNS1_11target_archE908ELNS1_3gpuE7ELNS1_3repE0EEES8_NS1_28merge_sort_block_sort_configILj256ELj4ELNS0_20block_sort_algorithmE0EEENS0_14default_configENS1_37merge_sort_block_sort_config_selectorIbiEENS1_38merge_sort_block_merge_config_selectorIbiEEEEvv
	.p2align	8
	.type	_ZN7rocprim17ROCPRIM_400000_NS6detail44device_merge_sort_compile_time_verifier_archINS1_11comp_targetILNS1_3genE3ELNS1_11target_archE908ELNS1_3gpuE7ELNS1_3repE0EEES8_NS1_28merge_sort_block_sort_configILj256ELj4ELNS0_20block_sort_algorithmE0EEENS0_14default_configENS1_37merge_sort_block_sort_config_selectorIbiEENS1_38merge_sort_block_merge_config_selectorIbiEEEEvv,@function
_ZN7rocprim17ROCPRIM_400000_NS6detail44device_merge_sort_compile_time_verifier_archINS1_11comp_targetILNS1_3genE3ELNS1_11target_archE908ELNS1_3gpuE7ELNS1_3repE0EEES8_NS1_28merge_sort_block_sort_configILj256ELj4ELNS0_20block_sort_algorithmE0EEENS0_14default_configENS1_37merge_sort_block_sort_config_selectorIbiEENS1_38merge_sort_block_merge_config_selectorIbiEEEEvv: ; @_ZN7rocprim17ROCPRIM_400000_NS6detail44device_merge_sort_compile_time_verifier_archINS1_11comp_targetILNS1_3genE3ELNS1_11target_archE908ELNS1_3gpuE7ELNS1_3repE0EEES8_NS1_28merge_sort_block_sort_configILj256ELj4ELNS0_20block_sort_algorithmE0EEENS0_14default_configENS1_37merge_sort_block_sort_config_selectorIbiEENS1_38merge_sort_block_merge_config_selectorIbiEEEEvv
; %bb.0:
	s_endpgm
	.section	.rodata,"a",@progbits
	.p2align	6, 0x0
	.amdhsa_kernel _ZN7rocprim17ROCPRIM_400000_NS6detail44device_merge_sort_compile_time_verifier_archINS1_11comp_targetILNS1_3genE3ELNS1_11target_archE908ELNS1_3gpuE7ELNS1_3repE0EEES8_NS1_28merge_sort_block_sort_configILj256ELj4ELNS0_20block_sort_algorithmE0EEENS0_14default_configENS1_37merge_sort_block_sort_config_selectorIbiEENS1_38merge_sort_block_merge_config_selectorIbiEEEEvv
		.amdhsa_group_segment_fixed_size 0
		.amdhsa_private_segment_fixed_size 0
		.amdhsa_kernarg_size 0
		.amdhsa_user_sgpr_count 0
		.amdhsa_user_sgpr_dispatch_ptr 0
		.amdhsa_user_sgpr_queue_ptr 0
		.amdhsa_user_sgpr_kernarg_segment_ptr 0
		.amdhsa_user_sgpr_dispatch_id 0
		.amdhsa_user_sgpr_kernarg_preload_length 0
		.amdhsa_user_sgpr_kernarg_preload_offset 0
		.amdhsa_user_sgpr_private_segment_size 0
		.amdhsa_uses_dynamic_stack 0
		.amdhsa_enable_private_segment 0
		.amdhsa_system_sgpr_workgroup_id_x 1
		.amdhsa_system_sgpr_workgroup_id_y 0
		.amdhsa_system_sgpr_workgroup_id_z 0
		.amdhsa_system_sgpr_workgroup_info 0
		.amdhsa_system_vgpr_workitem_id 0
		.amdhsa_next_free_vgpr 1
		.amdhsa_next_free_sgpr 0
		.amdhsa_accum_offset 4
		.amdhsa_reserve_vcc 0
		.amdhsa_float_round_mode_32 0
		.amdhsa_float_round_mode_16_64 0
		.amdhsa_float_denorm_mode_32 3
		.amdhsa_float_denorm_mode_16_64 3
		.amdhsa_dx10_clamp 1
		.amdhsa_ieee_mode 1
		.amdhsa_fp16_overflow 0
		.amdhsa_tg_split 0
		.amdhsa_exception_fp_ieee_invalid_op 0
		.amdhsa_exception_fp_denorm_src 0
		.amdhsa_exception_fp_ieee_div_zero 0
		.amdhsa_exception_fp_ieee_overflow 0
		.amdhsa_exception_fp_ieee_underflow 0
		.amdhsa_exception_fp_ieee_inexact 0
		.amdhsa_exception_int_div_zero 0
	.end_amdhsa_kernel
	.section	.text._ZN7rocprim17ROCPRIM_400000_NS6detail44device_merge_sort_compile_time_verifier_archINS1_11comp_targetILNS1_3genE3ELNS1_11target_archE908ELNS1_3gpuE7ELNS1_3repE0EEES8_NS1_28merge_sort_block_sort_configILj256ELj4ELNS0_20block_sort_algorithmE0EEENS0_14default_configENS1_37merge_sort_block_sort_config_selectorIbiEENS1_38merge_sort_block_merge_config_selectorIbiEEEEvv,"axG",@progbits,_ZN7rocprim17ROCPRIM_400000_NS6detail44device_merge_sort_compile_time_verifier_archINS1_11comp_targetILNS1_3genE3ELNS1_11target_archE908ELNS1_3gpuE7ELNS1_3repE0EEES8_NS1_28merge_sort_block_sort_configILj256ELj4ELNS0_20block_sort_algorithmE0EEENS0_14default_configENS1_37merge_sort_block_sort_config_selectorIbiEENS1_38merge_sort_block_merge_config_selectorIbiEEEEvv,comdat
.Lfunc_end1903:
	.size	_ZN7rocprim17ROCPRIM_400000_NS6detail44device_merge_sort_compile_time_verifier_archINS1_11comp_targetILNS1_3genE3ELNS1_11target_archE908ELNS1_3gpuE7ELNS1_3repE0EEES8_NS1_28merge_sort_block_sort_configILj256ELj4ELNS0_20block_sort_algorithmE0EEENS0_14default_configENS1_37merge_sort_block_sort_config_selectorIbiEENS1_38merge_sort_block_merge_config_selectorIbiEEEEvv, .Lfunc_end1903-_ZN7rocprim17ROCPRIM_400000_NS6detail44device_merge_sort_compile_time_verifier_archINS1_11comp_targetILNS1_3genE3ELNS1_11target_archE908ELNS1_3gpuE7ELNS1_3repE0EEES8_NS1_28merge_sort_block_sort_configILj256ELj4ELNS0_20block_sort_algorithmE0EEENS0_14default_configENS1_37merge_sort_block_sort_config_selectorIbiEENS1_38merge_sort_block_merge_config_selectorIbiEEEEvv
                                        ; -- End function
	.set _ZN7rocprim17ROCPRIM_400000_NS6detail44device_merge_sort_compile_time_verifier_archINS1_11comp_targetILNS1_3genE3ELNS1_11target_archE908ELNS1_3gpuE7ELNS1_3repE0EEES8_NS1_28merge_sort_block_sort_configILj256ELj4ELNS0_20block_sort_algorithmE0EEENS0_14default_configENS1_37merge_sort_block_sort_config_selectorIbiEENS1_38merge_sort_block_merge_config_selectorIbiEEEEvv.num_vgpr, 0
	.set _ZN7rocprim17ROCPRIM_400000_NS6detail44device_merge_sort_compile_time_verifier_archINS1_11comp_targetILNS1_3genE3ELNS1_11target_archE908ELNS1_3gpuE7ELNS1_3repE0EEES8_NS1_28merge_sort_block_sort_configILj256ELj4ELNS0_20block_sort_algorithmE0EEENS0_14default_configENS1_37merge_sort_block_sort_config_selectorIbiEENS1_38merge_sort_block_merge_config_selectorIbiEEEEvv.num_agpr, 0
	.set _ZN7rocprim17ROCPRIM_400000_NS6detail44device_merge_sort_compile_time_verifier_archINS1_11comp_targetILNS1_3genE3ELNS1_11target_archE908ELNS1_3gpuE7ELNS1_3repE0EEES8_NS1_28merge_sort_block_sort_configILj256ELj4ELNS0_20block_sort_algorithmE0EEENS0_14default_configENS1_37merge_sort_block_sort_config_selectorIbiEENS1_38merge_sort_block_merge_config_selectorIbiEEEEvv.numbered_sgpr, 0
	.set _ZN7rocprim17ROCPRIM_400000_NS6detail44device_merge_sort_compile_time_verifier_archINS1_11comp_targetILNS1_3genE3ELNS1_11target_archE908ELNS1_3gpuE7ELNS1_3repE0EEES8_NS1_28merge_sort_block_sort_configILj256ELj4ELNS0_20block_sort_algorithmE0EEENS0_14default_configENS1_37merge_sort_block_sort_config_selectorIbiEENS1_38merge_sort_block_merge_config_selectorIbiEEEEvv.num_named_barrier, 0
	.set _ZN7rocprim17ROCPRIM_400000_NS6detail44device_merge_sort_compile_time_verifier_archINS1_11comp_targetILNS1_3genE3ELNS1_11target_archE908ELNS1_3gpuE7ELNS1_3repE0EEES8_NS1_28merge_sort_block_sort_configILj256ELj4ELNS0_20block_sort_algorithmE0EEENS0_14default_configENS1_37merge_sort_block_sort_config_selectorIbiEENS1_38merge_sort_block_merge_config_selectorIbiEEEEvv.private_seg_size, 0
	.set _ZN7rocprim17ROCPRIM_400000_NS6detail44device_merge_sort_compile_time_verifier_archINS1_11comp_targetILNS1_3genE3ELNS1_11target_archE908ELNS1_3gpuE7ELNS1_3repE0EEES8_NS1_28merge_sort_block_sort_configILj256ELj4ELNS0_20block_sort_algorithmE0EEENS0_14default_configENS1_37merge_sort_block_sort_config_selectorIbiEENS1_38merge_sort_block_merge_config_selectorIbiEEEEvv.uses_vcc, 0
	.set _ZN7rocprim17ROCPRIM_400000_NS6detail44device_merge_sort_compile_time_verifier_archINS1_11comp_targetILNS1_3genE3ELNS1_11target_archE908ELNS1_3gpuE7ELNS1_3repE0EEES8_NS1_28merge_sort_block_sort_configILj256ELj4ELNS0_20block_sort_algorithmE0EEENS0_14default_configENS1_37merge_sort_block_sort_config_selectorIbiEENS1_38merge_sort_block_merge_config_selectorIbiEEEEvv.uses_flat_scratch, 0
	.set _ZN7rocprim17ROCPRIM_400000_NS6detail44device_merge_sort_compile_time_verifier_archINS1_11comp_targetILNS1_3genE3ELNS1_11target_archE908ELNS1_3gpuE7ELNS1_3repE0EEES8_NS1_28merge_sort_block_sort_configILj256ELj4ELNS0_20block_sort_algorithmE0EEENS0_14default_configENS1_37merge_sort_block_sort_config_selectorIbiEENS1_38merge_sort_block_merge_config_selectorIbiEEEEvv.has_dyn_sized_stack, 0
	.set _ZN7rocprim17ROCPRIM_400000_NS6detail44device_merge_sort_compile_time_verifier_archINS1_11comp_targetILNS1_3genE3ELNS1_11target_archE908ELNS1_3gpuE7ELNS1_3repE0EEES8_NS1_28merge_sort_block_sort_configILj256ELj4ELNS0_20block_sort_algorithmE0EEENS0_14default_configENS1_37merge_sort_block_sort_config_selectorIbiEENS1_38merge_sort_block_merge_config_selectorIbiEEEEvv.has_recursion, 0
	.set _ZN7rocprim17ROCPRIM_400000_NS6detail44device_merge_sort_compile_time_verifier_archINS1_11comp_targetILNS1_3genE3ELNS1_11target_archE908ELNS1_3gpuE7ELNS1_3repE0EEES8_NS1_28merge_sort_block_sort_configILj256ELj4ELNS0_20block_sort_algorithmE0EEENS0_14default_configENS1_37merge_sort_block_sort_config_selectorIbiEENS1_38merge_sort_block_merge_config_selectorIbiEEEEvv.has_indirect_call, 0
	.section	.AMDGPU.csdata,"",@progbits
; Kernel info:
; codeLenInByte = 4
; TotalNumSgprs: 6
; NumVgprs: 0
; NumAgprs: 0
; TotalNumVgprs: 0
; ScratchSize: 0
; MemoryBound: 0
; FloatMode: 240
; IeeeMode: 1
; LDSByteSize: 0 bytes/workgroup (compile time only)
; SGPRBlocks: 0
; VGPRBlocks: 0
; NumSGPRsForWavesPerEU: 6
; NumVGPRsForWavesPerEU: 1
; AccumOffset: 4
; Occupancy: 8
; WaveLimiterHint : 0
; COMPUTE_PGM_RSRC2:SCRATCH_EN: 0
; COMPUTE_PGM_RSRC2:USER_SGPR: 0
; COMPUTE_PGM_RSRC2:TRAP_HANDLER: 0
; COMPUTE_PGM_RSRC2:TGID_X_EN: 1
; COMPUTE_PGM_RSRC2:TGID_Y_EN: 0
; COMPUTE_PGM_RSRC2:TGID_Z_EN: 0
; COMPUTE_PGM_RSRC2:TIDIG_COMP_CNT: 0
; COMPUTE_PGM_RSRC3_GFX90A:ACCUM_OFFSET: 0
; COMPUTE_PGM_RSRC3_GFX90A:TG_SPLIT: 0
	.section	.text._ZN7rocprim17ROCPRIM_400000_NS6detail44device_merge_sort_compile_time_verifier_archINS1_11comp_targetILNS1_3genE2ELNS1_11target_archE906ELNS1_3gpuE6ELNS1_3repE0EEES8_NS1_28merge_sort_block_sort_configILj256ELj4ELNS0_20block_sort_algorithmE0EEENS0_14default_configENS1_37merge_sort_block_sort_config_selectorIbiEENS1_38merge_sort_block_merge_config_selectorIbiEEEEvv,"axG",@progbits,_ZN7rocprim17ROCPRIM_400000_NS6detail44device_merge_sort_compile_time_verifier_archINS1_11comp_targetILNS1_3genE2ELNS1_11target_archE906ELNS1_3gpuE6ELNS1_3repE0EEES8_NS1_28merge_sort_block_sort_configILj256ELj4ELNS0_20block_sort_algorithmE0EEENS0_14default_configENS1_37merge_sort_block_sort_config_selectorIbiEENS1_38merge_sort_block_merge_config_selectorIbiEEEEvv,comdat
	.protected	_ZN7rocprim17ROCPRIM_400000_NS6detail44device_merge_sort_compile_time_verifier_archINS1_11comp_targetILNS1_3genE2ELNS1_11target_archE906ELNS1_3gpuE6ELNS1_3repE0EEES8_NS1_28merge_sort_block_sort_configILj256ELj4ELNS0_20block_sort_algorithmE0EEENS0_14default_configENS1_37merge_sort_block_sort_config_selectorIbiEENS1_38merge_sort_block_merge_config_selectorIbiEEEEvv ; -- Begin function _ZN7rocprim17ROCPRIM_400000_NS6detail44device_merge_sort_compile_time_verifier_archINS1_11comp_targetILNS1_3genE2ELNS1_11target_archE906ELNS1_3gpuE6ELNS1_3repE0EEES8_NS1_28merge_sort_block_sort_configILj256ELj4ELNS0_20block_sort_algorithmE0EEENS0_14default_configENS1_37merge_sort_block_sort_config_selectorIbiEENS1_38merge_sort_block_merge_config_selectorIbiEEEEvv
	.globl	_ZN7rocprim17ROCPRIM_400000_NS6detail44device_merge_sort_compile_time_verifier_archINS1_11comp_targetILNS1_3genE2ELNS1_11target_archE906ELNS1_3gpuE6ELNS1_3repE0EEES8_NS1_28merge_sort_block_sort_configILj256ELj4ELNS0_20block_sort_algorithmE0EEENS0_14default_configENS1_37merge_sort_block_sort_config_selectorIbiEENS1_38merge_sort_block_merge_config_selectorIbiEEEEvv
	.p2align	8
	.type	_ZN7rocprim17ROCPRIM_400000_NS6detail44device_merge_sort_compile_time_verifier_archINS1_11comp_targetILNS1_3genE2ELNS1_11target_archE906ELNS1_3gpuE6ELNS1_3repE0EEES8_NS1_28merge_sort_block_sort_configILj256ELj4ELNS0_20block_sort_algorithmE0EEENS0_14default_configENS1_37merge_sort_block_sort_config_selectorIbiEENS1_38merge_sort_block_merge_config_selectorIbiEEEEvv,@function
_ZN7rocprim17ROCPRIM_400000_NS6detail44device_merge_sort_compile_time_verifier_archINS1_11comp_targetILNS1_3genE2ELNS1_11target_archE906ELNS1_3gpuE6ELNS1_3repE0EEES8_NS1_28merge_sort_block_sort_configILj256ELj4ELNS0_20block_sort_algorithmE0EEENS0_14default_configENS1_37merge_sort_block_sort_config_selectorIbiEENS1_38merge_sort_block_merge_config_selectorIbiEEEEvv: ; @_ZN7rocprim17ROCPRIM_400000_NS6detail44device_merge_sort_compile_time_verifier_archINS1_11comp_targetILNS1_3genE2ELNS1_11target_archE906ELNS1_3gpuE6ELNS1_3repE0EEES8_NS1_28merge_sort_block_sort_configILj256ELj4ELNS0_20block_sort_algorithmE0EEENS0_14default_configENS1_37merge_sort_block_sort_config_selectorIbiEENS1_38merge_sort_block_merge_config_selectorIbiEEEEvv
; %bb.0:
	s_endpgm
	.section	.rodata,"a",@progbits
	.p2align	6, 0x0
	.amdhsa_kernel _ZN7rocprim17ROCPRIM_400000_NS6detail44device_merge_sort_compile_time_verifier_archINS1_11comp_targetILNS1_3genE2ELNS1_11target_archE906ELNS1_3gpuE6ELNS1_3repE0EEES8_NS1_28merge_sort_block_sort_configILj256ELj4ELNS0_20block_sort_algorithmE0EEENS0_14default_configENS1_37merge_sort_block_sort_config_selectorIbiEENS1_38merge_sort_block_merge_config_selectorIbiEEEEvv
		.amdhsa_group_segment_fixed_size 0
		.amdhsa_private_segment_fixed_size 0
		.amdhsa_kernarg_size 0
		.amdhsa_user_sgpr_count 0
		.amdhsa_user_sgpr_dispatch_ptr 0
		.amdhsa_user_sgpr_queue_ptr 0
		.amdhsa_user_sgpr_kernarg_segment_ptr 0
		.amdhsa_user_sgpr_dispatch_id 0
		.amdhsa_user_sgpr_kernarg_preload_length 0
		.amdhsa_user_sgpr_kernarg_preload_offset 0
		.amdhsa_user_sgpr_private_segment_size 0
		.amdhsa_uses_dynamic_stack 0
		.amdhsa_enable_private_segment 0
		.amdhsa_system_sgpr_workgroup_id_x 1
		.amdhsa_system_sgpr_workgroup_id_y 0
		.amdhsa_system_sgpr_workgroup_id_z 0
		.amdhsa_system_sgpr_workgroup_info 0
		.amdhsa_system_vgpr_workitem_id 0
		.amdhsa_next_free_vgpr 1
		.amdhsa_next_free_sgpr 0
		.amdhsa_accum_offset 4
		.amdhsa_reserve_vcc 0
		.amdhsa_float_round_mode_32 0
		.amdhsa_float_round_mode_16_64 0
		.amdhsa_float_denorm_mode_32 3
		.amdhsa_float_denorm_mode_16_64 3
		.amdhsa_dx10_clamp 1
		.amdhsa_ieee_mode 1
		.amdhsa_fp16_overflow 0
		.amdhsa_tg_split 0
		.amdhsa_exception_fp_ieee_invalid_op 0
		.amdhsa_exception_fp_denorm_src 0
		.amdhsa_exception_fp_ieee_div_zero 0
		.amdhsa_exception_fp_ieee_overflow 0
		.amdhsa_exception_fp_ieee_underflow 0
		.amdhsa_exception_fp_ieee_inexact 0
		.amdhsa_exception_int_div_zero 0
	.end_amdhsa_kernel
	.section	.text._ZN7rocprim17ROCPRIM_400000_NS6detail44device_merge_sort_compile_time_verifier_archINS1_11comp_targetILNS1_3genE2ELNS1_11target_archE906ELNS1_3gpuE6ELNS1_3repE0EEES8_NS1_28merge_sort_block_sort_configILj256ELj4ELNS0_20block_sort_algorithmE0EEENS0_14default_configENS1_37merge_sort_block_sort_config_selectorIbiEENS1_38merge_sort_block_merge_config_selectorIbiEEEEvv,"axG",@progbits,_ZN7rocprim17ROCPRIM_400000_NS6detail44device_merge_sort_compile_time_verifier_archINS1_11comp_targetILNS1_3genE2ELNS1_11target_archE906ELNS1_3gpuE6ELNS1_3repE0EEES8_NS1_28merge_sort_block_sort_configILj256ELj4ELNS0_20block_sort_algorithmE0EEENS0_14default_configENS1_37merge_sort_block_sort_config_selectorIbiEENS1_38merge_sort_block_merge_config_selectorIbiEEEEvv,comdat
.Lfunc_end1904:
	.size	_ZN7rocprim17ROCPRIM_400000_NS6detail44device_merge_sort_compile_time_verifier_archINS1_11comp_targetILNS1_3genE2ELNS1_11target_archE906ELNS1_3gpuE6ELNS1_3repE0EEES8_NS1_28merge_sort_block_sort_configILj256ELj4ELNS0_20block_sort_algorithmE0EEENS0_14default_configENS1_37merge_sort_block_sort_config_selectorIbiEENS1_38merge_sort_block_merge_config_selectorIbiEEEEvv, .Lfunc_end1904-_ZN7rocprim17ROCPRIM_400000_NS6detail44device_merge_sort_compile_time_verifier_archINS1_11comp_targetILNS1_3genE2ELNS1_11target_archE906ELNS1_3gpuE6ELNS1_3repE0EEES8_NS1_28merge_sort_block_sort_configILj256ELj4ELNS0_20block_sort_algorithmE0EEENS0_14default_configENS1_37merge_sort_block_sort_config_selectorIbiEENS1_38merge_sort_block_merge_config_selectorIbiEEEEvv
                                        ; -- End function
	.set _ZN7rocprim17ROCPRIM_400000_NS6detail44device_merge_sort_compile_time_verifier_archINS1_11comp_targetILNS1_3genE2ELNS1_11target_archE906ELNS1_3gpuE6ELNS1_3repE0EEES8_NS1_28merge_sort_block_sort_configILj256ELj4ELNS0_20block_sort_algorithmE0EEENS0_14default_configENS1_37merge_sort_block_sort_config_selectorIbiEENS1_38merge_sort_block_merge_config_selectorIbiEEEEvv.num_vgpr, 0
	.set _ZN7rocprim17ROCPRIM_400000_NS6detail44device_merge_sort_compile_time_verifier_archINS1_11comp_targetILNS1_3genE2ELNS1_11target_archE906ELNS1_3gpuE6ELNS1_3repE0EEES8_NS1_28merge_sort_block_sort_configILj256ELj4ELNS0_20block_sort_algorithmE0EEENS0_14default_configENS1_37merge_sort_block_sort_config_selectorIbiEENS1_38merge_sort_block_merge_config_selectorIbiEEEEvv.num_agpr, 0
	.set _ZN7rocprim17ROCPRIM_400000_NS6detail44device_merge_sort_compile_time_verifier_archINS1_11comp_targetILNS1_3genE2ELNS1_11target_archE906ELNS1_3gpuE6ELNS1_3repE0EEES8_NS1_28merge_sort_block_sort_configILj256ELj4ELNS0_20block_sort_algorithmE0EEENS0_14default_configENS1_37merge_sort_block_sort_config_selectorIbiEENS1_38merge_sort_block_merge_config_selectorIbiEEEEvv.numbered_sgpr, 0
	.set _ZN7rocprim17ROCPRIM_400000_NS6detail44device_merge_sort_compile_time_verifier_archINS1_11comp_targetILNS1_3genE2ELNS1_11target_archE906ELNS1_3gpuE6ELNS1_3repE0EEES8_NS1_28merge_sort_block_sort_configILj256ELj4ELNS0_20block_sort_algorithmE0EEENS0_14default_configENS1_37merge_sort_block_sort_config_selectorIbiEENS1_38merge_sort_block_merge_config_selectorIbiEEEEvv.num_named_barrier, 0
	.set _ZN7rocprim17ROCPRIM_400000_NS6detail44device_merge_sort_compile_time_verifier_archINS1_11comp_targetILNS1_3genE2ELNS1_11target_archE906ELNS1_3gpuE6ELNS1_3repE0EEES8_NS1_28merge_sort_block_sort_configILj256ELj4ELNS0_20block_sort_algorithmE0EEENS0_14default_configENS1_37merge_sort_block_sort_config_selectorIbiEENS1_38merge_sort_block_merge_config_selectorIbiEEEEvv.private_seg_size, 0
	.set _ZN7rocprim17ROCPRIM_400000_NS6detail44device_merge_sort_compile_time_verifier_archINS1_11comp_targetILNS1_3genE2ELNS1_11target_archE906ELNS1_3gpuE6ELNS1_3repE0EEES8_NS1_28merge_sort_block_sort_configILj256ELj4ELNS0_20block_sort_algorithmE0EEENS0_14default_configENS1_37merge_sort_block_sort_config_selectorIbiEENS1_38merge_sort_block_merge_config_selectorIbiEEEEvv.uses_vcc, 0
	.set _ZN7rocprim17ROCPRIM_400000_NS6detail44device_merge_sort_compile_time_verifier_archINS1_11comp_targetILNS1_3genE2ELNS1_11target_archE906ELNS1_3gpuE6ELNS1_3repE0EEES8_NS1_28merge_sort_block_sort_configILj256ELj4ELNS0_20block_sort_algorithmE0EEENS0_14default_configENS1_37merge_sort_block_sort_config_selectorIbiEENS1_38merge_sort_block_merge_config_selectorIbiEEEEvv.uses_flat_scratch, 0
	.set _ZN7rocprim17ROCPRIM_400000_NS6detail44device_merge_sort_compile_time_verifier_archINS1_11comp_targetILNS1_3genE2ELNS1_11target_archE906ELNS1_3gpuE6ELNS1_3repE0EEES8_NS1_28merge_sort_block_sort_configILj256ELj4ELNS0_20block_sort_algorithmE0EEENS0_14default_configENS1_37merge_sort_block_sort_config_selectorIbiEENS1_38merge_sort_block_merge_config_selectorIbiEEEEvv.has_dyn_sized_stack, 0
	.set _ZN7rocprim17ROCPRIM_400000_NS6detail44device_merge_sort_compile_time_verifier_archINS1_11comp_targetILNS1_3genE2ELNS1_11target_archE906ELNS1_3gpuE6ELNS1_3repE0EEES8_NS1_28merge_sort_block_sort_configILj256ELj4ELNS0_20block_sort_algorithmE0EEENS0_14default_configENS1_37merge_sort_block_sort_config_selectorIbiEENS1_38merge_sort_block_merge_config_selectorIbiEEEEvv.has_recursion, 0
	.set _ZN7rocprim17ROCPRIM_400000_NS6detail44device_merge_sort_compile_time_verifier_archINS1_11comp_targetILNS1_3genE2ELNS1_11target_archE906ELNS1_3gpuE6ELNS1_3repE0EEES8_NS1_28merge_sort_block_sort_configILj256ELj4ELNS0_20block_sort_algorithmE0EEENS0_14default_configENS1_37merge_sort_block_sort_config_selectorIbiEENS1_38merge_sort_block_merge_config_selectorIbiEEEEvv.has_indirect_call, 0
	.section	.AMDGPU.csdata,"",@progbits
; Kernel info:
; codeLenInByte = 4
; TotalNumSgprs: 6
; NumVgprs: 0
; NumAgprs: 0
; TotalNumVgprs: 0
; ScratchSize: 0
; MemoryBound: 0
; FloatMode: 240
; IeeeMode: 1
; LDSByteSize: 0 bytes/workgroup (compile time only)
; SGPRBlocks: 0
; VGPRBlocks: 0
; NumSGPRsForWavesPerEU: 6
; NumVGPRsForWavesPerEU: 1
; AccumOffset: 4
; Occupancy: 8
; WaveLimiterHint : 0
; COMPUTE_PGM_RSRC2:SCRATCH_EN: 0
; COMPUTE_PGM_RSRC2:USER_SGPR: 0
; COMPUTE_PGM_RSRC2:TRAP_HANDLER: 0
; COMPUTE_PGM_RSRC2:TGID_X_EN: 1
; COMPUTE_PGM_RSRC2:TGID_Y_EN: 0
; COMPUTE_PGM_RSRC2:TGID_Z_EN: 0
; COMPUTE_PGM_RSRC2:TIDIG_COMP_CNT: 0
; COMPUTE_PGM_RSRC3_GFX90A:ACCUM_OFFSET: 0
; COMPUTE_PGM_RSRC3_GFX90A:TG_SPLIT: 0
	.section	.text._ZN7rocprim17ROCPRIM_400000_NS6detail44device_merge_sort_compile_time_verifier_archINS1_11comp_targetILNS1_3genE10ELNS1_11target_archE1201ELNS1_3gpuE5ELNS1_3repE0EEES8_NS1_28merge_sort_block_sort_configILj256ELj4ELNS0_20block_sort_algorithmE0EEENS0_14default_configENS1_37merge_sort_block_sort_config_selectorIbiEENS1_38merge_sort_block_merge_config_selectorIbiEEEEvv,"axG",@progbits,_ZN7rocprim17ROCPRIM_400000_NS6detail44device_merge_sort_compile_time_verifier_archINS1_11comp_targetILNS1_3genE10ELNS1_11target_archE1201ELNS1_3gpuE5ELNS1_3repE0EEES8_NS1_28merge_sort_block_sort_configILj256ELj4ELNS0_20block_sort_algorithmE0EEENS0_14default_configENS1_37merge_sort_block_sort_config_selectorIbiEENS1_38merge_sort_block_merge_config_selectorIbiEEEEvv,comdat
	.protected	_ZN7rocprim17ROCPRIM_400000_NS6detail44device_merge_sort_compile_time_verifier_archINS1_11comp_targetILNS1_3genE10ELNS1_11target_archE1201ELNS1_3gpuE5ELNS1_3repE0EEES8_NS1_28merge_sort_block_sort_configILj256ELj4ELNS0_20block_sort_algorithmE0EEENS0_14default_configENS1_37merge_sort_block_sort_config_selectorIbiEENS1_38merge_sort_block_merge_config_selectorIbiEEEEvv ; -- Begin function _ZN7rocprim17ROCPRIM_400000_NS6detail44device_merge_sort_compile_time_verifier_archINS1_11comp_targetILNS1_3genE10ELNS1_11target_archE1201ELNS1_3gpuE5ELNS1_3repE0EEES8_NS1_28merge_sort_block_sort_configILj256ELj4ELNS0_20block_sort_algorithmE0EEENS0_14default_configENS1_37merge_sort_block_sort_config_selectorIbiEENS1_38merge_sort_block_merge_config_selectorIbiEEEEvv
	.globl	_ZN7rocprim17ROCPRIM_400000_NS6detail44device_merge_sort_compile_time_verifier_archINS1_11comp_targetILNS1_3genE10ELNS1_11target_archE1201ELNS1_3gpuE5ELNS1_3repE0EEES8_NS1_28merge_sort_block_sort_configILj256ELj4ELNS0_20block_sort_algorithmE0EEENS0_14default_configENS1_37merge_sort_block_sort_config_selectorIbiEENS1_38merge_sort_block_merge_config_selectorIbiEEEEvv
	.p2align	8
	.type	_ZN7rocprim17ROCPRIM_400000_NS6detail44device_merge_sort_compile_time_verifier_archINS1_11comp_targetILNS1_3genE10ELNS1_11target_archE1201ELNS1_3gpuE5ELNS1_3repE0EEES8_NS1_28merge_sort_block_sort_configILj256ELj4ELNS0_20block_sort_algorithmE0EEENS0_14default_configENS1_37merge_sort_block_sort_config_selectorIbiEENS1_38merge_sort_block_merge_config_selectorIbiEEEEvv,@function
_ZN7rocprim17ROCPRIM_400000_NS6detail44device_merge_sort_compile_time_verifier_archINS1_11comp_targetILNS1_3genE10ELNS1_11target_archE1201ELNS1_3gpuE5ELNS1_3repE0EEES8_NS1_28merge_sort_block_sort_configILj256ELj4ELNS0_20block_sort_algorithmE0EEENS0_14default_configENS1_37merge_sort_block_sort_config_selectorIbiEENS1_38merge_sort_block_merge_config_selectorIbiEEEEvv: ; @_ZN7rocprim17ROCPRIM_400000_NS6detail44device_merge_sort_compile_time_verifier_archINS1_11comp_targetILNS1_3genE10ELNS1_11target_archE1201ELNS1_3gpuE5ELNS1_3repE0EEES8_NS1_28merge_sort_block_sort_configILj256ELj4ELNS0_20block_sort_algorithmE0EEENS0_14default_configENS1_37merge_sort_block_sort_config_selectorIbiEENS1_38merge_sort_block_merge_config_selectorIbiEEEEvv
; %bb.0:
	s_endpgm
	.section	.rodata,"a",@progbits
	.p2align	6, 0x0
	.amdhsa_kernel _ZN7rocprim17ROCPRIM_400000_NS6detail44device_merge_sort_compile_time_verifier_archINS1_11comp_targetILNS1_3genE10ELNS1_11target_archE1201ELNS1_3gpuE5ELNS1_3repE0EEES8_NS1_28merge_sort_block_sort_configILj256ELj4ELNS0_20block_sort_algorithmE0EEENS0_14default_configENS1_37merge_sort_block_sort_config_selectorIbiEENS1_38merge_sort_block_merge_config_selectorIbiEEEEvv
		.amdhsa_group_segment_fixed_size 0
		.amdhsa_private_segment_fixed_size 0
		.amdhsa_kernarg_size 0
		.amdhsa_user_sgpr_count 0
		.amdhsa_user_sgpr_dispatch_ptr 0
		.amdhsa_user_sgpr_queue_ptr 0
		.amdhsa_user_sgpr_kernarg_segment_ptr 0
		.amdhsa_user_sgpr_dispatch_id 0
		.amdhsa_user_sgpr_kernarg_preload_length 0
		.amdhsa_user_sgpr_kernarg_preload_offset 0
		.amdhsa_user_sgpr_private_segment_size 0
		.amdhsa_uses_dynamic_stack 0
		.amdhsa_enable_private_segment 0
		.amdhsa_system_sgpr_workgroup_id_x 1
		.amdhsa_system_sgpr_workgroup_id_y 0
		.amdhsa_system_sgpr_workgroup_id_z 0
		.amdhsa_system_sgpr_workgroup_info 0
		.amdhsa_system_vgpr_workitem_id 0
		.amdhsa_next_free_vgpr 1
		.amdhsa_next_free_sgpr 0
		.amdhsa_accum_offset 4
		.amdhsa_reserve_vcc 0
		.amdhsa_float_round_mode_32 0
		.amdhsa_float_round_mode_16_64 0
		.amdhsa_float_denorm_mode_32 3
		.amdhsa_float_denorm_mode_16_64 3
		.amdhsa_dx10_clamp 1
		.amdhsa_ieee_mode 1
		.amdhsa_fp16_overflow 0
		.amdhsa_tg_split 0
		.amdhsa_exception_fp_ieee_invalid_op 0
		.amdhsa_exception_fp_denorm_src 0
		.amdhsa_exception_fp_ieee_div_zero 0
		.amdhsa_exception_fp_ieee_overflow 0
		.amdhsa_exception_fp_ieee_underflow 0
		.amdhsa_exception_fp_ieee_inexact 0
		.amdhsa_exception_int_div_zero 0
	.end_amdhsa_kernel
	.section	.text._ZN7rocprim17ROCPRIM_400000_NS6detail44device_merge_sort_compile_time_verifier_archINS1_11comp_targetILNS1_3genE10ELNS1_11target_archE1201ELNS1_3gpuE5ELNS1_3repE0EEES8_NS1_28merge_sort_block_sort_configILj256ELj4ELNS0_20block_sort_algorithmE0EEENS0_14default_configENS1_37merge_sort_block_sort_config_selectorIbiEENS1_38merge_sort_block_merge_config_selectorIbiEEEEvv,"axG",@progbits,_ZN7rocprim17ROCPRIM_400000_NS6detail44device_merge_sort_compile_time_verifier_archINS1_11comp_targetILNS1_3genE10ELNS1_11target_archE1201ELNS1_3gpuE5ELNS1_3repE0EEES8_NS1_28merge_sort_block_sort_configILj256ELj4ELNS0_20block_sort_algorithmE0EEENS0_14default_configENS1_37merge_sort_block_sort_config_selectorIbiEENS1_38merge_sort_block_merge_config_selectorIbiEEEEvv,comdat
.Lfunc_end1905:
	.size	_ZN7rocprim17ROCPRIM_400000_NS6detail44device_merge_sort_compile_time_verifier_archINS1_11comp_targetILNS1_3genE10ELNS1_11target_archE1201ELNS1_3gpuE5ELNS1_3repE0EEES8_NS1_28merge_sort_block_sort_configILj256ELj4ELNS0_20block_sort_algorithmE0EEENS0_14default_configENS1_37merge_sort_block_sort_config_selectorIbiEENS1_38merge_sort_block_merge_config_selectorIbiEEEEvv, .Lfunc_end1905-_ZN7rocprim17ROCPRIM_400000_NS6detail44device_merge_sort_compile_time_verifier_archINS1_11comp_targetILNS1_3genE10ELNS1_11target_archE1201ELNS1_3gpuE5ELNS1_3repE0EEES8_NS1_28merge_sort_block_sort_configILj256ELj4ELNS0_20block_sort_algorithmE0EEENS0_14default_configENS1_37merge_sort_block_sort_config_selectorIbiEENS1_38merge_sort_block_merge_config_selectorIbiEEEEvv
                                        ; -- End function
	.set _ZN7rocprim17ROCPRIM_400000_NS6detail44device_merge_sort_compile_time_verifier_archINS1_11comp_targetILNS1_3genE10ELNS1_11target_archE1201ELNS1_3gpuE5ELNS1_3repE0EEES8_NS1_28merge_sort_block_sort_configILj256ELj4ELNS0_20block_sort_algorithmE0EEENS0_14default_configENS1_37merge_sort_block_sort_config_selectorIbiEENS1_38merge_sort_block_merge_config_selectorIbiEEEEvv.num_vgpr, 0
	.set _ZN7rocprim17ROCPRIM_400000_NS6detail44device_merge_sort_compile_time_verifier_archINS1_11comp_targetILNS1_3genE10ELNS1_11target_archE1201ELNS1_3gpuE5ELNS1_3repE0EEES8_NS1_28merge_sort_block_sort_configILj256ELj4ELNS0_20block_sort_algorithmE0EEENS0_14default_configENS1_37merge_sort_block_sort_config_selectorIbiEENS1_38merge_sort_block_merge_config_selectorIbiEEEEvv.num_agpr, 0
	.set _ZN7rocprim17ROCPRIM_400000_NS6detail44device_merge_sort_compile_time_verifier_archINS1_11comp_targetILNS1_3genE10ELNS1_11target_archE1201ELNS1_3gpuE5ELNS1_3repE0EEES8_NS1_28merge_sort_block_sort_configILj256ELj4ELNS0_20block_sort_algorithmE0EEENS0_14default_configENS1_37merge_sort_block_sort_config_selectorIbiEENS1_38merge_sort_block_merge_config_selectorIbiEEEEvv.numbered_sgpr, 0
	.set _ZN7rocprim17ROCPRIM_400000_NS6detail44device_merge_sort_compile_time_verifier_archINS1_11comp_targetILNS1_3genE10ELNS1_11target_archE1201ELNS1_3gpuE5ELNS1_3repE0EEES8_NS1_28merge_sort_block_sort_configILj256ELj4ELNS0_20block_sort_algorithmE0EEENS0_14default_configENS1_37merge_sort_block_sort_config_selectorIbiEENS1_38merge_sort_block_merge_config_selectorIbiEEEEvv.num_named_barrier, 0
	.set _ZN7rocprim17ROCPRIM_400000_NS6detail44device_merge_sort_compile_time_verifier_archINS1_11comp_targetILNS1_3genE10ELNS1_11target_archE1201ELNS1_3gpuE5ELNS1_3repE0EEES8_NS1_28merge_sort_block_sort_configILj256ELj4ELNS0_20block_sort_algorithmE0EEENS0_14default_configENS1_37merge_sort_block_sort_config_selectorIbiEENS1_38merge_sort_block_merge_config_selectorIbiEEEEvv.private_seg_size, 0
	.set _ZN7rocprim17ROCPRIM_400000_NS6detail44device_merge_sort_compile_time_verifier_archINS1_11comp_targetILNS1_3genE10ELNS1_11target_archE1201ELNS1_3gpuE5ELNS1_3repE0EEES8_NS1_28merge_sort_block_sort_configILj256ELj4ELNS0_20block_sort_algorithmE0EEENS0_14default_configENS1_37merge_sort_block_sort_config_selectorIbiEENS1_38merge_sort_block_merge_config_selectorIbiEEEEvv.uses_vcc, 0
	.set _ZN7rocprim17ROCPRIM_400000_NS6detail44device_merge_sort_compile_time_verifier_archINS1_11comp_targetILNS1_3genE10ELNS1_11target_archE1201ELNS1_3gpuE5ELNS1_3repE0EEES8_NS1_28merge_sort_block_sort_configILj256ELj4ELNS0_20block_sort_algorithmE0EEENS0_14default_configENS1_37merge_sort_block_sort_config_selectorIbiEENS1_38merge_sort_block_merge_config_selectorIbiEEEEvv.uses_flat_scratch, 0
	.set _ZN7rocprim17ROCPRIM_400000_NS6detail44device_merge_sort_compile_time_verifier_archINS1_11comp_targetILNS1_3genE10ELNS1_11target_archE1201ELNS1_3gpuE5ELNS1_3repE0EEES8_NS1_28merge_sort_block_sort_configILj256ELj4ELNS0_20block_sort_algorithmE0EEENS0_14default_configENS1_37merge_sort_block_sort_config_selectorIbiEENS1_38merge_sort_block_merge_config_selectorIbiEEEEvv.has_dyn_sized_stack, 0
	.set _ZN7rocprim17ROCPRIM_400000_NS6detail44device_merge_sort_compile_time_verifier_archINS1_11comp_targetILNS1_3genE10ELNS1_11target_archE1201ELNS1_3gpuE5ELNS1_3repE0EEES8_NS1_28merge_sort_block_sort_configILj256ELj4ELNS0_20block_sort_algorithmE0EEENS0_14default_configENS1_37merge_sort_block_sort_config_selectorIbiEENS1_38merge_sort_block_merge_config_selectorIbiEEEEvv.has_recursion, 0
	.set _ZN7rocprim17ROCPRIM_400000_NS6detail44device_merge_sort_compile_time_verifier_archINS1_11comp_targetILNS1_3genE10ELNS1_11target_archE1201ELNS1_3gpuE5ELNS1_3repE0EEES8_NS1_28merge_sort_block_sort_configILj256ELj4ELNS0_20block_sort_algorithmE0EEENS0_14default_configENS1_37merge_sort_block_sort_config_selectorIbiEENS1_38merge_sort_block_merge_config_selectorIbiEEEEvv.has_indirect_call, 0
	.section	.AMDGPU.csdata,"",@progbits
; Kernel info:
; codeLenInByte = 4
; TotalNumSgprs: 6
; NumVgprs: 0
; NumAgprs: 0
; TotalNumVgprs: 0
; ScratchSize: 0
; MemoryBound: 0
; FloatMode: 240
; IeeeMode: 1
; LDSByteSize: 0 bytes/workgroup (compile time only)
; SGPRBlocks: 0
; VGPRBlocks: 0
; NumSGPRsForWavesPerEU: 6
; NumVGPRsForWavesPerEU: 1
; AccumOffset: 4
; Occupancy: 8
; WaveLimiterHint : 0
; COMPUTE_PGM_RSRC2:SCRATCH_EN: 0
; COMPUTE_PGM_RSRC2:USER_SGPR: 0
; COMPUTE_PGM_RSRC2:TRAP_HANDLER: 0
; COMPUTE_PGM_RSRC2:TGID_X_EN: 1
; COMPUTE_PGM_RSRC2:TGID_Y_EN: 0
; COMPUTE_PGM_RSRC2:TGID_Z_EN: 0
; COMPUTE_PGM_RSRC2:TIDIG_COMP_CNT: 0
; COMPUTE_PGM_RSRC3_GFX90A:ACCUM_OFFSET: 0
; COMPUTE_PGM_RSRC3_GFX90A:TG_SPLIT: 0
	.section	.text._ZN7rocprim17ROCPRIM_400000_NS6detail44device_merge_sort_compile_time_verifier_archINS1_11comp_targetILNS1_3genE10ELNS1_11target_archE1200ELNS1_3gpuE4ELNS1_3repE0EEENS3_ILS4_10ELS5_1201ELS6_5ELS7_0EEENS1_28merge_sort_block_sort_configILj256ELj4ELNS0_20block_sort_algorithmE0EEENS0_14default_configENS1_37merge_sort_block_sort_config_selectorIbiEENS1_38merge_sort_block_merge_config_selectorIbiEEEEvv,"axG",@progbits,_ZN7rocprim17ROCPRIM_400000_NS6detail44device_merge_sort_compile_time_verifier_archINS1_11comp_targetILNS1_3genE10ELNS1_11target_archE1200ELNS1_3gpuE4ELNS1_3repE0EEENS3_ILS4_10ELS5_1201ELS6_5ELS7_0EEENS1_28merge_sort_block_sort_configILj256ELj4ELNS0_20block_sort_algorithmE0EEENS0_14default_configENS1_37merge_sort_block_sort_config_selectorIbiEENS1_38merge_sort_block_merge_config_selectorIbiEEEEvv,comdat
	.protected	_ZN7rocprim17ROCPRIM_400000_NS6detail44device_merge_sort_compile_time_verifier_archINS1_11comp_targetILNS1_3genE10ELNS1_11target_archE1200ELNS1_3gpuE4ELNS1_3repE0EEENS3_ILS4_10ELS5_1201ELS6_5ELS7_0EEENS1_28merge_sort_block_sort_configILj256ELj4ELNS0_20block_sort_algorithmE0EEENS0_14default_configENS1_37merge_sort_block_sort_config_selectorIbiEENS1_38merge_sort_block_merge_config_selectorIbiEEEEvv ; -- Begin function _ZN7rocprim17ROCPRIM_400000_NS6detail44device_merge_sort_compile_time_verifier_archINS1_11comp_targetILNS1_3genE10ELNS1_11target_archE1200ELNS1_3gpuE4ELNS1_3repE0EEENS3_ILS4_10ELS5_1201ELS6_5ELS7_0EEENS1_28merge_sort_block_sort_configILj256ELj4ELNS0_20block_sort_algorithmE0EEENS0_14default_configENS1_37merge_sort_block_sort_config_selectorIbiEENS1_38merge_sort_block_merge_config_selectorIbiEEEEvv
	.globl	_ZN7rocprim17ROCPRIM_400000_NS6detail44device_merge_sort_compile_time_verifier_archINS1_11comp_targetILNS1_3genE10ELNS1_11target_archE1200ELNS1_3gpuE4ELNS1_3repE0EEENS3_ILS4_10ELS5_1201ELS6_5ELS7_0EEENS1_28merge_sort_block_sort_configILj256ELj4ELNS0_20block_sort_algorithmE0EEENS0_14default_configENS1_37merge_sort_block_sort_config_selectorIbiEENS1_38merge_sort_block_merge_config_selectorIbiEEEEvv
	.p2align	8
	.type	_ZN7rocprim17ROCPRIM_400000_NS6detail44device_merge_sort_compile_time_verifier_archINS1_11comp_targetILNS1_3genE10ELNS1_11target_archE1200ELNS1_3gpuE4ELNS1_3repE0EEENS3_ILS4_10ELS5_1201ELS6_5ELS7_0EEENS1_28merge_sort_block_sort_configILj256ELj4ELNS0_20block_sort_algorithmE0EEENS0_14default_configENS1_37merge_sort_block_sort_config_selectorIbiEENS1_38merge_sort_block_merge_config_selectorIbiEEEEvv,@function
_ZN7rocprim17ROCPRIM_400000_NS6detail44device_merge_sort_compile_time_verifier_archINS1_11comp_targetILNS1_3genE10ELNS1_11target_archE1200ELNS1_3gpuE4ELNS1_3repE0EEENS3_ILS4_10ELS5_1201ELS6_5ELS7_0EEENS1_28merge_sort_block_sort_configILj256ELj4ELNS0_20block_sort_algorithmE0EEENS0_14default_configENS1_37merge_sort_block_sort_config_selectorIbiEENS1_38merge_sort_block_merge_config_selectorIbiEEEEvv: ; @_ZN7rocprim17ROCPRIM_400000_NS6detail44device_merge_sort_compile_time_verifier_archINS1_11comp_targetILNS1_3genE10ELNS1_11target_archE1200ELNS1_3gpuE4ELNS1_3repE0EEENS3_ILS4_10ELS5_1201ELS6_5ELS7_0EEENS1_28merge_sort_block_sort_configILj256ELj4ELNS0_20block_sort_algorithmE0EEENS0_14default_configENS1_37merge_sort_block_sort_config_selectorIbiEENS1_38merge_sort_block_merge_config_selectorIbiEEEEvv
; %bb.0:
	s_endpgm
	.section	.rodata,"a",@progbits
	.p2align	6, 0x0
	.amdhsa_kernel _ZN7rocprim17ROCPRIM_400000_NS6detail44device_merge_sort_compile_time_verifier_archINS1_11comp_targetILNS1_3genE10ELNS1_11target_archE1200ELNS1_3gpuE4ELNS1_3repE0EEENS3_ILS4_10ELS5_1201ELS6_5ELS7_0EEENS1_28merge_sort_block_sort_configILj256ELj4ELNS0_20block_sort_algorithmE0EEENS0_14default_configENS1_37merge_sort_block_sort_config_selectorIbiEENS1_38merge_sort_block_merge_config_selectorIbiEEEEvv
		.amdhsa_group_segment_fixed_size 0
		.amdhsa_private_segment_fixed_size 0
		.amdhsa_kernarg_size 0
		.amdhsa_user_sgpr_count 0
		.amdhsa_user_sgpr_dispatch_ptr 0
		.amdhsa_user_sgpr_queue_ptr 0
		.amdhsa_user_sgpr_kernarg_segment_ptr 0
		.amdhsa_user_sgpr_dispatch_id 0
		.amdhsa_user_sgpr_kernarg_preload_length 0
		.amdhsa_user_sgpr_kernarg_preload_offset 0
		.amdhsa_user_sgpr_private_segment_size 0
		.amdhsa_uses_dynamic_stack 0
		.amdhsa_enable_private_segment 0
		.amdhsa_system_sgpr_workgroup_id_x 1
		.amdhsa_system_sgpr_workgroup_id_y 0
		.amdhsa_system_sgpr_workgroup_id_z 0
		.amdhsa_system_sgpr_workgroup_info 0
		.amdhsa_system_vgpr_workitem_id 0
		.amdhsa_next_free_vgpr 1
		.amdhsa_next_free_sgpr 0
		.amdhsa_accum_offset 4
		.amdhsa_reserve_vcc 0
		.amdhsa_float_round_mode_32 0
		.amdhsa_float_round_mode_16_64 0
		.amdhsa_float_denorm_mode_32 3
		.amdhsa_float_denorm_mode_16_64 3
		.amdhsa_dx10_clamp 1
		.amdhsa_ieee_mode 1
		.amdhsa_fp16_overflow 0
		.amdhsa_tg_split 0
		.amdhsa_exception_fp_ieee_invalid_op 0
		.amdhsa_exception_fp_denorm_src 0
		.amdhsa_exception_fp_ieee_div_zero 0
		.amdhsa_exception_fp_ieee_overflow 0
		.amdhsa_exception_fp_ieee_underflow 0
		.amdhsa_exception_fp_ieee_inexact 0
		.amdhsa_exception_int_div_zero 0
	.end_amdhsa_kernel
	.section	.text._ZN7rocprim17ROCPRIM_400000_NS6detail44device_merge_sort_compile_time_verifier_archINS1_11comp_targetILNS1_3genE10ELNS1_11target_archE1200ELNS1_3gpuE4ELNS1_3repE0EEENS3_ILS4_10ELS5_1201ELS6_5ELS7_0EEENS1_28merge_sort_block_sort_configILj256ELj4ELNS0_20block_sort_algorithmE0EEENS0_14default_configENS1_37merge_sort_block_sort_config_selectorIbiEENS1_38merge_sort_block_merge_config_selectorIbiEEEEvv,"axG",@progbits,_ZN7rocprim17ROCPRIM_400000_NS6detail44device_merge_sort_compile_time_verifier_archINS1_11comp_targetILNS1_3genE10ELNS1_11target_archE1200ELNS1_3gpuE4ELNS1_3repE0EEENS3_ILS4_10ELS5_1201ELS6_5ELS7_0EEENS1_28merge_sort_block_sort_configILj256ELj4ELNS0_20block_sort_algorithmE0EEENS0_14default_configENS1_37merge_sort_block_sort_config_selectorIbiEENS1_38merge_sort_block_merge_config_selectorIbiEEEEvv,comdat
.Lfunc_end1906:
	.size	_ZN7rocprim17ROCPRIM_400000_NS6detail44device_merge_sort_compile_time_verifier_archINS1_11comp_targetILNS1_3genE10ELNS1_11target_archE1200ELNS1_3gpuE4ELNS1_3repE0EEENS3_ILS4_10ELS5_1201ELS6_5ELS7_0EEENS1_28merge_sort_block_sort_configILj256ELj4ELNS0_20block_sort_algorithmE0EEENS0_14default_configENS1_37merge_sort_block_sort_config_selectorIbiEENS1_38merge_sort_block_merge_config_selectorIbiEEEEvv, .Lfunc_end1906-_ZN7rocprim17ROCPRIM_400000_NS6detail44device_merge_sort_compile_time_verifier_archINS1_11comp_targetILNS1_3genE10ELNS1_11target_archE1200ELNS1_3gpuE4ELNS1_3repE0EEENS3_ILS4_10ELS5_1201ELS6_5ELS7_0EEENS1_28merge_sort_block_sort_configILj256ELj4ELNS0_20block_sort_algorithmE0EEENS0_14default_configENS1_37merge_sort_block_sort_config_selectorIbiEENS1_38merge_sort_block_merge_config_selectorIbiEEEEvv
                                        ; -- End function
	.set _ZN7rocprim17ROCPRIM_400000_NS6detail44device_merge_sort_compile_time_verifier_archINS1_11comp_targetILNS1_3genE10ELNS1_11target_archE1200ELNS1_3gpuE4ELNS1_3repE0EEENS3_ILS4_10ELS5_1201ELS6_5ELS7_0EEENS1_28merge_sort_block_sort_configILj256ELj4ELNS0_20block_sort_algorithmE0EEENS0_14default_configENS1_37merge_sort_block_sort_config_selectorIbiEENS1_38merge_sort_block_merge_config_selectorIbiEEEEvv.num_vgpr, 0
	.set _ZN7rocprim17ROCPRIM_400000_NS6detail44device_merge_sort_compile_time_verifier_archINS1_11comp_targetILNS1_3genE10ELNS1_11target_archE1200ELNS1_3gpuE4ELNS1_3repE0EEENS3_ILS4_10ELS5_1201ELS6_5ELS7_0EEENS1_28merge_sort_block_sort_configILj256ELj4ELNS0_20block_sort_algorithmE0EEENS0_14default_configENS1_37merge_sort_block_sort_config_selectorIbiEENS1_38merge_sort_block_merge_config_selectorIbiEEEEvv.num_agpr, 0
	.set _ZN7rocprim17ROCPRIM_400000_NS6detail44device_merge_sort_compile_time_verifier_archINS1_11comp_targetILNS1_3genE10ELNS1_11target_archE1200ELNS1_3gpuE4ELNS1_3repE0EEENS3_ILS4_10ELS5_1201ELS6_5ELS7_0EEENS1_28merge_sort_block_sort_configILj256ELj4ELNS0_20block_sort_algorithmE0EEENS0_14default_configENS1_37merge_sort_block_sort_config_selectorIbiEENS1_38merge_sort_block_merge_config_selectorIbiEEEEvv.numbered_sgpr, 0
	.set _ZN7rocprim17ROCPRIM_400000_NS6detail44device_merge_sort_compile_time_verifier_archINS1_11comp_targetILNS1_3genE10ELNS1_11target_archE1200ELNS1_3gpuE4ELNS1_3repE0EEENS3_ILS4_10ELS5_1201ELS6_5ELS7_0EEENS1_28merge_sort_block_sort_configILj256ELj4ELNS0_20block_sort_algorithmE0EEENS0_14default_configENS1_37merge_sort_block_sort_config_selectorIbiEENS1_38merge_sort_block_merge_config_selectorIbiEEEEvv.num_named_barrier, 0
	.set _ZN7rocprim17ROCPRIM_400000_NS6detail44device_merge_sort_compile_time_verifier_archINS1_11comp_targetILNS1_3genE10ELNS1_11target_archE1200ELNS1_3gpuE4ELNS1_3repE0EEENS3_ILS4_10ELS5_1201ELS6_5ELS7_0EEENS1_28merge_sort_block_sort_configILj256ELj4ELNS0_20block_sort_algorithmE0EEENS0_14default_configENS1_37merge_sort_block_sort_config_selectorIbiEENS1_38merge_sort_block_merge_config_selectorIbiEEEEvv.private_seg_size, 0
	.set _ZN7rocprim17ROCPRIM_400000_NS6detail44device_merge_sort_compile_time_verifier_archINS1_11comp_targetILNS1_3genE10ELNS1_11target_archE1200ELNS1_3gpuE4ELNS1_3repE0EEENS3_ILS4_10ELS5_1201ELS6_5ELS7_0EEENS1_28merge_sort_block_sort_configILj256ELj4ELNS0_20block_sort_algorithmE0EEENS0_14default_configENS1_37merge_sort_block_sort_config_selectorIbiEENS1_38merge_sort_block_merge_config_selectorIbiEEEEvv.uses_vcc, 0
	.set _ZN7rocprim17ROCPRIM_400000_NS6detail44device_merge_sort_compile_time_verifier_archINS1_11comp_targetILNS1_3genE10ELNS1_11target_archE1200ELNS1_3gpuE4ELNS1_3repE0EEENS3_ILS4_10ELS5_1201ELS6_5ELS7_0EEENS1_28merge_sort_block_sort_configILj256ELj4ELNS0_20block_sort_algorithmE0EEENS0_14default_configENS1_37merge_sort_block_sort_config_selectorIbiEENS1_38merge_sort_block_merge_config_selectorIbiEEEEvv.uses_flat_scratch, 0
	.set _ZN7rocprim17ROCPRIM_400000_NS6detail44device_merge_sort_compile_time_verifier_archINS1_11comp_targetILNS1_3genE10ELNS1_11target_archE1200ELNS1_3gpuE4ELNS1_3repE0EEENS3_ILS4_10ELS5_1201ELS6_5ELS7_0EEENS1_28merge_sort_block_sort_configILj256ELj4ELNS0_20block_sort_algorithmE0EEENS0_14default_configENS1_37merge_sort_block_sort_config_selectorIbiEENS1_38merge_sort_block_merge_config_selectorIbiEEEEvv.has_dyn_sized_stack, 0
	.set _ZN7rocprim17ROCPRIM_400000_NS6detail44device_merge_sort_compile_time_verifier_archINS1_11comp_targetILNS1_3genE10ELNS1_11target_archE1200ELNS1_3gpuE4ELNS1_3repE0EEENS3_ILS4_10ELS5_1201ELS6_5ELS7_0EEENS1_28merge_sort_block_sort_configILj256ELj4ELNS0_20block_sort_algorithmE0EEENS0_14default_configENS1_37merge_sort_block_sort_config_selectorIbiEENS1_38merge_sort_block_merge_config_selectorIbiEEEEvv.has_recursion, 0
	.set _ZN7rocprim17ROCPRIM_400000_NS6detail44device_merge_sort_compile_time_verifier_archINS1_11comp_targetILNS1_3genE10ELNS1_11target_archE1200ELNS1_3gpuE4ELNS1_3repE0EEENS3_ILS4_10ELS5_1201ELS6_5ELS7_0EEENS1_28merge_sort_block_sort_configILj256ELj4ELNS0_20block_sort_algorithmE0EEENS0_14default_configENS1_37merge_sort_block_sort_config_selectorIbiEENS1_38merge_sort_block_merge_config_selectorIbiEEEEvv.has_indirect_call, 0
	.section	.AMDGPU.csdata,"",@progbits
; Kernel info:
; codeLenInByte = 4
; TotalNumSgprs: 6
; NumVgprs: 0
; NumAgprs: 0
; TotalNumVgprs: 0
; ScratchSize: 0
; MemoryBound: 0
; FloatMode: 240
; IeeeMode: 1
; LDSByteSize: 0 bytes/workgroup (compile time only)
; SGPRBlocks: 0
; VGPRBlocks: 0
; NumSGPRsForWavesPerEU: 6
; NumVGPRsForWavesPerEU: 1
; AccumOffset: 4
; Occupancy: 8
; WaveLimiterHint : 0
; COMPUTE_PGM_RSRC2:SCRATCH_EN: 0
; COMPUTE_PGM_RSRC2:USER_SGPR: 0
; COMPUTE_PGM_RSRC2:TRAP_HANDLER: 0
; COMPUTE_PGM_RSRC2:TGID_X_EN: 1
; COMPUTE_PGM_RSRC2:TGID_Y_EN: 0
; COMPUTE_PGM_RSRC2:TGID_Z_EN: 0
; COMPUTE_PGM_RSRC2:TIDIG_COMP_CNT: 0
; COMPUTE_PGM_RSRC3_GFX90A:ACCUM_OFFSET: 0
; COMPUTE_PGM_RSRC3_GFX90A:TG_SPLIT: 0
	.section	.text._ZN7rocprim17ROCPRIM_400000_NS6detail44device_merge_sort_compile_time_verifier_archINS1_11comp_targetILNS1_3genE9ELNS1_11target_archE1100ELNS1_3gpuE3ELNS1_3repE0EEES8_NS1_28merge_sort_block_sort_configILj256ELj4ELNS0_20block_sort_algorithmE0EEENS0_14default_configENS1_37merge_sort_block_sort_config_selectorIbiEENS1_38merge_sort_block_merge_config_selectorIbiEEEEvv,"axG",@progbits,_ZN7rocprim17ROCPRIM_400000_NS6detail44device_merge_sort_compile_time_verifier_archINS1_11comp_targetILNS1_3genE9ELNS1_11target_archE1100ELNS1_3gpuE3ELNS1_3repE0EEES8_NS1_28merge_sort_block_sort_configILj256ELj4ELNS0_20block_sort_algorithmE0EEENS0_14default_configENS1_37merge_sort_block_sort_config_selectorIbiEENS1_38merge_sort_block_merge_config_selectorIbiEEEEvv,comdat
	.protected	_ZN7rocprim17ROCPRIM_400000_NS6detail44device_merge_sort_compile_time_verifier_archINS1_11comp_targetILNS1_3genE9ELNS1_11target_archE1100ELNS1_3gpuE3ELNS1_3repE0EEES8_NS1_28merge_sort_block_sort_configILj256ELj4ELNS0_20block_sort_algorithmE0EEENS0_14default_configENS1_37merge_sort_block_sort_config_selectorIbiEENS1_38merge_sort_block_merge_config_selectorIbiEEEEvv ; -- Begin function _ZN7rocprim17ROCPRIM_400000_NS6detail44device_merge_sort_compile_time_verifier_archINS1_11comp_targetILNS1_3genE9ELNS1_11target_archE1100ELNS1_3gpuE3ELNS1_3repE0EEES8_NS1_28merge_sort_block_sort_configILj256ELj4ELNS0_20block_sort_algorithmE0EEENS0_14default_configENS1_37merge_sort_block_sort_config_selectorIbiEENS1_38merge_sort_block_merge_config_selectorIbiEEEEvv
	.globl	_ZN7rocprim17ROCPRIM_400000_NS6detail44device_merge_sort_compile_time_verifier_archINS1_11comp_targetILNS1_3genE9ELNS1_11target_archE1100ELNS1_3gpuE3ELNS1_3repE0EEES8_NS1_28merge_sort_block_sort_configILj256ELj4ELNS0_20block_sort_algorithmE0EEENS0_14default_configENS1_37merge_sort_block_sort_config_selectorIbiEENS1_38merge_sort_block_merge_config_selectorIbiEEEEvv
	.p2align	8
	.type	_ZN7rocprim17ROCPRIM_400000_NS6detail44device_merge_sort_compile_time_verifier_archINS1_11comp_targetILNS1_3genE9ELNS1_11target_archE1100ELNS1_3gpuE3ELNS1_3repE0EEES8_NS1_28merge_sort_block_sort_configILj256ELj4ELNS0_20block_sort_algorithmE0EEENS0_14default_configENS1_37merge_sort_block_sort_config_selectorIbiEENS1_38merge_sort_block_merge_config_selectorIbiEEEEvv,@function
_ZN7rocprim17ROCPRIM_400000_NS6detail44device_merge_sort_compile_time_verifier_archINS1_11comp_targetILNS1_3genE9ELNS1_11target_archE1100ELNS1_3gpuE3ELNS1_3repE0EEES8_NS1_28merge_sort_block_sort_configILj256ELj4ELNS0_20block_sort_algorithmE0EEENS0_14default_configENS1_37merge_sort_block_sort_config_selectorIbiEENS1_38merge_sort_block_merge_config_selectorIbiEEEEvv: ; @_ZN7rocprim17ROCPRIM_400000_NS6detail44device_merge_sort_compile_time_verifier_archINS1_11comp_targetILNS1_3genE9ELNS1_11target_archE1100ELNS1_3gpuE3ELNS1_3repE0EEES8_NS1_28merge_sort_block_sort_configILj256ELj4ELNS0_20block_sort_algorithmE0EEENS0_14default_configENS1_37merge_sort_block_sort_config_selectorIbiEENS1_38merge_sort_block_merge_config_selectorIbiEEEEvv
; %bb.0:
	s_endpgm
	.section	.rodata,"a",@progbits
	.p2align	6, 0x0
	.amdhsa_kernel _ZN7rocprim17ROCPRIM_400000_NS6detail44device_merge_sort_compile_time_verifier_archINS1_11comp_targetILNS1_3genE9ELNS1_11target_archE1100ELNS1_3gpuE3ELNS1_3repE0EEES8_NS1_28merge_sort_block_sort_configILj256ELj4ELNS0_20block_sort_algorithmE0EEENS0_14default_configENS1_37merge_sort_block_sort_config_selectorIbiEENS1_38merge_sort_block_merge_config_selectorIbiEEEEvv
		.amdhsa_group_segment_fixed_size 0
		.amdhsa_private_segment_fixed_size 0
		.amdhsa_kernarg_size 0
		.amdhsa_user_sgpr_count 0
		.amdhsa_user_sgpr_dispatch_ptr 0
		.amdhsa_user_sgpr_queue_ptr 0
		.amdhsa_user_sgpr_kernarg_segment_ptr 0
		.amdhsa_user_sgpr_dispatch_id 0
		.amdhsa_user_sgpr_kernarg_preload_length 0
		.amdhsa_user_sgpr_kernarg_preload_offset 0
		.amdhsa_user_sgpr_private_segment_size 0
		.amdhsa_uses_dynamic_stack 0
		.amdhsa_enable_private_segment 0
		.amdhsa_system_sgpr_workgroup_id_x 1
		.amdhsa_system_sgpr_workgroup_id_y 0
		.amdhsa_system_sgpr_workgroup_id_z 0
		.amdhsa_system_sgpr_workgroup_info 0
		.amdhsa_system_vgpr_workitem_id 0
		.amdhsa_next_free_vgpr 1
		.amdhsa_next_free_sgpr 0
		.amdhsa_accum_offset 4
		.amdhsa_reserve_vcc 0
		.amdhsa_float_round_mode_32 0
		.amdhsa_float_round_mode_16_64 0
		.amdhsa_float_denorm_mode_32 3
		.amdhsa_float_denorm_mode_16_64 3
		.amdhsa_dx10_clamp 1
		.amdhsa_ieee_mode 1
		.amdhsa_fp16_overflow 0
		.amdhsa_tg_split 0
		.amdhsa_exception_fp_ieee_invalid_op 0
		.amdhsa_exception_fp_denorm_src 0
		.amdhsa_exception_fp_ieee_div_zero 0
		.amdhsa_exception_fp_ieee_overflow 0
		.amdhsa_exception_fp_ieee_underflow 0
		.amdhsa_exception_fp_ieee_inexact 0
		.amdhsa_exception_int_div_zero 0
	.end_amdhsa_kernel
	.section	.text._ZN7rocprim17ROCPRIM_400000_NS6detail44device_merge_sort_compile_time_verifier_archINS1_11comp_targetILNS1_3genE9ELNS1_11target_archE1100ELNS1_3gpuE3ELNS1_3repE0EEES8_NS1_28merge_sort_block_sort_configILj256ELj4ELNS0_20block_sort_algorithmE0EEENS0_14default_configENS1_37merge_sort_block_sort_config_selectorIbiEENS1_38merge_sort_block_merge_config_selectorIbiEEEEvv,"axG",@progbits,_ZN7rocprim17ROCPRIM_400000_NS6detail44device_merge_sort_compile_time_verifier_archINS1_11comp_targetILNS1_3genE9ELNS1_11target_archE1100ELNS1_3gpuE3ELNS1_3repE0EEES8_NS1_28merge_sort_block_sort_configILj256ELj4ELNS0_20block_sort_algorithmE0EEENS0_14default_configENS1_37merge_sort_block_sort_config_selectorIbiEENS1_38merge_sort_block_merge_config_selectorIbiEEEEvv,comdat
.Lfunc_end1907:
	.size	_ZN7rocprim17ROCPRIM_400000_NS6detail44device_merge_sort_compile_time_verifier_archINS1_11comp_targetILNS1_3genE9ELNS1_11target_archE1100ELNS1_3gpuE3ELNS1_3repE0EEES8_NS1_28merge_sort_block_sort_configILj256ELj4ELNS0_20block_sort_algorithmE0EEENS0_14default_configENS1_37merge_sort_block_sort_config_selectorIbiEENS1_38merge_sort_block_merge_config_selectorIbiEEEEvv, .Lfunc_end1907-_ZN7rocprim17ROCPRIM_400000_NS6detail44device_merge_sort_compile_time_verifier_archINS1_11comp_targetILNS1_3genE9ELNS1_11target_archE1100ELNS1_3gpuE3ELNS1_3repE0EEES8_NS1_28merge_sort_block_sort_configILj256ELj4ELNS0_20block_sort_algorithmE0EEENS0_14default_configENS1_37merge_sort_block_sort_config_selectorIbiEENS1_38merge_sort_block_merge_config_selectorIbiEEEEvv
                                        ; -- End function
	.set _ZN7rocprim17ROCPRIM_400000_NS6detail44device_merge_sort_compile_time_verifier_archINS1_11comp_targetILNS1_3genE9ELNS1_11target_archE1100ELNS1_3gpuE3ELNS1_3repE0EEES8_NS1_28merge_sort_block_sort_configILj256ELj4ELNS0_20block_sort_algorithmE0EEENS0_14default_configENS1_37merge_sort_block_sort_config_selectorIbiEENS1_38merge_sort_block_merge_config_selectorIbiEEEEvv.num_vgpr, 0
	.set _ZN7rocprim17ROCPRIM_400000_NS6detail44device_merge_sort_compile_time_verifier_archINS1_11comp_targetILNS1_3genE9ELNS1_11target_archE1100ELNS1_3gpuE3ELNS1_3repE0EEES8_NS1_28merge_sort_block_sort_configILj256ELj4ELNS0_20block_sort_algorithmE0EEENS0_14default_configENS1_37merge_sort_block_sort_config_selectorIbiEENS1_38merge_sort_block_merge_config_selectorIbiEEEEvv.num_agpr, 0
	.set _ZN7rocprim17ROCPRIM_400000_NS6detail44device_merge_sort_compile_time_verifier_archINS1_11comp_targetILNS1_3genE9ELNS1_11target_archE1100ELNS1_3gpuE3ELNS1_3repE0EEES8_NS1_28merge_sort_block_sort_configILj256ELj4ELNS0_20block_sort_algorithmE0EEENS0_14default_configENS1_37merge_sort_block_sort_config_selectorIbiEENS1_38merge_sort_block_merge_config_selectorIbiEEEEvv.numbered_sgpr, 0
	.set _ZN7rocprim17ROCPRIM_400000_NS6detail44device_merge_sort_compile_time_verifier_archINS1_11comp_targetILNS1_3genE9ELNS1_11target_archE1100ELNS1_3gpuE3ELNS1_3repE0EEES8_NS1_28merge_sort_block_sort_configILj256ELj4ELNS0_20block_sort_algorithmE0EEENS0_14default_configENS1_37merge_sort_block_sort_config_selectorIbiEENS1_38merge_sort_block_merge_config_selectorIbiEEEEvv.num_named_barrier, 0
	.set _ZN7rocprim17ROCPRIM_400000_NS6detail44device_merge_sort_compile_time_verifier_archINS1_11comp_targetILNS1_3genE9ELNS1_11target_archE1100ELNS1_3gpuE3ELNS1_3repE0EEES8_NS1_28merge_sort_block_sort_configILj256ELj4ELNS0_20block_sort_algorithmE0EEENS0_14default_configENS1_37merge_sort_block_sort_config_selectorIbiEENS1_38merge_sort_block_merge_config_selectorIbiEEEEvv.private_seg_size, 0
	.set _ZN7rocprim17ROCPRIM_400000_NS6detail44device_merge_sort_compile_time_verifier_archINS1_11comp_targetILNS1_3genE9ELNS1_11target_archE1100ELNS1_3gpuE3ELNS1_3repE0EEES8_NS1_28merge_sort_block_sort_configILj256ELj4ELNS0_20block_sort_algorithmE0EEENS0_14default_configENS1_37merge_sort_block_sort_config_selectorIbiEENS1_38merge_sort_block_merge_config_selectorIbiEEEEvv.uses_vcc, 0
	.set _ZN7rocprim17ROCPRIM_400000_NS6detail44device_merge_sort_compile_time_verifier_archINS1_11comp_targetILNS1_3genE9ELNS1_11target_archE1100ELNS1_3gpuE3ELNS1_3repE0EEES8_NS1_28merge_sort_block_sort_configILj256ELj4ELNS0_20block_sort_algorithmE0EEENS0_14default_configENS1_37merge_sort_block_sort_config_selectorIbiEENS1_38merge_sort_block_merge_config_selectorIbiEEEEvv.uses_flat_scratch, 0
	.set _ZN7rocprim17ROCPRIM_400000_NS6detail44device_merge_sort_compile_time_verifier_archINS1_11comp_targetILNS1_3genE9ELNS1_11target_archE1100ELNS1_3gpuE3ELNS1_3repE0EEES8_NS1_28merge_sort_block_sort_configILj256ELj4ELNS0_20block_sort_algorithmE0EEENS0_14default_configENS1_37merge_sort_block_sort_config_selectorIbiEENS1_38merge_sort_block_merge_config_selectorIbiEEEEvv.has_dyn_sized_stack, 0
	.set _ZN7rocprim17ROCPRIM_400000_NS6detail44device_merge_sort_compile_time_verifier_archINS1_11comp_targetILNS1_3genE9ELNS1_11target_archE1100ELNS1_3gpuE3ELNS1_3repE0EEES8_NS1_28merge_sort_block_sort_configILj256ELj4ELNS0_20block_sort_algorithmE0EEENS0_14default_configENS1_37merge_sort_block_sort_config_selectorIbiEENS1_38merge_sort_block_merge_config_selectorIbiEEEEvv.has_recursion, 0
	.set _ZN7rocprim17ROCPRIM_400000_NS6detail44device_merge_sort_compile_time_verifier_archINS1_11comp_targetILNS1_3genE9ELNS1_11target_archE1100ELNS1_3gpuE3ELNS1_3repE0EEES8_NS1_28merge_sort_block_sort_configILj256ELj4ELNS0_20block_sort_algorithmE0EEENS0_14default_configENS1_37merge_sort_block_sort_config_selectorIbiEENS1_38merge_sort_block_merge_config_selectorIbiEEEEvv.has_indirect_call, 0
	.section	.AMDGPU.csdata,"",@progbits
; Kernel info:
; codeLenInByte = 4
; TotalNumSgprs: 6
; NumVgprs: 0
; NumAgprs: 0
; TotalNumVgprs: 0
; ScratchSize: 0
; MemoryBound: 0
; FloatMode: 240
; IeeeMode: 1
; LDSByteSize: 0 bytes/workgroup (compile time only)
; SGPRBlocks: 0
; VGPRBlocks: 0
; NumSGPRsForWavesPerEU: 6
; NumVGPRsForWavesPerEU: 1
; AccumOffset: 4
; Occupancy: 8
; WaveLimiterHint : 0
; COMPUTE_PGM_RSRC2:SCRATCH_EN: 0
; COMPUTE_PGM_RSRC2:USER_SGPR: 0
; COMPUTE_PGM_RSRC2:TRAP_HANDLER: 0
; COMPUTE_PGM_RSRC2:TGID_X_EN: 1
; COMPUTE_PGM_RSRC2:TGID_Y_EN: 0
; COMPUTE_PGM_RSRC2:TGID_Z_EN: 0
; COMPUTE_PGM_RSRC2:TIDIG_COMP_CNT: 0
; COMPUTE_PGM_RSRC3_GFX90A:ACCUM_OFFSET: 0
; COMPUTE_PGM_RSRC3_GFX90A:TG_SPLIT: 0
	.section	.text._ZN7rocprim17ROCPRIM_400000_NS6detail44device_merge_sort_compile_time_verifier_archINS1_11comp_targetILNS1_3genE8ELNS1_11target_archE1030ELNS1_3gpuE2ELNS1_3repE0EEES8_NS1_28merge_sort_block_sort_configILj256ELj4ELNS0_20block_sort_algorithmE0EEENS0_14default_configENS1_37merge_sort_block_sort_config_selectorIbiEENS1_38merge_sort_block_merge_config_selectorIbiEEEEvv,"axG",@progbits,_ZN7rocprim17ROCPRIM_400000_NS6detail44device_merge_sort_compile_time_verifier_archINS1_11comp_targetILNS1_3genE8ELNS1_11target_archE1030ELNS1_3gpuE2ELNS1_3repE0EEES8_NS1_28merge_sort_block_sort_configILj256ELj4ELNS0_20block_sort_algorithmE0EEENS0_14default_configENS1_37merge_sort_block_sort_config_selectorIbiEENS1_38merge_sort_block_merge_config_selectorIbiEEEEvv,comdat
	.protected	_ZN7rocprim17ROCPRIM_400000_NS6detail44device_merge_sort_compile_time_verifier_archINS1_11comp_targetILNS1_3genE8ELNS1_11target_archE1030ELNS1_3gpuE2ELNS1_3repE0EEES8_NS1_28merge_sort_block_sort_configILj256ELj4ELNS0_20block_sort_algorithmE0EEENS0_14default_configENS1_37merge_sort_block_sort_config_selectorIbiEENS1_38merge_sort_block_merge_config_selectorIbiEEEEvv ; -- Begin function _ZN7rocprim17ROCPRIM_400000_NS6detail44device_merge_sort_compile_time_verifier_archINS1_11comp_targetILNS1_3genE8ELNS1_11target_archE1030ELNS1_3gpuE2ELNS1_3repE0EEES8_NS1_28merge_sort_block_sort_configILj256ELj4ELNS0_20block_sort_algorithmE0EEENS0_14default_configENS1_37merge_sort_block_sort_config_selectorIbiEENS1_38merge_sort_block_merge_config_selectorIbiEEEEvv
	.globl	_ZN7rocprim17ROCPRIM_400000_NS6detail44device_merge_sort_compile_time_verifier_archINS1_11comp_targetILNS1_3genE8ELNS1_11target_archE1030ELNS1_3gpuE2ELNS1_3repE0EEES8_NS1_28merge_sort_block_sort_configILj256ELj4ELNS0_20block_sort_algorithmE0EEENS0_14default_configENS1_37merge_sort_block_sort_config_selectorIbiEENS1_38merge_sort_block_merge_config_selectorIbiEEEEvv
	.p2align	8
	.type	_ZN7rocprim17ROCPRIM_400000_NS6detail44device_merge_sort_compile_time_verifier_archINS1_11comp_targetILNS1_3genE8ELNS1_11target_archE1030ELNS1_3gpuE2ELNS1_3repE0EEES8_NS1_28merge_sort_block_sort_configILj256ELj4ELNS0_20block_sort_algorithmE0EEENS0_14default_configENS1_37merge_sort_block_sort_config_selectorIbiEENS1_38merge_sort_block_merge_config_selectorIbiEEEEvv,@function
_ZN7rocprim17ROCPRIM_400000_NS6detail44device_merge_sort_compile_time_verifier_archINS1_11comp_targetILNS1_3genE8ELNS1_11target_archE1030ELNS1_3gpuE2ELNS1_3repE0EEES8_NS1_28merge_sort_block_sort_configILj256ELj4ELNS0_20block_sort_algorithmE0EEENS0_14default_configENS1_37merge_sort_block_sort_config_selectorIbiEENS1_38merge_sort_block_merge_config_selectorIbiEEEEvv: ; @_ZN7rocprim17ROCPRIM_400000_NS6detail44device_merge_sort_compile_time_verifier_archINS1_11comp_targetILNS1_3genE8ELNS1_11target_archE1030ELNS1_3gpuE2ELNS1_3repE0EEES8_NS1_28merge_sort_block_sort_configILj256ELj4ELNS0_20block_sort_algorithmE0EEENS0_14default_configENS1_37merge_sort_block_sort_config_selectorIbiEENS1_38merge_sort_block_merge_config_selectorIbiEEEEvv
; %bb.0:
	s_endpgm
	.section	.rodata,"a",@progbits
	.p2align	6, 0x0
	.amdhsa_kernel _ZN7rocprim17ROCPRIM_400000_NS6detail44device_merge_sort_compile_time_verifier_archINS1_11comp_targetILNS1_3genE8ELNS1_11target_archE1030ELNS1_3gpuE2ELNS1_3repE0EEES8_NS1_28merge_sort_block_sort_configILj256ELj4ELNS0_20block_sort_algorithmE0EEENS0_14default_configENS1_37merge_sort_block_sort_config_selectorIbiEENS1_38merge_sort_block_merge_config_selectorIbiEEEEvv
		.amdhsa_group_segment_fixed_size 0
		.amdhsa_private_segment_fixed_size 0
		.amdhsa_kernarg_size 0
		.amdhsa_user_sgpr_count 0
		.amdhsa_user_sgpr_dispatch_ptr 0
		.amdhsa_user_sgpr_queue_ptr 0
		.amdhsa_user_sgpr_kernarg_segment_ptr 0
		.amdhsa_user_sgpr_dispatch_id 0
		.amdhsa_user_sgpr_kernarg_preload_length 0
		.amdhsa_user_sgpr_kernarg_preload_offset 0
		.amdhsa_user_sgpr_private_segment_size 0
		.amdhsa_uses_dynamic_stack 0
		.amdhsa_enable_private_segment 0
		.amdhsa_system_sgpr_workgroup_id_x 1
		.amdhsa_system_sgpr_workgroup_id_y 0
		.amdhsa_system_sgpr_workgroup_id_z 0
		.amdhsa_system_sgpr_workgroup_info 0
		.amdhsa_system_vgpr_workitem_id 0
		.amdhsa_next_free_vgpr 1
		.amdhsa_next_free_sgpr 0
		.amdhsa_accum_offset 4
		.amdhsa_reserve_vcc 0
		.amdhsa_float_round_mode_32 0
		.amdhsa_float_round_mode_16_64 0
		.amdhsa_float_denorm_mode_32 3
		.amdhsa_float_denorm_mode_16_64 3
		.amdhsa_dx10_clamp 1
		.amdhsa_ieee_mode 1
		.amdhsa_fp16_overflow 0
		.amdhsa_tg_split 0
		.amdhsa_exception_fp_ieee_invalid_op 0
		.amdhsa_exception_fp_denorm_src 0
		.amdhsa_exception_fp_ieee_div_zero 0
		.amdhsa_exception_fp_ieee_overflow 0
		.amdhsa_exception_fp_ieee_underflow 0
		.amdhsa_exception_fp_ieee_inexact 0
		.amdhsa_exception_int_div_zero 0
	.end_amdhsa_kernel
	.section	.text._ZN7rocprim17ROCPRIM_400000_NS6detail44device_merge_sort_compile_time_verifier_archINS1_11comp_targetILNS1_3genE8ELNS1_11target_archE1030ELNS1_3gpuE2ELNS1_3repE0EEES8_NS1_28merge_sort_block_sort_configILj256ELj4ELNS0_20block_sort_algorithmE0EEENS0_14default_configENS1_37merge_sort_block_sort_config_selectorIbiEENS1_38merge_sort_block_merge_config_selectorIbiEEEEvv,"axG",@progbits,_ZN7rocprim17ROCPRIM_400000_NS6detail44device_merge_sort_compile_time_verifier_archINS1_11comp_targetILNS1_3genE8ELNS1_11target_archE1030ELNS1_3gpuE2ELNS1_3repE0EEES8_NS1_28merge_sort_block_sort_configILj256ELj4ELNS0_20block_sort_algorithmE0EEENS0_14default_configENS1_37merge_sort_block_sort_config_selectorIbiEENS1_38merge_sort_block_merge_config_selectorIbiEEEEvv,comdat
.Lfunc_end1908:
	.size	_ZN7rocprim17ROCPRIM_400000_NS6detail44device_merge_sort_compile_time_verifier_archINS1_11comp_targetILNS1_3genE8ELNS1_11target_archE1030ELNS1_3gpuE2ELNS1_3repE0EEES8_NS1_28merge_sort_block_sort_configILj256ELj4ELNS0_20block_sort_algorithmE0EEENS0_14default_configENS1_37merge_sort_block_sort_config_selectorIbiEENS1_38merge_sort_block_merge_config_selectorIbiEEEEvv, .Lfunc_end1908-_ZN7rocprim17ROCPRIM_400000_NS6detail44device_merge_sort_compile_time_verifier_archINS1_11comp_targetILNS1_3genE8ELNS1_11target_archE1030ELNS1_3gpuE2ELNS1_3repE0EEES8_NS1_28merge_sort_block_sort_configILj256ELj4ELNS0_20block_sort_algorithmE0EEENS0_14default_configENS1_37merge_sort_block_sort_config_selectorIbiEENS1_38merge_sort_block_merge_config_selectorIbiEEEEvv
                                        ; -- End function
	.set _ZN7rocprim17ROCPRIM_400000_NS6detail44device_merge_sort_compile_time_verifier_archINS1_11comp_targetILNS1_3genE8ELNS1_11target_archE1030ELNS1_3gpuE2ELNS1_3repE0EEES8_NS1_28merge_sort_block_sort_configILj256ELj4ELNS0_20block_sort_algorithmE0EEENS0_14default_configENS1_37merge_sort_block_sort_config_selectorIbiEENS1_38merge_sort_block_merge_config_selectorIbiEEEEvv.num_vgpr, 0
	.set _ZN7rocprim17ROCPRIM_400000_NS6detail44device_merge_sort_compile_time_verifier_archINS1_11comp_targetILNS1_3genE8ELNS1_11target_archE1030ELNS1_3gpuE2ELNS1_3repE0EEES8_NS1_28merge_sort_block_sort_configILj256ELj4ELNS0_20block_sort_algorithmE0EEENS0_14default_configENS1_37merge_sort_block_sort_config_selectorIbiEENS1_38merge_sort_block_merge_config_selectorIbiEEEEvv.num_agpr, 0
	.set _ZN7rocprim17ROCPRIM_400000_NS6detail44device_merge_sort_compile_time_verifier_archINS1_11comp_targetILNS1_3genE8ELNS1_11target_archE1030ELNS1_3gpuE2ELNS1_3repE0EEES8_NS1_28merge_sort_block_sort_configILj256ELj4ELNS0_20block_sort_algorithmE0EEENS0_14default_configENS1_37merge_sort_block_sort_config_selectorIbiEENS1_38merge_sort_block_merge_config_selectorIbiEEEEvv.numbered_sgpr, 0
	.set _ZN7rocprim17ROCPRIM_400000_NS6detail44device_merge_sort_compile_time_verifier_archINS1_11comp_targetILNS1_3genE8ELNS1_11target_archE1030ELNS1_3gpuE2ELNS1_3repE0EEES8_NS1_28merge_sort_block_sort_configILj256ELj4ELNS0_20block_sort_algorithmE0EEENS0_14default_configENS1_37merge_sort_block_sort_config_selectorIbiEENS1_38merge_sort_block_merge_config_selectorIbiEEEEvv.num_named_barrier, 0
	.set _ZN7rocprim17ROCPRIM_400000_NS6detail44device_merge_sort_compile_time_verifier_archINS1_11comp_targetILNS1_3genE8ELNS1_11target_archE1030ELNS1_3gpuE2ELNS1_3repE0EEES8_NS1_28merge_sort_block_sort_configILj256ELj4ELNS0_20block_sort_algorithmE0EEENS0_14default_configENS1_37merge_sort_block_sort_config_selectorIbiEENS1_38merge_sort_block_merge_config_selectorIbiEEEEvv.private_seg_size, 0
	.set _ZN7rocprim17ROCPRIM_400000_NS6detail44device_merge_sort_compile_time_verifier_archINS1_11comp_targetILNS1_3genE8ELNS1_11target_archE1030ELNS1_3gpuE2ELNS1_3repE0EEES8_NS1_28merge_sort_block_sort_configILj256ELj4ELNS0_20block_sort_algorithmE0EEENS0_14default_configENS1_37merge_sort_block_sort_config_selectorIbiEENS1_38merge_sort_block_merge_config_selectorIbiEEEEvv.uses_vcc, 0
	.set _ZN7rocprim17ROCPRIM_400000_NS6detail44device_merge_sort_compile_time_verifier_archINS1_11comp_targetILNS1_3genE8ELNS1_11target_archE1030ELNS1_3gpuE2ELNS1_3repE0EEES8_NS1_28merge_sort_block_sort_configILj256ELj4ELNS0_20block_sort_algorithmE0EEENS0_14default_configENS1_37merge_sort_block_sort_config_selectorIbiEENS1_38merge_sort_block_merge_config_selectorIbiEEEEvv.uses_flat_scratch, 0
	.set _ZN7rocprim17ROCPRIM_400000_NS6detail44device_merge_sort_compile_time_verifier_archINS1_11comp_targetILNS1_3genE8ELNS1_11target_archE1030ELNS1_3gpuE2ELNS1_3repE0EEES8_NS1_28merge_sort_block_sort_configILj256ELj4ELNS0_20block_sort_algorithmE0EEENS0_14default_configENS1_37merge_sort_block_sort_config_selectorIbiEENS1_38merge_sort_block_merge_config_selectorIbiEEEEvv.has_dyn_sized_stack, 0
	.set _ZN7rocprim17ROCPRIM_400000_NS6detail44device_merge_sort_compile_time_verifier_archINS1_11comp_targetILNS1_3genE8ELNS1_11target_archE1030ELNS1_3gpuE2ELNS1_3repE0EEES8_NS1_28merge_sort_block_sort_configILj256ELj4ELNS0_20block_sort_algorithmE0EEENS0_14default_configENS1_37merge_sort_block_sort_config_selectorIbiEENS1_38merge_sort_block_merge_config_selectorIbiEEEEvv.has_recursion, 0
	.set _ZN7rocprim17ROCPRIM_400000_NS6detail44device_merge_sort_compile_time_verifier_archINS1_11comp_targetILNS1_3genE8ELNS1_11target_archE1030ELNS1_3gpuE2ELNS1_3repE0EEES8_NS1_28merge_sort_block_sort_configILj256ELj4ELNS0_20block_sort_algorithmE0EEENS0_14default_configENS1_37merge_sort_block_sort_config_selectorIbiEENS1_38merge_sort_block_merge_config_selectorIbiEEEEvv.has_indirect_call, 0
	.section	.AMDGPU.csdata,"",@progbits
; Kernel info:
; codeLenInByte = 4
; TotalNumSgprs: 6
; NumVgprs: 0
; NumAgprs: 0
; TotalNumVgprs: 0
; ScratchSize: 0
; MemoryBound: 0
; FloatMode: 240
; IeeeMode: 1
; LDSByteSize: 0 bytes/workgroup (compile time only)
; SGPRBlocks: 0
; VGPRBlocks: 0
; NumSGPRsForWavesPerEU: 6
; NumVGPRsForWavesPerEU: 1
; AccumOffset: 4
; Occupancy: 8
; WaveLimiterHint : 0
; COMPUTE_PGM_RSRC2:SCRATCH_EN: 0
; COMPUTE_PGM_RSRC2:USER_SGPR: 0
; COMPUTE_PGM_RSRC2:TRAP_HANDLER: 0
; COMPUTE_PGM_RSRC2:TGID_X_EN: 1
; COMPUTE_PGM_RSRC2:TGID_Y_EN: 0
; COMPUTE_PGM_RSRC2:TGID_Z_EN: 0
; COMPUTE_PGM_RSRC2:TIDIG_COMP_CNT: 0
; COMPUTE_PGM_RSRC3_GFX90A:ACCUM_OFFSET: 0
; COMPUTE_PGM_RSRC3_GFX90A:TG_SPLIT: 0
	.section	.text._ZN7rocprim17ROCPRIM_400000_NS6detail17trampoline_kernelINS0_14default_configENS1_38merge_sort_block_merge_config_selectorIbiEEZZNS1_27merge_sort_block_merge_implIS3_N6thrust23THRUST_200600_302600_NS6detail15normal_iteratorINS8_10device_ptrIbEEEENSA_INSB_IiEEEEjNS1_19radix_merge_compareILb0ELb0EbNS0_19identity_decomposerEEEEE10hipError_tT0_T1_T2_jT3_P12ihipStream_tbPNSt15iterator_traitsISK_E10value_typeEPNSQ_ISL_E10value_typeEPSM_NS1_7vsmem_tEENKUlT_SK_SL_SM_E_clIPbSD_PiSF_EESJ_SZ_SK_SL_SM_EUlSZ_E_NS1_11comp_targetILNS1_3genE0ELNS1_11target_archE4294967295ELNS1_3gpuE0ELNS1_3repE0EEENS1_48merge_mergepath_partition_config_static_selectorELNS0_4arch9wavefront6targetE1EEEvSL_,"axG",@progbits,_ZN7rocprim17ROCPRIM_400000_NS6detail17trampoline_kernelINS0_14default_configENS1_38merge_sort_block_merge_config_selectorIbiEEZZNS1_27merge_sort_block_merge_implIS3_N6thrust23THRUST_200600_302600_NS6detail15normal_iteratorINS8_10device_ptrIbEEEENSA_INSB_IiEEEEjNS1_19radix_merge_compareILb0ELb0EbNS0_19identity_decomposerEEEEE10hipError_tT0_T1_T2_jT3_P12ihipStream_tbPNSt15iterator_traitsISK_E10value_typeEPNSQ_ISL_E10value_typeEPSM_NS1_7vsmem_tEENKUlT_SK_SL_SM_E_clIPbSD_PiSF_EESJ_SZ_SK_SL_SM_EUlSZ_E_NS1_11comp_targetILNS1_3genE0ELNS1_11target_archE4294967295ELNS1_3gpuE0ELNS1_3repE0EEENS1_48merge_mergepath_partition_config_static_selectorELNS0_4arch9wavefront6targetE1EEEvSL_,comdat
	.protected	_ZN7rocprim17ROCPRIM_400000_NS6detail17trampoline_kernelINS0_14default_configENS1_38merge_sort_block_merge_config_selectorIbiEEZZNS1_27merge_sort_block_merge_implIS3_N6thrust23THRUST_200600_302600_NS6detail15normal_iteratorINS8_10device_ptrIbEEEENSA_INSB_IiEEEEjNS1_19radix_merge_compareILb0ELb0EbNS0_19identity_decomposerEEEEE10hipError_tT0_T1_T2_jT3_P12ihipStream_tbPNSt15iterator_traitsISK_E10value_typeEPNSQ_ISL_E10value_typeEPSM_NS1_7vsmem_tEENKUlT_SK_SL_SM_E_clIPbSD_PiSF_EESJ_SZ_SK_SL_SM_EUlSZ_E_NS1_11comp_targetILNS1_3genE0ELNS1_11target_archE4294967295ELNS1_3gpuE0ELNS1_3repE0EEENS1_48merge_mergepath_partition_config_static_selectorELNS0_4arch9wavefront6targetE1EEEvSL_ ; -- Begin function _ZN7rocprim17ROCPRIM_400000_NS6detail17trampoline_kernelINS0_14default_configENS1_38merge_sort_block_merge_config_selectorIbiEEZZNS1_27merge_sort_block_merge_implIS3_N6thrust23THRUST_200600_302600_NS6detail15normal_iteratorINS8_10device_ptrIbEEEENSA_INSB_IiEEEEjNS1_19radix_merge_compareILb0ELb0EbNS0_19identity_decomposerEEEEE10hipError_tT0_T1_T2_jT3_P12ihipStream_tbPNSt15iterator_traitsISK_E10value_typeEPNSQ_ISL_E10value_typeEPSM_NS1_7vsmem_tEENKUlT_SK_SL_SM_E_clIPbSD_PiSF_EESJ_SZ_SK_SL_SM_EUlSZ_E_NS1_11comp_targetILNS1_3genE0ELNS1_11target_archE4294967295ELNS1_3gpuE0ELNS1_3repE0EEENS1_48merge_mergepath_partition_config_static_selectorELNS0_4arch9wavefront6targetE1EEEvSL_
	.globl	_ZN7rocprim17ROCPRIM_400000_NS6detail17trampoline_kernelINS0_14default_configENS1_38merge_sort_block_merge_config_selectorIbiEEZZNS1_27merge_sort_block_merge_implIS3_N6thrust23THRUST_200600_302600_NS6detail15normal_iteratorINS8_10device_ptrIbEEEENSA_INSB_IiEEEEjNS1_19radix_merge_compareILb0ELb0EbNS0_19identity_decomposerEEEEE10hipError_tT0_T1_T2_jT3_P12ihipStream_tbPNSt15iterator_traitsISK_E10value_typeEPNSQ_ISL_E10value_typeEPSM_NS1_7vsmem_tEENKUlT_SK_SL_SM_E_clIPbSD_PiSF_EESJ_SZ_SK_SL_SM_EUlSZ_E_NS1_11comp_targetILNS1_3genE0ELNS1_11target_archE4294967295ELNS1_3gpuE0ELNS1_3repE0EEENS1_48merge_mergepath_partition_config_static_selectorELNS0_4arch9wavefront6targetE1EEEvSL_
	.p2align	8
	.type	_ZN7rocprim17ROCPRIM_400000_NS6detail17trampoline_kernelINS0_14default_configENS1_38merge_sort_block_merge_config_selectorIbiEEZZNS1_27merge_sort_block_merge_implIS3_N6thrust23THRUST_200600_302600_NS6detail15normal_iteratorINS8_10device_ptrIbEEEENSA_INSB_IiEEEEjNS1_19radix_merge_compareILb0ELb0EbNS0_19identity_decomposerEEEEE10hipError_tT0_T1_T2_jT3_P12ihipStream_tbPNSt15iterator_traitsISK_E10value_typeEPNSQ_ISL_E10value_typeEPSM_NS1_7vsmem_tEENKUlT_SK_SL_SM_E_clIPbSD_PiSF_EESJ_SZ_SK_SL_SM_EUlSZ_E_NS1_11comp_targetILNS1_3genE0ELNS1_11target_archE4294967295ELNS1_3gpuE0ELNS1_3repE0EEENS1_48merge_mergepath_partition_config_static_selectorELNS0_4arch9wavefront6targetE1EEEvSL_,@function
_ZN7rocprim17ROCPRIM_400000_NS6detail17trampoline_kernelINS0_14default_configENS1_38merge_sort_block_merge_config_selectorIbiEEZZNS1_27merge_sort_block_merge_implIS3_N6thrust23THRUST_200600_302600_NS6detail15normal_iteratorINS8_10device_ptrIbEEEENSA_INSB_IiEEEEjNS1_19radix_merge_compareILb0ELb0EbNS0_19identity_decomposerEEEEE10hipError_tT0_T1_T2_jT3_P12ihipStream_tbPNSt15iterator_traitsISK_E10value_typeEPNSQ_ISL_E10value_typeEPSM_NS1_7vsmem_tEENKUlT_SK_SL_SM_E_clIPbSD_PiSF_EESJ_SZ_SK_SL_SM_EUlSZ_E_NS1_11comp_targetILNS1_3genE0ELNS1_11target_archE4294967295ELNS1_3gpuE0ELNS1_3repE0EEENS1_48merge_mergepath_partition_config_static_selectorELNS0_4arch9wavefront6targetE1EEEvSL_: ; @_ZN7rocprim17ROCPRIM_400000_NS6detail17trampoline_kernelINS0_14default_configENS1_38merge_sort_block_merge_config_selectorIbiEEZZNS1_27merge_sort_block_merge_implIS3_N6thrust23THRUST_200600_302600_NS6detail15normal_iteratorINS8_10device_ptrIbEEEENSA_INSB_IiEEEEjNS1_19radix_merge_compareILb0ELb0EbNS0_19identity_decomposerEEEEE10hipError_tT0_T1_T2_jT3_P12ihipStream_tbPNSt15iterator_traitsISK_E10value_typeEPNSQ_ISL_E10value_typeEPSM_NS1_7vsmem_tEENKUlT_SK_SL_SM_E_clIPbSD_PiSF_EESJ_SZ_SK_SL_SM_EUlSZ_E_NS1_11comp_targetILNS1_3genE0ELNS1_11target_archE4294967295ELNS1_3gpuE0ELNS1_3repE0EEENS1_48merge_mergepath_partition_config_static_selectorELNS0_4arch9wavefront6targetE1EEEvSL_
; %bb.0:
	s_load_dword s3, s[0:1], 0x0
	v_lshl_or_b32 v0, s2, 7, v0
	s_waitcnt lgkmcnt(0)
	v_cmp_gt_u32_e32 vcc, s3, v0
	s_and_saveexec_b64 s[2:3], vcc
	s_cbranch_execz .LBB1909_6
; %bb.1:
	s_load_dwordx2 s[4:5], s[0:1], 0x4
	s_load_dwordx2 s[2:3], s[0:1], 0x20
	s_waitcnt lgkmcnt(0)
	s_lshr_b32 s6, s4, 9
	s_and_b32 s6, s6, 0x7ffffe
	s_add_i32 s7, s6, -1
	s_sub_i32 s6, 0, s6
	v_and_b32_e32 v1, s6, v0
	v_lshlrev_b32_e32 v1, 10, v1
	v_min_u32_e32 v2, s5, v1
	v_add_u32_e32 v1, s4, v1
	v_min_u32_e32 v4, s5, v1
	v_add_u32_e32 v1, s4, v4
	v_and_b32_e32 v3, s7, v0
	v_min_u32_e32 v1, s5, v1
	v_sub_u32_e32 v5, v1, v2
	v_lshlrev_b32_e32 v3, 10, v3
	v_min_u32_e32 v10, v5, v3
	v_sub_u32_e32 v3, v4, v2
	v_sub_u32_e32 v1, v1, v4
	v_sub_u32_e64 v1, v10, v1 clamp
	v_min_u32_e32 v11, v10, v3
	v_cmp_lt_u32_e32 vcc, v1, v11
	s_and_saveexec_b64 s[4:5], vcc
	s_cbranch_execz .LBB1909_5
; %bb.2:
	s_load_dwordx2 s[0:1], s[0:1], 0x10
	v_mov_b32_e32 v5, 0
	v_mov_b32_e32 v3, v5
	s_waitcnt lgkmcnt(0)
	v_lshl_add_u64 v[6:7], s[0:1], 0, v[2:3]
	v_lshl_add_u64 v[8:9], s[0:1], 0, v[4:5]
	s_mov_b64 s[0:1], 0
.LBB1909_3:                             ; =>This Inner Loop Header: Depth=1
	v_add_u32_e32 v3, v11, v1
	v_lshrrev_b32_e32 v4, 1, v3
	v_mov_b32_e32 v13, v5
	v_xad_u32 v12, v4, -1, v10
	v_lshl_add_u64 v[14:15], v[6:7], 0, v[4:5]
	v_lshl_add_u64 v[12:13], v[8:9], 0, v[12:13]
	global_load_ubyte v3, v[14:15], off
	global_load_ubyte v16, v[12:13], off
	v_add_u32_e32 v12, 1, v4
	s_waitcnt vmcnt(0)
	v_cmp_gt_u16_e32 vcc, v3, v16
	s_nop 1
	v_cndmask_b32_e32 v11, v11, v4, vcc
	v_cndmask_b32_e32 v1, v12, v1, vcc
	v_cmp_ge_u32_e32 vcc, v1, v11
	s_or_b64 s[0:1], vcc, s[0:1]
	s_andn2_b64 exec, exec, s[0:1]
	s_cbranch_execnz .LBB1909_3
; %bb.4:
	s_or_b64 exec, exec, s[0:1]
.LBB1909_5:
	s_or_b64 exec, exec, s[4:5]
	v_add_u32_e32 v2, v1, v2
	v_mov_b32_e32 v1, 0
	v_lshl_add_u64 v[0:1], v[0:1], 2, s[2:3]
	global_store_dword v[0:1], v2, off
.LBB1909_6:
	s_endpgm
	.section	.rodata,"a",@progbits
	.p2align	6, 0x0
	.amdhsa_kernel _ZN7rocprim17ROCPRIM_400000_NS6detail17trampoline_kernelINS0_14default_configENS1_38merge_sort_block_merge_config_selectorIbiEEZZNS1_27merge_sort_block_merge_implIS3_N6thrust23THRUST_200600_302600_NS6detail15normal_iteratorINS8_10device_ptrIbEEEENSA_INSB_IiEEEEjNS1_19radix_merge_compareILb0ELb0EbNS0_19identity_decomposerEEEEE10hipError_tT0_T1_T2_jT3_P12ihipStream_tbPNSt15iterator_traitsISK_E10value_typeEPNSQ_ISL_E10value_typeEPSM_NS1_7vsmem_tEENKUlT_SK_SL_SM_E_clIPbSD_PiSF_EESJ_SZ_SK_SL_SM_EUlSZ_E_NS1_11comp_targetILNS1_3genE0ELNS1_11target_archE4294967295ELNS1_3gpuE0ELNS1_3repE0EEENS1_48merge_mergepath_partition_config_static_selectorELNS0_4arch9wavefront6targetE1EEEvSL_
		.amdhsa_group_segment_fixed_size 0
		.amdhsa_private_segment_fixed_size 0
		.amdhsa_kernarg_size 40
		.amdhsa_user_sgpr_count 2
		.amdhsa_user_sgpr_dispatch_ptr 0
		.amdhsa_user_sgpr_queue_ptr 0
		.amdhsa_user_sgpr_kernarg_segment_ptr 1
		.amdhsa_user_sgpr_dispatch_id 0
		.amdhsa_user_sgpr_kernarg_preload_length 0
		.amdhsa_user_sgpr_kernarg_preload_offset 0
		.amdhsa_user_sgpr_private_segment_size 0
		.amdhsa_uses_dynamic_stack 0
		.amdhsa_enable_private_segment 0
		.amdhsa_system_sgpr_workgroup_id_x 1
		.amdhsa_system_sgpr_workgroup_id_y 0
		.amdhsa_system_sgpr_workgroup_id_z 0
		.amdhsa_system_sgpr_workgroup_info 0
		.amdhsa_system_vgpr_workitem_id 0
		.amdhsa_next_free_vgpr 17
		.amdhsa_next_free_sgpr 8
		.amdhsa_accum_offset 20
		.amdhsa_reserve_vcc 1
		.amdhsa_float_round_mode_32 0
		.amdhsa_float_round_mode_16_64 0
		.amdhsa_float_denorm_mode_32 3
		.amdhsa_float_denorm_mode_16_64 3
		.amdhsa_dx10_clamp 1
		.amdhsa_ieee_mode 1
		.amdhsa_fp16_overflow 0
		.amdhsa_tg_split 0
		.amdhsa_exception_fp_ieee_invalid_op 0
		.amdhsa_exception_fp_denorm_src 0
		.amdhsa_exception_fp_ieee_div_zero 0
		.amdhsa_exception_fp_ieee_overflow 0
		.amdhsa_exception_fp_ieee_underflow 0
		.amdhsa_exception_fp_ieee_inexact 0
		.amdhsa_exception_int_div_zero 0
	.end_amdhsa_kernel
	.section	.text._ZN7rocprim17ROCPRIM_400000_NS6detail17trampoline_kernelINS0_14default_configENS1_38merge_sort_block_merge_config_selectorIbiEEZZNS1_27merge_sort_block_merge_implIS3_N6thrust23THRUST_200600_302600_NS6detail15normal_iteratorINS8_10device_ptrIbEEEENSA_INSB_IiEEEEjNS1_19radix_merge_compareILb0ELb0EbNS0_19identity_decomposerEEEEE10hipError_tT0_T1_T2_jT3_P12ihipStream_tbPNSt15iterator_traitsISK_E10value_typeEPNSQ_ISL_E10value_typeEPSM_NS1_7vsmem_tEENKUlT_SK_SL_SM_E_clIPbSD_PiSF_EESJ_SZ_SK_SL_SM_EUlSZ_E_NS1_11comp_targetILNS1_3genE0ELNS1_11target_archE4294967295ELNS1_3gpuE0ELNS1_3repE0EEENS1_48merge_mergepath_partition_config_static_selectorELNS0_4arch9wavefront6targetE1EEEvSL_,"axG",@progbits,_ZN7rocprim17ROCPRIM_400000_NS6detail17trampoline_kernelINS0_14default_configENS1_38merge_sort_block_merge_config_selectorIbiEEZZNS1_27merge_sort_block_merge_implIS3_N6thrust23THRUST_200600_302600_NS6detail15normal_iteratorINS8_10device_ptrIbEEEENSA_INSB_IiEEEEjNS1_19radix_merge_compareILb0ELb0EbNS0_19identity_decomposerEEEEE10hipError_tT0_T1_T2_jT3_P12ihipStream_tbPNSt15iterator_traitsISK_E10value_typeEPNSQ_ISL_E10value_typeEPSM_NS1_7vsmem_tEENKUlT_SK_SL_SM_E_clIPbSD_PiSF_EESJ_SZ_SK_SL_SM_EUlSZ_E_NS1_11comp_targetILNS1_3genE0ELNS1_11target_archE4294967295ELNS1_3gpuE0ELNS1_3repE0EEENS1_48merge_mergepath_partition_config_static_selectorELNS0_4arch9wavefront6targetE1EEEvSL_,comdat
.Lfunc_end1909:
	.size	_ZN7rocprim17ROCPRIM_400000_NS6detail17trampoline_kernelINS0_14default_configENS1_38merge_sort_block_merge_config_selectorIbiEEZZNS1_27merge_sort_block_merge_implIS3_N6thrust23THRUST_200600_302600_NS6detail15normal_iteratorINS8_10device_ptrIbEEEENSA_INSB_IiEEEEjNS1_19radix_merge_compareILb0ELb0EbNS0_19identity_decomposerEEEEE10hipError_tT0_T1_T2_jT3_P12ihipStream_tbPNSt15iterator_traitsISK_E10value_typeEPNSQ_ISL_E10value_typeEPSM_NS1_7vsmem_tEENKUlT_SK_SL_SM_E_clIPbSD_PiSF_EESJ_SZ_SK_SL_SM_EUlSZ_E_NS1_11comp_targetILNS1_3genE0ELNS1_11target_archE4294967295ELNS1_3gpuE0ELNS1_3repE0EEENS1_48merge_mergepath_partition_config_static_selectorELNS0_4arch9wavefront6targetE1EEEvSL_, .Lfunc_end1909-_ZN7rocprim17ROCPRIM_400000_NS6detail17trampoline_kernelINS0_14default_configENS1_38merge_sort_block_merge_config_selectorIbiEEZZNS1_27merge_sort_block_merge_implIS3_N6thrust23THRUST_200600_302600_NS6detail15normal_iteratorINS8_10device_ptrIbEEEENSA_INSB_IiEEEEjNS1_19radix_merge_compareILb0ELb0EbNS0_19identity_decomposerEEEEE10hipError_tT0_T1_T2_jT3_P12ihipStream_tbPNSt15iterator_traitsISK_E10value_typeEPNSQ_ISL_E10value_typeEPSM_NS1_7vsmem_tEENKUlT_SK_SL_SM_E_clIPbSD_PiSF_EESJ_SZ_SK_SL_SM_EUlSZ_E_NS1_11comp_targetILNS1_3genE0ELNS1_11target_archE4294967295ELNS1_3gpuE0ELNS1_3repE0EEENS1_48merge_mergepath_partition_config_static_selectorELNS0_4arch9wavefront6targetE1EEEvSL_
                                        ; -- End function
	.set _ZN7rocprim17ROCPRIM_400000_NS6detail17trampoline_kernelINS0_14default_configENS1_38merge_sort_block_merge_config_selectorIbiEEZZNS1_27merge_sort_block_merge_implIS3_N6thrust23THRUST_200600_302600_NS6detail15normal_iteratorINS8_10device_ptrIbEEEENSA_INSB_IiEEEEjNS1_19radix_merge_compareILb0ELb0EbNS0_19identity_decomposerEEEEE10hipError_tT0_T1_T2_jT3_P12ihipStream_tbPNSt15iterator_traitsISK_E10value_typeEPNSQ_ISL_E10value_typeEPSM_NS1_7vsmem_tEENKUlT_SK_SL_SM_E_clIPbSD_PiSF_EESJ_SZ_SK_SL_SM_EUlSZ_E_NS1_11comp_targetILNS1_3genE0ELNS1_11target_archE4294967295ELNS1_3gpuE0ELNS1_3repE0EEENS1_48merge_mergepath_partition_config_static_selectorELNS0_4arch9wavefront6targetE1EEEvSL_.num_vgpr, 17
	.set _ZN7rocprim17ROCPRIM_400000_NS6detail17trampoline_kernelINS0_14default_configENS1_38merge_sort_block_merge_config_selectorIbiEEZZNS1_27merge_sort_block_merge_implIS3_N6thrust23THRUST_200600_302600_NS6detail15normal_iteratorINS8_10device_ptrIbEEEENSA_INSB_IiEEEEjNS1_19radix_merge_compareILb0ELb0EbNS0_19identity_decomposerEEEEE10hipError_tT0_T1_T2_jT3_P12ihipStream_tbPNSt15iterator_traitsISK_E10value_typeEPNSQ_ISL_E10value_typeEPSM_NS1_7vsmem_tEENKUlT_SK_SL_SM_E_clIPbSD_PiSF_EESJ_SZ_SK_SL_SM_EUlSZ_E_NS1_11comp_targetILNS1_3genE0ELNS1_11target_archE4294967295ELNS1_3gpuE0ELNS1_3repE0EEENS1_48merge_mergepath_partition_config_static_selectorELNS0_4arch9wavefront6targetE1EEEvSL_.num_agpr, 0
	.set _ZN7rocprim17ROCPRIM_400000_NS6detail17trampoline_kernelINS0_14default_configENS1_38merge_sort_block_merge_config_selectorIbiEEZZNS1_27merge_sort_block_merge_implIS3_N6thrust23THRUST_200600_302600_NS6detail15normal_iteratorINS8_10device_ptrIbEEEENSA_INSB_IiEEEEjNS1_19radix_merge_compareILb0ELb0EbNS0_19identity_decomposerEEEEE10hipError_tT0_T1_T2_jT3_P12ihipStream_tbPNSt15iterator_traitsISK_E10value_typeEPNSQ_ISL_E10value_typeEPSM_NS1_7vsmem_tEENKUlT_SK_SL_SM_E_clIPbSD_PiSF_EESJ_SZ_SK_SL_SM_EUlSZ_E_NS1_11comp_targetILNS1_3genE0ELNS1_11target_archE4294967295ELNS1_3gpuE0ELNS1_3repE0EEENS1_48merge_mergepath_partition_config_static_selectorELNS0_4arch9wavefront6targetE1EEEvSL_.numbered_sgpr, 8
	.set _ZN7rocprim17ROCPRIM_400000_NS6detail17trampoline_kernelINS0_14default_configENS1_38merge_sort_block_merge_config_selectorIbiEEZZNS1_27merge_sort_block_merge_implIS3_N6thrust23THRUST_200600_302600_NS6detail15normal_iteratorINS8_10device_ptrIbEEEENSA_INSB_IiEEEEjNS1_19radix_merge_compareILb0ELb0EbNS0_19identity_decomposerEEEEE10hipError_tT0_T1_T2_jT3_P12ihipStream_tbPNSt15iterator_traitsISK_E10value_typeEPNSQ_ISL_E10value_typeEPSM_NS1_7vsmem_tEENKUlT_SK_SL_SM_E_clIPbSD_PiSF_EESJ_SZ_SK_SL_SM_EUlSZ_E_NS1_11comp_targetILNS1_3genE0ELNS1_11target_archE4294967295ELNS1_3gpuE0ELNS1_3repE0EEENS1_48merge_mergepath_partition_config_static_selectorELNS0_4arch9wavefront6targetE1EEEvSL_.num_named_barrier, 0
	.set _ZN7rocprim17ROCPRIM_400000_NS6detail17trampoline_kernelINS0_14default_configENS1_38merge_sort_block_merge_config_selectorIbiEEZZNS1_27merge_sort_block_merge_implIS3_N6thrust23THRUST_200600_302600_NS6detail15normal_iteratorINS8_10device_ptrIbEEEENSA_INSB_IiEEEEjNS1_19radix_merge_compareILb0ELb0EbNS0_19identity_decomposerEEEEE10hipError_tT0_T1_T2_jT3_P12ihipStream_tbPNSt15iterator_traitsISK_E10value_typeEPNSQ_ISL_E10value_typeEPSM_NS1_7vsmem_tEENKUlT_SK_SL_SM_E_clIPbSD_PiSF_EESJ_SZ_SK_SL_SM_EUlSZ_E_NS1_11comp_targetILNS1_3genE0ELNS1_11target_archE4294967295ELNS1_3gpuE0ELNS1_3repE0EEENS1_48merge_mergepath_partition_config_static_selectorELNS0_4arch9wavefront6targetE1EEEvSL_.private_seg_size, 0
	.set _ZN7rocprim17ROCPRIM_400000_NS6detail17trampoline_kernelINS0_14default_configENS1_38merge_sort_block_merge_config_selectorIbiEEZZNS1_27merge_sort_block_merge_implIS3_N6thrust23THRUST_200600_302600_NS6detail15normal_iteratorINS8_10device_ptrIbEEEENSA_INSB_IiEEEEjNS1_19radix_merge_compareILb0ELb0EbNS0_19identity_decomposerEEEEE10hipError_tT0_T1_T2_jT3_P12ihipStream_tbPNSt15iterator_traitsISK_E10value_typeEPNSQ_ISL_E10value_typeEPSM_NS1_7vsmem_tEENKUlT_SK_SL_SM_E_clIPbSD_PiSF_EESJ_SZ_SK_SL_SM_EUlSZ_E_NS1_11comp_targetILNS1_3genE0ELNS1_11target_archE4294967295ELNS1_3gpuE0ELNS1_3repE0EEENS1_48merge_mergepath_partition_config_static_selectorELNS0_4arch9wavefront6targetE1EEEvSL_.uses_vcc, 1
	.set _ZN7rocprim17ROCPRIM_400000_NS6detail17trampoline_kernelINS0_14default_configENS1_38merge_sort_block_merge_config_selectorIbiEEZZNS1_27merge_sort_block_merge_implIS3_N6thrust23THRUST_200600_302600_NS6detail15normal_iteratorINS8_10device_ptrIbEEEENSA_INSB_IiEEEEjNS1_19radix_merge_compareILb0ELb0EbNS0_19identity_decomposerEEEEE10hipError_tT0_T1_T2_jT3_P12ihipStream_tbPNSt15iterator_traitsISK_E10value_typeEPNSQ_ISL_E10value_typeEPSM_NS1_7vsmem_tEENKUlT_SK_SL_SM_E_clIPbSD_PiSF_EESJ_SZ_SK_SL_SM_EUlSZ_E_NS1_11comp_targetILNS1_3genE0ELNS1_11target_archE4294967295ELNS1_3gpuE0ELNS1_3repE0EEENS1_48merge_mergepath_partition_config_static_selectorELNS0_4arch9wavefront6targetE1EEEvSL_.uses_flat_scratch, 0
	.set _ZN7rocprim17ROCPRIM_400000_NS6detail17trampoline_kernelINS0_14default_configENS1_38merge_sort_block_merge_config_selectorIbiEEZZNS1_27merge_sort_block_merge_implIS3_N6thrust23THRUST_200600_302600_NS6detail15normal_iteratorINS8_10device_ptrIbEEEENSA_INSB_IiEEEEjNS1_19radix_merge_compareILb0ELb0EbNS0_19identity_decomposerEEEEE10hipError_tT0_T1_T2_jT3_P12ihipStream_tbPNSt15iterator_traitsISK_E10value_typeEPNSQ_ISL_E10value_typeEPSM_NS1_7vsmem_tEENKUlT_SK_SL_SM_E_clIPbSD_PiSF_EESJ_SZ_SK_SL_SM_EUlSZ_E_NS1_11comp_targetILNS1_3genE0ELNS1_11target_archE4294967295ELNS1_3gpuE0ELNS1_3repE0EEENS1_48merge_mergepath_partition_config_static_selectorELNS0_4arch9wavefront6targetE1EEEvSL_.has_dyn_sized_stack, 0
	.set _ZN7rocprim17ROCPRIM_400000_NS6detail17trampoline_kernelINS0_14default_configENS1_38merge_sort_block_merge_config_selectorIbiEEZZNS1_27merge_sort_block_merge_implIS3_N6thrust23THRUST_200600_302600_NS6detail15normal_iteratorINS8_10device_ptrIbEEEENSA_INSB_IiEEEEjNS1_19radix_merge_compareILb0ELb0EbNS0_19identity_decomposerEEEEE10hipError_tT0_T1_T2_jT3_P12ihipStream_tbPNSt15iterator_traitsISK_E10value_typeEPNSQ_ISL_E10value_typeEPSM_NS1_7vsmem_tEENKUlT_SK_SL_SM_E_clIPbSD_PiSF_EESJ_SZ_SK_SL_SM_EUlSZ_E_NS1_11comp_targetILNS1_3genE0ELNS1_11target_archE4294967295ELNS1_3gpuE0ELNS1_3repE0EEENS1_48merge_mergepath_partition_config_static_selectorELNS0_4arch9wavefront6targetE1EEEvSL_.has_recursion, 0
	.set _ZN7rocprim17ROCPRIM_400000_NS6detail17trampoline_kernelINS0_14default_configENS1_38merge_sort_block_merge_config_selectorIbiEEZZNS1_27merge_sort_block_merge_implIS3_N6thrust23THRUST_200600_302600_NS6detail15normal_iteratorINS8_10device_ptrIbEEEENSA_INSB_IiEEEEjNS1_19radix_merge_compareILb0ELb0EbNS0_19identity_decomposerEEEEE10hipError_tT0_T1_T2_jT3_P12ihipStream_tbPNSt15iterator_traitsISK_E10value_typeEPNSQ_ISL_E10value_typeEPSM_NS1_7vsmem_tEENKUlT_SK_SL_SM_E_clIPbSD_PiSF_EESJ_SZ_SK_SL_SM_EUlSZ_E_NS1_11comp_targetILNS1_3genE0ELNS1_11target_archE4294967295ELNS1_3gpuE0ELNS1_3repE0EEENS1_48merge_mergepath_partition_config_static_selectorELNS0_4arch9wavefront6targetE1EEEvSL_.has_indirect_call, 0
	.section	.AMDGPU.csdata,"",@progbits
; Kernel info:
; codeLenInByte = 316
; TotalNumSgprs: 14
; NumVgprs: 17
; NumAgprs: 0
; TotalNumVgprs: 17
; ScratchSize: 0
; MemoryBound: 0
; FloatMode: 240
; IeeeMode: 1
; LDSByteSize: 0 bytes/workgroup (compile time only)
; SGPRBlocks: 1
; VGPRBlocks: 2
; NumSGPRsForWavesPerEU: 14
; NumVGPRsForWavesPerEU: 17
; AccumOffset: 20
; Occupancy: 8
; WaveLimiterHint : 0
; COMPUTE_PGM_RSRC2:SCRATCH_EN: 0
; COMPUTE_PGM_RSRC2:USER_SGPR: 2
; COMPUTE_PGM_RSRC2:TRAP_HANDLER: 0
; COMPUTE_PGM_RSRC2:TGID_X_EN: 1
; COMPUTE_PGM_RSRC2:TGID_Y_EN: 0
; COMPUTE_PGM_RSRC2:TGID_Z_EN: 0
; COMPUTE_PGM_RSRC2:TIDIG_COMP_CNT: 0
; COMPUTE_PGM_RSRC3_GFX90A:ACCUM_OFFSET: 4
; COMPUTE_PGM_RSRC3_GFX90A:TG_SPLIT: 0
	.section	.text._ZN7rocprim17ROCPRIM_400000_NS6detail17trampoline_kernelINS0_14default_configENS1_38merge_sort_block_merge_config_selectorIbiEEZZNS1_27merge_sort_block_merge_implIS3_N6thrust23THRUST_200600_302600_NS6detail15normal_iteratorINS8_10device_ptrIbEEEENSA_INSB_IiEEEEjNS1_19radix_merge_compareILb0ELb0EbNS0_19identity_decomposerEEEEE10hipError_tT0_T1_T2_jT3_P12ihipStream_tbPNSt15iterator_traitsISK_E10value_typeEPNSQ_ISL_E10value_typeEPSM_NS1_7vsmem_tEENKUlT_SK_SL_SM_E_clIPbSD_PiSF_EESJ_SZ_SK_SL_SM_EUlSZ_E_NS1_11comp_targetILNS1_3genE10ELNS1_11target_archE1201ELNS1_3gpuE5ELNS1_3repE0EEENS1_48merge_mergepath_partition_config_static_selectorELNS0_4arch9wavefront6targetE1EEEvSL_,"axG",@progbits,_ZN7rocprim17ROCPRIM_400000_NS6detail17trampoline_kernelINS0_14default_configENS1_38merge_sort_block_merge_config_selectorIbiEEZZNS1_27merge_sort_block_merge_implIS3_N6thrust23THRUST_200600_302600_NS6detail15normal_iteratorINS8_10device_ptrIbEEEENSA_INSB_IiEEEEjNS1_19radix_merge_compareILb0ELb0EbNS0_19identity_decomposerEEEEE10hipError_tT0_T1_T2_jT3_P12ihipStream_tbPNSt15iterator_traitsISK_E10value_typeEPNSQ_ISL_E10value_typeEPSM_NS1_7vsmem_tEENKUlT_SK_SL_SM_E_clIPbSD_PiSF_EESJ_SZ_SK_SL_SM_EUlSZ_E_NS1_11comp_targetILNS1_3genE10ELNS1_11target_archE1201ELNS1_3gpuE5ELNS1_3repE0EEENS1_48merge_mergepath_partition_config_static_selectorELNS0_4arch9wavefront6targetE1EEEvSL_,comdat
	.protected	_ZN7rocprim17ROCPRIM_400000_NS6detail17trampoline_kernelINS0_14default_configENS1_38merge_sort_block_merge_config_selectorIbiEEZZNS1_27merge_sort_block_merge_implIS3_N6thrust23THRUST_200600_302600_NS6detail15normal_iteratorINS8_10device_ptrIbEEEENSA_INSB_IiEEEEjNS1_19radix_merge_compareILb0ELb0EbNS0_19identity_decomposerEEEEE10hipError_tT0_T1_T2_jT3_P12ihipStream_tbPNSt15iterator_traitsISK_E10value_typeEPNSQ_ISL_E10value_typeEPSM_NS1_7vsmem_tEENKUlT_SK_SL_SM_E_clIPbSD_PiSF_EESJ_SZ_SK_SL_SM_EUlSZ_E_NS1_11comp_targetILNS1_3genE10ELNS1_11target_archE1201ELNS1_3gpuE5ELNS1_3repE0EEENS1_48merge_mergepath_partition_config_static_selectorELNS0_4arch9wavefront6targetE1EEEvSL_ ; -- Begin function _ZN7rocprim17ROCPRIM_400000_NS6detail17trampoline_kernelINS0_14default_configENS1_38merge_sort_block_merge_config_selectorIbiEEZZNS1_27merge_sort_block_merge_implIS3_N6thrust23THRUST_200600_302600_NS6detail15normal_iteratorINS8_10device_ptrIbEEEENSA_INSB_IiEEEEjNS1_19radix_merge_compareILb0ELb0EbNS0_19identity_decomposerEEEEE10hipError_tT0_T1_T2_jT3_P12ihipStream_tbPNSt15iterator_traitsISK_E10value_typeEPNSQ_ISL_E10value_typeEPSM_NS1_7vsmem_tEENKUlT_SK_SL_SM_E_clIPbSD_PiSF_EESJ_SZ_SK_SL_SM_EUlSZ_E_NS1_11comp_targetILNS1_3genE10ELNS1_11target_archE1201ELNS1_3gpuE5ELNS1_3repE0EEENS1_48merge_mergepath_partition_config_static_selectorELNS0_4arch9wavefront6targetE1EEEvSL_
	.globl	_ZN7rocprim17ROCPRIM_400000_NS6detail17trampoline_kernelINS0_14default_configENS1_38merge_sort_block_merge_config_selectorIbiEEZZNS1_27merge_sort_block_merge_implIS3_N6thrust23THRUST_200600_302600_NS6detail15normal_iteratorINS8_10device_ptrIbEEEENSA_INSB_IiEEEEjNS1_19radix_merge_compareILb0ELb0EbNS0_19identity_decomposerEEEEE10hipError_tT0_T1_T2_jT3_P12ihipStream_tbPNSt15iterator_traitsISK_E10value_typeEPNSQ_ISL_E10value_typeEPSM_NS1_7vsmem_tEENKUlT_SK_SL_SM_E_clIPbSD_PiSF_EESJ_SZ_SK_SL_SM_EUlSZ_E_NS1_11comp_targetILNS1_3genE10ELNS1_11target_archE1201ELNS1_3gpuE5ELNS1_3repE0EEENS1_48merge_mergepath_partition_config_static_selectorELNS0_4arch9wavefront6targetE1EEEvSL_
	.p2align	8
	.type	_ZN7rocprim17ROCPRIM_400000_NS6detail17trampoline_kernelINS0_14default_configENS1_38merge_sort_block_merge_config_selectorIbiEEZZNS1_27merge_sort_block_merge_implIS3_N6thrust23THRUST_200600_302600_NS6detail15normal_iteratorINS8_10device_ptrIbEEEENSA_INSB_IiEEEEjNS1_19radix_merge_compareILb0ELb0EbNS0_19identity_decomposerEEEEE10hipError_tT0_T1_T2_jT3_P12ihipStream_tbPNSt15iterator_traitsISK_E10value_typeEPNSQ_ISL_E10value_typeEPSM_NS1_7vsmem_tEENKUlT_SK_SL_SM_E_clIPbSD_PiSF_EESJ_SZ_SK_SL_SM_EUlSZ_E_NS1_11comp_targetILNS1_3genE10ELNS1_11target_archE1201ELNS1_3gpuE5ELNS1_3repE0EEENS1_48merge_mergepath_partition_config_static_selectorELNS0_4arch9wavefront6targetE1EEEvSL_,@function
_ZN7rocprim17ROCPRIM_400000_NS6detail17trampoline_kernelINS0_14default_configENS1_38merge_sort_block_merge_config_selectorIbiEEZZNS1_27merge_sort_block_merge_implIS3_N6thrust23THRUST_200600_302600_NS6detail15normal_iteratorINS8_10device_ptrIbEEEENSA_INSB_IiEEEEjNS1_19radix_merge_compareILb0ELb0EbNS0_19identity_decomposerEEEEE10hipError_tT0_T1_T2_jT3_P12ihipStream_tbPNSt15iterator_traitsISK_E10value_typeEPNSQ_ISL_E10value_typeEPSM_NS1_7vsmem_tEENKUlT_SK_SL_SM_E_clIPbSD_PiSF_EESJ_SZ_SK_SL_SM_EUlSZ_E_NS1_11comp_targetILNS1_3genE10ELNS1_11target_archE1201ELNS1_3gpuE5ELNS1_3repE0EEENS1_48merge_mergepath_partition_config_static_selectorELNS0_4arch9wavefront6targetE1EEEvSL_: ; @_ZN7rocprim17ROCPRIM_400000_NS6detail17trampoline_kernelINS0_14default_configENS1_38merge_sort_block_merge_config_selectorIbiEEZZNS1_27merge_sort_block_merge_implIS3_N6thrust23THRUST_200600_302600_NS6detail15normal_iteratorINS8_10device_ptrIbEEEENSA_INSB_IiEEEEjNS1_19radix_merge_compareILb0ELb0EbNS0_19identity_decomposerEEEEE10hipError_tT0_T1_T2_jT3_P12ihipStream_tbPNSt15iterator_traitsISK_E10value_typeEPNSQ_ISL_E10value_typeEPSM_NS1_7vsmem_tEENKUlT_SK_SL_SM_E_clIPbSD_PiSF_EESJ_SZ_SK_SL_SM_EUlSZ_E_NS1_11comp_targetILNS1_3genE10ELNS1_11target_archE1201ELNS1_3gpuE5ELNS1_3repE0EEENS1_48merge_mergepath_partition_config_static_selectorELNS0_4arch9wavefront6targetE1EEEvSL_
; %bb.0:
	.section	.rodata,"a",@progbits
	.p2align	6, 0x0
	.amdhsa_kernel _ZN7rocprim17ROCPRIM_400000_NS6detail17trampoline_kernelINS0_14default_configENS1_38merge_sort_block_merge_config_selectorIbiEEZZNS1_27merge_sort_block_merge_implIS3_N6thrust23THRUST_200600_302600_NS6detail15normal_iteratorINS8_10device_ptrIbEEEENSA_INSB_IiEEEEjNS1_19radix_merge_compareILb0ELb0EbNS0_19identity_decomposerEEEEE10hipError_tT0_T1_T2_jT3_P12ihipStream_tbPNSt15iterator_traitsISK_E10value_typeEPNSQ_ISL_E10value_typeEPSM_NS1_7vsmem_tEENKUlT_SK_SL_SM_E_clIPbSD_PiSF_EESJ_SZ_SK_SL_SM_EUlSZ_E_NS1_11comp_targetILNS1_3genE10ELNS1_11target_archE1201ELNS1_3gpuE5ELNS1_3repE0EEENS1_48merge_mergepath_partition_config_static_selectorELNS0_4arch9wavefront6targetE1EEEvSL_
		.amdhsa_group_segment_fixed_size 0
		.amdhsa_private_segment_fixed_size 0
		.amdhsa_kernarg_size 40
		.amdhsa_user_sgpr_count 2
		.amdhsa_user_sgpr_dispatch_ptr 0
		.amdhsa_user_sgpr_queue_ptr 0
		.amdhsa_user_sgpr_kernarg_segment_ptr 1
		.amdhsa_user_sgpr_dispatch_id 0
		.amdhsa_user_sgpr_kernarg_preload_length 0
		.amdhsa_user_sgpr_kernarg_preload_offset 0
		.amdhsa_user_sgpr_private_segment_size 0
		.amdhsa_uses_dynamic_stack 0
		.amdhsa_enable_private_segment 0
		.amdhsa_system_sgpr_workgroup_id_x 1
		.amdhsa_system_sgpr_workgroup_id_y 0
		.amdhsa_system_sgpr_workgroup_id_z 0
		.amdhsa_system_sgpr_workgroup_info 0
		.amdhsa_system_vgpr_workitem_id 0
		.amdhsa_next_free_vgpr 1
		.amdhsa_next_free_sgpr 0
		.amdhsa_accum_offset 4
		.amdhsa_reserve_vcc 0
		.amdhsa_float_round_mode_32 0
		.amdhsa_float_round_mode_16_64 0
		.amdhsa_float_denorm_mode_32 3
		.amdhsa_float_denorm_mode_16_64 3
		.amdhsa_dx10_clamp 1
		.amdhsa_ieee_mode 1
		.amdhsa_fp16_overflow 0
		.amdhsa_tg_split 0
		.amdhsa_exception_fp_ieee_invalid_op 0
		.amdhsa_exception_fp_denorm_src 0
		.amdhsa_exception_fp_ieee_div_zero 0
		.amdhsa_exception_fp_ieee_overflow 0
		.amdhsa_exception_fp_ieee_underflow 0
		.amdhsa_exception_fp_ieee_inexact 0
		.amdhsa_exception_int_div_zero 0
	.end_amdhsa_kernel
	.section	.text._ZN7rocprim17ROCPRIM_400000_NS6detail17trampoline_kernelINS0_14default_configENS1_38merge_sort_block_merge_config_selectorIbiEEZZNS1_27merge_sort_block_merge_implIS3_N6thrust23THRUST_200600_302600_NS6detail15normal_iteratorINS8_10device_ptrIbEEEENSA_INSB_IiEEEEjNS1_19radix_merge_compareILb0ELb0EbNS0_19identity_decomposerEEEEE10hipError_tT0_T1_T2_jT3_P12ihipStream_tbPNSt15iterator_traitsISK_E10value_typeEPNSQ_ISL_E10value_typeEPSM_NS1_7vsmem_tEENKUlT_SK_SL_SM_E_clIPbSD_PiSF_EESJ_SZ_SK_SL_SM_EUlSZ_E_NS1_11comp_targetILNS1_3genE10ELNS1_11target_archE1201ELNS1_3gpuE5ELNS1_3repE0EEENS1_48merge_mergepath_partition_config_static_selectorELNS0_4arch9wavefront6targetE1EEEvSL_,"axG",@progbits,_ZN7rocprim17ROCPRIM_400000_NS6detail17trampoline_kernelINS0_14default_configENS1_38merge_sort_block_merge_config_selectorIbiEEZZNS1_27merge_sort_block_merge_implIS3_N6thrust23THRUST_200600_302600_NS6detail15normal_iteratorINS8_10device_ptrIbEEEENSA_INSB_IiEEEEjNS1_19radix_merge_compareILb0ELb0EbNS0_19identity_decomposerEEEEE10hipError_tT0_T1_T2_jT3_P12ihipStream_tbPNSt15iterator_traitsISK_E10value_typeEPNSQ_ISL_E10value_typeEPSM_NS1_7vsmem_tEENKUlT_SK_SL_SM_E_clIPbSD_PiSF_EESJ_SZ_SK_SL_SM_EUlSZ_E_NS1_11comp_targetILNS1_3genE10ELNS1_11target_archE1201ELNS1_3gpuE5ELNS1_3repE0EEENS1_48merge_mergepath_partition_config_static_selectorELNS0_4arch9wavefront6targetE1EEEvSL_,comdat
.Lfunc_end1910:
	.size	_ZN7rocprim17ROCPRIM_400000_NS6detail17trampoline_kernelINS0_14default_configENS1_38merge_sort_block_merge_config_selectorIbiEEZZNS1_27merge_sort_block_merge_implIS3_N6thrust23THRUST_200600_302600_NS6detail15normal_iteratorINS8_10device_ptrIbEEEENSA_INSB_IiEEEEjNS1_19radix_merge_compareILb0ELb0EbNS0_19identity_decomposerEEEEE10hipError_tT0_T1_T2_jT3_P12ihipStream_tbPNSt15iterator_traitsISK_E10value_typeEPNSQ_ISL_E10value_typeEPSM_NS1_7vsmem_tEENKUlT_SK_SL_SM_E_clIPbSD_PiSF_EESJ_SZ_SK_SL_SM_EUlSZ_E_NS1_11comp_targetILNS1_3genE10ELNS1_11target_archE1201ELNS1_3gpuE5ELNS1_3repE0EEENS1_48merge_mergepath_partition_config_static_selectorELNS0_4arch9wavefront6targetE1EEEvSL_, .Lfunc_end1910-_ZN7rocprim17ROCPRIM_400000_NS6detail17trampoline_kernelINS0_14default_configENS1_38merge_sort_block_merge_config_selectorIbiEEZZNS1_27merge_sort_block_merge_implIS3_N6thrust23THRUST_200600_302600_NS6detail15normal_iteratorINS8_10device_ptrIbEEEENSA_INSB_IiEEEEjNS1_19radix_merge_compareILb0ELb0EbNS0_19identity_decomposerEEEEE10hipError_tT0_T1_T2_jT3_P12ihipStream_tbPNSt15iterator_traitsISK_E10value_typeEPNSQ_ISL_E10value_typeEPSM_NS1_7vsmem_tEENKUlT_SK_SL_SM_E_clIPbSD_PiSF_EESJ_SZ_SK_SL_SM_EUlSZ_E_NS1_11comp_targetILNS1_3genE10ELNS1_11target_archE1201ELNS1_3gpuE5ELNS1_3repE0EEENS1_48merge_mergepath_partition_config_static_selectorELNS0_4arch9wavefront6targetE1EEEvSL_
                                        ; -- End function
	.set _ZN7rocprim17ROCPRIM_400000_NS6detail17trampoline_kernelINS0_14default_configENS1_38merge_sort_block_merge_config_selectorIbiEEZZNS1_27merge_sort_block_merge_implIS3_N6thrust23THRUST_200600_302600_NS6detail15normal_iteratorINS8_10device_ptrIbEEEENSA_INSB_IiEEEEjNS1_19radix_merge_compareILb0ELb0EbNS0_19identity_decomposerEEEEE10hipError_tT0_T1_T2_jT3_P12ihipStream_tbPNSt15iterator_traitsISK_E10value_typeEPNSQ_ISL_E10value_typeEPSM_NS1_7vsmem_tEENKUlT_SK_SL_SM_E_clIPbSD_PiSF_EESJ_SZ_SK_SL_SM_EUlSZ_E_NS1_11comp_targetILNS1_3genE10ELNS1_11target_archE1201ELNS1_3gpuE5ELNS1_3repE0EEENS1_48merge_mergepath_partition_config_static_selectorELNS0_4arch9wavefront6targetE1EEEvSL_.num_vgpr, 0
	.set _ZN7rocprim17ROCPRIM_400000_NS6detail17trampoline_kernelINS0_14default_configENS1_38merge_sort_block_merge_config_selectorIbiEEZZNS1_27merge_sort_block_merge_implIS3_N6thrust23THRUST_200600_302600_NS6detail15normal_iteratorINS8_10device_ptrIbEEEENSA_INSB_IiEEEEjNS1_19radix_merge_compareILb0ELb0EbNS0_19identity_decomposerEEEEE10hipError_tT0_T1_T2_jT3_P12ihipStream_tbPNSt15iterator_traitsISK_E10value_typeEPNSQ_ISL_E10value_typeEPSM_NS1_7vsmem_tEENKUlT_SK_SL_SM_E_clIPbSD_PiSF_EESJ_SZ_SK_SL_SM_EUlSZ_E_NS1_11comp_targetILNS1_3genE10ELNS1_11target_archE1201ELNS1_3gpuE5ELNS1_3repE0EEENS1_48merge_mergepath_partition_config_static_selectorELNS0_4arch9wavefront6targetE1EEEvSL_.num_agpr, 0
	.set _ZN7rocprim17ROCPRIM_400000_NS6detail17trampoline_kernelINS0_14default_configENS1_38merge_sort_block_merge_config_selectorIbiEEZZNS1_27merge_sort_block_merge_implIS3_N6thrust23THRUST_200600_302600_NS6detail15normal_iteratorINS8_10device_ptrIbEEEENSA_INSB_IiEEEEjNS1_19radix_merge_compareILb0ELb0EbNS0_19identity_decomposerEEEEE10hipError_tT0_T1_T2_jT3_P12ihipStream_tbPNSt15iterator_traitsISK_E10value_typeEPNSQ_ISL_E10value_typeEPSM_NS1_7vsmem_tEENKUlT_SK_SL_SM_E_clIPbSD_PiSF_EESJ_SZ_SK_SL_SM_EUlSZ_E_NS1_11comp_targetILNS1_3genE10ELNS1_11target_archE1201ELNS1_3gpuE5ELNS1_3repE0EEENS1_48merge_mergepath_partition_config_static_selectorELNS0_4arch9wavefront6targetE1EEEvSL_.numbered_sgpr, 0
	.set _ZN7rocprim17ROCPRIM_400000_NS6detail17trampoline_kernelINS0_14default_configENS1_38merge_sort_block_merge_config_selectorIbiEEZZNS1_27merge_sort_block_merge_implIS3_N6thrust23THRUST_200600_302600_NS6detail15normal_iteratorINS8_10device_ptrIbEEEENSA_INSB_IiEEEEjNS1_19radix_merge_compareILb0ELb0EbNS0_19identity_decomposerEEEEE10hipError_tT0_T1_T2_jT3_P12ihipStream_tbPNSt15iterator_traitsISK_E10value_typeEPNSQ_ISL_E10value_typeEPSM_NS1_7vsmem_tEENKUlT_SK_SL_SM_E_clIPbSD_PiSF_EESJ_SZ_SK_SL_SM_EUlSZ_E_NS1_11comp_targetILNS1_3genE10ELNS1_11target_archE1201ELNS1_3gpuE5ELNS1_3repE0EEENS1_48merge_mergepath_partition_config_static_selectorELNS0_4arch9wavefront6targetE1EEEvSL_.num_named_barrier, 0
	.set _ZN7rocprim17ROCPRIM_400000_NS6detail17trampoline_kernelINS0_14default_configENS1_38merge_sort_block_merge_config_selectorIbiEEZZNS1_27merge_sort_block_merge_implIS3_N6thrust23THRUST_200600_302600_NS6detail15normal_iteratorINS8_10device_ptrIbEEEENSA_INSB_IiEEEEjNS1_19radix_merge_compareILb0ELb0EbNS0_19identity_decomposerEEEEE10hipError_tT0_T1_T2_jT3_P12ihipStream_tbPNSt15iterator_traitsISK_E10value_typeEPNSQ_ISL_E10value_typeEPSM_NS1_7vsmem_tEENKUlT_SK_SL_SM_E_clIPbSD_PiSF_EESJ_SZ_SK_SL_SM_EUlSZ_E_NS1_11comp_targetILNS1_3genE10ELNS1_11target_archE1201ELNS1_3gpuE5ELNS1_3repE0EEENS1_48merge_mergepath_partition_config_static_selectorELNS0_4arch9wavefront6targetE1EEEvSL_.private_seg_size, 0
	.set _ZN7rocprim17ROCPRIM_400000_NS6detail17trampoline_kernelINS0_14default_configENS1_38merge_sort_block_merge_config_selectorIbiEEZZNS1_27merge_sort_block_merge_implIS3_N6thrust23THRUST_200600_302600_NS6detail15normal_iteratorINS8_10device_ptrIbEEEENSA_INSB_IiEEEEjNS1_19radix_merge_compareILb0ELb0EbNS0_19identity_decomposerEEEEE10hipError_tT0_T1_T2_jT3_P12ihipStream_tbPNSt15iterator_traitsISK_E10value_typeEPNSQ_ISL_E10value_typeEPSM_NS1_7vsmem_tEENKUlT_SK_SL_SM_E_clIPbSD_PiSF_EESJ_SZ_SK_SL_SM_EUlSZ_E_NS1_11comp_targetILNS1_3genE10ELNS1_11target_archE1201ELNS1_3gpuE5ELNS1_3repE0EEENS1_48merge_mergepath_partition_config_static_selectorELNS0_4arch9wavefront6targetE1EEEvSL_.uses_vcc, 0
	.set _ZN7rocprim17ROCPRIM_400000_NS6detail17trampoline_kernelINS0_14default_configENS1_38merge_sort_block_merge_config_selectorIbiEEZZNS1_27merge_sort_block_merge_implIS3_N6thrust23THRUST_200600_302600_NS6detail15normal_iteratorINS8_10device_ptrIbEEEENSA_INSB_IiEEEEjNS1_19radix_merge_compareILb0ELb0EbNS0_19identity_decomposerEEEEE10hipError_tT0_T1_T2_jT3_P12ihipStream_tbPNSt15iterator_traitsISK_E10value_typeEPNSQ_ISL_E10value_typeEPSM_NS1_7vsmem_tEENKUlT_SK_SL_SM_E_clIPbSD_PiSF_EESJ_SZ_SK_SL_SM_EUlSZ_E_NS1_11comp_targetILNS1_3genE10ELNS1_11target_archE1201ELNS1_3gpuE5ELNS1_3repE0EEENS1_48merge_mergepath_partition_config_static_selectorELNS0_4arch9wavefront6targetE1EEEvSL_.uses_flat_scratch, 0
	.set _ZN7rocprim17ROCPRIM_400000_NS6detail17trampoline_kernelINS0_14default_configENS1_38merge_sort_block_merge_config_selectorIbiEEZZNS1_27merge_sort_block_merge_implIS3_N6thrust23THRUST_200600_302600_NS6detail15normal_iteratorINS8_10device_ptrIbEEEENSA_INSB_IiEEEEjNS1_19radix_merge_compareILb0ELb0EbNS0_19identity_decomposerEEEEE10hipError_tT0_T1_T2_jT3_P12ihipStream_tbPNSt15iterator_traitsISK_E10value_typeEPNSQ_ISL_E10value_typeEPSM_NS1_7vsmem_tEENKUlT_SK_SL_SM_E_clIPbSD_PiSF_EESJ_SZ_SK_SL_SM_EUlSZ_E_NS1_11comp_targetILNS1_3genE10ELNS1_11target_archE1201ELNS1_3gpuE5ELNS1_3repE0EEENS1_48merge_mergepath_partition_config_static_selectorELNS0_4arch9wavefront6targetE1EEEvSL_.has_dyn_sized_stack, 0
	.set _ZN7rocprim17ROCPRIM_400000_NS6detail17trampoline_kernelINS0_14default_configENS1_38merge_sort_block_merge_config_selectorIbiEEZZNS1_27merge_sort_block_merge_implIS3_N6thrust23THRUST_200600_302600_NS6detail15normal_iteratorINS8_10device_ptrIbEEEENSA_INSB_IiEEEEjNS1_19radix_merge_compareILb0ELb0EbNS0_19identity_decomposerEEEEE10hipError_tT0_T1_T2_jT3_P12ihipStream_tbPNSt15iterator_traitsISK_E10value_typeEPNSQ_ISL_E10value_typeEPSM_NS1_7vsmem_tEENKUlT_SK_SL_SM_E_clIPbSD_PiSF_EESJ_SZ_SK_SL_SM_EUlSZ_E_NS1_11comp_targetILNS1_3genE10ELNS1_11target_archE1201ELNS1_3gpuE5ELNS1_3repE0EEENS1_48merge_mergepath_partition_config_static_selectorELNS0_4arch9wavefront6targetE1EEEvSL_.has_recursion, 0
	.set _ZN7rocprim17ROCPRIM_400000_NS6detail17trampoline_kernelINS0_14default_configENS1_38merge_sort_block_merge_config_selectorIbiEEZZNS1_27merge_sort_block_merge_implIS3_N6thrust23THRUST_200600_302600_NS6detail15normal_iteratorINS8_10device_ptrIbEEEENSA_INSB_IiEEEEjNS1_19radix_merge_compareILb0ELb0EbNS0_19identity_decomposerEEEEE10hipError_tT0_T1_T2_jT3_P12ihipStream_tbPNSt15iterator_traitsISK_E10value_typeEPNSQ_ISL_E10value_typeEPSM_NS1_7vsmem_tEENKUlT_SK_SL_SM_E_clIPbSD_PiSF_EESJ_SZ_SK_SL_SM_EUlSZ_E_NS1_11comp_targetILNS1_3genE10ELNS1_11target_archE1201ELNS1_3gpuE5ELNS1_3repE0EEENS1_48merge_mergepath_partition_config_static_selectorELNS0_4arch9wavefront6targetE1EEEvSL_.has_indirect_call, 0
	.section	.AMDGPU.csdata,"",@progbits
; Kernel info:
; codeLenInByte = 0
; TotalNumSgprs: 6
; NumVgprs: 0
; NumAgprs: 0
; TotalNumVgprs: 0
; ScratchSize: 0
; MemoryBound: 0
; FloatMode: 240
; IeeeMode: 1
; LDSByteSize: 0 bytes/workgroup (compile time only)
; SGPRBlocks: 0
; VGPRBlocks: 0
; NumSGPRsForWavesPerEU: 6
; NumVGPRsForWavesPerEU: 1
; AccumOffset: 4
; Occupancy: 8
; WaveLimiterHint : 0
; COMPUTE_PGM_RSRC2:SCRATCH_EN: 0
; COMPUTE_PGM_RSRC2:USER_SGPR: 2
; COMPUTE_PGM_RSRC2:TRAP_HANDLER: 0
; COMPUTE_PGM_RSRC2:TGID_X_EN: 1
; COMPUTE_PGM_RSRC2:TGID_Y_EN: 0
; COMPUTE_PGM_RSRC2:TGID_Z_EN: 0
; COMPUTE_PGM_RSRC2:TIDIG_COMP_CNT: 0
; COMPUTE_PGM_RSRC3_GFX90A:ACCUM_OFFSET: 0
; COMPUTE_PGM_RSRC3_GFX90A:TG_SPLIT: 0
	.section	.text._ZN7rocprim17ROCPRIM_400000_NS6detail17trampoline_kernelINS0_14default_configENS1_38merge_sort_block_merge_config_selectorIbiEEZZNS1_27merge_sort_block_merge_implIS3_N6thrust23THRUST_200600_302600_NS6detail15normal_iteratorINS8_10device_ptrIbEEEENSA_INSB_IiEEEEjNS1_19radix_merge_compareILb0ELb0EbNS0_19identity_decomposerEEEEE10hipError_tT0_T1_T2_jT3_P12ihipStream_tbPNSt15iterator_traitsISK_E10value_typeEPNSQ_ISL_E10value_typeEPSM_NS1_7vsmem_tEENKUlT_SK_SL_SM_E_clIPbSD_PiSF_EESJ_SZ_SK_SL_SM_EUlSZ_E_NS1_11comp_targetILNS1_3genE5ELNS1_11target_archE942ELNS1_3gpuE9ELNS1_3repE0EEENS1_48merge_mergepath_partition_config_static_selectorELNS0_4arch9wavefront6targetE1EEEvSL_,"axG",@progbits,_ZN7rocprim17ROCPRIM_400000_NS6detail17trampoline_kernelINS0_14default_configENS1_38merge_sort_block_merge_config_selectorIbiEEZZNS1_27merge_sort_block_merge_implIS3_N6thrust23THRUST_200600_302600_NS6detail15normal_iteratorINS8_10device_ptrIbEEEENSA_INSB_IiEEEEjNS1_19radix_merge_compareILb0ELb0EbNS0_19identity_decomposerEEEEE10hipError_tT0_T1_T2_jT3_P12ihipStream_tbPNSt15iterator_traitsISK_E10value_typeEPNSQ_ISL_E10value_typeEPSM_NS1_7vsmem_tEENKUlT_SK_SL_SM_E_clIPbSD_PiSF_EESJ_SZ_SK_SL_SM_EUlSZ_E_NS1_11comp_targetILNS1_3genE5ELNS1_11target_archE942ELNS1_3gpuE9ELNS1_3repE0EEENS1_48merge_mergepath_partition_config_static_selectorELNS0_4arch9wavefront6targetE1EEEvSL_,comdat
	.protected	_ZN7rocprim17ROCPRIM_400000_NS6detail17trampoline_kernelINS0_14default_configENS1_38merge_sort_block_merge_config_selectorIbiEEZZNS1_27merge_sort_block_merge_implIS3_N6thrust23THRUST_200600_302600_NS6detail15normal_iteratorINS8_10device_ptrIbEEEENSA_INSB_IiEEEEjNS1_19radix_merge_compareILb0ELb0EbNS0_19identity_decomposerEEEEE10hipError_tT0_T1_T2_jT3_P12ihipStream_tbPNSt15iterator_traitsISK_E10value_typeEPNSQ_ISL_E10value_typeEPSM_NS1_7vsmem_tEENKUlT_SK_SL_SM_E_clIPbSD_PiSF_EESJ_SZ_SK_SL_SM_EUlSZ_E_NS1_11comp_targetILNS1_3genE5ELNS1_11target_archE942ELNS1_3gpuE9ELNS1_3repE0EEENS1_48merge_mergepath_partition_config_static_selectorELNS0_4arch9wavefront6targetE1EEEvSL_ ; -- Begin function _ZN7rocprim17ROCPRIM_400000_NS6detail17trampoline_kernelINS0_14default_configENS1_38merge_sort_block_merge_config_selectorIbiEEZZNS1_27merge_sort_block_merge_implIS3_N6thrust23THRUST_200600_302600_NS6detail15normal_iteratorINS8_10device_ptrIbEEEENSA_INSB_IiEEEEjNS1_19radix_merge_compareILb0ELb0EbNS0_19identity_decomposerEEEEE10hipError_tT0_T1_T2_jT3_P12ihipStream_tbPNSt15iterator_traitsISK_E10value_typeEPNSQ_ISL_E10value_typeEPSM_NS1_7vsmem_tEENKUlT_SK_SL_SM_E_clIPbSD_PiSF_EESJ_SZ_SK_SL_SM_EUlSZ_E_NS1_11comp_targetILNS1_3genE5ELNS1_11target_archE942ELNS1_3gpuE9ELNS1_3repE0EEENS1_48merge_mergepath_partition_config_static_selectorELNS0_4arch9wavefront6targetE1EEEvSL_
	.globl	_ZN7rocprim17ROCPRIM_400000_NS6detail17trampoline_kernelINS0_14default_configENS1_38merge_sort_block_merge_config_selectorIbiEEZZNS1_27merge_sort_block_merge_implIS3_N6thrust23THRUST_200600_302600_NS6detail15normal_iteratorINS8_10device_ptrIbEEEENSA_INSB_IiEEEEjNS1_19radix_merge_compareILb0ELb0EbNS0_19identity_decomposerEEEEE10hipError_tT0_T1_T2_jT3_P12ihipStream_tbPNSt15iterator_traitsISK_E10value_typeEPNSQ_ISL_E10value_typeEPSM_NS1_7vsmem_tEENKUlT_SK_SL_SM_E_clIPbSD_PiSF_EESJ_SZ_SK_SL_SM_EUlSZ_E_NS1_11comp_targetILNS1_3genE5ELNS1_11target_archE942ELNS1_3gpuE9ELNS1_3repE0EEENS1_48merge_mergepath_partition_config_static_selectorELNS0_4arch9wavefront6targetE1EEEvSL_
	.p2align	8
	.type	_ZN7rocprim17ROCPRIM_400000_NS6detail17trampoline_kernelINS0_14default_configENS1_38merge_sort_block_merge_config_selectorIbiEEZZNS1_27merge_sort_block_merge_implIS3_N6thrust23THRUST_200600_302600_NS6detail15normal_iteratorINS8_10device_ptrIbEEEENSA_INSB_IiEEEEjNS1_19radix_merge_compareILb0ELb0EbNS0_19identity_decomposerEEEEE10hipError_tT0_T1_T2_jT3_P12ihipStream_tbPNSt15iterator_traitsISK_E10value_typeEPNSQ_ISL_E10value_typeEPSM_NS1_7vsmem_tEENKUlT_SK_SL_SM_E_clIPbSD_PiSF_EESJ_SZ_SK_SL_SM_EUlSZ_E_NS1_11comp_targetILNS1_3genE5ELNS1_11target_archE942ELNS1_3gpuE9ELNS1_3repE0EEENS1_48merge_mergepath_partition_config_static_selectorELNS0_4arch9wavefront6targetE1EEEvSL_,@function
_ZN7rocprim17ROCPRIM_400000_NS6detail17trampoline_kernelINS0_14default_configENS1_38merge_sort_block_merge_config_selectorIbiEEZZNS1_27merge_sort_block_merge_implIS3_N6thrust23THRUST_200600_302600_NS6detail15normal_iteratorINS8_10device_ptrIbEEEENSA_INSB_IiEEEEjNS1_19radix_merge_compareILb0ELb0EbNS0_19identity_decomposerEEEEE10hipError_tT0_T1_T2_jT3_P12ihipStream_tbPNSt15iterator_traitsISK_E10value_typeEPNSQ_ISL_E10value_typeEPSM_NS1_7vsmem_tEENKUlT_SK_SL_SM_E_clIPbSD_PiSF_EESJ_SZ_SK_SL_SM_EUlSZ_E_NS1_11comp_targetILNS1_3genE5ELNS1_11target_archE942ELNS1_3gpuE9ELNS1_3repE0EEENS1_48merge_mergepath_partition_config_static_selectorELNS0_4arch9wavefront6targetE1EEEvSL_: ; @_ZN7rocprim17ROCPRIM_400000_NS6detail17trampoline_kernelINS0_14default_configENS1_38merge_sort_block_merge_config_selectorIbiEEZZNS1_27merge_sort_block_merge_implIS3_N6thrust23THRUST_200600_302600_NS6detail15normal_iteratorINS8_10device_ptrIbEEEENSA_INSB_IiEEEEjNS1_19radix_merge_compareILb0ELb0EbNS0_19identity_decomposerEEEEE10hipError_tT0_T1_T2_jT3_P12ihipStream_tbPNSt15iterator_traitsISK_E10value_typeEPNSQ_ISL_E10value_typeEPSM_NS1_7vsmem_tEENKUlT_SK_SL_SM_E_clIPbSD_PiSF_EESJ_SZ_SK_SL_SM_EUlSZ_E_NS1_11comp_targetILNS1_3genE5ELNS1_11target_archE942ELNS1_3gpuE9ELNS1_3repE0EEENS1_48merge_mergepath_partition_config_static_selectorELNS0_4arch9wavefront6targetE1EEEvSL_
; %bb.0:
	.section	.rodata,"a",@progbits
	.p2align	6, 0x0
	.amdhsa_kernel _ZN7rocprim17ROCPRIM_400000_NS6detail17trampoline_kernelINS0_14default_configENS1_38merge_sort_block_merge_config_selectorIbiEEZZNS1_27merge_sort_block_merge_implIS3_N6thrust23THRUST_200600_302600_NS6detail15normal_iteratorINS8_10device_ptrIbEEEENSA_INSB_IiEEEEjNS1_19radix_merge_compareILb0ELb0EbNS0_19identity_decomposerEEEEE10hipError_tT0_T1_T2_jT3_P12ihipStream_tbPNSt15iterator_traitsISK_E10value_typeEPNSQ_ISL_E10value_typeEPSM_NS1_7vsmem_tEENKUlT_SK_SL_SM_E_clIPbSD_PiSF_EESJ_SZ_SK_SL_SM_EUlSZ_E_NS1_11comp_targetILNS1_3genE5ELNS1_11target_archE942ELNS1_3gpuE9ELNS1_3repE0EEENS1_48merge_mergepath_partition_config_static_selectorELNS0_4arch9wavefront6targetE1EEEvSL_
		.amdhsa_group_segment_fixed_size 0
		.amdhsa_private_segment_fixed_size 0
		.amdhsa_kernarg_size 40
		.amdhsa_user_sgpr_count 2
		.amdhsa_user_sgpr_dispatch_ptr 0
		.amdhsa_user_sgpr_queue_ptr 0
		.amdhsa_user_sgpr_kernarg_segment_ptr 1
		.amdhsa_user_sgpr_dispatch_id 0
		.amdhsa_user_sgpr_kernarg_preload_length 0
		.amdhsa_user_sgpr_kernarg_preload_offset 0
		.amdhsa_user_sgpr_private_segment_size 0
		.amdhsa_uses_dynamic_stack 0
		.amdhsa_enable_private_segment 0
		.amdhsa_system_sgpr_workgroup_id_x 1
		.amdhsa_system_sgpr_workgroup_id_y 0
		.amdhsa_system_sgpr_workgroup_id_z 0
		.amdhsa_system_sgpr_workgroup_info 0
		.amdhsa_system_vgpr_workitem_id 0
		.amdhsa_next_free_vgpr 1
		.amdhsa_next_free_sgpr 0
		.amdhsa_accum_offset 4
		.amdhsa_reserve_vcc 0
		.amdhsa_float_round_mode_32 0
		.amdhsa_float_round_mode_16_64 0
		.amdhsa_float_denorm_mode_32 3
		.amdhsa_float_denorm_mode_16_64 3
		.amdhsa_dx10_clamp 1
		.amdhsa_ieee_mode 1
		.amdhsa_fp16_overflow 0
		.amdhsa_tg_split 0
		.amdhsa_exception_fp_ieee_invalid_op 0
		.amdhsa_exception_fp_denorm_src 0
		.amdhsa_exception_fp_ieee_div_zero 0
		.amdhsa_exception_fp_ieee_overflow 0
		.amdhsa_exception_fp_ieee_underflow 0
		.amdhsa_exception_fp_ieee_inexact 0
		.amdhsa_exception_int_div_zero 0
	.end_amdhsa_kernel
	.section	.text._ZN7rocprim17ROCPRIM_400000_NS6detail17trampoline_kernelINS0_14default_configENS1_38merge_sort_block_merge_config_selectorIbiEEZZNS1_27merge_sort_block_merge_implIS3_N6thrust23THRUST_200600_302600_NS6detail15normal_iteratorINS8_10device_ptrIbEEEENSA_INSB_IiEEEEjNS1_19radix_merge_compareILb0ELb0EbNS0_19identity_decomposerEEEEE10hipError_tT0_T1_T2_jT3_P12ihipStream_tbPNSt15iterator_traitsISK_E10value_typeEPNSQ_ISL_E10value_typeEPSM_NS1_7vsmem_tEENKUlT_SK_SL_SM_E_clIPbSD_PiSF_EESJ_SZ_SK_SL_SM_EUlSZ_E_NS1_11comp_targetILNS1_3genE5ELNS1_11target_archE942ELNS1_3gpuE9ELNS1_3repE0EEENS1_48merge_mergepath_partition_config_static_selectorELNS0_4arch9wavefront6targetE1EEEvSL_,"axG",@progbits,_ZN7rocprim17ROCPRIM_400000_NS6detail17trampoline_kernelINS0_14default_configENS1_38merge_sort_block_merge_config_selectorIbiEEZZNS1_27merge_sort_block_merge_implIS3_N6thrust23THRUST_200600_302600_NS6detail15normal_iteratorINS8_10device_ptrIbEEEENSA_INSB_IiEEEEjNS1_19radix_merge_compareILb0ELb0EbNS0_19identity_decomposerEEEEE10hipError_tT0_T1_T2_jT3_P12ihipStream_tbPNSt15iterator_traitsISK_E10value_typeEPNSQ_ISL_E10value_typeEPSM_NS1_7vsmem_tEENKUlT_SK_SL_SM_E_clIPbSD_PiSF_EESJ_SZ_SK_SL_SM_EUlSZ_E_NS1_11comp_targetILNS1_3genE5ELNS1_11target_archE942ELNS1_3gpuE9ELNS1_3repE0EEENS1_48merge_mergepath_partition_config_static_selectorELNS0_4arch9wavefront6targetE1EEEvSL_,comdat
.Lfunc_end1911:
	.size	_ZN7rocprim17ROCPRIM_400000_NS6detail17trampoline_kernelINS0_14default_configENS1_38merge_sort_block_merge_config_selectorIbiEEZZNS1_27merge_sort_block_merge_implIS3_N6thrust23THRUST_200600_302600_NS6detail15normal_iteratorINS8_10device_ptrIbEEEENSA_INSB_IiEEEEjNS1_19radix_merge_compareILb0ELb0EbNS0_19identity_decomposerEEEEE10hipError_tT0_T1_T2_jT3_P12ihipStream_tbPNSt15iterator_traitsISK_E10value_typeEPNSQ_ISL_E10value_typeEPSM_NS1_7vsmem_tEENKUlT_SK_SL_SM_E_clIPbSD_PiSF_EESJ_SZ_SK_SL_SM_EUlSZ_E_NS1_11comp_targetILNS1_3genE5ELNS1_11target_archE942ELNS1_3gpuE9ELNS1_3repE0EEENS1_48merge_mergepath_partition_config_static_selectorELNS0_4arch9wavefront6targetE1EEEvSL_, .Lfunc_end1911-_ZN7rocprim17ROCPRIM_400000_NS6detail17trampoline_kernelINS0_14default_configENS1_38merge_sort_block_merge_config_selectorIbiEEZZNS1_27merge_sort_block_merge_implIS3_N6thrust23THRUST_200600_302600_NS6detail15normal_iteratorINS8_10device_ptrIbEEEENSA_INSB_IiEEEEjNS1_19radix_merge_compareILb0ELb0EbNS0_19identity_decomposerEEEEE10hipError_tT0_T1_T2_jT3_P12ihipStream_tbPNSt15iterator_traitsISK_E10value_typeEPNSQ_ISL_E10value_typeEPSM_NS1_7vsmem_tEENKUlT_SK_SL_SM_E_clIPbSD_PiSF_EESJ_SZ_SK_SL_SM_EUlSZ_E_NS1_11comp_targetILNS1_3genE5ELNS1_11target_archE942ELNS1_3gpuE9ELNS1_3repE0EEENS1_48merge_mergepath_partition_config_static_selectorELNS0_4arch9wavefront6targetE1EEEvSL_
                                        ; -- End function
	.set _ZN7rocprim17ROCPRIM_400000_NS6detail17trampoline_kernelINS0_14default_configENS1_38merge_sort_block_merge_config_selectorIbiEEZZNS1_27merge_sort_block_merge_implIS3_N6thrust23THRUST_200600_302600_NS6detail15normal_iteratorINS8_10device_ptrIbEEEENSA_INSB_IiEEEEjNS1_19radix_merge_compareILb0ELb0EbNS0_19identity_decomposerEEEEE10hipError_tT0_T1_T2_jT3_P12ihipStream_tbPNSt15iterator_traitsISK_E10value_typeEPNSQ_ISL_E10value_typeEPSM_NS1_7vsmem_tEENKUlT_SK_SL_SM_E_clIPbSD_PiSF_EESJ_SZ_SK_SL_SM_EUlSZ_E_NS1_11comp_targetILNS1_3genE5ELNS1_11target_archE942ELNS1_3gpuE9ELNS1_3repE0EEENS1_48merge_mergepath_partition_config_static_selectorELNS0_4arch9wavefront6targetE1EEEvSL_.num_vgpr, 0
	.set _ZN7rocprim17ROCPRIM_400000_NS6detail17trampoline_kernelINS0_14default_configENS1_38merge_sort_block_merge_config_selectorIbiEEZZNS1_27merge_sort_block_merge_implIS3_N6thrust23THRUST_200600_302600_NS6detail15normal_iteratorINS8_10device_ptrIbEEEENSA_INSB_IiEEEEjNS1_19radix_merge_compareILb0ELb0EbNS0_19identity_decomposerEEEEE10hipError_tT0_T1_T2_jT3_P12ihipStream_tbPNSt15iterator_traitsISK_E10value_typeEPNSQ_ISL_E10value_typeEPSM_NS1_7vsmem_tEENKUlT_SK_SL_SM_E_clIPbSD_PiSF_EESJ_SZ_SK_SL_SM_EUlSZ_E_NS1_11comp_targetILNS1_3genE5ELNS1_11target_archE942ELNS1_3gpuE9ELNS1_3repE0EEENS1_48merge_mergepath_partition_config_static_selectorELNS0_4arch9wavefront6targetE1EEEvSL_.num_agpr, 0
	.set _ZN7rocprim17ROCPRIM_400000_NS6detail17trampoline_kernelINS0_14default_configENS1_38merge_sort_block_merge_config_selectorIbiEEZZNS1_27merge_sort_block_merge_implIS3_N6thrust23THRUST_200600_302600_NS6detail15normal_iteratorINS8_10device_ptrIbEEEENSA_INSB_IiEEEEjNS1_19radix_merge_compareILb0ELb0EbNS0_19identity_decomposerEEEEE10hipError_tT0_T1_T2_jT3_P12ihipStream_tbPNSt15iterator_traitsISK_E10value_typeEPNSQ_ISL_E10value_typeEPSM_NS1_7vsmem_tEENKUlT_SK_SL_SM_E_clIPbSD_PiSF_EESJ_SZ_SK_SL_SM_EUlSZ_E_NS1_11comp_targetILNS1_3genE5ELNS1_11target_archE942ELNS1_3gpuE9ELNS1_3repE0EEENS1_48merge_mergepath_partition_config_static_selectorELNS0_4arch9wavefront6targetE1EEEvSL_.numbered_sgpr, 0
	.set _ZN7rocprim17ROCPRIM_400000_NS6detail17trampoline_kernelINS0_14default_configENS1_38merge_sort_block_merge_config_selectorIbiEEZZNS1_27merge_sort_block_merge_implIS3_N6thrust23THRUST_200600_302600_NS6detail15normal_iteratorINS8_10device_ptrIbEEEENSA_INSB_IiEEEEjNS1_19radix_merge_compareILb0ELb0EbNS0_19identity_decomposerEEEEE10hipError_tT0_T1_T2_jT3_P12ihipStream_tbPNSt15iterator_traitsISK_E10value_typeEPNSQ_ISL_E10value_typeEPSM_NS1_7vsmem_tEENKUlT_SK_SL_SM_E_clIPbSD_PiSF_EESJ_SZ_SK_SL_SM_EUlSZ_E_NS1_11comp_targetILNS1_3genE5ELNS1_11target_archE942ELNS1_3gpuE9ELNS1_3repE0EEENS1_48merge_mergepath_partition_config_static_selectorELNS0_4arch9wavefront6targetE1EEEvSL_.num_named_barrier, 0
	.set _ZN7rocprim17ROCPRIM_400000_NS6detail17trampoline_kernelINS0_14default_configENS1_38merge_sort_block_merge_config_selectorIbiEEZZNS1_27merge_sort_block_merge_implIS3_N6thrust23THRUST_200600_302600_NS6detail15normal_iteratorINS8_10device_ptrIbEEEENSA_INSB_IiEEEEjNS1_19radix_merge_compareILb0ELb0EbNS0_19identity_decomposerEEEEE10hipError_tT0_T1_T2_jT3_P12ihipStream_tbPNSt15iterator_traitsISK_E10value_typeEPNSQ_ISL_E10value_typeEPSM_NS1_7vsmem_tEENKUlT_SK_SL_SM_E_clIPbSD_PiSF_EESJ_SZ_SK_SL_SM_EUlSZ_E_NS1_11comp_targetILNS1_3genE5ELNS1_11target_archE942ELNS1_3gpuE9ELNS1_3repE0EEENS1_48merge_mergepath_partition_config_static_selectorELNS0_4arch9wavefront6targetE1EEEvSL_.private_seg_size, 0
	.set _ZN7rocprim17ROCPRIM_400000_NS6detail17trampoline_kernelINS0_14default_configENS1_38merge_sort_block_merge_config_selectorIbiEEZZNS1_27merge_sort_block_merge_implIS3_N6thrust23THRUST_200600_302600_NS6detail15normal_iteratorINS8_10device_ptrIbEEEENSA_INSB_IiEEEEjNS1_19radix_merge_compareILb0ELb0EbNS0_19identity_decomposerEEEEE10hipError_tT0_T1_T2_jT3_P12ihipStream_tbPNSt15iterator_traitsISK_E10value_typeEPNSQ_ISL_E10value_typeEPSM_NS1_7vsmem_tEENKUlT_SK_SL_SM_E_clIPbSD_PiSF_EESJ_SZ_SK_SL_SM_EUlSZ_E_NS1_11comp_targetILNS1_3genE5ELNS1_11target_archE942ELNS1_3gpuE9ELNS1_3repE0EEENS1_48merge_mergepath_partition_config_static_selectorELNS0_4arch9wavefront6targetE1EEEvSL_.uses_vcc, 0
	.set _ZN7rocprim17ROCPRIM_400000_NS6detail17trampoline_kernelINS0_14default_configENS1_38merge_sort_block_merge_config_selectorIbiEEZZNS1_27merge_sort_block_merge_implIS3_N6thrust23THRUST_200600_302600_NS6detail15normal_iteratorINS8_10device_ptrIbEEEENSA_INSB_IiEEEEjNS1_19radix_merge_compareILb0ELb0EbNS0_19identity_decomposerEEEEE10hipError_tT0_T1_T2_jT3_P12ihipStream_tbPNSt15iterator_traitsISK_E10value_typeEPNSQ_ISL_E10value_typeEPSM_NS1_7vsmem_tEENKUlT_SK_SL_SM_E_clIPbSD_PiSF_EESJ_SZ_SK_SL_SM_EUlSZ_E_NS1_11comp_targetILNS1_3genE5ELNS1_11target_archE942ELNS1_3gpuE9ELNS1_3repE0EEENS1_48merge_mergepath_partition_config_static_selectorELNS0_4arch9wavefront6targetE1EEEvSL_.uses_flat_scratch, 0
	.set _ZN7rocprim17ROCPRIM_400000_NS6detail17trampoline_kernelINS0_14default_configENS1_38merge_sort_block_merge_config_selectorIbiEEZZNS1_27merge_sort_block_merge_implIS3_N6thrust23THRUST_200600_302600_NS6detail15normal_iteratorINS8_10device_ptrIbEEEENSA_INSB_IiEEEEjNS1_19radix_merge_compareILb0ELb0EbNS0_19identity_decomposerEEEEE10hipError_tT0_T1_T2_jT3_P12ihipStream_tbPNSt15iterator_traitsISK_E10value_typeEPNSQ_ISL_E10value_typeEPSM_NS1_7vsmem_tEENKUlT_SK_SL_SM_E_clIPbSD_PiSF_EESJ_SZ_SK_SL_SM_EUlSZ_E_NS1_11comp_targetILNS1_3genE5ELNS1_11target_archE942ELNS1_3gpuE9ELNS1_3repE0EEENS1_48merge_mergepath_partition_config_static_selectorELNS0_4arch9wavefront6targetE1EEEvSL_.has_dyn_sized_stack, 0
	.set _ZN7rocprim17ROCPRIM_400000_NS6detail17trampoline_kernelINS0_14default_configENS1_38merge_sort_block_merge_config_selectorIbiEEZZNS1_27merge_sort_block_merge_implIS3_N6thrust23THRUST_200600_302600_NS6detail15normal_iteratorINS8_10device_ptrIbEEEENSA_INSB_IiEEEEjNS1_19radix_merge_compareILb0ELb0EbNS0_19identity_decomposerEEEEE10hipError_tT0_T1_T2_jT3_P12ihipStream_tbPNSt15iterator_traitsISK_E10value_typeEPNSQ_ISL_E10value_typeEPSM_NS1_7vsmem_tEENKUlT_SK_SL_SM_E_clIPbSD_PiSF_EESJ_SZ_SK_SL_SM_EUlSZ_E_NS1_11comp_targetILNS1_3genE5ELNS1_11target_archE942ELNS1_3gpuE9ELNS1_3repE0EEENS1_48merge_mergepath_partition_config_static_selectorELNS0_4arch9wavefront6targetE1EEEvSL_.has_recursion, 0
	.set _ZN7rocprim17ROCPRIM_400000_NS6detail17trampoline_kernelINS0_14default_configENS1_38merge_sort_block_merge_config_selectorIbiEEZZNS1_27merge_sort_block_merge_implIS3_N6thrust23THRUST_200600_302600_NS6detail15normal_iteratorINS8_10device_ptrIbEEEENSA_INSB_IiEEEEjNS1_19radix_merge_compareILb0ELb0EbNS0_19identity_decomposerEEEEE10hipError_tT0_T1_T2_jT3_P12ihipStream_tbPNSt15iterator_traitsISK_E10value_typeEPNSQ_ISL_E10value_typeEPSM_NS1_7vsmem_tEENKUlT_SK_SL_SM_E_clIPbSD_PiSF_EESJ_SZ_SK_SL_SM_EUlSZ_E_NS1_11comp_targetILNS1_3genE5ELNS1_11target_archE942ELNS1_3gpuE9ELNS1_3repE0EEENS1_48merge_mergepath_partition_config_static_selectorELNS0_4arch9wavefront6targetE1EEEvSL_.has_indirect_call, 0
	.section	.AMDGPU.csdata,"",@progbits
; Kernel info:
; codeLenInByte = 0
; TotalNumSgprs: 6
; NumVgprs: 0
; NumAgprs: 0
; TotalNumVgprs: 0
; ScratchSize: 0
; MemoryBound: 0
; FloatMode: 240
; IeeeMode: 1
; LDSByteSize: 0 bytes/workgroup (compile time only)
; SGPRBlocks: 0
; VGPRBlocks: 0
; NumSGPRsForWavesPerEU: 6
; NumVGPRsForWavesPerEU: 1
; AccumOffset: 4
; Occupancy: 8
; WaveLimiterHint : 0
; COMPUTE_PGM_RSRC2:SCRATCH_EN: 0
; COMPUTE_PGM_RSRC2:USER_SGPR: 2
; COMPUTE_PGM_RSRC2:TRAP_HANDLER: 0
; COMPUTE_PGM_RSRC2:TGID_X_EN: 1
; COMPUTE_PGM_RSRC2:TGID_Y_EN: 0
; COMPUTE_PGM_RSRC2:TGID_Z_EN: 0
; COMPUTE_PGM_RSRC2:TIDIG_COMP_CNT: 0
; COMPUTE_PGM_RSRC3_GFX90A:ACCUM_OFFSET: 0
; COMPUTE_PGM_RSRC3_GFX90A:TG_SPLIT: 0
	.section	.text._ZN7rocprim17ROCPRIM_400000_NS6detail17trampoline_kernelINS0_14default_configENS1_38merge_sort_block_merge_config_selectorIbiEEZZNS1_27merge_sort_block_merge_implIS3_N6thrust23THRUST_200600_302600_NS6detail15normal_iteratorINS8_10device_ptrIbEEEENSA_INSB_IiEEEEjNS1_19radix_merge_compareILb0ELb0EbNS0_19identity_decomposerEEEEE10hipError_tT0_T1_T2_jT3_P12ihipStream_tbPNSt15iterator_traitsISK_E10value_typeEPNSQ_ISL_E10value_typeEPSM_NS1_7vsmem_tEENKUlT_SK_SL_SM_E_clIPbSD_PiSF_EESJ_SZ_SK_SL_SM_EUlSZ_E_NS1_11comp_targetILNS1_3genE4ELNS1_11target_archE910ELNS1_3gpuE8ELNS1_3repE0EEENS1_48merge_mergepath_partition_config_static_selectorELNS0_4arch9wavefront6targetE1EEEvSL_,"axG",@progbits,_ZN7rocprim17ROCPRIM_400000_NS6detail17trampoline_kernelINS0_14default_configENS1_38merge_sort_block_merge_config_selectorIbiEEZZNS1_27merge_sort_block_merge_implIS3_N6thrust23THRUST_200600_302600_NS6detail15normal_iteratorINS8_10device_ptrIbEEEENSA_INSB_IiEEEEjNS1_19radix_merge_compareILb0ELb0EbNS0_19identity_decomposerEEEEE10hipError_tT0_T1_T2_jT3_P12ihipStream_tbPNSt15iterator_traitsISK_E10value_typeEPNSQ_ISL_E10value_typeEPSM_NS1_7vsmem_tEENKUlT_SK_SL_SM_E_clIPbSD_PiSF_EESJ_SZ_SK_SL_SM_EUlSZ_E_NS1_11comp_targetILNS1_3genE4ELNS1_11target_archE910ELNS1_3gpuE8ELNS1_3repE0EEENS1_48merge_mergepath_partition_config_static_selectorELNS0_4arch9wavefront6targetE1EEEvSL_,comdat
	.protected	_ZN7rocprim17ROCPRIM_400000_NS6detail17trampoline_kernelINS0_14default_configENS1_38merge_sort_block_merge_config_selectorIbiEEZZNS1_27merge_sort_block_merge_implIS3_N6thrust23THRUST_200600_302600_NS6detail15normal_iteratorINS8_10device_ptrIbEEEENSA_INSB_IiEEEEjNS1_19radix_merge_compareILb0ELb0EbNS0_19identity_decomposerEEEEE10hipError_tT0_T1_T2_jT3_P12ihipStream_tbPNSt15iterator_traitsISK_E10value_typeEPNSQ_ISL_E10value_typeEPSM_NS1_7vsmem_tEENKUlT_SK_SL_SM_E_clIPbSD_PiSF_EESJ_SZ_SK_SL_SM_EUlSZ_E_NS1_11comp_targetILNS1_3genE4ELNS1_11target_archE910ELNS1_3gpuE8ELNS1_3repE0EEENS1_48merge_mergepath_partition_config_static_selectorELNS0_4arch9wavefront6targetE1EEEvSL_ ; -- Begin function _ZN7rocprim17ROCPRIM_400000_NS6detail17trampoline_kernelINS0_14default_configENS1_38merge_sort_block_merge_config_selectorIbiEEZZNS1_27merge_sort_block_merge_implIS3_N6thrust23THRUST_200600_302600_NS6detail15normal_iteratorINS8_10device_ptrIbEEEENSA_INSB_IiEEEEjNS1_19radix_merge_compareILb0ELb0EbNS0_19identity_decomposerEEEEE10hipError_tT0_T1_T2_jT3_P12ihipStream_tbPNSt15iterator_traitsISK_E10value_typeEPNSQ_ISL_E10value_typeEPSM_NS1_7vsmem_tEENKUlT_SK_SL_SM_E_clIPbSD_PiSF_EESJ_SZ_SK_SL_SM_EUlSZ_E_NS1_11comp_targetILNS1_3genE4ELNS1_11target_archE910ELNS1_3gpuE8ELNS1_3repE0EEENS1_48merge_mergepath_partition_config_static_selectorELNS0_4arch9wavefront6targetE1EEEvSL_
	.globl	_ZN7rocprim17ROCPRIM_400000_NS6detail17trampoline_kernelINS0_14default_configENS1_38merge_sort_block_merge_config_selectorIbiEEZZNS1_27merge_sort_block_merge_implIS3_N6thrust23THRUST_200600_302600_NS6detail15normal_iteratorINS8_10device_ptrIbEEEENSA_INSB_IiEEEEjNS1_19radix_merge_compareILb0ELb0EbNS0_19identity_decomposerEEEEE10hipError_tT0_T1_T2_jT3_P12ihipStream_tbPNSt15iterator_traitsISK_E10value_typeEPNSQ_ISL_E10value_typeEPSM_NS1_7vsmem_tEENKUlT_SK_SL_SM_E_clIPbSD_PiSF_EESJ_SZ_SK_SL_SM_EUlSZ_E_NS1_11comp_targetILNS1_3genE4ELNS1_11target_archE910ELNS1_3gpuE8ELNS1_3repE0EEENS1_48merge_mergepath_partition_config_static_selectorELNS0_4arch9wavefront6targetE1EEEvSL_
	.p2align	8
	.type	_ZN7rocprim17ROCPRIM_400000_NS6detail17trampoline_kernelINS0_14default_configENS1_38merge_sort_block_merge_config_selectorIbiEEZZNS1_27merge_sort_block_merge_implIS3_N6thrust23THRUST_200600_302600_NS6detail15normal_iteratorINS8_10device_ptrIbEEEENSA_INSB_IiEEEEjNS1_19radix_merge_compareILb0ELb0EbNS0_19identity_decomposerEEEEE10hipError_tT0_T1_T2_jT3_P12ihipStream_tbPNSt15iterator_traitsISK_E10value_typeEPNSQ_ISL_E10value_typeEPSM_NS1_7vsmem_tEENKUlT_SK_SL_SM_E_clIPbSD_PiSF_EESJ_SZ_SK_SL_SM_EUlSZ_E_NS1_11comp_targetILNS1_3genE4ELNS1_11target_archE910ELNS1_3gpuE8ELNS1_3repE0EEENS1_48merge_mergepath_partition_config_static_selectorELNS0_4arch9wavefront6targetE1EEEvSL_,@function
_ZN7rocprim17ROCPRIM_400000_NS6detail17trampoline_kernelINS0_14default_configENS1_38merge_sort_block_merge_config_selectorIbiEEZZNS1_27merge_sort_block_merge_implIS3_N6thrust23THRUST_200600_302600_NS6detail15normal_iteratorINS8_10device_ptrIbEEEENSA_INSB_IiEEEEjNS1_19radix_merge_compareILb0ELb0EbNS0_19identity_decomposerEEEEE10hipError_tT0_T1_T2_jT3_P12ihipStream_tbPNSt15iterator_traitsISK_E10value_typeEPNSQ_ISL_E10value_typeEPSM_NS1_7vsmem_tEENKUlT_SK_SL_SM_E_clIPbSD_PiSF_EESJ_SZ_SK_SL_SM_EUlSZ_E_NS1_11comp_targetILNS1_3genE4ELNS1_11target_archE910ELNS1_3gpuE8ELNS1_3repE0EEENS1_48merge_mergepath_partition_config_static_selectorELNS0_4arch9wavefront6targetE1EEEvSL_: ; @_ZN7rocprim17ROCPRIM_400000_NS6detail17trampoline_kernelINS0_14default_configENS1_38merge_sort_block_merge_config_selectorIbiEEZZNS1_27merge_sort_block_merge_implIS3_N6thrust23THRUST_200600_302600_NS6detail15normal_iteratorINS8_10device_ptrIbEEEENSA_INSB_IiEEEEjNS1_19radix_merge_compareILb0ELb0EbNS0_19identity_decomposerEEEEE10hipError_tT0_T1_T2_jT3_P12ihipStream_tbPNSt15iterator_traitsISK_E10value_typeEPNSQ_ISL_E10value_typeEPSM_NS1_7vsmem_tEENKUlT_SK_SL_SM_E_clIPbSD_PiSF_EESJ_SZ_SK_SL_SM_EUlSZ_E_NS1_11comp_targetILNS1_3genE4ELNS1_11target_archE910ELNS1_3gpuE8ELNS1_3repE0EEENS1_48merge_mergepath_partition_config_static_selectorELNS0_4arch9wavefront6targetE1EEEvSL_
; %bb.0:
	.section	.rodata,"a",@progbits
	.p2align	6, 0x0
	.amdhsa_kernel _ZN7rocprim17ROCPRIM_400000_NS6detail17trampoline_kernelINS0_14default_configENS1_38merge_sort_block_merge_config_selectorIbiEEZZNS1_27merge_sort_block_merge_implIS3_N6thrust23THRUST_200600_302600_NS6detail15normal_iteratorINS8_10device_ptrIbEEEENSA_INSB_IiEEEEjNS1_19radix_merge_compareILb0ELb0EbNS0_19identity_decomposerEEEEE10hipError_tT0_T1_T2_jT3_P12ihipStream_tbPNSt15iterator_traitsISK_E10value_typeEPNSQ_ISL_E10value_typeEPSM_NS1_7vsmem_tEENKUlT_SK_SL_SM_E_clIPbSD_PiSF_EESJ_SZ_SK_SL_SM_EUlSZ_E_NS1_11comp_targetILNS1_3genE4ELNS1_11target_archE910ELNS1_3gpuE8ELNS1_3repE0EEENS1_48merge_mergepath_partition_config_static_selectorELNS0_4arch9wavefront6targetE1EEEvSL_
		.amdhsa_group_segment_fixed_size 0
		.amdhsa_private_segment_fixed_size 0
		.amdhsa_kernarg_size 40
		.amdhsa_user_sgpr_count 2
		.amdhsa_user_sgpr_dispatch_ptr 0
		.amdhsa_user_sgpr_queue_ptr 0
		.amdhsa_user_sgpr_kernarg_segment_ptr 1
		.amdhsa_user_sgpr_dispatch_id 0
		.amdhsa_user_sgpr_kernarg_preload_length 0
		.amdhsa_user_sgpr_kernarg_preload_offset 0
		.amdhsa_user_sgpr_private_segment_size 0
		.amdhsa_uses_dynamic_stack 0
		.amdhsa_enable_private_segment 0
		.amdhsa_system_sgpr_workgroup_id_x 1
		.amdhsa_system_sgpr_workgroup_id_y 0
		.amdhsa_system_sgpr_workgroup_id_z 0
		.amdhsa_system_sgpr_workgroup_info 0
		.amdhsa_system_vgpr_workitem_id 0
		.amdhsa_next_free_vgpr 1
		.amdhsa_next_free_sgpr 0
		.amdhsa_accum_offset 4
		.amdhsa_reserve_vcc 0
		.amdhsa_float_round_mode_32 0
		.amdhsa_float_round_mode_16_64 0
		.amdhsa_float_denorm_mode_32 3
		.amdhsa_float_denorm_mode_16_64 3
		.amdhsa_dx10_clamp 1
		.amdhsa_ieee_mode 1
		.amdhsa_fp16_overflow 0
		.amdhsa_tg_split 0
		.amdhsa_exception_fp_ieee_invalid_op 0
		.amdhsa_exception_fp_denorm_src 0
		.amdhsa_exception_fp_ieee_div_zero 0
		.amdhsa_exception_fp_ieee_overflow 0
		.amdhsa_exception_fp_ieee_underflow 0
		.amdhsa_exception_fp_ieee_inexact 0
		.amdhsa_exception_int_div_zero 0
	.end_amdhsa_kernel
	.section	.text._ZN7rocprim17ROCPRIM_400000_NS6detail17trampoline_kernelINS0_14default_configENS1_38merge_sort_block_merge_config_selectorIbiEEZZNS1_27merge_sort_block_merge_implIS3_N6thrust23THRUST_200600_302600_NS6detail15normal_iteratorINS8_10device_ptrIbEEEENSA_INSB_IiEEEEjNS1_19radix_merge_compareILb0ELb0EbNS0_19identity_decomposerEEEEE10hipError_tT0_T1_T2_jT3_P12ihipStream_tbPNSt15iterator_traitsISK_E10value_typeEPNSQ_ISL_E10value_typeEPSM_NS1_7vsmem_tEENKUlT_SK_SL_SM_E_clIPbSD_PiSF_EESJ_SZ_SK_SL_SM_EUlSZ_E_NS1_11comp_targetILNS1_3genE4ELNS1_11target_archE910ELNS1_3gpuE8ELNS1_3repE0EEENS1_48merge_mergepath_partition_config_static_selectorELNS0_4arch9wavefront6targetE1EEEvSL_,"axG",@progbits,_ZN7rocprim17ROCPRIM_400000_NS6detail17trampoline_kernelINS0_14default_configENS1_38merge_sort_block_merge_config_selectorIbiEEZZNS1_27merge_sort_block_merge_implIS3_N6thrust23THRUST_200600_302600_NS6detail15normal_iteratorINS8_10device_ptrIbEEEENSA_INSB_IiEEEEjNS1_19radix_merge_compareILb0ELb0EbNS0_19identity_decomposerEEEEE10hipError_tT0_T1_T2_jT3_P12ihipStream_tbPNSt15iterator_traitsISK_E10value_typeEPNSQ_ISL_E10value_typeEPSM_NS1_7vsmem_tEENKUlT_SK_SL_SM_E_clIPbSD_PiSF_EESJ_SZ_SK_SL_SM_EUlSZ_E_NS1_11comp_targetILNS1_3genE4ELNS1_11target_archE910ELNS1_3gpuE8ELNS1_3repE0EEENS1_48merge_mergepath_partition_config_static_selectorELNS0_4arch9wavefront6targetE1EEEvSL_,comdat
.Lfunc_end1912:
	.size	_ZN7rocprim17ROCPRIM_400000_NS6detail17trampoline_kernelINS0_14default_configENS1_38merge_sort_block_merge_config_selectorIbiEEZZNS1_27merge_sort_block_merge_implIS3_N6thrust23THRUST_200600_302600_NS6detail15normal_iteratorINS8_10device_ptrIbEEEENSA_INSB_IiEEEEjNS1_19radix_merge_compareILb0ELb0EbNS0_19identity_decomposerEEEEE10hipError_tT0_T1_T2_jT3_P12ihipStream_tbPNSt15iterator_traitsISK_E10value_typeEPNSQ_ISL_E10value_typeEPSM_NS1_7vsmem_tEENKUlT_SK_SL_SM_E_clIPbSD_PiSF_EESJ_SZ_SK_SL_SM_EUlSZ_E_NS1_11comp_targetILNS1_3genE4ELNS1_11target_archE910ELNS1_3gpuE8ELNS1_3repE0EEENS1_48merge_mergepath_partition_config_static_selectorELNS0_4arch9wavefront6targetE1EEEvSL_, .Lfunc_end1912-_ZN7rocprim17ROCPRIM_400000_NS6detail17trampoline_kernelINS0_14default_configENS1_38merge_sort_block_merge_config_selectorIbiEEZZNS1_27merge_sort_block_merge_implIS3_N6thrust23THRUST_200600_302600_NS6detail15normal_iteratorINS8_10device_ptrIbEEEENSA_INSB_IiEEEEjNS1_19radix_merge_compareILb0ELb0EbNS0_19identity_decomposerEEEEE10hipError_tT0_T1_T2_jT3_P12ihipStream_tbPNSt15iterator_traitsISK_E10value_typeEPNSQ_ISL_E10value_typeEPSM_NS1_7vsmem_tEENKUlT_SK_SL_SM_E_clIPbSD_PiSF_EESJ_SZ_SK_SL_SM_EUlSZ_E_NS1_11comp_targetILNS1_3genE4ELNS1_11target_archE910ELNS1_3gpuE8ELNS1_3repE0EEENS1_48merge_mergepath_partition_config_static_selectorELNS0_4arch9wavefront6targetE1EEEvSL_
                                        ; -- End function
	.set _ZN7rocprim17ROCPRIM_400000_NS6detail17trampoline_kernelINS0_14default_configENS1_38merge_sort_block_merge_config_selectorIbiEEZZNS1_27merge_sort_block_merge_implIS3_N6thrust23THRUST_200600_302600_NS6detail15normal_iteratorINS8_10device_ptrIbEEEENSA_INSB_IiEEEEjNS1_19radix_merge_compareILb0ELb0EbNS0_19identity_decomposerEEEEE10hipError_tT0_T1_T2_jT3_P12ihipStream_tbPNSt15iterator_traitsISK_E10value_typeEPNSQ_ISL_E10value_typeEPSM_NS1_7vsmem_tEENKUlT_SK_SL_SM_E_clIPbSD_PiSF_EESJ_SZ_SK_SL_SM_EUlSZ_E_NS1_11comp_targetILNS1_3genE4ELNS1_11target_archE910ELNS1_3gpuE8ELNS1_3repE0EEENS1_48merge_mergepath_partition_config_static_selectorELNS0_4arch9wavefront6targetE1EEEvSL_.num_vgpr, 0
	.set _ZN7rocprim17ROCPRIM_400000_NS6detail17trampoline_kernelINS0_14default_configENS1_38merge_sort_block_merge_config_selectorIbiEEZZNS1_27merge_sort_block_merge_implIS3_N6thrust23THRUST_200600_302600_NS6detail15normal_iteratorINS8_10device_ptrIbEEEENSA_INSB_IiEEEEjNS1_19radix_merge_compareILb0ELb0EbNS0_19identity_decomposerEEEEE10hipError_tT0_T1_T2_jT3_P12ihipStream_tbPNSt15iterator_traitsISK_E10value_typeEPNSQ_ISL_E10value_typeEPSM_NS1_7vsmem_tEENKUlT_SK_SL_SM_E_clIPbSD_PiSF_EESJ_SZ_SK_SL_SM_EUlSZ_E_NS1_11comp_targetILNS1_3genE4ELNS1_11target_archE910ELNS1_3gpuE8ELNS1_3repE0EEENS1_48merge_mergepath_partition_config_static_selectorELNS0_4arch9wavefront6targetE1EEEvSL_.num_agpr, 0
	.set _ZN7rocprim17ROCPRIM_400000_NS6detail17trampoline_kernelINS0_14default_configENS1_38merge_sort_block_merge_config_selectorIbiEEZZNS1_27merge_sort_block_merge_implIS3_N6thrust23THRUST_200600_302600_NS6detail15normal_iteratorINS8_10device_ptrIbEEEENSA_INSB_IiEEEEjNS1_19radix_merge_compareILb0ELb0EbNS0_19identity_decomposerEEEEE10hipError_tT0_T1_T2_jT3_P12ihipStream_tbPNSt15iterator_traitsISK_E10value_typeEPNSQ_ISL_E10value_typeEPSM_NS1_7vsmem_tEENKUlT_SK_SL_SM_E_clIPbSD_PiSF_EESJ_SZ_SK_SL_SM_EUlSZ_E_NS1_11comp_targetILNS1_3genE4ELNS1_11target_archE910ELNS1_3gpuE8ELNS1_3repE0EEENS1_48merge_mergepath_partition_config_static_selectorELNS0_4arch9wavefront6targetE1EEEvSL_.numbered_sgpr, 0
	.set _ZN7rocprim17ROCPRIM_400000_NS6detail17trampoline_kernelINS0_14default_configENS1_38merge_sort_block_merge_config_selectorIbiEEZZNS1_27merge_sort_block_merge_implIS3_N6thrust23THRUST_200600_302600_NS6detail15normal_iteratorINS8_10device_ptrIbEEEENSA_INSB_IiEEEEjNS1_19radix_merge_compareILb0ELb0EbNS0_19identity_decomposerEEEEE10hipError_tT0_T1_T2_jT3_P12ihipStream_tbPNSt15iterator_traitsISK_E10value_typeEPNSQ_ISL_E10value_typeEPSM_NS1_7vsmem_tEENKUlT_SK_SL_SM_E_clIPbSD_PiSF_EESJ_SZ_SK_SL_SM_EUlSZ_E_NS1_11comp_targetILNS1_3genE4ELNS1_11target_archE910ELNS1_3gpuE8ELNS1_3repE0EEENS1_48merge_mergepath_partition_config_static_selectorELNS0_4arch9wavefront6targetE1EEEvSL_.num_named_barrier, 0
	.set _ZN7rocprim17ROCPRIM_400000_NS6detail17trampoline_kernelINS0_14default_configENS1_38merge_sort_block_merge_config_selectorIbiEEZZNS1_27merge_sort_block_merge_implIS3_N6thrust23THRUST_200600_302600_NS6detail15normal_iteratorINS8_10device_ptrIbEEEENSA_INSB_IiEEEEjNS1_19radix_merge_compareILb0ELb0EbNS0_19identity_decomposerEEEEE10hipError_tT0_T1_T2_jT3_P12ihipStream_tbPNSt15iterator_traitsISK_E10value_typeEPNSQ_ISL_E10value_typeEPSM_NS1_7vsmem_tEENKUlT_SK_SL_SM_E_clIPbSD_PiSF_EESJ_SZ_SK_SL_SM_EUlSZ_E_NS1_11comp_targetILNS1_3genE4ELNS1_11target_archE910ELNS1_3gpuE8ELNS1_3repE0EEENS1_48merge_mergepath_partition_config_static_selectorELNS0_4arch9wavefront6targetE1EEEvSL_.private_seg_size, 0
	.set _ZN7rocprim17ROCPRIM_400000_NS6detail17trampoline_kernelINS0_14default_configENS1_38merge_sort_block_merge_config_selectorIbiEEZZNS1_27merge_sort_block_merge_implIS3_N6thrust23THRUST_200600_302600_NS6detail15normal_iteratorINS8_10device_ptrIbEEEENSA_INSB_IiEEEEjNS1_19radix_merge_compareILb0ELb0EbNS0_19identity_decomposerEEEEE10hipError_tT0_T1_T2_jT3_P12ihipStream_tbPNSt15iterator_traitsISK_E10value_typeEPNSQ_ISL_E10value_typeEPSM_NS1_7vsmem_tEENKUlT_SK_SL_SM_E_clIPbSD_PiSF_EESJ_SZ_SK_SL_SM_EUlSZ_E_NS1_11comp_targetILNS1_3genE4ELNS1_11target_archE910ELNS1_3gpuE8ELNS1_3repE0EEENS1_48merge_mergepath_partition_config_static_selectorELNS0_4arch9wavefront6targetE1EEEvSL_.uses_vcc, 0
	.set _ZN7rocprim17ROCPRIM_400000_NS6detail17trampoline_kernelINS0_14default_configENS1_38merge_sort_block_merge_config_selectorIbiEEZZNS1_27merge_sort_block_merge_implIS3_N6thrust23THRUST_200600_302600_NS6detail15normal_iteratorINS8_10device_ptrIbEEEENSA_INSB_IiEEEEjNS1_19radix_merge_compareILb0ELb0EbNS0_19identity_decomposerEEEEE10hipError_tT0_T1_T2_jT3_P12ihipStream_tbPNSt15iterator_traitsISK_E10value_typeEPNSQ_ISL_E10value_typeEPSM_NS1_7vsmem_tEENKUlT_SK_SL_SM_E_clIPbSD_PiSF_EESJ_SZ_SK_SL_SM_EUlSZ_E_NS1_11comp_targetILNS1_3genE4ELNS1_11target_archE910ELNS1_3gpuE8ELNS1_3repE0EEENS1_48merge_mergepath_partition_config_static_selectorELNS0_4arch9wavefront6targetE1EEEvSL_.uses_flat_scratch, 0
	.set _ZN7rocprim17ROCPRIM_400000_NS6detail17trampoline_kernelINS0_14default_configENS1_38merge_sort_block_merge_config_selectorIbiEEZZNS1_27merge_sort_block_merge_implIS3_N6thrust23THRUST_200600_302600_NS6detail15normal_iteratorINS8_10device_ptrIbEEEENSA_INSB_IiEEEEjNS1_19radix_merge_compareILb0ELb0EbNS0_19identity_decomposerEEEEE10hipError_tT0_T1_T2_jT3_P12ihipStream_tbPNSt15iterator_traitsISK_E10value_typeEPNSQ_ISL_E10value_typeEPSM_NS1_7vsmem_tEENKUlT_SK_SL_SM_E_clIPbSD_PiSF_EESJ_SZ_SK_SL_SM_EUlSZ_E_NS1_11comp_targetILNS1_3genE4ELNS1_11target_archE910ELNS1_3gpuE8ELNS1_3repE0EEENS1_48merge_mergepath_partition_config_static_selectorELNS0_4arch9wavefront6targetE1EEEvSL_.has_dyn_sized_stack, 0
	.set _ZN7rocprim17ROCPRIM_400000_NS6detail17trampoline_kernelINS0_14default_configENS1_38merge_sort_block_merge_config_selectorIbiEEZZNS1_27merge_sort_block_merge_implIS3_N6thrust23THRUST_200600_302600_NS6detail15normal_iteratorINS8_10device_ptrIbEEEENSA_INSB_IiEEEEjNS1_19radix_merge_compareILb0ELb0EbNS0_19identity_decomposerEEEEE10hipError_tT0_T1_T2_jT3_P12ihipStream_tbPNSt15iterator_traitsISK_E10value_typeEPNSQ_ISL_E10value_typeEPSM_NS1_7vsmem_tEENKUlT_SK_SL_SM_E_clIPbSD_PiSF_EESJ_SZ_SK_SL_SM_EUlSZ_E_NS1_11comp_targetILNS1_3genE4ELNS1_11target_archE910ELNS1_3gpuE8ELNS1_3repE0EEENS1_48merge_mergepath_partition_config_static_selectorELNS0_4arch9wavefront6targetE1EEEvSL_.has_recursion, 0
	.set _ZN7rocprim17ROCPRIM_400000_NS6detail17trampoline_kernelINS0_14default_configENS1_38merge_sort_block_merge_config_selectorIbiEEZZNS1_27merge_sort_block_merge_implIS3_N6thrust23THRUST_200600_302600_NS6detail15normal_iteratorINS8_10device_ptrIbEEEENSA_INSB_IiEEEEjNS1_19radix_merge_compareILb0ELb0EbNS0_19identity_decomposerEEEEE10hipError_tT0_T1_T2_jT3_P12ihipStream_tbPNSt15iterator_traitsISK_E10value_typeEPNSQ_ISL_E10value_typeEPSM_NS1_7vsmem_tEENKUlT_SK_SL_SM_E_clIPbSD_PiSF_EESJ_SZ_SK_SL_SM_EUlSZ_E_NS1_11comp_targetILNS1_3genE4ELNS1_11target_archE910ELNS1_3gpuE8ELNS1_3repE0EEENS1_48merge_mergepath_partition_config_static_selectorELNS0_4arch9wavefront6targetE1EEEvSL_.has_indirect_call, 0
	.section	.AMDGPU.csdata,"",@progbits
; Kernel info:
; codeLenInByte = 0
; TotalNumSgprs: 6
; NumVgprs: 0
; NumAgprs: 0
; TotalNumVgprs: 0
; ScratchSize: 0
; MemoryBound: 0
; FloatMode: 240
; IeeeMode: 1
; LDSByteSize: 0 bytes/workgroup (compile time only)
; SGPRBlocks: 0
; VGPRBlocks: 0
; NumSGPRsForWavesPerEU: 6
; NumVGPRsForWavesPerEU: 1
; AccumOffset: 4
; Occupancy: 8
; WaveLimiterHint : 0
; COMPUTE_PGM_RSRC2:SCRATCH_EN: 0
; COMPUTE_PGM_RSRC2:USER_SGPR: 2
; COMPUTE_PGM_RSRC2:TRAP_HANDLER: 0
; COMPUTE_PGM_RSRC2:TGID_X_EN: 1
; COMPUTE_PGM_RSRC2:TGID_Y_EN: 0
; COMPUTE_PGM_RSRC2:TGID_Z_EN: 0
; COMPUTE_PGM_RSRC2:TIDIG_COMP_CNT: 0
; COMPUTE_PGM_RSRC3_GFX90A:ACCUM_OFFSET: 0
; COMPUTE_PGM_RSRC3_GFX90A:TG_SPLIT: 0
	.section	.text._ZN7rocprim17ROCPRIM_400000_NS6detail17trampoline_kernelINS0_14default_configENS1_38merge_sort_block_merge_config_selectorIbiEEZZNS1_27merge_sort_block_merge_implIS3_N6thrust23THRUST_200600_302600_NS6detail15normal_iteratorINS8_10device_ptrIbEEEENSA_INSB_IiEEEEjNS1_19radix_merge_compareILb0ELb0EbNS0_19identity_decomposerEEEEE10hipError_tT0_T1_T2_jT3_P12ihipStream_tbPNSt15iterator_traitsISK_E10value_typeEPNSQ_ISL_E10value_typeEPSM_NS1_7vsmem_tEENKUlT_SK_SL_SM_E_clIPbSD_PiSF_EESJ_SZ_SK_SL_SM_EUlSZ_E_NS1_11comp_targetILNS1_3genE3ELNS1_11target_archE908ELNS1_3gpuE7ELNS1_3repE0EEENS1_48merge_mergepath_partition_config_static_selectorELNS0_4arch9wavefront6targetE1EEEvSL_,"axG",@progbits,_ZN7rocprim17ROCPRIM_400000_NS6detail17trampoline_kernelINS0_14default_configENS1_38merge_sort_block_merge_config_selectorIbiEEZZNS1_27merge_sort_block_merge_implIS3_N6thrust23THRUST_200600_302600_NS6detail15normal_iteratorINS8_10device_ptrIbEEEENSA_INSB_IiEEEEjNS1_19radix_merge_compareILb0ELb0EbNS0_19identity_decomposerEEEEE10hipError_tT0_T1_T2_jT3_P12ihipStream_tbPNSt15iterator_traitsISK_E10value_typeEPNSQ_ISL_E10value_typeEPSM_NS1_7vsmem_tEENKUlT_SK_SL_SM_E_clIPbSD_PiSF_EESJ_SZ_SK_SL_SM_EUlSZ_E_NS1_11comp_targetILNS1_3genE3ELNS1_11target_archE908ELNS1_3gpuE7ELNS1_3repE0EEENS1_48merge_mergepath_partition_config_static_selectorELNS0_4arch9wavefront6targetE1EEEvSL_,comdat
	.protected	_ZN7rocprim17ROCPRIM_400000_NS6detail17trampoline_kernelINS0_14default_configENS1_38merge_sort_block_merge_config_selectorIbiEEZZNS1_27merge_sort_block_merge_implIS3_N6thrust23THRUST_200600_302600_NS6detail15normal_iteratorINS8_10device_ptrIbEEEENSA_INSB_IiEEEEjNS1_19radix_merge_compareILb0ELb0EbNS0_19identity_decomposerEEEEE10hipError_tT0_T1_T2_jT3_P12ihipStream_tbPNSt15iterator_traitsISK_E10value_typeEPNSQ_ISL_E10value_typeEPSM_NS1_7vsmem_tEENKUlT_SK_SL_SM_E_clIPbSD_PiSF_EESJ_SZ_SK_SL_SM_EUlSZ_E_NS1_11comp_targetILNS1_3genE3ELNS1_11target_archE908ELNS1_3gpuE7ELNS1_3repE0EEENS1_48merge_mergepath_partition_config_static_selectorELNS0_4arch9wavefront6targetE1EEEvSL_ ; -- Begin function _ZN7rocprim17ROCPRIM_400000_NS6detail17trampoline_kernelINS0_14default_configENS1_38merge_sort_block_merge_config_selectorIbiEEZZNS1_27merge_sort_block_merge_implIS3_N6thrust23THRUST_200600_302600_NS6detail15normal_iteratorINS8_10device_ptrIbEEEENSA_INSB_IiEEEEjNS1_19radix_merge_compareILb0ELb0EbNS0_19identity_decomposerEEEEE10hipError_tT0_T1_T2_jT3_P12ihipStream_tbPNSt15iterator_traitsISK_E10value_typeEPNSQ_ISL_E10value_typeEPSM_NS1_7vsmem_tEENKUlT_SK_SL_SM_E_clIPbSD_PiSF_EESJ_SZ_SK_SL_SM_EUlSZ_E_NS1_11comp_targetILNS1_3genE3ELNS1_11target_archE908ELNS1_3gpuE7ELNS1_3repE0EEENS1_48merge_mergepath_partition_config_static_selectorELNS0_4arch9wavefront6targetE1EEEvSL_
	.globl	_ZN7rocprim17ROCPRIM_400000_NS6detail17trampoline_kernelINS0_14default_configENS1_38merge_sort_block_merge_config_selectorIbiEEZZNS1_27merge_sort_block_merge_implIS3_N6thrust23THRUST_200600_302600_NS6detail15normal_iteratorINS8_10device_ptrIbEEEENSA_INSB_IiEEEEjNS1_19radix_merge_compareILb0ELb0EbNS0_19identity_decomposerEEEEE10hipError_tT0_T1_T2_jT3_P12ihipStream_tbPNSt15iterator_traitsISK_E10value_typeEPNSQ_ISL_E10value_typeEPSM_NS1_7vsmem_tEENKUlT_SK_SL_SM_E_clIPbSD_PiSF_EESJ_SZ_SK_SL_SM_EUlSZ_E_NS1_11comp_targetILNS1_3genE3ELNS1_11target_archE908ELNS1_3gpuE7ELNS1_3repE0EEENS1_48merge_mergepath_partition_config_static_selectorELNS0_4arch9wavefront6targetE1EEEvSL_
	.p2align	8
	.type	_ZN7rocprim17ROCPRIM_400000_NS6detail17trampoline_kernelINS0_14default_configENS1_38merge_sort_block_merge_config_selectorIbiEEZZNS1_27merge_sort_block_merge_implIS3_N6thrust23THRUST_200600_302600_NS6detail15normal_iteratorINS8_10device_ptrIbEEEENSA_INSB_IiEEEEjNS1_19radix_merge_compareILb0ELb0EbNS0_19identity_decomposerEEEEE10hipError_tT0_T1_T2_jT3_P12ihipStream_tbPNSt15iterator_traitsISK_E10value_typeEPNSQ_ISL_E10value_typeEPSM_NS1_7vsmem_tEENKUlT_SK_SL_SM_E_clIPbSD_PiSF_EESJ_SZ_SK_SL_SM_EUlSZ_E_NS1_11comp_targetILNS1_3genE3ELNS1_11target_archE908ELNS1_3gpuE7ELNS1_3repE0EEENS1_48merge_mergepath_partition_config_static_selectorELNS0_4arch9wavefront6targetE1EEEvSL_,@function
_ZN7rocprim17ROCPRIM_400000_NS6detail17trampoline_kernelINS0_14default_configENS1_38merge_sort_block_merge_config_selectorIbiEEZZNS1_27merge_sort_block_merge_implIS3_N6thrust23THRUST_200600_302600_NS6detail15normal_iteratorINS8_10device_ptrIbEEEENSA_INSB_IiEEEEjNS1_19radix_merge_compareILb0ELb0EbNS0_19identity_decomposerEEEEE10hipError_tT0_T1_T2_jT3_P12ihipStream_tbPNSt15iterator_traitsISK_E10value_typeEPNSQ_ISL_E10value_typeEPSM_NS1_7vsmem_tEENKUlT_SK_SL_SM_E_clIPbSD_PiSF_EESJ_SZ_SK_SL_SM_EUlSZ_E_NS1_11comp_targetILNS1_3genE3ELNS1_11target_archE908ELNS1_3gpuE7ELNS1_3repE0EEENS1_48merge_mergepath_partition_config_static_selectorELNS0_4arch9wavefront6targetE1EEEvSL_: ; @_ZN7rocprim17ROCPRIM_400000_NS6detail17trampoline_kernelINS0_14default_configENS1_38merge_sort_block_merge_config_selectorIbiEEZZNS1_27merge_sort_block_merge_implIS3_N6thrust23THRUST_200600_302600_NS6detail15normal_iteratorINS8_10device_ptrIbEEEENSA_INSB_IiEEEEjNS1_19radix_merge_compareILb0ELb0EbNS0_19identity_decomposerEEEEE10hipError_tT0_T1_T2_jT3_P12ihipStream_tbPNSt15iterator_traitsISK_E10value_typeEPNSQ_ISL_E10value_typeEPSM_NS1_7vsmem_tEENKUlT_SK_SL_SM_E_clIPbSD_PiSF_EESJ_SZ_SK_SL_SM_EUlSZ_E_NS1_11comp_targetILNS1_3genE3ELNS1_11target_archE908ELNS1_3gpuE7ELNS1_3repE0EEENS1_48merge_mergepath_partition_config_static_selectorELNS0_4arch9wavefront6targetE1EEEvSL_
; %bb.0:
	.section	.rodata,"a",@progbits
	.p2align	6, 0x0
	.amdhsa_kernel _ZN7rocprim17ROCPRIM_400000_NS6detail17trampoline_kernelINS0_14default_configENS1_38merge_sort_block_merge_config_selectorIbiEEZZNS1_27merge_sort_block_merge_implIS3_N6thrust23THRUST_200600_302600_NS6detail15normal_iteratorINS8_10device_ptrIbEEEENSA_INSB_IiEEEEjNS1_19radix_merge_compareILb0ELb0EbNS0_19identity_decomposerEEEEE10hipError_tT0_T1_T2_jT3_P12ihipStream_tbPNSt15iterator_traitsISK_E10value_typeEPNSQ_ISL_E10value_typeEPSM_NS1_7vsmem_tEENKUlT_SK_SL_SM_E_clIPbSD_PiSF_EESJ_SZ_SK_SL_SM_EUlSZ_E_NS1_11comp_targetILNS1_3genE3ELNS1_11target_archE908ELNS1_3gpuE7ELNS1_3repE0EEENS1_48merge_mergepath_partition_config_static_selectorELNS0_4arch9wavefront6targetE1EEEvSL_
		.amdhsa_group_segment_fixed_size 0
		.amdhsa_private_segment_fixed_size 0
		.amdhsa_kernarg_size 40
		.amdhsa_user_sgpr_count 2
		.amdhsa_user_sgpr_dispatch_ptr 0
		.amdhsa_user_sgpr_queue_ptr 0
		.amdhsa_user_sgpr_kernarg_segment_ptr 1
		.amdhsa_user_sgpr_dispatch_id 0
		.amdhsa_user_sgpr_kernarg_preload_length 0
		.amdhsa_user_sgpr_kernarg_preload_offset 0
		.amdhsa_user_sgpr_private_segment_size 0
		.amdhsa_uses_dynamic_stack 0
		.amdhsa_enable_private_segment 0
		.amdhsa_system_sgpr_workgroup_id_x 1
		.amdhsa_system_sgpr_workgroup_id_y 0
		.amdhsa_system_sgpr_workgroup_id_z 0
		.amdhsa_system_sgpr_workgroup_info 0
		.amdhsa_system_vgpr_workitem_id 0
		.amdhsa_next_free_vgpr 1
		.amdhsa_next_free_sgpr 0
		.amdhsa_accum_offset 4
		.amdhsa_reserve_vcc 0
		.amdhsa_float_round_mode_32 0
		.amdhsa_float_round_mode_16_64 0
		.amdhsa_float_denorm_mode_32 3
		.amdhsa_float_denorm_mode_16_64 3
		.amdhsa_dx10_clamp 1
		.amdhsa_ieee_mode 1
		.amdhsa_fp16_overflow 0
		.amdhsa_tg_split 0
		.amdhsa_exception_fp_ieee_invalid_op 0
		.amdhsa_exception_fp_denorm_src 0
		.amdhsa_exception_fp_ieee_div_zero 0
		.amdhsa_exception_fp_ieee_overflow 0
		.amdhsa_exception_fp_ieee_underflow 0
		.amdhsa_exception_fp_ieee_inexact 0
		.amdhsa_exception_int_div_zero 0
	.end_amdhsa_kernel
	.section	.text._ZN7rocprim17ROCPRIM_400000_NS6detail17trampoline_kernelINS0_14default_configENS1_38merge_sort_block_merge_config_selectorIbiEEZZNS1_27merge_sort_block_merge_implIS3_N6thrust23THRUST_200600_302600_NS6detail15normal_iteratorINS8_10device_ptrIbEEEENSA_INSB_IiEEEEjNS1_19radix_merge_compareILb0ELb0EbNS0_19identity_decomposerEEEEE10hipError_tT0_T1_T2_jT3_P12ihipStream_tbPNSt15iterator_traitsISK_E10value_typeEPNSQ_ISL_E10value_typeEPSM_NS1_7vsmem_tEENKUlT_SK_SL_SM_E_clIPbSD_PiSF_EESJ_SZ_SK_SL_SM_EUlSZ_E_NS1_11comp_targetILNS1_3genE3ELNS1_11target_archE908ELNS1_3gpuE7ELNS1_3repE0EEENS1_48merge_mergepath_partition_config_static_selectorELNS0_4arch9wavefront6targetE1EEEvSL_,"axG",@progbits,_ZN7rocprim17ROCPRIM_400000_NS6detail17trampoline_kernelINS0_14default_configENS1_38merge_sort_block_merge_config_selectorIbiEEZZNS1_27merge_sort_block_merge_implIS3_N6thrust23THRUST_200600_302600_NS6detail15normal_iteratorINS8_10device_ptrIbEEEENSA_INSB_IiEEEEjNS1_19radix_merge_compareILb0ELb0EbNS0_19identity_decomposerEEEEE10hipError_tT0_T1_T2_jT3_P12ihipStream_tbPNSt15iterator_traitsISK_E10value_typeEPNSQ_ISL_E10value_typeEPSM_NS1_7vsmem_tEENKUlT_SK_SL_SM_E_clIPbSD_PiSF_EESJ_SZ_SK_SL_SM_EUlSZ_E_NS1_11comp_targetILNS1_3genE3ELNS1_11target_archE908ELNS1_3gpuE7ELNS1_3repE0EEENS1_48merge_mergepath_partition_config_static_selectorELNS0_4arch9wavefront6targetE1EEEvSL_,comdat
.Lfunc_end1913:
	.size	_ZN7rocprim17ROCPRIM_400000_NS6detail17trampoline_kernelINS0_14default_configENS1_38merge_sort_block_merge_config_selectorIbiEEZZNS1_27merge_sort_block_merge_implIS3_N6thrust23THRUST_200600_302600_NS6detail15normal_iteratorINS8_10device_ptrIbEEEENSA_INSB_IiEEEEjNS1_19radix_merge_compareILb0ELb0EbNS0_19identity_decomposerEEEEE10hipError_tT0_T1_T2_jT3_P12ihipStream_tbPNSt15iterator_traitsISK_E10value_typeEPNSQ_ISL_E10value_typeEPSM_NS1_7vsmem_tEENKUlT_SK_SL_SM_E_clIPbSD_PiSF_EESJ_SZ_SK_SL_SM_EUlSZ_E_NS1_11comp_targetILNS1_3genE3ELNS1_11target_archE908ELNS1_3gpuE7ELNS1_3repE0EEENS1_48merge_mergepath_partition_config_static_selectorELNS0_4arch9wavefront6targetE1EEEvSL_, .Lfunc_end1913-_ZN7rocprim17ROCPRIM_400000_NS6detail17trampoline_kernelINS0_14default_configENS1_38merge_sort_block_merge_config_selectorIbiEEZZNS1_27merge_sort_block_merge_implIS3_N6thrust23THRUST_200600_302600_NS6detail15normal_iteratorINS8_10device_ptrIbEEEENSA_INSB_IiEEEEjNS1_19radix_merge_compareILb0ELb0EbNS0_19identity_decomposerEEEEE10hipError_tT0_T1_T2_jT3_P12ihipStream_tbPNSt15iterator_traitsISK_E10value_typeEPNSQ_ISL_E10value_typeEPSM_NS1_7vsmem_tEENKUlT_SK_SL_SM_E_clIPbSD_PiSF_EESJ_SZ_SK_SL_SM_EUlSZ_E_NS1_11comp_targetILNS1_3genE3ELNS1_11target_archE908ELNS1_3gpuE7ELNS1_3repE0EEENS1_48merge_mergepath_partition_config_static_selectorELNS0_4arch9wavefront6targetE1EEEvSL_
                                        ; -- End function
	.set _ZN7rocprim17ROCPRIM_400000_NS6detail17trampoline_kernelINS0_14default_configENS1_38merge_sort_block_merge_config_selectorIbiEEZZNS1_27merge_sort_block_merge_implIS3_N6thrust23THRUST_200600_302600_NS6detail15normal_iteratorINS8_10device_ptrIbEEEENSA_INSB_IiEEEEjNS1_19radix_merge_compareILb0ELb0EbNS0_19identity_decomposerEEEEE10hipError_tT0_T1_T2_jT3_P12ihipStream_tbPNSt15iterator_traitsISK_E10value_typeEPNSQ_ISL_E10value_typeEPSM_NS1_7vsmem_tEENKUlT_SK_SL_SM_E_clIPbSD_PiSF_EESJ_SZ_SK_SL_SM_EUlSZ_E_NS1_11comp_targetILNS1_3genE3ELNS1_11target_archE908ELNS1_3gpuE7ELNS1_3repE0EEENS1_48merge_mergepath_partition_config_static_selectorELNS0_4arch9wavefront6targetE1EEEvSL_.num_vgpr, 0
	.set _ZN7rocprim17ROCPRIM_400000_NS6detail17trampoline_kernelINS0_14default_configENS1_38merge_sort_block_merge_config_selectorIbiEEZZNS1_27merge_sort_block_merge_implIS3_N6thrust23THRUST_200600_302600_NS6detail15normal_iteratorINS8_10device_ptrIbEEEENSA_INSB_IiEEEEjNS1_19radix_merge_compareILb0ELb0EbNS0_19identity_decomposerEEEEE10hipError_tT0_T1_T2_jT3_P12ihipStream_tbPNSt15iterator_traitsISK_E10value_typeEPNSQ_ISL_E10value_typeEPSM_NS1_7vsmem_tEENKUlT_SK_SL_SM_E_clIPbSD_PiSF_EESJ_SZ_SK_SL_SM_EUlSZ_E_NS1_11comp_targetILNS1_3genE3ELNS1_11target_archE908ELNS1_3gpuE7ELNS1_3repE0EEENS1_48merge_mergepath_partition_config_static_selectorELNS0_4arch9wavefront6targetE1EEEvSL_.num_agpr, 0
	.set _ZN7rocprim17ROCPRIM_400000_NS6detail17trampoline_kernelINS0_14default_configENS1_38merge_sort_block_merge_config_selectorIbiEEZZNS1_27merge_sort_block_merge_implIS3_N6thrust23THRUST_200600_302600_NS6detail15normal_iteratorINS8_10device_ptrIbEEEENSA_INSB_IiEEEEjNS1_19radix_merge_compareILb0ELb0EbNS0_19identity_decomposerEEEEE10hipError_tT0_T1_T2_jT3_P12ihipStream_tbPNSt15iterator_traitsISK_E10value_typeEPNSQ_ISL_E10value_typeEPSM_NS1_7vsmem_tEENKUlT_SK_SL_SM_E_clIPbSD_PiSF_EESJ_SZ_SK_SL_SM_EUlSZ_E_NS1_11comp_targetILNS1_3genE3ELNS1_11target_archE908ELNS1_3gpuE7ELNS1_3repE0EEENS1_48merge_mergepath_partition_config_static_selectorELNS0_4arch9wavefront6targetE1EEEvSL_.numbered_sgpr, 0
	.set _ZN7rocprim17ROCPRIM_400000_NS6detail17trampoline_kernelINS0_14default_configENS1_38merge_sort_block_merge_config_selectorIbiEEZZNS1_27merge_sort_block_merge_implIS3_N6thrust23THRUST_200600_302600_NS6detail15normal_iteratorINS8_10device_ptrIbEEEENSA_INSB_IiEEEEjNS1_19radix_merge_compareILb0ELb0EbNS0_19identity_decomposerEEEEE10hipError_tT0_T1_T2_jT3_P12ihipStream_tbPNSt15iterator_traitsISK_E10value_typeEPNSQ_ISL_E10value_typeEPSM_NS1_7vsmem_tEENKUlT_SK_SL_SM_E_clIPbSD_PiSF_EESJ_SZ_SK_SL_SM_EUlSZ_E_NS1_11comp_targetILNS1_3genE3ELNS1_11target_archE908ELNS1_3gpuE7ELNS1_3repE0EEENS1_48merge_mergepath_partition_config_static_selectorELNS0_4arch9wavefront6targetE1EEEvSL_.num_named_barrier, 0
	.set _ZN7rocprim17ROCPRIM_400000_NS6detail17trampoline_kernelINS0_14default_configENS1_38merge_sort_block_merge_config_selectorIbiEEZZNS1_27merge_sort_block_merge_implIS3_N6thrust23THRUST_200600_302600_NS6detail15normal_iteratorINS8_10device_ptrIbEEEENSA_INSB_IiEEEEjNS1_19radix_merge_compareILb0ELb0EbNS0_19identity_decomposerEEEEE10hipError_tT0_T1_T2_jT3_P12ihipStream_tbPNSt15iterator_traitsISK_E10value_typeEPNSQ_ISL_E10value_typeEPSM_NS1_7vsmem_tEENKUlT_SK_SL_SM_E_clIPbSD_PiSF_EESJ_SZ_SK_SL_SM_EUlSZ_E_NS1_11comp_targetILNS1_3genE3ELNS1_11target_archE908ELNS1_3gpuE7ELNS1_3repE0EEENS1_48merge_mergepath_partition_config_static_selectorELNS0_4arch9wavefront6targetE1EEEvSL_.private_seg_size, 0
	.set _ZN7rocprim17ROCPRIM_400000_NS6detail17trampoline_kernelINS0_14default_configENS1_38merge_sort_block_merge_config_selectorIbiEEZZNS1_27merge_sort_block_merge_implIS3_N6thrust23THRUST_200600_302600_NS6detail15normal_iteratorINS8_10device_ptrIbEEEENSA_INSB_IiEEEEjNS1_19radix_merge_compareILb0ELb0EbNS0_19identity_decomposerEEEEE10hipError_tT0_T1_T2_jT3_P12ihipStream_tbPNSt15iterator_traitsISK_E10value_typeEPNSQ_ISL_E10value_typeEPSM_NS1_7vsmem_tEENKUlT_SK_SL_SM_E_clIPbSD_PiSF_EESJ_SZ_SK_SL_SM_EUlSZ_E_NS1_11comp_targetILNS1_3genE3ELNS1_11target_archE908ELNS1_3gpuE7ELNS1_3repE0EEENS1_48merge_mergepath_partition_config_static_selectorELNS0_4arch9wavefront6targetE1EEEvSL_.uses_vcc, 0
	.set _ZN7rocprim17ROCPRIM_400000_NS6detail17trampoline_kernelINS0_14default_configENS1_38merge_sort_block_merge_config_selectorIbiEEZZNS1_27merge_sort_block_merge_implIS3_N6thrust23THRUST_200600_302600_NS6detail15normal_iteratorINS8_10device_ptrIbEEEENSA_INSB_IiEEEEjNS1_19radix_merge_compareILb0ELb0EbNS0_19identity_decomposerEEEEE10hipError_tT0_T1_T2_jT3_P12ihipStream_tbPNSt15iterator_traitsISK_E10value_typeEPNSQ_ISL_E10value_typeEPSM_NS1_7vsmem_tEENKUlT_SK_SL_SM_E_clIPbSD_PiSF_EESJ_SZ_SK_SL_SM_EUlSZ_E_NS1_11comp_targetILNS1_3genE3ELNS1_11target_archE908ELNS1_3gpuE7ELNS1_3repE0EEENS1_48merge_mergepath_partition_config_static_selectorELNS0_4arch9wavefront6targetE1EEEvSL_.uses_flat_scratch, 0
	.set _ZN7rocprim17ROCPRIM_400000_NS6detail17trampoline_kernelINS0_14default_configENS1_38merge_sort_block_merge_config_selectorIbiEEZZNS1_27merge_sort_block_merge_implIS3_N6thrust23THRUST_200600_302600_NS6detail15normal_iteratorINS8_10device_ptrIbEEEENSA_INSB_IiEEEEjNS1_19radix_merge_compareILb0ELb0EbNS0_19identity_decomposerEEEEE10hipError_tT0_T1_T2_jT3_P12ihipStream_tbPNSt15iterator_traitsISK_E10value_typeEPNSQ_ISL_E10value_typeEPSM_NS1_7vsmem_tEENKUlT_SK_SL_SM_E_clIPbSD_PiSF_EESJ_SZ_SK_SL_SM_EUlSZ_E_NS1_11comp_targetILNS1_3genE3ELNS1_11target_archE908ELNS1_3gpuE7ELNS1_3repE0EEENS1_48merge_mergepath_partition_config_static_selectorELNS0_4arch9wavefront6targetE1EEEvSL_.has_dyn_sized_stack, 0
	.set _ZN7rocprim17ROCPRIM_400000_NS6detail17trampoline_kernelINS0_14default_configENS1_38merge_sort_block_merge_config_selectorIbiEEZZNS1_27merge_sort_block_merge_implIS3_N6thrust23THRUST_200600_302600_NS6detail15normal_iteratorINS8_10device_ptrIbEEEENSA_INSB_IiEEEEjNS1_19radix_merge_compareILb0ELb0EbNS0_19identity_decomposerEEEEE10hipError_tT0_T1_T2_jT3_P12ihipStream_tbPNSt15iterator_traitsISK_E10value_typeEPNSQ_ISL_E10value_typeEPSM_NS1_7vsmem_tEENKUlT_SK_SL_SM_E_clIPbSD_PiSF_EESJ_SZ_SK_SL_SM_EUlSZ_E_NS1_11comp_targetILNS1_3genE3ELNS1_11target_archE908ELNS1_3gpuE7ELNS1_3repE0EEENS1_48merge_mergepath_partition_config_static_selectorELNS0_4arch9wavefront6targetE1EEEvSL_.has_recursion, 0
	.set _ZN7rocprim17ROCPRIM_400000_NS6detail17trampoline_kernelINS0_14default_configENS1_38merge_sort_block_merge_config_selectorIbiEEZZNS1_27merge_sort_block_merge_implIS3_N6thrust23THRUST_200600_302600_NS6detail15normal_iteratorINS8_10device_ptrIbEEEENSA_INSB_IiEEEEjNS1_19radix_merge_compareILb0ELb0EbNS0_19identity_decomposerEEEEE10hipError_tT0_T1_T2_jT3_P12ihipStream_tbPNSt15iterator_traitsISK_E10value_typeEPNSQ_ISL_E10value_typeEPSM_NS1_7vsmem_tEENKUlT_SK_SL_SM_E_clIPbSD_PiSF_EESJ_SZ_SK_SL_SM_EUlSZ_E_NS1_11comp_targetILNS1_3genE3ELNS1_11target_archE908ELNS1_3gpuE7ELNS1_3repE0EEENS1_48merge_mergepath_partition_config_static_selectorELNS0_4arch9wavefront6targetE1EEEvSL_.has_indirect_call, 0
	.section	.AMDGPU.csdata,"",@progbits
; Kernel info:
; codeLenInByte = 0
; TotalNumSgprs: 6
; NumVgprs: 0
; NumAgprs: 0
; TotalNumVgprs: 0
; ScratchSize: 0
; MemoryBound: 0
; FloatMode: 240
; IeeeMode: 1
; LDSByteSize: 0 bytes/workgroup (compile time only)
; SGPRBlocks: 0
; VGPRBlocks: 0
; NumSGPRsForWavesPerEU: 6
; NumVGPRsForWavesPerEU: 1
; AccumOffset: 4
; Occupancy: 8
; WaveLimiterHint : 0
; COMPUTE_PGM_RSRC2:SCRATCH_EN: 0
; COMPUTE_PGM_RSRC2:USER_SGPR: 2
; COMPUTE_PGM_RSRC2:TRAP_HANDLER: 0
; COMPUTE_PGM_RSRC2:TGID_X_EN: 1
; COMPUTE_PGM_RSRC2:TGID_Y_EN: 0
; COMPUTE_PGM_RSRC2:TGID_Z_EN: 0
; COMPUTE_PGM_RSRC2:TIDIG_COMP_CNT: 0
; COMPUTE_PGM_RSRC3_GFX90A:ACCUM_OFFSET: 0
; COMPUTE_PGM_RSRC3_GFX90A:TG_SPLIT: 0
	.section	.text._ZN7rocprim17ROCPRIM_400000_NS6detail17trampoline_kernelINS0_14default_configENS1_38merge_sort_block_merge_config_selectorIbiEEZZNS1_27merge_sort_block_merge_implIS3_N6thrust23THRUST_200600_302600_NS6detail15normal_iteratorINS8_10device_ptrIbEEEENSA_INSB_IiEEEEjNS1_19radix_merge_compareILb0ELb0EbNS0_19identity_decomposerEEEEE10hipError_tT0_T1_T2_jT3_P12ihipStream_tbPNSt15iterator_traitsISK_E10value_typeEPNSQ_ISL_E10value_typeEPSM_NS1_7vsmem_tEENKUlT_SK_SL_SM_E_clIPbSD_PiSF_EESJ_SZ_SK_SL_SM_EUlSZ_E_NS1_11comp_targetILNS1_3genE2ELNS1_11target_archE906ELNS1_3gpuE6ELNS1_3repE0EEENS1_48merge_mergepath_partition_config_static_selectorELNS0_4arch9wavefront6targetE1EEEvSL_,"axG",@progbits,_ZN7rocprim17ROCPRIM_400000_NS6detail17trampoline_kernelINS0_14default_configENS1_38merge_sort_block_merge_config_selectorIbiEEZZNS1_27merge_sort_block_merge_implIS3_N6thrust23THRUST_200600_302600_NS6detail15normal_iteratorINS8_10device_ptrIbEEEENSA_INSB_IiEEEEjNS1_19radix_merge_compareILb0ELb0EbNS0_19identity_decomposerEEEEE10hipError_tT0_T1_T2_jT3_P12ihipStream_tbPNSt15iterator_traitsISK_E10value_typeEPNSQ_ISL_E10value_typeEPSM_NS1_7vsmem_tEENKUlT_SK_SL_SM_E_clIPbSD_PiSF_EESJ_SZ_SK_SL_SM_EUlSZ_E_NS1_11comp_targetILNS1_3genE2ELNS1_11target_archE906ELNS1_3gpuE6ELNS1_3repE0EEENS1_48merge_mergepath_partition_config_static_selectorELNS0_4arch9wavefront6targetE1EEEvSL_,comdat
	.protected	_ZN7rocprim17ROCPRIM_400000_NS6detail17trampoline_kernelINS0_14default_configENS1_38merge_sort_block_merge_config_selectorIbiEEZZNS1_27merge_sort_block_merge_implIS3_N6thrust23THRUST_200600_302600_NS6detail15normal_iteratorINS8_10device_ptrIbEEEENSA_INSB_IiEEEEjNS1_19radix_merge_compareILb0ELb0EbNS0_19identity_decomposerEEEEE10hipError_tT0_T1_T2_jT3_P12ihipStream_tbPNSt15iterator_traitsISK_E10value_typeEPNSQ_ISL_E10value_typeEPSM_NS1_7vsmem_tEENKUlT_SK_SL_SM_E_clIPbSD_PiSF_EESJ_SZ_SK_SL_SM_EUlSZ_E_NS1_11comp_targetILNS1_3genE2ELNS1_11target_archE906ELNS1_3gpuE6ELNS1_3repE0EEENS1_48merge_mergepath_partition_config_static_selectorELNS0_4arch9wavefront6targetE1EEEvSL_ ; -- Begin function _ZN7rocprim17ROCPRIM_400000_NS6detail17trampoline_kernelINS0_14default_configENS1_38merge_sort_block_merge_config_selectorIbiEEZZNS1_27merge_sort_block_merge_implIS3_N6thrust23THRUST_200600_302600_NS6detail15normal_iteratorINS8_10device_ptrIbEEEENSA_INSB_IiEEEEjNS1_19radix_merge_compareILb0ELb0EbNS0_19identity_decomposerEEEEE10hipError_tT0_T1_T2_jT3_P12ihipStream_tbPNSt15iterator_traitsISK_E10value_typeEPNSQ_ISL_E10value_typeEPSM_NS1_7vsmem_tEENKUlT_SK_SL_SM_E_clIPbSD_PiSF_EESJ_SZ_SK_SL_SM_EUlSZ_E_NS1_11comp_targetILNS1_3genE2ELNS1_11target_archE906ELNS1_3gpuE6ELNS1_3repE0EEENS1_48merge_mergepath_partition_config_static_selectorELNS0_4arch9wavefront6targetE1EEEvSL_
	.globl	_ZN7rocprim17ROCPRIM_400000_NS6detail17trampoline_kernelINS0_14default_configENS1_38merge_sort_block_merge_config_selectorIbiEEZZNS1_27merge_sort_block_merge_implIS3_N6thrust23THRUST_200600_302600_NS6detail15normal_iteratorINS8_10device_ptrIbEEEENSA_INSB_IiEEEEjNS1_19radix_merge_compareILb0ELb0EbNS0_19identity_decomposerEEEEE10hipError_tT0_T1_T2_jT3_P12ihipStream_tbPNSt15iterator_traitsISK_E10value_typeEPNSQ_ISL_E10value_typeEPSM_NS1_7vsmem_tEENKUlT_SK_SL_SM_E_clIPbSD_PiSF_EESJ_SZ_SK_SL_SM_EUlSZ_E_NS1_11comp_targetILNS1_3genE2ELNS1_11target_archE906ELNS1_3gpuE6ELNS1_3repE0EEENS1_48merge_mergepath_partition_config_static_selectorELNS0_4arch9wavefront6targetE1EEEvSL_
	.p2align	8
	.type	_ZN7rocprim17ROCPRIM_400000_NS6detail17trampoline_kernelINS0_14default_configENS1_38merge_sort_block_merge_config_selectorIbiEEZZNS1_27merge_sort_block_merge_implIS3_N6thrust23THRUST_200600_302600_NS6detail15normal_iteratorINS8_10device_ptrIbEEEENSA_INSB_IiEEEEjNS1_19radix_merge_compareILb0ELb0EbNS0_19identity_decomposerEEEEE10hipError_tT0_T1_T2_jT3_P12ihipStream_tbPNSt15iterator_traitsISK_E10value_typeEPNSQ_ISL_E10value_typeEPSM_NS1_7vsmem_tEENKUlT_SK_SL_SM_E_clIPbSD_PiSF_EESJ_SZ_SK_SL_SM_EUlSZ_E_NS1_11comp_targetILNS1_3genE2ELNS1_11target_archE906ELNS1_3gpuE6ELNS1_3repE0EEENS1_48merge_mergepath_partition_config_static_selectorELNS0_4arch9wavefront6targetE1EEEvSL_,@function
_ZN7rocprim17ROCPRIM_400000_NS6detail17trampoline_kernelINS0_14default_configENS1_38merge_sort_block_merge_config_selectorIbiEEZZNS1_27merge_sort_block_merge_implIS3_N6thrust23THRUST_200600_302600_NS6detail15normal_iteratorINS8_10device_ptrIbEEEENSA_INSB_IiEEEEjNS1_19radix_merge_compareILb0ELb0EbNS0_19identity_decomposerEEEEE10hipError_tT0_T1_T2_jT3_P12ihipStream_tbPNSt15iterator_traitsISK_E10value_typeEPNSQ_ISL_E10value_typeEPSM_NS1_7vsmem_tEENKUlT_SK_SL_SM_E_clIPbSD_PiSF_EESJ_SZ_SK_SL_SM_EUlSZ_E_NS1_11comp_targetILNS1_3genE2ELNS1_11target_archE906ELNS1_3gpuE6ELNS1_3repE0EEENS1_48merge_mergepath_partition_config_static_selectorELNS0_4arch9wavefront6targetE1EEEvSL_: ; @_ZN7rocprim17ROCPRIM_400000_NS6detail17trampoline_kernelINS0_14default_configENS1_38merge_sort_block_merge_config_selectorIbiEEZZNS1_27merge_sort_block_merge_implIS3_N6thrust23THRUST_200600_302600_NS6detail15normal_iteratorINS8_10device_ptrIbEEEENSA_INSB_IiEEEEjNS1_19radix_merge_compareILb0ELb0EbNS0_19identity_decomposerEEEEE10hipError_tT0_T1_T2_jT3_P12ihipStream_tbPNSt15iterator_traitsISK_E10value_typeEPNSQ_ISL_E10value_typeEPSM_NS1_7vsmem_tEENKUlT_SK_SL_SM_E_clIPbSD_PiSF_EESJ_SZ_SK_SL_SM_EUlSZ_E_NS1_11comp_targetILNS1_3genE2ELNS1_11target_archE906ELNS1_3gpuE6ELNS1_3repE0EEENS1_48merge_mergepath_partition_config_static_selectorELNS0_4arch9wavefront6targetE1EEEvSL_
; %bb.0:
	.section	.rodata,"a",@progbits
	.p2align	6, 0x0
	.amdhsa_kernel _ZN7rocprim17ROCPRIM_400000_NS6detail17trampoline_kernelINS0_14default_configENS1_38merge_sort_block_merge_config_selectorIbiEEZZNS1_27merge_sort_block_merge_implIS3_N6thrust23THRUST_200600_302600_NS6detail15normal_iteratorINS8_10device_ptrIbEEEENSA_INSB_IiEEEEjNS1_19radix_merge_compareILb0ELb0EbNS0_19identity_decomposerEEEEE10hipError_tT0_T1_T2_jT3_P12ihipStream_tbPNSt15iterator_traitsISK_E10value_typeEPNSQ_ISL_E10value_typeEPSM_NS1_7vsmem_tEENKUlT_SK_SL_SM_E_clIPbSD_PiSF_EESJ_SZ_SK_SL_SM_EUlSZ_E_NS1_11comp_targetILNS1_3genE2ELNS1_11target_archE906ELNS1_3gpuE6ELNS1_3repE0EEENS1_48merge_mergepath_partition_config_static_selectorELNS0_4arch9wavefront6targetE1EEEvSL_
		.amdhsa_group_segment_fixed_size 0
		.amdhsa_private_segment_fixed_size 0
		.amdhsa_kernarg_size 40
		.amdhsa_user_sgpr_count 2
		.amdhsa_user_sgpr_dispatch_ptr 0
		.amdhsa_user_sgpr_queue_ptr 0
		.amdhsa_user_sgpr_kernarg_segment_ptr 1
		.amdhsa_user_sgpr_dispatch_id 0
		.amdhsa_user_sgpr_kernarg_preload_length 0
		.amdhsa_user_sgpr_kernarg_preload_offset 0
		.amdhsa_user_sgpr_private_segment_size 0
		.amdhsa_uses_dynamic_stack 0
		.amdhsa_enable_private_segment 0
		.amdhsa_system_sgpr_workgroup_id_x 1
		.amdhsa_system_sgpr_workgroup_id_y 0
		.amdhsa_system_sgpr_workgroup_id_z 0
		.amdhsa_system_sgpr_workgroup_info 0
		.amdhsa_system_vgpr_workitem_id 0
		.amdhsa_next_free_vgpr 1
		.amdhsa_next_free_sgpr 0
		.amdhsa_accum_offset 4
		.amdhsa_reserve_vcc 0
		.amdhsa_float_round_mode_32 0
		.amdhsa_float_round_mode_16_64 0
		.amdhsa_float_denorm_mode_32 3
		.amdhsa_float_denorm_mode_16_64 3
		.amdhsa_dx10_clamp 1
		.amdhsa_ieee_mode 1
		.amdhsa_fp16_overflow 0
		.amdhsa_tg_split 0
		.amdhsa_exception_fp_ieee_invalid_op 0
		.amdhsa_exception_fp_denorm_src 0
		.amdhsa_exception_fp_ieee_div_zero 0
		.amdhsa_exception_fp_ieee_overflow 0
		.amdhsa_exception_fp_ieee_underflow 0
		.amdhsa_exception_fp_ieee_inexact 0
		.amdhsa_exception_int_div_zero 0
	.end_amdhsa_kernel
	.section	.text._ZN7rocprim17ROCPRIM_400000_NS6detail17trampoline_kernelINS0_14default_configENS1_38merge_sort_block_merge_config_selectorIbiEEZZNS1_27merge_sort_block_merge_implIS3_N6thrust23THRUST_200600_302600_NS6detail15normal_iteratorINS8_10device_ptrIbEEEENSA_INSB_IiEEEEjNS1_19radix_merge_compareILb0ELb0EbNS0_19identity_decomposerEEEEE10hipError_tT0_T1_T2_jT3_P12ihipStream_tbPNSt15iterator_traitsISK_E10value_typeEPNSQ_ISL_E10value_typeEPSM_NS1_7vsmem_tEENKUlT_SK_SL_SM_E_clIPbSD_PiSF_EESJ_SZ_SK_SL_SM_EUlSZ_E_NS1_11comp_targetILNS1_3genE2ELNS1_11target_archE906ELNS1_3gpuE6ELNS1_3repE0EEENS1_48merge_mergepath_partition_config_static_selectorELNS0_4arch9wavefront6targetE1EEEvSL_,"axG",@progbits,_ZN7rocprim17ROCPRIM_400000_NS6detail17trampoline_kernelINS0_14default_configENS1_38merge_sort_block_merge_config_selectorIbiEEZZNS1_27merge_sort_block_merge_implIS3_N6thrust23THRUST_200600_302600_NS6detail15normal_iteratorINS8_10device_ptrIbEEEENSA_INSB_IiEEEEjNS1_19radix_merge_compareILb0ELb0EbNS0_19identity_decomposerEEEEE10hipError_tT0_T1_T2_jT3_P12ihipStream_tbPNSt15iterator_traitsISK_E10value_typeEPNSQ_ISL_E10value_typeEPSM_NS1_7vsmem_tEENKUlT_SK_SL_SM_E_clIPbSD_PiSF_EESJ_SZ_SK_SL_SM_EUlSZ_E_NS1_11comp_targetILNS1_3genE2ELNS1_11target_archE906ELNS1_3gpuE6ELNS1_3repE0EEENS1_48merge_mergepath_partition_config_static_selectorELNS0_4arch9wavefront6targetE1EEEvSL_,comdat
.Lfunc_end1914:
	.size	_ZN7rocprim17ROCPRIM_400000_NS6detail17trampoline_kernelINS0_14default_configENS1_38merge_sort_block_merge_config_selectorIbiEEZZNS1_27merge_sort_block_merge_implIS3_N6thrust23THRUST_200600_302600_NS6detail15normal_iteratorINS8_10device_ptrIbEEEENSA_INSB_IiEEEEjNS1_19radix_merge_compareILb0ELb0EbNS0_19identity_decomposerEEEEE10hipError_tT0_T1_T2_jT3_P12ihipStream_tbPNSt15iterator_traitsISK_E10value_typeEPNSQ_ISL_E10value_typeEPSM_NS1_7vsmem_tEENKUlT_SK_SL_SM_E_clIPbSD_PiSF_EESJ_SZ_SK_SL_SM_EUlSZ_E_NS1_11comp_targetILNS1_3genE2ELNS1_11target_archE906ELNS1_3gpuE6ELNS1_3repE0EEENS1_48merge_mergepath_partition_config_static_selectorELNS0_4arch9wavefront6targetE1EEEvSL_, .Lfunc_end1914-_ZN7rocprim17ROCPRIM_400000_NS6detail17trampoline_kernelINS0_14default_configENS1_38merge_sort_block_merge_config_selectorIbiEEZZNS1_27merge_sort_block_merge_implIS3_N6thrust23THRUST_200600_302600_NS6detail15normal_iteratorINS8_10device_ptrIbEEEENSA_INSB_IiEEEEjNS1_19radix_merge_compareILb0ELb0EbNS0_19identity_decomposerEEEEE10hipError_tT0_T1_T2_jT3_P12ihipStream_tbPNSt15iterator_traitsISK_E10value_typeEPNSQ_ISL_E10value_typeEPSM_NS1_7vsmem_tEENKUlT_SK_SL_SM_E_clIPbSD_PiSF_EESJ_SZ_SK_SL_SM_EUlSZ_E_NS1_11comp_targetILNS1_3genE2ELNS1_11target_archE906ELNS1_3gpuE6ELNS1_3repE0EEENS1_48merge_mergepath_partition_config_static_selectorELNS0_4arch9wavefront6targetE1EEEvSL_
                                        ; -- End function
	.set _ZN7rocprim17ROCPRIM_400000_NS6detail17trampoline_kernelINS0_14default_configENS1_38merge_sort_block_merge_config_selectorIbiEEZZNS1_27merge_sort_block_merge_implIS3_N6thrust23THRUST_200600_302600_NS6detail15normal_iteratorINS8_10device_ptrIbEEEENSA_INSB_IiEEEEjNS1_19radix_merge_compareILb0ELb0EbNS0_19identity_decomposerEEEEE10hipError_tT0_T1_T2_jT3_P12ihipStream_tbPNSt15iterator_traitsISK_E10value_typeEPNSQ_ISL_E10value_typeEPSM_NS1_7vsmem_tEENKUlT_SK_SL_SM_E_clIPbSD_PiSF_EESJ_SZ_SK_SL_SM_EUlSZ_E_NS1_11comp_targetILNS1_3genE2ELNS1_11target_archE906ELNS1_3gpuE6ELNS1_3repE0EEENS1_48merge_mergepath_partition_config_static_selectorELNS0_4arch9wavefront6targetE1EEEvSL_.num_vgpr, 0
	.set _ZN7rocprim17ROCPRIM_400000_NS6detail17trampoline_kernelINS0_14default_configENS1_38merge_sort_block_merge_config_selectorIbiEEZZNS1_27merge_sort_block_merge_implIS3_N6thrust23THRUST_200600_302600_NS6detail15normal_iteratorINS8_10device_ptrIbEEEENSA_INSB_IiEEEEjNS1_19radix_merge_compareILb0ELb0EbNS0_19identity_decomposerEEEEE10hipError_tT0_T1_T2_jT3_P12ihipStream_tbPNSt15iterator_traitsISK_E10value_typeEPNSQ_ISL_E10value_typeEPSM_NS1_7vsmem_tEENKUlT_SK_SL_SM_E_clIPbSD_PiSF_EESJ_SZ_SK_SL_SM_EUlSZ_E_NS1_11comp_targetILNS1_3genE2ELNS1_11target_archE906ELNS1_3gpuE6ELNS1_3repE0EEENS1_48merge_mergepath_partition_config_static_selectorELNS0_4arch9wavefront6targetE1EEEvSL_.num_agpr, 0
	.set _ZN7rocprim17ROCPRIM_400000_NS6detail17trampoline_kernelINS0_14default_configENS1_38merge_sort_block_merge_config_selectorIbiEEZZNS1_27merge_sort_block_merge_implIS3_N6thrust23THRUST_200600_302600_NS6detail15normal_iteratorINS8_10device_ptrIbEEEENSA_INSB_IiEEEEjNS1_19radix_merge_compareILb0ELb0EbNS0_19identity_decomposerEEEEE10hipError_tT0_T1_T2_jT3_P12ihipStream_tbPNSt15iterator_traitsISK_E10value_typeEPNSQ_ISL_E10value_typeEPSM_NS1_7vsmem_tEENKUlT_SK_SL_SM_E_clIPbSD_PiSF_EESJ_SZ_SK_SL_SM_EUlSZ_E_NS1_11comp_targetILNS1_3genE2ELNS1_11target_archE906ELNS1_3gpuE6ELNS1_3repE0EEENS1_48merge_mergepath_partition_config_static_selectorELNS0_4arch9wavefront6targetE1EEEvSL_.numbered_sgpr, 0
	.set _ZN7rocprim17ROCPRIM_400000_NS6detail17trampoline_kernelINS0_14default_configENS1_38merge_sort_block_merge_config_selectorIbiEEZZNS1_27merge_sort_block_merge_implIS3_N6thrust23THRUST_200600_302600_NS6detail15normal_iteratorINS8_10device_ptrIbEEEENSA_INSB_IiEEEEjNS1_19radix_merge_compareILb0ELb0EbNS0_19identity_decomposerEEEEE10hipError_tT0_T1_T2_jT3_P12ihipStream_tbPNSt15iterator_traitsISK_E10value_typeEPNSQ_ISL_E10value_typeEPSM_NS1_7vsmem_tEENKUlT_SK_SL_SM_E_clIPbSD_PiSF_EESJ_SZ_SK_SL_SM_EUlSZ_E_NS1_11comp_targetILNS1_3genE2ELNS1_11target_archE906ELNS1_3gpuE6ELNS1_3repE0EEENS1_48merge_mergepath_partition_config_static_selectorELNS0_4arch9wavefront6targetE1EEEvSL_.num_named_barrier, 0
	.set _ZN7rocprim17ROCPRIM_400000_NS6detail17trampoline_kernelINS0_14default_configENS1_38merge_sort_block_merge_config_selectorIbiEEZZNS1_27merge_sort_block_merge_implIS3_N6thrust23THRUST_200600_302600_NS6detail15normal_iteratorINS8_10device_ptrIbEEEENSA_INSB_IiEEEEjNS1_19radix_merge_compareILb0ELb0EbNS0_19identity_decomposerEEEEE10hipError_tT0_T1_T2_jT3_P12ihipStream_tbPNSt15iterator_traitsISK_E10value_typeEPNSQ_ISL_E10value_typeEPSM_NS1_7vsmem_tEENKUlT_SK_SL_SM_E_clIPbSD_PiSF_EESJ_SZ_SK_SL_SM_EUlSZ_E_NS1_11comp_targetILNS1_3genE2ELNS1_11target_archE906ELNS1_3gpuE6ELNS1_3repE0EEENS1_48merge_mergepath_partition_config_static_selectorELNS0_4arch9wavefront6targetE1EEEvSL_.private_seg_size, 0
	.set _ZN7rocprim17ROCPRIM_400000_NS6detail17trampoline_kernelINS0_14default_configENS1_38merge_sort_block_merge_config_selectorIbiEEZZNS1_27merge_sort_block_merge_implIS3_N6thrust23THRUST_200600_302600_NS6detail15normal_iteratorINS8_10device_ptrIbEEEENSA_INSB_IiEEEEjNS1_19radix_merge_compareILb0ELb0EbNS0_19identity_decomposerEEEEE10hipError_tT0_T1_T2_jT3_P12ihipStream_tbPNSt15iterator_traitsISK_E10value_typeEPNSQ_ISL_E10value_typeEPSM_NS1_7vsmem_tEENKUlT_SK_SL_SM_E_clIPbSD_PiSF_EESJ_SZ_SK_SL_SM_EUlSZ_E_NS1_11comp_targetILNS1_3genE2ELNS1_11target_archE906ELNS1_3gpuE6ELNS1_3repE0EEENS1_48merge_mergepath_partition_config_static_selectorELNS0_4arch9wavefront6targetE1EEEvSL_.uses_vcc, 0
	.set _ZN7rocprim17ROCPRIM_400000_NS6detail17trampoline_kernelINS0_14default_configENS1_38merge_sort_block_merge_config_selectorIbiEEZZNS1_27merge_sort_block_merge_implIS3_N6thrust23THRUST_200600_302600_NS6detail15normal_iteratorINS8_10device_ptrIbEEEENSA_INSB_IiEEEEjNS1_19radix_merge_compareILb0ELb0EbNS0_19identity_decomposerEEEEE10hipError_tT0_T1_T2_jT3_P12ihipStream_tbPNSt15iterator_traitsISK_E10value_typeEPNSQ_ISL_E10value_typeEPSM_NS1_7vsmem_tEENKUlT_SK_SL_SM_E_clIPbSD_PiSF_EESJ_SZ_SK_SL_SM_EUlSZ_E_NS1_11comp_targetILNS1_3genE2ELNS1_11target_archE906ELNS1_3gpuE6ELNS1_3repE0EEENS1_48merge_mergepath_partition_config_static_selectorELNS0_4arch9wavefront6targetE1EEEvSL_.uses_flat_scratch, 0
	.set _ZN7rocprim17ROCPRIM_400000_NS6detail17trampoline_kernelINS0_14default_configENS1_38merge_sort_block_merge_config_selectorIbiEEZZNS1_27merge_sort_block_merge_implIS3_N6thrust23THRUST_200600_302600_NS6detail15normal_iteratorINS8_10device_ptrIbEEEENSA_INSB_IiEEEEjNS1_19radix_merge_compareILb0ELb0EbNS0_19identity_decomposerEEEEE10hipError_tT0_T1_T2_jT3_P12ihipStream_tbPNSt15iterator_traitsISK_E10value_typeEPNSQ_ISL_E10value_typeEPSM_NS1_7vsmem_tEENKUlT_SK_SL_SM_E_clIPbSD_PiSF_EESJ_SZ_SK_SL_SM_EUlSZ_E_NS1_11comp_targetILNS1_3genE2ELNS1_11target_archE906ELNS1_3gpuE6ELNS1_3repE0EEENS1_48merge_mergepath_partition_config_static_selectorELNS0_4arch9wavefront6targetE1EEEvSL_.has_dyn_sized_stack, 0
	.set _ZN7rocprim17ROCPRIM_400000_NS6detail17trampoline_kernelINS0_14default_configENS1_38merge_sort_block_merge_config_selectorIbiEEZZNS1_27merge_sort_block_merge_implIS3_N6thrust23THRUST_200600_302600_NS6detail15normal_iteratorINS8_10device_ptrIbEEEENSA_INSB_IiEEEEjNS1_19radix_merge_compareILb0ELb0EbNS0_19identity_decomposerEEEEE10hipError_tT0_T1_T2_jT3_P12ihipStream_tbPNSt15iterator_traitsISK_E10value_typeEPNSQ_ISL_E10value_typeEPSM_NS1_7vsmem_tEENKUlT_SK_SL_SM_E_clIPbSD_PiSF_EESJ_SZ_SK_SL_SM_EUlSZ_E_NS1_11comp_targetILNS1_3genE2ELNS1_11target_archE906ELNS1_3gpuE6ELNS1_3repE0EEENS1_48merge_mergepath_partition_config_static_selectorELNS0_4arch9wavefront6targetE1EEEvSL_.has_recursion, 0
	.set _ZN7rocprim17ROCPRIM_400000_NS6detail17trampoline_kernelINS0_14default_configENS1_38merge_sort_block_merge_config_selectorIbiEEZZNS1_27merge_sort_block_merge_implIS3_N6thrust23THRUST_200600_302600_NS6detail15normal_iteratorINS8_10device_ptrIbEEEENSA_INSB_IiEEEEjNS1_19radix_merge_compareILb0ELb0EbNS0_19identity_decomposerEEEEE10hipError_tT0_T1_T2_jT3_P12ihipStream_tbPNSt15iterator_traitsISK_E10value_typeEPNSQ_ISL_E10value_typeEPSM_NS1_7vsmem_tEENKUlT_SK_SL_SM_E_clIPbSD_PiSF_EESJ_SZ_SK_SL_SM_EUlSZ_E_NS1_11comp_targetILNS1_3genE2ELNS1_11target_archE906ELNS1_3gpuE6ELNS1_3repE0EEENS1_48merge_mergepath_partition_config_static_selectorELNS0_4arch9wavefront6targetE1EEEvSL_.has_indirect_call, 0
	.section	.AMDGPU.csdata,"",@progbits
; Kernel info:
; codeLenInByte = 0
; TotalNumSgprs: 6
; NumVgprs: 0
; NumAgprs: 0
; TotalNumVgprs: 0
; ScratchSize: 0
; MemoryBound: 0
; FloatMode: 240
; IeeeMode: 1
; LDSByteSize: 0 bytes/workgroup (compile time only)
; SGPRBlocks: 0
; VGPRBlocks: 0
; NumSGPRsForWavesPerEU: 6
; NumVGPRsForWavesPerEU: 1
; AccumOffset: 4
; Occupancy: 8
; WaveLimiterHint : 0
; COMPUTE_PGM_RSRC2:SCRATCH_EN: 0
; COMPUTE_PGM_RSRC2:USER_SGPR: 2
; COMPUTE_PGM_RSRC2:TRAP_HANDLER: 0
; COMPUTE_PGM_RSRC2:TGID_X_EN: 1
; COMPUTE_PGM_RSRC2:TGID_Y_EN: 0
; COMPUTE_PGM_RSRC2:TGID_Z_EN: 0
; COMPUTE_PGM_RSRC2:TIDIG_COMP_CNT: 0
; COMPUTE_PGM_RSRC3_GFX90A:ACCUM_OFFSET: 0
; COMPUTE_PGM_RSRC3_GFX90A:TG_SPLIT: 0
	.section	.text._ZN7rocprim17ROCPRIM_400000_NS6detail17trampoline_kernelINS0_14default_configENS1_38merge_sort_block_merge_config_selectorIbiEEZZNS1_27merge_sort_block_merge_implIS3_N6thrust23THRUST_200600_302600_NS6detail15normal_iteratorINS8_10device_ptrIbEEEENSA_INSB_IiEEEEjNS1_19radix_merge_compareILb0ELb0EbNS0_19identity_decomposerEEEEE10hipError_tT0_T1_T2_jT3_P12ihipStream_tbPNSt15iterator_traitsISK_E10value_typeEPNSQ_ISL_E10value_typeEPSM_NS1_7vsmem_tEENKUlT_SK_SL_SM_E_clIPbSD_PiSF_EESJ_SZ_SK_SL_SM_EUlSZ_E_NS1_11comp_targetILNS1_3genE9ELNS1_11target_archE1100ELNS1_3gpuE3ELNS1_3repE0EEENS1_48merge_mergepath_partition_config_static_selectorELNS0_4arch9wavefront6targetE1EEEvSL_,"axG",@progbits,_ZN7rocprim17ROCPRIM_400000_NS6detail17trampoline_kernelINS0_14default_configENS1_38merge_sort_block_merge_config_selectorIbiEEZZNS1_27merge_sort_block_merge_implIS3_N6thrust23THRUST_200600_302600_NS6detail15normal_iteratorINS8_10device_ptrIbEEEENSA_INSB_IiEEEEjNS1_19radix_merge_compareILb0ELb0EbNS0_19identity_decomposerEEEEE10hipError_tT0_T1_T2_jT3_P12ihipStream_tbPNSt15iterator_traitsISK_E10value_typeEPNSQ_ISL_E10value_typeEPSM_NS1_7vsmem_tEENKUlT_SK_SL_SM_E_clIPbSD_PiSF_EESJ_SZ_SK_SL_SM_EUlSZ_E_NS1_11comp_targetILNS1_3genE9ELNS1_11target_archE1100ELNS1_3gpuE3ELNS1_3repE0EEENS1_48merge_mergepath_partition_config_static_selectorELNS0_4arch9wavefront6targetE1EEEvSL_,comdat
	.protected	_ZN7rocprim17ROCPRIM_400000_NS6detail17trampoline_kernelINS0_14default_configENS1_38merge_sort_block_merge_config_selectorIbiEEZZNS1_27merge_sort_block_merge_implIS3_N6thrust23THRUST_200600_302600_NS6detail15normal_iteratorINS8_10device_ptrIbEEEENSA_INSB_IiEEEEjNS1_19radix_merge_compareILb0ELb0EbNS0_19identity_decomposerEEEEE10hipError_tT0_T1_T2_jT3_P12ihipStream_tbPNSt15iterator_traitsISK_E10value_typeEPNSQ_ISL_E10value_typeEPSM_NS1_7vsmem_tEENKUlT_SK_SL_SM_E_clIPbSD_PiSF_EESJ_SZ_SK_SL_SM_EUlSZ_E_NS1_11comp_targetILNS1_3genE9ELNS1_11target_archE1100ELNS1_3gpuE3ELNS1_3repE0EEENS1_48merge_mergepath_partition_config_static_selectorELNS0_4arch9wavefront6targetE1EEEvSL_ ; -- Begin function _ZN7rocprim17ROCPRIM_400000_NS6detail17trampoline_kernelINS0_14default_configENS1_38merge_sort_block_merge_config_selectorIbiEEZZNS1_27merge_sort_block_merge_implIS3_N6thrust23THRUST_200600_302600_NS6detail15normal_iteratorINS8_10device_ptrIbEEEENSA_INSB_IiEEEEjNS1_19radix_merge_compareILb0ELb0EbNS0_19identity_decomposerEEEEE10hipError_tT0_T1_T2_jT3_P12ihipStream_tbPNSt15iterator_traitsISK_E10value_typeEPNSQ_ISL_E10value_typeEPSM_NS1_7vsmem_tEENKUlT_SK_SL_SM_E_clIPbSD_PiSF_EESJ_SZ_SK_SL_SM_EUlSZ_E_NS1_11comp_targetILNS1_3genE9ELNS1_11target_archE1100ELNS1_3gpuE3ELNS1_3repE0EEENS1_48merge_mergepath_partition_config_static_selectorELNS0_4arch9wavefront6targetE1EEEvSL_
	.globl	_ZN7rocprim17ROCPRIM_400000_NS6detail17trampoline_kernelINS0_14default_configENS1_38merge_sort_block_merge_config_selectorIbiEEZZNS1_27merge_sort_block_merge_implIS3_N6thrust23THRUST_200600_302600_NS6detail15normal_iteratorINS8_10device_ptrIbEEEENSA_INSB_IiEEEEjNS1_19radix_merge_compareILb0ELb0EbNS0_19identity_decomposerEEEEE10hipError_tT0_T1_T2_jT3_P12ihipStream_tbPNSt15iterator_traitsISK_E10value_typeEPNSQ_ISL_E10value_typeEPSM_NS1_7vsmem_tEENKUlT_SK_SL_SM_E_clIPbSD_PiSF_EESJ_SZ_SK_SL_SM_EUlSZ_E_NS1_11comp_targetILNS1_3genE9ELNS1_11target_archE1100ELNS1_3gpuE3ELNS1_3repE0EEENS1_48merge_mergepath_partition_config_static_selectorELNS0_4arch9wavefront6targetE1EEEvSL_
	.p2align	8
	.type	_ZN7rocprim17ROCPRIM_400000_NS6detail17trampoline_kernelINS0_14default_configENS1_38merge_sort_block_merge_config_selectorIbiEEZZNS1_27merge_sort_block_merge_implIS3_N6thrust23THRUST_200600_302600_NS6detail15normal_iteratorINS8_10device_ptrIbEEEENSA_INSB_IiEEEEjNS1_19radix_merge_compareILb0ELb0EbNS0_19identity_decomposerEEEEE10hipError_tT0_T1_T2_jT3_P12ihipStream_tbPNSt15iterator_traitsISK_E10value_typeEPNSQ_ISL_E10value_typeEPSM_NS1_7vsmem_tEENKUlT_SK_SL_SM_E_clIPbSD_PiSF_EESJ_SZ_SK_SL_SM_EUlSZ_E_NS1_11comp_targetILNS1_3genE9ELNS1_11target_archE1100ELNS1_3gpuE3ELNS1_3repE0EEENS1_48merge_mergepath_partition_config_static_selectorELNS0_4arch9wavefront6targetE1EEEvSL_,@function
_ZN7rocprim17ROCPRIM_400000_NS6detail17trampoline_kernelINS0_14default_configENS1_38merge_sort_block_merge_config_selectorIbiEEZZNS1_27merge_sort_block_merge_implIS3_N6thrust23THRUST_200600_302600_NS6detail15normal_iteratorINS8_10device_ptrIbEEEENSA_INSB_IiEEEEjNS1_19radix_merge_compareILb0ELb0EbNS0_19identity_decomposerEEEEE10hipError_tT0_T1_T2_jT3_P12ihipStream_tbPNSt15iterator_traitsISK_E10value_typeEPNSQ_ISL_E10value_typeEPSM_NS1_7vsmem_tEENKUlT_SK_SL_SM_E_clIPbSD_PiSF_EESJ_SZ_SK_SL_SM_EUlSZ_E_NS1_11comp_targetILNS1_3genE9ELNS1_11target_archE1100ELNS1_3gpuE3ELNS1_3repE0EEENS1_48merge_mergepath_partition_config_static_selectorELNS0_4arch9wavefront6targetE1EEEvSL_: ; @_ZN7rocprim17ROCPRIM_400000_NS6detail17trampoline_kernelINS0_14default_configENS1_38merge_sort_block_merge_config_selectorIbiEEZZNS1_27merge_sort_block_merge_implIS3_N6thrust23THRUST_200600_302600_NS6detail15normal_iteratorINS8_10device_ptrIbEEEENSA_INSB_IiEEEEjNS1_19radix_merge_compareILb0ELb0EbNS0_19identity_decomposerEEEEE10hipError_tT0_T1_T2_jT3_P12ihipStream_tbPNSt15iterator_traitsISK_E10value_typeEPNSQ_ISL_E10value_typeEPSM_NS1_7vsmem_tEENKUlT_SK_SL_SM_E_clIPbSD_PiSF_EESJ_SZ_SK_SL_SM_EUlSZ_E_NS1_11comp_targetILNS1_3genE9ELNS1_11target_archE1100ELNS1_3gpuE3ELNS1_3repE0EEENS1_48merge_mergepath_partition_config_static_selectorELNS0_4arch9wavefront6targetE1EEEvSL_
; %bb.0:
	.section	.rodata,"a",@progbits
	.p2align	6, 0x0
	.amdhsa_kernel _ZN7rocprim17ROCPRIM_400000_NS6detail17trampoline_kernelINS0_14default_configENS1_38merge_sort_block_merge_config_selectorIbiEEZZNS1_27merge_sort_block_merge_implIS3_N6thrust23THRUST_200600_302600_NS6detail15normal_iteratorINS8_10device_ptrIbEEEENSA_INSB_IiEEEEjNS1_19radix_merge_compareILb0ELb0EbNS0_19identity_decomposerEEEEE10hipError_tT0_T1_T2_jT3_P12ihipStream_tbPNSt15iterator_traitsISK_E10value_typeEPNSQ_ISL_E10value_typeEPSM_NS1_7vsmem_tEENKUlT_SK_SL_SM_E_clIPbSD_PiSF_EESJ_SZ_SK_SL_SM_EUlSZ_E_NS1_11comp_targetILNS1_3genE9ELNS1_11target_archE1100ELNS1_3gpuE3ELNS1_3repE0EEENS1_48merge_mergepath_partition_config_static_selectorELNS0_4arch9wavefront6targetE1EEEvSL_
		.amdhsa_group_segment_fixed_size 0
		.amdhsa_private_segment_fixed_size 0
		.amdhsa_kernarg_size 40
		.amdhsa_user_sgpr_count 2
		.amdhsa_user_sgpr_dispatch_ptr 0
		.amdhsa_user_sgpr_queue_ptr 0
		.amdhsa_user_sgpr_kernarg_segment_ptr 1
		.amdhsa_user_sgpr_dispatch_id 0
		.amdhsa_user_sgpr_kernarg_preload_length 0
		.amdhsa_user_sgpr_kernarg_preload_offset 0
		.amdhsa_user_sgpr_private_segment_size 0
		.amdhsa_uses_dynamic_stack 0
		.amdhsa_enable_private_segment 0
		.amdhsa_system_sgpr_workgroup_id_x 1
		.amdhsa_system_sgpr_workgroup_id_y 0
		.amdhsa_system_sgpr_workgroup_id_z 0
		.amdhsa_system_sgpr_workgroup_info 0
		.amdhsa_system_vgpr_workitem_id 0
		.amdhsa_next_free_vgpr 1
		.amdhsa_next_free_sgpr 0
		.amdhsa_accum_offset 4
		.amdhsa_reserve_vcc 0
		.amdhsa_float_round_mode_32 0
		.amdhsa_float_round_mode_16_64 0
		.amdhsa_float_denorm_mode_32 3
		.amdhsa_float_denorm_mode_16_64 3
		.amdhsa_dx10_clamp 1
		.amdhsa_ieee_mode 1
		.amdhsa_fp16_overflow 0
		.amdhsa_tg_split 0
		.amdhsa_exception_fp_ieee_invalid_op 0
		.amdhsa_exception_fp_denorm_src 0
		.amdhsa_exception_fp_ieee_div_zero 0
		.amdhsa_exception_fp_ieee_overflow 0
		.amdhsa_exception_fp_ieee_underflow 0
		.amdhsa_exception_fp_ieee_inexact 0
		.amdhsa_exception_int_div_zero 0
	.end_amdhsa_kernel
	.section	.text._ZN7rocprim17ROCPRIM_400000_NS6detail17trampoline_kernelINS0_14default_configENS1_38merge_sort_block_merge_config_selectorIbiEEZZNS1_27merge_sort_block_merge_implIS3_N6thrust23THRUST_200600_302600_NS6detail15normal_iteratorINS8_10device_ptrIbEEEENSA_INSB_IiEEEEjNS1_19radix_merge_compareILb0ELb0EbNS0_19identity_decomposerEEEEE10hipError_tT0_T1_T2_jT3_P12ihipStream_tbPNSt15iterator_traitsISK_E10value_typeEPNSQ_ISL_E10value_typeEPSM_NS1_7vsmem_tEENKUlT_SK_SL_SM_E_clIPbSD_PiSF_EESJ_SZ_SK_SL_SM_EUlSZ_E_NS1_11comp_targetILNS1_3genE9ELNS1_11target_archE1100ELNS1_3gpuE3ELNS1_3repE0EEENS1_48merge_mergepath_partition_config_static_selectorELNS0_4arch9wavefront6targetE1EEEvSL_,"axG",@progbits,_ZN7rocprim17ROCPRIM_400000_NS6detail17trampoline_kernelINS0_14default_configENS1_38merge_sort_block_merge_config_selectorIbiEEZZNS1_27merge_sort_block_merge_implIS3_N6thrust23THRUST_200600_302600_NS6detail15normal_iteratorINS8_10device_ptrIbEEEENSA_INSB_IiEEEEjNS1_19radix_merge_compareILb0ELb0EbNS0_19identity_decomposerEEEEE10hipError_tT0_T1_T2_jT3_P12ihipStream_tbPNSt15iterator_traitsISK_E10value_typeEPNSQ_ISL_E10value_typeEPSM_NS1_7vsmem_tEENKUlT_SK_SL_SM_E_clIPbSD_PiSF_EESJ_SZ_SK_SL_SM_EUlSZ_E_NS1_11comp_targetILNS1_3genE9ELNS1_11target_archE1100ELNS1_3gpuE3ELNS1_3repE0EEENS1_48merge_mergepath_partition_config_static_selectorELNS0_4arch9wavefront6targetE1EEEvSL_,comdat
.Lfunc_end1915:
	.size	_ZN7rocprim17ROCPRIM_400000_NS6detail17trampoline_kernelINS0_14default_configENS1_38merge_sort_block_merge_config_selectorIbiEEZZNS1_27merge_sort_block_merge_implIS3_N6thrust23THRUST_200600_302600_NS6detail15normal_iteratorINS8_10device_ptrIbEEEENSA_INSB_IiEEEEjNS1_19radix_merge_compareILb0ELb0EbNS0_19identity_decomposerEEEEE10hipError_tT0_T1_T2_jT3_P12ihipStream_tbPNSt15iterator_traitsISK_E10value_typeEPNSQ_ISL_E10value_typeEPSM_NS1_7vsmem_tEENKUlT_SK_SL_SM_E_clIPbSD_PiSF_EESJ_SZ_SK_SL_SM_EUlSZ_E_NS1_11comp_targetILNS1_3genE9ELNS1_11target_archE1100ELNS1_3gpuE3ELNS1_3repE0EEENS1_48merge_mergepath_partition_config_static_selectorELNS0_4arch9wavefront6targetE1EEEvSL_, .Lfunc_end1915-_ZN7rocprim17ROCPRIM_400000_NS6detail17trampoline_kernelINS0_14default_configENS1_38merge_sort_block_merge_config_selectorIbiEEZZNS1_27merge_sort_block_merge_implIS3_N6thrust23THRUST_200600_302600_NS6detail15normal_iteratorINS8_10device_ptrIbEEEENSA_INSB_IiEEEEjNS1_19radix_merge_compareILb0ELb0EbNS0_19identity_decomposerEEEEE10hipError_tT0_T1_T2_jT3_P12ihipStream_tbPNSt15iterator_traitsISK_E10value_typeEPNSQ_ISL_E10value_typeEPSM_NS1_7vsmem_tEENKUlT_SK_SL_SM_E_clIPbSD_PiSF_EESJ_SZ_SK_SL_SM_EUlSZ_E_NS1_11comp_targetILNS1_3genE9ELNS1_11target_archE1100ELNS1_3gpuE3ELNS1_3repE0EEENS1_48merge_mergepath_partition_config_static_selectorELNS0_4arch9wavefront6targetE1EEEvSL_
                                        ; -- End function
	.set _ZN7rocprim17ROCPRIM_400000_NS6detail17trampoline_kernelINS0_14default_configENS1_38merge_sort_block_merge_config_selectorIbiEEZZNS1_27merge_sort_block_merge_implIS3_N6thrust23THRUST_200600_302600_NS6detail15normal_iteratorINS8_10device_ptrIbEEEENSA_INSB_IiEEEEjNS1_19radix_merge_compareILb0ELb0EbNS0_19identity_decomposerEEEEE10hipError_tT0_T1_T2_jT3_P12ihipStream_tbPNSt15iterator_traitsISK_E10value_typeEPNSQ_ISL_E10value_typeEPSM_NS1_7vsmem_tEENKUlT_SK_SL_SM_E_clIPbSD_PiSF_EESJ_SZ_SK_SL_SM_EUlSZ_E_NS1_11comp_targetILNS1_3genE9ELNS1_11target_archE1100ELNS1_3gpuE3ELNS1_3repE0EEENS1_48merge_mergepath_partition_config_static_selectorELNS0_4arch9wavefront6targetE1EEEvSL_.num_vgpr, 0
	.set _ZN7rocprim17ROCPRIM_400000_NS6detail17trampoline_kernelINS0_14default_configENS1_38merge_sort_block_merge_config_selectorIbiEEZZNS1_27merge_sort_block_merge_implIS3_N6thrust23THRUST_200600_302600_NS6detail15normal_iteratorINS8_10device_ptrIbEEEENSA_INSB_IiEEEEjNS1_19radix_merge_compareILb0ELb0EbNS0_19identity_decomposerEEEEE10hipError_tT0_T1_T2_jT3_P12ihipStream_tbPNSt15iterator_traitsISK_E10value_typeEPNSQ_ISL_E10value_typeEPSM_NS1_7vsmem_tEENKUlT_SK_SL_SM_E_clIPbSD_PiSF_EESJ_SZ_SK_SL_SM_EUlSZ_E_NS1_11comp_targetILNS1_3genE9ELNS1_11target_archE1100ELNS1_3gpuE3ELNS1_3repE0EEENS1_48merge_mergepath_partition_config_static_selectorELNS0_4arch9wavefront6targetE1EEEvSL_.num_agpr, 0
	.set _ZN7rocprim17ROCPRIM_400000_NS6detail17trampoline_kernelINS0_14default_configENS1_38merge_sort_block_merge_config_selectorIbiEEZZNS1_27merge_sort_block_merge_implIS3_N6thrust23THRUST_200600_302600_NS6detail15normal_iteratorINS8_10device_ptrIbEEEENSA_INSB_IiEEEEjNS1_19radix_merge_compareILb0ELb0EbNS0_19identity_decomposerEEEEE10hipError_tT0_T1_T2_jT3_P12ihipStream_tbPNSt15iterator_traitsISK_E10value_typeEPNSQ_ISL_E10value_typeEPSM_NS1_7vsmem_tEENKUlT_SK_SL_SM_E_clIPbSD_PiSF_EESJ_SZ_SK_SL_SM_EUlSZ_E_NS1_11comp_targetILNS1_3genE9ELNS1_11target_archE1100ELNS1_3gpuE3ELNS1_3repE0EEENS1_48merge_mergepath_partition_config_static_selectorELNS0_4arch9wavefront6targetE1EEEvSL_.numbered_sgpr, 0
	.set _ZN7rocprim17ROCPRIM_400000_NS6detail17trampoline_kernelINS0_14default_configENS1_38merge_sort_block_merge_config_selectorIbiEEZZNS1_27merge_sort_block_merge_implIS3_N6thrust23THRUST_200600_302600_NS6detail15normal_iteratorINS8_10device_ptrIbEEEENSA_INSB_IiEEEEjNS1_19radix_merge_compareILb0ELb0EbNS0_19identity_decomposerEEEEE10hipError_tT0_T1_T2_jT3_P12ihipStream_tbPNSt15iterator_traitsISK_E10value_typeEPNSQ_ISL_E10value_typeEPSM_NS1_7vsmem_tEENKUlT_SK_SL_SM_E_clIPbSD_PiSF_EESJ_SZ_SK_SL_SM_EUlSZ_E_NS1_11comp_targetILNS1_3genE9ELNS1_11target_archE1100ELNS1_3gpuE3ELNS1_3repE0EEENS1_48merge_mergepath_partition_config_static_selectorELNS0_4arch9wavefront6targetE1EEEvSL_.num_named_barrier, 0
	.set _ZN7rocprim17ROCPRIM_400000_NS6detail17trampoline_kernelINS0_14default_configENS1_38merge_sort_block_merge_config_selectorIbiEEZZNS1_27merge_sort_block_merge_implIS3_N6thrust23THRUST_200600_302600_NS6detail15normal_iteratorINS8_10device_ptrIbEEEENSA_INSB_IiEEEEjNS1_19radix_merge_compareILb0ELb0EbNS0_19identity_decomposerEEEEE10hipError_tT0_T1_T2_jT3_P12ihipStream_tbPNSt15iterator_traitsISK_E10value_typeEPNSQ_ISL_E10value_typeEPSM_NS1_7vsmem_tEENKUlT_SK_SL_SM_E_clIPbSD_PiSF_EESJ_SZ_SK_SL_SM_EUlSZ_E_NS1_11comp_targetILNS1_3genE9ELNS1_11target_archE1100ELNS1_3gpuE3ELNS1_3repE0EEENS1_48merge_mergepath_partition_config_static_selectorELNS0_4arch9wavefront6targetE1EEEvSL_.private_seg_size, 0
	.set _ZN7rocprim17ROCPRIM_400000_NS6detail17trampoline_kernelINS0_14default_configENS1_38merge_sort_block_merge_config_selectorIbiEEZZNS1_27merge_sort_block_merge_implIS3_N6thrust23THRUST_200600_302600_NS6detail15normal_iteratorINS8_10device_ptrIbEEEENSA_INSB_IiEEEEjNS1_19radix_merge_compareILb0ELb0EbNS0_19identity_decomposerEEEEE10hipError_tT0_T1_T2_jT3_P12ihipStream_tbPNSt15iterator_traitsISK_E10value_typeEPNSQ_ISL_E10value_typeEPSM_NS1_7vsmem_tEENKUlT_SK_SL_SM_E_clIPbSD_PiSF_EESJ_SZ_SK_SL_SM_EUlSZ_E_NS1_11comp_targetILNS1_3genE9ELNS1_11target_archE1100ELNS1_3gpuE3ELNS1_3repE0EEENS1_48merge_mergepath_partition_config_static_selectorELNS0_4arch9wavefront6targetE1EEEvSL_.uses_vcc, 0
	.set _ZN7rocprim17ROCPRIM_400000_NS6detail17trampoline_kernelINS0_14default_configENS1_38merge_sort_block_merge_config_selectorIbiEEZZNS1_27merge_sort_block_merge_implIS3_N6thrust23THRUST_200600_302600_NS6detail15normal_iteratorINS8_10device_ptrIbEEEENSA_INSB_IiEEEEjNS1_19radix_merge_compareILb0ELb0EbNS0_19identity_decomposerEEEEE10hipError_tT0_T1_T2_jT3_P12ihipStream_tbPNSt15iterator_traitsISK_E10value_typeEPNSQ_ISL_E10value_typeEPSM_NS1_7vsmem_tEENKUlT_SK_SL_SM_E_clIPbSD_PiSF_EESJ_SZ_SK_SL_SM_EUlSZ_E_NS1_11comp_targetILNS1_3genE9ELNS1_11target_archE1100ELNS1_3gpuE3ELNS1_3repE0EEENS1_48merge_mergepath_partition_config_static_selectorELNS0_4arch9wavefront6targetE1EEEvSL_.uses_flat_scratch, 0
	.set _ZN7rocprim17ROCPRIM_400000_NS6detail17trampoline_kernelINS0_14default_configENS1_38merge_sort_block_merge_config_selectorIbiEEZZNS1_27merge_sort_block_merge_implIS3_N6thrust23THRUST_200600_302600_NS6detail15normal_iteratorINS8_10device_ptrIbEEEENSA_INSB_IiEEEEjNS1_19radix_merge_compareILb0ELb0EbNS0_19identity_decomposerEEEEE10hipError_tT0_T1_T2_jT3_P12ihipStream_tbPNSt15iterator_traitsISK_E10value_typeEPNSQ_ISL_E10value_typeEPSM_NS1_7vsmem_tEENKUlT_SK_SL_SM_E_clIPbSD_PiSF_EESJ_SZ_SK_SL_SM_EUlSZ_E_NS1_11comp_targetILNS1_3genE9ELNS1_11target_archE1100ELNS1_3gpuE3ELNS1_3repE0EEENS1_48merge_mergepath_partition_config_static_selectorELNS0_4arch9wavefront6targetE1EEEvSL_.has_dyn_sized_stack, 0
	.set _ZN7rocprim17ROCPRIM_400000_NS6detail17trampoline_kernelINS0_14default_configENS1_38merge_sort_block_merge_config_selectorIbiEEZZNS1_27merge_sort_block_merge_implIS3_N6thrust23THRUST_200600_302600_NS6detail15normal_iteratorINS8_10device_ptrIbEEEENSA_INSB_IiEEEEjNS1_19radix_merge_compareILb0ELb0EbNS0_19identity_decomposerEEEEE10hipError_tT0_T1_T2_jT3_P12ihipStream_tbPNSt15iterator_traitsISK_E10value_typeEPNSQ_ISL_E10value_typeEPSM_NS1_7vsmem_tEENKUlT_SK_SL_SM_E_clIPbSD_PiSF_EESJ_SZ_SK_SL_SM_EUlSZ_E_NS1_11comp_targetILNS1_3genE9ELNS1_11target_archE1100ELNS1_3gpuE3ELNS1_3repE0EEENS1_48merge_mergepath_partition_config_static_selectorELNS0_4arch9wavefront6targetE1EEEvSL_.has_recursion, 0
	.set _ZN7rocprim17ROCPRIM_400000_NS6detail17trampoline_kernelINS0_14default_configENS1_38merge_sort_block_merge_config_selectorIbiEEZZNS1_27merge_sort_block_merge_implIS3_N6thrust23THRUST_200600_302600_NS6detail15normal_iteratorINS8_10device_ptrIbEEEENSA_INSB_IiEEEEjNS1_19radix_merge_compareILb0ELb0EbNS0_19identity_decomposerEEEEE10hipError_tT0_T1_T2_jT3_P12ihipStream_tbPNSt15iterator_traitsISK_E10value_typeEPNSQ_ISL_E10value_typeEPSM_NS1_7vsmem_tEENKUlT_SK_SL_SM_E_clIPbSD_PiSF_EESJ_SZ_SK_SL_SM_EUlSZ_E_NS1_11comp_targetILNS1_3genE9ELNS1_11target_archE1100ELNS1_3gpuE3ELNS1_3repE0EEENS1_48merge_mergepath_partition_config_static_selectorELNS0_4arch9wavefront6targetE1EEEvSL_.has_indirect_call, 0
	.section	.AMDGPU.csdata,"",@progbits
; Kernel info:
; codeLenInByte = 0
; TotalNumSgprs: 6
; NumVgprs: 0
; NumAgprs: 0
; TotalNumVgprs: 0
; ScratchSize: 0
; MemoryBound: 0
; FloatMode: 240
; IeeeMode: 1
; LDSByteSize: 0 bytes/workgroup (compile time only)
; SGPRBlocks: 0
; VGPRBlocks: 0
; NumSGPRsForWavesPerEU: 6
; NumVGPRsForWavesPerEU: 1
; AccumOffset: 4
; Occupancy: 8
; WaveLimiterHint : 0
; COMPUTE_PGM_RSRC2:SCRATCH_EN: 0
; COMPUTE_PGM_RSRC2:USER_SGPR: 2
; COMPUTE_PGM_RSRC2:TRAP_HANDLER: 0
; COMPUTE_PGM_RSRC2:TGID_X_EN: 1
; COMPUTE_PGM_RSRC2:TGID_Y_EN: 0
; COMPUTE_PGM_RSRC2:TGID_Z_EN: 0
; COMPUTE_PGM_RSRC2:TIDIG_COMP_CNT: 0
; COMPUTE_PGM_RSRC3_GFX90A:ACCUM_OFFSET: 0
; COMPUTE_PGM_RSRC3_GFX90A:TG_SPLIT: 0
	.section	.text._ZN7rocprim17ROCPRIM_400000_NS6detail17trampoline_kernelINS0_14default_configENS1_38merge_sort_block_merge_config_selectorIbiEEZZNS1_27merge_sort_block_merge_implIS3_N6thrust23THRUST_200600_302600_NS6detail15normal_iteratorINS8_10device_ptrIbEEEENSA_INSB_IiEEEEjNS1_19radix_merge_compareILb0ELb0EbNS0_19identity_decomposerEEEEE10hipError_tT0_T1_T2_jT3_P12ihipStream_tbPNSt15iterator_traitsISK_E10value_typeEPNSQ_ISL_E10value_typeEPSM_NS1_7vsmem_tEENKUlT_SK_SL_SM_E_clIPbSD_PiSF_EESJ_SZ_SK_SL_SM_EUlSZ_E_NS1_11comp_targetILNS1_3genE8ELNS1_11target_archE1030ELNS1_3gpuE2ELNS1_3repE0EEENS1_48merge_mergepath_partition_config_static_selectorELNS0_4arch9wavefront6targetE1EEEvSL_,"axG",@progbits,_ZN7rocprim17ROCPRIM_400000_NS6detail17trampoline_kernelINS0_14default_configENS1_38merge_sort_block_merge_config_selectorIbiEEZZNS1_27merge_sort_block_merge_implIS3_N6thrust23THRUST_200600_302600_NS6detail15normal_iteratorINS8_10device_ptrIbEEEENSA_INSB_IiEEEEjNS1_19radix_merge_compareILb0ELb0EbNS0_19identity_decomposerEEEEE10hipError_tT0_T1_T2_jT3_P12ihipStream_tbPNSt15iterator_traitsISK_E10value_typeEPNSQ_ISL_E10value_typeEPSM_NS1_7vsmem_tEENKUlT_SK_SL_SM_E_clIPbSD_PiSF_EESJ_SZ_SK_SL_SM_EUlSZ_E_NS1_11comp_targetILNS1_3genE8ELNS1_11target_archE1030ELNS1_3gpuE2ELNS1_3repE0EEENS1_48merge_mergepath_partition_config_static_selectorELNS0_4arch9wavefront6targetE1EEEvSL_,comdat
	.protected	_ZN7rocprim17ROCPRIM_400000_NS6detail17trampoline_kernelINS0_14default_configENS1_38merge_sort_block_merge_config_selectorIbiEEZZNS1_27merge_sort_block_merge_implIS3_N6thrust23THRUST_200600_302600_NS6detail15normal_iteratorINS8_10device_ptrIbEEEENSA_INSB_IiEEEEjNS1_19radix_merge_compareILb0ELb0EbNS0_19identity_decomposerEEEEE10hipError_tT0_T1_T2_jT3_P12ihipStream_tbPNSt15iterator_traitsISK_E10value_typeEPNSQ_ISL_E10value_typeEPSM_NS1_7vsmem_tEENKUlT_SK_SL_SM_E_clIPbSD_PiSF_EESJ_SZ_SK_SL_SM_EUlSZ_E_NS1_11comp_targetILNS1_3genE8ELNS1_11target_archE1030ELNS1_3gpuE2ELNS1_3repE0EEENS1_48merge_mergepath_partition_config_static_selectorELNS0_4arch9wavefront6targetE1EEEvSL_ ; -- Begin function _ZN7rocprim17ROCPRIM_400000_NS6detail17trampoline_kernelINS0_14default_configENS1_38merge_sort_block_merge_config_selectorIbiEEZZNS1_27merge_sort_block_merge_implIS3_N6thrust23THRUST_200600_302600_NS6detail15normal_iteratorINS8_10device_ptrIbEEEENSA_INSB_IiEEEEjNS1_19radix_merge_compareILb0ELb0EbNS0_19identity_decomposerEEEEE10hipError_tT0_T1_T2_jT3_P12ihipStream_tbPNSt15iterator_traitsISK_E10value_typeEPNSQ_ISL_E10value_typeEPSM_NS1_7vsmem_tEENKUlT_SK_SL_SM_E_clIPbSD_PiSF_EESJ_SZ_SK_SL_SM_EUlSZ_E_NS1_11comp_targetILNS1_3genE8ELNS1_11target_archE1030ELNS1_3gpuE2ELNS1_3repE0EEENS1_48merge_mergepath_partition_config_static_selectorELNS0_4arch9wavefront6targetE1EEEvSL_
	.globl	_ZN7rocprim17ROCPRIM_400000_NS6detail17trampoline_kernelINS0_14default_configENS1_38merge_sort_block_merge_config_selectorIbiEEZZNS1_27merge_sort_block_merge_implIS3_N6thrust23THRUST_200600_302600_NS6detail15normal_iteratorINS8_10device_ptrIbEEEENSA_INSB_IiEEEEjNS1_19radix_merge_compareILb0ELb0EbNS0_19identity_decomposerEEEEE10hipError_tT0_T1_T2_jT3_P12ihipStream_tbPNSt15iterator_traitsISK_E10value_typeEPNSQ_ISL_E10value_typeEPSM_NS1_7vsmem_tEENKUlT_SK_SL_SM_E_clIPbSD_PiSF_EESJ_SZ_SK_SL_SM_EUlSZ_E_NS1_11comp_targetILNS1_3genE8ELNS1_11target_archE1030ELNS1_3gpuE2ELNS1_3repE0EEENS1_48merge_mergepath_partition_config_static_selectorELNS0_4arch9wavefront6targetE1EEEvSL_
	.p2align	8
	.type	_ZN7rocprim17ROCPRIM_400000_NS6detail17trampoline_kernelINS0_14default_configENS1_38merge_sort_block_merge_config_selectorIbiEEZZNS1_27merge_sort_block_merge_implIS3_N6thrust23THRUST_200600_302600_NS6detail15normal_iteratorINS8_10device_ptrIbEEEENSA_INSB_IiEEEEjNS1_19radix_merge_compareILb0ELb0EbNS0_19identity_decomposerEEEEE10hipError_tT0_T1_T2_jT3_P12ihipStream_tbPNSt15iterator_traitsISK_E10value_typeEPNSQ_ISL_E10value_typeEPSM_NS1_7vsmem_tEENKUlT_SK_SL_SM_E_clIPbSD_PiSF_EESJ_SZ_SK_SL_SM_EUlSZ_E_NS1_11comp_targetILNS1_3genE8ELNS1_11target_archE1030ELNS1_3gpuE2ELNS1_3repE0EEENS1_48merge_mergepath_partition_config_static_selectorELNS0_4arch9wavefront6targetE1EEEvSL_,@function
_ZN7rocprim17ROCPRIM_400000_NS6detail17trampoline_kernelINS0_14default_configENS1_38merge_sort_block_merge_config_selectorIbiEEZZNS1_27merge_sort_block_merge_implIS3_N6thrust23THRUST_200600_302600_NS6detail15normal_iteratorINS8_10device_ptrIbEEEENSA_INSB_IiEEEEjNS1_19radix_merge_compareILb0ELb0EbNS0_19identity_decomposerEEEEE10hipError_tT0_T1_T2_jT3_P12ihipStream_tbPNSt15iterator_traitsISK_E10value_typeEPNSQ_ISL_E10value_typeEPSM_NS1_7vsmem_tEENKUlT_SK_SL_SM_E_clIPbSD_PiSF_EESJ_SZ_SK_SL_SM_EUlSZ_E_NS1_11comp_targetILNS1_3genE8ELNS1_11target_archE1030ELNS1_3gpuE2ELNS1_3repE0EEENS1_48merge_mergepath_partition_config_static_selectorELNS0_4arch9wavefront6targetE1EEEvSL_: ; @_ZN7rocprim17ROCPRIM_400000_NS6detail17trampoline_kernelINS0_14default_configENS1_38merge_sort_block_merge_config_selectorIbiEEZZNS1_27merge_sort_block_merge_implIS3_N6thrust23THRUST_200600_302600_NS6detail15normal_iteratorINS8_10device_ptrIbEEEENSA_INSB_IiEEEEjNS1_19radix_merge_compareILb0ELb0EbNS0_19identity_decomposerEEEEE10hipError_tT0_T1_T2_jT3_P12ihipStream_tbPNSt15iterator_traitsISK_E10value_typeEPNSQ_ISL_E10value_typeEPSM_NS1_7vsmem_tEENKUlT_SK_SL_SM_E_clIPbSD_PiSF_EESJ_SZ_SK_SL_SM_EUlSZ_E_NS1_11comp_targetILNS1_3genE8ELNS1_11target_archE1030ELNS1_3gpuE2ELNS1_3repE0EEENS1_48merge_mergepath_partition_config_static_selectorELNS0_4arch9wavefront6targetE1EEEvSL_
; %bb.0:
	.section	.rodata,"a",@progbits
	.p2align	6, 0x0
	.amdhsa_kernel _ZN7rocprim17ROCPRIM_400000_NS6detail17trampoline_kernelINS0_14default_configENS1_38merge_sort_block_merge_config_selectorIbiEEZZNS1_27merge_sort_block_merge_implIS3_N6thrust23THRUST_200600_302600_NS6detail15normal_iteratorINS8_10device_ptrIbEEEENSA_INSB_IiEEEEjNS1_19radix_merge_compareILb0ELb0EbNS0_19identity_decomposerEEEEE10hipError_tT0_T1_T2_jT3_P12ihipStream_tbPNSt15iterator_traitsISK_E10value_typeEPNSQ_ISL_E10value_typeEPSM_NS1_7vsmem_tEENKUlT_SK_SL_SM_E_clIPbSD_PiSF_EESJ_SZ_SK_SL_SM_EUlSZ_E_NS1_11comp_targetILNS1_3genE8ELNS1_11target_archE1030ELNS1_3gpuE2ELNS1_3repE0EEENS1_48merge_mergepath_partition_config_static_selectorELNS0_4arch9wavefront6targetE1EEEvSL_
		.amdhsa_group_segment_fixed_size 0
		.amdhsa_private_segment_fixed_size 0
		.amdhsa_kernarg_size 40
		.amdhsa_user_sgpr_count 2
		.amdhsa_user_sgpr_dispatch_ptr 0
		.amdhsa_user_sgpr_queue_ptr 0
		.amdhsa_user_sgpr_kernarg_segment_ptr 1
		.amdhsa_user_sgpr_dispatch_id 0
		.amdhsa_user_sgpr_kernarg_preload_length 0
		.amdhsa_user_sgpr_kernarg_preload_offset 0
		.amdhsa_user_sgpr_private_segment_size 0
		.amdhsa_uses_dynamic_stack 0
		.amdhsa_enable_private_segment 0
		.amdhsa_system_sgpr_workgroup_id_x 1
		.amdhsa_system_sgpr_workgroup_id_y 0
		.amdhsa_system_sgpr_workgroup_id_z 0
		.amdhsa_system_sgpr_workgroup_info 0
		.amdhsa_system_vgpr_workitem_id 0
		.amdhsa_next_free_vgpr 1
		.amdhsa_next_free_sgpr 0
		.amdhsa_accum_offset 4
		.amdhsa_reserve_vcc 0
		.amdhsa_float_round_mode_32 0
		.amdhsa_float_round_mode_16_64 0
		.amdhsa_float_denorm_mode_32 3
		.amdhsa_float_denorm_mode_16_64 3
		.amdhsa_dx10_clamp 1
		.amdhsa_ieee_mode 1
		.amdhsa_fp16_overflow 0
		.amdhsa_tg_split 0
		.amdhsa_exception_fp_ieee_invalid_op 0
		.amdhsa_exception_fp_denorm_src 0
		.amdhsa_exception_fp_ieee_div_zero 0
		.amdhsa_exception_fp_ieee_overflow 0
		.amdhsa_exception_fp_ieee_underflow 0
		.amdhsa_exception_fp_ieee_inexact 0
		.amdhsa_exception_int_div_zero 0
	.end_amdhsa_kernel
	.section	.text._ZN7rocprim17ROCPRIM_400000_NS6detail17trampoline_kernelINS0_14default_configENS1_38merge_sort_block_merge_config_selectorIbiEEZZNS1_27merge_sort_block_merge_implIS3_N6thrust23THRUST_200600_302600_NS6detail15normal_iteratorINS8_10device_ptrIbEEEENSA_INSB_IiEEEEjNS1_19radix_merge_compareILb0ELb0EbNS0_19identity_decomposerEEEEE10hipError_tT0_T1_T2_jT3_P12ihipStream_tbPNSt15iterator_traitsISK_E10value_typeEPNSQ_ISL_E10value_typeEPSM_NS1_7vsmem_tEENKUlT_SK_SL_SM_E_clIPbSD_PiSF_EESJ_SZ_SK_SL_SM_EUlSZ_E_NS1_11comp_targetILNS1_3genE8ELNS1_11target_archE1030ELNS1_3gpuE2ELNS1_3repE0EEENS1_48merge_mergepath_partition_config_static_selectorELNS0_4arch9wavefront6targetE1EEEvSL_,"axG",@progbits,_ZN7rocprim17ROCPRIM_400000_NS6detail17trampoline_kernelINS0_14default_configENS1_38merge_sort_block_merge_config_selectorIbiEEZZNS1_27merge_sort_block_merge_implIS3_N6thrust23THRUST_200600_302600_NS6detail15normal_iteratorINS8_10device_ptrIbEEEENSA_INSB_IiEEEEjNS1_19radix_merge_compareILb0ELb0EbNS0_19identity_decomposerEEEEE10hipError_tT0_T1_T2_jT3_P12ihipStream_tbPNSt15iterator_traitsISK_E10value_typeEPNSQ_ISL_E10value_typeEPSM_NS1_7vsmem_tEENKUlT_SK_SL_SM_E_clIPbSD_PiSF_EESJ_SZ_SK_SL_SM_EUlSZ_E_NS1_11comp_targetILNS1_3genE8ELNS1_11target_archE1030ELNS1_3gpuE2ELNS1_3repE0EEENS1_48merge_mergepath_partition_config_static_selectorELNS0_4arch9wavefront6targetE1EEEvSL_,comdat
.Lfunc_end1916:
	.size	_ZN7rocprim17ROCPRIM_400000_NS6detail17trampoline_kernelINS0_14default_configENS1_38merge_sort_block_merge_config_selectorIbiEEZZNS1_27merge_sort_block_merge_implIS3_N6thrust23THRUST_200600_302600_NS6detail15normal_iteratorINS8_10device_ptrIbEEEENSA_INSB_IiEEEEjNS1_19radix_merge_compareILb0ELb0EbNS0_19identity_decomposerEEEEE10hipError_tT0_T1_T2_jT3_P12ihipStream_tbPNSt15iterator_traitsISK_E10value_typeEPNSQ_ISL_E10value_typeEPSM_NS1_7vsmem_tEENKUlT_SK_SL_SM_E_clIPbSD_PiSF_EESJ_SZ_SK_SL_SM_EUlSZ_E_NS1_11comp_targetILNS1_3genE8ELNS1_11target_archE1030ELNS1_3gpuE2ELNS1_3repE0EEENS1_48merge_mergepath_partition_config_static_selectorELNS0_4arch9wavefront6targetE1EEEvSL_, .Lfunc_end1916-_ZN7rocprim17ROCPRIM_400000_NS6detail17trampoline_kernelINS0_14default_configENS1_38merge_sort_block_merge_config_selectorIbiEEZZNS1_27merge_sort_block_merge_implIS3_N6thrust23THRUST_200600_302600_NS6detail15normal_iteratorINS8_10device_ptrIbEEEENSA_INSB_IiEEEEjNS1_19radix_merge_compareILb0ELb0EbNS0_19identity_decomposerEEEEE10hipError_tT0_T1_T2_jT3_P12ihipStream_tbPNSt15iterator_traitsISK_E10value_typeEPNSQ_ISL_E10value_typeEPSM_NS1_7vsmem_tEENKUlT_SK_SL_SM_E_clIPbSD_PiSF_EESJ_SZ_SK_SL_SM_EUlSZ_E_NS1_11comp_targetILNS1_3genE8ELNS1_11target_archE1030ELNS1_3gpuE2ELNS1_3repE0EEENS1_48merge_mergepath_partition_config_static_selectorELNS0_4arch9wavefront6targetE1EEEvSL_
                                        ; -- End function
	.set _ZN7rocprim17ROCPRIM_400000_NS6detail17trampoline_kernelINS0_14default_configENS1_38merge_sort_block_merge_config_selectorIbiEEZZNS1_27merge_sort_block_merge_implIS3_N6thrust23THRUST_200600_302600_NS6detail15normal_iteratorINS8_10device_ptrIbEEEENSA_INSB_IiEEEEjNS1_19radix_merge_compareILb0ELb0EbNS0_19identity_decomposerEEEEE10hipError_tT0_T1_T2_jT3_P12ihipStream_tbPNSt15iterator_traitsISK_E10value_typeEPNSQ_ISL_E10value_typeEPSM_NS1_7vsmem_tEENKUlT_SK_SL_SM_E_clIPbSD_PiSF_EESJ_SZ_SK_SL_SM_EUlSZ_E_NS1_11comp_targetILNS1_3genE8ELNS1_11target_archE1030ELNS1_3gpuE2ELNS1_3repE0EEENS1_48merge_mergepath_partition_config_static_selectorELNS0_4arch9wavefront6targetE1EEEvSL_.num_vgpr, 0
	.set _ZN7rocprim17ROCPRIM_400000_NS6detail17trampoline_kernelINS0_14default_configENS1_38merge_sort_block_merge_config_selectorIbiEEZZNS1_27merge_sort_block_merge_implIS3_N6thrust23THRUST_200600_302600_NS6detail15normal_iteratorINS8_10device_ptrIbEEEENSA_INSB_IiEEEEjNS1_19radix_merge_compareILb0ELb0EbNS0_19identity_decomposerEEEEE10hipError_tT0_T1_T2_jT3_P12ihipStream_tbPNSt15iterator_traitsISK_E10value_typeEPNSQ_ISL_E10value_typeEPSM_NS1_7vsmem_tEENKUlT_SK_SL_SM_E_clIPbSD_PiSF_EESJ_SZ_SK_SL_SM_EUlSZ_E_NS1_11comp_targetILNS1_3genE8ELNS1_11target_archE1030ELNS1_3gpuE2ELNS1_3repE0EEENS1_48merge_mergepath_partition_config_static_selectorELNS0_4arch9wavefront6targetE1EEEvSL_.num_agpr, 0
	.set _ZN7rocprim17ROCPRIM_400000_NS6detail17trampoline_kernelINS0_14default_configENS1_38merge_sort_block_merge_config_selectorIbiEEZZNS1_27merge_sort_block_merge_implIS3_N6thrust23THRUST_200600_302600_NS6detail15normal_iteratorINS8_10device_ptrIbEEEENSA_INSB_IiEEEEjNS1_19radix_merge_compareILb0ELb0EbNS0_19identity_decomposerEEEEE10hipError_tT0_T1_T2_jT3_P12ihipStream_tbPNSt15iterator_traitsISK_E10value_typeEPNSQ_ISL_E10value_typeEPSM_NS1_7vsmem_tEENKUlT_SK_SL_SM_E_clIPbSD_PiSF_EESJ_SZ_SK_SL_SM_EUlSZ_E_NS1_11comp_targetILNS1_3genE8ELNS1_11target_archE1030ELNS1_3gpuE2ELNS1_3repE0EEENS1_48merge_mergepath_partition_config_static_selectorELNS0_4arch9wavefront6targetE1EEEvSL_.numbered_sgpr, 0
	.set _ZN7rocprim17ROCPRIM_400000_NS6detail17trampoline_kernelINS0_14default_configENS1_38merge_sort_block_merge_config_selectorIbiEEZZNS1_27merge_sort_block_merge_implIS3_N6thrust23THRUST_200600_302600_NS6detail15normal_iteratorINS8_10device_ptrIbEEEENSA_INSB_IiEEEEjNS1_19radix_merge_compareILb0ELb0EbNS0_19identity_decomposerEEEEE10hipError_tT0_T1_T2_jT3_P12ihipStream_tbPNSt15iterator_traitsISK_E10value_typeEPNSQ_ISL_E10value_typeEPSM_NS1_7vsmem_tEENKUlT_SK_SL_SM_E_clIPbSD_PiSF_EESJ_SZ_SK_SL_SM_EUlSZ_E_NS1_11comp_targetILNS1_3genE8ELNS1_11target_archE1030ELNS1_3gpuE2ELNS1_3repE0EEENS1_48merge_mergepath_partition_config_static_selectorELNS0_4arch9wavefront6targetE1EEEvSL_.num_named_barrier, 0
	.set _ZN7rocprim17ROCPRIM_400000_NS6detail17trampoline_kernelINS0_14default_configENS1_38merge_sort_block_merge_config_selectorIbiEEZZNS1_27merge_sort_block_merge_implIS3_N6thrust23THRUST_200600_302600_NS6detail15normal_iteratorINS8_10device_ptrIbEEEENSA_INSB_IiEEEEjNS1_19radix_merge_compareILb0ELb0EbNS0_19identity_decomposerEEEEE10hipError_tT0_T1_T2_jT3_P12ihipStream_tbPNSt15iterator_traitsISK_E10value_typeEPNSQ_ISL_E10value_typeEPSM_NS1_7vsmem_tEENKUlT_SK_SL_SM_E_clIPbSD_PiSF_EESJ_SZ_SK_SL_SM_EUlSZ_E_NS1_11comp_targetILNS1_3genE8ELNS1_11target_archE1030ELNS1_3gpuE2ELNS1_3repE0EEENS1_48merge_mergepath_partition_config_static_selectorELNS0_4arch9wavefront6targetE1EEEvSL_.private_seg_size, 0
	.set _ZN7rocprim17ROCPRIM_400000_NS6detail17trampoline_kernelINS0_14default_configENS1_38merge_sort_block_merge_config_selectorIbiEEZZNS1_27merge_sort_block_merge_implIS3_N6thrust23THRUST_200600_302600_NS6detail15normal_iteratorINS8_10device_ptrIbEEEENSA_INSB_IiEEEEjNS1_19radix_merge_compareILb0ELb0EbNS0_19identity_decomposerEEEEE10hipError_tT0_T1_T2_jT3_P12ihipStream_tbPNSt15iterator_traitsISK_E10value_typeEPNSQ_ISL_E10value_typeEPSM_NS1_7vsmem_tEENKUlT_SK_SL_SM_E_clIPbSD_PiSF_EESJ_SZ_SK_SL_SM_EUlSZ_E_NS1_11comp_targetILNS1_3genE8ELNS1_11target_archE1030ELNS1_3gpuE2ELNS1_3repE0EEENS1_48merge_mergepath_partition_config_static_selectorELNS0_4arch9wavefront6targetE1EEEvSL_.uses_vcc, 0
	.set _ZN7rocprim17ROCPRIM_400000_NS6detail17trampoline_kernelINS0_14default_configENS1_38merge_sort_block_merge_config_selectorIbiEEZZNS1_27merge_sort_block_merge_implIS3_N6thrust23THRUST_200600_302600_NS6detail15normal_iteratorINS8_10device_ptrIbEEEENSA_INSB_IiEEEEjNS1_19radix_merge_compareILb0ELb0EbNS0_19identity_decomposerEEEEE10hipError_tT0_T1_T2_jT3_P12ihipStream_tbPNSt15iterator_traitsISK_E10value_typeEPNSQ_ISL_E10value_typeEPSM_NS1_7vsmem_tEENKUlT_SK_SL_SM_E_clIPbSD_PiSF_EESJ_SZ_SK_SL_SM_EUlSZ_E_NS1_11comp_targetILNS1_3genE8ELNS1_11target_archE1030ELNS1_3gpuE2ELNS1_3repE0EEENS1_48merge_mergepath_partition_config_static_selectorELNS0_4arch9wavefront6targetE1EEEvSL_.uses_flat_scratch, 0
	.set _ZN7rocprim17ROCPRIM_400000_NS6detail17trampoline_kernelINS0_14default_configENS1_38merge_sort_block_merge_config_selectorIbiEEZZNS1_27merge_sort_block_merge_implIS3_N6thrust23THRUST_200600_302600_NS6detail15normal_iteratorINS8_10device_ptrIbEEEENSA_INSB_IiEEEEjNS1_19radix_merge_compareILb0ELb0EbNS0_19identity_decomposerEEEEE10hipError_tT0_T1_T2_jT3_P12ihipStream_tbPNSt15iterator_traitsISK_E10value_typeEPNSQ_ISL_E10value_typeEPSM_NS1_7vsmem_tEENKUlT_SK_SL_SM_E_clIPbSD_PiSF_EESJ_SZ_SK_SL_SM_EUlSZ_E_NS1_11comp_targetILNS1_3genE8ELNS1_11target_archE1030ELNS1_3gpuE2ELNS1_3repE0EEENS1_48merge_mergepath_partition_config_static_selectorELNS0_4arch9wavefront6targetE1EEEvSL_.has_dyn_sized_stack, 0
	.set _ZN7rocprim17ROCPRIM_400000_NS6detail17trampoline_kernelINS0_14default_configENS1_38merge_sort_block_merge_config_selectorIbiEEZZNS1_27merge_sort_block_merge_implIS3_N6thrust23THRUST_200600_302600_NS6detail15normal_iteratorINS8_10device_ptrIbEEEENSA_INSB_IiEEEEjNS1_19radix_merge_compareILb0ELb0EbNS0_19identity_decomposerEEEEE10hipError_tT0_T1_T2_jT3_P12ihipStream_tbPNSt15iterator_traitsISK_E10value_typeEPNSQ_ISL_E10value_typeEPSM_NS1_7vsmem_tEENKUlT_SK_SL_SM_E_clIPbSD_PiSF_EESJ_SZ_SK_SL_SM_EUlSZ_E_NS1_11comp_targetILNS1_3genE8ELNS1_11target_archE1030ELNS1_3gpuE2ELNS1_3repE0EEENS1_48merge_mergepath_partition_config_static_selectorELNS0_4arch9wavefront6targetE1EEEvSL_.has_recursion, 0
	.set _ZN7rocprim17ROCPRIM_400000_NS6detail17trampoline_kernelINS0_14default_configENS1_38merge_sort_block_merge_config_selectorIbiEEZZNS1_27merge_sort_block_merge_implIS3_N6thrust23THRUST_200600_302600_NS6detail15normal_iteratorINS8_10device_ptrIbEEEENSA_INSB_IiEEEEjNS1_19radix_merge_compareILb0ELb0EbNS0_19identity_decomposerEEEEE10hipError_tT0_T1_T2_jT3_P12ihipStream_tbPNSt15iterator_traitsISK_E10value_typeEPNSQ_ISL_E10value_typeEPSM_NS1_7vsmem_tEENKUlT_SK_SL_SM_E_clIPbSD_PiSF_EESJ_SZ_SK_SL_SM_EUlSZ_E_NS1_11comp_targetILNS1_3genE8ELNS1_11target_archE1030ELNS1_3gpuE2ELNS1_3repE0EEENS1_48merge_mergepath_partition_config_static_selectorELNS0_4arch9wavefront6targetE1EEEvSL_.has_indirect_call, 0
	.section	.AMDGPU.csdata,"",@progbits
; Kernel info:
; codeLenInByte = 0
; TotalNumSgprs: 6
; NumVgprs: 0
; NumAgprs: 0
; TotalNumVgprs: 0
; ScratchSize: 0
; MemoryBound: 0
; FloatMode: 240
; IeeeMode: 1
; LDSByteSize: 0 bytes/workgroup (compile time only)
; SGPRBlocks: 0
; VGPRBlocks: 0
; NumSGPRsForWavesPerEU: 6
; NumVGPRsForWavesPerEU: 1
; AccumOffset: 4
; Occupancy: 8
; WaveLimiterHint : 0
; COMPUTE_PGM_RSRC2:SCRATCH_EN: 0
; COMPUTE_PGM_RSRC2:USER_SGPR: 2
; COMPUTE_PGM_RSRC2:TRAP_HANDLER: 0
; COMPUTE_PGM_RSRC2:TGID_X_EN: 1
; COMPUTE_PGM_RSRC2:TGID_Y_EN: 0
; COMPUTE_PGM_RSRC2:TGID_Z_EN: 0
; COMPUTE_PGM_RSRC2:TIDIG_COMP_CNT: 0
; COMPUTE_PGM_RSRC3_GFX90A:ACCUM_OFFSET: 0
; COMPUTE_PGM_RSRC3_GFX90A:TG_SPLIT: 0
	.section	.text._ZN7rocprim17ROCPRIM_400000_NS6detail17trampoline_kernelINS0_14default_configENS1_38merge_sort_block_merge_config_selectorIbiEEZZNS1_27merge_sort_block_merge_implIS3_N6thrust23THRUST_200600_302600_NS6detail15normal_iteratorINS8_10device_ptrIbEEEENSA_INSB_IiEEEEjNS1_19radix_merge_compareILb0ELb0EbNS0_19identity_decomposerEEEEE10hipError_tT0_T1_T2_jT3_P12ihipStream_tbPNSt15iterator_traitsISK_E10value_typeEPNSQ_ISL_E10value_typeEPSM_NS1_7vsmem_tEENKUlT_SK_SL_SM_E_clIPbSD_PiSF_EESJ_SZ_SK_SL_SM_EUlSZ_E0_NS1_11comp_targetILNS1_3genE0ELNS1_11target_archE4294967295ELNS1_3gpuE0ELNS1_3repE0EEENS1_38merge_mergepath_config_static_selectorELNS0_4arch9wavefront6targetE1EEEvSL_,"axG",@progbits,_ZN7rocprim17ROCPRIM_400000_NS6detail17trampoline_kernelINS0_14default_configENS1_38merge_sort_block_merge_config_selectorIbiEEZZNS1_27merge_sort_block_merge_implIS3_N6thrust23THRUST_200600_302600_NS6detail15normal_iteratorINS8_10device_ptrIbEEEENSA_INSB_IiEEEEjNS1_19radix_merge_compareILb0ELb0EbNS0_19identity_decomposerEEEEE10hipError_tT0_T1_T2_jT3_P12ihipStream_tbPNSt15iterator_traitsISK_E10value_typeEPNSQ_ISL_E10value_typeEPSM_NS1_7vsmem_tEENKUlT_SK_SL_SM_E_clIPbSD_PiSF_EESJ_SZ_SK_SL_SM_EUlSZ_E0_NS1_11comp_targetILNS1_3genE0ELNS1_11target_archE4294967295ELNS1_3gpuE0ELNS1_3repE0EEENS1_38merge_mergepath_config_static_selectorELNS0_4arch9wavefront6targetE1EEEvSL_,comdat
	.protected	_ZN7rocprim17ROCPRIM_400000_NS6detail17trampoline_kernelINS0_14default_configENS1_38merge_sort_block_merge_config_selectorIbiEEZZNS1_27merge_sort_block_merge_implIS3_N6thrust23THRUST_200600_302600_NS6detail15normal_iteratorINS8_10device_ptrIbEEEENSA_INSB_IiEEEEjNS1_19radix_merge_compareILb0ELb0EbNS0_19identity_decomposerEEEEE10hipError_tT0_T1_T2_jT3_P12ihipStream_tbPNSt15iterator_traitsISK_E10value_typeEPNSQ_ISL_E10value_typeEPSM_NS1_7vsmem_tEENKUlT_SK_SL_SM_E_clIPbSD_PiSF_EESJ_SZ_SK_SL_SM_EUlSZ_E0_NS1_11comp_targetILNS1_3genE0ELNS1_11target_archE4294967295ELNS1_3gpuE0ELNS1_3repE0EEENS1_38merge_mergepath_config_static_selectorELNS0_4arch9wavefront6targetE1EEEvSL_ ; -- Begin function _ZN7rocprim17ROCPRIM_400000_NS6detail17trampoline_kernelINS0_14default_configENS1_38merge_sort_block_merge_config_selectorIbiEEZZNS1_27merge_sort_block_merge_implIS3_N6thrust23THRUST_200600_302600_NS6detail15normal_iteratorINS8_10device_ptrIbEEEENSA_INSB_IiEEEEjNS1_19radix_merge_compareILb0ELb0EbNS0_19identity_decomposerEEEEE10hipError_tT0_T1_T2_jT3_P12ihipStream_tbPNSt15iterator_traitsISK_E10value_typeEPNSQ_ISL_E10value_typeEPSM_NS1_7vsmem_tEENKUlT_SK_SL_SM_E_clIPbSD_PiSF_EESJ_SZ_SK_SL_SM_EUlSZ_E0_NS1_11comp_targetILNS1_3genE0ELNS1_11target_archE4294967295ELNS1_3gpuE0ELNS1_3repE0EEENS1_38merge_mergepath_config_static_selectorELNS0_4arch9wavefront6targetE1EEEvSL_
	.globl	_ZN7rocprim17ROCPRIM_400000_NS6detail17trampoline_kernelINS0_14default_configENS1_38merge_sort_block_merge_config_selectorIbiEEZZNS1_27merge_sort_block_merge_implIS3_N6thrust23THRUST_200600_302600_NS6detail15normal_iteratorINS8_10device_ptrIbEEEENSA_INSB_IiEEEEjNS1_19radix_merge_compareILb0ELb0EbNS0_19identity_decomposerEEEEE10hipError_tT0_T1_T2_jT3_P12ihipStream_tbPNSt15iterator_traitsISK_E10value_typeEPNSQ_ISL_E10value_typeEPSM_NS1_7vsmem_tEENKUlT_SK_SL_SM_E_clIPbSD_PiSF_EESJ_SZ_SK_SL_SM_EUlSZ_E0_NS1_11comp_targetILNS1_3genE0ELNS1_11target_archE4294967295ELNS1_3gpuE0ELNS1_3repE0EEENS1_38merge_mergepath_config_static_selectorELNS0_4arch9wavefront6targetE1EEEvSL_
	.p2align	8
	.type	_ZN7rocprim17ROCPRIM_400000_NS6detail17trampoline_kernelINS0_14default_configENS1_38merge_sort_block_merge_config_selectorIbiEEZZNS1_27merge_sort_block_merge_implIS3_N6thrust23THRUST_200600_302600_NS6detail15normal_iteratorINS8_10device_ptrIbEEEENSA_INSB_IiEEEEjNS1_19radix_merge_compareILb0ELb0EbNS0_19identity_decomposerEEEEE10hipError_tT0_T1_T2_jT3_P12ihipStream_tbPNSt15iterator_traitsISK_E10value_typeEPNSQ_ISL_E10value_typeEPSM_NS1_7vsmem_tEENKUlT_SK_SL_SM_E_clIPbSD_PiSF_EESJ_SZ_SK_SL_SM_EUlSZ_E0_NS1_11comp_targetILNS1_3genE0ELNS1_11target_archE4294967295ELNS1_3gpuE0ELNS1_3repE0EEENS1_38merge_mergepath_config_static_selectorELNS0_4arch9wavefront6targetE1EEEvSL_,@function
_ZN7rocprim17ROCPRIM_400000_NS6detail17trampoline_kernelINS0_14default_configENS1_38merge_sort_block_merge_config_selectorIbiEEZZNS1_27merge_sort_block_merge_implIS3_N6thrust23THRUST_200600_302600_NS6detail15normal_iteratorINS8_10device_ptrIbEEEENSA_INSB_IiEEEEjNS1_19radix_merge_compareILb0ELb0EbNS0_19identity_decomposerEEEEE10hipError_tT0_T1_T2_jT3_P12ihipStream_tbPNSt15iterator_traitsISK_E10value_typeEPNSQ_ISL_E10value_typeEPSM_NS1_7vsmem_tEENKUlT_SK_SL_SM_E_clIPbSD_PiSF_EESJ_SZ_SK_SL_SM_EUlSZ_E0_NS1_11comp_targetILNS1_3genE0ELNS1_11target_archE4294967295ELNS1_3gpuE0ELNS1_3repE0EEENS1_38merge_mergepath_config_static_selectorELNS0_4arch9wavefront6targetE1EEEvSL_: ; @_ZN7rocprim17ROCPRIM_400000_NS6detail17trampoline_kernelINS0_14default_configENS1_38merge_sort_block_merge_config_selectorIbiEEZZNS1_27merge_sort_block_merge_implIS3_N6thrust23THRUST_200600_302600_NS6detail15normal_iteratorINS8_10device_ptrIbEEEENSA_INSB_IiEEEEjNS1_19radix_merge_compareILb0ELb0EbNS0_19identity_decomposerEEEEE10hipError_tT0_T1_T2_jT3_P12ihipStream_tbPNSt15iterator_traitsISK_E10value_typeEPNSQ_ISL_E10value_typeEPSM_NS1_7vsmem_tEENKUlT_SK_SL_SM_E_clIPbSD_PiSF_EESJ_SZ_SK_SL_SM_EUlSZ_E0_NS1_11comp_targetILNS1_3genE0ELNS1_11target_archE4294967295ELNS1_3gpuE0ELNS1_3repE0EEENS1_38merge_mergepath_config_static_selectorELNS0_4arch9wavefront6targetE1EEEvSL_
; %bb.0:
	s_load_dwordx2 s[22:23], s[0:1], 0x40
	s_load_dword s5, s[0:1], 0x30
	s_add_u32 s20, s0, 64
	s_addc_u32 s21, s1, 0
	s_waitcnt lgkmcnt(0)
	s_mul_i32 s4, s23, s4
	s_add_i32 s3, s4, s3
	s_mul_i32 s3, s3, s22
	s_add_i32 s18, s3, s2
	s_cmp_ge_u32 s18, s5
	s_cbranch_scc1 .LBB1917_48
; %bb.1:
	s_load_dwordx8 s[8:15], s[0:1], 0x10
	s_load_dwordx2 s[26:27], s[0:1], 0x8
	s_load_dwordx2 s[4:5], s[0:1], 0x38
	s_mov_b32 s19, 0
	v_mov_b32_e32 v3, 0
	s_waitcnt lgkmcnt(0)
	s_lshr_b32 s28, s14, 10
	s_cmp_lg_u32 s18, s28
	s_cselect_b64 s[16:17], -1, 0
	s_lshl_b64 s[0:1], s[18:19], 2
	s_add_u32 s4, s4, s0
	s_addc_u32 s5, s5, s1
	s_lshr_b32 s3, s15, 9
	s_and_b32 s3, s3, 0x7ffffe
	s_load_dwordx2 s[0:1], s[4:5], 0x0
	s_sub_i32 s3, 0, s3
	s_and_b32 s4, s18, s3
	s_lshl_b32 s5, s4, 10
	s_lshl_b32 s6, s18, 10
	;; [unrolled: 1-line block ×3, first 2 shown]
	s_sub_i32 s7, s6, s5
	s_add_i32 s23, s4, s15
	s_add_i32 s7, s23, s7
	s_waitcnt lgkmcnt(0)
	s_sub_i32 s4, s7, s0
	s_sub_i32 s7, s7, s1
	;; [unrolled: 1-line block ×3, first 2 shown]
	s_min_u32 s4, s14, s4
	s_addk_i32 s7, 0x400
	s_or_b32 s3, s18, s3
	s_min_u32 s23, s14, s5
	s_add_i32 s5, s5, s15
	s_cmp_eq_u32 s3, -1
	s_cselect_b32 s3, s5, s7
	s_cselect_b32 s1, s23, s1
	s_min_u32 s15, s3, s14
	s_sub_i32 s7, s1, s0
	s_add_u32 s23, s26, s0
	s_addc_u32 s24, s27, 0
	s_add_u32 s25, s26, s4
	s_addc_u32 s26, s27, 0
	s_cmp_lt_u32 s2, s22
	s_cselect_b32 s1, 12, 18
	global_load_dword v1, v3, s[20:21] offset:14
	s_add_u32 s2, s20, s1
	s_addc_u32 s3, s21, 0
	global_load_ushort v2, v3, s[2:3]
	s_mov_b32 s1, s19
	s_mov_b32 s5, s19
	s_cmp_eq_u32 s18, s28
	s_waitcnt vmcnt(1)
	v_lshrrev_b32_e32 v4, 16, v1
	v_and_b32_e32 v1, 0xffff, v1
	v_mul_lo_u32 v1, v1, v4
	s_waitcnt vmcnt(0)
	v_mul_lo_u32 v13, v1, v2
	v_add_u32_e32 v8, v13, v0
	s_cbranch_scc1 .LBB1917_3
; %bb.2:
	v_subrev_u32_e32 v1, s7, v0
	v_min_u32_e32 v2, v0, v1
	v_mov_b32_e32 v1, s26
	v_mov_b32_e32 v9, s24
	v_cmp_gt_u32_e32 vcc, s7, v0
	v_mov_b32_e32 v10, s25
	v_mov_b32_e32 v12, s23
	v_cndmask_b32_e32 v5, v1, v9, vcc
	v_cndmask_b32_e32 v4, v10, v12, vcc
	v_lshl_add_u64 v[4:5], v[4:5], 0, v[2:3]
	v_subrev_u32_e32 v2, s7, v8
	v_cmp_gt_u32_e32 vcc, s7, v8
	v_min_u32_e32 v2, v8, v2
	v_add_u32_e32 v14, v8, v13
	v_cndmask_b32_e32 v7, v1, v9, vcc
	v_cndmask_b32_e32 v6, v10, v12, vcc
	v_lshl_add_u64 v[6:7], v[6:7], 0, v[2:3]
	v_subrev_u32_e32 v2, s7, v14
	v_cmp_gt_u32_e32 vcc, s7, v14
	v_min_u32_e32 v2, v14, v2
	s_mov_b32 s2, 0xc0c0004
	v_cndmask_b32_e32 v11, v1, v9, vcc
	v_cndmask_b32_e32 v10, v10, v12, vcc
	v_lshl_add_u64 v[2:3], v[10:11], 0, v[2:3]
	global_load_ubyte v9, v[6:7], off
	global_load_ubyte v10, v[4:5], off
	;; [unrolled: 1-line block ×3, first 2 shown]
	v_add_u32_e32 v1, v14, v13
	s_waitcnt vmcnt(1)
	v_perm_b32 v2, v10, v9, s2
	s_waitcnt vmcnt(0)
	v_lshl_or_b32 v12, v11, 16, v2
	s_mov_b64 s[2:3], -1
	s_sub_i32 s15, s15, s4
	s_cbranch_execz .LBB1917_4
	s_branch .LBB1917_11
.LBB1917_3:
	s_mov_b64 s[2:3], 0
                                        ; implicit-def: $vgpr1
                                        ; implicit-def: $vgpr12
	s_sub_i32 s15, s15, s4
.LBB1917_4:
	s_add_i32 s18, s15, s7
	v_cmp_gt_u32_e32 vcc, s18, v0
	v_mov_b32_e32 v12, 0
	s_and_saveexec_b64 s[2:3], vcc
	s_cbranch_execz .LBB1917_6
; %bb.5:
	v_mov_b32_e32 v1, s26
	v_mov_b32_e32 v2, s24
	v_cmp_gt_u32_e32 vcc, s7, v0
	v_mov_b32_e32 v5, 0
	s_nop 0
	v_cndmask_b32_e32 v3, v1, v2, vcc
	v_mov_b32_e32 v1, s25
	v_mov_b32_e32 v2, s23
	v_cndmask_b32_e32 v2, v1, v2, vcc
	v_subrev_u32_e32 v1, s7, v0
	v_min_u32_e32 v4, v0, v1
	v_lshl_add_u64 v[2:3], v[2:3], 0, v[4:5]
	global_load_ubyte v12, v[2:3], off
.LBB1917_6:
	s_or_b64 exec, exec, s[2:3]
	v_cmp_gt_u32_e32 vcc, s18, v8
	s_and_saveexec_b64 s[2:3], vcc
	s_cbranch_execz .LBB1917_8
; %bb.7:
	v_mov_b32_e32 v1, s26
	v_mov_b32_e32 v2, s24
	v_cmp_gt_u32_e32 vcc, s7, v8
	v_mov_b32_e32 v5, 0
	s_nop 0
	v_cndmask_b32_e32 v3, v1, v2, vcc
	v_mov_b32_e32 v1, s25
	v_mov_b32_e32 v2, s23
	v_cndmask_b32_e32 v2, v1, v2, vcc
	v_subrev_u32_e32 v1, s7, v8
	v_min_u32_e32 v4, v8, v1
	v_lshl_add_u64 v[2:3], v[2:3], 0, v[4:5]
	global_load_ubyte v1, v[2:3], off
	s_waitcnt vmcnt(0)
	v_lshlrev_b16_e32 v1, 8, v1
	v_or_b32_e32 v1, v12, v1
	v_and_b32_e32 v12, 0xffff, v1
.LBB1917_8:
	s_or_b64 exec, exec, s[2:3]
	v_add_u32_e32 v1, v8, v13
	v_cmp_gt_u32_e32 vcc, s18, v1
	s_and_saveexec_b64 s[2:3], vcc
	s_cbranch_execz .LBB1917_10
; %bb.9:
	v_mov_b32_e32 v2, s26
	v_mov_b32_e32 v3, s24
	v_cmp_gt_u32_e32 vcc, s7, v1
	v_mov_b32_e32 v4, s23
	v_mov_b32_e32 v5, 0
	v_cndmask_b32_e32 v3, v2, v3, vcc
	v_mov_b32_e32 v2, s25
	v_cndmask_b32_e32 v2, v2, v4, vcc
	v_subrev_u32_e32 v4, s7, v1
	v_min_u32_e32 v4, v1, v4
	v_lshl_add_u64 v[2:3], v[2:3], 0, v[4:5]
	global_load_ubyte v2, v[2:3], off
	s_waitcnt vmcnt(0)
	v_lshl_or_b32 v12, v2, 16, v12
.LBB1917_10:
	s_or_b64 exec, exec, s[2:3]
	v_add_u32_e32 v1, v1, v13
	v_cmp_gt_u32_e64 s[2:3], s18, v1
.LBB1917_11:
	s_and_saveexec_b64 s[18:19], s[2:3]
	s_cbranch_execz .LBB1917_13
; %bb.12:
	v_subrev_u32_e32 v2, s7, v1
	v_mov_b32_e32 v3, s26
	v_mov_b32_e32 v4, s24
	v_cmp_gt_u32_e32 vcc, s7, v1
	v_min_u32_e32 v2, v1, v2
	v_mov_b32_e32 v1, s25
	v_cndmask_b32_e32 v5, v3, v4, vcc
	v_mov_b32_e32 v3, s23
	v_cndmask_b32_e32 v4, v1, v3, vcc
	v_mov_b32_e32 v3, 0
	v_lshl_add_u64 v[2:3], v[4:5], 0, v[2:3]
	global_load_ubyte v1, v[2:3], off
	s_mov_b32 s2, 0x60504
	s_waitcnt vmcnt(0)
	v_perm_b32 v12, v12, v1, s2
.LBB1917_13:
	s_or_b64 exec, exec, s[18:19]
	s_lshl_b64 s[0:1], s[0:1], 2
	s_add_u32 s0, s10, s0
	s_addc_u32 s1, s11, s1
	s_lshl_b64 s[2:3], s[4:5], 2
	s_add_u32 s2, s10, s2
	s_waitcnt vmcnt(0)
	v_lshrrev_b32_e32 v14, 16, v12
	v_mov_b32_e32 v1, 0
	v_lshrrev_b32_e32 v15, 8, v12
	v_lshrrev_b32_e32 v16, 24, v12
	s_addc_u32 s3, s11, s3
	s_andn2_b64 vcc, exec, s[16:17]
	v_lshlrev_b32_e32 v6, 2, v0
	v_add_u32_e32 v10, v8, v13
	ds_write_b8 v0, v12
	ds_write_b8 v0, v15 offset:256
	ds_write_b8 v0, v14 offset:512
	;; [unrolled: 1-line block ×3, first 2 shown]
	s_cbranch_vccnz .LBB1917_15
; %bb.14:
	v_mov_b32_e32 v7, v1
	v_subrev_co_u32_e32 v4, vcc, s7, v0
	v_mov_b32_e32 v5, v1
	v_lshl_add_u64 v[2:3], s[0:1], 0, v[6:7]
	v_lshl_add_u64 v[4:5], v[4:5], 2, s[2:3]
	v_cndmask_b32_e32 v3, v5, v3, vcc
	v_cndmask_b32_e32 v2, v4, v2, vcc
	v_mov_b32_e32 v9, v1
	v_subrev_co_u32_e32 v18, vcc, s7, v8
	v_mov_b32_e32 v19, v1
	v_lshl_add_u64 v[4:5], v[8:9], 2, s[0:1]
	v_lshl_add_u64 v[18:19], v[18:19], 2, s[2:3]
	v_cndmask_b32_e32 v5, v19, v5, vcc
	v_cndmask_b32_e32 v4, v18, v4, vcc
	v_mov_b32_e32 v11, v1
	v_subrev_co_u32_e32 v18, vcc, s7, v10
	v_mov_b32_e32 v19, v1
	global_load_dword v2, v[2:3], off
	v_lshl_add_u64 v[18:19], v[18:19], 2, s[2:3]
	global_load_dword v3, v[4:5], off
	v_lshl_add_u64 v[4:5], v[10:11], 2, s[0:1]
	v_cndmask_b32_e32 v5, v19, v5, vcc
	v_cndmask_b32_e32 v4, v18, v4, vcc
	v_add_u32_e32 v18, v10, v13
	v_mov_b32_e32 v19, v1
	v_lshl_add_u64 v[20:21], v[18:19], 2, s[0:1]
	v_subrev_co_u32_e32 v18, vcc, s7, v18
	v_lshl_add_u64 v[18:19], v[18:19], 2, s[2:3]
	s_nop 0
	v_cndmask_b32_e32 v19, v19, v21, vcc
	v_cndmask_b32_e32 v18, v18, v20, vcc
	global_load_dword v4, v[4:5], off
	s_add_i32 s18, s15, s7
	global_load_dword v5, v[18:19], off
	s_cbranch_execz .LBB1917_16
	s_branch .LBB1917_23
.LBB1917_15:
                                        ; implicit-def: $vgpr2_vgpr3_vgpr4_vgpr5
                                        ; implicit-def: $sgpr18
.LBB1917_16:
	s_add_i32 s18, s15, s7
	s_waitcnt vmcnt(3)
	v_mov_b32_e32 v2, 0
	v_cmp_gt_u32_e32 vcc, s18, v0
	s_waitcnt vmcnt(2)
	v_mov_b32_e32 v3, v2
	s_waitcnt vmcnt(1)
	v_mov_b32_e32 v4, v2
	s_waitcnt vmcnt(0)
	v_mov_b32_e32 v5, v2
	s_and_saveexec_b64 s[4:5], vcc
	s_cbranch_execnz .LBB1917_49
; %bb.17:
	s_or_b64 exec, exec, s[4:5]
	v_cmp_gt_u32_e32 vcc, s18, v8
	s_and_saveexec_b64 s[4:5], vcc
	s_cbranch_execnz .LBB1917_50
.LBB1917_18:
	s_or_b64 exec, exec, s[4:5]
	v_cmp_gt_u32_e32 vcc, s18, v10
	s_and_saveexec_b64 s[4:5], vcc
	s_cbranch_execz .LBB1917_20
.LBB1917_19:
	v_mov_b32_e32 v11, 0
	v_subrev_co_u32_e32 v18, vcc, s7, v10
	v_mov_b32_e32 v19, v11
	v_lshl_add_u64 v[8:9], v[10:11], 2, s[0:1]
	v_lshl_add_u64 v[18:19], v[18:19], 2, s[2:3]
	v_cndmask_b32_e32 v9, v19, v9, vcc
	v_cndmask_b32_e32 v8, v18, v8, vcc
	global_load_dword v4, v[8:9], off
.LBB1917_20:
	s_or_b64 exec, exec, s[4:5]
	v_add_u32_e32 v8, v10, v13
	v_cmp_gt_u32_e32 vcc, s18, v8
	s_and_saveexec_b64 s[4:5], vcc
	s_cbranch_execz .LBB1917_22
; %bb.21:
	v_mov_b32_e32 v9, 0
	v_lshl_add_u64 v[10:11], v[8:9], 2, s[0:1]
	v_subrev_co_u32_e32 v8, vcc, s7, v8
	v_lshl_add_u64 v[8:9], v[8:9], 2, s[2:3]
	s_nop 0
	v_cndmask_b32_e32 v9, v9, v11, vcc
	v_cndmask_b32_e32 v8, v8, v10, vcc
	global_load_dword v5, v[8:9], off
.LBB1917_22:
	s_or_b64 exec, exec, s[4:5]
.LBB1917_23:
	v_lshlrev_b32_e32 v7, 2, v0
	v_min_u32_e32 v9, s18, v7
	v_sub_u32_e64 v8, v9, s15 clamp
	v_min_u32_e32 v10, s7, v9
	v_cmp_lt_u32_e32 vcc, v8, v10
	s_waitcnt lgkmcnt(0)
	s_barrier
	s_and_saveexec_b64 s[0:1], vcc
	s_cbranch_execz .LBB1917_27
; %bb.24:
	v_add_u32_e32 v11, s7, v9
	s_mov_b64 s[2:3], 0
.LBB1917_25:                            ; =>This Inner Loop Header: Depth=1
	v_add_u32_e32 v13, v10, v8
	v_lshrrev_b32_e32 v13, 1, v13
	v_xad_u32 v17, v13, -1, v11
	ds_read_u8 v18, v13
	ds_read_u8 v17, v17
	v_add_u32_e32 v19, 1, v13
	s_waitcnt lgkmcnt(0)
	v_cmp_gt_u16_e32 vcc, v18, v17
	s_nop 1
	v_cndmask_b32_e32 v10, v10, v13, vcc
	v_cndmask_b32_e32 v8, v19, v8, vcc
	v_cmp_ge_u32_e32 vcc, v8, v10
	s_or_b64 s[2:3], vcc, s[2:3]
	s_andn2_b64 exec, exec, s[2:3]
	s_cbranch_execnz .LBB1917_25
; %bb.26:
	s_or_b64 exec, exec, s[2:3]
.LBB1917_27:
	s_or_b64 exec, exec, s[0:1]
	v_sub_u32_e32 v9, v9, v8
	v_add_u32_e32 v17, s7, v9
	v_cmp_ge_u32_e32 vcc, s7, v8
	v_cmp_ge_u32_e64 s[0:1], s18, v17
	s_or_b64 s[0:1], vcc, s[0:1]
	v_mov_b32_e32 v11, 0
	v_mov_b32_e32 v13, 0
	;; [unrolled: 1-line block ×4, first 2 shown]
	s_and_saveexec_b64 s[10:11], s[0:1]
	s_cbranch_execz .LBB1917_33
; %bb.28:
	v_cmp_gt_u32_e32 vcc, s7, v8
                                        ; implicit-def: $vgpr11
	s_and_saveexec_b64 s[0:1], vcc
; %bb.29:
	ds_read_u8 v11, v8
; %bb.30:
	s_or_b64 exec, exec, s[0:1]
	v_cmp_le_u32_e64 s[0:1], s18, v17
	v_cmp_gt_u32_e64 s[2:3], s18, v17
                                        ; implicit-def: $vgpr12
	s_and_saveexec_b64 s[4:5], s[2:3]
; %bb.31:
	ds_read_u8 v12, v17
; %bb.32:
	s_or_b64 exec, exec, s[4:5]
	s_waitcnt lgkmcnt(0)
	v_cmp_le_u16_sdwa s[2:3], v11, v12 src0_sel:BYTE_0 src1_sel:BYTE_0
	s_and_b64 s[2:3], vcc, s[2:3]
	s_or_b64 vcc, s[0:1], s[2:3]
	v_mov_b32_e32 v14, s18
	v_mov_b32_e32 v15, s7
	v_cndmask_b32_e32 v9, v17, v8, vcc
	v_cndmask_b32_e32 v10, v14, v15, vcc
	v_add_u32_e32 v13, 1, v9
	v_add_u32_e32 v10, -1, v10
	v_min_u32_e32 v10, v13, v10
	ds_read_u8 v10, v10
	v_cndmask_b32_e32 v8, v8, v13, vcc
	v_cndmask_b32_e32 v17, v13, v17, vcc
	v_cmp_gt_u32_e64 s[2:3], s7, v8
	v_cmp_le_u32_e64 s[0:1], s18, v17
	s_waitcnt lgkmcnt(0)
	v_cndmask_b32_e32 v16, v10, v12, vcc
	v_cndmask_b32_e32 v18, v11, v10, vcc
	v_cmp_le_u16_sdwa s[4:5], v18, v16 src0_sel:BYTE_0 src1_sel:BYTE_0
	s_and_b64 s[2:3], s[2:3], s[4:5]
	s_or_b64 s[0:1], s[0:1], s[2:3]
	v_cndmask_b32_e64 v10, v17, v8, s[0:1]
	v_cndmask_b32_e64 v13, v14, v15, s[0:1]
	v_add_u32_e32 v19, 1, v10
	v_add_u32_e32 v13, -1, v13
	v_min_u32_e32 v13, v19, v13
	ds_read_u8 v13, v13
	v_cndmask_b32_e64 v8, v8, v19, s[0:1]
	v_cndmask_b32_e64 v17, v19, v17, s[0:1]
	v_cmp_gt_u32_e64 s[4:5], s7, v8
	v_cmp_le_u32_e64 s[2:3], s18, v17
	s_waitcnt lgkmcnt(0)
	v_cndmask_b32_e64 v20, v13, v16, s[0:1]
	v_cndmask_b32_e64 v21, v18, v13, s[0:1]
	v_cmp_le_u16_sdwa s[20:21], v21, v20 src0_sel:BYTE_0 src1_sel:BYTE_0
	s_and_b64 s[4:5], s[4:5], s[20:21]
	s_or_b64 s[2:3], s[2:3], s[4:5]
	v_cndmask_b32_e64 v13, v17, v8, s[2:3]
	v_cndmask_b32_e64 v14, v14, v15, s[2:3]
	v_add_u32_e32 v19, 1, v13
	v_add_u32_e32 v14, -1, v14
	v_min_u32_e32 v14, v19, v14
	ds_read_u8 v22, v14
	v_cndmask_b32_e64 v15, v16, v18, s[0:1]
	v_cndmask_b32_e64 v8, v8, v19, s[2:3]
	v_cndmask_b32_e32 v12, v12, v11, vcc
	v_cndmask_b32_e64 v14, v20, v21, s[2:3]
	s_waitcnt lgkmcnt(0)
	v_cndmask_b32_e64 v16, v22, v20, s[2:3]
	v_cndmask_b32_e64 v18, v21, v22, s[2:3]
	;; [unrolled: 1-line block ×3, first 2 shown]
	v_cmp_gt_u32_e64 s[0:1], s7, v8
	v_cmp_le_u16_sdwa s[2:3], v18, v16 src0_sel:BYTE_0 src1_sel:BYTE_0
	v_cmp_le_u32_e32 vcc, s18, v11
	s_and_b64 s[0:1], s[0:1], s[2:3]
	s_or_b64 vcc, vcc, s[0:1]
	v_cndmask_b32_e32 v11, v11, v8, vcc
	v_cndmask_b32_e32 v16, v16, v18, vcc
.LBB1917_33:
	s_or_b64 exec, exec, s[10:11]
	v_mad_u32_u24 v8, v0, 3, v0
	s_barrier
	s_waitcnt vmcnt(0)
	ds_write2st64_b32 v8, v2, v3 offset1:4
	ds_write2st64_b32 v8, v4, v5 offset0:8 offset1:12
	v_lshlrev_b32_e32 v2, 2, v9
	v_lshlrev_b32_e32 v3, 2, v10
	;; [unrolled: 1-line block ×3, first 2 shown]
	s_waitcnt lgkmcnt(0)
	s_barrier
	v_lshlrev_b32_e32 v4, 2, v13
	ds_read_b32 v5, v2
	ds_read_b32 v8, v3
	;; [unrolled: 1-line block ×4, first 2 shown]
	v_lshrrev_b32_e32 v11, 3, v0
	v_and_b32_e32 v2, 28, v11
	s_mov_b32 s2, 0xc0c0004
	v_add_u32_e32 v4, v2, v7
	v_perm_b32 v2, v12, v15, s2
	v_perm_b32 v3, v14, v16, s2
	v_or_b32_e32 v17, 0x100, v0
	v_or_b32_e32 v16, 0x200, v0
	;; [unrolled: 1-line block ×3, first 2 shown]
	s_add_u32 s0, s8, s6
	v_lshrrev_b32_e32 v12, 5, v17
	v_lshrrev_b32_e32 v13, 5, v16
	;; [unrolled: 1-line block ×3, first 2 shown]
	s_addc_u32 s1, s9, 0
	v_lshl_or_b32 v2, v3, 16, v2
	v_lshrrev_b32_e32 v22, 5, v0
	v_and_b32_e32 v19, 12, v12
	v_and_b32_e32 v20, 20, v13
	;; [unrolled: 1-line block ×3, first 2 shown]
	s_waitcnt lgkmcnt(0)
	s_barrier
	s_barrier
	s_mov_b32 s7, 0
	ds_write_b32 v4, v2
	v_and_b32_e32 v18, 4, v22
	v_lshl_add_u64 v[2:3], s[0:1], 0, v[0:1]
	s_and_b64 vcc, exec, s[16:17]
	v_add_u32_e32 v19, v19, v0
	v_add_u32_e32 v20, v20, v0
	;; [unrolled: 1-line block ×3, first 2 shown]
	v_lshlrev_b32_e32 v1, 2, v7
	s_waitcnt lgkmcnt(0)
	s_cbranch_vccz .LBB1917_35
; %bb.34:
	v_add_u32_e32 v23, v18, v0
	s_barrier
	ds_read_u8 v23, v23
	ds_read_u8 v24, v19 offset:256
	ds_read_u8 v25, v20 offset:512
	;; [unrolled: 1-line block ×3, first 2 shown]
	v_lshl_add_u32 v22, v22, 2, v7
	s_lshl_b64 s[0:1], s[6:7], 2
	s_waitcnt lgkmcnt(3)
	global_store_byte v[2:3], v23, off
	s_waitcnt lgkmcnt(2)
	global_store_byte v[2:3], v24, off offset:256
	s_waitcnt lgkmcnt(1)
	global_store_byte v[2:3], v25, off offset:512
	;; [unrolled: 2-line block ×3, first 2 shown]
	v_lshl_add_u32 v23, v11, 2, v1
	s_barrier
	ds_write2_b32 v23, v5, v8 offset1:1
	ds_write2_b32 v23, v9, v10 offset0:2 offset1:3
	v_lshl_add_u32 v23, v12, 2, v7
	v_lshl_add_u32 v24, v13, 2, v7
	s_waitcnt lgkmcnt(0)
	s_barrier
	ds_read_b32 v25, v22
	ds_read_b32 v23, v23 offset:1024
	ds_read_b32 v24, v24 offset:2048
	v_lshl_add_u32 v22, v14, 2, v7
	ds_read_b32 v22, v22 offset:3072
	s_add_u32 s0, s12, s0
	s_addc_u32 s1, s13, s1
	s_waitcnt lgkmcnt(3)
	global_store_dword v6, v25, s[0:1]
	s_waitcnt lgkmcnt(2)
	global_store_dword v6, v23, s[0:1] offset:1024
	s_waitcnt lgkmcnt(1)
	global_store_dword v6, v24, s[0:1] offset:2048
	s_mov_b64 s[4:5], -1
	s_cbranch_execz .LBB1917_36
	s_branch .LBB1917_46
.LBB1917_35:
	s_mov_b64 s[4:5], 0
                                        ; implicit-def: $vgpr22
.LBB1917_36:
	s_barrier
	s_waitcnt lgkmcnt(0)
	ds_read_u8 v22, v19 offset:256
	ds_read_u8 v20, v20 offset:512
	;; [unrolled: 1-line block ×3, first 2 shown]
	s_sub_i32 s8, s14, s6
	v_cmp_gt_u32_e32 vcc, s8, v0
	s_and_saveexec_b64 s[0:1], vcc
	s_cbranch_execnz .LBB1917_51
; %bb.37:
	s_or_b64 exec, exec, s[0:1]
	v_cmp_gt_u32_e64 s[0:1], s8, v17
	s_and_saveexec_b64 s[2:3], s[0:1]
	s_cbranch_execnz .LBB1917_52
.LBB1917_38:
	s_or_b64 exec, exec, s[2:3]
	v_cmp_gt_u32_e64 s[2:3], s8, v16
	s_and_saveexec_b64 s[4:5], s[2:3]
	s_cbranch_execnz .LBB1917_53
.LBB1917_39:
	s_or_b64 exec, exec, s[4:5]
	v_cmp_gt_u32_e64 s[4:5], s8, v15
	s_and_saveexec_b64 s[8:9], s[4:5]
	s_cbranch_execz .LBB1917_41
.LBB1917_40:
	s_waitcnt lgkmcnt(0)
	global_store_byte v[2:3], v19, off offset:768
.LBB1917_41:
	s_or_b64 exec, exec, s[8:9]
	v_lshl_add_u32 v0, v11, 2, v1
	s_waitcnt lgkmcnt(0)
	s_barrier
	ds_write2_b32 v0, v5, v8 offset1:1
	ds_write2_b32 v0, v9, v10 offset0:2 offset1:3
	v_lshl_add_u32 v0, v12, 2, v7
	s_waitcnt lgkmcnt(0)
	s_barrier
	v_lshl_add_u32 v1, v13, 2, v7
	v_lshl_add_u32 v5, v14, 2, v7
	ds_read_b32 v3, v0 offset:1024
	ds_read_b32 v2, v1 offset:2048
	;; [unrolled: 1-line block ×3, first 2 shown]
	s_lshl_b64 s[8:9], s[6:7], 2
	s_add_u32 s8, s12, s8
	s_addc_u32 s9, s13, s9
	v_mov_b32_e32 v7, 0
	v_lshl_add_u64 v[0:1], s[8:9], 0, v[6:7]
	s_and_saveexec_b64 s[8:9], vcc
	s_cbranch_execnz .LBB1917_54
; %bb.42:
	s_or_b64 exec, exec, s[8:9]
	s_and_saveexec_b64 s[8:9], s[0:1]
	s_cbranch_execnz .LBB1917_55
.LBB1917_43:
	s_or_b64 exec, exec, s[8:9]
	s_and_saveexec_b64 s[0:1], s[2:3]
	s_cbranch_execz .LBB1917_45
.LBB1917_44:
	s_waitcnt lgkmcnt(1)
	global_store_dword v[0:1], v2, off offset:2048
.LBB1917_45:
	s_or_b64 exec, exec, s[0:1]
.LBB1917_46:
	s_and_saveexec_b64 s[0:1], s[4:5]
	s_cbranch_execz .LBB1917_48
; %bb.47:
	s_lshl_b64 s[0:1], s[6:7], 2
	s_add_u32 s0, s12, s0
	s_addc_u32 s1, s13, s1
	s_waitcnt lgkmcnt(0)
	global_store_dword v6, v22, s[0:1] offset:3072
.LBB1917_48:
	s_endpgm
.LBB1917_49:
	v_mov_b32_e32 v7, v2
	v_subrev_co_u32_e32 v18, vcc, s7, v0
	v_mov_b32_e32 v19, v2
	v_lshl_add_u64 v[4:5], s[0:1], 0, v[6:7]
	v_lshl_add_u64 v[18:19], v[18:19], 2, s[2:3]
	v_cndmask_b32_e32 v5, v19, v5, vcc
	v_cndmask_b32_e32 v4, v18, v4, vcc
	global_load_dword v18, v[4:5], off
	v_mov_b32_e32 v19, v2
	v_mov_b32_e32 v20, v2
	;; [unrolled: 1-line block ×3, first 2 shown]
	s_waitcnt vmcnt(0)
	v_mov_b64_e32 v[2:3], v[18:19]
	v_mov_b64_e32 v[4:5], v[20:21]
	s_or_b64 exec, exec, s[4:5]
	v_cmp_gt_u32_e32 vcc, s18, v8
	s_and_saveexec_b64 s[4:5], vcc
	s_cbranch_execz .LBB1917_18
.LBB1917_50:
	v_mov_b32_e32 v9, 0
	v_lshl_add_u64 v[18:19], v[8:9], 2, s[0:1]
	v_subrev_co_u32_e32 v8, vcc, s7, v8
	v_lshl_add_u64 v[8:9], v[8:9], 2, s[2:3]
	s_nop 0
	v_cndmask_b32_e32 v9, v9, v19, vcc
	v_cndmask_b32_e32 v8, v8, v18, vcc
	global_load_dword v3, v[8:9], off
	s_or_b64 exec, exec, s[4:5]
	v_cmp_gt_u32_e32 vcc, s18, v10
	s_and_saveexec_b64 s[4:5], vcc
	s_cbranch_execnz .LBB1917_19
	s_branch .LBB1917_20
.LBB1917_51:
	v_add_u32_e32 v0, v18, v0
	ds_read_u8 v0, v0
	s_waitcnt lgkmcnt(0)
	global_store_byte v[2:3], v0, off
	s_or_b64 exec, exec, s[0:1]
	v_cmp_gt_u32_e64 s[0:1], s8, v17
	s_and_saveexec_b64 s[2:3], s[0:1]
	s_cbranch_execz .LBB1917_38
.LBB1917_52:
	s_waitcnt lgkmcnt(2)
	global_store_byte v[2:3], v22, off offset:256
	s_or_b64 exec, exec, s[2:3]
	v_cmp_gt_u32_e64 s[2:3], s8, v16
	s_and_saveexec_b64 s[4:5], s[2:3]
	s_cbranch_execz .LBB1917_39
.LBB1917_53:
	s_waitcnt lgkmcnt(1)
	global_store_byte v[2:3], v20, off offset:512
	s_or_b64 exec, exec, s[4:5]
	v_cmp_gt_u32_e64 s[4:5], s8, v15
	s_and_saveexec_b64 s[8:9], s[4:5]
	s_cbranch_execnz .LBB1917_40
	s_branch .LBB1917_41
.LBB1917_54:
	ds_read_b32 v4, v4
	s_waitcnt lgkmcnt(0)
	global_store_dword v[0:1], v4, off
	s_or_b64 exec, exec, s[8:9]
	s_and_saveexec_b64 s[8:9], s[0:1]
	s_cbranch_execz .LBB1917_43
.LBB1917_55:
	s_waitcnt lgkmcnt(2)
	global_store_dword v[0:1], v3, off offset:1024
	s_or_b64 exec, exec, s[8:9]
	s_and_saveexec_b64 s[0:1], s[2:3]
	s_cbranch_execnz .LBB1917_44
	s_branch .LBB1917_45
	.section	.rodata,"a",@progbits
	.p2align	6, 0x0
	.amdhsa_kernel _ZN7rocprim17ROCPRIM_400000_NS6detail17trampoline_kernelINS0_14default_configENS1_38merge_sort_block_merge_config_selectorIbiEEZZNS1_27merge_sort_block_merge_implIS3_N6thrust23THRUST_200600_302600_NS6detail15normal_iteratorINS8_10device_ptrIbEEEENSA_INSB_IiEEEEjNS1_19radix_merge_compareILb0ELb0EbNS0_19identity_decomposerEEEEE10hipError_tT0_T1_T2_jT3_P12ihipStream_tbPNSt15iterator_traitsISK_E10value_typeEPNSQ_ISL_E10value_typeEPSM_NS1_7vsmem_tEENKUlT_SK_SL_SM_E_clIPbSD_PiSF_EESJ_SZ_SK_SL_SM_EUlSZ_E0_NS1_11comp_targetILNS1_3genE0ELNS1_11target_archE4294967295ELNS1_3gpuE0ELNS1_3repE0EEENS1_38merge_mergepath_config_static_selectorELNS0_4arch9wavefront6targetE1EEEvSL_
		.amdhsa_group_segment_fixed_size 4224
		.amdhsa_private_segment_fixed_size 0
		.amdhsa_kernarg_size 320
		.amdhsa_user_sgpr_count 2
		.amdhsa_user_sgpr_dispatch_ptr 0
		.amdhsa_user_sgpr_queue_ptr 0
		.amdhsa_user_sgpr_kernarg_segment_ptr 1
		.amdhsa_user_sgpr_dispatch_id 0
		.amdhsa_user_sgpr_kernarg_preload_length 0
		.amdhsa_user_sgpr_kernarg_preload_offset 0
		.amdhsa_user_sgpr_private_segment_size 0
		.amdhsa_uses_dynamic_stack 0
		.amdhsa_enable_private_segment 0
		.amdhsa_system_sgpr_workgroup_id_x 1
		.amdhsa_system_sgpr_workgroup_id_y 1
		.amdhsa_system_sgpr_workgroup_id_z 1
		.amdhsa_system_sgpr_workgroup_info 0
		.amdhsa_system_vgpr_workitem_id 0
		.amdhsa_next_free_vgpr 27
		.amdhsa_next_free_sgpr 29
		.amdhsa_accum_offset 28
		.amdhsa_reserve_vcc 1
		.amdhsa_float_round_mode_32 0
		.amdhsa_float_round_mode_16_64 0
		.amdhsa_float_denorm_mode_32 3
		.amdhsa_float_denorm_mode_16_64 3
		.amdhsa_dx10_clamp 1
		.amdhsa_ieee_mode 1
		.amdhsa_fp16_overflow 0
		.amdhsa_tg_split 0
		.amdhsa_exception_fp_ieee_invalid_op 0
		.amdhsa_exception_fp_denorm_src 0
		.amdhsa_exception_fp_ieee_div_zero 0
		.amdhsa_exception_fp_ieee_overflow 0
		.amdhsa_exception_fp_ieee_underflow 0
		.amdhsa_exception_fp_ieee_inexact 0
		.amdhsa_exception_int_div_zero 0
	.end_amdhsa_kernel
	.section	.text._ZN7rocprim17ROCPRIM_400000_NS6detail17trampoline_kernelINS0_14default_configENS1_38merge_sort_block_merge_config_selectorIbiEEZZNS1_27merge_sort_block_merge_implIS3_N6thrust23THRUST_200600_302600_NS6detail15normal_iteratorINS8_10device_ptrIbEEEENSA_INSB_IiEEEEjNS1_19radix_merge_compareILb0ELb0EbNS0_19identity_decomposerEEEEE10hipError_tT0_T1_T2_jT3_P12ihipStream_tbPNSt15iterator_traitsISK_E10value_typeEPNSQ_ISL_E10value_typeEPSM_NS1_7vsmem_tEENKUlT_SK_SL_SM_E_clIPbSD_PiSF_EESJ_SZ_SK_SL_SM_EUlSZ_E0_NS1_11comp_targetILNS1_3genE0ELNS1_11target_archE4294967295ELNS1_3gpuE0ELNS1_3repE0EEENS1_38merge_mergepath_config_static_selectorELNS0_4arch9wavefront6targetE1EEEvSL_,"axG",@progbits,_ZN7rocprim17ROCPRIM_400000_NS6detail17trampoline_kernelINS0_14default_configENS1_38merge_sort_block_merge_config_selectorIbiEEZZNS1_27merge_sort_block_merge_implIS3_N6thrust23THRUST_200600_302600_NS6detail15normal_iteratorINS8_10device_ptrIbEEEENSA_INSB_IiEEEEjNS1_19radix_merge_compareILb0ELb0EbNS0_19identity_decomposerEEEEE10hipError_tT0_T1_T2_jT3_P12ihipStream_tbPNSt15iterator_traitsISK_E10value_typeEPNSQ_ISL_E10value_typeEPSM_NS1_7vsmem_tEENKUlT_SK_SL_SM_E_clIPbSD_PiSF_EESJ_SZ_SK_SL_SM_EUlSZ_E0_NS1_11comp_targetILNS1_3genE0ELNS1_11target_archE4294967295ELNS1_3gpuE0ELNS1_3repE0EEENS1_38merge_mergepath_config_static_selectorELNS0_4arch9wavefront6targetE1EEEvSL_,comdat
.Lfunc_end1917:
	.size	_ZN7rocprim17ROCPRIM_400000_NS6detail17trampoline_kernelINS0_14default_configENS1_38merge_sort_block_merge_config_selectorIbiEEZZNS1_27merge_sort_block_merge_implIS3_N6thrust23THRUST_200600_302600_NS6detail15normal_iteratorINS8_10device_ptrIbEEEENSA_INSB_IiEEEEjNS1_19radix_merge_compareILb0ELb0EbNS0_19identity_decomposerEEEEE10hipError_tT0_T1_T2_jT3_P12ihipStream_tbPNSt15iterator_traitsISK_E10value_typeEPNSQ_ISL_E10value_typeEPSM_NS1_7vsmem_tEENKUlT_SK_SL_SM_E_clIPbSD_PiSF_EESJ_SZ_SK_SL_SM_EUlSZ_E0_NS1_11comp_targetILNS1_3genE0ELNS1_11target_archE4294967295ELNS1_3gpuE0ELNS1_3repE0EEENS1_38merge_mergepath_config_static_selectorELNS0_4arch9wavefront6targetE1EEEvSL_, .Lfunc_end1917-_ZN7rocprim17ROCPRIM_400000_NS6detail17trampoline_kernelINS0_14default_configENS1_38merge_sort_block_merge_config_selectorIbiEEZZNS1_27merge_sort_block_merge_implIS3_N6thrust23THRUST_200600_302600_NS6detail15normal_iteratorINS8_10device_ptrIbEEEENSA_INSB_IiEEEEjNS1_19radix_merge_compareILb0ELb0EbNS0_19identity_decomposerEEEEE10hipError_tT0_T1_T2_jT3_P12ihipStream_tbPNSt15iterator_traitsISK_E10value_typeEPNSQ_ISL_E10value_typeEPSM_NS1_7vsmem_tEENKUlT_SK_SL_SM_E_clIPbSD_PiSF_EESJ_SZ_SK_SL_SM_EUlSZ_E0_NS1_11comp_targetILNS1_3genE0ELNS1_11target_archE4294967295ELNS1_3gpuE0ELNS1_3repE0EEENS1_38merge_mergepath_config_static_selectorELNS0_4arch9wavefront6targetE1EEEvSL_
                                        ; -- End function
	.set _ZN7rocprim17ROCPRIM_400000_NS6detail17trampoline_kernelINS0_14default_configENS1_38merge_sort_block_merge_config_selectorIbiEEZZNS1_27merge_sort_block_merge_implIS3_N6thrust23THRUST_200600_302600_NS6detail15normal_iteratorINS8_10device_ptrIbEEEENSA_INSB_IiEEEEjNS1_19radix_merge_compareILb0ELb0EbNS0_19identity_decomposerEEEEE10hipError_tT0_T1_T2_jT3_P12ihipStream_tbPNSt15iterator_traitsISK_E10value_typeEPNSQ_ISL_E10value_typeEPSM_NS1_7vsmem_tEENKUlT_SK_SL_SM_E_clIPbSD_PiSF_EESJ_SZ_SK_SL_SM_EUlSZ_E0_NS1_11comp_targetILNS1_3genE0ELNS1_11target_archE4294967295ELNS1_3gpuE0ELNS1_3repE0EEENS1_38merge_mergepath_config_static_selectorELNS0_4arch9wavefront6targetE1EEEvSL_.num_vgpr, 27
	.set _ZN7rocprim17ROCPRIM_400000_NS6detail17trampoline_kernelINS0_14default_configENS1_38merge_sort_block_merge_config_selectorIbiEEZZNS1_27merge_sort_block_merge_implIS3_N6thrust23THRUST_200600_302600_NS6detail15normal_iteratorINS8_10device_ptrIbEEEENSA_INSB_IiEEEEjNS1_19radix_merge_compareILb0ELb0EbNS0_19identity_decomposerEEEEE10hipError_tT0_T1_T2_jT3_P12ihipStream_tbPNSt15iterator_traitsISK_E10value_typeEPNSQ_ISL_E10value_typeEPSM_NS1_7vsmem_tEENKUlT_SK_SL_SM_E_clIPbSD_PiSF_EESJ_SZ_SK_SL_SM_EUlSZ_E0_NS1_11comp_targetILNS1_3genE0ELNS1_11target_archE4294967295ELNS1_3gpuE0ELNS1_3repE0EEENS1_38merge_mergepath_config_static_selectorELNS0_4arch9wavefront6targetE1EEEvSL_.num_agpr, 0
	.set _ZN7rocprim17ROCPRIM_400000_NS6detail17trampoline_kernelINS0_14default_configENS1_38merge_sort_block_merge_config_selectorIbiEEZZNS1_27merge_sort_block_merge_implIS3_N6thrust23THRUST_200600_302600_NS6detail15normal_iteratorINS8_10device_ptrIbEEEENSA_INSB_IiEEEEjNS1_19radix_merge_compareILb0ELb0EbNS0_19identity_decomposerEEEEE10hipError_tT0_T1_T2_jT3_P12ihipStream_tbPNSt15iterator_traitsISK_E10value_typeEPNSQ_ISL_E10value_typeEPSM_NS1_7vsmem_tEENKUlT_SK_SL_SM_E_clIPbSD_PiSF_EESJ_SZ_SK_SL_SM_EUlSZ_E0_NS1_11comp_targetILNS1_3genE0ELNS1_11target_archE4294967295ELNS1_3gpuE0ELNS1_3repE0EEENS1_38merge_mergepath_config_static_selectorELNS0_4arch9wavefront6targetE1EEEvSL_.numbered_sgpr, 29
	.set _ZN7rocprim17ROCPRIM_400000_NS6detail17trampoline_kernelINS0_14default_configENS1_38merge_sort_block_merge_config_selectorIbiEEZZNS1_27merge_sort_block_merge_implIS3_N6thrust23THRUST_200600_302600_NS6detail15normal_iteratorINS8_10device_ptrIbEEEENSA_INSB_IiEEEEjNS1_19radix_merge_compareILb0ELb0EbNS0_19identity_decomposerEEEEE10hipError_tT0_T1_T2_jT3_P12ihipStream_tbPNSt15iterator_traitsISK_E10value_typeEPNSQ_ISL_E10value_typeEPSM_NS1_7vsmem_tEENKUlT_SK_SL_SM_E_clIPbSD_PiSF_EESJ_SZ_SK_SL_SM_EUlSZ_E0_NS1_11comp_targetILNS1_3genE0ELNS1_11target_archE4294967295ELNS1_3gpuE0ELNS1_3repE0EEENS1_38merge_mergepath_config_static_selectorELNS0_4arch9wavefront6targetE1EEEvSL_.num_named_barrier, 0
	.set _ZN7rocprim17ROCPRIM_400000_NS6detail17trampoline_kernelINS0_14default_configENS1_38merge_sort_block_merge_config_selectorIbiEEZZNS1_27merge_sort_block_merge_implIS3_N6thrust23THRUST_200600_302600_NS6detail15normal_iteratorINS8_10device_ptrIbEEEENSA_INSB_IiEEEEjNS1_19radix_merge_compareILb0ELb0EbNS0_19identity_decomposerEEEEE10hipError_tT0_T1_T2_jT3_P12ihipStream_tbPNSt15iterator_traitsISK_E10value_typeEPNSQ_ISL_E10value_typeEPSM_NS1_7vsmem_tEENKUlT_SK_SL_SM_E_clIPbSD_PiSF_EESJ_SZ_SK_SL_SM_EUlSZ_E0_NS1_11comp_targetILNS1_3genE0ELNS1_11target_archE4294967295ELNS1_3gpuE0ELNS1_3repE0EEENS1_38merge_mergepath_config_static_selectorELNS0_4arch9wavefront6targetE1EEEvSL_.private_seg_size, 0
	.set _ZN7rocprim17ROCPRIM_400000_NS6detail17trampoline_kernelINS0_14default_configENS1_38merge_sort_block_merge_config_selectorIbiEEZZNS1_27merge_sort_block_merge_implIS3_N6thrust23THRUST_200600_302600_NS6detail15normal_iteratorINS8_10device_ptrIbEEEENSA_INSB_IiEEEEjNS1_19radix_merge_compareILb0ELb0EbNS0_19identity_decomposerEEEEE10hipError_tT0_T1_T2_jT3_P12ihipStream_tbPNSt15iterator_traitsISK_E10value_typeEPNSQ_ISL_E10value_typeEPSM_NS1_7vsmem_tEENKUlT_SK_SL_SM_E_clIPbSD_PiSF_EESJ_SZ_SK_SL_SM_EUlSZ_E0_NS1_11comp_targetILNS1_3genE0ELNS1_11target_archE4294967295ELNS1_3gpuE0ELNS1_3repE0EEENS1_38merge_mergepath_config_static_selectorELNS0_4arch9wavefront6targetE1EEEvSL_.uses_vcc, 1
	.set _ZN7rocprim17ROCPRIM_400000_NS6detail17trampoline_kernelINS0_14default_configENS1_38merge_sort_block_merge_config_selectorIbiEEZZNS1_27merge_sort_block_merge_implIS3_N6thrust23THRUST_200600_302600_NS6detail15normal_iteratorINS8_10device_ptrIbEEEENSA_INSB_IiEEEEjNS1_19radix_merge_compareILb0ELb0EbNS0_19identity_decomposerEEEEE10hipError_tT0_T1_T2_jT3_P12ihipStream_tbPNSt15iterator_traitsISK_E10value_typeEPNSQ_ISL_E10value_typeEPSM_NS1_7vsmem_tEENKUlT_SK_SL_SM_E_clIPbSD_PiSF_EESJ_SZ_SK_SL_SM_EUlSZ_E0_NS1_11comp_targetILNS1_3genE0ELNS1_11target_archE4294967295ELNS1_3gpuE0ELNS1_3repE0EEENS1_38merge_mergepath_config_static_selectorELNS0_4arch9wavefront6targetE1EEEvSL_.uses_flat_scratch, 0
	.set _ZN7rocprim17ROCPRIM_400000_NS6detail17trampoline_kernelINS0_14default_configENS1_38merge_sort_block_merge_config_selectorIbiEEZZNS1_27merge_sort_block_merge_implIS3_N6thrust23THRUST_200600_302600_NS6detail15normal_iteratorINS8_10device_ptrIbEEEENSA_INSB_IiEEEEjNS1_19radix_merge_compareILb0ELb0EbNS0_19identity_decomposerEEEEE10hipError_tT0_T1_T2_jT3_P12ihipStream_tbPNSt15iterator_traitsISK_E10value_typeEPNSQ_ISL_E10value_typeEPSM_NS1_7vsmem_tEENKUlT_SK_SL_SM_E_clIPbSD_PiSF_EESJ_SZ_SK_SL_SM_EUlSZ_E0_NS1_11comp_targetILNS1_3genE0ELNS1_11target_archE4294967295ELNS1_3gpuE0ELNS1_3repE0EEENS1_38merge_mergepath_config_static_selectorELNS0_4arch9wavefront6targetE1EEEvSL_.has_dyn_sized_stack, 0
	.set _ZN7rocprim17ROCPRIM_400000_NS6detail17trampoline_kernelINS0_14default_configENS1_38merge_sort_block_merge_config_selectorIbiEEZZNS1_27merge_sort_block_merge_implIS3_N6thrust23THRUST_200600_302600_NS6detail15normal_iteratorINS8_10device_ptrIbEEEENSA_INSB_IiEEEEjNS1_19radix_merge_compareILb0ELb0EbNS0_19identity_decomposerEEEEE10hipError_tT0_T1_T2_jT3_P12ihipStream_tbPNSt15iterator_traitsISK_E10value_typeEPNSQ_ISL_E10value_typeEPSM_NS1_7vsmem_tEENKUlT_SK_SL_SM_E_clIPbSD_PiSF_EESJ_SZ_SK_SL_SM_EUlSZ_E0_NS1_11comp_targetILNS1_3genE0ELNS1_11target_archE4294967295ELNS1_3gpuE0ELNS1_3repE0EEENS1_38merge_mergepath_config_static_selectorELNS0_4arch9wavefront6targetE1EEEvSL_.has_recursion, 0
	.set _ZN7rocprim17ROCPRIM_400000_NS6detail17trampoline_kernelINS0_14default_configENS1_38merge_sort_block_merge_config_selectorIbiEEZZNS1_27merge_sort_block_merge_implIS3_N6thrust23THRUST_200600_302600_NS6detail15normal_iteratorINS8_10device_ptrIbEEEENSA_INSB_IiEEEEjNS1_19radix_merge_compareILb0ELb0EbNS0_19identity_decomposerEEEEE10hipError_tT0_T1_T2_jT3_P12ihipStream_tbPNSt15iterator_traitsISK_E10value_typeEPNSQ_ISL_E10value_typeEPSM_NS1_7vsmem_tEENKUlT_SK_SL_SM_E_clIPbSD_PiSF_EESJ_SZ_SK_SL_SM_EUlSZ_E0_NS1_11comp_targetILNS1_3genE0ELNS1_11target_archE4294967295ELNS1_3gpuE0ELNS1_3repE0EEENS1_38merge_mergepath_config_static_selectorELNS0_4arch9wavefront6targetE1EEEvSL_.has_indirect_call, 0
	.section	.AMDGPU.csdata,"",@progbits
; Kernel info:
; codeLenInByte = 3076
; TotalNumSgprs: 35
; NumVgprs: 27
; NumAgprs: 0
; TotalNumVgprs: 27
; ScratchSize: 0
; MemoryBound: 0
; FloatMode: 240
; IeeeMode: 1
; LDSByteSize: 4224 bytes/workgroup (compile time only)
; SGPRBlocks: 4
; VGPRBlocks: 3
; NumSGPRsForWavesPerEU: 35
; NumVGPRsForWavesPerEU: 27
; AccumOffset: 28
; Occupancy: 8
; WaveLimiterHint : 1
; COMPUTE_PGM_RSRC2:SCRATCH_EN: 0
; COMPUTE_PGM_RSRC2:USER_SGPR: 2
; COMPUTE_PGM_RSRC2:TRAP_HANDLER: 0
; COMPUTE_PGM_RSRC2:TGID_X_EN: 1
; COMPUTE_PGM_RSRC2:TGID_Y_EN: 1
; COMPUTE_PGM_RSRC2:TGID_Z_EN: 1
; COMPUTE_PGM_RSRC2:TIDIG_COMP_CNT: 0
; COMPUTE_PGM_RSRC3_GFX90A:ACCUM_OFFSET: 6
; COMPUTE_PGM_RSRC3_GFX90A:TG_SPLIT: 0
	.section	.text._ZN7rocprim17ROCPRIM_400000_NS6detail17trampoline_kernelINS0_14default_configENS1_38merge_sort_block_merge_config_selectorIbiEEZZNS1_27merge_sort_block_merge_implIS3_N6thrust23THRUST_200600_302600_NS6detail15normal_iteratorINS8_10device_ptrIbEEEENSA_INSB_IiEEEEjNS1_19radix_merge_compareILb0ELb0EbNS0_19identity_decomposerEEEEE10hipError_tT0_T1_T2_jT3_P12ihipStream_tbPNSt15iterator_traitsISK_E10value_typeEPNSQ_ISL_E10value_typeEPSM_NS1_7vsmem_tEENKUlT_SK_SL_SM_E_clIPbSD_PiSF_EESJ_SZ_SK_SL_SM_EUlSZ_E0_NS1_11comp_targetILNS1_3genE10ELNS1_11target_archE1201ELNS1_3gpuE5ELNS1_3repE0EEENS1_38merge_mergepath_config_static_selectorELNS0_4arch9wavefront6targetE1EEEvSL_,"axG",@progbits,_ZN7rocprim17ROCPRIM_400000_NS6detail17trampoline_kernelINS0_14default_configENS1_38merge_sort_block_merge_config_selectorIbiEEZZNS1_27merge_sort_block_merge_implIS3_N6thrust23THRUST_200600_302600_NS6detail15normal_iteratorINS8_10device_ptrIbEEEENSA_INSB_IiEEEEjNS1_19radix_merge_compareILb0ELb0EbNS0_19identity_decomposerEEEEE10hipError_tT0_T1_T2_jT3_P12ihipStream_tbPNSt15iterator_traitsISK_E10value_typeEPNSQ_ISL_E10value_typeEPSM_NS1_7vsmem_tEENKUlT_SK_SL_SM_E_clIPbSD_PiSF_EESJ_SZ_SK_SL_SM_EUlSZ_E0_NS1_11comp_targetILNS1_3genE10ELNS1_11target_archE1201ELNS1_3gpuE5ELNS1_3repE0EEENS1_38merge_mergepath_config_static_selectorELNS0_4arch9wavefront6targetE1EEEvSL_,comdat
	.protected	_ZN7rocprim17ROCPRIM_400000_NS6detail17trampoline_kernelINS0_14default_configENS1_38merge_sort_block_merge_config_selectorIbiEEZZNS1_27merge_sort_block_merge_implIS3_N6thrust23THRUST_200600_302600_NS6detail15normal_iteratorINS8_10device_ptrIbEEEENSA_INSB_IiEEEEjNS1_19radix_merge_compareILb0ELb0EbNS0_19identity_decomposerEEEEE10hipError_tT0_T1_T2_jT3_P12ihipStream_tbPNSt15iterator_traitsISK_E10value_typeEPNSQ_ISL_E10value_typeEPSM_NS1_7vsmem_tEENKUlT_SK_SL_SM_E_clIPbSD_PiSF_EESJ_SZ_SK_SL_SM_EUlSZ_E0_NS1_11comp_targetILNS1_3genE10ELNS1_11target_archE1201ELNS1_3gpuE5ELNS1_3repE0EEENS1_38merge_mergepath_config_static_selectorELNS0_4arch9wavefront6targetE1EEEvSL_ ; -- Begin function _ZN7rocprim17ROCPRIM_400000_NS6detail17trampoline_kernelINS0_14default_configENS1_38merge_sort_block_merge_config_selectorIbiEEZZNS1_27merge_sort_block_merge_implIS3_N6thrust23THRUST_200600_302600_NS6detail15normal_iteratorINS8_10device_ptrIbEEEENSA_INSB_IiEEEEjNS1_19radix_merge_compareILb0ELb0EbNS0_19identity_decomposerEEEEE10hipError_tT0_T1_T2_jT3_P12ihipStream_tbPNSt15iterator_traitsISK_E10value_typeEPNSQ_ISL_E10value_typeEPSM_NS1_7vsmem_tEENKUlT_SK_SL_SM_E_clIPbSD_PiSF_EESJ_SZ_SK_SL_SM_EUlSZ_E0_NS1_11comp_targetILNS1_3genE10ELNS1_11target_archE1201ELNS1_3gpuE5ELNS1_3repE0EEENS1_38merge_mergepath_config_static_selectorELNS0_4arch9wavefront6targetE1EEEvSL_
	.globl	_ZN7rocprim17ROCPRIM_400000_NS6detail17trampoline_kernelINS0_14default_configENS1_38merge_sort_block_merge_config_selectorIbiEEZZNS1_27merge_sort_block_merge_implIS3_N6thrust23THRUST_200600_302600_NS6detail15normal_iteratorINS8_10device_ptrIbEEEENSA_INSB_IiEEEEjNS1_19radix_merge_compareILb0ELb0EbNS0_19identity_decomposerEEEEE10hipError_tT0_T1_T2_jT3_P12ihipStream_tbPNSt15iterator_traitsISK_E10value_typeEPNSQ_ISL_E10value_typeEPSM_NS1_7vsmem_tEENKUlT_SK_SL_SM_E_clIPbSD_PiSF_EESJ_SZ_SK_SL_SM_EUlSZ_E0_NS1_11comp_targetILNS1_3genE10ELNS1_11target_archE1201ELNS1_3gpuE5ELNS1_3repE0EEENS1_38merge_mergepath_config_static_selectorELNS0_4arch9wavefront6targetE1EEEvSL_
	.p2align	8
	.type	_ZN7rocprim17ROCPRIM_400000_NS6detail17trampoline_kernelINS0_14default_configENS1_38merge_sort_block_merge_config_selectorIbiEEZZNS1_27merge_sort_block_merge_implIS3_N6thrust23THRUST_200600_302600_NS6detail15normal_iteratorINS8_10device_ptrIbEEEENSA_INSB_IiEEEEjNS1_19radix_merge_compareILb0ELb0EbNS0_19identity_decomposerEEEEE10hipError_tT0_T1_T2_jT3_P12ihipStream_tbPNSt15iterator_traitsISK_E10value_typeEPNSQ_ISL_E10value_typeEPSM_NS1_7vsmem_tEENKUlT_SK_SL_SM_E_clIPbSD_PiSF_EESJ_SZ_SK_SL_SM_EUlSZ_E0_NS1_11comp_targetILNS1_3genE10ELNS1_11target_archE1201ELNS1_3gpuE5ELNS1_3repE0EEENS1_38merge_mergepath_config_static_selectorELNS0_4arch9wavefront6targetE1EEEvSL_,@function
_ZN7rocprim17ROCPRIM_400000_NS6detail17trampoline_kernelINS0_14default_configENS1_38merge_sort_block_merge_config_selectorIbiEEZZNS1_27merge_sort_block_merge_implIS3_N6thrust23THRUST_200600_302600_NS6detail15normal_iteratorINS8_10device_ptrIbEEEENSA_INSB_IiEEEEjNS1_19radix_merge_compareILb0ELb0EbNS0_19identity_decomposerEEEEE10hipError_tT0_T1_T2_jT3_P12ihipStream_tbPNSt15iterator_traitsISK_E10value_typeEPNSQ_ISL_E10value_typeEPSM_NS1_7vsmem_tEENKUlT_SK_SL_SM_E_clIPbSD_PiSF_EESJ_SZ_SK_SL_SM_EUlSZ_E0_NS1_11comp_targetILNS1_3genE10ELNS1_11target_archE1201ELNS1_3gpuE5ELNS1_3repE0EEENS1_38merge_mergepath_config_static_selectorELNS0_4arch9wavefront6targetE1EEEvSL_: ; @_ZN7rocprim17ROCPRIM_400000_NS6detail17trampoline_kernelINS0_14default_configENS1_38merge_sort_block_merge_config_selectorIbiEEZZNS1_27merge_sort_block_merge_implIS3_N6thrust23THRUST_200600_302600_NS6detail15normal_iteratorINS8_10device_ptrIbEEEENSA_INSB_IiEEEEjNS1_19radix_merge_compareILb0ELb0EbNS0_19identity_decomposerEEEEE10hipError_tT0_T1_T2_jT3_P12ihipStream_tbPNSt15iterator_traitsISK_E10value_typeEPNSQ_ISL_E10value_typeEPSM_NS1_7vsmem_tEENKUlT_SK_SL_SM_E_clIPbSD_PiSF_EESJ_SZ_SK_SL_SM_EUlSZ_E0_NS1_11comp_targetILNS1_3genE10ELNS1_11target_archE1201ELNS1_3gpuE5ELNS1_3repE0EEENS1_38merge_mergepath_config_static_selectorELNS0_4arch9wavefront6targetE1EEEvSL_
; %bb.0:
	.section	.rodata,"a",@progbits
	.p2align	6, 0x0
	.amdhsa_kernel _ZN7rocprim17ROCPRIM_400000_NS6detail17trampoline_kernelINS0_14default_configENS1_38merge_sort_block_merge_config_selectorIbiEEZZNS1_27merge_sort_block_merge_implIS3_N6thrust23THRUST_200600_302600_NS6detail15normal_iteratorINS8_10device_ptrIbEEEENSA_INSB_IiEEEEjNS1_19radix_merge_compareILb0ELb0EbNS0_19identity_decomposerEEEEE10hipError_tT0_T1_T2_jT3_P12ihipStream_tbPNSt15iterator_traitsISK_E10value_typeEPNSQ_ISL_E10value_typeEPSM_NS1_7vsmem_tEENKUlT_SK_SL_SM_E_clIPbSD_PiSF_EESJ_SZ_SK_SL_SM_EUlSZ_E0_NS1_11comp_targetILNS1_3genE10ELNS1_11target_archE1201ELNS1_3gpuE5ELNS1_3repE0EEENS1_38merge_mergepath_config_static_selectorELNS0_4arch9wavefront6targetE1EEEvSL_
		.amdhsa_group_segment_fixed_size 0
		.amdhsa_private_segment_fixed_size 0
		.amdhsa_kernarg_size 64
		.amdhsa_user_sgpr_count 2
		.amdhsa_user_sgpr_dispatch_ptr 0
		.amdhsa_user_sgpr_queue_ptr 0
		.amdhsa_user_sgpr_kernarg_segment_ptr 1
		.amdhsa_user_sgpr_dispatch_id 0
		.amdhsa_user_sgpr_kernarg_preload_length 0
		.amdhsa_user_sgpr_kernarg_preload_offset 0
		.amdhsa_user_sgpr_private_segment_size 0
		.amdhsa_uses_dynamic_stack 0
		.amdhsa_enable_private_segment 0
		.amdhsa_system_sgpr_workgroup_id_x 1
		.amdhsa_system_sgpr_workgroup_id_y 0
		.amdhsa_system_sgpr_workgroup_id_z 0
		.amdhsa_system_sgpr_workgroup_info 0
		.amdhsa_system_vgpr_workitem_id 0
		.amdhsa_next_free_vgpr 1
		.amdhsa_next_free_sgpr 0
		.amdhsa_accum_offset 4
		.amdhsa_reserve_vcc 0
		.amdhsa_float_round_mode_32 0
		.amdhsa_float_round_mode_16_64 0
		.amdhsa_float_denorm_mode_32 3
		.amdhsa_float_denorm_mode_16_64 3
		.amdhsa_dx10_clamp 1
		.amdhsa_ieee_mode 1
		.amdhsa_fp16_overflow 0
		.amdhsa_tg_split 0
		.amdhsa_exception_fp_ieee_invalid_op 0
		.amdhsa_exception_fp_denorm_src 0
		.amdhsa_exception_fp_ieee_div_zero 0
		.amdhsa_exception_fp_ieee_overflow 0
		.amdhsa_exception_fp_ieee_underflow 0
		.amdhsa_exception_fp_ieee_inexact 0
		.amdhsa_exception_int_div_zero 0
	.end_amdhsa_kernel
	.section	.text._ZN7rocprim17ROCPRIM_400000_NS6detail17trampoline_kernelINS0_14default_configENS1_38merge_sort_block_merge_config_selectorIbiEEZZNS1_27merge_sort_block_merge_implIS3_N6thrust23THRUST_200600_302600_NS6detail15normal_iteratorINS8_10device_ptrIbEEEENSA_INSB_IiEEEEjNS1_19radix_merge_compareILb0ELb0EbNS0_19identity_decomposerEEEEE10hipError_tT0_T1_T2_jT3_P12ihipStream_tbPNSt15iterator_traitsISK_E10value_typeEPNSQ_ISL_E10value_typeEPSM_NS1_7vsmem_tEENKUlT_SK_SL_SM_E_clIPbSD_PiSF_EESJ_SZ_SK_SL_SM_EUlSZ_E0_NS1_11comp_targetILNS1_3genE10ELNS1_11target_archE1201ELNS1_3gpuE5ELNS1_3repE0EEENS1_38merge_mergepath_config_static_selectorELNS0_4arch9wavefront6targetE1EEEvSL_,"axG",@progbits,_ZN7rocprim17ROCPRIM_400000_NS6detail17trampoline_kernelINS0_14default_configENS1_38merge_sort_block_merge_config_selectorIbiEEZZNS1_27merge_sort_block_merge_implIS3_N6thrust23THRUST_200600_302600_NS6detail15normal_iteratorINS8_10device_ptrIbEEEENSA_INSB_IiEEEEjNS1_19radix_merge_compareILb0ELb0EbNS0_19identity_decomposerEEEEE10hipError_tT0_T1_T2_jT3_P12ihipStream_tbPNSt15iterator_traitsISK_E10value_typeEPNSQ_ISL_E10value_typeEPSM_NS1_7vsmem_tEENKUlT_SK_SL_SM_E_clIPbSD_PiSF_EESJ_SZ_SK_SL_SM_EUlSZ_E0_NS1_11comp_targetILNS1_3genE10ELNS1_11target_archE1201ELNS1_3gpuE5ELNS1_3repE0EEENS1_38merge_mergepath_config_static_selectorELNS0_4arch9wavefront6targetE1EEEvSL_,comdat
.Lfunc_end1918:
	.size	_ZN7rocprim17ROCPRIM_400000_NS6detail17trampoline_kernelINS0_14default_configENS1_38merge_sort_block_merge_config_selectorIbiEEZZNS1_27merge_sort_block_merge_implIS3_N6thrust23THRUST_200600_302600_NS6detail15normal_iteratorINS8_10device_ptrIbEEEENSA_INSB_IiEEEEjNS1_19radix_merge_compareILb0ELb0EbNS0_19identity_decomposerEEEEE10hipError_tT0_T1_T2_jT3_P12ihipStream_tbPNSt15iterator_traitsISK_E10value_typeEPNSQ_ISL_E10value_typeEPSM_NS1_7vsmem_tEENKUlT_SK_SL_SM_E_clIPbSD_PiSF_EESJ_SZ_SK_SL_SM_EUlSZ_E0_NS1_11comp_targetILNS1_3genE10ELNS1_11target_archE1201ELNS1_3gpuE5ELNS1_3repE0EEENS1_38merge_mergepath_config_static_selectorELNS0_4arch9wavefront6targetE1EEEvSL_, .Lfunc_end1918-_ZN7rocprim17ROCPRIM_400000_NS6detail17trampoline_kernelINS0_14default_configENS1_38merge_sort_block_merge_config_selectorIbiEEZZNS1_27merge_sort_block_merge_implIS3_N6thrust23THRUST_200600_302600_NS6detail15normal_iteratorINS8_10device_ptrIbEEEENSA_INSB_IiEEEEjNS1_19radix_merge_compareILb0ELb0EbNS0_19identity_decomposerEEEEE10hipError_tT0_T1_T2_jT3_P12ihipStream_tbPNSt15iterator_traitsISK_E10value_typeEPNSQ_ISL_E10value_typeEPSM_NS1_7vsmem_tEENKUlT_SK_SL_SM_E_clIPbSD_PiSF_EESJ_SZ_SK_SL_SM_EUlSZ_E0_NS1_11comp_targetILNS1_3genE10ELNS1_11target_archE1201ELNS1_3gpuE5ELNS1_3repE0EEENS1_38merge_mergepath_config_static_selectorELNS0_4arch9wavefront6targetE1EEEvSL_
                                        ; -- End function
	.set _ZN7rocprim17ROCPRIM_400000_NS6detail17trampoline_kernelINS0_14default_configENS1_38merge_sort_block_merge_config_selectorIbiEEZZNS1_27merge_sort_block_merge_implIS3_N6thrust23THRUST_200600_302600_NS6detail15normal_iteratorINS8_10device_ptrIbEEEENSA_INSB_IiEEEEjNS1_19radix_merge_compareILb0ELb0EbNS0_19identity_decomposerEEEEE10hipError_tT0_T1_T2_jT3_P12ihipStream_tbPNSt15iterator_traitsISK_E10value_typeEPNSQ_ISL_E10value_typeEPSM_NS1_7vsmem_tEENKUlT_SK_SL_SM_E_clIPbSD_PiSF_EESJ_SZ_SK_SL_SM_EUlSZ_E0_NS1_11comp_targetILNS1_3genE10ELNS1_11target_archE1201ELNS1_3gpuE5ELNS1_3repE0EEENS1_38merge_mergepath_config_static_selectorELNS0_4arch9wavefront6targetE1EEEvSL_.num_vgpr, 0
	.set _ZN7rocprim17ROCPRIM_400000_NS6detail17trampoline_kernelINS0_14default_configENS1_38merge_sort_block_merge_config_selectorIbiEEZZNS1_27merge_sort_block_merge_implIS3_N6thrust23THRUST_200600_302600_NS6detail15normal_iteratorINS8_10device_ptrIbEEEENSA_INSB_IiEEEEjNS1_19radix_merge_compareILb0ELb0EbNS0_19identity_decomposerEEEEE10hipError_tT0_T1_T2_jT3_P12ihipStream_tbPNSt15iterator_traitsISK_E10value_typeEPNSQ_ISL_E10value_typeEPSM_NS1_7vsmem_tEENKUlT_SK_SL_SM_E_clIPbSD_PiSF_EESJ_SZ_SK_SL_SM_EUlSZ_E0_NS1_11comp_targetILNS1_3genE10ELNS1_11target_archE1201ELNS1_3gpuE5ELNS1_3repE0EEENS1_38merge_mergepath_config_static_selectorELNS0_4arch9wavefront6targetE1EEEvSL_.num_agpr, 0
	.set _ZN7rocprim17ROCPRIM_400000_NS6detail17trampoline_kernelINS0_14default_configENS1_38merge_sort_block_merge_config_selectorIbiEEZZNS1_27merge_sort_block_merge_implIS3_N6thrust23THRUST_200600_302600_NS6detail15normal_iteratorINS8_10device_ptrIbEEEENSA_INSB_IiEEEEjNS1_19radix_merge_compareILb0ELb0EbNS0_19identity_decomposerEEEEE10hipError_tT0_T1_T2_jT3_P12ihipStream_tbPNSt15iterator_traitsISK_E10value_typeEPNSQ_ISL_E10value_typeEPSM_NS1_7vsmem_tEENKUlT_SK_SL_SM_E_clIPbSD_PiSF_EESJ_SZ_SK_SL_SM_EUlSZ_E0_NS1_11comp_targetILNS1_3genE10ELNS1_11target_archE1201ELNS1_3gpuE5ELNS1_3repE0EEENS1_38merge_mergepath_config_static_selectorELNS0_4arch9wavefront6targetE1EEEvSL_.numbered_sgpr, 0
	.set _ZN7rocprim17ROCPRIM_400000_NS6detail17trampoline_kernelINS0_14default_configENS1_38merge_sort_block_merge_config_selectorIbiEEZZNS1_27merge_sort_block_merge_implIS3_N6thrust23THRUST_200600_302600_NS6detail15normal_iteratorINS8_10device_ptrIbEEEENSA_INSB_IiEEEEjNS1_19radix_merge_compareILb0ELb0EbNS0_19identity_decomposerEEEEE10hipError_tT0_T1_T2_jT3_P12ihipStream_tbPNSt15iterator_traitsISK_E10value_typeEPNSQ_ISL_E10value_typeEPSM_NS1_7vsmem_tEENKUlT_SK_SL_SM_E_clIPbSD_PiSF_EESJ_SZ_SK_SL_SM_EUlSZ_E0_NS1_11comp_targetILNS1_3genE10ELNS1_11target_archE1201ELNS1_3gpuE5ELNS1_3repE0EEENS1_38merge_mergepath_config_static_selectorELNS0_4arch9wavefront6targetE1EEEvSL_.num_named_barrier, 0
	.set _ZN7rocprim17ROCPRIM_400000_NS6detail17trampoline_kernelINS0_14default_configENS1_38merge_sort_block_merge_config_selectorIbiEEZZNS1_27merge_sort_block_merge_implIS3_N6thrust23THRUST_200600_302600_NS6detail15normal_iteratorINS8_10device_ptrIbEEEENSA_INSB_IiEEEEjNS1_19radix_merge_compareILb0ELb0EbNS0_19identity_decomposerEEEEE10hipError_tT0_T1_T2_jT3_P12ihipStream_tbPNSt15iterator_traitsISK_E10value_typeEPNSQ_ISL_E10value_typeEPSM_NS1_7vsmem_tEENKUlT_SK_SL_SM_E_clIPbSD_PiSF_EESJ_SZ_SK_SL_SM_EUlSZ_E0_NS1_11comp_targetILNS1_3genE10ELNS1_11target_archE1201ELNS1_3gpuE5ELNS1_3repE0EEENS1_38merge_mergepath_config_static_selectorELNS0_4arch9wavefront6targetE1EEEvSL_.private_seg_size, 0
	.set _ZN7rocprim17ROCPRIM_400000_NS6detail17trampoline_kernelINS0_14default_configENS1_38merge_sort_block_merge_config_selectorIbiEEZZNS1_27merge_sort_block_merge_implIS3_N6thrust23THRUST_200600_302600_NS6detail15normal_iteratorINS8_10device_ptrIbEEEENSA_INSB_IiEEEEjNS1_19radix_merge_compareILb0ELb0EbNS0_19identity_decomposerEEEEE10hipError_tT0_T1_T2_jT3_P12ihipStream_tbPNSt15iterator_traitsISK_E10value_typeEPNSQ_ISL_E10value_typeEPSM_NS1_7vsmem_tEENKUlT_SK_SL_SM_E_clIPbSD_PiSF_EESJ_SZ_SK_SL_SM_EUlSZ_E0_NS1_11comp_targetILNS1_3genE10ELNS1_11target_archE1201ELNS1_3gpuE5ELNS1_3repE0EEENS1_38merge_mergepath_config_static_selectorELNS0_4arch9wavefront6targetE1EEEvSL_.uses_vcc, 0
	.set _ZN7rocprim17ROCPRIM_400000_NS6detail17trampoline_kernelINS0_14default_configENS1_38merge_sort_block_merge_config_selectorIbiEEZZNS1_27merge_sort_block_merge_implIS3_N6thrust23THRUST_200600_302600_NS6detail15normal_iteratorINS8_10device_ptrIbEEEENSA_INSB_IiEEEEjNS1_19radix_merge_compareILb0ELb0EbNS0_19identity_decomposerEEEEE10hipError_tT0_T1_T2_jT3_P12ihipStream_tbPNSt15iterator_traitsISK_E10value_typeEPNSQ_ISL_E10value_typeEPSM_NS1_7vsmem_tEENKUlT_SK_SL_SM_E_clIPbSD_PiSF_EESJ_SZ_SK_SL_SM_EUlSZ_E0_NS1_11comp_targetILNS1_3genE10ELNS1_11target_archE1201ELNS1_3gpuE5ELNS1_3repE0EEENS1_38merge_mergepath_config_static_selectorELNS0_4arch9wavefront6targetE1EEEvSL_.uses_flat_scratch, 0
	.set _ZN7rocprim17ROCPRIM_400000_NS6detail17trampoline_kernelINS0_14default_configENS1_38merge_sort_block_merge_config_selectorIbiEEZZNS1_27merge_sort_block_merge_implIS3_N6thrust23THRUST_200600_302600_NS6detail15normal_iteratorINS8_10device_ptrIbEEEENSA_INSB_IiEEEEjNS1_19radix_merge_compareILb0ELb0EbNS0_19identity_decomposerEEEEE10hipError_tT0_T1_T2_jT3_P12ihipStream_tbPNSt15iterator_traitsISK_E10value_typeEPNSQ_ISL_E10value_typeEPSM_NS1_7vsmem_tEENKUlT_SK_SL_SM_E_clIPbSD_PiSF_EESJ_SZ_SK_SL_SM_EUlSZ_E0_NS1_11comp_targetILNS1_3genE10ELNS1_11target_archE1201ELNS1_3gpuE5ELNS1_3repE0EEENS1_38merge_mergepath_config_static_selectorELNS0_4arch9wavefront6targetE1EEEvSL_.has_dyn_sized_stack, 0
	.set _ZN7rocprim17ROCPRIM_400000_NS6detail17trampoline_kernelINS0_14default_configENS1_38merge_sort_block_merge_config_selectorIbiEEZZNS1_27merge_sort_block_merge_implIS3_N6thrust23THRUST_200600_302600_NS6detail15normal_iteratorINS8_10device_ptrIbEEEENSA_INSB_IiEEEEjNS1_19radix_merge_compareILb0ELb0EbNS0_19identity_decomposerEEEEE10hipError_tT0_T1_T2_jT3_P12ihipStream_tbPNSt15iterator_traitsISK_E10value_typeEPNSQ_ISL_E10value_typeEPSM_NS1_7vsmem_tEENKUlT_SK_SL_SM_E_clIPbSD_PiSF_EESJ_SZ_SK_SL_SM_EUlSZ_E0_NS1_11comp_targetILNS1_3genE10ELNS1_11target_archE1201ELNS1_3gpuE5ELNS1_3repE0EEENS1_38merge_mergepath_config_static_selectorELNS0_4arch9wavefront6targetE1EEEvSL_.has_recursion, 0
	.set _ZN7rocprim17ROCPRIM_400000_NS6detail17trampoline_kernelINS0_14default_configENS1_38merge_sort_block_merge_config_selectorIbiEEZZNS1_27merge_sort_block_merge_implIS3_N6thrust23THRUST_200600_302600_NS6detail15normal_iteratorINS8_10device_ptrIbEEEENSA_INSB_IiEEEEjNS1_19radix_merge_compareILb0ELb0EbNS0_19identity_decomposerEEEEE10hipError_tT0_T1_T2_jT3_P12ihipStream_tbPNSt15iterator_traitsISK_E10value_typeEPNSQ_ISL_E10value_typeEPSM_NS1_7vsmem_tEENKUlT_SK_SL_SM_E_clIPbSD_PiSF_EESJ_SZ_SK_SL_SM_EUlSZ_E0_NS1_11comp_targetILNS1_3genE10ELNS1_11target_archE1201ELNS1_3gpuE5ELNS1_3repE0EEENS1_38merge_mergepath_config_static_selectorELNS0_4arch9wavefront6targetE1EEEvSL_.has_indirect_call, 0
	.section	.AMDGPU.csdata,"",@progbits
; Kernel info:
; codeLenInByte = 0
; TotalNumSgprs: 6
; NumVgprs: 0
; NumAgprs: 0
; TotalNumVgprs: 0
; ScratchSize: 0
; MemoryBound: 0
; FloatMode: 240
; IeeeMode: 1
; LDSByteSize: 0 bytes/workgroup (compile time only)
; SGPRBlocks: 0
; VGPRBlocks: 0
; NumSGPRsForWavesPerEU: 6
; NumVGPRsForWavesPerEU: 1
; AccumOffset: 4
; Occupancy: 8
; WaveLimiterHint : 0
; COMPUTE_PGM_RSRC2:SCRATCH_EN: 0
; COMPUTE_PGM_RSRC2:USER_SGPR: 2
; COMPUTE_PGM_RSRC2:TRAP_HANDLER: 0
; COMPUTE_PGM_RSRC2:TGID_X_EN: 1
; COMPUTE_PGM_RSRC2:TGID_Y_EN: 0
; COMPUTE_PGM_RSRC2:TGID_Z_EN: 0
; COMPUTE_PGM_RSRC2:TIDIG_COMP_CNT: 0
; COMPUTE_PGM_RSRC3_GFX90A:ACCUM_OFFSET: 0
; COMPUTE_PGM_RSRC3_GFX90A:TG_SPLIT: 0
	.section	.text._ZN7rocprim17ROCPRIM_400000_NS6detail17trampoline_kernelINS0_14default_configENS1_38merge_sort_block_merge_config_selectorIbiEEZZNS1_27merge_sort_block_merge_implIS3_N6thrust23THRUST_200600_302600_NS6detail15normal_iteratorINS8_10device_ptrIbEEEENSA_INSB_IiEEEEjNS1_19radix_merge_compareILb0ELb0EbNS0_19identity_decomposerEEEEE10hipError_tT0_T1_T2_jT3_P12ihipStream_tbPNSt15iterator_traitsISK_E10value_typeEPNSQ_ISL_E10value_typeEPSM_NS1_7vsmem_tEENKUlT_SK_SL_SM_E_clIPbSD_PiSF_EESJ_SZ_SK_SL_SM_EUlSZ_E0_NS1_11comp_targetILNS1_3genE5ELNS1_11target_archE942ELNS1_3gpuE9ELNS1_3repE0EEENS1_38merge_mergepath_config_static_selectorELNS0_4arch9wavefront6targetE1EEEvSL_,"axG",@progbits,_ZN7rocprim17ROCPRIM_400000_NS6detail17trampoline_kernelINS0_14default_configENS1_38merge_sort_block_merge_config_selectorIbiEEZZNS1_27merge_sort_block_merge_implIS3_N6thrust23THRUST_200600_302600_NS6detail15normal_iteratorINS8_10device_ptrIbEEEENSA_INSB_IiEEEEjNS1_19radix_merge_compareILb0ELb0EbNS0_19identity_decomposerEEEEE10hipError_tT0_T1_T2_jT3_P12ihipStream_tbPNSt15iterator_traitsISK_E10value_typeEPNSQ_ISL_E10value_typeEPSM_NS1_7vsmem_tEENKUlT_SK_SL_SM_E_clIPbSD_PiSF_EESJ_SZ_SK_SL_SM_EUlSZ_E0_NS1_11comp_targetILNS1_3genE5ELNS1_11target_archE942ELNS1_3gpuE9ELNS1_3repE0EEENS1_38merge_mergepath_config_static_selectorELNS0_4arch9wavefront6targetE1EEEvSL_,comdat
	.protected	_ZN7rocprim17ROCPRIM_400000_NS6detail17trampoline_kernelINS0_14default_configENS1_38merge_sort_block_merge_config_selectorIbiEEZZNS1_27merge_sort_block_merge_implIS3_N6thrust23THRUST_200600_302600_NS6detail15normal_iteratorINS8_10device_ptrIbEEEENSA_INSB_IiEEEEjNS1_19radix_merge_compareILb0ELb0EbNS0_19identity_decomposerEEEEE10hipError_tT0_T1_T2_jT3_P12ihipStream_tbPNSt15iterator_traitsISK_E10value_typeEPNSQ_ISL_E10value_typeEPSM_NS1_7vsmem_tEENKUlT_SK_SL_SM_E_clIPbSD_PiSF_EESJ_SZ_SK_SL_SM_EUlSZ_E0_NS1_11comp_targetILNS1_3genE5ELNS1_11target_archE942ELNS1_3gpuE9ELNS1_3repE0EEENS1_38merge_mergepath_config_static_selectorELNS0_4arch9wavefront6targetE1EEEvSL_ ; -- Begin function _ZN7rocprim17ROCPRIM_400000_NS6detail17trampoline_kernelINS0_14default_configENS1_38merge_sort_block_merge_config_selectorIbiEEZZNS1_27merge_sort_block_merge_implIS3_N6thrust23THRUST_200600_302600_NS6detail15normal_iteratorINS8_10device_ptrIbEEEENSA_INSB_IiEEEEjNS1_19radix_merge_compareILb0ELb0EbNS0_19identity_decomposerEEEEE10hipError_tT0_T1_T2_jT3_P12ihipStream_tbPNSt15iterator_traitsISK_E10value_typeEPNSQ_ISL_E10value_typeEPSM_NS1_7vsmem_tEENKUlT_SK_SL_SM_E_clIPbSD_PiSF_EESJ_SZ_SK_SL_SM_EUlSZ_E0_NS1_11comp_targetILNS1_3genE5ELNS1_11target_archE942ELNS1_3gpuE9ELNS1_3repE0EEENS1_38merge_mergepath_config_static_selectorELNS0_4arch9wavefront6targetE1EEEvSL_
	.globl	_ZN7rocprim17ROCPRIM_400000_NS6detail17trampoline_kernelINS0_14default_configENS1_38merge_sort_block_merge_config_selectorIbiEEZZNS1_27merge_sort_block_merge_implIS3_N6thrust23THRUST_200600_302600_NS6detail15normal_iteratorINS8_10device_ptrIbEEEENSA_INSB_IiEEEEjNS1_19radix_merge_compareILb0ELb0EbNS0_19identity_decomposerEEEEE10hipError_tT0_T1_T2_jT3_P12ihipStream_tbPNSt15iterator_traitsISK_E10value_typeEPNSQ_ISL_E10value_typeEPSM_NS1_7vsmem_tEENKUlT_SK_SL_SM_E_clIPbSD_PiSF_EESJ_SZ_SK_SL_SM_EUlSZ_E0_NS1_11comp_targetILNS1_3genE5ELNS1_11target_archE942ELNS1_3gpuE9ELNS1_3repE0EEENS1_38merge_mergepath_config_static_selectorELNS0_4arch9wavefront6targetE1EEEvSL_
	.p2align	8
	.type	_ZN7rocprim17ROCPRIM_400000_NS6detail17trampoline_kernelINS0_14default_configENS1_38merge_sort_block_merge_config_selectorIbiEEZZNS1_27merge_sort_block_merge_implIS3_N6thrust23THRUST_200600_302600_NS6detail15normal_iteratorINS8_10device_ptrIbEEEENSA_INSB_IiEEEEjNS1_19radix_merge_compareILb0ELb0EbNS0_19identity_decomposerEEEEE10hipError_tT0_T1_T2_jT3_P12ihipStream_tbPNSt15iterator_traitsISK_E10value_typeEPNSQ_ISL_E10value_typeEPSM_NS1_7vsmem_tEENKUlT_SK_SL_SM_E_clIPbSD_PiSF_EESJ_SZ_SK_SL_SM_EUlSZ_E0_NS1_11comp_targetILNS1_3genE5ELNS1_11target_archE942ELNS1_3gpuE9ELNS1_3repE0EEENS1_38merge_mergepath_config_static_selectorELNS0_4arch9wavefront6targetE1EEEvSL_,@function
_ZN7rocprim17ROCPRIM_400000_NS6detail17trampoline_kernelINS0_14default_configENS1_38merge_sort_block_merge_config_selectorIbiEEZZNS1_27merge_sort_block_merge_implIS3_N6thrust23THRUST_200600_302600_NS6detail15normal_iteratorINS8_10device_ptrIbEEEENSA_INSB_IiEEEEjNS1_19radix_merge_compareILb0ELb0EbNS0_19identity_decomposerEEEEE10hipError_tT0_T1_T2_jT3_P12ihipStream_tbPNSt15iterator_traitsISK_E10value_typeEPNSQ_ISL_E10value_typeEPSM_NS1_7vsmem_tEENKUlT_SK_SL_SM_E_clIPbSD_PiSF_EESJ_SZ_SK_SL_SM_EUlSZ_E0_NS1_11comp_targetILNS1_3genE5ELNS1_11target_archE942ELNS1_3gpuE9ELNS1_3repE0EEENS1_38merge_mergepath_config_static_selectorELNS0_4arch9wavefront6targetE1EEEvSL_: ; @_ZN7rocprim17ROCPRIM_400000_NS6detail17trampoline_kernelINS0_14default_configENS1_38merge_sort_block_merge_config_selectorIbiEEZZNS1_27merge_sort_block_merge_implIS3_N6thrust23THRUST_200600_302600_NS6detail15normal_iteratorINS8_10device_ptrIbEEEENSA_INSB_IiEEEEjNS1_19radix_merge_compareILb0ELb0EbNS0_19identity_decomposerEEEEE10hipError_tT0_T1_T2_jT3_P12ihipStream_tbPNSt15iterator_traitsISK_E10value_typeEPNSQ_ISL_E10value_typeEPSM_NS1_7vsmem_tEENKUlT_SK_SL_SM_E_clIPbSD_PiSF_EESJ_SZ_SK_SL_SM_EUlSZ_E0_NS1_11comp_targetILNS1_3genE5ELNS1_11target_archE942ELNS1_3gpuE9ELNS1_3repE0EEENS1_38merge_mergepath_config_static_selectorELNS0_4arch9wavefront6targetE1EEEvSL_
; %bb.0:
	.section	.rodata,"a",@progbits
	.p2align	6, 0x0
	.amdhsa_kernel _ZN7rocprim17ROCPRIM_400000_NS6detail17trampoline_kernelINS0_14default_configENS1_38merge_sort_block_merge_config_selectorIbiEEZZNS1_27merge_sort_block_merge_implIS3_N6thrust23THRUST_200600_302600_NS6detail15normal_iteratorINS8_10device_ptrIbEEEENSA_INSB_IiEEEEjNS1_19radix_merge_compareILb0ELb0EbNS0_19identity_decomposerEEEEE10hipError_tT0_T1_T2_jT3_P12ihipStream_tbPNSt15iterator_traitsISK_E10value_typeEPNSQ_ISL_E10value_typeEPSM_NS1_7vsmem_tEENKUlT_SK_SL_SM_E_clIPbSD_PiSF_EESJ_SZ_SK_SL_SM_EUlSZ_E0_NS1_11comp_targetILNS1_3genE5ELNS1_11target_archE942ELNS1_3gpuE9ELNS1_3repE0EEENS1_38merge_mergepath_config_static_selectorELNS0_4arch9wavefront6targetE1EEEvSL_
		.amdhsa_group_segment_fixed_size 0
		.amdhsa_private_segment_fixed_size 0
		.amdhsa_kernarg_size 64
		.amdhsa_user_sgpr_count 2
		.amdhsa_user_sgpr_dispatch_ptr 0
		.amdhsa_user_sgpr_queue_ptr 0
		.amdhsa_user_sgpr_kernarg_segment_ptr 1
		.amdhsa_user_sgpr_dispatch_id 0
		.amdhsa_user_sgpr_kernarg_preload_length 0
		.amdhsa_user_sgpr_kernarg_preload_offset 0
		.amdhsa_user_sgpr_private_segment_size 0
		.amdhsa_uses_dynamic_stack 0
		.amdhsa_enable_private_segment 0
		.amdhsa_system_sgpr_workgroup_id_x 1
		.amdhsa_system_sgpr_workgroup_id_y 0
		.amdhsa_system_sgpr_workgroup_id_z 0
		.amdhsa_system_sgpr_workgroup_info 0
		.amdhsa_system_vgpr_workitem_id 0
		.amdhsa_next_free_vgpr 1
		.amdhsa_next_free_sgpr 0
		.amdhsa_accum_offset 4
		.amdhsa_reserve_vcc 0
		.amdhsa_float_round_mode_32 0
		.amdhsa_float_round_mode_16_64 0
		.amdhsa_float_denorm_mode_32 3
		.amdhsa_float_denorm_mode_16_64 3
		.amdhsa_dx10_clamp 1
		.amdhsa_ieee_mode 1
		.amdhsa_fp16_overflow 0
		.amdhsa_tg_split 0
		.amdhsa_exception_fp_ieee_invalid_op 0
		.amdhsa_exception_fp_denorm_src 0
		.amdhsa_exception_fp_ieee_div_zero 0
		.amdhsa_exception_fp_ieee_overflow 0
		.amdhsa_exception_fp_ieee_underflow 0
		.amdhsa_exception_fp_ieee_inexact 0
		.amdhsa_exception_int_div_zero 0
	.end_amdhsa_kernel
	.section	.text._ZN7rocprim17ROCPRIM_400000_NS6detail17trampoline_kernelINS0_14default_configENS1_38merge_sort_block_merge_config_selectorIbiEEZZNS1_27merge_sort_block_merge_implIS3_N6thrust23THRUST_200600_302600_NS6detail15normal_iteratorINS8_10device_ptrIbEEEENSA_INSB_IiEEEEjNS1_19radix_merge_compareILb0ELb0EbNS0_19identity_decomposerEEEEE10hipError_tT0_T1_T2_jT3_P12ihipStream_tbPNSt15iterator_traitsISK_E10value_typeEPNSQ_ISL_E10value_typeEPSM_NS1_7vsmem_tEENKUlT_SK_SL_SM_E_clIPbSD_PiSF_EESJ_SZ_SK_SL_SM_EUlSZ_E0_NS1_11comp_targetILNS1_3genE5ELNS1_11target_archE942ELNS1_3gpuE9ELNS1_3repE0EEENS1_38merge_mergepath_config_static_selectorELNS0_4arch9wavefront6targetE1EEEvSL_,"axG",@progbits,_ZN7rocprim17ROCPRIM_400000_NS6detail17trampoline_kernelINS0_14default_configENS1_38merge_sort_block_merge_config_selectorIbiEEZZNS1_27merge_sort_block_merge_implIS3_N6thrust23THRUST_200600_302600_NS6detail15normal_iteratorINS8_10device_ptrIbEEEENSA_INSB_IiEEEEjNS1_19radix_merge_compareILb0ELb0EbNS0_19identity_decomposerEEEEE10hipError_tT0_T1_T2_jT3_P12ihipStream_tbPNSt15iterator_traitsISK_E10value_typeEPNSQ_ISL_E10value_typeEPSM_NS1_7vsmem_tEENKUlT_SK_SL_SM_E_clIPbSD_PiSF_EESJ_SZ_SK_SL_SM_EUlSZ_E0_NS1_11comp_targetILNS1_3genE5ELNS1_11target_archE942ELNS1_3gpuE9ELNS1_3repE0EEENS1_38merge_mergepath_config_static_selectorELNS0_4arch9wavefront6targetE1EEEvSL_,comdat
.Lfunc_end1919:
	.size	_ZN7rocprim17ROCPRIM_400000_NS6detail17trampoline_kernelINS0_14default_configENS1_38merge_sort_block_merge_config_selectorIbiEEZZNS1_27merge_sort_block_merge_implIS3_N6thrust23THRUST_200600_302600_NS6detail15normal_iteratorINS8_10device_ptrIbEEEENSA_INSB_IiEEEEjNS1_19radix_merge_compareILb0ELb0EbNS0_19identity_decomposerEEEEE10hipError_tT0_T1_T2_jT3_P12ihipStream_tbPNSt15iterator_traitsISK_E10value_typeEPNSQ_ISL_E10value_typeEPSM_NS1_7vsmem_tEENKUlT_SK_SL_SM_E_clIPbSD_PiSF_EESJ_SZ_SK_SL_SM_EUlSZ_E0_NS1_11comp_targetILNS1_3genE5ELNS1_11target_archE942ELNS1_3gpuE9ELNS1_3repE0EEENS1_38merge_mergepath_config_static_selectorELNS0_4arch9wavefront6targetE1EEEvSL_, .Lfunc_end1919-_ZN7rocprim17ROCPRIM_400000_NS6detail17trampoline_kernelINS0_14default_configENS1_38merge_sort_block_merge_config_selectorIbiEEZZNS1_27merge_sort_block_merge_implIS3_N6thrust23THRUST_200600_302600_NS6detail15normal_iteratorINS8_10device_ptrIbEEEENSA_INSB_IiEEEEjNS1_19radix_merge_compareILb0ELb0EbNS0_19identity_decomposerEEEEE10hipError_tT0_T1_T2_jT3_P12ihipStream_tbPNSt15iterator_traitsISK_E10value_typeEPNSQ_ISL_E10value_typeEPSM_NS1_7vsmem_tEENKUlT_SK_SL_SM_E_clIPbSD_PiSF_EESJ_SZ_SK_SL_SM_EUlSZ_E0_NS1_11comp_targetILNS1_3genE5ELNS1_11target_archE942ELNS1_3gpuE9ELNS1_3repE0EEENS1_38merge_mergepath_config_static_selectorELNS0_4arch9wavefront6targetE1EEEvSL_
                                        ; -- End function
	.set _ZN7rocprim17ROCPRIM_400000_NS6detail17trampoline_kernelINS0_14default_configENS1_38merge_sort_block_merge_config_selectorIbiEEZZNS1_27merge_sort_block_merge_implIS3_N6thrust23THRUST_200600_302600_NS6detail15normal_iteratorINS8_10device_ptrIbEEEENSA_INSB_IiEEEEjNS1_19radix_merge_compareILb0ELb0EbNS0_19identity_decomposerEEEEE10hipError_tT0_T1_T2_jT3_P12ihipStream_tbPNSt15iterator_traitsISK_E10value_typeEPNSQ_ISL_E10value_typeEPSM_NS1_7vsmem_tEENKUlT_SK_SL_SM_E_clIPbSD_PiSF_EESJ_SZ_SK_SL_SM_EUlSZ_E0_NS1_11comp_targetILNS1_3genE5ELNS1_11target_archE942ELNS1_3gpuE9ELNS1_3repE0EEENS1_38merge_mergepath_config_static_selectorELNS0_4arch9wavefront6targetE1EEEvSL_.num_vgpr, 0
	.set _ZN7rocprim17ROCPRIM_400000_NS6detail17trampoline_kernelINS0_14default_configENS1_38merge_sort_block_merge_config_selectorIbiEEZZNS1_27merge_sort_block_merge_implIS3_N6thrust23THRUST_200600_302600_NS6detail15normal_iteratorINS8_10device_ptrIbEEEENSA_INSB_IiEEEEjNS1_19radix_merge_compareILb0ELb0EbNS0_19identity_decomposerEEEEE10hipError_tT0_T1_T2_jT3_P12ihipStream_tbPNSt15iterator_traitsISK_E10value_typeEPNSQ_ISL_E10value_typeEPSM_NS1_7vsmem_tEENKUlT_SK_SL_SM_E_clIPbSD_PiSF_EESJ_SZ_SK_SL_SM_EUlSZ_E0_NS1_11comp_targetILNS1_3genE5ELNS1_11target_archE942ELNS1_3gpuE9ELNS1_3repE0EEENS1_38merge_mergepath_config_static_selectorELNS0_4arch9wavefront6targetE1EEEvSL_.num_agpr, 0
	.set _ZN7rocprim17ROCPRIM_400000_NS6detail17trampoline_kernelINS0_14default_configENS1_38merge_sort_block_merge_config_selectorIbiEEZZNS1_27merge_sort_block_merge_implIS3_N6thrust23THRUST_200600_302600_NS6detail15normal_iteratorINS8_10device_ptrIbEEEENSA_INSB_IiEEEEjNS1_19radix_merge_compareILb0ELb0EbNS0_19identity_decomposerEEEEE10hipError_tT0_T1_T2_jT3_P12ihipStream_tbPNSt15iterator_traitsISK_E10value_typeEPNSQ_ISL_E10value_typeEPSM_NS1_7vsmem_tEENKUlT_SK_SL_SM_E_clIPbSD_PiSF_EESJ_SZ_SK_SL_SM_EUlSZ_E0_NS1_11comp_targetILNS1_3genE5ELNS1_11target_archE942ELNS1_3gpuE9ELNS1_3repE0EEENS1_38merge_mergepath_config_static_selectorELNS0_4arch9wavefront6targetE1EEEvSL_.numbered_sgpr, 0
	.set _ZN7rocprim17ROCPRIM_400000_NS6detail17trampoline_kernelINS0_14default_configENS1_38merge_sort_block_merge_config_selectorIbiEEZZNS1_27merge_sort_block_merge_implIS3_N6thrust23THRUST_200600_302600_NS6detail15normal_iteratorINS8_10device_ptrIbEEEENSA_INSB_IiEEEEjNS1_19radix_merge_compareILb0ELb0EbNS0_19identity_decomposerEEEEE10hipError_tT0_T1_T2_jT3_P12ihipStream_tbPNSt15iterator_traitsISK_E10value_typeEPNSQ_ISL_E10value_typeEPSM_NS1_7vsmem_tEENKUlT_SK_SL_SM_E_clIPbSD_PiSF_EESJ_SZ_SK_SL_SM_EUlSZ_E0_NS1_11comp_targetILNS1_3genE5ELNS1_11target_archE942ELNS1_3gpuE9ELNS1_3repE0EEENS1_38merge_mergepath_config_static_selectorELNS0_4arch9wavefront6targetE1EEEvSL_.num_named_barrier, 0
	.set _ZN7rocprim17ROCPRIM_400000_NS6detail17trampoline_kernelINS0_14default_configENS1_38merge_sort_block_merge_config_selectorIbiEEZZNS1_27merge_sort_block_merge_implIS3_N6thrust23THRUST_200600_302600_NS6detail15normal_iteratorINS8_10device_ptrIbEEEENSA_INSB_IiEEEEjNS1_19radix_merge_compareILb0ELb0EbNS0_19identity_decomposerEEEEE10hipError_tT0_T1_T2_jT3_P12ihipStream_tbPNSt15iterator_traitsISK_E10value_typeEPNSQ_ISL_E10value_typeEPSM_NS1_7vsmem_tEENKUlT_SK_SL_SM_E_clIPbSD_PiSF_EESJ_SZ_SK_SL_SM_EUlSZ_E0_NS1_11comp_targetILNS1_3genE5ELNS1_11target_archE942ELNS1_3gpuE9ELNS1_3repE0EEENS1_38merge_mergepath_config_static_selectorELNS0_4arch9wavefront6targetE1EEEvSL_.private_seg_size, 0
	.set _ZN7rocprim17ROCPRIM_400000_NS6detail17trampoline_kernelINS0_14default_configENS1_38merge_sort_block_merge_config_selectorIbiEEZZNS1_27merge_sort_block_merge_implIS3_N6thrust23THRUST_200600_302600_NS6detail15normal_iteratorINS8_10device_ptrIbEEEENSA_INSB_IiEEEEjNS1_19radix_merge_compareILb0ELb0EbNS0_19identity_decomposerEEEEE10hipError_tT0_T1_T2_jT3_P12ihipStream_tbPNSt15iterator_traitsISK_E10value_typeEPNSQ_ISL_E10value_typeEPSM_NS1_7vsmem_tEENKUlT_SK_SL_SM_E_clIPbSD_PiSF_EESJ_SZ_SK_SL_SM_EUlSZ_E0_NS1_11comp_targetILNS1_3genE5ELNS1_11target_archE942ELNS1_3gpuE9ELNS1_3repE0EEENS1_38merge_mergepath_config_static_selectorELNS0_4arch9wavefront6targetE1EEEvSL_.uses_vcc, 0
	.set _ZN7rocprim17ROCPRIM_400000_NS6detail17trampoline_kernelINS0_14default_configENS1_38merge_sort_block_merge_config_selectorIbiEEZZNS1_27merge_sort_block_merge_implIS3_N6thrust23THRUST_200600_302600_NS6detail15normal_iteratorINS8_10device_ptrIbEEEENSA_INSB_IiEEEEjNS1_19radix_merge_compareILb0ELb0EbNS0_19identity_decomposerEEEEE10hipError_tT0_T1_T2_jT3_P12ihipStream_tbPNSt15iterator_traitsISK_E10value_typeEPNSQ_ISL_E10value_typeEPSM_NS1_7vsmem_tEENKUlT_SK_SL_SM_E_clIPbSD_PiSF_EESJ_SZ_SK_SL_SM_EUlSZ_E0_NS1_11comp_targetILNS1_3genE5ELNS1_11target_archE942ELNS1_3gpuE9ELNS1_3repE0EEENS1_38merge_mergepath_config_static_selectorELNS0_4arch9wavefront6targetE1EEEvSL_.uses_flat_scratch, 0
	.set _ZN7rocprim17ROCPRIM_400000_NS6detail17trampoline_kernelINS0_14default_configENS1_38merge_sort_block_merge_config_selectorIbiEEZZNS1_27merge_sort_block_merge_implIS3_N6thrust23THRUST_200600_302600_NS6detail15normal_iteratorINS8_10device_ptrIbEEEENSA_INSB_IiEEEEjNS1_19radix_merge_compareILb0ELb0EbNS0_19identity_decomposerEEEEE10hipError_tT0_T1_T2_jT3_P12ihipStream_tbPNSt15iterator_traitsISK_E10value_typeEPNSQ_ISL_E10value_typeEPSM_NS1_7vsmem_tEENKUlT_SK_SL_SM_E_clIPbSD_PiSF_EESJ_SZ_SK_SL_SM_EUlSZ_E0_NS1_11comp_targetILNS1_3genE5ELNS1_11target_archE942ELNS1_3gpuE9ELNS1_3repE0EEENS1_38merge_mergepath_config_static_selectorELNS0_4arch9wavefront6targetE1EEEvSL_.has_dyn_sized_stack, 0
	.set _ZN7rocprim17ROCPRIM_400000_NS6detail17trampoline_kernelINS0_14default_configENS1_38merge_sort_block_merge_config_selectorIbiEEZZNS1_27merge_sort_block_merge_implIS3_N6thrust23THRUST_200600_302600_NS6detail15normal_iteratorINS8_10device_ptrIbEEEENSA_INSB_IiEEEEjNS1_19radix_merge_compareILb0ELb0EbNS0_19identity_decomposerEEEEE10hipError_tT0_T1_T2_jT3_P12ihipStream_tbPNSt15iterator_traitsISK_E10value_typeEPNSQ_ISL_E10value_typeEPSM_NS1_7vsmem_tEENKUlT_SK_SL_SM_E_clIPbSD_PiSF_EESJ_SZ_SK_SL_SM_EUlSZ_E0_NS1_11comp_targetILNS1_3genE5ELNS1_11target_archE942ELNS1_3gpuE9ELNS1_3repE0EEENS1_38merge_mergepath_config_static_selectorELNS0_4arch9wavefront6targetE1EEEvSL_.has_recursion, 0
	.set _ZN7rocprim17ROCPRIM_400000_NS6detail17trampoline_kernelINS0_14default_configENS1_38merge_sort_block_merge_config_selectorIbiEEZZNS1_27merge_sort_block_merge_implIS3_N6thrust23THRUST_200600_302600_NS6detail15normal_iteratorINS8_10device_ptrIbEEEENSA_INSB_IiEEEEjNS1_19radix_merge_compareILb0ELb0EbNS0_19identity_decomposerEEEEE10hipError_tT0_T1_T2_jT3_P12ihipStream_tbPNSt15iterator_traitsISK_E10value_typeEPNSQ_ISL_E10value_typeEPSM_NS1_7vsmem_tEENKUlT_SK_SL_SM_E_clIPbSD_PiSF_EESJ_SZ_SK_SL_SM_EUlSZ_E0_NS1_11comp_targetILNS1_3genE5ELNS1_11target_archE942ELNS1_3gpuE9ELNS1_3repE0EEENS1_38merge_mergepath_config_static_selectorELNS0_4arch9wavefront6targetE1EEEvSL_.has_indirect_call, 0
	.section	.AMDGPU.csdata,"",@progbits
; Kernel info:
; codeLenInByte = 0
; TotalNumSgprs: 6
; NumVgprs: 0
; NumAgprs: 0
; TotalNumVgprs: 0
; ScratchSize: 0
; MemoryBound: 0
; FloatMode: 240
; IeeeMode: 1
; LDSByteSize: 0 bytes/workgroup (compile time only)
; SGPRBlocks: 0
; VGPRBlocks: 0
; NumSGPRsForWavesPerEU: 6
; NumVGPRsForWavesPerEU: 1
; AccumOffset: 4
; Occupancy: 8
; WaveLimiterHint : 0
; COMPUTE_PGM_RSRC2:SCRATCH_EN: 0
; COMPUTE_PGM_RSRC2:USER_SGPR: 2
; COMPUTE_PGM_RSRC2:TRAP_HANDLER: 0
; COMPUTE_PGM_RSRC2:TGID_X_EN: 1
; COMPUTE_PGM_RSRC2:TGID_Y_EN: 0
; COMPUTE_PGM_RSRC2:TGID_Z_EN: 0
; COMPUTE_PGM_RSRC2:TIDIG_COMP_CNT: 0
; COMPUTE_PGM_RSRC3_GFX90A:ACCUM_OFFSET: 0
; COMPUTE_PGM_RSRC3_GFX90A:TG_SPLIT: 0
	.section	.text._ZN7rocprim17ROCPRIM_400000_NS6detail17trampoline_kernelINS0_14default_configENS1_38merge_sort_block_merge_config_selectorIbiEEZZNS1_27merge_sort_block_merge_implIS3_N6thrust23THRUST_200600_302600_NS6detail15normal_iteratorINS8_10device_ptrIbEEEENSA_INSB_IiEEEEjNS1_19radix_merge_compareILb0ELb0EbNS0_19identity_decomposerEEEEE10hipError_tT0_T1_T2_jT3_P12ihipStream_tbPNSt15iterator_traitsISK_E10value_typeEPNSQ_ISL_E10value_typeEPSM_NS1_7vsmem_tEENKUlT_SK_SL_SM_E_clIPbSD_PiSF_EESJ_SZ_SK_SL_SM_EUlSZ_E0_NS1_11comp_targetILNS1_3genE4ELNS1_11target_archE910ELNS1_3gpuE8ELNS1_3repE0EEENS1_38merge_mergepath_config_static_selectorELNS0_4arch9wavefront6targetE1EEEvSL_,"axG",@progbits,_ZN7rocprim17ROCPRIM_400000_NS6detail17trampoline_kernelINS0_14default_configENS1_38merge_sort_block_merge_config_selectorIbiEEZZNS1_27merge_sort_block_merge_implIS3_N6thrust23THRUST_200600_302600_NS6detail15normal_iteratorINS8_10device_ptrIbEEEENSA_INSB_IiEEEEjNS1_19radix_merge_compareILb0ELb0EbNS0_19identity_decomposerEEEEE10hipError_tT0_T1_T2_jT3_P12ihipStream_tbPNSt15iterator_traitsISK_E10value_typeEPNSQ_ISL_E10value_typeEPSM_NS1_7vsmem_tEENKUlT_SK_SL_SM_E_clIPbSD_PiSF_EESJ_SZ_SK_SL_SM_EUlSZ_E0_NS1_11comp_targetILNS1_3genE4ELNS1_11target_archE910ELNS1_3gpuE8ELNS1_3repE0EEENS1_38merge_mergepath_config_static_selectorELNS0_4arch9wavefront6targetE1EEEvSL_,comdat
	.protected	_ZN7rocprim17ROCPRIM_400000_NS6detail17trampoline_kernelINS0_14default_configENS1_38merge_sort_block_merge_config_selectorIbiEEZZNS1_27merge_sort_block_merge_implIS3_N6thrust23THRUST_200600_302600_NS6detail15normal_iteratorINS8_10device_ptrIbEEEENSA_INSB_IiEEEEjNS1_19radix_merge_compareILb0ELb0EbNS0_19identity_decomposerEEEEE10hipError_tT0_T1_T2_jT3_P12ihipStream_tbPNSt15iterator_traitsISK_E10value_typeEPNSQ_ISL_E10value_typeEPSM_NS1_7vsmem_tEENKUlT_SK_SL_SM_E_clIPbSD_PiSF_EESJ_SZ_SK_SL_SM_EUlSZ_E0_NS1_11comp_targetILNS1_3genE4ELNS1_11target_archE910ELNS1_3gpuE8ELNS1_3repE0EEENS1_38merge_mergepath_config_static_selectorELNS0_4arch9wavefront6targetE1EEEvSL_ ; -- Begin function _ZN7rocprim17ROCPRIM_400000_NS6detail17trampoline_kernelINS0_14default_configENS1_38merge_sort_block_merge_config_selectorIbiEEZZNS1_27merge_sort_block_merge_implIS3_N6thrust23THRUST_200600_302600_NS6detail15normal_iteratorINS8_10device_ptrIbEEEENSA_INSB_IiEEEEjNS1_19radix_merge_compareILb0ELb0EbNS0_19identity_decomposerEEEEE10hipError_tT0_T1_T2_jT3_P12ihipStream_tbPNSt15iterator_traitsISK_E10value_typeEPNSQ_ISL_E10value_typeEPSM_NS1_7vsmem_tEENKUlT_SK_SL_SM_E_clIPbSD_PiSF_EESJ_SZ_SK_SL_SM_EUlSZ_E0_NS1_11comp_targetILNS1_3genE4ELNS1_11target_archE910ELNS1_3gpuE8ELNS1_3repE0EEENS1_38merge_mergepath_config_static_selectorELNS0_4arch9wavefront6targetE1EEEvSL_
	.globl	_ZN7rocprim17ROCPRIM_400000_NS6detail17trampoline_kernelINS0_14default_configENS1_38merge_sort_block_merge_config_selectorIbiEEZZNS1_27merge_sort_block_merge_implIS3_N6thrust23THRUST_200600_302600_NS6detail15normal_iteratorINS8_10device_ptrIbEEEENSA_INSB_IiEEEEjNS1_19radix_merge_compareILb0ELb0EbNS0_19identity_decomposerEEEEE10hipError_tT0_T1_T2_jT3_P12ihipStream_tbPNSt15iterator_traitsISK_E10value_typeEPNSQ_ISL_E10value_typeEPSM_NS1_7vsmem_tEENKUlT_SK_SL_SM_E_clIPbSD_PiSF_EESJ_SZ_SK_SL_SM_EUlSZ_E0_NS1_11comp_targetILNS1_3genE4ELNS1_11target_archE910ELNS1_3gpuE8ELNS1_3repE0EEENS1_38merge_mergepath_config_static_selectorELNS0_4arch9wavefront6targetE1EEEvSL_
	.p2align	8
	.type	_ZN7rocprim17ROCPRIM_400000_NS6detail17trampoline_kernelINS0_14default_configENS1_38merge_sort_block_merge_config_selectorIbiEEZZNS1_27merge_sort_block_merge_implIS3_N6thrust23THRUST_200600_302600_NS6detail15normal_iteratorINS8_10device_ptrIbEEEENSA_INSB_IiEEEEjNS1_19radix_merge_compareILb0ELb0EbNS0_19identity_decomposerEEEEE10hipError_tT0_T1_T2_jT3_P12ihipStream_tbPNSt15iterator_traitsISK_E10value_typeEPNSQ_ISL_E10value_typeEPSM_NS1_7vsmem_tEENKUlT_SK_SL_SM_E_clIPbSD_PiSF_EESJ_SZ_SK_SL_SM_EUlSZ_E0_NS1_11comp_targetILNS1_3genE4ELNS1_11target_archE910ELNS1_3gpuE8ELNS1_3repE0EEENS1_38merge_mergepath_config_static_selectorELNS0_4arch9wavefront6targetE1EEEvSL_,@function
_ZN7rocprim17ROCPRIM_400000_NS6detail17trampoline_kernelINS0_14default_configENS1_38merge_sort_block_merge_config_selectorIbiEEZZNS1_27merge_sort_block_merge_implIS3_N6thrust23THRUST_200600_302600_NS6detail15normal_iteratorINS8_10device_ptrIbEEEENSA_INSB_IiEEEEjNS1_19radix_merge_compareILb0ELb0EbNS0_19identity_decomposerEEEEE10hipError_tT0_T1_T2_jT3_P12ihipStream_tbPNSt15iterator_traitsISK_E10value_typeEPNSQ_ISL_E10value_typeEPSM_NS1_7vsmem_tEENKUlT_SK_SL_SM_E_clIPbSD_PiSF_EESJ_SZ_SK_SL_SM_EUlSZ_E0_NS1_11comp_targetILNS1_3genE4ELNS1_11target_archE910ELNS1_3gpuE8ELNS1_3repE0EEENS1_38merge_mergepath_config_static_selectorELNS0_4arch9wavefront6targetE1EEEvSL_: ; @_ZN7rocprim17ROCPRIM_400000_NS6detail17trampoline_kernelINS0_14default_configENS1_38merge_sort_block_merge_config_selectorIbiEEZZNS1_27merge_sort_block_merge_implIS3_N6thrust23THRUST_200600_302600_NS6detail15normal_iteratorINS8_10device_ptrIbEEEENSA_INSB_IiEEEEjNS1_19radix_merge_compareILb0ELb0EbNS0_19identity_decomposerEEEEE10hipError_tT0_T1_T2_jT3_P12ihipStream_tbPNSt15iterator_traitsISK_E10value_typeEPNSQ_ISL_E10value_typeEPSM_NS1_7vsmem_tEENKUlT_SK_SL_SM_E_clIPbSD_PiSF_EESJ_SZ_SK_SL_SM_EUlSZ_E0_NS1_11comp_targetILNS1_3genE4ELNS1_11target_archE910ELNS1_3gpuE8ELNS1_3repE0EEENS1_38merge_mergepath_config_static_selectorELNS0_4arch9wavefront6targetE1EEEvSL_
; %bb.0:
	.section	.rodata,"a",@progbits
	.p2align	6, 0x0
	.amdhsa_kernel _ZN7rocprim17ROCPRIM_400000_NS6detail17trampoline_kernelINS0_14default_configENS1_38merge_sort_block_merge_config_selectorIbiEEZZNS1_27merge_sort_block_merge_implIS3_N6thrust23THRUST_200600_302600_NS6detail15normal_iteratorINS8_10device_ptrIbEEEENSA_INSB_IiEEEEjNS1_19radix_merge_compareILb0ELb0EbNS0_19identity_decomposerEEEEE10hipError_tT0_T1_T2_jT3_P12ihipStream_tbPNSt15iterator_traitsISK_E10value_typeEPNSQ_ISL_E10value_typeEPSM_NS1_7vsmem_tEENKUlT_SK_SL_SM_E_clIPbSD_PiSF_EESJ_SZ_SK_SL_SM_EUlSZ_E0_NS1_11comp_targetILNS1_3genE4ELNS1_11target_archE910ELNS1_3gpuE8ELNS1_3repE0EEENS1_38merge_mergepath_config_static_selectorELNS0_4arch9wavefront6targetE1EEEvSL_
		.amdhsa_group_segment_fixed_size 0
		.amdhsa_private_segment_fixed_size 0
		.amdhsa_kernarg_size 64
		.amdhsa_user_sgpr_count 2
		.amdhsa_user_sgpr_dispatch_ptr 0
		.amdhsa_user_sgpr_queue_ptr 0
		.amdhsa_user_sgpr_kernarg_segment_ptr 1
		.amdhsa_user_sgpr_dispatch_id 0
		.amdhsa_user_sgpr_kernarg_preload_length 0
		.amdhsa_user_sgpr_kernarg_preload_offset 0
		.amdhsa_user_sgpr_private_segment_size 0
		.amdhsa_uses_dynamic_stack 0
		.amdhsa_enable_private_segment 0
		.amdhsa_system_sgpr_workgroup_id_x 1
		.amdhsa_system_sgpr_workgroup_id_y 0
		.amdhsa_system_sgpr_workgroup_id_z 0
		.amdhsa_system_sgpr_workgroup_info 0
		.amdhsa_system_vgpr_workitem_id 0
		.amdhsa_next_free_vgpr 1
		.amdhsa_next_free_sgpr 0
		.amdhsa_accum_offset 4
		.amdhsa_reserve_vcc 0
		.amdhsa_float_round_mode_32 0
		.amdhsa_float_round_mode_16_64 0
		.amdhsa_float_denorm_mode_32 3
		.amdhsa_float_denorm_mode_16_64 3
		.amdhsa_dx10_clamp 1
		.amdhsa_ieee_mode 1
		.amdhsa_fp16_overflow 0
		.amdhsa_tg_split 0
		.amdhsa_exception_fp_ieee_invalid_op 0
		.amdhsa_exception_fp_denorm_src 0
		.amdhsa_exception_fp_ieee_div_zero 0
		.amdhsa_exception_fp_ieee_overflow 0
		.amdhsa_exception_fp_ieee_underflow 0
		.amdhsa_exception_fp_ieee_inexact 0
		.amdhsa_exception_int_div_zero 0
	.end_amdhsa_kernel
	.section	.text._ZN7rocprim17ROCPRIM_400000_NS6detail17trampoline_kernelINS0_14default_configENS1_38merge_sort_block_merge_config_selectorIbiEEZZNS1_27merge_sort_block_merge_implIS3_N6thrust23THRUST_200600_302600_NS6detail15normal_iteratorINS8_10device_ptrIbEEEENSA_INSB_IiEEEEjNS1_19radix_merge_compareILb0ELb0EbNS0_19identity_decomposerEEEEE10hipError_tT0_T1_T2_jT3_P12ihipStream_tbPNSt15iterator_traitsISK_E10value_typeEPNSQ_ISL_E10value_typeEPSM_NS1_7vsmem_tEENKUlT_SK_SL_SM_E_clIPbSD_PiSF_EESJ_SZ_SK_SL_SM_EUlSZ_E0_NS1_11comp_targetILNS1_3genE4ELNS1_11target_archE910ELNS1_3gpuE8ELNS1_3repE0EEENS1_38merge_mergepath_config_static_selectorELNS0_4arch9wavefront6targetE1EEEvSL_,"axG",@progbits,_ZN7rocprim17ROCPRIM_400000_NS6detail17trampoline_kernelINS0_14default_configENS1_38merge_sort_block_merge_config_selectorIbiEEZZNS1_27merge_sort_block_merge_implIS3_N6thrust23THRUST_200600_302600_NS6detail15normal_iteratorINS8_10device_ptrIbEEEENSA_INSB_IiEEEEjNS1_19radix_merge_compareILb0ELb0EbNS0_19identity_decomposerEEEEE10hipError_tT0_T1_T2_jT3_P12ihipStream_tbPNSt15iterator_traitsISK_E10value_typeEPNSQ_ISL_E10value_typeEPSM_NS1_7vsmem_tEENKUlT_SK_SL_SM_E_clIPbSD_PiSF_EESJ_SZ_SK_SL_SM_EUlSZ_E0_NS1_11comp_targetILNS1_3genE4ELNS1_11target_archE910ELNS1_3gpuE8ELNS1_3repE0EEENS1_38merge_mergepath_config_static_selectorELNS0_4arch9wavefront6targetE1EEEvSL_,comdat
.Lfunc_end1920:
	.size	_ZN7rocprim17ROCPRIM_400000_NS6detail17trampoline_kernelINS0_14default_configENS1_38merge_sort_block_merge_config_selectorIbiEEZZNS1_27merge_sort_block_merge_implIS3_N6thrust23THRUST_200600_302600_NS6detail15normal_iteratorINS8_10device_ptrIbEEEENSA_INSB_IiEEEEjNS1_19radix_merge_compareILb0ELb0EbNS0_19identity_decomposerEEEEE10hipError_tT0_T1_T2_jT3_P12ihipStream_tbPNSt15iterator_traitsISK_E10value_typeEPNSQ_ISL_E10value_typeEPSM_NS1_7vsmem_tEENKUlT_SK_SL_SM_E_clIPbSD_PiSF_EESJ_SZ_SK_SL_SM_EUlSZ_E0_NS1_11comp_targetILNS1_3genE4ELNS1_11target_archE910ELNS1_3gpuE8ELNS1_3repE0EEENS1_38merge_mergepath_config_static_selectorELNS0_4arch9wavefront6targetE1EEEvSL_, .Lfunc_end1920-_ZN7rocprim17ROCPRIM_400000_NS6detail17trampoline_kernelINS0_14default_configENS1_38merge_sort_block_merge_config_selectorIbiEEZZNS1_27merge_sort_block_merge_implIS3_N6thrust23THRUST_200600_302600_NS6detail15normal_iteratorINS8_10device_ptrIbEEEENSA_INSB_IiEEEEjNS1_19radix_merge_compareILb0ELb0EbNS0_19identity_decomposerEEEEE10hipError_tT0_T1_T2_jT3_P12ihipStream_tbPNSt15iterator_traitsISK_E10value_typeEPNSQ_ISL_E10value_typeEPSM_NS1_7vsmem_tEENKUlT_SK_SL_SM_E_clIPbSD_PiSF_EESJ_SZ_SK_SL_SM_EUlSZ_E0_NS1_11comp_targetILNS1_3genE4ELNS1_11target_archE910ELNS1_3gpuE8ELNS1_3repE0EEENS1_38merge_mergepath_config_static_selectorELNS0_4arch9wavefront6targetE1EEEvSL_
                                        ; -- End function
	.set _ZN7rocprim17ROCPRIM_400000_NS6detail17trampoline_kernelINS0_14default_configENS1_38merge_sort_block_merge_config_selectorIbiEEZZNS1_27merge_sort_block_merge_implIS3_N6thrust23THRUST_200600_302600_NS6detail15normal_iteratorINS8_10device_ptrIbEEEENSA_INSB_IiEEEEjNS1_19radix_merge_compareILb0ELb0EbNS0_19identity_decomposerEEEEE10hipError_tT0_T1_T2_jT3_P12ihipStream_tbPNSt15iterator_traitsISK_E10value_typeEPNSQ_ISL_E10value_typeEPSM_NS1_7vsmem_tEENKUlT_SK_SL_SM_E_clIPbSD_PiSF_EESJ_SZ_SK_SL_SM_EUlSZ_E0_NS1_11comp_targetILNS1_3genE4ELNS1_11target_archE910ELNS1_3gpuE8ELNS1_3repE0EEENS1_38merge_mergepath_config_static_selectorELNS0_4arch9wavefront6targetE1EEEvSL_.num_vgpr, 0
	.set _ZN7rocprim17ROCPRIM_400000_NS6detail17trampoline_kernelINS0_14default_configENS1_38merge_sort_block_merge_config_selectorIbiEEZZNS1_27merge_sort_block_merge_implIS3_N6thrust23THRUST_200600_302600_NS6detail15normal_iteratorINS8_10device_ptrIbEEEENSA_INSB_IiEEEEjNS1_19radix_merge_compareILb0ELb0EbNS0_19identity_decomposerEEEEE10hipError_tT0_T1_T2_jT3_P12ihipStream_tbPNSt15iterator_traitsISK_E10value_typeEPNSQ_ISL_E10value_typeEPSM_NS1_7vsmem_tEENKUlT_SK_SL_SM_E_clIPbSD_PiSF_EESJ_SZ_SK_SL_SM_EUlSZ_E0_NS1_11comp_targetILNS1_3genE4ELNS1_11target_archE910ELNS1_3gpuE8ELNS1_3repE0EEENS1_38merge_mergepath_config_static_selectorELNS0_4arch9wavefront6targetE1EEEvSL_.num_agpr, 0
	.set _ZN7rocprim17ROCPRIM_400000_NS6detail17trampoline_kernelINS0_14default_configENS1_38merge_sort_block_merge_config_selectorIbiEEZZNS1_27merge_sort_block_merge_implIS3_N6thrust23THRUST_200600_302600_NS6detail15normal_iteratorINS8_10device_ptrIbEEEENSA_INSB_IiEEEEjNS1_19radix_merge_compareILb0ELb0EbNS0_19identity_decomposerEEEEE10hipError_tT0_T1_T2_jT3_P12ihipStream_tbPNSt15iterator_traitsISK_E10value_typeEPNSQ_ISL_E10value_typeEPSM_NS1_7vsmem_tEENKUlT_SK_SL_SM_E_clIPbSD_PiSF_EESJ_SZ_SK_SL_SM_EUlSZ_E0_NS1_11comp_targetILNS1_3genE4ELNS1_11target_archE910ELNS1_3gpuE8ELNS1_3repE0EEENS1_38merge_mergepath_config_static_selectorELNS0_4arch9wavefront6targetE1EEEvSL_.numbered_sgpr, 0
	.set _ZN7rocprim17ROCPRIM_400000_NS6detail17trampoline_kernelINS0_14default_configENS1_38merge_sort_block_merge_config_selectorIbiEEZZNS1_27merge_sort_block_merge_implIS3_N6thrust23THRUST_200600_302600_NS6detail15normal_iteratorINS8_10device_ptrIbEEEENSA_INSB_IiEEEEjNS1_19radix_merge_compareILb0ELb0EbNS0_19identity_decomposerEEEEE10hipError_tT0_T1_T2_jT3_P12ihipStream_tbPNSt15iterator_traitsISK_E10value_typeEPNSQ_ISL_E10value_typeEPSM_NS1_7vsmem_tEENKUlT_SK_SL_SM_E_clIPbSD_PiSF_EESJ_SZ_SK_SL_SM_EUlSZ_E0_NS1_11comp_targetILNS1_3genE4ELNS1_11target_archE910ELNS1_3gpuE8ELNS1_3repE0EEENS1_38merge_mergepath_config_static_selectorELNS0_4arch9wavefront6targetE1EEEvSL_.num_named_barrier, 0
	.set _ZN7rocprim17ROCPRIM_400000_NS6detail17trampoline_kernelINS0_14default_configENS1_38merge_sort_block_merge_config_selectorIbiEEZZNS1_27merge_sort_block_merge_implIS3_N6thrust23THRUST_200600_302600_NS6detail15normal_iteratorINS8_10device_ptrIbEEEENSA_INSB_IiEEEEjNS1_19radix_merge_compareILb0ELb0EbNS0_19identity_decomposerEEEEE10hipError_tT0_T1_T2_jT3_P12ihipStream_tbPNSt15iterator_traitsISK_E10value_typeEPNSQ_ISL_E10value_typeEPSM_NS1_7vsmem_tEENKUlT_SK_SL_SM_E_clIPbSD_PiSF_EESJ_SZ_SK_SL_SM_EUlSZ_E0_NS1_11comp_targetILNS1_3genE4ELNS1_11target_archE910ELNS1_3gpuE8ELNS1_3repE0EEENS1_38merge_mergepath_config_static_selectorELNS0_4arch9wavefront6targetE1EEEvSL_.private_seg_size, 0
	.set _ZN7rocprim17ROCPRIM_400000_NS6detail17trampoline_kernelINS0_14default_configENS1_38merge_sort_block_merge_config_selectorIbiEEZZNS1_27merge_sort_block_merge_implIS3_N6thrust23THRUST_200600_302600_NS6detail15normal_iteratorINS8_10device_ptrIbEEEENSA_INSB_IiEEEEjNS1_19radix_merge_compareILb0ELb0EbNS0_19identity_decomposerEEEEE10hipError_tT0_T1_T2_jT3_P12ihipStream_tbPNSt15iterator_traitsISK_E10value_typeEPNSQ_ISL_E10value_typeEPSM_NS1_7vsmem_tEENKUlT_SK_SL_SM_E_clIPbSD_PiSF_EESJ_SZ_SK_SL_SM_EUlSZ_E0_NS1_11comp_targetILNS1_3genE4ELNS1_11target_archE910ELNS1_3gpuE8ELNS1_3repE0EEENS1_38merge_mergepath_config_static_selectorELNS0_4arch9wavefront6targetE1EEEvSL_.uses_vcc, 0
	.set _ZN7rocprim17ROCPRIM_400000_NS6detail17trampoline_kernelINS0_14default_configENS1_38merge_sort_block_merge_config_selectorIbiEEZZNS1_27merge_sort_block_merge_implIS3_N6thrust23THRUST_200600_302600_NS6detail15normal_iteratorINS8_10device_ptrIbEEEENSA_INSB_IiEEEEjNS1_19radix_merge_compareILb0ELb0EbNS0_19identity_decomposerEEEEE10hipError_tT0_T1_T2_jT3_P12ihipStream_tbPNSt15iterator_traitsISK_E10value_typeEPNSQ_ISL_E10value_typeEPSM_NS1_7vsmem_tEENKUlT_SK_SL_SM_E_clIPbSD_PiSF_EESJ_SZ_SK_SL_SM_EUlSZ_E0_NS1_11comp_targetILNS1_3genE4ELNS1_11target_archE910ELNS1_3gpuE8ELNS1_3repE0EEENS1_38merge_mergepath_config_static_selectorELNS0_4arch9wavefront6targetE1EEEvSL_.uses_flat_scratch, 0
	.set _ZN7rocprim17ROCPRIM_400000_NS6detail17trampoline_kernelINS0_14default_configENS1_38merge_sort_block_merge_config_selectorIbiEEZZNS1_27merge_sort_block_merge_implIS3_N6thrust23THRUST_200600_302600_NS6detail15normal_iteratorINS8_10device_ptrIbEEEENSA_INSB_IiEEEEjNS1_19radix_merge_compareILb0ELb0EbNS0_19identity_decomposerEEEEE10hipError_tT0_T1_T2_jT3_P12ihipStream_tbPNSt15iterator_traitsISK_E10value_typeEPNSQ_ISL_E10value_typeEPSM_NS1_7vsmem_tEENKUlT_SK_SL_SM_E_clIPbSD_PiSF_EESJ_SZ_SK_SL_SM_EUlSZ_E0_NS1_11comp_targetILNS1_3genE4ELNS1_11target_archE910ELNS1_3gpuE8ELNS1_3repE0EEENS1_38merge_mergepath_config_static_selectorELNS0_4arch9wavefront6targetE1EEEvSL_.has_dyn_sized_stack, 0
	.set _ZN7rocprim17ROCPRIM_400000_NS6detail17trampoline_kernelINS0_14default_configENS1_38merge_sort_block_merge_config_selectorIbiEEZZNS1_27merge_sort_block_merge_implIS3_N6thrust23THRUST_200600_302600_NS6detail15normal_iteratorINS8_10device_ptrIbEEEENSA_INSB_IiEEEEjNS1_19radix_merge_compareILb0ELb0EbNS0_19identity_decomposerEEEEE10hipError_tT0_T1_T2_jT3_P12ihipStream_tbPNSt15iterator_traitsISK_E10value_typeEPNSQ_ISL_E10value_typeEPSM_NS1_7vsmem_tEENKUlT_SK_SL_SM_E_clIPbSD_PiSF_EESJ_SZ_SK_SL_SM_EUlSZ_E0_NS1_11comp_targetILNS1_3genE4ELNS1_11target_archE910ELNS1_3gpuE8ELNS1_3repE0EEENS1_38merge_mergepath_config_static_selectorELNS0_4arch9wavefront6targetE1EEEvSL_.has_recursion, 0
	.set _ZN7rocprim17ROCPRIM_400000_NS6detail17trampoline_kernelINS0_14default_configENS1_38merge_sort_block_merge_config_selectorIbiEEZZNS1_27merge_sort_block_merge_implIS3_N6thrust23THRUST_200600_302600_NS6detail15normal_iteratorINS8_10device_ptrIbEEEENSA_INSB_IiEEEEjNS1_19radix_merge_compareILb0ELb0EbNS0_19identity_decomposerEEEEE10hipError_tT0_T1_T2_jT3_P12ihipStream_tbPNSt15iterator_traitsISK_E10value_typeEPNSQ_ISL_E10value_typeEPSM_NS1_7vsmem_tEENKUlT_SK_SL_SM_E_clIPbSD_PiSF_EESJ_SZ_SK_SL_SM_EUlSZ_E0_NS1_11comp_targetILNS1_3genE4ELNS1_11target_archE910ELNS1_3gpuE8ELNS1_3repE0EEENS1_38merge_mergepath_config_static_selectorELNS0_4arch9wavefront6targetE1EEEvSL_.has_indirect_call, 0
	.section	.AMDGPU.csdata,"",@progbits
; Kernel info:
; codeLenInByte = 0
; TotalNumSgprs: 6
; NumVgprs: 0
; NumAgprs: 0
; TotalNumVgprs: 0
; ScratchSize: 0
; MemoryBound: 0
; FloatMode: 240
; IeeeMode: 1
; LDSByteSize: 0 bytes/workgroup (compile time only)
; SGPRBlocks: 0
; VGPRBlocks: 0
; NumSGPRsForWavesPerEU: 6
; NumVGPRsForWavesPerEU: 1
; AccumOffset: 4
; Occupancy: 8
; WaveLimiterHint : 0
; COMPUTE_PGM_RSRC2:SCRATCH_EN: 0
; COMPUTE_PGM_RSRC2:USER_SGPR: 2
; COMPUTE_PGM_RSRC2:TRAP_HANDLER: 0
; COMPUTE_PGM_RSRC2:TGID_X_EN: 1
; COMPUTE_PGM_RSRC2:TGID_Y_EN: 0
; COMPUTE_PGM_RSRC2:TGID_Z_EN: 0
; COMPUTE_PGM_RSRC2:TIDIG_COMP_CNT: 0
; COMPUTE_PGM_RSRC3_GFX90A:ACCUM_OFFSET: 0
; COMPUTE_PGM_RSRC3_GFX90A:TG_SPLIT: 0
	.section	.text._ZN7rocprim17ROCPRIM_400000_NS6detail17trampoline_kernelINS0_14default_configENS1_38merge_sort_block_merge_config_selectorIbiEEZZNS1_27merge_sort_block_merge_implIS3_N6thrust23THRUST_200600_302600_NS6detail15normal_iteratorINS8_10device_ptrIbEEEENSA_INSB_IiEEEEjNS1_19radix_merge_compareILb0ELb0EbNS0_19identity_decomposerEEEEE10hipError_tT0_T1_T2_jT3_P12ihipStream_tbPNSt15iterator_traitsISK_E10value_typeEPNSQ_ISL_E10value_typeEPSM_NS1_7vsmem_tEENKUlT_SK_SL_SM_E_clIPbSD_PiSF_EESJ_SZ_SK_SL_SM_EUlSZ_E0_NS1_11comp_targetILNS1_3genE3ELNS1_11target_archE908ELNS1_3gpuE7ELNS1_3repE0EEENS1_38merge_mergepath_config_static_selectorELNS0_4arch9wavefront6targetE1EEEvSL_,"axG",@progbits,_ZN7rocprim17ROCPRIM_400000_NS6detail17trampoline_kernelINS0_14default_configENS1_38merge_sort_block_merge_config_selectorIbiEEZZNS1_27merge_sort_block_merge_implIS3_N6thrust23THRUST_200600_302600_NS6detail15normal_iteratorINS8_10device_ptrIbEEEENSA_INSB_IiEEEEjNS1_19radix_merge_compareILb0ELb0EbNS0_19identity_decomposerEEEEE10hipError_tT0_T1_T2_jT3_P12ihipStream_tbPNSt15iterator_traitsISK_E10value_typeEPNSQ_ISL_E10value_typeEPSM_NS1_7vsmem_tEENKUlT_SK_SL_SM_E_clIPbSD_PiSF_EESJ_SZ_SK_SL_SM_EUlSZ_E0_NS1_11comp_targetILNS1_3genE3ELNS1_11target_archE908ELNS1_3gpuE7ELNS1_3repE0EEENS1_38merge_mergepath_config_static_selectorELNS0_4arch9wavefront6targetE1EEEvSL_,comdat
	.protected	_ZN7rocprim17ROCPRIM_400000_NS6detail17trampoline_kernelINS0_14default_configENS1_38merge_sort_block_merge_config_selectorIbiEEZZNS1_27merge_sort_block_merge_implIS3_N6thrust23THRUST_200600_302600_NS6detail15normal_iteratorINS8_10device_ptrIbEEEENSA_INSB_IiEEEEjNS1_19radix_merge_compareILb0ELb0EbNS0_19identity_decomposerEEEEE10hipError_tT0_T1_T2_jT3_P12ihipStream_tbPNSt15iterator_traitsISK_E10value_typeEPNSQ_ISL_E10value_typeEPSM_NS1_7vsmem_tEENKUlT_SK_SL_SM_E_clIPbSD_PiSF_EESJ_SZ_SK_SL_SM_EUlSZ_E0_NS1_11comp_targetILNS1_3genE3ELNS1_11target_archE908ELNS1_3gpuE7ELNS1_3repE0EEENS1_38merge_mergepath_config_static_selectorELNS0_4arch9wavefront6targetE1EEEvSL_ ; -- Begin function _ZN7rocprim17ROCPRIM_400000_NS6detail17trampoline_kernelINS0_14default_configENS1_38merge_sort_block_merge_config_selectorIbiEEZZNS1_27merge_sort_block_merge_implIS3_N6thrust23THRUST_200600_302600_NS6detail15normal_iteratorINS8_10device_ptrIbEEEENSA_INSB_IiEEEEjNS1_19radix_merge_compareILb0ELb0EbNS0_19identity_decomposerEEEEE10hipError_tT0_T1_T2_jT3_P12ihipStream_tbPNSt15iterator_traitsISK_E10value_typeEPNSQ_ISL_E10value_typeEPSM_NS1_7vsmem_tEENKUlT_SK_SL_SM_E_clIPbSD_PiSF_EESJ_SZ_SK_SL_SM_EUlSZ_E0_NS1_11comp_targetILNS1_3genE3ELNS1_11target_archE908ELNS1_3gpuE7ELNS1_3repE0EEENS1_38merge_mergepath_config_static_selectorELNS0_4arch9wavefront6targetE1EEEvSL_
	.globl	_ZN7rocprim17ROCPRIM_400000_NS6detail17trampoline_kernelINS0_14default_configENS1_38merge_sort_block_merge_config_selectorIbiEEZZNS1_27merge_sort_block_merge_implIS3_N6thrust23THRUST_200600_302600_NS6detail15normal_iteratorINS8_10device_ptrIbEEEENSA_INSB_IiEEEEjNS1_19radix_merge_compareILb0ELb0EbNS0_19identity_decomposerEEEEE10hipError_tT0_T1_T2_jT3_P12ihipStream_tbPNSt15iterator_traitsISK_E10value_typeEPNSQ_ISL_E10value_typeEPSM_NS1_7vsmem_tEENKUlT_SK_SL_SM_E_clIPbSD_PiSF_EESJ_SZ_SK_SL_SM_EUlSZ_E0_NS1_11comp_targetILNS1_3genE3ELNS1_11target_archE908ELNS1_3gpuE7ELNS1_3repE0EEENS1_38merge_mergepath_config_static_selectorELNS0_4arch9wavefront6targetE1EEEvSL_
	.p2align	8
	.type	_ZN7rocprim17ROCPRIM_400000_NS6detail17trampoline_kernelINS0_14default_configENS1_38merge_sort_block_merge_config_selectorIbiEEZZNS1_27merge_sort_block_merge_implIS3_N6thrust23THRUST_200600_302600_NS6detail15normal_iteratorINS8_10device_ptrIbEEEENSA_INSB_IiEEEEjNS1_19radix_merge_compareILb0ELb0EbNS0_19identity_decomposerEEEEE10hipError_tT0_T1_T2_jT3_P12ihipStream_tbPNSt15iterator_traitsISK_E10value_typeEPNSQ_ISL_E10value_typeEPSM_NS1_7vsmem_tEENKUlT_SK_SL_SM_E_clIPbSD_PiSF_EESJ_SZ_SK_SL_SM_EUlSZ_E0_NS1_11comp_targetILNS1_3genE3ELNS1_11target_archE908ELNS1_3gpuE7ELNS1_3repE0EEENS1_38merge_mergepath_config_static_selectorELNS0_4arch9wavefront6targetE1EEEvSL_,@function
_ZN7rocprim17ROCPRIM_400000_NS6detail17trampoline_kernelINS0_14default_configENS1_38merge_sort_block_merge_config_selectorIbiEEZZNS1_27merge_sort_block_merge_implIS3_N6thrust23THRUST_200600_302600_NS6detail15normal_iteratorINS8_10device_ptrIbEEEENSA_INSB_IiEEEEjNS1_19radix_merge_compareILb0ELb0EbNS0_19identity_decomposerEEEEE10hipError_tT0_T1_T2_jT3_P12ihipStream_tbPNSt15iterator_traitsISK_E10value_typeEPNSQ_ISL_E10value_typeEPSM_NS1_7vsmem_tEENKUlT_SK_SL_SM_E_clIPbSD_PiSF_EESJ_SZ_SK_SL_SM_EUlSZ_E0_NS1_11comp_targetILNS1_3genE3ELNS1_11target_archE908ELNS1_3gpuE7ELNS1_3repE0EEENS1_38merge_mergepath_config_static_selectorELNS0_4arch9wavefront6targetE1EEEvSL_: ; @_ZN7rocprim17ROCPRIM_400000_NS6detail17trampoline_kernelINS0_14default_configENS1_38merge_sort_block_merge_config_selectorIbiEEZZNS1_27merge_sort_block_merge_implIS3_N6thrust23THRUST_200600_302600_NS6detail15normal_iteratorINS8_10device_ptrIbEEEENSA_INSB_IiEEEEjNS1_19radix_merge_compareILb0ELb0EbNS0_19identity_decomposerEEEEE10hipError_tT0_T1_T2_jT3_P12ihipStream_tbPNSt15iterator_traitsISK_E10value_typeEPNSQ_ISL_E10value_typeEPSM_NS1_7vsmem_tEENKUlT_SK_SL_SM_E_clIPbSD_PiSF_EESJ_SZ_SK_SL_SM_EUlSZ_E0_NS1_11comp_targetILNS1_3genE3ELNS1_11target_archE908ELNS1_3gpuE7ELNS1_3repE0EEENS1_38merge_mergepath_config_static_selectorELNS0_4arch9wavefront6targetE1EEEvSL_
; %bb.0:
	.section	.rodata,"a",@progbits
	.p2align	6, 0x0
	.amdhsa_kernel _ZN7rocprim17ROCPRIM_400000_NS6detail17trampoline_kernelINS0_14default_configENS1_38merge_sort_block_merge_config_selectorIbiEEZZNS1_27merge_sort_block_merge_implIS3_N6thrust23THRUST_200600_302600_NS6detail15normal_iteratorINS8_10device_ptrIbEEEENSA_INSB_IiEEEEjNS1_19radix_merge_compareILb0ELb0EbNS0_19identity_decomposerEEEEE10hipError_tT0_T1_T2_jT3_P12ihipStream_tbPNSt15iterator_traitsISK_E10value_typeEPNSQ_ISL_E10value_typeEPSM_NS1_7vsmem_tEENKUlT_SK_SL_SM_E_clIPbSD_PiSF_EESJ_SZ_SK_SL_SM_EUlSZ_E0_NS1_11comp_targetILNS1_3genE3ELNS1_11target_archE908ELNS1_3gpuE7ELNS1_3repE0EEENS1_38merge_mergepath_config_static_selectorELNS0_4arch9wavefront6targetE1EEEvSL_
		.amdhsa_group_segment_fixed_size 0
		.amdhsa_private_segment_fixed_size 0
		.amdhsa_kernarg_size 64
		.amdhsa_user_sgpr_count 2
		.amdhsa_user_sgpr_dispatch_ptr 0
		.amdhsa_user_sgpr_queue_ptr 0
		.amdhsa_user_sgpr_kernarg_segment_ptr 1
		.amdhsa_user_sgpr_dispatch_id 0
		.amdhsa_user_sgpr_kernarg_preload_length 0
		.amdhsa_user_sgpr_kernarg_preload_offset 0
		.amdhsa_user_sgpr_private_segment_size 0
		.amdhsa_uses_dynamic_stack 0
		.amdhsa_enable_private_segment 0
		.amdhsa_system_sgpr_workgroup_id_x 1
		.amdhsa_system_sgpr_workgroup_id_y 0
		.amdhsa_system_sgpr_workgroup_id_z 0
		.amdhsa_system_sgpr_workgroup_info 0
		.amdhsa_system_vgpr_workitem_id 0
		.amdhsa_next_free_vgpr 1
		.amdhsa_next_free_sgpr 0
		.amdhsa_accum_offset 4
		.amdhsa_reserve_vcc 0
		.amdhsa_float_round_mode_32 0
		.amdhsa_float_round_mode_16_64 0
		.amdhsa_float_denorm_mode_32 3
		.amdhsa_float_denorm_mode_16_64 3
		.amdhsa_dx10_clamp 1
		.amdhsa_ieee_mode 1
		.amdhsa_fp16_overflow 0
		.amdhsa_tg_split 0
		.amdhsa_exception_fp_ieee_invalid_op 0
		.amdhsa_exception_fp_denorm_src 0
		.amdhsa_exception_fp_ieee_div_zero 0
		.amdhsa_exception_fp_ieee_overflow 0
		.amdhsa_exception_fp_ieee_underflow 0
		.amdhsa_exception_fp_ieee_inexact 0
		.amdhsa_exception_int_div_zero 0
	.end_amdhsa_kernel
	.section	.text._ZN7rocprim17ROCPRIM_400000_NS6detail17trampoline_kernelINS0_14default_configENS1_38merge_sort_block_merge_config_selectorIbiEEZZNS1_27merge_sort_block_merge_implIS3_N6thrust23THRUST_200600_302600_NS6detail15normal_iteratorINS8_10device_ptrIbEEEENSA_INSB_IiEEEEjNS1_19radix_merge_compareILb0ELb0EbNS0_19identity_decomposerEEEEE10hipError_tT0_T1_T2_jT3_P12ihipStream_tbPNSt15iterator_traitsISK_E10value_typeEPNSQ_ISL_E10value_typeEPSM_NS1_7vsmem_tEENKUlT_SK_SL_SM_E_clIPbSD_PiSF_EESJ_SZ_SK_SL_SM_EUlSZ_E0_NS1_11comp_targetILNS1_3genE3ELNS1_11target_archE908ELNS1_3gpuE7ELNS1_3repE0EEENS1_38merge_mergepath_config_static_selectorELNS0_4arch9wavefront6targetE1EEEvSL_,"axG",@progbits,_ZN7rocprim17ROCPRIM_400000_NS6detail17trampoline_kernelINS0_14default_configENS1_38merge_sort_block_merge_config_selectorIbiEEZZNS1_27merge_sort_block_merge_implIS3_N6thrust23THRUST_200600_302600_NS6detail15normal_iteratorINS8_10device_ptrIbEEEENSA_INSB_IiEEEEjNS1_19radix_merge_compareILb0ELb0EbNS0_19identity_decomposerEEEEE10hipError_tT0_T1_T2_jT3_P12ihipStream_tbPNSt15iterator_traitsISK_E10value_typeEPNSQ_ISL_E10value_typeEPSM_NS1_7vsmem_tEENKUlT_SK_SL_SM_E_clIPbSD_PiSF_EESJ_SZ_SK_SL_SM_EUlSZ_E0_NS1_11comp_targetILNS1_3genE3ELNS1_11target_archE908ELNS1_3gpuE7ELNS1_3repE0EEENS1_38merge_mergepath_config_static_selectorELNS0_4arch9wavefront6targetE1EEEvSL_,comdat
.Lfunc_end1921:
	.size	_ZN7rocprim17ROCPRIM_400000_NS6detail17trampoline_kernelINS0_14default_configENS1_38merge_sort_block_merge_config_selectorIbiEEZZNS1_27merge_sort_block_merge_implIS3_N6thrust23THRUST_200600_302600_NS6detail15normal_iteratorINS8_10device_ptrIbEEEENSA_INSB_IiEEEEjNS1_19radix_merge_compareILb0ELb0EbNS0_19identity_decomposerEEEEE10hipError_tT0_T1_T2_jT3_P12ihipStream_tbPNSt15iterator_traitsISK_E10value_typeEPNSQ_ISL_E10value_typeEPSM_NS1_7vsmem_tEENKUlT_SK_SL_SM_E_clIPbSD_PiSF_EESJ_SZ_SK_SL_SM_EUlSZ_E0_NS1_11comp_targetILNS1_3genE3ELNS1_11target_archE908ELNS1_3gpuE7ELNS1_3repE0EEENS1_38merge_mergepath_config_static_selectorELNS0_4arch9wavefront6targetE1EEEvSL_, .Lfunc_end1921-_ZN7rocprim17ROCPRIM_400000_NS6detail17trampoline_kernelINS0_14default_configENS1_38merge_sort_block_merge_config_selectorIbiEEZZNS1_27merge_sort_block_merge_implIS3_N6thrust23THRUST_200600_302600_NS6detail15normal_iteratorINS8_10device_ptrIbEEEENSA_INSB_IiEEEEjNS1_19radix_merge_compareILb0ELb0EbNS0_19identity_decomposerEEEEE10hipError_tT0_T1_T2_jT3_P12ihipStream_tbPNSt15iterator_traitsISK_E10value_typeEPNSQ_ISL_E10value_typeEPSM_NS1_7vsmem_tEENKUlT_SK_SL_SM_E_clIPbSD_PiSF_EESJ_SZ_SK_SL_SM_EUlSZ_E0_NS1_11comp_targetILNS1_3genE3ELNS1_11target_archE908ELNS1_3gpuE7ELNS1_3repE0EEENS1_38merge_mergepath_config_static_selectorELNS0_4arch9wavefront6targetE1EEEvSL_
                                        ; -- End function
	.set _ZN7rocprim17ROCPRIM_400000_NS6detail17trampoline_kernelINS0_14default_configENS1_38merge_sort_block_merge_config_selectorIbiEEZZNS1_27merge_sort_block_merge_implIS3_N6thrust23THRUST_200600_302600_NS6detail15normal_iteratorINS8_10device_ptrIbEEEENSA_INSB_IiEEEEjNS1_19radix_merge_compareILb0ELb0EbNS0_19identity_decomposerEEEEE10hipError_tT0_T1_T2_jT3_P12ihipStream_tbPNSt15iterator_traitsISK_E10value_typeEPNSQ_ISL_E10value_typeEPSM_NS1_7vsmem_tEENKUlT_SK_SL_SM_E_clIPbSD_PiSF_EESJ_SZ_SK_SL_SM_EUlSZ_E0_NS1_11comp_targetILNS1_3genE3ELNS1_11target_archE908ELNS1_3gpuE7ELNS1_3repE0EEENS1_38merge_mergepath_config_static_selectorELNS0_4arch9wavefront6targetE1EEEvSL_.num_vgpr, 0
	.set _ZN7rocprim17ROCPRIM_400000_NS6detail17trampoline_kernelINS0_14default_configENS1_38merge_sort_block_merge_config_selectorIbiEEZZNS1_27merge_sort_block_merge_implIS3_N6thrust23THRUST_200600_302600_NS6detail15normal_iteratorINS8_10device_ptrIbEEEENSA_INSB_IiEEEEjNS1_19radix_merge_compareILb0ELb0EbNS0_19identity_decomposerEEEEE10hipError_tT0_T1_T2_jT3_P12ihipStream_tbPNSt15iterator_traitsISK_E10value_typeEPNSQ_ISL_E10value_typeEPSM_NS1_7vsmem_tEENKUlT_SK_SL_SM_E_clIPbSD_PiSF_EESJ_SZ_SK_SL_SM_EUlSZ_E0_NS1_11comp_targetILNS1_3genE3ELNS1_11target_archE908ELNS1_3gpuE7ELNS1_3repE0EEENS1_38merge_mergepath_config_static_selectorELNS0_4arch9wavefront6targetE1EEEvSL_.num_agpr, 0
	.set _ZN7rocprim17ROCPRIM_400000_NS6detail17trampoline_kernelINS0_14default_configENS1_38merge_sort_block_merge_config_selectorIbiEEZZNS1_27merge_sort_block_merge_implIS3_N6thrust23THRUST_200600_302600_NS6detail15normal_iteratorINS8_10device_ptrIbEEEENSA_INSB_IiEEEEjNS1_19radix_merge_compareILb0ELb0EbNS0_19identity_decomposerEEEEE10hipError_tT0_T1_T2_jT3_P12ihipStream_tbPNSt15iterator_traitsISK_E10value_typeEPNSQ_ISL_E10value_typeEPSM_NS1_7vsmem_tEENKUlT_SK_SL_SM_E_clIPbSD_PiSF_EESJ_SZ_SK_SL_SM_EUlSZ_E0_NS1_11comp_targetILNS1_3genE3ELNS1_11target_archE908ELNS1_3gpuE7ELNS1_3repE0EEENS1_38merge_mergepath_config_static_selectorELNS0_4arch9wavefront6targetE1EEEvSL_.numbered_sgpr, 0
	.set _ZN7rocprim17ROCPRIM_400000_NS6detail17trampoline_kernelINS0_14default_configENS1_38merge_sort_block_merge_config_selectorIbiEEZZNS1_27merge_sort_block_merge_implIS3_N6thrust23THRUST_200600_302600_NS6detail15normal_iteratorINS8_10device_ptrIbEEEENSA_INSB_IiEEEEjNS1_19radix_merge_compareILb0ELb0EbNS0_19identity_decomposerEEEEE10hipError_tT0_T1_T2_jT3_P12ihipStream_tbPNSt15iterator_traitsISK_E10value_typeEPNSQ_ISL_E10value_typeEPSM_NS1_7vsmem_tEENKUlT_SK_SL_SM_E_clIPbSD_PiSF_EESJ_SZ_SK_SL_SM_EUlSZ_E0_NS1_11comp_targetILNS1_3genE3ELNS1_11target_archE908ELNS1_3gpuE7ELNS1_3repE0EEENS1_38merge_mergepath_config_static_selectorELNS0_4arch9wavefront6targetE1EEEvSL_.num_named_barrier, 0
	.set _ZN7rocprim17ROCPRIM_400000_NS6detail17trampoline_kernelINS0_14default_configENS1_38merge_sort_block_merge_config_selectorIbiEEZZNS1_27merge_sort_block_merge_implIS3_N6thrust23THRUST_200600_302600_NS6detail15normal_iteratorINS8_10device_ptrIbEEEENSA_INSB_IiEEEEjNS1_19radix_merge_compareILb0ELb0EbNS0_19identity_decomposerEEEEE10hipError_tT0_T1_T2_jT3_P12ihipStream_tbPNSt15iterator_traitsISK_E10value_typeEPNSQ_ISL_E10value_typeEPSM_NS1_7vsmem_tEENKUlT_SK_SL_SM_E_clIPbSD_PiSF_EESJ_SZ_SK_SL_SM_EUlSZ_E0_NS1_11comp_targetILNS1_3genE3ELNS1_11target_archE908ELNS1_3gpuE7ELNS1_3repE0EEENS1_38merge_mergepath_config_static_selectorELNS0_4arch9wavefront6targetE1EEEvSL_.private_seg_size, 0
	.set _ZN7rocprim17ROCPRIM_400000_NS6detail17trampoline_kernelINS0_14default_configENS1_38merge_sort_block_merge_config_selectorIbiEEZZNS1_27merge_sort_block_merge_implIS3_N6thrust23THRUST_200600_302600_NS6detail15normal_iteratorINS8_10device_ptrIbEEEENSA_INSB_IiEEEEjNS1_19radix_merge_compareILb0ELb0EbNS0_19identity_decomposerEEEEE10hipError_tT0_T1_T2_jT3_P12ihipStream_tbPNSt15iterator_traitsISK_E10value_typeEPNSQ_ISL_E10value_typeEPSM_NS1_7vsmem_tEENKUlT_SK_SL_SM_E_clIPbSD_PiSF_EESJ_SZ_SK_SL_SM_EUlSZ_E0_NS1_11comp_targetILNS1_3genE3ELNS1_11target_archE908ELNS1_3gpuE7ELNS1_3repE0EEENS1_38merge_mergepath_config_static_selectorELNS0_4arch9wavefront6targetE1EEEvSL_.uses_vcc, 0
	.set _ZN7rocprim17ROCPRIM_400000_NS6detail17trampoline_kernelINS0_14default_configENS1_38merge_sort_block_merge_config_selectorIbiEEZZNS1_27merge_sort_block_merge_implIS3_N6thrust23THRUST_200600_302600_NS6detail15normal_iteratorINS8_10device_ptrIbEEEENSA_INSB_IiEEEEjNS1_19radix_merge_compareILb0ELb0EbNS0_19identity_decomposerEEEEE10hipError_tT0_T1_T2_jT3_P12ihipStream_tbPNSt15iterator_traitsISK_E10value_typeEPNSQ_ISL_E10value_typeEPSM_NS1_7vsmem_tEENKUlT_SK_SL_SM_E_clIPbSD_PiSF_EESJ_SZ_SK_SL_SM_EUlSZ_E0_NS1_11comp_targetILNS1_3genE3ELNS1_11target_archE908ELNS1_3gpuE7ELNS1_3repE0EEENS1_38merge_mergepath_config_static_selectorELNS0_4arch9wavefront6targetE1EEEvSL_.uses_flat_scratch, 0
	.set _ZN7rocprim17ROCPRIM_400000_NS6detail17trampoline_kernelINS0_14default_configENS1_38merge_sort_block_merge_config_selectorIbiEEZZNS1_27merge_sort_block_merge_implIS3_N6thrust23THRUST_200600_302600_NS6detail15normal_iteratorINS8_10device_ptrIbEEEENSA_INSB_IiEEEEjNS1_19radix_merge_compareILb0ELb0EbNS0_19identity_decomposerEEEEE10hipError_tT0_T1_T2_jT3_P12ihipStream_tbPNSt15iterator_traitsISK_E10value_typeEPNSQ_ISL_E10value_typeEPSM_NS1_7vsmem_tEENKUlT_SK_SL_SM_E_clIPbSD_PiSF_EESJ_SZ_SK_SL_SM_EUlSZ_E0_NS1_11comp_targetILNS1_3genE3ELNS1_11target_archE908ELNS1_3gpuE7ELNS1_3repE0EEENS1_38merge_mergepath_config_static_selectorELNS0_4arch9wavefront6targetE1EEEvSL_.has_dyn_sized_stack, 0
	.set _ZN7rocprim17ROCPRIM_400000_NS6detail17trampoline_kernelINS0_14default_configENS1_38merge_sort_block_merge_config_selectorIbiEEZZNS1_27merge_sort_block_merge_implIS3_N6thrust23THRUST_200600_302600_NS6detail15normal_iteratorINS8_10device_ptrIbEEEENSA_INSB_IiEEEEjNS1_19radix_merge_compareILb0ELb0EbNS0_19identity_decomposerEEEEE10hipError_tT0_T1_T2_jT3_P12ihipStream_tbPNSt15iterator_traitsISK_E10value_typeEPNSQ_ISL_E10value_typeEPSM_NS1_7vsmem_tEENKUlT_SK_SL_SM_E_clIPbSD_PiSF_EESJ_SZ_SK_SL_SM_EUlSZ_E0_NS1_11comp_targetILNS1_3genE3ELNS1_11target_archE908ELNS1_3gpuE7ELNS1_3repE0EEENS1_38merge_mergepath_config_static_selectorELNS0_4arch9wavefront6targetE1EEEvSL_.has_recursion, 0
	.set _ZN7rocprim17ROCPRIM_400000_NS6detail17trampoline_kernelINS0_14default_configENS1_38merge_sort_block_merge_config_selectorIbiEEZZNS1_27merge_sort_block_merge_implIS3_N6thrust23THRUST_200600_302600_NS6detail15normal_iteratorINS8_10device_ptrIbEEEENSA_INSB_IiEEEEjNS1_19radix_merge_compareILb0ELb0EbNS0_19identity_decomposerEEEEE10hipError_tT0_T1_T2_jT3_P12ihipStream_tbPNSt15iterator_traitsISK_E10value_typeEPNSQ_ISL_E10value_typeEPSM_NS1_7vsmem_tEENKUlT_SK_SL_SM_E_clIPbSD_PiSF_EESJ_SZ_SK_SL_SM_EUlSZ_E0_NS1_11comp_targetILNS1_3genE3ELNS1_11target_archE908ELNS1_3gpuE7ELNS1_3repE0EEENS1_38merge_mergepath_config_static_selectorELNS0_4arch9wavefront6targetE1EEEvSL_.has_indirect_call, 0
	.section	.AMDGPU.csdata,"",@progbits
; Kernel info:
; codeLenInByte = 0
; TotalNumSgprs: 6
; NumVgprs: 0
; NumAgprs: 0
; TotalNumVgprs: 0
; ScratchSize: 0
; MemoryBound: 0
; FloatMode: 240
; IeeeMode: 1
; LDSByteSize: 0 bytes/workgroup (compile time only)
; SGPRBlocks: 0
; VGPRBlocks: 0
; NumSGPRsForWavesPerEU: 6
; NumVGPRsForWavesPerEU: 1
; AccumOffset: 4
; Occupancy: 8
; WaveLimiterHint : 0
; COMPUTE_PGM_RSRC2:SCRATCH_EN: 0
; COMPUTE_PGM_RSRC2:USER_SGPR: 2
; COMPUTE_PGM_RSRC2:TRAP_HANDLER: 0
; COMPUTE_PGM_RSRC2:TGID_X_EN: 1
; COMPUTE_PGM_RSRC2:TGID_Y_EN: 0
; COMPUTE_PGM_RSRC2:TGID_Z_EN: 0
; COMPUTE_PGM_RSRC2:TIDIG_COMP_CNT: 0
; COMPUTE_PGM_RSRC3_GFX90A:ACCUM_OFFSET: 0
; COMPUTE_PGM_RSRC3_GFX90A:TG_SPLIT: 0
	.section	.text._ZN7rocprim17ROCPRIM_400000_NS6detail17trampoline_kernelINS0_14default_configENS1_38merge_sort_block_merge_config_selectorIbiEEZZNS1_27merge_sort_block_merge_implIS3_N6thrust23THRUST_200600_302600_NS6detail15normal_iteratorINS8_10device_ptrIbEEEENSA_INSB_IiEEEEjNS1_19radix_merge_compareILb0ELb0EbNS0_19identity_decomposerEEEEE10hipError_tT0_T1_T2_jT3_P12ihipStream_tbPNSt15iterator_traitsISK_E10value_typeEPNSQ_ISL_E10value_typeEPSM_NS1_7vsmem_tEENKUlT_SK_SL_SM_E_clIPbSD_PiSF_EESJ_SZ_SK_SL_SM_EUlSZ_E0_NS1_11comp_targetILNS1_3genE2ELNS1_11target_archE906ELNS1_3gpuE6ELNS1_3repE0EEENS1_38merge_mergepath_config_static_selectorELNS0_4arch9wavefront6targetE1EEEvSL_,"axG",@progbits,_ZN7rocprim17ROCPRIM_400000_NS6detail17trampoline_kernelINS0_14default_configENS1_38merge_sort_block_merge_config_selectorIbiEEZZNS1_27merge_sort_block_merge_implIS3_N6thrust23THRUST_200600_302600_NS6detail15normal_iteratorINS8_10device_ptrIbEEEENSA_INSB_IiEEEEjNS1_19radix_merge_compareILb0ELb0EbNS0_19identity_decomposerEEEEE10hipError_tT0_T1_T2_jT3_P12ihipStream_tbPNSt15iterator_traitsISK_E10value_typeEPNSQ_ISL_E10value_typeEPSM_NS1_7vsmem_tEENKUlT_SK_SL_SM_E_clIPbSD_PiSF_EESJ_SZ_SK_SL_SM_EUlSZ_E0_NS1_11comp_targetILNS1_3genE2ELNS1_11target_archE906ELNS1_3gpuE6ELNS1_3repE0EEENS1_38merge_mergepath_config_static_selectorELNS0_4arch9wavefront6targetE1EEEvSL_,comdat
	.protected	_ZN7rocprim17ROCPRIM_400000_NS6detail17trampoline_kernelINS0_14default_configENS1_38merge_sort_block_merge_config_selectorIbiEEZZNS1_27merge_sort_block_merge_implIS3_N6thrust23THRUST_200600_302600_NS6detail15normal_iteratorINS8_10device_ptrIbEEEENSA_INSB_IiEEEEjNS1_19radix_merge_compareILb0ELb0EbNS0_19identity_decomposerEEEEE10hipError_tT0_T1_T2_jT3_P12ihipStream_tbPNSt15iterator_traitsISK_E10value_typeEPNSQ_ISL_E10value_typeEPSM_NS1_7vsmem_tEENKUlT_SK_SL_SM_E_clIPbSD_PiSF_EESJ_SZ_SK_SL_SM_EUlSZ_E0_NS1_11comp_targetILNS1_3genE2ELNS1_11target_archE906ELNS1_3gpuE6ELNS1_3repE0EEENS1_38merge_mergepath_config_static_selectorELNS0_4arch9wavefront6targetE1EEEvSL_ ; -- Begin function _ZN7rocprim17ROCPRIM_400000_NS6detail17trampoline_kernelINS0_14default_configENS1_38merge_sort_block_merge_config_selectorIbiEEZZNS1_27merge_sort_block_merge_implIS3_N6thrust23THRUST_200600_302600_NS6detail15normal_iteratorINS8_10device_ptrIbEEEENSA_INSB_IiEEEEjNS1_19radix_merge_compareILb0ELb0EbNS0_19identity_decomposerEEEEE10hipError_tT0_T1_T2_jT3_P12ihipStream_tbPNSt15iterator_traitsISK_E10value_typeEPNSQ_ISL_E10value_typeEPSM_NS1_7vsmem_tEENKUlT_SK_SL_SM_E_clIPbSD_PiSF_EESJ_SZ_SK_SL_SM_EUlSZ_E0_NS1_11comp_targetILNS1_3genE2ELNS1_11target_archE906ELNS1_3gpuE6ELNS1_3repE0EEENS1_38merge_mergepath_config_static_selectorELNS0_4arch9wavefront6targetE1EEEvSL_
	.globl	_ZN7rocprim17ROCPRIM_400000_NS6detail17trampoline_kernelINS0_14default_configENS1_38merge_sort_block_merge_config_selectorIbiEEZZNS1_27merge_sort_block_merge_implIS3_N6thrust23THRUST_200600_302600_NS6detail15normal_iteratorINS8_10device_ptrIbEEEENSA_INSB_IiEEEEjNS1_19radix_merge_compareILb0ELb0EbNS0_19identity_decomposerEEEEE10hipError_tT0_T1_T2_jT3_P12ihipStream_tbPNSt15iterator_traitsISK_E10value_typeEPNSQ_ISL_E10value_typeEPSM_NS1_7vsmem_tEENKUlT_SK_SL_SM_E_clIPbSD_PiSF_EESJ_SZ_SK_SL_SM_EUlSZ_E0_NS1_11comp_targetILNS1_3genE2ELNS1_11target_archE906ELNS1_3gpuE6ELNS1_3repE0EEENS1_38merge_mergepath_config_static_selectorELNS0_4arch9wavefront6targetE1EEEvSL_
	.p2align	8
	.type	_ZN7rocprim17ROCPRIM_400000_NS6detail17trampoline_kernelINS0_14default_configENS1_38merge_sort_block_merge_config_selectorIbiEEZZNS1_27merge_sort_block_merge_implIS3_N6thrust23THRUST_200600_302600_NS6detail15normal_iteratorINS8_10device_ptrIbEEEENSA_INSB_IiEEEEjNS1_19radix_merge_compareILb0ELb0EbNS0_19identity_decomposerEEEEE10hipError_tT0_T1_T2_jT3_P12ihipStream_tbPNSt15iterator_traitsISK_E10value_typeEPNSQ_ISL_E10value_typeEPSM_NS1_7vsmem_tEENKUlT_SK_SL_SM_E_clIPbSD_PiSF_EESJ_SZ_SK_SL_SM_EUlSZ_E0_NS1_11comp_targetILNS1_3genE2ELNS1_11target_archE906ELNS1_3gpuE6ELNS1_3repE0EEENS1_38merge_mergepath_config_static_selectorELNS0_4arch9wavefront6targetE1EEEvSL_,@function
_ZN7rocprim17ROCPRIM_400000_NS6detail17trampoline_kernelINS0_14default_configENS1_38merge_sort_block_merge_config_selectorIbiEEZZNS1_27merge_sort_block_merge_implIS3_N6thrust23THRUST_200600_302600_NS6detail15normal_iteratorINS8_10device_ptrIbEEEENSA_INSB_IiEEEEjNS1_19radix_merge_compareILb0ELb0EbNS0_19identity_decomposerEEEEE10hipError_tT0_T1_T2_jT3_P12ihipStream_tbPNSt15iterator_traitsISK_E10value_typeEPNSQ_ISL_E10value_typeEPSM_NS1_7vsmem_tEENKUlT_SK_SL_SM_E_clIPbSD_PiSF_EESJ_SZ_SK_SL_SM_EUlSZ_E0_NS1_11comp_targetILNS1_3genE2ELNS1_11target_archE906ELNS1_3gpuE6ELNS1_3repE0EEENS1_38merge_mergepath_config_static_selectorELNS0_4arch9wavefront6targetE1EEEvSL_: ; @_ZN7rocprim17ROCPRIM_400000_NS6detail17trampoline_kernelINS0_14default_configENS1_38merge_sort_block_merge_config_selectorIbiEEZZNS1_27merge_sort_block_merge_implIS3_N6thrust23THRUST_200600_302600_NS6detail15normal_iteratorINS8_10device_ptrIbEEEENSA_INSB_IiEEEEjNS1_19radix_merge_compareILb0ELb0EbNS0_19identity_decomposerEEEEE10hipError_tT0_T1_T2_jT3_P12ihipStream_tbPNSt15iterator_traitsISK_E10value_typeEPNSQ_ISL_E10value_typeEPSM_NS1_7vsmem_tEENKUlT_SK_SL_SM_E_clIPbSD_PiSF_EESJ_SZ_SK_SL_SM_EUlSZ_E0_NS1_11comp_targetILNS1_3genE2ELNS1_11target_archE906ELNS1_3gpuE6ELNS1_3repE0EEENS1_38merge_mergepath_config_static_selectorELNS0_4arch9wavefront6targetE1EEEvSL_
; %bb.0:
	.section	.rodata,"a",@progbits
	.p2align	6, 0x0
	.amdhsa_kernel _ZN7rocprim17ROCPRIM_400000_NS6detail17trampoline_kernelINS0_14default_configENS1_38merge_sort_block_merge_config_selectorIbiEEZZNS1_27merge_sort_block_merge_implIS3_N6thrust23THRUST_200600_302600_NS6detail15normal_iteratorINS8_10device_ptrIbEEEENSA_INSB_IiEEEEjNS1_19radix_merge_compareILb0ELb0EbNS0_19identity_decomposerEEEEE10hipError_tT0_T1_T2_jT3_P12ihipStream_tbPNSt15iterator_traitsISK_E10value_typeEPNSQ_ISL_E10value_typeEPSM_NS1_7vsmem_tEENKUlT_SK_SL_SM_E_clIPbSD_PiSF_EESJ_SZ_SK_SL_SM_EUlSZ_E0_NS1_11comp_targetILNS1_3genE2ELNS1_11target_archE906ELNS1_3gpuE6ELNS1_3repE0EEENS1_38merge_mergepath_config_static_selectorELNS0_4arch9wavefront6targetE1EEEvSL_
		.amdhsa_group_segment_fixed_size 0
		.amdhsa_private_segment_fixed_size 0
		.amdhsa_kernarg_size 64
		.amdhsa_user_sgpr_count 2
		.amdhsa_user_sgpr_dispatch_ptr 0
		.amdhsa_user_sgpr_queue_ptr 0
		.amdhsa_user_sgpr_kernarg_segment_ptr 1
		.amdhsa_user_sgpr_dispatch_id 0
		.amdhsa_user_sgpr_kernarg_preload_length 0
		.amdhsa_user_sgpr_kernarg_preload_offset 0
		.amdhsa_user_sgpr_private_segment_size 0
		.amdhsa_uses_dynamic_stack 0
		.amdhsa_enable_private_segment 0
		.amdhsa_system_sgpr_workgroup_id_x 1
		.amdhsa_system_sgpr_workgroup_id_y 0
		.amdhsa_system_sgpr_workgroup_id_z 0
		.amdhsa_system_sgpr_workgroup_info 0
		.amdhsa_system_vgpr_workitem_id 0
		.amdhsa_next_free_vgpr 1
		.amdhsa_next_free_sgpr 0
		.amdhsa_accum_offset 4
		.amdhsa_reserve_vcc 0
		.amdhsa_float_round_mode_32 0
		.amdhsa_float_round_mode_16_64 0
		.amdhsa_float_denorm_mode_32 3
		.amdhsa_float_denorm_mode_16_64 3
		.amdhsa_dx10_clamp 1
		.amdhsa_ieee_mode 1
		.amdhsa_fp16_overflow 0
		.amdhsa_tg_split 0
		.amdhsa_exception_fp_ieee_invalid_op 0
		.amdhsa_exception_fp_denorm_src 0
		.amdhsa_exception_fp_ieee_div_zero 0
		.amdhsa_exception_fp_ieee_overflow 0
		.amdhsa_exception_fp_ieee_underflow 0
		.amdhsa_exception_fp_ieee_inexact 0
		.amdhsa_exception_int_div_zero 0
	.end_amdhsa_kernel
	.section	.text._ZN7rocprim17ROCPRIM_400000_NS6detail17trampoline_kernelINS0_14default_configENS1_38merge_sort_block_merge_config_selectorIbiEEZZNS1_27merge_sort_block_merge_implIS3_N6thrust23THRUST_200600_302600_NS6detail15normal_iteratorINS8_10device_ptrIbEEEENSA_INSB_IiEEEEjNS1_19radix_merge_compareILb0ELb0EbNS0_19identity_decomposerEEEEE10hipError_tT0_T1_T2_jT3_P12ihipStream_tbPNSt15iterator_traitsISK_E10value_typeEPNSQ_ISL_E10value_typeEPSM_NS1_7vsmem_tEENKUlT_SK_SL_SM_E_clIPbSD_PiSF_EESJ_SZ_SK_SL_SM_EUlSZ_E0_NS1_11comp_targetILNS1_3genE2ELNS1_11target_archE906ELNS1_3gpuE6ELNS1_3repE0EEENS1_38merge_mergepath_config_static_selectorELNS0_4arch9wavefront6targetE1EEEvSL_,"axG",@progbits,_ZN7rocprim17ROCPRIM_400000_NS6detail17trampoline_kernelINS0_14default_configENS1_38merge_sort_block_merge_config_selectorIbiEEZZNS1_27merge_sort_block_merge_implIS3_N6thrust23THRUST_200600_302600_NS6detail15normal_iteratorINS8_10device_ptrIbEEEENSA_INSB_IiEEEEjNS1_19radix_merge_compareILb0ELb0EbNS0_19identity_decomposerEEEEE10hipError_tT0_T1_T2_jT3_P12ihipStream_tbPNSt15iterator_traitsISK_E10value_typeEPNSQ_ISL_E10value_typeEPSM_NS1_7vsmem_tEENKUlT_SK_SL_SM_E_clIPbSD_PiSF_EESJ_SZ_SK_SL_SM_EUlSZ_E0_NS1_11comp_targetILNS1_3genE2ELNS1_11target_archE906ELNS1_3gpuE6ELNS1_3repE0EEENS1_38merge_mergepath_config_static_selectorELNS0_4arch9wavefront6targetE1EEEvSL_,comdat
.Lfunc_end1922:
	.size	_ZN7rocprim17ROCPRIM_400000_NS6detail17trampoline_kernelINS0_14default_configENS1_38merge_sort_block_merge_config_selectorIbiEEZZNS1_27merge_sort_block_merge_implIS3_N6thrust23THRUST_200600_302600_NS6detail15normal_iteratorINS8_10device_ptrIbEEEENSA_INSB_IiEEEEjNS1_19radix_merge_compareILb0ELb0EbNS0_19identity_decomposerEEEEE10hipError_tT0_T1_T2_jT3_P12ihipStream_tbPNSt15iterator_traitsISK_E10value_typeEPNSQ_ISL_E10value_typeEPSM_NS1_7vsmem_tEENKUlT_SK_SL_SM_E_clIPbSD_PiSF_EESJ_SZ_SK_SL_SM_EUlSZ_E0_NS1_11comp_targetILNS1_3genE2ELNS1_11target_archE906ELNS1_3gpuE6ELNS1_3repE0EEENS1_38merge_mergepath_config_static_selectorELNS0_4arch9wavefront6targetE1EEEvSL_, .Lfunc_end1922-_ZN7rocprim17ROCPRIM_400000_NS6detail17trampoline_kernelINS0_14default_configENS1_38merge_sort_block_merge_config_selectorIbiEEZZNS1_27merge_sort_block_merge_implIS3_N6thrust23THRUST_200600_302600_NS6detail15normal_iteratorINS8_10device_ptrIbEEEENSA_INSB_IiEEEEjNS1_19radix_merge_compareILb0ELb0EbNS0_19identity_decomposerEEEEE10hipError_tT0_T1_T2_jT3_P12ihipStream_tbPNSt15iterator_traitsISK_E10value_typeEPNSQ_ISL_E10value_typeEPSM_NS1_7vsmem_tEENKUlT_SK_SL_SM_E_clIPbSD_PiSF_EESJ_SZ_SK_SL_SM_EUlSZ_E0_NS1_11comp_targetILNS1_3genE2ELNS1_11target_archE906ELNS1_3gpuE6ELNS1_3repE0EEENS1_38merge_mergepath_config_static_selectorELNS0_4arch9wavefront6targetE1EEEvSL_
                                        ; -- End function
	.set _ZN7rocprim17ROCPRIM_400000_NS6detail17trampoline_kernelINS0_14default_configENS1_38merge_sort_block_merge_config_selectorIbiEEZZNS1_27merge_sort_block_merge_implIS3_N6thrust23THRUST_200600_302600_NS6detail15normal_iteratorINS8_10device_ptrIbEEEENSA_INSB_IiEEEEjNS1_19radix_merge_compareILb0ELb0EbNS0_19identity_decomposerEEEEE10hipError_tT0_T1_T2_jT3_P12ihipStream_tbPNSt15iterator_traitsISK_E10value_typeEPNSQ_ISL_E10value_typeEPSM_NS1_7vsmem_tEENKUlT_SK_SL_SM_E_clIPbSD_PiSF_EESJ_SZ_SK_SL_SM_EUlSZ_E0_NS1_11comp_targetILNS1_3genE2ELNS1_11target_archE906ELNS1_3gpuE6ELNS1_3repE0EEENS1_38merge_mergepath_config_static_selectorELNS0_4arch9wavefront6targetE1EEEvSL_.num_vgpr, 0
	.set _ZN7rocprim17ROCPRIM_400000_NS6detail17trampoline_kernelINS0_14default_configENS1_38merge_sort_block_merge_config_selectorIbiEEZZNS1_27merge_sort_block_merge_implIS3_N6thrust23THRUST_200600_302600_NS6detail15normal_iteratorINS8_10device_ptrIbEEEENSA_INSB_IiEEEEjNS1_19radix_merge_compareILb0ELb0EbNS0_19identity_decomposerEEEEE10hipError_tT0_T1_T2_jT3_P12ihipStream_tbPNSt15iterator_traitsISK_E10value_typeEPNSQ_ISL_E10value_typeEPSM_NS1_7vsmem_tEENKUlT_SK_SL_SM_E_clIPbSD_PiSF_EESJ_SZ_SK_SL_SM_EUlSZ_E0_NS1_11comp_targetILNS1_3genE2ELNS1_11target_archE906ELNS1_3gpuE6ELNS1_3repE0EEENS1_38merge_mergepath_config_static_selectorELNS0_4arch9wavefront6targetE1EEEvSL_.num_agpr, 0
	.set _ZN7rocprim17ROCPRIM_400000_NS6detail17trampoline_kernelINS0_14default_configENS1_38merge_sort_block_merge_config_selectorIbiEEZZNS1_27merge_sort_block_merge_implIS3_N6thrust23THRUST_200600_302600_NS6detail15normal_iteratorINS8_10device_ptrIbEEEENSA_INSB_IiEEEEjNS1_19radix_merge_compareILb0ELb0EbNS0_19identity_decomposerEEEEE10hipError_tT0_T1_T2_jT3_P12ihipStream_tbPNSt15iterator_traitsISK_E10value_typeEPNSQ_ISL_E10value_typeEPSM_NS1_7vsmem_tEENKUlT_SK_SL_SM_E_clIPbSD_PiSF_EESJ_SZ_SK_SL_SM_EUlSZ_E0_NS1_11comp_targetILNS1_3genE2ELNS1_11target_archE906ELNS1_3gpuE6ELNS1_3repE0EEENS1_38merge_mergepath_config_static_selectorELNS0_4arch9wavefront6targetE1EEEvSL_.numbered_sgpr, 0
	.set _ZN7rocprim17ROCPRIM_400000_NS6detail17trampoline_kernelINS0_14default_configENS1_38merge_sort_block_merge_config_selectorIbiEEZZNS1_27merge_sort_block_merge_implIS3_N6thrust23THRUST_200600_302600_NS6detail15normal_iteratorINS8_10device_ptrIbEEEENSA_INSB_IiEEEEjNS1_19radix_merge_compareILb0ELb0EbNS0_19identity_decomposerEEEEE10hipError_tT0_T1_T2_jT3_P12ihipStream_tbPNSt15iterator_traitsISK_E10value_typeEPNSQ_ISL_E10value_typeEPSM_NS1_7vsmem_tEENKUlT_SK_SL_SM_E_clIPbSD_PiSF_EESJ_SZ_SK_SL_SM_EUlSZ_E0_NS1_11comp_targetILNS1_3genE2ELNS1_11target_archE906ELNS1_3gpuE6ELNS1_3repE0EEENS1_38merge_mergepath_config_static_selectorELNS0_4arch9wavefront6targetE1EEEvSL_.num_named_barrier, 0
	.set _ZN7rocprim17ROCPRIM_400000_NS6detail17trampoline_kernelINS0_14default_configENS1_38merge_sort_block_merge_config_selectorIbiEEZZNS1_27merge_sort_block_merge_implIS3_N6thrust23THRUST_200600_302600_NS6detail15normal_iteratorINS8_10device_ptrIbEEEENSA_INSB_IiEEEEjNS1_19radix_merge_compareILb0ELb0EbNS0_19identity_decomposerEEEEE10hipError_tT0_T1_T2_jT3_P12ihipStream_tbPNSt15iterator_traitsISK_E10value_typeEPNSQ_ISL_E10value_typeEPSM_NS1_7vsmem_tEENKUlT_SK_SL_SM_E_clIPbSD_PiSF_EESJ_SZ_SK_SL_SM_EUlSZ_E0_NS1_11comp_targetILNS1_3genE2ELNS1_11target_archE906ELNS1_3gpuE6ELNS1_3repE0EEENS1_38merge_mergepath_config_static_selectorELNS0_4arch9wavefront6targetE1EEEvSL_.private_seg_size, 0
	.set _ZN7rocprim17ROCPRIM_400000_NS6detail17trampoline_kernelINS0_14default_configENS1_38merge_sort_block_merge_config_selectorIbiEEZZNS1_27merge_sort_block_merge_implIS3_N6thrust23THRUST_200600_302600_NS6detail15normal_iteratorINS8_10device_ptrIbEEEENSA_INSB_IiEEEEjNS1_19radix_merge_compareILb0ELb0EbNS0_19identity_decomposerEEEEE10hipError_tT0_T1_T2_jT3_P12ihipStream_tbPNSt15iterator_traitsISK_E10value_typeEPNSQ_ISL_E10value_typeEPSM_NS1_7vsmem_tEENKUlT_SK_SL_SM_E_clIPbSD_PiSF_EESJ_SZ_SK_SL_SM_EUlSZ_E0_NS1_11comp_targetILNS1_3genE2ELNS1_11target_archE906ELNS1_3gpuE6ELNS1_3repE0EEENS1_38merge_mergepath_config_static_selectorELNS0_4arch9wavefront6targetE1EEEvSL_.uses_vcc, 0
	.set _ZN7rocprim17ROCPRIM_400000_NS6detail17trampoline_kernelINS0_14default_configENS1_38merge_sort_block_merge_config_selectorIbiEEZZNS1_27merge_sort_block_merge_implIS3_N6thrust23THRUST_200600_302600_NS6detail15normal_iteratorINS8_10device_ptrIbEEEENSA_INSB_IiEEEEjNS1_19radix_merge_compareILb0ELb0EbNS0_19identity_decomposerEEEEE10hipError_tT0_T1_T2_jT3_P12ihipStream_tbPNSt15iterator_traitsISK_E10value_typeEPNSQ_ISL_E10value_typeEPSM_NS1_7vsmem_tEENKUlT_SK_SL_SM_E_clIPbSD_PiSF_EESJ_SZ_SK_SL_SM_EUlSZ_E0_NS1_11comp_targetILNS1_3genE2ELNS1_11target_archE906ELNS1_3gpuE6ELNS1_3repE0EEENS1_38merge_mergepath_config_static_selectorELNS0_4arch9wavefront6targetE1EEEvSL_.uses_flat_scratch, 0
	.set _ZN7rocprim17ROCPRIM_400000_NS6detail17trampoline_kernelINS0_14default_configENS1_38merge_sort_block_merge_config_selectorIbiEEZZNS1_27merge_sort_block_merge_implIS3_N6thrust23THRUST_200600_302600_NS6detail15normal_iteratorINS8_10device_ptrIbEEEENSA_INSB_IiEEEEjNS1_19radix_merge_compareILb0ELb0EbNS0_19identity_decomposerEEEEE10hipError_tT0_T1_T2_jT3_P12ihipStream_tbPNSt15iterator_traitsISK_E10value_typeEPNSQ_ISL_E10value_typeEPSM_NS1_7vsmem_tEENKUlT_SK_SL_SM_E_clIPbSD_PiSF_EESJ_SZ_SK_SL_SM_EUlSZ_E0_NS1_11comp_targetILNS1_3genE2ELNS1_11target_archE906ELNS1_3gpuE6ELNS1_3repE0EEENS1_38merge_mergepath_config_static_selectorELNS0_4arch9wavefront6targetE1EEEvSL_.has_dyn_sized_stack, 0
	.set _ZN7rocprim17ROCPRIM_400000_NS6detail17trampoline_kernelINS0_14default_configENS1_38merge_sort_block_merge_config_selectorIbiEEZZNS1_27merge_sort_block_merge_implIS3_N6thrust23THRUST_200600_302600_NS6detail15normal_iteratorINS8_10device_ptrIbEEEENSA_INSB_IiEEEEjNS1_19radix_merge_compareILb0ELb0EbNS0_19identity_decomposerEEEEE10hipError_tT0_T1_T2_jT3_P12ihipStream_tbPNSt15iterator_traitsISK_E10value_typeEPNSQ_ISL_E10value_typeEPSM_NS1_7vsmem_tEENKUlT_SK_SL_SM_E_clIPbSD_PiSF_EESJ_SZ_SK_SL_SM_EUlSZ_E0_NS1_11comp_targetILNS1_3genE2ELNS1_11target_archE906ELNS1_3gpuE6ELNS1_3repE0EEENS1_38merge_mergepath_config_static_selectorELNS0_4arch9wavefront6targetE1EEEvSL_.has_recursion, 0
	.set _ZN7rocprim17ROCPRIM_400000_NS6detail17trampoline_kernelINS0_14default_configENS1_38merge_sort_block_merge_config_selectorIbiEEZZNS1_27merge_sort_block_merge_implIS3_N6thrust23THRUST_200600_302600_NS6detail15normal_iteratorINS8_10device_ptrIbEEEENSA_INSB_IiEEEEjNS1_19radix_merge_compareILb0ELb0EbNS0_19identity_decomposerEEEEE10hipError_tT0_T1_T2_jT3_P12ihipStream_tbPNSt15iterator_traitsISK_E10value_typeEPNSQ_ISL_E10value_typeEPSM_NS1_7vsmem_tEENKUlT_SK_SL_SM_E_clIPbSD_PiSF_EESJ_SZ_SK_SL_SM_EUlSZ_E0_NS1_11comp_targetILNS1_3genE2ELNS1_11target_archE906ELNS1_3gpuE6ELNS1_3repE0EEENS1_38merge_mergepath_config_static_selectorELNS0_4arch9wavefront6targetE1EEEvSL_.has_indirect_call, 0
	.section	.AMDGPU.csdata,"",@progbits
; Kernel info:
; codeLenInByte = 0
; TotalNumSgprs: 6
; NumVgprs: 0
; NumAgprs: 0
; TotalNumVgprs: 0
; ScratchSize: 0
; MemoryBound: 0
; FloatMode: 240
; IeeeMode: 1
; LDSByteSize: 0 bytes/workgroup (compile time only)
; SGPRBlocks: 0
; VGPRBlocks: 0
; NumSGPRsForWavesPerEU: 6
; NumVGPRsForWavesPerEU: 1
; AccumOffset: 4
; Occupancy: 8
; WaveLimiterHint : 0
; COMPUTE_PGM_RSRC2:SCRATCH_EN: 0
; COMPUTE_PGM_RSRC2:USER_SGPR: 2
; COMPUTE_PGM_RSRC2:TRAP_HANDLER: 0
; COMPUTE_PGM_RSRC2:TGID_X_EN: 1
; COMPUTE_PGM_RSRC2:TGID_Y_EN: 0
; COMPUTE_PGM_RSRC2:TGID_Z_EN: 0
; COMPUTE_PGM_RSRC2:TIDIG_COMP_CNT: 0
; COMPUTE_PGM_RSRC3_GFX90A:ACCUM_OFFSET: 0
; COMPUTE_PGM_RSRC3_GFX90A:TG_SPLIT: 0
	.section	.text._ZN7rocprim17ROCPRIM_400000_NS6detail17trampoline_kernelINS0_14default_configENS1_38merge_sort_block_merge_config_selectorIbiEEZZNS1_27merge_sort_block_merge_implIS3_N6thrust23THRUST_200600_302600_NS6detail15normal_iteratorINS8_10device_ptrIbEEEENSA_INSB_IiEEEEjNS1_19radix_merge_compareILb0ELb0EbNS0_19identity_decomposerEEEEE10hipError_tT0_T1_T2_jT3_P12ihipStream_tbPNSt15iterator_traitsISK_E10value_typeEPNSQ_ISL_E10value_typeEPSM_NS1_7vsmem_tEENKUlT_SK_SL_SM_E_clIPbSD_PiSF_EESJ_SZ_SK_SL_SM_EUlSZ_E0_NS1_11comp_targetILNS1_3genE9ELNS1_11target_archE1100ELNS1_3gpuE3ELNS1_3repE0EEENS1_38merge_mergepath_config_static_selectorELNS0_4arch9wavefront6targetE1EEEvSL_,"axG",@progbits,_ZN7rocprim17ROCPRIM_400000_NS6detail17trampoline_kernelINS0_14default_configENS1_38merge_sort_block_merge_config_selectorIbiEEZZNS1_27merge_sort_block_merge_implIS3_N6thrust23THRUST_200600_302600_NS6detail15normal_iteratorINS8_10device_ptrIbEEEENSA_INSB_IiEEEEjNS1_19radix_merge_compareILb0ELb0EbNS0_19identity_decomposerEEEEE10hipError_tT0_T1_T2_jT3_P12ihipStream_tbPNSt15iterator_traitsISK_E10value_typeEPNSQ_ISL_E10value_typeEPSM_NS1_7vsmem_tEENKUlT_SK_SL_SM_E_clIPbSD_PiSF_EESJ_SZ_SK_SL_SM_EUlSZ_E0_NS1_11comp_targetILNS1_3genE9ELNS1_11target_archE1100ELNS1_3gpuE3ELNS1_3repE0EEENS1_38merge_mergepath_config_static_selectorELNS0_4arch9wavefront6targetE1EEEvSL_,comdat
	.protected	_ZN7rocprim17ROCPRIM_400000_NS6detail17trampoline_kernelINS0_14default_configENS1_38merge_sort_block_merge_config_selectorIbiEEZZNS1_27merge_sort_block_merge_implIS3_N6thrust23THRUST_200600_302600_NS6detail15normal_iteratorINS8_10device_ptrIbEEEENSA_INSB_IiEEEEjNS1_19radix_merge_compareILb0ELb0EbNS0_19identity_decomposerEEEEE10hipError_tT0_T1_T2_jT3_P12ihipStream_tbPNSt15iterator_traitsISK_E10value_typeEPNSQ_ISL_E10value_typeEPSM_NS1_7vsmem_tEENKUlT_SK_SL_SM_E_clIPbSD_PiSF_EESJ_SZ_SK_SL_SM_EUlSZ_E0_NS1_11comp_targetILNS1_3genE9ELNS1_11target_archE1100ELNS1_3gpuE3ELNS1_3repE0EEENS1_38merge_mergepath_config_static_selectorELNS0_4arch9wavefront6targetE1EEEvSL_ ; -- Begin function _ZN7rocprim17ROCPRIM_400000_NS6detail17trampoline_kernelINS0_14default_configENS1_38merge_sort_block_merge_config_selectorIbiEEZZNS1_27merge_sort_block_merge_implIS3_N6thrust23THRUST_200600_302600_NS6detail15normal_iteratorINS8_10device_ptrIbEEEENSA_INSB_IiEEEEjNS1_19radix_merge_compareILb0ELb0EbNS0_19identity_decomposerEEEEE10hipError_tT0_T1_T2_jT3_P12ihipStream_tbPNSt15iterator_traitsISK_E10value_typeEPNSQ_ISL_E10value_typeEPSM_NS1_7vsmem_tEENKUlT_SK_SL_SM_E_clIPbSD_PiSF_EESJ_SZ_SK_SL_SM_EUlSZ_E0_NS1_11comp_targetILNS1_3genE9ELNS1_11target_archE1100ELNS1_3gpuE3ELNS1_3repE0EEENS1_38merge_mergepath_config_static_selectorELNS0_4arch9wavefront6targetE1EEEvSL_
	.globl	_ZN7rocprim17ROCPRIM_400000_NS6detail17trampoline_kernelINS0_14default_configENS1_38merge_sort_block_merge_config_selectorIbiEEZZNS1_27merge_sort_block_merge_implIS3_N6thrust23THRUST_200600_302600_NS6detail15normal_iteratorINS8_10device_ptrIbEEEENSA_INSB_IiEEEEjNS1_19radix_merge_compareILb0ELb0EbNS0_19identity_decomposerEEEEE10hipError_tT0_T1_T2_jT3_P12ihipStream_tbPNSt15iterator_traitsISK_E10value_typeEPNSQ_ISL_E10value_typeEPSM_NS1_7vsmem_tEENKUlT_SK_SL_SM_E_clIPbSD_PiSF_EESJ_SZ_SK_SL_SM_EUlSZ_E0_NS1_11comp_targetILNS1_3genE9ELNS1_11target_archE1100ELNS1_3gpuE3ELNS1_3repE0EEENS1_38merge_mergepath_config_static_selectorELNS0_4arch9wavefront6targetE1EEEvSL_
	.p2align	8
	.type	_ZN7rocprim17ROCPRIM_400000_NS6detail17trampoline_kernelINS0_14default_configENS1_38merge_sort_block_merge_config_selectorIbiEEZZNS1_27merge_sort_block_merge_implIS3_N6thrust23THRUST_200600_302600_NS6detail15normal_iteratorINS8_10device_ptrIbEEEENSA_INSB_IiEEEEjNS1_19radix_merge_compareILb0ELb0EbNS0_19identity_decomposerEEEEE10hipError_tT0_T1_T2_jT3_P12ihipStream_tbPNSt15iterator_traitsISK_E10value_typeEPNSQ_ISL_E10value_typeEPSM_NS1_7vsmem_tEENKUlT_SK_SL_SM_E_clIPbSD_PiSF_EESJ_SZ_SK_SL_SM_EUlSZ_E0_NS1_11comp_targetILNS1_3genE9ELNS1_11target_archE1100ELNS1_3gpuE3ELNS1_3repE0EEENS1_38merge_mergepath_config_static_selectorELNS0_4arch9wavefront6targetE1EEEvSL_,@function
_ZN7rocprim17ROCPRIM_400000_NS6detail17trampoline_kernelINS0_14default_configENS1_38merge_sort_block_merge_config_selectorIbiEEZZNS1_27merge_sort_block_merge_implIS3_N6thrust23THRUST_200600_302600_NS6detail15normal_iteratorINS8_10device_ptrIbEEEENSA_INSB_IiEEEEjNS1_19radix_merge_compareILb0ELb0EbNS0_19identity_decomposerEEEEE10hipError_tT0_T1_T2_jT3_P12ihipStream_tbPNSt15iterator_traitsISK_E10value_typeEPNSQ_ISL_E10value_typeEPSM_NS1_7vsmem_tEENKUlT_SK_SL_SM_E_clIPbSD_PiSF_EESJ_SZ_SK_SL_SM_EUlSZ_E0_NS1_11comp_targetILNS1_3genE9ELNS1_11target_archE1100ELNS1_3gpuE3ELNS1_3repE0EEENS1_38merge_mergepath_config_static_selectorELNS0_4arch9wavefront6targetE1EEEvSL_: ; @_ZN7rocprim17ROCPRIM_400000_NS6detail17trampoline_kernelINS0_14default_configENS1_38merge_sort_block_merge_config_selectorIbiEEZZNS1_27merge_sort_block_merge_implIS3_N6thrust23THRUST_200600_302600_NS6detail15normal_iteratorINS8_10device_ptrIbEEEENSA_INSB_IiEEEEjNS1_19radix_merge_compareILb0ELb0EbNS0_19identity_decomposerEEEEE10hipError_tT0_T1_T2_jT3_P12ihipStream_tbPNSt15iterator_traitsISK_E10value_typeEPNSQ_ISL_E10value_typeEPSM_NS1_7vsmem_tEENKUlT_SK_SL_SM_E_clIPbSD_PiSF_EESJ_SZ_SK_SL_SM_EUlSZ_E0_NS1_11comp_targetILNS1_3genE9ELNS1_11target_archE1100ELNS1_3gpuE3ELNS1_3repE0EEENS1_38merge_mergepath_config_static_selectorELNS0_4arch9wavefront6targetE1EEEvSL_
; %bb.0:
	.section	.rodata,"a",@progbits
	.p2align	6, 0x0
	.amdhsa_kernel _ZN7rocprim17ROCPRIM_400000_NS6detail17trampoline_kernelINS0_14default_configENS1_38merge_sort_block_merge_config_selectorIbiEEZZNS1_27merge_sort_block_merge_implIS3_N6thrust23THRUST_200600_302600_NS6detail15normal_iteratorINS8_10device_ptrIbEEEENSA_INSB_IiEEEEjNS1_19radix_merge_compareILb0ELb0EbNS0_19identity_decomposerEEEEE10hipError_tT0_T1_T2_jT3_P12ihipStream_tbPNSt15iterator_traitsISK_E10value_typeEPNSQ_ISL_E10value_typeEPSM_NS1_7vsmem_tEENKUlT_SK_SL_SM_E_clIPbSD_PiSF_EESJ_SZ_SK_SL_SM_EUlSZ_E0_NS1_11comp_targetILNS1_3genE9ELNS1_11target_archE1100ELNS1_3gpuE3ELNS1_3repE0EEENS1_38merge_mergepath_config_static_selectorELNS0_4arch9wavefront6targetE1EEEvSL_
		.amdhsa_group_segment_fixed_size 0
		.amdhsa_private_segment_fixed_size 0
		.amdhsa_kernarg_size 64
		.amdhsa_user_sgpr_count 2
		.amdhsa_user_sgpr_dispatch_ptr 0
		.amdhsa_user_sgpr_queue_ptr 0
		.amdhsa_user_sgpr_kernarg_segment_ptr 1
		.amdhsa_user_sgpr_dispatch_id 0
		.amdhsa_user_sgpr_kernarg_preload_length 0
		.amdhsa_user_sgpr_kernarg_preload_offset 0
		.amdhsa_user_sgpr_private_segment_size 0
		.amdhsa_uses_dynamic_stack 0
		.amdhsa_enable_private_segment 0
		.amdhsa_system_sgpr_workgroup_id_x 1
		.amdhsa_system_sgpr_workgroup_id_y 0
		.amdhsa_system_sgpr_workgroup_id_z 0
		.amdhsa_system_sgpr_workgroup_info 0
		.amdhsa_system_vgpr_workitem_id 0
		.amdhsa_next_free_vgpr 1
		.amdhsa_next_free_sgpr 0
		.amdhsa_accum_offset 4
		.amdhsa_reserve_vcc 0
		.amdhsa_float_round_mode_32 0
		.amdhsa_float_round_mode_16_64 0
		.amdhsa_float_denorm_mode_32 3
		.amdhsa_float_denorm_mode_16_64 3
		.amdhsa_dx10_clamp 1
		.amdhsa_ieee_mode 1
		.amdhsa_fp16_overflow 0
		.amdhsa_tg_split 0
		.amdhsa_exception_fp_ieee_invalid_op 0
		.amdhsa_exception_fp_denorm_src 0
		.amdhsa_exception_fp_ieee_div_zero 0
		.amdhsa_exception_fp_ieee_overflow 0
		.amdhsa_exception_fp_ieee_underflow 0
		.amdhsa_exception_fp_ieee_inexact 0
		.amdhsa_exception_int_div_zero 0
	.end_amdhsa_kernel
	.section	.text._ZN7rocprim17ROCPRIM_400000_NS6detail17trampoline_kernelINS0_14default_configENS1_38merge_sort_block_merge_config_selectorIbiEEZZNS1_27merge_sort_block_merge_implIS3_N6thrust23THRUST_200600_302600_NS6detail15normal_iteratorINS8_10device_ptrIbEEEENSA_INSB_IiEEEEjNS1_19radix_merge_compareILb0ELb0EbNS0_19identity_decomposerEEEEE10hipError_tT0_T1_T2_jT3_P12ihipStream_tbPNSt15iterator_traitsISK_E10value_typeEPNSQ_ISL_E10value_typeEPSM_NS1_7vsmem_tEENKUlT_SK_SL_SM_E_clIPbSD_PiSF_EESJ_SZ_SK_SL_SM_EUlSZ_E0_NS1_11comp_targetILNS1_3genE9ELNS1_11target_archE1100ELNS1_3gpuE3ELNS1_3repE0EEENS1_38merge_mergepath_config_static_selectorELNS0_4arch9wavefront6targetE1EEEvSL_,"axG",@progbits,_ZN7rocprim17ROCPRIM_400000_NS6detail17trampoline_kernelINS0_14default_configENS1_38merge_sort_block_merge_config_selectorIbiEEZZNS1_27merge_sort_block_merge_implIS3_N6thrust23THRUST_200600_302600_NS6detail15normal_iteratorINS8_10device_ptrIbEEEENSA_INSB_IiEEEEjNS1_19radix_merge_compareILb0ELb0EbNS0_19identity_decomposerEEEEE10hipError_tT0_T1_T2_jT3_P12ihipStream_tbPNSt15iterator_traitsISK_E10value_typeEPNSQ_ISL_E10value_typeEPSM_NS1_7vsmem_tEENKUlT_SK_SL_SM_E_clIPbSD_PiSF_EESJ_SZ_SK_SL_SM_EUlSZ_E0_NS1_11comp_targetILNS1_3genE9ELNS1_11target_archE1100ELNS1_3gpuE3ELNS1_3repE0EEENS1_38merge_mergepath_config_static_selectorELNS0_4arch9wavefront6targetE1EEEvSL_,comdat
.Lfunc_end1923:
	.size	_ZN7rocprim17ROCPRIM_400000_NS6detail17trampoline_kernelINS0_14default_configENS1_38merge_sort_block_merge_config_selectorIbiEEZZNS1_27merge_sort_block_merge_implIS3_N6thrust23THRUST_200600_302600_NS6detail15normal_iteratorINS8_10device_ptrIbEEEENSA_INSB_IiEEEEjNS1_19radix_merge_compareILb0ELb0EbNS0_19identity_decomposerEEEEE10hipError_tT0_T1_T2_jT3_P12ihipStream_tbPNSt15iterator_traitsISK_E10value_typeEPNSQ_ISL_E10value_typeEPSM_NS1_7vsmem_tEENKUlT_SK_SL_SM_E_clIPbSD_PiSF_EESJ_SZ_SK_SL_SM_EUlSZ_E0_NS1_11comp_targetILNS1_3genE9ELNS1_11target_archE1100ELNS1_3gpuE3ELNS1_3repE0EEENS1_38merge_mergepath_config_static_selectorELNS0_4arch9wavefront6targetE1EEEvSL_, .Lfunc_end1923-_ZN7rocprim17ROCPRIM_400000_NS6detail17trampoline_kernelINS0_14default_configENS1_38merge_sort_block_merge_config_selectorIbiEEZZNS1_27merge_sort_block_merge_implIS3_N6thrust23THRUST_200600_302600_NS6detail15normal_iteratorINS8_10device_ptrIbEEEENSA_INSB_IiEEEEjNS1_19radix_merge_compareILb0ELb0EbNS0_19identity_decomposerEEEEE10hipError_tT0_T1_T2_jT3_P12ihipStream_tbPNSt15iterator_traitsISK_E10value_typeEPNSQ_ISL_E10value_typeEPSM_NS1_7vsmem_tEENKUlT_SK_SL_SM_E_clIPbSD_PiSF_EESJ_SZ_SK_SL_SM_EUlSZ_E0_NS1_11comp_targetILNS1_3genE9ELNS1_11target_archE1100ELNS1_3gpuE3ELNS1_3repE0EEENS1_38merge_mergepath_config_static_selectorELNS0_4arch9wavefront6targetE1EEEvSL_
                                        ; -- End function
	.set _ZN7rocprim17ROCPRIM_400000_NS6detail17trampoline_kernelINS0_14default_configENS1_38merge_sort_block_merge_config_selectorIbiEEZZNS1_27merge_sort_block_merge_implIS3_N6thrust23THRUST_200600_302600_NS6detail15normal_iteratorINS8_10device_ptrIbEEEENSA_INSB_IiEEEEjNS1_19radix_merge_compareILb0ELb0EbNS0_19identity_decomposerEEEEE10hipError_tT0_T1_T2_jT3_P12ihipStream_tbPNSt15iterator_traitsISK_E10value_typeEPNSQ_ISL_E10value_typeEPSM_NS1_7vsmem_tEENKUlT_SK_SL_SM_E_clIPbSD_PiSF_EESJ_SZ_SK_SL_SM_EUlSZ_E0_NS1_11comp_targetILNS1_3genE9ELNS1_11target_archE1100ELNS1_3gpuE3ELNS1_3repE0EEENS1_38merge_mergepath_config_static_selectorELNS0_4arch9wavefront6targetE1EEEvSL_.num_vgpr, 0
	.set _ZN7rocprim17ROCPRIM_400000_NS6detail17trampoline_kernelINS0_14default_configENS1_38merge_sort_block_merge_config_selectorIbiEEZZNS1_27merge_sort_block_merge_implIS3_N6thrust23THRUST_200600_302600_NS6detail15normal_iteratorINS8_10device_ptrIbEEEENSA_INSB_IiEEEEjNS1_19radix_merge_compareILb0ELb0EbNS0_19identity_decomposerEEEEE10hipError_tT0_T1_T2_jT3_P12ihipStream_tbPNSt15iterator_traitsISK_E10value_typeEPNSQ_ISL_E10value_typeEPSM_NS1_7vsmem_tEENKUlT_SK_SL_SM_E_clIPbSD_PiSF_EESJ_SZ_SK_SL_SM_EUlSZ_E0_NS1_11comp_targetILNS1_3genE9ELNS1_11target_archE1100ELNS1_3gpuE3ELNS1_3repE0EEENS1_38merge_mergepath_config_static_selectorELNS0_4arch9wavefront6targetE1EEEvSL_.num_agpr, 0
	.set _ZN7rocprim17ROCPRIM_400000_NS6detail17trampoline_kernelINS0_14default_configENS1_38merge_sort_block_merge_config_selectorIbiEEZZNS1_27merge_sort_block_merge_implIS3_N6thrust23THRUST_200600_302600_NS6detail15normal_iteratorINS8_10device_ptrIbEEEENSA_INSB_IiEEEEjNS1_19radix_merge_compareILb0ELb0EbNS0_19identity_decomposerEEEEE10hipError_tT0_T1_T2_jT3_P12ihipStream_tbPNSt15iterator_traitsISK_E10value_typeEPNSQ_ISL_E10value_typeEPSM_NS1_7vsmem_tEENKUlT_SK_SL_SM_E_clIPbSD_PiSF_EESJ_SZ_SK_SL_SM_EUlSZ_E0_NS1_11comp_targetILNS1_3genE9ELNS1_11target_archE1100ELNS1_3gpuE3ELNS1_3repE0EEENS1_38merge_mergepath_config_static_selectorELNS0_4arch9wavefront6targetE1EEEvSL_.numbered_sgpr, 0
	.set _ZN7rocprim17ROCPRIM_400000_NS6detail17trampoline_kernelINS0_14default_configENS1_38merge_sort_block_merge_config_selectorIbiEEZZNS1_27merge_sort_block_merge_implIS3_N6thrust23THRUST_200600_302600_NS6detail15normal_iteratorINS8_10device_ptrIbEEEENSA_INSB_IiEEEEjNS1_19radix_merge_compareILb0ELb0EbNS0_19identity_decomposerEEEEE10hipError_tT0_T1_T2_jT3_P12ihipStream_tbPNSt15iterator_traitsISK_E10value_typeEPNSQ_ISL_E10value_typeEPSM_NS1_7vsmem_tEENKUlT_SK_SL_SM_E_clIPbSD_PiSF_EESJ_SZ_SK_SL_SM_EUlSZ_E0_NS1_11comp_targetILNS1_3genE9ELNS1_11target_archE1100ELNS1_3gpuE3ELNS1_3repE0EEENS1_38merge_mergepath_config_static_selectorELNS0_4arch9wavefront6targetE1EEEvSL_.num_named_barrier, 0
	.set _ZN7rocprim17ROCPRIM_400000_NS6detail17trampoline_kernelINS0_14default_configENS1_38merge_sort_block_merge_config_selectorIbiEEZZNS1_27merge_sort_block_merge_implIS3_N6thrust23THRUST_200600_302600_NS6detail15normal_iteratorINS8_10device_ptrIbEEEENSA_INSB_IiEEEEjNS1_19radix_merge_compareILb0ELb0EbNS0_19identity_decomposerEEEEE10hipError_tT0_T1_T2_jT3_P12ihipStream_tbPNSt15iterator_traitsISK_E10value_typeEPNSQ_ISL_E10value_typeEPSM_NS1_7vsmem_tEENKUlT_SK_SL_SM_E_clIPbSD_PiSF_EESJ_SZ_SK_SL_SM_EUlSZ_E0_NS1_11comp_targetILNS1_3genE9ELNS1_11target_archE1100ELNS1_3gpuE3ELNS1_3repE0EEENS1_38merge_mergepath_config_static_selectorELNS0_4arch9wavefront6targetE1EEEvSL_.private_seg_size, 0
	.set _ZN7rocprim17ROCPRIM_400000_NS6detail17trampoline_kernelINS0_14default_configENS1_38merge_sort_block_merge_config_selectorIbiEEZZNS1_27merge_sort_block_merge_implIS3_N6thrust23THRUST_200600_302600_NS6detail15normal_iteratorINS8_10device_ptrIbEEEENSA_INSB_IiEEEEjNS1_19radix_merge_compareILb0ELb0EbNS0_19identity_decomposerEEEEE10hipError_tT0_T1_T2_jT3_P12ihipStream_tbPNSt15iterator_traitsISK_E10value_typeEPNSQ_ISL_E10value_typeEPSM_NS1_7vsmem_tEENKUlT_SK_SL_SM_E_clIPbSD_PiSF_EESJ_SZ_SK_SL_SM_EUlSZ_E0_NS1_11comp_targetILNS1_3genE9ELNS1_11target_archE1100ELNS1_3gpuE3ELNS1_3repE0EEENS1_38merge_mergepath_config_static_selectorELNS0_4arch9wavefront6targetE1EEEvSL_.uses_vcc, 0
	.set _ZN7rocprim17ROCPRIM_400000_NS6detail17trampoline_kernelINS0_14default_configENS1_38merge_sort_block_merge_config_selectorIbiEEZZNS1_27merge_sort_block_merge_implIS3_N6thrust23THRUST_200600_302600_NS6detail15normal_iteratorINS8_10device_ptrIbEEEENSA_INSB_IiEEEEjNS1_19radix_merge_compareILb0ELb0EbNS0_19identity_decomposerEEEEE10hipError_tT0_T1_T2_jT3_P12ihipStream_tbPNSt15iterator_traitsISK_E10value_typeEPNSQ_ISL_E10value_typeEPSM_NS1_7vsmem_tEENKUlT_SK_SL_SM_E_clIPbSD_PiSF_EESJ_SZ_SK_SL_SM_EUlSZ_E0_NS1_11comp_targetILNS1_3genE9ELNS1_11target_archE1100ELNS1_3gpuE3ELNS1_3repE0EEENS1_38merge_mergepath_config_static_selectorELNS0_4arch9wavefront6targetE1EEEvSL_.uses_flat_scratch, 0
	.set _ZN7rocprim17ROCPRIM_400000_NS6detail17trampoline_kernelINS0_14default_configENS1_38merge_sort_block_merge_config_selectorIbiEEZZNS1_27merge_sort_block_merge_implIS3_N6thrust23THRUST_200600_302600_NS6detail15normal_iteratorINS8_10device_ptrIbEEEENSA_INSB_IiEEEEjNS1_19radix_merge_compareILb0ELb0EbNS0_19identity_decomposerEEEEE10hipError_tT0_T1_T2_jT3_P12ihipStream_tbPNSt15iterator_traitsISK_E10value_typeEPNSQ_ISL_E10value_typeEPSM_NS1_7vsmem_tEENKUlT_SK_SL_SM_E_clIPbSD_PiSF_EESJ_SZ_SK_SL_SM_EUlSZ_E0_NS1_11comp_targetILNS1_3genE9ELNS1_11target_archE1100ELNS1_3gpuE3ELNS1_3repE0EEENS1_38merge_mergepath_config_static_selectorELNS0_4arch9wavefront6targetE1EEEvSL_.has_dyn_sized_stack, 0
	.set _ZN7rocprim17ROCPRIM_400000_NS6detail17trampoline_kernelINS0_14default_configENS1_38merge_sort_block_merge_config_selectorIbiEEZZNS1_27merge_sort_block_merge_implIS3_N6thrust23THRUST_200600_302600_NS6detail15normal_iteratorINS8_10device_ptrIbEEEENSA_INSB_IiEEEEjNS1_19radix_merge_compareILb0ELb0EbNS0_19identity_decomposerEEEEE10hipError_tT0_T1_T2_jT3_P12ihipStream_tbPNSt15iterator_traitsISK_E10value_typeEPNSQ_ISL_E10value_typeEPSM_NS1_7vsmem_tEENKUlT_SK_SL_SM_E_clIPbSD_PiSF_EESJ_SZ_SK_SL_SM_EUlSZ_E0_NS1_11comp_targetILNS1_3genE9ELNS1_11target_archE1100ELNS1_3gpuE3ELNS1_3repE0EEENS1_38merge_mergepath_config_static_selectorELNS0_4arch9wavefront6targetE1EEEvSL_.has_recursion, 0
	.set _ZN7rocprim17ROCPRIM_400000_NS6detail17trampoline_kernelINS0_14default_configENS1_38merge_sort_block_merge_config_selectorIbiEEZZNS1_27merge_sort_block_merge_implIS3_N6thrust23THRUST_200600_302600_NS6detail15normal_iteratorINS8_10device_ptrIbEEEENSA_INSB_IiEEEEjNS1_19radix_merge_compareILb0ELb0EbNS0_19identity_decomposerEEEEE10hipError_tT0_T1_T2_jT3_P12ihipStream_tbPNSt15iterator_traitsISK_E10value_typeEPNSQ_ISL_E10value_typeEPSM_NS1_7vsmem_tEENKUlT_SK_SL_SM_E_clIPbSD_PiSF_EESJ_SZ_SK_SL_SM_EUlSZ_E0_NS1_11comp_targetILNS1_3genE9ELNS1_11target_archE1100ELNS1_3gpuE3ELNS1_3repE0EEENS1_38merge_mergepath_config_static_selectorELNS0_4arch9wavefront6targetE1EEEvSL_.has_indirect_call, 0
	.section	.AMDGPU.csdata,"",@progbits
; Kernel info:
; codeLenInByte = 0
; TotalNumSgprs: 6
; NumVgprs: 0
; NumAgprs: 0
; TotalNumVgprs: 0
; ScratchSize: 0
; MemoryBound: 0
; FloatMode: 240
; IeeeMode: 1
; LDSByteSize: 0 bytes/workgroup (compile time only)
; SGPRBlocks: 0
; VGPRBlocks: 0
; NumSGPRsForWavesPerEU: 6
; NumVGPRsForWavesPerEU: 1
; AccumOffset: 4
; Occupancy: 8
; WaveLimiterHint : 0
; COMPUTE_PGM_RSRC2:SCRATCH_EN: 0
; COMPUTE_PGM_RSRC2:USER_SGPR: 2
; COMPUTE_PGM_RSRC2:TRAP_HANDLER: 0
; COMPUTE_PGM_RSRC2:TGID_X_EN: 1
; COMPUTE_PGM_RSRC2:TGID_Y_EN: 0
; COMPUTE_PGM_RSRC2:TGID_Z_EN: 0
; COMPUTE_PGM_RSRC2:TIDIG_COMP_CNT: 0
; COMPUTE_PGM_RSRC3_GFX90A:ACCUM_OFFSET: 0
; COMPUTE_PGM_RSRC3_GFX90A:TG_SPLIT: 0
	.section	.text._ZN7rocprim17ROCPRIM_400000_NS6detail17trampoline_kernelINS0_14default_configENS1_38merge_sort_block_merge_config_selectorIbiEEZZNS1_27merge_sort_block_merge_implIS3_N6thrust23THRUST_200600_302600_NS6detail15normal_iteratorINS8_10device_ptrIbEEEENSA_INSB_IiEEEEjNS1_19radix_merge_compareILb0ELb0EbNS0_19identity_decomposerEEEEE10hipError_tT0_T1_T2_jT3_P12ihipStream_tbPNSt15iterator_traitsISK_E10value_typeEPNSQ_ISL_E10value_typeEPSM_NS1_7vsmem_tEENKUlT_SK_SL_SM_E_clIPbSD_PiSF_EESJ_SZ_SK_SL_SM_EUlSZ_E0_NS1_11comp_targetILNS1_3genE8ELNS1_11target_archE1030ELNS1_3gpuE2ELNS1_3repE0EEENS1_38merge_mergepath_config_static_selectorELNS0_4arch9wavefront6targetE1EEEvSL_,"axG",@progbits,_ZN7rocprim17ROCPRIM_400000_NS6detail17trampoline_kernelINS0_14default_configENS1_38merge_sort_block_merge_config_selectorIbiEEZZNS1_27merge_sort_block_merge_implIS3_N6thrust23THRUST_200600_302600_NS6detail15normal_iteratorINS8_10device_ptrIbEEEENSA_INSB_IiEEEEjNS1_19radix_merge_compareILb0ELb0EbNS0_19identity_decomposerEEEEE10hipError_tT0_T1_T2_jT3_P12ihipStream_tbPNSt15iterator_traitsISK_E10value_typeEPNSQ_ISL_E10value_typeEPSM_NS1_7vsmem_tEENKUlT_SK_SL_SM_E_clIPbSD_PiSF_EESJ_SZ_SK_SL_SM_EUlSZ_E0_NS1_11comp_targetILNS1_3genE8ELNS1_11target_archE1030ELNS1_3gpuE2ELNS1_3repE0EEENS1_38merge_mergepath_config_static_selectorELNS0_4arch9wavefront6targetE1EEEvSL_,comdat
	.protected	_ZN7rocprim17ROCPRIM_400000_NS6detail17trampoline_kernelINS0_14default_configENS1_38merge_sort_block_merge_config_selectorIbiEEZZNS1_27merge_sort_block_merge_implIS3_N6thrust23THRUST_200600_302600_NS6detail15normal_iteratorINS8_10device_ptrIbEEEENSA_INSB_IiEEEEjNS1_19radix_merge_compareILb0ELb0EbNS0_19identity_decomposerEEEEE10hipError_tT0_T1_T2_jT3_P12ihipStream_tbPNSt15iterator_traitsISK_E10value_typeEPNSQ_ISL_E10value_typeEPSM_NS1_7vsmem_tEENKUlT_SK_SL_SM_E_clIPbSD_PiSF_EESJ_SZ_SK_SL_SM_EUlSZ_E0_NS1_11comp_targetILNS1_3genE8ELNS1_11target_archE1030ELNS1_3gpuE2ELNS1_3repE0EEENS1_38merge_mergepath_config_static_selectorELNS0_4arch9wavefront6targetE1EEEvSL_ ; -- Begin function _ZN7rocprim17ROCPRIM_400000_NS6detail17trampoline_kernelINS0_14default_configENS1_38merge_sort_block_merge_config_selectorIbiEEZZNS1_27merge_sort_block_merge_implIS3_N6thrust23THRUST_200600_302600_NS6detail15normal_iteratorINS8_10device_ptrIbEEEENSA_INSB_IiEEEEjNS1_19radix_merge_compareILb0ELb0EbNS0_19identity_decomposerEEEEE10hipError_tT0_T1_T2_jT3_P12ihipStream_tbPNSt15iterator_traitsISK_E10value_typeEPNSQ_ISL_E10value_typeEPSM_NS1_7vsmem_tEENKUlT_SK_SL_SM_E_clIPbSD_PiSF_EESJ_SZ_SK_SL_SM_EUlSZ_E0_NS1_11comp_targetILNS1_3genE8ELNS1_11target_archE1030ELNS1_3gpuE2ELNS1_3repE0EEENS1_38merge_mergepath_config_static_selectorELNS0_4arch9wavefront6targetE1EEEvSL_
	.globl	_ZN7rocprim17ROCPRIM_400000_NS6detail17trampoline_kernelINS0_14default_configENS1_38merge_sort_block_merge_config_selectorIbiEEZZNS1_27merge_sort_block_merge_implIS3_N6thrust23THRUST_200600_302600_NS6detail15normal_iteratorINS8_10device_ptrIbEEEENSA_INSB_IiEEEEjNS1_19radix_merge_compareILb0ELb0EbNS0_19identity_decomposerEEEEE10hipError_tT0_T1_T2_jT3_P12ihipStream_tbPNSt15iterator_traitsISK_E10value_typeEPNSQ_ISL_E10value_typeEPSM_NS1_7vsmem_tEENKUlT_SK_SL_SM_E_clIPbSD_PiSF_EESJ_SZ_SK_SL_SM_EUlSZ_E0_NS1_11comp_targetILNS1_3genE8ELNS1_11target_archE1030ELNS1_3gpuE2ELNS1_3repE0EEENS1_38merge_mergepath_config_static_selectorELNS0_4arch9wavefront6targetE1EEEvSL_
	.p2align	8
	.type	_ZN7rocprim17ROCPRIM_400000_NS6detail17trampoline_kernelINS0_14default_configENS1_38merge_sort_block_merge_config_selectorIbiEEZZNS1_27merge_sort_block_merge_implIS3_N6thrust23THRUST_200600_302600_NS6detail15normal_iteratorINS8_10device_ptrIbEEEENSA_INSB_IiEEEEjNS1_19radix_merge_compareILb0ELb0EbNS0_19identity_decomposerEEEEE10hipError_tT0_T1_T2_jT3_P12ihipStream_tbPNSt15iterator_traitsISK_E10value_typeEPNSQ_ISL_E10value_typeEPSM_NS1_7vsmem_tEENKUlT_SK_SL_SM_E_clIPbSD_PiSF_EESJ_SZ_SK_SL_SM_EUlSZ_E0_NS1_11comp_targetILNS1_3genE8ELNS1_11target_archE1030ELNS1_3gpuE2ELNS1_3repE0EEENS1_38merge_mergepath_config_static_selectorELNS0_4arch9wavefront6targetE1EEEvSL_,@function
_ZN7rocprim17ROCPRIM_400000_NS6detail17trampoline_kernelINS0_14default_configENS1_38merge_sort_block_merge_config_selectorIbiEEZZNS1_27merge_sort_block_merge_implIS3_N6thrust23THRUST_200600_302600_NS6detail15normal_iteratorINS8_10device_ptrIbEEEENSA_INSB_IiEEEEjNS1_19radix_merge_compareILb0ELb0EbNS0_19identity_decomposerEEEEE10hipError_tT0_T1_T2_jT3_P12ihipStream_tbPNSt15iterator_traitsISK_E10value_typeEPNSQ_ISL_E10value_typeEPSM_NS1_7vsmem_tEENKUlT_SK_SL_SM_E_clIPbSD_PiSF_EESJ_SZ_SK_SL_SM_EUlSZ_E0_NS1_11comp_targetILNS1_3genE8ELNS1_11target_archE1030ELNS1_3gpuE2ELNS1_3repE0EEENS1_38merge_mergepath_config_static_selectorELNS0_4arch9wavefront6targetE1EEEvSL_: ; @_ZN7rocprim17ROCPRIM_400000_NS6detail17trampoline_kernelINS0_14default_configENS1_38merge_sort_block_merge_config_selectorIbiEEZZNS1_27merge_sort_block_merge_implIS3_N6thrust23THRUST_200600_302600_NS6detail15normal_iteratorINS8_10device_ptrIbEEEENSA_INSB_IiEEEEjNS1_19radix_merge_compareILb0ELb0EbNS0_19identity_decomposerEEEEE10hipError_tT0_T1_T2_jT3_P12ihipStream_tbPNSt15iterator_traitsISK_E10value_typeEPNSQ_ISL_E10value_typeEPSM_NS1_7vsmem_tEENKUlT_SK_SL_SM_E_clIPbSD_PiSF_EESJ_SZ_SK_SL_SM_EUlSZ_E0_NS1_11comp_targetILNS1_3genE8ELNS1_11target_archE1030ELNS1_3gpuE2ELNS1_3repE0EEENS1_38merge_mergepath_config_static_selectorELNS0_4arch9wavefront6targetE1EEEvSL_
; %bb.0:
	.section	.rodata,"a",@progbits
	.p2align	6, 0x0
	.amdhsa_kernel _ZN7rocprim17ROCPRIM_400000_NS6detail17trampoline_kernelINS0_14default_configENS1_38merge_sort_block_merge_config_selectorIbiEEZZNS1_27merge_sort_block_merge_implIS3_N6thrust23THRUST_200600_302600_NS6detail15normal_iteratorINS8_10device_ptrIbEEEENSA_INSB_IiEEEEjNS1_19radix_merge_compareILb0ELb0EbNS0_19identity_decomposerEEEEE10hipError_tT0_T1_T2_jT3_P12ihipStream_tbPNSt15iterator_traitsISK_E10value_typeEPNSQ_ISL_E10value_typeEPSM_NS1_7vsmem_tEENKUlT_SK_SL_SM_E_clIPbSD_PiSF_EESJ_SZ_SK_SL_SM_EUlSZ_E0_NS1_11comp_targetILNS1_3genE8ELNS1_11target_archE1030ELNS1_3gpuE2ELNS1_3repE0EEENS1_38merge_mergepath_config_static_selectorELNS0_4arch9wavefront6targetE1EEEvSL_
		.amdhsa_group_segment_fixed_size 0
		.amdhsa_private_segment_fixed_size 0
		.amdhsa_kernarg_size 64
		.amdhsa_user_sgpr_count 2
		.amdhsa_user_sgpr_dispatch_ptr 0
		.amdhsa_user_sgpr_queue_ptr 0
		.amdhsa_user_sgpr_kernarg_segment_ptr 1
		.amdhsa_user_sgpr_dispatch_id 0
		.amdhsa_user_sgpr_kernarg_preload_length 0
		.amdhsa_user_sgpr_kernarg_preload_offset 0
		.amdhsa_user_sgpr_private_segment_size 0
		.amdhsa_uses_dynamic_stack 0
		.amdhsa_enable_private_segment 0
		.amdhsa_system_sgpr_workgroup_id_x 1
		.amdhsa_system_sgpr_workgroup_id_y 0
		.amdhsa_system_sgpr_workgroup_id_z 0
		.amdhsa_system_sgpr_workgroup_info 0
		.amdhsa_system_vgpr_workitem_id 0
		.amdhsa_next_free_vgpr 1
		.amdhsa_next_free_sgpr 0
		.amdhsa_accum_offset 4
		.amdhsa_reserve_vcc 0
		.amdhsa_float_round_mode_32 0
		.amdhsa_float_round_mode_16_64 0
		.amdhsa_float_denorm_mode_32 3
		.amdhsa_float_denorm_mode_16_64 3
		.amdhsa_dx10_clamp 1
		.amdhsa_ieee_mode 1
		.amdhsa_fp16_overflow 0
		.amdhsa_tg_split 0
		.amdhsa_exception_fp_ieee_invalid_op 0
		.amdhsa_exception_fp_denorm_src 0
		.amdhsa_exception_fp_ieee_div_zero 0
		.amdhsa_exception_fp_ieee_overflow 0
		.amdhsa_exception_fp_ieee_underflow 0
		.amdhsa_exception_fp_ieee_inexact 0
		.amdhsa_exception_int_div_zero 0
	.end_amdhsa_kernel
	.section	.text._ZN7rocprim17ROCPRIM_400000_NS6detail17trampoline_kernelINS0_14default_configENS1_38merge_sort_block_merge_config_selectorIbiEEZZNS1_27merge_sort_block_merge_implIS3_N6thrust23THRUST_200600_302600_NS6detail15normal_iteratorINS8_10device_ptrIbEEEENSA_INSB_IiEEEEjNS1_19radix_merge_compareILb0ELb0EbNS0_19identity_decomposerEEEEE10hipError_tT0_T1_T2_jT3_P12ihipStream_tbPNSt15iterator_traitsISK_E10value_typeEPNSQ_ISL_E10value_typeEPSM_NS1_7vsmem_tEENKUlT_SK_SL_SM_E_clIPbSD_PiSF_EESJ_SZ_SK_SL_SM_EUlSZ_E0_NS1_11comp_targetILNS1_3genE8ELNS1_11target_archE1030ELNS1_3gpuE2ELNS1_3repE0EEENS1_38merge_mergepath_config_static_selectorELNS0_4arch9wavefront6targetE1EEEvSL_,"axG",@progbits,_ZN7rocprim17ROCPRIM_400000_NS6detail17trampoline_kernelINS0_14default_configENS1_38merge_sort_block_merge_config_selectorIbiEEZZNS1_27merge_sort_block_merge_implIS3_N6thrust23THRUST_200600_302600_NS6detail15normal_iteratorINS8_10device_ptrIbEEEENSA_INSB_IiEEEEjNS1_19radix_merge_compareILb0ELb0EbNS0_19identity_decomposerEEEEE10hipError_tT0_T1_T2_jT3_P12ihipStream_tbPNSt15iterator_traitsISK_E10value_typeEPNSQ_ISL_E10value_typeEPSM_NS1_7vsmem_tEENKUlT_SK_SL_SM_E_clIPbSD_PiSF_EESJ_SZ_SK_SL_SM_EUlSZ_E0_NS1_11comp_targetILNS1_3genE8ELNS1_11target_archE1030ELNS1_3gpuE2ELNS1_3repE0EEENS1_38merge_mergepath_config_static_selectorELNS0_4arch9wavefront6targetE1EEEvSL_,comdat
.Lfunc_end1924:
	.size	_ZN7rocprim17ROCPRIM_400000_NS6detail17trampoline_kernelINS0_14default_configENS1_38merge_sort_block_merge_config_selectorIbiEEZZNS1_27merge_sort_block_merge_implIS3_N6thrust23THRUST_200600_302600_NS6detail15normal_iteratorINS8_10device_ptrIbEEEENSA_INSB_IiEEEEjNS1_19radix_merge_compareILb0ELb0EbNS0_19identity_decomposerEEEEE10hipError_tT0_T1_T2_jT3_P12ihipStream_tbPNSt15iterator_traitsISK_E10value_typeEPNSQ_ISL_E10value_typeEPSM_NS1_7vsmem_tEENKUlT_SK_SL_SM_E_clIPbSD_PiSF_EESJ_SZ_SK_SL_SM_EUlSZ_E0_NS1_11comp_targetILNS1_3genE8ELNS1_11target_archE1030ELNS1_3gpuE2ELNS1_3repE0EEENS1_38merge_mergepath_config_static_selectorELNS0_4arch9wavefront6targetE1EEEvSL_, .Lfunc_end1924-_ZN7rocprim17ROCPRIM_400000_NS6detail17trampoline_kernelINS0_14default_configENS1_38merge_sort_block_merge_config_selectorIbiEEZZNS1_27merge_sort_block_merge_implIS3_N6thrust23THRUST_200600_302600_NS6detail15normal_iteratorINS8_10device_ptrIbEEEENSA_INSB_IiEEEEjNS1_19radix_merge_compareILb0ELb0EbNS0_19identity_decomposerEEEEE10hipError_tT0_T1_T2_jT3_P12ihipStream_tbPNSt15iterator_traitsISK_E10value_typeEPNSQ_ISL_E10value_typeEPSM_NS1_7vsmem_tEENKUlT_SK_SL_SM_E_clIPbSD_PiSF_EESJ_SZ_SK_SL_SM_EUlSZ_E0_NS1_11comp_targetILNS1_3genE8ELNS1_11target_archE1030ELNS1_3gpuE2ELNS1_3repE0EEENS1_38merge_mergepath_config_static_selectorELNS0_4arch9wavefront6targetE1EEEvSL_
                                        ; -- End function
	.set _ZN7rocprim17ROCPRIM_400000_NS6detail17trampoline_kernelINS0_14default_configENS1_38merge_sort_block_merge_config_selectorIbiEEZZNS1_27merge_sort_block_merge_implIS3_N6thrust23THRUST_200600_302600_NS6detail15normal_iteratorINS8_10device_ptrIbEEEENSA_INSB_IiEEEEjNS1_19radix_merge_compareILb0ELb0EbNS0_19identity_decomposerEEEEE10hipError_tT0_T1_T2_jT3_P12ihipStream_tbPNSt15iterator_traitsISK_E10value_typeEPNSQ_ISL_E10value_typeEPSM_NS1_7vsmem_tEENKUlT_SK_SL_SM_E_clIPbSD_PiSF_EESJ_SZ_SK_SL_SM_EUlSZ_E0_NS1_11comp_targetILNS1_3genE8ELNS1_11target_archE1030ELNS1_3gpuE2ELNS1_3repE0EEENS1_38merge_mergepath_config_static_selectorELNS0_4arch9wavefront6targetE1EEEvSL_.num_vgpr, 0
	.set _ZN7rocprim17ROCPRIM_400000_NS6detail17trampoline_kernelINS0_14default_configENS1_38merge_sort_block_merge_config_selectorIbiEEZZNS1_27merge_sort_block_merge_implIS3_N6thrust23THRUST_200600_302600_NS6detail15normal_iteratorINS8_10device_ptrIbEEEENSA_INSB_IiEEEEjNS1_19radix_merge_compareILb0ELb0EbNS0_19identity_decomposerEEEEE10hipError_tT0_T1_T2_jT3_P12ihipStream_tbPNSt15iterator_traitsISK_E10value_typeEPNSQ_ISL_E10value_typeEPSM_NS1_7vsmem_tEENKUlT_SK_SL_SM_E_clIPbSD_PiSF_EESJ_SZ_SK_SL_SM_EUlSZ_E0_NS1_11comp_targetILNS1_3genE8ELNS1_11target_archE1030ELNS1_3gpuE2ELNS1_3repE0EEENS1_38merge_mergepath_config_static_selectorELNS0_4arch9wavefront6targetE1EEEvSL_.num_agpr, 0
	.set _ZN7rocprim17ROCPRIM_400000_NS6detail17trampoline_kernelINS0_14default_configENS1_38merge_sort_block_merge_config_selectorIbiEEZZNS1_27merge_sort_block_merge_implIS3_N6thrust23THRUST_200600_302600_NS6detail15normal_iteratorINS8_10device_ptrIbEEEENSA_INSB_IiEEEEjNS1_19radix_merge_compareILb0ELb0EbNS0_19identity_decomposerEEEEE10hipError_tT0_T1_T2_jT3_P12ihipStream_tbPNSt15iterator_traitsISK_E10value_typeEPNSQ_ISL_E10value_typeEPSM_NS1_7vsmem_tEENKUlT_SK_SL_SM_E_clIPbSD_PiSF_EESJ_SZ_SK_SL_SM_EUlSZ_E0_NS1_11comp_targetILNS1_3genE8ELNS1_11target_archE1030ELNS1_3gpuE2ELNS1_3repE0EEENS1_38merge_mergepath_config_static_selectorELNS0_4arch9wavefront6targetE1EEEvSL_.numbered_sgpr, 0
	.set _ZN7rocprim17ROCPRIM_400000_NS6detail17trampoline_kernelINS0_14default_configENS1_38merge_sort_block_merge_config_selectorIbiEEZZNS1_27merge_sort_block_merge_implIS3_N6thrust23THRUST_200600_302600_NS6detail15normal_iteratorINS8_10device_ptrIbEEEENSA_INSB_IiEEEEjNS1_19radix_merge_compareILb0ELb0EbNS0_19identity_decomposerEEEEE10hipError_tT0_T1_T2_jT3_P12ihipStream_tbPNSt15iterator_traitsISK_E10value_typeEPNSQ_ISL_E10value_typeEPSM_NS1_7vsmem_tEENKUlT_SK_SL_SM_E_clIPbSD_PiSF_EESJ_SZ_SK_SL_SM_EUlSZ_E0_NS1_11comp_targetILNS1_3genE8ELNS1_11target_archE1030ELNS1_3gpuE2ELNS1_3repE0EEENS1_38merge_mergepath_config_static_selectorELNS0_4arch9wavefront6targetE1EEEvSL_.num_named_barrier, 0
	.set _ZN7rocprim17ROCPRIM_400000_NS6detail17trampoline_kernelINS0_14default_configENS1_38merge_sort_block_merge_config_selectorIbiEEZZNS1_27merge_sort_block_merge_implIS3_N6thrust23THRUST_200600_302600_NS6detail15normal_iteratorINS8_10device_ptrIbEEEENSA_INSB_IiEEEEjNS1_19radix_merge_compareILb0ELb0EbNS0_19identity_decomposerEEEEE10hipError_tT0_T1_T2_jT3_P12ihipStream_tbPNSt15iterator_traitsISK_E10value_typeEPNSQ_ISL_E10value_typeEPSM_NS1_7vsmem_tEENKUlT_SK_SL_SM_E_clIPbSD_PiSF_EESJ_SZ_SK_SL_SM_EUlSZ_E0_NS1_11comp_targetILNS1_3genE8ELNS1_11target_archE1030ELNS1_3gpuE2ELNS1_3repE0EEENS1_38merge_mergepath_config_static_selectorELNS0_4arch9wavefront6targetE1EEEvSL_.private_seg_size, 0
	.set _ZN7rocprim17ROCPRIM_400000_NS6detail17trampoline_kernelINS0_14default_configENS1_38merge_sort_block_merge_config_selectorIbiEEZZNS1_27merge_sort_block_merge_implIS3_N6thrust23THRUST_200600_302600_NS6detail15normal_iteratorINS8_10device_ptrIbEEEENSA_INSB_IiEEEEjNS1_19radix_merge_compareILb0ELb0EbNS0_19identity_decomposerEEEEE10hipError_tT0_T1_T2_jT3_P12ihipStream_tbPNSt15iterator_traitsISK_E10value_typeEPNSQ_ISL_E10value_typeEPSM_NS1_7vsmem_tEENKUlT_SK_SL_SM_E_clIPbSD_PiSF_EESJ_SZ_SK_SL_SM_EUlSZ_E0_NS1_11comp_targetILNS1_3genE8ELNS1_11target_archE1030ELNS1_3gpuE2ELNS1_3repE0EEENS1_38merge_mergepath_config_static_selectorELNS0_4arch9wavefront6targetE1EEEvSL_.uses_vcc, 0
	.set _ZN7rocprim17ROCPRIM_400000_NS6detail17trampoline_kernelINS0_14default_configENS1_38merge_sort_block_merge_config_selectorIbiEEZZNS1_27merge_sort_block_merge_implIS3_N6thrust23THRUST_200600_302600_NS6detail15normal_iteratorINS8_10device_ptrIbEEEENSA_INSB_IiEEEEjNS1_19radix_merge_compareILb0ELb0EbNS0_19identity_decomposerEEEEE10hipError_tT0_T1_T2_jT3_P12ihipStream_tbPNSt15iterator_traitsISK_E10value_typeEPNSQ_ISL_E10value_typeEPSM_NS1_7vsmem_tEENKUlT_SK_SL_SM_E_clIPbSD_PiSF_EESJ_SZ_SK_SL_SM_EUlSZ_E0_NS1_11comp_targetILNS1_3genE8ELNS1_11target_archE1030ELNS1_3gpuE2ELNS1_3repE0EEENS1_38merge_mergepath_config_static_selectorELNS0_4arch9wavefront6targetE1EEEvSL_.uses_flat_scratch, 0
	.set _ZN7rocprim17ROCPRIM_400000_NS6detail17trampoline_kernelINS0_14default_configENS1_38merge_sort_block_merge_config_selectorIbiEEZZNS1_27merge_sort_block_merge_implIS3_N6thrust23THRUST_200600_302600_NS6detail15normal_iteratorINS8_10device_ptrIbEEEENSA_INSB_IiEEEEjNS1_19radix_merge_compareILb0ELb0EbNS0_19identity_decomposerEEEEE10hipError_tT0_T1_T2_jT3_P12ihipStream_tbPNSt15iterator_traitsISK_E10value_typeEPNSQ_ISL_E10value_typeEPSM_NS1_7vsmem_tEENKUlT_SK_SL_SM_E_clIPbSD_PiSF_EESJ_SZ_SK_SL_SM_EUlSZ_E0_NS1_11comp_targetILNS1_3genE8ELNS1_11target_archE1030ELNS1_3gpuE2ELNS1_3repE0EEENS1_38merge_mergepath_config_static_selectorELNS0_4arch9wavefront6targetE1EEEvSL_.has_dyn_sized_stack, 0
	.set _ZN7rocprim17ROCPRIM_400000_NS6detail17trampoline_kernelINS0_14default_configENS1_38merge_sort_block_merge_config_selectorIbiEEZZNS1_27merge_sort_block_merge_implIS3_N6thrust23THRUST_200600_302600_NS6detail15normal_iteratorINS8_10device_ptrIbEEEENSA_INSB_IiEEEEjNS1_19radix_merge_compareILb0ELb0EbNS0_19identity_decomposerEEEEE10hipError_tT0_T1_T2_jT3_P12ihipStream_tbPNSt15iterator_traitsISK_E10value_typeEPNSQ_ISL_E10value_typeEPSM_NS1_7vsmem_tEENKUlT_SK_SL_SM_E_clIPbSD_PiSF_EESJ_SZ_SK_SL_SM_EUlSZ_E0_NS1_11comp_targetILNS1_3genE8ELNS1_11target_archE1030ELNS1_3gpuE2ELNS1_3repE0EEENS1_38merge_mergepath_config_static_selectorELNS0_4arch9wavefront6targetE1EEEvSL_.has_recursion, 0
	.set _ZN7rocprim17ROCPRIM_400000_NS6detail17trampoline_kernelINS0_14default_configENS1_38merge_sort_block_merge_config_selectorIbiEEZZNS1_27merge_sort_block_merge_implIS3_N6thrust23THRUST_200600_302600_NS6detail15normal_iteratorINS8_10device_ptrIbEEEENSA_INSB_IiEEEEjNS1_19radix_merge_compareILb0ELb0EbNS0_19identity_decomposerEEEEE10hipError_tT0_T1_T2_jT3_P12ihipStream_tbPNSt15iterator_traitsISK_E10value_typeEPNSQ_ISL_E10value_typeEPSM_NS1_7vsmem_tEENKUlT_SK_SL_SM_E_clIPbSD_PiSF_EESJ_SZ_SK_SL_SM_EUlSZ_E0_NS1_11comp_targetILNS1_3genE8ELNS1_11target_archE1030ELNS1_3gpuE2ELNS1_3repE0EEENS1_38merge_mergepath_config_static_selectorELNS0_4arch9wavefront6targetE1EEEvSL_.has_indirect_call, 0
	.section	.AMDGPU.csdata,"",@progbits
; Kernel info:
; codeLenInByte = 0
; TotalNumSgprs: 6
; NumVgprs: 0
; NumAgprs: 0
; TotalNumVgprs: 0
; ScratchSize: 0
; MemoryBound: 0
; FloatMode: 240
; IeeeMode: 1
; LDSByteSize: 0 bytes/workgroup (compile time only)
; SGPRBlocks: 0
; VGPRBlocks: 0
; NumSGPRsForWavesPerEU: 6
; NumVGPRsForWavesPerEU: 1
; AccumOffset: 4
; Occupancy: 8
; WaveLimiterHint : 0
; COMPUTE_PGM_RSRC2:SCRATCH_EN: 0
; COMPUTE_PGM_RSRC2:USER_SGPR: 2
; COMPUTE_PGM_RSRC2:TRAP_HANDLER: 0
; COMPUTE_PGM_RSRC2:TGID_X_EN: 1
; COMPUTE_PGM_RSRC2:TGID_Y_EN: 0
; COMPUTE_PGM_RSRC2:TGID_Z_EN: 0
; COMPUTE_PGM_RSRC2:TIDIG_COMP_CNT: 0
; COMPUTE_PGM_RSRC3_GFX90A:ACCUM_OFFSET: 0
; COMPUTE_PGM_RSRC3_GFX90A:TG_SPLIT: 0
	.section	.text._ZN7rocprim17ROCPRIM_400000_NS6detail17trampoline_kernelINS0_14default_configENS1_38merge_sort_block_merge_config_selectorIbiEEZZNS1_27merge_sort_block_merge_implIS3_N6thrust23THRUST_200600_302600_NS6detail15normal_iteratorINS8_10device_ptrIbEEEENSA_INSB_IiEEEEjNS1_19radix_merge_compareILb0ELb0EbNS0_19identity_decomposerEEEEE10hipError_tT0_T1_T2_jT3_P12ihipStream_tbPNSt15iterator_traitsISK_E10value_typeEPNSQ_ISL_E10value_typeEPSM_NS1_7vsmem_tEENKUlT_SK_SL_SM_E_clIPbSD_PiSF_EESJ_SZ_SK_SL_SM_EUlSZ_E1_NS1_11comp_targetILNS1_3genE0ELNS1_11target_archE4294967295ELNS1_3gpuE0ELNS1_3repE0EEENS1_36merge_oddeven_config_static_selectorELNS0_4arch9wavefront6targetE1EEEvSL_,"axG",@progbits,_ZN7rocprim17ROCPRIM_400000_NS6detail17trampoline_kernelINS0_14default_configENS1_38merge_sort_block_merge_config_selectorIbiEEZZNS1_27merge_sort_block_merge_implIS3_N6thrust23THRUST_200600_302600_NS6detail15normal_iteratorINS8_10device_ptrIbEEEENSA_INSB_IiEEEEjNS1_19radix_merge_compareILb0ELb0EbNS0_19identity_decomposerEEEEE10hipError_tT0_T1_T2_jT3_P12ihipStream_tbPNSt15iterator_traitsISK_E10value_typeEPNSQ_ISL_E10value_typeEPSM_NS1_7vsmem_tEENKUlT_SK_SL_SM_E_clIPbSD_PiSF_EESJ_SZ_SK_SL_SM_EUlSZ_E1_NS1_11comp_targetILNS1_3genE0ELNS1_11target_archE4294967295ELNS1_3gpuE0ELNS1_3repE0EEENS1_36merge_oddeven_config_static_selectorELNS0_4arch9wavefront6targetE1EEEvSL_,comdat
	.protected	_ZN7rocprim17ROCPRIM_400000_NS6detail17trampoline_kernelINS0_14default_configENS1_38merge_sort_block_merge_config_selectorIbiEEZZNS1_27merge_sort_block_merge_implIS3_N6thrust23THRUST_200600_302600_NS6detail15normal_iteratorINS8_10device_ptrIbEEEENSA_INSB_IiEEEEjNS1_19radix_merge_compareILb0ELb0EbNS0_19identity_decomposerEEEEE10hipError_tT0_T1_T2_jT3_P12ihipStream_tbPNSt15iterator_traitsISK_E10value_typeEPNSQ_ISL_E10value_typeEPSM_NS1_7vsmem_tEENKUlT_SK_SL_SM_E_clIPbSD_PiSF_EESJ_SZ_SK_SL_SM_EUlSZ_E1_NS1_11comp_targetILNS1_3genE0ELNS1_11target_archE4294967295ELNS1_3gpuE0ELNS1_3repE0EEENS1_36merge_oddeven_config_static_selectorELNS0_4arch9wavefront6targetE1EEEvSL_ ; -- Begin function _ZN7rocprim17ROCPRIM_400000_NS6detail17trampoline_kernelINS0_14default_configENS1_38merge_sort_block_merge_config_selectorIbiEEZZNS1_27merge_sort_block_merge_implIS3_N6thrust23THRUST_200600_302600_NS6detail15normal_iteratorINS8_10device_ptrIbEEEENSA_INSB_IiEEEEjNS1_19radix_merge_compareILb0ELb0EbNS0_19identity_decomposerEEEEE10hipError_tT0_T1_T2_jT3_P12ihipStream_tbPNSt15iterator_traitsISK_E10value_typeEPNSQ_ISL_E10value_typeEPSM_NS1_7vsmem_tEENKUlT_SK_SL_SM_E_clIPbSD_PiSF_EESJ_SZ_SK_SL_SM_EUlSZ_E1_NS1_11comp_targetILNS1_3genE0ELNS1_11target_archE4294967295ELNS1_3gpuE0ELNS1_3repE0EEENS1_36merge_oddeven_config_static_selectorELNS0_4arch9wavefront6targetE1EEEvSL_
	.globl	_ZN7rocprim17ROCPRIM_400000_NS6detail17trampoline_kernelINS0_14default_configENS1_38merge_sort_block_merge_config_selectorIbiEEZZNS1_27merge_sort_block_merge_implIS3_N6thrust23THRUST_200600_302600_NS6detail15normal_iteratorINS8_10device_ptrIbEEEENSA_INSB_IiEEEEjNS1_19radix_merge_compareILb0ELb0EbNS0_19identity_decomposerEEEEE10hipError_tT0_T1_T2_jT3_P12ihipStream_tbPNSt15iterator_traitsISK_E10value_typeEPNSQ_ISL_E10value_typeEPSM_NS1_7vsmem_tEENKUlT_SK_SL_SM_E_clIPbSD_PiSF_EESJ_SZ_SK_SL_SM_EUlSZ_E1_NS1_11comp_targetILNS1_3genE0ELNS1_11target_archE4294967295ELNS1_3gpuE0ELNS1_3repE0EEENS1_36merge_oddeven_config_static_selectorELNS0_4arch9wavefront6targetE1EEEvSL_
	.p2align	8
	.type	_ZN7rocprim17ROCPRIM_400000_NS6detail17trampoline_kernelINS0_14default_configENS1_38merge_sort_block_merge_config_selectorIbiEEZZNS1_27merge_sort_block_merge_implIS3_N6thrust23THRUST_200600_302600_NS6detail15normal_iteratorINS8_10device_ptrIbEEEENSA_INSB_IiEEEEjNS1_19radix_merge_compareILb0ELb0EbNS0_19identity_decomposerEEEEE10hipError_tT0_T1_T2_jT3_P12ihipStream_tbPNSt15iterator_traitsISK_E10value_typeEPNSQ_ISL_E10value_typeEPSM_NS1_7vsmem_tEENKUlT_SK_SL_SM_E_clIPbSD_PiSF_EESJ_SZ_SK_SL_SM_EUlSZ_E1_NS1_11comp_targetILNS1_3genE0ELNS1_11target_archE4294967295ELNS1_3gpuE0ELNS1_3repE0EEENS1_36merge_oddeven_config_static_selectorELNS0_4arch9wavefront6targetE1EEEvSL_,@function
_ZN7rocprim17ROCPRIM_400000_NS6detail17trampoline_kernelINS0_14default_configENS1_38merge_sort_block_merge_config_selectorIbiEEZZNS1_27merge_sort_block_merge_implIS3_N6thrust23THRUST_200600_302600_NS6detail15normal_iteratorINS8_10device_ptrIbEEEENSA_INSB_IiEEEEjNS1_19radix_merge_compareILb0ELb0EbNS0_19identity_decomposerEEEEE10hipError_tT0_T1_T2_jT3_P12ihipStream_tbPNSt15iterator_traitsISK_E10value_typeEPNSQ_ISL_E10value_typeEPSM_NS1_7vsmem_tEENKUlT_SK_SL_SM_E_clIPbSD_PiSF_EESJ_SZ_SK_SL_SM_EUlSZ_E1_NS1_11comp_targetILNS1_3genE0ELNS1_11target_archE4294967295ELNS1_3gpuE0ELNS1_3repE0EEENS1_36merge_oddeven_config_static_selectorELNS0_4arch9wavefront6targetE1EEEvSL_: ; @_ZN7rocprim17ROCPRIM_400000_NS6detail17trampoline_kernelINS0_14default_configENS1_38merge_sort_block_merge_config_selectorIbiEEZZNS1_27merge_sort_block_merge_implIS3_N6thrust23THRUST_200600_302600_NS6detail15normal_iteratorINS8_10device_ptrIbEEEENSA_INSB_IiEEEEjNS1_19radix_merge_compareILb0ELb0EbNS0_19identity_decomposerEEEEE10hipError_tT0_T1_T2_jT3_P12ihipStream_tbPNSt15iterator_traitsISK_E10value_typeEPNSQ_ISL_E10value_typeEPSM_NS1_7vsmem_tEENKUlT_SK_SL_SM_E_clIPbSD_PiSF_EESJ_SZ_SK_SL_SM_EUlSZ_E1_NS1_11comp_targetILNS1_3genE0ELNS1_11target_archE4294967295ELNS1_3gpuE0ELNS1_3repE0EEENS1_36merge_oddeven_config_static_selectorELNS0_4arch9wavefront6targetE1EEEvSL_
; %bb.0:
	s_load_dword s18, s[0:1], 0x20
	s_waitcnt lgkmcnt(0)
	s_lshr_b32 s3, s18, 8
	s_cmp_eq_u32 s2, s3
	s_cselect_b64 s[6:7], -1, 0
	s_cmp_lg_u32 s2, s3
	s_cselect_b64 s[8:9], -1, 0
	s_lshl_b32 s16, s2, 8
	s_sub_i32 s3, s18, s16
	v_cmp_gt_u32_e64 s[4:5], s3, v0
	s_or_b64 s[8:9], s[8:9], s[4:5]
	s_and_saveexec_b64 s[10:11], s[8:9]
	s_cbranch_execz .LBB1925_24
; %bb.1:
	s_load_dwordx8 s[8:15], s[0:1], 0x0
	s_mov_b32 s17, 0
	v_lshlrev_b32_e32 v1, 2, v0
	s_waitcnt lgkmcnt(0)
	s_add_u32 s20, s8, s16
	s_addc_u32 s21, s9, 0
	s_lshl_b64 s[22:23], s[16:17], 2
	s_add_u32 s12, s12, s22
	s_addc_u32 s13, s13, s23
	global_load_dword v2, v1, s[12:13]
	global_load_ubyte v3, v0, s[20:21]
	s_load_dword s17, s[0:1], 0x24
	v_add_u32_e32 v0, s16, v0
	s_waitcnt lgkmcnt(0)
	s_lshr_b32 s0, s17, 8
	s_sub_i32 s1, 0, s0
	s_and_b32 s1, s2, s1
	s_and_b32 s0, s1, s0
	s_lshl_b32 s19, s1, 8
	s_sub_i32 s12, 0, s17
	s_cmp_eq_u32 s0, 0
	s_cselect_b64 s[0:1], -1, 0
	s_and_b64 s[2:3], s[0:1], exec
	s_cselect_b32 s12, s17, s12
	s_add_i32 s12, s12, s19
	s_mov_b64 s[2:3], -1
	s_cmp_gt_u32 s18, s12
	s_cbranch_scc1 .LBB1925_9
; %bb.2:
	s_and_b64 vcc, exec, s[6:7]
	s_cbranch_vccz .LBB1925_6
; %bb.3:
	v_cmp_gt_u32_e32 vcc, s18, v0
	s_and_saveexec_b64 s[2:3], vcc
	s_cbranch_execz .LBB1925_5
; %bb.4:
	v_mov_b32_e32 v1, 0
	v_lshl_add_u64 v[4:5], v[0:1], 2, s[14:15]
	s_waitcnt vmcnt(0)
	global_store_byte v0, v3, s[10:11]
	global_store_dword v[4:5], v2, off
.LBB1925_5:
	s_or_b64 exec, exec, s[2:3]
	s_mov_b64 s[2:3], 0
.LBB1925_6:
	s_andn2_b64 vcc, exec, s[2:3]
	s_cbranch_vccnz .LBB1925_8
; %bb.7:
	v_mov_b32_e32 v1, 0
	v_lshl_add_u64 v[4:5], v[0:1], 2, s[14:15]
	s_waitcnt vmcnt(0)
	global_store_byte v0, v3, s[10:11]
	global_store_dword v[4:5], v2, off
.LBB1925_8:
	s_mov_b64 s[2:3], 0
.LBB1925_9:
	s_andn2_b64 vcc, exec, s[2:3]
	s_cbranch_vccnz .LBB1925_24
; %bb.10:
	s_min_u32 s13, s12, s18
	s_add_i32 s2, s13, s17
	s_min_u32 s16, s2, s18
	s_min_u32 s2, s19, s13
	s_add_i32 s19, s19, s13
	v_subrev_u32_e32 v0, s19, v0
	v_add_u32_e32 v0, s2, v0
	s_andn2_b64 vcc, exec, s[6:7]
	s_mov_b64 s[2:3], -1
	s_cbranch_vccnz .LBB1925_18
; %bb.11:
	s_and_saveexec_b64 s[2:3], s[4:5]
	s_cbranch_execz .LBB1925_17
; %bb.12:
	s_cmp_ge_u32 s12, s16
	v_mov_b32_e32 v1, s13
	s_cbranch_scc1 .LBB1925_16
; %bb.13:
	s_mov_b64 s[4:5], 0
	v_mov_b32_e32 v4, s16
	v_mov_b32_e32 v1, s13
.LBB1925_14:                            ; =>This Inner Loop Header: Depth=1
	v_add_u32_e32 v5, v1, v4
	v_lshrrev_b32_e32 v5, 1, v5
	global_load_ubyte v6, v5, s[8:9]
	v_add_u32_e32 v7, 1, v5
	s_waitcnt vmcnt(0)
	v_cmp_gt_u16_sdwa s[6:7], v3, v6 src0_sel:BYTE_0 src1_sel:DWORD
	s_nop 1
	v_cndmask_b32_e64 v8, 0, 1, s[6:7]
	v_cmp_le_u16_sdwa s[6:7], v6, v3 src0_sel:DWORD src1_sel:BYTE_0
	s_nop 1
	v_cndmask_b32_e64 v6, 0, 1, s[6:7]
	v_cndmask_b32_e64 v6, v6, v8, s[0:1]
	v_and_b32_e32 v6, 1, v6
	v_cmp_eq_u32_e32 vcc, 1, v6
	s_nop 1
	v_cndmask_b32_e32 v4, v5, v4, vcc
	v_cndmask_b32_e32 v1, v1, v7, vcc
	v_cmp_ge_u32_e32 vcc, v1, v4
	s_or_b64 s[4:5], vcc, s[4:5]
	s_andn2_b64 exec, exec, s[4:5]
	s_cbranch_execnz .LBB1925_14
; %bb.15:
	s_or_b64 exec, exec, s[4:5]
.LBB1925_16:
	v_add_u32_e32 v4, v1, v0
	v_mov_b32_e32 v5, 0
	s_waitcnt vmcnt(0)
	global_store_byte v4, v3, s[10:11]
	v_lshl_add_u64 v[4:5], v[4:5], 2, s[14:15]
	global_store_dword v[4:5], v2, off
.LBB1925_17:
	s_or_b64 exec, exec, s[2:3]
	s_mov_b64 s[2:3], 0
.LBB1925_18:
	s_andn2_b64 vcc, exec, s[2:3]
	s_cbranch_vccnz .LBB1925_24
; %bb.19:
	s_cmp_ge_u32 s12, s16
	v_mov_b32_e32 v1, s13
	s_cbranch_scc1 .LBB1925_23
; %bb.20:
	s_mov_b64 s[2:3], 0
	v_mov_b32_e32 v4, s16
	v_mov_b32_e32 v1, s13
.LBB1925_21:                            ; =>This Inner Loop Header: Depth=1
	v_add_u32_e32 v5, v1, v4
	v_lshrrev_b32_e32 v5, 1, v5
	global_load_ubyte v6, v5, s[8:9]
	v_add_u32_e32 v7, 1, v5
	s_waitcnt vmcnt(0)
	v_cmp_gt_u16_sdwa s[4:5], v3, v6 src0_sel:BYTE_0 src1_sel:DWORD
	s_nop 1
	v_cndmask_b32_e64 v8, 0, 1, s[4:5]
	v_cmp_le_u16_sdwa s[4:5], v6, v3 src0_sel:DWORD src1_sel:BYTE_0
	s_nop 1
	v_cndmask_b32_e64 v6, 0, 1, s[4:5]
	v_cndmask_b32_e64 v6, v6, v8, s[0:1]
	v_and_b32_e32 v6, 1, v6
	v_cmp_eq_u32_e32 vcc, 1, v6
	s_nop 1
	v_cndmask_b32_e32 v4, v5, v4, vcc
	v_cndmask_b32_e32 v1, v1, v7, vcc
	v_cmp_ge_u32_e32 vcc, v1, v4
	s_or_b64 s[2:3], vcc, s[2:3]
	s_andn2_b64 exec, exec, s[2:3]
	s_cbranch_execnz .LBB1925_21
; %bb.22:
	s_or_b64 exec, exec, s[2:3]
.LBB1925_23:
	v_add_u32_e32 v0, v1, v0
	v_mov_b32_e32 v1, 0
	s_waitcnt vmcnt(0)
	global_store_byte v0, v3, s[10:11]
	v_lshl_add_u64 v[0:1], v[0:1], 2, s[14:15]
	global_store_dword v[0:1], v2, off
.LBB1925_24:
	s_endpgm
	.section	.rodata,"a",@progbits
	.p2align	6, 0x0
	.amdhsa_kernel _ZN7rocprim17ROCPRIM_400000_NS6detail17trampoline_kernelINS0_14default_configENS1_38merge_sort_block_merge_config_selectorIbiEEZZNS1_27merge_sort_block_merge_implIS3_N6thrust23THRUST_200600_302600_NS6detail15normal_iteratorINS8_10device_ptrIbEEEENSA_INSB_IiEEEEjNS1_19radix_merge_compareILb0ELb0EbNS0_19identity_decomposerEEEEE10hipError_tT0_T1_T2_jT3_P12ihipStream_tbPNSt15iterator_traitsISK_E10value_typeEPNSQ_ISL_E10value_typeEPSM_NS1_7vsmem_tEENKUlT_SK_SL_SM_E_clIPbSD_PiSF_EESJ_SZ_SK_SL_SM_EUlSZ_E1_NS1_11comp_targetILNS1_3genE0ELNS1_11target_archE4294967295ELNS1_3gpuE0ELNS1_3repE0EEENS1_36merge_oddeven_config_static_selectorELNS0_4arch9wavefront6targetE1EEEvSL_
		.amdhsa_group_segment_fixed_size 0
		.amdhsa_private_segment_fixed_size 0
		.amdhsa_kernarg_size 48
		.amdhsa_user_sgpr_count 2
		.amdhsa_user_sgpr_dispatch_ptr 0
		.amdhsa_user_sgpr_queue_ptr 0
		.amdhsa_user_sgpr_kernarg_segment_ptr 1
		.amdhsa_user_sgpr_dispatch_id 0
		.amdhsa_user_sgpr_kernarg_preload_length 0
		.amdhsa_user_sgpr_kernarg_preload_offset 0
		.amdhsa_user_sgpr_private_segment_size 0
		.amdhsa_uses_dynamic_stack 0
		.amdhsa_enable_private_segment 0
		.amdhsa_system_sgpr_workgroup_id_x 1
		.amdhsa_system_sgpr_workgroup_id_y 0
		.amdhsa_system_sgpr_workgroup_id_z 0
		.amdhsa_system_sgpr_workgroup_info 0
		.amdhsa_system_vgpr_workitem_id 0
		.amdhsa_next_free_vgpr 9
		.amdhsa_next_free_sgpr 24
		.amdhsa_accum_offset 12
		.amdhsa_reserve_vcc 1
		.amdhsa_float_round_mode_32 0
		.amdhsa_float_round_mode_16_64 0
		.amdhsa_float_denorm_mode_32 3
		.amdhsa_float_denorm_mode_16_64 3
		.amdhsa_dx10_clamp 1
		.amdhsa_ieee_mode 1
		.amdhsa_fp16_overflow 0
		.amdhsa_tg_split 0
		.amdhsa_exception_fp_ieee_invalid_op 0
		.amdhsa_exception_fp_denorm_src 0
		.amdhsa_exception_fp_ieee_div_zero 0
		.amdhsa_exception_fp_ieee_overflow 0
		.amdhsa_exception_fp_ieee_underflow 0
		.amdhsa_exception_fp_ieee_inexact 0
		.amdhsa_exception_int_div_zero 0
	.end_amdhsa_kernel
	.section	.text._ZN7rocprim17ROCPRIM_400000_NS6detail17trampoline_kernelINS0_14default_configENS1_38merge_sort_block_merge_config_selectorIbiEEZZNS1_27merge_sort_block_merge_implIS3_N6thrust23THRUST_200600_302600_NS6detail15normal_iteratorINS8_10device_ptrIbEEEENSA_INSB_IiEEEEjNS1_19radix_merge_compareILb0ELb0EbNS0_19identity_decomposerEEEEE10hipError_tT0_T1_T2_jT3_P12ihipStream_tbPNSt15iterator_traitsISK_E10value_typeEPNSQ_ISL_E10value_typeEPSM_NS1_7vsmem_tEENKUlT_SK_SL_SM_E_clIPbSD_PiSF_EESJ_SZ_SK_SL_SM_EUlSZ_E1_NS1_11comp_targetILNS1_3genE0ELNS1_11target_archE4294967295ELNS1_3gpuE0ELNS1_3repE0EEENS1_36merge_oddeven_config_static_selectorELNS0_4arch9wavefront6targetE1EEEvSL_,"axG",@progbits,_ZN7rocprim17ROCPRIM_400000_NS6detail17trampoline_kernelINS0_14default_configENS1_38merge_sort_block_merge_config_selectorIbiEEZZNS1_27merge_sort_block_merge_implIS3_N6thrust23THRUST_200600_302600_NS6detail15normal_iteratorINS8_10device_ptrIbEEEENSA_INSB_IiEEEEjNS1_19radix_merge_compareILb0ELb0EbNS0_19identity_decomposerEEEEE10hipError_tT0_T1_T2_jT3_P12ihipStream_tbPNSt15iterator_traitsISK_E10value_typeEPNSQ_ISL_E10value_typeEPSM_NS1_7vsmem_tEENKUlT_SK_SL_SM_E_clIPbSD_PiSF_EESJ_SZ_SK_SL_SM_EUlSZ_E1_NS1_11comp_targetILNS1_3genE0ELNS1_11target_archE4294967295ELNS1_3gpuE0ELNS1_3repE0EEENS1_36merge_oddeven_config_static_selectorELNS0_4arch9wavefront6targetE1EEEvSL_,comdat
.Lfunc_end1925:
	.size	_ZN7rocprim17ROCPRIM_400000_NS6detail17trampoline_kernelINS0_14default_configENS1_38merge_sort_block_merge_config_selectorIbiEEZZNS1_27merge_sort_block_merge_implIS3_N6thrust23THRUST_200600_302600_NS6detail15normal_iteratorINS8_10device_ptrIbEEEENSA_INSB_IiEEEEjNS1_19radix_merge_compareILb0ELb0EbNS0_19identity_decomposerEEEEE10hipError_tT0_T1_T2_jT3_P12ihipStream_tbPNSt15iterator_traitsISK_E10value_typeEPNSQ_ISL_E10value_typeEPSM_NS1_7vsmem_tEENKUlT_SK_SL_SM_E_clIPbSD_PiSF_EESJ_SZ_SK_SL_SM_EUlSZ_E1_NS1_11comp_targetILNS1_3genE0ELNS1_11target_archE4294967295ELNS1_3gpuE0ELNS1_3repE0EEENS1_36merge_oddeven_config_static_selectorELNS0_4arch9wavefront6targetE1EEEvSL_, .Lfunc_end1925-_ZN7rocprim17ROCPRIM_400000_NS6detail17trampoline_kernelINS0_14default_configENS1_38merge_sort_block_merge_config_selectorIbiEEZZNS1_27merge_sort_block_merge_implIS3_N6thrust23THRUST_200600_302600_NS6detail15normal_iteratorINS8_10device_ptrIbEEEENSA_INSB_IiEEEEjNS1_19radix_merge_compareILb0ELb0EbNS0_19identity_decomposerEEEEE10hipError_tT0_T1_T2_jT3_P12ihipStream_tbPNSt15iterator_traitsISK_E10value_typeEPNSQ_ISL_E10value_typeEPSM_NS1_7vsmem_tEENKUlT_SK_SL_SM_E_clIPbSD_PiSF_EESJ_SZ_SK_SL_SM_EUlSZ_E1_NS1_11comp_targetILNS1_3genE0ELNS1_11target_archE4294967295ELNS1_3gpuE0ELNS1_3repE0EEENS1_36merge_oddeven_config_static_selectorELNS0_4arch9wavefront6targetE1EEEvSL_
                                        ; -- End function
	.set _ZN7rocprim17ROCPRIM_400000_NS6detail17trampoline_kernelINS0_14default_configENS1_38merge_sort_block_merge_config_selectorIbiEEZZNS1_27merge_sort_block_merge_implIS3_N6thrust23THRUST_200600_302600_NS6detail15normal_iteratorINS8_10device_ptrIbEEEENSA_INSB_IiEEEEjNS1_19radix_merge_compareILb0ELb0EbNS0_19identity_decomposerEEEEE10hipError_tT0_T1_T2_jT3_P12ihipStream_tbPNSt15iterator_traitsISK_E10value_typeEPNSQ_ISL_E10value_typeEPSM_NS1_7vsmem_tEENKUlT_SK_SL_SM_E_clIPbSD_PiSF_EESJ_SZ_SK_SL_SM_EUlSZ_E1_NS1_11comp_targetILNS1_3genE0ELNS1_11target_archE4294967295ELNS1_3gpuE0ELNS1_3repE0EEENS1_36merge_oddeven_config_static_selectorELNS0_4arch9wavefront6targetE1EEEvSL_.num_vgpr, 9
	.set _ZN7rocprim17ROCPRIM_400000_NS6detail17trampoline_kernelINS0_14default_configENS1_38merge_sort_block_merge_config_selectorIbiEEZZNS1_27merge_sort_block_merge_implIS3_N6thrust23THRUST_200600_302600_NS6detail15normal_iteratorINS8_10device_ptrIbEEEENSA_INSB_IiEEEEjNS1_19radix_merge_compareILb0ELb0EbNS0_19identity_decomposerEEEEE10hipError_tT0_T1_T2_jT3_P12ihipStream_tbPNSt15iterator_traitsISK_E10value_typeEPNSQ_ISL_E10value_typeEPSM_NS1_7vsmem_tEENKUlT_SK_SL_SM_E_clIPbSD_PiSF_EESJ_SZ_SK_SL_SM_EUlSZ_E1_NS1_11comp_targetILNS1_3genE0ELNS1_11target_archE4294967295ELNS1_3gpuE0ELNS1_3repE0EEENS1_36merge_oddeven_config_static_selectorELNS0_4arch9wavefront6targetE1EEEvSL_.num_agpr, 0
	.set _ZN7rocprim17ROCPRIM_400000_NS6detail17trampoline_kernelINS0_14default_configENS1_38merge_sort_block_merge_config_selectorIbiEEZZNS1_27merge_sort_block_merge_implIS3_N6thrust23THRUST_200600_302600_NS6detail15normal_iteratorINS8_10device_ptrIbEEEENSA_INSB_IiEEEEjNS1_19radix_merge_compareILb0ELb0EbNS0_19identity_decomposerEEEEE10hipError_tT0_T1_T2_jT3_P12ihipStream_tbPNSt15iterator_traitsISK_E10value_typeEPNSQ_ISL_E10value_typeEPSM_NS1_7vsmem_tEENKUlT_SK_SL_SM_E_clIPbSD_PiSF_EESJ_SZ_SK_SL_SM_EUlSZ_E1_NS1_11comp_targetILNS1_3genE0ELNS1_11target_archE4294967295ELNS1_3gpuE0ELNS1_3repE0EEENS1_36merge_oddeven_config_static_selectorELNS0_4arch9wavefront6targetE1EEEvSL_.numbered_sgpr, 24
	.set _ZN7rocprim17ROCPRIM_400000_NS6detail17trampoline_kernelINS0_14default_configENS1_38merge_sort_block_merge_config_selectorIbiEEZZNS1_27merge_sort_block_merge_implIS3_N6thrust23THRUST_200600_302600_NS6detail15normal_iteratorINS8_10device_ptrIbEEEENSA_INSB_IiEEEEjNS1_19radix_merge_compareILb0ELb0EbNS0_19identity_decomposerEEEEE10hipError_tT0_T1_T2_jT3_P12ihipStream_tbPNSt15iterator_traitsISK_E10value_typeEPNSQ_ISL_E10value_typeEPSM_NS1_7vsmem_tEENKUlT_SK_SL_SM_E_clIPbSD_PiSF_EESJ_SZ_SK_SL_SM_EUlSZ_E1_NS1_11comp_targetILNS1_3genE0ELNS1_11target_archE4294967295ELNS1_3gpuE0ELNS1_3repE0EEENS1_36merge_oddeven_config_static_selectorELNS0_4arch9wavefront6targetE1EEEvSL_.num_named_barrier, 0
	.set _ZN7rocprim17ROCPRIM_400000_NS6detail17trampoline_kernelINS0_14default_configENS1_38merge_sort_block_merge_config_selectorIbiEEZZNS1_27merge_sort_block_merge_implIS3_N6thrust23THRUST_200600_302600_NS6detail15normal_iteratorINS8_10device_ptrIbEEEENSA_INSB_IiEEEEjNS1_19radix_merge_compareILb0ELb0EbNS0_19identity_decomposerEEEEE10hipError_tT0_T1_T2_jT3_P12ihipStream_tbPNSt15iterator_traitsISK_E10value_typeEPNSQ_ISL_E10value_typeEPSM_NS1_7vsmem_tEENKUlT_SK_SL_SM_E_clIPbSD_PiSF_EESJ_SZ_SK_SL_SM_EUlSZ_E1_NS1_11comp_targetILNS1_3genE0ELNS1_11target_archE4294967295ELNS1_3gpuE0ELNS1_3repE0EEENS1_36merge_oddeven_config_static_selectorELNS0_4arch9wavefront6targetE1EEEvSL_.private_seg_size, 0
	.set _ZN7rocprim17ROCPRIM_400000_NS6detail17trampoline_kernelINS0_14default_configENS1_38merge_sort_block_merge_config_selectorIbiEEZZNS1_27merge_sort_block_merge_implIS3_N6thrust23THRUST_200600_302600_NS6detail15normal_iteratorINS8_10device_ptrIbEEEENSA_INSB_IiEEEEjNS1_19radix_merge_compareILb0ELb0EbNS0_19identity_decomposerEEEEE10hipError_tT0_T1_T2_jT3_P12ihipStream_tbPNSt15iterator_traitsISK_E10value_typeEPNSQ_ISL_E10value_typeEPSM_NS1_7vsmem_tEENKUlT_SK_SL_SM_E_clIPbSD_PiSF_EESJ_SZ_SK_SL_SM_EUlSZ_E1_NS1_11comp_targetILNS1_3genE0ELNS1_11target_archE4294967295ELNS1_3gpuE0ELNS1_3repE0EEENS1_36merge_oddeven_config_static_selectorELNS0_4arch9wavefront6targetE1EEEvSL_.uses_vcc, 1
	.set _ZN7rocprim17ROCPRIM_400000_NS6detail17trampoline_kernelINS0_14default_configENS1_38merge_sort_block_merge_config_selectorIbiEEZZNS1_27merge_sort_block_merge_implIS3_N6thrust23THRUST_200600_302600_NS6detail15normal_iteratorINS8_10device_ptrIbEEEENSA_INSB_IiEEEEjNS1_19radix_merge_compareILb0ELb0EbNS0_19identity_decomposerEEEEE10hipError_tT0_T1_T2_jT3_P12ihipStream_tbPNSt15iterator_traitsISK_E10value_typeEPNSQ_ISL_E10value_typeEPSM_NS1_7vsmem_tEENKUlT_SK_SL_SM_E_clIPbSD_PiSF_EESJ_SZ_SK_SL_SM_EUlSZ_E1_NS1_11comp_targetILNS1_3genE0ELNS1_11target_archE4294967295ELNS1_3gpuE0ELNS1_3repE0EEENS1_36merge_oddeven_config_static_selectorELNS0_4arch9wavefront6targetE1EEEvSL_.uses_flat_scratch, 0
	.set _ZN7rocprim17ROCPRIM_400000_NS6detail17trampoline_kernelINS0_14default_configENS1_38merge_sort_block_merge_config_selectorIbiEEZZNS1_27merge_sort_block_merge_implIS3_N6thrust23THRUST_200600_302600_NS6detail15normal_iteratorINS8_10device_ptrIbEEEENSA_INSB_IiEEEEjNS1_19radix_merge_compareILb0ELb0EbNS0_19identity_decomposerEEEEE10hipError_tT0_T1_T2_jT3_P12ihipStream_tbPNSt15iterator_traitsISK_E10value_typeEPNSQ_ISL_E10value_typeEPSM_NS1_7vsmem_tEENKUlT_SK_SL_SM_E_clIPbSD_PiSF_EESJ_SZ_SK_SL_SM_EUlSZ_E1_NS1_11comp_targetILNS1_3genE0ELNS1_11target_archE4294967295ELNS1_3gpuE0ELNS1_3repE0EEENS1_36merge_oddeven_config_static_selectorELNS0_4arch9wavefront6targetE1EEEvSL_.has_dyn_sized_stack, 0
	.set _ZN7rocprim17ROCPRIM_400000_NS6detail17trampoline_kernelINS0_14default_configENS1_38merge_sort_block_merge_config_selectorIbiEEZZNS1_27merge_sort_block_merge_implIS3_N6thrust23THRUST_200600_302600_NS6detail15normal_iteratorINS8_10device_ptrIbEEEENSA_INSB_IiEEEEjNS1_19radix_merge_compareILb0ELb0EbNS0_19identity_decomposerEEEEE10hipError_tT0_T1_T2_jT3_P12ihipStream_tbPNSt15iterator_traitsISK_E10value_typeEPNSQ_ISL_E10value_typeEPSM_NS1_7vsmem_tEENKUlT_SK_SL_SM_E_clIPbSD_PiSF_EESJ_SZ_SK_SL_SM_EUlSZ_E1_NS1_11comp_targetILNS1_3genE0ELNS1_11target_archE4294967295ELNS1_3gpuE0ELNS1_3repE0EEENS1_36merge_oddeven_config_static_selectorELNS0_4arch9wavefront6targetE1EEEvSL_.has_recursion, 0
	.set _ZN7rocprim17ROCPRIM_400000_NS6detail17trampoline_kernelINS0_14default_configENS1_38merge_sort_block_merge_config_selectorIbiEEZZNS1_27merge_sort_block_merge_implIS3_N6thrust23THRUST_200600_302600_NS6detail15normal_iteratorINS8_10device_ptrIbEEEENSA_INSB_IiEEEEjNS1_19radix_merge_compareILb0ELb0EbNS0_19identity_decomposerEEEEE10hipError_tT0_T1_T2_jT3_P12ihipStream_tbPNSt15iterator_traitsISK_E10value_typeEPNSQ_ISL_E10value_typeEPSM_NS1_7vsmem_tEENKUlT_SK_SL_SM_E_clIPbSD_PiSF_EESJ_SZ_SK_SL_SM_EUlSZ_E1_NS1_11comp_targetILNS1_3genE0ELNS1_11target_archE4294967295ELNS1_3gpuE0ELNS1_3repE0EEENS1_36merge_oddeven_config_static_selectorELNS0_4arch9wavefront6targetE1EEEvSL_.has_indirect_call, 0
	.section	.AMDGPU.csdata,"",@progbits
; Kernel info:
; codeLenInByte = 712
; TotalNumSgprs: 30
; NumVgprs: 9
; NumAgprs: 0
; TotalNumVgprs: 9
; ScratchSize: 0
; MemoryBound: 0
; FloatMode: 240
; IeeeMode: 1
; LDSByteSize: 0 bytes/workgroup (compile time only)
; SGPRBlocks: 3
; VGPRBlocks: 1
; NumSGPRsForWavesPerEU: 30
; NumVGPRsForWavesPerEU: 9
; AccumOffset: 12
; Occupancy: 8
; WaveLimiterHint : 0
; COMPUTE_PGM_RSRC2:SCRATCH_EN: 0
; COMPUTE_PGM_RSRC2:USER_SGPR: 2
; COMPUTE_PGM_RSRC2:TRAP_HANDLER: 0
; COMPUTE_PGM_RSRC2:TGID_X_EN: 1
; COMPUTE_PGM_RSRC2:TGID_Y_EN: 0
; COMPUTE_PGM_RSRC2:TGID_Z_EN: 0
; COMPUTE_PGM_RSRC2:TIDIG_COMP_CNT: 0
; COMPUTE_PGM_RSRC3_GFX90A:ACCUM_OFFSET: 2
; COMPUTE_PGM_RSRC3_GFX90A:TG_SPLIT: 0
	.section	.text._ZN7rocprim17ROCPRIM_400000_NS6detail17trampoline_kernelINS0_14default_configENS1_38merge_sort_block_merge_config_selectorIbiEEZZNS1_27merge_sort_block_merge_implIS3_N6thrust23THRUST_200600_302600_NS6detail15normal_iteratorINS8_10device_ptrIbEEEENSA_INSB_IiEEEEjNS1_19radix_merge_compareILb0ELb0EbNS0_19identity_decomposerEEEEE10hipError_tT0_T1_T2_jT3_P12ihipStream_tbPNSt15iterator_traitsISK_E10value_typeEPNSQ_ISL_E10value_typeEPSM_NS1_7vsmem_tEENKUlT_SK_SL_SM_E_clIPbSD_PiSF_EESJ_SZ_SK_SL_SM_EUlSZ_E1_NS1_11comp_targetILNS1_3genE10ELNS1_11target_archE1201ELNS1_3gpuE5ELNS1_3repE0EEENS1_36merge_oddeven_config_static_selectorELNS0_4arch9wavefront6targetE1EEEvSL_,"axG",@progbits,_ZN7rocprim17ROCPRIM_400000_NS6detail17trampoline_kernelINS0_14default_configENS1_38merge_sort_block_merge_config_selectorIbiEEZZNS1_27merge_sort_block_merge_implIS3_N6thrust23THRUST_200600_302600_NS6detail15normal_iteratorINS8_10device_ptrIbEEEENSA_INSB_IiEEEEjNS1_19radix_merge_compareILb0ELb0EbNS0_19identity_decomposerEEEEE10hipError_tT0_T1_T2_jT3_P12ihipStream_tbPNSt15iterator_traitsISK_E10value_typeEPNSQ_ISL_E10value_typeEPSM_NS1_7vsmem_tEENKUlT_SK_SL_SM_E_clIPbSD_PiSF_EESJ_SZ_SK_SL_SM_EUlSZ_E1_NS1_11comp_targetILNS1_3genE10ELNS1_11target_archE1201ELNS1_3gpuE5ELNS1_3repE0EEENS1_36merge_oddeven_config_static_selectorELNS0_4arch9wavefront6targetE1EEEvSL_,comdat
	.protected	_ZN7rocprim17ROCPRIM_400000_NS6detail17trampoline_kernelINS0_14default_configENS1_38merge_sort_block_merge_config_selectorIbiEEZZNS1_27merge_sort_block_merge_implIS3_N6thrust23THRUST_200600_302600_NS6detail15normal_iteratorINS8_10device_ptrIbEEEENSA_INSB_IiEEEEjNS1_19radix_merge_compareILb0ELb0EbNS0_19identity_decomposerEEEEE10hipError_tT0_T1_T2_jT3_P12ihipStream_tbPNSt15iterator_traitsISK_E10value_typeEPNSQ_ISL_E10value_typeEPSM_NS1_7vsmem_tEENKUlT_SK_SL_SM_E_clIPbSD_PiSF_EESJ_SZ_SK_SL_SM_EUlSZ_E1_NS1_11comp_targetILNS1_3genE10ELNS1_11target_archE1201ELNS1_3gpuE5ELNS1_3repE0EEENS1_36merge_oddeven_config_static_selectorELNS0_4arch9wavefront6targetE1EEEvSL_ ; -- Begin function _ZN7rocprim17ROCPRIM_400000_NS6detail17trampoline_kernelINS0_14default_configENS1_38merge_sort_block_merge_config_selectorIbiEEZZNS1_27merge_sort_block_merge_implIS3_N6thrust23THRUST_200600_302600_NS6detail15normal_iteratorINS8_10device_ptrIbEEEENSA_INSB_IiEEEEjNS1_19radix_merge_compareILb0ELb0EbNS0_19identity_decomposerEEEEE10hipError_tT0_T1_T2_jT3_P12ihipStream_tbPNSt15iterator_traitsISK_E10value_typeEPNSQ_ISL_E10value_typeEPSM_NS1_7vsmem_tEENKUlT_SK_SL_SM_E_clIPbSD_PiSF_EESJ_SZ_SK_SL_SM_EUlSZ_E1_NS1_11comp_targetILNS1_3genE10ELNS1_11target_archE1201ELNS1_3gpuE5ELNS1_3repE0EEENS1_36merge_oddeven_config_static_selectorELNS0_4arch9wavefront6targetE1EEEvSL_
	.globl	_ZN7rocprim17ROCPRIM_400000_NS6detail17trampoline_kernelINS0_14default_configENS1_38merge_sort_block_merge_config_selectorIbiEEZZNS1_27merge_sort_block_merge_implIS3_N6thrust23THRUST_200600_302600_NS6detail15normal_iteratorINS8_10device_ptrIbEEEENSA_INSB_IiEEEEjNS1_19radix_merge_compareILb0ELb0EbNS0_19identity_decomposerEEEEE10hipError_tT0_T1_T2_jT3_P12ihipStream_tbPNSt15iterator_traitsISK_E10value_typeEPNSQ_ISL_E10value_typeEPSM_NS1_7vsmem_tEENKUlT_SK_SL_SM_E_clIPbSD_PiSF_EESJ_SZ_SK_SL_SM_EUlSZ_E1_NS1_11comp_targetILNS1_3genE10ELNS1_11target_archE1201ELNS1_3gpuE5ELNS1_3repE0EEENS1_36merge_oddeven_config_static_selectorELNS0_4arch9wavefront6targetE1EEEvSL_
	.p2align	8
	.type	_ZN7rocprim17ROCPRIM_400000_NS6detail17trampoline_kernelINS0_14default_configENS1_38merge_sort_block_merge_config_selectorIbiEEZZNS1_27merge_sort_block_merge_implIS3_N6thrust23THRUST_200600_302600_NS6detail15normal_iteratorINS8_10device_ptrIbEEEENSA_INSB_IiEEEEjNS1_19radix_merge_compareILb0ELb0EbNS0_19identity_decomposerEEEEE10hipError_tT0_T1_T2_jT3_P12ihipStream_tbPNSt15iterator_traitsISK_E10value_typeEPNSQ_ISL_E10value_typeEPSM_NS1_7vsmem_tEENKUlT_SK_SL_SM_E_clIPbSD_PiSF_EESJ_SZ_SK_SL_SM_EUlSZ_E1_NS1_11comp_targetILNS1_3genE10ELNS1_11target_archE1201ELNS1_3gpuE5ELNS1_3repE0EEENS1_36merge_oddeven_config_static_selectorELNS0_4arch9wavefront6targetE1EEEvSL_,@function
_ZN7rocprim17ROCPRIM_400000_NS6detail17trampoline_kernelINS0_14default_configENS1_38merge_sort_block_merge_config_selectorIbiEEZZNS1_27merge_sort_block_merge_implIS3_N6thrust23THRUST_200600_302600_NS6detail15normal_iteratorINS8_10device_ptrIbEEEENSA_INSB_IiEEEEjNS1_19radix_merge_compareILb0ELb0EbNS0_19identity_decomposerEEEEE10hipError_tT0_T1_T2_jT3_P12ihipStream_tbPNSt15iterator_traitsISK_E10value_typeEPNSQ_ISL_E10value_typeEPSM_NS1_7vsmem_tEENKUlT_SK_SL_SM_E_clIPbSD_PiSF_EESJ_SZ_SK_SL_SM_EUlSZ_E1_NS1_11comp_targetILNS1_3genE10ELNS1_11target_archE1201ELNS1_3gpuE5ELNS1_3repE0EEENS1_36merge_oddeven_config_static_selectorELNS0_4arch9wavefront6targetE1EEEvSL_: ; @_ZN7rocprim17ROCPRIM_400000_NS6detail17trampoline_kernelINS0_14default_configENS1_38merge_sort_block_merge_config_selectorIbiEEZZNS1_27merge_sort_block_merge_implIS3_N6thrust23THRUST_200600_302600_NS6detail15normal_iteratorINS8_10device_ptrIbEEEENSA_INSB_IiEEEEjNS1_19radix_merge_compareILb0ELb0EbNS0_19identity_decomposerEEEEE10hipError_tT0_T1_T2_jT3_P12ihipStream_tbPNSt15iterator_traitsISK_E10value_typeEPNSQ_ISL_E10value_typeEPSM_NS1_7vsmem_tEENKUlT_SK_SL_SM_E_clIPbSD_PiSF_EESJ_SZ_SK_SL_SM_EUlSZ_E1_NS1_11comp_targetILNS1_3genE10ELNS1_11target_archE1201ELNS1_3gpuE5ELNS1_3repE0EEENS1_36merge_oddeven_config_static_selectorELNS0_4arch9wavefront6targetE1EEEvSL_
; %bb.0:
	.section	.rodata,"a",@progbits
	.p2align	6, 0x0
	.amdhsa_kernel _ZN7rocprim17ROCPRIM_400000_NS6detail17trampoline_kernelINS0_14default_configENS1_38merge_sort_block_merge_config_selectorIbiEEZZNS1_27merge_sort_block_merge_implIS3_N6thrust23THRUST_200600_302600_NS6detail15normal_iteratorINS8_10device_ptrIbEEEENSA_INSB_IiEEEEjNS1_19radix_merge_compareILb0ELb0EbNS0_19identity_decomposerEEEEE10hipError_tT0_T1_T2_jT3_P12ihipStream_tbPNSt15iterator_traitsISK_E10value_typeEPNSQ_ISL_E10value_typeEPSM_NS1_7vsmem_tEENKUlT_SK_SL_SM_E_clIPbSD_PiSF_EESJ_SZ_SK_SL_SM_EUlSZ_E1_NS1_11comp_targetILNS1_3genE10ELNS1_11target_archE1201ELNS1_3gpuE5ELNS1_3repE0EEENS1_36merge_oddeven_config_static_selectorELNS0_4arch9wavefront6targetE1EEEvSL_
		.amdhsa_group_segment_fixed_size 0
		.amdhsa_private_segment_fixed_size 0
		.amdhsa_kernarg_size 48
		.amdhsa_user_sgpr_count 2
		.amdhsa_user_sgpr_dispatch_ptr 0
		.amdhsa_user_sgpr_queue_ptr 0
		.amdhsa_user_sgpr_kernarg_segment_ptr 1
		.amdhsa_user_sgpr_dispatch_id 0
		.amdhsa_user_sgpr_kernarg_preload_length 0
		.amdhsa_user_sgpr_kernarg_preload_offset 0
		.amdhsa_user_sgpr_private_segment_size 0
		.amdhsa_uses_dynamic_stack 0
		.amdhsa_enable_private_segment 0
		.amdhsa_system_sgpr_workgroup_id_x 1
		.amdhsa_system_sgpr_workgroup_id_y 0
		.amdhsa_system_sgpr_workgroup_id_z 0
		.amdhsa_system_sgpr_workgroup_info 0
		.amdhsa_system_vgpr_workitem_id 0
		.amdhsa_next_free_vgpr 1
		.amdhsa_next_free_sgpr 0
		.amdhsa_accum_offset 4
		.amdhsa_reserve_vcc 0
		.amdhsa_float_round_mode_32 0
		.amdhsa_float_round_mode_16_64 0
		.amdhsa_float_denorm_mode_32 3
		.amdhsa_float_denorm_mode_16_64 3
		.amdhsa_dx10_clamp 1
		.amdhsa_ieee_mode 1
		.amdhsa_fp16_overflow 0
		.amdhsa_tg_split 0
		.amdhsa_exception_fp_ieee_invalid_op 0
		.amdhsa_exception_fp_denorm_src 0
		.amdhsa_exception_fp_ieee_div_zero 0
		.amdhsa_exception_fp_ieee_overflow 0
		.amdhsa_exception_fp_ieee_underflow 0
		.amdhsa_exception_fp_ieee_inexact 0
		.amdhsa_exception_int_div_zero 0
	.end_amdhsa_kernel
	.section	.text._ZN7rocprim17ROCPRIM_400000_NS6detail17trampoline_kernelINS0_14default_configENS1_38merge_sort_block_merge_config_selectorIbiEEZZNS1_27merge_sort_block_merge_implIS3_N6thrust23THRUST_200600_302600_NS6detail15normal_iteratorINS8_10device_ptrIbEEEENSA_INSB_IiEEEEjNS1_19radix_merge_compareILb0ELb0EbNS0_19identity_decomposerEEEEE10hipError_tT0_T1_T2_jT3_P12ihipStream_tbPNSt15iterator_traitsISK_E10value_typeEPNSQ_ISL_E10value_typeEPSM_NS1_7vsmem_tEENKUlT_SK_SL_SM_E_clIPbSD_PiSF_EESJ_SZ_SK_SL_SM_EUlSZ_E1_NS1_11comp_targetILNS1_3genE10ELNS1_11target_archE1201ELNS1_3gpuE5ELNS1_3repE0EEENS1_36merge_oddeven_config_static_selectorELNS0_4arch9wavefront6targetE1EEEvSL_,"axG",@progbits,_ZN7rocprim17ROCPRIM_400000_NS6detail17trampoline_kernelINS0_14default_configENS1_38merge_sort_block_merge_config_selectorIbiEEZZNS1_27merge_sort_block_merge_implIS3_N6thrust23THRUST_200600_302600_NS6detail15normal_iteratorINS8_10device_ptrIbEEEENSA_INSB_IiEEEEjNS1_19radix_merge_compareILb0ELb0EbNS0_19identity_decomposerEEEEE10hipError_tT0_T1_T2_jT3_P12ihipStream_tbPNSt15iterator_traitsISK_E10value_typeEPNSQ_ISL_E10value_typeEPSM_NS1_7vsmem_tEENKUlT_SK_SL_SM_E_clIPbSD_PiSF_EESJ_SZ_SK_SL_SM_EUlSZ_E1_NS1_11comp_targetILNS1_3genE10ELNS1_11target_archE1201ELNS1_3gpuE5ELNS1_3repE0EEENS1_36merge_oddeven_config_static_selectorELNS0_4arch9wavefront6targetE1EEEvSL_,comdat
.Lfunc_end1926:
	.size	_ZN7rocprim17ROCPRIM_400000_NS6detail17trampoline_kernelINS0_14default_configENS1_38merge_sort_block_merge_config_selectorIbiEEZZNS1_27merge_sort_block_merge_implIS3_N6thrust23THRUST_200600_302600_NS6detail15normal_iteratorINS8_10device_ptrIbEEEENSA_INSB_IiEEEEjNS1_19radix_merge_compareILb0ELb0EbNS0_19identity_decomposerEEEEE10hipError_tT0_T1_T2_jT3_P12ihipStream_tbPNSt15iterator_traitsISK_E10value_typeEPNSQ_ISL_E10value_typeEPSM_NS1_7vsmem_tEENKUlT_SK_SL_SM_E_clIPbSD_PiSF_EESJ_SZ_SK_SL_SM_EUlSZ_E1_NS1_11comp_targetILNS1_3genE10ELNS1_11target_archE1201ELNS1_3gpuE5ELNS1_3repE0EEENS1_36merge_oddeven_config_static_selectorELNS0_4arch9wavefront6targetE1EEEvSL_, .Lfunc_end1926-_ZN7rocprim17ROCPRIM_400000_NS6detail17trampoline_kernelINS0_14default_configENS1_38merge_sort_block_merge_config_selectorIbiEEZZNS1_27merge_sort_block_merge_implIS3_N6thrust23THRUST_200600_302600_NS6detail15normal_iteratorINS8_10device_ptrIbEEEENSA_INSB_IiEEEEjNS1_19radix_merge_compareILb0ELb0EbNS0_19identity_decomposerEEEEE10hipError_tT0_T1_T2_jT3_P12ihipStream_tbPNSt15iterator_traitsISK_E10value_typeEPNSQ_ISL_E10value_typeEPSM_NS1_7vsmem_tEENKUlT_SK_SL_SM_E_clIPbSD_PiSF_EESJ_SZ_SK_SL_SM_EUlSZ_E1_NS1_11comp_targetILNS1_3genE10ELNS1_11target_archE1201ELNS1_3gpuE5ELNS1_3repE0EEENS1_36merge_oddeven_config_static_selectorELNS0_4arch9wavefront6targetE1EEEvSL_
                                        ; -- End function
	.set _ZN7rocprim17ROCPRIM_400000_NS6detail17trampoline_kernelINS0_14default_configENS1_38merge_sort_block_merge_config_selectorIbiEEZZNS1_27merge_sort_block_merge_implIS3_N6thrust23THRUST_200600_302600_NS6detail15normal_iteratorINS8_10device_ptrIbEEEENSA_INSB_IiEEEEjNS1_19radix_merge_compareILb0ELb0EbNS0_19identity_decomposerEEEEE10hipError_tT0_T1_T2_jT3_P12ihipStream_tbPNSt15iterator_traitsISK_E10value_typeEPNSQ_ISL_E10value_typeEPSM_NS1_7vsmem_tEENKUlT_SK_SL_SM_E_clIPbSD_PiSF_EESJ_SZ_SK_SL_SM_EUlSZ_E1_NS1_11comp_targetILNS1_3genE10ELNS1_11target_archE1201ELNS1_3gpuE5ELNS1_3repE0EEENS1_36merge_oddeven_config_static_selectorELNS0_4arch9wavefront6targetE1EEEvSL_.num_vgpr, 0
	.set _ZN7rocprim17ROCPRIM_400000_NS6detail17trampoline_kernelINS0_14default_configENS1_38merge_sort_block_merge_config_selectorIbiEEZZNS1_27merge_sort_block_merge_implIS3_N6thrust23THRUST_200600_302600_NS6detail15normal_iteratorINS8_10device_ptrIbEEEENSA_INSB_IiEEEEjNS1_19radix_merge_compareILb0ELb0EbNS0_19identity_decomposerEEEEE10hipError_tT0_T1_T2_jT3_P12ihipStream_tbPNSt15iterator_traitsISK_E10value_typeEPNSQ_ISL_E10value_typeEPSM_NS1_7vsmem_tEENKUlT_SK_SL_SM_E_clIPbSD_PiSF_EESJ_SZ_SK_SL_SM_EUlSZ_E1_NS1_11comp_targetILNS1_3genE10ELNS1_11target_archE1201ELNS1_3gpuE5ELNS1_3repE0EEENS1_36merge_oddeven_config_static_selectorELNS0_4arch9wavefront6targetE1EEEvSL_.num_agpr, 0
	.set _ZN7rocprim17ROCPRIM_400000_NS6detail17trampoline_kernelINS0_14default_configENS1_38merge_sort_block_merge_config_selectorIbiEEZZNS1_27merge_sort_block_merge_implIS3_N6thrust23THRUST_200600_302600_NS6detail15normal_iteratorINS8_10device_ptrIbEEEENSA_INSB_IiEEEEjNS1_19radix_merge_compareILb0ELb0EbNS0_19identity_decomposerEEEEE10hipError_tT0_T1_T2_jT3_P12ihipStream_tbPNSt15iterator_traitsISK_E10value_typeEPNSQ_ISL_E10value_typeEPSM_NS1_7vsmem_tEENKUlT_SK_SL_SM_E_clIPbSD_PiSF_EESJ_SZ_SK_SL_SM_EUlSZ_E1_NS1_11comp_targetILNS1_3genE10ELNS1_11target_archE1201ELNS1_3gpuE5ELNS1_3repE0EEENS1_36merge_oddeven_config_static_selectorELNS0_4arch9wavefront6targetE1EEEvSL_.numbered_sgpr, 0
	.set _ZN7rocprim17ROCPRIM_400000_NS6detail17trampoline_kernelINS0_14default_configENS1_38merge_sort_block_merge_config_selectorIbiEEZZNS1_27merge_sort_block_merge_implIS3_N6thrust23THRUST_200600_302600_NS6detail15normal_iteratorINS8_10device_ptrIbEEEENSA_INSB_IiEEEEjNS1_19radix_merge_compareILb0ELb0EbNS0_19identity_decomposerEEEEE10hipError_tT0_T1_T2_jT3_P12ihipStream_tbPNSt15iterator_traitsISK_E10value_typeEPNSQ_ISL_E10value_typeEPSM_NS1_7vsmem_tEENKUlT_SK_SL_SM_E_clIPbSD_PiSF_EESJ_SZ_SK_SL_SM_EUlSZ_E1_NS1_11comp_targetILNS1_3genE10ELNS1_11target_archE1201ELNS1_3gpuE5ELNS1_3repE0EEENS1_36merge_oddeven_config_static_selectorELNS0_4arch9wavefront6targetE1EEEvSL_.num_named_barrier, 0
	.set _ZN7rocprim17ROCPRIM_400000_NS6detail17trampoline_kernelINS0_14default_configENS1_38merge_sort_block_merge_config_selectorIbiEEZZNS1_27merge_sort_block_merge_implIS3_N6thrust23THRUST_200600_302600_NS6detail15normal_iteratorINS8_10device_ptrIbEEEENSA_INSB_IiEEEEjNS1_19radix_merge_compareILb0ELb0EbNS0_19identity_decomposerEEEEE10hipError_tT0_T1_T2_jT3_P12ihipStream_tbPNSt15iterator_traitsISK_E10value_typeEPNSQ_ISL_E10value_typeEPSM_NS1_7vsmem_tEENKUlT_SK_SL_SM_E_clIPbSD_PiSF_EESJ_SZ_SK_SL_SM_EUlSZ_E1_NS1_11comp_targetILNS1_3genE10ELNS1_11target_archE1201ELNS1_3gpuE5ELNS1_3repE0EEENS1_36merge_oddeven_config_static_selectorELNS0_4arch9wavefront6targetE1EEEvSL_.private_seg_size, 0
	.set _ZN7rocprim17ROCPRIM_400000_NS6detail17trampoline_kernelINS0_14default_configENS1_38merge_sort_block_merge_config_selectorIbiEEZZNS1_27merge_sort_block_merge_implIS3_N6thrust23THRUST_200600_302600_NS6detail15normal_iteratorINS8_10device_ptrIbEEEENSA_INSB_IiEEEEjNS1_19radix_merge_compareILb0ELb0EbNS0_19identity_decomposerEEEEE10hipError_tT0_T1_T2_jT3_P12ihipStream_tbPNSt15iterator_traitsISK_E10value_typeEPNSQ_ISL_E10value_typeEPSM_NS1_7vsmem_tEENKUlT_SK_SL_SM_E_clIPbSD_PiSF_EESJ_SZ_SK_SL_SM_EUlSZ_E1_NS1_11comp_targetILNS1_3genE10ELNS1_11target_archE1201ELNS1_3gpuE5ELNS1_3repE0EEENS1_36merge_oddeven_config_static_selectorELNS0_4arch9wavefront6targetE1EEEvSL_.uses_vcc, 0
	.set _ZN7rocprim17ROCPRIM_400000_NS6detail17trampoline_kernelINS0_14default_configENS1_38merge_sort_block_merge_config_selectorIbiEEZZNS1_27merge_sort_block_merge_implIS3_N6thrust23THRUST_200600_302600_NS6detail15normal_iteratorINS8_10device_ptrIbEEEENSA_INSB_IiEEEEjNS1_19radix_merge_compareILb0ELb0EbNS0_19identity_decomposerEEEEE10hipError_tT0_T1_T2_jT3_P12ihipStream_tbPNSt15iterator_traitsISK_E10value_typeEPNSQ_ISL_E10value_typeEPSM_NS1_7vsmem_tEENKUlT_SK_SL_SM_E_clIPbSD_PiSF_EESJ_SZ_SK_SL_SM_EUlSZ_E1_NS1_11comp_targetILNS1_3genE10ELNS1_11target_archE1201ELNS1_3gpuE5ELNS1_3repE0EEENS1_36merge_oddeven_config_static_selectorELNS0_4arch9wavefront6targetE1EEEvSL_.uses_flat_scratch, 0
	.set _ZN7rocprim17ROCPRIM_400000_NS6detail17trampoline_kernelINS0_14default_configENS1_38merge_sort_block_merge_config_selectorIbiEEZZNS1_27merge_sort_block_merge_implIS3_N6thrust23THRUST_200600_302600_NS6detail15normal_iteratorINS8_10device_ptrIbEEEENSA_INSB_IiEEEEjNS1_19radix_merge_compareILb0ELb0EbNS0_19identity_decomposerEEEEE10hipError_tT0_T1_T2_jT3_P12ihipStream_tbPNSt15iterator_traitsISK_E10value_typeEPNSQ_ISL_E10value_typeEPSM_NS1_7vsmem_tEENKUlT_SK_SL_SM_E_clIPbSD_PiSF_EESJ_SZ_SK_SL_SM_EUlSZ_E1_NS1_11comp_targetILNS1_3genE10ELNS1_11target_archE1201ELNS1_3gpuE5ELNS1_3repE0EEENS1_36merge_oddeven_config_static_selectorELNS0_4arch9wavefront6targetE1EEEvSL_.has_dyn_sized_stack, 0
	.set _ZN7rocprim17ROCPRIM_400000_NS6detail17trampoline_kernelINS0_14default_configENS1_38merge_sort_block_merge_config_selectorIbiEEZZNS1_27merge_sort_block_merge_implIS3_N6thrust23THRUST_200600_302600_NS6detail15normal_iteratorINS8_10device_ptrIbEEEENSA_INSB_IiEEEEjNS1_19radix_merge_compareILb0ELb0EbNS0_19identity_decomposerEEEEE10hipError_tT0_T1_T2_jT3_P12ihipStream_tbPNSt15iterator_traitsISK_E10value_typeEPNSQ_ISL_E10value_typeEPSM_NS1_7vsmem_tEENKUlT_SK_SL_SM_E_clIPbSD_PiSF_EESJ_SZ_SK_SL_SM_EUlSZ_E1_NS1_11comp_targetILNS1_3genE10ELNS1_11target_archE1201ELNS1_3gpuE5ELNS1_3repE0EEENS1_36merge_oddeven_config_static_selectorELNS0_4arch9wavefront6targetE1EEEvSL_.has_recursion, 0
	.set _ZN7rocprim17ROCPRIM_400000_NS6detail17trampoline_kernelINS0_14default_configENS1_38merge_sort_block_merge_config_selectorIbiEEZZNS1_27merge_sort_block_merge_implIS3_N6thrust23THRUST_200600_302600_NS6detail15normal_iteratorINS8_10device_ptrIbEEEENSA_INSB_IiEEEEjNS1_19radix_merge_compareILb0ELb0EbNS0_19identity_decomposerEEEEE10hipError_tT0_T1_T2_jT3_P12ihipStream_tbPNSt15iterator_traitsISK_E10value_typeEPNSQ_ISL_E10value_typeEPSM_NS1_7vsmem_tEENKUlT_SK_SL_SM_E_clIPbSD_PiSF_EESJ_SZ_SK_SL_SM_EUlSZ_E1_NS1_11comp_targetILNS1_3genE10ELNS1_11target_archE1201ELNS1_3gpuE5ELNS1_3repE0EEENS1_36merge_oddeven_config_static_selectorELNS0_4arch9wavefront6targetE1EEEvSL_.has_indirect_call, 0
	.section	.AMDGPU.csdata,"",@progbits
; Kernel info:
; codeLenInByte = 0
; TotalNumSgprs: 6
; NumVgprs: 0
; NumAgprs: 0
; TotalNumVgprs: 0
; ScratchSize: 0
; MemoryBound: 0
; FloatMode: 240
; IeeeMode: 1
; LDSByteSize: 0 bytes/workgroup (compile time only)
; SGPRBlocks: 0
; VGPRBlocks: 0
; NumSGPRsForWavesPerEU: 6
; NumVGPRsForWavesPerEU: 1
; AccumOffset: 4
; Occupancy: 8
; WaveLimiterHint : 0
; COMPUTE_PGM_RSRC2:SCRATCH_EN: 0
; COMPUTE_PGM_RSRC2:USER_SGPR: 2
; COMPUTE_PGM_RSRC2:TRAP_HANDLER: 0
; COMPUTE_PGM_RSRC2:TGID_X_EN: 1
; COMPUTE_PGM_RSRC2:TGID_Y_EN: 0
; COMPUTE_PGM_RSRC2:TGID_Z_EN: 0
; COMPUTE_PGM_RSRC2:TIDIG_COMP_CNT: 0
; COMPUTE_PGM_RSRC3_GFX90A:ACCUM_OFFSET: 0
; COMPUTE_PGM_RSRC3_GFX90A:TG_SPLIT: 0
	.section	.text._ZN7rocprim17ROCPRIM_400000_NS6detail17trampoline_kernelINS0_14default_configENS1_38merge_sort_block_merge_config_selectorIbiEEZZNS1_27merge_sort_block_merge_implIS3_N6thrust23THRUST_200600_302600_NS6detail15normal_iteratorINS8_10device_ptrIbEEEENSA_INSB_IiEEEEjNS1_19radix_merge_compareILb0ELb0EbNS0_19identity_decomposerEEEEE10hipError_tT0_T1_T2_jT3_P12ihipStream_tbPNSt15iterator_traitsISK_E10value_typeEPNSQ_ISL_E10value_typeEPSM_NS1_7vsmem_tEENKUlT_SK_SL_SM_E_clIPbSD_PiSF_EESJ_SZ_SK_SL_SM_EUlSZ_E1_NS1_11comp_targetILNS1_3genE5ELNS1_11target_archE942ELNS1_3gpuE9ELNS1_3repE0EEENS1_36merge_oddeven_config_static_selectorELNS0_4arch9wavefront6targetE1EEEvSL_,"axG",@progbits,_ZN7rocprim17ROCPRIM_400000_NS6detail17trampoline_kernelINS0_14default_configENS1_38merge_sort_block_merge_config_selectorIbiEEZZNS1_27merge_sort_block_merge_implIS3_N6thrust23THRUST_200600_302600_NS6detail15normal_iteratorINS8_10device_ptrIbEEEENSA_INSB_IiEEEEjNS1_19radix_merge_compareILb0ELb0EbNS0_19identity_decomposerEEEEE10hipError_tT0_T1_T2_jT3_P12ihipStream_tbPNSt15iterator_traitsISK_E10value_typeEPNSQ_ISL_E10value_typeEPSM_NS1_7vsmem_tEENKUlT_SK_SL_SM_E_clIPbSD_PiSF_EESJ_SZ_SK_SL_SM_EUlSZ_E1_NS1_11comp_targetILNS1_3genE5ELNS1_11target_archE942ELNS1_3gpuE9ELNS1_3repE0EEENS1_36merge_oddeven_config_static_selectorELNS0_4arch9wavefront6targetE1EEEvSL_,comdat
	.protected	_ZN7rocprim17ROCPRIM_400000_NS6detail17trampoline_kernelINS0_14default_configENS1_38merge_sort_block_merge_config_selectorIbiEEZZNS1_27merge_sort_block_merge_implIS3_N6thrust23THRUST_200600_302600_NS6detail15normal_iteratorINS8_10device_ptrIbEEEENSA_INSB_IiEEEEjNS1_19radix_merge_compareILb0ELb0EbNS0_19identity_decomposerEEEEE10hipError_tT0_T1_T2_jT3_P12ihipStream_tbPNSt15iterator_traitsISK_E10value_typeEPNSQ_ISL_E10value_typeEPSM_NS1_7vsmem_tEENKUlT_SK_SL_SM_E_clIPbSD_PiSF_EESJ_SZ_SK_SL_SM_EUlSZ_E1_NS1_11comp_targetILNS1_3genE5ELNS1_11target_archE942ELNS1_3gpuE9ELNS1_3repE0EEENS1_36merge_oddeven_config_static_selectorELNS0_4arch9wavefront6targetE1EEEvSL_ ; -- Begin function _ZN7rocprim17ROCPRIM_400000_NS6detail17trampoline_kernelINS0_14default_configENS1_38merge_sort_block_merge_config_selectorIbiEEZZNS1_27merge_sort_block_merge_implIS3_N6thrust23THRUST_200600_302600_NS6detail15normal_iteratorINS8_10device_ptrIbEEEENSA_INSB_IiEEEEjNS1_19radix_merge_compareILb0ELb0EbNS0_19identity_decomposerEEEEE10hipError_tT0_T1_T2_jT3_P12ihipStream_tbPNSt15iterator_traitsISK_E10value_typeEPNSQ_ISL_E10value_typeEPSM_NS1_7vsmem_tEENKUlT_SK_SL_SM_E_clIPbSD_PiSF_EESJ_SZ_SK_SL_SM_EUlSZ_E1_NS1_11comp_targetILNS1_3genE5ELNS1_11target_archE942ELNS1_3gpuE9ELNS1_3repE0EEENS1_36merge_oddeven_config_static_selectorELNS0_4arch9wavefront6targetE1EEEvSL_
	.globl	_ZN7rocprim17ROCPRIM_400000_NS6detail17trampoline_kernelINS0_14default_configENS1_38merge_sort_block_merge_config_selectorIbiEEZZNS1_27merge_sort_block_merge_implIS3_N6thrust23THRUST_200600_302600_NS6detail15normal_iteratorINS8_10device_ptrIbEEEENSA_INSB_IiEEEEjNS1_19radix_merge_compareILb0ELb0EbNS0_19identity_decomposerEEEEE10hipError_tT0_T1_T2_jT3_P12ihipStream_tbPNSt15iterator_traitsISK_E10value_typeEPNSQ_ISL_E10value_typeEPSM_NS1_7vsmem_tEENKUlT_SK_SL_SM_E_clIPbSD_PiSF_EESJ_SZ_SK_SL_SM_EUlSZ_E1_NS1_11comp_targetILNS1_3genE5ELNS1_11target_archE942ELNS1_3gpuE9ELNS1_3repE0EEENS1_36merge_oddeven_config_static_selectorELNS0_4arch9wavefront6targetE1EEEvSL_
	.p2align	8
	.type	_ZN7rocprim17ROCPRIM_400000_NS6detail17trampoline_kernelINS0_14default_configENS1_38merge_sort_block_merge_config_selectorIbiEEZZNS1_27merge_sort_block_merge_implIS3_N6thrust23THRUST_200600_302600_NS6detail15normal_iteratorINS8_10device_ptrIbEEEENSA_INSB_IiEEEEjNS1_19radix_merge_compareILb0ELb0EbNS0_19identity_decomposerEEEEE10hipError_tT0_T1_T2_jT3_P12ihipStream_tbPNSt15iterator_traitsISK_E10value_typeEPNSQ_ISL_E10value_typeEPSM_NS1_7vsmem_tEENKUlT_SK_SL_SM_E_clIPbSD_PiSF_EESJ_SZ_SK_SL_SM_EUlSZ_E1_NS1_11comp_targetILNS1_3genE5ELNS1_11target_archE942ELNS1_3gpuE9ELNS1_3repE0EEENS1_36merge_oddeven_config_static_selectorELNS0_4arch9wavefront6targetE1EEEvSL_,@function
_ZN7rocprim17ROCPRIM_400000_NS6detail17trampoline_kernelINS0_14default_configENS1_38merge_sort_block_merge_config_selectorIbiEEZZNS1_27merge_sort_block_merge_implIS3_N6thrust23THRUST_200600_302600_NS6detail15normal_iteratorINS8_10device_ptrIbEEEENSA_INSB_IiEEEEjNS1_19radix_merge_compareILb0ELb0EbNS0_19identity_decomposerEEEEE10hipError_tT0_T1_T2_jT3_P12ihipStream_tbPNSt15iterator_traitsISK_E10value_typeEPNSQ_ISL_E10value_typeEPSM_NS1_7vsmem_tEENKUlT_SK_SL_SM_E_clIPbSD_PiSF_EESJ_SZ_SK_SL_SM_EUlSZ_E1_NS1_11comp_targetILNS1_3genE5ELNS1_11target_archE942ELNS1_3gpuE9ELNS1_3repE0EEENS1_36merge_oddeven_config_static_selectorELNS0_4arch9wavefront6targetE1EEEvSL_: ; @_ZN7rocprim17ROCPRIM_400000_NS6detail17trampoline_kernelINS0_14default_configENS1_38merge_sort_block_merge_config_selectorIbiEEZZNS1_27merge_sort_block_merge_implIS3_N6thrust23THRUST_200600_302600_NS6detail15normal_iteratorINS8_10device_ptrIbEEEENSA_INSB_IiEEEEjNS1_19radix_merge_compareILb0ELb0EbNS0_19identity_decomposerEEEEE10hipError_tT0_T1_T2_jT3_P12ihipStream_tbPNSt15iterator_traitsISK_E10value_typeEPNSQ_ISL_E10value_typeEPSM_NS1_7vsmem_tEENKUlT_SK_SL_SM_E_clIPbSD_PiSF_EESJ_SZ_SK_SL_SM_EUlSZ_E1_NS1_11comp_targetILNS1_3genE5ELNS1_11target_archE942ELNS1_3gpuE9ELNS1_3repE0EEENS1_36merge_oddeven_config_static_selectorELNS0_4arch9wavefront6targetE1EEEvSL_
; %bb.0:
	.section	.rodata,"a",@progbits
	.p2align	6, 0x0
	.amdhsa_kernel _ZN7rocprim17ROCPRIM_400000_NS6detail17trampoline_kernelINS0_14default_configENS1_38merge_sort_block_merge_config_selectorIbiEEZZNS1_27merge_sort_block_merge_implIS3_N6thrust23THRUST_200600_302600_NS6detail15normal_iteratorINS8_10device_ptrIbEEEENSA_INSB_IiEEEEjNS1_19radix_merge_compareILb0ELb0EbNS0_19identity_decomposerEEEEE10hipError_tT0_T1_T2_jT3_P12ihipStream_tbPNSt15iterator_traitsISK_E10value_typeEPNSQ_ISL_E10value_typeEPSM_NS1_7vsmem_tEENKUlT_SK_SL_SM_E_clIPbSD_PiSF_EESJ_SZ_SK_SL_SM_EUlSZ_E1_NS1_11comp_targetILNS1_3genE5ELNS1_11target_archE942ELNS1_3gpuE9ELNS1_3repE0EEENS1_36merge_oddeven_config_static_selectorELNS0_4arch9wavefront6targetE1EEEvSL_
		.amdhsa_group_segment_fixed_size 0
		.amdhsa_private_segment_fixed_size 0
		.amdhsa_kernarg_size 48
		.amdhsa_user_sgpr_count 2
		.amdhsa_user_sgpr_dispatch_ptr 0
		.amdhsa_user_sgpr_queue_ptr 0
		.amdhsa_user_sgpr_kernarg_segment_ptr 1
		.amdhsa_user_sgpr_dispatch_id 0
		.amdhsa_user_sgpr_kernarg_preload_length 0
		.amdhsa_user_sgpr_kernarg_preload_offset 0
		.amdhsa_user_sgpr_private_segment_size 0
		.amdhsa_uses_dynamic_stack 0
		.amdhsa_enable_private_segment 0
		.amdhsa_system_sgpr_workgroup_id_x 1
		.amdhsa_system_sgpr_workgroup_id_y 0
		.amdhsa_system_sgpr_workgroup_id_z 0
		.amdhsa_system_sgpr_workgroup_info 0
		.amdhsa_system_vgpr_workitem_id 0
		.amdhsa_next_free_vgpr 1
		.amdhsa_next_free_sgpr 0
		.amdhsa_accum_offset 4
		.amdhsa_reserve_vcc 0
		.amdhsa_float_round_mode_32 0
		.amdhsa_float_round_mode_16_64 0
		.amdhsa_float_denorm_mode_32 3
		.amdhsa_float_denorm_mode_16_64 3
		.amdhsa_dx10_clamp 1
		.amdhsa_ieee_mode 1
		.amdhsa_fp16_overflow 0
		.amdhsa_tg_split 0
		.amdhsa_exception_fp_ieee_invalid_op 0
		.amdhsa_exception_fp_denorm_src 0
		.amdhsa_exception_fp_ieee_div_zero 0
		.amdhsa_exception_fp_ieee_overflow 0
		.amdhsa_exception_fp_ieee_underflow 0
		.amdhsa_exception_fp_ieee_inexact 0
		.amdhsa_exception_int_div_zero 0
	.end_amdhsa_kernel
	.section	.text._ZN7rocprim17ROCPRIM_400000_NS6detail17trampoline_kernelINS0_14default_configENS1_38merge_sort_block_merge_config_selectorIbiEEZZNS1_27merge_sort_block_merge_implIS3_N6thrust23THRUST_200600_302600_NS6detail15normal_iteratorINS8_10device_ptrIbEEEENSA_INSB_IiEEEEjNS1_19radix_merge_compareILb0ELb0EbNS0_19identity_decomposerEEEEE10hipError_tT0_T1_T2_jT3_P12ihipStream_tbPNSt15iterator_traitsISK_E10value_typeEPNSQ_ISL_E10value_typeEPSM_NS1_7vsmem_tEENKUlT_SK_SL_SM_E_clIPbSD_PiSF_EESJ_SZ_SK_SL_SM_EUlSZ_E1_NS1_11comp_targetILNS1_3genE5ELNS1_11target_archE942ELNS1_3gpuE9ELNS1_3repE0EEENS1_36merge_oddeven_config_static_selectorELNS0_4arch9wavefront6targetE1EEEvSL_,"axG",@progbits,_ZN7rocprim17ROCPRIM_400000_NS6detail17trampoline_kernelINS0_14default_configENS1_38merge_sort_block_merge_config_selectorIbiEEZZNS1_27merge_sort_block_merge_implIS3_N6thrust23THRUST_200600_302600_NS6detail15normal_iteratorINS8_10device_ptrIbEEEENSA_INSB_IiEEEEjNS1_19radix_merge_compareILb0ELb0EbNS0_19identity_decomposerEEEEE10hipError_tT0_T1_T2_jT3_P12ihipStream_tbPNSt15iterator_traitsISK_E10value_typeEPNSQ_ISL_E10value_typeEPSM_NS1_7vsmem_tEENKUlT_SK_SL_SM_E_clIPbSD_PiSF_EESJ_SZ_SK_SL_SM_EUlSZ_E1_NS1_11comp_targetILNS1_3genE5ELNS1_11target_archE942ELNS1_3gpuE9ELNS1_3repE0EEENS1_36merge_oddeven_config_static_selectorELNS0_4arch9wavefront6targetE1EEEvSL_,comdat
.Lfunc_end1927:
	.size	_ZN7rocprim17ROCPRIM_400000_NS6detail17trampoline_kernelINS0_14default_configENS1_38merge_sort_block_merge_config_selectorIbiEEZZNS1_27merge_sort_block_merge_implIS3_N6thrust23THRUST_200600_302600_NS6detail15normal_iteratorINS8_10device_ptrIbEEEENSA_INSB_IiEEEEjNS1_19radix_merge_compareILb0ELb0EbNS0_19identity_decomposerEEEEE10hipError_tT0_T1_T2_jT3_P12ihipStream_tbPNSt15iterator_traitsISK_E10value_typeEPNSQ_ISL_E10value_typeEPSM_NS1_7vsmem_tEENKUlT_SK_SL_SM_E_clIPbSD_PiSF_EESJ_SZ_SK_SL_SM_EUlSZ_E1_NS1_11comp_targetILNS1_3genE5ELNS1_11target_archE942ELNS1_3gpuE9ELNS1_3repE0EEENS1_36merge_oddeven_config_static_selectorELNS0_4arch9wavefront6targetE1EEEvSL_, .Lfunc_end1927-_ZN7rocprim17ROCPRIM_400000_NS6detail17trampoline_kernelINS0_14default_configENS1_38merge_sort_block_merge_config_selectorIbiEEZZNS1_27merge_sort_block_merge_implIS3_N6thrust23THRUST_200600_302600_NS6detail15normal_iteratorINS8_10device_ptrIbEEEENSA_INSB_IiEEEEjNS1_19radix_merge_compareILb0ELb0EbNS0_19identity_decomposerEEEEE10hipError_tT0_T1_T2_jT3_P12ihipStream_tbPNSt15iterator_traitsISK_E10value_typeEPNSQ_ISL_E10value_typeEPSM_NS1_7vsmem_tEENKUlT_SK_SL_SM_E_clIPbSD_PiSF_EESJ_SZ_SK_SL_SM_EUlSZ_E1_NS1_11comp_targetILNS1_3genE5ELNS1_11target_archE942ELNS1_3gpuE9ELNS1_3repE0EEENS1_36merge_oddeven_config_static_selectorELNS0_4arch9wavefront6targetE1EEEvSL_
                                        ; -- End function
	.set _ZN7rocprim17ROCPRIM_400000_NS6detail17trampoline_kernelINS0_14default_configENS1_38merge_sort_block_merge_config_selectorIbiEEZZNS1_27merge_sort_block_merge_implIS3_N6thrust23THRUST_200600_302600_NS6detail15normal_iteratorINS8_10device_ptrIbEEEENSA_INSB_IiEEEEjNS1_19radix_merge_compareILb0ELb0EbNS0_19identity_decomposerEEEEE10hipError_tT0_T1_T2_jT3_P12ihipStream_tbPNSt15iterator_traitsISK_E10value_typeEPNSQ_ISL_E10value_typeEPSM_NS1_7vsmem_tEENKUlT_SK_SL_SM_E_clIPbSD_PiSF_EESJ_SZ_SK_SL_SM_EUlSZ_E1_NS1_11comp_targetILNS1_3genE5ELNS1_11target_archE942ELNS1_3gpuE9ELNS1_3repE0EEENS1_36merge_oddeven_config_static_selectorELNS0_4arch9wavefront6targetE1EEEvSL_.num_vgpr, 0
	.set _ZN7rocprim17ROCPRIM_400000_NS6detail17trampoline_kernelINS0_14default_configENS1_38merge_sort_block_merge_config_selectorIbiEEZZNS1_27merge_sort_block_merge_implIS3_N6thrust23THRUST_200600_302600_NS6detail15normal_iteratorINS8_10device_ptrIbEEEENSA_INSB_IiEEEEjNS1_19radix_merge_compareILb0ELb0EbNS0_19identity_decomposerEEEEE10hipError_tT0_T1_T2_jT3_P12ihipStream_tbPNSt15iterator_traitsISK_E10value_typeEPNSQ_ISL_E10value_typeEPSM_NS1_7vsmem_tEENKUlT_SK_SL_SM_E_clIPbSD_PiSF_EESJ_SZ_SK_SL_SM_EUlSZ_E1_NS1_11comp_targetILNS1_3genE5ELNS1_11target_archE942ELNS1_3gpuE9ELNS1_3repE0EEENS1_36merge_oddeven_config_static_selectorELNS0_4arch9wavefront6targetE1EEEvSL_.num_agpr, 0
	.set _ZN7rocprim17ROCPRIM_400000_NS6detail17trampoline_kernelINS0_14default_configENS1_38merge_sort_block_merge_config_selectorIbiEEZZNS1_27merge_sort_block_merge_implIS3_N6thrust23THRUST_200600_302600_NS6detail15normal_iteratorINS8_10device_ptrIbEEEENSA_INSB_IiEEEEjNS1_19radix_merge_compareILb0ELb0EbNS0_19identity_decomposerEEEEE10hipError_tT0_T1_T2_jT3_P12ihipStream_tbPNSt15iterator_traitsISK_E10value_typeEPNSQ_ISL_E10value_typeEPSM_NS1_7vsmem_tEENKUlT_SK_SL_SM_E_clIPbSD_PiSF_EESJ_SZ_SK_SL_SM_EUlSZ_E1_NS1_11comp_targetILNS1_3genE5ELNS1_11target_archE942ELNS1_3gpuE9ELNS1_3repE0EEENS1_36merge_oddeven_config_static_selectorELNS0_4arch9wavefront6targetE1EEEvSL_.numbered_sgpr, 0
	.set _ZN7rocprim17ROCPRIM_400000_NS6detail17trampoline_kernelINS0_14default_configENS1_38merge_sort_block_merge_config_selectorIbiEEZZNS1_27merge_sort_block_merge_implIS3_N6thrust23THRUST_200600_302600_NS6detail15normal_iteratorINS8_10device_ptrIbEEEENSA_INSB_IiEEEEjNS1_19radix_merge_compareILb0ELb0EbNS0_19identity_decomposerEEEEE10hipError_tT0_T1_T2_jT3_P12ihipStream_tbPNSt15iterator_traitsISK_E10value_typeEPNSQ_ISL_E10value_typeEPSM_NS1_7vsmem_tEENKUlT_SK_SL_SM_E_clIPbSD_PiSF_EESJ_SZ_SK_SL_SM_EUlSZ_E1_NS1_11comp_targetILNS1_3genE5ELNS1_11target_archE942ELNS1_3gpuE9ELNS1_3repE0EEENS1_36merge_oddeven_config_static_selectorELNS0_4arch9wavefront6targetE1EEEvSL_.num_named_barrier, 0
	.set _ZN7rocprim17ROCPRIM_400000_NS6detail17trampoline_kernelINS0_14default_configENS1_38merge_sort_block_merge_config_selectorIbiEEZZNS1_27merge_sort_block_merge_implIS3_N6thrust23THRUST_200600_302600_NS6detail15normal_iteratorINS8_10device_ptrIbEEEENSA_INSB_IiEEEEjNS1_19radix_merge_compareILb0ELb0EbNS0_19identity_decomposerEEEEE10hipError_tT0_T1_T2_jT3_P12ihipStream_tbPNSt15iterator_traitsISK_E10value_typeEPNSQ_ISL_E10value_typeEPSM_NS1_7vsmem_tEENKUlT_SK_SL_SM_E_clIPbSD_PiSF_EESJ_SZ_SK_SL_SM_EUlSZ_E1_NS1_11comp_targetILNS1_3genE5ELNS1_11target_archE942ELNS1_3gpuE9ELNS1_3repE0EEENS1_36merge_oddeven_config_static_selectorELNS0_4arch9wavefront6targetE1EEEvSL_.private_seg_size, 0
	.set _ZN7rocprim17ROCPRIM_400000_NS6detail17trampoline_kernelINS0_14default_configENS1_38merge_sort_block_merge_config_selectorIbiEEZZNS1_27merge_sort_block_merge_implIS3_N6thrust23THRUST_200600_302600_NS6detail15normal_iteratorINS8_10device_ptrIbEEEENSA_INSB_IiEEEEjNS1_19radix_merge_compareILb0ELb0EbNS0_19identity_decomposerEEEEE10hipError_tT0_T1_T2_jT3_P12ihipStream_tbPNSt15iterator_traitsISK_E10value_typeEPNSQ_ISL_E10value_typeEPSM_NS1_7vsmem_tEENKUlT_SK_SL_SM_E_clIPbSD_PiSF_EESJ_SZ_SK_SL_SM_EUlSZ_E1_NS1_11comp_targetILNS1_3genE5ELNS1_11target_archE942ELNS1_3gpuE9ELNS1_3repE0EEENS1_36merge_oddeven_config_static_selectorELNS0_4arch9wavefront6targetE1EEEvSL_.uses_vcc, 0
	.set _ZN7rocprim17ROCPRIM_400000_NS6detail17trampoline_kernelINS0_14default_configENS1_38merge_sort_block_merge_config_selectorIbiEEZZNS1_27merge_sort_block_merge_implIS3_N6thrust23THRUST_200600_302600_NS6detail15normal_iteratorINS8_10device_ptrIbEEEENSA_INSB_IiEEEEjNS1_19radix_merge_compareILb0ELb0EbNS0_19identity_decomposerEEEEE10hipError_tT0_T1_T2_jT3_P12ihipStream_tbPNSt15iterator_traitsISK_E10value_typeEPNSQ_ISL_E10value_typeEPSM_NS1_7vsmem_tEENKUlT_SK_SL_SM_E_clIPbSD_PiSF_EESJ_SZ_SK_SL_SM_EUlSZ_E1_NS1_11comp_targetILNS1_3genE5ELNS1_11target_archE942ELNS1_3gpuE9ELNS1_3repE0EEENS1_36merge_oddeven_config_static_selectorELNS0_4arch9wavefront6targetE1EEEvSL_.uses_flat_scratch, 0
	.set _ZN7rocprim17ROCPRIM_400000_NS6detail17trampoline_kernelINS0_14default_configENS1_38merge_sort_block_merge_config_selectorIbiEEZZNS1_27merge_sort_block_merge_implIS3_N6thrust23THRUST_200600_302600_NS6detail15normal_iteratorINS8_10device_ptrIbEEEENSA_INSB_IiEEEEjNS1_19radix_merge_compareILb0ELb0EbNS0_19identity_decomposerEEEEE10hipError_tT0_T1_T2_jT3_P12ihipStream_tbPNSt15iterator_traitsISK_E10value_typeEPNSQ_ISL_E10value_typeEPSM_NS1_7vsmem_tEENKUlT_SK_SL_SM_E_clIPbSD_PiSF_EESJ_SZ_SK_SL_SM_EUlSZ_E1_NS1_11comp_targetILNS1_3genE5ELNS1_11target_archE942ELNS1_3gpuE9ELNS1_3repE0EEENS1_36merge_oddeven_config_static_selectorELNS0_4arch9wavefront6targetE1EEEvSL_.has_dyn_sized_stack, 0
	.set _ZN7rocprim17ROCPRIM_400000_NS6detail17trampoline_kernelINS0_14default_configENS1_38merge_sort_block_merge_config_selectorIbiEEZZNS1_27merge_sort_block_merge_implIS3_N6thrust23THRUST_200600_302600_NS6detail15normal_iteratorINS8_10device_ptrIbEEEENSA_INSB_IiEEEEjNS1_19radix_merge_compareILb0ELb0EbNS0_19identity_decomposerEEEEE10hipError_tT0_T1_T2_jT3_P12ihipStream_tbPNSt15iterator_traitsISK_E10value_typeEPNSQ_ISL_E10value_typeEPSM_NS1_7vsmem_tEENKUlT_SK_SL_SM_E_clIPbSD_PiSF_EESJ_SZ_SK_SL_SM_EUlSZ_E1_NS1_11comp_targetILNS1_3genE5ELNS1_11target_archE942ELNS1_3gpuE9ELNS1_3repE0EEENS1_36merge_oddeven_config_static_selectorELNS0_4arch9wavefront6targetE1EEEvSL_.has_recursion, 0
	.set _ZN7rocprim17ROCPRIM_400000_NS6detail17trampoline_kernelINS0_14default_configENS1_38merge_sort_block_merge_config_selectorIbiEEZZNS1_27merge_sort_block_merge_implIS3_N6thrust23THRUST_200600_302600_NS6detail15normal_iteratorINS8_10device_ptrIbEEEENSA_INSB_IiEEEEjNS1_19radix_merge_compareILb0ELb0EbNS0_19identity_decomposerEEEEE10hipError_tT0_T1_T2_jT3_P12ihipStream_tbPNSt15iterator_traitsISK_E10value_typeEPNSQ_ISL_E10value_typeEPSM_NS1_7vsmem_tEENKUlT_SK_SL_SM_E_clIPbSD_PiSF_EESJ_SZ_SK_SL_SM_EUlSZ_E1_NS1_11comp_targetILNS1_3genE5ELNS1_11target_archE942ELNS1_3gpuE9ELNS1_3repE0EEENS1_36merge_oddeven_config_static_selectorELNS0_4arch9wavefront6targetE1EEEvSL_.has_indirect_call, 0
	.section	.AMDGPU.csdata,"",@progbits
; Kernel info:
; codeLenInByte = 0
; TotalNumSgprs: 6
; NumVgprs: 0
; NumAgprs: 0
; TotalNumVgprs: 0
; ScratchSize: 0
; MemoryBound: 0
; FloatMode: 240
; IeeeMode: 1
; LDSByteSize: 0 bytes/workgroup (compile time only)
; SGPRBlocks: 0
; VGPRBlocks: 0
; NumSGPRsForWavesPerEU: 6
; NumVGPRsForWavesPerEU: 1
; AccumOffset: 4
; Occupancy: 8
; WaveLimiterHint : 0
; COMPUTE_PGM_RSRC2:SCRATCH_EN: 0
; COMPUTE_PGM_RSRC2:USER_SGPR: 2
; COMPUTE_PGM_RSRC2:TRAP_HANDLER: 0
; COMPUTE_PGM_RSRC2:TGID_X_EN: 1
; COMPUTE_PGM_RSRC2:TGID_Y_EN: 0
; COMPUTE_PGM_RSRC2:TGID_Z_EN: 0
; COMPUTE_PGM_RSRC2:TIDIG_COMP_CNT: 0
; COMPUTE_PGM_RSRC3_GFX90A:ACCUM_OFFSET: 0
; COMPUTE_PGM_RSRC3_GFX90A:TG_SPLIT: 0
	.section	.text._ZN7rocprim17ROCPRIM_400000_NS6detail17trampoline_kernelINS0_14default_configENS1_38merge_sort_block_merge_config_selectorIbiEEZZNS1_27merge_sort_block_merge_implIS3_N6thrust23THRUST_200600_302600_NS6detail15normal_iteratorINS8_10device_ptrIbEEEENSA_INSB_IiEEEEjNS1_19radix_merge_compareILb0ELb0EbNS0_19identity_decomposerEEEEE10hipError_tT0_T1_T2_jT3_P12ihipStream_tbPNSt15iterator_traitsISK_E10value_typeEPNSQ_ISL_E10value_typeEPSM_NS1_7vsmem_tEENKUlT_SK_SL_SM_E_clIPbSD_PiSF_EESJ_SZ_SK_SL_SM_EUlSZ_E1_NS1_11comp_targetILNS1_3genE4ELNS1_11target_archE910ELNS1_3gpuE8ELNS1_3repE0EEENS1_36merge_oddeven_config_static_selectorELNS0_4arch9wavefront6targetE1EEEvSL_,"axG",@progbits,_ZN7rocprim17ROCPRIM_400000_NS6detail17trampoline_kernelINS0_14default_configENS1_38merge_sort_block_merge_config_selectorIbiEEZZNS1_27merge_sort_block_merge_implIS3_N6thrust23THRUST_200600_302600_NS6detail15normal_iteratorINS8_10device_ptrIbEEEENSA_INSB_IiEEEEjNS1_19radix_merge_compareILb0ELb0EbNS0_19identity_decomposerEEEEE10hipError_tT0_T1_T2_jT3_P12ihipStream_tbPNSt15iterator_traitsISK_E10value_typeEPNSQ_ISL_E10value_typeEPSM_NS1_7vsmem_tEENKUlT_SK_SL_SM_E_clIPbSD_PiSF_EESJ_SZ_SK_SL_SM_EUlSZ_E1_NS1_11comp_targetILNS1_3genE4ELNS1_11target_archE910ELNS1_3gpuE8ELNS1_3repE0EEENS1_36merge_oddeven_config_static_selectorELNS0_4arch9wavefront6targetE1EEEvSL_,comdat
	.protected	_ZN7rocprim17ROCPRIM_400000_NS6detail17trampoline_kernelINS0_14default_configENS1_38merge_sort_block_merge_config_selectorIbiEEZZNS1_27merge_sort_block_merge_implIS3_N6thrust23THRUST_200600_302600_NS6detail15normal_iteratorINS8_10device_ptrIbEEEENSA_INSB_IiEEEEjNS1_19radix_merge_compareILb0ELb0EbNS0_19identity_decomposerEEEEE10hipError_tT0_T1_T2_jT3_P12ihipStream_tbPNSt15iterator_traitsISK_E10value_typeEPNSQ_ISL_E10value_typeEPSM_NS1_7vsmem_tEENKUlT_SK_SL_SM_E_clIPbSD_PiSF_EESJ_SZ_SK_SL_SM_EUlSZ_E1_NS1_11comp_targetILNS1_3genE4ELNS1_11target_archE910ELNS1_3gpuE8ELNS1_3repE0EEENS1_36merge_oddeven_config_static_selectorELNS0_4arch9wavefront6targetE1EEEvSL_ ; -- Begin function _ZN7rocprim17ROCPRIM_400000_NS6detail17trampoline_kernelINS0_14default_configENS1_38merge_sort_block_merge_config_selectorIbiEEZZNS1_27merge_sort_block_merge_implIS3_N6thrust23THRUST_200600_302600_NS6detail15normal_iteratorINS8_10device_ptrIbEEEENSA_INSB_IiEEEEjNS1_19radix_merge_compareILb0ELb0EbNS0_19identity_decomposerEEEEE10hipError_tT0_T1_T2_jT3_P12ihipStream_tbPNSt15iterator_traitsISK_E10value_typeEPNSQ_ISL_E10value_typeEPSM_NS1_7vsmem_tEENKUlT_SK_SL_SM_E_clIPbSD_PiSF_EESJ_SZ_SK_SL_SM_EUlSZ_E1_NS1_11comp_targetILNS1_3genE4ELNS1_11target_archE910ELNS1_3gpuE8ELNS1_3repE0EEENS1_36merge_oddeven_config_static_selectorELNS0_4arch9wavefront6targetE1EEEvSL_
	.globl	_ZN7rocprim17ROCPRIM_400000_NS6detail17trampoline_kernelINS0_14default_configENS1_38merge_sort_block_merge_config_selectorIbiEEZZNS1_27merge_sort_block_merge_implIS3_N6thrust23THRUST_200600_302600_NS6detail15normal_iteratorINS8_10device_ptrIbEEEENSA_INSB_IiEEEEjNS1_19radix_merge_compareILb0ELb0EbNS0_19identity_decomposerEEEEE10hipError_tT0_T1_T2_jT3_P12ihipStream_tbPNSt15iterator_traitsISK_E10value_typeEPNSQ_ISL_E10value_typeEPSM_NS1_7vsmem_tEENKUlT_SK_SL_SM_E_clIPbSD_PiSF_EESJ_SZ_SK_SL_SM_EUlSZ_E1_NS1_11comp_targetILNS1_3genE4ELNS1_11target_archE910ELNS1_3gpuE8ELNS1_3repE0EEENS1_36merge_oddeven_config_static_selectorELNS0_4arch9wavefront6targetE1EEEvSL_
	.p2align	8
	.type	_ZN7rocprim17ROCPRIM_400000_NS6detail17trampoline_kernelINS0_14default_configENS1_38merge_sort_block_merge_config_selectorIbiEEZZNS1_27merge_sort_block_merge_implIS3_N6thrust23THRUST_200600_302600_NS6detail15normal_iteratorINS8_10device_ptrIbEEEENSA_INSB_IiEEEEjNS1_19radix_merge_compareILb0ELb0EbNS0_19identity_decomposerEEEEE10hipError_tT0_T1_T2_jT3_P12ihipStream_tbPNSt15iterator_traitsISK_E10value_typeEPNSQ_ISL_E10value_typeEPSM_NS1_7vsmem_tEENKUlT_SK_SL_SM_E_clIPbSD_PiSF_EESJ_SZ_SK_SL_SM_EUlSZ_E1_NS1_11comp_targetILNS1_3genE4ELNS1_11target_archE910ELNS1_3gpuE8ELNS1_3repE0EEENS1_36merge_oddeven_config_static_selectorELNS0_4arch9wavefront6targetE1EEEvSL_,@function
_ZN7rocprim17ROCPRIM_400000_NS6detail17trampoline_kernelINS0_14default_configENS1_38merge_sort_block_merge_config_selectorIbiEEZZNS1_27merge_sort_block_merge_implIS3_N6thrust23THRUST_200600_302600_NS6detail15normal_iteratorINS8_10device_ptrIbEEEENSA_INSB_IiEEEEjNS1_19radix_merge_compareILb0ELb0EbNS0_19identity_decomposerEEEEE10hipError_tT0_T1_T2_jT3_P12ihipStream_tbPNSt15iterator_traitsISK_E10value_typeEPNSQ_ISL_E10value_typeEPSM_NS1_7vsmem_tEENKUlT_SK_SL_SM_E_clIPbSD_PiSF_EESJ_SZ_SK_SL_SM_EUlSZ_E1_NS1_11comp_targetILNS1_3genE4ELNS1_11target_archE910ELNS1_3gpuE8ELNS1_3repE0EEENS1_36merge_oddeven_config_static_selectorELNS0_4arch9wavefront6targetE1EEEvSL_: ; @_ZN7rocprim17ROCPRIM_400000_NS6detail17trampoline_kernelINS0_14default_configENS1_38merge_sort_block_merge_config_selectorIbiEEZZNS1_27merge_sort_block_merge_implIS3_N6thrust23THRUST_200600_302600_NS6detail15normal_iteratorINS8_10device_ptrIbEEEENSA_INSB_IiEEEEjNS1_19radix_merge_compareILb0ELb0EbNS0_19identity_decomposerEEEEE10hipError_tT0_T1_T2_jT3_P12ihipStream_tbPNSt15iterator_traitsISK_E10value_typeEPNSQ_ISL_E10value_typeEPSM_NS1_7vsmem_tEENKUlT_SK_SL_SM_E_clIPbSD_PiSF_EESJ_SZ_SK_SL_SM_EUlSZ_E1_NS1_11comp_targetILNS1_3genE4ELNS1_11target_archE910ELNS1_3gpuE8ELNS1_3repE0EEENS1_36merge_oddeven_config_static_selectorELNS0_4arch9wavefront6targetE1EEEvSL_
; %bb.0:
	.section	.rodata,"a",@progbits
	.p2align	6, 0x0
	.amdhsa_kernel _ZN7rocprim17ROCPRIM_400000_NS6detail17trampoline_kernelINS0_14default_configENS1_38merge_sort_block_merge_config_selectorIbiEEZZNS1_27merge_sort_block_merge_implIS3_N6thrust23THRUST_200600_302600_NS6detail15normal_iteratorINS8_10device_ptrIbEEEENSA_INSB_IiEEEEjNS1_19radix_merge_compareILb0ELb0EbNS0_19identity_decomposerEEEEE10hipError_tT0_T1_T2_jT3_P12ihipStream_tbPNSt15iterator_traitsISK_E10value_typeEPNSQ_ISL_E10value_typeEPSM_NS1_7vsmem_tEENKUlT_SK_SL_SM_E_clIPbSD_PiSF_EESJ_SZ_SK_SL_SM_EUlSZ_E1_NS1_11comp_targetILNS1_3genE4ELNS1_11target_archE910ELNS1_3gpuE8ELNS1_3repE0EEENS1_36merge_oddeven_config_static_selectorELNS0_4arch9wavefront6targetE1EEEvSL_
		.amdhsa_group_segment_fixed_size 0
		.amdhsa_private_segment_fixed_size 0
		.amdhsa_kernarg_size 48
		.amdhsa_user_sgpr_count 2
		.amdhsa_user_sgpr_dispatch_ptr 0
		.amdhsa_user_sgpr_queue_ptr 0
		.amdhsa_user_sgpr_kernarg_segment_ptr 1
		.amdhsa_user_sgpr_dispatch_id 0
		.amdhsa_user_sgpr_kernarg_preload_length 0
		.amdhsa_user_sgpr_kernarg_preload_offset 0
		.amdhsa_user_sgpr_private_segment_size 0
		.amdhsa_uses_dynamic_stack 0
		.amdhsa_enable_private_segment 0
		.amdhsa_system_sgpr_workgroup_id_x 1
		.amdhsa_system_sgpr_workgroup_id_y 0
		.amdhsa_system_sgpr_workgroup_id_z 0
		.amdhsa_system_sgpr_workgroup_info 0
		.amdhsa_system_vgpr_workitem_id 0
		.amdhsa_next_free_vgpr 1
		.amdhsa_next_free_sgpr 0
		.amdhsa_accum_offset 4
		.amdhsa_reserve_vcc 0
		.amdhsa_float_round_mode_32 0
		.amdhsa_float_round_mode_16_64 0
		.amdhsa_float_denorm_mode_32 3
		.amdhsa_float_denorm_mode_16_64 3
		.amdhsa_dx10_clamp 1
		.amdhsa_ieee_mode 1
		.amdhsa_fp16_overflow 0
		.amdhsa_tg_split 0
		.amdhsa_exception_fp_ieee_invalid_op 0
		.amdhsa_exception_fp_denorm_src 0
		.amdhsa_exception_fp_ieee_div_zero 0
		.amdhsa_exception_fp_ieee_overflow 0
		.amdhsa_exception_fp_ieee_underflow 0
		.amdhsa_exception_fp_ieee_inexact 0
		.amdhsa_exception_int_div_zero 0
	.end_amdhsa_kernel
	.section	.text._ZN7rocprim17ROCPRIM_400000_NS6detail17trampoline_kernelINS0_14default_configENS1_38merge_sort_block_merge_config_selectorIbiEEZZNS1_27merge_sort_block_merge_implIS3_N6thrust23THRUST_200600_302600_NS6detail15normal_iteratorINS8_10device_ptrIbEEEENSA_INSB_IiEEEEjNS1_19radix_merge_compareILb0ELb0EbNS0_19identity_decomposerEEEEE10hipError_tT0_T1_T2_jT3_P12ihipStream_tbPNSt15iterator_traitsISK_E10value_typeEPNSQ_ISL_E10value_typeEPSM_NS1_7vsmem_tEENKUlT_SK_SL_SM_E_clIPbSD_PiSF_EESJ_SZ_SK_SL_SM_EUlSZ_E1_NS1_11comp_targetILNS1_3genE4ELNS1_11target_archE910ELNS1_3gpuE8ELNS1_3repE0EEENS1_36merge_oddeven_config_static_selectorELNS0_4arch9wavefront6targetE1EEEvSL_,"axG",@progbits,_ZN7rocprim17ROCPRIM_400000_NS6detail17trampoline_kernelINS0_14default_configENS1_38merge_sort_block_merge_config_selectorIbiEEZZNS1_27merge_sort_block_merge_implIS3_N6thrust23THRUST_200600_302600_NS6detail15normal_iteratorINS8_10device_ptrIbEEEENSA_INSB_IiEEEEjNS1_19radix_merge_compareILb0ELb0EbNS0_19identity_decomposerEEEEE10hipError_tT0_T1_T2_jT3_P12ihipStream_tbPNSt15iterator_traitsISK_E10value_typeEPNSQ_ISL_E10value_typeEPSM_NS1_7vsmem_tEENKUlT_SK_SL_SM_E_clIPbSD_PiSF_EESJ_SZ_SK_SL_SM_EUlSZ_E1_NS1_11comp_targetILNS1_3genE4ELNS1_11target_archE910ELNS1_3gpuE8ELNS1_3repE0EEENS1_36merge_oddeven_config_static_selectorELNS0_4arch9wavefront6targetE1EEEvSL_,comdat
.Lfunc_end1928:
	.size	_ZN7rocprim17ROCPRIM_400000_NS6detail17trampoline_kernelINS0_14default_configENS1_38merge_sort_block_merge_config_selectorIbiEEZZNS1_27merge_sort_block_merge_implIS3_N6thrust23THRUST_200600_302600_NS6detail15normal_iteratorINS8_10device_ptrIbEEEENSA_INSB_IiEEEEjNS1_19radix_merge_compareILb0ELb0EbNS0_19identity_decomposerEEEEE10hipError_tT0_T1_T2_jT3_P12ihipStream_tbPNSt15iterator_traitsISK_E10value_typeEPNSQ_ISL_E10value_typeEPSM_NS1_7vsmem_tEENKUlT_SK_SL_SM_E_clIPbSD_PiSF_EESJ_SZ_SK_SL_SM_EUlSZ_E1_NS1_11comp_targetILNS1_3genE4ELNS1_11target_archE910ELNS1_3gpuE8ELNS1_3repE0EEENS1_36merge_oddeven_config_static_selectorELNS0_4arch9wavefront6targetE1EEEvSL_, .Lfunc_end1928-_ZN7rocprim17ROCPRIM_400000_NS6detail17trampoline_kernelINS0_14default_configENS1_38merge_sort_block_merge_config_selectorIbiEEZZNS1_27merge_sort_block_merge_implIS3_N6thrust23THRUST_200600_302600_NS6detail15normal_iteratorINS8_10device_ptrIbEEEENSA_INSB_IiEEEEjNS1_19radix_merge_compareILb0ELb0EbNS0_19identity_decomposerEEEEE10hipError_tT0_T1_T2_jT3_P12ihipStream_tbPNSt15iterator_traitsISK_E10value_typeEPNSQ_ISL_E10value_typeEPSM_NS1_7vsmem_tEENKUlT_SK_SL_SM_E_clIPbSD_PiSF_EESJ_SZ_SK_SL_SM_EUlSZ_E1_NS1_11comp_targetILNS1_3genE4ELNS1_11target_archE910ELNS1_3gpuE8ELNS1_3repE0EEENS1_36merge_oddeven_config_static_selectorELNS0_4arch9wavefront6targetE1EEEvSL_
                                        ; -- End function
	.set _ZN7rocprim17ROCPRIM_400000_NS6detail17trampoline_kernelINS0_14default_configENS1_38merge_sort_block_merge_config_selectorIbiEEZZNS1_27merge_sort_block_merge_implIS3_N6thrust23THRUST_200600_302600_NS6detail15normal_iteratorINS8_10device_ptrIbEEEENSA_INSB_IiEEEEjNS1_19radix_merge_compareILb0ELb0EbNS0_19identity_decomposerEEEEE10hipError_tT0_T1_T2_jT3_P12ihipStream_tbPNSt15iterator_traitsISK_E10value_typeEPNSQ_ISL_E10value_typeEPSM_NS1_7vsmem_tEENKUlT_SK_SL_SM_E_clIPbSD_PiSF_EESJ_SZ_SK_SL_SM_EUlSZ_E1_NS1_11comp_targetILNS1_3genE4ELNS1_11target_archE910ELNS1_3gpuE8ELNS1_3repE0EEENS1_36merge_oddeven_config_static_selectorELNS0_4arch9wavefront6targetE1EEEvSL_.num_vgpr, 0
	.set _ZN7rocprim17ROCPRIM_400000_NS6detail17trampoline_kernelINS0_14default_configENS1_38merge_sort_block_merge_config_selectorIbiEEZZNS1_27merge_sort_block_merge_implIS3_N6thrust23THRUST_200600_302600_NS6detail15normal_iteratorINS8_10device_ptrIbEEEENSA_INSB_IiEEEEjNS1_19radix_merge_compareILb0ELb0EbNS0_19identity_decomposerEEEEE10hipError_tT0_T1_T2_jT3_P12ihipStream_tbPNSt15iterator_traitsISK_E10value_typeEPNSQ_ISL_E10value_typeEPSM_NS1_7vsmem_tEENKUlT_SK_SL_SM_E_clIPbSD_PiSF_EESJ_SZ_SK_SL_SM_EUlSZ_E1_NS1_11comp_targetILNS1_3genE4ELNS1_11target_archE910ELNS1_3gpuE8ELNS1_3repE0EEENS1_36merge_oddeven_config_static_selectorELNS0_4arch9wavefront6targetE1EEEvSL_.num_agpr, 0
	.set _ZN7rocprim17ROCPRIM_400000_NS6detail17trampoline_kernelINS0_14default_configENS1_38merge_sort_block_merge_config_selectorIbiEEZZNS1_27merge_sort_block_merge_implIS3_N6thrust23THRUST_200600_302600_NS6detail15normal_iteratorINS8_10device_ptrIbEEEENSA_INSB_IiEEEEjNS1_19radix_merge_compareILb0ELb0EbNS0_19identity_decomposerEEEEE10hipError_tT0_T1_T2_jT3_P12ihipStream_tbPNSt15iterator_traitsISK_E10value_typeEPNSQ_ISL_E10value_typeEPSM_NS1_7vsmem_tEENKUlT_SK_SL_SM_E_clIPbSD_PiSF_EESJ_SZ_SK_SL_SM_EUlSZ_E1_NS1_11comp_targetILNS1_3genE4ELNS1_11target_archE910ELNS1_3gpuE8ELNS1_3repE0EEENS1_36merge_oddeven_config_static_selectorELNS0_4arch9wavefront6targetE1EEEvSL_.numbered_sgpr, 0
	.set _ZN7rocprim17ROCPRIM_400000_NS6detail17trampoline_kernelINS0_14default_configENS1_38merge_sort_block_merge_config_selectorIbiEEZZNS1_27merge_sort_block_merge_implIS3_N6thrust23THRUST_200600_302600_NS6detail15normal_iteratorINS8_10device_ptrIbEEEENSA_INSB_IiEEEEjNS1_19radix_merge_compareILb0ELb0EbNS0_19identity_decomposerEEEEE10hipError_tT0_T1_T2_jT3_P12ihipStream_tbPNSt15iterator_traitsISK_E10value_typeEPNSQ_ISL_E10value_typeEPSM_NS1_7vsmem_tEENKUlT_SK_SL_SM_E_clIPbSD_PiSF_EESJ_SZ_SK_SL_SM_EUlSZ_E1_NS1_11comp_targetILNS1_3genE4ELNS1_11target_archE910ELNS1_3gpuE8ELNS1_3repE0EEENS1_36merge_oddeven_config_static_selectorELNS0_4arch9wavefront6targetE1EEEvSL_.num_named_barrier, 0
	.set _ZN7rocprim17ROCPRIM_400000_NS6detail17trampoline_kernelINS0_14default_configENS1_38merge_sort_block_merge_config_selectorIbiEEZZNS1_27merge_sort_block_merge_implIS3_N6thrust23THRUST_200600_302600_NS6detail15normal_iteratorINS8_10device_ptrIbEEEENSA_INSB_IiEEEEjNS1_19radix_merge_compareILb0ELb0EbNS0_19identity_decomposerEEEEE10hipError_tT0_T1_T2_jT3_P12ihipStream_tbPNSt15iterator_traitsISK_E10value_typeEPNSQ_ISL_E10value_typeEPSM_NS1_7vsmem_tEENKUlT_SK_SL_SM_E_clIPbSD_PiSF_EESJ_SZ_SK_SL_SM_EUlSZ_E1_NS1_11comp_targetILNS1_3genE4ELNS1_11target_archE910ELNS1_3gpuE8ELNS1_3repE0EEENS1_36merge_oddeven_config_static_selectorELNS0_4arch9wavefront6targetE1EEEvSL_.private_seg_size, 0
	.set _ZN7rocprim17ROCPRIM_400000_NS6detail17trampoline_kernelINS0_14default_configENS1_38merge_sort_block_merge_config_selectorIbiEEZZNS1_27merge_sort_block_merge_implIS3_N6thrust23THRUST_200600_302600_NS6detail15normal_iteratorINS8_10device_ptrIbEEEENSA_INSB_IiEEEEjNS1_19radix_merge_compareILb0ELb0EbNS0_19identity_decomposerEEEEE10hipError_tT0_T1_T2_jT3_P12ihipStream_tbPNSt15iterator_traitsISK_E10value_typeEPNSQ_ISL_E10value_typeEPSM_NS1_7vsmem_tEENKUlT_SK_SL_SM_E_clIPbSD_PiSF_EESJ_SZ_SK_SL_SM_EUlSZ_E1_NS1_11comp_targetILNS1_3genE4ELNS1_11target_archE910ELNS1_3gpuE8ELNS1_3repE0EEENS1_36merge_oddeven_config_static_selectorELNS0_4arch9wavefront6targetE1EEEvSL_.uses_vcc, 0
	.set _ZN7rocprim17ROCPRIM_400000_NS6detail17trampoline_kernelINS0_14default_configENS1_38merge_sort_block_merge_config_selectorIbiEEZZNS1_27merge_sort_block_merge_implIS3_N6thrust23THRUST_200600_302600_NS6detail15normal_iteratorINS8_10device_ptrIbEEEENSA_INSB_IiEEEEjNS1_19radix_merge_compareILb0ELb0EbNS0_19identity_decomposerEEEEE10hipError_tT0_T1_T2_jT3_P12ihipStream_tbPNSt15iterator_traitsISK_E10value_typeEPNSQ_ISL_E10value_typeEPSM_NS1_7vsmem_tEENKUlT_SK_SL_SM_E_clIPbSD_PiSF_EESJ_SZ_SK_SL_SM_EUlSZ_E1_NS1_11comp_targetILNS1_3genE4ELNS1_11target_archE910ELNS1_3gpuE8ELNS1_3repE0EEENS1_36merge_oddeven_config_static_selectorELNS0_4arch9wavefront6targetE1EEEvSL_.uses_flat_scratch, 0
	.set _ZN7rocprim17ROCPRIM_400000_NS6detail17trampoline_kernelINS0_14default_configENS1_38merge_sort_block_merge_config_selectorIbiEEZZNS1_27merge_sort_block_merge_implIS3_N6thrust23THRUST_200600_302600_NS6detail15normal_iteratorINS8_10device_ptrIbEEEENSA_INSB_IiEEEEjNS1_19radix_merge_compareILb0ELb0EbNS0_19identity_decomposerEEEEE10hipError_tT0_T1_T2_jT3_P12ihipStream_tbPNSt15iterator_traitsISK_E10value_typeEPNSQ_ISL_E10value_typeEPSM_NS1_7vsmem_tEENKUlT_SK_SL_SM_E_clIPbSD_PiSF_EESJ_SZ_SK_SL_SM_EUlSZ_E1_NS1_11comp_targetILNS1_3genE4ELNS1_11target_archE910ELNS1_3gpuE8ELNS1_3repE0EEENS1_36merge_oddeven_config_static_selectorELNS0_4arch9wavefront6targetE1EEEvSL_.has_dyn_sized_stack, 0
	.set _ZN7rocprim17ROCPRIM_400000_NS6detail17trampoline_kernelINS0_14default_configENS1_38merge_sort_block_merge_config_selectorIbiEEZZNS1_27merge_sort_block_merge_implIS3_N6thrust23THRUST_200600_302600_NS6detail15normal_iteratorINS8_10device_ptrIbEEEENSA_INSB_IiEEEEjNS1_19radix_merge_compareILb0ELb0EbNS0_19identity_decomposerEEEEE10hipError_tT0_T1_T2_jT3_P12ihipStream_tbPNSt15iterator_traitsISK_E10value_typeEPNSQ_ISL_E10value_typeEPSM_NS1_7vsmem_tEENKUlT_SK_SL_SM_E_clIPbSD_PiSF_EESJ_SZ_SK_SL_SM_EUlSZ_E1_NS1_11comp_targetILNS1_3genE4ELNS1_11target_archE910ELNS1_3gpuE8ELNS1_3repE0EEENS1_36merge_oddeven_config_static_selectorELNS0_4arch9wavefront6targetE1EEEvSL_.has_recursion, 0
	.set _ZN7rocprim17ROCPRIM_400000_NS6detail17trampoline_kernelINS0_14default_configENS1_38merge_sort_block_merge_config_selectorIbiEEZZNS1_27merge_sort_block_merge_implIS3_N6thrust23THRUST_200600_302600_NS6detail15normal_iteratorINS8_10device_ptrIbEEEENSA_INSB_IiEEEEjNS1_19radix_merge_compareILb0ELb0EbNS0_19identity_decomposerEEEEE10hipError_tT0_T1_T2_jT3_P12ihipStream_tbPNSt15iterator_traitsISK_E10value_typeEPNSQ_ISL_E10value_typeEPSM_NS1_7vsmem_tEENKUlT_SK_SL_SM_E_clIPbSD_PiSF_EESJ_SZ_SK_SL_SM_EUlSZ_E1_NS1_11comp_targetILNS1_3genE4ELNS1_11target_archE910ELNS1_3gpuE8ELNS1_3repE0EEENS1_36merge_oddeven_config_static_selectorELNS0_4arch9wavefront6targetE1EEEvSL_.has_indirect_call, 0
	.section	.AMDGPU.csdata,"",@progbits
; Kernel info:
; codeLenInByte = 0
; TotalNumSgprs: 6
; NumVgprs: 0
; NumAgprs: 0
; TotalNumVgprs: 0
; ScratchSize: 0
; MemoryBound: 0
; FloatMode: 240
; IeeeMode: 1
; LDSByteSize: 0 bytes/workgroup (compile time only)
; SGPRBlocks: 0
; VGPRBlocks: 0
; NumSGPRsForWavesPerEU: 6
; NumVGPRsForWavesPerEU: 1
; AccumOffset: 4
; Occupancy: 8
; WaveLimiterHint : 0
; COMPUTE_PGM_RSRC2:SCRATCH_EN: 0
; COMPUTE_PGM_RSRC2:USER_SGPR: 2
; COMPUTE_PGM_RSRC2:TRAP_HANDLER: 0
; COMPUTE_PGM_RSRC2:TGID_X_EN: 1
; COMPUTE_PGM_RSRC2:TGID_Y_EN: 0
; COMPUTE_PGM_RSRC2:TGID_Z_EN: 0
; COMPUTE_PGM_RSRC2:TIDIG_COMP_CNT: 0
; COMPUTE_PGM_RSRC3_GFX90A:ACCUM_OFFSET: 0
; COMPUTE_PGM_RSRC3_GFX90A:TG_SPLIT: 0
	.section	.text._ZN7rocprim17ROCPRIM_400000_NS6detail17trampoline_kernelINS0_14default_configENS1_38merge_sort_block_merge_config_selectorIbiEEZZNS1_27merge_sort_block_merge_implIS3_N6thrust23THRUST_200600_302600_NS6detail15normal_iteratorINS8_10device_ptrIbEEEENSA_INSB_IiEEEEjNS1_19radix_merge_compareILb0ELb0EbNS0_19identity_decomposerEEEEE10hipError_tT0_T1_T2_jT3_P12ihipStream_tbPNSt15iterator_traitsISK_E10value_typeEPNSQ_ISL_E10value_typeEPSM_NS1_7vsmem_tEENKUlT_SK_SL_SM_E_clIPbSD_PiSF_EESJ_SZ_SK_SL_SM_EUlSZ_E1_NS1_11comp_targetILNS1_3genE3ELNS1_11target_archE908ELNS1_3gpuE7ELNS1_3repE0EEENS1_36merge_oddeven_config_static_selectorELNS0_4arch9wavefront6targetE1EEEvSL_,"axG",@progbits,_ZN7rocprim17ROCPRIM_400000_NS6detail17trampoline_kernelINS0_14default_configENS1_38merge_sort_block_merge_config_selectorIbiEEZZNS1_27merge_sort_block_merge_implIS3_N6thrust23THRUST_200600_302600_NS6detail15normal_iteratorINS8_10device_ptrIbEEEENSA_INSB_IiEEEEjNS1_19radix_merge_compareILb0ELb0EbNS0_19identity_decomposerEEEEE10hipError_tT0_T1_T2_jT3_P12ihipStream_tbPNSt15iterator_traitsISK_E10value_typeEPNSQ_ISL_E10value_typeEPSM_NS1_7vsmem_tEENKUlT_SK_SL_SM_E_clIPbSD_PiSF_EESJ_SZ_SK_SL_SM_EUlSZ_E1_NS1_11comp_targetILNS1_3genE3ELNS1_11target_archE908ELNS1_3gpuE7ELNS1_3repE0EEENS1_36merge_oddeven_config_static_selectorELNS0_4arch9wavefront6targetE1EEEvSL_,comdat
	.protected	_ZN7rocprim17ROCPRIM_400000_NS6detail17trampoline_kernelINS0_14default_configENS1_38merge_sort_block_merge_config_selectorIbiEEZZNS1_27merge_sort_block_merge_implIS3_N6thrust23THRUST_200600_302600_NS6detail15normal_iteratorINS8_10device_ptrIbEEEENSA_INSB_IiEEEEjNS1_19radix_merge_compareILb0ELb0EbNS0_19identity_decomposerEEEEE10hipError_tT0_T1_T2_jT3_P12ihipStream_tbPNSt15iterator_traitsISK_E10value_typeEPNSQ_ISL_E10value_typeEPSM_NS1_7vsmem_tEENKUlT_SK_SL_SM_E_clIPbSD_PiSF_EESJ_SZ_SK_SL_SM_EUlSZ_E1_NS1_11comp_targetILNS1_3genE3ELNS1_11target_archE908ELNS1_3gpuE7ELNS1_3repE0EEENS1_36merge_oddeven_config_static_selectorELNS0_4arch9wavefront6targetE1EEEvSL_ ; -- Begin function _ZN7rocprim17ROCPRIM_400000_NS6detail17trampoline_kernelINS0_14default_configENS1_38merge_sort_block_merge_config_selectorIbiEEZZNS1_27merge_sort_block_merge_implIS3_N6thrust23THRUST_200600_302600_NS6detail15normal_iteratorINS8_10device_ptrIbEEEENSA_INSB_IiEEEEjNS1_19radix_merge_compareILb0ELb0EbNS0_19identity_decomposerEEEEE10hipError_tT0_T1_T2_jT3_P12ihipStream_tbPNSt15iterator_traitsISK_E10value_typeEPNSQ_ISL_E10value_typeEPSM_NS1_7vsmem_tEENKUlT_SK_SL_SM_E_clIPbSD_PiSF_EESJ_SZ_SK_SL_SM_EUlSZ_E1_NS1_11comp_targetILNS1_3genE3ELNS1_11target_archE908ELNS1_3gpuE7ELNS1_3repE0EEENS1_36merge_oddeven_config_static_selectorELNS0_4arch9wavefront6targetE1EEEvSL_
	.globl	_ZN7rocprim17ROCPRIM_400000_NS6detail17trampoline_kernelINS0_14default_configENS1_38merge_sort_block_merge_config_selectorIbiEEZZNS1_27merge_sort_block_merge_implIS3_N6thrust23THRUST_200600_302600_NS6detail15normal_iteratorINS8_10device_ptrIbEEEENSA_INSB_IiEEEEjNS1_19radix_merge_compareILb0ELb0EbNS0_19identity_decomposerEEEEE10hipError_tT0_T1_T2_jT3_P12ihipStream_tbPNSt15iterator_traitsISK_E10value_typeEPNSQ_ISL_E10value_typeEPSM_NS1_7vsmem_tEENKUlT_SK_SL_SM_E_clIPbSD_PiSF_EESJ_SZ_SK_SL_SM_EUlSZ_E1_NS1_11comp_targetILNS1_3genE3ELNS1_11target_archE908ELNS1_3gpuE7ELNS1_3repE0EEENS1_36merge_oddeven_config_static_selectorELNS0_4arch9wavefront6targetE1EEEvSL_
	.p2align	8
	.type	_ZN7rocprim17ROCPRIM_400000_NS6detail17trampoline_kernelINS0_14default_configENS1_38merge_sort_block_merge_config_selectorIbiEEZZNS1_27merge_sort_block_merge_implIS3_N6thrust23THRUST_200600_302600_NS6detail15normal_iteratorINS8_10device_ptrIbEEEENSA_INSB_IiEEEEjNS1_19radix_merge_compareILb0ELb0EbNS0_19identity_decomposerEEEEE10hipError_tT0_T1_T2_jT3_P12ihipStream_tbPNSt15iterator_traitsISK_E10value_typeEPNSQ_ISL_E10value_typeEPSM_NS1_7vsmem_tEENKUlT_SK_SL_SM_E_clIPbSD_PiSF_EESJ_SZ_SK_SL_SM_EUlSZ_E1_NS1_11comp_targetILNS1_3genE3ELNS1_11target_archE908ELNS1_3gpuE7ELNS1_3repE0EEENS1_36merge_oddeven_config_static_selectorELNS0_4arch9wavefront6targetE1EEEvSL_,@function
_ZN7rocprim17ROCPRIM_400000_NS6detail17trampoline_kernelINS0_14default_configENS1_38merge_sort_block_merge_config_selectorIbiEEZZNS1_27merge_sort_block_merge_implIS3_N6thrust23THRUST_200600_302600_NS6detail15normal_iteratorINS8_10device_ptrIbEEEENSA_INSB_IiEEEEjNS1_19radix_merge_compareILb0ELb0EbNS0_19identity_decomposerEEEEE10hipError_tT0_T1_T2_jT3_P12ihipStream_tbPNSt15iterator_traitsISK_E10value_typeEPNSQ_ISL_E10value_typeEPSM_NS1_7vsmem_tEENKUlT_SK_SL_SM_E_clIPbSD_PiSF_EESJ_SZ_SK_SL_SM_EUlSZ_E1_NS1_11comp_targetILNS1_3genE3ELNS1_11target_archE908ELNS1_3gpuE7ELNS1_3repE0EEENS1_36merge_oddeven_config_static_selectorELNS0_4arch9wavefront6targetE1EEEvSL_: ; @_ZN7rocprim17ROCPRIM_400000_NS6detail17trampoline_kernelINS0_14default_configENS1_38merge_sort_block_merge_config_selectorIbiEEZZNS1_27merge_sort_block_merge_implIS3_N6thrust23THRUST_200600_302600_NS6detail15normal_iteratorINS8_10device_ptrIbEEEENSA_INSB_IiEEEEjNS1_19radix_merge_compareILb0ELb0EbNS0_19identity_decomposerEEEEE10hipError_tT0_T1_T2_jT3_P12ihipStream_tbPNSt15iterator_traitsISK_E10value_typeEPNSQ_ISL_E10value_typeEPSM_NS1_7vsmem_tEENKUlT_SK_SL_SM_E_clIPbSD_PiSF_EESJ_SZ_SK_SL_SM_EUlSZ_E1_NS1_11comp_targetILNS1_3genE3ELNS1_11target_archE908ELNS1_3gpuE7ELNS1_3repE0EEENS1_36merge_oddeven_config_static_selectorELNS0_4arch9wavefront6targetE1EEEvSL_
; %bb.0:
	.section	.rodata,"a",@progbits
	.p2align	6, 0x0
	.amdhsa_kernel _ZN7rocprim17ROCPRIM_400000_NS6detail17trampoline_kernelINS0_14default_configENS1_38merge_sort_block_merge_config_selectorIbiEEZZNS1_27merge_sort_block_merge_implIS3_N6thrust23THRUST_200600_302600_NS6detail15normal_iteratorINS8_10device_ptrIbEEEENSA_INSB_IiEEEEjNS1_19radix_merge_compareILb0ELb0EbNS0_19identity_decomposerEEEEE10hipError_tT0_T1_T2_jT3_P12ihipStream_tbPNSt15iterator_traitsISK_E10value_typeEPNSQ_ISL_E10value_typeEPSM_NS1_7vsmem_tEENKUlT_SK_SL_SM_E_clIPbSD_PiSF_EESJ_SZ_SK_SL_SM_EUlSZ_E1_NS1_11comp_targetILNS1_3genE3ELNS1_11target_archE908ELNS1_3gpuE7ELNS1_3repE0EEENS1_36merge_oddeven_config_static_selectorELNS0_4arch9wavefront6targetE1EEEvSL_
		.amdhsa_group_segment_fixed_size 0
		.amdhsa_private_segment_fixed_size 0
		.amdhsa_kernarg_size 48
		.amdhsa_user_sgpr_count 2
		.amdhsa_user_sgpr_dispatch_ptr 0
		.amdhsa_user_sgpr_queue_ptr 0
		.amdhsa_user_sgpr_kernarg_segment_ptr 1
		.amdhsa_user_sgpr_dispatch_id 0
		.amdhsa_user_sgpr_kernarg_preload_length 0
		.amdhsa_user_sgpr_kernarg_preload_offset 0
		.amdhsa_user_sgpr_private_segment_size 0
		.amdhsa_uses_dynamic_stack 0
		.amdhsa_enable_private_segment 0
		.amdhsa_system_sgpr_workgroup_id_x 1
		.amdhsa_system_sgpr_workgroup_id_y 0
		.amdhsa_system_sgpr_workgroup_id_z 0
		.amdhsa_system_sgpr_workgroup_info 0
		.amdhsa_system_vgpr_workitem_id 0
		.amdhsa_next_free_vgpr 1
		.amdhsa_next_free_sgpr 0
		.amdhsa_accum_offset 4
		.amdhsa_reserve_vcc 0
		.amdhsa_float_round_mode_32 0
		.amdhsa_float_round_mode_16_64 0
		.amdhsa_float_denorm_mode_32 3
		.amdhsa_float_denorm_mode_16_64 3
		.amdhsa_dx10_clamp 1
		.amdhsa_ieee_mode 1
		.amdhsa_fp16_overflow 0
		.amdhsa_tg_split 0
		.amdhsa_exception_fp_ieee_invalid_op 0
		.amdhsa_exception_fp_denorm_src 0
		.amdhsa_exception_fp_ieee_div_zero 0
		.amdhsa_exception_fp_ieee_overflow 0
		.amdhsa_exception_fp_ieee_underflow 0
		.amdhsa_exception_fp_ieee_inexact 0
		.amdhsa_exception_int_div_zero 0
	.end_amdhsa_kernel
	.section	.text._ZN7rocprim17ROCPRIM_400000_NS6detail17trampoline_kernelINS0_14default_configENS1_38merge_sort_block_merge_config_selectorIbiEEZZNS1_27merge_sort_block_merge_implIS3_N6thrust23THRUST_200600_302600_NS6detail15normal_iteratorINS8_10device_ptrIbEEEENSA_INSB_IiEEEEjNS1_19radix_merge_compareILb0ELb0EbNS0_19identity_decomposerEEEEE10hipError_tT0_T1_T2_jT3_P12ihipStream_tbPNSt15iterator_traitsISK_E10value_typeEPNSQ_ISL_E10value_typeEPSM_NS1_7vsmem_tEENKUlT_SK_SL_SM_E_clIPbSD_PiSF_EESJ_SZ_SK_SL_SM_EUlSZ_E1_NS1_11comp_targetILNS1_3genE3ELNS1_11target_archE908ELNS1_3gpuE7ELNS1_3repE0EEENS1_36merge_oddeven_config_static_selectorELNS0_4arch9wavefront6targetE1EEEvSL_,"axG",@progbits,_ZN7rocprim17ROCPRIM_400000_NS6detail17trampoline_kernelINS0_14default_configENS1_38merge_sort_block_merge_config_selectorIbiEEZZNS1_27merge_sort_block_merge_implIS3_N6thrust23THRUST_200600_302600_NS6detail15normal_iteratorINS8_10device_ptrIbEEEENSA_INSB_IiEEEEjNS1_19radix_merge_compareILb0ELb0EbNS0_19identity_decomposerEEEEE10hipError_tT0_T1_T2_jT3_P12ihipStream_tbPNSt15iterator_traitsISK_E10value_typeEPNSQ_ISL_E10value_typeEPSM_NS1_7vsmem_tEENKUlT_SK_SL_SM_E_clIPbSD_PiSF_EESJ_SZ_SK_SL_SM_EUlSZ_E1_NS1_11comp_targetILNS1_3genE3ELNS1_11target_archE908ELNS1_3gpuE7ELNS1_3repE0EEENS1_36merge_oddeven_config_static_selectorELNS0_4arch9wavefront6targetE1EEEvSL_,comdat
.Lfunc_end1929:
	.size	_ZN7rocprim17ROCPRIM_400000_NS6detail17trampoline_kernelINS0_14default_configENS1_38merge_sort_block_merge_config_selectorIbiEEZZNS1_27merge_sort_block_merge_implIS3_N6thrust23THRUST_200600_302600_NS6detail15normal_iteratorINS8_10device_ptrIbEEEENSA_INSB_IiEEEEjNS1_19radix_merge_compareILb0ELb0EbNS0_19identity_decomposerEEEEE10hipError_tT0_T1_T2_jT3_P12ihipStream_tbPNSt15iterator_traitsISK_E10value_typeEPNSQ_ISL_E10value_typeEPSM_NS1_7vsmem_tEENKUlT_SK_SL_SM_E_clIPbSD_PiSF_EESJ_SZ_SK_SL_SM_EUlSZ_E1_NS1_11comp_targetILNS1_3genE3ELNS1_11target_archE908ELNS1_3gpuE7ELNS1_3repE0EEENS1_36merge_oddeven_config_static_selectorELNS0_4arch9wavefront6targetE1EEEvSL_, .Lfunc_end1929-_ZN7rocprim17ROCPRIM_400000_NS6detail17trampoline_kernelINS0_14default_configENS1_38merge_sort_block_merge_config_selectorIbiEEZZNS1_27merge_sort_block_merge_implIS3_N6thrust23THRUST_200600_302600_NS6detail15normal_iteratorINS8_10device_ptrIbEEEENSA_INSB_IiEEEEjNS1_19radix_merge_compareILb0ELb0EbNS0_19identity_decomposerEEEEE10hipError_tT0_T1_T2_jT3_P12ihipStream_tbPNSt15iterator_traitsISK_E10value_typeEPNSQ_ISL_E10value_typeEPSM_NS1_7vsmem_tEENKUlT_SK_SL_SM_E_clIPbSD_PiSF_EESJ_SZ_SK_SL_SM_EUlSZ_E1_NS1_11comp_targetILNS1_3genE3ELNS1_11target_archE908ELNS1_3gpuE7ELNS1_3repE0EEENS1_36merge_oddeven_config_static_selectorELNS0_4arch9wavefront6targetE1EEEvSL_
                                        ; -- End function
	.set _ZN7rocprim17ROCPRIM_400000_NS6detail17trampoline_kernelINS0_14default_configENS1_38merge_sort_block_merge_config_selectorIbiEEZZNS1_27merge_sort_block_merge_implIS3_N6thrust23THRUST_200600_302600_NS6detail15normal_iteratorINS8_10device_ptrIbEEEENSA_INSB_IiEEEEjNS1_19radix_merge_compareILb0ELb0EbNS0_19identity_decomposerEEEEE10hipError_tT0_T1_T2_jT3_P12ihipStream_tbPNSt15iterator_traitsISK_E10value_typeEPNSQ_ISL_E10value_typeEPSM_NS1_7vsmem_tEENKUlT_SK_SL_SM_E_clIPbSD_PiSF_EESJ_SZ_SK_SL_SM_EUlSZ_E1_NS1_11comp_targetILNS1_3genE3ELNS1_11target_archE908ELNS1_3gpuE7ELNS1_3repE0EEENS1_36merge_oddeven_config_static_selectorELNS0_4arch9wavefront6targetE1EEEvSL_.num_vgpr, 0
	.set _ZN7rocprim17ROCPRIM_400000_NS6detail17trampoline_kernelINS0_14default_configENS1_38merge_sort_block_merge_config_selectorIbiEEZZNS1_27merge_sort_block_merge_implIS3_N6thrust23THRUST_200600_302600_NS6detail15normal_iteratorINS8_10device_ptrIbEEEENSA_INSB_IiEEEEjNS1_19radix_merge_compareILb0ELb0EbNS0_19identity_decomposerEEEEE10hipError_tT0_T1_T2_jT3_P12ihipStream_tbPNSt15iterator_traitsISK_E10value_typeEPNSQ_ISL_E10value_typeEPSM_NS1_7vsmem_tEENKUlT_SK_SL_SM_E_clIPbSD_PiSF_EESJ_SZ_SK_SL_SM_EUlSZ_E1_NS1_11comp_targetILNS1_3genE3ELNS1_11target_archE908ELNS1_3gpuE7ELNS1_3repE0EEENS1_36merge_oddeven_config_static_selectorELNS0_4arch9wavefront6targetE1EEEvSL_.num_agpr, 0
	.set _ZN7rocprim17ROCPRIM_400000_NS6detail17trampoline_kernelINS0_14default_configENS1_38merge_sort_block_merge_config_selectorIbiEEZZNS1_27merge_sort_block_merge_implIS3_N6thrust23THRUST_200600_302600_NS6detail15normal_iteratorINS8_10device_ptrIbEEEENSA_INSB_IiEEEEjNS1_19radix_merge_compareILb0ELb0EbNS0_19identity_decomposerEEEEE10hipError_tT0_T1_T2_jT3_P12ihipStream_tbPNSt15iterator_traitsISK_E10value_typeEPNSQ_ISL_E10value_typeEPSM_NS1_7vsmem_tEENKUlT_SK_SL_SM_E_clIPbSD_PiSF_EESJ_SZ_SK_SL_SM_EUlSZ_E1_NS1_11comp_targetILNS1_3genE3ELNS1_11target_archE908ELNS1_3gpuE7ELNS1_3repE0EEENS1_36merge_oddeven_config_static_selectorELNS0_4arch9wavefront6targetE1EEEvSL_.numbered_sgpr, 0
	.set _ZN7rocprim17ROCPRIM_400000_NS6detail17trampoline_kernelINS0_14default_configENS1_38merge_sort_block_merge_config_selectorIbiEEZZNS1_27merge_sort_block_merge_implIS3_N6thrust23THRUST_200600_302600_NS6detail15normal_iteratorINS8_10device_ptrIbEEEENSA_INSB_IiEEEEjNS1_19radix_merge_compareILb0ELb0EbNS0_19identity_decomposerEEEEE10hipError_tT0_T1_T2_jT3_P12ihipStream_tbPNSt15iterator_traitsISK_E10value_typeEPNSQ_ISL_E10value_typeEPSM_NS1_7vsmem_tEENKUlT_SK_SL_SM_E_clIPbSD_PiSF_EESJ_SZ_SK_SL_SM_EUlSZ_E1_NS1_11comp_targetILNS1_3genE3ELNS1_11target_archE908ELNS1_3gpuE7ELNS1_3repE0EEENS1_36merge_oddeven_config_static_selectorELNS0_4arch9wavefront6targetE1EEEvSL_.num_named_barrier, 0
	.set _ZN7rocprim17ROCPRIM_400000_NS6detail17trampoline_kernelINS0_14default_configENS1_38merge_sort_block_merge_config_selectorIbiEEZZNS1_27merge_sort_block_merge_implIS3_N6thrust23THRUST_200600_302600_NS6detail15normal_iteratorINS8_10device_ptrIbEEEENSA_INSB_IiEEEEjNS1_19radix_merge_compareILb0ELb0EbNS0_19identity_decomposerEEEEE10hipError_tT0_T1_T2_jT3_P12ihipStream_tbPNSt15iterator_traitsISK_E10value_typeEPNSQ_ISL_E10value_typeEPSM_NS1_7vsmem_tEENKUlT_SK_SL_SM_E_clIPbSD_PiSF_EESJ_SZ_SK_SL_SM_EUlSZ_E1_NS1_11comp_targetILNS1_3genE3ELNS1_11target_archE908ELNS1_3gpuE7ELNS1_3repE0EEENS1_36merge_oddeven_config_static_selectorELNS0_4arch9wavefront6targetE1EEEvSL_.private_seg_size, 0
	.set _ZN7rocprim17ROCPRIM_400000_NS6detail17trampoline_kernelINS0_14default_configENS1_38merge_sort_block_merge_config_selectorIbiEEZZNS1_27merge_sort_block_merge_implIS3_N6thrust23THRUST_200600_302600_NS6detail15normal_iteratorINS8_10device_ptrIbEEEENSA_INSB_IiEEEEjNS1_19radix_merge_compareILb0ELb0EbNS0_19identity_decomposerEEEEE10hipError_tT0_T1_T2_jT3_P12ihipStream_tbPNSt15iterator_traitsISK_E10value_typeEPNSQ_ISL_E10value_typeEPSM_NS1_7vsmem_tEENKUlT_SK_SL_SM_E_clIPbSD_PiSF_EESJ_SZ_SK_SL_SM_EUlSZ_E1_NS1_11comp_targetILNS1_3genE3ELNS1_11target_archE908ELNS1_3gpuE7ELNS1_3repE0EEENS1_36merge_oddeven_config_static_selectorELNS0_4arch9wavefront6targetE1EEEvSL_.uses_vcc, 0
	.set _ZN7rocprim17ROCPRIM_400000_NS6detail17trampoline_kernelINS0_14default_configENS1_38merge_sort_block_merge_config_selectorIbiEEZZNS1_27merge_sort_block_merge_implIS3_N6thrust23THRUST_200600_302600_NS6detail15normal_iteratorINS8_10device_ptrIbEEEENSA_INSB_IiEEEEjNS1_19radix_merge_compareILb0ELb0EbNS0_19identity_decomposerEEEEE10hipError_tT0_T1_T2_jT3_P12ihipStream_tbPNSt15iterator_traitsISK_E10value_typeEPNSQ_ISL_E10value_typeEPSM_NS1_7vsmem_tEENKUlT_SK_SL_SM_E_clIPbSD_PiSF_EESJ_SZ_SK_SL_SM_EUlSZ_E1_NS1_11comp_targetILNS1_3genE3ELNS1_11target_archE908ELNS1_3gpuE7ELNS1_3repE0EEENS1_36merge_oddeven_config_static_selectorELNS0_4arch9wavefront6targetE1EEEvSL_.uses_flat_scratch, 0
	.set _ZN7rocprim17ROCPRIM_400000_NS6detail17trampoline_kernelINS0_14default_configENS1_38merge_sort_block_merge_config_selectorIbiEEZZNS1_27merge_sort_block_merge_implIS3_N6thrust23THRUST_200600_302600_NS6detail15normal_iteratorINS8_10device_ptrIbEEEENSA_INSB_IiEEEEjNS1_19radix_merge_compareILb0ELb0EbNS0_19identity_decomposerEEEEE10hipError_tT0_T1_T2_jT3_P12ihipStream_tbPNSt15iterator_traitsISK_E10value_typeEPNSQ_ISL_E10value_typeEPSM_NS1_7vsmem_tEENKUlT_SK_SL_SM_E_clIPbSD_PiSF_EESJ_SZ_SK_SL_SM_EUlSZ_E1_NS1_11comp_targetILNS1_3genE3ELNS1_11target_archE908ELNS1_3gpuE7ELNS1_3repE0EEENS1_36merge_oddeven_config_static_selectorELNS0_4arch9wavefront6targetE1EEEvSL_.has_dyn_sized_stack, 0
	.set _ZN7rocprim17ROCPRIM_400000_NS6detail17trampoline_kernelINS0_14default_configENS1_38merge_sort_block_merge_config_selectorIbiEEZZNS1_27merge_sort_block_merge_implIS3_N6thrust23THRUST_200600_302600_NS6detail15normal_iteratorINS8_10device_ptrIbEEEENSA_INSB_IiEEEEjNS1_19radix_merge_compareILb0ELb0EbNS0_19identity_decomposerEEEEE10hipError_tT0_T1_T2_jT3_P12ihipStream_tbPNSt15iterator_traitsISK_E10value_typeEPNSQ_ISL_E10value_typeEPSM_NS1_7vsmem_tEENKUlT_SK_SL_SM_E_clIPbSD_PiSF_EESJ_SZ_SK_SL_SM_EUlSZ_E1_NS1_11comp_targetILNS1_3genE3ELNS1_11target_archE908ELNS1_3gpuE7ELNS1_3repE0EEENS1_36merge_oddeven_config_static_selectorELNS0_4arch9wavefront6targetE1EEEvSL_.has_recursion, 0
	.set _ZN7rocprim17ROCPRIM_400000_NS6detail17trampoline_kernelINS0_14default_configENS1_38merge_sort_block_merge_config_selectorIbiEEZZNS1_27merge_sort_block_merge_implIS3_N6thrust23THRUST_200600_302600_NS6detail15normal_iteratorINS8_10device_ptrIbEEEENSA_INSB_IiEEEEjNS1_19radix_merge_compareILb0ELb0EbNS0_19identity_decomposerEEEEE10hipError_tT0_T1_T2_jT3_P12ihipStream_tbPNSt15iterator_traitsISK_E10value_typeEPNSQ_ISL_E10value_typeEPSM_NS1_7vsmem_tEENKUlT_SK_SL_SM_E_clIPbSD_PiSF_EESJ_SZ_SK_SL_SM_EUlSZ_E1_NS1_11comp_targetILNS1_3genE3ELNS1_11target_archE908ELNS1_3gpuE7ELNS1_3repE0EEENS1_36merge_oddeven_config_static_selectorELNS0_4arch9wavefront6targetE1EEEvSL_.has_indirect_call, 0
	.section	.AMDGPU.csdata,"",@progbits
; Kernel info:
; codeLenInByte = 0
; TotalNumSgprs: 6
; NumVgprs: 0
; NumAgprs: 0
; TotalNumVgprs: 0
; ScratchSize: 0
; MemoryBound: 0
; FloatMode: 240
; IeeeMode: 1
; LDSByteSize: 0 bytes/workgroup (compile time only)
; SGPRBlocks: 0
; VGPRBlocks: 0
; NumSGPRsForWavesPerEU: 6
; NumVGPRsForWavesPerEU: 1
; AccumOffset: 4
; Occupancy: 8
; WaveLimiterHint : 0
; COMPUTE_PGM_RSRC2:SCRATCH_EN: 0
; COMPUTE_PGM_RSRC2:USER_SGPR: 2
; COMPUTE_PGM_RSRC2:TRAP_HANDLER: 0
; COMPUTE_PGM_RSRC2:TGID_X_EN: 1
; COMPUTE_PGM_RSRC2:TGID_Y_EN: 0
; COMPUTE_PGM_RSRC2:TGID_Z_EN: 0
; COMPUTE_PGM_RSRC2:TIDIG_COMP_CNT: 0
; COMPUTE_PGM_RSRC3_GFX90A:ACCUM_OFFSET: 0
; COMPUTE_PGM_RSRC3_GFX90A:TG_SPLIT: 0
	.section	.text._ZN7rocprim17ROCPRIM_400000_NS6detail17trampoline_kernelINS0_14default_configENS1_38merge_sort_block_merge_config_selectorIbiEEZZNS1_27merge_sort_block_merge_implIS3_N6thrust23THRUST_200600_302600_NS6detail15normal_iteratorINS8_10device_ptrIbEEEENSA_INSB_IiEEEEjNS1_19radix_merge_compareILb0ELb0EbNS0_19identity_decomposerEEEEE10hipError_tT0_T1_T2_jT3_P12ihipStream_tbPNSt15iterator_traitsISK_E10value_typeEPNSQ_ISL_E10value_typeEPSM_NS1_7vsmem_tEENKUlT_SK_SL_SM_E_clIPbSD_PiSF_EESJ_SZ_SK_SL_SM_EUlSZ_E1_NS1_11comp_targetILNS1_3genE2ELNS1_11target_archE906ELNS1_3gpuE6ELNS1_3repE0EEENS1_36merge_oddeven_config_static_selectorELNS0_4arch9wavefront6targetE1EEEvSL_,"axG",@progbits,_ZN7rocprim17ROCPRIM_400000_NS6detail17trampoline_kernelINS0_14default_configENS1_38merge_sort_block_merge_config_selectorIbiEEZZNS1_27merge_sort_block_merge_implIS3_N6thrust23THRUST_200600_302600_NS6detail15normal_iteratorINS8_10device_ptrIbEEEENSA_INSB_IiEEEEjNS1_19radix_merge_compareILb0ELb0EbNS0_19identity_decomposerEEEEE10hipError_tT0_T1_T2_jT3_P12ihipStream_tbPNSt15iterator_traitsISK_E10value_typeEPNSQ_ISL_E10value_typeEPSM_NS1_7vsmem_tEENKUlT_SK_SL_SM_E_clIPbSD_PiSF_EESJ_SZ_SK_SL_SM_EUlSZ_E1_NS1_11comp_targetILNS1_3genE2ELNS1_11target_archE906ELNS1_3gpuE6ELNS1_3repE0EEENS1_36merge_oddeven_config_static_selectorELNS0_4arch9wavefront6targetE1EEEvSL_,comdat
	.protected	_ZN7rocprim17ROCPRIM_400000_NS6detail17trampoline_kernelINS0_14default_configENS1_38merge_sort_block_merge_config_selectorIbiEEZZNS1_27merge_sort_block_merge_implIS3_N6thrust23THRUST_200600_302600_NS6detail15normal_iteratorINS8_10device_ptrIbEEEENSA_INSB_IiEEEEjNS1_19radix_merge_compareILb0ELb0EbNS0_19identity_decomposerEEEEE10hipError_tT0_T1_T2_jT3_P12ihipStream_tbPNSt15iterator_traitsISK_E10value_typeEPNSQ_ISL_E10value_typeEPSM_NS1_7vsmem_tEENKUlT_SK_SL_SM_E_clIPbSD_PiSF_EESJ_SZ_SK_SL_SM_EUlSZ_E1_NS1_11comp_targetILNS1_3genE2ELNS1_11target_archE906ELNS1_3gpuE6ELNS1_3repE0EEENS1_36merge_oddeven_config_static_selectorELNS0_4arch9wavefront6targetE1EEEvSL_ ; -- Begin function _ZN7rocprim17ROCPRIM_400000_NS6detail17trampoline_kernelINS0_14default_configENS1_38merge_sort_block_merge_config_selectorIbiEEZZNS1_27merge_sort_block_merge_implIS3_N6thrust23THRUST_200600_302600_NS6detail15normal_iteratorINS8_10device_ptrIbEEEENSA_INSB_IiEEEEjNS1_19radix_merge_compareILb0ELb0EbNS0_19identity_decomposerEEEEE10hipError_tT0_T1_T2_jT3_P12ihipStream_tbPNSt15iterator_traitsISK_E10value_typeEPNSQ_ISL_E10value_typeEPSM_NS1_7vsmem_tEENKUlT_SK_SL_SM_E_clIPbSD_PiSF_EESJ_SZ_SK_SL_SM_EUlSZ_E1_NS1_11comp_targetILNS1_3genE2ELNS1_11target_archE906ELNS1_3gpuE6ELNS1_3repE0EEENS1_36merge_oddeven_config_static_selectorELNS0_4arch9wavefront6targetE1EEEvSL_
	.globl	_ZN7rocprim17ROCPRIM_400000_NS6detail17trampoline_kernelINS0_14default_configENS1_38merge_sort_block_merge_config_selectorIbiEEZZNS1_27merge_sort_block_merge_implIS3_N6thrust23THRUST_200600_302600_NS6detail15normal_iteratorINS8_10device_ptrIbEEEENSA_INSB_IiEEEEjNS1_19radix_merge_compareILb0ELb0EbNS0_19identity_decomposerEEEEE10hipError_tT0_T1_T2_jT3_P12ihipStream_tbPNSt15iterator_traitsISK_E10value_typeEPNSQ_ISL_E10value_typeEPSM_NS1_7vsmem_tEENKUlT_SK_SL_SM_E_clIPbSD_PiSF_EESJ_SZ_SK_SL_SM_EUlSZ_E1_NS1_11comp_targetILNS1_3genE2ELNS1_11target_archE906ELNS1_3gpuE6ELNS1_3repE0EEENS1_36merge_oddeven_config_static_selectorELNS0_4arch9wavefront6targetE1EEEvSL_
	.p2align	8
	.type	_ZN7rocprim17ROCPRIM_400000_NS6detail17trampoline_kernelINS0_14default_configENS1_38merge_sort_block_merge_config_selectorIbiEEZZNS1_27merge_sort_block_merge_implIS3_N6thrust23THRUST_200600_302600_NS6detail15normal_iteratorINS8_10device_ptrIbEEEENSA_INSB_IiEEEEjNS1_19radix_merge_compareILb0ELb0EbNS0_19identity_decomposerEEEEE10hipError_tT0_T1_T2_jT3_P12ihipStream_tbPNSt15iterator_traitsISK_E10value_typeEPNSQ_ISL_E10value_typeEPSM_NS1_7vsmem_tEENKUlT_SK_SL_SM_E_clIPbSD_PiSF_EESJ_SZ_SK_SL_SM_EUlSZ_E1_NS1_11comp_targetILNS1_3genE2ELNS1_11target_archE906ELNS1_3gpuE6ELNS1_3repE0EEENS1_36merge_oddeven_config_static_selectorELNS0_4arch9wavefront6targetE1EEEvSL_,@function
_ZN7rocprim17ROCPRIM_400000_NS6detail17trampoline_kernelINS0_14default_configENS1_38merge_sort_block_merge_config_selectorIbiEEZZNS1_27merge_sort_block_merge_implIS3_N6thrust23THRUST_200600_302600_NS6detail15normal_iteratorINS8_10device_ptrIbEEEENSA_INSB_IiEEEEjNS1_19radix_merge_compareILb0ELb0EbNS0_19identity_decomposerEEEEE10hipError_tT0_T1_T2_jT3_P12ihipStream_tbPNSt15iterator_traitsISK_E10value_typeEPNSQ_ISL_E10value_typeEPSM_NS1_7vsmem_tEENKUlT_SK_SL_SM_E_clIPbSD_PiSF_EESJ_SZ_SK_SL_SM_EUlSZ_E1_NS1_11comp_targetILNS1_3genE2ELNS1_11target_archE906ELNS1_3gpuE6ELNS1_3repE0EEENS1_36merge_oddeven_config_static_selectorELNS0_4arch9wavefront6targetE1EEEvSL_: ; @_ZN7rocprim17ROCPRIM_400000_NS6detail17trampoline_kernelINS0_14default_configENS1_38merge_sort_block_merge_config_selectorIbiEEZZNS1_27merge_sort_block_merge_implIS3_N6thrust23THRUST_200600_302600_NS6detail15normal_iteratorINS8_10device_ptrIbEEEENSA_INSB_IiEEEEjNS1_19radix_merge_compareILb0ELb0EbNS0_19identity_decomposerEEEEE10hipError_tT0_T1_T2_jT3_P12ihipStream_tbPNSt15iterator_traitsISK_E10value_typeEPNSQ_ISL_E10value_typeEPSM_NS1_7vsmem_tEENKUlT_SK_SL_SM_E_clIPbSD_PiSF_EESJ_SZ_SK_SL_SM_EUlSZ_E1_NS1_11comp_targetILNS1_3genE2ELNS1_11target_archE906ELNS1_3gpuE6ELNS1_3repE0EEENS1_36merge_oddeven_config_static_selectorELNS0_4arch9wavefront6targetE1EEEvSL_
; %bb.0:
	.section	.rodata,"a",@progbits
	.p2align	6, 0x0
	.amdhsa_kernel _ZN7rocprim17ROCPRIM_400000_NS6detail17trampoline_kernelINS0_14default_configENS1_38merge_sort_block_merge_config_selectorIbiEEZZNS1_27merge_sort_block_merge_implIS3_N6thrust23THRUST_200600_302600_NS6detail15normal_iteratorINS8_10device_ptrIbEEEENSA_INSB_IiEEEEjNS1_19radix_merge_compareILb0ELb0EbNS0_19identity_decomposerEEEEE10hipError_tT0_T1_T2_jT3_P12ihipStream_tbPNSt15iterator_traitsISK_E10value_typeEPNSQ_ISL_E10value_typeEPSM_NS1_7vsmem_tEENKUlT_SK_SL_SM_E_clIPbSD_PiSF_EESJ_SZ_SK_SL_SM_EUlSZ_E1_NS1_11comp_targetILNS1_3genE2ELNS1_11target_archE906ELNS1_3gpuE6ELNS1_3repE0EEENS1_36merge_oddeven_config_static_selectorELNS0_4arch9wavefront6targetE1EEEvSL_
		.amdhsa_group_segment_fixed_size 0
		.amdhsa_private_segment_fixed_size 0
		.amdhsa_kernarg_size 48
		.amdhsa_user_sgpr_count 2
		.amdhsa_user_sgpr_dispatch_ptr 0
		.amdhsa_user_sgpr_queue_ptr 0
		.amdhsa_user_sgpr_kernarg_segment_ptr 1
		.amdhsa_user_sgpr_dispatch_id 0
		.amdhsa_user_sgpr_kernarg_preload_length 0
		.amdhsa_user_sgpr_kernarg_preload_offset 0
		.amdhsa_user_sgpr_private_segment_size 0
		.amdhsa_uses_dynamic_stack 0
		.amdhsa_enable_private_segment 0
		.amdhsa_system_sgpr_workgroup_id_x 1
		.amdhsa_system_sgpr_workgroup_id_y 0
		.amdhsa_system_sgpr_workgroup_id_z 0
		.amdhsa_system_sgpr_workgroup_info 0
		.amdhsa_system_vgpr_workitem_id 0
		.amdhsa_next_free_vgpr 1
		.amdhsa_next_free_sgpr 0
		.amdhsa_accum_offset 4
		.amdhsa_reserve_vcc 0
		.amdhsa_float_round_mode_32 0
		.amdhsa_float_round_mode_16_64 0
		.amdhsa_float_denorm_mode_32 3
		.amdhsa_float_denorm_mode_16_64 3
		.amdhsa_dx10_clamp 1
		.amdhsa_ieee_mode 1
		.amdhsa_fp16_overflow 0
		.amdhsa_tg_split 0
		.amdhsa_exception_fp_ieee_invalid_op 0
		.amdhsa_exception_fp_denorm_src 0
		.amdhsa_exception_fp_ieee_div_zero 0
		.amdhsa_exception_fp_ieee_overflow 0
		.amdhsa_exception_fp_ieee_underflow 0
		.amdhsa_exception_fp_ieee_inexact 0
		.amdhsa_exception_int_div_zero 0
	.end_amdhsa_kernel
	.section	.text._ZN7rocprim17ROCPRIM_400000_NS6detail17trampoline_kernelINS0_14default_configENS1_38merge_sort_block_merge_config_selectorIbiEEZZNS1_27merge_sort_block_merge_implIS3_N6thrust23THRUST_200600_302600_NS6detail15normal_iteratorINS8_10device_ptrIbEEEENSA_INSB_IiEEEEjNS1_19radix_merge_compareILb0ELb0EbNS0_19identity_decomposerEEEEE10hipError_tT0_T1_T2_jT3_P12ihipStream_tbPNSt15iterator_traitsISK_E10value_typeEPNSQ_ISL_E10value_typeEPSM_NS1_7vsmem_tEENKUlT_SK_SL_SM_E_clIPbSD_PiSF_EESJ_SZ_SK_SL_SM_EUlSZ_E1_NS1_11comp_targetILNS1_3genE2ELNS1_11target_archE906ELNS1_3gpuE6ELNS1_3repE0EEENS1_36merge_oddeven_config_static_selectorELNS0_4arch9wavefront6targetE1EEEvSL_,"axG",@progbits,_ZN7rocprim17ROCPRIM_400000_NS6detail17trampoline_kernelINS0_14default_configENS1_38merge_sort_block_merge_config_selectorIbiEEZZNS1_27merge_sort_block_merge_implIS3_N6thrust23THRUST_200600_302600_NS6detail15normal_iteratorINS8_10device_ptrIbEEEENSA_INSB_IiEEEEjNS1_19radix_merge_compareILb0ELb0EbNS0_19identity_decomposerEEEEE10hipError_tT0_T1_T2_jT3_P12ihipStream_tbPNSt15iterator_traitsISK_E10value_typeEPNSQ_ISL_E10value_typeEPSM_NS1_7vsmem_tEENKUlT_SK_SL_SM_E_clIPbSD_PiSF_EESJ_SZ_SK_SL_SM_EUlSZ_E1_NS1_11comp_targetILNS1_3genE2ELNS1_11target_archE906ELNS1_3gpuE6ELNS1_3repE0EEENS1_36merge_oddeven_config_static_selectorELNS0_4arch9wavefront6targetE1EEEvSL_,comdat
.Lfunc_end1930:
	.size	_ZN7rocprim17ROCPRIM_400000_NS6detail17trampoline_kernelINS0_14default_configENS1_38merge_sort_block_merge_config_selectorIbiEEZZNS1_27merge_sort_block_merge_implIS3_N6thrust23THRUST_200600_302600_NS6detail15normal_iteratorINS8_10device_ptrIbEEEENSA_INSB_IiEEEEjNS1_19radix_merge_compareILb0ELb0EbNS0_19identity_decomposerEEEEE10hipError_tT0_T1_T2_jT3_P12ihipStream_tbPNSt15iterator_traitsISK_E10value_typeEPNSQ_ISL_E10value_typeEPSM_NS1_7vsmem_tEENKUlT_SK_SL_SM_E_clIPbSD_PiSF_EESJ_SZ_SK_SL_SM_EUlSZ_E1_NS1_11comp_targetILNS1_3genE2ELNS1_11target_archE906ELNS1_3gpuE6ELNS1_3repE0EEENS1_36merge_oddeven_config_static_selectorELNS0_4arch9wavefront6targetE1EEEvSL_, .Lfunc_end1930-_ZN7rocprim17ROCPRIM_400000_NS6detail17trampoline_kernelINS0_14default_configENS1_38merge_sort_block_merge_config_selectorIbiEEZZNS1_27merge_sort_block_merge_implIS3_N6thrust23THRUST_200600_302600_NS6detail15normal_iteratorINS8_10device_ptrIbEEEENSA_INSB_IiEEEEjNS1_19radix_merge_compareILb0ELb0EbNS0_19identity_decomposerEEEEE10hipError_tT0_T1_T2_jT3_P12ihipStream_tbPNSt15iterator_traitsISK_E10value_typeEPNSQ_ISL_E10value_typeEPSM_NS1_7vsmem_tEENKUlT_SK_SL_SM_E_clIPbSD_PiSF_EESJ_SZ_SK_SL_SM_EUlSZ_E1_NS1_11comp_targetILNS1_3genE2ELNS1_11target_archE906ELNS1_3gpuE6ELNS1_3repE0EEENS1_36merge_oddeven_config_static_selectorELNS0_4arch9wavefront6targetE1EEEvSL_
                                        ; -- End function
	.set _ZN7rocprim17ROCPRIM_400000_NS6detail17trampoline_kernelINS0_14default_configENS1_38merge_sort_block_merge_config_selectorIbiEEZZNS1_27merge_sort_block_merge_implIS3_N6thrust23THRUST_200600_302600_NS6detail15normal_iteratorINS8_10device_ptrIbEEEENSA_INSB_IiEEEEjNS1_19radix_merge_compareILb0ELb0EbNS0_19identity_decomposerEEEEE10hipError_tT0_T1_T2_jT3_P12ihipStream_tbPNSt15iterator_traitsISK_E10value_typeEPNSQ_ISL_E10value_typeEPSM_NS1_7vsmem_tEENKUlT_SK_SL_SM_E_clIPbSD_PiSF_EESJ_SZ_SK_SL_SM_EUlSZ_E1_NS1_11comp_targetILNS1_3genE2ELNS1_11target_archE906ELNS1_3gpuE6ELNS1_3repE0EEENS1_36merge_oddeven_config_static_selectorELNS0_4arch9wavefront6targetE1EEEvSL_.num_vgpr, 0
	.set _ZN7rocprim17ROCPRIM_400000_NS6detail17trampoline_kernelINS0_14default_configENS1_38merge_sort_block_merge_config_selectorIbiEEZZNS1_27merge_sort_block_merge_implIS3_N6thrust23THRUST_200600_302600_NS6detail15normal_iteratorINS8_10device_ptrIbEEEENSA_INSB_IiEEEEjNS1_19radix_merge_compareILb0ELb0EbNS0_19identity_decomposerEEEEE10hipError_tT0_T1_T2_jT3_P12ihipStream_tbPNSt15iterator_traitsISK_E10value_typeEPNSQ_ISL_E10value_typeEPSM_NS1_7vsmem_tEENKUlT_SK_SL_SM_E_clIPbSD_PiSF_EESJ_SZ_SK_SL_SM_EUlSZ_E1_NS1_11comp_targetILNS1_3genE2ELNS1_11target_archE906ELNS1_3gpuE6ELNS1_3repE0EEENS1_36merge_oddeven_config_static_selectorELNS0_4arch9wavefront6targetE1EEEvSL_.num_agpr, 0
	.set _ZN7rocprim17ROCPRIM_400000_NS6detail17trampoline_kernelINS0_14default_configENS1_38merge_sort_block_merge_config_selectorIbiEEZZNS1_27merge_sort_block_merge_implIS3_N6thrust23THRUST_200600_302600_NS6detail15normal_iteratorINS8_10device_ptrIbEEEENSA_INSB_IiEEEEjNS1_19radix_merge_compareILb0ELb0EbNS0_19identity_decomposerEEEEE10hipError_tT0_T1_T2_jT3_P12ihipStream_tbPNSt15iterator_traitsISK_E10value_typeEPNSQ_ISL_E10value_typeEPSM_NS1_7vsmem_tEENKUlT_SK_SL_SM_E_clIPbSD_PiSF_EESJ_SZ_SK_SL_SM_EUlSZ_E1_NS1_11comp_targetILNS1_3genE2ELNS1_11target_archE906ELNS1_3gpuE6ELNS1_3repE0EEENS1_36merge_oddeven_config_static_selectorELNS0_4arch9wavefront6targetE1EEEvSL_.numbered_sgpr, 0
	.set _ZN7rocprim17ROCPRIM_400000_NS6detail17trampoline_kernelINS0_14default_configENS1_38merge_sort_block_merge_config_selectorIbiEEZZNS1_27merge_sort_block_merge_implIS3_N6thrust23THRUST_200600_302600_NS6detail15normal_iteratorINS8_10device_ptrIbEEEENSA_INSB_IiEEEEjNS1_19radix_merge_compareILb0ELb0EbNS0_19identity_decomposerEEEEE10hipError_tT0_T1_T2_jT3_P12ihipStream_tbPNSt15iterator_traitsISK_E10value_typeEPNSQ_ISL_E10value_typeEPSM_NS1_7vsmem_tEENKUlT_SK_SL_SM_E_clIPbSD_PiSF_EESJ_SZ_SK_SL_SM_EUlSZ_E1_NS1_11comp_targetILNS1_3genE2ELNS1_11target_archE906ELNS1_3gpuE6ELNS1_3repE0EEENS1_36merge_oddeven_config_static_selectorELNS0_4arch9wavefront6targetE1EEEvSL_.num_named_barrier, 0
	.set _ZN7rocprim17ROCPRIM_400000_NS6detail17trampoline_kernelINS0_14default_configENS1_38merge_sort_block_merge_config_selectorIbiEEZZNS1_27merge_sort_block_merge_implIS3_N6thrust23THRUST_200600_302600_NS6detail15normal_iteratorINS8_10device_ptrIbEEEENSA_INSB_IiEEEEjNS1_19radix_merge_compareILb0ELb0EbNS0_19identity_decomposerEEEEE10hipError_tT0_T1_T2_jT3_P12ihipStream_tbPNSt15iterator_traitsISK_E10value_typeEPNSQ_ISL_E10value_typeEPSM_NS1_7vsmem_tEENKUlT_SK_SL_SM_E_clIPbSD_PiSF_EESJ_SZ_SK_SL_SM_EUlSZ_E1_NS1_11comp_targetILNS1_3genE2ELNS1_11target_archE906ELNS1_3gpuE6ELNS1_3repE0EEENS1_36merge_oddeven_config_static_selectorELNS0_4arch9wavefront6targetE1EEEvSL_.private_seg_size, 0
	.set _ZN7rocprim17ROCPRIM_400000_NS6detail17trampoline_kernelINS0_14default_configENS1_38merge_sort_block_merge_config_selectorIbiEEZZNS1_27merge_sort_block_merge_implIS3_N6thrust23THRUST_200600_302600_NS6detail15normal_iteratorINS8_10device_ptrIbEEEENSA_INSB_IiEEEEjNS1_19radix_merge_compareILb0ELb0EbNS0_19identity_decomposerEEEEE10hipError_tT0_T1_T2_jT3_P12ihipStream_tbPNSt15iterator_traitsISK_E10value_typeEPNSQ_ISL_E10value_typeEPSM_NS1_7vsmem_tEENKUlT_SK_SL_SM_E_clIPbSD_PiSF_EESJ_SZ_SK_SL_SM_EUlSZ_E1_NS1_11comp_targetILNS1_3genE2ELNS1_11target_archE906ELNS1_3gpuE6ELNS1_3repE0EEENS1_36merge_oddeven_config_static_selectorELNS0_4arch9wavefront6targetE1EEEvSL_.uses_vcc, 0
	.set _ZN7rocprim17ROCPRIM_400000_NS6detail17trampoline_kernelINS0_14default_configENS1_38merge_sort_block_merge_config_selectorIbiEEZZNS1_27merge_sort_block_merge_implIS3_N6thrust23THRUST_200600_302600_NS6detail15normal_iteratorINS8_10device_ptrIbEEEENSA_INSB_IiEEEEjNS1_19radix_merge_compareILb0ELb0EbNS0_19identity_decomposerEEEEE10hipError_tT0_T1_T2_jT3_P12ihipStream_tbPNSt15iterator_traitsISK_E10value_typeEPNSQ_ISL_E10value_typeEPSM_NS1_7vsmem_tEENKUlT_SK_SL_SM_E_clIPbSD_PiSF_EESJ_SZ_SK_SL_SM_EUlSZ_E1_NS1_11comp_targetILNS1_3genE2ELNS1_11target_archE906ELNS1_3gpuE6ELNS1_3repE0EEENS1_36merge_oddeven_config_static_selectorELNS0_4arch9wavefront6targetE1EEEvSL_.uses_flat_scratch, 0
	.set _ZN7rocprim17ROCPRIM_400000_NS6detail17trampoline_kernelINS0_14default_configENS1_38merge_sort_block_merge_config_selectorIbiEEZZNS1_27merge_sort_block_merge_implIS3_N6thrust23THRUST_200600_302600_NS6detail15normal_iteratorINS8_10device_ptrIbEEEENSA_INSB_IiEEEEjNS1_19radix_merge_compareILb0ELb0EbNS0_19identity_decomposerEEEEE10hipError_tT0_T1_T2_jT3_P12ihipStream_tbPNSt15iterator_traitsISK_E10value_typeEPNSQ_ISL_E10value_typeEPSM_NS1_7vsmem_tEENKUlT_SK_SL_SM_E_clIPbSD_PiSF_EESJ_SZ_SK_SL_SM_EUlSZ_E1_NS1_11comp_targetILNS1_3genE2ELNS1_11target_archE906ELNS1_3gpuE6ELNS1_3repE0EEENS1_36merge_oddeven_config_static_selectorELNS0_4arch9wavefront6targetE1EEEvSL_.has_dyn_sized_stack, 0
	.set _ZN7rocprim17ROCPRIM_400000_NS6detail17trampoline_kernelINS0_14default_configENS1_38merge_sort_block_merge_config_selectorIbiEEZZNS1_27merge_sort_block_merge_implIS3_N6thrust23THRUST_200600_302600_NS6detail15normal_iteratorINS8_10device_ptrIbEEEENSA_INSB_IiEEEEjNS1_19radix_merge_compareILb0ELb0EbNS0_19identity_decomposerEEEEE10hipError_tT0_T1_T2_jT3_P12ihipStream_tbPNSt15iterator_traitsISK_E10value_typeEPNSQ_ISL_E10value_typeEPSM_NS1_7vsmem_tEENKUlT_SK_SL_SM_E_clIPbSD_PiSF_EESJ_SZ_SK_SL_SM_EUlSZ_E1_NS1_11comp_targetILNS1_3genE2ELNS1_11target_archE906ELNS1_3gpuE6ELNS1_3repE0EEENS1_36merge_oddeven_config_static_selectorELNS0_4arch9wavefront6targetE1EEEvSL_.has_recursion, 0
	.set _ZN7rocprim17ROCPRIM_400000_NS6detail17trampoline_kernelINS0_14default_configENS1_38merge_sort_block_merge_config_selectorIbiEEZZNS1_27merge_sort_block_merge_implIS3_N6thrust23THRUST_200600_302600_NS6detail15normal_iteratorINS8_10device_ptrIbEEEENSA_INSB_IiEEEEjNS1_19radix_merge_compareILb0ELb0EbNS0_19identity_decomposerEEEEE10hipError_tT0_T1_T2_jT3_P12ihipStream_tbPNSt15iterator_traitsISK_E10value_typeEPNSQ_ISL_E10value_typeEPSM_NS1_7vsmem_tEENKUlT_SK_SL_SM_E_clIPbSD_PiSF_EESJ_SZ_SK_SL_SM_EUlSZ_E1_NS1_11comp_targetILNS1_3genE2ELNS1_11target_archE906ELNS1_3gpuE6ELNS1_3repE0EEENS1_36merge_oddeven_config_static_selectorELNS0_4arch9wavefront6targetE1EEEvSL_.has_indirect_call, 0
	.section	.AMDGPU.csdata,"",@progbits
; Kernel info:
; codeLenInByte = 0
; TotalNumSgprs: 6
; NumVgprs: 0
; NumAgprs: 0
; TotalNumVgprs: 0
; ScratchSize: 0
; MemoryBound: 0
; FloatMode: 240
; IeeeMode: 1
; LDSByteSize: 0 bytes/workgroup (compile time only)
; SGPRBlocks: 0
; VGPRBlocks: 0
; NumSGPRsForWavesPerEU: 6
; NumVGPRsForWavesPerEU: 1
; AccumOffset: 4
; Occupancy: 8
; WaveLimiterHint : 0
; COMPUTE_PGM_RSRC2:SCRATCH_EN: 0
; COMPUTE_PGM_RSRC2:USER_SGPR: 2
; COMPUTE_PGM_RSRC2:TRAP_HANDLER: 0
; COMPUTE_PGM_RSRC2:TGID_X_EN: 1
; COMPUTE_PGM_RSRC2:TGID_Y_EN: 0
; COMPUTE_PGM_RSRC2:TGID_Z_EN: 0
; COMPUTE_PGM_RSRC2:TIDIG_COMP_CNT: 0
; COMPUTE_PGM_RSRC3_GFX90A:ACCUM_OFFSET: 0
; COMPUTE_PGM_RSRC3_GFX90A:TG_SPLIT: 0
	.section	.text._ZN7rocprim17ROCPRIM_400000_NS6detail17trampoline_kernelINS0_14default_configENS1_38merge_sort_block_merge_config_selectorIbiEEZZNS1_27merge_sort_block_merge_implIS3_N6thrust23THRUST_200600_302600_NS6detail15normal_iteratorINS8_10device_ptrIbEEEENSA_INSB_IiEEEEjNS1_19radix_merge_compareILb0ELb0EbNS0_19identity_decomposerEEEEE10hipError_tT0_T1_T2_jT3_P12ihipStream_tbPNSt15iterator_traitsISK_E10value_typeEPNSQ_ISL_E10value_typeEPSM_NS1_7vsmem_tEENKUlT_SK_SL_SM_E_clIPbSD_PiSF_EESJ_SZ_SK_SL_SM_EUlSZ_E1_NS1_11comp_targetILNS1_3genE9ELNS1_11target_archE1100ELNS1_3gpuE3ELNS1_3repE0EEENS1_36merge_oddeven_config_static_selectorELNS0_4arch9wavefront6targetE1EEEvSL_,"axG",@progbits,_ZN7rocprim17ROCPRIM_400000_NS6detail17trampoline_kernelINS0_14default_configENS1_38merge_sort_block_merge_config_selectorIbiEEZZNS1_27merge_sort_block_merge_implIS3_N6thrust23THRUST_200600_302600_NS6detail15normal_iteratorINS8_10device_ptrIbEEEENSA_INSB_IiEEEEjNS1_19radix_merge_compareILb0ELb0EbNS0_19identity_decomposerEEEEE10hipError_tT0_T1_T2_jT3_P12ihipStream_tbPNSt15iterator_traitsISK_E10value_typeEPNSQ_ISL_E10value_typeEPSM_NS1_7vsmem_tEENKUlT_SK_SL_SM_E_clIPbSD_PiSF_EESJ_SZ_SK_SL_SM_EUlSZ_E1_NS1_11comp_targetILNS1_3genE9ELNS1_11target_archE1100ELNS1_3gpuE3ELNS1_3repE0EEENS1_36merge_oddeven_config_static_selectorELNS0_4arch9wavefront6targetE1EEEvSL_,comdat
	.protected	_ZN7rocprim17ROCPRIM_400000_NS6detail17trampoline_kernelINS0_14default_configENS1_38merge_sort_block_merge_config_selectorIbiEEZZNS1_27merge_sort_block_merge_implIS3_N6thrust23THRUST_200600_302600_NS6detail15normal_iteratorINS8_10device_ptrIbEEEENSA_INSB_IiEEEEjNS1_19radix_merge_compareILb0ELb0EbNS0_19identity_decomposerEEEEE10hipError_tT0_T1_T2_jT3_P12ihipStream_tbPNSt15iterator_traitsISK_E10value_typeEPNSQ_ISL_E10value_typeEPSM_NS1_7vsmem_tEENKUlT_SK_SL_SM_E_clIPbSD_PiSF_EESJ_SZ_SK_SL_SM_EUlSZ_E1_NS1_11comp_targetILNS1_3genE9ELNS1_11target_archE1100ELNS1_3gpuE3ELNS1_3repE0EEENS1_36merge_oddeven_config_static_selectorELNS0_4arch9wavefront6targetE1EEEvSL_ ; -- Begin function _ZN7rocprim17ROCPRIM_400000_NS6detail17trampoline_kernelINS0_14default_configENS1_38merge_sort_block_merge_config_selectorIbiEEZZNS1_27merge_sort_block_merge_implIS3_N6thrust23THRUST_200600_302600_NS6detail15normal_iteratorINS8_10device_ptrIbEEEENSA_INSB_IiEEEEjNS1_19radix_merge_compareILb0ELb0EbNS0_19identity_decomposerEEEEE10hipError_tT0_T1_T2_jT3_P12ihipStream_tbPNSt15iterator_traitsISK_E10value_typeEPNSQ_ISL_E10value_typeEPSM_NS1_7vsmem_tEENKUlT_SK_SL_SM_E_clIPbSD_PiSF_EESJ_SZ_SK_SL_SM_EUlSZ_E1_NS1_11comp_targetILNS1_3genE9ELNS1_11target_archE1100ELNS1_3gpuE3ELNS1_3repE0EEENS1_36merge_oddeven_config_static_selectorELNS0_4arch9wavefront6targetE1EEEvSL_
	.globl	_ZN7rocprim17ROCPRIM_400000_NS6detail17trampoline_kernelINS0_14default_configENS1_38merge_sort_block_merge_config_selectorIbiEEZZNS1_27merge_sort_block_merge_implIS3_N6thrust23THRUST_200600_302600_NS6detail15normal_iteratorINS8_10device_ptrIbEEEENSA_INSB_IiEEEEjNS1_19radix_merge_compareILb0ELb0EbNS0_19identity_decomposerEEEEE10hipError_tT0_T1_T2_jT3_P12ihipStream_tbPNSt15iterator_traitsISK_E10value_typeEPNSQ_ISL_E10value_typeEPSM_NS1_7vsmem_tEENKUlT_SK_SL_SM_E_clIPbSD_PiSF_EESJ_SZ_SK_SL_SM_EUlSZ_E1_NS1_11comp_targetILNS1_3genE9ELNS1_11target_archE1100ELNS1_3gpuE3ELNS1_3repE0EEENS1_36merge_oddeven_config_static_selectorELNS0_4arch9wavefront6targetE1EEEvSL_
	.p2align	8
	.type	_ZN7rocprim17ROCPRIM_400000_NS6detail17trampoline_kernelINS0_14default_configENS1_38merge_sort_block_merge_config_selectorIbiEEZZNS1_27merge_sort_block_merge_implIS3_N6thrust23THRUST_200600_302600_NS6detail15normal_iteratorINS8_10device_ptrIbEEEENSA_INSB_IiEEEEjNS1_19radix_merge_compareILb0ELb0EbNS0_19identity_decomposerEEEEE10hipError_tT0_T1_T2_jT3_P12ihipStream_tbPNSt15iterator_traitsISK_E10value_typeEPNSQ_ISL_E10value_typeEPSM_NS1_7vsmem_tEENKUlT_SK_SL_SM_E_clIPbSD_PiSF_EESJ_SZ_SK_SL_SM_EUlSZ_E1_NS1_11comp_targetILNS1_3genE9ELNS1_11target_archE1100ELNS1_3gpuE3ELNS1_3repE0EEENS1_36merge_oddeven_config_static_selectorELNS0_4arch9wavefront6targetE1EEEvSL_,@function
_ZN7rocprim17ROCPRIM_400000_NS6detail17trampoline_kernelINS0_14default_configENS1_38merge_sort_block_merge_config_selectorIbiEEZZNS1_27merge_sort_block_merge_implIS3_N6thrust23THRUST_200600_302600_NS6detail15normal_iteratorINS8_10device_ptrIbEEEENSA_INSB_IiEEEEjNS1_19radix_merge_compareILb0ELb0EbNS0_19identity_decomposerEEEEE10hipError_tT0_T1_T2_jT3_P12ihipStream_tbPNSt15iterator_traitsISK_E10value_typeEPNSQ_ISL_E10value_typeEPSM_NS1_7vsmem_tEENKUlT_SK_SL_SM_E_clIPbSD_PiSF_EESJ_SZ_SK_SL_SM_EUlSZ_E1_NS1_11comp_targetILNS1_3genE9ELNS1_11target_archE1100ELNS1_3gpuE3ELNS1_3repE0EEENS1_36merge_oddeven_config_static_selectorELNS0_4arch9wavefront6targetE1EEEvSL_: ; @_ZN7rocprim17ROCPRIM_400000_NS6detail17trampoline_kernelINS0_14default_configENS1_38merge_sort_block_merge_config_selectorIbiEEZZNS1_27merge_sort_block_merge_implIS3_N6thrust23THRUST_200600_302600_NS6detail15normal_iteratorINS8_10device_ptrIbEEEENSA_INSB_IiEEEEjNS1_19radix_merge_compareILb0ELb0EbNS0_19identity_decomposerEEEEE10hipError_tT0_T1_T2_jT3_P12ihipStream_tbPNSt15iterator_traitsISK_E10value_typeEPNSQ_ISL_E10value_typeEPSM_NS1_7vsmem_tEENKUlT_SK_SL_SM_E_clIPbSD_PiSF_EESJ_SZ_SK_SL_SM_EUlSZ_E1_NS1_11comp_targetILNS1_3genE9ELNS1_11target_archE1100ELNS1_3gpuE3ELNS1_3repE0EEENS1_36merge_oddeven_config_static_selectorELNS0_4arch9wavefront6targetE1EEEvSL_
; %bb.0:
	.section	.rodata,"a",@progbits
	.p2align	6, 0x0
	.amdhsa_kernel _ZN7rocprim17ROCPRIM_400000_NS6detail17trampoline_kernelINS0_14default_configENS1_38merge_sort_block_merge_config_selectorIbiEEZZNS1_27merge_sort_block_merge_implIS3_N6thrust23THRUST_200600_302600_NS6detail15normal_iteratorINS8_10device_ptrIbEEEENSA_INSB_IiEEEEjNS1_19radix_merge_compareILb0ELb0EbNS0_19identity_decomposerEEEEE10hipError_tT0_T1_T2_jT3_P12ihipStream_tbPNSt15iterator_traitsISK_E10value_typeEPNSQ_ISL_E10value_typeEPSM_NS1_7vsmem_tEENKUlT_SK_SL_SM_E_clIPbSD_PiSF_EESJ_SZ_SK_SL_SM_EUlSZ_E1_NS1_11comp_targetILNS1_3genE9ELNS1_11target_archE1100ELNS1_3gpuE3ELNS1_3repE0EEENS1_36merge_oddeven_config_static_selectorELNS0_4arch9wavefront6targetE1EEEvSL_
		.amdhsa_group_segment_fixed_size 0
		.amdhsa_private_segment_fixed_size 0
		.amdhsa_kernarg_size 48
		.amdhsa_user_sgpr_count 2
		.amdhsa_user_sgpr_dispatch_ptr 0
		.amdhsa_user_sgpr_queue_ptr 0
		.amdhsa_user_sgpr_kernarg_segment_ptr 1
		.amdhsa_user_sgpr_dispatch_id 0
		.amdhsa_user_sgpr_kernarg_preload_length 0
		.amdhsa_user_sgpr_kernarg_preload_offset 0
		.amdhsa_user_sgpr_private_segment_size 0
		.amdhsa_uses_dynamic_stack 0
		.amdhsa_enable_private_segment 0
		.amdhsa_system_sgpr_workgroup_id_x 1
		.amdhsa_system_sgpr_workgroup_id_y 0
		.amdhsa_system_sgpr_workgroup_id_z 0
		.amdhsa_system_sgpr_workgroup_info 0
		.amdhsa_system_vgpr_workitem_id 0
		.amdhsa_next_free_vgpr 1
		.amdhsa_next_free_sgpr 0
		.amdhsa_accum_offset 4
		.amdhsa_reserve_vcc 0
		.amdhsa_float_round_mode_32 0
		.amdhsa_float_round_mode_16_64 0
		.amdhsa_float_denorm_mode_32 3
		.amdhsa_float_denorm_mode_16_64 3
		.amdhsa_dx10_clamp 1
		.amdhsa_ieee_mode 1
		.amdhsa_fp16_overflow 0
		.amdhsa_tg_split 0
		.amdhsa_exception_fp_ieee_invalid_op 0
		.amdhsa_exception_fp_denorm_src 0
		.amdhsa_exception_fp_ieee_div_zero 0
		.amdhsa_exception_fp_ieee_overflow 0
		.amdhsa_exception_fp_ieee_underflow 0
		.amdhsa_exception_fp_ieee_inexact 0
		.amdhsa_exception_int_div_zero 0
	.end_amdhsa_kernel
	.section	.text._ZN7rocprim17ROCPRIM_400000_NS6detail17trampoline_kernelINS0_14default_configENS1_38merge_sort_block_merge_config_selectorIbiEEZZNS1_27merge_sort_block_merge_implIS3_N6thrust23THRUST_200600_302600_NS6detail15normal_iteratorINS8_10device_ptrIbEEEENSA_INSB_IiEEEEjNS1_19radix_merge_compareILb0ELb0EbNS0_19identity_decomposerEEEEE10hipError_tT0_T1_T2_jT3_P12ihipStream_tbPNSt15iterator_traitsISK_E10value_typeEPNSQ_ISL_E10value_typeEPSM_NS1_7vsmem_tEENKUlT_SK_SL_SM_E_clIPbSD_PiSF_EESJ_SZ_SK_SL_SM_EUlSZ_E1_NS1_11comp_targetILNS1_3genE9ELNS1_11target_archE1100ELNS1_3gpuE3ELNS1_3repE0EEENS1_36merge_oddeven_config_static_selectorELNS0_4arch9wavefront6targetE1EEEvSL_,"axG",@progbits,_ZN7rocprim17ROCPRIM_400000_NS6detail17trampoline_kernelINS0_14default_configENS1_38merge_sort_block_merge_config_selectorIbiEEZZNS1_27merge_sort_block_merge_implIS3_N6thrust23THRUST_200600_302600_NS6detail15normal_iteratorINS8_10device_ptrIbEEEENSA_INSB_IiEEEEjNS1_19radix_merge_compareILb0ELb0EbNS0_19identity_decomposerEEEEE10hipError_tT0_T1_T2_jT3_P12ihipStream_tbPNSt15iterator_traitsISK_E10value_typeEPNSQ_ISL_E10value_typeEPSM_NS1_7vsmem_tEENKUlT_SK_SL_SM_E_clIPbSD_PiSF_EESJ_SZ_SK_SL_SM_EUlSZ_E1_NS1_11comp_targetILNS1_3genE9ELNS1_11target_archE1100ELNS1_3gpuE3ELNS1_3repE0EEENS1_36merge_oddeven_config_static_selectorELNS0_4arch9wavefront6targetE1EEEvSL_,comdat
.Lfunc_end1931:
	.size	_ZN7rocprim17ROCPRIM_400000_NS6detail17trampoline_kernelINS0_14default_configENS1_38merge_sort_block_merge_config_selectorIbiEEZZNS1_27merge_sort_block_merge_implIS3_N6thrust23THRUST_200600_302600_NS6detail15normal_iteratorINS8_10device_ptrIbEEEENSA_INSB_IiEEEEjNS1_19radix_merge_compareILb0ELb0EbNS0_19identity_decomposerEEEEE10hipError_tT0_T1_T2_jT3_P12ihipStream_tbPNSt15iterator_traitsISK_E10value_typeEPNSQ_ISL_E10value_typeEPSM_NS1_7vsmem_tEENKUlT_SK_SL_SM_E_clIPbSD_PiSF_EESJ_SZ_SK_SL_SM_EUlSZ_E1_NS1_11comp_targetILNS1_3genE9ELNS1_11target_archE1100ELNS1_3gpuE3ELNS1_3repE0EEENS1_36merge_oddeven_config_static_selectorELNS0_4arch9wavefront6targetE1EEEvSL_, .Lfunc_end1931-_ZN7rocprim17ROCPRIM_400000_NS6detail17trampoline_kernelINS0_14default_configENS1_38merge_sort_block_merge_config_selectorIbiEEZZNS1_27merge_sort_block_merge_implIS3_N6thrust23THRUST_200600_302600_NS6detail15normal_iteratorINS8_10device_ptrIbEEEENSA_INSB_IiEEEEjNS1_19radix_merge_compareILb0ELb0EbNS0_19identity_decomposerEEEEE10hipError_tT0_T1_T2_jT3_P12ihipStream_tbPNSt15iterator_traitsISK_E10value_typeEPNSQ_ISL_E10value_typeEPSM_NS1_7vsmem_tEENKUlT_SK_SL_SM_E_clIPbSD_PiSF_EESJ_SZ_SK_SL_SM_EUlSZ_E1_NS1_11comp_targetILNS1_3genE9ELNS1_11target_archE1100ELNS1_3gpuE3ELNS1_3repE0EEENS1_36merge_oddeven_config_static_selectorELNS0_4arch9wavefront6targetE1EEEvSL_
                                        ; -- End function
	.set _ZN7rocprim17ROCPRIM_400000_NS6detail17trampoline_kernelINS0_14default_configENS1_38merge_sort_block_merge_config_selectorIbiEEZZNS1_27merge_sort_block_merge_implIS3_N6thrust23THRUST_200600_302600_NS6detail15normal_iteratorINS8_10device_ptrIbEEEENSA_INSB_IiEEEEjNS1_19radix_merge_compareILb0ELb0EbNS0_19identity_decomposerEEEEE10hipError_tT0_T1_T2_jT3_P12ihipStream_tbPNSt15iterator_traitsISK_E10value_typeEPNSQ_ISL_E10value_typeEPSM_NS1_7vsmem_tEENKUlT_SK_SL_SM_E_clIPbSD_PiSF_EESJ_SZ_SK_SL_SM_EUlSZ_E1_NS1_11comp_targetILNS1_3genE9ELNS1_11target_archE1100ELNS1_3gpuE3ELNS1_3repE0EEENS1_36merge_oddeven_config_static_selectorELNS0_4arch9wavefront6targetE1EEEvSL_.num_vgpr, 0
	.set _ZN7rocprim17ROCPRIM_400000_NS6detail17trampoline_kernelINS0_14default_configENS1_38merge_sort_block_merge_config_selectorIbiEEZZNS1_27merge_sort_block_merge_implIS3_N6thrust23THRUST_200600_302600_NS6detail15normal_iteratorINS8_10device_ptrIbEEEENSA_INSB_IiEEEEjNS1_19radix_merge_compareILb0ELb0EbNS0_19identity_decomposerEEEEE10hipError_tT0_T1_T2_jT3_P12ihipStream_tbPNSt15iterator_traitsISK_E10value_typeEPNSQ_ISL_E10value_typeEPSM_NS1_7vsmem_tEENKUlT_SK_SL_SM_E_clIPbSD_PiSF_EESJ_SZ_SK_SL_SM_EUlSZ_E1_NS1_11comp_targetILNS1_3genE9ELNS1_11target_archE1100ELNS1_3gpuE3ELNS1_3repE0EEENS1_36merge_oddeven_config_static_selectorELNS0_4arch9wavefront6targetE1EEEvSL_.num_agpr, 0
	.set _ZN7rocprim17ROCPRIM_400000_NS6detail17trampoline_kernelINS0_14default_configENS1_38merge_sort_block_merge_config_selectorIbiEEZZNS1_27merge_sort_block_merge_implIS3_N6thrust23THRUST_200600_302600_NS6detail15normal_iteratorINS8_10device_ptrIbEEEENSA_INSB_IiEEEEjNS1_19radix_merge_compareILb0ELb0EbNS0_19identity_decomposerEEEEE10hipError_tT0_T1_T2_jT3_P12ihipStream_tbPNSt15iterator_traitsISK_E10value_typeEPNSQ_ISL_E10value_typeEPSM_NS1_7vsmem_tEENKUlT_SK_SL_SM_E_clIPbSD_PiSF_EESJ_SZ_SK_SL_SM_EUlSZ_E1_NS1_11comp_targetILNS1_3genE9ELNS1_11target_archE1100ELNS1_3gpuE3ELNS1_3repE0EEENS1_36merge_oddeven_config_static_selectorELNS0_4arch9wavefront6targetE1EEEvSL_.numbered_sgpr, 0
	.set _ZN7rocprim17ROCPRIM_400000_NS6detail17trampoline_kernelINS0_14default_configENS1_38merge_sort_block_merge_config_selectorIbiEEZZNS1_27merge_sort_block_merge_implIS3_N6thrust23THRUST_200600_302600_NS6detail15normal_iteratorINS8_10device_ptrIbEEEENSA_INSB_IiEEEEjNS1_19radix_merge_compareILb0ELb0EbNS0_19identity_decomposerEEEEE10hipError_tT0_T1_T2_jT3_P12ihipStream_tbPNSt15iterator_traitsISK_E10value_typeEPNSQ_ISL_E10value_typeEPSM_NS1_7vsmem_tEENKUlT_SK_SL_SM_E_clIPbSD_PiSF_EESJ_SZ_SK_SL_SM_EUlSZ_E1_NS1_11comp_targetILNS1_3genE9ELNS1_11target_archE1100ELNS1_3gpuE3ELNS1_3repE0EEENS1_36merge_oddeven_config_static_selectorELNS0_4arch9wavefront6targetE1EEEvSL_.num_named_barrier, 0
	.set _ZN7rocprim17ROCPRIM_400000_NS6detail17trampoline_kernelINS0_14default_configENS1_38merge_sort_block_merge_config_selectorIbiEEZZNS1_27merge_sort_block_merge_implIS3_N6thrust23THRUST_200600_302600_NS6detail15normal_iteratorINS8_10device_ptrIbEEEENSA_INSB_IiEEEEjNS1_19radix_merge_compareILb0ELb0EbNS0_19identity_decomposerEEEEE10hipError_tT0_T1_T2_jT3_P12ihipStream_tbPNSt15iterator_traitsISK_E10value_typeEPNSQ_ISL_E10value_typeEPSM_NS1_7vsmem_tEENKUlT_SK_SL_SM_E_clIPbSD_PiSF_EESJ_SZ_SK_SL_SM_EUlSZ_E1_NS1_11comp_targetILNS1_3genE9ELNS1_11target_archE1100ELNS1_3gpuE3ELNS1_3repE0EEENS1_36merge_oddeven_config_static_selectorELNS0_4arch9wavefront6targetE1EEEvSL_.private_seg_size, 0
	.set _ZN7rocprim17ROCPRIM_400000_NS6detail17trampoline_kernelINS0_14default_configENS1_38merge_sort_block_merge_config_selectorIbiEEZZNS1_27merge_sort_block_merge_implIS3_N6thrust23THRUST_200600_302600_NS6detail15normal_iteratorINS8_10device_ptrIbEEEENSA_INSB_IiEEEEjNS1_19radix_merge_compareILb0ELb0EbNS0_19identity_decomposerEEEEE10hipError_tT0_T1_T2_jT3_P12ihipStream_tbPNSt15iterator_traitsISK_E10value_typeEPNSQ_ISL_E10value_typeEPSM_NS1_7vsmem_tEENKUlT_SK_SL_SM_E_clIPbSD_PiSF_EESJ_SZ_SK_SL_SM_EUlSZ_E1_NS1_11comp_targetILNS1_3genE9ELNS1_11target_archE1100ELNS1_3gpuE3ELNS1_3repE0EEENS1_36merge_oddeven_config_static_selectorELNS0_4arch9wavefront6targetE1EEEvSL_.uses_vcc, 0
	.set _ZN7rocprim17ROCPRIM_400000_NS6detail17trampoline_kernelINS0_14default_configENS1_38merge_sort_block_merge_config_selectorIbiEEZZNS1_27merge_sort_block_merge_implIS3_N6thrust23THRUST_200600_302600_NS6detail15normal_iteratorINS8_10device_ptrIbEEEENSA_INSB_IiEEEEjNS1_19radix_merge_compareILb0ELb0EbNS0_19identity_decomposerEEEEE10hipError_tT0_T1_T2_jT3_P12ihipStream_tbPNSt15iterator_traitsISK_E10value_typeEPNSQ_ISL_E10value_typeEPSM_NS1_7vsmem_tEENKUlT_SK_SL_SM_E_clIPbSD_PiSF_EESJ_SZ_SK_SL_SM_EUlSZ_E1_NS1_11comp_targetILNS1_3genE9ELNS1_11target_archE1100ELNS1_3gpuE3ELNS1_3repE0EEENS1_36merge_oddeven_config_static_selectorELNS0_4arch9wavefront6targetE1EEEvSL_.uses_flat_scratch, 0
	.set _ZN7rocprim17ROCPRIM_400000_NS6detail17trampoline_kernelINS0_14default_configENS1_38merge_sort_block_merge_config_selectorIbiEEZZNS1_27merge_sort_block_merge_implIS3_N6thrust23THRUST_200600_302600_NS6detail15normal_iteratorINS8_10device_ptrIbEEEENSA_INSB_IiEEEEjNS1_19radix_merge_compareILb0ELb0EbNS0_19identity_decomposerEEEEE10hipError_tT0_T1_T2_jT3_P12ihipStream_tbPNSt15iterator_traitsISK_E10value_typeEPNSQ_ISL_E10value_typeEPSM_NS1_7vsmem_tEENKUlT_SK_SL_SM_E_clIPbSD_PiSF_EESJ_SZ_SK_SL_SM_EUlSZ_E1_NS1_11comp_targetILNS1_3genE9ELNS1_11target_archE1100ELNS1_3gpuE3ELNS1_3repE0EEENS1_36merge_oddeven_config_static_selectorELNS0_4arch9wavefront6targetE1EEEvSL_.has_dyn_sized_stack, 0
	.set _ZN7rocprim17ROCPRIM_400000_NS6detail17trampoline_kernelINS0_14default_configENS1_38merge_sort_block_merge_config_selectorIbiEEZZNS1_27merge_sort_block_merge_implIS3_N6thrust23THRUST_200600_302600_NS6detail15normal_iteratorINS8_10device_ptrIbEEEENSA_INSB_IiEEEEjNS1_19radix_merge_compareILb0ELb0EbNS0_19identity_decomposerEEEEE10hipError_tT0_T1_T2_jT3_P12ihipStream_tbPNSt15iterator_traitsISK_E10value_typeEPNSQ_ISL_E10value_typeEPSM_NS1_7vsmem_tEENKUlT_SK_SL_SM_E_clIPbSD_PiSF_EESJ_SZ_SK_SL_SM_EUlSZ_E1_NS1_11comp_targetILNS1_3genE9ELNS1_11target_archE1100ELNS1_3gpuE3ELNS1_3repE0EEENS1_36merge_oddeven_config_static_selectorELNS0_4arch9wavefront6targetE1EEEvSL_.has_recursion, 0
	.set _ZN7rocprim17ROCPRIM_400000_NS6detail17trampoline_kernelINS0_14default_configENS1_38merge_sort_block_merge_config_selectorIbiEEZZNS1_27merge_sort_block_merge_implIS3_N6thrust23THRUST_200600_302600_NS6detail15normal_iteratorINS8_10device_ptrIbEEEENSA_INSB_IiEEEEjNS1_19radix_merge_compareILb0ELb0EbNS0_19identity_decomposerEEEEE10hipError_tT0_T1_T2_jT3_P12ihipStream_tbPNSt15iterator_traitsISK_E10value_typeEPNSQ_ISL_E10value_typeEPSM_NS1_7vsmem_tEENKUlT_SK_SL_SM_E_clIPbSD_PiSF_EESJ_SZ_SK_SL_SM_EUlSZ_E1_NS1_11comp_targetILNS1_3genE9ELNS1_11target_archE1100ELNS1_3gpuE3ELNS1_3repE0EEENS1_36merge_oddeven_config_static_selectorELNS0_4arch9wavefront6targetE1EEEvSL_.has_indirect_call, 0
	.section	.AMDGPU.csdata,"",@progbits
; Kernel info:
; codeLenInByte = 0
; TotalNumSgprs: 6
; NumVgprs: 0
; NumAgprs: 0
; TotalNumVgprs: 0
; ScratchSize: 0
; MemoryBound: 0
; FloatMode: 240
; IeeeMode: 1
; LDSByteSize: 0 bytes/workgroup (compile time only)
; SGPRBlocks: 0
; VGPRBlocks: 0
; NumSGPRsForWavesPerEU: 6
; NumVGPRsForWavesPerEU: 1
; AccumOffset: 4
; Occupancy: 8
; WaveLimiterHint : 0
; COMPUTE_PGM_RSRC2:SCRATCH_EN: 0
; COMPUTE_PGM_RSRC2:USER_SGPR: 2
; COMPUTE_PGM_RSRC2:TRAP_HANDLER: 0
; COMPUTE_PGM_RSRC2:TGID_X_EN: 1
; COMPUTE_PGM_RSRC2:TGID_Y_EN: 0
; COMPUTE_PGM_RSRC2:TGID_Z_EN: 0
; COMPUTE_PGM_RSRC2:TIDIG_COMP_CNT: 0
; COMPUTE_PGM_RSRC3_GFX90A:ACCUM_OFFSET: 0
; COMPUTE_PGM_RSRC3_GFX90A:TG_SPLIT: 0
	.section	.text._ZN7rocprim17ROCPRIM_400000_NS6detail17trampoline_kernelINS0_14default_configENS1_38merge_sort_block_merge_config_selectorIbiEEZZNS1_27merge_sort_block_merge_implIS3_N6thrust23THRUST_200600_302600_NS6detail15normal_iteratorINS8_10device_ptrIbEEEENSA_INSB_IiEEEEjNS1_19radix_merge_compareILb0ELb0EbNS0_19identity_decomposerEEEEE10hipError_tT0_T1_T2_jT3_P12ihipStream_tbPNSt15iterator_traitsISK_E10value_typeEPNSQ_ISL_E10value_typeEPSM_NS1_7vsmem_tEENKUlT_SK_SL_SM_E_clIPbSD_PiSF_EESJ_SZ_SK_SL_SM_EUlSZ_E1_NS1_11comp_targetILNS1_3genE8ELNS1_11target_archE1030ELNS1_3gpuE2ELNS1_3repE0EEENS1_36merge_oddeven_config_static_selectorELNS0_4arch9wavefront6targetE1EEEvSL_,"axG",@progbits,_ZN7rocprim17ROCPRIM_400000_NS6detail17trampoline_kernelINS0_14default_configENS1_38merge_sort_block_merge_config_selectorIbiEEZZNS1_27merge_sort_block_merge_implIS3_N6thrust23THRUST_200600_302600_NS6detail15normal_iteratorINS8_10device_ptrIbEEEENSA_INSB_IiEEEEjNS1_19radix_merge_compareILb0ELb0EbNS0_19identity_decomposerEEEEE10hipError_tT0_T1_T2_jT3_P12ihipStream_tbPNSt15iterator_traitsISK_E10value_typeEPNSQ_ISL_E10value_typeEPSM_NS1_7vsmem_tEENKUlT_SK_SL_SM_E_clIPbSD_PiSF_EESJ_SZ_SK_SL_SM_EUlSZ_E1_NS1_11comp_targetILNS1_3genE8ELNS1_11target_archE1030ELNS1_3gpuE2ELNS1_3repE0EEENS1_36merge_oddeven_config_static_selectorELNS0_4arch9wavefront6targetE1EEEvSL_,comdat
	.protected	_ZN7rocprim17ROCPRIM_400000_NS6detail17trampoline_kernelINS0_14default_configENS1_38merge_sort_block_merge_config_selectorIbiEEZZNS1_27merge_sort_block_merge_implIS3_N6thrust23THRUST_200600_302600_NS6detail15normal_iteratorINS8_10device_ptrIbEEEENSA_INSB_IiEEEEjNS1_19radix_merge_compareILb0ELb0EbNS0_19identity_decomposerEEEEE10hipError_tT0_T1_T2_jT3_P12ihipStream_tbPNSt15iterator_traitsISK_E10value_typeEPNSQ_ISL_E10value_typeEPSM_NS1_7vsmem_tEENKUlT_SK_SL_SM_E_clIPbSD_PiSF_EESJ_SZ_SK_SL_SM_EUlSZ_E1_NS1_11comp_targetILNS1_3genE8ELNS1_11target_archE1030ELNS1_3gpuE2ELNS1_3repE0EEENS1_36merge_oddeven_config_static_selectorELNS0_4arch9wavefront6targetE1EEEvSL_ ; -- Begin function _ZN7rocprim17ROCPRIM_400000_NS6detail17trampoline_kernelINS0_14default_configENS1_38merge_sort_block_merge_config_selectorIbiEEZZNS1_27merge_sort_block_merge_implIS3_N6thrust23THRUST_200600_302600_NS6detail15normal_iteratorINS8_10device_ptrIbEEEENSA_INSB_IiEEEEjNS1_19radix_merge_compareILb0ELb0EbNS0_19identity_decomposerEEEEE10hipError_tT0_T1_T2_jT3_P12ihipStream_tbPNSt15iterator_traitsISK_E10value_typeEPNSQ_ISL_E10value_typeEPSM_NS1_7vsmem_tEENKUlT_SK_SL_SM_E_clIPbSD_PiSF_EESJ_SZ_SK_SL_SM_EUlSZ_E1_NS1_11comp_targetILNS1_3genE8ELNS1_11target_archE1030ELNS1_3gpuE2ELNS1_3repE0EEENS1_36merge_oddeven_config_static_selectorELNS0_4arch9wavefront6targetE1EEEvSL_
	.globl	_ZN7rocprim17ROCPRIM_400000_NS6detail17trampoline_kernelINS0_14default_configENS1_38merge_sort_block_merge_config_selectorIbiEEZZNS1_27merge_sort_block_merge_implIS3_N6thrust23THRUST_200600_302600_NS6detail15normal_iteratorINS8_10device_ptrIbEEEENSA_INSB_IiEEEEjNS1_19radix_merge_compareILb0ELb0EbNS0_19identity_decomposerEEEEE10hipError_tT0_T1_T2_jT3_P12ihipStream_tbPNSt15iterator_traitsISK_E10value_typeEPNSQ_ISL_E10value_typeEPSM_NS1_7vsmem_tEENKUlT_SK_SL_SM_E_clIPbSD_PiSF_EESJ_SZ_SK_SL_SM_EUlSZ_E1_NS1_11comp_targetILNS1_3genE8ELNS1_11target_archE1030ELNS1_3gpuE2ELNS1_3repE0EEENS1_36merge_oddeven_config_static_selectorELNS0_4arch9wavefront6targetE1EEEvSL_
	.p2align	8
	.type	_ZN7rocprim17ROCPRIM_400000_NS6detail17trampoline_kernelINS0_14default_configENS1_38merge_sort_block_merge_config_selectorIbiEEZZNS1_27merge_sort_block_merge_implIS3_N6thrust23THRUST_200600_302600_NS6detail15normal_iteratorINS8_10device_ptrIbEEEENSA_INSB_IiEEEEjNS1_19radix_merge_compareILb0ELb0EbNS0_19identity_decomposerEEEEE10hipError_tT0_T1_T2_jT3_P12ihipStream_tbPNSt15iterator_traitsISK_E10value_typeEPNSQ_ISL_E10value_typeEPSM_NS1_7vsmem_tEENKUlT_SK_SL_SM_E_clIPbSD_PiSF_EESJ_SZ_SK_SL_SM_EUlSZ_E1_NS1_11comp_targetILNS1_3genE8ELNS1_11target_archE1030ELNS1_3gpuE2ELNS1_3repE0EEENS1_36merge_oddeven_config_static_selectorELNS0_4arch9wavefront6targetE1EEEvSL_,@function
_ZN7rocprim17ROCPRIM_400000_NS6detail17trampoline_kernelINS0_14default_configENS1_38merge_sort_block_merge_config_selectorIbiEEZZNS1_27merge_sort_block_merge_implIS3_N6thrust23THRUST_200600_302600_NS6detail15normal_iteratorINS8_10device_ptrIbEEEENSA_INSB_IiEEEEjNS1_19radix_merge_compareILb0ELb0EbNS0_19identity_decomposerEEEEE10hipError_tT0_T1_T2_jT3_P12ihipStream_tbPNSt15iterator_traitsISK_E10value_typeEPNSQ_ISL_E10value_typeEPSM_NS1_7vsmem_tEENKUlT_SK_SL_SM_E_clIPbSD_PiSF_EESJ_SZ_SK_SL_SM_EUlSZ_E1_NS1_11comp_targetILNS1_3genE8ELNS1_11target_archE1030ELNS1_3gpuE2ELNS1_3repE0EEENS1_36merge_oddeven_config_static_selectorELNS0_4arch9wavefront6targetE1EEEvSL_: ; @_ZN7rocprim17ROCPRIM_400000_NS6detail17trampoline_kernelINS0_14default_configENS1_38merge_sort_block_merge_config_selectorIbiEEZZNS1_27merge_sort_block_merge_implIS3_N6thrust23THRUST_200600_302600_NS6detail15normal_iteratorINS8_10device_ptrIbEEEENSA_INSB_IiEEEEjNS1_19radix_merge_compareILb0ELb0EbNS0_19identity_decomposerEEEEE10hipError_tT0_T1_T2_jT3_P12ihipStream_tbPNSt15iterator_traitsISK_E10value_typeEPNSQ_ISL_E10value_typeEPSM_NS1_7vsmem_tEENKUlT_SK_SL_SM_E_clIPbSD_PiSF_EESJ_SZ_SK_SL_SM_EUlSZ_E1_NS1_11comp_targetILNS1_3genE8ELNS1_11target_archE1030ELNS1_3gpuE2ELNS1_3repE0EEENS1_36merge_oddeven_config_static_selectorELNS0_4arch9wavefront6targetE1EEEvSL_
; %bb.0:
	.section	.rodata,"a",@progbits
	.p2align	6, 0x0
	.amdhsa_kernel _ZN7rocprim17ROCPRIM_400000_NS6detail17trampoline_kernelINS0_14default_configENS1_38merge_sort_block_merge_config_selectorIbiEEZZNS1_27merge_sort_block_merge_implIS3_N6thrust23THRUST_200600_302600_NS6detail15normal_iteratorINS8_10device_ptrIbEEEENSA_INSB_IiEEEEjNS1_19radix_merge_compareILb0ELb0EbNS0_19identity_decomposerEEEEE10hipError_tT0_T1_T2_jT3_P12ihipStream_tbPNSt15iterator_traitsISK_E10value_typeEPNSQ_ISL_E10value_typeEPSM_NS1_7vsmem_tEENKUlT_SK_SL_SM_E_clIPbSD_PiSF_EESJ_SZ_SK_SL_SM_EUlSZ_E1_NS1_11comp_targetILNS1_3genE8ELNS1_11target_archE1030ELNS1_3gpuE2ELNS1_3repE0EEENS1_36merge_oddeven_config_static_selectorELNS0_4arch9wavefront6targetE1EEEvSL_
		.amdhsa_group_segment_fixed_size 0
		.amdhsa_private_segment_fixed_size 0
		.amdhsa_kernarg_size 48
		.amdhsa_user_sgpr_count 2
		.amdhsa_user_sgpr_dispatch_ptr 0
		.amdhsa_user_sgpr_queue_ptr 0
		.amdhsa_user_sgpr_kernarg_segment_ptr 1
		.amdhsa_user_sgpr_dispatch_id 0
		.amdhsa_user_sgpr_kernarg_preload_length 0
		.amdhsa_user_sgpr_kernarg_preload_offset 0
		.amdhsa_user_sgpr_private_segment_size 0
		.amdhsa_uses_dynamic_stack 0
		.amdhsa_enable_private_segment 0
		.amdhsa_system_sgpr_workgroup_id_x 1
		.amdhsa_system_sgpr_workgroup_id_y 0
		.amdhsa_system_sgpr_workgroup_id_z 0
		.amdhsa_system_sgpr_workgroup_info 0
		.amdhsa_system_vgpr_workitem_id 0
		.amdhsa_next_free_vgpr 1
		.amdhsa_next_free_sgpr 0
		.amdhsa_accum_offset 4
		.amdhsa_reserve_vcc 0
		.amdhsa_float_round_mode_32 0
		.amdhsa_float_round_mode_16_64 0
		.amdhsa_float_denorm_mode_32 3
		.amdhsa_float_denorm_mode_16_64 3
		.amdhsa_dx10_clamp 1
		.amdhsa_ieee_mode 1
		.amdhsa_fp16_overflow 0
		.amdhsa_tg_split 0
		.amdhsa_exception_fp_ieee_invalid_op 0
		.amdhsa_exception_fp_denorm_src 0
		.amdhsa_exception_fp_ieee_div_zero 0
		.amdhsa_exception_fp_ieee_overflow 0
		.amdhsa_exception_fp_ieee_underflow 0
		.amdhsa_exception_fp_ieee_inexact 0
		.amdhsa_exception_int_div_zero 0
	.end_amdhsa_kernel
	.section	.text._ZN7rocprim17ROCPRIM_400000_NS6detail17trampoline_kernelINS0_14default_configENS1_38merge_sort_block_merge_config_selectorIbiEEZZNS1_27merge_sort_block_merge_implIS3_N6thrust23THRUST_200600_302600_NS6detail15normal_iteratorINS8_10device_ptrIbEEEENSA_INSB_IiEEEEjNS1_19radix_merge_compareILb0ELb0EbNS0_19identity_decomposerEEEEE10hipError_tT0_T1_T2_jT3_P12ihipStream_tbPNSt15iterator_traitsISK_E10value_typeEPNSQ_ISL_E10value_typeEPSM_NS1_7vsmem_tEENKUlT_SK_SL_SM_E_clIPbSD_PiSF_EESJ_SZ_SK_SL_SM_EUlSZ_E1_NS1_11comp_targetILNS1_3genE8ELNS1_11target_archE1030ELNS1_3gpuE2ELNS1_3repE0EEENS1_36merge_oddeven_config_static_selectorELNS0_4arch9wavefront6targetE1EEEvSL_,"axG",@progbits,_ZN7rocprim17ROCPRIM_400000_NS6detail17trampoline_kernelINS0_14default_configENS1_38merge_sort_block_merge_config_selectorIbiEEZZNS1_27merge_sort_block_merge_implIS3_N6thrust23THRUST_200600_302600_NS6detail15normal_iteratorINS8_10device_ptrIbEEEENSA_INSB_IiEEEEjNS1_19radix_merge_compareILb0ELb0EbNS0_19identity_decomposerEEEEE10hipError_tT0_T1_T2_jT3_P12ihipStream_tbPNSt15iterator_traitsISK_E10value_typeEPNSQ_ISL_E10value_typeEPSM_NS1_7vsmem_tEENKUlT_SK_SL_SM_E_clIPbSD_PiSF_EESJ_SZ_SK_SL_SM_EUlSZ_E1_NS1_11comp_targetILNS1_3genE8ELNS1_11target_archE1030ELNS1_3gpuE2ELNS1_3repE0EEENS1_36merge_oddeven_config_static_selectorELNS0_4arch9wavefront6targetE1EEEvSL_,comdat
.Lfunc_end1932:
	.size	_ZN7rocprim17ROCPRIM_400000_NS6detail17trampoline_kernelINS0_14default_configENS1_38merge_sort_block_merge_config_selectorIbiEEZZNS1_27merge_sort_block_merge_implIS3_N6thrust23THRUST_200600_302600_NS6detail15normal_iteratorINS8_10device_ptrIbEEEENSA_INSB_IiEEEEjNS1_19radix_merge_compareILb0ELb0EbNS0_19identity_decomposerEEEEE10hipError_tT0_T1_T2_jT3_P12ihipStream_tbPNSt15iterator_traitsISK_E10value_typeEPNSQ_ISL_E10value_typeEPSM_NS1_7vsmem_tEENKUlT_SK_SL_SM_E_clIPbSD_PiSF_EESJ_SZ_SK_SL_SM_EUlSZ_E1_NS1_11comp_targetILNS1_3genE8ELNS1_11target_archE1030ELNS1_3gpuE2ELNS1_3repE0EEENS1_36merge_oddeven_config_static_selectorELNS0_4arch9wavefront6targetE1EEEvSL_, .Lfunc_end1932-_ZN7rocprim17ROCPRIM_400000_NS6detail17trampoline_kernelINS0_14default_configENS1_38merge_sort_block_merge_config_selectorIbiEEZZNS1_27merge_sort_block_merge_implIS3_N6thrust23THRUST_200600_302600_NS6detail15normal_iteratorINS8_10device_ptrIbEEEENSA_INSB_IiEEEEjNS1_19radix_merge_compareILb0ELb0EbNS0_19identity_decomposerEEEEE10hipError_tT0_T1_T2_jT3_P12ihipStream_tbPNSt15iterator_traitsISK_E10value_typeEPNSQ_ISL_E10value_typeEPSM_NS1_7vsmem_tEENKUlT_SK_SL_SM_E_clIPbSD_PiSF_EESJ_SZ_SK_SL_SM_EUlSZ_E1_NS1_11comp_targetILNS1_3genE8ELNS1_11target_archE1030ELNS1_3gpuE2ELNS1_3repE0EEENS1_36merge_oddeven_config_static_selectorELNS0_4arch9wavefront6targetE1EEEvSL_
                                        ; -- End function
	.set _ZN7rocprim17ROCPRIM_400000_NS6detail17trampoline_kernelINS0_14default_configENS1_38merge_sort_block_merge_config_selectorIbiEEZZNS1_27merge_sort_block_merge_implIS3_N6thrust23THRUST_200600_302600_NS6detail15normal_iteratorINS8_10device_ptrIbEEEENSA_INSB_IiEEEEjNS1_19radix_merge_compareILb0ELb0EbNS0_19identity_decomposerEEEEE10hipError_tT0_T1_T2_jT3_P12ihipStream_tbPNSt15iterator_traitsISK_E10value_typeEPNSQ_ISL_E10value_typeEPSM_NS1_7vsmem_tEENKUlT_SK_SL_SM_E_clIPbSD_PiSF_EESJ_SZ_SK_SL_SM_EUlSZ_E1_NS1_11comp_targetILNS1_3genE8ELNS1_11target_archE1030ELNS1_3gpuE2ELNS1_3repE0EEENS1_36merge_oddeven_config_static_selectorELNS0_4arch9wavefront6targetE1EEEvSL_.num_vgpr, 0
	.set _ZN7rocprim17ROCPRIM_400000_NS6detail17trampoline_kernelINS0_14default_configENS1_38merge_sort_block_merge_config_selectorIbiEEZZNS1_27merge_sort_block_merge_implIS3_N6thrust23THRUST_200600_302600_NS6detail15normal_iteratorINS8_10device_ptrIbEEEENSA_INSB_IiEEEEjNS1_19radix_merge_compareILb0ELb0EbNS0_19identity_decomposerEEEEE10hipError_tT0_T1_T2_jT3_P12ihipStream_tbPNSt15iterator_traitsISK_E10value_typeEPNSQ_ISL_E10value_typeEPSM_NS1_7vsmem_tEENKUlT_SK_SL_SM_E_clIPbSD_PiSF_EESJ_SZ_SK_SL_SM_EUlSZ_E1_NS1_11comp_targetILNS1_3genE8ELNS1_11target_archE1030ELNS1_3gpuE2ELNS1_3repE0EEENS1_36merge_oddeven_config_static_selectorELNS0_4arch9wavefront6targetE1EEEvSL_.num_agpr, 0
	.set _ZN7rocprim17ROCPRIM_400000_NS6detail17trampoline_kernelINS0_14default_configENS1_38merge_sort_block_merge_config_selectorIbiEEZZNS1_27merge_sort_block_merge_implIS3_N6thrust23THRUST_200600_302600_NS6detail15normal_iteratorINS8_10device_ptrIbEEEENSA_INSB_IiEEEEjNS1_19radix_merge_compareILb0ELb0EbNS0_19identity_decomposerEEEEE10hipError_tT0_T1_T2_jT3_P12ihipStream_tbPNSt15iterator_traitsISK_E10value_typeEPNSQ_ISL_E10value_typeEPSM_NS1_7vsmem_tEENKUlT_SK_SL_SM_E_clIPbSD_PiSF_EESJ_SZ_SK_SL_SM_EUlSZ_E1_NS1_11comp_targetILNS1_3genE8ELNS1_11target_archE1030ELNS1_3gpuE2ELNS1_3repE0EEENS1_36merge_oddeven_config_static_selectorELNS0_4arch9wavefront6targetE1EEEvSL_.numbered_sgpr, 0
	.set _ZN7rocprim17ROCPRIM_400000_NS6detail17trampoline_kernelINS0_14default_configENS1_38merge_sort_block_merge_config_selectorIbiEEZZNS1_27merge_sort_block_merge_implIS3_N6thrust23THRUST_200600_302600_NS6detail15normal_iteratorINS8_10device_ptrIbEEEENSA_INSB_IiEEEEjNS1_19radix_merge_compareILb0ELb0EbNS0_19identity_decomposerEEEEE10hipError_tT0_T1_T2_jT3_P12ihipStream_tbPNSt15iterator_traitsISK_E10value_typeEPNSQ_ISL_E10value_typeEPSM_NS1_7vsmem_tEENKUlT_SK_SL_SM_E_clIPbSD_PiSF_EESJ_SZ_SK_SL_SM_EUlSZ_E1_NS1_11comp_targetILNS1_3genE8ELNS1_11target_archE1030ELNS1_3gpuE2ELNS1_3repE0EEENS1_36merge_oddeven_config_static_selectorELNS0_4arch9wavefront6targetE1EEEvSL_.num_named_barrier, 0
	.set _ZN7rocprim17ROCPRIM_400000_NS6detail17trampoline_kernelINS0_14default_configENS1_38merge_sort_block_merge_config_selectorIbiEEZZNS1_27merge_sort_block_merge_implIS3_N6thrust23THRUST_200600_302600_NS6detail15normal_iteratorINS8_10device_ptrIbEEEENSA_INSB_IiEEEEjNS1_19radix_merge_compareILb0ELb0EbNS0_19identity_decomposerEEEEE10hipError_tT0_T1_T2_jT3_P12ihipStream_tbPNSt15iterator_traitsISK_E10value_typeEPNSQ_ISL_E10value_typeEPSM_NS1_7vsmem_tEENKUlT_SK_SL_SM_E_clIPbSD_PiSF_EESJ_SZ_SK_SL_SM_EUlSZ_E1_NS1_11comp_targetILNS1_3genE8ELNS1_11target_archE1030ELNS1_3gpuE2ELNS1_3repE0EEENS1_36merge_oddeven_config_static_selectorELNS0_4arch9wavefront6targetE1EEEvSL_.private_seg_size, 0
	.set _ZN7rocprim17ROCPRIM_400000_NS6detail17trampoline_kernelINS0_14default_configENS1_38merge_sort_block_merge_config_selectorIbiEEZZNS1_27merge_sort_block_merge_implIS3_N6thrust23THRUST_200600_302600_NS6detail15normal_iteratorINS8_10device_ptrIbEEEENSA_INSB_IiEEEEjNS1_19radix_merge_compareILb0ELb0EbNS0_19identity_decomposerEEEEE10hipError_tT0_T1_T2_jT3_P12ihipStream_tbPNSt15iterator_traitsISK_E10value_typeEPNSQ_ISL_E10value_typeEPSM_NS1_7vsmem_tEENKUlT_SK_SL_SM_E_clIPbSD_PiSF_EESJ_SZ_SK_SL_SM_EUlSZ_E1_NS1_11comp_targetILNS1_3genE8ELNS1_11target_archE1030ELNS1_3gpuE2ELNS1_3repE0EEENS1_36merge_oddeven_config_static_selectorELNS0_4arch9wavefront6targetE1EEEvSL_.uses_vcc, 0
	.set _ZN7rocprim17ROCPRIM_400000_NS6detail17trampoline_kernelINS0_14default_configENS1_38merge_sort_block_merge_config_selectorIbiEEZZNS1_27merge_sort_block_merge_implIS3_N6thrust23THRUST_200600_302600_NS6detail15normal_iteratorINS8_10device_ptrIbEEEENSA_INSB_IiEEEEjNS1_19radix_merge_compareILb0ELb0EbNS0_19identity_decomposerEEEEE10hipError_tT0_T1_T2_jT3_P12ihipStream_tbPNSt15iterator_traitsISK_E10value_typeEPNSQ_ISL_E10value_typeEPSM_NS1_7vsmem_tEENKUlT_SK_SL_SM_E_clIPbSD_PiSF_EESJ_SZ_SK_SL_SM_EUlSZ_E1_NS1_11comp_targetILNS1_3genE8ELNS1_11target_archE1030ELNS1_3gpuE2ELNS1_3repE0EEENS1_36merge_oddeven_config_static_selectorELNS0_4arch9wavefront6targetE1EEEvSL_.uses_flat_scratch, 0
	.set _ZN7rocprim17ROCPRIM_400000_NS6detail17trampoline_kernelINS0_14default_configENS1_38merge_sort_block_merge_config_selectorIbiEEZZNS1_27merge_sort_block_merge_implIS3_N6thrust23THRUST_200600_302600_NS6detail15normal_iteratorINS8_10device_ptrIbEEEENSA_INSB_IiEEEEjNS1_19radix_merge_compareILb0ELb0EbNS0_19identity_decomposerEEEEE10hipError_tT0_T1_T2_jT3_P12ihipStream_tbPNSt15iterator_traitsISK_E10value_typeEPNSQ_ISL_E10value_typeEPSM_NS1_7vsmem_tEENKUlT_SK_SL_SM_E_clIPbSD_PiSF_EESJ_SZ_SK_SL_SM_EUlSZ_E1_NS1_11comp_targetILNS1_3genE8ELNS1_11target_archE1030ELNS1_3gpuE2ELNS1_3repE0EEENS1_36merge_oddeven_config_static_selectorELNS0_4arch9wavefront6targetE1EEEvSL_.has_dyn_sized_stack, 0
	.set _ZN7rocprim17ROCPRIM_400000_NS6detail17trampoline_kernelINS0_14default_configENS1_38merge_sort_block_merge_config_selectorIbiEEZZNS1_27merge_sort_block_merge_implIS3_N6thrust23THRUST_200600_302600_NS6detail15normal_iteratorINS8_10device_ptrIbEEEENSA_INSB_IiEEEEjNS1_19radix_merge_compareILb0ELb0EbNS0_19identity_decomposerEEEEE10hipError_tT0_T1_T2_jT3_P12ihipStream_tbPNSt15iterator_traitsISK_E10value_typeEPNSQ_ISL_E10value_typeEPSM_NS1_7vsmem_tEENKUlT_SK_SL_SM_E_clIPbSD_PiSF_EESJ_SZ_SK_SL_SM_EUlSZ_E1_NS1_11comp_targetILNS1_3genE8ELNS1_11target_archE1030ELNS1_3gpuE2ELNS1_3repE0EEENS1_36merge_oddeven_config_static_selectorELNS0_4arch9wavefront6targetE1EEEvSL_.has_recursion, 0
	.set _ZN7rocprim17ROCPRIM_400000_NS6detail17trampoline_kernelINS0_14default_configENS1_38merge_sort_block_merge_config_selectorIbiEEZZNS1_27merge_sort_block_merge_implIS3_N6thrust23THRUST_200600_302600_NS6detail15normal_iteratorINS8_10device_ptrIbEEEENSA_INSB_IiEEEEjNS1_19radix_merge_compareILb0ELb0EbNS0_19identity_decomposerEEEEE10hipError_tT0_T1_T2_jT3_P12ihipStream_tbPNSt15iterator_traitsISK_E10value_typeEPNSQ_ISL_E10value_typeEPSM_NS1_7vsmem_tEENKUlT_SK_SL_SM_E_clIPbSD_PiSF_EESJ_SZ_SK_SL_SM_EUlSZ_E1_NS1_11comp_targetILNS1_3genE8ELNS1_11target_archE1030ELNS1_3gpuE2ELNS1_3repE0EEENS1_36merge_oddeven_config_static_selectorELNS0_4arch9wavefront6targetE1EEEvSL_.has_indirect_call, 0
	.section	.AMDGPU.csdata,"",@progbits
; Kernel info:
; codeLenInByte = 0
; TotalNumSgprs: 6
; NumVgprs: 0
; NumAgprs: 0
; TotalNumVgprs: 0
; ScratchSize: 0
; MemoryBound: 0
; FloatMode: 240
; IeeeMode: 1
; LDSByteSize: 0 bytes/workgroup (compile time only)
; SGPRBlocks: 0
; VGPRBlocks: 0
; NumSGPRsForWavesPerEU: 6
; NumVGPRsForWavesPerEU: 1
; AccumOffset: 4
; Occupancy: 8
; WaveLimiterHint : 0
; COMPUTE_PGM_RSRC2:SCRATCH_EN: 0
; COMPUTE_PGM_RSRC2:USER_SGPR: 2
; COMPUTE_PGM_RSRC2:TRAP_HANDLER: 0
; COMPUTE_PGM_RSRC2:TGID_X_EN: 1
; COMPUTE_PGM_RSRC2:TGID_Y_EN: 0
; COMPUTE_PGM_RSRC2:TGID_Z_EN: 0
; COMPUTE_PGM_RSRC2:TIDIG_COMP_CNT: 0
; COMPUTE_PGM_RSRC3_GFX90A:ACCUM_OFFSET: 0
; COMPUTE_PGM_RSRC3_GFX90A:TG_SPLIT: 0
	.section	.text._ZN7rocprim17ROCPRIM_400000_NS6detail17trampoline_kernelINS0_14default_configENS1_38merge_sort_block_merge_config_selectorIbiEEZZNS1_27merge_sort_block_merge_implIS3_N6thrust23THRUST_200600_302600_NS6detail15normal_iteratorINS8_10device_ptrIbEEEENSA_INSB_IiEEEEjNS1_19radix_merge_compareILb0ELb0EbNS0_19identity_decomposerEEEEE10hipError_tT0_T1_T2_jT3_P12ihipStream_tbPNSt15iterator_traitsISK_E10value_typeEPNSQ_ISL_E10value_typeEPSM_NS1_7vsmem_tEENKUlT_SK_SL_SM_E_clISD_PbSF_PiEESJ_SZ_SK_SL_SM_EUlSZ_E_NS1_11comp_targetILNS1_3genE0ELNS1_11target_archE4294967295ELNS1_3gpuE0ELNS1_3repE0EEENS1_48merge_mergepath_partition_config_static_selectorELNS0_4arch9wavefront6targetE1EEEvSL_,"axG",@progbits,_ZN7rocprim17ROCPRIM_400000_NS6detail17trampoline_kernelINS0_14default_configENS1_38merge_sort_block_merge_config_selectorIbiEEZZNS1_27merge_sort_block_merge_implIS3_N6thrust23THRUST_200600_302600_NS6detail15normal_iteratorINS8_10device_ptrIbEEEENSA_INSB_IiEEEEjNS1_19radix_merge_compareILb0ELb0EbNS0_19identity_decomposerEEEEE10hipError_tT0_T1_T2_jT3_P12ihipStream_tbPNSt15iterator_traitsISK_E10value_typeEPNSQ_ISL_E10value_typeEPSM_NS1_7vsmem_tEENKUlT_SK_SL_SM_E_clISD_PbSF_PiEESJ_SZ_SK_SL_SM_EUlSZ_E_NS1_11comp_targetILNS1_3genE0ELNS1_11target_archE4294967295ELNS1_3gpuE0ELNS1_3repE0EEENS1_48merge_mergepath_partition_config_static_selectorELNS0_4arch9wavefront6targetE1EEEvSL_,comdat
	.protected	_ZN7rocprim17ROCPRIM_400000_NS6detail17trampoline_kernelINS0_14default_configENS1_38merge_sort_block_merge_config_selectorIbiEEZZNS1_27merge_sort_block_merge_implIS3_N6thrust23THRUST_200600_302600_NS6detail15normal_iteratorINS8_10device_ptrIbEEEENSA_INSB_IiEEEEjNS1_19radix_merge_compareILb0ELb0EbNS0_19identity_decomposerEEEEE10hipError_tT0_T1_T2_jT3_P12ihipStream_tbPNSt15iterator_traitsISK_E10value_typeEPNSQ_ISL_E10value_typeEPSM_NS1_7vsmem_tEENKUlT_SK_SL_SM_E_clISD_PbSF_PiEESJ_SZ_SK_SL_SM_EUlSZ_E_NS1_11comp_targetILNS1_3genE0ELNS1_11target_archE4294967295ELNS1_3gpuE0ELNS1_3repE0EEENS1_48merge_mergepath_partition_config_static_selectorELNS0_4arch9wavefront6targetE1EEEvSL_ ; -- Begin function _ZN7rocprim17ROCPRIM_400000_NS6detail17trampoline_kernelINS0_14default_configENS1_38merge_sort_block_merge_config_selectorIbiEEZZNS1_27merge_sort_block_merge_implIS3_N6thrust23THRUST_200600_302600_NS6detail15normal_iteratorINS8_10device_ptrIbEEEENSA_INSB_IiEEEEjNS1_19radix_merge_compareILb0ELb0EbNS0_19identity_decomposerEEEEE10hipError_tT0_T1_T2_jT3_P12ihipStream_tbPNSt15iterator_traitsISK_E10value_typeEPNSQ_ISL_E10value_typeEPSM_NS1_7vsmem_tEENKUlT_SK_SL_SM_E_clISD_PbSF_PiEESJ_SZ_SK_SL_SM_EUlSZ_E_NS1_11comp_targetILNS1_3genE0ELNS1_11target_archE4294967295ELNS1_3gpuE0ELNS1_3repE0EEENS1_48merge_mergepath_partition_config_static_selectorELNS0_4arch9wavefront6targetE1EEEvSL_
	.globl	_ZN7rocprim17ROCPRIM_400000_NS6detail17trampoline_kernelINS0_14default_configENS1_38merge_sort_block_merge_config_selectorIbiEEZZNS1_27merge_sort_block_merge_implIS3_N6thrust23THRUST_200600_302600_NS6detail15normal_iteratorINS8_10device_ptrIbEEEENSA_INSB_IiEEEEjNS1_19radix_merge_compareILb0ELb0EbNS0_19identity_decomposerEEEEE10hipError_tT0_T1_T2_jT3_P12ihipStream_tbPNSt15iterator_traitsISK_E10value_typeEPNSQ_ISL_E10value_typeEPSM_NS1_7vsmem_tEENKUlT_SK_SL_SM_E_clISD_PbSF_PiEESJ_SZ_SK_SL_SM_EUlSZ_E_NS1_11comp_targetILNS1_3genE0ELNS1_11target_archE4294967295ELNS1_3gpuE0ELNS1_3repE0EEENS1_48merge_mergepath_partition_config_static_selectorELNS0_4arch9wavefront6targetE1EEEvSL_
	.p2align	8
	.type	_ZN7rocprim17ROCPRIM_400000_NS6detail17trampoline_kernelINS0_14default_configENS1_38merge_sort_block_merge_config_selectorIbiEEZZNS1_27merge_sort_block_merge_implIS3_N6thrust23THRUST_200600_302600_NS6detail15normal_iteratorINS8_10device_ptrIbEEEENSA_INSB_IiEEEEjNS1_19radix_merge_compareILb0ELb0EbNS0_19identity_decomposerEEEEE10hipError_tT0_T1_T2_jT3_P12ihipStream_tbPNSt15iterator_traitsISK_E10value_typeEPNSQ_ISL_E10value_typeEPSM_NS1_7vsmem_tEENKUlT_SK_SL_SM_E_clISD_PbSF_PiEESJ_SZ_SK_SL_SM_EUlSZ_E_NS1_11comp_targetILNS1_3genE0ELNS1_11target_archE4294967295ELNS1_3gpuE0ELNS1_3repE0EEENS1_48merge_mergepath_partition_config_static_selectorELNS0_4arch9wavefront6targetE1EEEvSL_,@function
_ZN7rocprim17ROCPRIM_400000_NS6detail17trampoline_kernelINS0_14default_configENS1_38merge_sort_block_merge_config_selectorIbiEEZZNS1_27merge_sort_block_merge_implIS3_N6thrust23THRUST_200600_302600_NS6detail15normal_iteratorINS8_10device_ptrIbEEEENSA_INSB_IiEEEEjNS1_19radix_merge_compareILb0ELb0EbNS0_19identity_decomposerEEEEE10hipError_tT0_T1_T2_jT3_P12ihipStream_tbPNSt15iterator_traitsISK_E10value_typeEPNSQ_ISL_E10value_typeEPSM_NS1_7vsmem_tEENKUlT_SK_SL_SM_E_clISD_PbSF_PiEESJ_SZ_SK_SL_SM_EUlSZ_E_NS1_11comp_targetILNS1_3genE0ELNS1_11target_archE4294967295ELNS1_3gpuE0ELNS1_3repE0EEENS1_48merge_mergepath_partition_config_static_selectorELNS0_4arch9wavefront6targetE1EEEvSL_: ; @_ZN7rocprim17ROCPRIM_400000_NS6detail17trampoline_kernelINS0_14default_configENS1_38merge_sort_block_merge_config_selectorIbiEEZZNS1_27merge_sort_block_merge_implIS3_N6thrust23THRUST_200600_302600_NS6detail15normal_iteratorINS8_10device_ptrIbEEEENSA_INSB_IiEEEEjNS1_19radix_merge_compareILb0ELb0EbNS0_19identity_decomposerEEEEE10hipError_tT0_T1_T2_jT3_P12ihipStream_tbPNSt15iterator_traitsISK_E10value_typeEPNSQ_ISL_E10value_typeEPSM_NS1_7vsmem_tEENKUlT_SK_SL_SM_E_clISD_PbSF_PiEESJ_SZ_SK_SL_SM_EUlSZ_E_NS1_11comp_targetILNS1_3genE0ELNS1_11target_archE4294967295ELNS1_3gpuE0ELNS1_3repE0EEENS1_48merge_mergepath_partition_config_static_selectorELNS0_4arch9wavefront6targetE1EEEvSL_
; %bb.0:
	s_load_dword s3, s[0:1], 0x0
	v_lshl_or_b32 v0, s2, 7, v0
	s_waitcnt lgkmcnt(0)
	v_cmp_gt_u32_e32 vcc, s3, v0
	s_and_saveexec_b64 s[2:3], vcc
	s_cbranch_execz .LBB1933_6
; %bb.1:
	s_load_dwordx2 s[4:5], s[0:1], 0x4
	s_load_dwordx2 s[2:3], s[0:1], 0x20
	s_waitcnt lgkmcnt(0)
	s_lshr_b32 s6, s4, 9
	s_and_b32 s6, s6, 0x7ffffe
	s_add_i32 s7, s6, -1
	s_sub_i32 s6, 0, s6
	v_and_b32_e32 v1, s6, v0
	v_lshlrev_b32_e32 v1, 10, v1
	v_min_u32_e32 v2, s5, v1
	v_add_u32_e32 v1, s4, v1
	v_min_u32_e32 v4, s5, v1
	v_add_u32_e32 v1, s4, v4
	v_and_b32_e32 v3, s7, v0
	v_min_u32_e32 v1, s5, v1
	v_sub_u32_e32 v5, v1, v2
	v_lshlrev_b32_e32 v3, 10, v3
	v_min_u32_e32 v10, v5, v3
	v_sub_u32_e32 v3, v4, v2
	v_sub_u32_e32 v1, v1, v4
	v_sub_u32_e64 v1, v10, v1 clamp
	v_min_u32_e32 v11, v10, v3
	v_cmp_lt_u32_e32 vcc, v1, v11
	s_and_saveexec_b64 s[4:5], vcc
	s_cbranch_execz .LBB1933_5
; %bb.2:
	s_load_dwordx2 s[0:1], s[0:1], 0x10
	v_mov_b32_e32 v5, 0
	v_mov_b32_e32 v3, v5
	s_waitcnt lgkmcnt(0)
	v_lshl_add_u64 v[6:7], s[0:1], 0, v[2:3]
	v_lshl_add_u64 v[8:9], s[0:1], 0, v[4:5]
	s_mov_b64 s[0:1], 0
.LBB1933_3:                             ; =>This Inner Loop Header: Depth=1
	v_add_u32_e32 v3, v11, v1
	v_lshrrev_b32_e32 v4, 1, v3
	v_mov_b32_e32 v13, v5
	v_xad_u32 v12, v4, -1, v10
	v_lshl_add_u64 v[14:15], v[6:7], 0, v[4:5]
	v_lshl_add_u64 v[12:13], v[8:9], 0, v[12:13]
	flat_load_ubyte v3, v[14:15]
	flat_load_ubyte v16, v[12:13]
	v_add_u32_e32 v12, 1, v4
	s_waitcnt vmcnt(0) lgkmcnt(0)
	v_cmp_gt_u16_e32 vcc, v3, v16
	s_nop 1
	v_cndmask_b32_e32 v11, v11, v4, vcc
	v_cndmask_b32_e32 v1, v12, v1, vcc
	v_cmp_ge_u32_e32 vcc, v1, v11
	s_or_b64 s[0:1], vcc, s[0:1]
	s_andn2_b64 exec, exec, s[0:1]
	s_cbranch_execnz .LBB1933_3
; %bb.4:
	s_or_b64 exec, exec, s[0:1]
.LBB1933_5:
	s_or_b64 exec, exec, s[4:5]
	v_add_u32_e32 v2, v1, v2
	v_mov_b32_e32 v1, 0
	v_lshl_add_u64 v[0:1], v[0:1], 2, s[2:3]
	global_store_dword v[0:1], v2, off
.LBB1933_6:
	s_endpgm
	.section	.rodata,"a",@progbits
	.p2align	6, 0x0
	.amdhsa_kernel _ZN7rocprim17ROCPRIM_400000_NS6detail17trampoline_kernelINS0_14default_configENS1_38merge_sort_block_merge_config_selectorIbiEEZZNS1_27merge_sort_block_merge_implIS3_N6thrust23THRUST_200600_302600_NS6detail15normal_iteratorINS8_10device_ptrIbEEEENSA_INSB_IiEEEEjNS1_19radix_merge_compareILb0ELb0EbNS0_19identity_decomposerEEEEE10hipError_tT0_T1_T2_jT3_P12ihipStream_tbPNSt15iterator_traitsISK_E10value_typeEPNSQ_ISL_E10value_typeEPSM_NS1_7vsmem_tEENKUlT_SK_SL_SM_E_clISD_PbSF_PiEESJ_SZ_SK_SL_SM_EUlSZ_E_NS1_11comp_targetILNS1_3genE0ELNS1_11target_archE4294967295ELNS1_3gpuE0ELNS1_3repE0EEENS1_48merge_mergepath_partition_config_static_selectorELNS0_4arch9wavefront6targetE1EEEvSL_
		.amdhsa_group_segment_fixed_size 0
		.amdhsa_private_segment_fixed_size 0
		.amdhsa_kernarg_size 40
		.amdhsa_user_sgpr_count 2
		.amdhsa_user_sgpr_dispatch_ptr 0
		.amdhsa_user_sgpr_queue_ptr 0
		.amdhsa_user_sgpr_kernarg_segment_ptr 1
		.amdhsa_user_sgpr_dispatch_id 0
		.amdhsa_user_sgpr_kernarg_preload_length 0
		.amdhsa_user_sgpr_kernarg_preload_offset 0
		.amdhsa_user_sgpr_private_segment_size 0
		.amdhsa_uses_dynamic_stack 0
		.amdhsa_enable_private_segment 0
		.amdhsa_system_sgpr_workgroup_id_x 1
		.amdhsa_system_sgpr_workgroup_id_y 0
		.amdhsa_system_sgpr_workgroup_id_z 0
		.amdhsa_system_sgpr_workgroup_info 0
		.amdhsa_system_vgpr_workitem_id 0
		.amdhsa_next_free_vgpr 17
		.amdhsa_next_free_sgpr 8
		.amdhsa_accum_offset 20
		.amdhsa_reserve_vcc 1
		.amdhsa_float_round_mode_32 0
		.amdhsa_float_round_mode_16_64 0
		.amdhsa_float_denorm_mode_32 3
		.amdhsa_float_denorm_mode_16_64 3
		.amdhsa_dx10_clamp 1
		.amdhsa_ieee_mode 1
		.amdhsa_fp16_overflow 0
		.amdhsa_tg_split 0
		.amdhsa_exception_fp_ieee_invalid_op 0
		.amdhsa_exception_fp_denorm_src 0
		.amdhsa_exception_fp_ieee_div_zero 0
		.amdhsa_exception_fp_ieee_overflow 0
		.amdhsa_exception_fp_ieee_underflow 0
		.amdhsa_exception_fp_ieee_inexact 0
		.amdhsa_exception_int_div_zero 0
	.end_amdhsa_kernel
	.section	.text._ZN7rocprim17ROCPRIM_400000_NS6detail17trampoline_kernelINS0_14default_configENS1_38merge_sort_block_merge_config_selectorIbiEEZZNS1_27merge_sort_block_merge_implIS3_N6thrust23THRUST_200600_302600_NS6detail15normal_iteratorINS8_10device_ptrIbEEEENSA_INSB_IiEEEEjNS1_19radix_merge_compareILb0ELb0EbNS0_19identity_decomposerEEEEE10hipError_tT0_T1_T2_jT3_P12ihipStream_tbPNSt15iterator_traitsISK_E10value_typeEPNSQ_ISL_E10value_typeEPSM_NS1_7vsmem_tEENKUlT_SK_SL_SM_E_clISD_PbSF_PiEESJ_SZ_SK_SL_SM_EUlSZ_E_NS1_11comp_targetILNS1_3genE0ELNS1_11target_archE4294967295ELNS1_3gpuE0ELNS1_3repE0EEENS1_48merge_mergepath_partition_config_static_selectorELNS0_4arch9wavefront6targetE1EEEvSL_,"axG",@progbits,_ZN7rocprim17ROCPRIM_400000_NS6detail17trampoline_kernelINS0_14default_configENS1_38merge_sort_block_merge_config_selectorIbiEEZZNS1_27merge_sort_block_merge_implIS3_N6thrust23THRUST_200600_302600_NS6detail15normal_iteratorINS8_10device_ptrIbEEEENSA_INSB_IiEEEEjNS1_19radix_merge_compareILb0ELb0EbNS0_19identity_decomposerEEEEE10hipError_tT0_T1_T2_jT3_P12ihipStream_tbPNSt15iterator_traitsISK_E10value_typeEPNSQ_ISL_E10value_typeEPSM_NS1_7vsmem_tEENKUlT_SK_SL_SM_E_clISD_PbSF_PiEESJ_SZ_SK_SL_SM_EUlSZ_E_NS1_11comp_targetILNS1_3genE0ELNS1_11target_archE4294967295ELNS1_3gpuE0ELNS1_3repE0EEENS1_48merge_mergepath_partition_config_static_selectorELNS0_4arch9wavefront6targetE1EEEvSL_,comdat
.Lfunc_end1933:
	.size	_ZN7rocprim17ROCPRIM_400000_NS6detail17trampoline_kernelINS0_14default_configENS1_38merge_sort_block_merge_config_selectorIbiEEZZNS1_27merge_sort_block_merge_implIS3_N6thrust23THRUST_200600_302600_NS6detail15normal_iteratorINS8_10device_ptrIbEEEENSA_INSB_IiEEEEjNS1_19radix_merge_compareILb0ELb0EbNS0_19identity_decomposerEEEEE10hipError_tT0_T1_T2_jT3_P12ihipStream_tbPNSt15iterator_traitsISK_E10value_typeEPNSQ_ISL_E10value_typeEPSM_NS1_7vsmem_tEENKUlT_SK_SL_SM_E_clISD_PbSF_PiEESJ_SZ_SK_SL_SM_EUlSZ_E_NS1_11comp_targetILNS1_3genE0ELNS1_11target_archE4294967295ELNS1_3gpuE0ELNS1_3repE0EEENS1_48merge_mergepath_partition_config_static_selectorELNS0_4arch9wavefront6targetE1EEEvSL_, .Lfunc_end1933-_ZN7rocprim17ROCPRIM_400000_NS6detail17trampoline_kernelINS0_14default_configENS1_38merge_sort_block_merge_config_selectorIbiEEZZNS1_27merge_sort_block_merge_implIS3_N6thrust23THRUST_200600_302600_NS6detail15normal_iteratorINS8_10device_ptrIbEEEENSA_INSB_IiEEEEjNS1_19radix_merge_compareILb0ELb0EbNS0_19identity_decomposerEEEEE10hipError_tT0_T1_T2_jT3_P12ihipStream_tbPNSt15iterator_traitsISK_E10value_typeEPNSQ_ISL_E10value_typeEPSM_NS1_7vsmem_tEENKUlT_SK_SL_SM_E_clISD_PbSF_PiEESJ_SZ_SK_SL_SM_EUlSZ_E_NS1_11comp_targetILNS1_3genE0ELNS1_11target_archE4294967295ELNS1_3gpuE0ELNS1_3repE0EEENS1_48merge_mergepath_partition_config_static_selectorELNS0_4arch9wavefront6targetE1EEEvSL_
                                        ; -- End function
	.set _ZN7rocprim17ROCPRIM_400000_NS6detail17trampoline_kernelINS0_14default_configENS1_38merge_sort_block_merge_config_selectorIbiEEZZNS1_27merge_sort_block_merge_implIS3_N6thrust23THRUST_200600_302600_NS6detail15normal_iteratorINS8_10device_ptrIbEEEENSA_INSB_IiEEEEjNS1_19radix_merge_compareILb0ELb0EbNS0_19identity_decomposerEEEEE10hipError_tT0_T1_T2_jT3_P12ihipStream_tbPNSt15iterator_traitsISK_E10value_typeEPNSQ_ISL_E10value_typeEPSM_NS1_7vsmem_tEENKUlT_SK_SL_SM_E_clISD_PbSF_PiEESJ_SZ_SK_SL_SM_EUlSZ_E_NS1_11comp_targetILNS1_3genE0ELNS1_11target_archE4294967295ELNS1_3gpuE0ELNS1_3repE0EEENS1_48merge_mergepath_partition_config_static_selectorELNS0_4arch9wavefront6targetE1EEEvSL_.num_vgpr, 17
	.set _ZN7rocprim17ROCPRIM_400000_NS6detail17trampoline_kernelINS0_14default_configENS1_38merge_sort_block_merge_config_selectorIbiEEZZNS1_27merge_sort_block_merge_implIS3_N6thrust23THRUST_200600_302600_NS6detail15normal_iteratorINS8_10device_ptrIbEEEENSA_INSB_IiEEEEjNS1_19radix_merge_compareILb0ELb0EbNS0_19identity_decomposerEEEEE10hipError_tT0_T1_T2_jT3_P12ihipStream_tbPNSt15iterator_traitsISK_E10value_typeEPNSQ_ISL_E10value_typeEPSM_NS1_7vsmem_tEENKUlT_SK_SL_SM_E_clISD_PbSF_PiEESJ_SZ_SK_SL_SM_EUlSZ_E_NS1_11comp_targetILNS1_3genE0ELNS1_11target_archE4294967295ELNS1_3gpuE0ELNS1_3repE0EEENS1_48merge_mergepath_partition_config_static_selectorELNS0_4arch9wavefront6targetE1EEEvSL_.num_agpr, 0
	.set _ZN7rocprim17ROCPRIM_400000_NS6detail17trampoline_kernelINS0_14default_configENS1_38merge_sort_block_merge_config_selectorIbiEEZZNS1_27merge_sort_block_merge_implIS3_N6thrust23THRUST_200600_302600_NS6detail15normal_iteratorINS8_10device_ptrIbEEEENSA_INSB_IiEEEEjNS1_19radix_merge_compareILb0ELb0EbNS0_19identity_decomposerEEEEE10hipError_tT0_T1_T2_jT3_P12ihipStream_tbPNSt15iterator_traitsISK_E10value_typeEPNSQ_ISL_E10value_typeEPSM_NS1_7vsmem_tEENKUlT_SK_SL_SM_E_clISD_PbSF_PiEESJ_SZ_SK_SL_SM_EUlSZ_E_NS1_11comp_targetILNS1_3genE0ELNS1_11target_archE4294967295ELNS1_3gpuE0ELNS1_3repE0EEENS1_48merge_mergepath_partition_config_static_selectorELNS0_4arch9wavefront6targetE1EEEvSL_.numbered_sgpr, 8
	.set _ZN7rocprim17ROCPRIM_400000_NS6detail17trampoline_kernelINS0_14default_configENS1_38merge_sort_block_merge_config_selectorIbiEEZZNS1_27merge_sort_block_merge_implIS3_N6thrust23THRUST_200600_302600_NS6detail15normal_iteratorINS8_10device_ptrIbEEEENSA_INSB_IiEEEEjNS1_19radix_merge_compareILb0ELb0EbNS0_19identity_decomposerEEEEE10hipError_tT0_T1_T2_jT3_P12ihipStream_tbPNSt15iterator_traitsISK_E10value_typeEPNSQ_ISL_E10value_typeEPSM_NS1_7vsmem_tEENKUlT_SK_SL_SM_E_clISD_PbSF_PiEESJ_SZ_SK_SL_SM_EUlSZ_E_NS1_11comp_targetILNS1_3genE0ELNS1_11target_archE4294967295ELNS1_3gpuE0ELNS1_3repE0EEENS1_48merge_mergepath_partition_config_static_selectorELNS0_4arch9wavefront6targetE1EEEvSL_.num_named_barrier, 0
	.set _ZN7rocprim17ROCPRIM_400000_NS6detail17trampoline_kernelINS0_14default_configENS1_38merge_sort_block_merge_config_selectorIbiEEZZNS1_27merge_sort_block_merge_implIS3_N6thrust23THRUST_200600_302600_NS6detail15normal_iteratorINS8_10device_ptrIbEEEENSA_INSB_IiEEEEjNS1_19radix_merge_compareILb0ELb0EbNS0_19identity_decomposerEEEEE10hipError_tT0_T1_T2_jT3_P12ihipStream_tbPNSt15iterator_traitsISK_E10value_typeEPNSQ_ISL_E10value_typeEPSM_NS1_7vsmem_tEENKUlT_SK_SL_SM_E_clISD_PbSF_PiEESJ_SZ_SK_SL_SM_EUlSZ_E_NS1_11comp_targetILNS1_3genE0ELNS1_11target_archE4294967295ELNS1_3gpuE0ELNS1_3repE0EEENS1_48merge_mergepath_partition_config_static_selectorELNS0_4arch9wavefront6targetE1EEEvSL_.private_seg_size, 0
	.set _ZN7rocprim17ROCPRIM_400000_NS6detail17trampoline_kernelINS0_14default_configENS1_38merge_sort_block_merge_config_selectorIbiEEZZNS1_27merge_sort_block_merge_implIS3_N6thrust23THRUST_200600_302600_NS6detail15normal_iteratorINS8_10device_ptrIbEEEENSA_INSB_IiEEEEjNS1_19radix_merge_compareILb0ELb0EbNS0_19identity_decomposerEEEEE10hipError_tT0_T1_T2_jT3_P12ihipStream_tbPNSt15iterator_traitsISK_E10value_typeEPNSQ_ISL_E10value_typeEPSM_NS1_7vsmem_tEENKUlT_SK_SL_SM_E_clISD_PbSF_PiEESJ_SZ_SK_SL_SM_EUlSZ_E_NS1_11comp_targetILNS1_3genE0ELNS1_11target_archE4294967295ELNS1_3gpuE0ELNS1_3repE0EEENS1_48merge_mergepath_partition_config_static_selectorELNS0_4arch9wavefront6targetE1EEEvSL_.uses_vcc, 1
	.set _ZN7rocprim17ROCPRIM_400000_NS6detail17trampoline_kernelINS0_14default_configENS1_38merge_sort_block_merge_config_selectorIbiEEZZNS1_27merge_sort_block_merge_implIS3_N6thrust23THRUST_200600_302600_NS6detail15normal_iteratorINS8_10device_ptrIbEEEENSA_INSB_IiEEEEjNS1_19radix_merge_compareILb0ELb0EbNS0_19identity_decomposerEEEEE10hipError_tT0_T1_T2_jT3_P12ihipStream_tbPNSt15iterator_traitsISK_E10value_typeEPNSQ_ISL_E10value_typeEPSM_NS1_7vsmem_tEENKUlT_SK_SL_SM_E_clISD_PbSF_PiEESJ_SZ_SK_SL_SM_EUlSZ_E_NS1_11comp_targetILNS1_3genE0ELNS1_11target_archE4294967295ELNS1_3gpuE0ELNS1_3repE0EEENS1_48merge_mergepath_partition_config_static_selectorELNS0_4arch9wavefront6targetE1EEEvSL_.uses_flat_scratch, 0
	.set _ZN7rocprim17ROCPRIM_400000_NS6detail17trampoline_kernelINS0_14default_configENS1_38merge_sort_block_merge_config_selectorIbiEEZZNS1_27merge_sort_block_merge_implIS3_N6thrust23THRUST_200600_302600_NS6detail15normal_iteratorINS8_10device_ptrIbEEEENSA_INSB_IiEEEEjNS1_19radix_merge_compareILb0ELb0EbNS0_19identity_decomposerEEEEE10hipError_tT0_T1_T2_jT3_P12ihipStream_tbPNSt15iterator_traitsISK_E10value_typeEPNSQ_ISL_E10value_typeEPSM_NS1_7vsmem_tEENKUlT_SK_SL_SM_E_clISD_PbSF_PiEESJ_SZ_SK_SL_SM_EUlSZ_E_NS1_11comp_targetILNS1_3genE0ELNS1_11target_archE4294967295ELNS1_3gpuE0ELNS1_3repE0EEENS1_48merge_mergepath_partition_config_static_selectorELNS0_4arch9wavefront6targetE1EEEvSL_.has_dyn_sized_stack, 0
	.set _ZN7rocprim17ROCPRIM_400000_NS6detail17trampoline_kernelINS0_14default_configENS1_38merge_sort_block_merge_config_selectorIbiEEZZNS1_27merge_sort_block_merge_implIS3_N6thrust23THRUST_200600_302600_NS6detail15normal_iteratorINS8_10device_ptrIbEEEENSA_INSB_IiEEEEjNS1_19radix_merge_compareILb0ELb0EbNS0_19identity_decomposerEEEEE10hipError_tT0_T1_T2_jT3_P12ihipStream_tbPNSt15iterator_traitsISK_E10value_typeEPNSQ_ISL_E10value_typeEPSM_NS1_7vsmem_tEENKUlT_SK_SL_SM_E_clISD_PbSF_PiEESJ_SZ_SK_SL_SM_EUlSZ_E_NS1_11comp_targetILNS1_3genE0ELNS1_11target_archE4294967295ELNS1_3gpuE0ELNS1_3repE0EEENS1_48merge_mergepath_partition_config_static_selectorELNS0_4arch9wavefront6targetE1EEEvSL_.has_recursion, 0
	.set _ZN7rocprim17ROCPRIM_400000_NS6detail17trampoline_kernelINS0_14default_configENS1_38merge_sort_block_merge_config_selectorIbiEEZZNS1_27merge_sort_block_merge_implIS3_N6thrust23THRUST_200600_302600_NS6detail15normal_iteratorINS8_10device_ptrIbEEEENSA_INSB_IiEEEEjNS1_19radix_merge_compareILb0ELb0EbNS0_19identity_decomposerEEEEE10hipError_tT0_T1_T2_jT3_P12ihipStream_tbPNSt15iterator_traitsISK_E10value_typeEPNSQ_ISL_E10value_typeEPSM_NS1_7vsmem_tEENKUlT_SK_SL_SM_E_clISD_PbSF_PiEESJ_SZ_SK_SL_SM_EUlSZ_E_NS1_11comp_targetILNS1_3genE0ELNS1_11target_archE4294967295ELNS1_3gpuE0ELNS1_3repE0EEENS1_48merge_mergepath_partition_config_static_selectorELNS0_4arch9wavefront6targetE1EEEvSL_.has_indirect_call, 0
	.section	.AMDGPU.csdata,"",@progbits
; Kernel info:
; codeLenInByte = 316
; TotalNumSgprs: 14
; NumVgprs: 17
; NumAgprs: 0
; TotalNumVgprs: 17
; ScratchSize: 0
; MemoryBound: 0
; FloatMode: 240
; IeeeMode: 1
; LDSByteSize: 0 bytes/workgroup (compile time only)
; SGPRBlocks: 1
; VGPRBlocks: 2
; NumSGPRsForWavesPerEU: 14
; NumVGPRsForWavesPerEU: 17
; AccumOffset: 20
; Occupancy: 8
; WaveLimiterHint : 0
; COMPUTE_PGM_RSRC2:SCRATCH_EN: 0
; COMPUTE_PGM_RSRC2:USER_SGPR: 2
; COMPUTE_PGM_RSRC2:TRAP_HANDLER: 0
; COMPUTE_PGM_RSRC2:TGID_X_EN: 1
; COMPUTE_PGM_RSRC2:TGID_Y_EN: 0
; COMPUTE_PGM_RSRC2:TGID_Z_EN: 0
; COMPUTE_PGM_RSRC2:TIDIG_COMP_CNT: 0
; COMPUTE_PGM_RSRC3_GFX90A:ACCUM_OFFSET: 4
; COMPUTE_PGM_RSRC3_GFX90A:TG_SPLIT: 0
	.section	.text._ZN7rocprim17ROCPRIM_400000_NS6detail17trampoline_kernelINS0_14default_configENS1_38merge_sort_block_merge_config_selectorIbiEEZZNS1_27merge_sort_block_merge_implIS3_N6thrust23THRUST_200600_302600_NS6detail15normal_iteratorINS8_10device_ptrIbEEEENSA_INSB_IiEEEEjNS1_19radix_merge_compareILb0ELb0EbNS0_19identity_decomposerEEEEE10hipError_tT0_T1_T2_jT3_P12ihipStream_tbPNSt15iterator_traitsISK_E10value_typeEPNSQ_ISL_E10value_typeEPSM_NS1_7vsmem_tEENKUlT_SK_SL_SM_E_clISD_PbSF_PiEESJ_SZ_SK_SL_SM_EUlSZ_E_NS1_11comp_targetILNS1_3genE10ELNS1_11target_archE1201ELNS1_3gpuE5ELNS1_3repE0EEENS1_48merge_mergepath_partition_config_static_selectorELNS0_4arch9wavefront6targetE1EEEvSL_,"axG",@progbits,_ZN7rocprim17ROCPRIM_400000_NS6detail17trampoline_kernelINS0_14default_configENS1_38merge_sort_block_merge_config_selectorIbiEEZZNS1_27merge_sort_block_merge_implIS3_N6thrust23THRUST_200600_302600_NS6detail15normal_iteratorINS8_10device_ptrIbEEEENSA_INSB_IiEEEEjNS1_19radix_merge_compareILb0ELb0EbNS0_19identity_decomposerEEEEE10hipError_tT0_T1_T2_jT3_P12ihipStream_tbPNSt15iterator_traitsISK_E10value_typeEPNSQ_ISL_E10value_typeEPSM_NS1_7vsmem_tEENKUlT_SK_SL_SM_E_clISD_PbSF_PiEESJ_SZ_SK_SL_SM_EUlSZ_E_NS1_11comp_targetILNS1_3genE10ELNS1_11target_archE1201ELNS1_3gpuE5ELNS1_3repE0EEENS1_48merge_mergepath_partition_config_static_selectorELNS0_4arch9wavefront6targetE1EEEvSL_,comdat
	.protected	_ZN7rocprim17ROCPRIM_400000_NS6detail17trampoline_kernelINS0_14default_configENS1_38merge_sort_block_merge_config_selectorIbiEEZZNS1_27merge_sort_block_merge_implIS3_N6thrust23THRUST_200600_302600_NS6detail15normal_iteratorINS8_10device_ptrIbEEEENSA_INSB_IiEEEEjNS1_19radix_merge_compareILb0ELb0EbNS0_19identity_decomposerEEEEE10hipError_tT0_T1_T2_jT3_P12ihipStream_tbPNSt15iterator_traitsISK_E10value_typeEPNSQ_ISL_E10value_typeEPSM_NS1_7vsmem_tEENKUlT_SK_SL_SM_E_clISD_PbSF_PiEESJ_SZ_SK_SL_SM_EUlSZ_E_NS1_11comp_targetILNS1_3genE10ELNS1_11target_archE1201ELNS1_3gpuE5ELNS1_3repE0EEENS1_48merge_mergepath_partition_config_static_selectorELNS0_4arch9wavefront6targetE1EEEvSL_ ; -- Begin function _ZN7rocprim17ROCPRIM_400000_NS6detail17trampoline_kernelINS0_14default_configENS1_38merge_sort_block_merge_config_selectorIbiEEZZNS1_27merge_sort_block_merge_implIS3_N6thrust23THRUST_200600_302600_NS6detail15normal_iteratorINS8_10device_ptrIbEEEENSA_INSB_IiEEEEjNS1_19radix_merge_compareILb0ELb0EbNS0_19identity_decomposerEEEEE10hipError_tT0_T1_T2_jT3_P12ihipStream_tbPNSt15iterator_traitsISK_E10value_typeEPNSQ_ISL_E10value_typeEPSM_NS1_7vsmem_tEENKUlT_SK_SL_SM_E_clISD_PbSF_PiEESJ_SZ_SK_SL_SM_EUlSZ_E_NS1_11comp_targetILNS1_3genE10ELNS1_11target_archE1201ELNS1_3gpuE5ELNS1_3repE0EEENS1_48merge_mergepath_partition_config_static_selectorELNS0_4arch9wavefront6targetE1EEEvSL_
	.globl	_ZN7rocprim17ROCPRIM_400000_NS6detail17trampoline_kernelINS0_14default_configENS1_38merge_sort_block_merge_config_selectorIbiEEZZNS1_27merge_sort_block_merge_implIS3_N6thrust23THRUST_200600_302600_NS6detail15normal_iteratorINS8_10device_ptrIbEEEENSA_INSB_IiEEEEjNS1_19radix_merge_compareILb0ELb0EbNS0_19identity_decomposerEEEEE10hipError_tT0_T1_T2_jT3_P12ihipStream_tbPNSt15iterator_traitsISK_E10value_typeEPNSQ_ISL_E10value_typeEPSM_NS1_7vsmem_tEENKUlT_SK_SL_SM_E_clISD_PbSF_PiEESJ_SZ_SK_SL_SM_EUlSZ_E_NS1_11comp_targetILNS1_3genE10ELNS1_11target_archE1201ELNS1_3gpuE5ELNS1_3repE0EEENS1_48merge_mergepath_partition_config_static_selectorELNS0_4arch9wavefront6targetE1EEEvSL_
	.p2align	8
	.type	_ZN7rocprim17ROCPRIM_400000_NS6detail17trampoline_kernelINS0_14default_configENS1_38merge_sort_block_merge_config_selectorIbiEEZZNS1_27merge_sort_block_merge_implIS3_N6thrust23THRUST_200600_302600_NS6detail15normal_iteratorINS8_10device_ptrIbEEEENSA_INSB_IiEEEEjNS1_19radix_merge_compareILb0ELb0EbNS0_19identity_decomposerEEEEE10hipError_tT0_T1_T2_jT3_P12ihipStream_tbPNSt15iterator_traitsISK_E10value_typeEPNSQ_ISL_E10value_typeEPSM_NS1_7vsmem_tEENKUlT_SK_SL_SM_E_clISD_PbSF_PiEESJ_SZ_SK_SL_SM_EUlSZ_E_NS1_11comp_targetILNS1_3genE10ELNS1_11target_archE1201ELNS1_3gpuE5ELNS1_3repE0EEENS1_48merge_mergepath_partition_config_static_selectorELNS0_4arch9wavefront6targetE1EEEvSL_,@function
_ZN7rocprim17ROCPRIM_400000_NS6detail17trampoline_kernelINS0_14default_configENS1_38merge_sort_block_merge_config_selectorIbiEEZZNS1_27merge_sort_block_merge_implIS3_N6thrust23THRUST_200600_302600_NS6detail15normal_iteratorINS8_10device_ptrIbEEEENSA_INSB_IiEEEEjNS1_19radix_merge_compareILb0ELb0EbNS0_19identity_decomposerEEEEE10hipError_tT0_T1_T2_jT3_P12ihipStream_tbPNSt15iterator_traitsISK_E10value_typeEPNSQ_ISL_E10value_typeEPSM_NS1_7vsmem_tEENKUlT_SK_SL_SM_E_clISD_PbSF_PiEESJ_SZ_SK_SL_SM_EUlSZ_E_NS1_11comp_targetILNS1_3genE10ELNS1_11target_archE1201ELNS1_3gpuE5ELNS1_3repE0EEENS1_48merge_mergepath_partition_config_static_selectorELNS0_4arch9wavefront6targetE1EEEvSL_: ; @_ZN7rocprim17ROCPRIM_400000_NS6detail17trampoline_kernelINS0_14default_configENS1_38merge_sort_block_merge_config_selectorIbiEEZZNS1_27merge_sort_block_merge_implIS3_N6thrust23THRUST_200600_302600_NS6detail15normal_iteratorINS8_10device_ptrIbEEEENSA_INSB_IiEEEEjNS1_19radix_merge_compareILb0ELb0EbNS0_19identity_decomposerEEEEE10hipError_tT0_T1_T2_jT3_P12ihipStream_tbPNSt15iterator_traitsISK_E10value_typeEPNSQ_ISL_E10value_typeEPSM_NS1_7vsmem_tEENKUlT_SK_SL_SM_E_clISD_PbSF_PiEESJ_SZ_SK_SL_SM_EUlSZ_E_NS1_11comp_targetILNS1_3genE10ELNS1_11target_archE1201ELNS1_3gpuE5ELNS1_3repE0EEENS1_48merge_mergepath_partition_config_static_selectorELNS0_4arch9wavefront6targetE1EEEvSL_
; %bb.0:
	.section	.rodata,"a",@progbits
	.p2align	6, 0x0
	.amdhsa_kernel _ZN7rocprim17ROCPRIM_400000_NS6detail17trampoline_kernelINS0_14default_configENS1_38merge_sort_block_merge_config_selectorIbiEEZZNS1_27merge_sort_block_merge_implIS3_N6thrust23THRUST_200600_302600_NS6detail15normal_iteratorINS8_10device_ptrIbEEEENSA_INSB_IiEEEEjNS1_19radix_merge_compareILb0ELb0EbNS0_19identity_decomposerEEEEE10hipError_tT0_T1_T2_jT3_P12ihipStream_tbPNSt15iterator_traitsISK_E10value_typeEPNSQ_ISL_E10value_typeEPSM_NS1_7vsmem_tEENKUlT_SK_SL_SM_E_clISD_PbSF_PiEESJ_SZ_SK_SL_SM_EUlSZ_E_NS1_11comp_targetILNS1_3genE10ELNS1_11target_archE1201ELNS1_3gpuE5ELNS1_3repE0EEENS1_48merge_mergepath_partition_config_static_selectorELNS0_4arch9wavefront6targetE1EEEvSL_
		.amdhsa_group_segment_fixed_size 0
		.amdhsa_private_segment_fixed_size 0
		.amdhsa_kernarg_size 40
		.amdhsa_user_sgpr_count 2
		.amdhsa_user_sgpr_dispatch_ptr 0
		.amdhsa_user_sgpr_queue_ptr 0
		.amdhsa_user_sgpr_kernarg_segment_ptr 1
		.amdhsa_user_sgpr_dispatch_id 0
		.amdhsa_user_sgpr_kernarg_preload_length 0
		.amdhsa_user_sgpr_kernarg_preload_offset 0
		.amdhsa_user_sgpr_private_segment_size 0
		.amdhsa_uses_dynamic_stack 0
		.amdhsa_enable_private_segment 0
		.amdhsa_system_sgpr_workgroup_id_x 1
		.amdhsa_system_sgpr_workgroup_id_y 0
		.amdhsa_system_sgpr_workgroup_id_z 0
		.amdhsa_system_sgpr_workgroup_info 0
		.amdhsa_system_vgpr_workitem_id 0
		.amdhsa_next_free_vgpr 1
		.amdhsa_next_free_sgpr 0
		.amdhsa_accum_offset 4
		.amdhsa_reserve_vcc 0
		.amdhsa_float_round_mode_32 0
		.amdhsa_float_round_mode_16_64 0
		.amdhsa_float_denorm_mode_32 3
		.amdhsa_float_denorm_mode_16_64 3
		.amdhsa_dx10_clamp 1
		.amdhsa_ieee_mode 1
		.amdhsa_fp16_overflow 0
		.amdhsa_tg_split 0
		.amdhsa_exception_fp_ieee_invalid_op 0
		.amdhsa_exception_fp_denorm_src 0
		.amdhsa_exception_fp_ieee_div_zero 0
		.amdhsa_exception_fp_ieee_overflow 0
		.amdhsa_exception_fp_ieee_underflow 0
		.amdhsa_exception_fp_ieee_inexact 0
		.amdhsa_exception_int_div_zero 0
	.end_amdhsa_kernel
	.section	.text._ZN7rocprim17ROCPRIM_400000_NS6detail17trampoline_kernelINS0_14default_configENS1_38merge_sort_block_merge_config_selectorIbiEEZZNS1_27merge_sort_block_merge_implIS3_N6thrust23THRUST_200600_302600_NS6detail15normal_iteratorINS8_10device_ptrIbEEEENSA_INSB_IiEEEEjNS1_19radix_merge_compareILb0ELb0EbNS0_19identity_decomposerEEEEE10hipError_tT0_T1_T2_jT3_P12ihipStream_tbPNSt15iterator_traitsISK_E10value_typeEPNSQ_ISL_E10value_typeEPSM_NS1_7vsmem_tEENKUlT_SK_SL_SM_E_clISD_PbSF_PiEESJ_SZ_SK_SL_SM_EUlSZ_E_NS1_11comp_targetILNS1_3genE10ELNS1_11target_archE1201ELNS1_3gpuE5ELNS1_3repE0EEENS1_48merge_mergepath_partition_config_static_selectorELNS0_4arch9wavefront6targetE1EEEvSL_,"axG",@progbits,_ZN7rocprim17ROCPRIM_400000_NS6detail17trampoline_kernelINS0_14default_configENS1_38merge_sort_block_merge_config_selectorIbiEEZZNS1_27merge_sort_block_merge_implIS3_N6thrust23THRUST_200600_302600_NS6detail15normal_iteratorINS8_10device_ptrIbEEEENSA_INSB_IiEEEEjNS1_19radix_merge_compareILb0ELb0EbNS0_19identity_decomposerEEEEE10hipError_tT0_T1_T2_jT3_P12ihipStream_tbPNSt15iterator_traitsISK_E10value_typeEPNSQ_ISL_E10value_typeEPSM_NS1_7vsmem_tEENKUlT_SK_SL_SM_E_clISD_PbSF_PiEESJ_SZ_SK_SL_SM_EUlSZ_E_NS1_11comp_targetILNS1_3genE10ELNS1_11target_archE1201ELNS1_3gpuE5ELNS1_3repE0EEENS1_48merge_mergepath_partition_config_static_selectorELNS0_4arch9wavefront6targetE1EEEvSL_,comdat
.Lfunc_end1934:
	.size	_ZN7rocprim17ROCPRIM_400000_NS6detail17trampoline_kernelINS0_14default_configENS1_38merge_sort_block_merge_config_selectorIbiEEZZNS1_27merge_sort_block_merge_implIS3_N6thrust23THRUST_200600_302600_NS6detail15normal_iteratorINS8_10device_ptrIbEEEENSA_INSB_IiEEEEjNS1_19radix_merge_compareILb0ELb0EbNS0_19identity_decomposerEEEEE10hipError_tT0_T1_T2_jT3_P12ihipStream_tbPNSt15iterator_traitsISK_E10value_typeEPNSQ_ISL_E10value_typeEPSM_NS1_7vsmem_tEENKUlT_SK_SL_SM_E_clISD_PbSF_PiEESJ_SZ_SK_SL_SM_EUlSZ_E_NS1_11comp_targetILNS1_3genE10ELNS1_11target_archE1201ELNS1_3gpuE5ELNS1_3repE0EEENS1_48merge_mergepath_partition_config_static_selectorELNS0_4arch9wavefront6targetE1EEEvSL_, .Lfunc_end1934-_ZN7rocprim17ROCPRIM_400000_NS6detail17trampoline_kernelINS0_14default_configENS1_38merge_sort_block_merge_config_selectorIbiEEZZNS1_27merge_sort_block_merge_implIS3_N6thrust23THRUST_200600_302600_NS6detail15normal_iteratorINS8_10device_ptrIbEEEENSA_INSB_IiEEEEjNS1_19radix_merge_compareILb0ELb0EbNS0_19identity_decomposerEEEEE10hipError_tT0_T1_T2_jT3_P12ihipStream_tbPNSt15iterator_traitsISK_E10value_typeEPNSQ_ISL_E10value_typeEPSM_NS1_7vsmem_tEENKUlT_SK_SL_SM_E_clISD_PbSF_PiEESJ_SZ_SK_SL_SM_EUlSZ_E_NS1_11comp_targetILNS1_3genE10ELNS1_11target_archE1201ELNS1_3gpuE5ELNS1_3repE0EEENS1_48merge_mergepath_partition_config_static_selectorELNS0_4arch9wavefront6targetE1EEEvSL_
                                        ; -- End function
	.set _ZN7rocprim17ROCPRIM_400000_NS6detail17trampoline_kernelINS0_14default_configENS1_38merge_sort_block_merge_config_selectorIbiEEZZNS1_27merge_sort_block_merge_implIS3_N6thrust23THRUST_200600_302600_NS6detail15normal_iteratorINS8_10device_ptrIbEEEENSA_INSB_IiEEEEjNS1_19radix_merge_compareILb0ELb0EbNS0_19identity_decomposerEEEEE10hipError_tT0_T1_T2_jT3_P12ihipStream_tbPNSt15iterator_traitsISK_E10value_typeEPNSQ_ISL_E10value_typeEPSM_NS1_7vsmem_tEENKUlT_SK_SL_SM_E_clISD_PbSF_PiEESJ_SZ_SK_SL_SM_EUlSZ_E_NS1_11comp_targetILNS1_3genE10ELNS1_11target_archE1201ELNS1_3gpuE5ELNS1_3repE0EEENS1_48merge_mergepath_partition_config_static_selectorELNS0_4arch9wavefront6targetE1EEEvSL_.num_vgpr, 0
	.set _ZN7rocprim17ROCPRIM_400000_NS6detail17trampoline_kernelINS0_14default_configENS1_38merge_sort_block_merge_config_selectorIbiEEZZNS1_27merge_sort_block_merge_implIS3_N6thrust23THRUST_200600_302600_NS6detail15normal_iteratorINS8_10device_ptrIbEEEENSA_INSB_IiEEEEjNS1_19radix_merge_compareILb0ELb0EbNS0_19identity_decomposerEEEEE10hipError_tT0_T1_T2_jT3_P12ihipStream_tbPNSt15iterator_traitsISK_E10value_typeEPNSQ_ISL_E10value_typeEPSM_NS1_7vsmem_tEENKUlT_SK_SL_SM_E_clISD_PbSF_PiEESJ_SZ_SK_SL_SM_EUlSZ_E_NS1_11comp_targetILNS1_3genE10ELNS1_11target_archE1201ELNS1_3gpuE5ELNS1_3repE0EEENS1_48merge_mergepath_partition_config_static_selectorELNS0_4arch9wavefront6targetE1EEEvSL_.num_agpr, 0
	.set _ZN7rocprim17ROCPRIM_400000_NS6detail17trampoline_kernelINS0_14default_configENS1_38merge_sort_block_merge_config_selectorIbiEEZZNS1_27merge_sort_block_merge_implIS3_N6thrust23THRUST_200600_302600_NS6detail15normal_iteratorINS8_10device_ptrIbEEEENSA_INSB_IiEEEEjNS1_19radix_merge_compareILb0ELb0EbNS0_19identity_decomposerEEEEE10hipError_tT0_T1_T2_jT3_P12ihipStream_tbPNSt15iterator_traitsISK_E10value_typeEPNSQ_ISL_E10value_typeEPSM_NS1_7vsmem_tEENKUlT_SK_SL_SM_E_clISD_PbSF_PiEESJ_SZ_SK_SL_SM_EUlSZ_E_NS1_11comp_targetILNS1_3genE10ELNS1_11target_archE1201ELNS1_3gpuE5ELNS1_3repE0EEENS1_48merge_mergepath_partition_config_static_selectorELNS0_4arch9wavefront6targetE1EEEvSL_.numbered_sgpr, 0
	.set _ZN7rocprim17ROCPRIM_400000_NS6detail17trampoline_kernelINS0_14default_configENS1_38merge_sort_block_merge_config_selectorIbiEEZZNS1_27merge_sort_block_merge_implIS3_N6thrust23THRUST_200600_302600_NS6detail15normal_iteratorINS8_10device_ptrIbEEEENSA_INSB_IiEEEEjNS1_19radix_merge_compareILb0ELb0EbNS0_19identity_decomposerEEEEE10hipError_tT0_T1_T2_jT3_P12ihipStream_tbPNSt15iterator_traitsISK_E10value_typeEPNSQ_ISL_E10value_typeEPSM_NS1_7vsmem_tEENKUlT_SK_SL_SM_E_clISD_PbSF_PiEESJ_SZ_SK_SL_SM_EUlSZ_E_NS1_11comp_targetILNS1_3genE10ELNS1_11target_archE1201ELNS1_3gpuE5ELNS1_3repE0EEENS1_48merge_mergepath_partition_config_static_selectorELNS0_4arch9wavefront6targetE1EEEvSL_.num_named_barrier, 0
	.set _ZN7rocprim17ROCPRIM_400000_NS6detail17trampoline_kernelINS0_14default_configENS1_38merge_sort_block_merge_config_selectorIbiEEZZNS1_27merge_sort_block_merge_implIS3_N6thrust23THRUST_200600_302600_NS6detail15normal_iteratorINS8_10device_ptrIbEEEENSA_INSB_IiEEEEjNS1_19radix_merge_compareILb0ELb0EbNS0_19identity_decomposerEEEEE10hipError_tT0_T1_T2_jT3_P12ihipStream_tbPNSt15iterator_traitsISK_E10value_typeEPNSQ_ISL_E10value_typeEPSM_NS1_7vsmem_tEENKUlT_SK_SL_SM_E_clISD_PbSF_PiEESJ_SZ_SK_SL_SM_EUlSZ_E_NS1_11comp_targetILNS1_3genE10ELNS1_11target_archE1201ELNS1_3gpuE5ELNS1_3repE0EEENS1_48merge_mergepath_partition_config_static_selectorELNS0_4arch9wavefront6targetE1EEEvSL_.private_seg_size, 0
	.set _ZN7rocprim17ROCPRIM_400000_NS6detail17trampoline_kernelINS0_14default_configENS1_38merge_sort_block_merge_config_selectorIbiEEZZNS1_27merge_sort_block_merge_implIS3_N6thrust23THRUST_200600_302600_NS6detail15normal_iteratorINS8_10device_ptrIbEEEENSA_INSB_IiEEEEjNS1_19radix_merge_compareILb0ELb0EbNS0_19identity_decomposerEEEEE10hipError_tT0_T1_T2_jT3_P12ihipStream_tbPNSt15iterator_traitsISK_E10value_typeEPNSQ_ISL_E10value_typeEPSM_NS1_7vsmem_tEENKUlT_SK_SL_SM_E_clISD_PbSF_PiEESJ_SZ_SK_SL_SM_EUlSZ_E_NS1_11comp_targetILNS1_3genE10ELNS1_11target_archE1201ELNS1_3gpuE5ELNS1_3repE0EEENS1_48merge_mergepath_partition_config_static_selectorELNS0_4arch9wavefront6targetE1EEEvSL_.uses_vcc, 0
	.set _ZN7rocprim17ROCPRIM_400000_NS6detail17trampoline_kernelINS0_14default_configENS1_38merge_sort_block_merge_config_selectorIbiEEZZNS1_27merge_sort_block_merge_implIS3_N6thrust23THRUST_200600_302600_NS6detail15normal_iteratorINS8_10device_ptrIbEEEENSA_INSB_IiEEEEjNS1_19radix_merge_compareILb0ELb0EbNS0_19identity_decomposerEEEEE10hipError_tT0_T1_T2_jT3_P12ihipStream_tbPNSt15iterator_traitsISK_E10value_typeEPNSQ_ISL_E10value_typeEPSM_NS1_7vsmem_tEENKUlT_SK_SL_SM_E_clISD_PbSF_PiEESJ_SZ_SK_SL_SM_EUlSZ_E_NS1_11comp_targetILNS1_3genE10ELNS1_11target_archE1201ELNS1_3gpuE5ELNS1_3repE0EEENS1_48merge_mergepath_partition_config_static_selectorELNS0_4arch9wavefront6targetE1EEEvSL_.uses_flat_scratch, 0
	.set _ZN7rocprim17ROCPRIM_400000_NS6detail17trampoline_kernelINS0_14default_configENS1_38merge_sort_block_merge_config_selectorIbiEEZZNS1_27merge_sort_block_merge_implIS3_N6thrust23THRUST_200600_302600_NS6detail15normal_iteratorINS8_10device_ptrIbEEEENSA_INSB_IiEEEEjNS1_19radix_merge_compareILb0ELb0EbNS0_19identity_decomposerEEEEE10hipError_tT0_T1_T2_jT3_P12ihipStream_tbPNSt15iterator_traitsISK_E10value_typeEPNSQ_ISL_E10value_typeEPSM_NS1_7vsmem_tEENKUlT_SK_SL_SM_E_clISD_PbSF_PiEESJ_SZ_SK_SL_SM_EUlSZ_E_NS1_11comp_targetILNS1_3genE10ELNS1_11target_archE1201ELNS1_3gpuE5ELNS1_3repE0EEENS1_48merge_mergepath_partition_config_static_selectorELNS0_4arch9wavefront6targetE1EEEvSL_.has_dyn_sized_stack, 0
	.set _ZN7rocprim17ROCPRIM_400000_NS6detail17trampoline_kernelINS0_14default_configENS1_38merge_sort_block_merge_config_selectorIbiEEZZNS1_27merge_sort_block_merge_implIS3_N6thrust23THRUST_200600_302600_NS6detail15normal_iteratorINS8_10device_ptrIbEEEENSA_INSB_IiEEEEjNS1_19radix_merge_compareILb0ELb0EbNS0_19identity_decomposerEEEEE10hipError_tT0_T1_T2_jT3_P12ihipStream_tbPNSt15iterator_traitsISK_E10value_typeEPNSQ_ISL_E10value_typeEPSM_NS1_7vsmem_tEENKUlT_SK_SL_SM_E_clISD_PbSF_PiEESJ_SZ_SK_SL_SM_EUlSZ_E_NS1_11comp_targetILNS1_3genE10ELNS1_11target_archE1201ELNS1_3gpuE5ELNS1_3repE0EEENS1_48merge_mergepath_partition_config_static_selectorELNS0_4arch9wavefront6targetE1EEEvSL_.has_recursion, 0
	.set _ZN7rocprim17ROCPRIM_400000_NS6detail17trampoline_kernelINS0_14default_configENS1_38merge_sort_block_merge_config_selectorIbiEEZZNS1_27merge_sort_block_merge_implIS3_N6thrust23THRUST_200600_302600_NS6detail15normal_iteratorINS8_10device_ptrIbEEEENSA_INSB_IiEEEEjNS1_19radix_merge_compareILb0ELb0EbNS0_19identity_decomposerEEEEE10hipError_tT0_T1_T2_jT3_P12ihipStream_tbPNSt15iterator_traitsISK_E10value_typeEPNSQ_ISL_E10value_typeEPSM_NS1_7vsmem_tEENKUlT_SK_SL_SM_E_clISD_PbSF_PiEESJ_SZ_SK_SL_SM_EUlSZ_E_NS1_11comp_targetILNS1_3genE10ELNS1_11target_archE1201ELNS1_3gpuE5ELNS1_3repE0EEENS1_48merge_mergepath_partition_config_static_selectorELNS0_4arch9wavefront6targetE1EEEvSL_.has_indirect_call, 0
	.section	.AMDGPU.csdata,"",@progbits
; Kernel info:
; codeLenInByte = 0
; TotalNumSgprs: 6
; NumVgprs: 0
; NumAgprs: 0
; TotalNumVgprs: 0
; ScratchSize: 0
; MemoryBound: 0
; FloatMode: 240
; IeeeMode: 1
; LDSByteSize: 0 bytes/workgroup (compile time only)
; SGPRBlocks: 0
; VGPRBlocks: 0
; NumSGPRsForWavesPerEU: 6
; NumVGPRsForWavesPerEU: 1
; AccumOffset: 4
; Occupancy: 8
; WaveLimiterHint : 0
; COMPUTE_PGM_RSRC2:SCRATCH_EN: 0
; COMPUTE_PGM_RSRC2:USER_SGPR: 2
; COMPUTE_PGM_RSRC2:TRAP_HANDLER: 0
; COMPUTE_PGM_RSRC2:TGID_X_EN: 1
; COMPUTE_PGM_RSRC2:TGID_Y_EN: 0
; COMPUTE_PGM_RSRC2:TGID_Z_EN: 0
; COMPUTE_PGM_RSRC2:TIDIG_COMP_CNT: 0
; COMPUTE_PGM_RSRC3_GFX90A:ACCUM_OFFSET: 0
; COMPUTE_PGM_RSRC3_GFX90A:TG_SPLIT: 0
	.section	.text._ZN7rocprim17ROCPRIM_400000_NS6detail17trampoline_kernelINS0_14default_configENS1_38merge_sort_block_merge_config_selectorIbiEEZZNS1_27merge_sort_block_merge_implIS3_N6thrust23THRUST_200600_302600_NS6detail15normal_iteratorINS8_10device_ptrIbEEEENSA_INSB_IiEEEEjNS1_19radix_merge_compareILb0ELb0EbNS0_19identity_decomposerEEEEE10hipError_tT0_T1_T2_jT3_P12ihipStream_tbPNSt15iterator_traitsISK_E10value_typeEPNSQ_ISL_E10value_typeEPSM_NS1_7vsmem_tEENKUlT_SK_SL_SM_E_clISD_PbSF_PiEESJ_SZ_SK_SL_SM_EUlSZ_E_NS1_11comp_targetILNS1_3genE5ELNS1_11target_archE942ELNS1_3gpuE9ELNS1_3repE0EEENS1_48merge_mergepath_partition_config_static_selectorELNS0_4arch9wavefront6targetE1EEEvSL_,"axG",@progbits,_ZN7rocprim17ROCPRIM_400000_NS6detail17trampoline_kernelINS0_14default_configENS1_38merge_sort_block_merge_config_selectorIbiEEZZNS1_27merge_sort_block_merge_implIS3_N6thrust23THRUST_200600_302600_NS6detail15normal_iteratorINS8_10device_ptrIbEEEENSA_INSB_IiEEEEjNS1_19radix_merge_compareILb0ELb0EbNS0_19identity_decomposerEEEEE10hipError_tT0_T1_T2_jT3_P12ihipStream_tbPNSt15iterator_traitsISK_E10value_typeEPNSQ_ISL_E10value_typeEPSM_NS1_7vsmem_tEENKUlT_SK_SL_SM_E_clISD_PbSF_PiEESJ_SZ_SK_SL_SM_EUlSZ_E_NS1_11comp_targetILNS1_3genE5ELNS1_11target_archE942ELNS1_3gpuE9ELNS1_3repE0EEENS1_48merge_mergepath_partition_config_static_selectorELNS0_4arch9wavefront6targetE1EEEvSL_,comdat
	.protected	_ZN7rocprim17ROCPRIM_400000_NS6detail17trampoline_kernelINS0_14default_configENS1_38merge_sort_block_merge_config_selectorIbiEEZZNS1_27merge_sort_block_merge_implIS3_N6thrust23THRUST_200600_302600_NS6detail15normal_iteratorINS8_10device_ptrIbEEEENSA_INSB_IiEEEEjNS1_19radix_merge_compareILb0ELb0EbNS0_19identity_decomposerEEEEE10hipError_tT0_T1_T2_jT3_P12ihipStream_tbPNSt15iterator_traitsISK_E10value_typeEPNSQ_ISL_E10value_typeEPSM_NS1_7vsmem_tEENKUlT_SK_SL_SM_E_clISD_PbSF_PiEESJ_SZ_SK_SL_SM_EUlSZ_E_NS1_11comp_targetILNS1_3genE5ELNS1_11target_archE942ELNS1_3gpuE9ELNS1_3repE0EEENS1_48merge_mergepath_partition_config_static_selectorELNS0_4arch9wavefront6targetE1EEEvSL_ ; -- Begin function _ZN7rocprim17ROCPRIM_400000_NS6detail17trampoline_kernelINS0_14default_configENS1_38merge_sort_block_merge_config_selectorIbiEEZZNS1_27merge_sort_block_merge_implIS3_N6thrust23THRUST_200600_302600_NS6detail15normal_iteratorINS8_10device_ptrIbEEEENSA_INSB_IiEEEEjNS1_19radix_merge_compareILb0ELb0EbNS0_19identity_decomposerEEEEE10hipError_tT0_T1_T2_jT3_P12ihipStream_tbPNSt15iterator_traitsISK_E10value_typeEPNSQ_ISL_E10value_typeEPSM_NS1_7vsmem_tEENKUlT_SK_SL_SM_E_clISD_PbSF_PiEESJ_SZ_SK_SL_SM_EUlSZ_E_NS1_11comp_targetILNS1_3genE5ELNS1_11target_archE942ELNS1_3gpuE9ELNS1_3repE0EEENS1_48merge_mergepath_partition_config_static_selectorELNS0_4arch9wavefront6targetE1EEEvSL_
	.globl	_ZN7rocprim17ROCPRIM_400000_NS6detail17trampoline_kernelINS0_14default_configENS1_38merge_sort_block_merge_config_selectorIbiEEZZNS1_27merge_sort_block_merge_implIS3_N6thrust23THRUST_200600_302600_NS6detail15normal_iteratorINS8_10device_ptrIbEEEENSA_INSB_IiEEEEjNS1_19radix_merge_compareILb0ELb0EbNS0_19identity_decomposerEEEEE10hipError_tT0_T1_T2_jT3_P12ihipStream_tbPNSt15iterator_traitsISK_E10value_typeEPNSQ_ISL_E10value_typeEPSM_NS1_7vsmem_tEENKUlT_SK_SL_SM_E_clISD_PbSF_PiEESJ_SZ_SK_SL_SM_EUlSZ_E_NS1_11comp_targetILNS1_3genE5ELNS1_11target_archE942ELNS1_3gpuE9ELNS1_3repE0EEENS1_48merge_mergepath_partition_config_static_selectorELNS0_4arch9wavefront6targetE1EEEvSL_
	.p2align	8
	.type	_ZN7rocprim17ROCPRIM_400000_NS6detail17trampoline_kernelINS0_14default_configENS1_38merge_sort_block_merge_config_selectorIbiEEZZNS1_27merge_sort_block_merge_implIS3_N6thrust23THRUST_200600_302600_NS6detail15normal_iteratorINS8_10device_ptrIbEEEENSA_INSB_IiEEEEjNS1_19radix_merge_compareILb0ELb0EbNS0_19identity_decomposerEEEEE10hipError_tT0_T1_T2_jT3_P12ihipStream_tbPNSt15iterator_traitsISK_E10value_typeEPNSQ_ISL_E10value_typeEPSM_NS1_7vsmem_tEENKUlT_SK_SL_SM_E_clISD_PbSF_PiEESJ_SZ_SK_SL_SM_EUlSZ_E_NS1_11comp_targetILNS1_3genE5ELNS1_11target_archE942ELNS1_3gpuE9ELNS1_3repE0EEENS1_48merge_mergepath_partition_config_static_selectorELNS0_4arch9wavefront6targetE1EEEvSL_,@function
_ZN7rocprim17ROCPRIM_400000_NS6detail17trampoline_kernelINS0_14default_configENS1_38merge_sort_block_merge_config_selectorIbiEEZZNS1_27merge_sort_block_merge_implIS3_N6thrust23THRUST_200600_302600_NS6detail15normal_iteratorINS8_10device_ptrIbEEEENSA_INSB_IiEEEEjNS1_19radix_merge_compareILb0ELb0EbNS0_19identity_decomposerEEEEE10hipError_tT0_T1_T2_jT3_P12ihipStream_tbPNSt15iterator_traitsISK_E10value_typeEPNSQ_ISL_E10value_typeEPSM_NS1_7vsmem_tEENKUlT_SK_SL_SM_E_clISD_PbSF_PiEESJ_SZ_SK_SL_SM_EUlSZ_E_NS1_11comp_targetILNS1_3genE5ELNS1_11target_archE942ELNS1_3gpuE9ELNS1_3repE0EEENS1_48merge_mergepath_partition_config_static_selectorELNS0_4arch9wavefront6targetE1EEEvSL_: ; @_ZN7rocprim17ROCPRIM_400000_NS6detail17trampoline_kernelINS0_14default_configENS1_38merge_sort_block_merge_config_selectorIbiEEZZNS1_27merge_sort_block_merge_implIS3_N6thrust23THRUST_200600_302600_NS6detail15normal_iteratorINS8_10device_ptrIbEEEENSA_INSB_IiEEEEjNS1_19radix_merge_compareILb0ELb0EbNS0_19identity_decomposerEEEEE10hipError_tT0_T1_T2_jT3_P12ihipStream_tbPNSt15iterator_traitsISK_E10value_typeEPNSQ_ISL_E10value_typeEPSM_NS1_7vsmem_tEENKUlT_SK_SL_SM_E_clISD_PbSF_PiEESJ_SZ_SK_SL_SM_EUlSZ_E_NS1_11comp_targetILNS1_3genE5ELNS1_11target_archE942ELNS1_3gpuE9ELNS1_3repE0EEENS1_48merge_mergepath_partition_config_static_selectorELNS0_4arch9wavefront6targetE1EEEvSL_
; %bb.0:
	.section	.rodata,"a",@progbits
	.p2align	6, 0x0
	.amdhsa_kernel _ZN7rocprim17ROCPRIM_400000_NS6detail17trampoline_kernelINS0_14default_configENS1_38merge_sort_block_merge_config_selectorIbiEEZZNS1_27merge_sort_block_merge_implIS3_N6thrust23THRUST_200600_302600_NS6detail15normal_iteratorINS8_10device_ptrIbEEEENSA_INSB_IiEEEEjNS1_19radix_merge_compareILb0ELb0EbNS0_19identity_decomposerEEEEE10hipError_tT0_T1_T2_jT3_P12ihipStream_tbPNSt15iterator_traitsISK_E10value_typeEPNSQ_ISL_E10value_typeEPSM_NS1_7vsmem_tEENKUlT_SK_SL_SM_E_clISD_PbSF_PiEESJ_SZ_SK_SL_SM_EUlSZ_E_NS1_11comp_targetILNS1_3genE5ELNS1_11target_archE942ELNS1_3gpuE9ELNS1_3repE0EEENS1_48merge_mergepath_partition_config_static_selectorELNS0_4arch9wavefront6targetE1EEEvSL_
		.amdhsa_group_segment_fixed_size 0
		.amdhsa_private_segment_fixed_size 0
		.amdhsa_kernarg_size 40
		.amdhsa_user_sgpr_count 2
		.amdhsa_user_sgpr_dispatch_ptr 0
		.amdhsa_user_sgpr_queue_ptr 0
		.amdhsa_user_sgpr_kernarg_segment_ptr 1
		.amdhsa_user_sgpr_dispatch_id 0
		.amdhsa_user_sgpr_kernarg_preload_length 0
		.amdhsa_user_sgpr_kernarg_preload_offset 0
		.amdhsa_user_sgpr_private_segment_size 0
		.amdhsa_uses_dynamic_stack 0
		.amdhsa_enable_private_segment 0
		.amdhsa_system_sgpr_workgroup_id_x 1
		.amdhsa_system_sgpr_workgroup_id_y 0
		.amdhsa_system_sgpr_workgroup_id_z 0
		.amdhsa_system_sgpr_workgroup_info 0
		.amdhsa_system_vgpr_workitem_id 0
		.amdhsa_next_free_vgpr 1
		.amdhsa_next_free_sgpr 0
		.amdhsa_accum_offset 4
		.amdhsa_reserve_vcc 0
		.amdhsa_float_round_mode_32 0
		.amdhsa_float_round_mode_16_64 0
		.amdhsa_float_denorm_mode_32 3
		.amdhsa_float_denorm_mode_16_64 3
		.amdhsa_dx10_clamp 1
		.amdhsa_ieee_mode 1
		.amdhsa_fp16_overflow 0
		.amdhsa_tg_split 0
		.amdhsa_exception_fp_ieee_invalid_op 0
		.amdhsa_exception_fp_denorm_src 0
		.amdhsa_exception_fp_ieee_div_zero 0
		.amdhsa_exception_fp_ieee_overflow 0
		.amdhsa_exception_fp_ieee_underflow 0
		.amdhsa_exception_fp_ieee_inexact 0
		.amdhsa_exception_int_div_zero 0
	.end_amdhsa_kernel
	.section	.text._ZN7rocprim17ROCPRIM_400000_NS6detail17trampoline_kernelINS0_14default_configENS1_38merge_sort_block_merge_config_selectorIbiEEZZNS1_27merge_sort_block_merge_implIS3_N6thrust23THRUST_200600_302600_NS6detail15normal_iteratorINS8_10device_ptrIbEEEENSA_INSB_IiEEEEjNS1_19radix_merge_compareILb0ELb0EbNS0_19identity_decomposerEEEEE10hipError_tT0_T1_T2_jT3_P12ihipStream_tbPNSt15iterator_traitsISK_E10value_typeEPNSQ_ISL_E10value_typeEPSM_NS1_7vsmem_tEENKUlT_SK_SL_SM_E_clISD_PbSF_PiEESJ_SZ_SK_SL_SM_EUlSZ_E_NS1_11comp_targetILNS1_3genE5ELNS1_11target_archE942ELNS1_3gpuE9ELNS1_3repE0EEENS1_48merge_mergepath_partition_config_static_selectorELNS0_4arch9wavefront6targetE1EEEvSL_,"axG",@progbits,_ZN7rocprim17ROCPRIM_400000_NS6detail17trampoline_kernelINS0_14default_configENS1_38merge_sort_block_merge_config_selectorIbiEEZZNS1_27merge_sort_block_merge_implIS3_N6thrust23THRUST_200600_302600_NS6detail15normal_iteratorINS8_10device_ptrIbEEEENSA_INSB_IiEEEEjNS1_19radix_merge_compareILb0ELb0EbNS0_19identity_decomposerEEEEE10hipError_tT0_T1_T2_jT3_P12ihipStream_tbPNSt15iterator_traitsISK_E10value_typeEPNSQ_ISL_E10value_typeEPSM_NS1_7vsmem_tEENKUlT_SK_SL_SM_E_clISD_PbSF_PiEESJ_SZ_SK_SL_SM_EUlSZ_E_NS1_11comp_targetILNS1_3genE5ELNS1_11target_archE942ELNS1_3gpuE9ELNS1_3repE0EEENS1_48merge_mergepath_partition_config_static_selectorELNS0_4arch9wavefront6targetE1EEEvSL_,comdat
.Lfunc_end1935:
	.size	_ZN7rocprim17ROCPRIM_400000_NS6detail17trampoline_kernelINS0_14default_configENS1_38merge_sort_block_merge_config_selectorIbiEEZZNS1_27merge_sort_block_merge_implIS3_N6thrust23THRUST_200600_302600_NS6detail15normal_iteratorINS8_10device_ptrIbEEEENSA_INSB_IiEEEEjNS1_19radix_merge_compareILb0ELb0EbNS0_19identity_decomposerEEEEE10hipError_tT0_T1_T2_jT3_P12ihipStream_tbPNSt15iterator_traitsISK_E10value_typeEPNSQ_ISL_E10value_typeEPSM_NS1_7vsmem_tEENKUlT_SK_SL_SM_E_clISD_PbSF_PiEESJ_SZ_SK_SL_SM_EUlSZ_E_NS1_11comp_targetILNS1_3genE5ELNS1_11target_archE942ELNS1_3gpuE9ELNS1_3repE0EEENS1_48merge_mergepath_partition_config_static_selectorELNS0_4arch9wavefront6targetE1EEEvSL_, .Lfunc_end1935-_ZN7rocprim17ROCPRIM_400000_NS6detail17trampoline_kernelINS0_14default_configENS1_38merge_sort_block_merge_config_selectorIbiEEZZNS1_27merge_sort_block_merge_implIS3_N6thrust23THRUST_200600_302600_NS6detail15normal_iteratorINS8_10device_ptrIbEEEENSA_INSB_IiEEEEjNS1_19radix_merge_compareILb0ELb0EbNS0_19identity_decomposerEEEEE10hipError_tT0_T1_T2_jT3_P12ihipStream_tbPNSt15iterator_traitsISK_E10value_typeEPNSQ_ISL_E10value_typeEPSM_NS1_7vsmem_tEENKUlT_SK_SL_SM_E_clISD_PbSF_PiEESJ_SZ_SK_SL_SM_EUlSZ_E_NS1_11comp_targetILNS1_3genE5ELNS1_11target_archE942ELNS1_3gpuE9ELNS1_3repE0EEENS1_48merge_mergepath_partition_config_static_selectorELNS0_4arch9wavefront6targetE1EEEvSL_
                                        ; -- End function
	.set _ZN7rocprim17ROCPRIM_400000_NS6detail17trampoline_kernelINS0_14default_configENS1_38merge_sort_block_merge_config_selectorIbiEEZZNS1_27merge_sort_block_merge_implIS3_N6thrust23THRUST_200600_302600_NS6detail15normal_iteratorINS8_10device_ptrIbEEEENSA_INSB_IiEEEEjNS1_19radix_merge_compareILb0ELb0EbNS0_19identity_decomposerEEEEE10hipError_tT0_T1_T2_jT3_P12ihipStream_tbPNSt15iterator_traitsISK_E10value_typeEPNSQ_ISL_E10value_typeEPSM_NS1_7vsmem_tEENKUlT_SK_SL_SM_E_clISD_PbSF_PiEESJ_SZ_SK_SL_SM_EUlSZ_E_NS1_11comp_targetILNS1_3genE5ELNS1_11target_archE942ELNS1_3gpuE9ELNS1_3repE0EEENS1_48merge_mergepath_partition_config_static_selectorELNS0_4arch9wavefront6targetE1EEEvSL_.num_vgpr, 0
	.set _ZN7rocprim17ROCPRIM_400000_NS6detail17trampoline_kernelINS0_14default_configENS1_38merge_sort_block_merge_config_selectorIbiEEZZNS1_27merge_sort_block_merge_implIS3_N6thrust23THRUST_200600_302600_NS6detail15normal_iteratorINS8_10device_ptrIbEEEENSA_INSB_IiEEEEjNS1_19radix_merge_compareILb0ELb0EbNS0_19identity_decomposerEEEEE10hipError_tT0_T1_T2_jT3_P12ihipStream_tbPNSt15iterator_traitsISK_E10value_typeEPNSQ_ISL_E10value_typeEPSM_NS1_7vsmem_tEENKUlT_SK_SL_SM_E_clISD_PbSF_PiEESJ_SZ_SK_SL_SM_EUlSZ_E_NS1_11comp_targetILNS1_3genE5ELNS1_11target_archE942ELNS1_3gpuE9ELNS1_3repE0EEENS1_48merge_mergepath_partition_config_static_selectorELNS0_4arch9wavefront6targetE1EEEvSL_.num_agpr, 0
	.set _ZN7rocprim17ROCPRIM_400000_NS6detail17trampoline_kernelINS0_14default_configENS1_38merge_sort_block_merge_config_selectorIbiEEZZNS1_27merge_sort_block_merge_implIS3_N6thrust23THRUST_200600_302600_NS6detail15normal_iteratorINS8_10device_ptrIbEEEENSA_INSB_IiEEEEjNS1_19radix_merge_compareILb0ELb0EbNS0_19identity_decomposerEEEEE10hipError_tT0_T1_T2_jT3_P12ihipStream_tbPNSt15iterator_traitsISK_E10value_typeEPNSQ_ISL_E10value_typeEPSM_NS1_7vsmem_tEENKUlT_SK_SL_SM_E_clISD_PbSF_PiEESJ_SZ_SK_SL_SM_EUlSZ_E_NS1_11comp_targetILNS1_3genE5ELNS1_11target_archE942ELNS1_3gpuE9ELNS1_3repE0EEENS1_48merge_mergepath_partition_config_static_selectorELNS0_4arch9wavefront6targetE1EEEvSL_.numbered_sgpr, 0
	.set _ZN7rocprim17ROCPRIM_400000_NS6detail17trampoline_kernelINS0_14default_configENS1_38merge_sort_block_merge_config_selectorIbiEEZZNS1_27merge_sort_block_merge_implIS3_N6thrust23THRUST_200600_302600_NS6detail15normal_iteratorINS8_10device_ptrIbEEEENSA_INSB_IiEEEEjNS1_19radix_merge_compareILb0ELb0EbNS0_19identity_decomposerEEEEE10hipError_tT0_T1_T2_jT3_P12ihipStream_tbPNSt15iterator_traitsISK_E10value_typeEPNSQ_ISL_E10value_typeEPSM_NS1_7vsmem_tEENKUlT_SK_SL_SM_E_clISD_PbSF_PiEESJ_SZ_SK_SL_SM_EUlSZ_E_NS1_11comp_targetILNS1_3genE5ELNS1_11target_archE942ELNS1_3gpuE9ELNS1_3repE0EEENS1_48merge_mergepath_partition_config_static_selectorELNS0_4arch9wavefront6targetE1EEEvSL_.num_named_barrier, 0
	.set _ZN7rocprim17ROCPRIM_400000_NS6detail17trampoline_kernelINS0_14default_configENS1_38merge_sort_block_merge_config_selectorIbiEEZZNS1_27merge_sort_block_merge_implIS3_N6thrust23THRUST_200600_302600_NS6detail15normal_iteratorINS8_10device_ptrIbEEEENSA_INSB_IiEEEEjNS1_19radix_merge_compareILb0ELb0EbNS0_19identity_decomposerEEEEE10hipError_tT0_T1_T2_jT3_P12ihipStream_tbPNSt15iterator_traitsISK_E10value_typeEPNSQ_ISL_E10value_typeEPSM_NS1_7vsmem_tEENKUlT_SK_SL_SM_E_clISD_PbSF_PiEESJ_SZ_SK_SL_SM_EUlSZ_E_NS1_11comp_targetILNS1_3genE5ELNS1_11target_archE942ELNS1_3gpuE9ELNS1_3repE0EEENS1_48merge_mergepath_partition_config_static_selectorELNS0_4arch9wavefront6targetE1EEEvSL_.private_seg_size, 0
	.set _ZN7rocprim17ROCPRIM_400000_NS6detail17trampoline_kernelINS0_14default_configENS1_38merge_sort_block_merge_config_selectorIbiEEZZNS1_27merge_sort_block_merge_implIS3_N6thrust23THRUST_200600_302600_NS6detail15normal_iteratorINS8_10device_ptrIbEEEENSA_INSB_IiEEEEjNS1_19radix_merge_compareILb0ELb0EbNS0_19identity_decomposerEEEEE10hipError_tT0_T1_T2_jT3_P12ihipStream_tbPNSt15iterator_traitsISK_E10value_typeEPNSQ_ISL_E10value_typeEPSM_NS1_7vsmem_tEENKUlT_SK_SL_SM_E_clISD_PbSF_PiEESJ_SZ_SK_SL_SM_EUlSZ_E_NS1_11comp_targetILNS1_3genE5ELNS1_11target_archE942ELNS1_3gpuE9ELNS1_3repE0EEENS1_48merge_mergepath_partition_config_static_selectorELNS0_4arch9wavefront6targetE1EEEvSL_.uses_vcc, 0
	.set _ZN7rocprim17ROCPRIM_400000_NS6detail17trampoline_kernelINS0_14default_configENS1_38merge_sort_block_merge_config_selectorIbiEEZZNS1_27merge_sort_block_merge_implIS3_N6thrust23THRUST_200600_302600_NS6detail15normal_iteratorINS8_10device_ptrIbEEEENSA_INSB_IiEEEEjNS1_19radix_merge_compareILb0ELb0EbNS0_19identity_decomposerEEEEE10hipError_tT0_T1_T2_jT3_P12ihipStream_tbPNSt15iterator_traitsISK_E10value_typeEPNSQ_ISL_E10value_typeEPSM_NS1_7vsmem_tEENKUlT_SK_SL_SM_E_clISD_PbSF_PiEESJ_SZ_SK_SL_SM_EUlSZ_E_NS1_11comp_targetILNS1_3genE5ELNS1_11target_archE942ELNS1_3gpuE9ELNS1_3repE0EEENS1_48merge_mergepath_partition_config_static_selectorELNS0_4arch9wavefront6targetE1EEEvSL_.uses_flat_scratch, 0
	.set _ZN7rocprim17ROCPRIM_400000_NS6detail17trampoline_kernelINS0_14default_configENS1_38merge_sort_block_merge_config_selectorIbiEEZZNS1_27merge_sort_block_merge_implIS3_N6thrust23THRUST_200600_302600_NS6detail15normal_iteratorINS8_10device_ptrIbEEEENSA_INSB_IiEEEEjNS1_19radix_merge_compareILb0ELb0EbNS0_19identity_decomposerEEEEE10hipError_tT0_T1_T2_jT3_P12ihipStream_tbPNSt15iterator_traitsISK_E10value_typeEPNSQ_ISL_E10value_typeEPSM_NS1_7vsmem_tEENKUlT_SK_SL_SM_E_clISD_PbSF_PiEESJ_SZ_SK_SL_SM_EUlSZ_E_NS1_11comp_targetILNS1_3genE5ELNS1_11target_archE942ELNS1_3gpuE9ELNS1_3repE0EEENS1_48merge_mergepath_partition_config_static_selectorELNS0_4arch9wavefront6targetE1EEEvSL_.has_dyn_sized_stack, 0
	.set _ZN7rocprim17ROCPRIM_400000_NS6detail17trampoline_kernelINS0_14default_configENS1_38merge_sort_block_merge_config_selectorIbiEEZZNS1_27merge_sort_block_merge_implIS3_N6thrust23THRUST_200600_302600_NS6detail15normal_iteratorINS8_10device_ptrIbEEEENSA_INSB_IiEEEEjNS1_19radix_merge_compareILb0ELb0EbNS0_19identity_decomposerEEEEE10hipError_tT0_T1_T2_jT3_P12ihipStream_tbPNSt15iterator_traitsISK_E10value_typeEPNSQ_ISL_E10value_typeEPSM_NS1_7vsmem_tEENKUlT_SK_SL_SM_E_clISD_PbSF_PiEESJ_SZ_SK_SL_SM_EUlSZ_E_NS1_11comp_targetILNS1_3genE5ELNS1_11target_archE942ELNS1_3gpuE9ELNS1_3repE0EEENS1_48merge_mergepath_partition_config_static_selectorELNS0_4arch9wavefront6targetE1EEEvSL_.has_recursion, 0
	.set _ZN7rocprim17ROCPRIM_400000_NS6detail17trampoline_kernelINS0_14default_configENS1_38merge_sort_block_merge_config_selectorIbiEEZZNS1_27merge_sort_block_merge_implIS3_N6thrust23THRUST_200600_302600_NS6detail15normal_iteratorINS8_10device_ptrIbEEEENSA_INSB_IiEEEEjNS1_19radix_merge_compareILb0ELb0EbNS0_19identity_decomposerEEEEE10hipError_tT0_T1_T2_jT3_P12ihipStream_tbPNSt15iterator_traitsISK_E10value_typeEPNSQ_ISL_E10value_typeEPSM_NS1_7vsmem_tEENKUlT_SK_SL_SM_E_clISD_PbSF_PiEESJ_SZ_SK_SL_SM_EUlSZ_E_NS1_11comp_targetILNS1_3genE5ELNS1_11target_archE942ELNS1_3gpuE9ELNS1_3repE0EEENS1_48merge_mergepath_partition_config_static_selectorELNS0_4arch9wavefront6targetE1EEEvSL_.has_indirect_call, 0
	.section	.AMDGPU.csdata,"",@progbits
; Kernel info:
; codeLenInByte = 0
; TotalNumSgprs: 6
; NumVgprs: 0
; NumAgprs: 0
; TotalNumVgprs: 0
; ScratchSize: 0
; MemoryBound: 0
; FloatMode: 240
; IeeeMode: 1
; LDSByteSize: 0 bytes/workgroup (compile time only)
; SGPRBlocks: 0
; VGPRBlocks: 0
; NumSGPRsForWavesPerEU: 6
; NumVGPRsForWavesPerEU: 1
; AccumOffset: 4
; Occupancy: 8
; WaveLimiterHint : 0
; COMPUTE_PGM_RSRC2:SCRATCH_EN: 0
; COMPUTE_PGM_RSRC2:USER_SGPR: 2
; COMPUTE_PGM_RSRC2:TRAP_HANDLER: 0
; COMPUTE_PGM_RSRC2:TGID_X_EN: 1
; COMPUTE_PGM_RSRC2:TGID_Y_EN: 0
; COMPUTE_PGM_RSRC2:TGID_Z_EN: 0
; COMPUTE_PGM_RSRC2:TIDIG_COMP_CNT: 0
; COMPUTE_PGM_RSRC3_GFX90A:ACCUM_OFFSET: 0
; COMPUTE_PGM_RSRC3_GFX90A:TG_SPLIT: 0
	.section	.text._ZN7rocprim17ROCPRIM_400000_NS6detail17trampoline_kernelINS0_14default_configENS1_38merge_sort_block_merge_config_selectorIbiEEZZNS1_27merge_sort_block_merge_implIS3_N6thrust23THRUST_200600_302600_NS6detail15normal_iteratorINS8_10device_ptrIbEEEENSA_INSB_IiEEEEjNS1_19radix_merge_compareILb0ELb0EbNS0_19identity_decomposerEEEEE10hipError_tT0_T1_T2_jT3_P12ihipStream_tbPNSt15iterator_traitsISK_E10value_typeEPNSQ_ISL_E10value_typeEPSM_NS1_7vsmem_tEENKUlT_SK_SL_SM_E_clISD_PbSF_PiEESJ_SZ_SK_SL_SM_EUlSZ_E_NS1_11comp_targetILNS1_3genE4ELNS1_11target_archE910ELNS1_3gpuE8ELNS1_3repE0EEENS1_48merge_mergepath_partition_config_static_selectorELNS0_4arch9wavefront6targetE1EEEvSL_,"axG",@progbits,_ZN7rocprim17ROCPRIM_400000_NS6detail17trampoline_kernelINS0_14default_configENS1_38merge_sort_block_merge_config_selectorIbiEEZZNS1_27merge_sort_block_merge_implIS3_N6thrust23THRUST_200600_302600_NS6detail15normal_iteratorINS8_10device_ptrIbEEEENSA_INSB_IiEEEEjNS1_19radix_merge_compareILb0ELb0EbNS0_19identity_decomposerEEEEE10hipError_tT0_T1_T2_jT3_P12ihipStream_tbPNSt15iterator_traitsISK_E10value_typeEPNSQ_ISL_E10value_typeEPSM_NS1_7vsmem_tEENKUlT_SK_SL_SM_E_clISD_PbSF_PiEESJ_SZ_SK_SL_SM_EUlSZ_E_NS1_11comp_targetILNS1_3genE4ELNS1_11target_archE910ELNS1_3gpuE8ELNS1_3repE0EEENS1_48merge_mergepath_partition_config_static_selectorELNS0_4arch9wavefront6targetE1EEEvSL_,comdat
	.protected	_ZN7rocprim17ROCPRIM_400000_NS6detail17trampoline_kernelINS0_14default_configENS1_38merge_sort_block_merge_config_selectorIbiEEZZNS1_27merge_sort_block_merge_implIS3_N6thrust23THRUST_200600_302600_NS6detail15normal_iteratorINS8_10device_ptrIbEEEENSA_INSB_IiEEEEjNS1_19radix_merge_compareILb0ELb0EbNS0_19identity_decomposerEEEEE10hipError_tT0_T1_T2_jT3_P12ihipStream_tbPNSt15iterator_traitsISK_E10value_typeEPNSQ_ISL_E10value_typeEPSM_NS1_7vsmem_tEENKUlT_SK_SL_SM_E_clISD_PbSF_PiEESJ_SZ_SK_SL_SM_EUlSZ_E_NS1_11comp_targetILNS1_3genE4ELNS1_11target_archE910ELNS1_3gpuE8ELNS1_3repE0EEENS1_48merge_mergepath_partition_config_static_selectorELNS0_4arch9wavefront6targetE1EEEvSL_ ; -- Begin function _ZN7rocprim17ROCPRIM_400000_NS6detail17trampoline_kernelINS0_14default_configENS1_38merge_sort_block_merge_config_selectorIbiEEZZNS1_27merge_sort_block_merge_implIS3_N6thrust23THRUST_200600_302600_NS6detail15normal_iteratorINS8_10device_ptrIbEEEENSA_INSB_IiEEEEjNS1_19radix_merge_compareILb0ELb0EbNS0_19identity_decomposerEEEEE10hipError_tT0_T1_T2_jT3_P12ihipStream_tbPNSt15iterator_traitsISK_E10value_typeEPNSQ_ISL_E10value_typeEPSM_NS1_7vsmem_tEENKUlT_SK_SL_SM_E_clISD_PbSF_PiEESJ_SZ_SK_SL_SM_EUlSZ_E_NS1_11comp_targetILNS1_3genE4ELNS1_11target_archE910ELNS1_3gpuE8ELNS1_3repE0EEENS1_48merge_mergepath_partition_config_static_selectorELNS0_4arch9wavefront6targetE1EEEvSL_
	.globl	_ZN7rocprim17ROCPRIM_400000_NS6detail17trampoline_kernelINS0_14default_configENS1_38merge_sort_block_merge_config_selectorIbiEEZZNS1_27merge_sort_block_merge_implIS3_N6thrust23THRUST_200600_302600_NS6detail15normal_iteratorINS8_10device_ptrIbEEEENSA_INSB_IiEEEEjNS1_19radix_merge_compareILb0ELb0EbNS0_19identity_decomposerEEEEE10hipError_tT0_T1_T2_jT3_P12ihipStream_tbPNSt15iterator_traitsISK_E10value_typeEPNSQ_ISL_E10value_typeEPSM_NS1_7vsmem_tEENKUlT_SK_SL_SM_E_clISD_PbSF_PiEESJ_SZ_SK_SL_SM_EUlSZ_E_NS1_11comp_targetILNS1_3genE4ELNS1_11target_archE910ELNS1_3gpuE8ELNS1_3repE0EEENS1_48merge_mergepath_partition_config_static_selectorELNS0_4arch9wavefront6targetE1EEEvSL_
	.p2align	8
	.type	_ZN7rocprim17ROCPRIM_400000_NS6detail17trampoline_kernelINS0_14default_configENS1_38merge_sort_block_merge_config_selectorIbiEEZZNS1_27merge_sort_block_merge_implIS3_N6thrust23THRUST_200600_302600_NS6detail15normal_iteratorINS8_10device_ptrIbEEEENSA_INSB_IiEEEEjNS1_19radix_merge_compareILb0ELb0EbNS0_19identity_decomposerEEEEE10hipError_tT0_T1_T2_jT3_P12ihipStream_tbPNSt15iterator_traitsISK_E10value_typeEPNSQ_ISL_E10value_typeEPSM_NS1_7vsmem_tEENKUlT_SK_SL_SM_E_clISD_PbSF_PiEESJ_SZ_SK_SL_SM_EUlSZ_E_NS1_11comp_targetILNS1_3genE4ELNS1_11target_archE910ELNS1_3gpuE8ELNS1_3repE0EEENS1_48merge_mergepath_partition_config_static_selectorELNS0_4arch9wavefront6targetE1EEEvSL_,@function
_ZN7rocprim17ROCPRIM_400000_NS6detail17trampoline_kernelINS0_14default_configENS1_38merge_sort_block_merge_config_selectorIbiEEZZNS1_27merge_sort_block_merge_implIS3_N6thrust23THRUST_200600_302600_NS6detail15normal_iteratorINS8_10device_ptrIbEEEENSA_INSB_IiEEEEjNS1_19radix_merge_compareILb0ELb0EbNS0_19identity_decomposerEEEEE10hipError_tT0_T1_T2_jT3_P12ihipStream_tbPNSt15iterator_traitsISK_E10value_typeEPNSQ_ISL_E10value_typeEPSM_NS1_7vsmem_tEENKUlT_SK_SL_SM_E_clISD_PbSF_PiEESJ_SZ_SK_SL_SM_EUlSZ_E_NS1_11comp_targetILNS1_3genE4ELNS1_11target_archE910ELNS1_3gpuE8ELNS1_3repE0EEENS1_48merge_mergepath_partition_config_static_selectorELNS0_4arch9wavefront6targetE1EEEvSL_: ; @_ZN7rocprim17ROCPRIM_400000_NS6detail17trampoline_kernelINS0_14default_configENS1_38merge_sort_block_merge_config_selectorIbiEEZZNS1_27merge_sort_block_merge_implIS3_N6thrust23THRUST_200600_302600_NS6detail15normal_iteratorINS8_10device_ptrIbEEEENSA_INSB_IiEEEEjNS1_19radix_merge_compareILb0ELb0EbNS0_19identity_decomposerEEEEE10hipError_tT0_T1_T2_jT3_P12ihipStream_tbPNSt15iterator_traitsISK_E10value_typeEPNSQ_ISL_E10value_typeEPSM_NS1_7vsmem_tEENKUlT_SK_SL_SM_E_clISD_PbSF_PiEESJ_SZ_SK_SL_SM_EUlSZ_E_NS1_11comp_targetILNS1_3genE4ELNS1_11target_archE910ELNS1_3gpuE8ELNS1_3repE0EEENS1_48merge_mergepath_partition_config_static_selectorELNS0_4arch9wavefront6targetE1EEEvSL_
; %bb.0:
	.section	.rodata,"a",@progbits
	.p2align	6, 0x0
	.amdhsa_kernel _ZN7rocprim17ROCPRIM_400000_NS6detail17trampoline_kernelINS0_14default_configENS1_38merge_sort_block_merge_config_selectorIbiEEZZNS1_27merge_sort_block_merge_implIS3_N6thrust23THRUST_200600_302600_NS6detail15normal_iteratorINS8_10device_ptrIbEEEENSA_INSB_IiEEEEjNS1_19radix_merge_compareILb0ELb0EbNS0_19identity_decomposerEEEEE10hipError_tT0_T1_T2_jT3_P12ihipStream_tbPNSt15iterator_traitsISK_E10value_typeEPNSQ_ISL_E10value_typeEPSM_NS1_7vsmem_tEENKUlT_SK_SL_SM_E_clISD_PbSF_PiEESJ_SZ_SK_SL_SM_EUlSZ_E_NS1_11comp_targetILNS1_3genE4ELNS1_11target_archE910ELNS1_3gpuE8ELNS1_3repE0EEENS1_48merge_mergepath_partition_config_static_selectorELNS0_4arch9wavefront6targetE1EEEvSL_
		.amdhsa_group_segment_fixed_size 0
		.amdhsa_private_segment_fixed_size 0
		.amdhsa_kernarg_size 40
		.amdhsa_user_sgpr_count 2
		.amdhsa_user_sgpr_dispatch_ptr 0
		.amdhsa_user_sgpr_queue_ptr 0
		.amdhsa_user_sgpr_kernarg_segment_ptr 1
		.amdhsa_user_sgpr_dispatch_id 0
		.amdhsa_user_sgpr_kernarg_preload_length 0
		.amdhsa_user_sgpr_kernarg_preload_offset 0
		.amdhsa_user_sgpr_private_segment_size 0
		.amdhsa_uses_dynamic_stack 0
		.amdhsa_enable_private_segment 0
		.amdhsa_system_sgpr_workgroup_id_x 1
		.amdhsa_system_sgpr_workgroup_id_y 0
		.amdhsa_system_sgpr_workgroup_id_z 0
		.amdhsa_system_sgpr_workgroup_info 0
		.amdhsa_system_vgpr_workitem_id 0
		.amdhsa_next_free_vgpr 1
		.amdhsa_next_free_sgpr 0
		.amdhsa_accum_offset 4
		.amdhsa_reserve_vcc 0
		.amdhsa_float_round_mode_32 0
		.amdhsa_float_round_mode_16_64 0
		.amdhsa_float_denorm_mode_32 3
		.amdhsa_float_denorm_mode_16_64 3
		.amdhsa_dx10_clamp 1
		.amdhsa_ieee_mode 1
		.amdhsa_fp16_overflow 0
		.amdhsa_tg_split 0
		.amdhsa_exception_fp_ieee_invalid_op 0
		.amdhsa_exception_fp_denorm_src 0
		.amdhsa_exception_fp_ieee_div_zero 0
		.amdhsa_exception_fp_ieee_overflow 0
		.amdhsa_exception_fp_ieee_underflow 0
		.amdhsa_exception_fp_ieee_inexact 0
		.amdhsa_exception_int_div_zero 0
	.end_amdhsa_kernel
	.section	.text._ZN7rocprim17ROCPRIM_400000_NS6detail17trampoline_kernelINS0_14default_configENS1_38merge_sort_block_merge_config_selectorIbiEEZZNS1_27merge_sort_block_merge_implIS3_N6thrust23THRUST_200600_302600_NS6detail15normal_iteratorINS8_10device_ptrIbEEEENSA_INSB_IiEEEEjNS1_19radix_merge_compareILb0ELb0EbNS0_19identity_decomposerEEEEE10hipError_tT0_T1_T2_jT3_P12ihipStream_tbPNSt15iterator_traitsISK_E10value_typeEPNSQ_ISL_E10value_typeEPSM_NS1_7vsmem_tEENKUlT_SK_SL_SM_E_clISD_PbSF_PiEESJ_SZ_SK_SL_SM_EUlSZ_E_NS1_11comp_targetILNS1_3genE4ELNS1_11target_archE910ELNS1_3gpuE8ELNS1_3repE0EEENS1_48merge_mergepath_partition_config_static_selectorELNS0_4arch9wavefront6targetE1EEEvSL_,"axG",@progbits,_ZN7rocprim17ROCPRIM_400000_NS6detail17trampoline_kernelINS0_14default_configENS1_38merge_sort_block_merge_config_selectorIbiEEZZNS1_27merge_sort_block_merge_implIS3_N6thrust23THRUST_200600_302600_NS6detail15normal_iteratorINS8_10device_ptrIbEEEENSA_INSB_IiEEEEjNS1_19radix_merge_compareILb0ELb0EbNS0_19identity_decomposerEEEEE10hipError_tT0_T1_T2_jT3_P12ihipStream_tbPNSt15iterator_traitsISK_E10value_typeEPNSQ_ISL_E10value_typeEPSM_NS1_7vsmem_tEENKUlT_SK_SL_SM_E_clISD_PbSF_PiEESJ_SZ_SK_SL_SM_EUlSZ_E_NS1_11comp_targetILNS1_3genE4ELNS1_11target_archE910ELNS1_3gpuE8ELNS1_3repE0EEENS1_48merge_mergepath_partition_config_static_selectorELNS0_4arch9wavefront6targetE1EEEvSL_,comdat
.Lfunc_end1936:
	.size	_ZN7rocprim17ROCPRIM_400000_NS6detail17trampoline_kernelINS0_14default_configENS1_38merge_sort_block_merge_config_selectorIbiEEZZNS1_27merge_sort_block_merge_implIS3_N6thrust23THRUST_200600_302600_NS6detail15normal_iteratorINS8_10device_ptrIbEEEENSA_INSB_IiEEEEjNS1_19radix_merge_compareILb0ELb0EbNS0_19identity_decomposerEEEEE10hipError_tT0_T1_T2_jT3_P12ihipStream_tbPNSt15iterator_traitsISK_E10value_typeEPNSQ_ISL_E10value_typeEPSM_NS1_7vsmem_tEENKUlT_SK_SL_SM_E_clISD_PbSF_PiEESJ_SZ_SK_SL_SM_EUlSZ_E_NS1_11comp_targetILNS1_3genE4ELNS1_11target_archE910ELNS1_3gpuE8ELNS1_3repE0EEENS1_48merge_mergepath_partition_config_static_selectorELNS0_4arch9wavefront6targetE1EEEvSL_, .Lfunc_end1936-_ZN7rocprim17ROCPRIM_400000_NS6detail17trampoline_kernelINS0_14default_configENS1_38merge_sort_block_merge_config_selectorIbiEEZZNS1_27merge_sort_block_merge_implIS3_N6thrust23THRUST_200600_302600_NS6detail15normal_iteratorINS8_10device_ptrIbEEEENSA_INSB_IiEEEEjNS1_19radix_merge_compareILb0ELb0EbNS0_19identity_decomposerEEEEE10hipError_tT0_T1_T2_jT3_P12ihipStream_tbPNSt15iterator_traitsISK_E10value_typeEPNSQ_ISL_E10value_typeEPSM_NS1_7vsmem_tEENKUlT_SK_SL_SM_E_clISD_PbSF_PiEESJ_SZ_SK_SL_SM_EUlSZ_E_NS1_11comp_targetILNS1_3genE4ELNS1_11target_archE910ELNS1_3gpuE8ELNS1_3repE0EEENS1_48merge_mergepath_partition_config_static_selectorELNS0_4arch9wavefront6targetE1EEEvSL_
                                        ; -- End function
	.set _ZN7rocprim17ROCPRIM_400000_NS6detail17trampoline_kernelINS0_14default_configENS1_38merge_sort_block_merge_config_selectorIbiEEZZNS1_27merge_sort_block_merge_implIS3_N6thrust23THRUST_200600_302600_NS6detail15normal_iteratorINS8_10device_ptrIbEEEENSA_INSB_IiEEEEjNS1_19radix_merge_compareILb0ELb0EbNS0_19identity_decomposerEEEEE10hipError_tT0_T1_T2_jT3_P12ihipStream_tbPNSt15iterator_traitsISK_E10value_typeEPNSQ_ISL_E10value_typeEPSM_NS1_7vsmem_tEENKUlT_SK_SL_SM_E_clISD_PbSF_PiEESJ_SZ_SK_SL_SM_EUlSZ_E_NS1_11comp_targetILNS1_3genE4ELNS1_11target_archE910ELNS1_3gpuE8ELNS1_3repE0EEENS1_48merge_mergepath_partition_config_static_selectorELNS0_4arch9wavefront6targetE1EEEvSL_.num_vgpr, 0
	.set _ZN7rocprim17ROCPRIM_400000_NS6detail17trampoline_kernelINS0_14default_configENS1_38merge_sort_block_merge_config_selectorIbiEEZZNS1_27merge_sort_block_merge_implIS3_N6thrust23THRUST_200600_302600_NS6detail15normal_iteratorINS8_10device_ptrIbEEEENSA_INSB_IiEEEEjNS1_19radix_merge_compareILb0ELb0EbNS0_19identity_decomposerEEEEE10hipError_tT0_T1_T2_jT3_P12ihipStream_tbPNSt15iterator_traitsISK_E10value_typeEPNSQ_ISL_E10value_typeEPSM_NS1_7vsmem_tEENKUlT_SK_SL_SM_E_clISD_PbSF_PiEESJ_SZ_SK_SL_SM_EUlSZ_E_NS1_11comp_targetILNS1_3genE4ELNS1_11target_archE910ELNS1_3gpuE8ELNS1_3repE0EEENS1_48merge_mergepath_partition_config_static_selectorELNS0_4arch9wavefront6targetE1EEEvSL_.num_agpr, 0
	.set _ZN7rocprim17ROCPRIM_400000_NS6detail17trampoline_kernelINS0_14default_configENS1_38merge_sort_block_merge_config_selectorIbiEEZZNS1_27merge_sort_block_merge_implIS3_N6thrust23THRUST_200600_302600_NS6detail15normal_iteratorINS8_10device_ptrIbEEEENSA_INSB_IiEEEEjNS1_19radix_merge_compareILb0ELb0EbNS0_19identity_decomposerEEEEE10hipError_tT0_T1_T2_jT3_P12ihipStream_tbPNSt15iterator_traitsISK_E10value_typeEPNSQ_ISL_E10value_typeEPSM_NS1_7vsmem_tEENKUlT_SK_SL_SM_E_clISD_PbSF_PiEESJ_SZ_SK_SL_SM_EUlSZ_E_NS1_11comp_targetILNS1_3genE4ELNS1_11target_archE910ELNS1_3gpuE8ELNS1_3repE0EEENS1_48merge_mergepath_partition_config_static_selectorELNS0_4arch9wavefront6targetE1EEEvSL_.numbered_sgpr, 0
	.set _ZN7rocprim17ROCPRIM_400000_NS6detail17trampoline_kernelINS0_14default_configENS1_38merge_sort_block_merge_config_selectorIbiEEZZNS1_27merge_sort_block_merge_implIS3_N6thrust23THRUST_200600_302600_NS6detail15normal_iteratorINS8_10device_ptrIbEEEENSA_INSB_IiEEEEjNS1_19radix_merge_compareILb0ELb0EbNS0_19identity_decomposerEEEEE10hipError_tT0_T1_T2_jT3_P12ihipStream_tbPNSt15iterator_traitsISK_E10value_typeEPNSQ_ISL_E10value_typeEPSM_NS1_7vsmem_tEENKUlT_SK_SL_SM_E_clISD_PbSF_PiEESJ_SZ_SK_SL_SM_EUlSZ_E_NS1_11comp_targetILNS1_3genE4ELNS1_11target_archE910ELNS1_3gpuE8ELNS1_3repE0EEENS1_48merge_mergepath_partition_config_static_selectorELNS0_4arch9wavefront6targetE1EEEvSL_.num_named_barrier, 0
	.set _ZN7rocprim17ROCPRIM_400000_NS6detail17trampoline_kernelINS0_14default_configENS1_38merge_sort_block_merge_config_selectorIbiEEZZNS1_27merge_sort_block_merge_implIS3_N6thrust23THRUST_200600_302600_NS6detail15normal_iteratorINS8_10device_ptrIbEEEENSA_INSB_IiEEEEjNS1_19radix_merge_compareILb0ELb0EbNS0_19identity_decomposerEEEEE10hipError_tT0_T1_T2_jT3_P12ihipStream_tbPNSt15iterator_traitsISK_E10value_typeEPNSQ_ISL_E10value_typeEPSM_NS1_7vsmem_tEENKUlT_SK_SL_SM_E_clISD_PbSF_PiEESJ_SZ_SK_SL_SM_EUlSZ_E_NS1_11comp_targetILNS1_3genE4ELNS1_11target_archE910ELNS1_3gpuE8ELNS1_3repE0EEENS1_48merge_mergepath_partition_config_static_selectorELNS0_4arch9wavefront6targetE1EEEvSL_.private_seg_size, 0
	.set _ZN7rocprim17ROCPRIM_400000_NS6detail17trampoline_kernelINS0_14default_configENS1_38merge_sort_block_merge_config_selectorIbiEEZZNS1_27merge_sort_block_merge_implIS3_N6thrust23THRUST_200600_302600_NS6detail15normal_iteratorINS8_10device_ptrIbEEEENSA_INSB_IiEEEEjNS1_19radix_merge_compareILb0ELb0EbNS0_19identity_decomposerEEEEE10hipError_tT0_T1_T2_jT3_P12ihipStream_tbPNSt15iterator_traitsISK_E10value_typeEPNSQ_ISL_E10value_typeEPSM_NS1_7vsmem_tEENKUlT_SK_SL_SM_E_clISD_PbSF_PiEESJ_SZ_SK_SL_SM_EUlSZ_E_NS1_11comp_targetILNS1_3genE4ELNS1_11target_archE910ELNS1_3gpuE8ELNS1_3repE0EEENS1_48merge_mergepath_partition_config_static_selectorELNS0_4arch9wavefront6targetE1EEEvSL_.uses_vcc, 0
	.set _ZN7rocprim17ROCPRIM_400000_NS6detail17trampoline_kernelINS0_14default_configENS1_38merge_sort_block_merge_config_selectorIbiEEZZNS1_27merge_sort_block_merge_implIS3_N6thrust23THRUST_200600_302600_NS6detail15normal_iteratorINS8_10device_ptrIbEEEENSA_INSB_IiEEEEjNS1_19radix_merge_compareILb0ELb0EbNS0_19identity_decomposerEEEEE10hipError_tT0_T1_T2_jT3_P12ihipStream_tbPNSt15iterator_traitsISK_E10value_typeEPNSQ_ISL_E10value_typeEPSM_NS1_7vsmem_tEENKUlT_SK_SL_SM_E_clISD_PbSF_PiEESJ_SZ_SK_SL_SM_EUlSZ_E_NS1_11comp_targetILNS1_3genE4ELNS1_11target_archE910ELNS1_3gpuE8ELNS1_3repE0EEENS1_48merge_mergepath_partition_config_static_selectorELNS0_4arch9wavefront6targetE1EEEvSL_.uses_flat_scratch, 0
	.set _ZN7rocprim17ROCPRIM_400000_NS6detail17trampoline_kernelINS0_14default_configENS1_38merge_sort_block_merge_config_selectorIbiEEZZNS1_27merge_sort_block_merge_implIS3_N6thrust23THRUST_200600_302600_NS6detail15normal_iteratorINS8_10device_ptrIbEEEENSA_INSB_IiEEEEjNS1_19radix_merge_compareILb0ELb0EbNS0_19identity_decomposerEEEEE10hipError_tT0_T1_T2_jT3_P12ihipStream_tbPNSt15iterator_traitsISK_E10value_typeEPNSQ_ISL_E10value_typeEPSM_NS1_7vsmem_tEENKUlT_SK_SL_SM_E_clISD_PbSF_PiEESJ_SZ_SK_SL_SM_EUlSZ_E_NS1_11comp_targetILNS1_3genE4ELNS1_11target_archE910ELNS1_3gpuE8ELNS1_3repE0EEENS1_48merge_mergepath_partition_config_static_selectorELNS0_4arch9wavefront6targetE1EEEvSL_.has_dyn_sized_stack, 0
	.set _ZN7rocprim17ROCPRIM_400000_NS6detail17trampoline_kernelINS0_14default_configENS1_38merge_sort_block_merge_config_selectorIbiEEZZNS1_27merge_sort_block_merge_implIS3_N6thrust23THRUST_200600_302600_NS6detail15normal_iteratorINS8_10device_ptrIbEEEENSA_INSB_IiEEEEjNS1_19radix_merge_compareILb0ELb0EbNS0_19identity_decomposerEEEEE10hipError_tT0_T1_T2_jT3_P12ihipStream_tbPNSt15iterator_traitsISK_E10value_typeEPNSQ_ISL_E10value_typeEPSM_NS1_7vsmem_tEENKUlT_SK_SL_SM_E_clISD_PbSF_PiEESJ_SZ_SK_SL_SM_EUlSZ_E_NS1_11comp_targetILNS1_3genE4ELNS1_11target_archE910ELNS1_3gpuE8ELNS1_3repE0EEENS1_48merge_mergepath_partition_config_static_selectorELNS0_4arch9wavefront6targetE1EEEvSL_.has_recursion, 0
	.set _ZN7rocprim17ROCPRIM_400000_NS6detail17trampoline_kernelINS0_14default_configENS1_38merge_sort_block_merge_config_selectorIbiEEZZNS1_27merge_sort_block_merge_implIS3_N6thrust23THRUST_200600_302600_NS6detail15normal_iteratorINS8_10device_ptrIbEEEENSA_INSB_IiEEEEjNS1_19radix_merge_compareILb0ELb0EbNS0_19identity_decomposerEEEEE10hipError_tT0_T1_T2_jT3_P12ihipStream_tbPNSt15iterator_traitsISK_E10value_typeEPNSQ_ISL_E10value_typeEPSM_NS1_7vsmem_tEENKUlT_SK_SL_SM_E_clISD_PbSF_PiEESJ_SZ_SK_SL_SM_EUlSZ_E_NS1_11comp_targetILNS1_3genE4ELNS1_11target_archE910ELNS1_3gpuE8ELNS1_3repE0EEENS1_48merge_mergepath_partition_config_static_selectorELNS0_4arch9wavefront6targetE1EEEvSL_.has_indirect_call, 0
	.section	.AMDGPU.csdata,"",@progbits
; Kernel info:
; codeLenInByte = 0
; TotalNumSgprs: 6
; NumVgprs: 0
; NumAgprs: 0
; TotalNumVgprs: 0
; ScratchSize: 0
; MemoryBound: 0
; FloatMode: 240
; IeeeMode: 1
; LDSByteSize: 0 bytes/workgroup (compile time only)
; SGPRBlocks: 0
; VGPRBlocks: 0
; NumSGPRsForWavesPerEU: 6
; NumVGPRsForWavesPerEU: 1
; AccumOffset: 4
; Occupancy: 8
; WaveLimiterHint : 0
; COMPUTE_PGM_RSRC2:SCRATCH_EN: 0
; COMPUTE_PGM_RSRC2:USER_SGPR: 2
; COMPUTE_PGM_RSRC2:TRAP_HANDLER: 0
; COMPUTE_PGM_RSRC2:TGID_X_EN: 1
; COMPUTE_PGM_RSRC2:TGID_Y_EN: 0
; COMPUTE_PGM_RSRC2:TGID_Z_EN: 0
; COMPUTE_PGM_RSRC2:TIDIG_COMP_CNT: 0
; COMPUTE_PGM_RSRC3_GFX90A:ACCUM_OFFSET: 0
; COMPUTE_PGM_RSRC3_GFX90A:TG_SPLIT: 0
	.section	.text._ZN7rocprim17ROCPRIM_400000_NS6detail17trampoline_kernelINS0_14default_configENS1_38merge_sort_block_merge_config_selectorIbiEEZZNS1_27merge_sort_block_merge_implIS3_N6thrust23THRUST_200600_302600_NS6detail15normal_iteratorINS8_10device_ptrIbEEEENSA_INSB_IiEEEEjNS1_19radix_merge_compareILb0ELb0EbNS0_19identity_decomposerEEEEE10hipError_tT0_T1_T2_jT3_P12ihipStream_tbPNSt15iterator_traitsISK_E10value_typeEPNSQ_ISL_E10value_typeEPSM_NS1_7vsmem_tEENKUlT_SK_SL_SM_E_clISD_PbSF_PiEESJ_SZ_SK_SL_SM_EUlSZ_E_NS1_11comp_targetILNS1_3genE3ELNS1_11target_archE908ELNS1_3gpuE7ELNS1_3repE0EEENS1_48merge_mergepath_partition_config_static_selectorELNS0_4arch9wavefront6targetE1EEEvSL_,"axG",@progbits,_ZN7rocprim17ROCPRIM_400000_NS6detail17trampoline_kernelINS0_14default_configENS1_38merge_sort_block_merge_config_selectorIbiEEZZNS1_27merge_sort_block_merge_implIS3_N6thrust23THRUST_200600_302600_NS6detail15normal_iteratorINS8_10device_ptrIbEEEENSA_INSB_IiEEEEjNS1_19radix_merge_compareILb0ELb0EbNS0_19identity_decomposerEEEEE10hipError_tT0_T1_T2_jT3_P12ihipStream_tbPNSt15iterator_traitsISK_E10value_typeEPNSQ_ISL_E10value_typeEPSM_NS1_7vsmem_tEENKUlT_SK_SL_SM_E_clISD_PbSF_PiEESJ_SZ_SK_SL_SM_EUlSZ_E_NS1_11comp_targetILNS1_3genE3ELNS1_11target_archE908ELNS1_3gpuE7ELNS1_3repE0EEENS1_48merge_mergepath_partition_config_static_selectorELNS0_4arch9wavefront6targetE1EEEvSL_,comdat
	.protected	_ZN7rocprim17ROCPRIM_400000_NS6detail17trampoline_kernelINS0_14default_configENS1_38merge_sort_block_merge_config_selectorIbiEEZZNS1_27merge_sort_block_merge_implIS3_N6thrust23THRUST_200600_302600_NS6detail15normal_iteratorINS8_10device_ptrIbEEEENSA_INSB_IiEEEEjNS1_19radix_merge_compareILb0ELb0EbNS0_19identity_decomposerEEEEE10hipError_tT0_T1_T2_jT3_P12ihipStream_tbPNSt15iterator_traitsISK_E10value_typeEPNSQ_ISL_E10value_typeEPSM_NS1_7vsmem_tEENKUlT_SK_SL_SM_E_clISD_PbSF_PiEESJ_SZ_SK_SL_SM_EUlSZ_E_NS1_11comp_targetILNS1_3genE3ELNS1_11target_archE908ELNS1_3gpuE7ELNS1_3repE0EEENS1_48merge_mergepath_partition_config_static_selectorELNS0_4arch9wavefront6targetE1EEEvSL_ ; -- Begin function _ZN7rocprim17ROCPRIM_400000_NS6detail17trampoline_kernelINS0_14default_configENS1_38merge_sort_block_merge_config_selectorIbiEEZZNS1_27merge_sort_block_merge_implIS3_N6thrust23THRUST_200600_302600_NS6detail15normal_iteratorINS8_10device_ptrIbEEEENSA_INSB_IiEEEEjNS1_19radix_merge_compareILb0ELb0EbNS0_19identity_decomposerEEEEE10hipError_tT0_T1_T2_jT3_P12ihipStream_tbPNSt15iterator_traitsISK_E10value_typeEPNSQ_ISL_E10value_typeEPSM_NS1_7vsmem_tEENKUlT_SK_SL_SM_E_clISD_PbSF_PiEESJ_SZ_SK_SL_SM_EUlSZ_E_NS1_11comp_targetILNS1_3genE3ELNS1_11target_archE908ELNS1_3gpuE7ELNS1_3repE0EEENS1_48merge_mergepath_partition_config_static_selectorELNS0_4arch9wavefront6targetE1EEEvSL_
	.globl	_ZN7rocprim17ROCPRIM_400000_NS6detail17trampoline_kernelINS0_14default_configENS1_38merge_sort_block_merge_config_selectorIbiEEZZNS1_27merge_sort_block_merge_implIS3_N6thrust23THRUST_200600_302600_NS6detail15normal_iteratorINS8_10device_ptrIbEEEENSA_INSB_IiEEEEjNS1_19radix_merge_compareILb0ELb0EbNS0_19identity_decomposerEEEEE10hipError_tT0_T1_T2_jT3_P12ihipStream_tbPNSt15iterator_traitsISK_E10value_typeEPNSQ_ISL_E10value_typeEPSM_NS1_7vsmem_tEENKUlT_SK_SL_SM_E_clISD_PbSF_PiEESJ_SZ_SK_SL_SM_EUlSZ_E_NS1_11comp_targetILNS1_3genE3ELNS1_11target_archE908ELNS1_3gpuE7ELNS1_3repE0EEENS1_48merge_mergepath_partition_config_static_selectorELNS0_4arch9wavefront6targetE1EEEvSL_
	.p2align	8
	.type	_ZN7rocprim17ROCPRIM_400000_NS6detail17trampoline_kernelINS0_14default_configENS1_38merge_sort_block_merge_config_selectorIbiEEZZNS1_27merge_sort_block_merge_implIS3_N6thrust23THRUST_200600_302600_NS6detail15normal_iteratorINS8_10device_ptrIbEEEENSA_INSB_IiEEEEjNS1_19radix_merge_compareILb0ELb0EbNS0_19identity_decomposerEEEEE10hipError_tT0_T1_T2_jT3_P12ihipStream_tbPNSt15iterator_traitsISK_E10value_typeEPNSQ_ISL_E10value_typeEPSM_NS1_7vsmem_tEENKUlT_SK_SL_SM_E_clISD_PbSF_PiEESJ_SZ_SK_SL_SM_EUlSZ_E_NS1_11comp_targetILNS1_3genE3ELNS1_11target_archE908ELNS1_3gpuE7ELNS1_3repE0EEENS1_48merge_mergepath_partition_config_static_selectorELNS0_4arch9wavefront6targetE1EEEvSL_,@function
_ZN7rocprim17ROCPRIM_400000_NS6detail17trampoline_kernelINS0_14default_configENS1_38merge_sort_block_merge_config_selectorIbiEEZZNS1_27merge_sort_block_merge_implIS3_N6thrust23THRUST_200600_302600_NS6detail15normal_iteratorINS8_10device_ptrIbEEEENSA_INSB_IiEEEEjNS1_19radix_merge_compareILb0ELb0EbNS0_19identity_decomposerEEEEE10hipError_tT0_T1_T2_jT3_P12ihipStream_tbPNSt15iterator_traitsISK_E10value_typeEPNSQ_ISL_E10value_typeEPSM_NS1_7vsmem_tEENKUlT_SK_SL_SM_E_clISD_PbSF_PiEESJ_SZ_SK_SL_SM_EUlSZ_E_NS1_11comp_targetILNS1_3genE3ELNS1_11target_archE908ELNS1_3gpuE7ELNS1_3repE0EEENS1_48merge_mergepath_partition_config_static_selectorELNS0_4arch9wavefront6targetE1EEEvSL_: ; @_ZN7rocprim17ROCPRIM_400000_NS6detail17trampoline_kernelINS0_14default_configENS1_38merge_sort_block_merge_config_selectorIbiEEZZNS1_27merge_sort_block_merge_implIS3_N6thrust23THRUST_200600_302600_NS6detail15normal_iteratorINS8_10device_ptrIbEEEENSA_INSB_IiEEEEjNS1_19radix_merge_compareILb0ELb0EbNS0_19identity_decomposerEEEEE10hipError_tT0_T1_T2_jT3_P12ihipStream_tbPNSt15iterator_traitsISK_E10value_typeEPNSQ_ISL_E10value_typeEPSM_NS1_7vsmem_tEENKUlT_SK_SL_SM_E_clISD_PbSF_PiEESJ_SZ_SK_SL_SM_EUlSZ_E_NS1_11comp_targetILNS1_3genE3ELNS1_11target_archE908ELNS1_3gpuE7ELNS1_3repE0EEENS1_48merge_mergepath_partition_config_static_selectorELNS0_4arch9wavefront6targetE1EEEvSL_
; %bb.0:
	.section	.rodata,"a",@progbits
	.p2align	6, 0x0
	.amdhsa_kernel _ZN7rocprim17ROCPRIM_400000_NS6detail17trampoline_kernelINS0_14default_configENS1_38merge_sort_block_merge_config_selectorIbiEEZZNS1_27merge_sort_block_merge_implIS3_N6thrust23THRUST_200600_302600_NS6detail15normal_iteratorINS8_10device_ptrIbEEEENSA_INSB_IiEEEEjNS1_19radix_merge_compareILb0ELb0EbNS0_19identity_decomposerEEEEE10hipError_tT0_T1_T2_jT3_P12ihipStream_tbPNSt15iterator_traitsISK_E10value_typeEPNSQ_ISL_E10value_typeEPSM_NS1_7vsmem_tEENKUlT_SK_SL_SM_E_clISD_PbSF_PiEESJ_SZ_SK_SL_SM_EUlSZ_E_NS1_11comp_targetILNS1_3genE3ELNS1_11target_archE908ELNS1_3gpuE7ELNS1_3repE0EEENS1_48merge_mergepath_partition_config_static_selectorELNS0_4arch9wavefront6targetE1EEEvSL_
		.amdhsa_group_segment_fixed_size 0
		.amdhsa_private_segment_fixed_size 0
		.amdhsa_kernarg_size 40
		.amdhsa_user_sgpr_count 2
		.amdhsa_user_sgpr_dispatch_ptr 0
		.amdhsa_user_sgpr_queue_ptr 0
		.amdhsa_user_sgpr_kernarg_segment_ptr 1
		.amdhsa_user_sgpr_dispatch_id 0
		.amdhsa_user_sgpr_kernarg_preload_length 0
		.amdhsa_user_sgpr_kernarg_preload_offset 0
		.amdhsa_user_sgpr_private_segment_size 0
		.amdhsa_uses_dynamic_stack 0
		.amdhsa_enable_private_segment 0
		.amdhsa_system_sgpr_workgroup_id_x 1
		.amdhsa_system_sgpr_workgroup_id_y 0
		.amdhsa_system_sgpr_workgroup_id_z 0
		.amdhsa_system_sgpr_workgroup_info 0
		.amdhsa_system_vgpr_workitem_id 0
		.amdhsa_next_free_vgpr 1
		.amdhsa_next_free_sgpr 0
		.amdhsa_accum_offset 4
		.amdhsa_reserve_vcc 0
		.amdhsa_float_round_mode_32 0
		.amdhsa_float_round_mode_16_64 0
		.amdhsa_float_denorm_mode_32 3
		.amdhsa_float_denorm_mode_16_64 3
		.amdhsa_dx10_clamp 1
		.amdhsa_ieee_mode 1
		.amdhsa_fp16_overflow 0
		.amdhsa_tg_split 0
		.amdhsa_exception_fp_ieee_invalid_op 0
		.amdhsa_exception_fp_denorm_src 0
		.amdhsa_exception_fp_ieee_div_zero 0
		.amdhsa_exception_fp_ieee_overflow 0
		.amdhsa_exception_fp_ieee_underflow 0
		.amdhsa_exception_fp_ieee_inexact 0
		.amdhsa_exception_int_div_zero 0
	.end_amdhsa_kernel
	.section	.text._ZN7rocprim17ROCPRIM_400000_NS6detail17trampoline_kernelINS0_14default_configENS1_38merge_sort_block_merge_config_selectorIbiEEZZNS1_27merge_sort_block_merge_implIS3_N6thrust23THRUST_200600_302600_NS6detail15normal_iteratorINS8_10device_ptrIbEEEENSA_INSB_IiEEEEjNS1_19radix_merge_compareILb0ELb0EbNS0_19identity_decomposerEEEEE10hipError_tT0_T1_T2_jT3_P12ihipStream_tbPNSt15iterator_traitsISK_E10value_typeEPNSQ_ISL_E10value_typeEPSM_NS1_7vsmem_tEENKUlT_SK_SL_SM_E_clISD_PbSF_PiEESJ_SZ_SK_SL_SM_EUlSZ_E_NS1_11comp_targetILNS1_3genE3ELNS1_11target_archE908ELNS1_3gpuE7ELNS1_3repE0EEENS1_48merge_mergepath_partition_config_static_selectorELNS0_4arch9wavefront6targetE1EEEvSL_,"axG",@progbits,_ZN7rocprim17ROCPRIM_400000_NS6detail17trampoline_kernelINS0_14default_configENS1_38merge_sort_block_merge_config_selectorIbiEEZZNS1_27merge_sort_block_merge_implIS3_N6thrust23THRUST_200600_302600_NS6detail15normal_iteratorINS8_10device_ptrIbEEEENSA_INSB_IiEEEEjNS1_19radix_merge_compareILb0ELb0EbNS0_19identity_decomposerEEEEE10hipError_tT0_T1_T2_jT3_P12ihipStream_tbPNSt15iterator_traitsISK_E10value_typeEPNSQ_ISL_E10value_typeEPSM_NS1_7vsmem_tEENKUlT_SK_SL_SM_E_clISD_PbSF_PiEESJ_SZ_SK_SL_SM_EUlSZ_E_NS1_11comp_targetILNS1_3genE3ELNS1_11target_archE908ELNS1_3gpuE7ELNS1_3repE0EEENS1_48merge_mergepath_partition_config_static_selectorELNS0_4arch9wavefront6targetE1EEEvSL_,comdat
.Lfunc_end1937:
	.size	_ZN7rocprim17ROCPRIM_400000_NS6detail17trampoline_kernelINS0_14default_configENS1_38merge_sort_block_merge_config_selectorIbiEEZZNS1_27merge_sort_block_merge_implIS3_N6thrust23THRUST_200600_302600_NS6detail15normal_iteratorINS8_10device_ptrIbEEEENSA_INSB_IiEEEEjNS1_19radix_merge_compareILb0ELb0EbNS0_19identity_decomposerEEEEE10hipError_tT0_T1_T2_jT3_P12ihipStream_tbPNSt15iterator_traitsISK_E10value_typeEPNSQ_ISL_E10value_typeEPSM_NS1_7vsmem_tEENKUlT_SK_SL_SM_E_clISD_PbSF_PiEESJ_SZ_SK_SL_SM_EUlSZ_E_NS1_11comp_targetILNS1_3genE3ELNS1_11target_archE908ELNS1_3gpuE7ELNS1_3repE0EEENS1_48merge_mergepath_partition_config_static_selectorELNS0_4arch9wavefront6targetE1EEEvSL_, .Lfunc_end1937-_ZN7rocprim17ROCPRIM_400000_NS6detail17trampoline_kernelINS0_14default_configENS1_38merge_sort_block_merge_config_selectorIbiEEZZNS1_27merge_sort_block_merge_implIS3_N6thrust23THRUST_200600_302600_NS6detail15normal_iteratorINS8_10device_ptrIbEEEENSA_INSB_IiEEEEjNS1_19radix_merge_compareILb0ELb0EbNS0_19identity_decomposerEEEEE10hipError_tT0_T1_T2_jT3_P12ihipStream_tbPNSt15iterator_traitsISK_E10value_typeEPNSQ_ISL_E10value_typeEPSM_NS1_7vsmem_tEENKUlT_SK_SL_SM_E_clISD_PbSF_PiEESJ_SZ_SK_SL_SM_EUlSZ_E_NS1_11comp_targetILNS1_3genE3ELNS1_11target_archE908ELNS1_3gpuE7ELNS1_3repE0EEENS1_48merge_mergepath_partition_config_static_selectorELNS0_4arch9wavefront6targetE1EEEvSL_
                                        ; -- End function
	.set _ZN7rocprim17ROCPRIM_400000_NS6detail17trampoline_kernelINS0_14default_configENS1_38merge_sort_block_merge_config_selectorIbiEEZZNS1_27merge_sort_block_merge_implIS3_N6thrust23THRUST_200600_302600_NS6detail15normal_iteratorINS8_10device_ptrIbEEEENSA_INSB_IiEEEEjNS1_19radix_merge_compareILb0ELb0EbNS0_19identity_decomposerEEEEE10hipError_tT0_T1_T2_jT3_P12ihipStream_tbPNSt15iterator_traitsISK_E10value_typeEPNSQ_ISL_E10value_typeEPSM_NS1_7vsmem_tEENKUlT_SK_SL_SM_E_clISD_PbSF_PiEESJ_SZ_SK_SL_SM_EUlSZ_E_NS1_11comp_targetILNS1_3genE3ELNS1_11target_archE908ELNS1_3gpuE7ELNS1_3repE0EEENS1_48merge_mergepath_partition_config_static_selectorELNS0_4arch9wavefront6targetE1EEEvSL_.num_vgpr, 0
	.set _ZN7rocprim17ROCPRIM_400000_NS6detail17trampoline_kernelINS0_14default_configENS1_38merge_sort_block_merge_config_selectorIbiEEZZNS1_27merge_sort_block_merge_implIS3_N6thrust23THRUST_200600_302600_NS6detail15normal_iteratorINS8_10device_ptrIbEEEENSA_INSB_IiEEEEjNS1_19radix_merge_compareILb0ELb0EbNS0_19identity_decomposerEEEEE10hipError_tT0_T1_T2_jT3_P12ihipStream_tbPNSt15iterator_traitsISK_E10value_typeEPNSQ_ISL_E10value_typeEPSM_NS1_7vsmem_tEENKUlT_SK_SL_SM_E_clISD_PbSF_PiEESJ_SZ_SK_SL_SM_EUlSZ_E_NS1_11comp_targetILNS1_3genE3ELNS1_11target_archE908ELNS1_3gpuE7ELNS1_3repE0EEENS1_48merge_mergepath_partition_config_static_selectorELNS0_4arch9wavefront6targetE1EEEvSL_.num_agpr, 0
	.set _ZN7rocprim17ROCPRIM_400000_NS6detail17trampoline_kernelINS0_14default_configENS1_38merge_sort_block_merge_config_selectorIbiEEZZNS1_27merge_sort_block_merge_implIS3_N6thrust23THRUST_200600_302600_NS6detail15normal_iteratorINS8_10device_ptrIbEEEENSA_INSB_IiEEEEjNS1_19radix_merge_compareILb0ELb0EbNS0_19identity_decomposerEEEEE10hipError_tT0_T1_T2_jT3_P12ihipStream_tbPNSt15iterator_traitsISK_E10value_typeEPNSQ_ISL_E10value_typeEPSM_NS1_7vsmem_tEENKUlT_SK_SL_SM_E_clISD_PbSF_PiEESJ_SZ_SK_SL_SM_EUlSZ_E_NS1_11comp_targetILNS1_3genE3ELNS1_11target_archE908ELNS1_3gpuE7ELNS1_3repE0EEENS1_48merge_mergepath_partition_config_static_selectorELNS0_4arch9wavefront6targetE1EEEvSL_.numbered_sgpr, 0
	.set _ZN7rocprim17ROCPRIM_400000_NS6detail17trampoline_kernelINS0_14default_configENS1_38merge_sort_block_merge_config_selectorIbiEEZZNS1_27merge_sort_block_merge_implIS3_N6thrust23THRUST_200600_302600_NS6detail15normal_iteratorINS8_10device_ptrIbEEEENSA_INSB_IiEEEEjNS1_19radix_merge_compareILb0ELb0EbNS0_19identity_decomposerEEEEE10hipError_tT0_T1_T2_jT3_P12ihipStream_tbPNSt15iterator_traitsISK_E10value_typeEPNSQ_ISL_E10value_typeEPSM_NS1_7vsmem_tEENKUlT_SK_SL_SM_E_clISD_PbSF_PiEESJ_SZ_SK_SL_SM_EUlSZ_E_NS1_11comp_targetILNS1_3genE3ELNS1_11target_archE908ELNS1_3gpuE7ELNS1_3repE0EEENS1_48merge_mergepath_partition_config_static_selectorELNS0_4arch9wavefront6targetE1EEEvSL_.num_named_barrier, 0
	.set _ZN7rocprim17ROCPRIM_400000_NS6detail17trampoline_kernelINS0_14default_configENS1_38merge_sort_block_merge_config_selectorIbiEEZZNS1_27merge_sort_block_merge_implIS3_N6thrust23THRUST_200600_302600_NS6detail15normal_iteratorINS8_10device_ptrIbEEEENSA_INSB_IiEEEEjNS1_19radix_merge_compareILb0ELb0EbNS0_19identity_decomposerEEEEE10hipError_tT0_T1_T2_jT3_P12ihipStream_tbPNSt15iterator_traitsISK_E10value_typeEPNSQ_ISL_E10value_typeEPSM_NS1_7vsmem_tEENKUlT_SK_SL_SM_E_clISD_PbSF_PiEESJ_SZ_SK_SL_SM_EUlSZ_E_NS1_11comp_targetILNS1_3genE3ELNS1_11target_archE908ELNS1_3gpuE7ELNS1_3repE0EEENS1_48merge_mergepath_partition_config_static_selectorELNS0_4arch9wavefront6targetE1EEEvSL_.private_seg_size, 0
	.set _ZN7rocprim17ROCPRIM_400000_NS6detail17trampoline_kernelINS0_14default_configENS1_38merge_sort_block_merge_config_selectorIbiEEZZNS1_27merge_sort_block_merge_implIS3_N6thrust23THRUST_200600_302600_NS6detail15normal_iteratorINS8_10device_ptrIbEEEENSA_INSB_IiEEEEjNS1_19radix_merge_compareILb0ELb0EbNS0_19identity_decomposerEEEEE10hipError_tT0_T1_T2_jT3_P12ihipStream_tbPNSt15iterator_traitsISK_E10value_typeEPNSQ_ISL_E10value_typeEPSM_NS1_7vsmem_tEENKUlT_SK_SL_SM_E_clISD_PbSF_PiEESJ_SZ_SK_SL_SM_EUlSZ_E_NS1_11comp_targetILNS1_3genE3ELNS1_11target_archE908ELNS1_3gpuE7ELNS1_3repE0EEENS1_48merge_mergepath_partition_config_static_selectorELNS0_4arch9wavefront6targetE1EEEvSL_.uses_vcc, 0
	.set _ZN7rocprim17ROCPRIM_400000_NS6detail17trampoline_kernelINS0_14default_configENS1_38merge_sort_block_merge_config_selectorIbiEEZZNS1_27merge_sort_block_merge_implIS3_N6thrust23THRUST_200600_302600_NS6detail15normal_iteratorINS8_10device_ptrIbEEEENSA_INSB_IiEEEEjNS1_19radix_merge_compareILb0ELb0EbNS0_19identity_decomposerEEEEE10hipError_tT0_T1_T2_jT3_P12ihipStream_tbPNSt15iterator_traitsISK_E10value_typeEPNSQ_ISL_E10value_typeEPSM_NS1_7vsmem_tEENKUlT_SK_SL_SM_E_clISD_PbSF_PiEESJ_SZ_SK_SL_SM_EUlSZ_E_NS1_11comp_targetILNS1_3genE3ELNS1_11target_archE908ELNS1_3gpuE7ELNS1_3repE0EEENS1_48merge_mergepath_partition_config_static_selectorELNS0_4arch9wavefront6targetE1EEEvSL_.uses_flat_scratch, 0
	.set _ZN7rocprim17ROCPRIM_400000_NS6detail17trampoline_kernelINS0_14default_configENS1_38merge_sort_block_merge_config_selectorIbiEEZZNS1_27merge_sort_block_merge_implIS3_N6thrust23THRUST_200600_302600_NS6detail15normal_iteratorINS8_10device_ptrIbEEEENSA_INSB_IiEEEEjNS1_19radix_merge_compareILb0ELb0EbNS0_19identity_decomposerEEEEE10hipError_tT0_T1_T2_jT3_P12ihipStream_tbPNSt15iterator_traitsISK_E10value_typeEPNSQ_ISL_E10value_typeEPSM_NS1_7vsmem_tEENKUlT_SK_SL_SM_E_clISD_PbSF_PiEESJ_SZ_SK_SL_SM_EUlSZ_E_NS1_11comp_targetILNS1_3genE3ELNS1_11target_archE908ELNS1_3gpuE7ELNS1_3repE0EEENS1_48merge_mergepath_partition_config_static_selectorELNS0_4arch9wavefront6targetE1EEEvSL_.has_dyn_sized_stack, 0
	.set _ZN7rocprim17ROCPRIM_400000_NS6detail17trampoline_kernelINS0_14default_configENS1_38merge_sort_block_merge_config_selectorIbiEEZZNS1_27merge_sort_block_merge_implIS3_N6thrust23THRUST_200600_302600_NS6detail15normal_iteratorINS8_10device_ptrIbEEEENSA_INSB_IiEEEEjNS1_19radix_merge_compareILb0ELb0EbNS0_19identity_decomposerEEEEE10hipError_tT0_T1_T2_jT3_P12ihipStream_tbPNSt15iterator_traitsISK_E10value_typeEPNSQ_ISL_E10value_typeEPSM_NS1_7vsmem_tEENKUlT_SK_SL_SM_E_clISD_PbSF_PiEESJ_SZ_SK_SL_SM_EUlSZ_E_NS1_11comp_targetILNS1_3genE3ELNS1_11target_archE908ELNS1_3gpuE7ELNS1_3repE0EEENS1_48merge_mergepath_partition_config_static_selectorELNS0_4arch9wavefront6targetE1EEEvSL_.has_recursion, 0
	.set _ZN7rocprim17ROCPRIM_400000_NS6detail17trampoline_kernelINS0_14default_configENS1_38merge_sort_block_merge_config_selectorIbiEEZZNS1_27merge_sort_block_merge_implIS3_N6thrust23THRUST_200600_302600_NS6detail15normal_iteratorINS8_10device_ptrIbEEEENSA_INSB_IiEEEEjNS1_19radix_merge_compareILb0ELb0EbNS0_19identity_decomposerEEEEE10hipError_tT0_T1_T2_jT3_P12ihipStream_tbPNSt15iterator_traitsISK_E10value_typeEPNSQ_ISL_E10value_typeEPSM_NS1_7vsmem_tEENKUlT_SK_SL_SM_E_clISD_PbSF_PiEESJ_SZ_SK_SL_SM_EUlSZ_E_NS1_11comp_targetILNS1_3genE3ELNS1_11target_archE908ELNS1_3gpuE7ELNS1_3repE0EEENS1_48merge_mergepath_partition_config_static_selectorELNS0_4arch9wavefront6targetE1EEEvSL_.has_indirect_call, 0
	.section	.AMDGPU.csdata,"",@progbits
; Kernel info:
; codeLenInByte = 0
; TotalNumSgprs: 6
; NumVgprs: 0
; NumAgprs: 0
; TotalNumVgprs: 0
; ScratchSize: 0
; MemoryBound: 0
; FloatMode: 240
; IeeeMode: 1
; LDSByteSize: 0 bytes/workgroup (compile time only)
; SGPRBlocks: 0
; VGPRBlocks: 0
; NumSGPRsForWavesPerEU: 6
; NumVGPRsForWavesPerEU: 1
; AccumOffset: 4
; Occupancy: 8
; WaveLimiterHint : 0
; COMPUTE_PGM_RSRC2:SCRATCH_EN: 0
; COMPUTE_PGM_RSRC2:USER_SGPR: 2
; COMPUTE_PGM_RSRC2:TRAP_HANDLER: 0
; COMPUTE_PGM_RSRC2:TGID_X_EN: 1
; COMPUTE_PGM_RSRC2:TGID_Y_EN: 0
; COMPUTE_PGM_RSRC2:TGID_Z_EN: 0
; COMPUTE_PGM_RSRC2:TIDIG_COMP_CNT: 0
; COMPUTE_PGM_RSRC3_GFX90A:ACCUM_OFFSET: 0
; COMPUTE_PGM_RSRC3_GFX90A:TG_SPLIT: 0
	.section	.text._ZN7rocprim17ROCPRIM_400000_NS6detail17trampoline_kernelINS0_14default_configENS1_38merge_sort_block_merge_config_selectorIbiEEZZNS1_27merge_sort_block_merge_implIS3_N6thrust23THRUST_200600_302600_NS6detail15normal_iteratorINS8_10device_ptrIbEEEENSA_INSB_IiEEEEjNS1_19radix_merge_compareILb0ELb0EbNS0_19identity_decomposerEEEEE10hipError_tT0_T1_T2_jT3_P12ihipStream_tbPNSt15iterator_traitsISK_E10value_typeEPNSQ_ISL_E10value_typeEPSM_NS1_7vsmem_tEENKUlT_SK_SL_SM_E_clISD_PbSF_PiEESJ_SZ_SK_SL_SM_EUlSZ_E_NS1_11comp_targetILNS1_3genE2ELNS1_11target_archE906ELNS1_3gpuE6ELNS1_3repE0EEENS1_48merge_mergepath_partition_config_static_selectorELNS0_4arch9wavefront6targetE1EEEvSL_,"axG",@progbits,_ZN7rocprim17ROCPRIM_400000_NS6detail17trampoline_kernelINS0_14default_configENS1_38merge_sort_block_merge_config_selectorIbiEEZZNS1_27merge_sort_block_merge_implIS3_N6thrust23THRUST_200600_302600_NS6detail15normal_iteratorINS8_10device_ptrIbEEEENSA_INSB_IiEEEEjNS1_19radix_merge_compareILb0ELb0EbNS0_19identity_decomposerEEEEE10hipError_tT0_T1_T2_jT3_P12ihipStream_tbPNSt15iterator_traitsISK_E10value_typeEPNSQ_ISL_E10value_typeEPSM_NS1_7vsmem_tEENKUlT_SK_SL_SM_E_clISD_PbSF_PiEESJ_SZ_SK_SL_SM_EUlSZ_E_NS1_11comp_targetILNS1_3genE2ELNS1_11target_archE906ELNS1_3gpuE6ELNS1_3repE0EEENS1_48merge_mergepath_partition_config_static_selectorELNS0_4arch9wavefront6targetE1EEEvSL_,comdat
	.protected	_ZN7rocprim17ROCPRIM_400000_NS6detail17trampoline_kernelINS0_14default_configENS1_38merge_sort_block_merge_config_selectorIbiEEZZNS1_27merge_sort_block_merge_implIS3_N6thrust23THRUST_200600_302600_NS6detail15normal_iteratorINS8_10device_ptrIbEEEENSA_INSB_IiEEEEjNS1_19radix_merge_compareILb0ELb0EbNS0_19identity_decomposerEEEEE10hipError_tT0_T1_T2_jT3_P12ihipStream_tbPNSt15iterator_traitsISK_E10value_typeEPNSQ_ISL_E10value_typeEPSM_NS1_7vsmem_tEENKUlT_SK_SL_SM_E_clISD_PbSF_PiEESJ_SZ_SK_SL_SM_EUlSZ_E_NS1_11comp_targetILNS1_3genE2ELNS1_11target_archE906ELNS1_3gpuE6ELNS1_3repE0EEENS1_48merge_mergepath_partition_config_static_selectorELNS0_4arch9wavefront6targetE1EEEvSL_ ; -- Begin function _ZN7rocprim17ROCPRIM_400000_NS6detail17trampoline_kernelINS0_14default_configENS1_38merge_sort_block_merge_config_selectorIbiEEZZNS1_27merge_sort_block_merge_implIS3_N6thrust23THRUST_200600_302600_NS6detail15normal_iteratorINS8_10device_ptrIbEEEENSA_INSB_IiEEEEjNS1_19radix_merge_compareILb0ELb0EbNS0_19identity_decomposerEEEEE10hipError_tT0_T1_T2_jT3_P12ihipStream_tbPNSt15iterator_traitsISK_E10value_typeEPNSQ_ISL_E10value_typeEPSM_NS1_7vsmem_tEENKUlT_SK_SL_SM_E_clISD_PbSF_PiEESJ_SZ_SK_SL_SM_EUlSZ_E_NS1_11comp_targetILNS1_3genE2ELNS1_11target_archE906ELNS1_3gpuE6ELNS1_3repE0EEENS1_48merge_mergepath_partition_config_static_selectorELNS0_4arch9wavefront6targetE1EEEvSL_
	.globl	_ZN7rocprim17ROCPRIM_400000_NS6detail17trampoline_kernelINS0_14default_configENS1_38merge_sort_block_merge_config_selectorIbiEEZZNS1_27merge_sort_block_merge_implIS3_N6thrust23THRUST_200600_302600_NS6detail15normal_iteratorINS8_10device_ptrIbEEEENSA_INSB_IiEEEEjNS1_19radix_merge_compareILb0ELb0EbNS0_19identity_decomposerEEEEE10hipError_tT0_T1_T2_jT3_P12ihipStream_tbPNSt15iterator_traitsISK_E10value_typeEPNSQ_ISL_E10value_typeEPSM_NS1_7vsmem_tEENKUlT_SK_SL_SM_E_clISD_PbSF_PiEESJ_SZ_SK_SL_SM_EUlSZ_E_NS1_11comp_targetILNS1_3genE2ELNS1_11target_archE906ELNS1_3gpuE6ELNS1_3repE0EEENS1_48merge_mergepath_partition_config_static_selectorELNS0_4arch9wavefront6targetE1EEEvSL_
	.p2align	8
	.type	_ZN7rocprim17ROCPRIM_400000_NS6detail17trampoline_kernelINS0_14default_configENS1_38merge_sort_block_merge_config_selectorIbiEEZZNS1_27merge_sort_block_merge_implIS3_N6thrust23THRUST_200600_302600_NS6detail15normal_iteratorINS8_10device_ptrIbEEEENSA_INSB_IiEEEEjNS1_19radix_merge_compareILb0ELb0EbNS0_19identity_decomposerEEEEE10hipError_tT0_T1_T2_jT3_P12ihipStream_tbPNSt15iterator_traitsISK_E10value_typeEPNSQ_ISL_E10value_typeEPSM_NS1_7vsmem_tEENKUlT_SK_SL_SM_E_clISD_PbSF_PiEESJ_SZ_SK_SL_SM_EUlSZ_E_NS1_11comp_targetILNS1_3genE2ELNS1_11target_archE906ELNS1_3gpuE6ELNS1_3repE0EEENS1_48merge_mergepath_partition_config_static_selectorELNS0_4arch9wavefront6targetE1EEEvSL_,@function
_ZN7rocprim17ROCPRIM_400000_NS6detail17trampoline_kernelINS0_14default_configENS1_38merge_sort_block_merge_config_selectorIbiEEZZNS1_27merge_sort_block_merge_implIS3_N6thrust23THRUST_200600_302600_NS6detail15normal_iteratorINS8_10device_ptrIbEEEENSA_INSB_IiEEEEjNS1_19radix_merge_compareILb0ELb0EbNS0_19identity_decomposerEEEEE10hipError_tT0_T1_T2_jT3_P12ihipStream_tbPNSt15iterator_traitsISK_E10value_typeEPNSQ_ISL_E10value_typeEPSM_NS1_7vsmem_tEENKUlT_SK_SL_SM_E_clISD_PbSF_PiEESJ_SZ_SK_SL_SM_EUlSZ_E_NS1_11comp_targetILNS1_3genE2ELNS1_11target_archE906ELNS1_3gpuE6ELNS1_3repE0EEENS1_48merge_mergepath_partition_config_static_selectorELNS0_4arch9wavefront6targetE1EEEvSL_: ; @_ZN7rocprim17ROCPRIM_400000_NS6detail17trampoline_kernelINS0_14default_configENS1_38merge_sort_block_merge_config_selectorIbiEEZZNS1_27merge_sort_block_merge_implIS3_N6thrust23THRUST_200600_302600_NS6detail15normal_iteratorINS8_10device_ptrIbEEEENSA_INSB_IiEEEEjNS1_19radix_merge_compareILb0ELb0EbNS0_19identity_decomposerEEEEE10hipError_tT0_T1_T2_jT3_P12ihipStream_tbPNSt15iterator_traitsISK_E10value_typeEPNSQ_ISL_E10value_typeEPSM_NS1_7vsmem_tEENKUlT_SK_SL_SM_E_clISD_PbSF_PiEESJ_SZ_SK_SL_SM_EUlSZ_E_NS1_11comp_targetILNS1_3genE2ELNS1_11target_archE906ELNS1_3gpuE6ELNS1_3repE0EEENS1_48merge_mergepath_partition_config_static_selectorELNS0_4arch9wavefront6targetE1EEEvSL_
; %bb.0:
	.section	.rodata,"a",@progbits
	.p2align	6, 0x0
	.amdhsa_kernel _ZN7rocprim17ROCPRIM_400000_NS6detail17trampoline_kernelINS0_14default_configENS1_38merge_sort_block_merge_config_selectorIbiEEZZNS1_27merge_sort_block_merge_implIS3_N6thrust23THRUST_200600_302600_NS6detail15normal_iteratorINS8_10device_ptrIbEEEENSA_INSB_IiEEEEjNS1_19radix_merge_compareILb0ELb0EbNS0_19identity_decomposerEEEEE10hipError_tT0_T1_T2_jT3_P12ihipStream_tbPNSt15iterator_traitsISK_E10value_typeEPNSQ_ISL_E10value_typeEPSM_NS1_7vsmem_tEENKUlT_SK_SL_SM_E_clISD_PbSF_PiEESJ_SZ_SK_SL_SM_EUlSZ_E_NS1_11comp_targetILNS1_3genE2ELNS1_11target_archE906ELNS1_3gpuE6ELNS1_3repE0EEENS1_48merge_mergepath_partition_config_static_selectorELNS0_4arch9wavefront6targetE1EEEvSL_
		.amdhsa_group_segment_fixed_size 0
		.amdhsa_private_segment_fixed_size 0
		.amdhsa_kernarg_size 40
		.amdhsa_user_sgpr_count 2
		.amdhsa_user_sgpr_dispatch_ptr 0
		.amdhsa_user_sgpr_queue_ptr 0
		.amdhsa_user_sgpr_kernarg_segment_ptr 1
		.amdhsa_user_sgpr_dispatch_id 0
		.amdhsa_user_sgpr_kernarg_preload_length 0
		.amdhsa_user_sgpr_kernarg_preload_offset 0
		.amdhsa_user_sgpr_private_segment_size 0
		.amdhsa_uses_dynamic_stack 0
		.amdhsa_enable_private_segment 0
		.amdhsa_system_sgpr_workgroup_id_x 1
		.amdhsa_system_sgpr_workgroup_id_y 0
		.amdhsa_system_sgpr_workgroup_id_z 0
		.amdhsa_system_sgpr_workgroup_info 0
		.amdhsa_system_vgpr_workitem_id 0
		.amdhsa_next_free_vgpr 1
		.amdhsa_next_free_sgpr 0
		.amdhsa_accum_offset 4
		.amdhsa_reserve_vcc 0
		.amdhsa_float_round_mode_32 0
		.amdhsa_float_round_mode_16_64 0
		.amdhsa_float_denorm_mode_32 3
		.amdhsa_float_denorm_mode_16_64 3
		.amdhsa_dx10_clamp 1
		.amdhsa_ieee_mode 1
		.amdhsa_fp16_overflow 0
		.amdhsa_tg_split 0
		.amdhsa_exception_fp_ieee_invalid_op 0
		.amdhsa_exception_fp_denorm_src 0
		.amdhsa_exception_fp_ieee_div_zero 0
		.amdhsa_exception_fp_ieee_overflow 0
		.amdhsa_exception_fp_ieee_underflow 0
		.amdhsa_exception_fp_ieee_inexact 0
		.amdhsa_exception_int_div_zero 0
	.end_amdhsa_kernel
	.section	.text._ZN7rocprim17ROCPRIM_400000_NS6detail17trampoline_kernelINS0_14default_configENS1_38merge_sort_block_merge_config_selectorIbiEEZZNS1_27merge_sort_block_merge_implIS3_N6thrust23THRUST_200600_302600_NS6detail15normal_iteratorINS8_10device_ptrIbEEEENSA_INSB_IiEEEEjNS1_19radix_merge_compareILb0ELb0EbNS0_19identity_decomposerEEEEE10hipError_tT0_T1_T2_jT3_P12ihipStream_tbPNSt15iterator_traitsISK_E10value_typeEPNSQ_ISL_E10value_typeEPSM_NS1_7vsmem_tEENKUlT_SK_SL_SM_E_clISD_PbSF_PiEESJ_SZ_SK_SL_SM_EUlSZ_E_NS1_11comp_targetILNS1_3genE2ELNS1_11target_archE906ELNS1_3gpuE6ELNS1_3repE0EEENS1_48merge_mergepath_partition_config_static_selectorELNS0_4arch9wavefront6targetE1EEEvSL_,"axG",@progbits,_ZN7rocprim17ROCPRIM_400000_NS6detail17trampoline_kernelINS0_14default_configENS1_38merge_sort_block_merge_config_selectorIbiEEZZNS1_27merge_sort_block_merge_implIS3_N6thrust23THRUST_200600_302600_NS6detail15normal_iteratorINS8_10device_ptrIbEEEENSA_INSB_IiEEEEjNS1_19radix_merge_compareILb0ELb0EbNS0_19identity_decomposerEEEEE10hipError_tT0_T1_T2_jT3_P12ihipStream_tbPNSt15iterator_traitsISK_E10value_typeEPNSQ_ISL_E10value_typeEPSM_NS1_7vsmem_tEENKUlT_SK_SL_SM_E_clISD_PbSF_PiEESJ_SZ_SK_SL_SM_EUlSZ_E_NS1_11comp_targetILNS1_3genE2ELNS1_11target_archE906ELNS1_3gpuE6ELNS1_3repE0EEENS1_48merge_mergepath_partition_config_static_selectorELNS0_4arch9wavefront6targetE1EEEvSL_,comdat
.Lfunc_end1938:
	.size	_ZN7rocprim17ROCPRIM_400000_NS6detail17trampoline_kernelINS0_14default_configENS1_38merge_sort_block_merge_config_selectorIbiEEZZNS1_27merge_sort_block_merge_implIS3_N6thrust23THRUST_200600_302600_NS6detail15normal_iteratorINS8_10device_ptrIbEEEENSA_INSB_IiEEEEjNS1_19radix_merge_compareILb0ELb0EbNS0_19identity_decomposerEEEEE10hipError_tT0_T1_T2_jT3_P12ihipStream_tbPNSt15iterator_traitsISK_E10value_typeEPNSQ_ISL_E10value_typeEPSM_NS1_7vsmem_tEENKUlT_SK_SL_SM_E_clISD_PbSF_PiEESJ_SZ_SK_SL_SM_EUlSZ_E_NS1_11comp_targetILNS1_3genE2ELNS1_11target_archE906ELNS1_3gpuE6ELNS1_3repE0EEENS1_48merge_mergepath_partition_config_static_selectorELNS0_4arch9wavefront6targetE1EEEvSL_, .Lfunc_end1938-_ZN7rocprim17ROCPRIM_400000_NS6detail17trampoline_kernelINS0_14default_configENS1_38merge_sort_block_merge_config_selectorIbiEEZZNS1_27merge_sort_block_merge_implIS3_N6thrust23THRUST_200600_302600_NS6detail15normal_iteratorINS8_10device_ptrIbEEEENSA_INSB_IiEEEEjNS1_19radix_merge_compareILb0ELb0EbNS0_19identity_decomposerEEEEE10hipError_tT0_T1_T2_jT3_P12ihipStream_tbPNSt15iterator_traitsISK_E10value_typeEPNSQ_ISL_E10value_typeEPSM_NS1_7vsmem_tEENKUlT_SK_SL_SM_E_clISD_PbSF_PiEESJ_SZ_SK_SL_SM_EUlSZ_E_NS1_11comp_targetILNS1_3genE2ELNS1_11target_archE906ELNS1_3gpuE6ELNS1_3repE0EEENS1_48merge_mergepath_partition_config_static_selectorELNS0_4arch9wavefront6targetE1EEEvSL_
                                        ; -- End function
	.set _ZN7rocprim17ROCPRIM_400000_NS6detail17trampoline_kernelINS0_14default_configENS1_38merge_sort_block_merge_config_selectorIbiEEZZNS1_27merge_sort_block_merge_implIS3_N6thrust23THRUST_200600_302600_NS6detail15normal_iteratorINS8_10device_ptrIbEEEENSA_INSB_IiEEEEjNS1_19radix_merge_compareILb0ELb0EbNS0_19identity_decomposerEEEEE10hipError_tT0_T1_T2_jT3_P12ihipStream_tbPNSt15iterator_traitsISK_E10value_typeEPNSQ_ISL_E10value_typeEPSM_NS1_7vsmem_tEENKUlT_SK_SL_SM_E_clISD_PbSF_PiEESJ_SZ_SK_SL_SM_EUlSZ_E_NS1_11comp_targetILNS1_3genE2ELNS1_11target_archE906ELNS1_3gpuE6ELNS1_3repE0EEENS1_48merge_mergepath_partition_config_static_selectorELNS0_4arch9wavefront6targetE1EEEvSL_.num_vgpr, 0
	.set _ZN7rocprim17ROCPRIM_400000_NS6detail17trampoline_kernelINS0_14default_configENS1_38merge_sort_block_merge_config_selectorIbiEEZZNS1_27merge_sort_block_merge_implIS3_N6thrust23THRUST_200600_302600_NS6detail15normal_iteratorINS8_10device_ptrIbEEEENSA_INSB_IiEEEEjNS1_19radix_merge_compareILb0ELb0EbNS0_19identity_decomposerEEEEE10hipError_tT0_T1_T2_jT3_P12ihipStream_tbPNSt15iterator_traitsISK_E10value_typeEPNSQ_ISL_E10value_typeEPSM_NS1_7vsmem_tEENKUlT_SK_SL_SM_E_clISD_PbSF_PiEESJ_SZ_SK_SL_SM_EUlSZ_E_NS1_11comp_targetILNS1_3genE2ELNS1_11target_archE906ELNS1_3gpuE6ELNS1_3repE0EEENS1_48merge_mergepath_partition_config_static_selectorELNS0_4arch9wavefront6targetE1EEEvSL_.num_agpr, 0
	.set _ZN7rocprim17ROCPRIM_400000_NS6detail17trampoline_kernelINS0_14default_configENS1_38merge_sort_block_merge_config_selectorIbiEEZZNS1_27merge_sort_block_merge_implIS3_N6thrust23THRUST_200600_302600_NS6detail15normal_iteratorINS8_10device_ptrIbEEEENSA_INSB_IiEEEEjNS1_19radix_merge_compareILb0ELb0EbNS0_19identity_decomposerEEEEE10hipError_tT0_T1_T2_jT3_P12ihipStream_tbPNSt15iterator_traitsISK_E10value_typeEPNSQ_ISL_E10value_typeEPSM_NS1_7vsmem_tEENKUlT_SK_SL_SM_E_clISD_PbSF_PiEESJ_SZ_SK_SL_SM_EUlSZ_E_NS1_11comp_targetILNS1_3genE2ELNS1_11target_archE906ELNS1_3gpuE6ELNS1_3repE0EEENS1_48merge_mergepath_partition_config_static_selectorELNS0_4arch9wavefront6targetE1EEEvSL_.numbered_sgpr, 0
	.set _ZN7rocprim17ROCPRIM_400000_NS6detail17trampoline_kernelINS0_14default_configENS1_38merge_sort_block_merge_config_selectorIbiEEZZNS1_27merge_sort_block_merge_implIS3_N6thrust23THRUST_200600_302600_NS6detail15normal_iteratorINS8_10device_ptrIbEEEENSA_INSB_IiEEEEjNS1_19radix_merge_compareILb0ELb0EbNS0_19identity_decomposerEEEEE10hipError_tT0_T1_T2_jT3_P12ihipStream_tbPNSt15iterator_traitsISK_E10value_typeEPNSQ_ISL_E10value_typeEPSM_NS1_7vsmem_tEENKUlT_SK_SL_SM_E_clISD_PbSF_PiEESJ_SZ_SK_SL_SM_EUlSZ_E_NS1_11comp_targetILNS1_3genE2ELNS1_11target_archE906ELNS1_3gpuE6ELNS1_3repE0EEENS1_48merge_mergepath_partition_config_static_selectorELNS0_4arch9wavefront6targetE1EEEvSL_.num_named_barrier, 0
	.set _ZN7rocprim17ROCPRIM_400000_NS6detail17trampoline_kernelINS0_14default_configENS1_38merge_sort_block_merge_config_selectorIbiEEZZNS1_27merge_sort_block_merge_implIS3_N6thrust23THRUST_200600_302600_NS6detail15normal_iteratorINS8_10device_ptrIbEEEENSA_INSB_IiEEEEjNS1_19radix_merge_compareILb0ELb0EbNS0_19identity_decomposerEEEEE10hipError_tT0_T1_T2_jT3_P12ihipStream_tbPNSt15iterator_traitsISK_E10value_typeEPNSQ_ISL_E10value_typeEPSM_NS1_7vsmem_tEENKUlT_SK_SL_SM_E_clISD_PbSF_PiEESJ_SZ_SK_SL_SM_EUlSZ_E_NS1_11comp_targetILNS1_3genE2ELNS1_11target_archE906ELNS1_3gpuE6ELNS1_3repE0EEENS1_48merge_mergepath_partition_config_static_selectorELNS0_4arch9wavefront6targetE1EEEvSL_.private_seg_size, 0
	.set _ZN7rocprim17ROCPRIM_400000_NS6detail17trampoline_kernelINS0_14default_configENS1_38merge_sort_block_merge_config_selectorIbiEEZZNS1_27merge_sort_block_merge_implIS3_N6thrust23THRUST_200600_302600_NS6detail15normal_iteratorINS8_10device_ptrIbEEEENSA_INSB_IiEEEEjNS1_19radix_merge_compareILb0ELb0EbNS0_19identity_decomposerEEEEE10hipError_tT0_T1_T2_jT3_P12ihipStream_tbPNSt15iterator_traitsISK_E10value_typeEPNSQ_ISL_E10value_typeEPSM_NS1_7vsmem_tEENKUlT_SK_SL_SM_E_clISD_PbSF_PiEESJ_SZ_SK_SL_SM_EUlSZ_E_NS1_11comp_targetILNS1_3genE2ELNS1_11target_archE906ELNS1_3gpuE6ELNS1_3repE0EEENS1_48merge_mergepath_partition_config_static_selectorELNS0_4arch9wavefront6targetE1EEEvSL_.uses_vcc, 0
	.set _ZN7rocprim17ROCPRIM_400000_NS6detail17trampoline_kernelINS0_14default_configENS1_38merge_sort_block_merge_config_selectorIbiEEZZNS1_27merge_sort_block_merge_implIS3_N6thrust23THRUST_200600_302600_NS6detail15normal_iteratorINS8_10device_ptrIbEEEENSA_INSB_IiEEEEjNS1_19radix_merge_compareILb0ELb0EbNS0_19identity_decomposerEEEEE10hipError_tT0_T1_T2_jT3_P12ihipStream_tbPNSt15iterator_traitsISK_E10value_typeEPNSQ_ISL_E10value_typeEPSM_NS1_7vsmem_tEENKUlT_SK_SL_SM_E_clISD_PbSF_PiEESJ_SZ_SK_SL_SM_EUlSZ_E_NS1_11comp_targetILNS1_3genE2ELNS1_11target_archE906ELNS1_3gpuE6ELNS1_3repE0EEENS1_48merge_mergepath_partition_config_static_selectorELNS0_4arch9wavefront6targetE1EEEvSL_.uses_flat_scratch, 0
	.set _ZN7rocprim17ROCPRIM_400000_NS6detail17trampoline_kernelINS0_14default_configENS1_38merge_sort_block_merge_config_selectorIbiEEZZNS1_27merge_sort_block_merge_implIS3_N6thrust23THRUST_200600_302600_NS6detail15normal_iteratorINS8_10device_ptrIbEEEENSA_INSB_IiEEEEjNS1_19radix_merge_compareILb0ELb0EbNS0_19identity_decomposerEEEEE10hipError_tT0_T1_T2_jT3_P12ihipStream_tbPNSt15iterator_traitsISK_E10value_typeEPNSQ_ISL_E10value_typeEPSM_NS1_7vsmem_tEENKUlT_SK_SL_SM_E_clISD_PbSF_PiEESJ_SZ_SK_SL_SM_EUlSZ_E_NS1_11comp_targetILNS1_3genE2ELNS1_11target_archE906ELNS1_3gpuE6ELNS1_3repE0EEENS1_48merge_mergepath_partition_config_static_selectorELNS0_4arch9wavefront6targetE1EEEvSL_.has_dyn_sized_stack, 0
	.set _ZN7rocprim17ROCPRIM_400000_NS6detail17trampoline_kernelINS0_14default_configENS1_38merge_sort_block_merge_config_selectorIbiEEZZNS1_27merge_sort_block_merge_implIS3_N6thrust23THRUST_200600_302600_NS6detail15normal_iteratorINS8_10device_ptrIbEEEENSA_INSB_IiEEEEjNS1_19radix_merge_compareILb0ELb0EbNS0_19identity_decomposerEEEEE10hipError_tT0_T1_T2_jT3_P12ihipStream_tbPNSt15iterator_traitsISK_E10value_typeEPNSQ_ISL_E10value_typeEPSM_NS1_7vsmem_tEENKUlT_SK_SL_SM_E_clISD_PbSF_PiEESJ_SZ_SK_SL_SM_EUlSZ_E_NS1_11comp_targetILNS1_3genE2ELNS1_11target_archE906ELNS1_3gpuE6ELNS1_3repE0EEENS1_48merge_mergepath_partition_config_static_selectorELNS0_4arch9wavefront6targetE1EEEvSL_.has_recursion, 0
	.set _ZN7rocprim17ROCPRIM_400000_NS6detail17trampoline_kernelINS0_14default_configENS1_38merge_sort_block_merge_config_selectorIbiEEZZNS1_27merge_sort_block_merge_implIS3_N6thrust23THRUST_200600_302600_NS6detail15normal_iteratorINS8_10device_ptrIbEEEENSA_INSB_IiEEEEjNS1_19radix_merge_compareILb0ELb0EbNS0_19identity_decomposerEEEEE10hipError_tT0_T1_T2_jT3_P12ihipStream_tbPNSt15iterator_traitsISK_E10value_typeEPNSQ_ISL_E10value_typeEPSM_NS1_7vsmem_tEENKUlT_SK_SL_SM_E_clISD_PbSF_PiEESJ_SZ_SK_SL_SM_EUlSZ_E_NS1_11comp_targetILNS1_3genE2ELNS1_11target_archE906ELNS1_3gpuE6ELNS1_3repE0EEENS1_48merge_mergepath_partition_config_static_selectorELNS0_4arch9wavefront6targetE1EEEvSL_.has_indirect_call, 0
	.section	.AMDGPU.csdata,"",@progbits
; Kernel info:
; codeLenInByte = 0
; TotalNumSgprs: 6
; NumVgprs: 0
; NumAgprs: 0
; TotalNumVgprs: 0
; ScratchSize: 0
; MemoryBound: 0
; FloatMode: 240
; IeeeMode: 1
; LDSByteSize: 0 bytes/workgroup (compile time only)
; SGPRBlocks: 0
; VGPRBlocks: 0
; NumSGPRsForWavesPerEU: 6
; NumVGPRsForWavesPerEU: 1
; AccumOffset: 4
; Occupancy: 8
; WaveLimiterHint : 0
; COMPUTE_PGM_RSRC2:SCRATCH_EN: 0
; COMPUTE_PGM_RSRC2:USER_SGPR: 2
; COMPUTE_PGM_RSRC2:TRAP_HANDLER: 0
; COMPUTE_PGM_RSRC2:TGID_X_EN: 1
; COMPUTE_PGM_RSRC2:TGID_Y_EN: 0
; COMPUTE_PGM_RSRC2:TGID_Z_EN: 0
; COMPUTE_PGM_RSRC2:TIDIG_COMP_CNT: 0
; COMPUTE_PGM_RSRC3_GFX90A:ACCUM_OFFSET: 0
; COMPUTE_PGM_RSRC3_GFX90A:TG_SPLIT: 0
	.section	.text._ZN7rocprim17ROCPRIM_400000_NS6detail17trampoline_kernelINS0_14default_configENS1_38merge_sort_block_merge_config_selectorIbiEEZZNS1_27merge_sort_block_merge_implIS3_N6thrust23THRUST_200600_302600_NS6detail15normal_iteratorINS8_10device_ptrIbEEEENSA_INSB_IiEEEEjNS1_19radix_merge_compareILb0ELb0EbNS0_19identity_decomposerEEEEE10hipError_tT0_T1_T2_jT3_P12ihipStream_tbPNSt15iterator_traitsISK_E10value_typeEPNSQ_ISL_E10value_typeEPSM_NS1_7vsmem_tEENKUlT_SK_SL_SM_E_clISD_PbSF_PiEESJ_SZ_SK_SL_SM_EUlSZ_E_NS1_11comp_targetILNS1_3genE9ELNS1_11target_archE1100ELNS1_3gpuE3ELNS1_3repE0EEENS1_48merge_mergepath_partition_config_static_selectorELNS0_4arch9wavefront6targetE1EEEvSL_,"axG",@progbits,_ZN7rocprim17ROCPRIM_400000_NS6detail17trampoline_kernelINS0_14default_configENS1_38merge_sort_block_merge_config_selectorIbiEEZZNS1_27merge_sort_block_merge_implIS3_N6thrust23THRUST_200600_302600_NS6detail15normal_iteratorINS8_10device_ptrIbEEEENSA_INSB_IiEEEEjNS1_19radix_merge_compareILb0ELb0EbNS0_19identity_decomposerEEEEE10hipError_tT0_T1_T2_jT3_P12ihipStream_tbPNSt15iterator_traitsISK_E10value_typeEPNSQ_ISL_E10value_typeEPSM_NS1_7vsmem_tEENKUlT_SK_SL_SM_E_clISD_PbSF_PiEESJ_SZ_SK_SL_SM_EUlSZ_E_NS1_11comp_targetILNS1_3genE9ELNS1_11target_archE1100ELNS1_3gpuE3ELNS1_3repE0EEENS1_48merge_mergepath_partition_config_static_selectorELNS0_4arch9wavefront6targetE1EEEvSL_,comdat
	.protected	_ZN7rocprim17ROCPRIM_400000_NS6detail17trampoline_kernelINS0_14default_configENS1_38merge_sort_block_merge_config_selectorIbiEEZZNS1_27merge_sort_block_merge_implIS3_N6thrust23THRUST_200600_302600_NS6detail15normal_iteratorINS8_10device_ptrIbEEEENSA_INSB_IiEEEEjNS1_19radix_merge_compareILb0ELb0EbNS0_19identity_decomposerEEEEE10hipError_tT0_T1_T2_jT3_P12ihipStream_tbPNSt15iterator_traitsISK_E10value_typeEPNSQ_ISL_E10value_typeEPSM_NS1_7vsmem_tEENKUlT_SK_SL_SM_E_clISD_PbSF_PiEESJ_SZ_SK_SL_SM_EUlSZ_E_NS1_11comp_targetILNS1_3genE9ELNS1_11target_archE1100ELNS1_3gpuE3ELNS1_3repE0EEENS1_48merge_mergepath_partition_config_static_selectorELNS0_4arch9wavefront6targetE1EEEvSL_ ; -- Begin function _ZN7rocprim17ROCPRIM_400000_NS6detail17trampoline_kernelINS0_14default_configENS1_38merge_sort_block_merge_config_selectorIbiEEZZNS1_27merge_sort_block_merge_implIS3_N6thrust23THRUST_200600_302600_NS6detail15normal_iteratorINS8_10device_ptrIbEEEENSA_INSB_IiEEEEjNS1_19radix_merge_compareILb0ELb0EbNS0_19identity_decomposerEEEEE10hipError_tT0_T1_T2_jT3_P12ihipStream_tbPNSt15iterator_traitsISK_E10value_typeEPNSQ_ISL_E10value_typeEPSM_NS1_7vsmem_tEENKUlT_SK_SL_SM_E_clISD_PbSF_PiEESJ_SZ_SK_SL_SM_EUlSZ_E_NS1_11comp_targetILNS1_3genE9ELNS1_11target_archE1100ELNS1_3gpuE3ELNS1_3repE0EEENS1_48merge_mergepath_partition_config_static_selectorELNS0_4arch9wavefront6targetE1EEEvSL_
	.globl	_ZN7rocprim17ROCPRIM_400000_NS6detail17trampoline_kernelINS0_14default_configENS1_38merge_sort_block_merge_config_selectorIbiEEZZNS1_27merge_sort_block_merge_implIS3_N6thrust23THRUST_200600_302600_NS6detail15normal_iteratorINS8_10device_ptrIbEEEENSA_INSB_IiEEEEjNS1_19radix_merge_compareILb0ELb0EbNS0_19identity_decomposerEEEEE10hipError_tT0_T1_T2_jT3_P12ihipStream_tbPNSt15iterator_traitsISK_E10value_typeEPNSQ_ISL_E10value_typeEPSM_NS1_7vsmem_tEENKUlT_SK_SL_SM_E_clISD_PbSF_PiEESJ_SZ_SK_SL_SM_EUlSZ_E_NS1_11comp_targetILNS1_3genE9ELNS1_11target_archE1100ELNS1_3gpuE3ELNS1_3repE0EEENS1_48merge_mergepath_partition_config_static_selectorELNS0_4arch9wavefront6targetE1EEEvSL_
	.p2align	8
	.type	_ZN7rocprim17ROCPRIM_400000_NS6detail17trampoline_kernelINS0_14default_configENS1_38merge_sort_block_merge_config_selectorIbiEEZZNS1_27merge_sort_block_merge_implIS3_N6thrust23THRUST_200600_302600_NS6detail15normal_iteratorINS8_10device_ptrIbEEEENSA_INSB_IiEEEEjNS1_19radix_merge_compareILb0ELb0EbNS0_19identity_decomposerEEEEE10hipError_tT0_T1_T2_jT3_P12ihipStream_tbPNSt15iterator_traitsISK_E10value_typeEPNSQ_ISL_E10value_typeEPSM_NS1_7vsmem_tEENKUlT_SK_SL_SM_E_clISD_PbSF_PiEESJ_SZ_SK_SL_SM_EUlSZ_E_NS1_11comp_targetILNS1_3genE9ELNS1_11target_archE1100ELNS1_3gpuE3ELNS1_3repE0EEENS1_48merge_mergepath_partition_config_static_selectorELNS0_4arch9wavefront6targetE1EEEvSL_,@function
_ZN7rocprim17ROCPRIM_400000_NS6detail17trampoline_kernelINS0_14default_configENS1_38merge_sort_block_merge_config_selectorIbiEEZZNS1_27merge_sort_block_merge_implIS3_N6thrust23THRUST_200600_302600_NS6detail15normal_iteratorINS8_10device_ptrIbEEEENSA_INSB_IiEEEEjNS1_19radix_merge_compareILb0ELb0EbNS0_19identity_decomposerEEEEE10hipError_tT0_T1_T2_jT3_P12ihipStream_tbPNSt15iterator_traitsISK_E10value_typeEPNSQ_ISL_E10value_typeEPSM_NS1_7vsmem_tEENKUlT_SK_SL_SM_E_clISD_PbSF_PiEESJ_SZ_SK_SL_SM_EUlSZ_E_NS1_11comp_targetILNS1_3genE9ELNS1_11target_archE1100ELNS1_3gpuE3ELNS1_3repE0EEENS1_48merge_mergepath_partition_config_static_selectorELNS0_4arch9wavefront6targetE1EEEvSL_: ; @_ZN7rocprim17ROCPRIM_400000_NS6detail17trampoline_kernelINS0_14default_configENS1_38merge_sort_block_merge_config_selectorIbiEEZZNS1_27merge_sort_block_merge_implIS3_N6thrust23THRUST_200600_302600_NS6detail15normal_iteratorINS8_10device_ptrIbEEEENSA_INSB_IiEEEEjNS1_19radix_merge_compareILb0ELb0EbNS0_19identity_decomposerEEEEE10hipError_tT0_T1_T2_jT3_P12ihipStream_tbPNSt15iterator_traitsISK_E10value_typeEPNSQ_ISL_E10value_typeEPSM_NS1_7vsmem_tEENKUlT_SK_SL_SM_E_clISD_PbSF_PiEESJ_SZ_SK_SL_SM_EUlSZ_E_NS1_11comp_targetILNS1_3genE9ELNS1_11target_archE1100ELNS1_3gpuE3ELNS1_3repE0EEENS1_48merge_mergepath_partition_config_static_selectorELNS0_4arch9wavefront6targetE1EEEvSL_
; %bb.0:
	.section	.rodata,"a",@progbits
	.p2align	6, 0x0
	.amdhsa_kernel _ZN7rocprim17ROCPRIM_400000_NS6detail17trampoline_kernelINS0_14default_configENS1_38merge_sort_block_merge_config_selectorIbiEEZZNS1_27merge_sort_block_merge_implIS3_N6thrust23THRUST_200600_302600_NS6detail15normal_iteratorINS8_10device_ptrIbEEEENSA_INSB_IiEEEEjNS1_19radix_merge_compareILb0ELb0EbNS0_19identity_decomposerEEEEE10hipError_tT0_T1_T2_jT3_P12ihipStream_tbPNSt15iterator_traitsISK_E10value_typeEPNSQ_ISL_E10value_typeEPSM_NS1_7vsmem_tEENKUlT_SK_SL_SM_E_clISD_PbSF_PiEESJ_SZ_SK_SL_SM_EUlSZ_E_NS1_11comp_targetILNS1_3genE9ELNS1_11target_archE1100ELNS1_3gpuE3ELNS1_3repE0EEENS1_48merge_mergepath_partition_config_static_selectorELNS0_4arch9wavefront6targetE1EEEvSL_
		.amdhsa_group_segment_fixed_size 0
		.amdhsa_private_segment_fixed_size 0
		.amdhsa_kernarg_size 40
		.amdhsa_user_sgpr_count 2
		.amdhsa_user_sgpr_dispatch_ptr 0
		.amdhsa_user_sgpr_queue_ptr 0
		.amdhsa_user_sgpr_kernarg_segment_ptr 1
		.amdhsa_user_sgpr_dispatch_id 0
		.amdhsa_user_sgpr_kernarg_preload_length 0
		.amdhsa_user_sgpr_kernarg_preload_offset 0
		.amdhsa_user_sgpr_private_segment_size 0
		.amdhsa_uses_dynamic_stack 0
		.amdhsa_enable_private_segment 0
		.amdhsa_system_sgpr_workgroup_id_x 1
		.amdhsa_system_sgpr_workgroup_id_y 0
		.amdhsa_system_sgpr_workgroup_id_z 0
		.amdhsa_system_sgpr_workgroup_info 0
		.amdhsa_system_vgpr_workitem_id 0
		.amdhsa_next_free_vgpr 1
		.amdhsa_next_free_sgpr 0
		.amdhsa_accum_offset 4
		.amdhsa_reserve_vcc 0
		.amdhsa_float_round_mode_32 0
		.amdhsa_float_round_mode_16_64 0
		.amdhsa_float_denorm_mode_32 3
		.amdhsa_float_denorm_mode_16_64 3
		.amdhsa_dx10_clamp 1
		.amdhsa_ieee_mode 1
		.amdhsa_fp16_overflow 0
		.amdhsa_tg_split 0
		.amdhsa_exception_fp_ieee_invalid_op 0
		.amdhsa_exception_fp_denorm_src 0
		.amdhsa_exception_fp_ieee_div_zero 0
		.amdhsa_exception_fp_ieee_overflow 0
		.amdhsa_exception_fp_ieee_underflow 0
		.amdhsa_exception_fp_ieee_inexact 0
		.amdhsa_exception_int_div_zero 0
	.end_amdhsa_kernel
	.section	.text._ZN7rocprim17ROCPRIM_400000_NS6detail17trampoline_kernelINS0_14default_configENS1_38merge_sort_block_merge_config_selectorIbiEEZZNS1_27merge_sort_block_merge_implIS3_N6thrust23THRUST_200600_302600_NS6detail15normal_iteratorINS8_10device_ptrIbEEEENSA_INSB_IiEEEEjNS1_19radix_merge_compareILb0ELb0EbNS0_19identity_decomposerEEEEE10hipError_tT0_T1_T2_jT3_P12ihipStream_tbPNSt15iterator_traitsISK_E10value_typeEPNSQ_ISL_E10value_typeEPSM_NS1_7vsmem_tEENKUlT_SK_SL_SM_E_clISD_PbSF_PiEESJ_SZ_SK_SL_SM_EUlSZ_E_NS1_11comp_targetILNS1_3genE9ELNS1_11target_archE1100ELNS1_3gpuE3ELNS1_3repE0EEENS1_48merge_mergepath_partition_config_static_selectorELNS0_4arch9wavefront6targetE1EEEvSL_,"axG",@progbits,_ZN7rocprim17ROCPRIM_400000_NS6detail17trampoline_kernelINS0_14default_configENS1_38merge_sort_block_merge_config_selectorIbiEEZZNS1_27merge_sort_block_merge_implIS3_N6thrust23THRUST_200600_302600_NS6detail15normal_iteratorINS8_10device_ptrIbEEEENSA_INSB_IiEEEEjNS1_19radix_merge_compareILb0ELb0EbNS0_19identity_decomposerEEEEE10hipError_tT0_T1_T2_jT3_P12ihipStream_tbPNSt15iterator_traitsISK_E10value_typeEPNSQ_ISL_E10value_typeEPSM_NS1_7vsmem_tEENKUlT_SK_SL_SM_E_clISD_PbSF_PiEESJ_SZ_SK_SL_SM_EUlSZ_E_NS1_11comp_targetILNS1_3genE9ELNS1_11target_archE1100ELNS1_3gpuE3ELNS1_3repE0EEENS1_48merge_mergepath_partition_config_static_selectorELNS0_4arch9wavefront6targetE1EEEvSL_,comdat
.Lfunc_end1939:
	.size	_ZN7rocprim17ROCPRIM_400000_NS6detail17trampoline_kernelINS0_14default_configENS1_38merge_sort_block_merge_config_selectorIbiEEZZNS1_27merge_sort_block_merge_implIS3_N6thrust23THRUST_200600_302600_NS6detail15normal_iteratorINS8_10device_ptrIbEEEENSA_INSB_IiEEEEjNS1_19radix_merge_compareILb0ELb0EbNS0_19identity_decomposerEEEEE10hipError_tT0_T1_T2_jT3_P12ihipStream_tbPNSt15iterator_traitsISK_E10value_typeEPNSQ_ISL_E10value_typeEPSM_NS1_7vsmem_tEENKUlT_SK_SL_SM_E_clISD_PbSF_PiEESJ_SZ_SK_SL_SM_EUlSZ_E_NS1_11comp_targetILNS1_3genE9ELNS1_11target_archE1100ELNS1_3gpuE3ELNS1_3repE0EEENS1_48merge_mergepath_partition_config_static_selectorELNS0_4arch9wavefront6targetE1EEEvSL_, .Lfunc_end1939-_ZN7rocprim17ROCPRIM_400000_NS6detail17trampoline_kernelINS0_14default_configENS1_38merge_sort_block_merge_config_selectorIbiEEZZNS1_27merge_sort_block_merge_implIS3_N6thrust23THRUST_200600_302600_NS6detail15normal_iteratorINS8_10device_ptrIbEEEENSA_INSB_IiEEEEjNS1_19radix_merge_compareILb0ELb0EbNS0_19identity_decomposerEEEEE10hipError_tT0_T1_T2_jT3_P12ihipStream_tbPNSt15iterator_traitsISK_E10value_typeEPNSQ_ISL_E10value_typeEPSM_NS1_7vsmem_tEENKUlT_SK_SL_SM_E_clISD_PbSF_PiEESJ_SZ_SK_SL_SM_EUlSZ_E_NS1_11comp_targetILNS1_3genE9ELNS1_11target_archE1100ELNS1_3gpuE3ELNS1_3repE0EEENS1_48merge_mergepath_partition_config_static_selectorELNS0_4arch9wavefront6targetE1EEEvSL_
                                        ; -- End function
	.set _ZN7rocprim17ROCPRIM_400000_NS6detail17trampoline_kernelINS0_14default_configENS1_38merge_sort_block_merge_config_selectorIbiEEZZNS1_27merge_sort_block_merge_implIS3_N6thrust23THRUST_200600_302600_NS6detail15normal_iteratorINS8_10device_ptrIbEEEENSA_INSB_IiEEEEjNS1_19radix_merge_compareILb0ELb0EbNS0_19identity_decomposerEEEEE10hipError_tT0_T1_T2_jT3_P12ihipStream_tbPNSt15iterator_traitsISK_E10value_typeEPNSQ_ISL_E10value_typeEPSM_NS1_7vsmem_tEENKUlT_SK_SL_SM_E_clISD_PbSF_PiEESJ_SZ_SK_SL_SM_EUlSZ_E_NS1_11comp_targetILNS1_3genE9ELNS1_11target_archE1100ELNS1_3gpuE3ELNS1_3repE0EEENS1_48merge_mergepath_partition_config_static_selectorELNS0_4arch9wavefront6targetE1EEEvSL_.num_vgpr, 0
	.set _ZN7rocprim17ROCPRIM_400000_NS6detail17trampoline_kernelINS0_14default_configENS1_38merge_sort_block_merge_config_selectorIbiEEZZNS1_27merge_sort_block_merge_implIS3_N6thrust23THRUST_200600_302600_NS6detail15normal_iteratorINS8_10device_ptrIbEEEENSA_INSB_IiEEEEjNS1_19radix_merge_compareILb0ELb0EbNS0_19identity_decomposerEEEEE10hipError_tT0_T1_T2_jT3_P12ihipStream_tbPNSt15iterator_traitsISK_E10value_typeEPNSQ_ISL_E10value_typeEPSM_NS1_7vsmem_tEENKUlT_SK_SL_SM_E_clISD_PbSF_PiEESJ_SZ_SK_SL_SM_EUlSZ_E_NS1_11comp_targetILNS1_3genE9ELNS1_11target_archE1100ELNS1_3gpuE3ELNS1_3repE0EEENS1_48merge_mergepath_partition_config_static_selectorELNS0_4arch9wavefront6targetE1EEEvSL_.num_agpr, 0
	.set _ZN7rocprim17ROCPRIM_400000_NS6detail17trampoline_kernelINS0_14default_configENS1_38merge_sort_block_merge_config_selectorIbiEEZZNS1_27merge_sort_block_merge_implIS3_N6thrust23THRUST_200600_302600_NS6detail15normal_iteratorINS8_10device_ptrIbEEEENSA_INSB_IiEEEEjNS1_19radix_merge_compareILb0ELb0EbNS0_19identity_decomposerEEEEE10hipError_tT0_T1_T2_jT3_P12ihipStream_tbPNSt15iterator_traitsISK_E10value_typeEPNSQ_ISL_E10value_typeEPSM_NS1_7vsmem_tEENKUlT_SK_SL_SM_E_clISD_PbSF_PiEESJ_SZ_SK_SL_SM_EUlSZ_E_NS1_11comp_targetILNS1_3genE9ELNS1_11target_archE1100ELNS1_3gpuE3ELNS1_3repE0EEENS1_48merge_mergepath_partition_config_static_selectorELNS0_4arch9wavefront6targetE1EEEvSL_.numbered_sgpr, 0
	.set _ZN7rocprim17ROCPRIM_400000_NS6detail17trampoline_kernelINS0_14default_configENS1_38merge_sort_block_merge_config_selectorIbiEEZZNS1_27merge_sort_block_merge_implIS3_N6thrust23THRUST_200600_302600_NS6detail15normal_iteratorINS8_10device_ptrIbEEEENSA_INSB_IiEEEEjNS1_19radix_merge_compareILb0ELb0EbNS0_19identity_decomposerEEEEE10hipError_tT0_T1_T2_jT3_P12ihipStream_tbPNSt15iterator_traitsISK_E10value_typeEPNSQ_ISL_E10value_typeEPSM_NS1_7vsmem_tEENKUlT_SK_SL_SM_E_clISD_PbSF_PiEESJ_SZ_SK_SL_SM_EUlSZ_E_NS1_11comp_targetILNS1_3genE9ELNS1_11target_archE1100ELNS1_3gpuE3ELNS1_3repE0EEENS1_48merge_mergepath_partition_config_static_selectorELNS0_4arch9wavefront6targetE1EEEvSL_.num_named_barrier, 0
	.set _ZN7rocprim17ROCPRIM_400000_NS6detail17trampoline_kernelINS0_14default_configENS1_38merge_sort_block_merge_config_selectorIbiEEZZNS1_27merge_sort_block_merge_implIS3_N6thrust23THRUST_200600_302600_NS6detail15normal_iteratorINS8_10device_ptrIbEEEENSA_INSB_IiEEEEjNS1_19radix_merge_compareILb0ELb0EbNS0_19identity_decomposerEEEEE10hipError_tT0_T1_T2_jT3_P12ihipStream_tbPNSt15iterator_traitsISK_E10value_typeEPNSQ_ISL_E10value_typeEPSM_NS1_7vsmem_tEENKUlT_SK_SL_SM_E_clISD_PbSF_PiEESJ_SZ_SK_SL_SM_EUlSZ_E_NS1_11comp_targetILNS1_3genE9ELNS1_11target_archE1100ELNS1_3gpuE3ELNS1_3repE0EEENS1_48merge_mergepath_partition_config_static_selectorELNS0_4arch9wavefront6targetE1EEEvSL_.private_seg_size, 0
	.set _ZN7rocprim17ROCPRIM_400000_NS6detail17trampoline_kernelINS0_14default_configENS1_38merge_sort_block_merge_config_selectorIbiEEZZNS1_27merge_sort_block_merge_implIS3_N6thrust23THRUST_200600_302600_NS6detail15normal_iteratorINS8_10device_ptrIbEEEENSA_INSB_IiEEEEjNS1_19radix_merge_compareILb0ELb0EbNS0_19identity_decomposerEEEEE10hipError_tT0_T1_T2_jT3_P12ihipStream_tbPNSt15iterator_traitsISK_E10value_typeEPNSQ_ISL_E10value_typeEPSM_NS1_7vsmem_tEENKUlT_SK_SL_SM_E_clISD_PbSF_PiEESJ_SZ_SK_SL_SM_EUlSZ_E_NS1_11comp_targetILNS1_3genE9ELNS1_11target_archE1100ELNS1_3gpuE3ELNS1_3repE0EEENS1_48merge_mergepath_partition_config_static_selectorELNS0_4arch9wavefront6targetE1EEEvSL_.uses_vcc, 0
	.set _ZN7rocprim17ROCPRIM_400000_NS6detail17trampoline_kernelINS0_14default_configENS1_38merge_sort_block_merge_config_selectorIbiEEZZNS1_27merge_sort_block_merge_implIS3_N6thrust23THRUST_200600_302600_NS6detail15normal_iteratorINS8_10device_ptrIbEEEENSA_INSB_IiEEEEjNS1_19radix_merge_compareILb0ELb0EbNS0_19identity_decomposerEEEEE10hipError_tT0_T1_T2_jT3_P12ihipStream_tbPNSt15iterator_traitsISK_E10value_typeEPNSQ_ISL_E10value_typeEPSM_NS1_7vsmem_tEENKUlT_SK_SL_SM_E_clISD_PbSF_PiEESJ_SZ_SK_SL_SM_EUlSZ_E_NS1_11comp_targetILNS1_3genE9ELNS1_11target_archE1100ELNS1_3gpuE3ELNS1_3repE0EEENS1_48merge_mergepath_partition_config_static_selectorELNS0_4arch9wavefront6targetE1EEEvSL_.uses_flat_scratch, 0
	.set _ZN7rocprim17ROCPRIM_400000_NS6detail17trampoline_kernelINS0_14default_configENS1_38merge_sort_block_merge_config_selectorIbiEEZZNS1_27merge_sort_block_merge_implIS3_N6thrust23THRUST_200600_302600_NS6detail15normal_iteratorINS8_10device_ptrIbEEEENSA_INSB_IiEEEEjNS1_19radix_merge_compareILb0ELb0EbNS0_19identity_decomposerEEEEE10hipError_tT0_T1_T2_jT3_P12ihipStream_tbPNSt15iterator_traitsISK_E10value_typeEPNSQ_ISL_E10value_typeEPSM_NS1_7vsmem_tEENKUlT_SK_SL_SM_E_clISD_PbSF_PiEESJ_SZ_SK_SL_SM_EUlSZ_E_NS1_11comp_targetILNS1_3genE9ELNS1_11target_archE1100ELNS1_3gpuE3ELNS1_3repE0EEENS1_48merge_mergepath_partition_config_static_selectorELNS0_4arch9wavefront6targetE1EEEvSL_.has_dyn_sized_stack, 0
	.set _ZN7rocprim17ROCPRIM_400000_NS6detail17trampoline_kernelINS0_14default_configENS1_38merge_sort_block_merge_config_selectorIbiEEZZNS1_27merge_sort_block_merge_implIS3_N6thrust23THRUST_200600_302600_NS6detail15normal_iteratorINS8_10device_ptrIbEEEENSA_INSB_IiEEEEjNS1_19radix_merge_compareILb0ELb0EbNS0_19identity_decomposerEEEEE10hipError_tT0_T1_T2_jT3_P12ihipStream_tbPNSt15iterator_traitsISK_E10value_typeEPNSQ_ISL_E10value_typeEPSM_NS1_7vsmem_tEENKUlT_SK_SL_SM_E_clISD_PbSF_PiEESJ_SZ_SK_SL_SM_EUlSZ_E_NS1_11comp_targetILNS1_3genE9ELNS1_11target_archE1100ELNS1_3gpuE3ELNS1_3repE0EEENS1_48merge_mergepath_partition_config_static_selectorELNS0_4arch9wavefront6targetE1EEEvSL_.has_recursion, 0
	.set _ZN7rocprim17ROCPRIM_400000_NS6detail17trampoline_kernelINS0_14default_configENS1_38merge_sort_block_merge_config_selectorIbiEEZZNS1_27merge_sort_block_merge_implIS3_N6thrust23THRUST_200600_302600_NS6detail15normal_iteratorINS8_10device_ptrIbEEEENSA_INSB_IiEEEEjNS1_19radix_merge_compareILb0ELb0EbNS0_19identity_decomposerEEEEE10hipError_tT0_T1_T2_jT3_P12ihipStream_tbPNSt15iterator_traitsISK_E10value_typeEPNSQ_ISL_E10value_typeEPSM_NS1_7vsmem_tEENKUlT_SK_SL_SM_E_clISD_PbSF_PiEESJ_SZ_SK_SL_SM_EUlSZ_E_NS1_11comp_targetILNS1_3genE9ELNS1_11target_archE1100ELNS1_3gpuE3ELNS1_3repE0EEENS1_48merge_mergepath_partition_config_static_selectorELNS0_4arch9wavefront6targetE1EEEvSL_.has_indirect_call, 0
	.section	.AMDGPU.csdata,"",@progbits
; Kernel info:
; codeLenInByte = 0
; TotalNumSgprs: 6
; NumVgprs: 0
; NumAgprs: 0
; TotalNumVgprs: 0
; ScratchSize: 0
; MemoryBound: 0
; FloatMode: 240
; IeeeMode: 1
; LDSByteSize: 0 bytes/workgroup (compile time only)
; SGPRBlocks: 0
; VGPRBlocks: 0
; NumSGPRsForWavesPerEU: 6
; NumVGPRsForWavesPerEU: 1
; AccumOffset: 4
; Occupancy: 8
; WaveLimiterHint : 0
; COMPUTE_PGM_RSRC2:SCRATCH_EN: 0
; COMPUTE_PGM_RSRC2:USER_SGPR: 2
; COMPUTE_PGM_RSRC2:TRAP_HANDLER: 0
; COMPUTE_PGM_RSRC2:TGID_X_EN: 1
; COMPUTE_PGM_RSRC2:TGID_Y_EN: 0
; COMPUTE_PGM_RSRC2:TGID_Z_EN: 0
; COMPUTE_PGM_RSRC2:TIDIG_COMP_CNT: 0
; COMPUTE_PGM_RSRC3_GFX90A:ACCUM_OFFSET: 0
; COMPUTE_PGM_RSRC3_GFX90A:TG_SPLIT: 0
	.section	.text._ZN7rocprim17ROCPRIM_400000_NS6detail17trampoline_kernelINS0_14default_configENS1_38merge_sort_block_merge_config_selectorIbiEEZZNS1_27merge_sort_block_merge_implIS3_N6thrust23THRUST_200600_302600_NS6detail15normal_iteratorINS8_10device_ptrIbEEEENSA_INSB_IiEEEEjNS1_19radix_merge_compareILb0ELb0EbNS0_19identity_decomposerEEEEE10hipError_tT0_T1_T2_jT3_P12ihipStream_tbPNSt15iterator_traitsISK_E10value_typeEPNSQ_ISL_E10value_typeEPSM_NS1_7vsmem_tEENKUlT_SK_SL_SM_E_clISD_PbSF_PiEESJ_SZ_SK_SL_SM_EUlSZ_E_NS1_11comp_targetILNS1_3genE8ELNS1_11target_archE1030ELNS1_3gpuE2ELNS1_3repE0EEENS1_48merge_mergepath_partition_config_static_selectorELNS0_4arch9wavefront6targetE1EEEvSL_,"axG",@progbits,_ZN7rocprim17ROCPRIM_400000_NS6detail17trampoline_kernelINS0_14default_configENS1_38merge_sort_block_merge_config_selectorIbiEEZZNS1_27merge_sort_block_merge_implIS3_N6thrust23THRUST_200600_302600_NS6detail15normal_iteratorINS8_10device_ptrIbEEEENSA_INSB_IiEEEEjNS1_19radix_merge_compareILb0ELb0EbNS0_19identity_decomposerEEEEE10hipError_tT0_T1_T2_jT3_P12ihipStream_tbPNSt15iterator_traitsISK_E10value_typeEPNSQ_ISL_E10value_typeEPSM_NS1_7vsmem_tEENKUlT_SK_SL_SM_E_clISD_PbSF_PiEESJ_SZ_SK_SL_SM_EUlSZ_E_NS1_11comp_targetILNS1_3genE8ELNS1_11target_archE1030ELNS1_3gpuE2ELNS1_3repE0EEENS1_48merge_mergepath_partition_config_static_selectorELNS0_4arch9wavefront6targetE1EEEvSL_,comdat
	.protected	_ZN7rocprim17ROCPRIM_400000_NS6detail17trampoline_kernelINS0_14default_configENS1_38merge_sort_block_merge_config_selectorIbiEEZZNS1_27merge_sort_block_merge_implIS3_N6thrust23THRUST_200600_302600_NS6detail15normal_iteratorINS8_10device_ptrIbEEEENSA_INSB_IiEEEEjNS1_19radix_merge_compareILb0ELb0EbNS0_19identity_decomposerEEEEE10hipError_tT0_T1_T2_jT3_P12ihipStream_tbPNSt15iterator_traitsISK_E10value_typeEPNSQ_ISL_E10value_typeEPSM_NS1_7vsmem_tEENKUlT_SK_SL_SM_E_clISD_PbSF_PiEESJ_SZ_SK_SL_SM_EUlSZ_E_NS1_11comp_targetILNS1_3genE8ELNS1_11target_archE1030ELNS1_3gpuE2ELNS1_3repE0EEENS1_48merge_mergepath_partition_config_static_selectorELNS0_4arch9wavefront6targetE1EEEvSL_ ; -- Begin function _ZN7rocprim17ROCPRIM_400000_NS6detail17trampoline_kernelINS0_14default_configENS1_38merge_sort_block_merge_config_selectorIbiEEZZNS1_27merge_sort_block_merge_implIS3_N6thrust23THRUST_200600_302600_NS6detail15normal_iteratorINS8_10device_ptrIbEEEENSA_INSB_IiEEEEjNS1_19radix_merge_compareILb0ELb0EbNS0_19identity_decomposerEEEEE10hipError_tT0_T1_T2_jT3_P12ihipStream_tbPNSt15iterator_traitsISK_E10value_typeEPNSQ_ISL_E10value_typeEPSM_NS1_7vsmem_tEENKUlT_SK_SL_SM_E_clISD_PbSF_PiEESJ_SZ_SK_SL_SM_EUlSZ_E_NS1_11comp_targetILNS1_3genE8ELNS1_11target_archE1030ELNS1_3gpuE2ELNS1_3repE0EEENS1_48merge_mergepath_partition_config_static_selectorELNS0_4arch9wavefront6targetE1EEEvSL_
	.globl	_ZN7rocprim17ROCPRIM_400000_NS6detail17trampoline_kernelINS0_14default_configENS1_38merge_sort_block_merge_config_selectorIbiEEZZNS1_27merge_sort_block_merge_implIS3_N6thrust23THRUST_200600_302600_NS6detail15normal_iteratorINS8_10device_ptrIbEEEENSA_INSB_IiEEEEjNS1_19radix_merge_compareILb0ELb0EbNS0_19identity_decomposerEEEEE10hipError_tT0_T1_T2_jT3_P12ihipStream_tbPNSt15iterator_traitsISK_E10value_typeEPNSQ_ISL_E10value_typeEPSM_NS1_7vsmem_tEENKUlT_SK_SL_SM_E_clISD_PbSF_PiEESJ_SZ_SK_SL_SM_EUlSZ_E_NS1_11comp_targetILNS1_3genE8ELNS1_11target_archE1030ELNS1_3gpuE2ELNS1_3repE0EEENS1_48merge_mergepath_partition_config_static_selectorELNS0_4arch9wavefront6targetE1EEEvSL_
	.p2align	8
	.type	_ZN7rocprim17ROCPRIM_400000_NS6detail17trampoline_kernelINS0_14default_configENS1_38merge_sort_block_merge_config_selectorIbiEEZZNS1_27merge_sort_block_merge_implIS3_N6thrust23THRUST_200600_302600_NS6detail15normal_iteratorINS8_10device_ptrIbEEEENSA_INSB_IiEEEEjNS1_19radix_merge_compareILb0ELb0EbNS0_19identity_decomposerEEEEE10hipError_tT0_T1_T2_jT3_P12ihipStream_tbPNSt15iterator_traitsISK_E10value_typeEPNSQ_ISL_E10value_typeEPSM_NS1_7vsmem_tEENKUlT_SK_SL_SM_E_clISD_PbSF_PiEESJ_SZ_SK_SL_SM_EUlSZ_E_NS1_11comp_targetILNS1_3genE8ELNS1_11target_archE1030ELNS1_3gpuE2ELNS1_3repE0EEENS1_48merge_mergepath_partition_config_static_selectorELNS0_4arch9wavefront6targetE1EEEvSL_,@function
_ZN7rocprim17ROCPRIM_400000_NS6detail17trampoline_kernelINS0_14default_configENS1_38merge_sort_block_merge_config_selectorIbiEEZZNS1_27merge_sort_block_merge_implIS3_N6thrust23THRUST_200600_302600_NS6detail15normal_iteratorINS8_10device_ptrIbEEEENSA_INSB_IiEEEEjNS1_19radix_merge_compareILb0ELb0EbNS0_19identity_decomposerEEEEE10hipError_tT0_T1_T2_jT3_P12ihipStream_tbPNSt15iterator_traitsISK_E10value_typeEPNSQ_ISL_E10value_typeEPSM_NS1_7vsmem_tEENKUlT_SK_SL_SM_E_clISD_PbSF_PiEESJ_SZ_SK_SL_SM_EUlSZ_E_NS1_11comp_targetILNS1_3genE8ELNS1_11target_archE1030ELNS1_3gpuE2ELNS1_3repE0EEENS1_48merge_mergepath_partition_config_static_selectorELNS0_4arch9wavefront6targetE1EEEvSL_: ; @_ZN7rocprim17ROCPRIM_400000_NS6detail17trampoline_kernelINS0_14default_configENS1_38merge_sort_block_merge_config_selectorIbiEEZZNS1_27merge_sort_block_merge_implIS3_N6thrust23THRUST_200600_302600_NS6detail15normal_iteratorINS8_10device_ptrIbEEEENSA_INSB_IiEEEEjNS1_19radix_merge_compareILb0ELb0EbNS0_19identity_decomposerEEEEE10hipError_tT0_T1_T2_jT3_P12ihipStream_tbPNSt15iterator_traitsISK_E10value_typeEPNSQ_ISL_E10value_typeEPSM_NS1_7vsmem_tEENKUlT_SK_SL_SM_E_clISD_PbSF_PiEESJ_SZ_SK_SL_SM_EUlSZ_E_NS1_11comp_targetILNS1_3genE8ELNS1_11target_archE1030ELNS1_3gpuE2ELNS1_3repE0EEENS1_48merge_mergepath_partition_config_static_selectorELNS0_4arch9wavefront6targetE1EEEvSL_
; %bb.0:
	.section	.rodata,"a",@progbits
	.p2align	6, 0x0
	.amdhsa_kernel _ZN7rocprim17ROCPRIM_400000_NS6detail17trampoline_kernelINS0_14default_configENS1_38merge_sort_block_merge_config_selectorIbiEEZZNS1_27merge_sort_block_merge_implIS3_N6thrust23THRUST_200600_302600_NS6detail15normal_iteratorINS8_10device_ptrIbEEEENSA_INSB_IiEEEEjNS1_19radix_merge_compareILb0ELb0EbNS0_19identity_decomposerEEEEE10hipError_tT0_T1_T2_jT3_P12ihipStream_tbPNSt15iterator_traitsISK_E10value_typeEPNSQ_ISL_E10value_typeEPSM_NS1_7vsmem_tEENKUlT_SK_SL_SM_E_clISD_PbSF_PiEESJ_SZ_SK_SL_SM_EUlSZ_E_NS1_11comp_targetILNS1_3genE8ELNS1_11target_archE1030ELNS1_3gpuE2ELNS1_3repE0EEENS1_48merge_mergepath_partition_config_static_selectorELNS0_4arch9wavefront6targetE1EEEvSL_
		.amdhsa_group_segment_fixed_size 0
		.amdhsa_private_segment_fixed_size 0
		.amdhsa_kernarg_size 40
		.amdhsa_user_sgpr_count 2
		.amdhsa_user_sgpr_dispatch_ptr 0
		.amdhsa_user_sgpr_queue_ptr 0
		.amdhsa_user_sgpr_kernarg_segment_ptr 1
		.amdhsa_user_sgpr_dispatch_id 0
		.amdhsa_user_sgpr_kernarg_preload_length 0
		.amdhsa_user_sgpr_kernarg_preload_offset 0
		.amdhsa_user_sgpr_private_segment_size 0
		.amdhsa_uses_dynamic_stack 0
		.amdhsa_enable_private_segment 0
		.amdhsa_system_sgpr_workgroup_id_x 1
		.amdhsa_system_sgpr_workgroup_id_y 0
		.amdhsa_system_sgpr_workgroup_id_z 0
		.amdhsa_system_sgpr_workgroup_info 0
		.amdhsa_system_vgpr_workitem_id 0
		.amdhsa_next_free_vgpr 1
		.amdhsa_next_free_sgpr 0
		.amdhsa_accum_offset 4
		.amdhsa_reserve_vcc 0
		.amdhsa_float_round_mode_32 0
		.amdhsa_float_round_mode_16_64 0
		.amdhsa_float_denorm_mode_32 3
		.amdhsa_float_denorm_mode_16_64 3
		.amdhsa_dx10_clamp 1
		.amdhsa_ieee_mode 1
		.amdhsa_fp16_overflow 0
		.amdhsa_tg_split 0
		.amdhsa_exception_fp_ieee_invalid_op 0
		.amdhsa_exception_fp_denorm_src 0
		.amdhsa_exception_fp_ieee_div_zero 0
		.amdhsa_exception_fp_ieee_overflow 0
		.amdhsa_exception_fp_ieee_underflow 0
		.amdhsa_exception_fp_ieee_inexact 0
		.amdhsa_exception_int_div_zero 0
	.end_amdhsa_kernel
	.section	.text._ZN7rocprim17ROCPRIM_400000_NS6detail17trampoline_kernelINS0_14default_configENS1_38merge_sort_block_merge_config_selectorIbiEEZZNS1_27merge_sort_block_merge_implIS3_N6thrust23THRUST_200600_302600_NS6detail15normal_iteratorINS8_10device_ptrIbEEEENSA_INSB_IiEEEEjNS1_19radix_merge_compareILb0ELb0EbNS0_19identity_decomposerEEEEE10hipError_tT0_T1_T2_jT3_P12ihipStream_tbPNSt15iterator_traitsISK_E10value_typeEPNSQ_ISL_E10value_typeEPSM_NS1_7vsmem_tEENKUlT_SK_SL_SM_E_clISD_PbSF_PiEESJ_SZ_SK_SL_SM_EUlSZ_E_NS1_11comp_targetILNS1_3genE8ELNS1_11target_archE1030ELNS1_3gpuE2ELNS1_3repE0EEENS1_48merge_mergepath_partition_config_static_selectorELNS0_4arch9wavefront6targetE1EEEvSL_,"axG",@progbits,_ZN7rocprim17ROCPRIM_400000_NS6detail17trampoline_kernelINS0_14default_configENS1_38merge_sort_block_merge_config_selectorIbiEEZZNS1_27merge_sort_block_merge_implIS3_N6thrust23THRUST_200600_302600_NS6detail15normal_iteratorINS8_10device_ptrIbEEEENSA_INSB_IiEEEEjNS1_19radix_merge_compareILb0ELb0EbNS0_19identity_decomposerEEEEE10hipError_tT0_T1_T2_jT3_P12ihipStream_tbPNSt15iterator_traitsISK_E10value_typeEPNSQ_ISL_E10value_typeEPSM_NS1_7vsmem_tEENKUlT_SK_SL_SM_E_clISD_PbSF_PiEESJ_SZ_SK_SL_SM_EUlSZ_E_NS1_11comp_targetILNS1_3genE8ELNS1_11target_archE1030ELNS1_3gpuE2ELNS1_3repE0EEENS1_48merge_mergepath_partition_config_static_selectorELNS0_4arch9wavefront6targetE1EEEvSL_,comdat
.Lfunc_end1940:
	.size	_ZN7rocprim17ROCPRIM_400000_NS6detail17trampoline_kernelINS0_14default_configENS1_38merge_sort_block_merge_config_selectorIbiEEZZNS1_27merge_sort_block_merge_implIS3_N6thrust23THRUST_200600_302600_NS6detail15normal_iteratorINS8_10device_ptrIbEEEENSA_INSB_IiEEEEjNS1_19radix_merge_compareILb0ELb0EbNS0_19identity_decomposerEEEEE10hipError_tT0_T1_T2_jT3_P12ihipStream_tbPNSt15iterator_traitsISK_E10value_typeEPNSQ_ISL_E10value_typeEPSM_NS1_7vsmem_tEENKUlT_SK_SL_SM_E_clISD_PbSF_PiEESJ_SZ_SK_SL_SM_EUlSZ_E_NS1_11comp_targetILNS1_3genE8ELNS1_11target_archE1030ELNS1_3gpuE2ELNS1_3repE0EEENS1_48merge_mergepath_partition_config_static_selectorELNS0_4arch9wavefront6targetE1EEEvSL_, .Lfunc_end1940-_ZN7rocprim17ROCPRIM_400000_NS6detail17trampoline_kernelINS0_14default_configENS1_38merge_sort_block_merge_config_selectorIbiEEZZNS1_27merge_sort_block_merge_implIS3_N6thrust23THRUST_200600_302600_NS6detail15normal_iteratorINS8_10device_ptrIbEEEENSA_INSB_IiEEEEjNS1_19radix_merge_compareILb0ELb0EbNS0_19identity_decomposerEEEEE10hipError_tT0_T1_T2_jT3_P12ihipStream_tbPNSt15iterator_traitsISK_E10value_typeEPNSQ_ISL_E10value_typeEPSM_NS1_7vsmem_tEENKUlT_SK_SL_SM_E_clISD_PbSF_PiEESJ_SZ_SK_SL_SM_EUlSZ_E_NS1_11comp_targetILNS1_3genE8ELNS1_11target_archE1030ELNS1_3gpuE2ELNS1_3repE0EEENS1_48merge_mergepath_partition_config_static_selectorELNS0_4arch9wavefront6targetE1EEEvSL_
                                        ; -- End function
	.set _ZN7rocprim17ROCPRIM_400000_NS6detail17trampoline_kernelINS0_14default_configENS1_38merge_sort_block_merge_config_selectorIbiEEZZNS1_27merge_sort_block_merge_implIS3_N6thrust23THRUST_200600_302600_NS6detail15normal_iteratorINS8_10device_ptrIbEEEENSA_INSB_IiEEEEjNS1_19radix_merge_compareILb0ELb0EbNS0_19identity_decomposerEEEEE10hipError_tT0_T1_T2_jT3_P12ihipStream_tbPNSt15iterator_traitsISK_E10value_typeEPNSQ_ISL_E10value_typeEPSM_NS1_7vsmem_tEENKUlT_SK_SL_SM_E_clISD_PbSF_PiEESJ_SZ_SK_SL_SM_EUlSZ_E_NS1_11comp_targetILNS1_3genE8ELNS1_11target_archE1030ELNS1_3gpuE2ELNS1_3repE0EEENS1_48merge_mergepath_partition_config_static_selectorELNS0_4arch9wavefront6targetE1EEEvSL_.num_vgpr, 0
	.set _ZN7rocprim17ROCPRIM_400000_NS6detail17trampoline_kernelINS0_14default_configENS1_38merge_sort_block_merge_config_selectorIbiEEZZNS1_27merge_sort_block_merge_implIS3_N6thrust23THRUST_200600_302600_NS6detail15normal_iteratorINS8_10device_ptrIbEEEENSA_INSB_IiEEEEjNS1_19radix_merge_compareILb0ELb0EbNS0_19identity_decomposerEEEEE10hipError_tT0_T1_T2_jT3_P12ihipStream_tbPNSt15iterator_traitsISK_E10value_typeEPNSQ_ISL_E10value_typeEPSM_NS1_7vsmem_tEENKUlT_SK_SL_SM_E_clISD_PbSF_PiEESJ_SZ_SK_SL_SM_EUlSZ_E_NS1_11comp_targetILNS1_3genE8ELNS1_11target_archE1030ELNS1_3gpuE2ELNS1_3repE0EEENS1_48merge_mergepath_partition_config_static_selectorELNS0_4arch9wavefront6targetE1EEEvSL_.num_agpr, 0
	.set _ZN7rocprim17ROCPRIM_400000_NS6detail17trampoline_kernelINS0_14default_configENS1_38merge_sort_block_merge_config_selectorIbiEEZZNS1_27merge_sort_block_merge_implIS3_N6thrust23THRUST_200600_302600_NS6detail15normal_iteratorINS8_10device_ptrIbEEEENSA_INSB_IiEEEEjNS1_19radix_merge_compareILb0ELb0EbNS0_19identity_decomposerEEEEE10hipError_tT0_T1_T2_jT3_P12ihipStream_tbPNSt15iterator_traitsISK_E10value_typeEPNSQ_ISL_E10value_typeEPSM_NS1_7vsmem_tEENKUlT_SK_SL_SM_E_clISD_PbSF_PiEESJ_SZ_SK_SL_SM_EUlSZ_E_NS1_11comp_targetILNS1_3genE8ELNS1_11target_archE1030ELNS1_3gpuE2ELNS1_3repE0EEENS1_48merge_mergepath_partition_config_static_selectorELNS0_4arch9wavefront6targetE1EEEvSL_.numbered_sgpr, 0
	.set _ZN7rocprim17ROCPRIM_400000_NS6detail17trampoline_kernelINS0_14default_configENS1_38merge_sort_block_merge_config_selectorIbiEEZZNS1_27merge_sort_block_merge_implIS3_N6thrust23THRUST_200600_302600_NS6detail15normal_iteratorINS8_10device_ptrIbEEEENSA_INSB_IiEEEEjNS1_19radix_merge_compareILb0ELb0EbNS0_19identity_decomposerEEEEE10hipError_tT0_T1_T2_jT3_P12ihipStream_tbPNSt15iterator_traitsISK_E10value_typeEPNSQ_ISL_E10value_typeEPSM_NS1_7vsmem_tEENKUlT_SK_SL_SM_E_clISD_PbSF_PiEESJ_SZ_SK_SL_SM_EUlSZ_E_NS1_11comp_targetILNS1_3genE8ELNS1_11target_archE1030ELNS1_3gpuE2ELNS1_3repE0EEENS1_48merge_mergepath_partition_config_static_selectorELNS0_4arch9wavefront6targetE1EEEvSL_.num_named_barrier, 0
	.set _ZN7rocprim17ROCPRIM_400000_NS6detail17trampoline_kernelINS0_14default_configENS1_38merge_sort_block_merge_config_selectorIbiEEZZNS1_27merge_sort_block_merge_implIS3_N6thrust23THRUST_200600_302600_NS6detail15normal_iteratorINS8_10device_ptrIbEEEENSA_INSB_IiEEEEjNS1_19radix_merge_compareILb0ELb0EbNS0_19identity_decomposerEEEEE10hipError_tT0_T1_T2_jT3_P12ihipStream_tbPNSt15iterator_traitsISK_E10value_typeEPNSQ_ISL_E10value_typeEPSM_NS1_7vsmem_tEENKUlT_SK_SL_SM_E_clISD_PbSF_PiEESJ_SZ_SK_SL_SM_EUlSZ_E_NS1_11comp_targetILNS1_3genE8ELNS1_11target_archE1030ELNS1_3gpuE2ELNS1_3repE0EEENS1_48merge_mergepath_partition_config_static_selectorELNS0_4arch9wavefront6targetE1EEEvSL_.private_seg_size, 0
	.set _ZN7rocprim17ROCPRIM_400000_NS6detail17trampoline_kernelINS0_14default_configENS1_38merge_sort_block_merge_config_selectorIbiEEZZNS1_27merge_sort_block_merge_implIS3_N6thrust23THRUST_200600_302600_NS6detail15normal_iteratorINS8_10device_ptrIbEEEENSA_INSB_IiEEEEjNS1_19radix_merge_compareILb0ELb0EbNS0_19identity_decomposerEEEEE10hipError_tT0_T1_T2_jT3_P12ihipStream_tbPNSt15iterator_traitsISK_E10value_typeEPNSQ_ISL_E10value_typeEPSM_NS1_7vsmem_tEENKUlT_SK_SL_SM_E_clISD_PbSF_PiEESJ_SZ_SK_SL_SM_EUlSZ_E_NS1_11comp_targetILNS1_3genE8ELNS1_11target_archE1030ELNS1_3gpuE2ELNS1_3repE0EEENS1_48merge_mergepath_partition_config_static_selectorELNS0_4arch9wavefront6targetE1EEEvSL_.uses_vcc, 0
	.set _ZN7rocprim17ROCPRIM_400000_NS6detail17trampoline_kernelINS0_14default_configENS1_38merge_sort_block_merge_config_selectorIbiEEZZNS1_27merge_sort_block_merge_implIS3_N6thrust23THRUST_200600_302600_NS6detail15normal_iteratorINS8_10device_ptrIbEEEENSA_INSB_IiEEEEjNS1_19radix_merge_compareILb0ELb0EbNS0_19identity_decomposerEEEEE10hipError_tT0_T1_T2_jT3_P12ihipStream_tbPNSt15iterator_traitsISK_E10value_typeEPNSQ_ISL_E10value_typeEPSM_NS1_7vsmem_tEENKUlT_SK_SL_SM_E_clISD_PbSF_PiEESJ_SZ_SK_SL_SM_EUlSZ_E_NS1_11comp_targetILNS1_3genE8ELNS1_11target_archE1030ELNS1_3gpuE2ELNS1_3repE0EEENS1_48merge_mergepath_partition_config_static_selectorELNS0_4arch9wavefront6targetE1EEEvSL_.uses_flat_scratch, 0
	.set _ZN7rocprim17ROCPRIM_400000_NS6detail17trampoline_kernelINS0_14default_configENS1_38merge_sort_block_merge_config_selectorIbiEEZZNS1_27merge_sort_block_merge_implIS3_N6thrust23THRUST_200600_302600_NS6detail15normal_iteratorINS8_10device_ptrIbEEEENSA_INSB_IiEEEEjNS1_19radix_merge_compareILb0ELb0EbNS0_19identity_decomposerEEEEE10hipError_tT0_T1_T2_jT3_P12ihipStream_tbPNSt15iterator_traitsISK_E10value_typeEPNSQ_ISL_E10value_typeEPSM_NS1_7vsmem_tEENKUlT_SK_SL_SM_E_clISD_PbSF_PiEESJ_SZ_SK_SL_SM_EUlSZ_E_NS1_11comp_targetILNS1_3genE8ELNS1_11target_archE1030ELNS1_3gpuE2ELNS1_3repE0EEENS1_48merge_mergepath_partition_config_static_selectorELNS0_4arch9wavefront6targetE1EEEvSL_.has_dyn_sized_stack, 0
	.set _ZN7rocprim17ROCPRIM_400000_NS6detail17trampoline_kernelINS0_14default_configENS1_38merge_sort_block_merge_config_selectorIbiEEZZNS1_27merge_sort_block_merge_implIS3_N6thrust23THRUST_200600_302600_NS6detail15normal_iteratorINS8_10device_ptrIbEEEENSA_INSB_IiEEEEjNS1_19radix_merge_compareILb0ELb0EbNS0_19identity_decomposerEEEEE10hipError_tT0_T1_T2_jT3_P12ihipStream_tbPNSt15iterator_traitsISK_E10value_typeEPNSQ_ISL_E10value_typeEPSM_NS1_7vsmem_tEENKUlT_SK_SL_SM_E_clISD_PbSF_PiEESJ_SZ_SK_SL_SM_EUlSZ_E_NS1_11comp_targetILNS1_3genE8ELNS1_11target_archE1030ELNS1_3gpuE2ELNS1_3repE0EEENS1_48merge_mergepath_partition_config_static_selectorELNS0_4arch9wavefront6targetE1EEEvSL_.has_recursion, 0
	.set _ZN7rocprim17ROCPRIM_400000_NS6detail17trampoline_kernelINS0_14default_configENS1_38merge_sort_block_merge_config_selectorIbiEEZZNS1_27merge_sort_block_merge_implIS3_N6thrust23THRUST_200600_302600_NS6detail15normal_iteratorINS8_10device_ptrIbEEEENSA_INSB_IiEEEEjNS1_19radix_merge_compareILb0ELb0EbNS0_19identity_decomposerEEEEE10hipError_tT0_T1_T2_jT3_P12ihipStream_tbPNSt15iterator_traitsISK_E10value_typeEPNSQ_ISL_E10value_typeEPSM_NS1_7vsmem_tEENKUlT_SK_SL_SM_E_clISD_PbSF_PiEESJ_SZ_SK_SL_SM_EUlSZ_E_NS1_11comp_targetILNS1_3genE8ELNS1_11target_archE1030ELNS1_3gpuE2ELNS1_3repE0EEENS1_48merge_mergepath_partition_config_static_selectorELNS0_4arch9wavefront6targetE1EEEvSL_.has_indirect_call, 0
	.section	.AMDGPU.csdata,"",@progbits
; Kernel info:
; codeLenInByte = 0
; TotalNumSgprs: 6
; NumVgprs: 0
; NumAgprs: 0
; TotalNumVgprs: 0
; ScratchSize: 0
; MemoryBound: 0
; FloatMode: 240
; IeeeMode: 1
; LDSByteSize: 0 bytes/workgroup (compile time only)
; SGPRBlocks: 0
; VGPRBlocks: 0
; NumSGPRsForWavesPerEU: 6
; NumVGPRsForWavesPerEU: 1
; AccumOffset: 4
; Occupancy: 8
; WaveLimiterHint : 0
; COMPUTE_PGM_RSRC2:SCRATCH_EN: 0
; COMPUTE_PGM_RSRC2:USER_SGPR: 2
; COMPUTE_PGM_RSRC2:TRAP_HANDLER: 0
; COMPUTE_PGM_RSRC2:TGID_X_EN: 1
; COMPUTE_PGM_RSRC2:TGID_Y_EN: 0
; COMPUTE_PGM_RSRC2:TGID_Z_EN: 0
; COMPUTE_PGM_RSRC2:TIDIG_COMP_CNT: 0
; COMPUTE_PGM_RSRC3_GFX90A:ACCUM_OFFSET: 0
; COMPUTE_PGM_RSRC3_GFX90A:TG_SPLIT: 0
	.section	.text._ZN7rocprim17ROCPRIM_400000_NS6detail17trampoline_kernelINS0_14default_configENS1_38merge_sort_block_merge_config_selectorIbiEEZZNS1_27merge_sort_block_merge_implIS3_N6thrust23THRUST_200600_302600_NS6detail15normal_iteratorINS8_10device_ptrIbEEEENSA_INSB_IiEEEEjNS1_19radix_merge_compareILb0ELb0EbNS0_19identity_decomposerEEEEE10hipError_tT0_T1_T2_jT3_P12ihipStream_tbPNSt15iterator_traitsISK_E10value_typeEPNSQ_ISL_E10value_typeEPSM_NS1_7vsmem_tEENKUlT_SK_SL_SM_E_clISD_PbSF_PiEESJ_SZ_SK_SL_SM_EUlSZ_E0_NS1_11comp_targetILNS1_3genE0ELNS1_11target_archE4294967295ELNS1_3gpuE0ELNS1_3repE0EEENS1_38merge_mergepath_config_static_selectorELNS0_4arch9wavefront6targetE1EEEvSL_,"axG",@progbits,_ZN7rocprim17ROCPRIM_400000_NS6detail17trampoline_kernelINS0_14default_configENS1_38merge_sort_block_merge_config_selectorIbiEEZZNS1_27merge_sort_block_merge_implIS3_N6thrust23THRUST_200600_302600_NS6detail15normal_iteratorINS8_10device_ptrIbEEEENSA_INSB_IiEEEEjNS1_19radix_merge_compareILb0ELb0EbNS0_19identity_decomposerEEEEE10hipError_tT0_T1_T2_jT3_P12ihipStream_tbPNSt15iterator_traitsISK_E10value_typeEPNSQ_ISL_E10value_typeEPSM_NS1_7vsmem_tEENKUlT_SK_SL_SM_E_clISD_PbSF_PiEESJ_SZ_SK_SL_SM_EUlSZ_E0_NS1_11comp_targetILNS1_3genE0ELNS1_11target_archE4294967295ELNS1_3gpuE0ELNS1_3repE0EEENS1_38merge_mergepath_config_static_selectorELNS0_4arch9wavefront6targetE1EEEvSL_,comdat
	.protected	_ZN7rocprim17ROCPRIM_400000_NS6detail17trampoline_kernelINS0_14default_configENS1_38merge_sort_block_merge_config_selectorIbiEEZZNS1_27merge_sort_block_merge_implIS3_N6thrust23THRUST_200600_302600_NS6detail15normal_iteratorINS8_10device_ptrIbEEEENSA_INSB_IiEEEEjNS1_19radix_merge_compareILb0ELb0EbNS0_19identity_decomposerEEEEE10hipError_tT0_T1_T2_jT3_P12ihipStream_tbPNSt15iterator_traitsISK_E10value_typeEPNSQ_ISL_E10value_typeEPSM_NS1_7vsmem_tEENKUlT_SK_SL_SM_E_clISD_PbSF_PiEESJ_SZ_SK_SL_SM_EUlSZ_E0_NS1_11comp_targetILNS1_3genE0ELNS1_11target_archE4294967295ELNS1_3gpuE0ELNS1_3repE0EEENS1_38merge_mergepath_config_static_selectorELNS0_4arch9wavefront6targetE1EEEvSL_ ; -- Begin function _ZN7rocprim17ROCPRIM_400000_NS6detail17trampoline_kernelINS0_14default_configENS1_38merge_sort_block_merge_config_selectorIbiEEZZNS1_27merge_sort_block_merge_implIS3_N6thrust23THRUST_200600_302600_NS6detail15normal_iteratorINS8_10device_ptrIbEEEENSA_INSB_IiEEEEjNS1_19radix_merge_compareILb0ELb0EbNS0_19identity_decomposerEEEEE10hipError_tT0_T1_T2_jT3_P12ihipStream_tbPNSt15iterator_traitsISK_E10value_typeEPNSQ_ISL_E10value_typeEPSM_NS1_7vsmem_tEENKUlT_SK_SL_SM_E_clISD_PbSF_PiEESJ_SZ_SK_SL_SM_EUlSZ_E0_NS1_11comp_targetILNS1_3genE0ELNS1_11target_archE4294967295ELNS1_3gpuE0ELNS1_3repE0EEENS1_38merge_mergepath_config_static_selectorELNS0_4arch9wavefront6targetE1EEEvSL_
	.globl	_ZN7rocprim17ROCPRIM_400000_NS6detail17trampoline_kernelINS0_14default_configENS1_38merge_sort_block_merge_config_selectorIbiEEZZNS1_27merge_sort_block_merge_implIS3_N6thrust23THRUST_200600_302600_NS6detail15normal_iteratorINS8_10device_ptrIbEEEENSA_INSB_IiEEEEjNS1_19radix_merge_compareILb0ELb0EbNS0_19identity_decomposerEEEEE10hipError_tT0_T1_T2_jT3_P12ihipStream_tbPNSt15iterator_traitsISK_E10value_typeEPNSQ_ISL_E10value_typeEPSM_NS1_7vsmem_tEENKUlT_SK_SL_SM_E_clISD_PbSF_PiEESJ_SZ_SK_SL_SM_EUlSZ_E0_NS1_11comp_targetILNS1_3genE0ELNS1_11target_archE4294967295ELNS1_3gpuE0ELNS1_3repE0EEENS1_38merge_mergepath_config_static_selectorELNS0_4arch9wavefront6targetE1EEEvSL_
	.p2align	8
	.type	_ZN7rocprim17ROCPRIM_400000_NS6detail17trampoline_kernelINS0_14default_configENS1_38merge_sort_block_merge_config_selectorIbiEEZZNS1_27merge_sort_block_merge_implIS3_N6thrust23THRUST_200600_302600_NS6detail15normal_iteratorINS8_10device_ptrIbEEEENSA_INSB_IiEEEEjNS1_19radix_merge_compareILb0ELb0EbNS0_19identity_decomposerEEEEE10hipError_tT0_T1_T2_jT3_P12ihipStream_tbPNSt15iterator_traitsISK_E10value_typeEPNSQ_ISL_E10value_typeEPSM_NS1_7vsmem_tEENKUlT_SK_SL_SM_E_clISD_PbSF_PiEESJ_SZ_SK_SL_SM_EUlSZ_E0_NS1_11comp_targetILNS1_3genE0ELNS1_11target_archE4294967295ELNS1_3gpuE0ELNS1_3repE0EEENS1_38merge_mergepath_config_static_selectorELNS0_4arch9wavefront6targetE1EEEvSL_,@function
_ZN7rocprim17ROCPRIM_400000_NS6detail17trampoline_kernelINS0_14default_configENS1_38merge_sort_block_merge_config_selectorIbiEEZZNS1_27merge_sort_block_merge_implIS3_N6thrust23THRUST_200600_302600_NS6detail15normal_iteratorINS8_10device_ptrIbEEEENSA_INSB_IiEEEEjNS1_19radix_merge_compareILb0ELb0EbNS0_19identity_decomposerEEEEE10hipError_tT0_T1_T2_jT3_P12ihipStream_tbPNSt15iterator_traitsISK_E10value_typeEPNSQ_ISL_E10value_typeEPSM_NS1_7vsmem_tEENKUlT_SK_SL_SM_E_clISD_PbSF_PiEESJ_SZ_SK_SL_SM_EUlSZ_E0_NS1_11comp_targetILNS1_3genE0ELNS1_11target_archE4294967295ELNS1_3gpuE0ELNS1_3repE0EEENS1_38merge_mergepath_config_static_selectorELNS0_4arch9wavefront6targetE1EEEvSL_: ; @_ZN7rocprim17ROCPRIM_400000_NS6detail17trampoline_kernelINS0_14default_configENS1_38merge_sort_block_merge_config_selectorIbiEEZZNS1_27merge_sort_block_merge_implIS3_N6thrust23THRUST_200600_302600_NS6detail15normal_iteratorINS8_10device_ptrIbEEEENSA_INSB_IiEEEEjNS1_19radix_merge_compareILb0ELb0EbNS0_19identity_decomposerEEEEE10hipError_tT0_T1_T2_jT3_P12ihipStream_tbPNSt15iterator_traitsISK_E10value_typeEPNSQ_ISL_E10value_typeEPSM_NS1_7vsmem_tEENKUlT_SK_SL_SM_E_clISD_PbSF_PiEESJ_SZ_SK_SL_SM_EUlSZ_E0_NS1_11comp_targetILNS1_3genE0ELNS1_11target_archE4294967295ELNS1_3gpuE0ELNS1_3repE0EEENS1_38merge_mergepath_config_static_selectorELNS0_4arch9wavefront6targetE1EEEvSL_
; %bb.0:
	s_load_dwordx2 s[26:27], s[0:1], 0x40
	s_load_dword s5, s[0:1], 0x30
	s_add_u32 s24, s0, 64
	s_addc_u32 s25, s1, 0
	s_waitcnt lgkmcnt(0)
	s_mul_i32 s4, s27, s4
	s_add_i32 s3, s4, s3
	s_mul_i32 s3, s3, s26
	s_add_i32 s22, s3, s2
	s_cmp_ge_u32 s22, s5
	s_cbranch_scc1 .LBB1941_46
; %bb.1:
	s_load_dwordx8 s[8:15], s[0:1], 0x10
	s_load_dwordx2 s[20:21], s[0:1], 0x8
	s_load_dwordx2 s[4:5], s[0:1], 0x38
	s_mov_b32 s23, 0
	v_mov_b32_e32 v3, 0
	s_waitcnt lgkmcnt(0)
	s_lshr_b32 s27, s14, 10
	s_cmp_lg_u32 s22, s27
	s_cselect_b64 s[16:17], -1, 0
	s_lshl_b64 s[0:1], s[22:23], 2
	s_add_u32 s4, s4, s0
	s_addc_u32 s5, s5, s1
	s_lshr_b32 s3, s15, 9
	s_and_b32 s3, s3, 0x7ffffe
	s_load_dwordx2 s[0:1], s[4:5], 0x0
	s_sub_i32 s3, 0, s3
	s_and_b32 s4, s22, s3
	s_lshl_b32 s5, s4, 10
	s_lshl_b32 s6, s22, 10
	;; [unrolled: 1-line block ×3, first 2 shown]
	s_sub_i32 s7, s6, s5
	s_add_i32 s18, s4, s15
	s_add_i32 s7, s18, s7
	s_waitcnt lgkmcnt(0)
	s_sub_i32 s4, s7, s0
	s_sub_i32 s7, s7, s1
	;; [unrolled: 1-line block ×3, first 2 shown]
	s_min_u32 s4, s14, s4
	s_addk_i32 s7, 0x400
	s_or_b32 s3, s22, s3
	s_min_u32 s18, s14, s5
	s_add_i32 s5, s5, s15
	s_cmp_eq_u32 s3, -1
	s_cselect_b32 s3, s5, s7
	s_cselect_b32 s1, s18, s1
	s_min_u32 s15, s3, s14
	s_sub_i32 s7, s1, s0
	s_add_u32 s18, s20, s0
	s_addc_u32 s19, s21, 0
	s_add_u32 s20, s20, s4
	s_addc_u32 s21, s21, 0
	s_cmp_lt_u32 s2, s26
	s_cselect_b32 s1, 12, 18
	global_load_dword v1, v3, s[24:25] offset:14
	s_add_u32 s2, s24, s1
	s_addc_u32 s3, s25, 0
	global_load_ushort v2, v3, s[2:3]
	s_mov_b32 s1, s23
	s_mov_b32 s5, s23
	s_cmp_eq_u32 s22, s27
	s_waitcnt vmcnt(1)
	v_lshrrev_b32_e32 v4, 16, v1
	v_and_b32_e32 v1, 0xffff, v1
	v_mul_lo_u32 v1, v1, v4
	s_waitcnt vmcnt(0)
	v_mul_lo_u32 v13, v1, v2
	v_add_u32_e32 v10, v13, v0
	v_add_u32_e32 v8, v10, v13
	s_cbranch_scc1 .LBB1941_3
; %bb.2:
	v_mov_b32_e32 v1, v3
	v_subrev_co_u32_e32 v2, vcc, s7, v0
	v_lshl_add_u64 v[4:5], s[18:19], 0, v[0:1]
	v_lshl_add_u64 v[6:7], s[20:21], 0, v[2:3]
	v_cndmask_b32_e32 v5, v7, v5, vcc
	v_cndmask_b32_e32 v4, v6, v4, vcc
	v_mov_b32_e32 v11, v3
	v_subrev_co_u32_e32 v2, vcc, s7, v10
	v_lshl_add_u64 v[6:7], s[18:19], 0, v[10:11]
	v_lshl_add_u64 v[14:15], s[20:21], 0, v[2:3]
	v_cndmask_b32_e32 v7, v15, v7, vcc
	v_cndmask_b32_e32 v6, v14, v6, vcc
	;; [unrolled: 6-line block ×3, first 2 shown]
	global_load_ubyte v1, v[4:5], off
	global_load_ubyte v9, v[6:7], off
	;; [unrolled: 1-line block ×3, first 2 shown]
	s_mov_b32 s2, 0xc0c0004
	v_add_u32_e32 v2, v8, v13
	s_waitcnt vmcnt(1)
	v_perm_b32 v1, v1, v9, s2
	s_waitcnt vmcnt(0)
	v_lshl_or_b32 v14, v11, 16, v1
	s_mov_b64 s[2:3], -1
	s_sub_i32 s15, s15, s4
	s_cbranch_execz .LBB1941_4
	s_branch .LBB1941_9
.LBB1941_3:
	s_mov_b64 s[2:3], 0
                                        ; implicit-def: $vgpr2
                                        ; implicit-def: $vgpr14
	s_sub_i32 s15, s15, s4
.LBB1941_4:
	s_add_i32 s22, s15, s7
	v_cmp_gt_u32_e32 vcc, s22, v0
	v_mov_b32_e32 v14, 0
	s_and_saveexec_b64 s[2:3], vcc
	s_cbranch_execnz .LBB1941_47
; %bb.5:
	s_or_b64 exec, exec, s[2:3]
	v_cmp_gt_u32_e32 vcc, s22, v10
	s_and_saveexec_b64 s[2:3], vcc
	s_cbranch_execnz .LBB1941_48
.LBB1941_6:
	s_or_b64 exec, exec, s[2:3]
	v_cmp_gt_u32_e32 vcc, s22, v8
	s_and_saveexec_b64 s[2:3], vcc
	s_cbranch_execz .LBB1941_8
.LBB1941_7:
	v_mov_b32_e32 v9, 0
	v_subrev_co_u32_e32 v4, vcc, s7, v8
	v_mov_b32_e32 v5, v9
	v_lshl_add_u64 v[2:3], s[18:19], 0, v[8:9]
	v_lshl_add_u64 v[4:5], s[20:21], 0, v[4:5]
	v_cndmask_b32_e32 v3, v5, v3, vcc
	v_cndmask_b32_e32 v2, v4, v2, vcc
	global_load_ubyte v1, v[2:3], off
	s_waitcnt vmcnt(0)
	v_lshl_or_b32 v14, v1, 16, v14
.LBB1941_8:
	s_or_b64 exec, exec, s[2:3]
	v_add_u32_e32 v2, v8, v13
	v_cmp_gt_u32_e64 s[2:3], s22, v2
.LBB1941_9:
	s_and_saveexec_b64 s[22:23], s[2:3]
	s_cbranch_execz .LBB1941_11
; %bb.10:
	v_mov_b32_e32 v5, 0
	v_mov_b32_e32 v3, v5
	v_subrev_co_u32_e32 v4, vcc, s7, v2
	v_lshl_add_u64 v[6:7], s[18:19], 0, v[2:3]
	v_lshl_add_u64 v[2:3], s[20:21], 0, v[4:5]
	v_cndmask_b32_e32 v3, v3, v7, vcc
	v_cndmask_b32_e32 v2, v2, v6, vcc
	global_load_ubyte v1, v[2:3], off
	s_mov_b32 s2, 0x60504
	s_waitcnt vmcnt(0)
	v_perm_b32 v14, v14, v1, s2
.LBB1941_11:
	s_or_b64 exec, exec, s[22:23]
	s_lshl_b64 s[0:1], s[0:1], 2
	s_add_u32 s0, s10, s0
	s_addc_u32 s1, s11, s1
	s_lshl_b64 s[2:3], s[4:5], 2
	s_add_u32 s2, s10, s2
	s_waitcnt vmcnt(0)
	v_lshrrev_b32_e32 v15, 16, v14
	v_mov_b32_e32 v1, 0
	v_lshrrev_b32_e32 v16, 8, v14
	v_lshrrev_b32_e32 v17, 24, v14
	s_addc_u32 s3, s11, s3
	s_andn2_b64 vcc, exec, s[16:17]
	v_lshlrev_b32_e32 v6, 2, v0
	ds_write_b8 v0, v14
	ds_write_b8 v0, v16 offset:256
	ds_write_b8 v0, v15 offset:512
	;; [unrolled: 1-line block ×3, first 2 shown]
	s_cbranch_vccnz .LBB1941_13
; %bb.12:
	v_mov_b32_e32 v7, v1
	v_subrev_co_u32_e32 v4, vcc, s7, v0
	v_mov_b32_e32 v5, v1
	v_lshl_add_u64 v[2:3], s[0:1], 0, v[6:7]
	v_lshl_add_u64 v[4:5], v[4:5], 2, s[2:3]
	v_cndmask_b32_e32 v3, v5, v3, vcc
	v_cndmask_b32_e32 v2, v4, v2, vcc
	v_mov_b32_e32 v11, v1
	v_subrev_co_u32_e32 v18, vcc, s7, v10
	v_mov_b32_e32 v19, v1
	v_lshl_add_u64 v[4:5], v[10:11], 2, s[0:1]
	v_lshl_add_u64 v[18:19], v[18:19], 2, s[2:3]
	v_cndmask_b32_e32 v5, v19, v5, vcc
	v_cndmask_b32_e32 v4, v18, v4, vcc
	v_mov_b32_e32 v9, v1
	v_subrev_co_u32_e32 v18, vcc, s7, v8
	v_mov_b32_e32 v19, v1
	global_load_dword v2, v[2:3], off
	v_lshl_add_u64 v[18:19], v[18:19], 2, s[2:3]
	global_load_dword v3, v[4:5], off
	v_lshl_add_u64 v[4:5], v[8:9], 2, s[0:1]
	v_cndmask_b32_e32 v5, v19, v5, vcc
	v_cndmask_b32_e32 v4, v18, v4, vcc
	global_load_dword v4, v[4:5], off
	s_add_i32 s18, s15, s7
	v_mov_b32_e32 v5, v1
	v_add_u32_e32 v12, v8, v13
	s_mov_b64 s[4:5], -1
	v_mov_b32_e32 v9, s18
	s_cbranch_execz .LBB1941_14
	s_branch .LBB1941_19
.LBB1941_13:
	s_mov_b64 s[4:5], 0
                                        ; implicit-def: $vgpr12
                                        ; implicit-def: $vgpr2_vgpr3_vgpr4_vgpr5
                                        ; implicit-def: $vgpr9
.LBB1941_14:
	s_add_i32 s10, s15, s7
	s_waitcnt vmcnt(2)
	v_mov_b32_e32 v2, 0
	v_cmp_gt_u32_e32 vcc, s10, v0
	s_waitcnt vmcnt(1)
	v_mov_b32_e32 v3, v2
	s_waitcnt vmcnt(0)
	v_mov_b32_e32 v4, v2
	v_mov_b32_e32 v5, v2
	s_and_saveexec_b64 s[4:5], vcc
	s_cbranch_execnz .LBB1941_49
; %bb.15:
	s_or_b64 exec, exec, s[4:5]
	v_cmp_gt_u32_e32 vcc, s10, v10
	s_and_saveexec_b64 s[4:5], vcc
	s_cbranch_execnz .LBB1941_50
.LBB1941_16:
	s_or_b64 exec, exec, s[4:5]
	v_cmp_gt_u32_e32 vcc, s10, v8
	s_and_saveexec_b64 s[4:5], vcc
	s_cbranch_execz .LBB1941_18
.LBB1941_17:
	v_mov_b32_e32 v9, 0
	v_subrev_co_u32_e32 v18, vcc, s7, v8
	v_mov_b32_e32 v19, v9
	v_lshl_add_u64 v[10:11], v[8:9], 2, s[0:1]
	v_lshl_add_u64 v[18:19], v[18:19], 2, s[2:3]
	v_cndmask_b32_e32 v11, v19, v11, vcc
	v_cndmask_b32_e32 v10, v18, v10, vcc
	global_load_dword v4, v[10:11], off
.LBB1941_18:
	s_or_b64 exec, exec, s[4:5]
	v_add_u32_e32 v12, v8, v13
	v_cmp_gt_u32_e64 s[4:5], s10, v12
	v_mov_b32_e32 v9, s10
.LBB1941_19:
	s_and_saveexec_b64 s[10:11], s[4:5]
	s_cbranch_execz .LBB1941_21
; %bb.20:
	v_mov_b32_e32 v11, 0
	v_mov_b32_e32 v13, v11
	v_subrev_co_u32_e32 v10, vcc, s7, v12
	v_lshl_add_u64 v[18:19], v[12:13], 2, s[0:1]
	v_lshl_add_u64 v[10:11], v[10:11], 2, s[2:3]
	v_cndmask_b32_e32 v11, v11, v19, vcc
	v_cndmask_b32_e32 v10, v10, v18, vcc
	global_load_dword v5, v[10:11], off
.LBB1941_21:
	s_or_b64 exec, exec, s[10:11]
	v_lshlrev_b32_e32 v7, 2, v0
	v_min_u32_e32 v10, v9, v7
	v_sub_u32_e64 v8, v10, s15 clamp
	v_min_u32_e32 v11, s7, v10
	v_cmp_lt_u32_e32 vcc, v8, v11
	s_waitcnt lgkmcnt(0)
	s_barrier
	s_and_saveexec_b64 s[0:1], vcc
	s_cbranch_execz .LBB1941_25
; %bb.22:
	v_add_u32_e32 v12, s7, v10
	s_mov_b64 s[2:3], 0
.LBB1941_23:                            ; =>This Inner Loop Header: Depth=1
	v_add_u32_e32 v13, v11, v8
	v_lshrrev_b32_e32 v13, 1, v13
	v_xad_u32 v18, v13, -1, v12
	ds_read_u8 v19, v13
	ds_read_u8 v18, v18
	v_add_u32_e32 v20, 1, v13
	s_waitcnt lgkmcnt(0)
	v_cmp_gt_u16_e32 vcc, v19, v18
	s_nop 1
	v_cndmask_b32_e32 v11, v11, v13, vcc
	v_cndmask_b32_e32 v8, v20, v8, vcc
	v_cmp_ge_u32_e32 vcc, v8, v11
	s_or_b64 s[2:3], vcc, s[2:3]
	s_andn2_b64 exec, exec, s[2:3]
	s_cbranch_execnz .LBB1941_23
; %bb.24:
	s_or_b64 exec, exec, s[2:3]
.LBB1941_25:
	s_or_b64 exec, exec, s[0:1]
	v_sub_u32_e32 v10, v10, v8
	v_add_u32_e32 v18, s7, v10
	v_cmp_ge_u32_e32 vcc, s7, v8
	v_cmp_le_u32_e64 s[0:1], v18, v9
	s_or_b64 s[0:1], vcc, s[0:1]
	v_mov_b32_e32 v12, 0
	v_mov_b32_e32 v13, 0
	v_mov_b32_e32 v11, 0
	v_mov_b32_e32 v10, 0
	s_and_saveexec_b64 s[10:11], s[0:1]
	s_cbranch_execz .LBB1941_31
; %bb.26:
	v_cmp_gt_u32_e32 vcc, s7, v8
                                        ; implicit-def: $vgpr12
	s_and_saveexec_b64 s[0:1], vcc
; %bb.27:
	ds_read_u8 v12, v8
; %bb.28:
	s_or_b64 exec, exec, s[0:1]
	v_cmp_ge_u32_e64 s[0:1], v18, v9
	v_cmp_lt_u32_e64 s[2:3], v18, v9
                                        ; implicit-def: $vgpr14
	s_and_saveexec_b64 s[4:5], s[2:3]
; %bb.29:
	ds_read_u8 v14, v18
; %bb.30:
	s_or_b64 exec, exec, s[4:5]
	s_waitcnt lgkmcnt(0)
	v_cmp_le_u16_sdwa s[2:3], v12, v14 src0_sel:BYTE_0 src1_sel:BYTE_0
	s_and_b64 s[2:3], vcc, s[2:3]
	s_or_b64 vcc, s[0:1], s[2:3]
	v_mov_b32_e32 v15, s7
	v_cndmask_b32_e32 v10, v18, v8, vcc
	v_cndmask_b32_e32 v11, v9, v15, vcc
	v_add_u32_e32 v13, 1, v10
	v_add_u32_e32 v11, -1, v11
	v_min_u32_e32 v11, v13, v11
	ds_read_u8 v11, v11
	v_cndmask_b32_e32 v8, v8, v13, vcc
	v_cndmask_b32_e32 v18, v13, v18, vcc
	v_cmp_gt_u32_e64 s[2:3], s7, v8
	v_cmp_ge_u32_e64 s[0:1], v18, v9
	s_waitcnt lgkmcnt(0)
	v_cndmask_b32_e32 v16, v11, v14, vcc
	v_cndmask_b32_e32 v17, v12, v11, vcc
	v_cmp_le_u16_sdwa s[4:5], v17, v16 src0_sel:BYTE_0 src1_sel:BYTE_0
	s_and_b64 s[2:3], s[2:3], s[4:5]
	s_or_b64 s[0:1], s[0:1], s[2:3]
	v_cndmask_b32_e64 v11, v18, v8, s[0:1]
	v_cndmask_b32_e64 v13, v9, v15, s[0:1]
	v_add_u32_e32 v19, 1, v11
	v_add_u32_e32 v13, -1, v13
	v_min_u32_e32 v13, v19, v13
	ds_read_u8 v13, v13
	v_cndmask_b32_e64 v8, v8, v19, s[0:1]
	v_cndmask_b32_e64 v18, v19, v18, s[0:1]
	v_cmp_gt_u32_e64 s[4:5], s7, v8
	v_cmp_ge_u32_e64 s[2:3], v18, v9
	s_waitcnt lgkmcnt(0)
	v_cndmask_b32_e64 v20, v13, v16, s[0:1]
	v_cndmask_b32_e64 v21, v17, v13, s[0:1]
	v_cmp_le_u16_sdwa s[18:19], v21, v20 src0_sel:BYTE_0 src1_sel:BYTE_0
	s_and_b64 s[4:5], s[4:5], s[18:19]
	s_or_b64 s[2:3], s[2:3], s[4:5]
	v_cndmask_b32_e64 v13, v18, v8, s[2:3]
	v_cndmask_b32_e64 v15, v9, v15, s[2:3]
	v_add_u32_e32 v19, 1, v13
	v_add_u32_e32 v15, -1, v15
	v_min_u32_e32 v15, v19, v15
	ds_read_u8 v22, v15
	v_cndmask_b32_e64 v16, v16, v17, s[0:1]
	v_cndmask_b32_e64 v15, v20, v21, s[2:3]
	;; [unrolled: 1-line block ×3, first 2 shown]
	v_cndmask_b32_e32 v14, v14, v12, vcc
	s_waitcnt lgkmcnt(0)
	v_cndmask_b32_e64 v17, v22, v20, s[2:3]
	v_cndmask_b32_e64 v20, v21, v22, s[2:3]
	;; [unrolled: 1-line block ×3, first 2 shown]
	v_cmp_gt_u32_e64 s[0:1], s7, v8
	v_cmp_le_u16_sdwa s[2:3], v20, v17 src0_sel:BYTE_0 src1_sel:BYTE_0
	v_cmp_ge_u32_e32 vcc, v12, v9
	s_and_b64 s[0:1], s[0:1], s[2:3]
	s_or_b64 vcc, vcc, s[0:1]
	v_cndmask_b32_e32 v12, v12, v8, vcc
	v_cndmask_b32_e32 v17, v17, v20, vcc
.LBB1941_31:
	s_or_b64 exec, exec, s[10:11]
	v_mad_u32_u24 v8, v0, 3, v0
	s_barrier
	s_waitcnt vmcnt(0)
	ds_write2st64_b32 v8, v2, v3 offset1:4
	ds_write2st64_b32 v8, v4, v5 offset0:8 offset1:12
	v_lshlrev_b32_e32 v2, 2, v10
	v_lshlrev_b32_e32 v10, 2, v12
	s_waitcnt lgkmcnt(0)
	s_barrier
	v_lshlrev_b32_e32 v3, 2, v11
	v_lshlrev_b32_e32 v4, 2, v13
	ds_read_b32 v5, v2
	ds_read_b32 v8, v3
	;; [unrolled: 1-line block ×4, first 2 shown]
	v_lshrrev_b32_e32 v11, 3, v0
	v_and_b32_e32 v2, 28, v11
	s_mov_b32 s2, 0xc0c0004
	v_add_u32_e32 v4, v2, v7
	v_perm_b32 v2, v14, v16, s2
	v_perm_b32 v3, v15, v17, s2
	v_or_b32_e32 v17, 0x100, v0
	v_or_b32_e32 v16, 0x200, v0
	;; [unrolled: 1-line block ×3, first 2 shown]
	s_add_u32 s0, s8, s6
	v_lshrrev_b32_e32 v12, 5, v17
	v_lshrrev_b32_e32 v13, 5, v16
	v_lshrrev_b32_e32 v14, 5, v15
	s_addc_u32 s1, s9, 0
	v_lshl_or_b32 v2, v3, 16, v2
	v_lshrrev_b32_e32 v22, 5, v0
	v_and_b32_e32 v19, 12, v12
	v_and_b32_e32 v20, 20, v13
	;; [unrolled: 1-line block ×3, first 2 shown]
	s_waitcnt lgkmcnt(0)
	s_barrier
	s_barrier
	s_mov_b32 s7, 0
	ds_write_b32 v4, v2
	v_and_b32_e32 v18, 4, v22
	v_lshl_add_u64 v[2:3], s[0:1], 0, v[0:1]
	s_and_b64 vcc, exec, s[16:17]
	v_add_u32_e32 v19, v19, v0
	v_add_u32_e32 v20, v20, v0
	;; [unrolled: 1-line block ×3, first 2 shown]
	v_lshlrev_b32_e32 v1, 2, v7
	s_waitcnt lgkmcnt(0)
	s_cbranch_vccz .LBB1941_33
; %bb.32:
	v_add_u32_e32 v23, v18, v0
	s_barrier
	ds_read_u8 v23, v23
	ds_read_u8 v24, v19 offset:256
	ds_read_u8 v25, v20 offset:512
	;; [unrolled: 1-line block ×3, first 2 shown]
	v_lshl_add_u32 v22, v22, 2, v7
	s_lshl_b64 s[0:1], s[6:7], 2
	s_waitcnt lgkmcnt(3)
	global_store_byte v[2:3], v23, off
	s_waitcnt lgkmcnt(2)
	global_store_byte v[2:3], v24, off offset:256
	s_waitcnt lgkmcnt(1)
	global_store_byte v[2:3], v25, off offset:512
	;; [unrolled: 2-line block ×3, first 2 shown]
	v_lshl_add_u32 v23, v11, 2, v1
	s_barrier
	ds_write2_b32 v23, v5, v8 offset1:1
	ds_write2_b32 v23, v9, v10 offset0:2 offset1:3
	v_lshl_add_u32 v23, v12, 2, v7
	v_lshl_add_u32 v24, v13, 2, v7
	s_waitcnt lgkmcnt(0)
	s_barrier
	ds_read_b32 v25, v22
	ds_read_b32 v23, v23 offset:1024
	ds_read_b32 v24, v24 offset:2048
	v_lshl_add_u32 v22, v14, 2, v7
	ds_read_b32 v22, v22 offset:3072
	s_add_u32 s0, s12, s0
	s_addc_u32 s1, s13, s1
	s_waitcnt lgkmcnt(3)
	global_store_dword v6, v25, s[0:1]
	s_waitcnt lgkmcnt(2)
	global_store_dword v6, v23, s[0:1] offset:1024
	s_waitcnt lgkmcnt(1)
	global_store_dword v6, v24, s[0:1] offset:2048
	s_mov_b64 s[4:5], -1
	s_cbranch_execz .LBB1941_34
	s_branch .LBB1941_44
.LBB1941_33:
	s_mov_b64 s[4:5], 0
                                        ; implicit-def: $vgpr22
.LBB1941_34:
	s_barrier
	s_waitcnt lgkmcnt(0)
	ds_read_u8 v22, v19 offset:256
	ds_read_u8 v20, v20 offset:512
	;; [unrolled: 1-line block ×3, first 2 shown]
	s_sub_i32 s8, s14, s6
	v_cmp_gt_u32_e32 vcc, s8, v0
	s_and_saveexec_b64 s[0:1], vcc
	s_cbranch_execnz .LBB1941_51
; %bb.35:
	s_or_b64 exec, exec, s[0:1]
	v_cmp_gt_u32_e64 s[0:1], s8, v17
	s_and_saveexec_b64 s[2:3], s[0:1]
	s_cbranch_execnz .LBB1941_52
.LBB1941_36:
	s_or_b64 exec, exec, s[2:3]
	v_cmp_gt_u32_e64 s[2:3], s8, v16
	s_and_saveexec_b64 s[4:5], s[2:3]
	s_cbranch_execnz .LBB1941_53
.LBB1941_37:
	s_or_b64 exec, exec, s[4:5]
	v_cmp_gt_u32_e64 s[4:5], s8, v15
	s_and_saveexec_b64 s[8:9], s[4:5]
	s_cbranch_execz .LBB1941_39
.LBB1941_38:
	s_waitcnt lgkmcnt(0)
	global_store_byte v[2:3], v19, off offset:768
.LBB1941_39:
	s_or_b64 exec, exec, s[8:9]
	v_lshl_add_u32 v0, v11, 2, v1
	s_waitcnt lgkmcnt(0)
	s_barrier
	ds_write2_b32 v0, v5, v8 offset1:1
	ds_write2_b32 v0, v9, v10 offset0:2 offset1:3
	v_lshl_add_u32 v0, v12, 2, v7
	s_waitcnt lgkmcnt(0)
	s_barrier
	v_lshl_add_u32 v1, v13, 2, v7
	v_lshl_add_u32 v5, v14, 2, v7
	ds_read_b32 v3, v0 offset:1024
	ds_read_b32 v2, v1 offset:2048
	;; [unrolled: 1-line block ×3, first 2 shown]
	s_lshl_b64 s[8:9], s[6:7], 2
	s_add_u32 s8, s12, s8
	s_addc_u32 s9, s13, s9
	v_mov_b32_e32 v7, 0
	v_lshl_add_u64 v[0:1], s[8:9], 0, v[6:7]
	s_and_saveexec_b64 s[8:9], vcc
	s_cbranch_execnz .LBB1941_54
; %bb.40:
	s_or_b64 exec, exec, s[8:9]
	s_and_saveexec_b64 s[8:9], s[0:1]
	s_cbranch_execnz .LBB1941_55
.LBB1941_41:
	s_or_b64 exec, exec, s[8:9]
	s_and_saveexec_b64 s[0:1], s[2:3]
	s_cbranch_execz .LBB1941_43
.LBB1941_42:
	s_waitcnt lgkmcnt(1)
	global_store_dword v[0:1], v2, off offset:2048
.LBB1941_43:
	s_or_b64 exec, exec, s[0:1]
.LBB1941_44:
	s_and_saveexec_b64 s[0:1], s[4:5]
	s_cbranch_execz .LBB1941_46
; %bb.45:
	s_lshl_b64 s[0:1], s[6:7], 2
	s_add_u32 s0, s12, s0
	s_addc_u32 s1, s13, s1
	s_waitcnt lgkmcnt(0)
	global_store_dword v6, v22, s[0:1] offset:3072
.LBB1941_46:
	s_endpgm
.LBB1941_47:
	v_mov_b32_e32 v1, 0
	v_subrev_co_u32_e32 v4, vcc, s7, v0
	v_mov_b32_e32 v5, v1
	v_lshl_add_u64 v[2:3], s[18:19], 0, v[0:1]
	v_lshl_add_u64 v[4:5], s[20:21], 0, v[4:5]
	v_cndmask_b32_e32 v3, v5, v3, vcc
	v_cndmask_b32_e32 v2, v4, v2, vcc
	global_load_ubyte v14, v[2:3], off
	s_or_b64 exec, exec, s[2:3]
	v_cmp_gt_u32_e32 vcc, s22, v10
	s_and_saveexec_b64 s[2:3], vcc
	s_cbranch_execz .LBB1941_6
.LBB1941_48:
	v_mov_b32_e32 v11, 0
	v_subrev_co_u32_e32 v4, vcc, s7, v10
	v_mov_b32_e32 v5, v11
	v_lshl_add_u64 v[2:3], s[18:19], 0, v[10:11]
	v_lshl_add_u64 v[4:5], s[20:21], 0, v[4:5]
	v_cndmask_b32_e32 v3, v5, v3, vcc
	v_cndmask_b32_e32 v2, v4, v2, vcc
	global_load_ubyte v1, v[2:3], off
	s_waitcnt vmcnt(0)
	v_lshlrev_b16_e32 v1, 8, v1
	v_or_b32_e32 v1, v14, v1
	v_and_b32_e32 v14, 0xffff, v1
	s_or_b64 exec, exec, s[2:3]
	v_cmp_gt_u32_e32 vcc, s22, v8
	s_and_saveexec_b64 s[2:3], vcc
	s_cbranch_execnz .LBB1941_7
	s_branch .LBB1941_8
.LBB1941_49:
	v_mov_b32_e32 v7, v2
	v_subrev_co_u32_e32 v18, vcc, s7, v0
	v_mov_b32_e32 v19, v2
	v_lshl_add_u64 v[4:5], s[0:1], 0, v[6:7]
	v_lshl_add_u64 v[18:19], v[18:19], 2, s[2:3]
	v_cndmask_b32_e32 v5, v19, v5, vcc
	v_cndmask_b32_e32 v4, v18, v4, vcc
	global_load_dword v18, v[4:5], off
	v_mov_b32_e32 v19, v2
	v_mov_b32_e32 v20, v2
	;; [unrolled: 1-line block ×3, first 2 shown]
	s_waitcnt vmcnt(0)
	v_mov_b64_e32 v[2:3], v[18:19]
	v_mov_b64_e32 v[4:5], v[20:21]
	s_or_b64 exec, exec, s[4:5]
	v_cmp_gt_u32_e32 vcc, s10, v10
	s_and_saveexec_b64 s[4:5], vcc
	s_cbranch_execz .LBB1941_16
.LBB1941_50:
	v_mov_b32_e32 v11, 0
	v_lshl_add_u64 v[18:19], v[10:11], 2, s[0:1]
	v_subrev_co_u32_e32 v10, vcc, s7, v10
	v_lshl_add_u64 v[10:11], v[10:11], 2, s[2:3]
	s_nop 0
	v_cndmask_b32_e32 v11, v11, v19, vcc
	v_cndmask_b32_e32 v10, v10, v18, vcc
	global_load_dword v3, v[10:11], off
	s_or_b64 exec, exec, s[4:5]
	v_cmp_gt_u32_e32 vcc, s10, v8
	s_and_saveexec_b64 s[4:5], vcc
	s_cbranch_execnz .LBB1941_17
	s_branch .LBB1941_18
.LBB1941_51:
	v_add_u32_e32 v0, v18, v0
	ds_read_u8 v0, v0
	s_waitcnt lgkmcnt(0)
	global_store_byte v[2:3], v0, off
	s_or_b64 exec, exec, s[0:1]
	v_cmp_gt_u32_e64 s[0:1], s8, v17
	s_and_saveexec_b64 s[2:3], s[0:1]
	s_cbranch_execz .LBB1941_36
.LBB1941_52:
	s_waitcnt lgkmcnt(2)
	global_store_byte v[2:3], v22, off offset:256
	s_or_b64 exec, exec, s[2:3]
	v_cmp_gt_u32_e64 s[2:3], s8, v16
	s_and_saveexec_b64 s[4:5], s[2:3]
	s_cbranch_execz .LBB1941_37
.LBB1941_53:
	s_waitcnt lgkmcnt(1)
	global_store_byte v[2:3], v20, off offset:512
	s_or_b64 exec, exec, s[4:5]
	v_cmp_gt_u32_e64 s[4:5], s8, v15
	s_and_saveexec_b64 s[8:9], s[4:5]
	s_cbranch_execnz .LBB1941_38
	s_branch .LBB1941_39
.LBB1941_54:
	ds_read_b32 v4, v4
	s_waitcnt lgkmcnt(0)
	global_store_dword v[0:1], v4, off
	s_or_b64 exec, exec, s[8:9]
	s_and_saveexec_b64 s[8:9], s[0:1]
	s_cbranch_execz .LBB1941_41
.LBB1941_55:
	s_waitcnt lgkmcnt(2)
	global_store_dword v[0:1], v3, off offset:1024
	s_or_b64 exec, exec, s[8:9]
	s_and_saveexec_b64 s[0:1], s[2:3]
	s_cbranch_execnz .LBB1941_42
	s_branch .LBB1941_43
	.section	.rodata,"a",@progbits
	.p2align	6, 0x0
	.amdhsa_kernel _ZN7rocprim17ROCPRIM_400000_NS6detail17trampoline_kernelINS0_14default_configENS1_38merge_sort_block_merge_config_selectorIbiEEZZNS1_27merge_sort_block_merge_implIS3_N6thrust23THRUST_200600_302600_NS6detail15normal_iteratorINS8_10device_ptrIbEEEENSA_INSB_IiEEEEjNS1_19radix_merge_compareILb0ELb0EbNS0_19identity_decomposerEEEEE10hipError_tT0_T1_T2_jT3_P12ihipStream_tbPNSt15iterator_traitsISK_E10value_typeEPNSQ_ISL_E10value_typeEPSM_NS1_7vsmem_tEENKUlT_SK_SL_SM_E_clISD_PbSF_PiEESJ_SZ_SK_SL_SM_EUlSZ_E0_NS1_11comp_targetILNS1_3genE0ELNS1_11target_archE4294967295ELNS1_3gpuE0ELNS1_3repE0EEENS1_38merge_mergepath_config_static_selectorELNS0_4arch9wavefront6targetE1EEEvSL_
		.amdhsa_group_segment_fixed_size 4224
		.amdhsa_private_segment_fixed_size 0
		.amdhsa_kernarg_size 320
		.amdhsa_user_sgpr_count 2
		.amdhsa_user_sgpr_dispatch_ptr 0
		.amdhsa_user_sgpr_queue_ptr 0
		.amdhsa_user_sgpr_kernarg_segment_ptr 1
		.amdhsa_user_sgpr_dispatch_id 0
		.amdhsa_user_sgpr_kernarg_preload_length 0
		.amdhsa_user_sgpr_kernarg_preload_offset 0
		.amdhsa_user_sgpr_private_segment_size 0
		.amdhsa_uses_dynamic_stack 0
		.amdhsa_enable_private_segment 0
		.amdhsa_system_sgpr_workgroup_id_x 1
		.amdhsa_system_sgpr_workgroup_id_y 1
		.amdhsa_system_sgpr_workgroup_id_z 1
		.amdhsa_system_sgpr_workgroup_info 0
		.amdhsa_system_vgpr_workitem_id 0
		.amdhsa_next_free_vgpr 27
		.amdhsa_next_free_sgpr 28
		.amdhsa_accum_offset 28
		.amdhsa_reserve_vcc 1
		.amdhsa_float_round_mode_32 0
		.amdhsa_float_round_mode_16_64 0
		.amdhsa_float_denorm_mode_32 3
		.amdhsa_float_denorm_mode_16_64 3
		.amdhsa_dx10_clamp 1
		.amdhsa_ieee_mode 1
		.amdhsa_fp16_overflow 0
		.amdhsa_tg_split 0
		.amdhsa_exception_fp_ieee_invalid_op 0
		.amdhsa_exception_fp_denorm_src 0
		.amdhsa_exception_fp_ieee_div_zero 0
		.amdhsa_exception_fp_ieee_overflow 0
		.amdhsa_exception_fp_ieee_underflow 0
		.amdhsa_exception_fp_ieee_inexact 0
		.amdhsa_exception_int_div_zero 0
	.end_amdhsa_kernel
	.section	.text._ZN7rocprim17ROCPRIM_400000_NS6detail17trampoline_kernelINS0_14default_configENS1_38merge_sort_block_merge_config_selectorIbiEEZZNS1_27merge_sort_block_merge_implIS3_N6thrust23THRUST_200600_302600_NS6detail15normal_iteratorINS8_10device_ptrIbEEEENSA_INSB_IiEEEEjNS1_19radix_merge_compareILb0ELb0EbNS0_19identity_decomposerEEEEE10hipError_tT0_T1_T2_jT3_P12ihipStream_tbPNSt15iterator_traitsISK_E10value_typeEPNSQ_ISL_E10value_typeEPSM_NS1_7vsmem_tEENKUlT_SK_SL_SM_E_clISD_PbSF_PiEESJ_SZ_SK_SL_SM_EUlSZ_E0_NS1_11comp_targetILNS1_3genE0ELNS1_11target_archE4294967295ELNS1_3gpuE0ELNS1_3repE0EEENS1_38merge_mergepath_config_static_selectorELNS0_4arch9wavefront6targetE1EEEvSL_,"axG",@progbits,_ZN7rocprim17ROCPRIM_400000_NS6detail17trampoline_kernelINS0_14default_configENS1_38merge_sort_block_merge_config_selectorIbiEEZZNS1_27merge_sort_block_merge_implIS3_N6thrust23THRUST_200600_302600_NS6detail15normal_iteratorINS8_10device_ptrIbEEEENSA_INSB_IiEEEEjNS1_19radix_merge_compareILb0ELb0EbNS0_19identity_decomposerEEEEE10hipError_tT0_T1_T2_jT3_P12ihipStream_tbPNSt15iterator_traitsISK_E10value_typeEPNSQ_ISL_E10value_typeEPSM_NS1_7vsmem_tEENKUlT_SK_SL_SM_E_clISD_PbSF_PiEESJ_SZ_SK_SL_SM_EUlSZ_E0_NS1_11comp_targetILNS1_3genE0ELNS1_11target_archE4294967295ELNS1_3gpuE0ELNS1_3repE0EEENS1_38merge_mergepath_config_static_selectorELNS0_4arch9wavefront6targetE1EEEvSL_,comdat
.Lfunc_end1941:
	.size	_ZN7rocprim17ROCPRIM_400000_NS6detail17trampoline_kernelINS0_14default_configENS1_38merge_sort_block_merge_config_selectorIbiEEZZNS1_27merge_sort_block_merge_implIS3_N6thrust23THRUST_200600_302600_NS6detail15normal_iteratorINS8_10device_ptrIbEEEENSA_INSB_IiEEEEjNS1_19radix_merge_compareILb0ELb0EbNS0_19identity_decomposerEEEEE10hipError_tT0_T1_T2_jT3_P12ihipStream_tbPNSt15iterator_traitsISK_E10value_typeEPNSQ_ISL_E10value_typeEPSM_NS1_7vsmem_tEENKUlT_SK_SL_SM_E_clISD_PbSF_PiEESJ_SZ_SK_SL_SM_EUlSZ_E0_NS1_11comp_targetILNS1_3genE0ELNS1_11target_archE4294967295ELNS1_3gpuE0ELNS1_3repE0EEENS1_38merge_mergepath_config_static_selectorELNS0_4arch9wavefront6targetE1EEEvSL_, .Lfunc_end1941-_ZN7rocprim17ROCPRIM_400000_NS6detail17trampoline_kernelINS0_14default_configENS1_38merge_sort_block_merge_config_selectorIbiEEZZNS1_27merge_sort_block_merge_implIS3_N6thrust23THRUST_200600_302600_NS6detail15normal_iteratorINS8_10device_ptrIbEEEENSA_INSB_IiEEEEjNS1_19radix_merge_compareILb0ELb0EbNS0_19identity_decomposerEEEEE10hipError_tT0_T1_T2_jT3_P12ihipStream_tbPNSt15iterator_traitsISK_E10value_typeEPNSQ_ISL_E10value_typeEPSM_NS1_7vsmem_tEENKUlT_SK_SL_SM_E_clISD_PbSF_PiEESJ_SZ_SK_SL_SM_EUlSZ_E0_NS1_11comp_targetILNS1_3genE0ELNS1_11target_archE4294967295ELNS1_3gpuE0ELNS1_3repE0EEENS1_38merge_mergepath_config_static_selectorELNS0_4arch9wavefront6targetE1EEEvSL_
                                        ; -- End function
	.set _ZN7rocprim17ROCPRIM_400000_NS6detail17trampoline_kernelINS0_14default_configENS1_38merge_sort_block_merge_config_selectorIbiEEZZNS1_27merge_sort_block_merge_implIS3_N6thrust23THRUST_200600_302600_NS6detail15normal_iteratorINS8_10device_ptrIbEEEENSA_INSB_IiEEEEjNS1_19radix_merge_compareILb0ELb0EbNS0_19identity_decomposerEEEEE10hipError_tT0_T1_T2_jT3_P12ihipStream_tbPNSt15iterator_traitsISK_E10value_typeEPNSQ_ISL_E10value_typeEPSM_NS1_7vsmem_tEENKUlT_SK_SL_SM_E_clISD_PbSF_PiEESJ_SZ_SK_SL_SM_EUlSZ_E0_NS1_11comp_targetILNS1_3genE0ELNS1_11target_archE4294967295ELNS1_3gpuE0ELNS1_3repE0EEENS1_38merge_mergepath_config_static_selectorELNS0_4arch9wavefront6targetE1EEEvSL_.num_vgpr, 27
	.set _ZN7rocprim17ROCPRIM_400000_NS6detail17trampoline_kernelINS0_14default_configENS1_38merge_sort_block_merge_config_selectorIbiEEZZNS1_27merge_sort_block_merge_implIS3_N6thrust23THRUST_200600_302600_NS6detail15normal_iteratorINS8_10device_ptrIbEEEENSA_INSB_IiEEEEjNS1_19radix_merge_compareILb0ELb0EbNS0_19identity_decomposerEEEEE10hipError_tT0_T1_T2_jT3_P12ihipStream_tbPNSt15iterator_traitsISK_E10value_typeEPNSQ_ISL_E10value_typeEPSM_NS1_7vsmem_tEENKUlT_SK_SL_SM_E_clISD_PbSF_PiEESJ_SZ_SK_SL_SM_EUlSZ_E0_NS1_11comp_targetILNS1_3genE0ELNS1_11target_archE4294967295ELNS1_3gpuE0ELNS1_3repE0EEENS1_38merge_mergepath_config_static_selectorELNS0_4arch9wavefront6targetE1EEEvSL_.num_agpr, 0
	.set _ZN7rocprim17ROCPRIM_400000_NS6detail17trampoline_kernelINS0_14default_configENS1_38merge_sort_block_merge_config_selectorIbiEEZZNS1_27merge_sort_block_merge_implIS3_N6thrust23THRUST_200600_302600_NS6detail15normal_iteratorINS8_10device_ptrIbEEEENSA_INSB_IiEEEEjNS1_19radix_merge_compareILb0ELb0EbNS0_19identity_decomposerEEEEE10hipError_tT0_T1_T2_jT3_P12ihipStream_tbPNSt15iterator_traitsISK_E10value_typeEPNSQ_ISL_E10value_typeEPSM_NS1_7vsmem_tEENKUlT_SK_SL_SM_E_clISD_PbSF_PiEESJ_SZ_SK_SL_SM_EUlSZ_E0_NS1_11comp_targetILNS1_3genE0ELNS1_11target_archE4294967295ELNS1_3gpuE0ELNS1_3repE0EEENS1_38merge_mergepath_config_static_selectorELNS0_4arch9wavefront6targetE1EEEvSL_.numbered_sgpr, 28
	.set _ZN7rocprim17ROCPRIM_400000_NS6detail17trampoline_kernelINS0_14default_configENS1_38merge_sort_block_merge_config_selectorIbiEEZZNS1_27merge_sort_block_merge_implIS3_N6thrust23THRUST_200600_302600_NS6detail15normal_iteratorINS8_10device_ptrIbEEEENSA_INSB_IiEEEEjNS1_19radix_merge_compareILb0ELb0EbNS0_19identity_decomposerEEEEE10hipError_tT0_T1_T2_jT3_P12ihipStream_tbPNSt15iterator_traitsISK_E10value_typeEPNSQ_ISL_E10value_typeEPSM_NS1_7vsmem_tEENKUlT_SK_SL_SM_E_clISD_PbSF_PiEESJ_SZ_SK_SL_SM_EUlSZ_E0_NS1_11comp_targetILNS1_3genE0ELNS1_11target_archE4294967295ELNS1_3gpuE0ELNS1_3repE0EEENS1_38merge_mergepath_config_static_selectorELNS0_4arch9wavefront6targetE1EEEvSL_.num_named_barrier, 0
	.set _ZN7rocprim17ROCPRIM_400000_NS6detail17trampoline_kernelINS0_14default_configENS1_38merge_sort_block_merge_config_selectorIbiEEZZNS1_27merge_sort_block_merge_implIS3_N6thrust23THRUST_200600_302600_NS6detail15normal_iteratorINS8_10device_ptrIbEEEENSA_INSB_IiEEEEjNS1_19radix_merge_compareILb0ELb0EbNS0_19identity_decomposerEEEEE10hipError_tT0_T1_T2_jT3_P12ihipStream_tbPNSt15iterator_traitsISK_E10value_typeEPNSQ_ISL_E10value_typeEPSM_NS1_7vsmem_tEENKUlT_SK_SL_SM_E_clISD_PbSF_PiEESJ_SZ_SK_SL_SM_EUlSZ_E0_NS1_11comp_targetILNS1_3genE0ELNS1_11target_archE4294967295ELNS1_3gpuE0ELNS1_3repE0EEENS1_38merge_mergepath_config_static_selectorELNS0_4arch9wavefront6targetE1EEEvSL_.private_seg_size, 0
	.set _ZN7rocprim17ROCPRIM_400000_NS6detail17trampoline_kernelINS0_14default_configENS1_38merge_sort_block_merge_config_selectorIbiEEZZNS1_27merge_sort_block_merge_implIS3_N6thrust23THRUST_200600_302600_NS6detail15normal_iteratorINS8_10device_ptrIbEEEENSA_INSB_IiEEEEjNS1_19radix_merge_compareILb0ELb0EbNS0_19identity_decomposerEEEEE10hipError_tT0_T1_T2_jT3_P12ihipStream_tbPNSt15iterator_traitsISK_E10value_typeEPNSQ_ISL_E10value_typeEPSM_NS1_7vsmem_tEENKUlT_SK_SL_SM_E_clISD_PbSF_PiEESJ_SZ_SK_SL_SM_EUlSZ_E0_NS1_11comp_targetILNS1_3genE0ELNS1_11target_archE4294967295ELNS1_3gpuE0ELNS1_3repE0EEENS1_38merge_mergepath_config_static_selectorELNS0_4arch9wavefront6targetE1EEEvSL_.uses_vcc, 1
	.set _ZN7rocprim17ROCPRIM_400000_NS6detail17trampoline_kernelINS0_14default_configENS1_38merge_sort_block_merge_config_selectorIbiEEZZNS1_27merge_sort_block_merge_implIS3_N6thrust23THRUST_200600_302600_NS6detail15normal_iteratorINS8_10device_ptrIbEEEENSA_INSB_IiEEEEjNS1_19radix_merge_compareILb0ELb0EbNS0_19identity_decomposerEEEEE10hipError_tT0_T1_T2_jT3_P12ihipStream_tbPNSt15iterator_traitsISK_E10value_typeEPNSQ_ISL_E10value_typeEPSM_NS1_7vsmem_tEENKUlT_SK_SL_SM_E_clISD_PbSF_PiEESJ_SZ_SK_SL_SM_EUlSZ_E0_NS1_11comp_targetILNS1_3genE0ELNS1_11target_archE4294967295ELNS1_3gpuE0ELNS1_3repE0EEENS1_38merge_mergepath_config_static_selectorELNS0_4arch9wavefront6targetE1EEEvSL_.uses_flat_scratch, 0
	.set _ZN7rocprim17ROCPRIM_400000_NS6detail17trampoline_kernelINS0_14default_configENS1_38merge_sort_block_merge_config_selectorIbiEEZZNS1_27merge_sort_block_merge_implIS3_N6thrust23THRUST_200600_302600_NS6detail15normal_iteratorINS8_10device_ptrIbEEEENSA_INSB_IiEEEEjNS1_19radix_merge_compareILb0ELb0EbNS0_19identity_decomposerEEEEE10hipError_tT0_T1_T2_jT3_P12ihipStream_tbPNSt15iterator_traitsISK_E10value_typeEPNSQ_ISL_E10value_typeEPSM_NS1_7vsmem_tEENKUlT_SK_SL_SM_E_clISD_PbSF_PiEESJ_SZ_SK_SL_SM_EUlSZ_E0_NS1_11comp_targetILNS1_3genE0ELNS1_11target_archE4294967295ELNS1_3gpuE0ELNS1_3repE0EEENS1_38merge_mergepath_config_static_selectorELNS0_4arch9wavefront6targetE1EEEvSL_.has_dyn_sized_stack, 0
	.set _ZN7rocprim17ROCPRIM_400000_NS6detail17trampoline_kernelINS0_14default_configENS1_38merge_sort_block_merge_config_selectorIbiEEZZNS1_27merge_sort_block_merge_implIS3_N6thrust23THRUST_200600_302600_NS6detail15normal_iteratorINS8_10device_ptrIbEEEENSA_INSB_IiEEEEjNS1_19radix_merge_compareILb0ELb0EbNS0_19identity_decomposerEEEEE10hipError_tT0_T1_T2_jT3_P12ihipStream_tbPNSt15iterator_traitsISK_E10value_typeEPNSQ_ISL_E10value_typeEPSM_NS1_7vsmem_tEENKUlT_SK_SL_SM_E_clISD_PbSF_PiEESJ_SZ_SK_SL_SM_EUlSZ_E0_NS1_11comp_targetILNS1_3genE0ELNS1_11target_archE4294967295ELNS1_3gpuE0ELNS1_3repE0EEENS1_38merge_mergepath_config_static_selectorELNS0_4arch9wavefront6targetE1EEEvSL_.has_recursion, 0
	.set _ZN7rocprim17ROCPRIM_400000_NS6detail17trampoline_kernelINS0_14default_configENS1_38merge_sort_block_merge_config_selectorIbiEEZZNS1_27merge_sort_block_merge_implIS3_N6thrust23THRUST_200600_302600_NS6detail15normal_iteratorINS8_10device_ptrIbEEEENSA_INSB_IiEEEEjNS1_19radix_merge_compareILb0ELb0EbNS0_19identity_decomposerEEEEE10hipError_tT0_T1_T2_jT3_P12ihipStream_tbPNSt15iterator_traitsISK_E10value_typeEPNSQ_ISL_E10value_typeEPSM_NS1_7vsmem_tEENKUlT_SK_SL_SM_E_clISD_PbSF_PiEESJ_SZ_SK_SL_SM_EUlSZ_E0_NS1_11comp_targetILNS1_3genE0ELNS1_11target_archE4294967295ELNS1_3gpuE0ELNS1_3repE0EEENS1_38merge_mergepath_config_static_selectorELNS0_4arch9wavefront6targetE1EEEvSL_.has_indirect_call, 0
	.section	.AMDGPU.csdata,"",@progbits
; Kernel info:
; codeLenInByte = 3016
; TotalNumSgprs: 34
; NumVgprs: 27
; NumAgprs: 0
; TotalNumVgprs: 27
; ScratchSize: 0
; MemoryBound: 0
; FloatMode: 240
; IeeeMode: 1
; LDSByteSize: 4224 bytes/workgroup (compile time only)
; SGPRBlocks: 4
; VGPRBlocks: 3
; NumSGPRsForWavesPerEU: 34
; NumVGPRsForWavesPerEU: 27
; AccumOffset: 28
; Occupancy: 8
; WaveLimiterHint : 1
; COMPUTE_PGM_RSRC2:SCRATCH_EN: 0
; COMPUTE_PGM_RSRC2:USER_SGPR: 2
; COMPUTE_PGM_RSRC2:TRAP_HANDLER: 0
; COMPUTE_PGM_RSRC2:TGID_X_EN: 1
; COMPUTE_PGM_RSRC2:TGID_Y_EN: 1
; COMPUTE_PGM_RSRC2:TGID_Z_EN: 1
; COMPUTE_PGM_RSRC2:TIDIG_COMP_CNT: 0
; COMPUTE_PGM_RSRC3_GFX90A:ACCUM_OFFSET: 6
; COMPUTE_PGM_RSRC3_GFX90A:TG_SPLIT: 0
	.section	.text._ZN7rocprim17ROCPRIM_400000_NS6detail17trampoline_kernelINS0_14default_configENS1_38merge_sort_block_merge_config_selectorIbiEEZZNS1_27merge_sort_block_merge_implIS3_N6thrust23THRUST_200600_302600_NS6detail15normal_iteratorINS8_10device_ptrIbEEEENSA_INSB_IiEEEEjNS1_19radix_merge_compareILb0ELb0EbNS0_19identity_decomposerEEEEE10hipError_tT0_T1_T2_jT3_P12ihipStream_tbPNSt15iterator_traitsISK_E10value_typeEPNSQ_ISL_E10value_typeEPSM_NS1_7vsmem_tEENKUlT_SK_SL_SM_E_clISD_PbSF_PiEESJ_SZ_SK_SL_SM_EUlSZ_E0_NS1_11comp_targetILNS1_3genE10ELNS1_11target_archE1201ELNS1_3gpuE5ELNS1_3repE0EEENS1_38merge_mergepath_config_static_selectorELNS0_4arch9wavefront6targetE1EEEvSL_,"axG",@progbits,_ZN7rocprim17ROCPRIM_400000_NS6detail17trampoline_kernelINS0_14default_configENS1_38merge_sort_block_merge_config_selectorIbiEEZZNS1_27merge_sort_block_merge_implIS3_N6thrust23THRUST_200600_302600_NS6detail15normal_iteratorINS8_10device_ptrIbEEEENSA_INSB_IiEEEEjNS1_19radix_merge_compareILb0ELb0EbNS0_19identity_decomposerEEEEE10hipError_tT0_T1_T2_jT3_P12ihipStream_tbPNSt15iterator_traitsISK_E10value_typeEPNSQ_ISL_E10value_typeEPSM_NS1_7vsmem_tEENKUlT_SK_SL_SM_E_clISD_PbSF_PiEESJ_SZ_SK_SL_SM_EUlSZ_E0_NS1_11comp_targetILNS1_3genE10ELNS1_11target_archE1201ELNS1_3gpuE5ELNS1_3repE0EEENS1_38merge_mergepath_config_static_selectorELNS0_4arch9wavefront6targetE1EEEvSL_,comdat
	.protected	_ZN7rocprim17ROCPRIM_400000_NS6detail17trampoline_kernelINS0_14default_configENS1_38merge_sort_block_merge_config_selectorIbiEEZZNS1_27merge_sort_block_merge_implIS3_N6thrust23THRUST_200600_302600_NS6detail15normal_iteratorINS8_10device_ptrIbEEEENSA_INSB_IiEEEEjNS1_19radix_merge_compareILb0ELb0EbNS0_19identity_decomposerEEEEE10hipError_tT0_T1_T2_jT3_P12ihipStream_tbPNSt15iterator_traitsISK_E10value_typeEPNSQ_ISL_E10value_typeEPSM_NS1_7vsmem_tEENKUlT_SK_SL_SM_E_clISD_PbSF_PiEESJ_SZ_SK_SL_SM_EUlSZ_E0_NS1_11comp_targetILNS1_3genE10ELNS1_11target_archE1201ELNS1_3gpuE5ELNS1_3repE0EEENS1_38merge_mergepath_config_static_selectorELNS0_4arch9wavefront6targetE1EEEvSL_ ; -- Begin function _ZN7rocprim17ROCPRIM_400000_NS6detail17trampoline_kernelINS0_14default_configENS1_38merge_sort_block_merge_config_selectorIbiEEZZNS1_27merge_sort_block_merge_implIS3_N6thrust23THRUST_200600_302600_NS6detail15normal_iteratorINS8_10device_ptrIbEEEENSA_INSB_IiEEEEjNS1_19radix_merge_compareILb0ELb0EbNS0_19identity_decomposerEEEEE10hipError_tT0_T1_T2_jT3_P12ihipStream_tbPNSt15iterator_traitsISK_E10value_typeEPNSQ_ISL_E10value_typeEPSM_NS1_7vsmem_tEENKUlT_SK_SL_SM_E_clISD_PbSF_PiEESJ_SZ_SK_SL_SM_EUlSZ_E0_NS1_11comp_targetILNS1_3genE10ELNS1_11target_archE1201ELNS1_3gpuE5ELNS1_3repE0EEENS1_38merge_mergepath_config_static_selectorELNS0_4arch9wavefront6targetE1EEEvSL_
	.globl	_ZN7rocprim17ROCPRIM_400000_NS6detail17trampoline_kernelINS0_14default_configENS1_38merge_sort_block_merge_config_selectorIbiEEZZNS1_27merge_sort_block_merge_implIS3_N6thrust23THRUST_200600_302600_NS6detail15normal_iteratorINS8_10device_ptrIbEEEENSA_INSB_IiEEEEjNS1_19radix_merge_compareILb0ELb0EbNS0_19identity_decomposerEEEEE10hipError_tT0_T1_T2_jT3_P12ihipStream_tbPNSt15iterator_traitsISK_E10value_typeEPNSQ_ISL_E10value_typeEPSM_NS1_7vsmem_tEENKUlT_SK_SL_SM_E_clISD_PbSF_PiEESJ_SZ_SK_SL_SM_EUlSZ_E0_NS1_11comp_targetILNS1_3genE10ELNS1_11target_archE1201ELNS1_3gpuE5ELNS1_3repE0EEENS1_38merge_mergepath_config_static_selectorELNS0_4arch9wavefront6targetE1EEEvSL_
	.p2align	8
	.type	_ZN7rocprim17ROCPRIM_400000_NS6detail17trampoline_kernelINS0_14default_configENS1_38merge_sort_block_merge_config_selectorIbiEEZZNS1_27merge_sort_block_merge_implIS3_N6thrust23THRUST_200600_302600_NS6detail15normal_iteratorINS8_10device_ptrIbEEEENSA_INSB_IiEEEEjNS1_19radix_merge_compareILb0ELb0EbNS0_19identity_decomposerEEEEE10hipError_tT0_T1_T2_jT3_P12ihipStream_tbPNSt15iterator_traitsISK_E10value_typeEPNSQ_ISL_E10value_typeEPSM_NS1_7vsmem_tEENKUlT_SK_SL_SM_E_clISD_PbSF_PiEESJ_SZ_SK_SL_SM_EUlSZ_E0_NS1_11comp_targetILNS1_3genE10ELNS1_11target_archE1201ELNS1_3gpuE5ELNS1_3repE0EEENS1_38merge_mergepath_config_static_selectorELNS0_4arch9wavefront6targetE1EEEvSL_,@function
_ZN7rocprim17ROCPRIM_400000_NS6detail17trampoline_kernelINS0_14default_configENS1_38merge_sort_block_merge_config_selectorIbiEEZZNS1_27merge_sort_block_merge_implIS3_N6thrust23THRUST_200600_302600_NS6detail15normal_iteratorINS8_10device_ptrIbEEEENSA_INSB_IiEEEEjNS1_19radix_merge_compareILb0ELb0EbNS0_19identity_decomposerEEEEE10hipError_tT0_T1_T2_jT3_P12ihipStream_tbPNSt15iterator_traitsISK_E10value_typeEPNSQ_ISL_E10value_typeEPSM_NS1_7vsmem_tEENKUlT_SK_SL_SM_E_clISD_PbSF_PiEESJ_SZ_SK_SL_SM_EUlSZ_E0_NS1_11comp_targetILNS1_3genE10ELNS1_11target_archE1201ELNS1_3gpuE5ELNS1_3repE0EEENS1_38merge_mergepath_config_static_selectorELNS0_4arch9wavefront6targetE1EEEvSL_: ; @_ZN7rocprim17ROCPRIM_400000_NS6detail17trampoline_kernelINS0_14default_configENS1_38merge_sort_block_merge_config_selectorIbiEEZZNS1_27merge_sort_block_merge_implIS3_N6thrust23THRUST_200600_302600_NS6detail15normal_iteratorINS8_10device_ptrIbEEEENSA_INSB_IiEEEEjNS1_19radix_merge_compareILb0ELb0EbNS0_19identity_decomposerEEEEE10hipError_tT0_T1_T2_jT3_P12ihipStream_tbPNSt15iterator_traitsISK_E10value_typeEPNSQ_ISL_E10value_typeEPSM_NS1_7vsmem_tEENKUlT_SK_SL_SM_E_clISD_PbSF_PiEESJ_SZ_SK_SL_SM_EUlSZ_E0_NS1_11comp_targetILNS1_3genE10ELNS1_11target_archE1201ELNS1_3gpuE5ELNS1_3repE0EEENS1_38merge_mergepath_config_static_selectorELNS0_4arch9wavefront6targetE1EEEvSL_
; %bb.0:
	.section	.rodata,"a",@progbits
	.p2align	6, 0x0
	.amdhsa_kernel _ZN7rocprim17ROCPRIM_400000_NS6detail17trampoline_kernelINS0_14default_configENS1_38merge_sort_block_merge_config_selectorIbiEEZZNS1_27merge_sort_block_merge_implIS3_N6thrust23THRUST_200600_302600_NS6detail15normal_iteratorINS8_10device_ptrIbEEEENSA_INSB_IiEEEEjNS1_19radix_merge_compareILb0ELb0EbNS0_19identity_decomposerEEEEE10hipError_tT0_T1_T2_jT3_P12ihipStream_tbPNSt15iterator_traitsISK_E10value_typeEPNSQ_ISL_E10value_typeEPSM_NS1_7vsmem_tEENKUlT_SK_SL_SM_E_clISD_PbSF_PiEESJ_SZ_SK_SL_SM_EUlSZ_E0_NS1_11comp_targetILNS1_3genE10ELNS1_11target_archE1201ELNS1_3gpuE5ELNS1_3repE0EEENS1_38merge_mergepath_config_static_selectorELNS0_4arch9wavefront6targetE1EEEvSL_
		.amdhsa_group_segment_fixed_size 0
		.amdhsa_private_segment_fixed_size 0
		.amdhsa_kernarg_size 64
		.amdhsa_user_sgpr_count 2
		.amdhsa_user_sgpr_dispatch_ptr 0
		.amdhsa_user_sgpr_queue_ptr 0
		.amdhsa_user_sgpr_kernarg_segment_ptr 1
		.amdhsa_user_sgpr_dispatch_id 0
		.amdhsa_user_sgpr_kernarg_preload_length 0
		.amdhsa_user_sgpr_kernarg_preload_offset 0
		.amdhsa_user_sgpr_private_segment_size 0
		.amdhsa_uses_dynamic_stack 0
		.amdhsa_enable_private_segment 0
		.amdhsa_system_sgpr_workgroup_id_x 1
		.amdhsa_system_sgpr_workgroup_id_y 0
		.amdhsa_system_sgpr_workgroup_id_z 0
		.amdhsa_system_sgpr_workgroup_info 0
		.amdhsa_system_vgpr_workitem_id 0
		.amdhsa_next_free_vgpr 1
		.amdhsa_next_free_sgpr 0
		.amdhsa_accum_offset 4
		.amdhsa_reserve_vcc 0
		.amdhsa_float_round_mode_32 0
		.amdhsa_float_round_mode_16_64 0
		.amdhsa_float_denorm_mode_32 3
		.amdhsa_float_denorm_mode_16_64 3
		.amdhsa_dx10_clamp 1
		.amdhsa_ieee_mode 1
		.amdhsa_fp16_overflow 0
		.amdhsa_tg_split 0
		.amdhsa_exception_fp_ieee_invalid_op 0
		.amdhsa_exception_fp_denorm_src 0
		.amdhsa_exception_fp_ieee_div_zero 0
		.amdhsa_exception_fp_ieee_overflow 0
		.amdhsa_exception_fp_ieee_underflow 0
		.amdhsa_exception_fp_ieee_inexact 0
		.amdhsa_exception_int_div_zero 0
	.end_amdhsa_kernel
	.section	.text._ZN7rocprim17ROCPRIM_400000_NS6detail17trampoline_kernelINS0_14default_configENS1_38merge_sort_block_merge_config_selectorIbiEEZZNS1_27merge_sort_block_merge_implIS3_N6thrust23THRUST_200600_302600_NS6detail15normal_iteratorINS8_10device_ptrIbEEEENSA_INSB_IiEEEEjNS1_19radix_merge_compareILb0ELb0EbNS0_19identity_decomposerEEEEE10hipError_tT0_T1_T2_jT3_P12ihipStream_tbPNSt15iterator_traitsISK_E10value_typeEPNSQ_ISL_E10value_typeEPSM_NS1_7vsmem_tEENKUlT_SK_SL_SM_E_clISD_PbSF_PiEESJ_SZ_SK_SL_SM_EUlSZ_E0_NS1_11comp_targetILNS1_3genE10ELNS1_11target_archE1201ELNS1_3gpuE5ELNS1_3repE0EEENS1_38merge_mergepath_config_static_selectorELNS0_4arch9wavefront6targetE1EEEvSL_,"axG",@progbits,_ZN7rocprim17ROCPRIM_400000_NS6detail17trampoline_kernelINS0_14default_configENS1_38merge_sort_block_merge_config_selectorIbiEEZZNS1_27merge_sort_block_merge_implIS3_N6thrust23THRUST_200600_302600_NS6detail15normal_iteratorINS8_10device_ptrIbEEEENSA_INSB_IiEEEEjNS1_19radix_merge_compareILb0ELb0EbNS0_19identity_decomposerEEEEE10hipError_tT0_T1_T2_jT3_P12ihipStream_tbPNSt15iterator_traitsISK_E10value_typeEPNSQ_ISL_E10value_typeEPSM_NS1_7vsmem_tEENKUlT_SK_SL_SM_E_clISD_PbSF_PiEESJ_SZ_SK_SL_SM_EUlSZ_E0_NS1_11comp_targetILNS1_3genE10ELNS1_11target_archE1201ELNS1_3gpuE5ELNS1_3repE0EEENS1_38merge_mergepath_config_static_selectorELNS0_4arch9wavefront6targetE1EEEvSL_,comdat
.Lfunc_end1942:
	.size	_ZN7rocprim17ROCPRIM_400000_NS6detail17trampoline_kernelINS0_14default_configENS1_38merge_sort_block_merge_config_selectorIbiEEZZNS1_27merge_sort_block_merge_implIS3_N6thrust23THRUST_200600_302600_NS6detail15normal_iteratorINS8_10device_ptrIbEEEENSA_INSB_IiEEEEjNS1_19radix_merge_compareILb0ELb0EbNS0_19identity_decomposerEEEEE10hipError_tT0_T1_T2_jT3_P12ihipStream_tbPNSt15iterator_traitsISK_E10value_typeEPNSQ_ISL_E10value_typeEPSM_NS1_7vsmem_tEENKUlT_SK_SL_SM_E_clISD_PbSF_PiEESJ_SZ_SK_SL_SM_EUlSZ_E0_NS1_11comp_targetILNS1_3genE10ELNS1_11target_archE1201ELNS1_3gpuE5ELNS1_3repE0EEENS1_38merge_mergepath_config_static_selectorELNS0_4arch9wavefront6targetE1EEEvSL_, .Lfunc_end1942-_ZN7rocprim17ROCPRIM_400000_NS6detail17trampoline_kernelINS0_14default_configENS1_38merge_sort_block_merge_config_selectorIbiEEZZNS1_27merge_sort_block_merge_implIS3_N6thrust23THRUST_200600_302600_NS6detail15normal_iteratorINS8_10device_ptrIbEEEENSA_INSB_IiEEEEjNS1_19radix_merge_compareILb0ELb0EbNS0_19identity_decomposerEEEEE10hipError_tT0_T1_T2_jT3_P12ihipStream_tbPNSt15iterator_traitsISK_E10value_typeEPNSQ_ISL_E10value_typeEPSM_NS1_7vsmem_tEENKUlT_SK_SL_SM_E_clISD_PbSF_PiEESJ_SZ_SK_SL_SM_EUlSZ_E0_NS1_11comp_targetILNS1_3genE10ELNS1_11target_archE1201ELNS1_3gpuE5ELNS1_3repE0EEENS1_38merge_mergepath_config_static_selectorELNS0_4arch9wavefront6targetE1EEEvSL_
                                        ; -- End function
	.set _ZN7rocprim17ROCPRIM_400000_NS6detail17trampoline_kernelINS0_14default_configENS1_38merge_sort_block_merge_config_selectorIbiEEZZNS1_27merge_sort_block_merge_implIS3_N6thrust23THRUST_200600_302600_NS6detail15normal_iteratorINS8_10device_ptrIbEEEENSA_INSB_IiEEEEjNS1_19radix_merge_compareILb0ELb0EbNS0_19identity_decomposerEEEEE10hipError_tT0_T1_T2_jT3_P12ihipStream_tbPNSt15iterator_traitsISK_E10value_typeEPNSQ_ISL_E10value_typeEPSM_NS1_7vsmem_tEENKUlT_SK_SL_SM_E_clISD_PbSF_PiEESJ_SZ_SK_SL_SM_EUlSZ_E0_NS1_11comp_targetILNS1_3genE10ELNS1_11target_archE1201ELNS1_3gpuE5ELNS1_3repE0EEENS1_38merge_mergepath_config_static_selectorELNS0_4arch9wavefront6targetE1EEEvSL_.num_vgpr, 0
	.set _ZN7rocprim17ROCPRIM_400000_NS6detail17trampoline_kernelINS0_14default_configENS1_38merge_sort_block_merge_config_selectorIbiEEZZNS1_27merge_sort_block_merge_implIS3_N6thrust23THRUST_200600_302600_NS6detail15normal_iteratorINS8_10device_ptrIbEEEENSA_INSB_IiEEEEjNS1_19radix_merge_compareILb0ELb0EbNS0_19identity_decomposerEEEEE10hipError_tT0_T1_T2_jT3_P12ihipStream_tbPNSt15iterator_traitsISK_E10value_typeEPNSQ_ISL_E10value_typeEPSM_NS1_7vsmem_tEENKUlT_SK_SL_SM_E_clISD_PbSF_PiEESJ_SZ_SK_SL_SM_EUlSZ_E0_NS1_11comp_targetILNS1_3genE10ELNS1_11target_archE1201ELNS1_3gpuE5ELNS1_3repE0EEENS1_38merge_mergepath_config_static_selectorELNS0_4arch9wavefront6targetE1EEEvSL_.num_agpr, 0
	.set _ZN7rocprim17ROCPRIM_400000_NS6detail17trampoline_kernelINS0_14default_configENS1_38merge_sort_block_merge_config_selectorIbiEEZZNS1_27merge_sort_block_merge_implIS3_N6thrust23THRUST_200600_302600_NS6detail15normal_iteratorINS8_10device_ptrIbEEEENSA_INSB_IiEEEEjNS1_19radix_merge_compareILb0ELb0EbNS0_19identity_decomposerEEEEE10hipError_tT0_T1_T2_jT3_P12ihipStream_tbPNSt15iterator_traitsISK_E10value_typeEPNSQ_ISL_E10value_typeEPSM_NS1_7vsmem_tEENKUlT_SK_SL_SM_E_clISD_PbSF_PiEESJ_SZ_SK_SL_SM_EUlSZ_E0_NS1_11comp_targetILNS1_3genE10ELNS1_11target_archE1201ELNS1_3gpuE5ELNS1_3repE0EEENS1_38merge_mergepath_config_static_selectorELNS0_4arch9wavefront6targetE1EEEvSL_.numbered_sgpr, 0
	.set _ZN7rocprim17ROCPRIM_400000_NS6detail17trampoline_kernelINS0_14default_configENS1_38merge_sort_block_merge_config_selectorIbiEEZZNS1_27merge_sort_block_merge_implIS3_N6thrust23THRUST_200600_302600_NS6detail15normal_iteratorINS8_10device_ptrIbEEEENSA_INSB_IiEEEEjNS1_19radix_merge_compareILb0ELb0EbNS0_19identity_decomposerEEEEE10hipError_tT0_T1_T2_jT3_P12ihipStream_tbPNSt15iterator_traitsISK_E10value_typeEPNSQ_ISL_E10value_typeEPSM_NS1_7vsmem_tEENKUlT_SK_SL_SM_E_clISD_PbSF_PiEESJ_SZ_SK_SL_SM_EUlSZ_E0_NS1_11comp_targetILNS1_3genE10ELNS1_11target_archE1201ELNS1_3gpuE5ELNS1_3repE0EEENS1_38merge_mergepath_config_static_selectorELNS0_4arch9wavefront6targetE1EEEvSL_.num_named_barrier, 0
	.set _ZN7rocprim17ROCPRIM_400000_NS6detail17trampoline_kernelINS0_14default_configENS1_38merge_sort_block_merge_config_selectorIbiEEZZNS1_27merge_sort_block_merge_implIS3_N6thrust23THRUST_200600_302600_NS6detail15normal_iteratorINS8_10device_ptrIbEEEENSA_INSB_IiEEEEjNS1_19radix_merge_compareILb0ELb0EbNS0_19identity_decomposerEEEEE10hipError_tT0_T1_T2_jT3_P12ihipStream_tbPNSt15iterator_traitsISK_E10value_typeEPNSQ_ISL_E10value_typeEPSM_NS1_7vsmem_tEENKUlT_SK_SL_SM_E_clISD_PbSF_PiEESJ_SZ_SK_SL_SM_EUlSZ_E0_NS1_11comp_targetILNS1_3genE10ELNS1_11target_archE1201ELNS1_3gpuE5ELNS1_3repE0EEENS1_38merge_mergepath_config_static_selectorELNS0_4arch9wavefront6targetE1EEEvSL_.private_seg_size, 0
	.set _ZN7rocprim17ROCPRIM_400000_NS6detail17trampoline_kernelINS0_14default_configENS1_38merge_sort_block_merge_config_selectorIbiEEZZNS1_27merge_sort_block_merge_implIS3_N6thrust23THRUST_200600_302600_NS6detail15normal_iteratorINS8_10device_ptrIbEEEENSA_INSB_IiEEEEjNS1_19radix_merge_compareILb0ELb0EbNS0_19identity_decomposerEEEEE10hipError_tT0_T1_T2_jT3_P12ihipStream_tbPNSt15iterator_traitsISK_E10value_typeEPNSQ_ISL_E10value_typeEPSM_NS1_7vsmem_tEENKUlT_SK_SL_SM_E_clISD_PbSF_PiEESJ_SZ_SK_SL_SM_EUlSZ_E0_NS1_11comp_targetILNS1_3genE10ELNS1_11target_archE1201ELNS1_3gpuE5ELNS1_3repE0EEENS1_38merge_mergepath_config_static_selectorELNS0_4arch9wavefront6targetE1EEEvSL_.uses_vcc, 0
	.set _ZN7rocprim17ROCPRIM_400000_NS6detail17trampoline_kernelINS0_14default_configENS1_38merge_sort_block_merge_config_selectorIbiEEZZNS1_27merge_sort_block_merge_implIS3_N6thrust23THRUST_200600_302600_NS6detail15normal_iteratorINS8_10device_ptrIbEEEENSA_INSB_IiEEEEjNS1_19radix_merge_compareILb0ELb0EbNS0_19identity_decomposerEEEEE10hipError_tT0_T1_T2_jT3_P12ihipStream_tbPNSt15iterator_traitsISK_E10value_typeEPNSQ_ISL_E10value_typeEPSM_NS1_7vsmem_tEENKUlT_SK_SL_SM_E_clISD_PbSF_PiEESJ_SZ_SK_SL_SM_EUlSZ_E0_NS1_11comp_targetILNS1_3genE10ELNS1_11target_archE1201ELNS1_3gpuE5ELNS1_3repE0EEENS1_38merge_mergepath_config_static_selectorELNS0_4arch9wavefront6targetE1EEEvSL_.uses_flat_scratch, 0
	.set _ZN7rocprim17ROCPRIM_400000_NS6detail17trampoline_kernelINS0_14default_configENS1_38merge_sort_block_merge_config_selectorIbiEEZZNS1_27merge_sort_block_merge_implIS3_N6thrust23THRUST_200600_302600_NS6detail15normal_iteratorINS8_10device_ptrIbEEEENSA_INSB_IiEEEEjNS1_19radix_merge_compareILb0ELb0EbNS0_19identity_decomposerEEEEE10hipError_tT0_T1_T2_jT3_P12ihipStream_tbPNSt15iterator_traitsISK_E10value_typeEPNSQ_ISL_E10value_typeEPSM_NS1_7vsmem_tEENKUlT_SK_SL_SM_E_clISD_PbSF_PiEESJ_SZ_SK_SL_SM_EUlSZ_E0_NS1_11comp_targetILNS1_3genE10ELNS1_11target_archE1201ELNS1_3gpuE5ELNS1_3repE0EEENS1_38merge_mergepath_config_static_selectorELNS0_4arch9wavefront6targetE1EEEvSL_.has_dyn_sized_stack, 0
	.set _ZN7rocprim17ROCPRIM_400000_NS6detail17trampoline_kernelINS0_14default_configENS1_38merge_sort_block_merge_config_selectorIbiEEZZNS1_27merge_sort_block_merge_implIS3_N6thrust23THRUST_200600_302600_NS6detail15normal_iteratorINS8_10device_ptrIbEEEENSA_INSB_IiEEEEjNS1_19radix_merge_compareILb0ELb0EbNS0_19identity_decomposerEEEEE10hipError_tT0_T1_T2_jT3_P12ihipStream_tbPNSt15iterator_traitsISK_E10value_typeEPNSQ_ISL_E10value_typeEPSM_NS1_7vsmem_tEENKUlT_SK_SL_SM_E_clISD_PbSF_PiEESJ_SZ_SK_SL_SM_EUlSZ_E0_NS1_11comp_targetILNS1_3genE10ELNS1_11target_archE1201ELNS1_3gpuE5ELNS1_3repE0EEENS1_38merge_mergepath_config_static_selectorELNS0_4arch9wavefront6targetE1EEEvSL_.has_recursion, 0
	.set _ZN7rocprim17ROCPRIM_400000_NS6detail17trampoline_kernelINS0_14default_configENS1_38merge_sort_block_merge_config_selectorIbiEEZZNS1_27merge_sort_block_merge_implIS3_N6thrust23THRUST_200600_302600_NS6detail15normal_iteratorINS8_10device_ptrIbEEEENSA_INSB_IiEEEEjNS1_19radix_merge_compareILb0ELb0EbNS0_19identity_decomposerEEEEE10hipError_tT0_T1_T2_jT3_P12ihipStream_tbPNSt15iterator_traitsISK_E10value_typeEPNSQ_ISL_E10value_typeEPSM_NS1_7vsmem_tEENKUlT_SK_SL_SM_E_clISD_PbSF_PiEESJ_SZ_SK_SL_SM_EUlSZ_E0_NS1_11comp_targetILNS1_3genE10ELNS1_11target_archE1201ELNS1_3gpuE5ELNS1_3repE0EEENS1_38merge_mergepath_config_static_selectorELNS0_4arch9wavefront6targetE1EEEvSL_.has_indirect_call, 0
	.section	.AMDGPU.csdata,"",@progbits
; Kernel info:
; codeLenInByte = 0
; TotalNumSgprs: 6
; NumVgprs: 0
; NumAgprs: 0
; TotalNumVgprs: 0
; ScratchSize: 0
; MemoryBound: 0
; FloatMode: 240
; IeeeMode: 1
; LDSByteSize: 0 bytes/workgroup (compile time only)
; SGPRBlocks: 0
; VGPRBlocks: 0
; NumSGPRsForWavesPerEU: 6
; NumVGPRsForWavesPerEU: 1
; AccumOffset: 4
; Occupancy: 8
; WaveLimiterHint : 0
; COMPUTE_PGM_RSRC2:SCRATCH_EN: 0
; COMPUTE_PGM_RSRC2:USER_SGPR: 2
; COMPUTE_PGM_RSRC2:TRAP_HANDLER: 0
; COMPUTE_PGM_RSRC2:TGID_X_EN: 1
; COMPUTE_PGM_RSRC2:TGID_Y_EN: 0
; COMPUTE_PGM_RSRC2:TGID_Z_EN: 0
; COMPUTE_PGM_RSRC2:TIDIG_COMP_CNT: 0
; COMPUTE_PGM_RSRC3_GFX90A:ACCUM_OFFSET: 0
; COMPUTE_PGM_RSRC3_GFX90A:TG_SPLIT: 0
	.section	.text._ZN7rocprim17ROCPRIM_400000_NS6detail17trampoline_kernelINS0_14default_configENS1_38merge_sort_block_merge_config_selectorIbiEEZZNS1_27merge_sort_block_merge_implIS3_N6thrust23THRUST_200600_302600_NS6detail15normal_iteratorINS8_10device_ptrIbEEEENSA_INSB_IiEEEEjNS1_19radix_merge_compareILb0ELb0EbNS0_19identity_decomposerEEEEE10hipError_tT0_T1_T2_jT3_P12ihipStream_tbPNSt15iterator_traitsISK_E10value_typeEPNSQ_ISL_E10value_typeEPSM_NS1_7vsmem_tEENKUlT_SK_SL_SM_E_clISD_PbSF_PiEESJ_SZ_SK_SL_SM_EUlSZ_E0_NS1_11comp_targetILNS1_3genE5ELNS1_11target_archE942ELNS1_3gpuE9ELNS1_3repE0EEENS1_38merge_mergepath_config_static_selectorELNS0_4arch9wavefront6targetE1EEEvSL_,"axG",@progbits,_ZN7rocprim17ROCPRIM_400000_NS6detail17trampoline_kernelINS0_14default_configENS1_38merge_sort_block_merge_config_selectorIbiEEZZNS1_27merge_sort_block_merge_implIS3_N6thrust23THRUST_200600_302600_NS6detail15normal_iteratorINS8_10device_ptrIbEEEENSA_INSB_IiEEEEjNS1_19radix_merge_compareILb0ELb0EbNS0_19identity_decomposerEEEEE10hipError_tT0_T1_T2_jT3_P12ihipStream_tbPNSt15iterator_traitsISK_E10value_typeEPNSQ_ISL_E10value_typeEPSM_NS1_7vsmem_tEENKUlT_SK_SL_SM_E_clISD_PbSF_PiEESJ_SZ_SK_SL_SM_EUlSZ_E0_NS1_11comp_targetILNS1_3genE5ELNS1_11target_archE942ELNS1_3gpuE9ELNS1_3repE0EEENS1_38merge_mergepath_config_static_selectorELNS0_4arch9wavefront6targetE1EEEvSL_,comdat
	.protected	_ZN7rocprim17ROCPRIM_400000_NS6detail17trampoline_kernelINS0_14default_configENS1_38merge_sort_block_merge_config_selectorIbiEEZZNS1_27merge_sort_block_merge_implIS3_N6thrust23THRUST_200600_302600_NS6detail15normal_iteratorINS8_10device_ptrIbEEEENSA_INSB_IiEEEEjNS1_19radix_merge_compareILb0ELb0EbNS0_19identity_decomposerEEEEE10hipError_tT0_T1_T2_jT3_P12ihipStream_tbPNSt15iterator_traitsISK_E10value_typeEPNSQ_ISL_E10value_typeEPSM_NS1_7vsmem_tEENKUlT_SK_SL_SM_E_clISD_PbSF_PiEESJ_SZ_SK_SL_SM_EUlSZ_E0_NS1_11comp_targetILNS1_3genE5ELNS1_11target_archE942ELNS1_3gpuE9ELNS1_3repE0EEENS1_38merge_mergepath_config_static_selectorELNS0_4arch9wavefront6targetE1EEEvSL_ ; -- Begin function _ZN7rocprim17ROCPRIM_400000_NS6detail17trampoline_kernelINS0_14default_configENS1_38merge_sort_block_merge_config_selectorIbiEEZZNS1_27merge_sort_block_merge_implIS3_N6thrust23THRUST_200600_302600_NS6detail15normal_iteratorINS8_10device_ptrIbEEEENSA_INSB_IiEEEEjNS1_19radix_merge_compareILb0ELb0EbNS0_19identity_decomposerEEEEE10hipError_tT0_T1_T2_jT3_P12ihipStream_tbPNSt15iterator_traitsISK_E10value_typeEPNSQ_ISL_E10value_typeEPSM_NS1_7vsmem_tEENKUlT_SK_SL_SM_E_clISD_PbSF_PiEESJ_SZ_SK_SL_SM_EUlSZ_E0_NS1_11comp_targetILNS1_3genE5ELNS1_11target_archE942ELNS1_3gpuE9ELNS1_3repE0EEENS1_38merge_mergepath_config_static_selectorELNS0_4arch9wavefront6targetE1EEEvSL_
	.globl	_ZN7rocprim17ROCPRIM_400000_NS6detail17trampoline_kernelINS0_14default_configENS1_38merge_sort_block_merge_config_selectorIbiEEZZNS1_27merge_sort_block_merge_implIS3_N6thrust23THRUST_200600_302600_NS6detail15normal_iteratorINS8_10device_ptrIbEEEENSA_INSB_IiEEEEjNS1_19radix_merge_compareILb0ELb0EbNS0_19identity_decomposerEEEEE10hipError_tT0_T1_T2_jT3_P12ihipStream_tbPNSt15iterator_traitsISK_E10value_typeEPNSQ_ISL_E10value_typeEPSM_NS1_7vsmem_tEENKUlT_SK_SL_SM_E_clISD_PbSF_PiEESJ_SZ_SK_SL_SM_EUlSZ_E0_NS1_11comp_targetILNS1_3genE5ELNS1_11target_archE942ELNS1_3gpuE9ELNS1_3repE0EEENS1_38merge_mergepath_config_static_selectorELNS0_4arch9wavefront6targetE1EEEvSL_
	.p2align	8
	.type	_ZN7rocprim17ROCPRIM_400000_NS6detail17trampoline_kernelINS0_14default_configENS1_38merge_sort_block_merge_config_selectorIbiEEZZNS1_27merge_sort_block_merge_implIS3_N6thrust23THRUST_200600_302600_NS6detail15normal_iteratorINS8_10device_ptrIbEEEENSA_INSB_IiEEEEjNS1_19radix_merge_compareILb0ELb0EbNS0_19identity_decomposerEEEEE10hipError_tT0_T1_T2_jT3_P12ihipStream_tbPNSt15iterator_traitsISK_E10value_typeEPNSQ_ISL_E10value_typeEPSM_NS1_7vsmem_tEENKUlT_SK_SL_SM_E_clISD_PbSF_PiEESJ_SZ_SK_SL_SM_EUlSZ_E0_NS1_11comp_targetILNS1_3genE5ELNS1_11target_archE942ELNS1_3gpuE9ELNS1_3repE0EEENS1_38merge_mergepath_config_static_selectorELNS0_4arch9wavefront6targetE1EEEvSL_,@function
_ZN7rocprim17ROCPRIM_400000_NS6detail17trampoline_kernelINS0_14default_configENS1_38merge_sort_block_merge_config_selectorIbiEEZZNS1_27merge_sort_block_merge_implIS3_N6thrust23THRUST_200600_302600_NS6detail15normal_iteratorINS8_10device_ptrIbEEEENSA_INSB_IiEEEEjNS1_19radix_merge_compareILb0ELb0EbNS0_19identity_decomposerEEEEE10hipError_tT0_T1_T2_jT3_P12ihipStream_tbPNSt15iterator_traitsISK_E10value_typeEPNSQ_ISL_E10value_typeEPSM_NS1_7vsmem_tEENKUlT_SK_SL_SM_E_clISD_PbSF_PiEESJ_SZ_SK_SL_SM_EUlSZ_E0_NS1_11comp_targetILNS1_3genE5ELNS1_11target_archE942ELNS1_3gpuE9ELNS1_3repE0EEENS1_38merge_mergepath_config_static_selectorELNS0_4arch9wavefront6targetE1EEEvSL_: ; @_ZN7rocprim17ROCPRIM_400000_NS6detail17trampoline_kernelINS0_14default_configENS1_38merge_sort_block_merge_config_selectorIbiEEZZNS1_27merge_sort_block_merge_implIS3_N6thrust23THRUST_200600_302600_NS6detail15normal_iteratorINS8_10device_ptrIbEEEENSA_INSB_IiEEEEjNS1_19radix_merge_compareILb0ELb0EbNS0_19identity_decomposerEEEEE10hipError_tT0_T1_T2_jT3_P12ihipStream_tbPNSt15iterator_traitsISK_E10value_typeEPNSQ_ISL_E10value_typeEPSM_NS1_7vsmem_tEENKUlT_SK_SL_SM_E_clISD_PbSF_PiEESJ_SZ_SK_SL_SM_EUlSZ_E0_NS1_11comp_targetILNS1_3genE5ELNS1_11target_archE942ELNS1_3gpuE9ELNS1_3repE0EEENS1_38merge_mergepath_config_static_selectorELNS0_4arch9wavefront6targetE1EEEvSL_
; %bb.0:
	.section	.rodata,"a",@progbits
	.p2align	6, 0x0
	.amdhsa_kernel _ZN7rocprim17ROCPRIM_400000_NS6detail17trampoline_kernelINS0_14default_configENS1_38merge_sort_block_merge_config_selectorIbiEEZZNS1_27merge_sort_block_merge_implIS3_N6thrust23THRUST_200600_302600_NS6detail15normal_iteratorINS8_10device_ptrIbEEEENSA_INSB_IiEEEEjNS1_19radix_merge_compareILb0ELb0EbNS0_19identity_decomposerEEEEE10hipError_tT0_T1_T2_jT3_P12ihipStream_tbPNSt15iterator_traitsISK_E10value_typeEPNSQ_ISL_E10value_typeEPSM_NS1_7vsmem_tEENKUlT_SK_SL_SM_E_clISD_PbSF_PiEESJ_SZ_SK_SL_SM_EUlSZ_E0_NS1_11comp_targetILNS1_3genE5ELNS1_11target_archE942ELNS1_3gpuE9ELNS1_3repE0EEENS1_38merge_mergepath_config_static_selectorELNS0_4arch9wavefront6targetE1EEEvSL_
		.amdhsa_group_segment_fixed_size 0
		.amdhsa_private_segment_fixed_size 0
		.amdhsa_kernarg_size 64
		.amdhsa_user_sgpr_count 2
		.amdhsa_user_sgpr_dispatch_ptr 0
		.amdhsa_user_sgpr_queue_ptr 0
		.amdhsa_user_sgpr_kernarg_segment_ptr 1
		.amdhsa_user_sgpr_dispatch_id 0
		.amdhsa_user_sgpr_kernarg_preload_length 0
		.amdhsa_user_sgpr_kernarg_preload_offset 0
		.amdhsa_user_sgpr_private_segment_size 0
		.amdhsa_uses_dynamic_stack 0
		.amdhsa_enable_private_segment 0
		.amdhsa_system_sgpr_workgroup_id_x 1
		.amdhsa_system_sgpr_workgroup_id_y 0
		.amdhsa_system_sgpr_workgroup_id_z 0
		.amdhsa_system_sgpr_workgroup_info 0
		.amdhsa_system_vgpr_workitem_id 0
		.amdhsa_next_free_vgpr 1
		.amdhsa_next_free_sgpr 0
		.amdhsa_accum_offset 4
		.amdhsa_reserve_vcc 0
		.amdhsa_float_round_mode_32 0
		.amdhsa_float_round_mode_16_64 0
		.amdhsa_float_denorm_mode_32 3
		.amdhsa_float_denorm_mode_16_64 3
		.amdhsa_dx10_clamp 1
		.amdhsa_ieee_mode 1
		.amdhsa_fp16_overflow 0
		.amdhsa_tg_split 0
		.amdhsa_exception_fp_ieee_invalid_op 0
		.amdhsa_exception_fp_denorm_src 0
		.amdhsa_exception_fp_ieee_div_zero 0
		.amdhsa_exception_fp_ieee_overflow 0
		.amdhsa_exception_fp_ieee_underflow 0
		.amdhsa_exception_fp_ieee_inexact 0
		.amdhsa_exception_int_div_zero 0
	.end_amdhsa_kernel
	.section	.text._ZN7rocprim17ROCPRIM_400000_NS6detail17trampoline_kernelINS0_14default_configENS1_38merge_sort_block_merge_config_selectorIbiEEZZNS1_27merge_sort_block_merge_implIS3_N6thrust23THRUST_200600_302600_NS6detail15normal_iteratorINS8_10device_ptrIbEEEENSA_INSB_IiEEEEjNS1_19radix_merge_compareILb0ELb0EbNS0_19identity_decomposerEEEEE10hipError_tT0_T1_T2_jT3_P12ihipStream_tbPNSt15iterator_traitsISK_E10value_typeEPNSQ_ISL_E10value_typeEPSM_NS1_7vsmem_tEENKUlT_SK_SL_SM_E_clISD_PbSF_PiEESJ_SZ_SK_SL_SM_EUlSZ_E0_NS1_11comp_targetILNS1_3genE5ELNS1_11target_archE942ELNS1_3gpuE9ELNS1_3repE0EEENS1_38merge_mergepath_config_static_selectorELNS0_4arch9wavefront6targetE1EEEvSL_,"axG",@progbits,_ZN7rocprim17ROCPRIM_400000_NS6detail17trampoline_kernelINS0_14default_configENS1_38merge_sort_block_merge_config_selectorIbiEEZZNS1_27merge_sort_block_merge_implIS3_N6thrust23THRUST_200600_302600_NS6detail15normal_iteratorINS8_10device_ptrIbEEEENSA_INSB_IiEEEEjNS1_19radix_merge_compareILb0ELb0EbNS0_19identity_decomposerEEEEE10hipError_tT0_T1_T2_jT3_P12ihipStream_tbPNSt15iterator_traitsISK_E10value_typeEPNSQ_ISL_E10value_typeEPSM_NS1_7vsmem_tEENKUlT_SK_SL_SM_E_clISD_PbSF_PiEESJ_SZ_SK_SL_SM_EUlSZ_E0_NS1_11comp_targetILNS1_3genE5ELNS1_11target_archE942ELNS1_3gpuE9ELNS1_3repE0EEENS1_38merge_mergepath_config_static_selectorELNS0_4arch9wavefront6targetE1EEEvSL_,comdat
.Lfunc_end1943:
	.size	_ZN7rocprim17ROCPRIM_400000_NS6detail17trampoline_kernelINS0_14default_configENS1_38merge_sort_block_merge_config_selectorIbiEEZZNS1_27merge_sort_block_merge_implIS3_N6thrust23THRUST_200600_302600_NS6detail15normal_iteratorINS8_10device_ptrIbEEEENSA_INSB_IiEEEEjNS1_19radix_merge_compareILb0ELb0EbNS0_19identity_decomposerEEEEE10hipError_tT0_T1_T2_jT3_P12ihipStream_tbPNSt15iterator_traitsISK_E10value_typeEPNSQ_ISL_E10value_typeEPSM_NS1_7vsmem_tEENKUlT_SK_SL_SM_E_clISD_PbSF_PiEESJ_SZ_SK_SL_SM_EUlSZ_E0_NS1_11comp_targetILNS1_3genE5ELNS1_11target_archE942ELNS1_3gpuE9ELNS1_3repE0EEENS1_38merge_mergepath_config_static_selectorELNS0_4arch9wavefront6targetE1EEEvSL_, .Lfunc_end1943-_ZN7rocprim17ROCPRIM_400000_NS6detail17trampoline_kernelINS0_14default_configENS1_38merge_sort_block_merge_config_selectorIbiEEZZNS1_27merge_sort_block_merge_implIS3_N6thrust23THRUST_200600_302600_NS6detail15normal_iteratorINS8_10device_ptrIbEEEENSA_INSB_IiEEEEjNS1_19radix_merge_compareILb0ELb0EbNS0_19identity_decomposerEEEEE10hipError_tT0_T1_T2_jT3_P12ihipStream_tbPNSt15iterator_traitsISK_E10value_typeEPNSQ_ISL_E10value_typeEPSM_NS1_7vsmem_tEENKUlT_SK_SL_SM_E_clISD_PbSF_PiEESJ_SZ_SK_SL_SM_EUlSZ_E0_NS1_11comp_targetILNS1_3genE5ELNS1_11target_archE942ELNS1_3gpuE9ELNS1_3repE0EEENS1_38merge_mergepath_config_static_selectorELNS0_4arch9wavefront6targetE1EEEvSL_
                                        ; -- End function
	.set _ZN7rocprim17ROCPRIM_400000_NS6detail17trampoline_kernelINS0_14default_configENS1_38merge_sort_block_merge_config_selectorIbiEEZZNS1_27merge_sort_block_merge_implIS3_N6thrust23THRUST_200600_302600_NS6detail15normal_iteratorINS8_10device_ptrIbEEEENSA_INSB_IiEEEEjNS1_19radix_merge_compareILb0ELb0EbNS0_19identity_decomposerEEEEE10hipError_tT0_T1_T2_jT3_P12ihipStream_tbPNSt15iterator_traitsISK_E10value_typeEPNSQ_ISL_E10value_typeEPSM_NS1_7vsmem_tEENKUlT_SK_SL_SM_E_clISD_PbSF_PiEESJ_SZ_SK_SL_SM_EUlSZ_E0_NS1_11comp_targetILNS1_3genE5ELNS1_11target_archE942ELNS1_3gpuE9ELNS1_3repE0EEENS1_38merge_mergepath_config_static_selectorELNS0_4arch9wavefront6targetE1EEEvSL_.num_vgpr, 0
	.set _ZN7rocprim17ROCPRIM_400000_NS6detail17trampoline_kernelINS0_14default_configENS1_38merge_sort_block_merge_config_selectorIbiEEZZNS1_27merge_sort_block_merge_implIS3_N6thrust23THRUST_200600_302600_NS6detail15normal_iteratorINS8_10device_ptrIbEEEENSA_INSB_IiEEEEjNS1_19radix_merge_compareILb0ELb0EbNS0_19identity_decomposerEEEEE10hipError_tT0_T1_T2_jT3_P12ihipStream_tbPNSt15iterator_traitsISK_E10value_typeEPNSQ_ISL_E10value_typeEPSM_NS1_7vsmem_tEENKUlT_SK_SL_SM_E_clISD_PbSF_PiEESJ_SZ_SK_SL_SM_EUlSZ_E0_NS1_11comp_targetILNS1_3genE5ELNS1_11target_archE942ELNS1_3gpuE9ELNS1_3repE0EEENS1_38merge_mergepath_config_static_selectorELNS0_4arch9wavefront6targetE1EEEvSL_.num_agpr, 0
	.set _ZN7rocprim17ROCPRIM_400000_NS6detail17trampoline_kernelINS0_14default_configENS1_38merge_sort_block_merge_config_selectorIbiEEZZNS1_27merge_sort_block_merge_implIS3_N6thrust23THRUST_200600_302600_NS6detail15normal_iteratorINS8_10device_ptrIbEEEENSA_INSB_IiEEEEjNS1_19radix_merge_compareILb0ELb0EbNS0_19identity_decomposerEEEEE10hipError_tT0_T1_T2_jT3_P12ihipStream_tbPNSt15iterator_traitsISK_E10value_typeEPNSQ_ISL_E10value_typeEPSM_NS1_7vsmem_tEENKUlT_SK_SL_SM_E_clISD_PbSF_PiEESJ_SZ_SK_SL_SM_EUlSZ_E0_NS1_11comp_targetILNS1_3genE5ELNS1_11target_archE942ELNS1_3gpuE9ELNS1_3repE0EEENS1_38merge_mergepath_config_static_selectorELNS0_4arch9wavefront6targetE1EEEvSL_.numbered_sgpr, 0
	.set _ZN7rocprim17ROCPRIM_400000_NS6detail17trampoline_kernelINS0_14default_configENS1_38merge_sort_block_merge_config_selectorIbiEEZZNS1_27merge_sort_block_merge_implIS3_N6thrust23THRUST_200600_302600_NS6detail15normal_iteratorINS8_10device_ptrIbEEEENSA_INSB_IiEEEEjNS1_19radix_merge_compareILb0ELb0EbNS0_19identity_decomposerEEEEE10hipError_tT0_T1_T2_jT3_P12ihipStream_tbPNSt15iterator_traitsISK_E10value_typeEPNSQ_ISL_E10value_typeEPSM_NS1_7vsmem_tEENKUlT_SK_SL_SM_E_clISD_PbSF_PiEESJ_SZ_SK_SL_SM_EUlSZ_E0_NS1_11comp_targetILNS1_3genE5ELNS1_11target_archE942ELNS1_3gpuE9ELNS1_3repE0EEENS1_38merge_mergepath_config_static_selectorELNS0_4arch9wavefront6targetE1EEEvSL_.num_named_barrier, 0
	.set _ZN7rocprim17ROCPRIM_400000_NS6detail17trampoline_kernelINS0_14default_configENS1_38merge_sort_block_merge_config_selectorIbiEEZZNS1_27merge_sort_block_merge_implIS3_N6thrust23THRUST_200600_302600_NS6detail15normal_iteratorINS8_10device_ptrIbEEEENSA_INSB_IiEEEEjNS1_19radix_merge_compareILb0ELb0EbNS0_19identity_decomposerEEEEE10hipError_tT0_T1_T2_jT3_P12ihipStream_tbPNSt15iterator_traitsISK_E10value_typeEPNSQ_ISL_E10value_typeEPSM_NS1_7vsmem_tEENKUlT_SK_SL_SM_E_clISD_PbSF_PiEESJ_SZ_SK_SL_SM_EUlSZ_E0_NS1_11comp_targetILNS1_3genE5ELNS1_11target_archE942ELNS1_3gpuE9ELNS1_3repE0EEENS1_38merge_mergepath_config_static_selectorELNS0_4arch9wavefront6targetE1EEEvSL_.private_seg_size, 0
	.set _ZN7rocprim17ROCPRIM_400000_NS6detail17trampoline_kernelINS0_14default_configENS1_38merge_sort_block_merge_config_selectorIbiEEZZNS1_27merge_sort_block_merge_implIS3_N6thrust23THRUST_200600_302600_NS6detail15normal_iteratorINS8_10device_ptrIbEEEENSA_INSB_IiEEEEjNS1_19radix_merge_compareILb0ELb0EbNS0_19identity_decomposerEEEEE10hipError_tT0_T1_T2_jT3_P12ihipStream_tbPNSt15iterator_traitsISK_E10value_typeEPNSQ_ISL_E10value_typeEPSM_NS1_7vsmem_tEENKUlT_SK_SL_SM_E_clISD_PbSF_PiEESJ_SZ_SK_SL_SM_EUlSZ_E0_NS1_11comp_targetILNS1_3genE5ELNS1_11target_archE942ELNS1_3gpuE9ELNS1_3repE0EEENS1_38merge_mergepath_config_static_selectorELNS0_4arch9wavefront6targetE1EEEvSL_.uses_vcc, 0
	.set _ZN7rocprim17ROCPRIM_400000_NS6detail17trampoline_kernelINS0_14default_configENS1_38merge_sort_block_merge_config_selectorIbiEEZZNS1_27merge_sort_block_merge_implIS3_N6thrust23THRUST_200600_302600_NS6detail15normal_iteratorINS8_10device_ptrIbEEEENSA_INSB_IiEEEEjNS1_19radix_merge_compareILb0ELb0EbNS0_19identity_decomposerEEEEE10hipError_tT0_T1_T2_jT3_P12ihipStream_tbPNSt15iterator_traitsISK_E10value_typeEPNSQ_ISL_E10value_typeEPSM_NS1_7vsmem_tEENKUlT_SK_SL_SM_E_clISD_PbSF_PiEESJ_SZ_SK_SL_SM_EUlSZ_E0_NS1_11comp_targetILNS1_3genE5ELNS1_11target_archE942ELNS1_3gpuE9ELNS1_3repE0EEENS1_38merge_mergepath_config_static_selectorELNS0_4arch9wavefront6targetE1EEEvSL_.uses_flat_scratch, 0
	.set _ZN7rocprim17ROCPRIM_400000_NS6detail17trampoline_kernelINS0_14default_configENS1_38merge_sort_block_merge_config_selectorIbiEEZZNS1_27merge_sort_block_merge_implIS3_N6thrust23THRUST_200600_302600_NS6detail15normal_iteratorINS8_10device_ptrIbEEEENSA_INSB_IiEEEEjNS1_19radix_merge_compareILb0ELb0EbNS0_19identity_decomposerEEEEE10hipError_tT0_T1_T2_jT3_P12ihipStream_tbPNSt15iterator_traitsISK_E10value_typeEPNSQ_ISL_E10value_typeEPSM_NS1_7vsmem_tEENKUlT_SK_SL_SM_E_clISD_PbSF_PiEESJ_SZ_SK_SL_SM_EUlSZ_E0_NS1_11comp_targetILNS1_3genE5ELNS1_11target_archE942ELNS1_3gpuE9ELNS1_3repE0EEENS1_38merge_mergepath_config_static_selectorELNS0_4arch9wavefront6targetE1EEEvSL_.has_dyn_sized_stack, 0
	.set _ZN7rocprim17ROCPRIM_400000_NS6detail17trampoline_kernelINS0_14default_configENS1_38merge_sort_block_merge_config_selectorIbiEEZZNS1_27merge_sort_block_merge_implIS3_N6thrust23THRUST_200600_302600_NS6detail15normal_iteratorINS8_10device_ptrIbEEEENSA_INSB_IiEEEEjNS1_19radix_merge_compareILb0ELb0EbNS0_19identity_decomposerEEEEE10hipError_tT0_T1_T2_jT3_P12ihipStream_tbPNSt15iterator_traitsISK_E10value_typeEPNSQ_ISL_E10value_typeEPSM_NS1_7vsmem_tEENKUlT_SK_SL_SM_E_clISD_PbSF_PiEESJ_SZ_SK_SL_SM_EUlSZ_E0_NS1_11comp_targetILNS1_3genE5ELNS1_11target_archE942ELNS1_3gpuE9ELNS1_3repE0EEENS1_38merge_mergepath_config_static_selectorELNS0_4arch9wavefront6targetE1EEEvSL_.has_recursion, 0
	.set _ZN7rocprim17ROCPRIM_400000_NS6detail17trampoline_kernelINS0_14default_configENS1_38merge_sort_block_merge_config_selectorIbiEEZZNS1_27merge_sort_block_merge_implIS3_N6thrust23THRUST_200600_302600_NS6detail15normal_iteratorINS8_10device_ptrIbEEEENSA_INSB_IiEEEEjNS1_19radix_merge_compareILb0ELb0EbNS0_19identity_decomposerEEEEE10hipError_tT0_T1_T2_jT3_P12ihipStream_tbPNSt15iterator_traitsISK_E10value_typeEPNSQ_ISL_E10value_typeEPSM_NS1_7vsmem_tEENKUlT_SK_SL_SM_E_clISD_PbSF_PiEESJ_SZ_SK_SL_SM_EUlSZ_E0_NS1_11comp_targetILNS1_3genE5ELNS1_11target_archE942ELNS1_3gpuE9ELNS1_3repE0EEENS1_38merge_mergepath_config_static_selectorELNS0_4arch9wavefront6targetE1EEEvSL_.has_indirect_call, 0
	.section	.AMDGPU.csdata,"",@progbits
; Kernel info:
; codeLenInByte = 0
; TotalNumSgprs: 6
; NumVgprs: 0
; NumAgprs: 0
; TotalNumVgprs: 0
; ScratchSize: 0
; MemoryBound: 0
; FloatMode: 240
; IeeeMode: 1
; LDSByteSize: 0 bytes/workgroup (compile time only)
; SGPRBlocks: 0
; VGPRBlocks: 0
; NumSGPRsForWavesPerEU: 6
; NumVGPRsForWavesPerEU: 1
; AccumOffset: 4
; Occupancy: 8
; WaveLimiterHint : 0
; COMPUTE_PGM_RSRC2:SCRATCH_EN: 0
; COMPUTE_PGM_RSRC2:USER_SGPR: 2
; COMPUTE_PGM_RSRC2:TRAP_HANDLER: 0
; COMPUTE_PGM_RSRC2:TGID_X_EN: 1
; COMPUTE_PGM_RSRC2:TGID_Y_EN: 0
; COMPUTE_PGM_RSRC2:TGID_Z_EN: 0
; COMPUTE_PGM_RSRC2:TIDIG_COMP_CNT: 0
; COMPUTE_PGM_RSRC3_GFX90A:ACCUM_OFFSET: 0
; COMPUTE_PGM_RSRC3_GFX90A:TG_SPLIT: 0
	.section	.text._ZN7rocprim17ROCPRIM_400000_NS6detail17trampoline_kernelINS0_14default_configENS1_38merge_sort_block_merge_config_selectorIbiEEZZNS1_27merge_sort_block_merge_implIS3_N6thrust23THRUST_200600_302600_NS6detail15normal_iteratorINS8_10device_ptrIbEEEENSA_INSB_IiEEEEjNS1_19radix_merge_compareILb0ELb0EbNS0_19identity_decomposerEEEEE10hipError_tT0_T1_T2_jT3_P12ihipStream_tbPNSt15iterator_traitsISK_E10value_typeEPNSQ_ISL_E10value_typeEPSM_NS1_7vsmem_tEENKUlT_SK_SL_SM_E_clISD_PbSF_PiEESJ_SZ_SK_SL_SM_EUlSZ_E0_NS1_11comp_targetILNS1_3genE4ELNS1_11target_archE910ELNS1_3gpuE8ELNS1_3repE0EEENS1_38merge_mergepath_config_static_selectorELNS0_4arch9wavefront6targetE1EEEvSL_,"axG",@progbits,_ZN7rocprim17ROCPRIM_400000_NS6detail17trampoline_kernelINS0_14default_configENS1_38merge_sort_block_merge_config_selectorIbiEEZZNS1_27merge_sort_block_merge_implIS3_N6thrust23THRUST_200600_302600_NS6detail15normal_iteratorINS8_10device_ptrIbEEEENSA_INSB_IiEEEEjNS1_19radix_merge_compareILb0ELb0EbNS0_19identity_decomposerEEEEE10hipError_tT0_T1_T2_jT3_P12ihipStream_tbPNSt15iterator_traitsISK_E10value_typeEPNSQ_ISL_E10value_typeEPSM_NS1_7vsmem_tEENKUlT_SK_SL_SM_E_clISD_PbSF_PiEESJ_SZ_SK_SL_SM_EUlSZ_E0_NS1_11comp_targetILNS1_3genE4ELNS1_11target_archE910ELNS1_3gpuE8ELNS1_3repE0EEENS1_38merge_mergepath_config_static_selectorELNS0_4arch9wavefront6targetE1EEEvSL_,comdat
	.protected	_ZN7rocprim17ROCPRIM_400000_NS6detail17trampoline_kernelINS0_14default_configENS1_38merge_sort_block_merge_config_selectorIbiEEZZNS1_27merge_sort_block_merge_implIS3_N6thrust23THRUST_200600_302600_NS6detail15normal_iteratorINS8_10device_ptrIbEEEENSA_INSB_IiEEEEjNS1_19radix_merge_compareILb0ELb0EbNS0_19identity_decomposerEEEEE10hipError_tT0_T1_T2_jT3_P12ihipStream_tbPNSt15iterator_traitsISK_E10value_typeEPNSQ_ISL_E10value_typeEPSM_NS1_7vsmem_tEENKUlT_SK_SL_SM_E_clISD_PbSF_PiEESJ_SZ_SK_SL_SM_EUlSZ_E0_NS1_11comp_targetILNS1_3genE4ELNS1_11target_archE910ELNS1_3gpuE8ELNS1_3repE0EEENS1_38merge_mergepath_config_static_selectorELNS0_4arch9wavefront6targetE1EEEvSL_ ; -- Begin function _ZN7rocprim17ROCPRIM_400000_NS6detail17trampoline_kernelINS0_14default_configENS1_38merge_sort_block_merge_config_selectorIbiEEZZNS1_27merge_sort_block_merge_implIS3_N6thrust23THRUST_200600_302600_NS6detail15normal_iteratorINS8_10device_ptrIbEEEENSA_INSB_IiEEEEjNS1_19radix_merge_compareILb0ELb0EbNS0_19identity_decomposerEEEEE10hipError_tT0_T1_T2_jT3_P12ihipStream_tbPNSt15iterator_traitsISK_E10value_typeEPNSQ_ISL_E10value_typeEPSM_NS1_7vsmem_tEENKUlT_SK_SL_SM_E_clISD_PbSF_PiEESJ_SZ_SK_SL_SM_EUlSZ_E0_NS1_11comp_targetILNS1_3genE4ELNS1_11target_archE910ELNS1_3gpuE8ELNS1_3repE0EEENS1_38merge_mergepath_config_static_selectorELNS0_4arch9wavefront6targetE1EEEvSL_
	.globl	_ZN7rocprim17ROCPRIM_400000_NS6detail17trampoline_kernelINS0_14default_configENS1_38merge_sort_block_merge_config_selectorIbiEEZZNS1_27merge_sort_block_merge_implIS3_N6thrust23THRUST_200600_302600_NS6detail15normal_iteratorINS8_10device_ptrIbEEEENSA_INSB_IiEEEEjNS1_19radix_merge_compareILb0ELb0EbNS0_19identity_decomposerEEEEE10hipError_tT0_T1_T2_jT3_P12ihipStream_tbPNSt15iterator_traitsISK_E10value_typeEPNSQ_ISL_E10value_typeEPSM_NS1_7vsmem_tEENKUlT_SK_SL_SM_E_clISD_PbSF_PiEESJ_SZ_SK_SL_SM_EUlSZ_E0_NS1_11comp_targetILNS1_3genE4ELNS1_11target_archE910ELNS1_3gpuE8ELNS1_3repE0EEENS1_38merge_mergepath_config_static_selectorELNS0_4arch9wavefront6targetE1EEEvSL_
	.p2align	8
	.type	_ZN7rocprim17ROCPRIM_400000_NS6detail17trampoline_kernelINS0_14default_configENS1_38merge_sort_block_merge_config_selectorIbiEEZZNS1_27merge_sort_block_merge_implIS3_N6thrust23THRUST_200600_302600_NS6detail15normal_iteratorINS8_10device_ptrIbEEEENSA_INSB_IiEEEEjNS1_19radix_merge_compareILb0ELb0EbNS0_19identity_decomposerEEEEE10hipError_tT0_T1_T2_jT3_P12ihipStream_tbPNSt15iterator_traitsISK_E10value_typeEPNSQ_ISL_E10value_typeEPSM_NS1_7vsmem_tEENKUlT_SK_SL_SM_E_clISD_PbSF_PiEESJ_SZ_SK_SL_SM_EUlSZ_E0_NS1_11comp_targetILNS1_3genE4ELNS1_11target_archE910ELNS1_3gpuE8ELNS1_3repE0EEENS1_38merge_mergepath_config_static_selectorELNS0_4arch9wavefront6targetE1EEEvSL_,@function
_ZN7rocprim17ROCPRIM_400000_NS6detail17trampoline_kernelINS0_14default_configENS1_38merge_sort_block_merge_config_selectorIbiEEZZNS1_27merge_sort_block_merge_implIS3_N6thrust23THRUST_200600_302600_NS6detail15normal_iteratorINS8_10device_ptrIbEEEENSA_INSB_IiEEEEjNS1_19radix_merge_compareILb0ELb0EbNS0_19identity_decomposerEEEEE10hipError_tT0_T1_T2_jT3_P12ihipStream_tbPNSt15iterator_traitsISK_E10value_typeEPNSQ_ISL_E10value_typeEPSM_NS1_7vsmem_tEENKUlT_SK_SL_SM_E_clISD_PbSF_PiEESJ_SZ_SK_SL_SM_EUlSZ_E0_NS1_11comp_targetILNS1_3genE4ELNS1_11target_archE910ELNS1_3gpuE8ELNS1_3repE0EEENS1_38merge_mergepath_config_static_selectorELNS0_4arch9wavefront6targetE1EEEvSL_: ; @_ZN7rocprim17ROCPRIM_400000_NS6detail17trampoline_kernelINS0_14default_configENS1_38merge_sort_block_merge_config_selectorIbiEEZZNS1_27merge_sort_block_merge_implIS3_N6thrust23THRUST_200600_302600_NS6detail15normal_iteratorINS8_10device_ptrIbEEEENSA_INSB_IiEEEEjNS1_19radix_merge_compareILb0ELb0EbNS0_19identity_decomposerEEEEE10hipError_tT0_T1_T2_jT3_P12ihipStream_tbPNSt15iterator_traitsISK_E10value_typeEPNSQ_ISL_E10value_typeEPSM_NS1_7vsmem_tEENKUlT_SK_SL_SM_E_clISD_PbSF_PiEESJ_SZ_SK_SL_SM_EUlSZ_E0_NS1_11comp_targetILNS1_3genE4ELNS1_11target_archE910ELNS1_3gpuE8ELNS1_3repE0EEENS1_38merge_mergepath_config_static_selectorELNS0_4arch9wavefront6targetE1EEEvSL_
; %bb.0:
	.section	.rodata,"a",@progbits
	.p2align	6, 0x0
	.amdhsa_kernel _ZN7rocprim17ROCPRIM_400000_NS6detail17trampoline_kernelINS0_14default_configENS1_38merge_sort_block_merge_config_selectorIbiEEZZNS1_27merge_sort_block_merge_implIS3_N6thrust23THRUST_200600_302600_NS6detail15normal_iteratorINS8_10device_ptrIbEEEENSA_INSB_IiEEEEjNS1_19radix_merge_compareILb0ELb0EbNS0_19identity_decomposerEEEEE10hipError_tT0_T1_T2_jT3_P12ihipStream_tbPNSt15iterator_traitsISK_E10value_typeEPNSQ_ISL_E10value_typeEPSM_NS1_7vsmem_tEENKUlT_SK_SL_SM_E_clISD_PbSF_PiEESJ_SZ_SK_SL_SM_EUlSZ_E0_NS1_11comp_targetILNS1_3genE4ELNS1_11target_archE910ELNS1_3gpuE8ELNS1_3repE0EEENS1_38merge_mergepath_config_static_selectorELNS0_4arch9wavefront6targetE1EEEvSL_
		.amdhsa_group_segment_fixed_size 0
		.amdhsa_private_segment_fixed_size 0
		.amdhsa_kernarg_size 64
		.amdhsa_user_sgpr_count 2
		.amdhsa_user_sgpr_dispatch_ptr 0
		.amdhsa_user_sgpr_queue_ptr 0
		.amdhsa_user_sgpr_kernarg_segment_ptr 1
		.amdhsa_user_sgpr_dispatch_id 0
		.amdhsa_user_sgpr_kernarg_preload_length 0
		.amdhsa_user_sgpr_kernarg_preload_offset 0
		.amdhsa_user_sgpr_private_segment_size 0
		.amdhsa_uses_dynamic_stack 0
		.amdhsa_enable_private_segment 0
		.amdhsa_system_sgpr_workgroup_id_x 1
		.amdhsa_system_sgpr_workgroup_id_y 0
		.amdhsa_system_sgpr_workgroup_id_z 0
		.amdhsa_system_sgpr_workgroup_info 0
		.amdhsa_system_vgpr_workitem_id 0
		.amdhsa_next_free_vgpr 1
		.amdhsa_next_free_sgpr 0
		.amdhsa_accum_offset 4
		.amdhsa_reserve_vcc 0
		.amdhsa_float_round_mode_32 0
		.amdhsa_float_round_mode_16_64 0
		.amdhsa_float_denorm_mode_32 3
		.amdhsa_float_denorm_mode_16_64 3
		.amdhsa_dx10_clamp 1
		.amdhsa_ieee_mode 1
		.amdhsa_fp16_overflow 0
		.amdhsa_tg_split 0
		.amdhsa_exception_fp_ieee_invalid_op 0
		.amdhsa_exception_fp_denorm_src 0
		.amdhsa_exception_fp_ieee_div_zero 0
		.amdhsa_exception_fp_ieee_overflow 0
		.amdhsa_exception_fp_ieee_underflow 0
		.amdhsa_exception_fp_ieee_inexact 0
		.amdhsa_exception_int_div_zero 0
	.end_amdhsa_kernel
	.section	.text._ZN7rocprim17ROCPRIM_400000_NS6detail17trampoline_kernelINS0_14default_configENS1_38merge_sort_block_merge_config_selectorIbiEEZZNS1_27merge_sort_block_merge_implIS3_N6thrust23THRUST_200600_302600_NS6detail15normal_iteratorINS8_10device_ptrIbEEEENSA_INSB_IiEEEEjNS1_19radix_merge_compareILb0ELb0EbNS0_19identity_decomposerEEEEE10hipError_tT0_T1_T2_jT3_P12ihipStream_tbPNSt15iterator_traitsISK_E10value_typeEPNSQ_ISL_E10value_typeEPSM_NS1_7vsmem_tEENKUlT_SK_SL_SM_E_clISD_PbSF_PiEESJ_SZ_SK_SL_SM_EUlSZ_E0_NS1_11comp_targetILNS1_3genE4ELNS1_11target_archE910ELNS1_3gpuE8ELNS1_3repE0EEENS1_38merge_mergepath_config_static_selectorELNS0_4arch9wavefront6targetE1EEEvSL_,"axG",@progbits,_ZN7rocprim17ROCPRIM_400000_NS6detail17trampoline_kernelINS0_14default_configENS1_38merge_sort_block_merge_config_selectorIbiEEZZNS1_27merge_sort_block_merge_implIS3_N6thrust23THRUST_200600_302600_NS6detail15normal_iteratorINS8_10device_ptrIbEEEENSA_INSB_IiEEEEjNS1_19radix_merge_compareILb0ELb0EbNS0_19identity_decomposerEEEEE10hipError_tT0_T1_T2_jT3_P12ihipStream_tbPNSt15iterator_traitsISK_E10value_typeEPNSQ_ISL_E10value_typeEPSM_NS1_7vsmem_tEENKUlT_SK_SL_SM_E_clISD_PbSF_PiEESJ_SZ_SK_SL_SM_EUlSZ_E0_NS1_11comp_targetILNS1_3genE4ELNS1_11target_archE910ELNS1_3gpuE8ELNS1_3repE0EEENS1_38merge_mergepath_config_static_selectorELNS0_4arch9wavefront6targetE1EEEvSL_,comdat
.Lfunc_end1944:
	.size	_ZN7rocprim17ROCPRIM_400000_NS6detail17trampoline_kernelINS0_14default_configENS1_38merge_sort_block_merge_config_selectorIbiEEZZNS1_27merge_sort_block_merge_implIS3_N6thrust23THRUST_200600_302600_NS6detail15normal_iteratorINS8_10device_ptrIbEEEENSA_INSB_IiEEEEjNS1_19radix_merge_compareILb0ELb0EbNS0_19identity_decomposerEEEEE10hipError_tT0_T1_T2_jT3_P12ihipStream_tbPNSt15iterator_traitsISK_E10value_typeEPNSQ_ISL_E10value_typeEPSM_NS1_7vsmem_tEENKUlT_SK_SL_SM_E_clISD_PbSF_PiEESJ_SZ_SK_SL_SM_EUlSZ_E0_NS1_11comp_targetILNS1_3genE4ELNS1_11target_archE910ELNS1_3gpuE8ELNS1_3repE0EEENS1_38merge_mergepath_config_static_selectorELNS0_4arch9wavefront6targetE1EEEvSL_, .Lfunc_end1944-_ZN7rocprim17ROCPRIM_400000_NS6detail17trampoline_kernelINS0_14default_configENS1_38merge_sort_block_merge_config_selectorIbiEEZZNS1_27merge_sort_block_merge_implIS3_N6thrust23THRUST_200600_302600_NS6detail15normal_iteratorINS8_10device_ptrIbEEEENSA_INSB_IiEEEEjNS1_19radix_merge_compareILb0ELb0EbNS0_19identity_decomposerEEEEE10hipError_tT0_T1_T2_jT3_P12ihipStream_tbPNSt15iterator_traitsISK_E10value_typeEPNSQ_ISL_E10value_typeEPSM_NS1_7vsmem_tEENKUlT_SK_SL_SM_E_clISD_PbSF_PiEESJ_SZ_SK_SL_SM_EUlSZ_E0_NS1_11comp_targetILNS1_3genE4ELNS1_11target_archE910ELNS1_3gpuE8ELNS1_3repE0EEENS1_38merge_mergepath_config_static_selectorELNS0_4arch9wavefront6targetE1EEEvSL_
                                        ; -- End function
	.set _ZN7rocprim17ROCPRIM_400000_NS6detail17trampoline_kernelINS0_14default_configENS1_38merge_sort_block_merge_config_selectorIbiEEZZNS1_27merge_sort_block_merge_implIS3_N6thrust23THRUST_200600_302600_NS6detail15normal_iteratorINS8_10device_ptrIbEEEENSA_INSB_IiEEEEjNS1_19radix_merge_compareILb0ELb0EbNS0_19identity_decomposerEEEEE10hipError_tT0_T1_T2_jT3_P12ihipStream_tbPNSt15iterator_traitsISK_E10value_typeEPNSQ_ISL_E10value_typeEPSM_NS1_7vsmem_tEENKUlT_SK_SL_SM_E_clISD_PbSF_PiEESJ_SZ_SK_SL_SM_EUlSZ_E0_NS1_11comp_targetILNS1_3genE4ELNS1_11target_archE910ELNS1_3gpuE8ELNS1_3repE0EEENS1_38merge_mergepath_config_static_selectorELNS0_4arch9wavefront6targetE1EEEvSL_.num_vgpr, 0
	.set _ZN7rocprim17ROCPRIM_400000_NS6detail17trampoline_kernelINS0_14default_configENS1_38merge_sort_block_merge_config_selectorIbiEEZZNS1_27merge_sort_block_merge_implIS3_N6thrust23THRUST_200600_302600_NS6detail15normal_iteratorINS8_10device_ptrIbEEEENSA_INSB_IiEEEEjNS1_19radix_merge_compareILb0ELb0EbNS0_19identity_decomposerEEEEE10hipError_tT0_T1_T2_jT3_P12ihipStream_tbPNSt15iterator_traitsISK_E10value_typeEPNSQ_ISL_E10value_typeEPSM_NS1_7vsmem_tEENKUlT_SK_SL_SM_E_clISD_PbSF_PiEESJ_SZ_SK_SL_SM_EUlSZ_E0_NS1_11comp_targetILNS1_3genE4ELNS1_11target_archE910ELNS1_3gpuE8ELNS1_3repE0EEENS1_38merge_mergepath_config_static_selectorELNS0_4arch9wavefront6targetE1EEEvSL_.num_agpr, 0
	.set _ZN7rocprim17ROCPRIM_400000_NS6detail17trampoline_kernelINS0_14default_configENS1_38merge_sort_block_merge_config_selectorIbiEEZZNS1_27merge_sort_block_merge_implIS3_N6thrust23THRUST_200600_302600_NS6detail15normal_iteratorINS8_10device_ptrIbEEEENSA_INSB_IiEEEEjNS1_19radix_merge_compareILb0ELb0EbNS0_19identity_decomposerEEEEE10hipError_tT0_T1_T2_jT3_P12ihipStream_tbPNSt15iterator_traitsISK_E10value_typeEPNSQ_ISL_E10value_typeEPSM_NS1_7vsmem_tEENKUlT_SK_SL_SM_E_clISD_PbSF_PiEESJ_SZ_SK_SL_SM_EUlSZ_E0_NS1_11comp_targetILNS1_3genE4ELNS1_11target_archE910ELNS1_3gpuE8ELNS1_3repE0EEENS1_38merge_mergepath_config_static_selectorELNS0_4arch9wavefront6targetE1EEEvSL_.numbered_sgpr, 0
	.set _ZN7rocprim17ROCPRIM_400000_NS6detail17trampoline_kernelINS0_14default_configENS1_38merge_sort_block_merge_config_selectorIbiEEZZNS1_27merge_sort_block_merge_implIS3_N6thrust23THRUST_200600_302600_NS6detail15normal_iteratorINS8_10device_ptrIbEEEENSA_INSB_IiEEEEjNS1_19radix_merge_compareILb0ELb0EbNS0_19identity_decomposerEEEEE10hipError_tT0_T1_T2_jT3_P12ihipStream_tbPNSt15iterator_traitsISK_E10value_typeEPNSQ_ISL_E10value_typeEPSM_NS1_7vsmem_tEENKUlT_SK_SL_SM_E_clISD_PbSF_PiEESJ_SZ_SK_SL_SM_EUlSZ_E0_NS1_11comp_targetILNS1_3genE4ELNS1_11target_archE910ELNS1_3gpuE8ELNS1_3repE0EEENS1_38merge_mergepath_config_static_selectorELNS0_4arch9wavefront6targetE1EEEvSL_.num_named_barrier, 0
	.set _ZN7rocprim17ROCPRIM_400000_NS6detail17trampoline_kernelINS0_14default_configENS1_38merge_sort_block_merge_config_selectorIbiEEZZNS1_27merge_sort_block_merge_implIS3_N6thrust23THRUST_200600_302600_NS6detail15normal_iteratorINS8_10device_ptrIbEEEENSA_INSB_IiEEEEjNS1_19radix_merge_compareILb0ELb0EbNS0_19identity_decomposerEEEEE10hipError_tT0_T1_T2_jT3_P12ihipStream_tbPNSt15iterator_traitsISK_E10value_typeEPNSQ_ISL_E10value_typeEPSM_NS1_7vsmem_tEENKUlT_SK_SL_SM_E_clISD_PbSF_PiEESJ_SZ_SK_SL_SM_EUlSZ_E0_NS1_11comp_targetILNS1_3genE4ELNS1_11target_archE910ELNS1_3gpuE8ELNS1_3repE0EEENS1_38merge_mergepath_config_static_selectorELNS0_4arch9wavefront6targetE1EEEvSL_.private_seg_size, 0
	.set _ZN7rocprim17ROCPRIM_400000_NS6detail17trampoline_kernelINS0_14default_configENS1_38merge_sort_block_merge_config_selectorIbiEEZZNS1_27merge_sort_block_merge_implIS3_N6thrust23THRUST_200600_302600_NS6detail15normal_iteratorINS8_10device_ptrIbEEEENSA_INSB_IiEEEEjNS1_19radix_merge_compareILb0ELb0EbNS0_19identity_decomposerEEEEE10hipError_tT0_T1_T2_jT3_P12ihipStream_tbPNSt15iterator_traitsISK_E10value_typeEPNSQ_ISL_E10value_typeEPSM_NS1_7vsmem_tEENKUlT_SK_SL_SM_E_clISD_PbSF_PiEESJ_SZ_SK_SL_SM_EUlSZ_E0_NS1_11comp_targetILNS1_3genE4ELNS1_11target_archE910ELNS1_3gpuE8ELNS1_3repE0EEENS1_38merge_mergepath_config_static_selectorELNS0_4arch9wavefront6targetE1EEEvSL_.uses_vcc, 0
	.set _ZN7rocprim17ROCPRIM_400000_NS6detail17trampoline_kernelINS0_14default_configENS1_38merge_sort_block_merge_config_selectorIbiEEZZNS1_27merge_sort_block_merge_implIS3_N6thrust23THRUST_200600_302600_NS6detail15normal_iteratorINS8_10device_ptrIbEEEENSA_INSB_IiEEEEjNS1_19radix_merge_compareILb0ELb0EbNS0_19identity_decomposerEEEEE10hipError_tT0_T1_T2_jT3_P12ihipStream_tbPNSt15iterator_traitsISK_E10value_typeEPNSQ_ISL_E10value_typeEPSM_NS1_7vsmem_tEENKUlT_SK_SL_SM_E_clISD_PbSF_PiEESJ_SZ_SK_SL_SM_EUlSZ_E0_NS1_11comp_targetILNS1_3genE4ELNS1_11target_archE910ELNS1_3gpuE8ELNS1_3repE0EEENS1_38merge_mergepath_config_static_selectorELNS0_4arch9wavefront6targetE1EEEvSL_.uses_flat_scratch, 0
	.set _ZN7rocprim17ROCPRIM_400000_NS6detail17trampoline_kernelINS0_14default_configENS1_38merge_sort_block_merge_config_selectorIbiEEZZNS1_27merge_sort_block_merge_implIS3_N6thrust23THRUST_200600_302600_NS6detail15normal_iteratorINS8_10device_ptrIbEEEENSA_INSB_IiEEEEjNS1_19radix_merge_compareILb0ELb0EbNS0_19identity_decomposerEEEEE10hipError_tT0_T1_T2_jT3_P12ihipStream_tbPNSt15iterator_traitsISK_E10value_typeEPNSQ_ISL_E10value_typeEPSM_NS1_7vsmem_tEENKUlT_SK_SL_SM_E_clISD_PbSF_PiEESJ_SZ_SK_SL_SM_EUlSZ_E0_NS1_11comp_targetILNS1_3genE4ELNS1_11target_archE910ELNS1_3gpuE8ELNS1_3repE0EEENS1_38merge_mergepath_config_static_selectorELNS0_4arch9wavefront6targetE1EEEvSL_.has_dyn_sized_stack, 0
	.set _ZN7rocprim17ROCPRIM_400000_NS6detail17trampoline_kernelINS0_14default_configENS1_38merge_sort_block_merge_config_selectorIbiEEZZNS1_27merge_sort_block_merge_implIS3_N6thrust23THRUST_200600_302600_NS6detail15normal_iteratorINS8_10device_ptrIbEEEENSA_INSB_IiEEEEjNS1_19radix_merge_compareILb0ELb0EbNS0_19identity_decomposerEEEEE10hipError_tT0_T1_T2_jT3_P12ihipStream_tbPNSt15iterator_traitsISK_E10value_typeEPNSQ_ISL_E10value_typeEPSM_NS1_7vsmem_tEENKUlT_SK_SL_SM_E_clISD_PbSF_PiEESJ_SZ_SK_SL_SM_EUlSZ_E0_NS1_11comp_targetILNS1_3genE4ELNS1_11target_archE910ELNS1_3gpuE8ELNS1_3repE0EEENS1_38merge_mergepath_config_static_selectorELNS0_4arch9wavefront6targetE1EEEvSL_.has_recursion, 0
	.set _ZN7rocprim17ROCPRIM_400000_NS6detail17trampoline_kernelINS0_14default_configENS1_38merge_sort_block_merge_config_selectorIbiEEZZNS1_27merge_sort_block_merge_implIS3_N6thrust23THRUST_200600_302600_NS6detail15normal_iteratorINS8_10device_ptrIbEEEENSA_INSB_IiEEEEjNS1_19radix_merge_compareILb0ELb0EbNS0_19identity_decomposerEEEEE10hipError_tT0_T1_T2_jT3_P12ihipStream_tbPNSt15iterator_traitsISK_E10value_typeEPNSQ_ISL_E10value_typeEPSM_NS1_7vsmem_tEENKUlT_SK_SL_SM_E_clISD_PbSF_PiEESJ_SZ_SK_SL_SM_EUlSZ_E0_NS1_11comp_targetILNS1_3genE4ELNS1_11target_archE910ELNS1_3gpuE8ELNS1_3repE0EEENS1_38merge_mergepath_config_static_selectorELNS0_4arch9wavefront6targetE1EEEvSL_.has_indirect_call, 0
	.section	.AMDGPU.csdata,"",@progbits
; Kernel info:
; codeLenInByte = 0
; TotalNumSgprs: 6
; NumVgprs: 0
; NumAgprs: 0
; TotalNumVgprs: 0
; ScratchSize: 0
; MemoryBound: 0
; FloatMode: 240
; IeeeMode: 1
; LDSByteSize: 0 bytes/workgroup (compile time only)
; SGPRBlocks: 0
; VGPRBlocks: 0
; NumSGPRsForWavesPerEU: 6
; NumVGPRsForWavesPerEU: 1
; AccumOffset: 4
; Occupancy: 8
; WaveLimiterHint : 0
; COMPUTE_PGM_RSRC2:SCRATCH_EN: 0
; COMPUTE_PGM_RSRC2:USER_SGPR: 2
; COMPUTE_PGM_RSRC2:TRAP_HANDLER: 0
; COMPUTE_PGM_RSRC2:TGID_X_EN: 1
; COMPUTE_PGM_RSRC2:TGID_Y_EN: 0
; COMPUTE_PGM_RSRC2:TGID_Z_EN: 0
; COMPUTE_PGM_RSRC2:TIDIG_COMP_CNT: 0
; COMPUTE_PGM_RSRC3_GFX90A:ACCUM_OFFSET: 0
; COMPUTE_PGM_RSRC3_GFX90A:TG_SPLIT: 0
	.section	.text._ZN7rocprim17ROCPRIM_400000_NS6detail17trampoline_kernelINS0_14default_configENS1_38merge_sort_block_merge_config_selectorIbiEEZZNS1_27merge_sort_block_merge_implIS3_N6thrust23THRUST_200600_302600_NS6detail15normal_iteratorINS8_10device_ptrIbEEEENSA_INSB_IiEEEEjNS1_19radix_merge_compareILb0ELb0EbNS0_19identity_decomposerEEEEE10hipError_tT0_T1_T2_jT3_P12ihipStream_tbPNSt15iterator_traitsISK_E10value_typeEPNSQ_ISL_E10value_typeEPSM_NS1_7vsmem_tEENKUlT_SK_SL_SM_E_clISD_PbSF_PiEESJ_SZ_SK_SL_SM_EUlSZ_E0_NS1_11comp_targetILNS1_3genE3ELNS1_11target_archE908ELNS1_3gpuE7ELNS1_3repE0EEENS1_38merge_mergepath_config_static_selectorELNS0_4arch9wavefront6targetE1EEEvSL_,"axG",@progbits,_ZN7rocprim17ROCPRIM_400000_NS6detail17trampoline_kernelINS0_14default_configENS1_38merge_sort_block_merge_config_selectorIbiEEZZNS1_27merge_sort_block_merge_implIS3_N6thrust23THRUST_200600_302600_NS6detail15normal_iteratorINS8_10device_ptrIbEEEENSA_INSB_IiEEEEjNS1_19radix_merge_compareILb0ELb0EbNS0_19identity_decomposerEEEEE10hipError_tT0_T1_T2_jT3_P12ihipStream_tbPNSt15iterator_traitsISK_E10value_typeEPNSQ_ISL_E10value_typeEPSM_NS1_7vsmem_tEENKUlT_SK_SL_SM_E_clISD_PbSF_PiEESJ_SZ_SK_SL_SM_EUlSZ_E0_NS1_11comp_targetILNS1_3genE3ELNS1_11target_archE908ELNS1_3gpuE7ELNS1_3repE0EEENS1_38merge_mergepath_config_static_selectorELNS0_4arch9wavefront6targetE1EEEvSL_,comdat
	.protected	_ZN7rocprim17ROCPRIM_400000_NS6detail17trampoline_kernelINS0_14default_configENS1_38merge_sort_block_merge_config_selectorIbiEEZZNS1_27merge_sort_block_merge_implIS3_N6thrust23THRUST_200600_302600_NS6detail15normal_iteratorINS8_10device_ptrIbEEEENSA_INSB_IiEEEEjNS1_19radix_merge_compareILb0ELb0EbNS0_19identity_decomposerEEEEE10hipError_tT0_T1_T2_jT3_P12ihipStream_tbPNSt15iterator_traitsISK_E10value_typeEPNSQ_ISL_E10value_typeEPSM_NS1_7vsmem_tEENKUlT_SK_SL_SM_E_clISD_PbSF_PiEESJ_SZ_SK_SL_SM_EUlSZ_E0_NS1_11comp_targetILNS1_3genE3ELNS1_11target_archE908ELNS1_3gpuE7ELNS1_3repE0EEENS1_38merge_mergepath_config_static_selectorELNS0_4arch9wavefront6targetE1EEEvSL_ ; -- Begin function _ZN7rocprim17ROCPRIM_400000_NS6detail17trampoline_kernelINS0_14default_configENS1_38merge_sort_block_merge_config_selectorIbiEEZZNS1_27merge_sort_block_merge_implIS3_N6thrust23THRUST_200600_302600_NS6detail15normal_iteratorINS8_10device_ptrIbEEEENSA_INSB_IiEEEEjNS1_19radix_merge_compareILb0ELb0EbNS0_19identity_decomposerEEEEE10hipError_tT0_T1_T2_jT3_P12ihipStream_tbPNSt15iterator_traitsISK_E10value_typeEPNSQ_ISL_E10value_typeEPSM_NS1_7vsmem_tEENKUlT_SK_SL_SM_E_clISD_PbSF_PiEESJ_SZ_SK_SL_SM_EUlSZ_E0_NS1_11comp_targetILNS1_3genE3ELNS1_11target_archE908ELNS1_3gpuE7ELNS1_3repE0EEENS1_38merge_mergepath_config_static_selectorELNS0_4arch9wavefront6targetE1EEEvSL_
	.globl	_ZN7rocprim17ROCPRIM_400000_NS6detail17trampoline_kernelINS0_14default_configENS1_38merge_sort_block_merge_config_selectorIbiEEZZNS1_27merge_sort_block_merge_implIS3_N6thrust23THRUST_200600_302600_NS6detail15normal_iteratorINS8_10device_ptrIbEEEENSA_INSB_IiEEEEjNS1_19radix_merge_compareILb0ELb0EbNS0_19identity_decomposerEEEEE10hipError_tT0_T1_T2_jT3_P12ihipStream_tbPNSt15iterator_traitsISK_E10value_typeEPNSQ_ISL_E10value_typeEPSM_NS1_7vsmem_tEENKUlT_SK_SL_SM_E_clISD_PbSF_PiEESJ_SZ_SK_SL_SM_EUlSZ_E0_NS1_11comp_targetILNS1_3genE3ELNS1_11target_archE908ELNS1_3gpuE7ELNS1_3repE0EEENS1_38merge_mergepath_config_static_selectorELNS0_4arch9wavefront6targetE1EEEvSL_
	.p2align	8
	.type	_ZN7rocprim17ROCPRIM_400000_NS6detail17trampoline_kernelINS0_14default_configENS1_38merge_sort_block_merge_config_selectorIbiEEZZNS1_27merge_sort_block_merge_implIS3_N6thrust23THRUST_200600_302600_NS6detail15normal_iteratorINS8_10device_ptrIbEEEENSA_INSB_IiEEEEjNS1_19radix_merge_compareILb0ELb0EbNS0_19identity_decomposerEEEEE10hipError_tT0_T1_T2_jT3_P12ihipStream_tbPNSt15iterator_traitsISK_E10value_typeEPNSQ_ISL_E10value_typeEPSM_NS1_7vsmem_tEENKUlT_SK_SL_SM_E_clISD_PbSF_PiEESJ_SZ_SK_SL_SM_EUlSZ_E0_NS1_11comp_targetILNS1_3genE3ELNS1_11target_archE908ELNS1_3gpuE7ELNS1_3repE0EEENS1_38merge_mergepath_config_static_selectorELNS0_4arch9wavefront6targetE1EEEvSL_,@function
_ZN7rocprim17ROCPRIM_400000_NS6detail17trampoline_kernelINS0_14default_configENS1_38merge_sort_block_merge_config_selectorIbiEEZZNS1_27merge_sort_block_merge_implIS3_N6thrust23THRUST_200600_302600_NS6detail15normal_iteratorINS8_10device_ptrIbEEEENSA_INSB_IiEEEEjNS1_19radix_merge_compareILb0ELb0EbNS0_19identity_decomposerEEEEE10hipError_tT0_T1_T2_jT3_P12ihipStream_tbPNSt15iterator_traitsISK_E10value_typeEPNSQ_ISL_E10value_typeEPSM_NS1_7vsmem_tEENKUlT_SK_SL_SM_E_clISD_PbSF_PiEESJ_SZ_SK_SL_SM_EUlSZ_E0_NS1_11comp_targetILNS1_3genE3ELNS1_11target_archE908ELNS1_3gpuE7ELNS1_3repE0EEENS1_38merge_mergepath_config_static_selectorELNS0_4arch9wavefront6targetE1EEEvSL_: ; @_ZN7rocprim17ROCPRIM_400000_NS6detail17trampoline_kernelINS0_14default_configENS1_38merge_sort_block_merge_config_selectorIbiEEZZNS1_27merge_sort_block_merge_implIS3_N6thrust23THRUST_200600_302600_NS6detail15normal_iteratorINS8_10device_ptrIbEEEENSA_INSB_IiEEEEjNS1_19radix_merge_compareILb0ELb0EbNS0_19identity_decomposerEEEEE10hipError_tT0_T1_T2_jT3_P12ihipStream_tbPNSt15iterator_traitsISK_E10value_typeEPNSQ_ISL_E10value_typeEPSM_NS1_7vsmem_tEENKUlT_SK_SL_SM_E_clISD_PbSF_PiEESJ_SZ_SK_SL_SM_EUlSZ_E0_NS1_11comp_targetILNS1_3genE3ELNS1_11target_archE908ELNS1_3gpuE7ELNS1_3repE0EEENS1_38merge_mergepath_config_static_selectorELNS0_4arch9wavefront6targetE1EEEvSL_
; %bb.0:
	.section	.rodata,"a",@progbits
	.p2align	6, 0x0
	.amdhsa_kernel _ZN7rocprim17ROCPRIM_400000_NS6detail17trampoline_kernelINS0_14default_configENS1_38merge_sort_block_merge_config_selectorIbiEEZZNS1_27merge_sort_block_merge_implIS3_N6thrust23THRUST_200600_302600_NS6detail15normal_iteratorINS8_10device_ptrIbEEEENSA_INSB_IiEEEEjNS1_19radix_merge_compareILb0ELb0EbNS0_19identity_decomposerEEEEE10hipError_tT0_T1_T2_jT3_P12ihipStream_tbPNSt15iterator_traitsISK_E10value_typeEPNSQ_ISL_E10value_typeEPSM_NS1_7vsmem_tEENKUlT_SK_SL_SM_E_clISD_PbSF_PiEESJ_SZ_SK_SL_SM_EUlSZ_E0_NS1_11comp_targetILNS1_3genE3ELNS1_11target_archE908ELNS1_3gpuE7ELNS1_3repE0EEENS1_38merge_mergepath_config_static_selectorELNS0_4arch9wavefront6targetE1EEEvSL_
		.amdhsa_group_segment_fixed_size 0
		.amdhsa_private_segment_fixed_size 0
		.amdhsa_kernarg_size 64
		.amdhsa_user_sgpr_count 2
		.amdhsa_user_sgpr_dispatch_ptr 0
		.amdhsa_user_sgpr_queue_ptr 0
		.amdhsa_user_sgpr_kernarg_segment_ptr 1
		.amdhsa_user_sgpr_dispatch_id 0
		.amdhsa_user_sgpr_kernarg_preload_length 0
		.amdhsa_user_sgpr_kernarg_preload_offset 0
		.amdhsa_user_sgpr_private_segment_size 0
		.amdhsa_uses_dynamic_stack 0
		.amdhsa_enable_private_segment 0
		.amdhsa_system_sgpr_workgroup_id_x 1
		.amdhsa_system_sgpr_workgroup_id_y 0
		.amdhsa_system_sgpr_workgroup_id_z 0
		.amdhsa_system_sgpr_workgroup_info 0
		.amdhsa_system_vgpr_workitem_id 0
		.amdhsa_next_free_vgpr 1
		.amdhsa_next_free_sgpr 0
		.amdhsa_accum_offset 4
		.amdhsa_reserve_vcc 0
		.amdhsa_float_round_mode_32 0
		.amdhsa_float_round_mode_16_64 0
		.amdhsa_float_denorm_mode_32 3
		.amdhsa_float_denorm_mode_16_64 3
		.amdhsa_dx10_clamp 1
		.amdhsa_ieee_mode 1
		.amdhsa_fp16_overflow 0
		.amdhsa_tg_split 0
		.amdhsa_exception_fp_ieee_invalid_op 0
		.amdhsa_exception_fp_denorm_src 0
		.amdhsa_exception_fp_ieee_div_zero 0
		.amdhsa_exception_fp_ieee_overflow 0
		.amdhsa_exception_fp_ieee_underflow 0
		.amdhsa_exception_fp_ieee_inexact 0
		.amdhsa_exception_int_div_zero 0
	.end_amdhsa_kernel
	.section	.text._ZN7rocprim17ROCPRIM_400000_NS6detail17trampoline_kernelINS0_14default_configENS1_38merge_sort_block_merge_config_selectorIbiEEZZNS1_27merge_sort_block_merge_implIS3_N6thrust23THRUST_200600_302600_NS6detail15normal_iteratorINS8_10device_ptrIbEEEENSA_INSB_IiEEEEjNS1_19radix_merge_compareILb0ELb0EbNS0_19identity_decomposerEEEEE10hipError_tT0_T1_T2_jT3_P12ihipStream_tbPNSt15iterator_traitsISK_E10value_typeEPNSQ_ISL_E10value_typeEPSM_NS1_7vsmem_tEENKUlT_SK_SL_SM_E_clISD_PbSF_PiEESJ_SZ_SK_SL_SM_EUlSZ_E0_NS1_11comp_targetILNS1_3genE3ELNS1_11target_archE908ELNS1_3gpuE7ELNS1_3repE0EEENS1_38merge_mergepath_config_static_selectorELNS0_4arch9wavefront6targetE1EEEvSL_,"axG",@progbits,_ZN7rocprim17ROCPRIM_400000_NS6detail17trampoline_kernelINS0_14default_configENS1_38merge_sort_block_merge_config_selectorIbiEEZZNS1_27merge_sort_block_merge_implIS3_N6thrust23THRUST_200600_302600_NS6detail15normal_iteratorINS8_10device_ptrIbEEEENSA_INSB_IiEEEEjNS1_19radix_merge_compareILb0ELb0EbNS0_19identity_decomposerEEEEE10hipError_tT0_T1_T2_jT3_P12ihipStream_tbPNSt15iterator_traitsISK_E10value_typeEPNSQ_ISL_E10value_typeEPSM_NS1_7vsmem_tEENKUlT_SK_SL_SM_E_clISD_PbSF_PiEESJ_SZ_SK_SL_SM_EUlSZ_E0_NS1_11comp_targetILNS1_3genE3ELNS1_11target_archE908ELNS1_3gpuE7ELNS1_3repE0EEENS1_38merge_mergepath_config_static_selectorELNS0_4arch9wavefront6targetE1EEEvSL_,comdat
.Lfunc_end1945:
	.size	_ZN7rocprim17ROCPRIM_400000_NS6detail17trampoline_kernelINS0_14default_configENS1_38merge_sort_block_merge_config_selectorIbiEEZZNS1_27merge_sort_block_merge_implIS3_N6thrust23THRUST_200600_302600_NS6detail15normal_iteratorINS8_10device_ptrIbEEEENSA_INSB_IiEEEEjNS1_19radix_merge_compareILb0ELb0EbNS0_19identity_decomposerEEEEE10hipError_tT0_T1_T2_jT3_P12ihipStream_tbPNSt15iterator_traitsISK_E10value_typeEPNSQ_ISL_E10value_typeEPSM_NS1_7vsmem_tEENKUlT_SK_SL_SM_E_clISD_PbSF_PiEESJ_SZ_SK_SL_SM_EUlSZ_E0_NS1_11comp_targetILNS1_3genE3ELNS1_11target_archE908ELNS1_3gpuE7ELNS1_3repE0EEENS1_38merge_mergepath_config_static_selectorELNS0_4arch9wavefront6targetE1EEEvSL_, .Lfunc_end1945-_ZN7rocprim17ROCPRIM_400000_NS6detail17trampoline_kernelINS0_14default_configENS1_38merge_sort_block_merge_config_selectorIbiEEZZNS1_27merge_sort_block_merge_implIS3_N6thrust23THRUST_200600_302600_NS6detail15normal_iteratorINS8_10device_ptrIbEEEENSA_INSB_IiEEEEjNS1_19radix_merge_compareILb0ELb0EbNS0_19identity_decomposerEEEEE10hipError_tT0_T1_T2_jT3_P12ihipStream_tbPNSt15iterator_traitsISK_E10value_typeEPNSQ_ISL_E10value_typeEPSM_NS1_7vsmem_tEENKUlT_SK_SL_SM_E_clISD_PbSF_PiEESJ_SZ_SK_SL_SM_EUlSZ_E0_NS1_11comp_targetILNS1_3genE3ELNS1_11target_archE908ELNS1_3gpuE7ELNS1_3repE0EEENS1_38merge_mergepath_config_static_selectorELNS0_4arch9wavefront6targetE1EEEvSL_
                                        ; -- End function
	.set _ZN7rocprim17ROCPRIM_400000_NS6detail17trampoline_kernelINS0_14default_configENS1_38merge_sort_block_merge_config_selectorIbiEEZZNS1_27merge_sort_block_merge_implIS3_N6thrust23THRUST_200600_302600_NS6detail15normal_iteratorINS8_10device_ptrIbEEEENSA_INSB_IiEEEEjNS1_19radix_merge_compareILb0ELb0EbNS0_19identity_decomposerEEEEE10hipError_tT0_T1_T2_jT3_P12ihipStream_tbPNSt15iterator_traitsISK_E10value_typeEPNSQ_ISL_E10value_typeEPSM_NS1_7vsmem_tEENKUlT_SK_SL_SM_E_clISD_PbSF_PiEESJ_SZ_SK_SL_SM_EUlSZ_E0_NS1_11comp_targetILNS1_3genE3ELNS1_11target_archE908ELNS1_3gpuE7ELNS1_3repE0EEENS1_38merge_mergepath_config_static_selectorELNS0_4arch9wavefront6targetE1EEEvSL_.num_vgpr, 0
	.set _ZN7rocprim17ROCPRIM_400000_NS6detail17trampoline_kernelINS0_14default_configENS1_38merge_sort_block_merge_config_selectorIbiEEZZNS1_27merge_sort_block_merge_implIS3_N6thrust23THRUST_200600_302600_NS6detail15normal_iteratorINS8_10device_ptrIbEEEENSA_INSB_IiEEEEjNS1_19radix_merge_compareILb0ELb0EbNS0_19identity_decomposerEEEEE10hipError_tT0_T1_T2_jT3_P12ihipStream_tbPNSt15iterator_traitsISK_E10value_typeEPNSQ_ISL_E10value_typeEPSM_NS1_7vsmem_tEENKUlT_SK_SL_SM_E_clISD_PbSF_PiEESJ_SZ_SK_SL_SM_EUlSZ_E0_NS1_11comp_targetILNS1_3genE3ELNS1_11target_archE908ELNS1_3gpuE7ELNS1_3repE0EEENS1_38merge_mergepath_config_static_selectorELNS0_4arch9wavefront6targetE1EEEvSL_.num_agpr, 0
	.set _ZN7rocprim17ROCPRIM_400000_NS6detail17trampoline_kernelINS0_14default_configENS1_38merge_sort_block_merge_config_selectorIbiEEZZNS1_27merge_sort_block_merge_implIS3_N6thrust23THRUST_200600_302600_NS6detail15normal_iteratorINS8_10device_ptrIbEEEENSA_INSB_IiEEEEjNS1_19radix_merge_compareILb0ELb0EbNS0_19identity_decomposerEEEEE10hipError_tT0_T1_T2_jT3_P12ihipStream_tbPNSt15iterator_traitsISK_E10value_typeEPNSQ_ISL_E10value_typeEPSM_NS1_7vsmem_tEENKUlT_SK_SL_SM_E_clISD_PbSF_PiEESJ_SZ_SK_SL_SM_EUlSZ_E0_NS1_11comp_targetILNS1_3genE3ELNS1_11target_archE908ELNS1_3gpuE7ELNS1_3repE0EEENS1_38merge_mergepath_config_static_selectorELNS0_4arch9wavefront6targetE1EEEvSL_.numbered_sgpr, 0
	.set _ZN7rocprim17ROCPRIM_400000_NS6detail17trampoline_kernelINS0_14default_configENS1_38merge_sort_block_merge_config_selectorIbiEEZZNS1_27merge_sort_block_merge_implIS3_N6thrust23THRUST_200600_302600_NS6detail15normal_iteratorINS8_10device_ptrIbEEEENSA_INSB_IiEEEEjNS1_19radix_merge_compareILb0ELb0EbNS0_19identity_decomposerEEEEE10hipError_tT0_T1_T2_jT3_P12ihipStream_tbPNSt15iterator_traitsISK_E10value_typeEPNSQ_ISL_E10value_typeEPSM_NS1_7vsmem_tEENKUlT_SK_SL_SM_E_clISD_PbSF_PiEESJ_SZ_SK_SL_SM_EUlSZ_E0_NS1_11comp_targetILNS1_3genE3ELNS1_11target_archE908ELNS1_3gpuE7ELNS1_3repE0EEENS1_38merge_mergepath_config_static_selectorELNS0_4arch9wavefront6targetE1EEEvSL_.num_named_barrier, 0
	.set _ZN7rocprim17ROCPRIM_400000_NS6detail17trampoline_kernelINS0_14default_configENS1_38merge_sort_block_merge_config_selectorIbiEEZZNS1_27merge_sort_block_merge_implIS3_N6thrust23THRUST_200600_302600_NS6detail15normal_iteratorINS8_10device_ptrIbEEEENSA_INSB_IiEEEEjNS1_19radix_merge_compareILb0ELb0EbNS0_19identity_decomposerEEEEE10hipError_tT0_T1_T2_jT3_P12ihipStream_tbPNSt15iterator_traitsISK_E10value_typeEPNSQ_ISL_E10value_typeEPSM_NS1_7vsmem_tEENKUlT_SK_SL_SM_E_clISD_PbSF_PiEESJ_SZ_SK_SL_SM_EUlSZ_E0_NS1_11comp_targetILNS1_3genE3ELNS1_11target_archE908ELNS1_3gpuE7ELNS1_3repE0EEENS1_38merge_mergepath_config_static_selectorELNS0_4arch9wavefront6targetE1EEEvSL_.private_seg_size, 0
	.set _ZN7rocprim17ROCPRIM_400000_NS6detail17trampoline_kernelINS0_14default_configENS1_38merge_sort_block_merge_config_selectorIbiEEZZNS1_27merge_sort_block_merge_implIS3_N6thrust23THRUST_200600_302600_NS6detail15normal_iteratorINS8_10device_ptrIbEEEENSA_INSB_IiEEEEjNS1_19radix_merge_compareILb0ELb0EbNS0_19identity_decomposerEEEEE10hipError_tT0_T1_T2_jT3_P12ihipStream_tbPNSt15iterator_traitsISK_E10value_typeEPNSQ_ISL_E10value_typeEPSM_NS1_7vsmem_tEENKUlT_SK_SL_SM_E_clISD_PbSF_PiEESJ_SZ_SK_SL_SM_EUlSZ_E0_NS1_11comp_targetILNS1_3genE3ELNS1_11target_archE908ELNS1_3gpuE7ELNS1_3repE0EEENS1_38merge_mergepath_config_static_selectorELNS0_4arch9wavefront6targetE1EEEvSL_.uses_vcc, 0
	.set _ZN7rocprim17ROCPRIM_400000_NS6detail17trampoline_kernelINS0_14default_configENS1_38merge_sort_block_merge_config_selectorIbiEEZZNS1_27merge_sort_block_merge_implIS3_N6thrust23THRUST_200600_302600_NS6detail15normal_iteratorINS8_10device_ptrIbEEEENSA_INSB_IiEEEEjNS1_19radix_merge_compareILb0ELb0EbNS0_19identity_decomposerEEEEE10hipError_tT0_T1_T2_jT3_P12ihipStream_tbPNSt15iterator_traitsISK_E10value_typeEPNSQ_ISL_E10value_typeEPSM_NS1_7vsmem_tEENKUlT_SK_SL_SM_E_clISD_PbSF_PiEESJ_SZ_SK_SL_SM_EUlSZ_E0_NS1_11comp_targetILNS1_3genE3ELNS1_11target_archE908ELNS1_3gpuE7ELNS1_3repE0EEENS1_38merge_mergepath_config_static_selectorELNS0_4arch9wavefront6targetE1EEEvSL_.uses_flat_scratch, 0
	.set _ZN7rocprim17ROCPRIM_400000_NS6detail17trampoline_kernelINS0_14default_configENS1_38merge_sort_block_merge_config_selectorIbiEEZZNS1_27merge_sort_block_merge_implIS3_N6thrust23THRUST_200600_302600_NS6detail15normal_iteratorINS8_10device_ptrIbEEEENSA_INSB_IiEEEEjNS1_19radix_merge_compareILb0ELb0EbNS0_19identity_decomposerEEEEE10hipError_tT0_T1_T2_jT3_P12ihipStream_tbPNSt15iterator_traitsISK_E10value_typeEPNSQ_ISL_E10value_typeEPSM_NS1_7vsmem_tEENKUlT_SK_SL_SM_E_clISD_PbSF_PiEESJ_SZ_SK_SL_SM_EUlSZ_E0_NS1_11comp_targetILNS1_3genE3ELNS1_11target_archE908ELNS1_3gpuE7ELNS1_3repE0EEENS1_38merge_mergepath_config_static_selectorELNS0_4arch9wavefront6targetE1EEEvSL_.has_dyn_sized_stack, 0
	.set _ZN7rocprim17ROCPRIM_400000_NS6detail17trampoline_kernelINS0_14default_configENS1_38merge_sort_block_merge_config_selectorIbiEEZZNS1_27merge_sort_block_merge_implIS3_N6thrust23THRUST_200600_302600_NS6detail15normal_iteratorINS8_10device_ptrIbEEEENSA_INSB_IiEEEEjNS1_19radix_merge_compareILb0ELb0EbNS0_19identity_decomposerEEEEE10hipError_tT0_T1_T2_jT3_P12ihipStream_tbPNSt15iterator_traitsISK_E10value_typeEPNSQ_ISL_E10value_typeEPSM_NS1_7vsmem_tEENKUlT_SK_SL_SM_E_clISD_PbSF_PiEESJ_SZ_SK_SL_SM_EUlSZ_E0_NS1_11comp_targetILNS1_3genE3ELNS1_11target_archE908ELNS1_3gpuE7ELNS1_3repE0EEENS1_38merge_mergepath_config_static_selectorELNS0_4arch9wavefront6targetE1EEEvSL_.has_recursion, 0
	.set _ZN7rocprim17ROCPRIM_400000_NS6detail17trampoline_kernelINS0_14default_configENS1_38merge_sort_block_merge_config_selectorIbiEEZZNS1_27merge_sort_block_merge_implIS3_N6thrust23THRUST_200600_302600_NS6detail15normal_iteratorINS8_10device_ptrIbEEEENSA_INSB_IiEEEEjNS1_19radix_merge_compareILb0ELb0EbNS0_19identity_decomposerEEEEE10hipError_tT0_T1_T2_jT3_P12ihipStream_tbPNSt15iterator_traitsISK_E10value_typeEPNSQ_ISL_E10value_typeEPSM_NS1_7vsmem_tEENKUlT_SK_SL_SM_E_clISD_PbSF_PiEESJ_SZ_SK_SL_SM_EUlSZ_E0_NS1_11comp_targetILNS1_3genE3ELNS1_11target_archE908ELNS1_3gpuE7ELNS1_3repE0EEENS1_38merge_mergepath_config_static_selectorELNS0_4arch9wavefront6targetE1EEEvSL_.has_indirect_call, 0
	.section	.AMDGPU.csdata,"",@progbits
; Kernel info:
; codeLenInByte = 0
; TotalNumSgprs: 6
; NumVgprs: 0
; NumAgprs: 0
; TotalNumVgprs: 0
; ScratchSize: 0
; MemoryBound: 0
; FloatMode: 240
; IeeeMode: 1
; LDSByteSize: 0 bytes/workgroup (compile time only)
; SGPRBlocks: 0
; VGPRBlocks: 0
; NumSGPRsForWavesPerEU: 6
; NumVGPRsForWavesPerEU: 1
; AccumOffset: 4
; Occupancy: 8
; WaveLimiterHint : 0
; COMPUTE_PGM_RSRC2:SCRATCH_EN: 0
; COMPUTE_PGM_RSRC2:USER_SGPR: 2
; COMPUTE_PGM_RSRC2:TRAP_HANDLER: 0
; COMPUTE_PGM_RSRC2:TGID_X_EN: 1
; COMPUTE_PGM_RSRC2:TGID_Y_EN: 0
; COMPUTE_PGM_RSRC2:TGID_Z_EN: 0
; COMPUTE_PGM_RSRC2:TIDIG_COMP_CNT: 0
; COMPUTE_PGM_RSRC3_GFX90A:ACCUM_OFFSET: 0
; COMPUTE_PGM_RSRC3_GFX90A:TG_SPLIT: 0
	.section	.text._ZN7rocprim17ROCPRIM_400000_NS6detail17trampoline_kernelINS0_14default_configENS1_38merge_sort_block_merge_config_selectorIbiEEZZNS1_27merge_sort_block_merge_implIS3_N6thrust23THRUST_200600_302600_NS6detail15normal_iteratorINS8_10device_ptrIbEEEENSA_INSB_IiEEEEjNS1_19radix_merge_compareILb0ELb0EbNS0_19identity_decomposerEEEEE10hipError_tT0_T1_T2_jT3_P12ihipStream_tbPNSt15iterator_traitsISK_E10value_typeEPNSQ_ISL_E10value_typeEPSM_NS1_7vsmem_tEENKUlT_SK_SL_SM_E_clISD_PbSF_PiEESJ_SZ_SK_SL_SM_EUlSZ_E0_NS1_11comp_targetILNS1_3genE2ELNS1_11target_archE906ELNS1_3gpuE6ELNS1_3repE0EEENS1_38merge_mergepath_config_static_selectorELNS0_4arch9wavefront6targetE1EEEvSL_,"axG",@progbits,_ZN7rocprim17ROCPRIM_400000_NS6detail17trampoline_kernelINS0_14default_configENS1_38merge_sort_block_merge_config_selectorIbiEEZZNS1_27merge_sort_block_merge_implIS3_N6thrust23THRUST_200600_302600_NS6detail15normal_iteratorINS8_10device_ptrIbEEEENSA_INSB_IiEEEEjNS1_19radix_merge_compareILb0ELb0EbNS0_19identity_decomposerEEEEE10hipError_tT0_T1_T2_jT3_P12ihipStream_tbPNSt15iterator_traitsISK_E10value_typeEPNSQ_ISL_E10value_typeEPSM_NS1_7vsmem_tEENKUlT_SK_SL_SM_E_clISD_PbSF_PiEESJ_SZ_SK_SL_SM_EUlSZ_E0_NS1_11comp_targetILNS1_3genE2ELNS1_11target_archE906ELNS1_3gpuE6ELNS1_3repE0EEENS1_38merge_mergepath_config_static_selectorELNS0_4arch9wavefront6targetE1EEEvSL_,comdat
	.protected	_ZN7rocprim17ROCPRIM_400000_NS6detail17trampoline_kernelINS0_14default_configENS1_38merge_sort_block_merge_config_selectorIbiEEZZNS1_27merge_sort_block_merge_implIS3_N6thrust23THRUST_200600_302600_NS6detail15normal_iteratorINS8_10device_ptrIbEEEENSA_INSB_IiEEEEjNS1_19radix_merge_compareILb0ELb0EbNS0_19identity_decomposerEEEEE10hipError_tT0_T1_T2_jT3_P12ihipStream_tbPNSt15iterator_traitsISK_E10value_typeEPNSQ_ISL_E10value_typeEPSM_NS1_7vsmem_tEENKUlT_SK_SL_SM_E_clISD_PbSF_PiEESJ_SZ_SK_SL_SM_EUlSZ_E0_NS1_11comp_targetILNS1_3genE2ELNS1_11target_archE906ELNS1_3gpuE6ELNS1_3repE0EEENS1_38merge_mergepath_config_static_selectorELNS0_4arch9wavefront6targetE1EEEvSL_ ; -- Begin function _ZN7rocprim17ROCPRIM_400000_NS6detail17trampoline_kernelINS0_14default_configENS1_38merge_sort_block_merge_config_selectorIbiEEZZNS1_27merge_sort_block_merge_implIS3_N6thrust23THRUST_200600_302600_NS6detail15normal_iteratorINS8_10device_ptrIbEEEENSA_INSB_IiEEEEjNS1_19radix_merge_compareILb0ELb0EbNS0_19identity_decomposerEEEEE10hipError_tT0_T1_T2_jT3_P12ihipStream_tbPNSt15iterator_traitsISK_E10value_typeEPNSQ_ISL_E10value_typeEPSM_NS1_7vsmem_tEENKUlT_SK_SL_SM_E_clISD_PbSF_PiEESJ_SZ_SK_SL_SM_EUlSZ_E0_NS1_11comp_targetILNS1_3genE2ELNS1_11target_archE906ELNS1_3gpuE6ELNS1_3repE0EEENS1_38merge_mergepath_config_static_selectorELNS0_4arch9wavefront6targetE1EEEvSL_
	.globl	_ZN7rocprim17ROCPRIM_400000_NS6detail17trampoline_kernelINS0_14default_configENS1_38merge_sort_block_merge_config_selectorIbiEEZZNS1_27merge_sort_block_merge_implIS3_N6thrust23THRUST_200600_302600_NS6detail15normal_iteratorINS8_10device_ptrIbEEEENSA_INSB_IiEEEEjNS1_19radix_merge_compareILb0ELb0EbNS0_19identity_decomposerEEEEE10hipError_tT0_T1_T2_jT3_P12ihipStream_tbPNSt15iterator_traitsISK_E10value_typeEPNSQ_ISL_E10value_typeEPSM_NS1_7vsmem_tEENKUlT_SK_SL_SM_E_clISD_PbSF_PiEESJ_SZ_SK_SL_SM_EUlSZ_E0_NS1_11comp_targetILNS1_3genE2ELNS1_11target_archE906ELNS1_3gpuE6ELNS1_3repE0EEENS1_38merge_mergepath_config_static_selectorELNS0_4arch9wavefront6targetE1EEEvSL_
	.p2align	8
	.type	_ZN7rocprim17ROCPRIM_400000_NS6detail17trampoline_kernelINS0_14default_configENS1_38merge_sort_block_merge_config_selectorIbiEEZZNS1_27merge_sort_block_merge_implIS3_N6thrust23THRUST_200600_302600_NS6detail15normal_iteratorINS8_10device_ptrIbEEEENSA_INSB_IiEEEEjNS1_19radix_merge_compareILb0ELb0EbNS0_19identity_decomposerEEEEE10hipError_tT0_T1_T2_jT3_P12ihipStream_tbPNSt15iterator_traitsISK_E10value_typeEPNSQ_ISL_E10value_typeEPSM_NS1_7vsmem_tEENKUlT_SK_SL_SM_E_clISD_PbSF_PiEESJ_SZ_SK_SL_SM_EUlSZ_E0_NS1_11comp_targetILNS1_3genE2ELNS1_11target_archE906ELNS1_3gpuE6ELNS1_3repE0EEENS1_38merge_mergepath_config_static_selectorELNS0_4arch9wavefront6targetE1EEEvSL_,@function
_ZN7rocprim17ROCPRIM_400000_NS6detail17trampoline_kernelINS0_14default_configENS1_38merge_sort_block_merge_config_selectorIbiEEZZNS1_27merge_sort_block_merge_implIS3_N6thrust23THRUST_200600_302600_NS6detail15normal_iteratorINS8_10device_ptrIbEEEENSA_INSB_IiEEEEjNS1_19radix_merge_compareILb0ELb0EbNS0_19identity_decomposerEEEEE10hipError_tT0_T1_T2_jT3_P12ihipStream_tbPNSt15iterator_traitsISK_E10value_typeEPNSQ_ISL_E10value_typeEPSM_NS1_7vsmem_tEENKUlT_SK_SL_SM_E_clISD_PbSF_PiEESJ_SZ_SK_SL_SM_EUlSZ_E0_NS1_11comp_targetILNS1_3genE2ELNS1_11target_archE906ELNS1_3gpuE6ELNS1_3repE0EEENS1_38merge_mergepath_config_static_selectorELNS0_4arch9wavefront6targetE1EEEvSL_: ; @_ZN7rocprim17ROCPRIM_400000_NS6detail17trampoline_kernelINS0_14default_configENS1_38merge_sort_block_merge_config_selectorIbiEEZZNS1_27merge_sort_block_merge_implIS3_N6thrust23THRUST_200600_302600_NS6detail15normal_iteratorINS8_10device_ptrIbEEEENSA_INSB_IiEEEEjNS1_19radix_merge_compareILb0ELb0EbNS0_19identity_decomposerEEEEE10hipError_tT0_T1_T2_jT3_P12ihipStream_tbPNSt15iterator_traitsISK_E10value_typeEPNSQ_ISL_E10value_typeEPSM_NS1_7vsmem_tEENKUlT_SK_SL_SM_E_clISD_PbSF_PiEESJ_SZ_SK_SL_SM_EUlSZ_E0_NS1_11comp_targetILNS1_3genE2ELNS1_11target_archE906ELNS1_3gpuE6ELNS1_3repE0EEENS1_38merge_mergepath_config_static_selectorELNS0_4arch9wavefront6targetE1EEEvSL_
; %bb.0:
	.section	.rodata,"a",@progbits
	.p2align	6, 0x0
	.amdhsa_kernel _ZN7rocprim17ROCPRIM_400000_NS6detail17trampoline_kernelINS0_14default_configENS1_38merge_sort_block_merge_config_selectorIbiEEZZNS1_27merge_sort_block_merge_implIS3_N6thrust23THRUST_200600_302600_NS6detail15normal_iteratorINS8_10device_ptrIbEEEENSA_INSB_IiEEEEjNS1_19radix_merge_compareILb0ELb0EbNS0_19identity_decomposerEEEEE10hipError_tT0_T1_T2_jT3_P12ihipStream_tbPNSt15iterator_traitsISK_E10value_typeEPNSQ_ISL_E10value_typeEPSM_NS1_7vsmem_tEENKUlT_SK_SL_SM_E_clISD_PbSF_PiEESJ_SZ_SK_SL_SM_EUlSZ_E0_NS1_11comp_targetILNS1_3genE2ELNS1_11target_archE906ELNS1_3gpuE6ELNS1_3repE0EEENS1_38merge_mergepath_config_static_selectorELNS0_4arch9wavefront6targetE1EEEvSL_
		.amdhsa_group_segment_fixed_size 0
		.amdhsa_private_segment_fixed_size 0
		.amdhsa_kernarg_size 64
		.amdhsa_user_sgpr_count 2
		.amdhsa_user_sgpr_dispatch_ptr 0
		.amdhsa_user_sgpr_queue_ptr 0
		.amdhsa_user_sgpr_kernarg_segment_ptr 1
		.amdhsa_user_sgpr_dispatch_id 0
		.amdhsa_user_sgpr_kernarg_preload_length 0
		.amdhsa_user_sgpr_kernarg_preload_offset 0
		.amdhsa_user_sgpr_private_segment_size 0
		.amdhsa_uses_dynamic_stack 0
		.amdhsa_enable_private_segment 0
		.amdhsa_system_sgpr_workgroup_id_x 1
		.amdhsa_system_sgpr_workgroup_id_y 0
		.amdhsa_system_sgpr_workgroup_id_z 0
		.amdhsa_system_sgpr_workgroup_info 0
		.amdhsa_system_vgpr_workitem_id 0
		.amdhsa_next_free_vgpr 1
		.amdhsa_next_free_sgpr 0
		.amdhsa_accum_offset 4
		.amdhsa_reserve_vcc 0
		.amdhsa_float_round_mode_32 0
		.amdhsa_float_round_mode_16_64 0
		.amdhsa_float_denorm_mode_32 3
		.amdhsa_float_denorm_mode_16_64 3
		.amdhsa_dx10_clamp 1
		.amdhsa_ieee_mode 1
		.amdhsa_fp16_overflow 0
		.amdhsa_tg_split 0
		.amdhsa_exception_fp_ieee_invalid_op 0
		.amdhsa_exception_fp_denorm_src 0
		.amdhsa_exception_fp_ieee_div_zero 0
		.amdhsa_exception_fp_ieee_overflow 0
		.amdhsa_exception_fp_ieee_underflow 0
		.amdhsa_exception_fp_ieee_inexact 0
		.amdhsa_exception_int_div_zero 0
	.end_amdhsa_kernel
	.section	.text._ZN7rocprim17ROCPRIM_400000_NS6detail17trampoline_kernelINS0_14default_configENS1_38merge_sort_block_merge_config_selectorIbiEEZZNS1_27merge_sort_block_merge_implIS3_N6thrust23THRUST_200600_302600_NS6detail15normal_iteratorINS8_10device_ptrIbEEEENSA_INSB_IiEEEEjNS1_19radix_merge_compareILb0ELb0EbNS0_19identity_decomposerEEEEE10hipError_tT0_T1_T2_jT3_P12ihipStream_tbPNSt15iterator_traitsISK_E10value_typeEPNSQ_ISL_E10value_typeEPSM_NS1_7vsmem_tEENKUlT_SK_SL_SM_E_clISD_PbSF_PiEESJ_SZ_SK_SL_SM_EUlSZ_E0_NS1_11comp_targetILNS1_3genE2ELNS1_11target_archE906ELNS1_3gpuE6ELNS1_3repE0EEENS1_38merge_mergepath_config_static_selectorELNS0_4arch9wavefront6targetE1EEEvSL_,"axG",@progbits,_ZN7rocprim17ROCPRIM_400000_NS6detail17trampoline_kernelINS0_14default_configENS1_38merge_sort_block_merge_config_selectorIbiEEZZNS1_27merge_sort_block_merge_implIS3_N6thrust23THRUST_200600_302600_NS6detail15normal_iteratorINS8_10device_ptrIbEEEENSA_INSB_IiEEEEjNS1_19radix_merge_compareILb0ELb0EbNS0_19identity_decomposerEEEEE10hipError_tT0_T1_T2_jT3_P12ihipStream_tbPNSt15iterator_traitsISK_E10value_typeEPNSQ_ISL_E10value_typeEPSM_NS1_7vsmem_tEENKUlT_SK_SL_SM_E_clISD_PbSF_PiEESJ_SZ_SK_SL_SM_EUlSZ_E0_NS1_11comp_targetILNS1_3genE2ELNS1_11target_archE906ELNS1_3gpuE6ELNS1_3repE0EEENS1_38merge_mergepath_config_static_selectorELNS0_4arch9wavefront6targetE1EEEvSL_,comdat
.Lfunc_end1946:
	.size	_ZN7rocprim17ROCPRIM_400000_NS6detail17trampoline_kernelINS0_14default_configENS1_38merge_sort_block_merge_config_selectorIbiEEZZNS1_27merge_sort_block_merge_implIS3_N6thrust23THRUST_200600_302600_NS6detail15normal_iteratorINS8_10device_ptrIbEEEENSA_INSB_IiEEEEjNS1_19radix_merge_compareILb0ELb0EbNS0_19identity_decomposerEEEEE10hipError_tT0_T1_T2_jT3_P12ihipStream_tbPNSt15iterator_traitsISK_E10value_typeEPNSQ_ISL_E10value_typeEPSM_NS1_7vsmem_tEENKUlT_SK_SL_SM_E_clISD_PbSF_PiEESJ_SZ_SK_SL_SM_EUlSZ_E0_NS1_11comp_targetILNS1_3genE2ELNS1_11target_archE906ELNS1_3gpuE6ELNS1_3repE0EEENS1_38merge_mergepath_config_static_selectorELNS0_4arch9wavefront6targetE1EEEvSL_, .Lfunc_end1946-_ZN7rocprim17ROCPRIM_400000_NS6detail17trampoline_kernelINS0_14default_configENS1_38merge_sort_block_merge_config_selectorIbiEEZZNS1_27merge_sort_block_merge_implIS3_N6thrust23THRUST_200600_302600_NS6detail15normal_iteratorINS8_10device_ptrIbEEEENSA_INSB_IiEEEEjNS1_19radix_merge_compareILb0ELb0EbNS0_19identity_decomposerEEEEE10hipError_tT0_T1_T2_jT3_P12ihipStream_tbPNSt15iterator_traitsISK_E10value_typeEPNSQ_ISL_E10value_typeEPSM_NS1_7vsmem_tEENKUlT_SK_SL_SM_E_clISD_PbSF_PiEESJ_SZ_SK_SL_SM_EUlSZ_E0_NS1_11comp_targetILNS1_3genE2ELNS1_11target_archE906ELNS1_3gpuE6ELNS1_3repE0EEENS1_38merge_mergepath_config_static_selectorELNS0_4arch9wavefront6targetE1EEEvSL_
                                        ; -- End function
	.set _ZN7rocprim17ROCPRIM_400000_NS6detail17trampoline_kernelINS0_14default_configENS1_38merge_sort_block_merge_config_selectorIbiEEZZNS1_27merge_sort_block_merge_implIS3_N6thrust23THRUST_200600_302600_NS6detail15normal_iteratorINS8_10device_ptrIbEEEENSA_INSB_IiEEEEjNS1_19radix_merge_compareILb0ELb0EbNS0_19identity_decomposerEEEEE10hipError_tT0_T1_T2_jT3_P12ihipStream_tbPNSt15iterator_traitsISK_E10value_typeEPNSQ_ISL_E10value_typeEPSM_NS1_7vsmem_tEENKUlT_SK_SL_SM_E_clISD_PbSF_PiEESJ_SZ_SK_SL_SM_EUlSZ_E0_NS1_11comp_targetILNS1_3genE2ELNS1_11target_archE906ELNS1_3gpuE6ELNS1_3repE0EEENS1_38merge_mergepath_config_static_selectorELNS0_4arch9wavefront6targetE1EEEvSL_.num_vgpr, 0
	.set _ZN7rocprim17ROCPRIM_400000_NS6detail17trampoline_kernelINS0_14default_configENS1_38merge_sort_block_merge_config_selectorIbiEEZZNS1_27merge_sort_block_merge_implIS3_N6thrust23THRUST_200600_302600_NS6detail15normal_iteratorINS8_10device_ptrIbEEEENSA_INSB_IiEEEEjNS1_19radix_merge_compareILb0ELb0EbNS0_19identity_decomposerEEEEE10hipError_tT0_T1_T2_jT3_P12ihipStream_tbPNSt15iterator_traitsISK_E10value_typeEPNSQ_ISL_E10value_typeEPSM_NS1_7vsmem_tEENKUlT_SK_SL_SM_E_clISD_PbSF_PiEESJ_SZ_SK_SL_SM_EUlSZ_E0_NS1_11comp_targetILNS1_3genE2ELNS1_11target_archE906ELNS1_3gpuE6ELNS1_3repE0EEENS1_38merge_mergepath_config_static_selectorELNS0_4arch9wavefront6targetE1EEEvSL_.num_agpr, 0
	.set _ZN7rocprim17ROCPRIM_400000_NS6detail17trampoline_kernelINS0_14default_configENS1_38merge_sort_block_merge_config_selectorIbiEEZZNS1_27merge_sort_block_merge_implIS3_N6thrust23THRUST_200600_302600_NS6detail15normal_iteratorINS8_10device_ptrIbEEEENSA_INSB_IiEEEEjNS1_19radix_merge_compareILb0ELb0EbNS0_19identity_decomposerEEEEE10hipError_tT0_T1_T2_jT3_P12ihipStream_tbPNSt15iterator_traitsISK_E10value_typeEPNSQ_ISL_E10value_typeEPSM_NS1_7vsmem_tEENKUlT_SK_SL_SM_E_clISD_PbSF_PiEESJ_SZ_SK_SL_SM_EUlSZ_E0_NS1_11comp_targetILNS1_3genE2ELNS1_11target_archE906ELNS1_3gpuE6ELNS1_3repE0EEENS1_38merge_mergepath_config_static_selectorELNS0_4arch9wavefront6targetE1EEEvSL_.numbered_sgpr, 0
	.set _ZN7rocprim17ROCPRIM_400000_NS6detail17trampoline_kernelINS0_14default_configENS1_38merge_sort_block_merge_config_selectorIbiEEZZNS1_27merge_sort_block_merge_implIS3_N6thrust23THRUST_200600_302600_NS6detail15normal_iteratorINS8_10device_ptrIbEEEENSA_INSB_IiEEEEjNS1_19radix_merge_compareILb0ELb0EbNS0_19identity_decomposerEEEEE10hipError_tT0_T1_T2_jT3_P12ihipStream_tbPNSt15iterator_traitsISK_E10value_typeEPNSQ_ISL_E10value_typeEPSM_NS1_7vsmem_tEENKUlT_SK_SL_SM_E_clISD_PbSF_PiEESJ_SZ_SK_SL_SM_EUlSZ_E0_NS1_11comp_targetILNS1_3genE2ELNS1_11target_archE906ELNS1_3gpuE6ELNS1_3repE0EEENS1_38merge_mergepath_config_static_selectorELNS0_4arch9wavefront6targetE1EEEvSL_.num_named_barrier, 0
	.set _ZN7rocprim17ROCPRIM_400000_NS6detail17trampoline_kernelINS0_14default_configENS1_38merge_sort_block_merge_config_selectorIbiEEZZNS1_27merge_sort_block_merge_implIS3_N6thrust23THRUST_200600_302600_NS6detail15normal_iteratorINS8_10device_ptrIbEEEENSA_INSB_IiEEEEjNS1_19radix_merge_compareILb0ELb0EbNS0_19identity_decomposerEEEEE10hipError_tT0_T1_T2_jT3_P12ihipStream_tbPNSt15iterator_traitsISK_E10value_typeEPNSQ_ISL_E10value_typeEPSM_NS1_7vsmem_tEENKUlT_SK_SL_SM_E_clISD_PbSF_PiEESJ_SZ_SK_SL_SM_EUlSZ_E0_NS1_11comp_targetILNS1_3genE2ELNS1_11target_archE906ELNS1_3gpuE6ELNS1_3repE0EEENS1_38merge_mergepath_config_static_selectorELNS0_4arch9wavefront6targetE1EEEvSL_.private_seg_size, 0
	.set _ZN7rocprim17ROCPRIM_400000_NS6detail17trampoline_kernelINS0_14default_configENS1_38merge_sort_block_merge_config_selectorIbiEEZZNS1_27merge_sort_block_merge_implIS3_N6thrust23THRUST_200600_302600_NS6detail15normal_iteratorINS8_10device_ptrIbEEEENSA_INSB_IiEEEEjNS1_19radix_merge_compareILb0ELb0EbNS0_19identity_decomposerEEEEE10hipError_tT0_T1_T2_jT3_P12ihipStream_tbPNSt15iterator_traitsISK_E10value_typeEPNSQ_ISL_E10value_typeEPSM_NS1_7vsmem_tEENKUlT_SK_SL_SM_E_clISD_PbSF_PiEESJ_SZ_SK_SL_SM_EUlSZ_E0_NS1_11comp_targetILNS1_3genE2ELNS1_11target_archE906ELNS1_3gpuE6ELNS1_3repE0EEENS1_38merge_mergepath_config_static_selectorELNS0_4arch9wavefront6targetE1EEEvSL_.uses_vcc, 0
	.set _ZN7rocprim17ROCPRIM_400000_NS6detail17trampoline_kernelINS0_14default_configENS1_38merge_sort_block_merge_config_selectorIbiEEZZNS1_27merge_sort_block_merge_implIS3_N6thrust23THRUST_200600_302600_NS6detail15normal_iteratorINS8_10device_ptrIbEEEENSA_INSB_IiEEEEjNS1_19radix_merge_compareILb0ELb0EbNS0_19identity_decomposerEEEEE10hipError_tT0_T1_T2_jT3_P12ihipStream_tbPNSt15iterator_traitsISK_E10value_typeEPNSQ_ISL_E10value_typeEPSM_NS1_7vsmem_tEENKUlT_SK_SL_SM_E_clISD_PbSF_PiEESJ_SZ_SK_SL_SM_EUlSZ_E0_NS1_11comp_targetILNS1_3genE2ELNS1_11target_archE906ELNS1_3gpuE6ELNS1_3repE0EEENS1_38merge_mergepath_config_static_selectorELNS0_4arch9wavefront6targetE1EEEvSL_.uses_flat_scratch, 0
	.set _ZN7rocprim17ROCPRIM_400000_NS6detail17trampoline_kernelINS0_14default_configENS1_38merge_sort_block_merge_config_selectorIbiEEZZNS1_27merge_sort_block_merge_implIS3_N6thrust23THRUST_200600_302600_NS6detail15normal_iteratorINS8_10device_ptrIbEEEENSA_INSB_IiEEEEjNS1_19radix_merge_compareILb0ELb0EbNS0_19identity_decomposerEEEEE10hipError_tT0_T1_T2_jT3_P12ihipStream_tbPNSt15iterator_traitsISK_E10value_typeEPNSQ_ISL_E10value_typeEPSM_NS1_7vsmem_tEENKUlT_SK_SL_SM_E_clISD_PbSF_PiEESJ_SZ_SK_SL_SM_EUlSZ_E0_NS1_11comp_targetILNS1_3genE2ELNS1_11target_archE906ELNS1_3gpuE6ELNS1_3repE0EEENS1_38merge_mergepath_config_static_selectorELNS0_4arch9wavefront6targetE1EEEvSL_.has_dyn_sized_stack, 0
	.set _ZN7rocprim17ROCPRIM_400000_NS6detail17trampoline_kernelINS0_14default_configENS1_38merge_sort_block_merge_config_selectorIbiEEZZNS1_27merge_sort_block_merge_implIS3_N6thrust23THRUST_200600_302600_NS6detail15normal_iteratorINS8_10device_ptrIbEEEENSA_INSB_IiEEEEjNS1_19radix_merge_compareILb0ELb0EbNS0_19identity_decomposerEEEEE10hipError_tT0_T1_T2_jT3_P12ihipStream_tbPNSt15iterator_traitsISK_E10value_typeEPNSQ_ISL_E10value_typeEPSM_NS1_7vsmem_tEENKUlT_SK_SL_SM_E_clISD_PbSF_PiEESJ_SZ_SK_SL_SM_EUlSZ_E0_NS1_11comp_targetILNS1_3genE2ELNS1_11target_archE906ELNS1_3gpuE6ELNS1_3repE0EEENS1_38merge_mergepath_config_static_selectorELNS0_4arch9wavefront6targetE1EEEvSL_.has_recursion, 0
	.set _ZN7rocprim17ROCPRIM_400000_NS6detail17trampoline_kernelINS0_14default_configENS1_38merge_sort_block_merge_config_selectorIbiEEZZNS1_27merge_sort_block_merge_implIS3_N6thrust23THRUST_200600_302600_NS6detail15normal_iteratorINS8_10device_ptrIbEEEENSA_INSB_IiEEEEjNS1_19radix_merge_compareILb0ELb0EbNS0_19identity_decomposerEEEEE10hipError_tT0_T1_T2_jT3_P12ihipStream_tbPNSt15iterator_traitsISK_E10value_typeEPNSQ_ISL_E10value_typeEPSM_NS1_7vsmem_tEENKUlT_SK_SL_SM_E_clISD_PbSF_PiEESJ_SZ_SK_SL_SM_EUlSZ_E0_NS1_11comp_targetILNS1_3genE2ELNS1_11target_archE906ELNS1_3gpuE6ELNS1_3repE0EEENS1_38merge_mergepath_config_static_selectorELNS0_4arch9wavefront6targetE1EEEvSL_.has_indirect_call, 0
	.section	.AMDGPU.csdata,"",@progbits
; Kernel info:
; codeLenInByte = 0
; TotalNumSgprs: 6
; NumVgprs: 0
; NumAgprs: 0
; TotalNumVgprs: 0
; ScratchSize: 0
; MemoryBound: 0
; FloatMode: 240
; IeeeMode: 1
; LDSByteSize: 0 bytes/workgroup (compile time only)
; SGPRBlocks: 0
; VGPRBlocks: 0
; NumSGPRsForWavesPerEU: 6
; NumVGPRsForWavesPerEU: 1
; AccumOffset: 4
; Occupancy: 8
; WaveLimiterHint : 0
; COMPUTE_PGM_RSRC2:SCRATCH_EN: 0
; COMPUTE_PGM_RSRC2:USER_SGPR: 2
; COMPUTE_PGM_RSRC2:TRAP_HANDLER: 0
; COMPUTE_PGM_RSRC2:TGID_X_EN: 1
; COMPUTE_PGM_RSRC2:TGID_Y_EN: 0
; COMPUTE_PGM_RSRC2:TGID_Z_EN: 0
; COMPUTE_PGM_RSRC2:TIDIG_COMP_CNT: 0
; COMPUTE_PGM_RSRC3_GFX90A:ACCUM_OFFSET: 0
; COMPUTE_PGM_RSRC3_GFX90A:TG_SPLIT: 0
	.section	.text._ZN7rocprim17ROCPRIM_400000_NS6detail17trampoline_kernelINS0_14default_configENS1_38merge_sort_block_merge_config_selectorIbiEEZZNS1_27merge_sort_block_merge_implIS3_N6thrust23THRUST_200600_302600_NS6detail15normal_iteratorINS8_10device_ptrIbEEEENSA_INSB_IiEEEEjNS1_19radix_merge_compareILb0ELb0EbNS0_19identity_decomposerEEEEE10hipError_tT0_T1_T2_jT3_P12ihipStream_tbPNSt15iterator_traitsISK_E10value_typeEPNSQ_ISL_E10value_typeEPSM_NS1_7vsmem_tEENKUlT_SK_SL_SM_E_clISD_PbSF_PiEESJ_SZ_SK_SL_SM_EUlSZ_E0_NS1_11comp_targetILNS1_3genE9ELNS1_11target_archE1100ELNS1_3gpuE3ELNS1_3repE0EEENS1_38merge_mergepath_config_static_selectorELNS0_4arch9wavefront6targetE1EEEvSL_,"axG",@progbits,_ZN7rocprim17ROCPRIM_400000_NS6detail17trampoline_kernelINS0_14default_configENS1_38merge_sort_block_merge_config_selectorIbiEEZZNS1_27merge_sort_block_merge_implIS3_N6thrust23THRUST_200600_302600_NS6detail15normal_iteratorINS8_10device_ptrIbEEEENSA_INSB_IiEEEEjNS1_19radix_merge_compareILb0ELb0EbNS0_19identity_decomposerEEEEE10hipError_tT0_T1_T2_jT3_P12ihipStream_tbPNSt15iterator_traitsISK_E10value_typeEPNSQ_ISL_E10value_typeEPSM_NS1_7vsmem_tEENKUlT_SK_SL_SM_E_clISD_PbSF_PiEESJ_SZ_SK_SL_SM_EUlSZ_E0_NS1_11comp_targetILNS1_3genE9ELNS1_11target_archE1100ELNS1_3gpuE3ELNS1_3repE0EEENS1_38merge_mergepath_config_static_selectorELNS0_4arch9wavefront6targetE1EEEvSL_,comdat
	.protected	_ZN7rocprim17ROCPRIM_400000_NS6detail17trampoline_kernelINS0_14default_configENS1_38merge_sort_block_merge_config_selectorIbiEEZZNS1_27merge_sort_block_merge_implIS3_N6thrust23THRUST_200600_302600_NS6detail15normal_iteratorINS8_10device_ptrIbEEEENSA_INSB_IiEEEEjNS1_19radix_merge_compareILb0ELb0EbNS0_19identity_decomposerEEEEE10hipError_tT0_T1_T2_jT3_P12ihipStream_tbPNSt15iterator_traitsISK_E10value_typeEPNSQ_ISL_E10value_typeEPSM_NS1_7vsmem_tEENKUlT_SK_SL_SM_E_clISD_PbSF_PiEESJ_SZ_SK_SL_SM_EUlSZ_E0_NS1_11comp_targetILNS1_3genE9ELNS1_11target_archE1100ELNS1_3gpuE3ELNS1_3repE0EEENS1_38merge_mergepath_config_static_selectorELNS0_4arch9wavefront6targetE1EEEvSL_ ; -- Begin function _ZN7rocprim17ROCPRIM_400000_NS6detail17trampoline_kernelINS0_14default_configENS1_38merge_sort_block_merge_config_selectorIbiEEZZNS1_27merge_sort_block_merge_implIS3_N6thrust23THRUST_200600_302600_NS6detail15normal_iteratorINS8_10device_ptrIbEEEENSA_INSB_IiEEEEjNS1_19radix_merge_compareILb0ELb0EbNS0_19identity_decomposerEEEEE10hipError_tT0_T1_T2_jT3_P12ihipStream_tbPNSt15iterator_traitsISK_E10value_typeEPNSQ_ISL_E10value_typeEPSM_NS1_7vsmem_tEENKUlT_SK_SL_SM_E_clISD_PbSF_PiEESJ_SZ_SK_SL_SM_EUlSZ_E0_NS1_11comp_targetILNS1_3genE9ELNS1_11target_archE1100ELNS1_3gpuE3ELNS1_3repE0EEENS1_38merge_mergepath_config_static_selectorELNS0_4arch9wavefront6targetE1EEEvSL_
	.globl	_ZN7rocprim17ROCPRIM_400000_NS6detail17trampoline_kernelINS0_14default_configENS1_38merge_sort_block_merge_config_selectorIbiEEZZNS1_27merge_sort_block_merge_implIS3_N6thrust23THRUST_200600_302600_NS6detail15normal_iteratorINS8_10device_ptrIbEEEENSA_INSB_IiEEEEjNS1_19radix_merge_compareILb0ELb0EbNS0_19identity_decomposerEEEEE10hipError_tT0_T1_T2_jT3_P12ihipStream_tbPNSt15iterator_traitsISK_E10value_typeEPNSQ_ISL_E10value_typeEPSM_NS1_7vsmem_tEENKUlT_SK_SL_SM_E_clISD_PbSF_PiEESJ_SZ_SK_SL_SM_EUlSZ_E0_NS1_11comp_targetILNS1_3genE9ELNS1_11target_archE1100ELNS1_3gpuE3ELNS1_3repE0EEENS1_38merge_mergepath_config_static_selectorELNS0_4arch9wavefront6targetE1EEEvSL_
	.p2align	8
	.type	_ZN7rocprim17ROCPRIM_400000_NS6detail17trampoline_kernelINS0_14default_configENS1_38merge_sort_block_merge_config_selectorIbiEEZZNS1_27merge_sort_block_merge_implIS3_N6thrust23THRUST_200600_302600_NS6detail15normal_iteratorINS8_10device_ptrIbEEEENSA_INSB_IiEEEEjNS1_19radix_merge_compareILb0ELb0EbNS0_19identity_decomposerEEEEE10hipError_tT0_T1_T2_jT3_P12ihipStream_tbPNSt15iterator_traitsISK_E10value_typeEPNSQ_ISL_E10value_typeEPSM_NS1_7vsmem_tEENKUlT_SK_SL_SM_E_clISD_PbSF_PiEESJ_SZ_SK_SL_SM_EUlSZ_E0_NS1_11comp_targetILNS1_3genE9ELNS1_11target_archE1100ELNS1_3gpuE3ELNS1_3repE0EEENS1_38merge_mergepath_config_static_selectorELNS0_4arch9wavefront6targetE1EEEvSL_,@function
_ZN7rocprim17ROCPRIM_400000_NS6detail17trampoline_kernelINS0_14default_configENS1_38merge_sort_block_merge_config_selectorIbiEEZZNS1_27merge_sort_block_merge_implIS3_N6thrust23THRUST_200600_302600_NS6detail15normal_iteratorINS8_10device_ptrIbEEEENSA_INSB_IiEEEEjNS1_19radix_merge_compareILb0ELb0EbNS0_19identity_decomposerEEEEE10hipError_tT0_T1_T2_jT3_P12ihipStream_tbPNSt15iterator_traitsISK_E10value_typeEPNSQ_ISL_E10value_typeEPSM_NS1_7vsmem_tEENKUlT_SK_SL_SM_E_clISD_PbSF_PiEESJ_SZ_SK_SL_SM_EUlSZ_E0_NS1_11comp_targetILNS1_3genE9ELNS1_11target_archE1100ELNS1_3gpuE3ELNS1_3repE0EEENS1_38merge_mergepath_config_static_selectorELNS0_4arch9wavefront6targetE1EEEvSL_: ; @_ZN7rocprim17ROCPRIM_400000_NS6detail17trampoline_kernelINS0_14default_configENS1_38merge_sort_block_merge_config_selectorIbiEEZZNS1_27merge_sort_block_merge_implIS3_N6thrust23THRUST_200600_302600_NS6detail15normal_iteratorINS8_10device_ptrIbEEEENSA_INSB_IiEEEEjNS1_19radix_merge_compareILb0ELb0EbNS0_19identity_decomposerEEEEE10hipError_tT0_T1_T2_jT3_P12ihipStream_tbPNSt15iterator_traitsISK_E10value_typeEPNSQ_ISL_E10value_typeEPSM_NS1_7vsmem_tEENKUlT_SK_SL_SM_E_clISD_PbSF_PiEESJ_SZ_SK_SL_SM_EUlSZ_E0_NS1_11comp_targetILNS1_3genE9ELNS1_11target_archE1100ELNS1_3gpuE3ELNS1_3repE0EEENS1_38merge_mergepath_config_static_selectorELNS0_4arch9wavefront6targetE1EEEvSL_
; %bb.0:
	.section	.rodata,"a",@progbits
	.p2align	6, 0x0
	.amdhsa_kernel _ZN7rocprim17ROCPRIM_400000_NS6detail17trampoline_kernelINS0_14default_configENS1_38merge_sort_block_merge_config_selectorIbiEEZZNS1_27merge_sort_block_merge_implIS3_N6thrust23THRUST_200600_302600_NS6detail15normal_iteratorINS8_10device_ptrIbEEEENSA_INSB_IiEEEEjNS1_19radix_merge_compareILb0ELb0EbNS0_19identity_decomposerEEEEE10hipError_tT0_T1_T2_jT3_P12ihipStream_tbPNSt15iterator_traitsISK_E10value_typeEPNSQ_ISL_E10value_typeEPSM_NS1_7vsmem_tEENKUlT_SK_SL_SM_E_clISD_PbSF_PiEESJ_SZ_SK_SL_SM_EUlSZ_E0_NS1_11comp_targetILNS1_3genE9ELNS1_11target_archE1100ELNS1_3gpuE3ELNS1_3repE0EEENS1_38merge_mergepath_config_static_selectorELNS0_4arch9wavefront6targetE1EEEvSL_
		.amdhsa_group_segment_fixed_size 0
		.amdhsa_private_segment_fixed_size 0
		.amdhsa_kernarg_size 64
		.amdhsa_user_sgpr_count 2
		.amdhsa_user_sgpr_dispatch_ptr 0
		.amdhsa_user_sgpr_queue_ptr 0
		.amdhsa_user_sgpr_kernarg_segment_ptr 1
		.amdhsa_user_sgpr_dispatch_id 0
		.amdhsa_user_sgpr_kernarg_preload_length 0
		.amdhsa_user_sgpr_kernarg_preload_offset 0
		.amdhsa_user_sgpr_private_segment_size 0
		.amdhsa_uses_dynamic_stack 0
		.amdhsa_enable_private_segment 0
		.amdhsa_system_sgpr_workgroup_id_x 1
		.amdhsa_system_sgpr_workgroup_id_y 0
		.amdhsa_system_sgpr_workgroup_id_z 0
		.amdhsa_system_sgpr_workgroup_info 0
		.amdhsa_system_vgpr_workitem_id 0
		.amdhsa_next_free_vgpr 1
		.amdhsa_next_free_sgpr 0
		.amdhsa_accum_offset 4
		.amdhsa_reserve_vcc 0
		.amdhsa_float_round_mode_32 0
		.amdhsa_float_round_mode_16_64 0
		.amdhsa_float_denorm_mode_32 3
		.amdhsa_float_denorm_mode_16_64 3
		.amdhsa_dx10_clamp 1
		.amdhsa_ieee_mode 1
		.amdhsa_fp16_overflow 0
		.amdhsa_tg_split 0
		.amdhsa_exception_fp_ieee_invalid_op 0
		.amdhsa_exception_fp_denorm_src 0
		.amdhsa_exception_fp_ieee_div_zero 0
		.amdhsa_exception_fp_ieee_overflow 0
		.amdhsa_exception_fp_ieee_underflow 0
		.amdhsa_exception_fp_ieee_inexact 0
		.amdhsa_exception_int_div_zero 0
	.end_amdhsa_kernel
	.section	.text._ZN7rocprim17ROCPRIM_400000_NS6detail17trampoline_kernelINS0_14default_configENS1_38merge_sort_block_merge_config_selectorIbiEEZZNS1_27merge_sort_block_merge_implIS3_N6thrust23THRUST_200600_302600_NS6detail15normal_iteratorINS8_10device_ptrIbEEEENSA_INSB_IiEEEEjNS1_19radix_merge_compareILb0ELb0EbNS0_19identity_decomposerEEEEE10hipError_tT0_T1_T2_jT3_P12ihipStream_tbPNSt15iterator_traitsISK_E10value_typeEPNSQ_ISL_E10value_typeEPSM_NS1_7vsmem_tEENKUlT_SK_SL_SM_E_clISD_PbSF_PiEESJ_SZ_SK_SL_SM_EUlSZ_E0_NS1_11comp_targetILNS1_3genE9ELNS1_11target_archE1100ELNS1_3gpuE3ELNS1_3repE0EEENS1_38merge_mergepath_config_static_selectorELNS0_4arch9wavefront6targetE1EEEvSL_,"axG",@progbits,_ZN7rocprim17ROCPRIM_400000_NS6detail17trampoline_kernelINS0_14default_configENS1_38merge_sort_block_merge_config_selectorIbiEEZZNS1_27merge_sort_block_merge_implIS3_N6thrust23THRUST_200600_302600_NS6detail15normal_iteratorINS8_10device_ptrIbEEEENSA_INSB_IiEEEEjNS1_19radix_merge_compareILb0ELb0EbNS0_19identity_decomposerEEEEE10hipError_tT0_T1_T2_jT3_P12ihipStream_tbPNSt15iterator_traitsISK_E10value_typeEPNSQ_ISL_E10value_typeEPSM_NS1_7vsmem_tEENKUlT_SK_SL_SM_E_clISD_PbSF_PiEESJ_SZ_SK_SL_SM_EUlSZ_E0_NS1_11comp_targetILNS1_3genE9ELNS1_11target_archE1100ELNS1_3gpuE3ELNS1_3repE0EEENS1_38merge_mergepath_config_static_selectorELNS0_4arch9wavefront6targetE1EEEvSL_,comdat
.Lfunc_end1947:
	.size	_ZN7rocprim17ROCPRIM_400000_NS6detail17trampoline_kernelINS0_14default_configENS1_38merge_sort_block_merge_config_selectorIbiEEZZNS1_27merge_sort_block_merge_implIS3_N6thrust23THRUST_200600_302600_NS6detail15normal_iteratorINS8_10device_ptrIbEEEENSA_INSB_IiEEEEjNS1_19radix_merge_compareILb0ELb0EbNS0_19identity_decomposerEEEEE10hipError_tT0_T1_T2_jT3_P12ihipStream_tbPNSt15iterator_traitsISK_E10value_typeEPNSQ_ISL_E10value_typeEPSM_NS1_7vsmem_tEENKUlT_SK_SL_SM_E_clISD_PbSF_PiEESJ_SZ_SK_SL_SM_EUlSZ_E0_NS1_11comp_targetILNS1_3genE9ELNS1_11target_archE1100ELNS1_3gpuE3ELNS1_3repE0EEENS1_38merge_mergepath_config_static_selectorELNS0_4arch9wavefront6targetE1EEEvSL_, .Lfunc_end1947-_ZN7rocprim17ROCPRIM_400000_NS6detail17trampoline_kernelINS0_14default_configENS1_38merge_sort_block_merge_config_selectorIbiEEZZNS1_27merge_sort_block_merge_implIS3_N6thrust23THRUST_200600_302600_NS6detail15normal_iteratorINS8_10device_ptrIbEEEENSA_INSB_IiEEEEjNS1_19radix_merge_compareILb0ELb0EbNS0_19identity_decomposerEEEEE10hipError_tT0_T1_T2_jT3_P12ihipStream_tbPNSt15iterator_traitsISK_E10value_typeEPNSQ_ISL_E10value_typeEPSM_NS1_7vsmem_tEENKUlT_SK_SL_SM_E_clISD_PbSF_PiEESJ_SZ_SK_SL_SM_EUlSZ_E0_NS1_11comp_targetILNS1_3genE9ELNS1_11target_archE1100ELNS1_3gpuE3ELNS1_3repE0EEENS1_38merge_mergepath_config_static_selectorELNS0_4arch9wavefront6targetE1EEEvSL_
                                        ; -- End function
	.set _ZN7rocprim17ROCPRIM_400000_NS6detail17trampoline_kernelINS0_14default_configENS1_38merge_sort_block_merge_config_selectorIbiEEZZNS1_27merge_sort_block_merge_implIS3_N6thrust23THRUST_200600_302600_NS6detail15normal_iteratorINS8_10device_ptrIbEEEENSA_INSB_IiEEEEjNS1_19radix_merge_compareILb0ELb0EbNS0_19identity_decomposerEEEEE10hipError_tT0_T1_T2_jT3_P12ihipStream_tbPNSt15iterator_traitsISK_E10value_typeEPNSQ_ISL_E10value_typeEPSM_NS1_7vsmem_tEENKUlT_SK_SL_SM_E_clISD_PbSF_PiEESJ_SZ_SK_SL_SM_EUlSZ_E0_NS1_11comp_targetILNS1_3genE9ELNS1_11target_archE1100ELNS1_3gpuE3ELNS1_3repE0EEENS1_38merge_mergepath_config_static_selectorELNS0_4arch9wavefront6targetE1EEEvSL_.num_vgpr, 0
	.set _ZN7rocprim17ROCPRIM_400000_NS6detail17trampoline_kernelINS0_14default_configENS1_38merge_sort_block_merge_config_selectorIbiEEZZNS1_27merge_sort_block_merge_implIS3_N6thrust23THRUST_200600_302600_NS6detail15normal_iteratorINS8_10device_ptrIbEEEENSA_INSB_IiEEEEjNS1_19radix_merge_compareILb0ELb0EbNS0_19identity_decomposerEEEEE10hipError_tT0_T1_T2_jT3_P12ihipStream_tbPNSt15iterator_traitsISK_E10value_typeEPNSQ_ISL_E10value_typeEPSM_NS1_7vsmem_tEENKUlT_SK_SL_SM_E_clISD_PbSF_PiEESJ_SZ_SK_SL_SM_EUlSZ_E0_NS1_11comp_targetILNS1_3genE9ELNS1_11target_archE1100ELNS1_3gpuE3ELNS1_3repE0EEENS1_38merge_mergepath_config_static_selectorELNS0_4arch9wavefront6targetE1EEEvSL_.num_agpr, 0
	.set _ZN7rocprim17ROCPRIM_400000_NS6detail17trampoline_kernelINS0_14default_configENS1_38merge_sort_block_merge_config_selectorIbiEEZZNS1_27merge_sort_block_merge_implIS3_N6thrust23THRUST_200600_302600_NS6detail15normal_iteratorINS8_10device_ptrIbEEEENSA_INSB_IiEEEEjNS1_19radix_merge_compareILb0ELb0EbNS0_19identity_decomposerEEEEE10hipError_tT0_T1_T2_jT3_P12ihipStream_tbPNSt15iterator_traitsISK_E10value_typeEPNSQ_ISL_E10value_typeEPSM_NS1_7vsmem_tEENKUlT_SK_SL_SM_E_clISD_PbSF_PiEESJ_SZ_SK_SL_SM_EUlSZ_E0_NS1_11comp_targetILNS1_3genE9ELNS1_11target_archE1100ELNS1_3gpuE3ELNS1_3repE0EEENS1_38merge_mergepath_config_static_selectorELNS0_4arch9wavefront6targetE1EEEvSL_.numbered_sgpr, 0
	.set _ZN7rocprim17ROCPRIM_400000_NS6detail17trampoline_kernelINS0_14default_configENS1_38merge_sort_block_merge_config_selectorIbiEEZZNS1_27merge_sort_block_merge_implIS3_N6thrust23THRUST_200600_302600_NS6detail15normal_iteratorINS8_10device_ptrIbEEEENSA_INSB_IiEEEEjNS1_19radix_merge_compareILb0ELb0EbNS0_19identity_decomposerEEEEE10hipError_tT0_T1_T2_jT3_P12ihipStream_tbPNSt15iterator_traitsISK_E10value_typeEPNSQ_ISL_E10value_typeEPSM_NS1_7vsmem_tEENKUlT_SK_SL_SM_E_clISD_PbSF_PiEESJ_SZ_SK_SL_SM_EUlSZ_E0_NS1_11comp_targetILNS1_3genE9ELNS1_11target_archE1100ELNS1_3gpuE3ELNS1_3repE0EEENS1_38merge_mergepath_config_static_selectorELNS0_4arch9wavefront6targetE1EEEvSL_.num_named_barrier, 0
	.set _ZN7rocprim17ROCPRIM_400000_NS6detail17trampoline_kernelINS0_14default_configENS1_38merge_sort_block_merge_config_selectorIbiEEZZNS1_27merge_sort_block_merge_implIS3_N6thrust23THRUST_200600_302600_NS6detail15normal_iteratorINS8_10device_ptrIbEEEENSA_INSB_IiEEEEjNS1_19radix_merge_compareILb0ELb0EbNS0_19identity_decomposerEEEEE10hipError_tT0_T1_T2_jT3_P12ihipStream_tbPNSt15iterator_traitsISK_E10value_typeEPNSQ_ISL_E10value_typeEPSM_NS1_7vsmem_tEENKUlT_SK_SL_SM_E_clISD_PbSF_PiEESJ_SZ_SK_SL_SM_EUlSZ_E0_NS1_11comp_targetILNS1_3genE9ELNS1_11target_archE1100ELNS1_3gpuE3ELNS1_3repE0EEENS1_38merge_mergepath_config_static_selectorELNS0_4arch9wavefront6targetE1EEEvSL_.private_seg_size, 0
	.set _ZN7rocprim17ROCPRIM_400000_NS6detail17trampoline_kernelINS0_14default_configENS1_38merge_sort_block_merge_config_selectorIbiEEZZNS1_27merge_sort_block_merge_implIS3_N6thrust23THRUST_200600_302600_NS6detail15normal_iteratorINS8_10device_ptrIbEEEENSA_INSB_IiEEEEjNS1_19radix_merge_compareILb0ELb0EbNS0_19identity_decomposerEEEEE10hipError_tT0_T1_T2_jT3_P12ihipStream_tbPNSt15iterator_traitsISK_E10value_typeEPNSQ_ISL_E10value_typeEPSM_NS1_7vsmem_tEENKUlT_SK_SL_SM_E_clISD_PbSF_PiEESJ_SZ_SK_SL_SM_EUlSZ_E0_NS1_11comp_targetILNS1_3genE9ELNS1_11target_archE1100ELNS1_3gpuE3ELNS1_3repE0EEENS1_38merge_mergepath_config_static_selectorELNS0_4arch9wavefront6targetE1EEEvSL_.uses_vcc, 0
	.set _ZN7rocprim17ROCPRIM_400000_NS6detail17trampoline_kernelINS0_14default_configENS1_38merge_sort_block_merge_config_selectorIbiEEZZNS1_27merge_sort_block_merge_implIS3_N6thrust23THRUST_200600_302600_NS6detail15normal_iteratorINS8_10device_ptrIbEEEENSA_INSB_IiEEEEjNS1_19radix_merge_compareILb0ELb0EbNS0_19identity_decomposerEEEEE10hipError_tT0_T1_T2_jT3_P12ihipStream_tbPNSt15iterator_traitsISK_E10value_typeEPNSQ_ISL_E10value_typeEPSM_NS1_7vsmem_tEENKUlT_SK_SL_SM_E_clISD_PbSF_PiEESJ_SZ_SK_SL_SM_EUlSZ_E0_NS1_11comp_targetILNS1_3genE9ELNS1_11target_archE1100ELNS1_3gpuE3ELNS1_3repE0EEENS1_38merge_mergepath_config_static_selectorELNS0_4arch9wavefront6targetE1EEEvSL_.uses_flat_scratch, 0
	.set _ZN7rocprim17ROCPRIM_400000_NS6detail17trampoline_kernelINS0_14default_configENS1_38merge_sort_block_merge_config_selectorIbiEEZZNS1_27merge_sort_block_merge_implIS3_N6thrust23THRUST_200600_302600_NS6detail15normal_iteratorINS8_10device_ptrIbEEEENSA_INSB_IiEEEEjNS1_19radix_merge_compareILb0ELb0EbNS0_19identity_decomposerEEEEE10hipError_tT0_T1_T2_jT3_P12ihipStream_tbPNSt15iterator_traitsISK_E10value_typeEPNSQ_ISL_E10value_typeEPSM_NS1_7vsmem_tEENKUlT_SK_SL_SM_E_clISD_PbSF_PiEESJ_SZ_SK_SL_SM_EUlSZ_E0_NS1_11comp_targetILNS1_3genE9ELNS1_11target_archE1100ELNS1_3gpuE3ELNS1_3repE0EEENS1_38merge_mergepath_config_static_selectorELNS0_4arch9wavefront6targetE1EEEvSL_.has_dyn_sized_stack, 0
	.set _ZN7rocprim17ROCPRIM_400000_NS6detail17trampoline_kernelINS0_14default_configENS1_38merge_sort_block_merge_config_selectorIbiEEZZNS1_27merge_sort_block_merge_implIS3_N6thrust23THRUST_200600_302600_NS6detail15normal_iteratorINS8_10device_ptrIbEEEENSA_INSB_IiEEEEjNS1_19radix_merge_compareILb0ELb0EbNS0_19identity_decomposerEEEEE10hipError_tT0_T1_T2_jT3_P12ihipStream_tbPNSt15iterator_traitsISK_E10value_typeEPNSQ_ISL_E10value_typeEPSM_NS1_7vsmem_tEENKUlT_SK_SL_SM_E_clISD_PbSF_PiEESJ_SZ_SK_SL_SM_EUlSZ_E0_NS1_11comp_targetILNS1_3genE9ELNS1_11target_archE1100ELNS1_3gpuE3ELNS1_3repE0EEENS1_38merge_mergepath_config_static_selectorELNS0_4arch9wavefront6targetE1EEEvSL_.has_recursion, 0
	.set _ZN7rocprim17ROCPRIM_400000_NS6detail17trampoline_kernelINS0_14default_configENS1_38merge_sort_block_merge_config_selectorIbiEEZZNS1_27merge_sort_block_merge_implIS3_N6thrust23THRUST_200600_302600_NS6detail15normal_iteratorINS8_10device_ptrIbEEEENSA_INSB_IiEEEEjNS1_19radix_merge_compareILb0ELb0EbNS0_19identity_decomposerEEEEE10hipError_tT0_T1_T2_jT3_P12ihipStream_tbPNSt15iterator_traitsISK_E10value_typeEPNSQ_ISL_E10value_typeEPSM_NS1_7vsmem_tEENKUlT_SK_SL_SM_E_clISD_PbSF_PiEESJ_SZ_SK_SL_SM_EUlSZ_E0_NS1_11comp_targetILNS1_3genE9ELNS1_11target_archE1100ELNS1_3gpuE3ELNS1_3repE0EEENS1_38merge_mergepath_config_static_selectorELNS0_4arch9wavefront6targetE1EEEvSL_.has_indirect_call, 0
	.section	.AMDGPU.csdata,"",@progbits
; Kernel info:
; codeLenInByte = 0
; TotalNumSgprs: 6
; NumVgprs: 0
; NumAgprs: 0
; TotalNumVgprs: 0
; ScratchSize: 0
; MemoryBound: 0
; FloatMode: 240
; IeeeMode: 1
; LDSByteSize: 0 bytes/workgroup (compile time only)
; SGPRBlocks: 0
; VGPRBlocks: 0
; NumSGPRsForWavesPerEU: 6
; NumVGPRsForWavesPerEU: 1
; AccumOffset: 4
; Occupancy: 8
; WaveLimiterHint : 0
; COMPUTE_PGM_RSRC2:SCRATCH_EN: 0
; COMPUTE_PGM_RSRC2:USER_SGPR: 2
; COMPUTE_PGM_RSRC2:TRAP_HANDLER: 0
; COMPUTE_PGM_RSRC2:TGID_X_EN: 1
; COMPUTE_PGM_RSRC2:TGID_Y_EN: 0
; COMPUTE_PGM_RSRC2:TGID_Z_EN: 0
; COMPUTE_PGM_RSRC2:TIDIG_COMP_CNT: 0
; COMPUTE_PGM_RSRC3_GFX90A:ACCUM_OFFSET: 0
; COMPUTE_PGM_RSRC3_GFX90A:TG_SPLIT: 0
	.section	.text._ZN7rocprim17ROCPRIM_400000_NS6detail17trampoline_kernelINS0_14default_configENS1_38merge_sort_block_merge_config_selectorIbiEEZZNS1_27merge_sort_block_merge_implIS3_N6thrust23THRUST_200600_302600_NS6detail15normal_iteratorINS8_10device_ptrIbEEEENSA_INSB_IiEEEEjNS1_19radix_merge_compareILb0ELb0EbNS0_19identity_decomposerEEEEE10hipError_tT0_T1_T2_jT3_P12ihipStream_tbPNSt15iterator_traitsISK_E10value_typeEPNSQ_ISL_E10value_typeEPSM_NS1_7vsmem_tEENKUlT_SK_SL_SM_E_clISD_PbSF_PiEESJ_SZ_SK_SL_SM_EUlSZ_E0_NS1_11comp_targetILNS1_3genE8ELNS1_11target_archE1030ELNS1_3gpuE2ELNS1_3repE0EEENS1_38merge_mergepath_config_static_selectorELNS0_4arch9wavefront6targetE1EEEvSL_,"axG",@progbits,_ZN7rocprim17ROCPRIM_400000_NS6detail17trampoline_kernelINS0_14default_configENS1_38merge_sort_block_merge_config_selectorIbiEEZZNS1_27merge_sort_block_merge_implIS3_N6thrust23THRUST_200600_302600_NS6detail15normal_iteratorINS8_10device_ptrIbEEEENSA_INSB_IiEEEEjNS1_19radix_merge_compareILb0ELb0EbNS0_19identity_decomposerEEEEE10hipError_tT0_T1_T2_jT3_P12ihipStream_tbPNSt15iterator_traitsISK_E10value_typeEPNSQ_ISL_E10value_typeEPSM_NS1_7vsmem_tEENKUlT_SK_SL_SM_E_clISD_PbSF_PiEESJ_SZ_SK_SL_SM_EUlSZ_E0_NS1_11comp_targetILNS1_3genE8ELNS1_11target_archE1030ELNS1_3gpuE2ELNS1_3repE0EEENS1_38merge_mergepath_config_static_selectorELNS0_4arch9wavefront6targetE1EEEvSL_,comdat
	.protected	_ZN7rocprim17ROCPRIM_400000_NS6detail17trampoline_kernelINS0_14default_configENS1_38merge_sort_block_merge_config_selectorIbiEEZZNS1_27merge_sort_block_merge_implIS3_N6thrust23THRUST_200600_302600_NS6detail15normal_iteratorINS8_10device_ptrIbEEEENSA_INSB_IiEEEEjNS1_19radix_merge_compareILb0ELb0EbNS0_19identity_decomposerEEEEE10hipError_tT0_T1_T2_jT3_P12ihipStream_tbPNSt15iterator_traitsISK_E10value_typeEPNSQ_ISL_E10value_typeEPSM_NS1_7vsmem_tEENKUlT_SK_SL_SM_E_clISD_PbSF_PiEESJ_SZ_SK_SL_SM_EUlSZ_E0_NS1_11comp_targetILNS1_3genE8ELNS1_11target_archE1030ELNS1_3gpuE2ELNS1_3repE0EEENS1_38merge_mergepath_config_static_selectorELNS0_4arch9wavefront6targetE1EEEvSL_ ; -- Begin function _ZN7rocprim17ROCPRIM_400000_NS6detail17trampoline_kernelINS0_14default_configENS1_38merge_sort_block_merge_config_selectorIbiEEZZNS1_27merge_sort_block_merge_implIS3_N6thrust23THRUST_200600_302600_NS6detail15normal_iteratorINS8_10device_ptrIbEEEENSA_INSB_IiEEEEjNS1_19radix_merge_compareILb0ELb0EbNS0_19identity_decomposerEEEEE10hipError_tT0_T1_T2_jT3_P12ihipStream_tbPNSt15iterator_traitsISK_E10value_typeEPNSQ_ISL_E10value_typeEPSM_NS1_7vsmem_tEENKUlT_SK_SL_SM_E_clISD_PbSF_PiEESJ_SZ_SK_SL_SM_EUlSZ_E0_NS1_11comp_targetILNS1_3genE8ELNS1_11target_archE1030ELNS1_3gpuE2ELNS1_3repE0EEENS1_38merge_mergepath_config_static_selectorELNS0_4arch9wavefront6targetE1EEEvSL_
	.globl	_ZN7rocprim17ROCPRIM_400000_NS6detail17trampoline_kernelINS0_14default_configENS1_38merge_sort_block_merge_config_selectorIbiEEZZNS1_27merge_sort_block_merge_implIS3_N6thrust23THRUST_200600_302600_NS6detail15normal_iteratorINS8_10device_ptrIbEEEENSA_INSB_IiEEEEjNS1_19radix_merge_compareILb0ELb0EbNS0_19identity_decomposerEEEEE10hipError_tT0_T1_T2_jT3_P12ihipStream_tbPNSt15iterator_traitsISK_E10value_typeEPNSQ_ISL_E10value_typeEPSM_NS1_7vsmem_tEENKUlT_SK_SL_SM_E_clISD_PbSF_PiEESJ_SZ_SK_SL_SM_EUlSZ_E0_NS1_11comp_targetILNS1_3genE8ELNS1_11target_archE1030ELNS1_3gpuE2ELNS1_3repE0EEENS1_38merge_mergepath_config_static_selectorELNS0_4arch9wavefront6targetE1EEEvSL_
	.p2align	8
	.type	_ZN7rocprim17ROCPRIM_400000_NS6detail17trampoline_kernelINS0_14default_configENS1_38merge_sort_block_merge_config_selectorIbiEEZZNS1_27merge_sort_block_merge_implIS3_N6thrust23THRUST_200600_302600_NS6detail15normal_iteratorINS8_10device_ptrIbEEEENSA_INSB_IiEEEEjNS1_19radix_merge_compareILb0ELb0EbNS0_19identity_decomposerEEEEE10hipError_tT0_T1_T2_jT3_P12ihipStream_tbPNSt15iterator_traitsISK_E10value_typeEPNSQ_ISL_E10value_typeEPSM_NS1_7vsmem_tEENKUlT_SK_SL_SM_E_clISD_PbSF_PiEESJ_SZ_SK_SL_SM_EUlSZ_E0_NS1_11comp_targetILNS1_3genE8ELNS1_11target_archE1030ELNS1_3gpuE2ELNS1_3repE0EEENS1_38merge_mergepath_config_static_selectorELNS0_4arch9wavefront6targetE1EEEvSL_,@function
_ZN7rocprim17ROCPRIM_400000_NS6detail17trampoline_kernelINS0_14default_configENS1_38merge_sort_block_merge_config_selectorIbiEEZZNS1_27merge_sort_block_merge_implIS3_N6thrust23THRUST_200600_302600_NS6detail15normal_iteratorINS8_10device_ptrIbEEEENSA_INSB_IiEEEEjNS1_19radix_merge_compareILb0ELb0EbNS0_19identity_decomposerEEEEE10hipError_tT0_T1_T2_jT3_P12ihipStream_tbPNSt15iterator_traitsISK_E10value_typeEPNSQ_ISL_E10value_typeEPSM_NS1_7vsmem_tEENKUlT_SK_SL_SM_E_clISD_PbSF_PiEESJ_SZ_SK_SL_SM_EUlSZ_E0_NS1_11comp_targetILNS1_3genE8ELNS1_11target_archE1030ELNS1_3gpuE2ELNS1_3repE0EEENS1_38merge_mergepath_config_static_selectorELNS0_4arch9wavefront6targetE1EEEvSL_: ; @_ZN7rocprim17ROCPRIM_400000_NS6detail17trampoline_kernelINS0_14default_configENS1_38merge_sort_block_merge_config_selectorIbiEEZZNS1_27merge_sort_block_merge_implIS3_N6thrust23THRUST_200600_302600_NS6detail15normal_iteratorINS8_10device_ptrIbEEEENSA_INSB_IiEEEEjNS1_19radix_merge_compareILb0ELb0EbNS0_19identity_decomposerEEEEE10hipError_tT0_T1_T2_jT3_P12ihipStream_tbPNSt15iterator_traitsISK_E10value_typeEPNSQ_ISL_E10value_typeEPSM_NS1_7vsmem_tEENKUlT_SK_SL_SM_E_clISD_PbSF_PiEESJ_SZ_SK_SL_SM_EUlSZ_E0_NS1_11comp_targetILNS1_3genE8ELNS1_11target_archE1030ELNS1_3gpuE2ELNS1_3repE0EEENS1_38merge_mergepath_config_static_selectorELNS0_4arch9wavefront6targetE1EEEvSL_
; %bb.0:
	.section	.rodata,"a",@progbits
	.p2align	6, 0x0
	.amdhsa_kernel _ZN7rocprim17ROCPRIM_400000_NS6detail17trampoline_kernelINS0_14default_configENS1_38merge_sort_block_merge_config_selectorIbiEEZZNS1_27merge_sort_block_merge_implIS3_N6thrust23THRUST_200600_302600_NS6detail15normal_iteratorINS8_10device_ptrIbEEEENSA_INSB_IiEEEEjNS1_19radix_merge_compareILb0ELb0EbNS0_19identity_decomposerEEEEE10hipError_tT0_T1_T2_jT3_P12ihipStream_tbPNSt15iterator_traitsISK_E10value_typeEPNSQ_ISL_E10value_typeEPSM_NS1_7vsmem_tEENKUlT_SK_SL_SM_E_clISD_PbSF_PiEESJ_SZ_SK_SL_SM_EUlSZ_E0_NS1_11comp_targetILNS1_3genE8ELNS1_11target_archE1030ELNS1_3gpuE2ELNS1_3repE0EEENS1_38merge_mergepath_config_static_selectorELNS0_4arch9wavefront6targetE1EEEvSL_
		.amdhsa_group_segment_fixed_size 0
		.amdhsa_private_segment_fixed_size 0
		.amdhsa_kernarg_size 64
		.amdhsa_user_sgpr_count 2
		.amdhsa_user_sgpr_dispatch_ptr 0
		.amdhsa_user_sgpr_queue_ptr 0
		.amdhsa_user_sgpr_kernarg_segment_ptr 1
		.amdhsa_user_sgpr_dispatch_id 0
		.amdhsa_user_sgpr_kernarg_preload_length 0
		.amdhsa_user_sgpr_kernarg_preload_offset 0
		.amdhsa_user_sgpr_private_segment_size 0
		.amdhsa_uses_dynamic_stack 0
		.amdhsa_enable_private_segment 0
		.amdhsa_system_sgpr_workgroup_id_x 1
		.amdhsa_system_sgpr_workgroup_id_y 0
		.amdhsa_system_sgpr_workgroup_id_z 0
		.amdhsa_system_sgpr_workgroup_info 0
		.amdhsa_system_vgpr_workitem_id 0
		.amdhsa_next_free_vgpr 1
		.amdhsa_next_free_sgpr 0
		.amdhsa_accum_offset 4
		.amdhsa_reserve_vcc 0
		.amdhsa_float_round_mode_32 0
		.amdhsa_float_round_mode_16_64 0
		.amdhsa_float_denorm_mode_32 3
		.amdhsa_float_denorm_mode_16_64 3
		.amdhsa_dx10_clamp 1
		.amdhsa_ieee_mode 1
		.amdhsa_fp16_overflow 0
		.amdhsa_tg_split 0
		.amdhsa_exception_fp_ieee_invalid_op 0
		.amdhsa_exception_fp_denorm_src 0
		.amdhsa_exception_fp_ieee_div_zero 0
		.amdhsa_exception_fp_ieee_overflow 0
		.amdhsa_exception_fp_ieee_underflow 0
		.amdhsa_exception_fp_ieee_inexact 0
		.amdhsa_exception_int_div_zero 0
	.end_amdhsa_kernel
	.section	.text._ZN7rocprim17ROCPRIM_400000_NS6detail17trampoline_kernelINS0_14default_configENS1_38merge_sort_block_merge_config_selectorIbiEEZZNS1_27merge_sort_block_merge_implIS3_N6thrust23THRUST_200600_302600_NS6detail15normal_iteratorINS8_10device_ptrIbEEEENSA_INSB_IiEEEEjNS1_19radix_merge_compareILb0ELb0EbNS0_19identity_decomposerEEEEE10hipError_tT0_T1_T2_jT3_P12ihipStream_tbPNSt15iterator_traitsISK_E10value_typeEPNSQ_ISL_E10value_typeEPSM_NS1_7vsmem_tEENKUlT_SK_SL_SM_E_clISD_PbSF_PiEESJ_SZ_SK_SL_SM_EUlSZ_E0_NS1_11comp_targetILNS1_3genE8ELNS1_11target_archE1030ELNS1_3gpuE2ELNS1_3repE0EEENS1_38merge_mergepath_config_static_selectorELNS0_4arch9wavefront6targetE1EEEvSL_,"axG",@progbits,_ZN7rocprim17ROCPRIM_400000_NS6detail17trampoline_kernelINS0_14default_configENS1_38merge_sort_block_merge_config_selectorIbiEEZZNS1_27merge_sort_block_merge_implIS3_N6thrust23THRUST_200600_302600_NS6detail15normal_iteratorINS8_10device_ptrIbEEEENSA_INSB_IiEEEEjNS1_19radix_merge_compareILb0ELb0EbNS0_19identity_decomposerEEEEE10hipError_tT0_T1_T2_jT3_P12ihipStream_tbPNSt15iterator_traitsISK_E10value_typeEPNSQ_ISL_E10value_typeEPSM_NS1_7vsmem_tEENKUlT_SK_SL_SM_E_clISD_PbSF_PiEESJ_SZ_SK_SL_SM_EUlSZ_E0_NS1_11comp_targetILNS1_3genE8ELNS1_11target_archE1030ELNS1_3gpuE2ELNS1_3repE0EEENS1_38merge_mergepath_config_static_selectorELNS0_4arch9wavefront6targetE1EEEvSL_,comdat
.Lfunc_end1948:
	.size	_ZN7rocprim17ROCPRIM_400000_NS6detail17trampoline_kernelINS0_14default_configENS1_38merge_sort_block_merge_config_selectorIbiEEZZNS1_27merge_sort_block_merge_implIS3_N6thrust23THRUST_200600_302600_NS6detail15normal_iteratorINS8_10device_ptrIbEEEENSA_INSB_IiEEEEjNS1_19radix_merge_compareILb0ELb0EbNS0_19identity_decomposerEEEEE10hipError_tT0_T1_T2_jT3_P12ihipStream_tbPNSt15iterator_traitsISK_E10value_typeEPNSQ_ISL_E10value_typeEPSM_NS1_7vsmem_tEENKUlT_SK_SL_SM_E_clISD_PbSF_PiEESJ_SZ_SK_SL_SM_EUlSZ_E0_NS1_11comp_targetILNS1_3genE8ELNS1_11target_archE1030ELNS1_3gpuE2ELNS1_3repE0EEENS1_38merge_mergepath_config_static_selectorELNS0_4arch9wavefront6targetE1EEEvSL_, .Lfunc_end1948-_ZN7rocprim17ROCPRIM_400000_NS6detail17trampoline_kernelINS0_14default_configENS1_38merge_sort_block_merge_config_selectorIbiEEZZNS1_27merge_sort_block_merge_implIS3_N6thrust23THRUST_200600_302600_NS6detail15normal_iteratorINS8_10device_ptrIbEEEENSA_INSB_IiEEEEjNS1_19radix_merge_compareILb0ELb0EbNS0_19identity_decomposerEEEEE10hipError_tT0_T1_T2_jT3_P12ihipStream_tbPNSt15iterator_traitsISK_E10value_typeEPNSQ_ISL_E10value_typeEPSM_NS1_7vsmem_tEENKUlT_SK_SL_SM_E_clISD_PbSF_PiEESJ_SZ_SK_SL_SM_EUlSZ_E0_NS1_11comp_targetILNS1_3genE8ELNS1_11target_archE1030ELNS1_3gpuE2ELNS1_3repE0EEENS1_38merge_mergepath_config_static_selectorELNS0_4arch9wavefront6targetE1EEEvSL_
                                        ; -- End function
	.set _ZN7rocprim17ROCPRIM_400000_NS6detail17trampoline_kernelINS0_14default_configENS1_38merge_sort_block_merge_config_selectorIbiEEZZNS1_27merge_sort_block_merge_implIS3_N6thrust23THRUST_200600_302600_NS6detail15normal_iteratorINS8_10device_ptrIbEEEENSA_INSB_IiEEEEjNS1_19radix_merge_compareILb0ELb0EbNS0_19identity_decomposerEEEEE10hipError_tT0_T1_T2_jT3_P12ihipStream_tbPNSt15iterator_traitsISK_E10value_typeEPNSQ_ISL_E10value_typeEPSM_NS1_7vsmem_tEENKUlT_SK_SL_SM_E_clISD_PbSF_PiEESJ_SZ_SK_SL_SM_EUlSZ_E0_NS1_11comp_targetILNS1_3genE8ELNS1_11target_archE1030ELNS1_3gpuE2ELNS1_3repE0EEENS1_38merge_mergepath_config_static_selectorELNS0_4arch9wavefront6targetE1EEEvSL_.num_vgpr, 0
	.set _ZN7rocprim17ROCPRIM_400000_NS6detail17trampoline_kernelINS0_14default_configENS1_38merge_sort_block_merge_config_selectorIbiEEZZNS1_27merge_sort_block_merge_implIS3_N6thrust23THRUST_200600_302600_NS6detail15normal_iteratorINS8_10device_ptrIbEEEENSA_INSB_IiEEEEjNS1_19radix_merge_compareILb0ELb0EbNS0_19identity_decomposerEEEEE10hipError_tT0_T1_T2_jT3_P12ihipStream_tbPNSt15iterator_traitsISK_E10value_typeEPNSQ_ISL_E10value_typeEPSM_NS1_7vsmem_tEENKUlT_SK_SL_SM_E_clISD_PbSF_PiEESJ_SZ_SK_SL_SM_EUlSZ_E0_NS1_11comp_targetILNS1_3genE8ELNS1_11target_archE1030ELNS1_3gpuE2ELNS1_3repE0EEENS1_38merge_mergepath_config_static_selectorELNS0_4arch9wavefront6targetE1EEEvSL_.num_agpr, 0
	.set _ZN7rocprim17ROCPRIM_400000_NS6detail17trampoline_kernelINS0_14default_configENS1_38merge_sort_block_merge_config_selectorIbiEEZZNS1_27merge_sort_block_merge_implIS3_N6thrust23THRUST_200600_302600_NS6detail15normal_iteratorINS8_10device_ptrIbEEEENSA_INSB_IiEEEEjNS1_19radix_merge_compareILb0ELb0EbNS0_19identity_decomposerEEEEE10hipError_tT0_T1_T2_jT3_P12ihipStream_tbPNSt15iterator_traitsISK_E10value_typeEPNSQ_ISL_E10value_typeEPSM_NS1_7vsmem_tEENKUlT_SK_SL_SM_E_clISD_PbSF_PiEESJ_SZ_SK_SL_SM_EUlSZ_E0_NS1_11comp_targetILNS1_3genE8ELNS1_11target_archE1030ELNS1_3gpuE2ELNS1_3repE0EEENS1_38merge_mergepath_config_static_selectorELNS0_4arch9wavefront6targetE1EEEvSL_.numbered_sgpr, 0
	.set _ZN7rocprim17ROCPRIM_400000_NS6detail17trampoline_kernelINS0_14default_configENS1_38merge_sort_block_merge_config_selectorIbiEEZZNS1_27merge_sort_block_merge_implIS3_N6thrust23THRUST_200600_302600_NS6detail15normal_iteratorINS8_10device_ptrIbEEEENSA_INSB_IiEEEEjNS1_19radix_merge_compareILb0ELb0EbNS0_19identity_decomposerEEEEE10hipError_tT0_T1_T2_jT3_P12ihipStream_tbPNSt15iterator_traitsISK_E10value_typeEPNSQ_ISL_E10value_typeEPSM_NS1_7vsmem_tEENKUlT_SK_SL_SM_E_clISD_PbSF_PiEESJ_SZ_SK_SL_SM_EUlSZ_E0_NS1_11comp_targetILNS1_3genE8ELNS1_11target_archE1030ELNS1_3gpuE2ELNS1_3repE0EEENS1_38merge_mergepath_config_static_selectorELNS0_4arch9wavefront6targetE1EEEvSL_.num_named_barrier, 0
	.set _ZN7rocprim17ROCPRIM_400000_NS6detail17trampoline_kernelINS0_14default_configENS1_38merge_sort_block_merge_config_selectorIbiEEZZNS1_27merge_sort_block_merge_implIS3_N6thrust23THRUST_200600_302600_NS6detail15normal_iteratorINS8_10device_ptrIbEEEENSA_INSB_IiEEEEjNS1_19radix_merge_compareILb0ELb0EbNS0_19identity_decomposerEEEEE10hipError_tT0_T1_T2_jT3_P12ihipStream_tbPNSt15iterator_traitsISK_E10value_typeEPNSQ_ISL_E10value_typeEPSM_NS1_7vsmem_tEENKUlT_SK_SL_SM_E_clISD_PbSF_PiEESJ_SZ_SK_SL_SM_EUlSZ_E0_NS1_11comp_targetILNS1_3genE8ELNS1_11target_archE1030ELNS1_3gpuE2ELNS1_3repE0EEENS1_38merge_mergepath_config_static_selectorELNS0_4arch9wavefront6targetE1EEEvSL_.private_seg_size, 0
	.set _ZN7rocprim17ROCPRIM_400000_NS6detail17trampoline_kernelINS0_14default_configENS1_38merge_sort_block_merge_config_selectorIbiEEZZNS1_27merge_sort_block_merge_implIS3_N6thrust23THRUST_200600_302600_NS6detail15normal_iteratorINS8_10device_ptrIbEEEENSA_INSB_IiEEEEjNS1_19radix_merge_compareILb0ELb0EbNS0_19identity_decomposerEEEEE10hipError_tT0_T1_T2_jT3_P12ihipStream_tbPNSt15iterator_traitsISK_E10value_typeEPNSQ_ISL_E10value_typeEPSM_NS1_7vsmem_tEENKUlT_SK_SL_SM_E_clISD_PbSF_PiEESJ_SZ_SK_SL_SM_EUlSZ_E0_NS1_11comp_targetILNS1_3genE8ELNS1_11target_archE1030ELNS1_3gpuE2ELNS1_3repE0EEENS1_38merge_mergepath_config_static_selectorELNS0_4arch9wavefront6targetE1EEEvSL_.uses_vcc, 0
	.set _ZN7rocprim17ROCPRIM_400000_NS6detail17trampoline_kernelINS0_14default_configENS1_38merge_sort_block_merge_config_selectorIbiEEZZNS1_27merge_sort_block_merge_implIS3_N6thrust23THRUST_200600_302600_NS6detail15normal_iteratorINS8_10device_ptrIbEEEENSA_INSB_IiEEEEjNS1_19radix_merge_compareILb0ELb0EbNS0_19identity_decomposerEEEEE10hipError_tT0_T1_T2_jT3_P12ihipStream_tbPNSt15iterator_traitsISK_E10value_typeEPNSQ_ISL_E10value_typeEPSM_NS1_7vsmem_tEENKUlT_SK_SL_SM_E_clISD_PbSF_PiEESJ_SZ_SK_SL_SM_EUlSZ_E0_NS1_11comp_targetILNS1_3genE8ELNS1_11target_archE1030ELNS1_3gpuE2ELNS1_3repE0EEENS1_38merge_mergepath_config_static_selectorELNS0_4arch9wavefront6targetE1EEEvSL_.uses_flat_scratch, 0
	.set _ZN7rocprim17ROCPRIM_400000_NS6detail17trampoline_kernelINS0_14default_configENS1_38merge_sort_block_merge_config_selectorIbiEEZZNS1_27merge_sort_block_merge_implIS3_N6thrust23THRUST_200600_302600_NS6detail15normal_iteratorINS8_10device_ptrIbEEEENSA_INSB_IiEEEEjNS1_19radix_merge_compareILb0ELb0EbNS0_19identity_decomposerEEEEE10hipError_tT0_T1_T2_jT3_P12ihipStream_tbPNSt15iterator_traitsISK_E10value_typeEPNSQ_ISL_E10value_typeEPSM_NS1_7vsmem_tEENKUlT_SK_SL_SM_E_clISD_PbSF_PiEESJ_SZ_SK_SL_SM_EUlSZ_E0_NS1_11comp_targetILNS1_3genE8ELNS1_11target_archE1030ELNS1_3gpuE2ELNS1_3repE0EEENS1_38merge_mergepath_config_static_selectorELNS0_4arch9wavefront6targetE1EEEvSL_.has_dyn_sized_stack, 0
	.set _ZN7rocprim17ROCPRIM_400000_NS6detail17trampoline_kernelINS0_14default_configENS1_38merge_sort_block_merge_config_selectorIbiEEZZNS1_27merge_sort_block_merge_implIS3_N6thrust23THRUST_200600_302600_NS6detail15normal_iteratorINS8_10device_ptrIbEEEENSA_INSB_IiEEEEjNS1_19radix_merge_compareILb0ELb0EbNS0_19identity_decomposerEEEEE10hipError_tT0_T1_T2_jT3_P12ihipStream_tbPNSt15iterator_traitsISK_E10value_typeEPNSQ_ISL_E10value_typeEPSM_NS1_7vsmem_tEENKUlT_SK_SL_SM_E_clISD_PbSF_PiEESJ_SZ_SK_SL_SM_EUlSZ_E0_NS1_11comp_targetILNS1_3genE8ELNS1_11target_archE1030ELNS1_3gpuE2ELNS1_3repE0EEENS1_38merge_mergepath_config_static_selectorELNS0_4arch9wavefront6targetE1EEEvSL_.has_recursion, 0
	.set _ZN7rocprim17ROCPRIM_400000_NS6detail17trampoline_kernelINS0_14default_configENS1_38merge_sort_block_merge_config_selectorIbiEEZZNS1_27merge_sort_block_merge_implIS3_N6thrust23THRUST_200600_302600_NS6detail15normal_iteratorINS8_10device_ptrIbEEEENSA_INSB_IiEEEEjNS1_19radix_merge_compareILb0ELb0EbNS0_19identity_decomposerEEEEE10hipError_tT0_T1_T2_jT3_P12ihipStream_tbPNSt15iterator_traitsISK_E10value_typeEPNSQ_ISL_E10value_typeEPSM_NS1_7vsmem_tEENKUlT_SK_SL_SM_E_clISD_PbSF_PiEESJ_SZ_SK_SL_SM_EUlSZ_E0_NS1_11comp_targetILNS1_3genE8ELNS1_11target_archE1030ELNS1_3gpuE2ELNS1_3repE0EEENS1_38merge_mergepath_config_static_selectorELNS0_4arch9wavefront6targetE1EEEvSL_.has_indirect_call, 0
	.section	.AMDGPU.csdata,"",@progbits
; Kernel info:
; codeLenInByte = 0
; TotalNumSgprs: 6
; NumVgprs: 0
; NumAgprs: 0
; TotalNumVgprs: 0
; ScratchSize: 0
; MemoryBound: 0
; FloatMode: 240
; IeeeMode: 1
; LDSByteSize: 0 bytes/workgroup (compile time only)
; SGPRBlocks: 0
; VGPRBlocks: 0
; NumSGPRsForWavesPerEU: 6
; NumVGPRsForWavesPerEU: 1
; AccumOffset: 4
; Occupancy: 8
; WaveLimiterHint : 0
; COMPUTE_PGM_RSRC2:SCRATCH_EN: 0
; COMPUTE_PGM_RSRC2:USER_SGPR: 2
; COMPUTE_PGM_RSRC2:TRAP_HANDLER: 0
; COMPUTE_PGM_RSRC2:TGID_X_EN: 1
; COMPUTE_PGM_RSRC2:TGID_Y_EN: 0
; COMPUTE_PGM_RSRC2:TGID_Z_EN: 0
; COMPUTE_PGM_RSRC2:TIDIG_COMP_CNT: 0
; COMPUTE_PGM_RSRC3_GFX90A:ACCUM_OFFSET: 0
; COMPUTE_PGM_RSRC3_GFX90A:TG_SPLIT: 0
	.section	.text._ZN7rocprim17ROCPRIM_400000_NS6detail17trampoline_kernelINS0_14default_configENS1_38merge_sort_block_merge_config_selectorIbiEEZZNS1_27merge_sort_block_merge_implIS3_N6thrust23THRUST_200600_302600_NS6detail15normal_iteratorINS8_10device_ptrIbEEEENSA_INSB_IiEEEEjNS1_19radix_merge_compareILb0ELb0EbNS0_19identity_decomposerEEEEE10hipError_tT0_T1_T2_jT3_P12ihipStream_tbPNSt15iterator_traitsISK_E10value_typeEPNSQ_ISL_E10value_typeEPSM_NS1_7vsmem_tEENKUlT_SK_SL_SM_E_clISD_PbSF_PiEESJ_SZ_SK_SL_SM_EUlSZ_E1_NS1_11comp_targetILNS1_3genE0ELNS1_11target_archE4294967295ELNS1_3gpuE0ELNS1_3repE0EEENS1_36merge_oddeven_config_static_selectorELNS0_4arch9wavefront6targetE1EEEvSL_,"axG",@progbits,_ZN7rocprim17ROCPRIM_400000_NS6detail17trampoline_kernelINS0_14default_configENS1_38merge_sort_block_merge_config_selectorIbiEEZZNS1_27merge_sort_block_merge_implIS3_N6thrust23THRUST_200600_302600_NS6detail15normal_iteratorINS8_10device_ptrIbEEEENSA_INSB_IiEEEEjNS1_19radix_merge_compareILb0ELb0EbNS0_19identity_decomposerEEEEE10hipError_tT0_T1_T2_jT3_P12ihipStream_tbPNSt15iterator_traitsISK_E10value_typeEPNSQ_ISL_E10value_typeEPSM_NS1_7vsmem_tEENKUlT_SK_SL_SM_E_clISD_PbSF_PiEESJ_SZ_SK_SL_SM_EUlSZ_E1_NS1_11comp_targetILNS1_3genE0ELNS1_11target_archE4294967295ELNS1_3gpuE0ELNS1_3repE0EEENS1_36merge_oddeven_config_static_selectorELNS0_4arch9wavefront6targetE1EEEvSL_,comdat
	.protected	_ZN7rocprim17ROCPRIM_400000_NS6detail17trampoline_kernelINS0_14default_configENS1_38merge_sort_block_merge_config_selectorIbiEEZZNS1_27merge_sort_block_merge_implIS3_N6thrust23THRUST_200600_302600_NS6detail15normal_iteratorINS8_10device_ptrIbEEEENSA_INSB_IiEEEEjNS1_19radix_merge_compareILb0ELb0EbNS0_19identity_decomposerEEEEE10hipError_tT0_T1_T2_jT3_P12ihipStream_tbPNSt15iterator_traitsISK_E10value_typeEPNSQ_ISL_E10value_typeEPSM_NS1_7vsmem_tEENKUlT_SK_SL_SM_E_clISD_PbSF_PiEESJ_SZ_SK_SL_SM_EUlSZ_E1_NS1_11comp_targetILNS1_3genE0ELNS1_11target_archE4294967295ELNS1_3gpuE0ELNS1_3repE0EEENS1_36merge_oddeven_config_static_selectorELNS0_4arch9wavefront6targetE1EEEvSL_ ; -- Begin function _ZN7rocprim17ROCPRIM_400000_NS6detail17trampoline_kernelINS0_14default_configENS1_38merge_sort_block_merge_config_selectorIbiEEZZNS1_27merge_sort_block_merge_implIS3_N6thrust23THRUST_200600_302600_NS6detail15normal_iteratorINS8_10device_ptrIbEEEENSA_INSB_IiEEEEjNS1_19radix_merge_compareILb0ELb0EbNS0_19identity_decomposerEEEEE10hipError_tT0_T1_T2_jT3_P12ihipStream_tbPNSt15iterator_traitsISK_E10value_typeEPNSQ_ISL_E10value_typeEPSM_NS1_7vsmem_tEENKUlT_SK_SL_SM_E_clISD_PbSF_PiEESJ_SZ_SK_SL_SM_EUlSZ_E1_NS1_11comp_targetILNS1_3genE0ELNS1_11target_archE4294967295ELNS1_3gpuE0ELNS1_3repE0EEENS1_36merge_oddeven_config_static_selectorELNS0_4arch9wavefront6targetE1EEEvSL_
	.globl	_ZN7rocprim17ROCPRIM_400000_NS6detail17trampoline_kernelINS0_14default_configENS1_38merge_sort_block_merge_config_selectorIbiEEZZNS1_27merge_sort_block_merge_implIS3_N6thrust23THRUST_200600_302600_NS6detail15normal_iteratorINS8_10device_ptrIbEEEENSA_INSB_IiEEEEjNS1_19radix_merge_compareILb0ELb0EbNS0_19identity_decomposerEEEEE10hipError_tT0_T1_T2_jT3_P12ihipStream_tbPNSt15iterator_traitsISK_E10value_typeEPNSQ_ISL_E10value_typeEPSM_NS1_7vsmem_tEENKUlT_SK_SL_SM_E_clISD_PbSF_PiEESJ_SZ_SK_SL_SM_EUlSZ_E1_NS1_11comp_targetILNS1_3genE0ELNS1_11target_archE4294967295ELNS1_3gpuE0ELNS1_3repE0EEENS1_36merge_oddeven_config_static_selectorELNS0_4arch9wavefront6targetE1EEEvSL_
	.p2align	8
	.type	_ZN7rocprim17ROCPRIM_400000_NS6detail17trampoline_kernelINS0_14default_configENS1_38merge_sort_block_merge_config_selectorIbiEEZZNS1_27merge_sort_block_merge_implIS3_N6thrust23THRUST_200600_302600_NS6detail15normal_iteratorINS8_10device_ptrIbEEEENSA_INSB_IiEEEEjNS1_19radix_merge_compareILb0ELb0EbNS0_19identity_decomposerEEEEE10hipError_tT0_T1_T2_jT3_P12ihipStream_tbPNSt15iterator_traitsISK_E10value_typeEPNSQ_ISL_E10value_typeEPSM_NS1_7vsmem_tEENKUlT_SK_SL_SM_E_clISD_PbSF_PiEESJ_SZ_SK_SL_SM_EUlSZ_E1_NS1_11comp_targetILNS1_3genE0ELNS1_11target_archE4294967295ELNS1_3gpuE0ELNS1_3repE0EEENS1_36merge_oddeven_config_static_selectorELNS0_4arch9wavefront6targetE1EEEvSL_,@function
_ZN7rocprim17ROCPRIM_400000_NS6detail17trampoline_kernelINS0_14default_configENS1_38merge_sort_block_merge_config_selectorIbiEEZZNS1_27merge_sort_block_merge_implIS3_N6thrust23THRUST_200600_302600_NS6detail15normal_iteratorINS8_10device_ptrIbEEEENSA_INSB_IiEEEEjNS1_19radix_merge_compareILb0ELb0EbNS0_19identity_decomposerEEEEE10hipError_tT0_T1_T2_jT3_P12ihipStream_tbPNSt15iterator_traitsISK_E10value_typeEPNSQ_ISL_E10value_typeEPSM_NS1_7vsmem_tEENKUlT_SK_SL_SM_E_clISD_PbSF_PiEESJ_SZ_SK_SL_SM_EUlSZ_E1_NS1_11comp_targetILNS1_3genE0ELNS1_11target_archE4294967295ELNS1_3gpuE0ELNS1_3repE0EEENS1_36merge_oddeven_config_static_selectorELNS0_4arch9wavefront6targetE1EEEvSL_: ; @_ZN7rocprim17ROCPRIM_400000_NS6detail17trampoline_kernelINS0_14default_configENS1_38merge_sort_block_merge_config_selectorIbiEEZZNS1_27merge_sort_block_merge_implIS3_N6thrust23THRUST_200600_302600_NS6detail15normal_iteratorINS8_10device_ptrIbEEEENSA_INSB_IiEEEEjNS1_19radix_merge_compareILb0ELb0EbNS0_19identity_decomposerEEEEE10hipError_tT0_T1_T2_jT3_P12ihipStream_tbPNSt15iterator_traitsISK_E10value_typeEPNSQ_ISL_E10value_typeEPSM_NS1_7vsmem_tEENKUlT_SK_SL_SM_E_clISD_PbSF_PiEESJ_SZ_SK_SL_SM_EUlSZ_E1_NS1_11comp_targetILNS1_3genE0ELNS1_11target_archE4294967295ELNS1_3gpuE0ELNS1_3repE0EEENS1_36merge_oddeven_config_static_selectorELNS0_4arch9wavefront6targetE1EEEvSL_
; %bb.0:
	s_load_dword s18, s[0:1], 0x20
	s_waitcnt lgkmcnt(0)
	s_lshr_b32 s3, s18, 8
	s_cmp_eq_u32 s2, s3
	s_cselect_b64 s[6:7], -1, 0
	s_cmp_lg_u32 s2, s3
	s_cselect_b64 s[8:9], -1, 0
	s_lshl_b32 s16, s2, 8
	s_sub_i32 s3, s18, s16
	v_cmp_gt_u32_e64 s[4:5], s3, v0
	s_or_b64 s[8:9], s[8:9], s[4:5]
	s_and_saveexec_b64 s[10:11], s[8:9]
	s_cbranch_execz .LBB1949_24
; %bb.1:
	s_load_dwordx8 s[8:15], s[0:1], 0x0
	s_mov_b32 s17, 0
	v_lshlrev_b32_e32 v1, 2, v0
	s_waitcnt lgkmcnt(0)
	s_add_u32 s20, s8, s16
	s_addc_u32 s21, s9, 0
	s_lshl_b64 s[22:23], s[16:17], 2
	s_add_u32 s12, s12, s22
	s_addc_u32 s13, s13, s23
	global_load_dword v2, v1, s[12:13]
	global_load_ubyte v3, v0, s[20:21]
	s_load_dword s17, s[0:1], 0x24
	v_add_u32_e32 v0, s16, v0
	s_waitcnt lgkmcnt(0)
	s_lshr_b32 s0, s17, 8
	s_sub_i32 s1, 0, s0
	s_and_b32 s1, s2, s1
	s_and_b32 s0, s1, s0
	s_lshl_b32 s19, s1, 8
	s_sub_i32 s12, 0, s17
	s_cmp_eq_u32 s0, 0
	s_cselect_b64 s[0:1], -1, 0
	s_and_b64 s[2:3], s[0:1], exec
	s_cselect_b32 s12, s17, s12
	s_add_i32 s12, s12, s19
	s_mov_b64 s[2:3], -1
	s_cmp_gt_u32 s18, s12
	s_cbranch_scc1 .LBB1949_9
; %bb.2:
	s_and_b64 vcc, exec, s[6:7]
	s_cbranch_vccz .LBB1949_6
; %bb.3:
	v_cmp_gt_u32_e32 vcc, s18, v0
	s_and_saveexec_b64 s[2:3], vcc
	s_cbranch_execz .LBB1949_5
; %bb.4:
	v_mov_b32_e32 v1, 0
	v_lshl_add_u64 v[4:5], v[0:1], 2, s[14:15]
	s_waitcnt vmcnt(0)
	global_store_byte v0, v3, s[10:11]
	global_store_dword v[4:5], v2, off
.LBB1949_5:
	s_or_b64 exec, exec, s[2:3]
	s_mov_b64 s[2:3], 0
.LBB1949_6:
	s_andn2_b64 vcc, exec, s[2:3]
	s_cbranch_vccnz .LBB1949_8
; %bb.7:
	v_mov_b32_e32 v1, 0
	v_lshl_add_u64 v[4:5], v[0:1], 2, s[14:15]
	s_waitcnt vmcnt(0)
	global_store_byte v0, v3, s[10:11]
	global_store_dword v[4:5], v2, off
.LBB1949_8:
	s_mov_b64 s[2:3], 0
.LBB1949_9:
	s_andn2_b64 vcc, exec, s[2:3]
	s_cbranch_vccnz .LBB1949_24
; %bb.10:
	s_min_u32 s13, s12, s18
	s_add_i32 s2, s13, s17
	s_min_u32 s16, s2, s18
	s_min_u32 s2, s19, s13
	s_add_i32 s19, s19, s13
	v_subrev_u32_e32 v0, s19, v0
	v_add_u32_e32 v0, s2, v0
	s_andn2_b64 vcc, exec, s[6:7]
	s_mov_b64 s[2:3], -1
	s_cbranch_vccnz .LBB1949_18
; %bb.11:
	s_and_saveexec_b64 s[2:3], s[4:5]
	s_cbranch_execz .LBB1949_17
; %bb.12:
	s_cmp_ge_u32 s12, s16
	v_mov_b32_e32 v1, s13
	s_cbranch_scc1 .LBB1949_16
; %bb.13:
	s_mov_b64 s[4:5], 0
	v_mov_b32_e32 v4, s16
	v_mov_b32_e32 v1, s13
.LBB1949_14:                            ; =>This Inner Loop Header: Depth=1
	v_add_u32_e32 v5, v1, v4
	v_lshrrev_b32_e32 v5, 1, v5
	global_load_ubyte v6, v5, s[8:9]
	v_add_u32_e32 v7, 1, v5
	s_waitcnt vmcnt(0)
	v_cmp_gt_u16_sdwa s[6:7], v3, v6 src0_sel:BYTE_0 src1_sel:DWORD
	s_nop 1
	v_cndmask_b32_e64 v8, 0, 1, s[6:7]
	v_cmp_le_u16_sdwa s[6:7], v6, v3 src0_sel:DWORD src1_sel:BYTE_0
	s_nop 1
	v_cndmask_b32_e64 v6, 0, 1, s[6:7]
	v_cndmask_b32_e64 v6, v6, v8, s[0:1]
	v_and_b32_e32 v6, 1, v6
	v_cmp_eq_u32_e32 vcc, 1, v6
	s_nop 1
	v_cndmask_b32_e32 v4, v5, v4, vcc
	v_cndmask_b32_e32 v1, v1, v7, vcc
	v_cmp_ge_u32_e32 vcc, v1, v4
	s_or_b64 s[4:5], vcc, s[4:5]
	s_andn2_b64 exec, exec, s[4:5]
	s_cbranch_execnz .LBB1949_14
; %bb.15:
	s_or_b64 exec, exec, s[4:5]
.LBB1949_16:
	v_add_u32_e32 v4, v1, v0
	v_mov_b32_e32 v5, 0
	s_waitcnt vmcnt(0)
	global_store_byte v4, v3, s[10:11]
	v_lshl_add_u64 v[4:5], v[4:5], 2, s[14:15]
	global_store_dword v[4:5], v2, off
.LBB1949_17:
	s_or_b64 exec, exec, s[2:3]
	s_mov_b64 s[2:3], 0
.LBB1949_18:
	s_andn2_b64 vcc, exec, s[2:3]
	s_cbranch_vccnz .LBB1949_24
; %bb.19:
	s_cmp_ge_u32 s12, s16
	v_mov_b32_e32 v1, s13
	s_cbranch_scc1 .LBB1949_23
; %bb.20:
	s_mov_b64 s[2:3], 0
	v_mov_b32_e32 v4, s16
	v_mov_b32_e32 v1, s13
.LBB1949_21:                            ; =>This Inner Loop Header: Depth=1
	v_add_u32_e32 v5, v1, v4
	v_lshrrev_b32_e32 v5, 1, v5
	global_load_ubyte v6, v5, s[8:9]
	v_add_u32_e32 v7, 1, v5
	s_waitcnt vmcnt(0)
	v_cmp_gt_u16_sdwa s[4:5], v3, v6 src0_sel:BYTE_0 src1_sel:DWORD
	s_nop 1
	v_cndmask_b32_e64 v8, 0, 1, s[4:5]
	v_cmp_le_u16_sdwa s[4:5], v6, v3 src0_sel:DWORD src1_sel:BYTE_0
	s_nop 1
	v_cndmask_b32_e64 v6, 0, 1, s[4:5]
	v_cndmask_b32_e64 v6, v6, v8, s[0:1]
	v_and_b32_e32 v6, 1, v6
	v_cmp_eq_u32_e32 vcc, 1, v6
	s_nop 1
	v_cndmask_b32_e32 v4, v5, v4, vcc
	v_cndmask_b32_e32 v1, v1, v7, vcc
	v_cmp_ge_u32_e32 vcc, v1, v4
	s_or_b64 s[2:3], vcc, s[2:3]
	s_andn2_b64 exec, exec, s[2:3]
	s_cbranch_execnz .LBB1949_21
; %bb.22:
	s_or_b64 exec, exec, s[2:3]
.LBB1949_23:
	v_add_u32_e32 v0, v1, v0
	v_mov_b32_e32 v1, 0
	s_waitcnt vmcnt(0)
	global_store_byte v0, v3, s[10:11]
	v_lshl_add_u64 v[0:1], v[0:1], 2, s[14:15]
	global_store_dword v[0:1], v2, off
.LBB1949_24:
	s_endpgm
	.section	.rodata,"a",@progbits
	.p2align	6, 0x0
	.amdhsa_kernel _ZN7rocprim17ROCPRIM_400000_NS6detail17trampoline_kernelINS0_14default_configENS1_38merge_sort_block_merge_config_selectorIbiEEZZNS1_27merge_sort_block_merge_implIS3_N6thrust23THRUST_200600_302600_NS6detail15normal_iteratorINS8_10device_ptrIbEEEENSA_INSB_IiEEEEjNS1_19radix_merge_compareILb0ELb0EbNS0_19identity_decomposerEEEEE10hipError_tT0_T1_T2_jT3_P12ihipStream_tbPNSt15iterator_traitsISK_E10value_typeEPNSQ_ISL_E10value_typeEPSM_NS1_7vsmem_tEENKUlT_SK_SL_SM_E_clISD_PbSF_PiEESJ_SZ_SK_SL_SM_EUlSZ_E1_NS1_11comp_targetILNS1_3genE0ELNS1_11target_archE4294967295ELNS1_3gpuE0ELNS1_3repE0EEENS1_36merge_oddeven_config_static_selectorELNS0_4arch9wavefront6targetE1EEEvSL_
		.amdhsa_group_segment_fixed_size 0
		.amdhsa_private_segment_fixed_size 0
		.amdhsa_kernarg_size 48
		.amdhsa_user_sgpr_count 2
		.amdhsa_user_sgpr_dispatch_ptr 0
		.amdhsa_user_sgpr_queue_ptr 0
		.amdhsa_user_sgpr_kernarg_segment_ptr 1
		.amdhsa_user_sgpr_dispatch_id 0
		.amdhsa_user_sgpr_kernarg_preload_length 0
		.amdhsa_user_sgpr_kernarg_preload_offset 0
		.amdhsa_user_sgpr_private_segment_size 0
		.amdhsa_uses_dynamic_stack 0
		.amdhsa_enable_private_segment 0
		.amdhsa_system_sgpr_workgroup_id_x 1
		.amdhsa_system_sgpr_workgroup_id_y 0
		.amdhsa_system_sgpr_workgroup_id_z 0
		.amdhsa_system_sgpr_workgroup_info 0
		.amdhsa_system_vgpr_workitem_id 0
		.amdhsa_next_free_vgpr 9
		.amdhsa_next_free_sgpr 24
		.amdhsa_accum_offset 12
		.amdhsa_reserve_vcc 1
		.amdhsa_float_round_mode_32 0
		.amdhsa_float_round_mode_16_64 0
		.amdhsa_float_denorm_mode_32 3
		.amdhsa_float_denorm_mode_16_64 3
		.amdhsa_dx10_clamp 1
		.amdhsa_ieee_mode 1
		.amdhsa_fp16_overflow 0
		.amdhsa_tg_split 0
		.amdhsa_exception_fp_ieee_invalid_op 0
		.amdhsa_exception_fp_denorm_src 0
		.amdhsa_exception_fp_ieee_div_zero 0
		.amdhsa_exception_fp_ieee_overflow 0
		.amdhsa_exception_fp_ieee_underflow 0
		.amdhsa_exception_fp_ieee_inexact 0
		.amdhsa_exception_int_div_zero 0
	.end_amdhsa_kernel
	.section	.text._ZN7rocprim17ROCPRIM_400000_NS6detail17trampoline_kernelINS0_14default_configENS1_38merge_sort_block_merge_config_selectorIbiEEZZNS1_27merge_sort_block_merge_implIS3_N6thrust23THRUST_200600_302600_NS6detail15normal_iteratorINS8_10device_ptrIbEEEENSA_INSB_IiEEEEjNS1_19radix_merge_compareILb0ELb0EbNS0_19identity_decomposerEEEEE10hipError_tT0_T1_T2_jT3_P12ihipStream_tbPNSt15iterator_traitsISK_E10value_typeEPNSQ_ISL_E10value_typeEPSM_NS1_7vsmem_tEENKUlT_SK_SL_SM_E_clISD_PbSF_PiEESJ_SZ_SK_SL_SM_EUlSZ_E1_NS1_11comp_targetILNS1_3genE0ELNS1_11target_archE4294967295ELNS1_3gpuE0ELNS1_3repE0EEENS1_36merge_oddeven_config_static_selectorELNS0_4arch9wavefront6targetE1EEEvSL_,"axG",@progbits,_ZN7rocprim17ROCPRIM_400000_NS6detail17trampoline_kernelINS0_14default_configENS1_38merge_sort_block_merge_config_selectorIbiEEZZNS1_27merge_sort_block_merge_implIS3_N6thrust23THRUST_200600_302600_NS6detail15normal_iteratorINS8_10device_ptrIbEEEENSA_INSB_IiEEEEjNS1_19radix_merge_compareILb0ELb0EbNS0_19identity_decomposerEEEEE10hipError_tT0_T1_T2_jT3_P12ihipStream_tbPNSt15iterator_traitsISK_E10value_typeEPNSQ_ISL_E10value_typeEPSM_NS1_7vsmem_tEENKUlT_SK_SL_SM_E_clISD_PbSF_PiEESJ_SZ_SK_SL_SM_EUlSZ_E1_NS1_11comp_targetILNS1_3genE0ELNS1_11target_archE4294967295ELNS1_3gpuE0ELNS1_3repE0EEENS1_36merge_oddeven_config_static_selectorELNS0_4arch9wavefront6targetE1EEEvSL_,comdat
.Lfunc_end1949:
	.size	_ZN7rocprim17ROCPRIM_400000_NS6detail17trampoline_kernelINS0_14default_configENS1_38merge_sort_block_merge_config_selectorIbiEEZZNS1_27merge_sort_block_merge_implIS3_N6thrust23THRUST_200600_302600_NS6detail15normal_iteratorINS8_10device_ptrIbEEEENSA_INSB_IiEEEEjNS1_19radix_merge_compareILb0ELb0EbNS0_19identity_decomposerEEEEE10hipError_tT0_T1_T2_jT3_P12ihipStream_tbPNSt15iterator_traitsISK_E10value_typeEPNSQ_ISL_E10value_typeEPSM_NS1_7vsmem_tEENKUlT_SK_SL_SM_E_clISD_PbSF_PiEESJ_SZ_SK_SL_SM_EUlSZ_E1_NS1_11comp_targetILNS1_3genE0ELNS1_11target_archE4294967295ELNS1_3gpuE0ELNS1_3repE0EEENS1_36merge_oddeven_config_static_selectorELNS0_4arch9wavefront6targetE1EEEvSL_, .Lfunc_end1949-_ZN7rocprim17ROCPRIM_400000_NS6detail17trampoline_kernelINS0_14default_configENS1_38merge_sort_block_merge_config_selectorIbiEEZZNS1_27merge_sort_block_merge_implIS3_N6thrust23THRUST_200600_302600_NS6detail15normal_iteratorINS8_10device_ptrIbEEEENSA_INSB_IiEEEEjNS1_19radix_merge_compareILb0ELb0EbNS0_19identity_decomposerEEEEE10hipError_tT0_T1_T2_jT3_P12ihipStream_tbPNSt15iterator_traitsISK_E10value_typeEPNSQ_ISL_E10value_typeEPSM_NS1_7vsmem_tEENKUlT_SK_SL_SM_E_clISD_PbSF_PiEESJ_SZ_SK_SL_SM_EUlSZ_E1_NS1_11comp_targetILNS1_3genE0ELNS1_11target_archE4294967295ELNS1_3gpuE0ELNS1_3repE0EEENS1_36merge_oddeven_config_static_selectorELNS0_4arch9wavefront6targetE1EEEvSL_
                                        ; -- End function
	.set _ZN7rocprim17ROCPRIM_400000_NS6detail17trampoline_kernelINS0_14default_configENS1_38merge_sort_block_merge_config_selectorIbiEEZZNS1_27merge_sort_block_merge_implIS3_N6thrust23THRUST_200600_302600_NS6detail15normal_iteratorINS8_10device_ptrIbEEEENSA_INSB_IiEEEEjNS1_19radix_merge_compareILb0ELb0EbNS0_19identity_decomposerEEEEE10hipError_tT0_T1_T2_jT3_P12ihipStream_tbPNSt15iterator_traitsISK_E10value_typeEPNSQ_ISL_E10value_typeEPSM_NS1_7vsmem_tEENKUlT_SK_SL_SM_E_clISD_PbSF_PiEESJ_SZ_SK_SL_SM_EUlSZ_E1_NS1_11comp_targetILNS1_3genE0ELNS1_11target_archE4294967295ELNS1_3gpuE0ELNS1_3repE0EEENS1_36merge_oddeven_config_static_selectorELNS0_4arch9wavefront6targetE1EEEvSL_.num_vgpr, 9
	.set _ZN7rocprim17ROCPRIM_400000_NS6detail17trampoline_kernelINS0_14default_configENS1_38merge_sort_block_merge_config_selectorIbiEEZZNS1_27merge_sort_block_merge_implIS3_N6thrust23THRUST_200600_302600_NS6detail15normal_iteratorINS8_10device_ptrIbEEEENSA_INSB_IiEEEEjNS1_19radix_merge_compareILb0ELb0EbNS0_19identity_decomposerEEEEE10hipError_tT0_T1_T2_jT3_P12ihipStream_tbPNSt15iterator_traitsISK_E10value_typeEPNSQ_ISL_E10value_typeEPSM_NS1_7vsmem_tEENKUlT_SK_SL_SM_E_clISD_PbSF_PiEESJ_SZ_SK_SL_SM_EUlSZ_E1_NS1_11comp_targetILNS1_3genE0ELNS1_11target_archE4294967295ELNS1_3gpuE0ELNS1_3repE0EEENS1_36merge_oddeven_config_static_selectorELNS0_4arch9wavefront6targetE1EEEvSL_.num_agpr, 0
	.set _ZN7rocprim17ROCPRIM_400000_NS6detail17trampoline_kernelINS0_14default_configENS1_38merge_sort_block_merge_config_selectorIbiEEZZNS1_27merge_sort_block_merge_implIS3_N6thrust23THRUST_200600_302600_NS6detail15normal_iteratorINS8_10device_ptrIbEEEENSA_INSB_IiEEEEjNS1_19radix_merge_compareILb0ELb0EbNS0_19identity_decomposerEEEEE10hipError_tT0_T1_T2_jT3_P12ihipStream_tbPNSt15iterator_traitsISK_E10value_typeEPNSQ_ISL_E10value_typeEPSM_NS1_7vsmem_tEENKUlT_SK_SL_SM_E_clISD_PbSF_PiEESJ_SZ_SK_SL_SM_EUlSZ_E1_NS1_11comp_targetILNS1_3genE0ELNS1_11target_archE4294967295ELNS1_3gpuE0ELNS1_3repE0EEENS1_36merge_oddeven_config_static_selectorELNS0_4arch9wavefront6targetE1EEEvSL_.numbered_sgpr, 24
	.set _ZN7rocprim17ROCPRIM_400000_NS6detail17trampoline_kernelINS0_14default_configENS1_38merge_sort_block_merge_config_selectorIbiEEZZNS1_27merge_sort_block_merge_implIS3_N6thrust23THRUST_200600_302600_NS6detail15normal_iteratorINS8_10device_ptrIbEEEENSA_INSB_IiEEEEjNS1_19radix_merge_compareILb0ELb0EbNS0_19identity_decomposerEEEEE10hipError_tT0_T1_T2_jT3_P12ihipStream_tbPNSt15iterator_traitsISK_E10value_typeEPNSQ_ISL_E10value_typeEPSM_NS1_7vsmem_tEENKUlT_SK_SL_SM_E_clISD_PbSF_PiEESJ_SZ_SK_SL_SM_EUlSZ_E1_NS1_11comp_targetILNS1_3genE0ELNS1_11target_archE4294967295ELNS1_3gpuE0ELNS1_3repE0EEENS1_36merge_oddeven_config_static_selectorELNS0_4arch9wavefront6targetE1EEEvSL_.num_named_barrier, 0
	.set _ZN7rocprim17ROCPRIM_400000_NS6detail17trampoline_kernelINS0_14default_configENS1_38merge_sort_block_merge_config_selectorIbiEEZZNS1_27merge_sort_block_merge_implIS3_N6thrust23THRUST_200600_302600_NS6detail15normal_iteratorINS8_10device_ptrIbEEEENSA_INSB_IiEEEEjNS1_19radix_merge_compareILb0ELb0EbNS0_19identity_decomposerEEEEE10hipError_tT0_T1_T2_jT3_P12ihipStream_tbPNSt15iterator_traitsISK_E10value_typeEPNSQ_ISL_E10value_typeEPSM_NS1_7vsmem_tEENKUlT_SK_SL_SM_E_clISD_PbSF_PiEESJ_SZ_SK_SL_SM_EUlSZ_E1_NS1_11comp_targetILNS1_3genE0ELNS1_11target_archE4294967295ELNS1_3gpuE0ELNS1_3repE0EEENS1_36merge_oddeven_config_static_selectorELNS0_4arch9wavefront6targetE1EEEvSL_.private_seg_size, 0
	.set _ZN7rocprim17ROCPRIM_400000_NS6detail17trampoline_kernelINS0_14default_configENS1_38merge_sort_block_merge_config_selectorIbiEEZZNS1_27merge_sort_block_merge_implIS3_N6thrust23THRUST_200600_302600_NS6detail15normal_iteratorINS8_10device_ptrIbEEEENSA_INSB_IiEEEEjNS1_19radix_merge_compareILb0ELb0EbNS0_19identity_decomposerEEEEE10hipError_tT0_T1_T2_jT3_P12ihipStream_tbPNSt15iterator_traitsISK_E10value_typeEPNSQ_ISL_E10value_typeEPSM_NS1_7vsmem_tEENKUlT_SK_SL_SM_E_clISD_PbSF_PiEESJ_SZ_SK_SL_SM_EUlSZ_E1_NS1_11comp_targetILNS1_3genE0ELNS1_11target_archE4294967295ELNS1_3gpuE0ELNS1_3repE0EEENS1_36merge_oddeven_config_static_selectorELNS0_4arch9wavefront6targetE1EEEvSL_.uses_vcc, 1
	.set _ZN7rocprim17ROCPRIM_400000_NS6detail17trampoline_kernelINS0_14default_configENS1_38merge_sort_block_merge_config_selectorIbiEEZZNS1_27merge_sort_block_merge_implIS3_N6thrust23THRUST_200600_302600_NS6detail15normal_iteratorINS8_10device_ptrIbEEEENSA_INSB_IiEEEEjNS1_19radix_merge_compareILb0ELb0EbNS0_19identity_decomposerEEEEE10hipError_tT0_T1_T2_jT3_P12ihipStream_tbPNSt15iterator_traitsISK_E10value_typeEPNSQ_ISL_E10value_typeEPSM_NS1_7vsmem_tEENKUlT_SK_SL_SM_E_clISD_PbSF_PiEESJ_SZ_SK_SL_SM_EUlSZ_E1_NS1_11comp_targetILNS1_3genE0ELNS1_11target_archE4294967295ELNS1_3gpuE0ELNS1_3repE0EEENS1_36merge_oddeven_config_static_selectorELNS0_4arch9wavefront6targetE1EEEvSL_.uses_flat_scratch, 0
	.set _ZN7rocprim17ROCPRIM_400000_NS6detail17trampoline_kernelINS0_14default_configENS1_38merge_sort_block_merge_config_selectorIbiEEZZNS1_27merge_sort_block_merge_implIS3_N6thrust23THRUST_200600_302600_NS6detail15normal_iteratorINS8_10device_ptrIbEEEENSA_INSB_IiEEEEjNS1_19radix_merge_compareILb0ELb0EbNS0_19identity_decomposerEEEEE10hipError_tT0_T1_T2_jT3_P12ihipStream_tbPNSt15iterator_traitsISK_E10value_typeEPNSQ_ISL_E10value_typeEPSM_NS1_7vsmem_tEENKUlT_SK_SL_SM_E_clISD_PbSF_PiEESJ_SZ_SK_SL_SM_EUlSZ_E1_NS1_11comp_targetILNS1_3genE0ELNS1_11target_archE4294967295ELNS1_3gpuE0ELNS1_3repE0EEENS1_36merge_oddeven_config_static_selectorELNS0_4arch9wavefront6targetE1EEEvSL_.has_dyn_sized_stack, 0
	.set _ZN7rocprim17ROCPRIM_400000_NS6detail17trampoline_kernelINS0_14default_configENS1_38merge_sort_block_merge_config_selectorIbiEEZZNS1_27merge_sort_block_merge_implIS3_N6thrust23THRUST_200600_302600_NS6detail15normal_iteratorINS8_10device_ptrIbEEEENSA_INSB_IiEEEEjNS1_19radix_merge_compareILb0ELb0EbNS0_19identity_decomposerEEEEE10hipError_tT0_T1_T2_jT3_P12ihipStream_tbPNSt15iterator_traitsISK_E10value_typeEPNSQ_ISL_E10value_typeEPSM_NS1_7vsmem_tEENKUlT_SK_SL_SM_E_clISD_PbSF_PiEESJ_SZ_SK_SL_SM_EUlSZ_E1_NS1_11comp_targetILNS1_3genE0ELNS1_11target_archE4294967295ELNS1_3gpuE0ELNS1_3repE0EEENS1_36merge_oddeven_config_static_selectorELNS0_4arch9wavefront6targetE1EEEvSL_.has_recursion, 0
	.set _ZN7rocprim17ROCPRIM_400000_NS6detail17trampoline_kernelINS0_14default_configENS1_38merge_sort_block_merge_config_selectorIbiEEZZNS1_27merge_sort_block_merge_implIS3_N6thrust23THRUST_200600_302600_NS6detail15normal_iteratorINS8_10device_ptrIbEEEENSA_INSB_IiEEEEjNS1_19radix_merge_compareILb0ELb0EbNS0_19identity_decomposerEEEEE10hipError_tT0_T1_T2_jT3_P12ihipStream_tbPNSt15iterator_traitsISK_E10value_typeEPNSQ_ISL_E10value_typeEPSM_NS1_7vsmem_tEENKUlT_SK_SL_SM_E_clISD_PbSF_PiEESJ_SZ_SK_SL_SM_EUlSZ_E1_NS1_11comp_targetILNS1_3genE0ELNS1_11target_archE4294967295ELNS1_3gpuE0ELNS1_3repE0EEENS1_36merge_oddeven_config_static_selectorELNS0_4arch9wavefront6targetE1EEEvSL_.has_indirect_call, 0
	.section	.AMDGPU.csdata,"",@progbits
; Kernel info:
; codeLenInByte = 712
; TotalNumSgprs: 30
; NumVgprs: 9
; NumAgprs: 0
; TotalNumVgprs: 9
; ScratchSize: 0
; MemoryBound: 0
; FloatMode: 240
; IeeeMode: 1
; LDSByteSize: 0 bytes/workgroup (compile time only)
; SGPRBlocks: 3
; VGPRBlocks: 1
; NumSGPRsForWavesPerEU: 30
; NumVGPRsForWavesPerEU: 9
; AccumOffset: 12
; Occupancy: 8
; WaveLimiterHint : 0
; COMPUTE_PGM_RSRC2:SCRATCH_EN: 0
; COMPUTE_PGM_RSRC2:USER_SGPR: 2
; COMPUTE_PGM_RSRC2:TRAP_HANDLER: 0
; COMPUTE_PGM_RSRC2:TGID_X_EN: 1
; COMPUTE_PGM_RSRC2:TGID_Y_EN: 0
; COMPUTE_PGM_RSRC2:TGID_Z_EN: 0
; COMPUTE_PGM_RSRC2:TIDIG_COMP_CNT: 0
; COMPUTE_PGM_RSRC3_GFX90A:ACCUM_OFFSET: 2
; COMPUTE_PGM_RSRC3_GFX90A:TG_SPLIT: 0
	.section	.text._ZN7rocprim17ROCPRIM_400000_NS6detail17trampoline_kernelINS0_14default_configENS1_38merge_sort_block_merge_config_selectorIbiEEZZNS1_27merge_sort_block_merge_implIS3_N6thrust23THRUST_200600_302600_NS6detail15normal_iteratorINS8_10device_ptrIbEEEENSA_INSB_IiEEEEjNS1_19radix_merge_compareILb0ELb0EbNS0_19identity_decomposerEEEEE10hipError_tT0_T1_T2_jT3_P12ihipStream_tbPNSt15iterator_traitsISK_E10value_typeEPNSQ_ISL_E10value_typeEPSM_NS1_7vsmem_tEENKUlT_SK_SL_SM_E_clISD_PbSF_PiEESJ_SZ_SK_SL_SM_EUlSZ_E1_NS1_11comp_targetILNS1_3genE10ELNS1_11target_archE1201ELNS1_3gpuE5ELNS1_3repE0EEENS1_36merge_oddeven_config_static_selectorELNS0_4arch9wavefront6targetE1EEEvSL_,"axG",@progbits,_ZN7rocprim17ROCPRIM_400000_NS6detail17trampoline_kernelINS0_14default_configENS1_38merge_sort_block_merge_config_selectorIbiEEZZNS1_27merge_sort_block_merge_implIS3_N6thrust23THRUST_200600_302600_NS6detail15normal_iteratorINS8_10device_ptrIbEEEENSA_INSB_IiEEEEjNS1_19radix_merge_compareILb0ELb0EbNS0_19identity_decomposerEEEEE10hipError_tT0_T1_T2_jT3_P12ihipStream_tbPNSt15iterator_traitsISK_E10value_typeEPNSQ_ISL_E10value_typeEPSM_NS1_7vsmem_tEENKUlT_SK_SL_SM_E_clISD_PbSF_PiEESJ_SZ_SK_SL_SM_EUlSZ_E1_NS1_11comp_targetILNS1_3genE10ELNS1_11target_archE1201ELNS1_3gpuE5ELNS1_3repE0EEENS1_36merge_oddeven_config_static_selectorELNS0_4arch9wavefront6targetE1EEEvSL_,comdat
	.protected	_ZN7rocprim17ROCPRIM_400000_NS6detail17trampoline_kernelINS0_14default_configENS1_38merge_sort_block_merge_config_selectorIbiEEZZNS1_27merge_sort_block_merge_implIS3_N6thrust23THRUST_200600_302600_NS6detail15normal_iteratorINS8_10device_ptrIbEEEENSA_INSB_IiEEEEjNS1_19radix_merge_compareILb0ELb0EbNS0_19identity_decomposerEEEEE10hipError_tT0_T1_T2_jT3_P12ihipStream_tbPNSt15iterator_traitsISK_E10value_typeEPNSQ_ISL_E10value_typeEPSM_NS1_7vsmem_tEENKUlT_SK_SL_SM_E_clISD_PbSF_PiEESJ_SZ_SK_SL_SM_EUlSZ_E1_NS1_11comp_targetILNS1_3genE10ELNS1_11target_archE1201ELNS1_3gpuE5ELNS1_3repE0EEENS1_36merge_oddeven_config_static_selectorELNS0_4arch9wavefront6targetE1EEEvSL_ ; -- Begin function _ZN7rocprim17ROCPRIM_400000_NS6detail17trampoline_kernelINS0_14default_configENS1_38merge_sort_block_merge_config_selectorIbiEEZZNS1_27merge_sort_block_merge_implIS3_N6thrust23THRUST_200600_302600_NS6detail15normal_iteratorINS8_10device_ptrIbEEEENSA_INSB_IiEEEEjNS1_19radix_merge_compareILb0ELb0EbNS0_19identity_decomposerEEEEE10hipError_tT0_T1_T2_jT3_P12ihipStream_tbPNSt15iterator_traitsISK_E10value_typeEPNSQ_ISL_E10value_typeEPSM_NS1_7vsmem_tEENKUlT_SK_SL_SM_E_clISD_PbSF_PiEESJ_SZ_SK_SL_SM_EUlSZ_E1_NS1_11comp_targetILNS1_3genE10ELNS1_11target_archE1201ELNS1_3gpuE5ELNS1_3repE0EEENS1_36merge_oddeven_config_static_selectorELNS0_4arch9wavefront6targetE1EEEvSL_
	.globl	_ZN7rocprim17ROCPRIM_400000_NS6detail17trampoline_kernelINS0_14default_configENS1_38merge_sort_block_merge_config_selectorIbiEEZZNS1_27merge_sort_block_merge_implIS3_N6thrust23THRUST_200600_302600_NS6detail15normal_iteratorINS8_10device_ptrIbEEEENSA_INSB_IiEEEEjNS1_19radix_merge_compareILb0ELb0EbNS0_19identity_decomposerEEEEE10hipError_tT0_T1_T2_jT3_P12ihipStream_tbPNSt15iterator_traitsISK_E10value_typeEPNSQ_ISL_E10value_typeEPSM_NS1_7vsmem_tEENKUlT_SK_SL_SM_E_clISD_PbSF_PiEESJ_SZ_SK_SL_SM_EUlSZ_E1_NS1_11comp_targetILNS1_3genE10ELNS1_11target_archE1201ELNS1_3gpuE5ELNS1_3repE0EEENS1_36merge_oddeven_config_static_selectorELNS0_4arch9wavefront6targetE1EEEvSL_
	.p2align	8
	.type	_ZN7rocprim17ROCPRIM_400000_NS6detail17trampoline_kernelINS0_14default_configENS1_38merge_sort_block_merge_config_selectorIbiEEZZNS1_27merge_sort_block_merge_implIS3_N6thrust23THRUST_200600_302600_NS6detail15normal_iteratorINS8_10device_ptrIbEEEENSA_INSB_IiEEEEjNS1_19radix_merge_compareILb0ELb0EbNS0_19identity_decomposerEEEEE10hipError_tT0_T1_T2_jT3_P12ihipStream_tbPNSt15iterator_traitsISK_E10value_typeEPNSQ_ISL_E10value_typeEPSM_NS1_7vsmem_tEENKUlT_SK_SL_SM_E_clISD_PbSF_PiEESJ_SZ_SK_SL_SM_EUlSZ_E1_NS1_11comp_targetILNS1_3genE10ELNS1_11target_archE1201ELNS1_3gpuE5ELNS1_3repE0EEENS1_36merge_oddeven_config_static_selectorELNS0_4arch9wavefront6targetE1EEEvSL_,@function
_ZN7rocprim17ROCPRIM_400000_NS6detail17trampoline_kernelINS0_14default_configENS1_38merge_sort_block_merge_config_selectorIbiEEZZNS1_27merge_sort_block_merge_implIS3_N6thrust23THRUST_200600_302600_NS6detail15normal_iteratorINS8_10device_ptrIbEEEENSA_INSB_IiEEEEjNS1_19radix_merge_compareILb0ELb0EbNS0_19identity_decomposerEEEEE10hipError_tT0_T1_T2_jT3_P12ihipStream_tbPNSt15iterator_traitsISK_E10value_typeEPNSQ_ISL_E10value_typeEPSM_NS1_7vsmem_tEENKUlT_SK_SL_SM_E_clISD_PbSF_PiEESJ_SZ_SK_SL_SM_EUlSZ_E1_NS1_11comp_targetILNS1_3genE10ELNS1_11target_archE1201ELNS1_3gpuE5ELNS1_3repE0EEENS1_36merge_oddeven_config_static_selectorELNS0_4arch9wavefront6targetE1EEEvSL_: ; @_ZN7rocprim17ROCPRIM_400000_NS6detail17trampoline_kernelINS0_14default_configENS1_38merge_sort_block_merge_config_selectorIbiEEZZNS1_27merge_sort_block_merge_implIS3_N6thrust23THRUST_200600_302600_NS6detail15normal_iteratorINS8_10device_ptrIbEEEENSA_INSB_IiEEEEjNS1_19radix_merge_compareILb0ELb0EbNS0_19identity_decomposerEEEEE10hipError_tT0_T1_T2_jT3_P12ihipStream_tbPNSt15iterator_traitsISK_E10value_typeEPNSQ_ISL_E10value_typeEPSM_NS1_7vsmem_tEENKUlT_SK_SL_SM_E_clISD_PbSF_PiEESJ_SZ_SK_SL_SM_EUlSZ_E1_NS1_11comp_targetILNS1_3genE10ELNS1_11target_archE1201ELNS1_3gpuE5ELNS1_3repE0EEENS1_36merge_oddeven_config_static_selectorELNS0_4arch9wavefront6targetE1EEEvSL_
; %bb.0:
	.section	.rodata,"a",@progbits
	.p2align	6, 0x0
	.amdhsa_kernel _ZN7rocprim17ROCPRIM_400000_NS6detail17trampoline_kernelINS0_14default_configENS1_38merge_sort_block_merge_config_selectorIbiEEZZNS1_27merge_sort_block_merge_implIS3_N6thrust23THRUST_200600_302600_NS6detail15normal_iteratorINS8_10device_ptrIbEEEENSA_INSB_IiEEEEjNS1_19radix_merge_compareILb0ELb0EbNS0_19identity_decomposerEEEEE10hipError_tT0_T1_T2_jT3_P12ihipStream_tbPNSt15iterator_traitsISK_E10value_typeEPNSQ_ISL_E10value_typeEPSM_NS1_7vsmem_tEENKUlT_SK_SL_SM_E_clISD_PbSF_PiEESJ_SZ_SK_SL_SM_EUlSZ_E1_NS1_11comp_targetILNS1_3genE10ELNS1_11target_archE1201ELNS1_3gpuE5ELNS1_3repE0EEENS1_36merge_oddeven_config_static_selectorELNS0_4arch9wavefront6targetE1EEEvSL_
		.amdhsa_group_segment_fixed_size 0
		.amdhsa_private_segment_fixed_size 0
		.amdhsa_kernarg_size 48
		.amdhsa_user_sgpr_count 2
		.amdhsa_user_sgpr_dispatch_ptr 0
		.amdhsa_user_sgpr_queue_ptr 0
		.amdhsa_user_sgpr_kernarg_segment_ptr 1
		.amdhsa_user_sgpr_dispatch_id 0
		.amdhsa_user_sgpr_kernarg_preload_length 0
		.amdhsa_user_sgpr_kernarg_preload_offset 0
		.amdhsa_user_sgpr_private_segment_size 0
		.amdhsa_uses_dynamic_stack 0
		.amdhsa_enable_private_segment 0
		.amdhsa_system_sgpr_workgroup_id_x 1
		.amdhsa_system_sgpr_workgroup_id_y 0
		.amdhsa_system_sgpr_workgroup_id_z 0
		.amdhsa_system_sgpr_workgroup_info 0
		.amdhsa_system_vgpr_workitem_id 0
		.amdhsa_next_free_vgpr 1
		.amdhsa_next_free_sgpr 0
		.amdhsa_accum_offset 4
		.amdhsa_reserve_vcc 0
		.amdhsa_float_round_mode_32 0
		.amdhsa_float_round_mode_16_64 0
		.amdhsa_float_denorm_mode_32 3
		.amdhsa_float_denorm_mode_16_64 3
		.amdhsa_dx10_clamp 1
		.amdhsa_ieee_mode 1
		.amdhsa_fp16_overflow 0
		.amdhsa_tg_split 0
		.amdhsa_exception_fp_ieee_invalid_op 0
		.amdhsa_exception_fp_denorm_src 0
		.amdhsa_exception_fp_ieee_div_zero 0
		.amdhsa_exception_fp_ieee_overflow 0
		.amdhsa_exception_fp_ieee_underflow 0
		.amdhsa_exception_fp_ieee_inexact 0
		.amdhsa_exception_int_div_zero 0
	.end_amdhsa_kernel
	.section	.text._ZN7rocprim17ROCPRIM_400000_NS6detail17trampoline_kernelINS0_14default_configENS1_38merge_sort_block_merge_config_selectorIbiEEZZNS1_27merge_sort_block_merge_implIS3_N6thrust23THRUST_200600_302600_NS6detail15normal_iteratorINS8_10device_ptrIbEEEENSA_INSB_IiEEEEjNS1_19radix_merge_compareILb0ELb0EbNS0_19identity_decomposerEEEEE10hipError_tT0_T1_T2_jT3_P12ihipStream_tbPNSt15iterator_traitsISK_E10value_typeEPNSQ_ISL_E10value_typeEPSM_NS1_7vsmem_tEENKUlT_SK_SL_SM_E_clISD_PbSF_PiEESJ_SZ_SK_SL_SM_EUlSZ_E1_NS1_11comp_targetILNS1_3genE10ELNS1_11target_archE1201ELNS1_3gpuE5ELNS1_3repE0EEENS1_36merge_oddeven_config_static_selectorELNS0_4arch9wavefront6targetE1EEEvSL_,"axG",@progbits,_ZN7rocprim17ROCPRIM_400000_NS6detail17trampoline_kernelINS0_14default_configENS1_38merge_sort_block_merge_config_selectorIbiEEZZNS1_27merge_sort_block_merge_implIS3_N6thrust23THRUST_200600_302600_NS6detail15normal_iteratorINS8_10device_ptrIbEEEENSA_INSB_IiEEEEjNS1_19radix_merge_compareILb0ELb0EbNS0_19identity_decomposerEEEEE10hipError_tT0_T1_T2_jT3_P12ihipStream_tbPNSt15iterator_traitsISK_E10value_typeEPNSQ_ISL_E10value_typeEPSM_NS1_7vsmem_tEENKUlT_SK_SL_SM_E_clISD_PbSF_PiEESJ_SZ_SK_SL_SM_EUlSZ_E1_NS1_11comp_targetILNS1_3genE10ELNS1_11target_archE1201ELNS1_3gpuE5ELNS1_3repE0EEENS1_36merge_oddeven_config_static_selectorELNS0_4arch9wavefront6targetE1EEEvSL_,comdat
.Lfunc_end1950:
	.size	_ZN7rocprim17ROCPRIM_400000_NS6detail17trampoline_kernelINS0_14default_configENS1_38merge_sort_block_merge_config_selectorIbiEEZZNS1_27merge_sort_block_merge_implIS3_N6thrust23THRUST_200600_302600_NS6detail15normal_iteratorINS8_10device_ptrIbEEEENSA_INSB_IiEEEEjNS1_19radix_merge_compareILb0ELb0EbNS0_19identity_decomposerEEEEE10hipError_tT0_T1_T2_jT3_P12ihipStream_tbPNSt15iterator_traitsISK_E10value_typeEPNSQ_ISL_E10value_typeEPSM_NS1_7vsmem_tEENKUlT_SK_SL_SM_E_clISD_PbSF_PiEESJ_SZ_SK_SL_SM_EUlSZ_E1_NS1_11comp_targetILNS1_3genE10ELNS1_11target_archE1201ELNS1_3gpuE5ELNS1_3repE0EEENS1_36merge_oddeven_config_static_selectorELNS0_4arch9wavefront6targetE1EEEvSL_, .Lfunc_end1950-_ZN7rocprim17ROCPRIM_400000_NS6detail17trampoline_kernelINS0_14default_configENS1_38merge_sort_block_merge_config_selectorIbiEEZZNS1_27merge_sort_block_merge_implIS3_N6thrust23THRUST_200600_302600_NS6detail15normal_iteratorINS8_10device_ptrIbEEEENSA_INSB_IiEEEEjNS1_19radix_merge_compareILb0ELb0EbNS0_19identity_decomposerEEEEE10hipError_tT0_T1_T2_jT3_P12ihipStream_tbPNSt15iterator_traitsISK_E10value_typeEPNSQ_ISL_E10value_typeEPSM_NS1_7vsmem_tEENKUlT_SK_SL_SM_E_clISD_PbSF_PiEESJ_SZ_SK_SL_SM_EUlSZ_E1_NS1_11comp_targetILNS1_3genE10ELNS1_11target_archE1201ELNS1_3gpuE5ELNS1_3repE0EEENS1_36merge_oddeven_config_static_selectorELNS0_4arch9wavefront6targetE1EEEvSL_
                                        ; -- End function
	.set _ZN7rocprim17ROCPRIM_400000_NS6detail17trampoline_kernelINS0_14default_configENS1_38merge_sort_block_merge_config_selectorIbiEEZZNS1_27merge_sort_block_merge_implIS3_N6thrust23THRUST_200600_302600_NS6detail15normal_iteratorINS8_10device_ptrIbEEEENSA_INSB_IiEEEEjNS1_19radix_merge_compareILb0ELb0EbNS0_19identity_decomposerEEEEE10hipError_tT0_T1_T2_jT3_P12ihipStream_tbPNSt15iterator_traitsISK_E10value_typeEPNSQ_ISL_E10value_typeEPSM_NS1_7vsmem_tEENKUlT_SK_SL_SM_E_clISD_PbSF_PiEESJ_SZ_SK_SL_SM_EUlSZ_E1_NS1_11comp_targetILNS1_3genE10ELNS1_11target_archE1201ELNS1_3gpuE5ELNS1_3repE0EEENS1_36merge_oddeven_config_static_selectorELNS0_4arch9wavefront6targetE1EEEvSL_.num_vgpr, 0
	.set _ZN7rocprim17ROCPRIM_400000_NS6detail17trampoline_kernelINS0_14default_configENS1_38merge_sort_block_merge_config_selectorIbiEEZZNS1_27merge_sort_block_merge_implIS3_N6thrust23THRUST_200600_302600_NS6detail15normal_iteratorINS8_10device_ptrIbEEEENSA_INSB_IiEEEEjNS1_19radix_merge_compareILb0ELb0EbNS0_19identity_decomposerEEEEE10hipError_tT0_T1_T2_jT3_P12ihipStream_tbPNSt15iterator_traitsISK_E10value_typeEPNSQ_ISL_E10value_typeEPSM_NS1_7vsmem_tEENKUlT_SK_SL_SM_E_clISD_PbSF_PiEESJ_SZ_SK_SL_SM_EUlSZ_E1_NS1_11comp_targetILNS1_3genE10ELNS1_11target_archE1201ELNS1_3gpuE5ELNS1_3repE0EEENS1_36merge_oddeven_config_static_selectorELNS0_4arch9wavefront6targetE1EEEvSL_.num_agpr, 0
	.set _ZN7rocprim17ROCPRIM_400000_NS6detail17trampoline_kernelINS0_14default_configENS1_38merge_sort_block_merge_config_selectorIbiEEZZNS1_27merge_sort_block_merge_implIS3_N6thrust23THRUST_200600_302600_NS6detail15normal_iteratorINS8_10device_ptrIbEEEENSA_INSB_IiEEEEjNS1_19radix_merge_compareILb0ELb0EbNS0_19identity_decomposerEEEEE10hipError_tT0_T1_T2_jT3_P12ihipStream_tbPNSt15iterator_traitsISK_E10value_typeEPNSQ_ISL_E10value_typeEPSM_NS1_7vsmem_tEENKUlT_SK_SL_SM_E_clISD_PbSF_PiEESJ_SZ_SK_SL_SM_EUlSZ_E1_NS1_11comp_targetILNS1_3genE10ELNS1_11target_archE1201ELNS1_3gpuE5ELNS1_3repE0EEENS1_36merge_oddeven_config_static_selectorELNS0_4arch9wavefront6targetE1EEEvSL_.numbered_sgpr, 0
	.set _ZN7rocprim17ROCPRIM_400000_NS6detail17trampoline_kernelINS0_14default_configENS1_38merge_sort_block_merge_config_selectorIbiEEZZNS1_27merge_sort_block_merge_implIS3_N6thrust23THRUST_200600_302600_NS6detail15normal_iteratorINS8_10device_ptrIbEEEENSA_INSB_IiEEEEjNS1_19radix_merge_compareILb0ELb0EbNS0_19identity_decomposerEEEEE10hipError_tT0_T1_T2_jT3_P12ihipStream_tbPNSt15iterator_traitsISK_E10value_typeEPNSQ_ISL_E10value_typeEPSM_NS1_7vsmem_tEENKUlT_SK_SL_SM_E_clISD_PbSF_PiEESJ_SZ_SK_SL_SM_EUlSZ_E1_NS1_11comp_targetILNS1_3genE10ELNS1_11target_archE1201ELNS1_3gpuE5ELNS1_3repE0EEENS1_36merge_oddeven_config_static_selectorELNS0_4arch9wavefront6targetE1EEEvSL_.num_named_barrier, 0
	.set _ZN7rocprim17ROCPRIM_400000_NS6detail17trampoline_kernelINS0_14default_configENS1_38merge_sort_block_merge_config_selectorIbiEEZZNS1_27merge_sort_block_merge_implIS3_N6thrust23THRUST_200600_302600_NS6detail15normal_iteratorINS8_10device_ptrIbEEEENSA_INSB_IiEEEEjNS1_19radix_merge_compareILb0ELb0EbNS0_19identity_decomposerEEEEE10hipError_tT0_T1_T2_jT3_P12ihipStream_tbPNSt15iterator_traitsISK_E10value_typeEPNSQ_ISL_E10value_typeEPSM_NS1_7vsmem_tEENKUlT_SK_SL_SM_E_clISD_PbSF_PiEESJ_SZ_SK_SL_SM_EUlSZ_E1_NS1_11comp_targetILNS1_3genE10ELNS1_11target_archE1201ELNS1_3gpuE5ELNS1_3repE0EEENS1_36merge_oddeven_config_static_selectorELNS0_4arch9wavefront6targetE1EEEvSL_.private_seg_size, 0
	.set _ZN7rocprim17ROCPRIM_400000_NS6detail17trampoline_kernelINS0_14default_configENS1_38merge_sort_block_merge_config_selectorIbiEEZZNS1_27merge_sort_block_merge_implIS3_N6thrust23THRUST_200600_302600_NS6detail15normal_iteratorINS8_10device_ptrIbEEEENSA_INSB_IiEEEEjNS1_19radix_merge_compareILb0ELb0EbNS0_19identity_decomposerEEEEE10hipError_tT0_T1_T2_jT3_P12ihipStream_tbPNSt15iterator_traitsISK_E10value_typeEPNSQ_ISL_E10value_typeEPSM_NS1_7vsmem_tEENKUlT_SK_SL_SM_E_clISD_PbSF_PiEESJ_SZ_SK_SL_SM_EUlSZ_E1_NS1_11comp_targetILNS1_3genE10ELNS1_11target_archE1201ELNS1_3gpuE5ELNS1_3repE0EEENS1_36merge_oddeven_config_static_selectorELNS0_4arch9wavefront6targetE1EEEvSL_.uses_vcc, 0
	.set _ZN7rocprim17ROCPRIM_400000_NS6detail17trampoline_kernelINS0_14default_configENS1_38merge_sort_block_merge_config_selectorIbiEEZZNS1_27merge_sort_block_merge_implIS3_N6thrust23THRUST_200600_302600_NS6detail15normal_iteratorINS8_10device_ptrIbEEEENSA_INSB_IiEEEEjNS1_19radix_merge_compareILb0ELb0EbNS0_19identity_decomposerEEEEE10hipError_tT0_T1_T2_jT3_P12ihipStream_tbPNSt15iterator_traitsISK_E10value_typeEPNSQ_ISL_E10value_typeEPSM_NS1_7vsmem_tEENKUlT_SK_SL_SM_E_clISD_PbSF_PiEESJ_SZ_SK_SL_SM_EUlSZ_E1_NS1_11comp_targetILNS1_3genE10ELNS1_11target_archE1201ELNS1_3gpuE5ELNS1_3repE0EEENS1_36merge_oddeven_config_static_selectorELNS0_4arch9wavefront6targetE1EEEvSL_.uses_flat_scratch, 0
	.set _ZN7rocprim17ROCPRIM_400000_NS6detail17trampoline_kernelINS0_14default_configENS1_38merge_sort_block_merge_config_selectorIbiEEZZNS1_27merge_sort_block_merge_implIS3_N6thrust23THRUST_200600_302600_NS6detail15normal_iteratorINS8_10device_ptrIbEEEENSA_INSB_IiEEEEjNS1_19radix_merge_compareILb0ELb0EbNS0_19identity_decomposerEEEEE10hipError_tT0_T1_T2_jT3_P12ihipStream_tbPNSt15iterator_traitsISK_E10value_typeEPNSQ_ISL_E10value_typeEPSM_NS1_7vsmem_tEENKUlT_SK_SL_SM_E_clISD_PbSF_PiEESJ_SZ_SK_SL_SM_EUlSZ_E1_NS1_11comp_targetILNS1_3genE10ELNS1_11target_archE1201ELNS1_3gpuE5ELNS1_3repE0EEENS1_36merge_oddeven_config_static_selectorELNS0_4arch9wavefront6targetE1EEEvSL_.has_dyn_sized_stack, 0
	.set _ZN7rocprim17ROCPRIM_400000_NS6detail17trampoline_kernelINS0_14default_configENS1_38merge_sort_block_merge_config_selectorIbiEEZZNS1_27merge_sort_block_merge_implIS3_N6thrust23THRUST_200600_302600_NS6detail15normal_iteratorINS8_10device_ptrIbEEEENSA_INSB_IiEEEEjNS1_19radix_merge_compareILb0ELb0EbNS0_19identity_decomposerEEEEE10hipError_tT0_T1_T2_jT3_P12ihipStream_tbPNSt15iterator_traitsISK_E10value_typeEPNSQ_ISL_E10value_typeEPSM_NS1_7vsmem_tEENKUlT_SK_SL_SM_E_clISD_PbSF_PiEESJ_SZ_SK_SL_SM_EUlSZ_E1_NS1_11comp_targetILNS1_3genE10ELNS1_11target_archE1201ELNS1_3gpuE5ELNS1_3repE0EEENS1_36merge_oddeven_config_static_selectorELNS0_4arch9wavefront6targetE1EEEvSL_.has_recursion, 0
	.set _ZN7rocprim17ROCPRIM_400000_NS6detail17trampoline_kernelINS0_14default_configENS1_38merge_sort_block_merge_config_selectorIbiEEZZNS1_27merge_sort_block_merge_implIS3_N6thrust23THRUST_200600_302600_NS6detail15normal_iteratorINS8_10device_ptrIbEEEENSA_INSB_IiEEEEjNS1_19radix_merge_compareILb0ELb0EbNS0_19identity_decomposerEEEEE10hipError_tT0_T1_T2_jT3_P12ihipStream_tbPNSt15iterator_traitsISK_E10value_typeEPNSQ_ISL_E10value_typeEPSM_NS1_7vsmem_tEENKUlT_SK_SL_SM_E_clISD_PbSF_PiEESJ_SZ_SK_SL_SM_EUlSZ_E1_NS1_11comp_targetILNS1_3genE10ELNS1_11target_archE1201ELNS1_3gpuE5ELNS1_3repE0EEENS1_36merge_oddeven_config_static_selectorELNS0_4arch9wavefront6targetE1EEEvSL_.has_indirect_call, 0
	.section	.AMDGPU.csdata,"",@progbits
; Kernel info:
; codeLenInByte = 0
; TotalNumSgprs: 6
; NumVgprs: 0
; NumAgprs: 0
; TotalNumVgprs: 0
; ScratchSize: 0
; MemoryBound: 0
; FloatMode: 240
; IeeeMode: 1
; LDSByteSize: 0 bytes/workgroup (compile time only)
; SGPRBlocks: 0
; VGPRBlocks: 0
; NumSGPRsForWavesPerEU: 6
; NumVGPRsForWavesPerEU: 1
; AccumOffset: 4
; Occupancy: 8
; WaveLimiterHint : 0
; COMPUTE_PGM_RSRC2:SCRATCH_EN: 0
; COMPUTE_PGM_RSRC2:USER_SGPR: 2
; COMPUTE_PGM_RSRC2:TRAP_HANDLER: 0
; COMPUTE_PGM_RSRC2:TGID_X_EN: 1
; COMPUTE_PGM_RSRC2:TGID_Y_EN: 0
; COMPUTE_PGM_RSRC2:TGID_Z_EN: 0
; COMPUTE_PGM_RSRC2:TIDIG_COMP_CNT: 0
; COMPUTE_PGM_RSRC3_GFX90A:ACCUM_OFFSET: 0
; COMPUTE_PGM_RSRC3_GFX90A:TG_SPLIT: 0
	.section	.text._ZN7rocprim17ROCPRIM_400000_NS6detail17trampoline_kernelINS0_14default_configENS1_38merge_sort_block_merge_config_selectorIbiEEZZNS1_27merge_sort_block_merge_implIS3_N6thrust23THRUST_200600_302600_NS6detail15normal_iteratorINS8_10device_ptrIbEEEENSA_INSB_IiEEEEjNS1_19radix_merge_compareILb0ELb0EbNS0_19identity_decomposerEEEEE10hipError_tT0_T1_T2_jT3_P12ihipStream_tbPNSt15iterator_traitsISK_E10value_typeEPNSQ_ISL_E10value_typeEPSM_NS1_7vsmem_tEENKUlT_SK_SL_SM_E_clISD_PbSF_PiEESJ_SZ_SK_SL_SM_EUlSZ_E1_NS1_11comp_targetILNS1_3genE5ELNS1_11target_archE942ELNS1_3gpuE9ELNS1_3repE0EEENS1_36merge_oddeven_config_static_selectorELNS0_4arch9wavefront6targetE1EEEvSL_,"axG",@progbits,_ZN7rocprim17ROCPRIM_400000_NS6detail17trampoline_kernelINS0_14default_configENS1_38merge_sort_block_merge_config_selectorIbiEEZZNS1_27merge_sort_block_merge_implIS3_N6thrust23THRUST_200600_302600_NS6detail15normal_iteratorINS8_10device_ptrIbEEEENSA_INSB_IiEEEEjNS1_19radix_merge_compareILb0ELb0EbNS0_19identity_decomposerEEEEE10hipError_tT0_T1_T2_jT3_P12ihipStream_tbPNSt15iterator_traitsISK_E10value_typeEPNSQ_ISL_E10value_typeEPSM_NS1_7vsmem_tEENKUlT_SK_SL_SM_E_clISD_PbSF_PiEESJ_SZ_SK_SL_SM_EUlSZ_E1_NS1_11comp_targetILNS1_3genE5ELNS1_11target_archE942ELNS1_3gpuE9ELNS1_3repE0EEENS1_36merge_oddeven_config_static_selectorELNS0_4arch9wavefront6targetE1EEEvSL_,comdat
	.protected	_ZN7rocprim17ROCPRIM_400000_NS6detail17trampoline_kernelINS0_14default_configENS1_38merge_sort_block_merge_config_selectorIbiEEZZNS1_27merge_sort_block_merge_implIS3_N6thrust23THRUST_200600_302600_NS6detail15normal_iteratorINS8_10device_ptrIbEEEENSA_INSB_IiEEEEjNS1_19radix_merge_compareILb0ELb0EbNS0_19identity_decomposerEEEEE10hipError_tT0_T1_T2_jT3_P12ihipStream_tbPNSt15iterator_traitsISK_E10value_typeEPNSQ_ISL_E10value_typeEPSM_NS1_7vsmem_tEENKUlT_SK_SL_SM_E_clISD_PbSF_PiEESJ_SZ_SK_SL_SM_EUlSZ_E1_NS1_11comp_targetILNS1_3genE5ELNS1_11target_archE942ELNS1_3gpuE9ELNS1_3repE0EEENS1_36merge_oddeven_config_static_selectorELNS0_4arch9wavefront6targetE1EEEvSL_ ; -- Begin function _ZN7rocprim17ROCPRIM_400000_NS6detail17trampoline_kernelINS0_14default_configENS1_38merge_sort_block_merge_config_selectorIbiEEZZNS1_27merge_sort_block_merge_implIS3_N6thrust23THRUST_200600_302600_NS6detail15normal_iteratorINS8_10device_ptrIbEEEENSA_INSB_IiEEEEjNS1_19radix_merge_compareILb0ELb0EbNS0_19identity_decomposerEEEEE10hipError_tT0_T1_T2_jT3_P12ihipStream_tbPNSt15iterator_traitsISK_E10value_typeEPNSQ_ISL_E10value_typeEPSM_NS1_7vsmem_tEENKUlT_SK_SL_SM_E_clISD_PbSF_PiEESJ_SZ_SK_SL_SM_EUlSZ_E1_NS1_11comp_targetILNS1_3genE5ELNS1_11target_archE942ELNS1_3gpuE9ELNS1_3repE0EEENS1_36merge_oddeven_config_static_selectorELNS0_4arch9wavefront6targetE1EEEvSL_
	.globl	_ZN7rocprim17ROCPRIM_400000_NS6detail17trampoline_kernelINS0_14default_configENS1_38merge_sort_block_merge_config_selectorIbiEEZZNS1_27merge_sort_block_merge_implIS3_N6thrust23THRUST_200600_302600_NS6detail15normal_iteratorINS8_10device_ptrIbEEEENSA_INSB_IiEEEEjNS1_19radix_merge_compareILb0ELb0EbNS0_19identity_decomposerEEEEE10hipError_tT0_T1_T2_jT3_P12ihipStream_tbPNSt15iterator_traitsISK_E10value_typeEPNSQ_ISL_E10value_typeEPSM_NS1_7vsmem_tEENKUlT_SK_SL_SM_E_clISD_PbSF_PiEESJ_SZ_SK_SL_SM_EUlSZ_E1_NS1_11comp_targetILNS1_3genE5ELNS1_11target_archE942ELNS1_3gpuE9ELNS1_3repE0EEENS1_36merge_oddeven_config_static_selectorELNS0_4arch9wavefront6targetE1EEEvSL_
	.p2align	8
	.type	_ZN7rocprim17ROCPRIM_400000_NS6detail17trampoline_kernelINS0_14default_configENS1_38merge_sort_block_merge_config_selectorIbiEEZZNS1_27merge_sort_block_merge_implIS3_N6thrust23THRUST_200600_302600_NS6detail15normal_iteratorINS8_10device_ptrIbEEEENSA_INSB_IiEEEEjNS1_19radix_merge_compareILb0ELb0EbNS0_19identity_decomposerEEEEE10hipError_tT0_T1_T2_jT3_P12ihipStream_tbPNSt15iterator_traitsISK_E10value_typeEPNSQ_ISL_E10value_typeEPSM_NS1_7vsmem_tEENKUlT_SK_SL_SM_E_clISD_PbSF_PiEESJ_SZ_SK_SL_SM_EUlSZ_E1_NS1_11comp_targetILNS1_3genE5ELNS1_11target_archE942ELNS1_3gpuE9ELNS1_3repE0EEENS1_36merge_oddeven_config_static_selectorELNS0_4arch9wavefront6targetE1EEEvSL_,@function
_ZN7rocprim17ROCPRIM_400000_NS6detail17trampoline_kernelINS0_14default_configENS1_38merge_sort_block_merge_config_selectorIbiEEZZNS1_27merge_sort_block_merge_implIS3_N6thrust23THRUST_200600_302600_NS6detail15normal_iteratorINS8_10device_ptrIbEEEENSA_INSB_IiEEEEjNS1_19radix_merge_compareILb0ELb0EbNS0_19identity_decomposerEEEEE10hipError_tT0_T1_T2_jT3_P12ihipStream_tbPNSt15iterator_traitsISK_E10value_typeEPNSQ_ISL_E10value_typeEPSM_NS1_7vsmem_tEENKUlT_SK_SL_SM_E_clISD_PbSF_PiEESJ_SZ_SK_SL_SM_EUlSZ_E1_NS1_11comp_targetILNS1_3genE5ELNS1_11target_archE942ELNS1_3gpuE9ELNS1_3repE0EEENS1_36merge_oddeven_config_static_selectorELNS0_4arch9wavefront6targetE1EEEvSL_: ; @_ZN7rocprim17ROCPRIM_400000_NS6detail17trampoline_kernelINS0_14default_configENS1_38merge_sort_block_merge_config_selectorIbiEEZZNS1_27merge_sort_block_merge_implIS3_N6thrust23THRUST_200600_302600_NS6detail15normal_iteratorINS8_10device_ptrIbEEEENSA_INSB_IiEEEEjNS1_19radix_merge_compareILb0ELb0EbNS0_19identity_decomposerEEEEE10hipError_tT0_T1_T2_jT3_P12ihipStream_tbPNSt15iterator_traitsISK_E10value_typeEPNSQ_ISL_E10value_typeEPSM_NS1_7vsmem_tEENKUlT_SK_SL_SM_E_clISD_PbSF_PiEESJ_SZ_SK_SL_SM_EUlSZ_E1_NS1_11comp_targetILNS1_3genE5ELNS1_11target_archE942ELNS1_3gpuE9ELNS1_3repE0EEENS1_36merge_oddeven_config_static_selectorELNS0_4arch9wavefront6targetE1EEEvSL_
; %bb.0:
	.section	.rodata,"a",@progbits
	.p2align	6, 0x0
	.amdhsa_kernel _ZN7rocprim17ROCPRIM_400000_NS6detail17trampoline_kernelINS0_14default_configENS1_38merge_sort_block_merge_config_selectorIbiEEZZNS1_27merge_sort_block_merge_implIS3_N6thrust23THRUST_200600_302600_NS6detail15normal_iteratorINS8_10device_ptrIbEEEENSA_INSB_IiEEEEjNS1_19radix_merge_compareILb0ELb0EbNS0_19identity_decomposerEEEEE10hipError_tT0_T1_T2_jT3_P12ihipStream_tbPNSt15iterator_traitsISK_E10value_typeEPNSQ_ISL_E10value_typeEPSM_NS1_7vsmem_tEENKUlT_SK_SL_SM_E_clISD_PbSF_PiEESJ_SZ_SK_SL_SM_EUlSZ_E1_NS1_11comp_targetILNS1_3genE5ELNS1_11target_archE942ELNS1_3gpuE9ELNS1_3repE0EEENS1_36merge_oddeven_config_static_selectorELNS0_4arch9wavefront6targetE1EEEvSL_
		.amdhsa_group_segment_fixed_size 0
		.amdhsa_private_segment_fixed_size 0
		.amdhsa_kernarg_size 48
		.amdhsa_user_sgpr_count 2
		.amdhsa_user_sgpr_dispatch_ptr 0
		.amdhsa_user_sgpr_queue_ptr 0
		.amdhsa_user_sgpr_kernarg_segment_ptr 1
		.amdhsa_user_sgpr_dispatch_id 0
		.amdhsa_user_sgpr_kernarg_preload_length 0
		.amdhsa_user_sgpr_kernarg_preload_offset 0
		.amdhsa_user_sgpr_private_segment_size 0
		.amdhsa_uses_dynamic_stack 0
		.amdhsa_enable_private_segment 0
		.amdhsa_system_sgpr_workgroup_id_x 1
		.amdhsa_system_sgpr_workgroup_id_y 0
		.amdhsa_system_sgpr_workgroup_id_z 0
		.amdhsa_system_sgpr_workgroup_info 0
		.amdhsa_system_vgpr_workitem_id 0
		.amdhsa_next_free_vgpr 1
		.amdhsa_next_free_sgpr 0
		.amdhsa_accum_offset 4
		.amdhsa_reserve_vcc 0
		.amdhsa_float_round_mode_32 0
		.amdhsa_float_round_mode_16_64 0
		.amdhsa_float_denorm_mode_32 3
		.amdhsa_float_denorm_mode_16_64 3
		.amdhsa_dx10_clamp 1
		.amdhsa_ieee_mode 1
		.amdhsa_fp16_overflow 0
		.amdhsa_tg_split 0
		.amdhsa_exception_fp_ieee_invalid_op 0
		.amdhsa_exception_fp_denorm_src 0
		.amdhsa_exception_fp_ieee_div_zero 0
		.amdhsa_exception_fp_ieee_overflow 0
		.amdhsa_exception_fp_ieee_underflow 0
		.amdhsa_exception_fp_ieee_inexact 0
		.amdhsa_exception_int_div_zero 0
	.end_amdhsa_kernel
	.section	.text._ZN7rocprim17ROCPRIM_400000_NS6detail17trampoline_kernelINS0_14default_configENS1_38merge_sort_block_merge_config_selectorIbiEEZZNS1_27merge_sort_block_merge_implIS3_N6thrust23THRUST_200600_302600_NS6detail15normal_iteratorINS8_10device_ptrIbEEEENSA_INSB_IiEEEEjNS1_19radix_merge_compareILb0ELb0EbNS0_19identity_decomposerEEEEE10hipError_tT0_T1_T2_jT3_P12ihipStream_tbPNSt15iterator_traitsISK_E10value_typeEPNSQ_ISL_E10value_typeEPSM_NS1_7vsmem_tEENKUlT_SK_SL_SM_E_clISD_PbSF_PiEESJ_SZ_SK_SL_SM_EUlSZ_E1_NS1_11comp_targetILNS1_3genE5ELNS1_11target_archE942ELNS1_3gpuE9ELNS1_3repE0EEENS1_36merge_oddeven_config_static_selectorELNS0_4arch9wavefront6targetE1EEEvSL_,"axG",@progbits,_ZN7rocprim17ROCPRIM_400000_NS6detail17trampoline_kernelINS0_14default_configENS1_38merge_sort_block_merge_config_selectorIbiEEZZNS1_27merge_sort_block_merge_implIS3_N6thrust23THRUST_200600_302600_NS6detail15normal_iteratorINS8_10device_ptrIbEEEENSA_INSB_IiEEEEjNS1_19radix_merge_compareILb0ELb0EbNS0_19identity_decomposerEEEEE10hipError_tT0_T1_T2_jT3_P12ihipStream_tbPNSt15iterator_traitsISK_E10value_typeEPNSQ_ISL_E10value_typeEPSM_NS1_7vsmem_tEENKUlT_SK_SL_SM_E_clISD_PbSF_PiEESJ_SZ_SK_SL_SM_EUlSZ_E1_NS1_11comp_targetILNS1_3genE5ELNS1_11target_archE942ELNS1_3gpuE9ELNS1_3repE0EEENS1_36merge_oddeven_config_static_selectorELNS0_4arch9wavefront6targetE1EEEvSL_,comdat
.Lfunc_end1951:
	.size	_ZN7rocprim17ROCPRIM_400000_NS6detail17trampoline_kernelINS0_14default_configENS1_38merge_sort_block_merge_config_selectorIbiEEZZNS1_27merge_sort_block_merge_implIS3_N6thrust23THRUST_200600_302600_NS6detail15normal_iteratorINS8_10device_ptrIbEEEENSA_INSB_IiEEEEjNS1_19radix_merge_compareILb0ELb0EbNS0_19identity_decomposerEEEEE10hipError_tT0_T1_T2_jT3_P12ihipStream_tbPNSt15iterator_traitsISK_E10value_typeEPNSQ_ISL_E10value_typeEPSM_NS1_7vsmem_tEENKUlT_SK_SL_SM_E_clISD_PbSF_PiEESJ_SZ_SK_SL_SM_EUlSZ_E1_NS1_11comp_targetILNS1_3genE5ELNS1_11target_archE942ELNS1_3gpuE9ELNS1_3repE0EEENS1_36merge_oddeven_config_static_selectorELNS0_4arch9wavefront6targetE1EEEvSL_, .Lfunc_end1951-_ZN7rocprim17ROCPRIM_400000_NS6detail17trampoline_kernelINS0_14default_configENS1_38merge_sort_block_merge_config_selectorIbiEEZZNS1_27merge_sort_block_merge_implIS3_N6thrust23THRUST_200600_302600_NS6detail15normal_iteratorINS8_10device_ptrIbEEEENSA_INSB_IiEEEEjNS1_19radix_merge_compareILb0ELb0EbNS0_19identity_decomposerEEEEE10hipError_tT0_T1_T2_jT3_P12ihipStream_tbPNSt15iterator_traitsISK_E10value_typeEPNSQ_ISL_E10value_typeEPSM_NS1_7vsmem_tEENKUlT_SK_SL_SM_E_clISD_PbSF_PiEESJ_SZ_SK_SL_SM_EUlSZ_E1_NS1_11comp_targetILNS1_3genE5ELNS1_11target_archE942ELNS1_3gpuE9ELNS1_3repE0EEENS1_36merge_oddeven_config_static_selectorELNS0_4arch9wavefront6targetE1EEEvSL_
                                        ; -- End function
	.set _ZN7rocprim17ROCPRIM_400000_NS6detail17trampoline_kernelINS0_14default_configENS1_38merge_sort_block_merge_config_selectorIbiEEZZNS1_27merge_sort_block_merge_implIS3_N6thrust23THRUST_200600_302600_NS6detail15normal_iteratorINS8_10device_ptrIbEEEENSA_INSB_IiEEEEjNS1_19radix_merge_compareILb0ELb0EbNS0_19identity_decomposerEEEEE10hipError_tT0_T1_T2_jT3_P12ihipStream_tbPNSt15iterator_traitsISK_E10value_typeEPNSQ_ISL_E10value_typeEPSM_NS1_7vsmem_tEENKUlT_SK_SL_SM_E_clISD_PbSF_PiEESJ_SZ_SK_SL_SM_EUlSZ_E1_NS1_11comp_targetILNS1_3genE5ELNS1_11target_archE942ELNS1_3gpuE9ELNS1_3repE0EEENS1_36merge_oddeven_config_static_selectorELNS0_4arch9wavefront6targetE1EEEvSL_.num_vgpr, 0
	.set _ZN7rocprim17ROCPRIM_400000_NS6detail17trampoline_kernelINS0_14default_configENS1_38merge_sort_block_merge_config_selectorIbiEEZZNS1_27merge_sort_block_merge_implIS3_N6thrust23THRUST_200600_302600_NS6detail15normal_iteratorINS8_10device_ptrIbEEEENSA_INSB_IiEEEEjNS1_19radix_merge_compareILb0ELb0EbNS0_19identity_decomposerEEEEE10hipError_tT0_T1_T2_jT3_P12ihipStream_tbPNSt15iterator_traitsISK_E10value_typeEPNSQ_ISL_E10value_typeEPSM_NS1_7vsmem_tEENKUlT_SK_SL_SM_E_clISD_PbSF_PiEESJ_SZ_SK_SL_SM_EUlSZ_E1_NS1_11comp_targetILNS1_3genE5ELNS1_11target_archE942ELNS1_3gpuE9ELNS1_3repE0EEENS1_36merge_oddeven_config_static_selectorELNS0_4arch9wavefront6targetE1EEEvSL_.num_agpr, 0
	.set _ZN7rocprim17ROCPRIM_400000_NS6detail17trampoline_kernelINS0_14default_configENS1_38merge_sort_block_merge_config_selectorIbiEEZZNS1_27merge_sort_block_merge_implIS3_N6thrust23THRUST_200600_302600_NS6detail15normal_iteratorINS8_10device_ptrIbEEEENSA_INSB_IiEEEEjNS1_19radix_merge_compareILb0ELb0EbNS0_19identity_decomposerEEEEE10hipError_tT0_T1_T2_jT3_P12ihipStream_tbPNSt15iterator_traitsISK_E10value_typeEPNSQ_ISL_E10value_typeEPSM_NS1_7vsmem_tEENKUlT_SK_SL_SM_E_clISD_PbSF_PiEESJ_SZ_SK_SL_SM_EUlSZ_E1_NS1_11comp_targetILNS1_3genE5ELNS1_11target_archE942ELNS1_3gpuE9ELNS1_3repE0EEENS1_36merge_oddeven_config_static_selectorELNS0_4arch9wavefront6targetE1EEEvSL_.numbered_sgpr, 0
	.set _ZN7rocprim17ROCPRIM_400000_NS6detail17trampoline_kernelINS0_14default_configENS1_38merge_sort_block_merge_config_selectorIbiEEZZNS1_27merge_sort_block_merge_implIS3_N6thrust23THRUST_200600_302600_NS6detail15normal_iteratorINS8_10device_ptrIbEEEENSA_INSB_IiEEEEjNS1_19radix_merge_compareILb0ELb0EbNS0_19identity_decomposerEEEEE10hipError_tT0_T1_T2_jT3_P12ihipStream_tbPNSt15iterator_traitsISK_E10value_typeEPNSQ_ISL_E10value_typeEPSM_NS1_7vsmem_tEENKUlT_SK_SL_SM_E_clISD_PbSF_PiEESJ_SZ_SK_SL_SM_EUlSZ_E1_NS1_11comp_targetILNS1_3genE5ELNS1_11target_archE942ELNS1_3gpuE9ELNS1_3repE0EEENS1_36merge_oddeven_config_static_selectorELNS0_4arch9wavefront6targetE1EEEvSL_.num_named_barrier, 0
	.set _ZN7rocprim17ROCPRIM_400000_NS6detail17trampoline_kernelINS0_14default_configENS1_38merge_sort_block_merge_config_selectorIbiEEZZNS1_27merge_sort_block_merge_implIS3_N6thrust23THRUST_200600_302600_NS6detail15normal_iteratorINS8_10device_ptrIbEEEENSA_INSB_IiEEEEjNS1_19radix_merge_compareILb0ELb0EbNS0_19identity_decomposerEEEEE10hipError_tT0_T1_T2_jT3_P12ihipStream_tbPNSt15iterator_traitsISK_E10value_typeEPNSQ_ISL_E10value_typeEPSM_NS1_7vsmem_tEENKUlT_SK_SL_SM_E_clISD_PbSF_PiEESJ_SZ_SK_SL_SM_EUlSZ_E1_NS1_11comp_targetILNS1_3genE5ELNS1_11target_archE942ELNS1_3gpuE9ELNS1_3repE0EEENS1_36merge_oddeven_config_static_selectorELNS0_4arch9wavefront6targetE1EEEvSL_.private_seg_size, 0
	.set _ZN7rocprim17ROCPRIM_400000_NS6detail17trampoline_kernelINS0_14default_configENS1_38merge_sort_block_merge_config_selectorIbiEEZZNS1_27merge_sort_block_merge_implIS3_N6thrust23THRUST_200600_302600_NS6detail15normal_iteratorINS8_10device_ptrIbEEEENSA_INSB_IiEEEEjNS1_19radix_merge_compareILb0ELb0EbNS0_19identity_decomposerEEEEE10hipError_tT0_T1_T2_jT3_P12ihipStream_tbPNSt15iterator_traitsISK_E10value_typeEPNSQ_ISL_E10value_typeEPSM_NS1_7vsmem_tEENKUlT_SK_SL_SM_E_clISD_PbSF_PiEESJ_SZ_SK_SL_SM_EUlSZ_E1_NS1_11comp_targetILNS1_3genE5ELNS1_11target_archE942ELNS1_3gpuE9ELNS1_3repE0EEENS1_36merge_oddeven_config_static_selectorELNS0_4arch9wavefront6targetE1EEEvSL_.uses_vcc, 0
	.set _ZN7rocprim17ROCPRIM_400000_NS6detail17trampoline_kernelINS0_14default_configENS1_38merge_sort_block_merge_config_selectorIbiEEZZNS1_27merge_sort_block_merge_implIS3_N6thrust23THRUST_200600_302600_NS6detail15normal_iteratorINS8_10device_ptrIbEEEENSA_INSB_IiEEEEjNS1_19radix_merge_compareILb0ELb0EbNS0_19identity_decomposerEEEEE10hipError_tT0_T1_T2_jT3_P12ihipStream_tbPNSt15iterator_traitsISK_E10value_typeEPNSQ_ISL_E10value_typeEPSM_NS1_7vsmem_tEENKUlT_SK_SL_SM_E_clISD_PbSF_PiEESJ_SZ_SK_SL_SM_EUlSZ_E1_NS1_11comp_targetILNS1_3genE5ELNS1_11target_archE942ELNS1_3gpuE9ELNS1_3repE0EEENS1_36merge_oddeven_config_static_selectorELNS0_4arch9wavefront6targetE1EEEvSL_.uses_flat_scratch, 0
	.set _ZN7rocprim17ROCPRIM_400000_NS6detail17trampoline_kernelINS0_14default_configENS1_38merge_sort_block_merge_config_selectorIbiEEZZNS1_27merge_sort_block_merge_implIS3_N6thrust23THRUST_200600_302600_NS6detail15normal_iteratorINS8_10device_ptrIbEEEENSA_INSB_IiEEEEjNS1_19radix_merge_compareILb0ELb0EbNS0_19identity_decomposerEEEEE10hipError_tT0_T1_T2_jT3_P12ihipStream_tbPNSt15iterator_traitsISK_E10value_typeEPNSQ_ISL_E10value_typeEPSM_NS1_7vsmem_tEENKUlT_SK_SL_SM_E_clISD_PbSF_PiEESJ_SZ_SK_SL_SM_EUlSZ_E1_NS1_11comp_targetILNS1_3genE5ELNS1_11target_archE942ELNS1_3gpuE9ELNS1_3repE0EEENS1_36merge_oddeven_config_static_selectorELNS0_4arch9wavefront6targetE1EEEvSL_.has_dyn_sized_stack, 0
	.set _ZN7rocprim17ROCPRIM_400000_NS6detail17trampoline_kernelINS0_14default_configENS1_38merge_sort_block_merge_config_selectorIbiEEZZNS1_27merge_sort_block_merge_implIS3_N6thrust23THRUST_200600_302600_NS6detail15normal_iteratorINS8_10device_ptrIbEEEENSA_INSB_IiEEEEjNS1_19radix_merge_compareILb0ELb0EbNS0_19identity_decomposerEEEEE10hipError_tT0_T1_T2_jT3_P12ihipStream_tbPNSt15iterator_traitsISK_E10value_typeEPNSQ_ISL_E10value_typeEPSM_NS1_7vsmem_tEENKUlT_SK_SL_SM_E_clISD_PbSF_PiEESJ_SZ_SK_SL_SM_EUlSZ_E1_NS1_11comp_targetILNS1_3genE5ELNS1_11target_archE942ELNS1_3gpuE9ELNS1_3repE0EEENS1_36merge_oddeven_config_static_selectorELNS0_4arch9wavefront6targetE1EEEvSL_.has_recursion, 0
	.set _ZN7rocprim17ROCPRIM_400000_NS6detail17trampoline_kernelINS0_14default_configENS1_38merge_sort_block_merge_config_selectorIbiEEZZNS1_27merge_sort_block_merge_implIS3_N6thrust23THRUST_200600_302600_NS6detail15normal_iteratorINS8_10device_ptrIbEEEENSA_INSB_IiEEEEjNS1_19radix_merge_compareILb0ELb0EbNS0_19identity_decomposerEEEEE10hipError_tT0_T1_T2_jT3_P12ihipStream_tbPNSt15iterator_traitsISK_E10value_typeEPNSQ_ISL_E10value_typeEPSM_NS1_7vsmem_tEENKUlT_SK_SL_SM_E_clISD_PbSF_PiEESJ_SZ_SK_SL_SM_EUlSZ_E1_NS1_11comp_targetILNS1_3genE5ELNS1_11target_archE942ELNS1_3gpuE9ELNS1_3repE0EEENS1_36merge_oddeven_config_static_selectorELNS0_4arch9wavefront6targetE1EEEvSL_.has_indirect_call, 0
	.section	.AMDGPU.csdata,"",@progbits
; Kernel info:
; codeLenInByte = 0
; TotalNumSgprs: 6
; NumVgprs: 0
; NumAgprs: 0
; TotalNumVgprs: 0
; ScratchSize: 0
; MemoryBound: 0
; FloatMode: 240
; IeeeMode: 1
; LDSByteSize: 0 bytes/workgroup (compile time only)
; SGPRBlocks: 0
; VGPRBlocks: 0
; NumSGPRsForWavesPerEU: 6
; NumVGPRsForWavesPerEU: 1
; AccumOffset: 4
; Occupancy: 8
; WaveLimiterHint : 0
; COMPUTE_PGM_RSRC2:SCRATCH_EN: 0
; COMPUTE_PGM_RSRC2:USER_SGPR: 2
; COMPUTE_PGM_RSRC2:TRAP_HANDLER: 0
; COMPUTE_PGM_RSRC2:TGID_X_EN: 1
; COMPUTE_PGM_RSRC2:TGID_Y_EN: 0
; COMPUTE_PGM_RSRC2:TGID_Z_EN: 0
; COMPUTE_PGM_RSRC2:TIDIG_COMP_CNT: 0
; COMPUTE_PGM_RSRC3_GFX90A:ACCUM_OFFSET: 0
; COMPUTE_PGM_RSRC3_GFX90A:TG_SPLIT: 0
	.section	.text._ZN7rocprim17ROCPRIM_400000_NS6detail17trampoline_kernelINS0_14default_configENS1_38merge_sort_block_merge_config_selectorIbiEEZZNS1_27merge_sort_block_merge_implIS3_N6thrust23THRUST_200600_302600_NS6detail15normal_iteratorINS8_10device_ptrIbEEEENSA_INSB_IiEEEEjNS1_19radix_merge_compareILb0ELb0EbNS0_19identity_decomposerEEEEE10hipError_tT0_T1_T2_jT3_P12ihipStream_tbPNSt15iterator_traitsISK_E10value_typeEPNSQ_ISL_E10value_typeEPSM_NS1_7vsmem_tEENKUlT_SK_SL_SM_E_clISD_PbSF_PiEESJ_SZ_SK_SL_SM_EUlSZ_E1_NS1_11comp_targetILNS1_3genE4ELNS1_11target_archE910ELNS1_3gpuE8ELNS1_3repE0EEENS1_36merge_oddeven_config_static_selectorELNS0_4arch9wavefront6targetE1EEEvSL_,"axG",@progbits,_ZN7rocprim17ROCPRIM_400000_NS6detail17trampoline_kernelINS0_14default_configENS1_38merge_sort_block_merge_config_selectorIbiEEZZNS1_27merge_sort_block_merge_implIS3_N6thrust23THRUST_200600_302600_NS6detail15normal_iteratorINS8_10device_ptrIbEEEENSA_INSB_IiEEEEjNS1_19radix_merge_compareILb0ELb0EbNS0_19identity_decomposerEEEEE10hipError_tT0_T1_T2_jT3_P12ihipStream_tbPNSt15iterator_traitsISK_E10value_typeEPNSQ_ISL_E10value_typeEPSM_NS1_7vsmem_tEENKUlT_SK_SL_SM_E_clISD_PbSF_PiEESJ_SZ_SK_SL_SM_EUlSZ_E1_NS1_11comp_targetILNS1_3genE4ELNS1_11target_archE910ELNS1_3gpuE8ELNS1_3repE0EEENS1_36merge_oddeven_config_static_selectorELNS0_4arch9wavefront6targetE1EEEvSL_,comdat
	.protected	_ZN7rocprim17ROCPRIM_400000_NS6detail17trampoline_kernelINS0_14default_configENS1_38merge_sort_block_merge_config_selectorIbiEEZZNS1_27merge_sort_block_merge_implIS3_N6thrust23THRUST_200600_302600_NS6detail15normal_iteratorINS8_10device_ptrIbEEEENSA_INSB_IiEEEEjNS1_19radix_merge_compareILb0ELb0EbNS0_19identity_decomposerEEEEE10hipError_tT0_T1_T2_jT3_P12ihipStream_tbPNSt15iterator_traitsISK_E10value_typeEPNSQ_ISL_E10value_typeEPSM_NS1_7vsmem_tEENKUlT_SK_SL_SM_E_clISD_PbSF_PiEESJ_SZ_SK_SL_SM_EUlSZ_E1_NS1_11comp_targetILNS1_3genE4ELNS1_11target_archE910ELNS1_3gpuE8ELNS1_3repE0EEENS1_36merge_oddeven_config_static_selectorELNS0_4arch9wavefront6targetE1EEEvSL_ ; -- Begin function _ZN7rocprim17ROCPRIM_400000_NS6detail17trampoline_kernelINS0_14default_configENS1_38merge_sort_block_merge_config_selectorIbiEEZZNS1_27merge_sort_block_merge_implIS3_N6thrust23THRUST_200600_302600_NS6detail15normal_iteratorINS8_10device_ptrIbEEEENSA_INSB_IiEEEEjNS1_19radix_merge_compareILb0ELb0EbNS0_19identity_decomposerEEEEE10hipError_tT0_T1_T2_jT3_P12ihipStream_tbPNSt15iterator_traitsISK_E10value_typeEPNSQ_ISL_E10value_typeEPSM_NS1_7vsmem_tEENKUlT_SK_SL_SM_E_clISD_PbSF_PiEESJ_SZ_SK_SL_SM_EUlSZ_E1_NS1_11comp_targetILNS1_3genE4ELNS1_11target_archE910ELNS1_3gpuE8ELNS1_3repE0EEENS1_36merge_oddeven_config_static_selectorELNS0_4arch9wavefront6targetE1EEEvSL_
	.globl	_ZN7rocprim17ROCPRIM_400000_NS6detail17trampoline_kernelINS0_14default_configENS1_38merge_sort_block_merge_config_selectorIbiEEZZNS1_27merge_sort_block_merge_implIS3_N6thrust23THRUST_200600_302600_NS6detail15normal_iteratorINS8_10device_ptrIbEEEENSA_INSB_IiEEEEjNS1_19radix_merge_compareILb0ELb0EbNS0_19identity_decomposerEEEEE10hipError_tT0_T1_T2_jT3_P12ihipStream_tbPNSt15iterator_traitsISK_E10value_typeEPNSQ_ISL_E10value_typeEPSM_NS1_7vsmem_tEENKUlT_SK_SL_SM_E_clISD_PbSF_PiEESJ_SZ_SK_SL_SM_EUlSZ_E1_NS1_11comp_targetILNS1_3genE4ELNS1_11target_archE910ELNS1_3gpuE8ELNS1_3repE0EEENS1_36merge_oddeven_config_static_selectorELNS0_4arch9wavefront6targetE1EEEvSL_
	.p2align	8
	.type	_ZN7rocprim17ROCPRIM_400000_NS6detail17trampoline_kernelINS0_14default_configENS1_38merge_sort_block_merge_config_selectorIbiEEZZNS1_27merge_sort_block_merge_implIS3_N6thrust23THRUST_200600_302600_NS6detail15normal_iteratorINS8_10device_ptrIbEEEENSA_INSB_IiEEEEjNS1_19radix_merge_compareILb0ELb0EbNS0_19identity_decomposerEEEEE10hipError_tT0_T1_T2_jT3_P12ihipStream_tbPNSt15iterator_traitsISK_E10value_typeEPNSQ_ISL_E10value_typeEPSM_NS1_7vsmem_tEENKUlT_SK_SL_SM_E_clISD_PbSF_PiEESJ_SZ_SK_SL_SM_EUlSZ_E1_NS1_11comp_targetILNS1_3genE4ELNS1_11target_archE910ELNS1_3gpuE8ELNS1_3repE0EEENS1_36merge_oddeven_config_static_selectorELNS0_4arch9wavefront6targetE1EEEvSL_,@function
_ZN7rocprim17ROCPRIM_400000_NS6detail17trampoline_kernelINS0_14default_configENS1_38merge_sort_block_merge_config_selectorIbiEEZZNS1_27merge_sort_block_merge_implIS3_N6thrust23THRUST_200600_302600_NS6detail15normal_iteratorINS8_10device_ptrIbEEEENSA_INSB_IiEEEEjNS1_19radix_merge_compareILb0ELb0EbNS0_19identity_decomposerEEEEE10hipError_tT0_T1_T2_jT3_P12ihipStream_tbPNSt15iterator_traitsISK_E10value_typeEPNSQ_ISL_E10value_typeEPSM_NS1_7vsmem_tEENKUlT_SK_SL_SM_E_clISD_PbSF_PiEESJ_SZ_SK_SL_SM_EUlSZ_E1_NS1_11comp_targetILNS1_3genE4ELNS1_11target_archE910ELNS1_3gpuE8ELNS1_3repE0EEENS1_36merge_oddeven_config_static_selectorELNS0_4arch9wavefront6targetE1EEEvSL_: ; @_ZN7rocprim17ROCPRIM_400000_NS6detail17trampoline_kernelINS0_14default_configENS1_38merge_sort_block_merge_config_selectorIbiEEZZNS1_27merge_sort_block_merge_implIS3_N6thrust23THRUST_200600_302600_NS6detail15normal_iteratorINS8_10device_ptrIbEEEENSA_INSB_IiEEEEjNS1_19radix_merge_compareILb0ELb0EbNS0_19identity_decomposerEEEEE10hipError_tT0_T1_T2_jT3_P12ihipStream_tbPNSt15iterator_traitsISK_E10value_typeEPNSQ_ISL_E10value_typeEPSM_NS1_7vsmem_tEENKUlT_SK_SL_SM_E_clISD_PbSF_PiEESJ_SZ_SK_SL_SM_EUlSZ_E1_NS1_11comp_targetILNS1_3genE4ELNS1_11target_archE910ELNS1_3gpuE8ELNS1_3repE0EEENS1_36merge_oddeven_config_static_selectorELNS0_4arch9wavefront6targetE1EEEvSL_
; %bb.0:
	.section	.rodata,"a",@progbits
	.p2align	6, 0x0
	.amdhsa_kernel _ZN7rocprim17ROCPRIM_400000_NS6detail17trampoline_kernelINS0_14default_configENS1_38merge_sort_block_merge_config_selectorIbiEEZZNS1_27merge_sort_block_merge_implIS3_N6thrust23THRUST_200600_302600_NS6detail15normal_iteratorINS8_10device_ptrIbEEEENSA_INSB_IiEEEEjNS1_19radix_merge_compareILb0ELb0EbNS0_19identity_decomposerEEEEE10hipError_tT0_T1_T2_jT3_P12ihipStream_tbPNSt15iterator_traitsISK_E10value_typeEPNSQ_ISL_E10value_typeEPSM_NS1_7vsmem_tEENKUlT_SK_SL_SM_E_clISD_PbSF_PiEESJ_SZ_SK_SL_SM_EUlSZ_E1_NS1_11comp_targetILNS1_3genE4ELNS1_11target_archE910ELNS1_3gpuE8ELNS1_3repE0EEENS1_36merge_oddeven_config_static_selectorELNS0_4arch9wavefront6targetE1EEEvSL_
		.amdhsa_group_segment_fixed_size 0
		.amdhsa_private_segment_fixed_size 0
		.amdhsa_kernarg_size 48
		.amdhsa_user_sgpr_count 2
		.amdhsa_user_sgpr_dispatch_ptr 0
		.amdhsa_user_sgpr_queue_ptr 0
		.amdhsa_user_sgpr_kernarg_segment_ptr 1
		.amdhsa_user_sgpr_dispatch_id 0
		.amdhsa_user_sgpr_kernarg_preload_length 0
		.amdhsa_user_sgpr_kernarg_preload_offset 0
		.amdhsa_user_sgpr_private_segment_size 0
		.amdhsa_uses_dynamic_stack 0
		.amdhsa_enable_private_segment 0
		.amdhsa_system_sgpr_workgroup_id_x 1
		.amdhsa_system_sgpr_workgroup_id_y 0
		.amdhsa_system_sgpr_workgroup_id_z 0
		.amdhsa_system_sgpr_workgroup_info 0
		.amdhsa_system_vgpr_workitem_id 0
		.amdhsa_next_free_vgpr 1
		.amdhsa_next_free_sgpr 0
		.amdhsa_accum_offset 4
		.amdhsa_reserve_vcc 0
		.amdhsa_float_round_mode_32 0
		.amdhsa_float_round_mode_16_64 0
		.amdhsa_float_denorm_mode_32 3
		.amdhsa_float_denorm_mode_16_64 3
		.amdhsa_dx10_clamp 1
		.amdhsa_ieee_mode 1
		.amdhsa_fp16_overflow 0
		.amdhsa_tg_split 0
		.amdhsa_exception_fp_ieee_invalid_op 0
		.amdhsa_exception_fp_denorm_src 0
		.amdhsa_exception_fp_ieee_div_zero 0
		.amdhsa_exception_fp_ieee_overflow 0
		.amdhsa_exception_fp_ieee_underflow 0
		.amdhsa_exception_fp_ieee_inexact 0
		.amdhsa_exception_int_div_zero 0
	.end_amdhsa_kernel
	.section	.text._ZN7rocprim17ROCPRIM_400000_NS6detail17trampoline_kernelINS0_14default_configENS1_38merge_sort_block_merge_config_selectorIbiEEZZNS1_27merge_sort_block_merge_implIS3_N6thrust23THRUST_200600_302600_NS6detail15normal_iteratorINS8_10device_ptrIbEEEENSA_INSB_IiEEEEjNS1_19radix_merge_compareILb0ELb0EbNS0_19identity_decomposerEEEEE10hipError_tT0_T1_T2_jT3_P12ihipStream_tbPNSt15iterator_traitsISK_E10value_typeEPNSQ_ISL_E10value_typeEPSM_NS1_7vsmem_tEENKUlT_SK_SL_SM_E_clISD_PbSF_PiEESJ_SZ_SK_SL_SM_EUlSZ_E1_NS1_11comp_targetILNS1_3genE4ELNS1_11target_archE910ELNS1_3gpuE8ELNS1_3repE0EEENS1_36merge_oddeven_config_static_selectorELNS0_4arch9wavefront6targetE1EEEvSL_,"axG",@progbits,_ZN7rocprim17ROCPRIM_400000_NS6detail17trampoline_kernelINS0_14default_configENS1_38merge_sort_block_merge_config_selectorIbiEEZZNS1_27merge_sort_block_merge_implIS3_N6thrust23THRUST_200600_302600_NS6detail15normal_iteratorINS8_10device_ptrIbEEEENSA_INSB_IiEEEEjNS1_19radix_merge_compareILb0ELb0EbNS0_19identity_decomposerEEEEE10hipError_tT0_T1_T2_jT3_P12ihipStream_tbPNSt15iterator_traitsISK_E10value_typeEPNSQ_ISL_E10value_typeEPSM_NS1_7vsmem_tEENKUlT_SK_SL_SM_E_clISD_PbSF_PiEESJ_SZ_SK_SL_SM_EUlSZ_E1_NS1_11comp_targetILNS1_3genE4ELNS1_11target_archE910ELNS1_3gpuE8ELNS1_3repE0EEENS1_36merge_oddeven_config_static_selectorELNS0_4arch9wavefront6targetE1EEEvSL_,comdat
.Lfunc_end1952:
	.size	_ZN7rocprim17ROCPRIM_400000_NS6detail17trampoline_kernelINS0_14default_configENS1_38merge_sort_block_merge_config_selectorIbiEEZZNS1_27merge_sort_block_merge_implIS3_N6thrust23THRUST_200600_302600_NS6detail15normal_iteratorINS8_10device_ptrIbEEEENSA_INSB_IiEEEEjNS1_19radix_merge_compareILb0ELb0EbNS0_19identity_decomposerEEEEE10hipError_tT0_T1_T2_jT3_P12ihipStream_tbPNSt15iterator_traitsISK_E10value_typeEPNSQ_ISL_E10value_typeEPSM_NS1_7vsmem_tEENKUlT_SK_SL_SM_E_clISD_PbSF_PiEESJ_SZ_SK_SL_SM_EUlSZ_E1_NS1_11comp_targetILNS1_3genE4ELNS1_11target_archE910ELNS1_3gpuE8ELNS1_3repE0EEENS1_36merge_oddeven_config_static_selectorELNS0_4arch9wavefront6targetE1EEEvSL_, .Lfunc_end1952-_ZN7rocprim17ROCPRIM_400000_NS6detail17trampoline_kernelINS0_14default_configENS1_38merge_sort_block_merge_config_selectorIbiEEZZNS1_27merge_sort_block_merge_implIS3_N6thrust23THRUST_200600_302600_NS6detail15normal_iteratorINS8_10device_ptrIbEEEENSA_INSB_IiEEEEjNS1_19radix_merge_compareILb0ELb0EbNS0_19identity_decomposerEEEEE10hipError_tT0_T1_T2_jT3_P12ihipStream_tbPNSt15iterator_traitsISK_E10value_typeEPNSQ_ISL_E10value_typeEPSM_NS1_7vsmem_tEENKUlT_SK_SL_SM_E_clISD_PbSF_PiEESJ_SZ_SK_SL_SM_EUlSZ_E1_NS1_11comp_targetILNS1_3genE4ELNS1_11target_archE910ELNS1_3gpuE8ELNS1_3repE0EEENS1_36merge_oddeven_config_static_selectorELNS0_4arch9wavefront6targetE1EEEvSL_
                                        ; -- End function
	.set _ZN7rocprim17ROCPRIM_400000_NS6detail17trampoline_kernelINS0_14default_configENS1_38merge_sort_block_merge_config_selectorIbiEEZZNS1_27merge_sort_block_merge_implIS3_N6thrust23THRUST_200600_302600_NS6detail15normal_iteratorINS8_10device_ptrIbEEEENSA_INSB_IiEEEEjNS1_19radix_merge_compareILb0ELb0EbNS0_19identity_decomposerEEEEE10hipError_tT0_T1_T2_jT3_P12ihipStream_tbPNSt15iterator_traitsISK_E10value_typeEPNSQ_ISL_E10value_typeEPSM_NS1_7vsmem_tEENKUlT_SK_SL_SM_E_clISD_PbSF_PiEESJ_SZ_SK_SL_SM_EUlSZ_E1_NS1_11comp_targetILNS1_3genE4ELNS1_11target_archE910ELNS1_3gpuE8ELNS1_3repE0EEENS1_36merge_oddeven_config_static_selectorELNS0_4arch9wavefront6targetE1EEEvSL_.num_vgpr, 0
	.set _ZN7rocprim17ROCPRIM_400000_NS6detail17trampoline_kernelINS0_14default_configENS1_38merge_sort_block_merge_config_selectorIbiEEZZNS1_27merge_sort_block_merge_implIS3_N6thrust23THRUST_200600_302600_NS6detail15normal_iteratorINS8_10device_ptrIbEEEENSA_INSB_IiEEEEjNS1_19radix_merge_compareILb0ELb0EbNS0_19identity_decomposerEEEEE10hipError_tT0_T1_T2_jT3_P12ihipStream_tbPNSt15iterator_traitsISK_E10value_typeEPNSQ_ISL_E10value_typeEPSM_NS1_7vsmem_tEENKUlT_SK_SL_SM_E_clISD_PbSF_PiEESJ_SZ_SK_SL_SM_EUlSZ_E1_NS1_11comp_targetILNS1_3genE4ELNS1_11target_archE910ELNS1_3gpuE8ELNS1_3repE0EEENS1_36merge_oddeven_config_static_selectorELNS0_4arch9wavefront6targetE1EEEvSL_.num_agpr, 0
	.set _ZN7rocprim17ROCPRIM_400000_NS6detail17trampoline_kernelINS0_14default_configENS1_38merge_sort_block_merge_config_selectorIbiEEZZNS1_27merge_sort_block_merge_implIS3_N6thrust23THRUST_200600_302600_NS6detail15normal_iteratorINS8_10device_ptrIbEEEENSA_INSB_IiEEEEjNS1_19radix_merge_compareILb0ELb0EbNS0_19identity_decomposerEEEEE10hipError_tT0_T1_T2_jT3_P12ihipStream_tbPNSt15iterator_traitsISK_E10value_typeEPNSQ_ISL_E10value_typeEPSM_NS1_7vsmem_tEENKUlT_SK_SL_SM_E_clISD_PbSF_PiEESJ_SZ_SK_SL_SM_EUlSZ_E1_NS1_11comp_targetILNS1_3genE4ELNS1_11target_archE910ELNS1_3gpuE8ELNS1_3repE0EEENS1_36merge_oddeven_config_static_selectorELNS0_4arch9wavefront6targetE1EEEvSL_.numbered_sgpr, 0
	.set _ZN7rocprim17ROCPRIM_400000_NS6detail17trampoline_kernelINS0_14default_configENS1_38merge_sort_block_merge_config_selectorIbiEEZZNS1_27merge_sort_block_merge_implIS3_N6thrust23THRUST_200600_302600_NS6detail15normal_iteratorINS8_10device_ptrIbEEEENSA_INSB_IiEEEEjNS1_19radix_merge_compareILb0ELb0EbNS0_19identity_decomposerEEEEE10hipError_tT0_T1_T2_jT3_P12ihipStream_tbPNSt15iterator_traitsISK_E10value_typeEPNSQ_ISL_E10value_typeEPSM_NS1_7vsmem_tEENKUlT_SK_SL_SM_E_clISD_PbSF_PiEESJ_SZ_SK_SL_SM_EUlSZ_E1_NS1_11comp_targetILNS1_3genE4ELNS1_11target_archE910ELNS1_3gpuE8ELNS1_3repE0EEENS1_36merge_oddeven_config_static_selectorELNS0_4arch9wavefront6targetE1EEEvSL_.num_named_barrier, 0
	.set _ZN7rocprim17ROCPRIM_400000_NS6detail17trampoline_kernelINS0_14default_configENS1_38merge_sort_block_merge_config_selectorIbiEEZZNS1_27merge_sort_block_merge_implIS3_N6thrust23THRUST_200600_302600_NS6detail15normal_iteratorINS8_10device_ptrIbEEEENSA_INSB_IiEEEEjNS1_19radix_merge_compareILb0ELb0EbNS0_19identity_decomposerEEEEE10hipError_tT0_T1_T2_jT3_P12ihipStream_tbPNSt15iterator_traitsISK_E10value_typeEPNSQ_ISL_E10value_typeEPSM_NS1_7vsmem_tEENKUlT_SK_SL_SM_E_clISD_PbSF_PiEESJ_SZ_SK_SL_SM_EUlSZ_E1_NS1_11comp_targetILNS1_3genE4ELNS1_11target_archE910ELNS1_3gpuE8ELNS1_3repE0EEENS1_36merge_oddeven_config_static_selectorELNS0_4arch9wavefront6targetE1EEEvSL_.private_seg_size, 0
	.set _ZN7rocprim17ROCPRIM_400000_NS6detail17trampoline_kernelINS0_14default_configENS1_38merge_sort_block_merge_config_selectorIbiEEZZNS1_27merge_sort_block_merge_implIS3_N6thrust23THRUST_200600_302600_NS6detail15normal_iteratorINS8_10device_ptrIbEEEENSA_INSB_IiEEEEjNS1_19radix_merge_compareILb0ELb0EbNS0_19identity_decomposerEEEEE10hipError_tT0_T1_T2_jT3_P12ihipStream_tbPNSt15iterator_traitsISK_E10value_typeEPNSQ_ISL_E10value_typeEPSM_NS1_7vsmem_tEENKUlT_SK_SL_SM_E_clISD_PbSF_PiEESJ_SZ_SK_SL_SM_EUlSZ_E1_NS1_11comp_targetILNS1_3genE4ELNS1_11target_archE910ELNS1_3gpuE8ELNS1_3repE0EEENS1_36merge_oddeven_config_static_selectorELNS0_4arch9wavefront6targetE1EEEvSL_.uses_vcc, 0
	.set _ZN7rocprim17ROCPRIM_400000_NS6detail17trampoline_kernelINS0_14default_configENS1_38merge_sort_block_merge_config_selectorIbiEEZZNS1_27merge_sort_block_merge_implIS3_N6thrust23THRUST_200600_302600_NS6detail15normal_iteratorINS8_10device_ptrIbEEEENSA_INSB_IiEEEEjNS1_19radix_merge_compareILb0ELb0EbNS0_19identity_decomposerEEEEE10hipError_tT0_T1_T2_jT3_P12ihipStream_tbPNSt15iterator_traitsISK_E10value_typeEPNSQ_ISL_E10value_typeEPSM_NS1_7vsmem_tEENKUlT_SK_SL_SM_E_clISD_PbSF_PiEESJ_SZ_SK_SL_SM_EUlSZ_E1_NS1_11comp_targetILNS1_3genE4ELNS1_11target_archE910ELNS1_3gpuE8ELNS1_3repE0EEENS1_36merge_oddeven_config_static_selectorELNS0_4arch9wavefront6targetE1EEEvSL_.uses_flat_scratch, 0
	.set _ZN7rocprim17ROCPRIM_400000_NS6detail17trampoline_kernelINS0_14default_configENS1_38merge_sort_block_merge_config_selectorIbiEEZZNS1_27merge_sort_block_merge_implIS3_N6thrust23THRUST_200600_302600_NS6detail15normal_iteratorINS8_10device_ptrIbEEEENSA_INSB_IiEEEEjNS1_19radix_merge_compareILb0ELb0EbNS0_19identity_decomposerEEEEE10hipError_tT0_T1_T2_jT3_P12ihipStream_tbPNSt15iterator_traitsISK_E10value_typeEPNSQ_ISL_E10value_typeEPSM_NS1_7vsmem_tEENKUlT_SK_SL_SM_E_clISD_PbSF_PiEESJ_SZ_SK_SL_SM_EUlSZ_E1_NS1_11comp_targetILNS1_3genE4ELNS1_11target_archE910ELNS1_3gpuE8ELNS1_3repE0EEENS1_36merge_oddeven_config_static_selectorELNS0_4arch9wavefront6targetE1EEEvSL_.has_dyn_sized_stack, 0
	.set _ZN7rocprim17ROCPRIM_400000_NS6detail17trampoline_kernelINS0_14default_configENS1_38merge_sort_block_merge_config_selectorIbiEEZZNS1_27merge_sort_block_merge_implIS3_N6thrust23THRUST_200600_302600_NS6detail15normal_iteratorINS8_10device_ptrIbEEEENSA_INSB_IiEEEEjNS1_19radix_merge_compareILb0ELb0EbNS0_19identity_decomposerEEEEE10hipError_tT0_T1_T2_jT3_P12ihipStream_tbPNSt15iterator_traitsISK_E10value_typeEPNSQ_ISL_E10value_typeEPSM_NS1_7vsmem_tEENKUlT_SK_SL_SM_E_clISD_PbSF_PiEESJ_SZ_SK_SL_SM_EUlSZ_E1_NS1_11comp_targetILNS1_3genE4ELNS1_11target_archE910ELNS1_3gpuE8ELNS1_3repE0EEENS1_36merge_oddeven_config_static_selectorELNS0_4arch9wavefront6targetE1EEEvSL_.has_recursion, 0
	.set _ZN7rocprim17ROCPRIM_400000_NS6detail17trampoline_kernelINS0_14default_configENS1_38merge_sort_block_merge_config_selectorIbiEEZZNS1_27merge_sort_block_merge_implIS3_N6thrust23THRUST_200600_302600_NS6detail15normal_iteratorINS8_10device_ptrIbEEEENSA_INSB_IiEEEEjNS1_19radix_merge_compareILb0ELb0EbNS0_19identity_decomposerEEEEE10hipError_tT0_T1_T2_jT3_P12ihipStream_tbPNSt15iterator_traitsISK_E10value_typeEPNSQ_ISL_E10value_typeEPSM_NS1_7vsmem_tEENKUlT_SK_SL_SM_E_clISD_PbSF_PiEESJ_SZ_SK_SL_SM_EUlSZ_E1_NS1_11comp_targetILNS1_3genE4ELNS1_11target_archE910ELNS1_3gpuE8ELNS1_3repE0EEENS1_36merge_oddeven_config_static_selectorELNS0_4arch9wavefront6targetE1EEEvSL_.has_indirect_call, 0
	.section	.AMDGPU.csdata,"",@progbits
; Kernel info:
; codeLenInByte = 0
; TotalNumSgprs: 6
; NumVgprs: 0
; NumAgprs: 0
; TotalNumVgprs: 0
; ScratchSize: 0
; MemoryBound: 0
; FloatMode: 240
; IeeeMode: 1
; LDSByteSize: 0 bytes/workgroup (compile time only)
; SGPRBlocks: 0
; VGPRBlocks: 0
; NumSGPRsForWavesPerEU: 6
; NumVGPRsForWavesPerEU: 1
; AccumOffset: 4
; Occupancy: 8
; WaveLimiterHint : 0
; COMPUTE_PGM_RSRC2:SCRATCH_EN: 0
; COMPUTE_PGM_RSRC2:USER_SGPR: 2
; COMPUTE_PGM_RSRC2:TRAP_HANDLER: 0
; COMPUTE_PGM_RSRC2:TGID_X_EN: 1
; COMPUTE_PGM_RSRC2:TGID_Y_EN: 0
; COMPUTE_PGM_RSRC2:TGID_Z_EN: 0
; COMPUTE_PGM_RSRC2:TIDIG_COMP_CNT: 0
; COMPUTE_PGM_RSRC3_GFX90A:ACCUM_OFFSET: 0
; COMPUTE_PGM_RSRC3_GFX90A:TG_SPLIT: 0
	.section	.text._ZN7rocprim17ROCPRIM_400000_NS6detail17trampoline_kernelINS0_14default_configENS1_38merge_sort_block_merge_config_selectorIbiEEZZNS1_27merge_sort_block_merge_implIS3_N6thrust23THRUST_200600_302600_NS6detail15normal_iteratorINS8_10device_ptrIbEEEENSA_INSB_IiEEEEjNS1_19radix_merge_compareILb0ELb0EbNS0_19identity_decomposerEEEEE10hipError_tT0_T1_T2_jT3_P12ihipStream_tbPNSt15iterator_traitsISK_E10value_typeEPNSQ_ISL_E10value_typeEPSM_NS1_7vsmem_tEENKUlT_SK_SL_SM_E_clISD_PbSF_PiEESJ_SZ_SK_SL_SM_EUlSZ_E1_NS1_11comp_targetILNS1_3genE3ELNS1_11target_archE908ELNS1_3gpuE7ELNS1_3repE0EEENS1_36merge_oddeven_config_static_selectorELNS0_4arch9wavefront6targetE1EEEvSL_,"axG",@progbits,_ZN7rocprim17ROCPRIM_400000_NS6detail17trampoline_kernelINS0_14default_configENS1_38merge_sort_block_merge_config_selectorIbiEEZZNS1_27merge_sort_block_merge_implIS3_N6thrust23THRUST_200600_302600_NS6detail15normal_iteratorINS8_10device_ptrIbEEEENSA_INSB_IiEEEEjNS1_19radix_merge_compareILb0ELb0EbNS0_19identity_decomposerEEEEE10hipError_tT0_T1_T2_jT3_P12ihipStream_tbPNSt15iterator_traitsISK_E10value_typeEPNSQ_ISL_E10value_typeEPSM_NS1_7vsmem_tEENKUlT_SK_SL_SM_E_clISD_PbSF_PiEESJ_SZ_SK_SL_SM_EUlSZ_E1_NS1_11comp_targetILNS1_3genE3ELNS1_11target_archE908ELNS1_3gpuE7ELNS1_3repE0EEENS1_36merge_oddeven_config_static_selectorELNS0_4arch9wavefront6targetE1EEEvSL_,comdat
	.protected	_ZN7rocprim17ROCPRIM_400000_NS6detail17trampoline_kernelINS0_14default_configENS1_38merge_sort_block_merge_config_selectorIbiEEZZNS1_27merge_sort_block_merge_implIS3_N6thrust23THRUST_200600_302600_NS6detail15normal_iteratorINS8_10device_ptrIbEEEENSA_INSB_IiEEEEjNS1_19radix_merge_compareILb0ELb0EbNS0_19identity_decomposerEEEEE10hipError_tT0_T1_T2_jT3_P12ihipStream_tbPNSt15iterator_traitsISK_E10value_typeEPNSQ_ISL_E10value_typeEPSM_NS1_7vsmem_tEENKUlT_SK_SL_SM_E_clISD_PbSF_PiEESJ_SZ_SK_SL_SM_EUlSZ_E1_NS1_11comp_targetILNS1_3genE3ELNS1_11target_archE908ELNS1_3gpuE7ELNS1_3repE0EEENS1_36merge_oddeven_config_static_selectorELNS0_4arch9wavefront6targetE1EEEvSL_ ; -- Begin function _ZN7rocprim17ROCPRIM_400000_NS6detail17trampoline_kernelINS0_14default_configENS1_38merge_sort_block_merge_config_selectorIbiEEZZNS1_27merge_sort_block_merge_implIS3_N6thrust23THRUST_200600_302600_NS6detail15normal_iteratorINS8_10device_ptrIbEEEENSA_INSB_IiEEEEjNS1_19radix_merge_compareILb0ELb0EbNS0_19identity_decomposerEEEEE10hipError_tT0_T1_T2_jT3_P12ihipStream_tbPNSt15iterator_traitsISK_E10value_typeEPNSQ_ISL_E10value_typeEPSM_NS1_7vsmem_tEENKUlT_SK_SL_SM_E_clISD_PbSF_PiEESJ_SZ_SK_SL_SM_EUlSZ_E1_NS1_11comp_targetILNS1_3genE3ELNS1_11target_archE908ELNS1_3gpuE7ELNS1_3repE0EEENS1_36merge_oddeven_config_static_selectorELNS0_4arch9wavefront6targetE1EEEvSL_
	.globl	_ZN7rocprim17ROCPRIM_400000_NS6detail17trampoline_kernelINS0_14default_configENS1_38merge_sort_block_merge_config_selectorIbiEEZZNS1_27merge_sort_block_merge_implIS3_N6thrust23THRUST_200600_302600_NS6detail15normal_iteratorINS8_10device_ptrIbEEEENSA_INSB_IiEEEEjNS1_19radix_merge_compareILb0ELb0EbNS0_19identity_decomposerEEEEE10hipError_tT0_T1_T2_jT3_P12ihipStream_tbPNSt15iterator_traitsISK_E10value_typeEPNSQ_ISL_E10value_typeEPSM_NS1_7vsmem_tEENKUlT_SK_SL_SM_E_clISD_PbSF_PiEESJ_SZ_SK_SL_SM_EUlSZ_E1_NS1_11comp_targetILNS1_3genE3ELNS1_11target_archE908ELNS1_3gpuE7ELNS1_3repE0EEENS1_36merge_oddeven_config_static_selectorELNS0_4arch9wavefront6targetE1EEEvSL_
	.p2align	8
	.type	_ZN7rocprim17ROCPRIM_400000_NS6detail17trampoline_kernelINS0_14default_configENS1_38merge_sort_block_merge_config_selectorIbiEEZZNS1_27merge_sort_block_merge_implIS3_N6thrust23THRUST_200600_302600_NS6detail15normal_iteratorINS8_10device_ptrIbEEEENSA_INSB_IiEEEEjNS1_19radix_merge_compareILb0ELb0EbNS0_19identity_decomposerEEEEE10hipError_tT0_T1_T2_jT3_P12ihipStream_tbPNSt15iterator_traitsISK_E10value_typeEPNSQ_ISL_E10value_typeEPSM_NS1_7vsmem_tEENKUlT_SK_SL_SM_E_clISD_PbSF_PiEESJ_SZ_SK_SL_SM_EUlSZ_E1_NS1_11comp_targetILNS1_3genE3ELNS1_11target_archE908ELNS1_3gpuE7ELNS1_3repE0EEENS1_36merge_oddeven_config_static_selectorELNS0_4arch9wavefront6targetE1EEEvSL_,@function
_ZN7rocprim17ROCPRIM_400000_NS6detail17trampoline_kernelINS0_14default_configENS1_38merge_sort_block_merge_config_selectorIbiEEZZNS1_27merge_sort_block_merge_implIS3_N6thrust23THRUST_200600_302600_NS6detail15normal_iteratorINS8_10device_ptrIbEEEENSA_INSB_IiEEEEjNS1_19radix_merge_compareILb0ELb0EbNS0_19identity_decomposerEEEEE10hipError_tT0_T1_T2_jT3_P12ihipStream_tbPNSt15iterator_traitsISK_E10value_typeEPNSQ_ISL_E10value_typeEPSM_NS1_7vsmem_tEENKUlT_SK_SL_SM_E_clISD_PbSF_PiEESJ_SZ_SK_SL_SM_EUlSZ_E1_NS1_11comp_targetILNS1_3genE3ELNS1_11target_archE908ELNS1_3gpuE7ELNS1_3repE0EEENS1_36merge_oddeven_config_static_selectorELNS0_4arch9wavefront6targetE1EEEvSL_: ; @_ZN7rocprim17ROCPRIM_400000_NS6detail17trampoline_kernelINS0_14default_configENS1_38merge_sort_block_merge_config_selectorIbiEEZZNS1_27merge_sort_block_merge_implIS3_N6thrust23THRUST_200600_302600_NS6detail15normal_iteratorINS8_10device_ptrIbEEEENSA_INSB_IiEEEEjNS1_19radix_merge_compareILb0ELb0EbNS0_19identity_decomposerEEEEE10hipError_tT0_T1_T2_jT3_P12ihipStream_tbPNSt15iterator_traitsISK_E10value_typeEPNSQ_ISL_E10value_typeEPSM_NS1_7vsmem_tEENKUlT_SK_SL_SM_E_clISD_PbSF_PiEESJ_SZ_SK_SL_SM_EUlSZ_E1_NS1_11comp_targetILNS1_3genE3ELNS1_11target_archE908ELNS1_3gpuE7ELNS1_3repE0EEENS1_36merge_oddeven_config_static_selectorELNS0_4arch9wavefront6targetE1EEEvSL_
; %bb.0:
	.section	.rodata,"a",@progbits
	.p2align	6, 0x0
	.amdhsa_kernel _ZN7rocprim17ROCPRIM_400000_NS6detail17trampoline_kernelINS0_14default_configENS1_38merge_sort_block_merge_config_selectorIbiEEZZNS1_27merge_sort_block_merge_implIS3_N6thrust23THRUST_200600_302600_NS6detail15normal_iteratorINS8_10device_ptrIbEEEENSA_INSB_IiEEEEjNS1_19radix_merge_compareILb0ELb0EbNS0_19identity_decomposerEEEEE10hipError_tT0_T1_T2_jT3_P12ihipStream_tbPNSt15iterator_traitsISK_E10value_typeEPNSQ_ISL_E10value_typeEPSM_NS1_7vsmem_tEENKUlT_SK_SL_SM_E_clISD_PbSF_PiEESJ_SZ_SK_SL_SM_EUlSZ_E1_NS1_11comp_targetILNS1_3genE3ELNS1_11target_archE908ELNS1_3gpuE7ELNS1_3repE0EEENS1_36merge_oddeven_config_static_selectorELNS0_4arch9wavefront6targetE1EEEvSL_
		.amdhsa_group_segment_fixed_size 0
		.amdhsa_private_segment_fixed_size 0
		.amdhsa_kernarg_size 48
		.amdhsa_user_sgpr_count 2
		.amdhsa_user_sgpr_dispatch_ptr 0
		.amdhsa_user_sgpr_queue_ptr 0
		.amdhsa_user_sgpr_kernarg_segment_ptr 1
		.amdhsa_user_sgpr_dispatch_id 0
		.amdhsa_user_sgpr_kernarg_preload_length 0
		.amdhsa_user_sgpr_kernarg_preload_offset 0
		.amdhsa_user_sgpr_private_segment_size 0
		.amdhsa_uses_dynamic_stack 0
		.amdhsa_enable_private_segment 0
		.amdhsa_system_sgpr_workgroup_id_x 1
		.amdhsa_system_sgpr_workgroup_id_y 0
		.amdhsa_system_sgpr_workgroup_id_z 0
		.amdhsa_system_sgpr_workgroup_info 0
		.amdhsa_system_vgpr_workitem_id 0
		.amdhsa_next_free_vgpr 1
		.amdhsa_next_free_sgpr 0
		.amdhsa_accum_offset 4
		.amdhsa_reserve_vcc 0
		.amdhsa_float_round_mode_32 0
		.amdhsa_float_round_mode_16_64 0
		.amdhsa_float_denorm_mode_32 3
		.amdhsa_float_denorm_mode_16_64 3
		.amdhsa_dx10_clamp 1
		.amdhsa_ieee_mode 1
		.amdhsa_fp16_overflow 0
		.amdhsa_tg_split 0
		.amdhsa_exception_fp_ieee_invalid_op 0
		.amdhsa_exception_fp_denorm_src 0
		.amdhsa_exception_fp_ieee_div_zero 0
		.amdhsa_exception_fp_ieee_overflow 0
		.amdhsa_exception_fp_ieee_underflow 0
		.amdhsa_exception_fp_ieee_inexact 0
		.amdhsa_exception_int_div_zero 0
	.end_amdhsa_kernel
	.section	.text._ZN7rocprim17ROCPRIM_400000_NS6detail17trampoline_kernelINS0_14default_configENS1_38merge_sort_block_merge_config_selectorIbiEEZZNS1_27merge_sort_block_merge_implIS3_N6thrust23THRUST_200600_302600_NS6detail15normal_iteratorINS8_10device_ptrIbEEEENSA_INSB_IiEEEEjNS1_19radix_merge_compareILb0ELb0EbNS0_19identity_decomposerEEEEE10hipError_tT0_T1_T2_jT3_P12ihipStream_tbPNSt15iterator_traitsISK_E10value_typeEPNSQ_ISL_E10value_typeEPSM_NS1_7vsmem_tEENKUlT_SK_SL_SM_E_clISD_PbSF_PiEESJ_SZ_SK_SL_SM_EUlSZ_E1_NS1_11comp_targetILNS1_3genE3ELNS1_11target_archE908ELNS1_3gpuE7ELNS1_3repE0EEENS1_36merge_oddeven_config_static_selectorELNS0_4arch9wavefront6targetE1EEEvSL_,"axG",@progbits,_ZN7rocprim17ROCPRIM_400000_NS6detail17trampoline_kernelINS0_14default_configENS1_38merge_sort_block_merge_config_selectorIbiEEZZNS1_27merge_sort_block_merge_implIS3_N6thrust23THRUST_200600_302600_NS6detail15normal_iteratorINS8_10device_ptrIbEEEENSA_INSB_IiEEEEjNS1_19radix_merge_compareILb0ELb0EbNS0_19identity_decomposerEEEEE10hipError_tT0_T1_T2_jT3_P12ihipStream_tbPNSt15iterator_traitsISK_E10value_typeEPNSQ_ISL_E10value_typeEPSM_NS1_7vsmem_tEENKUlT_SK_SL_SM_E_clISD_PbSF_PiEESJ_SZ_SK_SL_SM_EUlSZ_E1_NS1_11comp_targetILNS1_3genE3ELNS1_11target_archE908ELNS1_3gpuE7ELNS1_3repE0EEENS1_36merge_oddeven_config_static_selectorELNS0_4arch9wavefront6targetE1EEEvSL_,comdat
.Lfunc_end1953:
	.size	_ZN7rocprim17ROCPRIM_400000_NS6detail17trampoline_kernelINS0_14default_configENS1_38merge_sort_block_merge_config_selectorIbiEEZZNS1_27merge_sort_block_merge_implIS3_N6thrust23THRUST_200600_302600_NS6detail15normal_iteratorINS8_10device_ptrIbEEEENSA_INSB_IiEEEEjNS1_19radix_merge_compareILb0ELb0EbNS0_19identity_decomposerEEEEE10hipError_tT0_T1_T2_jT3_P12ihipStream_tbPNSt15iterator_traitsISK_E10value_typeEPNSQ_ISL_E10value_typeEPSM_NS1_7vsmem_tEENKUlT_SK_SL_SM_E_clISD_PbSF_PiEESJ_SZ_SK_SL_SM_EUlSZ_E1_NS1_11comp_targetILNS1_3genE3ELNS1_11target_archE908ELNS1_3gpuE7ELNS1_3repE0EEENS1_36merge_oddeven_config_static_selectorELNS0_4arch9wavefront6targetE1EEEvSL_, .Lfunc_end1953-_ZN7rocprim17ROCPRIM_400000_NS6detail17trampoline_kernelINS0_14default_configENS1_38merge_sort_block_merge_config_selectorIbiEEZZNS1_27merge_sort_block_merge_implIS3_N6thrust23THRUST_200600_302600_NS6detail15normal_iteratorINS8_10device_ptrIbEEEENSA_INSB_IiEEEEjNS1_19radix_merge_compareILb0ELb0EbNS0_19identity_decomposerEEEEE10hipError_tT0_T1_T2_jT3_P12ihipStream_tbPNSt15iterator_traitsISK_E10value_typeEPNSQ_ISL_E10value_typeEPSM_NS1_7vsmem_tEENKUlT_SK_SL_SM_E_clISD_PbSF_PiEESJ_SZ_SK_SL_SM_EUlSZ_E1_NS1_11comp_targetILNS1_3genE3ELNS1_11target_archE908ELNS1_3gpuE7ELNS1_3repE0EEENS1_36merge_oddeven_config_static_selectorELNS0_4arch9wavefront6targetE1EEEvSL_
                                        ; -- End function
	.set _ZN7rocprim17ROCPRIM_400000_NS6detail17trampoline_kernelINS0_14default_configENS1_38merge_sort_block_merge_config_selectorIbiEEZZNS1_27merge_sort_block_merge_implIS3_N6thrust23THRUST_200600_302600_NS6detail15normal_iteratorINS8_10device_ptrIbEEEENSA_INSB_IiEEEEjNS1_19radix_merge_compareILb0ELb0EbNS0_19identity_decomposerEEEEE10hipError_tT0_T1_T2_jT3_P12ihipStream_tbPNSt15iterator_traitsISK_E10value_typeEPNSQ_ISL_E10value_typeEPSM_NS1_7vsmem_tEENKUlT_SK_SL_SM_E_clISD_PbSF_PiEESJ_SZ_SK_SL_SM_EUlSZ_E1_NS1_11comp_targetILNS1_3genE3ELNS1_11target_archE908ELNS1_3gpuE7ELNS1_3repE0EEENS1_36merge_oddeven_config_static_selectorELNS0_4arch9wavefront6targetE1EEEvSL_.num_vgpr, 0
	.set _ZN7rocprim17ROCPRIM_400000_NS6detail17trampoline_kernelINS0_14default_configENS1_38merge_sort_block_merge_config_selectorIbiEEZZNS1_27merge_sort_block_merge_implIS3_N6thrust23THRUST_200600_302600_NS6detail15normal_iteratorINS8_10device_ptrIbEEEENSA_INSB_IiEEEEjNS1_19radix_merge_compareILb0ELb0EbNS0_19identity_decomposerEEEEE10hipError_tT0_T1_T2_jT3_P12ihipStream_tbPNSt15iterator_traitsISK_E10value_typeEPNSQ_ISL_E10value_typeEPSM_NS1_7vsmem_tEENKUlT_SK_SL_SM_E_clISD_PbSF_PiEESJ_SZ_SK_SL_SM_EUlSZ_E1_NS1_11comp_targetILNS1_3genE3ELNS1_11target_archE908ELNS1_3gpuE7ELNS1_3repE0EEENS1_36merge_oddeven_config_static_selectorELNS0_4arch9wavefront6targetE1EEEvSL_.num_agpr, 0
	.set _ZN7rocprim17ROCPRIM_400000_NS6detail17trampoline_kernelINS0_14default_configENS1_38merge_sort_block_merge_config_selectorIbiEEZZNS1_27merge_sort_block_merge_implIS3_N6thrust23THRUST_200600_302600_NS6detail15normal_iteratorINS8_10device_ptrIbEEEENSA_INSB_IiEEEEjNS1_19radix_merge_compareILb0ELb0EbNS0_19identity_decomposerEEEEE10hipError_tT0_T1_T2_jT3_P12ihipStream_tbPNSt15iterator_traitsISK_E10value_typeEPNSQ_ISL_E10value_typeEPSM_NS1_7vsmem_tEENKUlT_SK_SL_SM_E_clISD_PbSF_PiEESJ_SZ_SK_SL_SM_EUlSZ_E1_NS1_11comp_targetILNS1_3genE3ELNS1_11target_archE908ELNS1_3gpuE7ELNS1_3repE0EEENS1_36merge_oddeven_config_static_selectorELNS0_4arch9wavefront6targetE1EEEvSL_.numbered_sgpr, 0
	.set _ZN7rocprim17ROCPRIM_400000_NS6detail17trampoline_kernelINS0_14default_configENS1_38merge_sort_block_merge_config_selectorIbiEEZZNS1_27merge_sort_block_merge_implIS3_N6thrust23THRUST_200600_302600_NS6detail15normal_iteratorINS8_10device_ptrIbEEEENSA_INSB_IiEEEEjNS1_19radix_merge_compareILb0ELb0EbNS0_19identity_decomposerEEEEE10hipError_tT0_T1_T2_jT3_P12ihipStream_tbPNSt15iterator_traitsISK_E10value_typeEPNSQ_ISL_E10value_typeEPSM_NS1_7vsmem_tEENKUlT_SK_SL_SM_E_clISD_PbSF_PiEESJ_SZ_SK_SL_SM_EUlSZ_E1_NS1_11comp_targetILNS1_3genE3ELNS1_11target_archE908ELNS1_3gpuE7ELNS1_3repE0EEENS1_36merge_oddeven_config_static_selectorELNS0_4arch9wavefront6targetE1EEEvSL_.num_named_barrier, 0
	.set _ZN7rocprim17ROCPRIM_400000_NS6detail17trampoline_kernelINS0_14default_configENS1_38merge_sort_block_merge_config_selectorIbiEEZZNS1_27merge_sort_block_merge_implIS3_N6thrust23THRUST_200600_302600_NS6detail15normal_iteratorINS8_10device_ptrIbEEEENSA_INSB_IiEEEEjNS1_19radix_merge_compareILb0ELb0EbNS0_19identity_decomposerEEEEE10hipError_tT0_T1_T2_jT3_P12ihipStream_tbPNSt15iterator_traitsISK_E10value_typeEPNSQ_ISL_E10value_typeEPSM_NS1_7vsmem_tEENKUlT_SK_SL_SM_E_clISD_PbSF_PiEESJ_SZ_SK_SL_SM_EUlSZ_E1_NS1_11comp_targetILNS1_3genE3ELNS1_11target_archE908ELNS1_3gpuE7ELNS1_3repE0EEENS1_36merge_oddeven_config_static_selectorELNS0_4arch9wavefront6targetE1EEEvSL_.private_seg_size, 0
	.set _ZN7rocprim17ROCPRIM_400000_NS6detail17trampoline_kernelINS0_14default_configENS1_38merge_sort_block_merge_config_selectorIbiEEZZNS1_27merge_sort_block_merge_implIS3_N6thrust23THRUST_200600_302600_NS6detail15normal_iteratorINS8_10device_ptrIbEEEENSA_INSB_IiEEEEjNS1_19radix_merge_compareILb0ELb0EbNS0_19identity_decomposerEEEEE10hipError_tT0_T1_T2_jT3_P12ihipStream_tbPNSt15iterator_traitsISK_E10value_typeEPNSQ_ISL_E10value_typeEPSM_NS1_7vsmem_tEENKUlT_SK_SL_SM_E_clISD_PbSF_PiEESJ_SZ_SK_SL_SM_EUlSZ_E1_NS1_11comp_targetILNS1_3genE3ELNS1_11target_archE908ELNS1_3gpuE7ELNS1_3repE0EEENS1_36merge_oddeven_config_static_selectorELNS0_4arch9wavefront6targetE1EEEvSL_.uses_vcc, 0
	.set _ZN7rocprim17ROCPRIM_400000_NS6detail17trampoline_kernelINS0_14default_configENS1_38merge_sort_block_merge_config_selectorIbiEEZZNS1_27merge_sort_block_merge_implIS3_N6thrust23THRUST_200600_302600_NS6detail15normal_iteratorINS8_10device_ptrIbEEEENSA_INSB_IiEEEEjNS1_19radix_merge_compareILb0ELb0EbNS0_19identity_decomposerEEEEE10hipError_tT0_T1_T2_jT3_P12ihipStream_tbPNSt15iterator_traitsISK_E10value_typeEPNSQ_ISL_E10value_typeEPSM_NS1_7vsmem_tEENKUlT_SK_SL_SM_E_clISD_PbSF_PiEESJ_SZ_SK_SL_SM_EUlSZ_E1_NS1_11comp_targetILNS1_3genE3ELNS1_11target_archE908ELNS1_3gpuE7ELNS1_3repE0EEENS1_36merge_oddeven_config_static_selectorELNS0_4arch9wavefront6targetE1EEEvSL_.uses_flat_scratch, 0
	.set _ZN7rocprim17ROCPRIM_400000_NS6detail17trampoline_kernelINS0_14default_configENS1_38merge_sort_block_merge_config_selectorIbiEEZZNS1_27merge_sort_block_merge_implIS3_N6thrust23THRUST_200600_302600_NS6detail15normal_iteratorINS8_10device_ptrIbEEEENSA_INSB_IiEEEEjNS1_19radix_merge_compareILb0ELb0EbNS0_19identity_decomposerEEEEE10hipError_tT0_T1_T2_jT3_P12ihipStream_tbPNSt15iterator_traitsISK_E10value_typeEPNSQ_ISL_E10value_typeEPSM_NS1_7vsmem_tEENKUlT_SK_SL_SM_E_clISD_PbSF_PiEESJ_SZ_SK_SL_SM_EUlSZ_E1_NS1_11comp_targetILNS1_3genE3ELNS1_11target_archE908ELNS1_3gpuE7ELNS1_3repE0EEENS1_36merge_oddeven_config_static_selectorELNS0_4arch9wavefront6targetE1EEEvSL_.has_dyn_sized_stack, 0
	.set _ZN7rocprim17ROCPRIM_400000_NS6detail17trampoline_kernelINS0_14default_configENS1_38merge_sort_block_merge_config_selectorIbiEEZZNS1_27merge_sort_block_merge_implIS3_N6thrust23THRUST_200600_302600_NS6detail15normal_iteratorINS8_10device_ptrIbEEEENSA_INSB_IiEEEEjNS1_19radix_merge_compareILb0ELb0EbNS0_19identity_decomposerEEEEE10hipError_tT0_T1_T2_jT3_P12ihipStream_tbPNSt15iterator_traitsISK_E10value_typeEPNSQ_ISL_E10value_typeEPSM_NS1_7vsmem_tEENKUlT_SK_SL_SM_E_clISD_PbSF_PiEESJ_SZ_SK_SL_SM_EUlSZ_E1_NS1_11comp_targetILNS1_3genE3ELNS1_11target_archE908ELNS1_3gpuE7ELNS1_3repE0EEENS1_36merge_oddeven_config_static_selectorELNS0_4arch9wavefront6targetE1EEEvSL_.has_recursion, 0
	.set _ZN7rocprim17ROCPRIM_400000_NS6detail17trampoline_kernelINS0_14default_configENS1_38merge_sort_block_merge_config_selectorIbiEEZZNS1_27merge_sort_block_merge_implIS3_N6thrust23THRUST_200600_302600_NS6detail15normal_iteratorINS8_10device_ptrIbEEEENSA_INSB_IiEEEEjNS1_19radix_merge_compareILb0ELb0EbNS0_19identity_decomposerEEEEE10hipError_tT0_T1_T2_jT3_P12ihipStream_tbPNSt15iterator_traitsISK_E10value_typeEPNSQ_ISL_E10value_typeEPSM_NS1_7vsmem_tEENKUlT_SK_SL_SM_E_clISD_PbSF_PiEESJ_SZ_SK_SL_SM_EUlSZ_E1_NS1_11comp_targetILNS1_3genE3ELNS1_11target_archE908ELNS1_3gpuE7ELNS1_3repE0EEENS1_36merge_oddeven_config_static_selectorELNS0_4arch9wavefront6targetE1EEEvSL_.has_indirect_call, 0
	.section	.AMDGPU.csdata,"",@progbits
; Kernel info:
; codeLenInByte = 0
; TotalNumSgprs: 6
; NumVgprs: 0
; NumAgprs: 0
; TotalNumVgprs: 0
; ScratchSize: 0
; MemoryBound: 0
; FloatMode: 240
; IeeeMode: 1
; LDSByteSize: 0 bytes/workgroup (compile time only)
; SGPRBlocks: 0
; VGPRBlocks: 0
; NumSGPRsForWavesPerEU: 6
; NumVGPRsForWavesPerEU: 1
; AccumOffset: 4
; Occupancy: 8
; WaveLimiterHint : 0
; COMPUTE_PGM_RSRC2:SCRATCH_EN: 0
; COMPUTE_PGM_RSRC2:USER_SGPR: 2
; COMPUTE_PGM_RSRC2:TRAP_HANDLER: 0
; COMPUTE_PGM_RSRC2:TGID_X_EN: 1
; COMPUTE_PGM_RSRC2:TGID_Y_EN: 0
; COMPUTE_PGM_RSRC2:TGID_Z_EN: 0
; COMPUTE_PGM_RSRC2:TIDIG_COMP_CNT: 0
; COMPUTE_PGM_RSRC3_GFX90A:ACCUM_OFFSET: 0
; COMPUTE_PGM_RSRC3_GFX90A:TG_SPLIT: 0
	.section	.text._ZN7rocprim17ROCPRIM_400000_NS6detail17trampoline_kernelINS0_14default_configENS1_38merge_sort_block_merge_config_selectorIbiEEZZNS1_27merge_sort_block_merge_implIS3_N6thrust23THRUST_200600_302600_NS6detail15normal_iteratorINS8_10device_ptrIbEEEENSA_INSB_IiEEEEjNS1_19radix_merge_compareILb0ELb0EbNS0_19identity_decomposerEEEEE10hipError_tT0_T1_T2_jT3_P12ihipStream_tbPNSt15iterator_traitsISK_E10value_typeEPNSQ_ISL_E10value_typeEPSM_NS1_7vsmem_tEENKUlT_SK_SL_SM_E_clISD_PbSF_PiEESJ_SZ_SK_SL_SM_EUlSZ_E1_NS1_11comp_targetILNS1_3genE2ELNS1_11target_archE906ELNS1_3gpuE6ELNS1_3repE0EEENS1_36merge_oddeven_config_static_selectorELNS0_4arch9wavefront6targetE1EEEvSL_,"axG",@progbits,_ZN7rocprim17ROCPRIM_400000_NS6detail17trampoline_kernelINS0_14default_configENS1_38merge_sort_block_merge_config_selectorIbiEEZZNS1_27merge_sort_block_merge_implIS3_N6thrust23THRUST_200600_302600_NS6detail15normal_iteratorINS8_10device_ptrIbEEEENSA_INSB_IiEEEEjNS1_19radix_merge_compareILb0ELb0EbNS0_19identity_decomposerEEEEE10hipError_tT0_T1_T2_jT3_P12ihipStream_tbPNSt15iterator_traitsISK_E10value_typeEPNSQ_ISL_E10value_typeEPSM_NS1_7vsmem_tEENKUlT_SK_SL_SM_E_clISD_PbSF_PiEESJ_SZ_SK_SL_SM_EUlSZ_E1_NS1_11comp_targetILNS1_3genE2ELNS1_11target_archE906ELNS1_3gpuE6ELNS1_3repE0EEENS1_36merge_oddeven_config_static_selectorELNS0_4arch9wavefront6targetE1EEEvSL_,comdat
	.protected	_ZN7rocprim17ROCPRIM_400000_NS6detail17trampoline_kernelINS0_14default_configENS1_38merge_sort_block_merge_config_selectorIbiEEZZNS1_27merge_sort_block_merge_implIS3_N6thrust23THRUST_200600_302600_NS6detail15normal_iteratorINS8_10device_ptrIbEEEENSA_INSB_IiEEEEjNS1_19radix_merge_compareILb0ELb0EbNS0_19identity_decomposerEEEEE10hipError_tT0_T1_T2_jT3_P12ihipStream_tbPNSt15iterator_traitsISK_E10value_typeEPNSQ_ISL_E10value_typeEPSM_NS1_7vsmem_tEENKUlT_SK_SL_SM_E_clISD_PbSF_PiEESJ_SZ_SK_SL_SM_EUlSZ_E1_NS1_11comp_targetILNS1_3genE2ELNS1_11target_archE906ELNS1_3gpuE6ELNS1_3repE0EEENS1_36merge_oddeven_config_static_selectorELNS0_4arch9wavefront6targetE1EEEvSL_ ; -- Begin function _ZN7rocprim17ROCPRIM_400000_NS6detail17trampoline_kernelINS0_14default_configENS1_38merge_sort_block_merge_config_selectorIbiEEZZNS1_27merge_sort_block_merge_implIS3_N6thrust23THRUST_200600_302600_NS6detail15normal_iteratorINS8_10device_ptrIbEEEENSA_INSB_IiEEEEjNS1_19radix_merge_compareILb0ELb0EbNS0_19identity_decomposerEEEEE10hipError_tT0_T1_T2_jT3_P12ihipStream_tbPNSt15iterator_traitsISK_E10value_typeEPNSQ_ISL_E10value_typeEPSM_NS1_7vsmem_tEENKUlT_SK_SL_SM_E_clISD_PbSF_PiEESJ_SZ_SK_SL_SM_EUlSZ_E1_NS1_11comp_targetILNS1_3genE2ELNS1_11target_archE906ELNS1_3gpuE6ELNS1_3repE0EEENS1_36merge_oddeven_config_static_selectorELNS0_4arch9wavefront6targetE1EEEvSL_
	.globl	_ZN7rocprim17ROCPRIM_400000_NS6detail17trampoline_kernelINS0_14default_configENS1_38merge_sort_block_merge_config_selectorIbiEEZZNS1_27merge_sort_block_merge_implIS3_N6thrust23THRUST_200600_302600_NS6detail15normal_iteratorINS8_10device_ptrIbEEEENSA_INSB_IiEEEEjNS1_19radix_merge_compareILb0ELb0EbNS0_19identity_decomposerEEEEE10hipError_tT0_T1_T2_jT3_P12ihipStream_tbPNSt15iterator_traitsISK_E10value_typeEPNSQ_ISL_E10value_typeEPSM_NS1_7vsmem_tEENKUlT_SK_SL_SM_E_clISD_PbSF_PiEESJ_SZ_SK_SL_SM_EUlSZ_E1_NS1_11comp_targetILNS1_3genE2ELNS1_11target_archE906ELNS1_3gpuE6ELNS1_3repE0EEENS1_36merge_oddeven_config_static_selectorELNS0_4arch9wavefront6targetE1EEEvSL_
	.p2align	8
	.type	_ZN7rocprim17ROCPRIM_400000_NS6detail17trampoline_kernelINS0_14default_configENS1_38merge_sort_block_merge_config_selectorIbiEEZZNS1_27merge_sort_block_merge_implIS3_N6thrust23THRUST_200600_302600_NS6detail15normal_iteratorINS8_10device_ptrIbEEEENSA_INSB_IiEEEEjNS1_19radix_merge_compareILb0ELb0EbNS0_19identity_decomposerEEEEE10hipError_tT0_T1_T2_jT3_P12ihipStream_tbPNSt15iterator_traitsISK_E10value_typeEPNSQ_ISL_E10value_typeEPSM_NS1_7vsmem_tEENKUlT_SK_SL_SM_E_clISD_PbSF_PiEESJ_SZ_SK_SL_SM_EUlSZ_E1_NS1_11comp_targetILNS1_3genE2ELNS1_11target_archE906ELNS1_3gpuE6ELNS1_3repE0EEENS1_36merge_oddeven_config_static_selectorELNS0_4arch9wavefront6targetE1EEEvSL_,@function
_ZN7rocprim17ROCPRIM_400000_NS6detail17trampoline_kernelINS0_14default_configENS1_38merge_sort_block_merge_config_selectorIbiEEZZNS1_27merge_sort_block_merge_implIS3_N6thrust23THRUST_200600_302600_NS6detail15normal_iteratorINS8_10device_ptrIbEEEENSA_INSB_IiEEEEjNS1_19radix_merge_compareILb0ELb0EbNS0_19identity_decomposerEEEEE10hipError_tT0_T1_T2_jT3_P12ihipStream_tbPNSt15iterator_traitsISK_E10value_typeEPNSQ_ISL_E10value_typeEPSM_NS1_7vsmem_tEENKUlT_SK_SL_SM_E_clISD_PbSF_PiEESJ_SZ_SK_SL_SM_EUlSZ_E1_NS1_11comp_targetILNS1_3genE2ELNS1_11target_archE906ELNS1_3gpuE6ELNS1_3repE0EEENS1_36merge_oddeven_config_static_selectorELNS0_4arch9wavefront6targetE1EEEvSL_: ; @_ZN7rocprim17ROCPRIM_400000_NS6detail17trampoline_kernelINS0_14default_configENS1_38merge_sort_block_merge_config_selectorIbiEEZZNS1_27merge_sort_block_merge_implIS3_N6thrust23THRUST_200600_302600_NS6detail15normal_iteratorINS8_10device_ptrIbEEEENSA_INSB_IiEEEEjNS1_19radix_merge_compareILb0ELb0EbNS0_19identity_decomposerEEEEE10hipError_tT0_T1_T2_jT3_P12ihipStream_tbPNSt15iterator_traitsISK_E10value_typeEPNSQ_ISL_E10value_typeEPSM_NS1_7vsmem_tEENKUlT_SK_SL_SM_E_clISD_PbSF_PiEESJ_SZ_SK_SL_SM_EUlSZ_E1_NS1_11comp_targetILNS1_3genE2ELNS1_11target_archE906ELNS1_3gpuE6ELNS1_3repE0EEENS1_36merge_oddeven_config_static_selectorELNS0_4arch9wavefront6targetE1EEEvSL_
; %bb.0:
	.section	.rodata,"a",@progbits
	.p2align	6, 0x0
	.amdhsa_kernel _ZN7rocprim17ROCPRIM_400000_NS6detail17trampoline_kernelINS0_14default_configENS1_38merge_sort_block_merge_config_selectorIbiEEZZNS1_27merge_sort_block_merge_implIS3_N6thrust23THRUST_200600_302600_NS6detail15normal_iteratorINS8_10device_ptrIbEEEENSA_INSB_IiEEEEjNS1_19radix_merge_compareILb0ELb0EbNS0_19identity_decomposerEEEEE10hipError_tT0_T1_T2_jT3_P12ihipStream_tbPNSt15iterator_traitsISK_E10value_typeEPNSQ_ISL_E10value_typeEPSM_NS1_7vsmem_tEENKUlT_SK_SL_SM_E_clISD_PbSF_PiEESJ_SZ_SK_SL_SM_EUlSZ_E1_NS1_11comp_targetILNS1_3genE2ELNS1_11target_archE906ELNS1_3gpuE6ELNS1_3repE0EEENS1_36merge_oddeven_config_static_selectorELNS0_4arch9wavefront6targetE1EEEvSL_
		.amdhsa_group_segment_fixed_size 0
		.amdhsa_private_segment_fixed_size 0
		.amdhsa_kernarg_size 48
		.amdhsa_user_sgpr_count 2
		.amdhsa_user_sgpr_dispatch_ptr 0
		.amdhsa_user_sgpr_queue_ptr 0
		.amdhsa_user_sgpr_kernarg_segment_ptr 1
		.amdhsa_user_sgpr_dispatch_id 0
		.amdhsa_user_sgpr_kernarg_preload_length 0
		.amdhsa_user_sgpr_kernarg_preload_offset 0
		.amdhsa_user_sgpr_private_segment_size 0
		.amdhsa_uses_dynamic_stack 0
		.amdhsa_enable_private_segment 0
		.amdhsa_system_sgpr_workgroup_id_x 1
		.amdhsa_system_sgpr_workgroup_id_y 0
		.amdhsa_system_sgpr_workgroup_id_z 0
		.amdhsa_system_sgpr_workgroup_info 0
		.amdhsa_system_vgpr_workitem_id 0
		.amdhsa_next_free_vgpr 1
		.amdhsa_next_free_sgpr 0
		.amdhsa_accum_offset 4
		.amdhsa_reserve_vcc 0
		.amdhsa_float_round_mode_32 0
		.amdhsa_float_round_mode_16_64 0
		.amdhsa_float_denorm_mode_32 3
		.amdhsa_float_denorm_mode_16_64 3
		.amdhsa_dx10_clamp 1
		.amdhsa_ieee_mode 1
		.amdhsa_fp16_overflow 0
		.amdhsa_tg_split 0
		.amdhsa_exception_fp_ieee_invalid_op 0
		.amdhsa_exception_fp_denorm_src 0
		.amdhsa_exception_fp_ieee_div_zero 0
		.amdhsa_exception_fp_ieee_overflow 0
		.amdhsa_exception_fp_ieee_underflow 0
		.amdhsa_exception_fp_ieee_inexact 0
		.amdhsa_exception_int_div_zero 0
	.end_amdhsa_kernel
	.section	.text._ZN7rocprim17ROCPRIM_400000_NS6detail17trampoline_kernelINS0_14default_configENS1_38merge_sort_block_merge_config_selectorIbiEEZZNS1_27merge_sort_block_merge_implIS3_N6thrust23THRUST_200600_302600_NS6detail15normal_iteratorINS8_10device_ptrIbEEEENSA_INSB_IiEEEEjNS1_19radix_merge_compareILb0ELb0EbNS0_19identity_decomposerEEEEE10hipError_tT0_T1_T2_jT3_P12ihipStream_tbPNSt15iterator_traitsISK_E10value_typeEPNSQ_ISL_E10value_typeEPSM_NS1_7vsmem_tEENKUlT_SK_SL_SM_E_clISD_PbSF_PiEESJ_SZ_SK_SL_SM_EUlSZ_E1_NS1_11comp_targetILNS1_3genE2ELNS1_11target_archE906ELNS1_3gpuE6ELNS1_3repE0EEENS1_36merge_oddeven_config_static_selectorELNS0_4arch9wavefront6targetE1EEEvSL_,"axG",@progbits,_ZN7rocprim17ROCPRIM_400000_NS6detail17trampoline_kernelINS0_14default_configENS1_38merge_sort_block_merge_config_selectorIbiEEZZNS1_27merge_sort_block_merge_implIS3_N6thrust23THRUST_200600_302600_NS6detail15normal_iteratorINS8_10device_ptrIbEEEENSA_INSB_IiEEEEjNS1_19radix_merge_compareILb0ELb0EbNS0_19identity_decomposerEEEEE10hipError_tT0_T1_T2_jT3_P12ihipStream_tbPNSt15iterator_traitsISK_E10value_typeEPNSQ_ISL_E10value_typeEPSM_NS1_7vsmem_tEENKUlT_SK_SL_SM_E_clISD_PbSF_PiEESJ_SZ_SK_SL_SM_EUlSZ_E1_NS1_11comp_targetILNS1_3genE2ELNS1_11target_archE906ELNS1_3gpuE6ELNS1_3repE0EEENS1_36merge_oddeven_config_static_selectorELNS0_4arch9wavefront6targetE1EEEvSL_,comdat
.Lfunc_end1954:
	.size	_ZN7rocprim17ROCPRIM_400000_NS6detail17trampoline_kernelINS0_14default_configENS1_38merge_sort_block_merge_config_selectorIbiEEZZNS1_27merge_sort_block_merge_implIS3_N6thrust23THRUST_200600_302600_NS6detail15normal_iteratorINS8_10device_ptrIbEEEENSA_INSB_IiEEEEjNS1_19radix_merge_compareILb0ELb0EbNS0_19identity_decomposerEEEEE10hipError_tT0_T1_T2_jT3_P12ihipStream_tbPNSt15iterator_traitsISK_E10value_typeEPNSQ_ISL_E10value_typeEPSM_NS1_7vsmem_tEENKUlT_SK_SL_SM_E_clISD_PbSF_PiEESJ_SZ_SK_SL_SM_EUlSZ_E1_NS1_11comp_targetILNS1_3genE2ELNS1_11target_archE906ELNS1_3gpuE6ELNS1_3repE0EEENS1_36merge_oddeven_config_static_selectorELNS0_4arch9wavefront6targetE1EEEvSL_, .Lfunc_end1954-_ZN7rocprim17ROCPRIM_400000_NS6detail17trampoline_kernelINS0_14default_configENS1_38merge_sort_block_merge_config_selectorIbiEEZZNS1_27merge_sort_block_merge_implIS3_N6thrust23THRUST_200600_302600_NS6detail15normal_iteratorINS8_10device_ptrIbEEEENSA_INSB_IiEEEEjNS1_19radix_merge_compareILb0ELb0EbNS0_19identity_decomposerEEEEE10hipError_tT0_T1_T2_jT3_P12ihipStream_tbPNSt15iterator_traitsISK_E10value_typeEPNSQ_ISL_E10value_typeEPSM_NS1_7vsmem_tEENKUlT_SK_SL_SM_E_clISD_PbSF_PiEESJ_SZ_SK_SL_SM_EUlSZ_E1_NS1_11comp_targetILNS1_3genE2ELNS1_11target_archE906ELNS1_3gpuE6ELNS1_3repE0EEENS1_36merge_oddeven_config_static_selectorELNS0_4arch9wavefront6targetE1EEEvSL_
                                        ; -- End function
	.set _ZN7rocprim17ROCPRIM_400000_NS6detail17trampoline_kernelINS0_14default_configENS1_38merge_sort_block_merge_config_selectorIbiEEZZNS1_27merge_sort_block_merge_implIS3_N6thrust23THRUST_200600_302600_NS6detail15normal_iteratorINS8_10device_ptrIbEEEENSA_INSB_IiEEEEjNS1_19radix_merge_compareILb0ELb0EbNS0_19identity_decomposerEEEEE10hipError_tT0_T1_T2_jT3_P12ihipStream_tbPNSt15iterator_traitsISK_E10value_typeEPNSQ_ISL_E10value_typeEPSM_NS1_7vsmem_tEENKUlT_SK_SL_SM_E_clISD_PbSF_PiEESJ_SZ_SK_SL_SM_EUlSZ_E1_NS1_11comp_targetILNS1_3genE2ELNS1_11target_archE906ELNS1_3gpuE6ELNS1_3repE0EEENS1_36merge_oddeven_config_static_selectorELNS0_4arch9wavefront6targetE1EEEvSL_.num_vgpr, 0
	.set _ZN7rocprim17ROCPRIM_400000_NS6detail17trampoline_kernelINS0_14default_configENS1_38merge_sort_block_merge_config_selectorIbiEEZZNS1_27merge_sort_block_merge_implIS3_N6thrust23THRUST_200600_302600_NS6detail15normal_iteratorINS8_10device_ptrIbEEEENSA_INSB_IiEEEEjNS1_19radix_merge_compareILb0ELb0EbNS0_19identity_decomposerEEEEE10hipError_tT0_T1_T2_jT3_P12ihipStream_tbPNSt15iterator_traitsISK_E10value_typeEPNSQ_ISL_E10value_typeEPSM_NS1_7vsmem_tEENKUlT_SK_SL_SM_E_clISD_PbSF_PiEESJ_SZ_SK_SL_SM_EUlSZ_E1_NS1_11comp_targetILNS1_3genE2ELNS1_11target_archE906ELNS1_3gpuE6ELNS1_3repE0EEENS1_36merge_oddeven_config_static_selectorELNS0_4arch9wavefront6targetE1EEEvSL_.num_agpr, 0
	.set _ZN7rocprim17ROCPRIM_400000_NS6detail17trampoline_kernelINS0_14default_configENS1_38merge_sort_block_merge_config_selectorIbiEEZZNS1_27merge_sort_block_merge_implIS3_N6thrust23THRUST_200600_302600_NS6detail15normal_iteratorINS8_10device_ptrIbEEEENSA_INSB_IiEEEEjNS1_19radix_merge_compareILb0ELb0EbNS0_19identity_decomposerEEEEE10hipError_tT0_T1_T2_jT3_P12ihipStream_tbPNSt15iterator_traitsISK_E10value_typeEPNSQ_ISL_E10value_typeEPSM_NS1_7vsmem_tEENKUlT_SK_SL_SM_E_clISD_PbSF_PiEESJ_SZ_SK_SL_SM_EUlSZ_E1_NS1_11comp_targetILNS1_3genE2ELNS1_11target_archE906ELNS1_3gpuE6ELNS1_3repE0EEENS1_36merge_oddeven_config_static_selectorELNS0_4arch9wavefront6targetE1EEEvSL_.numbered_sgpr, 0
	.set _ZN7rocprim17ROCPRIM_400000_NS6detail17trampoline_kernelINS0_14default_configENS1_38merge_sort_block_merge_config_selectorIbiEEZZNS1_27merge_sort_block_merge_implIS3_N6thrust23THRUST_200600_302600_NS6detail15normal_iteratorINS8_10device_ptrIbEEEENSA_INSB_IiEEEEjNS1_19radix_merge_compareILb0ELb0EbNS0_19identity_decomposerEEEEE10hipError_tT0_T1_T2_jT3_P12ihipStream_tbPNSt15iterator_traitsISK_E10value_typeEPNSQ_ISL_E10value_typeEPSM_NS1_7vsmem_tEENKUlT_SK_SL_SM_E_clISD_PbSF_PiEESJ_SZ_SK_SL_SM_EUlSZ_E1_NS1_11comp_targetILNS1_3genE2ELNS1_11target_archE906ELNS1_3gpuE6ELNS1_3repE0EEENS1_36merge_oddeven_config_static_selectorELNS0_4arch9wavefront6targetE1EEEvSL_.num_named_barrier, 0
	.set _ZN7rocprim17ROCPRIM_400000_NS6detail17trampoline_kernelINS0_14default_configENS1_38merge_sort_block_merge_config_selectorIbiEEZZNS1_27merge_sort_block_merge_implIS3_N6thrust23THRUST_200600_302600_NS6detail15normal_iteratorINS8_10device_ptrIbEEEENSA_INSB_IiEEEEjNS1_19radix_merge_compareILb0ELb0EbNS0_19identity_decomposerEEEEE10hipError_tT0_T1_T2_jT3_P12ihipStream_tbPNSt15iterator_traitsISK_E10value_typeEPNSQ_ISL_E10value_typeEPSM_NS1_7vsmem_tEENKUlT_SK_SL_SM_E_clISD_PbSF_PiEESJ_SZ_SK_SL_SM_EUlSZ_E1_NS1_11comp_targetILNS1_3genE2ELNS1_11target_archE906ELNS1_3gpuE6ELNS1_3repE0EEENS1_36merge_oddeven_config_static_selectorELNS0_4arch9wavefront6targetE1EEEvSL_.private_seg_size, 0
	.set _ZN7rocprim17ROCPRIM_400000_NS6detail17trampoline_kernelINS0_14default_configENS1_38merge_sort_block_merge_config_selectorIbiEEZZNS1_27merge_sort_block_merge_implIS3_N6thrust23THRUST_200600_302600_NS6detail15normal_iteratorINS8_10device_ptrIbEEEENSA_INSB_IiEEEEjNS1_19radix_merge_compareILb0ELb0EbNS0_19identity_decomposerEEEEE10hipError_tT0_T1_T2_jT3_P12ihipStream_tbPNSt15iterator_traitsISK_E10value_typeEPNSQ_ISL_E10value_typeEPSM_NS1_7vsmem_tEENKUlT_SK_SL_SM_E_clISD_PbSF_PiEESJ_SZ_SK_SL_SM_EUlSZ_E1_NS1_11comp_targetILNS1_3genE2ELNS1_11target_archE906ELNS1_3gpuE6ELNS1_3repE0EEENS1_36merge_oddeven_config_static_selectorELNS0_4arch9wavefront6targetE1EEEvSL_.uses_vcc, 0
	.set _ZN7rocprim17ROCPRIM_400000_NS6detail17trampoline_kernelINS0_14default_configENS1_38merge_sort_block_merge_config_selectorIbiEEZZNS1_27merge_sort_block_merge_implIS3_N6thrust23THRUST_200600_302600_NS6detail15normal_iteratorINS8_10device_ptrIbEEEENSA_INSB_IiEEEEjNS1_19radix_merge_compareILb0ELb0EbNS0_19identity_decomposerEEEEE10hipError_tT0_T1_T2_jT3_P12ihipStream_tbPNSt15iterator_traitsISK_E10value_typeEPNSQ_ISL_E10value_typeEPSM_NS1_7vsmem_tEENKUlT_SK_SL_SM_E_clISD_PbSF_PiEESJ_SZ_SK_SL_SM_EUlSZ_E1_NS1_11comp_targetILNS1_3genE2ELNS1_11target_archE906ELNS1_3gpuE6ELNS1_3repE0EEENS1_36merge_oddeven_config_static_selectorELNS0_4arch9wavefront6targetE1EEEvSL_.uses_flat_scratch, 0
	.set _ZN7rocprim17ROCPRIM_400000_NS6detail17trampoline_kernelINS0_14default_configENS1_38merge_sort_block_merge_config_selectorIbiEEZZNS1_27merge_sort_block_merge_implIS3_N6thrust23THRUST_200600_302600_NS6detail15normal_iteratorINS8_10device_ptrIbEEEENSA_INSB_IiEEEEjNS1_19radix_merge_compareILb0ELb0EbNS0_19identity_decomposerEEEEE10hipError_tT0_T1_T2_jT3_P12ihipStream_tbPNSt15iterator_traitsISK_E10value_typeEPNSQ_ISL_E10value_typeEPSM_NS1_7vsmem_tEENKUlT_SK_SL_SM_E_clISD_PbSF_PiEESJ_SZ_SK_SL_SM_EUlSZ_E1_NS1_11comp_targetILNS1_3genE2ELNS1_11target_archE906ELNS1_3gpuE6ELNS1_3repE0EEENS1_36merge_oddeven_config_static_selectorELNS0_4arch9wavefront6targetE1EEEvSL_.has_dyn_sized_stack, 0
	.set _ZN7rocprim17ROCPRIM_400000_NS6detail17trampoline_kernelINS0_14default_configENS1_38merge_sort_block_merge_config_selectorIbiEEZZNS1_27merge_sort_block_merge_implIS3_N6thrust23THRUST_200600_302600_NS6detail15normal_iteratorINS8_10device_ptrIbEEEENSA_INSB_IiEEEEjNS1_19radix_merge_compareILb0ELb0EbNS0_19identity_decomposerEEEEE10hipError_tT0_T1_T2_jT3_P12ihipStream_tbPNSt15iterator_traitsISK_E10value_typeEPNSQ_ISL_E10value_typeEPSM_NS1_7vsmem_tEENKUlT_SK_SL_SM_E_clISD_PbSF_PiEESJ_SZ_SK_SL_SM_EUlSZ_E1_NS1_11comp_targetILNS1_3genE2ELNS1_11target_archE906ELNS1_3gpuE6ELNS1_3repE0EEENS1_36merge_oddeven_config_static_selectorELNS0_4arch9wavefront6targetE1EEEvSL_.has_recursion, 0
	.set _ZN7rocprim17ROCPRIM_400000_NS6detail17trampoline_kernelINS0_14default_configENS1_38merge_sort_block_merge_config_selectorIbiEEZZNS1_27merge_sort_block_merge_implIS3_N6thrust23THRUST_200600_302600_NS6detail15normal_iteratorINS8_10device_ptrIbEEEENSA_INSB_IiEEEEjNS1_19radix_merge_compareILb0ELb0EbNS0_19identity_decomposerEEEEE10hipError_tT0_T1_T2_jT3_P12ihipStream_tbPNSt15iterator_traitsISK_E10value_typeEPNSQ_ISL_E10value_typeEPSM_NS1_7vsmem_tEENKUlT_SK_SL_SM_E_clISD_PbSF_PiEESJ_SZ_SK_SL_SM_EUlSZ_E1_NS1_11comp_targetILNS1_3genE2ELNS1_11target_archE906ELNS1_3gpuE6ELNS1_3repE0EEENS1_36merge_oddeven_config_static_selectorELNS0_4arch9wavefront6targetE1EEEvSL_.has_indirect_call, 0
	.section	.AMDGPU.csdata,"",@progbits
; Kernel info:
; codeLenInByte = 0
; TotalNumSgprs: 6
; NumVgprs: 0
; NumAgprs: 0
; TotalNumVgprs: 0
; ScratchSize: 0
; MemoryBound: 0
; FloatMode: 240
; IeeeMode: 1
; LDSByteSize: 0 bytes/workgroup (compile time only)
; SGPRBlocks: 0
; VGPRBlocks: 0
; NumSGPRsForWavesPerEU: 6
; NumVGPRsForWavesPerEU: 1
; AccumOffset: 4
; Occupancy: 8
; WaveLimiterHint : 0
; COMPUTE_PGM_RSRC2:SCRATCH_EN: 0
; COMPUTE_PGM_RSRC2:USER_SGPR: 2
; COMPUTE_PGM_RSRC2:TRAP_HANDLER: 0
; COMPUTE_PGM_RSRC2:TGID_X_EN: 1
; COMPUTE_PGM_RSRC2:TGID_Y_EN: 0
; COMPUTE_PGM_RSRC2:TGID_Z_EN: 0
; COMPUTE_PGM_RSRC2:TIDIG_COMP_CNT: 0
; COMPUTE_PGM_RSRC3_GFX90A:ACCUM_OFFSET: 0
; COMPUTE_PGM_RSRC3_GFX90A:TG_SPLIT: 0
	.section	.text._ZN7rocprim17ROCPRIM_400000_NS6detail17trampoline_kernelINS0_14default_configENS1_38merge_sort_block_merge_config_selectorIbiEEZZNS1_27merge_sort_block_merge_implIS3_N6thrust23THRUST_200600_302600_NS6detail15normal_iteratorINS8_10device_ptrIbEEEENSA_INSB_IiEEEEjNS1_19radix_merge_compareILb0ELb0EbNS0_19identity_decomposerEEEEE10hipError_tT0_T1_T2_jT3_P12ihipStream_tbPNSt15iterator_traitsISK_E10value_typeEPNSQ_ISL_E10value_typeEPSM_NS1_7vsmem_tEENKUlT_SK_SL_SM_E_clISD_PbSF_PiEESJ_SZ_SK_SL_SM_EUlSZ_E1_NS1_11comp_targetILNS1_3genE9ELNS1_11target_archE1100ELNS1_3gpuE3ELNS1_3repE0EEENS1_36merge_oddeven_config_static_selectorELNS0_4arch9wavefront6targetE1EEEvSL_,"axG",@progbits,_ZN7rocprim17ROCPRIM_400000_NS6detail17trampoline_kernelINS0_14default_configENS1_38merge_sort_block_merge_config_selectorIbiEEZZNS1_27merge_sort_block_merge_implIS3_N6thrust23THRUST_200600_302600_NS6detail15normal_iteratorINS8_10device_ptrIbEEEENSA_INSB_IiEEEEjNS1_19radix_merge_compareILb0ELb0EbNS0_19identity_decomposerEEEEE10hipError_tT0_T1_T2_jT3_P12ihipStream_tbPNSt15iterator_traitsISK_E10value_typeEPNSQ_ISL_E10value_typeEPSM_NS1_7vsmem_tEENKUlT_SK_SL_SM_E_clISD_PbSF_PiEESJ_SZ_SK_SL_SM_EUlSZ_E1_NS1_11comp_targetILNS1_3genE9ELNS1_11target_archE1100ELNS1_3gpuE3ELNS1_3repE0EEENS1_36merge_oddeven_config_static_selectorELNS0_4arch9wavefront6targetE1EEEvSL_,comdat
	.protected	_ZN7rocprim17ROCPRIM_400000_NS6detail17trampoline_kernelINS0_14default_configENS1_38merge_sort_block_merge_config_selectorIbiEEZZNS1_27merge_sort_block_merge_implIS3_N6thrust23THRUST_200600_302600_NS6detail15normal_iteratorINS8_10device_ptrIbEEEENSA_INSB_IiEEEEjNS1_19radix_merge_compareILb0ELb0EbNS0_19identity_decomposerEEEEE10hipError_tT0_T1_T2_jT3_P12ihipStream_tbPNSt15iterator_traitsISK_E10value_typeEPNSQ_ISL_E10value_typeEPSM_NS1_7vsmem_tEENKUlT_SK_SL_SM_E_clISD_PbSF_PiEESJ_SZ_SK_SL_SM_EUlSZ_E1_NS1_11comp_targetILNS1_3genE9ELNS1_11target_archE1100ELNS1_3gpuE3ELNS1_3repE0EEENS1_36merge_oddeven_config_static_selectorELNS0_4arch9wavefront6targetE1EEEvSL_ ; -- Begin function _ZN7rocprim17ROCPRIM_400000_NS6detail17trampoline_kernelINS0_14default_configENS1_38merge_sort_block_merge_config_selectorIbiEEZZNS1_27merge_sort_block_merge_implIS3_N6thrust23THRUST_200600_302600_NS6detail15normal_iteratorINS8_10device_ptrIbEEEENSA_INSB_IiEEEEjNS1_19radix_merge_compareILb0ELb0EbNS0_19identity_decomposerEEEEE10hipError_tT0_T1_T2_jT3_P12ihipStream_tbPNSt15iterator_traitsISK_E10value_typeEPNSQ_ISL_E10value_typeEPSM_NS1_7vsmem_tEENKUlT_SK_SL_SM_E_clISD_PbSF_PiEESJ_SZ_SK_SL_SM_EUlSZ_E1_NS1_11comp_targetILNS1_3genE9ELNS1_11target_archE1100ELNS1_3gpuE3ELNS1_3repE0EEENS1_36merge_oddeven_config_static_selectorELNS0_4arch9wavefront6targetE1EEEvSL_
	.globl	_ZN7rocprim17ROCPRIM_400000_NS6detail17trampoline_kernelINS0_14default_configENS1_38merge_sort_block_merge_config_selectorIbiEEZZNS1_27merge_sort_block_merge_implIS3_N6thrust23THRUST_200600_302600_NS6detail15normal_iteratorINS8_10device_ptrIbEEEENSA_INSB_IiEEEEjNS1_19radix_merge_compareILb0ELb0EbNS0_19identity_decomposerEEEEE10hipError_tT0_T1_T2_jT3_P12ihipStream_tbPNSt15iterator_traitsISK_E10value_typeEPNSQ_ISL_E10value_typeEPSM_NS1_7vsmem_tEENKUlT_SK_SL_SM_E_clISD_PbSF_PiEESJ_SZ_SK_SL_SM_EUlSZ_E1_NS1_11comp_targetILNS1_3genE9ELNS1_11target_archE1100ELNS1_3gpuE3ELNS1_3repE0EEENS1_36merge_oddeven_config_static_selectorELNS0_4arch9wavefront6targetE1EEEvSL_
	.p2align	8
	.type	_ZN7rocprim17ROCPRIM_400000_NS6detail17trampoline_kernelINS0_14default_configENS1_38merge_sort_block_merge_config_selectorIbiEEZZNS1_27merge_sort_block_merge_implIS3_N6thrust23THRUST_200600_302600_NS6detail15normal_iteratorINS8_10device_ptrIbEEEENSA_INSB_IiEEEEjNS1_19radix_merge_compareILb0ELb0EbNS0_19identity_decomposerEEEEE10hipError_tT0_T1_T2_jT3_P12ihipStream_tbPNSt15iterator_traitsISK_E10value_typeEPNSQ_ISL_E10value_typeEPSM_NS1_7vsmem_tEENKUlT_SK_SL_SM_E_clISD_PbSF_PiEESJ_SZ_SK_SL_SM_EUlSZ_E1_NS1_11comp_targetILNS1_3genE9ELNS1_11target_archE1100ELNS1_3gpuE3ELNS1_3repE0EEENS1_36merge_oddeven_config_static_selectorELNS0_4arch9wavefront6targetE1EEEvSL_,@function
_ZN7rocprim17ROCPRIM_400000_NS6detail17trampoline_kernelINS0_14default_configENS1_38merge_sort_block_merge_config_selectorIbiEEZZNS1_27merge_sort_block_merge_implIS3_N6thrust23THRUST_200600_302600_NS6detail15normal_iteratorINS8_10device_ptrIbEEEENSA_INSB_IiEEEEjNS1_19radix_merge_compareILb0ELb0EbNS0_19identity_decomposerEEEEE10hipError_tT0_T1_T2_jT3_P12ihipStream_tbPNSt15iterator_traitsISK_E10value_typeEPNSQ_ISL_E10value_typeEPSM_NS1_7vsmem_tEENKUlT_SK_SL_SM_E_clISD_PbSF_PiEESJ_SZ_SK_SL_SM_EUlSZ_E1_NS1_11comp_targetILNS1_3genE9ELNS1_11target_archE1100ELNS1_3gpuE3ELNS1_3repE0EEENS1_36merge_oddeven_config_static_selectorELNS0_4arch9wavefront6targetE1EEEvSL_: ; @_ZN7rocprim17ROCPRIM_400000_NS6detail17trampoline_kernelINS0_14default_configENS1_38merge_sort_block_merge_config_selectorIbiEEZZNS1_27merge_sort_block_merge_implIS3_N6thrust23THRUST_200600_302600_NS6detail15normal_iteratorINS8_10device_ptrIbEEEENSA_INSB_IiEEEEjNS1_19radix_merge_compareILb0ELb0EbNS0_19identity_decomposerEEEEE10hipError_tT0_T1_T2_jT3_P12ihipStream_tbPNSt15iterator_traitsISK_E10value_typeEPNSQ_ISL_E10value_typeEPSM_NS1_7vsmem_tEENKUlT_SK_SL_SM_E_clISD_PbSF_PiEESJ_SZ_SK_SL_SM_EUlSZ_E1_NS1_11comp_targetILNS1_3genE9ELNS1_11target_archE1100ELNS1_3gpuE3ELNS1_3repE0EEENS1_36merge_oddeven_config_static_selectorELNS0_4arch9wavefront6targetE1EEEvSL_
; %bb.0:
	.section	.rodata,"a",@progbits
	.p2align	6, 0x0
	.amdhsa_kernel _ZN7rocprim17ROCPRIM_400000_NS6detail17trampoline_kernelINS0_14default_configENS1_38merge_sort_block_merge_config_selectorIbiEEZZNS1_27merge_sort_block_merge_implIS3_N6thrust23THRUST_200600_302600_NS6detail15normal_iteratorINS8_10device_ptrIbEEEENSA_INSB_IiEEEEjNS1_19radix_merge_compareILb0ELb0EbNS0_19identity_decomposerEEEEE10hipError_tT0_T1_T2_jT3_P12ihipStream_tbPNSt15iterator_traitsISK_E10value_typeEPNSQ_ISL_E10value_typeEPSM_NS1_7vsmem_tEENKUlT_SK_SL_SM_E_clISD_PbSF_PiEESJ_SZ_SK_SL_SM_EUlSZ_E1_NS1_11comp_targetILNS1_3genE9ELNS1_11target_archE1100ELNS1_3gpuE3ELNS1_3repE0EEENS1_36merge_oddeven_config_static_selectorELNS0_4arch9wavefront6targetE1EEEvSL_
		.amdhsa_group_segment_fixed_size 0
		.amdhsa_private_segment_fixed_size 0
		.amdhsa_kernarg_size 48
		.amdhsa_user_sgpr_count 2
		.amdhsa_user_sgpr_dispatch_ptr 0
		.amdhsa_user_sgpr_queue_ptr 0
		.amdhsa_user_sgpr_kernarg_segment_ptr 1
		.amdhsa_user_sgpr_dispatch_id 0
		.amdhsa_user_sgpr_kernarg_preload_length 0
		.amdhsa_user_sgpr_kernarg_preload_offset 0
		.amdhsa_user_sgpr_private_segment_size 0
		.amdhsa_uses_dynamic_stack 0
		.amdhsa_enable_private_segment 0
		.amdhsa_system_sgpr_workgroup_id_x 1
		.amdhsa_system_sgpr_workgroup_id_y 0
		.amdhsa_system_sgpr_workgroup_id_z 0
		.amdhsa_system_sgpr_workgroup_info 0
		.amdhsa_system_vgpr_workitem_id 0
		.amdhsa_next_free_vgpr 1
		.amdhsa_next_free_sgpr 0
		.amdhsa_accum_offset 4
		.amdhsa_reserve_vcc 0
		.amdhsa_float_round_mode_32 0
		.amdhsa_float_round_mode_16_64 0
		.amdhsa_float_denorm_mode_32 3
		.amdhsa_float_denorm_mode_16_64 3
		.amdhsa_dx10_clamp 1
		.amdhsa_ieee_mode 1
		.amdhsa_fp16_overflow 0
		.amdhsa_tg_split 0
		.amdhsa_exception_fp_ieee_invalid_op 0
		.amdhsa_exception_fp_denorm_src 0
		.amdhsa_exception_fp_ieee_div_zero 0
		.amdhsa_exception_fp_ieee_overflow 0
		.amdhsa_exception_fp_ieee_underflow 0
		.amdhsa_exception_fp_ieee_inexact 0
		.amdhsa_exception_int_div_zero 0
	.end_amdhsa_kernel
	.section	.text._ZN7rocprim17ROCPRIM_400000_NS6detail17trampoline_kernelINS0_14default_configENS1_38merge_sort_block_merge_config_selectorIbiEEZZNS1_27merge_sort_block_merge_implIS3_N6thrust23THRUST_200600_302600_NS6detail15normal_iteratorINS8_10device_ptrIbEEEENSA_INSB_IiEEEEjNS1_19radix_merge_compareILb0ELb0EbNS0_19identity_decomposerEEEEE10hipError_tT0_T1_T2_jT3_P12ihipStream_tbPNSt15iterator_traitsISK_E10value_typeEPNSQ_ISL_E10value_typeEPSM_NS1_7vsmem_tEENKUlT_SK_SL_SM_E_clISD_PbSF_PiEESJ_SZ_SK_SL_SM_EUlSZ_E1_NS1_11comp_targetILNS1_3genE9ELNS1_11target_archE1100ELNS1_3gpuE3ELNS1_3repE0EEENS1_36merge_oddeven_config_static_selectorELNS0_4arch9wavefront6targetE1EEEvSL_,"axG",@progbits,_ZN7rocprim17ROCPRIM_400000_NS6detail17trampoline_kernelINS0_14default_configENS1_38merge_sort_block_merge_config_selectorIbiEEZZNS1_27merge_sort_block_merge_implIS3_N6thrust23THRUST_200600_302600_NS6detail15normal_iteratorINS8_10device_ptrIbEEEENSA_INSB_IiEEEEjNS1_19radix_merge_compareILb0ELb0EbNS0_19identity_decomposerEEEEE10hipError_tT0_T1_T2_jT3_P12ihipStream_tbPNSt15iterator_traitsISK_E10value_typeEPNSQ_ISL_E10value_typeEPSM_NS1_7vsmem_tEENKUlT_SK_SL_SM_E_clISD_PbSF_PiEESJ_SZ_SK_SL_SM_EUlSZ_E1_NS1_11comp_targetILNS1_3genE9ELNS1_11target_archE1100ELNS1_3gpuE3ELNS1_3repE0EEENS1_36merge_oddeven_config_static_selectorELNS0_4arch9wavefront6targetE1EEEvSL_,comdat
.Lfunc_end1955:
	.size	_ZN7rocprim17ROCPRIM_400000_NS6detail17trampoline_kernelINS0_14default_configENS1_38merge_sort_block_merge_config_selectorIbiEEZZNS1_27merge_sort_block_merge_implIS3_N6thrust23THRUST_200600_302600_NS6detail15normal_iteratorINS8_10device_ptrIbEEEENSA_INSB_IiEEEEjNS1_19radix_merge_compareILb0ELb0EbNS0_19identity_decomposerEEEEE10hipError_tT0_T1_T2_jT3_P12ihipStream_tbPNSt15iterator_traitsISK_E10value_typeEPNSQ_ISL_E10value_typeEPSM_NS1_7vsmem_tEENKUlT_SK_SL_SM_E_clISD_PbSF_PiEESJ_SZ_SK_SL_SM_EUlSZ_E1_NS1_11comp_targetILNS1_3genE9ELNS1_11target_archE1100ELNS1_3gpuE3ELNS1_3repE0EEENS1_36merge_oddeven_config_static_selectorELNS0_4arch9wavefront6targetE1EEEvSL_, .Lfunc_end1955-_ZN7rocprim17ROCPRIM_400000_NS6detail17trampoline_kernelINS0_14default_configENS1_38merge_sort_block_merge_config_selectorIbiEEZZNS1_27merge_sort_block_merge_implIS3_N6thrust23THRUST_200600_302600_NS6detail15normal_iteratorINS8_10device_ptrIbEEEENSA_INSB_IiEEEEjNS1_19radix_merge_compareILb0ELb0EbNS0_19identity_decomposerEEEEE10hipError_tT0_T1_T2_jT3_P12ihipStream_tbPNSt15iterator_traitsISK_E10value_typeEPNSQ_ISL_E10value_typeEPSM_NS1_7vsmem_tEENKUlT_SK_SL_SM_E_clISD_PbSF_PiEESJ_SZ_SK_SL_SM_EUlSZ_E1_NS1_11comp_targetILNS1_3genE9ELNS1_11target_archE1100ELNS1_3gpuE3ELNS1_3repE0EEENS1_36merge_oddeven_config_static_selectorELNS0_4arch9wavefront6targetE1EEEvSL_
                                        ; -- End function
	.set _ZN7rocprim17ROCPRIM_400000_NS6detail17trampoline_kernelINS0_14default_configENS1_38merge_sort_block_merge_config_selectorIbiEEZZNS1_27merge_sort_block_merge_implIS3_N6thrust23THRUST_200600_302600_NS6detail15normal_iteratorINS8_10device_ptrIbEEEENSA_INSB_IiEEEEjNS1_19radix_merge_compareILb0ELb0EbNS0_19identity_decomposerEEEEE10hipError_tT0_T1_T2_jT3_P12ihipStream_tbPNSt15iterator_traitsISK_E10value_typeEPNSQ_ISL_E10value_typeEPSM_NS1_7vsmem_tEENKUlT_SK_SL_SM_E_clISD_PbSF_PiEESJ_SZ_SK_SL_SM_EUlSZ_E1_NS1_11comp_targetILNS1_3genE9ELNS1_11target_archE1100ELNS1_3gpuE3ELNS1_3repE0EEENS1_36merge_oddeven_config_static_selectorELNS0_4arch9wavefront6targetE1EEEvSL_.num_vgpr, 0
	.set _ZN7rocprim17ROCPRIM_400000_NS6detail17trampoline_kernelINS0_14default_configENS1_38merge_sort_block_merge_config_selectorIbiEEZZNS1_27merge_sort_block_merge_implIS3_N6thrust23THRUST_200600_302600_NS6detail15normal_iteratorINS8_10device_ptrIbEEEENSA_INSB_IiEEEEjNS1_19radix_merge_compareILb0ELb0EbNS0_19identity_decomposerEEEEE10hipError_tT0_T1_T2_jT3_P12ihipStream_tbPNSt15iterator_traitsISK_E10value_typeEPNSQ_ISL_E10value_typeEPSM_NS1_7vsmem_tEENKUlT_SK_SL_SM_E_clISD_PbSF_PiEESJ_SZ_SK_SL_SM_EUlSZ_E1_NS1_11comp_targetILNS1_3genE9ELNS1_11target_archE1100ELNS1_3gpuE3ELNS1_3repE0EEENS1_36merge_oddeven_config_static_selectorELNS0_4arch9wavefront6targetE1EEEvSL_.num_agpr, 0
	.set _ZN7rocprim17ROCPRIM_400000_NS6detail17trampoline_kernelINS0_14default_configENS1_38merge_sort_block_merge_config_selectorIbiEEZZNS1_27merge_sort_block_merge_implIS3_N6thrust23THRUST_200600_302600_NS6detail15normal_iteratorINS8_10device_ptrIbEEEENSA_INSB_IiEEEEjNS1_19radix_merge_compareILb0ELb0EbNS0_19identity_decomposerEEEEE10hipError_tT0_T1_T2_jT3_P12ihipStream_tbPNSt15iterator_traitsISK_E10value_typeEPNSQ_ISL_E10value_typeEPSM_NS1_7vsmem_tEENKUlT_SK_SL_SM_E_clISD_PbSF_PiEESJ_SZ_SK_SL_SM_EUlSZ_E1_NS1_11comp_targetILNS1_3genE9ELNS1_11target_archE1100ELNS1_3gpuE3ELNS1_3repE0EEENS1_36merge_oddeven_config_static_selectorELNS0_4arch9wavefront6targetE1EEEvSL_.numbered_sgpr, 0
	.set _ZN7rocprim17ROCPRIM_400000_NS6detail17trampoline_kernelINS0_14default_configENS1_38merge_sort_block_merge_config_selectorIbiEEZZNS1_27merge_sort_block_merge_implIS3_N6thrust23THRUST_200600_302600_NS6detail15normal_iteratorINS8_10device_ptrIbEEEENSA_INSB_IiEEEEjNS1_19radix_merge_compareILb0ELb0EbNS0_19identity_decomposerEEEEE10hipError_tT0_T1_T2_jT3_P12ihipStream_tbPNSt15iterator_traitsISK_E10value_typeEPNSQ_ISL_E10value_typeEPSM_NS1_7vsmem_tEENKUlT_SK_SL_SM_E_clISD_PbSF_PiEESJ_SZ_SK_SL_SM_EUlSZ_E1_NS1_11comp_targetILNS1_3genE9ELNS1_11target_archE1100ELNS1_3gpuE3ELNS1_3repE0EEENS1_36merge_oddeven_config_static_selectorELNS0_4arch9wavefront6targetE1EEEvSL_.num_named_barrier, 0
	.set _ZN7rocprim17ROCPRIM_400000_NS6detail17trampoline_kernelINS0_14default_configENS1_38merge_sort_block_merge_config_selectorIbiEEZZNS1_27merge_sort_block_merge_implIS3_N6thrust23THRUST_200600_302600_NS6detail15normal_iteratorINS8_10device_ptrIbEEEENSA_INSB_IiEEEEjNS1_19radix_merge_compareILb0ELb0EbNS0_19identity_decomposerEEEEE10hipError_tT0_T1_T2_jT3_P12ihipStream_tbPNSt15iterator_traitsISK_E10value_typeEPNSQ_ISL_E10value_typeEPSM_NS1_7vsmem_tEENKUlT_SK_SL_SM_E_clISD_PbSF_PiEESJ_SZ_SK_SL_SM_EUlSZ_E1_NS1_11comp_targetILNS1_3genE9ELNS1_11target_archE1100ELNS1_3gpuE3ELNS1_3repE0EEENS1_36merge_oddeven_config_static_selectorELNS0_4arch9wavefront6targetE1EEEvSL_.private_seg_size, 0
	.set _ZN7rocprim17ROCPRIM_400000_NS6detail17trampoline_kernelINS0_14default_configENS1_38merge_sort_block_merge_config_selectorIbiEEZZNS1_27merge_sort_block_merge_implIS3_N6thrust23THRUST_200600_302600_NS6detail15normal_iteratorINS8_10device_ptrIbEEEENSA_INSB_IiEEEEjNS1_19radix_merge_compareILb0ELb0EbNS0_19identity_decomposerEEEEE10hipError_tT0_T1_T2_jT3_P12ihipStream_tbPNSt15iterator_traitsISK_E10value_typeEPNSQ_ISL_E10value_typeEPSM_NS1_7vsmem_tEENKUlT_SK_SL_SM_E_clISD_PbSF_PiEESJ_SZ_SK_SL_SM_EUlSZ_E1_NS1_11comp_targetILNS1_3genE9ELNS1_11target_archE1100ELNS1_3gpuE3ELNS1_3repE0EEENS1_36merge_oddeven_config_static_selectorELNS0_4arch9wavefront6targetE1EEEvSL_.uses_vcc, 0
	.set _ZN7rocprim17ROCPRIM_400000_NS6detail17trampoline_kernelINS0_14default_configENS1_38merge_sort_block_merge_config_selectorIbiEEZZNS1_27merge_sort_block_merge_implIS3_N6thrust23THRUST_200600_302600_NS6detail15normal_iteratorINS8_10device_ptrIbEEEENSA_INSB_IiEEEEjNS1_19radix_merge_compareILb0ELb0EbNS0_19identity_decomposerEEEEE10hipError_tT0_T1_T2_jT3_P12ihipStream_tbPNSt15iterator_traitsISK_E10value_typeEPNSQ_ISL_E10value_typeEPSM_NS1_7vsmem_tEENKUlT_SK_SL_SM_E_clISD_PbSF_PiEESJ_SZ_SK_SL_SM_EUlSZ_E1_NS1_11comp_targetILNS1_3genE9ELNS1_11target_archE1100ELNS1_3gpuE3ELNS1_3repE0EEENS1_36merge_oddeven_config_static_selectorELNS0_4arch9wavefront6targetE1EEEvSL_.uses_flat_scratch, 0
	.set _ZN7rocprim17ROCPRIM_400000_NS6detail17trampoline_kernelINS0_14default_configENS1_38merge_sort_block_merge_config_selectorIbiEEZZNS1_27merge_sort_block_merge_implIS3_N6thrust23THRUST_200600_302600_NS6detail15normal_iteratorINS8_10device_ptrIbEEEENSA_INSB_IiEEEEjNS1_19radix_merge_compareILb0ELb0EbNS0_19identity_decomposerEEEEE10hipError_tT0_T1_T2_jT3_P12ihipStream_tbPNSt15iterator_traitsISK_E10value_typeEPNSQ_ISL_E10value_typeEPSM_NS1_7vsmem_tEENKUlT_SK_SL_SM_E_clISD_PbSF_PiEESJ_SZ_SK_SL_SM_EUlSZ_E1_NS1_11comp_targetILNS1_3genE9ELNS1_11target_archE1100ELNS1_3gpuE3ELNS1_3repE0EEENS1_36merge_oddeven_config_static_selectorELNS0_4arch9wavefront6targetE1EEEvSL_.has_dyn_sized_stack, 0
	.set _ZN7rocprim17ROCPRIM_400000_NS6detail17trampoline_kernelINS0_14default_configENS1_38merge_sort_block_merge_config_selectorIbiEEZZNS1_27merge_sort_block_merge_implIS3_N6thrust23THRUST_200600_302600_NS6detail15normal_iteratorINS8_10device_ptrIbEEEENSA_INSB_IiEEEEjNS1_19radix_merge_compareILb0ELb0EbNS0_19identity_decomposerEEEEE10hipError_tT0_T1_T2_jT3_P12ihipStream_tbPNSt15iterator_traitsISK_E10value_typeEPNSQ_ISL_E10value_typeEPSM_NS1_7vsmem_tEENKUlT_SK_SL_SM_E_clISD_PbSF_PiEESJ_SZ_SK_SL_SM_EUlSZ_E1_NS1_11comp_targetILNS1_3genE9ELNS1_11target_archE1100ELNS1_3gpuE3ELNS1_3repE0EEENS1_36merge_oddeven_config_static_selectorELNS0_4arch9wavefront6targetE1EEEvSL_.has_recursion, 0
	.set _ZN7rocprim17ROCPRIM_400000_NS6detail17trampoline_kernelINS0_14default_configENS1_38merge_sort_block_merge_config_selectorIbiEEZZNS1_27merge_sort_block_merge_implIS3_N6thrust23THRUST_200600_302600_NS6detail15normal_iteratorINS8_10device_ptrIbEEEENSA_INSB_IiEEEEjNS1_19radix_merge_compareILb0ELb0EbNS0_19identity_decomposerEEEEE10hipError_tT0_T1_T2_jT3_P12ihipStream_tbPNSt15iterator_traitsISK_E10value_typeEPNSQ_ISL_E10value_typeEPSM_NS1_7vsmem_tEENKUlT_SK_SL_SM_E_clISD_PbSF_PiEESJ_SZ_SK_SL_SM_EUlSZ_E1_NS1_11comp_targetILNS1_3genE9ELNS1_11target_archE1100ELNS1_3gpuE3ELNS1_3repE0EEENS1_36merge_oddeven_config_static_selectorELNS0_4arch9wavefront6targetE1EEEvSL_.has_indirect_call, 0
	.section	.AMDGPU.csdata,"",@progbits
; Kernel info:
; codeLenInByte = 0
; TotalNumSgprs: 6
; NumVgprs: 0
; NumAgprs: 0
; TotalNumVgprs: 0
; ScratchSize: 0
; MemoryBound: 0
; FloatMode: 240
; IeeeMode: 1
; LDSByteSize: 0 bytes/workgroup (compile time only)
; SGPRBlocks: 0
; VGPRBlocks: 0
; NumSGPRsForWavesPerEU: 6
; NumVGPRsForWavesPerEU: 1
; AccumOffset: 4
; Occupancy: 8
; WaveLimiterHint : 0
; COMPUTE_PGM_RSRC2:SCRATCH_EN: 0
; COMPUTE_PGM_RSRC2:USER_SGPR: 2
; COMPUTE_PGM_RSRC2:TRAP_HANDLER: 0
; COMPUTE_PGM_RSRC2:TGID_X_EN: 1
; COMPUTE_PGM_RSRC2:TGID_Y_EN: 0
; COMPUTE_PGM_RSRC2:TGID_Z_EN: 0
; COMPUTE_PGM_RSRC2:TIDIG_COMP_CNT: 0
; COMPUTE_PGM_RSRC3_GFX90A:ACCUM_OFFSET: 0
; COMPUTE_PGM_RSRC3_GFX90A:TG_SPLIT: 0
	.section	.text._ZN7rocprim17ROCPRIM_400000_NS6detail17trampoline_kernelINS0_14default_configENS1_38merge_sort_block_merge_config_selectorIbiEEZZNS1_27merge_sort_block_merge_implIS3_N6thrust23THRUST_200600_302600_NS6detail15normal_iteratorINS8_10device_ptrIbEEEENSA_INSB_IiEEEEjNS1_19radix_merge_compareILb0ELb0EbNS0_19identity_decomposerEEEEE10hipError_tT0_T1_T2_jT3_P12ihipStream_tbPNSt15iterator_traitsISK_E10value_typeEPNSQ_ISL_E10value_typeEPSM_NS1_7vsmem_tEENKUlT_SK_SL_SM_E_clISD_PbSF_PiEESJ_SZ_SK_SL_SM_EUlSZ_E1_NS1_11comp_targetILNS1_3genE8ELNS1_11target_archE1030ELNS1_3gpuE2ELNS1_3repE0EEENS1_36merge_oddeven_config_static_selectorELNS0_4arch9wavefront6targetE1EEEvSL_,"axG",@progbits,_ZN7rocprim17ROCPRIM_400000_NS6detail17trampoline_kernelINS0_14default_configENS1_38merge_sort_block_merge_config_selectorIbiEEZZNS1_27merge_sort_block_merge_implIS3_N6thrust23THRUST_200600_302600_NS6detail15normal_iteratorINS8_10device_ptrIbEEEENSA_INSB_IiEEEEjNS1_19radix_merge_compareILb0ELb0EbNS0_19identity_decomposerEEEEE10hipError_tT0_T1_T2_jT3_P12ihipStream_tbPNSt15iterator_traitsISK_E10value_typeEPNSQ_ISL_E10value_typeEPSM_NS1_7vsmem_tEENKUlT_SK_SL_SM_E_clISD_PbSF_PiEESJ_SZ_SK_SL_SM_EUlSZ_E1_NS1_11comp_targetILNS1_3genE8ELNS1_11target_archE1030ELNS1_3gpuE2ELNS1_3repE0EEENS1_36merge_oddeven_config_static_selectorELNS0_4arch9wavefront6targetE1EEEvSL_,comdat
	.protected	_ZN7rocprim17ROCPRIM_400000_NS6detail17trampoline_kernelINS0_14default_configENS1_38merge_sort_block_merge_config_selectorIbiEEZZNS1_27merge_sort_block_merge_implIS3_N6thrust23THRUST_200600_302600_NS6detail15normal_iteratorINS8_10device_ptrIbEEEENSA_INSB_IiEEEEjNS1_19radix_merge_compareILb0ELb0EbNS0_19identity_decomposerEEEEE10hipError_tT0_T1_T2_jT3_P12ihipStream_tbPNSt15iterator_traitsISK_E10value_typeEPNSQ_ISL_E10value_typeEPSM_NS1_7vsmem_tEENKUlT_SK_SL_SM_E_clISD_PbSF_PiEESJ_SZ_SK_SL_SM_EUlSZ_E1_NS1_11comp_targetILNS1_3genE8ELNS1_11target_archE1030ELNS1_3gpuE2ELNS1_3repE0EEENS1_36merge_oddeven_config_static_selectorELNS0_4arch9wavefront6targetE1EEEvSL_ ; -- Begin function _ZN7rocprim17ROCPRIM_400000_NS6detail17trampoline_kernelINS0_14default_configENS1_38merge_sort_block_merge_config_selectorIbiEEZZNS1_27merge_sort_block_merge_implIS3_N6thrust23THRUST_200600_302600_NS6detail15normal_iteratorINS8_10device_ptrIbEEEENSA_INSB_IiEEEEjNS1_19radix_merge_compareILb0ELb0EbNS0_19identity_decomposerEEEEE10hipError_tT0_T1_T2_jT3_P12ihipStream_tbPNSt15iterator_traitsISK_E10value_typeEPNSQ_ISL_E10value_typeEPSM_NS1_7vsmem_tEENKUlT_SK_SL_SM_E_clISD_PbSF_PiEESJ_SZ_SK_SL_SM_EUlSZ_E1_NS1_11comp_targetILNS1_3genE8ELNS1_11target_archE1030ELNS1_3gpuE2ELNS1_3repE0EEENS1_36merge_oddeven_config_static_selectorELNS0_4arch9wavefront6targetE1EEEvSL_
	.globl	_ZN7rocprim17ROCPRIM_400000_NS6detail17trampoline_kernelINS0_14default_configENS1_38merge_sort_block_merge_config_selectorIbiEEZZNS1_27merge_sort_block_merge_implIS3_N6thrust23THRUST_200600_302600_NS6detail15normal_iteratorINS8_10device_ptrIbEEEENSA_INSB_IiEEEEjNS1_19radix_merge_compareILb0ELb0EbNS0_19identity_decomposerEEEEE10hipError_tT0_T1_T2_jT3_P12ihipStream_tbPNSt15iterator_traitsISK_E10value_typeEPNSQ_ISL_E10value_typeEPSM_NS1_7vsmem_tEENKUlT_SK_SL_SM_E_clISD_PbSF_PiEESJ_SZ_SK_SL_SM_EUlSZ_E1_NS1_11comp_targetILNS1_3genE8ELNS1_11target_archE1030ELNS1_3gpuE2ELNS1_3repE0EEENS1_36merge_oddeven_config_static_selectorELNS0_4arch9wavefront6targetE1EEEvSL_
	.p2align	8
	.type	_ZN7rocprim17ROCPRIM_400000_NS6detail17trampoline_kernelINS0_14default_configENS1_38merge_sort_block_merge_config_selectorIbiEEZZNS1_27merge_sort_block_merge_implIS3_N6thrust23THRUST_200600_302600_NS6detail15normal_iteratorINS8_10device_ptrIbEEEENSA_INSB_IiEEEEjNS1_19radix_merge_compareILb0ELb0EbNS0_19identity_decomposerEEEEE10hipError_tT0_T1_T2_jT3_P12ihipStream_tbPNSt15iterator_traitsISK_E10value_typeEPNSQ_ISL_E10value_typeEPSM_NS1_7vsmem_tEENKUlT_SK_SL_SM_E_clISD_PbSF_PiEESJ_SZ_SK_SL_SM_EUlSZ_E1_NS1_11comp_targetILNS1_3genE8ELNS1_11target_archE1030ELNS1_3gpuE2ELNS1_3repE0EEENS1_36merge_oddeven_config_static_selectorELNS0_4arch9wavefront6targetE1EEEvSL_,@function
_ZN7rocprim17ROCPRIM_400000_NS6detail17trampoline_kernelINS0_14default_configENS1_38merge_sort_block_merge_config_selectorIbiEEZZNS1_27merge_sort_block_merge_implIS3_N6thrust23THRUST_200600_302600_NS6detail15normal_iteratorINS8_10device_ptrIbEEEENSA_INSB_IiEEEEjNS1_19radix_merge_compareILb0ELb0EbNS0_19identity_decomposerEEEEE10hipError_tT0_T1_T2_jT3_P12ihipStream_tbPNSt15iterator_traitsISK_E10value_typeEPNSQ_ISL_E10value_typeEPSM_NS1_7vsmem_tEENKUlT_SK_SL_SM_E_clISD_PbSF_PiEESJ_SZ_SK_SL_SM_EUlSZ_E1_NS1_11comp_targetILNS1_3genE8ELNS1_11target_archE1030ELNS1_3gpuE2ELNS1_3repE0EEENS1_36merge_oddeven_config_static_selectorELNS0_4arch9wavefront6targetE1EEEvSL_: ; @_ZN7rocprim17ROCPRIM_400000_NS6detail17trampoline_kernelINS0_14default_configENS1_38merge_sort_block_merge_config_selectorIbiEEZZNS1_27merge_sort_block_merge_implIS3_N6thrust23THRUST_200600_302600_NS6detail15normal_iteratorINS8_10device_ptrIbEEEENSA_INSB_IiEEEEjNS1_19radix_merge_compareILb0ELb0EbNS0_19identity_decomposerEEEEE10hipError_tT0_T1_T2_jT3_P12ihipStream_tbPNSt15iterator_traitsISK_E10value_typeEPNSQ_ISL_E10value_typeEPSM_NS1_7vsmem_tEENKUlT_SK_SL_SM_E_clISD_PbSF_PiEESJ_SZ_SK_SL_SM_EUlSZ_E1_NS1_11comp_targetILNS1_3genE8ELNS1_11target_archE1030ELNS1_3gpuE2ELNS1_3repE0EEENS1_36merge_oddeven_config_static_selectorELNS0_4arch9wavefront6targetE1EEEvSL_
; %bb.0:
	.section	.rodata,"a",@progbits
	.p2align	6, 0x0
	.amdhsa_kernel _ZN7rocprim17ROCPRIM_400000_NS6detail17trampoline_kernelINS0_14default_configENS1_38merge_sort_block_merge_config_selectorIbiEEZZNS1_27merge_sort_block_merge_implIS3_N6thrust23THRUST_200600_302600_NS6detail15normal_iteratorINS8_10device_ptrIbEEEENSA_INSB_IiEEEEjNS1_19radix_merge_compareILb0ELb0EbNS0_19identity_decomposerEEEEE10hipError_tT0_T1_T2_jT3_P12ihipStream_tbPNSt15iterator_traitsISK_E10value_typeEPNSQ_ISL_E10value_typeEPSM_NS1_7vsmem_tEENKUlT_SK_SL_SM_E_clISD_PbSF_PiEESJ_SZ_SK_SL_SM_EUlSZ_E1_NS1_11comp_targetILNS1_3genE8ELNS1_11target_archE1030ELNS1_3gpuE2ELNS1_3repE0EEENS1_36merge_oddeven_config_static_selectorELNS0_4arch9wavefront6targetE1EEEvSL_
		.amdhsa_group_segment_fixed_size 0
		.amdhsa_private_segment_fixed_size 0
		.amdhsa_kernarg_size 48
		.amdhsa_user_sgpr_count 2
		.amdhsa_user_sgpr_dispatch_ptr 0
		.amdhsa_user_sgpr_queue_ptr 0
		.amdhsa_user_sgpr_kernarg_segment_ptr 1
		.amdhsa_user_sgpr_dispatch_id 0
		.amdhsa_user_sgpr_kernarg_preload_length 0
		.amdhsa_user_sgpr_kernarg_preload_offset 0
		.amdhsa_user_sgpr_private_segment_size 0
		.amdhsa_uses_dynamic_stack 0
		.amdhsa_enable_private_segment 0
		.amdhsa_system_sgpr_workgroup_id_x 1
		.amdhsa_system_sgpr_workgroup_id_y 0
		.amdhsa_system_sgpr_workgroup_id_z 0
		.amdhsa_system_sgpr_workgroup_info 0
		.amdhsa_system_vgpr_workitem_id 0
		.amdhsa_next_free_vgpr 1
		.amdhsa_next_free_sgpr 0
		.amdhsa_accum_offset 4
		.amdhsa_reserve_vcc 0
		.amdhsa_float_round_mode_32 0
		.amdhsa_float_round_mode_16_64 0
		.amdhsa_float_denorm_mode_32 3
		.amdhsa_float_denorm_mode_16_64 3
		.amdhsa_dx10_clamp 1
		.amdhsa_ieee_mode 1
		.amdhsa_fp16_overflow 0
		.amdhsa_tg_split 0
		.amdhsa_exception_fp_ieee_invalid_op 0
		.amdhsa_exception_fp_denorm_src 0
		.amdhsa_exception_fp_ieee_div_zero 0
		.amdhsa_exception_fp_ieee_overflow 0
		.amdhsa_exception_fp_ieee_underflow 0
		.amdhsa_exception_fp_ieee_inexact 0
		.amdhsa_exception_int_div_zero 0
	.end_amdhsa_kernel
	.section	.text._ZN7rocprim17ROCPRIM_400000_NS6detail17trampoline_kernelINS0_14default_configENS1_38merge_sort_block_merge_config_selectorIbiEEZZNS1_27merge_sort_block_merge_implIS3_N6thrust23THRUST_200600_302600_NS6detail15normal_iteratorINS8_10device_ptrIbEEEENSA_INSB_IiEEEEjNS1_19radix_merge_compareILb0ELb0EbNS0_19identity_decomposerEEEEE10hipError_tT0_T1_T2_jT3_P12ihipStream_tbPNSt15iterator_traitsISK_E10value_typeEPNSQ_ISL_E10value_typeEPSM_NS1_7vsmem_tEENKUlT_SK_SL_SM_E_clISD_PbSF_PiEESJ_SZ_SK_SL_SM_EUlSZ_E1_NS1_11comp_targetILNS1_3genE8ELNS1_11target_archE1030ELNS1_3gpuE2ELNS1_3repE0EEENS1_36merge_oddeven_config_static_selectorELNS0_4arch9wavefront6targetE1EEEvSL_,"axG",@progbits,_ZN7rocprim17ROCPRIM_400000_NS6detail17trampoline_kernelINS0_14default_configENS1_38merge_sort_block_merge_config_selectorIbiEEZZNS1_27merge_sort_block_merge_implIS3_N6thrust23THRUST_200600_302600_NS6detail15normal_iteratorINS8_10device_ptrIbEEEENSA_INSB_IiEEEEjNS1_19radix_merge_compareILb0ELb0EbNS0_19identity_decomposerEEEEE10hipError_tT0_T1_T2_jT3_P12ihipStream_tbPNSt15iterator_traitsISK_E10value_typeEPNSQ_ISL_E10value_typeEPSM_NS1_7vsmem_tEENKUlT_SK_SL_SM_E_clISD_PbSF_PiEESJ_SZ_SK_SL_SM_EUlSZ_E1_NS1_11comp_targetILNS1_3genE8ELNS1_11target_archE1030ELNS1_3gpuE2ELNS1_3repE0EEENS1_36merge_oddeven_config_static_selectorELNS0_4arch9wavefront6targetE1EEEvSL_,comdat
.Lfunc_end1956:
	.size	_ZN7rocprim17ROCPRIM_400000_NS6detail17trampoline_kernelINS0_14default_configENS1_38merge_sort_block_merge_config_selectorIbiEEZZNS1_27merge_sort_block_merge_implIS3_N6thrust23THRUST_200600_302600_NS6detail15normal_iteratorINS8_10device_ptrIbEEEENSA_INSB_IiEEEEjNS1_19radix_merge_compareILb0ELb0EbNS0_19identity_decomposerEEEEE10hipError_tT0_T1_T2_jT3_P12ihipStream_tbPNSt15iterator_traitsISK_E10value_typeEPNSQ_ISL_E10value_typeEPSM_NS1_7vsmem_tEENKUlT_SK_SL_SM_E_clISD_PbSF_PiEESJ_SZ_SK_SL_SM_EUlSZ_E1_NS1_11comp_targetILNS1_3genE8ELNS1_11target_archE1030ELNS1_3gpuE2ELNS1_3repE0EEENS1_36merge_oddeven_config_static_selectorELNS0_4arch9wavefront6targetE1EEEvSL_, .Lfunc_end1956-_ZN7rocprim17ROCPRIM_400000_NS6detail17trampoline_kernelINS0_14default_configENS1_38merge_sort_block_merge_config_selectorIbiEEZZNS1_27merge_sort_block_merge_implIS3_N6thrust23THRUST_200600_302600_NS6detail15normal_iteratorINS8_10device_ptrIbEEEENSA_INSB_IiEEEEjNS1_19radix_merge_compareILb0ELb0EbNS0_19identity_decomposerEEEEE10hipError_tT0_T1_T2_jT3_P12ihipStream_tbPNSt15iterator_traitsISK_E10value_typeEPNSQ_ISL_E10value_typeEPSM_NS1_7vsmem_tEENKUlT_SK_SL_SM_E_clISD_PbSF_PiEESJ_SZ_SK_SL_SM_EUlSZ_E1_NS1_11comp_targetILNS1_3genE8ELNS1_11target_archE1030ELNS1_3gpuE2ELNS1_3repE0EEENS1_36merge_oddeven_config_static_selectorELNS0_4arch9wavefront6targetE1EEEvSL_
                                        ; -- End function
	.set _ZN7rocprim17ROCPRIM_400000_NS6detail17trampoline_kernelINS0_14default_configENS1_38merge_sort_block_merge_config_selectorIbiEEZZNS1_27merge_sort_block_merge_implIS3_N6thrust23THRUST_200600_302600_NS6detail15normal_iteratorINS8_10device_ptrIbEEEENSA_INSB_IiEEEEjNS1_19radix_merge_compareILb0ELb0EbNS0_19identity_decomposerEEEEE10hipError_tT0_T1_T2_jT3_P12ihipStream_tbPNSt15iterator_traitsISK_E10value_typeEPNSQ_ISL_E10value_typeEPSM_NS1_7vsmem_tEENKUlT_SK_SL_SM_E_clISD_PbSF_PiEESJ_SZ_SK_SL_SM_EUlSZ_E1_NS1_11comp_targetILNS1_3genE8ELNS1_11target_archE1030ELNS1_3gpuE2ELNS1_3repE0EEENS1_36merge_oddeven_config_static_selectorELNS0_4arch9wavefront6targetE1EEEvSL_.num_vgpr, 0
	.set _ZN7rocprim17ROCPRIM_400000_NS6detail17trampoline_kernelINS0_14default_configENS1_38merge_sort_block_merge_config_selectorIbiEEZZNS1_27merge_sort_block_merge_implIS3_N6thrust23THRUST_200600_302600_NS6detail15normal_iteratorINS8_10device_ptrIbEEEENSA_INSB_IiEEEEjNS1_19radix_merge_compareILb0ELb0EbNS0_19identity_decomposerEEEEE10hipError_tT0_T1_T2_jT3_P12ihipStream_tbPNSt15iterator_traitsISK_E10value_typeEPNSQ_ISL_E10value_typeEPSM_NS1_7vsmem_tEENKUlT_SK_SL_SM_E_clISD_PbSF_PiEESJ_SZ_SK_SL_SM_EUlSZ_E1_NS1_11comp_targetILNS1_3genE8ELNS1_11target_archE1030ELNS1_3gpuE2ELNS1_3repE0EEENS1_36merge_oddeven_config_static_selectorELNS0_4arch9wavefront6targetE1EEEvSL_.num_agpr, 0
	.set _ZN7rocprim17ROCPRIM_400000_NS6detail17trampoline_kernelINS0_14default_configENS1_38merge_sort_block_merge_config_selectorIbiEEZZNS1_27merge_sort_block_merge_implIS3_N6thrust23THRUST_200600_302600_NS6detail15normal_iteratorINS8_10device_ptrIbEEEENSA_INSB_IiEEEEjNS1_19radix_merge_compareILb0ELb0EbNS0_19identity_decomposerEEEEE10hipError_tT0_T1_T2_jT3_P12ihipStream_tbPNSt15iterator_traitsISK_E10value_typeEPNSQ_ISL_E10value_typeEPSM_NS1_7vsmem_tEENKUlT_SK_SL_SM_E_clISD_PbSF_PiEESJ_SZ_SK_SL_SM_EUlSZ_E1_NS1_11comp_targetILNS1_3genE8ELNS1_11target_archE1030ELNS1_3gpuE2ELNS1_3repE0EEENS1_36merge_oddeven_config_static_selectorELNS0_4arch9wavefront6targetE1EEEvSL_.numbered_sgpr, 0
	.set _ZN7rocprim17ROCPRIM_400000_NS6detail17trampoline_kernelINS0_14default_configENS1_38merge_sort_block_merge_config_selectorIbiEEZZNS1_27merge_sort_block_merge_implIS3_N6thrust23THRUST_200600_302600_NS6detail15normal_iteratorINS8_10device_ptrIbEEEENSA_INSB_IiEEEEjNS1_19radix_merge_compareILb0ELb0EbNS0_19identity_decomposerEEEEE10hipError_tT0_T1_T2_jT3_P12ihipStream_tbPNSt15iterator_traitsISK_E10value_typeEPNSQ_ISL_E10value_typeEPSM_NS1_7vsmem_tEENKUlT_SK_SL_SM_E_clISD_PbSF_PiEESJ_SZ_SK_SL_SM_EUlSZ_E1_NS1_11comp_targetILNS1_3genE8ELNS1_11target_archE1030ELNS1_3gpuE2ELNS1_3repE0EEENS1_36merge_oddeven_config_static_selectorELNS0_4arch9wavefront6targetE1EEEvSL_.num_named_barrier, 0
	.set _ZN7rocprim17ROCPRIM_400000_NS6detail17trampoline_kernelINS0_14default_configENS1_38merge_sort_block_merge_config_selectorIbiEEZZNS1_27merge_sort_block_merge_implIS3_N6thrust23THRUST_200600_302600_NS6detail15normal_iteratorINS8_10device_ptrIbEEEENSA_INSB_IiEEEEjNS1_19radix_merge_compareILb0ELb0EbNS0_19identity_decomposerEEEEE10hipError_tT0_T1_T2_jT3_P12ihipStream_tbPNSt15iterator_traitsISK_E10value_typeEPNSQ_ISL_E10value_typeEPSM_NS1_7vsmem_tEENKUlT_SK_SL_SM_E_clISD_PbSF_PiEESJ_SZ_SK_SL_SM_EUlSZ_E1_NS1_11comp_targetILNS1_3genE8ELNS1_11target_archE1030ELNS1_3gpuE2ELNS1_3repE0EEENS1_36merge_oddeven_config_static_selectorELNS0_4arch9wavefront6targetE1EEEvSL_.private_seg_size, 0
	.set _ZN7rocprim17ROCPRIM_400000_NS6detail17trampoline_kernelINS0_14default_configENS1_38merge_sort_block_merge_config_selectorIbiEEZZNS1_27merge_sort_block_merge_implIS3_N6thrust23THRUST_200600_302600_NS6detail15normal_iteratorINS8_10device_ptrIbEEEENSA_INSB_IiEEEEjNS1_19radix_merge_compareILb0ELb0EbNS0_19identity_decomposerEEEEE10hipError_tT0_T1_T2_jT3_P12ihipStream_tbPNSt15iterator_traitsISK_E10value_typeEPNSQ_ISL_E10value_typeEPSM_NS1_7vsmem_tEENKUlT_SK_SL_SM_E_clISD_PbSF_PiEESJ_SZ_SK_SL_SM_EUlSZ_E1_NS1_11comp_targetILNS1_3genE8ELNS1_11target_archE1030ELNS1_3gpuE2ELNS1_3repE0EEENS1_36merge_oddeven_config_static_selectorELNS0_4arch9wavefront6targetE1EEEvSL_.uses_vcc, 0
	.set _ZN7rocprim17ROCPRIM_400000_NS6detail17trampoline_kernelINS0_14default_configENS1_38merge_sort_block_merge_config_selectorIbiEEZZNS1_27merge_sort_block_merge_implIS3_N6thrust23THRUST_200600_302600_NS6detail15normal_iteratorINS8_10device_ptrIbEEEENSA_INSB_IiEEEEjNS1_19radix_merge_compareILb0ELb0EbNS0_19identity_decomposerEEEEE10hipError_tT0_T1_T2_jT3_P12ihipStream_tbPNSt15iterator_traitsISK_E10value_typeEPNSQ_ISL_E10value_typeEPSM_NS1_7vsmem_tEENKUlT_SK_SL_SM_E_clISD_PbSF_PiEESJ_SZ_SK_SL_SM_EUlSZ_E1_NS1_11comp_targetILNS1_3genE8ELNS1_11target_archE1030ELNS1_3gpuE2ELNS1_3repE0EEENS1_36merge_oddeven_config_static_selectorELNS0_4arch9wavefront6targetE1EEEvSL_.uses_flat_scratch, 0
	.set _ZN7rocprim17ROCPRIM_400000_NS6detail17trampoline_kernelINS0_14default_configENS1_38merge_sort_block_merge_config_selectorIbiEEZZNS1_27merge_sort_block_merge_implIS3_N6thrust23THRUST_200600_302600_NS6detail15normal_iteratorINS8_10device_ptrIbEEEENSA_INSB_IiEEEEjNS1_19radix_merge_compareILb0ELb0EbNS0_19identity_decomposerEEEEE10hipError_tT0_T1_T2_jT3_P12ihipStream_tbPNSt15iterator_traitsISK_E10value_typeEPNSQ_ISL_E10value_typeEPSM_NS1_7vsmem_tEENKUlT_SK_SL_SM_E_clISD_PbSF_PiEESJ_SZ_SK_SL_SM_EUlSZ_E1_NS1_11comp_targetILNS1_3genE8ELNS1_11target_archE1030ELNS1_3gpuE2ELNS1_3repE0EEENS1_36merge_oddeven_config_static_selectorELNS0_4arch9wavefront6targetE1EEEvSL_.has_dyn_sized_stack, 0
	.set _ZN7rocprim17ROCPRIM_400000_NS6detail17trampoline_kernelINS0_14default_configENS1_38merge_sort_block_merge_config_selectorIbiEEZZNS1_27merge_sort_block_merge_implIS3_N6thrust23THRUST_200600_302600_NS6detail15normal_iteratorINS8_10device_ptrIbEEEENSA_INSB_IiEEEEjNS1_19radix_merge_compareILb0ELb0EbNS0_19identity_decomposerEEEEE10hipError_tT0_T1_T2_jT3_P12ihipStream_tbPNSt15iterator_traitsISK_E10value_typeEPNSQ_ISL_E10value_typeEPSM_NS1_7vsmem_tEENKUlT_SK_SL_SM_E_clISD_PbSF_PiEESJ_SZ_SK_SL_SM_EUlSZ_E1_NS1_11comp_targetILNS1_3genE8ELNS1_11target_archE1030ELNS1_3gpuE2ELNS1_3repE0EEENS1_36merge_oddeven_config_static_selectorELNS0_4arch9wavefront6targetE1EEEvSL_.has_recursion, 0
	.set _ZN7rocprim17ROCPRIM_400000_NS6detail17trampoline_kernelINS0_14default_configENS1_38merge_sort_block_merge_config_selectorIbiEEZZNS1_27merge_sort_block_merge_implIS3_N6thrust23THRUST_200600_302600_NS6detail15normal_iteratorINS8_10device_ptrIbEEEENSA_INSB_IiEEEEjNS1_19radix_merge_compareILb0ELb0EbNS0_19identity_decomposerEEEEE10hipError_tT0_T1_T2_jT3_P12ihipStream_tbPNSt15iterator_traitsISK_E10value_typeEPNSQ_ISL_E10value_typeEPSM_NS1_7vsmem_tEENKUlT_SK_SL_SM_E_clISD_PbSF_PiEESJ_SZ_SK_SL_SM_EUlSZ_E1_NS1_11comp_targetILNS1_3genE8ELNS1_11target_archE1030ELNS1_3gpuE2ELNS1_3repE0EEENS1_36merge_oddeven_config_static_selectorELNS0_4arch9wavefront6targetE1EEEvSL_.has_indirect_call, 0
	.section	.AMDGPU.csdata,"",@progbits
; Kernel info:
; codeLenInByte = 0
; TotalNumSgprs: 6
; NumVgprs: 0
; NumAgprs: 0
; TotalNumVgprs: 0
; ScratchSize: 0
; MemoryBound: 0
; FloatMode: 240
; IeeeMode: 1
; LDSByteSize: 0 bytes/workgroup (compile time only)
; SGPRBlocks: 0
; VGPRBlocks: 0
; NumSGPRsForWavesPerEU: 6
; NumVGPRsForWavesPerEU: 1
; AccumOffset: 4
; Occupancy: 8
; WaveLimiterHint : 0
; COMPUTE_PGM_RSRC2:SCRATCH_EN: 0
; COMPUTE_PGM_RSRC2:USER_SGPR: 2
; COMPUTE_PGM_RSRC2:TRAP_HANDLER: 0
; COMPUTE_PGM_RSRC2:TGID_X_EN: 1
; COMPUTE_PGM_RSRC2:TGID_Y_EN: 0
; COMPUTE_PGM_RSRC2:TGID_Z_EN: 0
; COMPUTE_PGM_RSRC2:TIDIG_COMP_CNT: 0
; COMPUTE_PGM_RSRC3_GFX90A:ACCUM_OFFSET: 0
; COMPUTE_PGM_RSRC3_GFX90A:TG_SPLIT: 0
	.section	.text._ZN7rocprim17ROCPRIM_400000_NS6detail17trampoline_kernelINS0_14default_configENS1_25transform_config_selectorIbLb0EEEZNS1_14transform_implILb0ES3_S5_PbN6thrust23THRUST_200600_302600_NS6detail15normal_iteratorINS9_10device_ptrIbEEEENS0_8identityIbEEEE10hipError_tT2_T3_mT4_P12ihipStream_tbEUlT_E_NS1_11comp_targetILNS1_3genE0ELNS1_11target_archE4294967295ELNS1_3gpuE0ELNS1_3repE0EEENS1_30default_config_static_selectorELNS0_4arch9wavefront6targetE1EEEvT1_,"axG",@progbits,_ZN7rocprim17ROCPRIM_400000_NS6detail17trampoline_kernelINS0_14default_configENS1_25transform_config_selectorIbLb0EEEZNS1_14transform_implILb0ES3_S5_PbN6thrust23THRUST_200600_302600_NS6detail15normal_iteratorINS9_10device_ptrIbEEEENS0_8identityIbEEEE10hipError_tT2_T3_mT4_P12ihipStream_tbEUlT_E_NS1_11comp_targetILNS1_3genE0ELNS1_11target_archE4294967295ELNS1_3gpuE0ELNS1_3repE0EEENS1_30default_config_static_selectorELNS0_4arch9wavefront6targetE1EEEvT1_,comdat
	.protected	_ZN7rocprim17ROCPRIM_400000_NS6detail17trampoline_kernelINS0_14default_configENS1_25transform_config_selectorIbLb0EEEZNS1_14transform_implILb0ES3_S5_PbN6thrust23THRUST_200600_302600_NS6detail15normal_iteratorINS9_10device_ptrIbEEEENS0_8identityIbEEEE10hipError_tT2_T3_mT4_P12ihipStream_tbEUlT_E_NS1_11comp_targetILNS1_3genE0ELNS1_11target_archE4294967295ELNS1_3gpuE0ELNS1_3repE0EEENS1_30default_config_static_selectorELNS0_4arch9wavefront6targetE1EEEvT1_ ; -- Begin function _ZN7rocprim17ROCPRIM_400000_NS6detail17trampoline_kernelINS0_14default_configENS1_25transform_config_selectorIbLb0EEEZNS1_14transform_implILb0ES3_S5_PbN6thrust23THRUST_200600_302600_NS6detail15normal_iteratorINS9_10device_ptrIbEEEENS0_8identityIbEEEE10hipError_tT2_T3_mT4_P12ihipStream_tbEUlT_E_NS1_11comp_targetILNS1_3genE0ELNS1_11target_archE4294967295ELNS1_3gpuE0ELNS1_3repE0EEENS1_30default_config_static_selectorELNS0_4arch9wavefront6targetE1EEEvT1_
	.globl	_ZN7rocprim17ROCPRIM_400000_NS6detail17trampoline_kernelINS0_14default_configENS1_25transform_config_selectorIbLb0EEEZNS1_14transform_implILb0ES3_S5_PbN6thrust23THRUST_200600_302600_NS6detail15normal_iteratorINS9_10device_ptrIbEEEENS0_8identityIbEEEE10hipError_tT2_T3_mT4_P12ihipStream_tbEUlT_E_NS1_11comp_targetILNS1_3genE0ELNS1_11target_archE4294967295ELNS1_3gpuE0ELNS1_3repE0EEENS1_30default_config_static_selectorELNS0_4arch9wavefront6targetE1EEEvT1_
	.p2align	8
	.type	_ZN7rocprim17ROCPRIM_400000_NS6detail17trampoline_kernelINS0_14default_configENS1_25transform_config_selectorIbLb0EEEZNS1_14transform_implILb0ES3_S5_PbN6thrust23THRUST_200600_302600_NS6detail15normal_iteratorINS9_10device_ptrIbEEEENS0_8identityIbEEEE10hipError_tT2_T3_mT4_P12ihipStream_tbEUlT_E_NS1_11comp_targetILNS1_3genE0ELNS1_11target_archE4294967295ELNS1_3gpuE0ELNS1_3repE0EEENS1_30default_config_static_selectorELNS0_4arch9wavefront6targetE1EEEvT1_,@function
_ZN7rocprim17ROCPRIM_400000_NS6detail17trampoline_kernelINS0_14default_configENS1_25transform_config_selectorIbLb0EEEZNS1_14transform_implILb0ES3_S5_PbN6thrust23THRUST_200600_302600_NS6detail15normal_iteratorINS9_10device_ptrIbEEEENS0_8identityIbEEEE10hipError_tT2_T3_mT4_P12ihipStream_tbEUlT_E_NS1_11comp_targetILNS1_3genE0ELNS1_11target_archE4294967295ELNS1_3gpuE0ELNS1_3repE0EEENS1_30default_config_static_selectorELNS0_4arch9wavefront6targetE1EEEvT1_: ; @_ZN7rocprim17ROCPRIM_400000_NS6detail17trampoline_kernelINS0_14default_configENS1_25transform_config_selectorIbLb0EEEZNS1_14transform_implILb0ES3_S5_PbN6thrust23THRUST_200600_302600_NS6detail15normal_iteratorINS9_10device_ptrIbEEEENS0_8identityIbEEEE10hipError_tT2_T3_mT4_P12ihipStream_tbEUlT_E_NS1_11comp_targetILNS1_3genE0ELNS1_11target_archE4294967295ELNS1_3gpuE0ELNS1_3repE0EEENS1_30default_config_static_selectorELNS0_4arch9wavefront6targetE1EEEvT1_
; %bb.0:
	s_load_dwordx8 s[4:11], s[0:1], 0x0
	s_load_dword s3, s[0:1], 0x28
	s_waitcnt lgkmcnt(0)
	s_add_u32 s0, s4, s6
	s_addc_u32 s1, s5, s7
	s_add_u32 s20, s10, s6
	s_addc_u32 s21, s11, s7
	s_lshl_b32 s22, s2, 10
	s_add_i32 s3, s3, -1
	s_add_u32 s18, s0, s22
	s_addc_u32 s19, s1, 0
	s_cmp_lg_u32 s2, s3
	s_cbranch_scc0 .LBB1957_2
; %bb.1:
	global_load_ubyte v4, v0, s[18:19]
	global_load_ubyte v6, v0, s[18:19] offset:128
	global_load_ubyte v7, v0, s[18:19] offset:256
	;; [unrolled: 1-line block ×7, first 2 shown]
	s_add_u32 s2, s20, s22
	v_mov_b32_e32 v1, 0
	s_addc_u32 s3, s21, 0
	v_lshl_add_u64 v[2:3], s[2:3], 0, v[0:1]
	s_mov_b64 s[16:17], -1
	s_waitcnt vmcnt(7)
	flat_store_byte v[2:3], v4
	s_waitcnt vmcnt(0)
	flat_store_byte v[2:3], v6 offset:128
	flat_store_byte v[2:3], v7 offset:256
	;; [unrolled: 1-line block ×6, first 2 shown]
	s_cbranch_execz .LBB1957_3
	s_branch .LBB1957_29
.LBB1957_2:
	s_mov_b64 s[16:17], 0
                                        ; implicit-def: $vgpr5
                                        ; implicit-def: $vgpr2_vgpr3
.LBB1957_3:
	s_sub_i32 s14, s8, s22
	v_cmp_gt_u32_e32 vcc, s14, v0
	v_mov_b32_e32 v5, 0
	v_mov_b32_e32 v8, 0
	;; [unrolled: 1-line block ×7, first 2 shown]
	s_and_saveexec_b64 s[0:1], vcc
	s_cbranch_execz .LBB1957_5
; %bb.4:
	global_load_ubyte v8, v0, s[18:19]
	v_mov_b32_e32 v7, 0
	v_mov_b32_e32 v6, 0
	;; [unrolled: 1-line block ×5, first 2 shown]
.LBB1957_5:
	s_or_b64 exec, exec, s[0:1]
	v_or_b32_e32 v1, 0x80, v0
	v_cmp_gt_u32_e64 s[0:1], s14, v1
	v_mov_b32_e32 v9, v5
	s_and_saveexec_b64 s[2:3], s[0:1]
	s_cbranch_execz .LBB1957_7
; %bb.6:
	global_load_ubyte v9, v0, s[18:19] offset:128
.LBB1957_7:
	s_or_b64 exec, exec, s[2:3]
	v_or_b32_e32 v1, 0x100, v0
	v_cmp_gt_u32_e64 s[2:3], s14, v1
	s_and_saveexec_b64 s[4:5], s[2:3]
	s_cbranch_execz .LBB1957_9
; %bb.8:
	global_load_ubyte v5, v0, s[18:19] offset:256
.LBB1957_9:
	s_or_b64 exec, exec, s[4:5]
	v_or_b32_e32 v1, 0x180, v0
	v_cmp_gt_u32_e64 s[4:5], s14, v1
	;; [unrolled: 8-line block ×6, first 2 shown]
	v_cmp_le_u32_e64 s[14:15], s14, v1
	v_mov_b32_e32 v1, 0
	s_and_saveexec_b64 s[24:25], s[14:15]
	s_xor_b64 s[14:15], exec, s[24:25]
	s_andn2_saveexec_b64 s[14:15], s[14:15]
	s_cbranch_execz .LBB1957_19
; %bb.18:
	v_lshl_add_u64 v[10:11], s[18:19], 0, v[0:1]
	global_load_ubyte v2, v[10:11], off offset:896
.LBB1957_19:
	s_or_b64 exec, exec, s[14:15]
	s_waitcnt vmcnt(0)
	v_and_b32_e32 v8, 1, v8
	v_and_b32_e32 v8, 0xffff, v8
	v_mov_b32_e32 v10, 1
	v_cndmask_b32_e32 v8, 0, v8, vcc
	v_and_b32_sdwa v9, v9, v10 dst_sel:BYTE_1 dst_unused:UNUSED_PAD src0_sel:DWORD src1_sel:DWORD
	v_and_b32_e32 v6, 1, v6
	v_or_b32_e32 v9, v8, v9
	v_and_b32_e32 v9, 0xffff, v9
	v_cndmask_b32_e64 v8, v8, v9, s[0:1]
	v_and_b32_sdwa v5, v5, v10 dst_sel:WORD_1 dst_unused:UNUSED_PAD src0_sel:DWORD src1_sel:DWORD
	s_movk_i32 s15, 0x1ff
	v_and_b32_e32 v6, 0xffff, v6
	v_and_or_b32 v5, v8, s15, v5
	s_movk_i32 s15, 0xff
	v_cndmask_b32_e64 v6, 0, v6, s[6:7]
	v_and_b32_sdwa v4, v4, v10 dst_sel:BYTE_1 dst_unused:UNUSED_PAD src0_sel:DWORD src1_sel:DWORD
	s_movk_i32 s18, 0xff00
	v_bitop3_b16 v4, v6, v4, s15 bitop3:0xec
	v_and_b32_e32 v4, 0xffff, v4
	v_cndmask_b32_e64 v4, v6, v4, s[8:9]
	v_and_b32_sdwa v6, v4, s18 dst_sel:DWORD dst_unused:UNUSED_PAD src0_sel:WORD_1 src1_sel:DWORD
	v_bitop3_b16 v3, v3, v6, 1 bitop3:0xec
	s_mov_b32 s14, 0xffff
	v_lshlrev_b32_e32 v3, 16, v3
	v_and_or_b32 v3, v4, s14, v3
	v_cndmask_b32_e64 v5, v8, v5, s[2:3]
	v_cndmask_b32_e64 v3, v4, v3, s[10:11]
	v_lshrrev_b32_e32 v8, 16, v5
	v_and_b32_sdwa v7, v7, v10 dst_sel:BYTE_1 dst_unused:UNUSED_PAD src0_sel:DWORD src1_sel:DWORD
	v_lshrrev_b32_e32 v4, 16, v3
	v_and_b32_sdwa v2, v2, v10 dst_sel:BYTE_1 dst_unused:UNUSED_PAD src0_sel:DWORD src1_sel:DWORD
	v_bitop3_b16 v7, v8, v7, s15 bitop3:0xec
	v_bitop3_b16 v2, v4, v2, s15 bitop3:0xec
	v_lshlrev_b32_e32 v7, 16, v7
	v_lshlrev_b32_e32 v2, 16, v2
	v_and_or_b32 v7, v5, s14, v7
	v_and_or_b32 v2, v3, s14, v2
	s_add_u32 s14, s20, s22
	s_addc_u32 s15, s21, 0
	v_cndmask_b32_e64 v5, v5, v7, s[4:5]
	v_cndmask_b32_e64 v4, v3, v2, s[12:13]
	v_lshl_add_u64 v[2:3], s[14:15], 0, v[0:1]
	s_and_saveexec_b64 s[14:15], vcc
	s_cbranch_execnz .LBB1957_32
; %bb.20:
	s_or_b64 exec, exec, s[14:15]
	s_and_saveexec_b64 s[14:15], s[0:1]
	s_cbranch_execnz .LBB1957_33
.LBB1957_21:
	s_or_b64 exec, exec, s[14:15]
	s_and_saveexec_b64 s[0:1], s[2:3]
	s_cbranch_execnz .LBB1957_34
.LBB1957_22:
	s_or_b64 exec, exec, s[0:1]
	s_and_saveexec_b64 s[0:1], s[4:5]
	s_cbranch_execnz .LBB1957_35
.LBB1957_23:
	s_or_b64 exec, exec, s[0:1]
	s_and_saveexec_b64 s[0:1], s[6:7]
	s_cbranch_execnz .LBB1957_36
.LBB1957_24:
	s_or_b64 exec, exec, s[0:1]
	s_and_saveexec_b64 s[0:1], s[8:9]
	s_cbranch_execnz .LBB1957_37
.LBB1957_25:
	s_or_b64 exec, exec, s[0:1]
	s_and_saveexec_b64 s[0:1], s[10:11]
	s_cbranch_execnz .LBB1957_38
.LBB1957_26:
	s_or_b64 exec, exec, s[0:1]
                                        ; implicit-def: $vgpr5
	s_and_saveexec_b64 s[0:1], s[12:13]
.LBB1957_27:
	v_lshrrev_b32_e32 v5, 24, v4
	s_or_b64 s[16:17], s[16:17], exec
.LBB1957_28:
	s_or_b64 exec, exec, s[0:1]
.LBB1957_29:
	s_and_saveexec_b64 s[0:1], s[16:17]
	s_cbranch_execnz .LBB1957_31
; %bb.30:
	s_endpgm
.LBB1957_31:
	flat_store_byte v[2:3], v5 offset:896
	s_endpgm
.LBB1957_32:
	flat_store_byte v[2:3], v5
	s_or_b64 exec, exec, s[14:15]
	s_and_saveexec_b64 s[14:15], s[0:1]
	s_cbranch_execz .LBB1957_21
.LBB1957_33:
	v_lshrrev_b32_e32 v0, 8, v5
	flat_store_byte v[2:3], v0 offset:128
	s_or_b64 exec, exec, s[14:15]
	s_and_saveexec_b64 s[0:1], s[2:3]
	s_cbranch_execz .LBB1957_22
.LBB1957_34:
	flat_store_byte_d16_hi v[2:3], v5 offset:256
	s_or_b64 exec, exec, s[0:1]
	s_and_saveexec_b64 s[0:1], s[4:5]
	s_cbranch_execz .LBB1957_23
.LBB1957_35:
	v_lshrrev_b32_e32 v0, 24, v5
	flat_store_byte v[2:3], v0 offset:384
	s_or_b64 exec, exec, s[0:1]
	s_and_saveexec_b64 s[0:1], s[6:7]
	s_cbranch_execz .LBB1957_24
.LBB1957_36:
	flat_store_byte v[2:3], v4 offset:512
	s_or_b64 exec, exec, s[0:1]
	s_and_saveexec_b64 s[0:1], s[8:9]
	s_cbranch_execz .LBB1957_25
.LBB1957_37:
	v_lshrrev_b32_e32 v0, 8, v4
	flat_store_byte v[2:3], v0 offset:640
	s_or_b64 exec, exec, s[0:1]
	s_and_saveexec_b64 s[0:1], s[10:11]
	s_cbranch_execz .LBB1957_26
.LBB1957_38:
	flat_store_byte_d16_hi v[2:3], v4 offset:768
	s_or_b64 exec, exec, s[0:1]
                                        ; implicit-def: $vgpr5
	s_and_saveexec_b64 s[0:1], s[12:13]
	s_cbranch_execnz .LBB1957_27
	s_branch .LBB1957_28
	.section	.rodata,"a",@progbits
	.p2align	6, 0x0
	.amdhsa_kernel _ZN7rocprim17ROCPRIM_400000_NS6detail17trampoline_kernelINS0_14default_configENS1_25transform_config_selectorIbLb0EEEZNS1_14transform_implILb0ES3_S5_PbN6thrust23THRUST_200600_302600_NS6detail15normal_iteratorINS9_10device_ptrIbEEEENS0_8identityIbEEEE10hipError_tT2_T3_mT4_P12ihipStream_tbEUlT_E_NS1_11comp_targetILNS1_3genE0ELNS1_11target_archE4294967295ELNS1_3gpuE0ELNS1_3repE0EEENS1_30default_config_static_selectorELNS0_4arch9wavefront6targetE1EEEvT1_
		.amdhsa_group_segment_fixed_size 0
		.amdhsa_private_segment_fixed_size 0
		.amdhsa_kernarg_size 296
		.amdhsa_user_sgpr_count 2
		.amdhsa_user_sgpr_dispatch_ptr 0
		.amdhsa_user_sgpr_queue_ptr 0
		.amdhsa_user_sgpr_kernarg_segment_ptr 1
		.amdhsa_user_sgpr_dispatch_id 0
		.amdhsa_user_sgpr_kernarg_preload_length 0
		.amdhsa_user_sgpr_kernarg_preload_offset 0
		.amdhsa_user_sgpr_private_segment_size 0
		.amdhsa_uses_dynamic_stack 0
		.amdhsa_enable_private_segment 0
		.amdhsa_system_sgpr_workgroup_id_x 1
		.amdhsa_system_sgpr_workgroup_id_y 0
		.amdhsa_system_sgpr_workgroup_id_z 0
		.amdhsa_system_sgpr_workgroup_info 0
		.amdhsa_system_vgpr_workitem_id 0
		.amdhsa_next_free_vgpr 12
		.amdhsa_next_free_sgpr 26
		.amdhsa_accum_offset 12
		.amdhsa_reserve_vcc 1
		.amdhsa_float_round_mode_32 0
		.amdhsa_float_round_mode_16_64 0
		.amdhsa_float_denorm_mode_32 3
		.amdhsa_float_denorm_mode_16_64 3
		.amdhsa_dx10_clamp 1
		.amdhsa_ieee_mode 1
		.amdhsa_fp16_overflow 0
		.amdhsa_tg_split 0
		.amdhsa_exception_fp_ieee_invalid_op 0
		.amdhsa_exception_fp_denorm_src 0
		.amdhsa_exception_fp_ieee_div_zero 0
		.amdhsa_exception_fp_ieee_overflow 0
		.amdhsa_exception_fp_ieee_underflow 0
		.amdhsa_exception_fp_ieee_inexact 0
		.amdhsa_exception_int_div_zero 0
	.end_amdhsa_kernel
	.section	.text._ZN7rocprim17ROCPRIM_400000_NS6detail17trampoline_kernelINS0_14default_configENS1_25transform_config_selectorIbLb0EEEZNS1_14transform_implILb0ES3_S5_PbN6thrust23THRUST_200600_302600_NS6detail15normal_iteratorINS9_10device_ptrIbEEEENS0_8identityIbEEEE10hipError_tT2_T3_mT4_P12ihipStream_tbEUlT_E_NS1_11comp_targetILNS1_3genE0ELNS1_11target_archE4294967295ELNS1_3gpuE0ELNS1_3repE0EEENS1_30default_config_static_selectorELNS0_4arch9wavefront6targetE1EEEvT1_,"axG",@progbits,_ZN7rocprim17ROCPRIM_400000_NS6detail17trampoline_kernelINS0_14default_configENS1_25transform_config_selectorIbLb0EEEZNS1_14transform_implILb0ES3_S5_PbN6thrust23THRUST_200600_302600_NS6detail15normal_iteratorINS9_10device_ptrIbEEEENS0_8identityIbEEEE10hipError_tT2_T3_mT4_P12ihipStream_tbEUlT_E_NS1_11comp_targetILNS1_3genE0ELNS1_11target_archE4294967295ELNS1_3gpuE0ELNS1_3repE0EEENS1_30default_config_static_selectorELNS0_4arch9wavefront6targetE1EEEvT1_,comdat
.Lfunc_end1957:
	.size	_ZN7rocprim17ROCPRIM_400000_NS6detail17trampoline_kernelINS0_14default_configENS1_25transform_config_selectorIbLb0EEEZNS1_14transform_implILb0ES3_S5_PbN6thrust23THRUST_200600_302600_NS6detail15normal_iteratorINS9_10device_ptrIbEEEENS0_8identityIbEEEE10hipError_tT2_T3_mT4_P12ihipStream_tbEUlT_E_NS1_11comp_targetILNS1_3genE0ELNS1_11target_archE4294967295ELNS1_3gpuE0ELNS1_3repE0EEENS1_30default_config_static_selectorELNS0_4arch9wavefront6targetE1EEEvT1_, .Lfunc_end1957-_ZN7rocprim17ROCPRIM_400000_NS6detail17trampoline_kernelINS0_14default_configENS1_25transform_config_selectorIbLb0EEEZNS1_14transform_implILb0ES3_S5_PbN6thrust23THRUST_200600_302600_NS6detail15normal_iteratorINS9_10device_ptrIbEEEENS0_8identityIbEEEE10hipError_tT2_T3_mT4_P12ihipStream_tbEUlT_E_NS1_11comp_targetILNS1_3genE0ELNS1_11target_archE4294967295ELNS1_3gpuE0ELNS1_3repE0EEENS1_30default_config_static_selectorELNS0_4arch9wavefront6targetE1EEEvT1_
                                        ; -- End function
	.set _ZN7rocprim17ROCPRIM_400000_NS6detail17trampoline_kernelINS0_14default_configENS1_25transform_config_selectorIbLb0EEEZNS1_14transform_implILb0ES3_S5_PbN6thrust23THRUST_200600_302600_NS6detail15normal_iteratorINS9_10device_ptrIbEEEENS0_8identityIbEEEE10hipError_tT2_T3_mT4_P12ihipStream_tbEUlT_E_NS1_11comp_targetILNS1_3genE0ELNS1_11target_archE4294967295ELNS1_3gpuE0ELNS1_3repE0EEENS1_30default_config_static_selectorELNS0_4arch9wavefront6targetE1EEEvT1_.num_vgpr, 12
	.set _ZN7rocprim17ROCPRIM_400000_NS6detail17trampoline_kernelINS0_14default_configENS1_25transform_config_selectorIbLb0EEEZNS1_14transform_implILb0ES3_S5_PbN6thrust23THRUST_200600_302600_NS6detail15normal_iteratorINS9_10device_ptrIbEEEENS0_8identityIbEEEE10hipError_tT2_T3_mT4_P12ihipStream_tbEUlT_E_NS1_11comp_targetILNS1_3genE0ELNS1_11target_archE4294967295ELNS1_3gpuE0ELNS1_3repE0EEENS1_30default_config_static_selectorELNS0_4arch9wavefront6targetE1EEEvT1_.num_agpr, 0
	.set _ZN7rocprim17ROCPRIM_400000_NS6detail17trampoline_kernelINS0_14default_configENS1_25transform_config_selectorIbLb0EEEZNS1_14transform_implILb0ES3_S5_PbN6thrust23THRUST_200600_302600_NS6detail15normal_iteratorINS9_10device_ptrIbEEEENS0_8identityIbEEEE10hipError_tT2_T3_mT4_P12ihipStream_tbEUlT_E_NS1_11comp_targetILNS1_3genE0ELNS1_11target_archE4294967295ELNS1_3gpuE0ELNS1_3repE0EEENS1_30default_config_static_selectorELNS0_4arch9wavefront6targetE1EEEvT1_.numbered_sgpr, 26
	.set _ZN7rocprim17ROCPRIM_400000_NS6detail17trampoline_kernelINS0_14default_configENS1_25transform_config_selectorIbLb0EEEZNS1_14transform_implILb0ES3_S5_PbN6thrust23THRUST_200600_302600_NS6detail15normal_iteratorINS9_10device_ptrIbEEEENS0_8identityIbEEEE10hipError_tT2_T3_mT4_P12ihipStream_tbEUlT_E_NS1_11comp_targetILNS1_3genE0ELNS1_11target_archE4294967295ELNS1_3gpuE0ELNS1_3repE0EEENS1_30default_config_static_selectorELNS0_4arch9wavefront6targetE1EEEvT1_.num_named_barrier, 0
	.set _ZN7rocprim17ROCPRIM_400000_NS6detail17trampoline_kernelINS0_14default_configENS1_25transform_config_selectorIbLb0EEEZNS1_14transform_implILb0ES3_S5_PbN6thrust23THRUST_200600_302600_NS6detail15normal_iteratorINS9_10device_ptrIbEEEENS0_8identityIbEEEE10hipError_tT2_T3_mT4_P12ihipStream_tbEUlT_E_NS1_11comp_targetILNS1_3genE0ELNS1_11target_archE4294967295ELNS1_3gpuE0ELNS1_3repE0EEENS1_30default_config_static_selectorELNS0_4arch9wavefront6targetE1EEEvT1_.private_seg_size, 0
	.set _ZN7rocprim17ROCPRIM_400000_NS6detail17trampoline_kernelINS0_14default_configENS1_25transform_config_selectorIbLb0EEEZNS1_14transform_implILb0ES3_S5_PbN6thrust23THRUST_200600_302600_NS6detail15normal_iteratorINS9_10device_ptrIbEEEENS0_8identityIbEEEE10hipError_tT2_T3_mT4_P12ihipStream_tbEUlT_E_NS1_11comp_targetILNS1_3genE0ELNS1_11target_archE4294967295ELNS1_3gpuE0ELNS1_3repE0EEENS1_30default_config_static_selectorELNS0_4arch9wavefront6targetE1EEEvT1_.uses_vcc, 1
	.set _ZN7rocprim17ROCPRIM_400000_NS6detail17trampoline_kernelINS0_14default_configENS1_25transform_config_selectorIbLb0EEEZNS1_14transform_implILb0ES3_S5_PbN6thrust23THRUST_200600_302600_NS6detail15normal_iteratorINS9_10device_ptrIbEEEENS0_8identityIbEEEE10hipError_tT2_T3_mT4_P12ihipStream_tbEUlT_E_NS1_11comp_targetILNS1_3genE0ELNS1_11target_archE4294967295ELNS1_3gpuE0ELNS1_3repE0EEENS1_30default_config_static_selectorELNS0_4arch9wavefront6targetE1EEEvT1_.uses_flat_scratch, 0
	.set _ZN7rocprim17ROCPRIM_400000_NS6detail17trampoline_kernelINS0_14default_configENS1_25transform_config_selectorIbLb0EEEZNS1_14transform_implILb0ES3_S5_PbN6thrust23THRUST_200600_302600_NS6detail15normal_iteratorINS9_10device_ptrIbEEEENS0_8identityIbEEEE10hipError_tT2_T3_mT4_P12ihipStream_tbEUlT_E_NS1_11comp_targetILNS1_3genE0ELNS1_11target_archE4294967295ELNS1_3gpuE0ELNS1_3repE0EEENS1_30default_config_static_selectorELNS0_4arch9wavefront6targetE1EEEvT1_.has_dyn_sized_stack, 0
	.set _ZN7rocprim17ROCPRIM_400000_NS6detail17trampoline_kernelINS0_14default_configENS1_25transform_config_selectorIbLb0EEEZNS1_14transform_implILb0ES3_S5_PbN6thrust23THRUST_200600_302600_NS6detail15normal_iteratorINS9_10device_ptrIbEEEENS0_8identityIbEEEE10hipError_tT2_T3_mT4_P12ihipStream_tbEUlT_E_NS1_11comp_targetILNS1_3genE0ELNS1_11target_archE4294967295ELNS1_3gpuE0ELNS1_3repE0EEENS1_30default_config_static_selectorELNS0_4arch9wavefront6targetE1EEEvT1_.has_recursion, 0
	.set _ZN7rocprim17ROCPRIM_400000_NS6detail17trampoline_kernelINS0_14default_configENS1_25transform_config_selectorIbLb0EEEZNS1_14transform_implILb0ES3_S5_PbN6thrust23THRUST_200600_302600_NS6detail15normal_iteratorINS9_10device_ptrIbEEEENS0_8identityIbEEEE10hipError_tT2_T3_mT4_P12ihipStream_tbEUlT_E_NS1_11comp_targetILNS1_3genE0ELNS1_11target_archE4294967295ELNS1_3gpuE0ELNS1_3repE0EEENS1_30default_config_static_selectorELNS0_4arch9wavefront6targetE1EEEvT1_.has_indirect_call, 0
	.section	.AMDGPU.csdata,"",@progbits
; Kernel info:
; codeLenInByte = 1144
; TotalNumSgprs: 32
; NumVgprs: 12
; NumAgprs: 0
; TotalNumVgprs: 12
; ScratchSize: 0
; MemoryBound: 0
; FloatMode: 240
; IeeeMode: 1
; LDSByteSize: 0 bytes/workgroup (compile time only)
; SGPRBlocks: 3
; VGPRBlocks: 1
; NumSGPRsForWavesPerEU: 32
; NumVGPRsForWavesPerEU: 12
; AccumOffset: 12
; Occupancy: 8
; WaveLimiterHint : 1
; COMPUTE_PGM_RSRC2:SCRATCH_EN: 0
; COMPUTE_PGM_RSRC2:USER_SGPR: 2
; COMPUTE_PGM_RSRC2:TRAP_HANDLER: 0
; COMPUTE_PGM_RSRC2:TGID_X_EN: 1
; COMPUTE_PGM_RSRC2:TGID_Y_EN: 0
; COMPUTE_PGM_RSRC2:TGID_Z_EN: 0
; COMPUTE_PGM_RSRC2:TIDIG_COMP_CNT: 0
; COMPUTE_PGM_RSRC3_GFX90A:ACCUM_OFFSET: 2
; COMPUTE_PGM_RSRC3_GFX90A:TG_SPLIT: 0
	.section	.text._ZN7rocprim17ROCPRIM_400000_NS6detail17trampoline_kernelINS0_14default_configENS1_25transform_config_selectorIbLb0EEEZNS1_14transform_implILb0ES3_S5_PbN6thrust23THRUST_200600_302600_NS6detail15normal_iteratorINS9_10device_ptrIbEEEENS0_8identityIbEEEE10hipError_tT2_T3_mT4_P12ihipStream_tbEUlT_E_NS1_11comp_targetILNS1_3genE5ELNS1_11target_archE942ELNS1_3gpuE9ELNS1_3repE0EEENS1_30default_config_static_selectorELNS0_4arch9wavefront6targetE1EEEvT1_,"axG",@progbits,_ZN7rocprim17ROCPRIM_400000_NS6detail17trampoline_kernelINS0_14default_configENS1_25transform_config_selectorIbLb0EEEZNS1_14transform_implILb0ES3_S5_PbN6thrust23THRUST_200600_302600_NS6detail15normal_iteratorINS9_10device_ptrIbEEEENS0_8identityIbEEEE10hipError_tT2_T3_mT4_P12ihipStream_tbEUlT_E_NS1_11comp_targetILNS1_3genE5ELNS1_11target_archE942ELNS1_3gpuE9ELNS1_3repE0EEENS1_30default_config_static_selectorELNS0_4arch9wavefront6targetE1EEEvT1_,comdat
	.protected	_ZN7rocprim17ROCPRIM_400000_NS6detail17trampoline_kernelINS0_14default_configENS1_25transform_config_selectorIbLb0EEEZNS1_14transform_implILb0ES3_S5_PbN6thrust23THRUST_200600_302600_NS6detail15normal_iteratorINS9_10device_ptrIbEEEENS0_8identityIbEEEE10hipError_tT2_T3_mT4_P12ihipStream_tbEUlT_E_NS1_11comp_targetILNS1_3genE5ELNS1_11target_archE942ELNS1_3gpuE9ELNS1_3repE0EEENS1_30default_config_static_selectorELNS0_4arch9wavefront6targetE1EEEvT1_ ; -- Begin function _ZN7rocprim17ROCPRIM_400000_NS6detail17trampoline_kernelINS0_14default_configENS1_25transform_config_selectorIbLb0EEEZNS1_14transform_implILb0ES3_S5_PbN6thrust23THRUST_200600_302600_NS6detail15normal_iteratorINS9_10device_ptrIbEEEENS0_8identityIbEEEE10hipError_tT2_T3_mT4_P12ihipStream_tbEUlT_E_NS1_11comp_targetILNS1_3genE5ELNS1_11target_archE942ELNS1_3gpuE9ELNS1_3repE0EEENS1_30default_config_static_selectorELNS0_4arch9wavefront6targetE1EEEvT1_
	.globl	_ZN7rocprim17ROCPRIM_400000_NS6detail17trampoline_kernelINS0_14default_configENS1_25transform_config_selectorIbLb0EEEZNS1_14transform_implILb0ES3_S5_PbN6thrust23THRUST_200600_302600_NS6detail15normal_iteratorINS9_10device_ptrIbEEEENS0_8identityIbEEEE10hipError_tT2_T3_mT4_P12ihipStream_tbEUlT_E_NS1_11comp_targetILNS1_3genE5ELNS1_11target_archE942ELNS1_3gpuE9ELNS1_3repE0EEENS1_30default_config_static_selectorELNS0_4arch9wavefront6targetE1EEEvT1_
	.p2align	8
	.type	_ZN7rocprim17ROCPRIM_400000_NS6detail17trampoline_kernelINS0_14default_configENS1_25transform_config_selectorIbLb0EEEZNS1_14transform_implILb0ES3_S5_PbN6thrust23THRUST_200600_302600_NS6detail15normal_iteratorINS9_10device_ptrIbEEEENS0_8identityIbEEEE10hipError_tT2_T3_mT4_P12ihipStream_tbEUlT_E_NS1_11comp_targetILNS1_3genE5ELNS1_11target_archE942ELNS1_3gpuE9ELNS1_3repE0EEENS1_30default_config_static_selectorELNS0_4arch9wavefront6targetE1EEEvT1_,@function
_ZN7rocprim17ROCPRIM_400000_NS6detail17trampoline_kernelINS0_14default_configENS1_25transform_config_selectorIbLb0EEEZNS1_14transform_implILb0ES3_S5_PbN6thrust23THRUST_200600_302600_NS6detail15normal_iteratorINS9_10device_ptrIbEEEENS0_8identityIbEEEE10hipError_tT2_T3_mT4_P12ihipStream_tbEUlT_E_NS1_11comp_targetILNS1_3genE5ELNS1_11target_archE942ELNS1_3gpuE9ELNS1_3repE0EEENS1_30default_config_static_selectorELNS0_4arch9wavefront6targetE1EEEvT1_: ; @_ZN7rocprim17ROCPRIM_400000_NS6detail17trampoline_kernelINS0_14default_configENS1_25transform_config_selectorIbLb0EEEZNS1_14transform_implILb0ES3_S5_PbN6thrust23THRUST_200600_302600_NS6detail15normal_iteratorINS9_10device_ptrIbEEEENS0_8identityIbEEEE10hipError_tT2_T3_mT4_P12ihipStream_tbEUlT_E_NS1_11comp_targetILNS1_3genE5ELNS1_11target_archE942ELNS1_3gpuE9ELNS1_3repE0EEENS1_30default_config_static_selectorELNS0_4arch9wavefront6targetE1EEEvT1_
; %bb.0:
	.section	.rodata,"a",@progbits
	.p2align	6, 0x0
	.amdhsa_kernel _ZN7rocprim17ROCPRIM_400000_NS6detail17trampoline_kernelINS0_14default_configENS1_25transform_config_selectorIbLb0EEEZNS1_14transform_implILb0ES3_S5_PbN6thrust23THRUST_200600_302600_NS6detail15normal_iteratorINS9_10device_ptrIbEEEENS0_8identityIbEEEE10hipError_tT2_T3_mT4_P12ihipStream_tbEUlT_E_NS1_11comp_targetILNS1_3genE5ELNS1_11target_archE942ELNS1_3gpuE9ELNS1_3repE0EEENS1_30default_config_static_selectorELNS0_4arch9wavefront6targetE1EEEvT1_
		.amdhsa_group_segment_fixed_size 0
		.amdhsa_private_segment_fixed_size 0
		.amdhsa_kernarg_size 40
		.amdhsa_user_sgpr_count 2
		.amdhsa_user_sgpr_dispatch_ptr 0
		.amdhsa_user_sgpr_queue_ptr 0
		.amdhsa_user_sgpr_kernarg_segment_ptr 1
		.amdhsa_user_sgpr_dispatch_id 0
		.amdhsa_user_sgpr_kernarg_preload_length 0
		.amdhsa_user_sgpr_kernarg_preload_offset 0
		.amdhsa_user_sgpr_private_segment_size 0
		.amdhsa_uses_dynamic_stack 0
		.amdhsa_enable_private_segment 0
		.amdhsa_system_sgpr_workgroup_id_x 1
		.amdhsa_system_sgpr_workgroup_id_y 0
		.amdhsa_system_sgpr_workgroup_id_z 0
		.amdhsa_system_sgpr_workgroup_info 0
		.amdhsa_system_vgpr_workitem_id 0
		.amdhsa_next_free_vgpr 1
		.amdhsa_next_free_sgpr 0
		.amdhsa_accum_offset 4
		.amdhsa_reserve_vcc 0
		.amdhsa_float_round_mode_32 0
		.amdhsa_float_round_mode_16_64 0
		.amdhsa_float_denorm_mode_32 3
		.amdhsa_float_denorm_mode_16_64 3
		.amdhsa_dx10_clamp 1
		.amdhsa_ieee_mode 1
		.amdhsa_fp16_overflow 0
		.amdhsa_tg_split 0
		.amdhsa_exception_fp_ieee_invalid_op 0
		.amdhsa_exception_fp_denorm_src 0
		.amdhsa_exception_fp_ieee_div_zero 0
		.amdhsa_exception_fp_ieee_overflow 0
		.amdhsa_exception_fp_ieee_underflow 0
		.amdhsa_exception_fp_ieee_inexact 0
		.amdhsa_exception_int_div_zero 0
	.end_amdhsa_kernel
	.section	.text._ZN7rocprim17ROCPRIM_400000_NS6detail17trampoline_kernelINS0_14default_configENS1_25transform_config_selectorIbLb0EEEZNS1_14transform_implILb0ES3_S5_PbN6thrust23THRUST_200600_302600_NS6detail15normal_iteratorINS9_10device_ptrIbEEEENS0_8identityIbEEEE10hipError_tT2_T3_mT4_P12ihipStream_tbEUlT_E_NS1_11comp_targetILNS1_3genE5ELNS1_11target_archE942ELNS1_3gpuE9ELNS1_3repE0EEENS1_30default_config_static_selectorELNS0_4arch9wavefront6targetE1EEEvT1_,"axG",@progbits,_ZN7rocprim17ROCPRIM_400000_NS6detail17trampoline_kernelINS0_14default_configENS1_25transform_config_selectorIbLb0EEEZNS1_14transform_implILb0ES3_S5_PbN6thrust23THRUST_200600_302600_NS6detail15normal_iteratorINS9_10device_ptrIbEEEENS0_8identityIbEEEE10hipError_tT2_T3_mT4_P12ihipStream_tbEUlT_E_NS1_11comp_targetILNS1_3genE5ELNS1_11target_archE942ELNS1_3gpuE9ELNS1_3repE0EEENS1_30default_config_static_selectorELNS0_4arch9wavefront6targetE1EEEvT1_,comdat
.Lfunc_end1958:
	.size	_ZN7rocprim17ROCPRIM_400000_NS6detail17trampoline_kernelINS0_14default_configENS1_25transform_config_selectorIbLb0EEEZNS1_14transform_implILb0ES3_S5_PbN6thrust23THRUST_200600_302600_NS6detail15normal_iteratorINS9_10device_ptrIbEEEENS0_8identityIbEEEE10hipError_tT2_T3_mT4_P12ihipStream_tbEUlT_E_NS1_11comp_targetILNS1_3genE5ELNS1_11target_archE942ELNS1_3gpuE9ELNS1_3repE0EEENS1_30default_config_static_selectorELNS0_4arch9wavefront6targetE1EEEvT1_, .Lfunc_end1958-_ZN7rocprim17ROCPRIM_400000_NS6detail17trampoline_kernelINS0_14default_configENS1_25transform_config_selectorIbLb0EEEZNS1_14transform_implILb0ES3_S5_PbN6thrust23THRUST_200600_302600_NS6detail15normal_iteratorINS9_10device_ptrIbEEEENS0_8identityIbEEEE10hipError_tT2_T3_mT4_P12ihipStream_tbEUlT_E_NS1_11comp_targetILNS1_3genE5ELNS1_11target_archE942ELNS1_3gpuE9ELNS1_3repE0EEENS1_30default_config_static_selectorELNS0_4arch9wavefront6targetE1EEEvT1_
                                        ; -- End function
	.set _ZN7rocprim17ROCPRIM_400000_NS6detail17trampoline_kernelINS0_14default_configENS1_25transform_config_selectorIbLb0EEEZNS1_14transform_implILb0ES3_S5_PbN6thrust23THRUST_200600_302600_NS6detail15normal_iteratorINS9_10device_ptrIbEEEENS0_8identityIbEEEE10hipError_tT2_T3_mT4_P12ihipStream_tbEUlT_E_NS1_11comp_targetILNS1_3genE5ELNS1_11target_archE942ELNS1_3gpuE9ELNS1_3repE0EEENS1_30default_config_static_selectorELNS0_4arch9wavefront6targetE1EEEvT1_.num_vgpr, 0
	.set _ZN7rocprim17ROCPRIM_400000_NS6detail17trampoline_kernelINS0_14default_configENS1_25transform_config_selectorIbLb0EEEZNS1_14transform_implILb0ES3_S5_PbN6thrust23THRUST_200600_302600_NS6detail15normal_iteratorINS9_10device_ptrIbEEEENS0_8identityIbEEEE10hipError_tT2_T3_mT4_P12ihipStream_tbEUlT_E_NS1_11comp_targetILNS1_3genE5ELNS1_11target_archE942ELNS1_3gpuE9ELNS1_3repE0EEENS1_30default_config_static_selectorELNS0_4arch9wavefront6targetE1EEEvT1_.num_agpr, 0
	.set _ZN7rocprim17ROCPRIM_400000_NS6detail17trampoline_kernelINS0_14default_configENS1_25transform_config_selectorIbLb0EEEZNS1_14transform_implILb0ES3_S5_PbN6thrust23THRUST_200600_302600_NS6detail15normal_iteratorINS9_10device_ptrIbEEEENS0_8identityIbEEEE10hipError_tT2_T3_mT4_P12ihipStream_tbEUlT_E_NS1_11comp_targetILNS1_3genE5ELNS1_11target_archE942ELNS1_3gpuE9ELNS1_3repE0EEENS1_30default_config_static_selectorELNS0_4arch9wavefront6targetE1EEEvT1_.numbered_sgpr, 0
	.set _ZN7rocprim17ROCPRIM_400000_NS6detail17trampoline_kernelINS0_14default_configENS1_25transform_config_selectorIbLb0EEEZNS1_14transform_implILb0ES3_S5_PbN6thrust23THRUST_200600_302600_NS6detail15normal_iteratorINS9_10device_ptrIbEEEENS0_8identityIbEEEE10hipError_tT2_T3_mT4_P12ihipStream_tbEUlT_E_NS1_11comp_targetILNS1_3genE5ELNS1_11target_archE942ELNS1_3gpuE9ELNS1_3repE0EEENS1_30default_config_static_selectorELNS0_4arch9wavefront6targetE1EEEvT1_.num_named_barrier, 0
	.set _ZN7rocprim17ROCPRIM_400000_NS6detail17trampoline_kernelINS0_14default_configENS1_25transform_config_selectorIbLb0EEEZNS1_14transform_implILb0ES3_S5_PbN6thrust23THRUST_200600_302600_NS6detail15normal_iteratorINS9_10device_ptrIbEEEENS0_8identityIbEEEE10hipError_tT2_T3_mT4_P12ihipStream_tbEUlT_E_NS1_11comp_targetILNS1_3genE5ELNS1_11target_archE942ELNS1_3gpuE9ELNS1_3repE0EEENS1_30default_config_static_selectorELNS0_4arch9wavefront6targetE1EEEvT1_.private_seg_size, 0
	.set _ZN7rocprim17ROCPRIM_400000_NS6detail17trampoline_kernelINS0_14default_configENS1_25transform_config_selectorIbLb0EEEZNS1_14transform_implILb0ES3_S5_PbN6thrust23THRUST_200600_302600_NS6detail15normal_iteratorINS9_10device_ptrIbEEEENS0_8identityIbEEEE10hipError_tT2_T3_mT4_P12ihipStream_tbEUlT_E_NS1_11comp_targetILNS1_3genE5ELNS1_11target_archE942ELNS1_3gpuE9ELNS1_3repE0EEENS1_30default_config_static_selectorELNS0_4arch9wavefront6targetE1EEEvT1_.uses_vcc, 0
	.set _ZN7rocprim17ROCPRIM_400000_NS6detail17trampoline_kernelINS0_14default_configENS1_25transform_config_selectorIbLb0EEEZNS1_14transform_implILb0ES3_S5_PbN6thrust23THRUST_200600_302600_NS6detail15normal_iteratorINS9_10device_ptrIbEEEENS0_8identityIbEEEE10hipError_tT2_T3_mT4_P12ihipStream_tbEUlT_E_NS1_11comp_targetILNS1_3genE5ELNS1_11target_archE942ELNS1_3gpuE9ELNS1_3repE0EEENS1_30default_config_static_selectorELNS0_4arch9wavefront6targetE1EEEvT1_.uses_flat_scratch, 0
	.set _ZN7rocprim17ROCPRIM_400000_NS6detail17trampoline_kernelINS0_14default_configENS1_25transform_config_selectorIbLb0EEEZNS1_14transform_implILb0ES3_S5_PbN6thrust23THRUST_200600_302600_NS6detail15normal_iteratorINS9_10device_ptrIbEEEENS0_8identityIbEEEE10hipError_tT2_T3_mT4_P12ihipStream_tbEUlT_E_NS1_11comp_targetILNS1_3genE5ELNS1_11target_archE942ELNS1_3gpuE9ELNS1_3repE0EEENS1_30default_config_static_selectorELNS0_4arch9wavefront6targetE1EEEvT1_.has_dyn_sized_stack, 0
	.set _ZN7rocprim17ROCPRIM_400000_NS6detail17trampoline_kernelINS0_14default_configENS1_25transform_config_selectorIbLb0EEEZNS1_14transform_implILb0ES3_S5_PbN6thrust23THRUST_200600_302600_NS6detail15normal_iteratorINS9_10device_ptrIbEEEENS0_8identityIbEEEE10hipError_tT2_T3_mT4_P12ihipStream_tbEUlT_E_NS1_11comp_targetILNS1_3genE5ELNS1_11target_archE942ELNS1_3gpuE9ELNS1_3repE0EEENS1_30default_config_static_selectorELNS0_4arch9wavefront6targetE1EEEvT1_.has_recursion, 0
	.set _ZN7rocprim17ROCPRIM_400000_NS6detail17trampoline_kernelINS0_14default_configENS1_25transform_config_selectorIbLb0EEEZNS1_14transform_implILb0ES3_S5_PbN6thrust23THRUST_200600_302600_NS6detail15normal_iteratorINS9_10device_ptrIbEEEENS0_8identityIbEEEE10hipError_tT2_T3_mT4_P12ihipStream_tbEUlT_E_NS1_11comp_targetILNS1_3genE5ELNS1_11target_archE942ELNS1_3gpuE9ELNS1_3repE0EEENS1_30default_config_static_selectorELNS0_4arch9wavefront6targetE1EEEvT1_.has_indirect_call, 0
	.section	.AMDGPU.csdata,"",@progbits
; Kernel info:
; codeLenInByte = 0
; TotalNumSgprs: 6
; NumVgprs: 0
; NumAgprs: 0
; TotalNumVgprs: 0
; ScratchSize: 0
; MemoryBound: 0
; FloatMode: 240
; IeeeMode: 1
; LDSByteSize: 0 bytes/workgroup (compile time only)
; SGPRBlocks: 0
; VGPRBlocks: 0
; NumSGPRsForWavesPerEU: 6
; NumVGPRsForWavesPerEU: 1
; AccumOffset: 4
; Occupancy: 8
; WaveLimiterHint : 0
; COMPUTE_PGM_RSRC2:SCRATCH_EN: 0
; COMPUTE_PGM_RSRC2:USER_SGPR: 2
; COMPUTE_PGM_RSRC2:TRAP_HANDLER: 0
; COMPUTE_PGM_RSRC2:TGID_X_EN: 1
; COMPUTE_PGM_RSRC2:TGID_Y_EN: 0
; COMPUTE_PGM_RSRC2:TGID_Z_EN: 0
; COMPUTE_PGM_RSRC2:TIDIG_COMP_CNT: 0
; COMPUTE_PGM_RSRC3_GFX90A:ACCUM_OFFSET: 0
; COMPUTE_PGM_RSRC3_GFX90A:TG_SPLIT: 0
	.section	.text._ZN7rocprim17ROCPRIM_400000_NS6detail17trampoline_kernelINS0_14default_configENS1_25transform_config_selectorIbLb0EEEZNS1_14transform_implILb0ES3_S5_PbN6thrust23THRUST_200600_302600_NS6detail15normal_iteratorINS9_10device_ptrIbEEEENS0_8identityIbEEEE10hipError_tT2_T3_mT4_P12ihipStream_tbEUlT_E_NS1_11comp_targetILNS1_3genE4ELNS1_11target_archE910ELNS1_3gpuE8ELNS1_3repE0EEENS1_30default_config_static_selectorELNS0_4arch9wavefront6targetE1EEEvT1_,"axG",@progbits,_ZN7rocprim17ROCPRIM_400000_NS6detail17trampoline_kernelINS0_14default_configENS1_25transform_config_selectorIbLb0EEEZNS1_14transform_implILb0ES3_S5_PbN6thrust23THRUST_200600_302600_NS6detail15normal_iteratorINS9_10device_ptrIbEEEENS0_8identityIbEEEE10hipError_tT2_T3_mT4_P12ihipStream_tbEUlT_E_NS1_11comp_targetILNS1_3genE4ELNS1_11target_archE910ELNS1_3gpuE8ELNS1_3repE0EEENS1_30default_config_static_selectorELNS0_4arch9wavefront6targetE1EEEvT1_,comdat
	.protected	_ZN7rocprim17ROCPRIM_400000_NS6detail17trampoline_kernelINS0_14default_configENS1_25transform_config_selectorIbLb0EEEZNS1_14transform_implILb0ES3_S5_PbN6thrust23THRUST_200600_302600_NS6detail15normal_iteratorINS9_10device_ptrIbEEEENS0_8identityIbEEEE10hipError_tT2_T3_mT4_P12ihipStream_tbEUlT_E_NS1_11comp_targetILNS1_3genE4ELNS1_11target_archE910ELNS1_3gpuE8ELNS1_3repE0EEENS1_30default_config_static_selectorELNS0_4arch9wavefront6targetE1EEEvT1_ ; -- Begin function _ZN7rocprim17ROCPRIM_400000_NS6detail17trampoline_kernelINS0_14default_configENS1_25transform_config_selectorIbLb0EEEZNS1_14transform_implILb0ES3_S5_PbN6thrust23THRUST_200600_302600_NS6detail15normal_iteratorINS9_10device_ptrIbEEEENS0_8identityIbEEEE10hipError_tT2_T3_mT4_P12ihipStream_tbEUlT_E_NS1_11comp_targetILNS1_3genE4ELNS1_11target_archE910ELNS1_3gpuE8ELNS1_3repE0EEENS1_30default_config_static_selectorELNS0_4arch9wavefront6targetE1EEEvT1_
	.globl	_ZN7rocprim17ROCPRIM_400000_NS6detail17trampoline_kernelINS0_14default_configENS1_25transform_config_selectorIbLb0EEEZNS1_14transform_implILb0ES3_S5_PbN6thrust23THRUST_200600_302600_NS6detail15normal_iteratorINS9_10device_ptrIbEEEENS0_8identityIbEEEE10hipError_tT2_T3_mT4_P12ihipStream_tbEUlT_E_NS1_11comp_targetILNS1_3genE4ELNS1_11target_archE910ELNS1_3gpuE8ELNS1_3repE0EEENS1_30default_config_static_selectorELNS0_4arch9wavefront6targetE1EEEvT1_
	.p2align	8
	.type	_ZN7rocprim17ROCPRIM_400000_NS6detail17trampoline_kernelINS0_14default_configENS1_25transform_config_selectorIbLb0EEEZNS1_14transform_implILb0ES3_S5_PbN6thrust23THRUST_200600_302600_NS6detail15normal_iteratorINS9_10device_ptrIbEEEENS0_8identityIbEEEE10hipError_tT2_T3_mT4_P12ihipStream_tbEUlT_E_NS1_11comp_targetILNS1_3genE4ELNS1_11target_archE910ELNS1_3gpuE8ELNS1_3repE0EEENS1_30default_config_static_selectorELNS0_4arch9wavefront6targetE1EEEvT1_,@function
_ZN7rocprim17ROCPRIM_400000_NS6detail17trampoline_kernelINS0_14default_configENS1_25transform_config_selectorIbLb0EEEZNS1_14transform_implILb0ES3_S5_PbN6thrust23THRUST_200600_302600_NS6detail15normal_iteratorINS9_10device_ptrIbEEEENS0_8identityIbEEEE10hipError_tT2_T3_mT4_P12ihipStream_tbEUlT_E_NS1_11comp_targetILNS1_3genE4ELNS1_11target_archE910ELNS1_3gpuE8ELNS1_3repE0EEENS1_30default_config_static_selectorELNS0_4arch9wavefront6targetE1EEEvT1_: ; @_ZN7rocprim17ROCPRIM_400000_NS6detail17trampoline_kernelINS0_14default_configENS1_25transform_config_selectorIbLb0EEEZNS1_14transform_implILb0ES3_S5_PbN6thrust23THRUST_200600_302600_NS6detail15normal_iteratorINS9_10device_ptrIbEEEENS0_8identityIbEEEE10hipError_tT2_T3_mT4_P12ihipStream_tbEUlT_E_NS1_11comp_targetILNS1_3genE4ELNS1_11target_archE910ELNS1_3gpuE8ELNS1_3repE0EEENS1_30default_config_static_selectorELNS0_4arch9wavefront6targetE1EEEvT1_
; %bb.0:
	.section	.rodata,"a",@progbits
	.p2align	6, 0x0
	.amdhsa_kernel _ZN7rocprim17ROCPRIM_400000_NS6detail17trampoline_kernelINS0_14default_configENS1_25transform_config_selectorIbLb0EEEZNS1_14transform_implILb0ES3_S5_PbN6thrust23THRUST_200600_302600_NS6detail15normal_iteratorINS9_10device_ptrIbEEEENS0_8identityIbEEEE10hipError_tT2_T3_mT4_P12ihipStream_tbEUlT_E_NS1_11comp_targetILNS1_3genE4ELNS1_11target_archE910ELNS1_3gpuE8ELNS1_3repE0EEENS1_30default_config_static_selectorELNS0_4arch9wavefront6targetE1EEEvT1_
		.amdhsa_group_segment_fixed_size 0
		.amdhsa_private_segment_fixed_size 0
		.amdhsa_kernarg_size 40
		.amdhsa_user_sgpr_count 2
		.amdhsa_user_sgpr_dispatch_ptr 0
		.amdhsa_user_sgpr_queue_ptr 0
		.amdhsa_user_sgpr_kernarg_segment_ptr 1
		.amdhsa_user_sgpr_dispatch_id 0
		.amdhsa_user_sgpr_kernarg_preload_length 0
		.amdhsa_user_sgpr_kernarg_preload_offset 0
		.amdhsa_user_sgpr_private_segment_size 0
		.amdhsa_uses_dynamic_stack 0
		.amdhsa_enable_private_segment 0
		.amdhsa_system_sgpr_workgroup_id_x 1
		.amdhsa_system_sgpr_workgroup_id_y 0
		.amdhsa_system_sgpr_workgroup_id_z 0
		.amdhsa_system_sgpr_workgroup_info 0
		.amdhsa_system_vgpr_workitem_id 0
		.amdhsa_next_free_vgpr 1
		.amdhsa_next_free_sgpr 0
		.amdhsa_accum_offset 4
		.amdhsa_reserve_vcc 0
		.amdhsa_float_round_mode_32 0
		.amdhsa_float_round_mode_16_64 0
		.amdhsa_float_denorm_mode_32 3
		.amdhsa_float_denorm_mode_16_64 3
		.amdhsa_dx10_clamp 1
		.amdhsa_ieee_mode 1
		.amdhsa_fp16_overflow 0
		.amdhsa_tg_split 0
		.amdhsa_exception_fp_ieee_invalid_op 0
		.amdhsa_exception_fp_denorm_src 0
		.amdhsa_exception_fp_ieee_div_zero 0
		.amdhsa_exception_fp_ieee_overflow 0
		.amdhsa_exception_fp_ieee_underflow 0
		.amdhsa_exception_fp_ieee_inexact 0
		.amdhsa_exception_int_div_zero 0
	.end_amdhsa_kernel
	.section	.text._ZN7rocprim17ROCPRIM_400000_NS6detail17trampoline_kernelINS0_14default_configENS1_25transform_config_selectorIbLb0EEEZNS1_14transform_implILb0ES3_S5_PbN6thrust23THRUST_200600_302600_NS6detail15normal_iteratorINS9_10device_ptrIbEEEENS0_8identityIbEEEE10hipError_tT2_T3_mT4_P12ihipStream_tbEUlT_E_NS1_11comp_targetILNS1_3genE4ELNS1_11target_archE910ELNS1_3gpuE8ELNS1_3repE0EEENS1_30default_config_static_selectorELNS0_4arch9wavefront6targetE1EEEvT1_,"axG",@progbits,_ZN7rocprim17ROCPRIM_400000_NS6detail17trampoline_kernelINS0_14default_configENS1_25transform_config_selectorIbLb0EEEZNS1_14transform_implILb0ES3_S5_PbN6thrust23THRUST_200600_302600_NS6detail15normal_iteratorINS9_10device_ptrIbEEEENS0_8identityIbEEEE10hipError_tT2_T3_mT4_P12ihipStream_tbEUlT_E_NS1_11comp_targetILNS1_3genE4ELNS1_11target_archE910ELNS1_3gpuE8ELNS1_3repE0EEENS1_30default_config_static_selectorELNS0_4arch9wavefront6targetE1EEEvT1_,comdat
.Lfunc_end1959:
	.size	_ZN7rocprim17ROCPRIM_400000_NS6detail17trampoline_kernelINS0_14default_configENS1_25transform_config_selectorIbLb0EEEZNS1_14transform_implILb0ES3_S5_PbN6thrust23THRUST_200600_302600_NS6detail15normal_iteratorINS9_10device_ptrIbEEEENS0_8identityIbEEEE10hipError_tT2_T3_mT4_P12ihipStream_tbEUlT_E_NS1_11comp_targetILNS1_3genE4ELNS1_11target_archE910ELNS1_3gpuE8ELNS1_3repE0EEENS1_30default_config_static_selectorELNS0_4arch9wavefront6targetE1EEEvT1_, .Lfunc_end1959-_ZN7rocprim17ROCPRIM_400000_NS6detail17trampoline_kernelINS0_14default_configENS1_25transform_config_selectorIbLb0EEEZNS1_14transform_implILb0ES3_S5_PbN6thrust23THRUST_200600_302600_NS6detail15normal_iteratorINS9_10device_ptrIbEEEENS0_8identityIbEEEE10hipError_tT2_T3_mT4_P12ihipStream_tbEUlT_E_NS1_11comp_targetILNS1_3genE4ELNS1_11target_archE910ELNS1_3gpuE8ELNS1_3repE0EEENS1_30default_config_static_selectorELNS0_4arch9wavefront6targetE1EEEvT1_
                                        ; -- End function
	.set _ZN7rocprim17ROCPRIM_400000_NS6detail17trampoline_kernelINS0_14default_configENS1_25transform_config_selectorIbLb0EEEZNS1_14transform_implILb0ES3_S5_PbN6thrust23THRUST_200600_302600_NS6detail15normal_iteratorINS9_10device_ptrIbEEEENS0_8identityIbEEEE10hipError_tT2_T3_mT4_P12ihipStream_tbEUlT_E_NS1_11comp_targetILNS1_3genE4ELNS1_11target_archE910ELNS1_3gpuE8ELNS1_3repE0EEENS1_30default_config_static_selectorELNS0_4arch9wavefront6targetE1EEEvT1_.num_vgpr, 0
	.set _ZN7rocprim17ROCPRIM_400000_NS6detail17trampoline_kernelINS0_14default_configENS1_25transform_config_selectorIbLb0EEEZNS1_14transform_implILb0ES3_S5_PbN6thrust23THRUST_200600_302600_NS6detail15normal_iteratorINS9_10device_ptrIbEEEENS0_8identityIbEEEE10hipError_tT2_T3_mT4_P12ihipStream_tbEUlT_E_NS1_11comp_targetILNS1_3genE4ELNS1_11target_archE910ELNS1_3gpuE8ELNS1_3repE0EEENS1_30default_config_static_selectorELNS0_4arch9wavefront6targetE1EEEvT1_.num_agpr, 0
	.set _ZN7rocprim17ROCPRIM_400000_NS6detail17trampoline_kernelINS0_14default_configENS1_25transform_config_selectorIbLb0EEEZNS1_14transform_implILb0ES3_S5_PbN6thrust23THRUST_200600_302600_NS6detail15normal_iteratorINS9_10device_ptrIbEEEENS0_8identityIbEEEE10hipError_tT2_T3_mT4_P12ihipStream_tbEUlT_E_NS1_11comp_targetILNS1_3genE4ELNS1_11target_archE910ELNS1_3gpuE8ELNS1_3repE0EEENS1_30default_config_static_selectorELNS0_4arch9wavefront6targetE1EEEvT1_.numbered_sgpr, 0
	.set _ZN7rocprim17ROCPRIM_400000_NS6detail17trampoline_kernelINS0_14default_configENS1_25transform_config_selectorIbLb0EEEZNS1_14transform_implILb0ES3_S5_PbN6thrust23THRUST_200600_302600_NS6detail15normal_iteratorINS9_10device_ptrIbEEEENS0_8identityIbEEEE10hipError_tT2_T3_mT4_P12ihipStream_tbEUlT_E_NS1_11comp_targetILNS1_3genE4ELNS1_11target_archE910ELNS1_3gpuE8ELNS1_3repE0EEENS1_30default_config_static_selectorELNS0_4arch9wavefront6targetE1EEEvT1_.num_named_barrier, 0
	.set _ZN7rocprim17ROCPRIM_400000_NS6detail17trampoline_kernelINS0_14default_configENS1_25transform_config_selectorIbLb0EEEZNS1_14transform_implILb0ES3_S5_PbN6thrust23THRUST_200600_302600_NS6detail15normal_iteratorINS9_10device_ptrIbEEEENS0_8identityIbEEEE10hipError_tT2_T3_mT4_P12ihipStream_tbEUlT_E_NS1_11comp_targetILNS1_3genE4ELNS1_11target_archE910ELNS1_3gpuE8ELNS1_3repE0EEENS1_30default_config_static_selectorELNS0_4arch9wavefront6targetE1EEEvT1_.private_seg_size, 0
	.set _ZN7rocprim17ROCPRIM_400000_NS6detail17trampoline_kernelINS0_14default_configENS1_25transform_config_selectorIbLb0EEEZNS1_14transform_implILb0ES3_S5_PbN6thrust23THRUST_200600_302600_NS6detail15normal_iteratorINS9_10device_ptrIbEEEENS0_8identityIbEEEE10hipError_tT2_T3_mT4_P12ihipStream_tbEUlT_E_NS1_11comp_targetILNS1_3genE4ELNS1_11target_archE910ELNS1_3gpuE8ELNS1_3repE0EEENS1_30default_config_static_selectorELNS0_4arch9wavefront6targetE1EEEvT1_.uses_vcc, 0
	.set _ZN7rocprim17ROCPRIM_400000_NS6detail17trampoline_kernelINS0_14default_configENS1_25transform_config_selectorIbLb0EEEZNS1_14transform_implILb0ES3_S5_PbN6thrust23THRUST_200600_302600_NS6detail15normal_iteratorINS9_10device_ptrIbEEEENS0_8identityIbEEEE10hipError_tT2_T3_mT4_P12ihipStream_tbEUlT_E_NS1_11comp_targetILNS1_3genE4ELNS1_11target_archE910ELNS1_3gpuE8ELNS1_3repE0EEENS1_30default_config_static_selectorELNS0_4arch9wavefront6targetE1EEEvT1_.uses_flat_scratch, 0
	.set _ZN7rocprim17ROCPRIM_400000_NS6detail17trampoline_kernelINS0_14default_configENS1_25transform_config_selectorIbLb0EEEZNS1_14transform_implILb0ES3_S5_PbN6thrust23THRUST_200600_302600_NS6detail15normal_iteratorINS9_10device_ptrIbEEEENS0_8identityIbEEEE10hipError_tT2_T3_mT4_P12ihipStream_tbEUlT_E_NS1_11comp_targetILNS1_3genE4ELNS1_11target_archE910ELNS1_3gpuE8ELNS1_3repE0EEENS1_30default_config_static_selectorELNS0_4arch9wavefront6targetE1EEEvT1_.has_dyn_sized_stack, 0
	.set _ZN7rocprim17ROCPRIM_400000_NS6detail17trampoline_kernelINS0_14default_configENS1_25transform_config_selectorIbLb0EEEZNS1_14transform_implILb0ES3_S5_PbN6thrust23THRUST_200600_302600_NS6detail15normal_iteratorINS9_10device_ptrIbEEEENS0_8identityIbEEEE10hipError_tT2_T3_mT4_P12ihipStream_tbEUlT_E_NS1_11comp_targetILNS1_3genE4ELNS1_11target_archE910ELNS1_3gpuE8ELNS1_3repE0EEENS1_30default_config_static_selectorELNS0_4arch9wavefront6targetE1EEEvT1_.has_recursion, 0
	.set _ZN7rocprim17ROCPRIM_400000_NS6detail17trampoline_kernelINS0_14default_configENS1_25transform_config_selectorIbLb0EEEZNS1_14transform_implILb0ES3_S5_PbN6thrust23THRUST_200600_302600_NS6detail15normal_iteratorINS9_10device_ptrIbEEEENS0_8identityIbEEEE10hipError_tT2_T3_mT4_P12ihipStream_tbEUlT_E_NS1_11comp_targetILNS1_3genE4ELNS1_11target_archE910ELNS1_3gpuE8ELNS1_3repE0EEENS1_30default_config_static_selectorELNS0_4arch9wavefront6targetE1EEEvT1_.has_indirect_call, 0
	.section	.AMDGPU.csdata,"",@progbits
; Kernel info:
; codeLenInByte = 0
; TotalNumSgprs: 6
; NumVgprs: 0
; NumAgprs: 0
; TotalNumVgprs: 0
; ScratchSize: 0
; MemoryBound: 0
; FloatMode: 240
; IeeeMode: 1
; LDSByteSize: 0 bytes/workgroup (compile time only)
; SGPRBlocks: 0
; VGPRBlocks: 0
; NumSGPRsForWavesPerEU: 6
; NumVGPRsForWavesPerEU: 1
; AccumOffset: 4
; Occupancy: 8
; WaveLimiterHint : 0
; COMPUTE_PGM_RSRC2:SCRATCH_EN: 0
; COMPUTE_PGM_RSRC2:USER_SGPR: 2
; COMPUTE_PGM_RSRC2:TRAP_HANDLER: 0
; COMPUTE_PGM_RSRC2:TGID_X_EN: 1
; COMPUTE_PGM_RSRC2:TGID_Y_EN: 0
; COMPUTE_PGM_RSRC2:TGID_Z_EN: 0
; COMPUTE_PGM_RSRC2:TIDIG_COMP_CNT: 0
; COMPUTE_PGM_RSRC3_GFX90A:ACCUM_OFFSET: 0
; COMPUTE_PGM_RSRC3_GFX90A:TG_SPLIT: 0
	.section	.text._ZN7rocprim17ROCPRIM_400000_NS6detail17trampoline_kernelINS0_14default_configENS1_25transform_config_selectorIbLb0EEEZNS1_14transform_implILb0ES3_S5_PbN6thrust23THRUST_200600_302600_NS6detail15normal_iteratorINS9_10device_ptrIbEEEENS0_8identityIbEEEE10hipError_tT2_T3_mT4_P12ihipStream_tbEUlT_E_NS1_11comp_targetILNS1_3genE3ELNS1_11target_archE908ELNS1_3gpuE7ELNS1_3repE0EEENS1_30default_config_static_selectorELNS0_4arch9wavefront6targetE1EEEvT1_,"axG",@progbits,_ZN7rocprim17ROCPRIM_400000_NS6detail17trampoline_kernelINS0_14default_configENS1_25transform_config_selectorIbLb0EEEZNS1_14transform_implILb0ES3_S5_PbN6thrust23THRUST_200600_302600_NS6detail15normal_iteratorINS9_10device_ptrIbEEEENS0_8identityIbEEEE10hipError_tT2_T3_mT4_P12ihipStream_tbEUlT_E_NS1_11comp_targetILNS1_3genE3ELNS1_11target_archE908ELNS1_3gpuE7ELNS1_3repE0EEENS1_30default_config_static_selectorELNS0_4arch9wavefront6targetE1EEEvT1_,comdat
	.protected	_ZN7rocprim17ROCPRIM_400000_NS6detail17trampoline_kernelINS0_14default_configENS1_25transform_config_selectorIbLb0EEEZNS1_14transform_implILb0ES3_S5_PbN6thrust23THRUST_200600_302600_NS6detail15normal_iteratorINS9_10device_ptrIbEEEENS0_8identityIbEEEE10hipError_tT2_T3_mT4_P12ihipStream_tbEUlT_E_NS1_11comp_targetILNS1_3genE3ELNS1_11target_archE908ELNS1_3gpuE7ELNS1_3repE0EEENS1_30default_config_static_selectorELNS0_4arch9wavefront6targetE1EEEvT1_ ; -- Begin function _ZN7rocprim17ROCPRIM_400000_NS6detail17trampoline_kernelINS0_14default_configENS1_25transform_config_selectorIbLb0EEEZNS1_14transform_implILb0ES3_S5_PbN6thrust23THRUST_200600_302600_NS6detail15normal_iteratorINS9_10device_ptrIbEEEENS0_8identityIbEEEE10hipError_tT2_T3_mT4_P12ihipStream_tbEUlT_E_NS1_11comp_targetILNS1_3genE3ELNS1_11target_archE908ELNS1_3gpuE7ELNS1_3repE0EEENS1_30default_config_static_selectorELNS0_4arch9wavefront6targetE1EEEvT1_
	.globl	_ZN7rocprim17ROCPRIM_400000_NS6detail17trampoline_kernelINS0_14default_configENS1_25transform_config_selectorIbLb0EEEZNS1_14transform_implILb0ES3_S5_PbN6thrust23THRUST_200600_302600_NS6detail15normal_iteratorINS9_10device_ptrIbEEEENS0_8identityIbEEEE10hipError_tT2_T3_mT4_P12ihipStream_tbEUlT_E_NS1_11comp_targetILNS1_3genE3ELNS1_11target_archE908ELNS1_3gpuE7ELNS1_3repE0EEENS1_30default_config_static_selectorELNS0_4arch9wavefront6targetE1EEEvT1_
	.p2align	8
	.type	_ZN7rocprim17ROCPRIM_400000_NS6detail17trampoline_kernelINS0_14default_configENS1_25transform_config_selectorIbLb0EEEZNS1_14transform_implILb0ES3_S5_PbN6thrust23THRUST_200600_302600_NS6detail15normal_iteratorINS9_10device_ptrIbEEEENS0_8identityIbEEEE10hipError_tT2_T3_mT4_P12ihipStream_tbEUlT_E_NS1_11comp_targetILNS1_3genE3ELNS1_11target_archE908ELNS1_3gpuE7ELNS1_3repE0EEENS1_30default_config_static_selectorELNS0_4arch9wavefront6targetE1EEEvT1_,@function
_ZN7rocprim17ROCPRIM_400000_NS6detail17trampoline_kernelINS0_14default_configENS1_25transform_config_selectorIbLb0EEEZNS1_14transform_implILb0ES3_S5_PbN6thrust23THRUST_200600_302600_NS6detail15normal_iteratorINS9_10device_ptrIbEEEENS0_8identityIbEEEE10hipError_tT2_T3_mT4_P12ihipStream_tbEUlT_E_NS1_11comp_targetILNS1_3genE3ELNS1_11target_archE908ELNS1_3gpuE7ELNS1_3repE0EEENS1_30default_config_static_selectorELNS0_4arch9wavefront6targetE1EEEvT1_: ; @_ZN7rocprim17ROCPRIM_400000_NS6detail17trampoline_kernelINS0_14default_configENS1_25transform_config_selectorIbLb0EEEZNS1_14transform_implILb0ES3_S5_PbN6thrust23THRUST_200600_302600_NS6detail15normal_iteratorINS9_10device_ptrIbEEEENS0_8identityIbEEEE10hipError_tT2_T3_mT4_P12ihipStream_tbEUlT_E_NS1_11comp_targetILNS1_3genE3ELNS1_11target_archE908ELNS1_3gpuE7ELNS1_3repE0EEENS1_30default_config_static_selectorELNS0_4arch9wavefront6targetE1EEEvT1_
; %bb.0:
	.section	.rodata,"a",@progbits
	.p2align	6, 0x0
	.amdhsa_kernel _ZN7rocprim17ROCPRIM_400000_NS6detail17trampoline_kernelINS0_14default_configENS1_25transform_config_selectorIbLb0EEEZNS1_14transform_implILb0ES3_S5_PbN6thrust23THRUST_200600_302600_NS6detail15normal_iteratorINS9_10device_ptrIbEEEENS0_8identityIbEEEE10hipError_tT2_T3_mT4_P12ihipStream_tbEUlT_E_NS1_11comp_targetILNS1_3genE3ELNS1_11target_archE908ELNS1_3gpuE7ELNS1_3repE0EEENS1_30default_config_static_selectorELNS0_4arch9wavefront6targetE1EEEvT1_
		.amdhsa_group_segment_fixed_size 0
		.amdhsa_private_segment_fixed_size 0
		.amdhsa_kernarg_size 40
		.amdhsa_user_sgpr_count 2
		.amdhsa_user_sgpr_dispatch_ptr 0
		.amdhsa_user_sgpr_queue_ptr 0
		.amdhsa_user_sgpr_kernarg_segment_ptr 1
		.amdhsa_user_sgpr_dispatch_id 0
		.amdhsa_user_sgpr_kernarg_preload_length 0
		.amdhsa_user_sgpr_kernarg_preload_offset 0
		.amdhsa_user_sgpr_private_segment_size 0
		.amdhsa_uses_dynamic_stack 0
		.amdhsa_enable_private_segment 0
		.amdhsa_system_sgpr_workgroup_id_x 1
		.amdhsa_system_sgpr_workgroup_id_y 0
		.amdhsa_system_sgpr_workgroup_id_z 0
		.amdhsa_system_sgpr_workgroup_info 0
		.amdhsa_system_vgpr_workitem_id 0
		.amdhsa_next_free_vgpr 1
		.amdhsa_next_free_sgpr 0
		.amdhsa_accum_offset 4
		.amdhsa_reserve_vcc 0
		.amdhsa_float_round_mode_32 0
		.amdhsa_float_round_mode_16_64 0
		.amdhsa_float_denorm_mode_32 3
		.amdhsa_float_denorm_mode_16_64 3
		.amdhsa_dx10_clamp 1
		.amdhsa_ieee_mode 1
		.amdhsa_fp16_overflow 0
		.amdhsa_tg_split 0
		.amdhsa_exception_fp_ieee_invalid_op 0
		.amdhsa_exception_fp_denorm_src 0
		.amdhsa_exception_fp_ieee_div_zero 0
		.amdhsa_exception_fp_ieee_overflow 0
		.amdhsa_exception_fp_ieee_underflow 0
		.amdhsa_exception_fp_ieee_inexact 0
		.amdhsa_exception_int_div_zero 0
	.end_amdhsa_kernel
	.section	.text._ZN7rocprim17ROCPRIM_400000_NS6detail17trampoline_kernelINS0_14default_configENS1_25transform_config_selectorIbLb0EEEZNS1_14transform_implILb0ES3_S5_PbN6thrust23THRUST_200600_302600_NS6detail15normal_iteratorINS9_10device_ptrIbEEEENS0_8identityIbEEEE10hipError_tT2_T3_mT4_P12ihipStream_tbEUlT_E_NS1_11comp_targetILNS1_3genE3ELNS1_11target_archE908ELNS1_3gpuE7ELNS1_3repE0EEENS1_30default_config_static_selectorELNS0_4arch9wavefront6targetE1EEEvT1_,"axG",@progbits,_ZN7rocprim17ROCPRIM_400000_NS6detail17trampoline_kernelINS0_14default_configENS1_25transform_config_selectorIbLb0EEEZNS1_14transform_implILb0ES3_S5_PbN6thrust23THRUST_200600_302600_NS6detail15normal_iteratorINS9_10device_ptrIbEEEENS0_8identityIbEEEE10hipError_tT2_T3_mT4_P12ihipStream_tbEUlT_E_NS1_11comp_targetILNS1_3genE3ELNS1_11target_archE908ELNS1_3gpuE7ELNS1_3repE0EEENS1_30default_config_static_selectorELNS0_4arch9wavefront6targetE1EEEvT1_,comdat
.Lfunc_end1960:
	.size	_ZN7rocprim17ROCPRIM_400000_NS6detail17trampoline_kernelINS0_14default_configENS1_25transform_config_selectorIbLb0EEEZNS1_14transform_implILb0ES3_S5_PbN6thrust23THRUST_200600_302600_NS6detail15normal_iteratorINS9_10device_ptrIbEEEENS0_8identityIbEEEE10hipError_tT2_T3_mT4_P12ihipStream_tbEUlT_E_NS1_11comp_targetILNS1_3genE3ELNS1_11target_archE908ELNS1_3gpuE7ELNS1_3repE0EEENS1_30default_config_static_selectorELNS0_4arch9wavefront6targetE1EEEvT1_, .Lfunc_end1960-_ZN7rocprim17ROCPRIM_400000_NS6detail17trampoline_kernelINS0_14default_configENS1_25transform_config_selectorIbLb0EEEZNS1_14transform_implILb0ES3_S5_PbN6thrust23THRUST_200600_302600_NS6detail15normal_iteratorINS9_10device_ptrIbEEEENS0_8identityIbEEEE10hipError_tT2_T3_mT4_P12ihipStream_tbEUlT_E_NS1_11comp_targetILNS1_3genE3ELNS1_11target_archE908ELNS1_3gpuE7ELNS1_3repE0EEENS1_30default_config_static_selectorELNS0_4arch9wavefront6targetE1EEEvT1_
                                        ; -- End function
	.set _ZN7rocprim17ROCPRIM_400000_NS6detail17trampoline_kernelINS0_14default_configENS1_25transform_config_selectorIbLb0EEEZNS1_14transform_implILb0ES3_S5_PbN6thrust23THRUST_200600_302600_NS6detail15normal_iteratorINS9_10device_ptrIbEEEENS0_8identityIbEEEE10hipError_tT2_T3_mT4_P12ihipStream_tbEUlT_E_NS1_11comp_targetILNS1_3genE3ELNS1_11target_archE908ELNS1_3gpuE7ELNS1_3repE0EEENS1_30default_config_static_selectorELNS0_4arch9wavefront6targetE1EEEvT1_.num_vgpr, 0
	.set _ZN7rocprim17ROCPRIM_400000_NS6detail17trampoline_kernelINS0_14default_configENS1_25transform_config_selectorIbLb0EEEZNS1_14transform_implILb0ES3_S5_PbN6thrust23THRUST_200600_302600_NS6detail15normal_iteratorINS9_10device_ptrIbEEEENS0_8identityIbEEEE10hipError_tT2_T3_mT4_P12ihipStream_tbEUlT_E_NS1_11comp_targetILNS1_3genE3ELNS1_11target_archE908ELNS1_3gpuE7ELNS1_3repE0EEENS1_30default_config_static_selectorELNS0_4arch9wavefront6targetE1EEEvT1_.num_agpr, 0
	.set _ZN7rocprim17ROCPRIM_400000_NS6detail17trampoline_kernelINS0_14default_configENS1_25transform_config_selectorIbLb0EEEZNS1_14transform_implILb0ES3_S5_PbN6thrust23THRUST_200600_302600_NS6detail15normal_iteratorINS9_10device_ptrIbEEEENS0_8identityIbEEEE10hipError_tT2_T3_mT4_P12ihipStream_tbEUlT_E_NS1_11comp_targetILNS1_3genE3ELNS1_11target_archE908ELNS1_3gpuE7ELNS1_3repE0EEENS1_30default_config_static_selectorELNS0_4arch9wavefront6targetE1EEEvT1_.numbered_sgpr, 0
	.set _ZN7rocprim17ROCPRIM_400000_NS6detail17trampoline_kernelINS0_14default_configENS1_25transform_config_selectorIbLb0EEEZNS1_14transform_implILb0ES3_S5_PbN6thrust23THRUST_200600_302600_NS6detail15normal_iteratorINS9_10device_ptrIbEEEENS0_8identityIbEEEE10hipError_tT2_T3_mT4_P12ihipStream_tbEUlT_E_NS1_11comp_targetILNS1_3genE3ELNS1_11target_archE908ELNS1_3gpuE7ELNS1_3repE0EEENS1_30default_config_static_selectorELNS0_4arch9wavefront6targetE1EEEvT1_.num_named_barrier, 0
	.set _ZN7rocprim17ROCPRIM_400000_NS6detail17trampoline_kernelINS0_14default_configENS1_25transform_config_selectorIbLb0EEEZNS1_14transform_implILb0ES3_S5_PbN6thrust23THRUST_200600_302600_NS6detail15normal_iteratorINS9_10device_ptrIbEEEENS0_8identityIbEEEE10hipError_tT2_T3_mT4_P12ihipStream_tbEUlT_E_NS1_11comp_targetILNS1_3genE3ELNS1_11target_archE908ELNS1_3gpuE7ELNS1_3repE0EEENS1_30default_config_static_selectorELNS0_4arch9wavefront6targetE1EEEvT1_.private_seg_size, 0
	.set _ZN7rocprim17ROCPRIM_400000_NS6detail17trampoline_kernelINS0_14default_configENS1_25transform_config_selectorIbLb0EEEZNS1_14transform_implILb0ES3_S5_PbN6thrust23THRUST_200600_302600_NS6detail15normal_iteratorINS9_10device_ptrIbEEEENS0_8identityIbEEEE10hipError_tT2_T3_mT4_P12ihipStream_tbEUlT_E_NS1_11comp_targetILNS1_3genE3ELNS1_11target_archE908ELNS1_3gpuE7ELNS1_3repE0EEENS1_30default_config_static_selectorELNS0_4arch9wavefront6targetE1EEEvT1_.uses_vcc, 0
	.set _ZN7rocprim17ROCPRIM_400000_NS6detail17trampoline_kernelINS0_14default_configENS1_25transform_config_selectorIbLb0EEEZNS1_14transform_implILb0ES3_S5_PbN6thrust23THRUST_200600_302600_NS6detail15normal_iteratorINS9_10device_ptrIbEEEENS0_8identityIbEEEE10hipError_tT2_T3_mT4_P12ihipStream_tbEUlT_E_NS1_11comp_targetILNS1_3genE3ELNS1_11target_archE908ELNS1_3gpuE7ELNS1_3repE0EEENS1_30default_config_static_selectorELNS0_4arch9wavefront6targetE1EEEvT1_.uses_flat_scratch, 0
	.set _ZN7rocprim17ROCPRIM_400000_NS6detail17trampoline_kernelINS0_14default_configENS1_25transform_config_selectorIbLb0EEEZNS1_14transform_implILb0ES3_S5_PbN6thrust23THRUST_200600_302600_NS6detail15normal_iteratorINS9_10device_ptrIbEEEENS0_8identityIbEEEE10hipError_tT2_T3_mT4_P12ihipStream_tbEUlT_E_NS1_11comp_targetILNS1_3genE3ELNS1_11target_archE908ELNS1_3gpuE7ELNS1_3repE0EEENS1_30default_config_static_selectorELNS0_4arch9wavefront6targetE1EEEvT1_.has_dyn_sized_stack, 0
	.set _ZN7rocprim17ROCPRIM_400000_NS6detail17trampoline_kernelINS0_14default_configENS1_25transform_config_selectorIbLb0EEEZNS1_14transform_implILb0ES3_S5_PbN6thrust23THRUST_200600_302600_NS6detail15normal_iteratorINS9_10device_ptrIbEEEENS0_8identityIbEEEE10hipError_tT2_T3_mT4_P12ihipStream_tbEUlT_E_NS1_11comp_targetILNS1_3genE3ELNS1_11target_archE908ELNS1_3gpuE7ELNS1_3repE0EEENS1_30default_config_static_selectorELNS0_4arch9wavefront6targetE1EEEvT1_.has_recursion, 0
	.set _ZN7rocprim17ROCPRIM_400000_NS6detail17trampoline_kernelINS0_14default_configENS1_25transform_config_selectorIbLb0EEEZNS1_14transform_implILb0ES3_S5_PbN6thrust23THRUST_200600_302600_NS6detail15normal_iteratorINS9_10device_ptrIbEEEENS0_8identityIbEEEE10hipError_tT2_T3_mT4_P12ihipStream_tbEUlT_E_NS1_11comp_targetILNS1_3genE3ELNS1_11target_archE908ELNS1_3gpuE7ELNS1_3repE0EEENS1_30default_config_static_selectorELNS0_4arch9wavefront6targetE1EEEvT1_.has_indirect_call, 0
	.section	.AMDGPU.csdata,"",@progbits
; Kernel info:
; codeLenInByte = 0
; TotalNumSgprs: 6
; NumVgprs: 0
; NumAgprs: 0
; TotalNumVgprs: 0
; ScratchSize: 0
; MemoryBound: 0
; FloatMode: 240
; IeeeMode: 1
; LDSByteSize: 0 bytes/workgroup (compile time only)
; SGPRBlocks: 0
; VGPRBlocks: 0
; NumSGPRsForWavesPerEU: 6
; NumVGPRsForWavesPerEU: 1
; AccumOffset: 4
; Occupancy: 8
; WaveLimiterHint : 0
; COMPUTE_PGM_RSRC2:SCRATCH_EN: 0
; COMPUTE_PGM_RSRC2:USER_SGPR: 2
; COMPUTE_PGM_RSRC2:TRAP_HANDLER: 0
; COMPUTE_PGM_RSRC2:TGID_X_EN: 1
; COMPUTE_PGM_RSRC2:TGID_Y_EN: 0
; COMPUTE_PGM_RSRC2:TGID_Z_EN: 0
; COMPUTE_PGM_RSRC2:TIDIG_COMP_CNT: 0
; COMPUTE_PGM_RSRC3_GFX90A:ACCUM_OFFSET: 0
; COMPUTE_PGM_RSRC3_GFX90A:TG_SPLIT: 0
	.section	.text._ZN7rocprim17ROCPRIM_400000_NS6detail17trampoline_kernelINS0_14default_configENS1_25transform_config_selectorIbLb0EEEZNS1_14transform_implILb0ES3_S5_PbN6thrust23THRUST_200600_302600_NS6detail15normal_iteratorINS9_10device_ptrIbEEEENS0_8identityIbEEEE10hipError_tT2_T3_mT4_P12ihipStream_tbEUlT_E_NS1_11comp_targetILNS1_3genE2ELNS1_11target_archE906ELNS1_3gpuE6ELNS1_3repE0EEENS1_30default_config_static_selectorELNS0_4arch9wavefront6targetE1EEEvT1_,"axG",@progbits,_ZN7rocprim17ROCPRIM_400000_NS6detail17trampoline_kernelINS0_14default_configENS1_25transform_config_selectorIbLb0EEEZNS1_14transform_implILb0ES3_S5_PbN6thrust23THRUST_200600_302600_NS6detail15normal_iteratorINS9_10device_ptrIbEEEENS0_8identityIbEEEE10hipError_tT2_T3_mT4_P12ihipStream_tbEUlT_E_NS1_11comp_targetILNS1_3genE2ELNS1_11target_archE906ELNS1_3gpuE6ELNS1_3repE0EEENS1_30default_config_static_selectorELNS0_4arch9wavefront6targetE1EEEvT1_,comdat
	.protected	_ZN7rocprim17ROCPRIM_400000_NS6detail17trampoline_kernelINS0_14default_configENS1_25transform_config_selectorIbLb0EEEZNS1_14transform_implILb0ES3_S5_PbN6thrust23THRUST_200600_302600_NS6detail15normal_iteratorINS9_10device_ptrIbEEEENS0_8identityIbEEEE10hipError_tT2_T3_mT4_P12ihipStream_tbEUlT_E_NS1_11comp_targetILNS1_3genE2ELNS1_11target_archE906ELNS1_3gpuE6ELNS1_3repE0EEENS1_30default_config_static_selectorELNS0_4arch9wavefront6targetE1EEEvT1_ ; -- Begin function _ZN7rocprim17ROCPRIM_400000_NS6detail17trampoline_kernelINS0_14default_configENS1_25transform_config_selectorIbLb0EEEZNS1_14transform_implILb0ES3_S5_PbN6thrust23THRUST_200600_302600_NS6detail15normal_iteratorINS9_10device_ptrIbEEEENS0_8identityIbEEEE10hipError_tT2_T3_mT4_P12ihipStream_tbEUlT_E_NS1_11comp_targetILNS1_3genE2ELNS1_11target_archE906ELNS1_3gpuE6ELNS1_3repE0EEENS1_30default_config_static_selectorELNS0_4arch9wavefront6targetE1EEEvT1_
	.globl	_ZN7rocprim17ROCPRIM_400000_NS6detail17trampoline_kernelINS0_14default_configENS1_25transform_config_selectorIbLb0EEEZNS1_14transform_implILb0ES3_S5_PbN6thrust23THRUST_200600_302600_NS6detail15normal_iteratorINS9_10device_ptrIbEEEENS0_8identityIbEEEE10hipError_tT2_T3_mT4_P12ihipStream_tbEUlT_E_NS1_11comp_targetILNS1_3genE2ELNS1_11target_archE906ELNS1_3gpuE6ELNS1_3repE0EEENS1_30default_config_static_selectorELNS0_4arch9wavefront6targetE1EEEvT1_
	.p2align	8
	.type	_ZN7rocprim17ROCPRIM_400000_NS6detail17trampoline_kernelINS0_14default_configENS1_25transform_config_selectorIbLb0EEEZNS1_14transform_implILb0ES3_S5_PbN6thrust23THRUST_200600_302600_NS6detail15normal_iteratorINS9_10device_ptrIbEEEENS0_8identityIbEEEE10hipError_tT2_T3_mT4_P12ihipStream_tbEUlT_E_NS1_11comp_targetILNS1_3genE2ELNS1_11target_archE906ELNS1_3gpuE6ELNS1_3repE0EEENS1_30default_config_static_selectorELNS0_4arch9wavefront6targetE1EEEvT1_,@function
_ZN7rocprim17ROCPRIM_400000_NS6detail17trampoline_kernelINS0_14default_configENS1_25transform_config_selectorIbLb0EEEZNS1_14transform_implILb0ES3_S5_PbN6thrust23THRUST_200600_302600_NS6detail15normal_iteratorINS9_10device_ptrIbEEEENS0_8identityIbEEEE10hipError_tT2_T3_mT4_P12ihipStream_tbEUlT_E_NS1_11comp_targetILNS1_3genE2ELNS1_11target_archE906ELNS1_3gpuE6ELNS1_3repE0EEENS1_30default_config_static_selectorELNS0_4arch9wavefront6targetE1EEEvT1_: ; @_ZN7rocprim17ROCPRIM_400000_NS6detail17trampoline_kernelINS0_14default_configENS1_25transform_config_selectorIbLb0EEEZNS1_14transform_implILb0ES3_S5_PbN6thrust23THRUST_200600_302600_NS6detail15normal_iteratorINS9_10device_ptrIbEEEENS0_8identityIbEEEE10hipError_tT2_T3_mT4_P12ihipStream_tbEUlT_E_NS1_11comp_targetILNS1_3genE2ELNS1_11target_archE906ELNS1_3gpuE6ELNS1_3repE0EEENS1_30default_config_static_selectorELNS0_4arch9wavefront6targetE1EEEvT1_
; %bb.0:
	.section	.rodata,"a",@progbits
	.p2align	6, 0x0
	.amdhsa_kernel _ZN7rocprim17ROCPRIM_400000_NS6detail17trampoline_kernelINS0_14default_configENS1_25transform_config_selectorIbLb0EEEZNS1_14transform_implILb0ES3_S5_PbN6thrust23THRUST_200600_302600_NS6detail15normal_iteratorINS9_10device_ptrIbEEEENS0_8identityIbEEEE10hipError_tT2_T3_mT4_P12ihipStream_tbEUlT_E_NS1_11comp_targetILNS1_3genE2ELNS1_11target_archE906ELNS1_3gpuE6ELNS1_3repE0EEENS1_30default_config_static_selectorELNS0_4arch9wavefront6targetE1EEEvT1_
		.amdhsa_group_segment_fixed_size 0
		.amdhsa_private_segment_fixed_size 0
		.amdhsa_kernarg_size 40
		.amdhsa_user_sgpr_count 2
		.amdhsa_user_sgpr_dispatch_ptr 0
		.amdhsa_user_sgpr_queue_ptr 0
		.amdhsa_user_sgpr_kernarg_segment_ptr 1
		.amdhsa_user_sgpr_dispatch_id 0
		.amdhsa_user_sgpr_kernarg_preload_length 0
		.amdhsa_user_sgpr_kernarg_preload_offset 0
		.amdhsa_user_sgpr_private_segment_size 0
		.amdhsa_uses_dynamic_stack 0
		.amdhsa_enable_private_segment 0
		.amdhsa_system_sgpr_workgroup_id_x 1
		.amdhsa_system_sgpr_workgroup_id_y 0
		.amdhsa_system_sgpr_workgroup_id_z 0
		.amdhsa_system_sgpr_workgroup_info 0
		.amdhsa_system_vgpr_workitem_id 0
		.amdhsa_next_free_vgpr 1
		.amdhsa_next_free_sgpr 0
		.amdhsa_accum_offset 4
		.amdhsa_reserve_vcc 0
		.amdhsa_float_round_mode_32 0
		.amdhsa_float_round_mode_16_64 0
		.amdhsa_float_denorm_mode_32 3
		.amdhsa_float_denorm_mode_16_64 3
		.amdhsa_dx10_clamp 1
		.amdhsa_ieee_mode 1
		.amdhsa_fp16_overflow 0
		.amdhsa_tg_split 0
		.amdhsa_exception_fp_ieee_invalid_op 0
		.amdhsa_exception_fp_denorm_src 0
		.amdhsa_exception_fp_ieee_div_zero 0
		.amdhsa_exception_fp_ieee_overflow 0
		.amdhsa_exception_fp_ieee_underflow 0
		.amdhsa_exception_fp_ieee_inexact 0
		.amdhsa_exception_int_div_zero 0
	.end_amdhsa_kernel
	.section	.text._ZN7rocprim17ROCPRIM_400000_NS6detail17trampoline_kernelINS0_14default_configENS1_25transform_config_selectorIbLb0EEEZNS1_14transform_implILb0ES3_S5_PbN6thrust23THRUST_200600_302600_NS6detail15normal_iteratorINS9_10device_ptrIbEEEENS0_8identityIbEEEE10hipError_tT2_T3_mT4_P12ihipStream_tbEUlT_E_NS1_11comp_targetILNS1_3genE2ELNS1_11target_archE906ELNS1_3gpuE6ELNS1_3repE0EEENS1_30default_config_static_selectorELNS0_4arch9wavefront6targetE1EEEvT1_,"axG",@progbits,_ZN7rocprim17ROCPRIM_400000_NS6detail17trampoline_kernelINS0_14default_configENS1_25transform_config_selectorIbLb0EEEZNS1_14transform_implILb0ES3_S5_PbN6thrust23THRUST_200600_302600_NS6detail15normal_iteratorINS9_10device_ptrIbEEEENS0_8identityIbEEEE10hipError_tT2_T3_mT4_P12ihipStream_tbEUlT_E_NS1_11comp_targetILNS1_3genE2ELNS1_11target_archE906ELNS1_3gpuE6ELNS1_3repE0EEENS1_30default_config_static_selectorELNS0_4arch9wavefront6targetE1EEEvT1_,comdat
.Lfunc_end1961:
	.size	_ZN7rocprim17ROCPRIM_400000_NS6detail17trampoline_kernelINS0_14default_configENS1_25transform_config_selectorIbLb0EEEZNS1_14transform_implILb0ES3_S5_PbN6thrust23THRUST_200600_302600_NS6detail15normal_iteratorINS9_10device_ptrIbEEEENS0_8identityIbEEEE10hipError_tT2_T3_mT4_P12ihipStream_tbEUlT_E_NS1_11comp_targetILNS1_3genE2ELNS1_11target_archE906ELNS1_3gpuE6ELNS1_3repE0EEENS1_30default_config_static_selectorELNS0_4arch9wavefront6targetE1EEEvT1_, .Lfunc_end1961-_ZN7rocprim17ROCPRIM_400000_NS6detail17trampoline_kernelINS0_14default_configENS1_25transform_config_selectorIbLb0EEEZNS1_14transform_implILb0ES3_S5_PbN6thrust23THRUST_200600_302600_NS6detail15normal_iteratorINS9_10device_ptrIbEEEENS0_8identityIbEEEE10hipError_tT2_T3_mT4_P12ihipStream_tbEUlT_E_NS1_11comp_targetILNS1_3genE2ELNS1_11target_archE906ELNS1_3gpuE6ELNS1_3repE0EEENS1_30default_config_static_selectorELNS0_4arch9wavefront6targetE1EEEvT1_
                                        ; -- End function
	.set _ZN7rocprim17ROCPRIM_400000_NS6detail17trampoline_kernelINS0_14default_configENS1_25transform_config_selectorIbLb0EEEZNS1_14transform_implILb0ES3_S5_PbN6thrust23THRUST_200600_302600_NS6detail15normal_iteratorINS9_10device_ptrIbEEEENS0_8identityIbEEEE10hipError_tT2_T3_mT4_P12ihipStream_tbEUlT_E_NS1_11comp_targetILNS1_3genE2ELNS1_11target_archE906ELNS1_3gpuE6ELNS1_3repE0EEENS1_30default_config_static_selectorELNS0_4arch9wavefront6targetE1EEEvT1_.num_vgpr, 0
	.set _ZN7rocprim17ROCPRIM_400000_NS6detail17trampoline_kernelINS0_14default_configENS1_25transform_config_selectorIbLb0EEEZNS1_14transform_implILb0ES3_S5_PbN6thrust23THRUST_200600_302600_NS6detail15normal_iteratorINS9_10device_ptrIbEEEENS0_8identityIbEEEE10hipError_tT2_T3_mT4_P12ihipStream_tbEUlT_E_NS1_11comp_targetILNS1_3genE2ELNS1_11target_archE906ELNS1_3gpuE6ELNS1_3repE0EEENS1_30default_config_static_selectorELNS0_4arch9wavefront6targetE1EEEvT1_.num_agpr, 0
	.set _ZN7rocprim17ROCPRIM_400000_NS6detail17trampoline_kernelINS0_14default_configENS1_25transform_config_selectorIbLb0EEEZNS1_14transform_implILb0ES3_S5_PbN6thrust23THRUST_200600_302600_NS6detail15normal_iteratorINS9_10device_ptrIbEEEENS0_8identityIbEEEE10hipError_tT2_T3_mT4_P12ihipStream_tbEUlT_E_NS1_11comp_targetILNS1_3genE2ELNS1_11target_archE906ELNS1_3gpuE6ELNS1_3repE0EEENS1_30default_config_static_selectorELNS0_4arch9wavefront6targetE1EEEvT1_.numbered_sgpr, 0
	.set _ZN7rocprim17ROCPRIM_400000_NS6detail17trampoline_kernelINS0_14default_configENS1_25transform_config_selectorIbLb0EEEZNS1_14transform_implILb0ES3_S5_PbN6thrust23THRUST_200600_302600_NS6detail15normal_iteratorINS9_10device_ptrIbEEEENS0_8identityIbEEEE10hipError_tT2_T3_mT4_P12ihipStream_tbEUlT_E_NS1_11comp_targetILNS1_3genE2ELNS1_11target_archE906ELNS1_3gpuE6ELNS1_3repE0EEENS1_30default_config_static_selectorELNS0_4arch9wavefront6targetE1EEEvT1_.num_named_barrier, 0
	.set _ZN7rocprim17ROCPRIM_400000_NS6detail17trampoline_kernelINS0_14default_configENS1_25transform_config_selectorIbLb0EEEZNS1_14transform_implILb0ES3_S5_PbN6thrust23THRUST_200600_302600_NS6detail15normal_iteratorINS9_10device_ptrIbEEEENS0_8identityIbEEEE10hipError_tT2_T3_mT4_P12ihipStream_tbEUlT_E_NS1_11comp_targetILNS1_3genE2ELNS1_11target_archE906ELNS1_3gpuE6ELNS1_3repE0EEENS1_30default_config_static_selectorELNS0_4arch9wavefront6targetE1EEEvT1_.private_seg_size, 0
	.set _ZN7rocprim17ROCPRIM_400000_NS6detail17trampoline_kernelINS0_14default_configENS1_25transform_config_selectorIbLb0EEEZNS1_14transform_implILb0ES3_S5_PbN6thrust23THRUST_200600_302600_NS6detail15normal_iteratorINS9_10device_ptrIbEEEENS0_8identityIbEEEE10hipError_tT2_T3_mT4_P12ihipStream_tbEUlT_E_NS1_11comp_targetILNS1_3genE2ELNS1_11target_archE906ELNS1_3gpuE6ELNS1_3repE0EEENS1_30default_config_static_selectorELNS0_4arch9wavefront6targetE1EEEvT1_.uses_vcc, 0
	.set _ZN7rocprim17ROCPRIM_400000_NS6detail17trampoline_kernelINS0_14default_configENS1_25transform_config_selectorIbLb0EEEZNS1_14transform_implILb0ES3_S5_PbN6thrust23THRUST_200600_302600_NS6detail15normal_iteratorINS9_10device_ptrIbEEEENS0_8identityIbEEEE10hipError_tT2_T3_mT4_P12ihipStream_tbEUlT_E_NS1_11comp_targetILNS1_3genE2ELNS1_11target_archE906ELNS1_3gpuE6ELNS1_3repE0EEENS1_30default_config_static_selectorELNS0_4arch9wavefront6targetE1EEEvT1_.uses_flat_scratch, 0
	.set _ZN7rocprim17ROCPRIM_400000_NS6detail17trampoline_kernelINS0_14default_configENS1_25transform_config_selectorIbLb0EEEZNS1_14transform_implILb0ES3_S5_PbN6thrust23THRUST_200600_302600_NS6detail15normal_iteratorINS9_10device_ptrIbEEEENS0_8identityIbEEEE10hipError_tT2_T3_mT4_P12ihipStream_tbEUlT_E_NS1_11comp_targetILNS1_3genE2ELNS1_11target_archE906ELNS1_3gpuE6ELNS1_3repE0EEENS1_30default_config_static_selectorELNS0_4arch9wavefront6targetE1EEEvT1_.has_dyn_sized_stack, 0
	.set _ZN7rocprim17ROCPRIM_400000_NS6detail17trampoline_kernelINS0_14default_configENS1_25transform_config_selectorIbLb0EEEZNS1_14transform_implILb0ES3_S5_PbN6thrust23THRUST_200600_302600_NS6detail15normal_iteratorINS9_10device_ptrIbEEEENS0_8identityIbEEEE10hipError_tT2_T3_mT4_P12ihipStream_tbEUlT_E_NS1_11comp_targetILNS1_3genE2ELNS1_11target_archE906ELNS1_3gpuE6ELNS1_3repE0EEENS1_30default_config_static_selectorELNS0_4arch9wavefront6targetE1EEEvT1_.has_recursion, 0
	.set _ZN7rocprim17ROCPRIM_400000_NS6detail17trampoline_kernelINS0_14default_configENS1_25transform_config_selectorIbLb0EEEZNS1_14transform_implILb0ES3_S5_PbN6thrust23THRUST_200600_302600_NS6detail15normal_iteratorINS9_10device_ptrIbEEEENS0_8identityIbEEEE10hipError_tT2_T3_mT4_P12ihipStream_tbEUlT_E_NS1_11comp_targetILNS1_3genE2ELNS1_11target_archE906ELNS1_3gpuE6ELNS1_3repE0EEENS1_30default_config_static_selectorELNS0_4arch9wavefront6targetE1EEEvT1_.has_indirect_call, 0
	.section	.AMDGPU.csdata,"",@progbits
; Kernel info:
; codeLenInByte = 0
; TotalNumSgprs: 6
; NumVgprs: 0
; NumAgprs: 0
; TotalNumVgprs: 0
; ScratchSize: 0
; MemoryBound: 0
; FloatMode: 240
; IeeeMode: 1
; LDSByteSize: 0 bytes/workgroup (compile time only)
; SGPRBlocks: 0
; VGPRBlocks: 0
; NumSGPRsForWavesPerEU: 6
; NumVGPRsForWavesPerEU: 1
; AccumOffset: 4
; Occupancy: 8
; WaveLimiterHint : 0
; COMPUTE_PGM_RSRC2:SCRATCH_EN: 0
; COMPUTE_PGM_RSRC2:USER_SGPR: 2
; COMPUTE_PGM_RSRC2:TRAP_HANDLER: 0
; COMPUTE_PGM_RSRC2:TGID_X_EN: 1
; COMPUTE_PGM_RSRC2:TGID_Y_EN: 0
; COMPUTE_PGM_RSRC2:TGID_Z_EN: 0
; COMPUTE_PGM_RSRC2:TIDIG_COMP_CNT: 0
; COMPUTE_PGM_RSRC3_GFX90A:ACCUM_OFFSET: 0
; COMPUTE_PGM_RSRC3_GFX90A:TG_SPLIT: 0
	.section	.text._ZN7rocprim17ROCPRIM_400000_NS6detail17trampoline_kernelINS0_14default_configENS1_25transform_config_selectorIbLb0EEEZNS1_14transform_implILb0ES3_S5_PbN6thrust23THRUST_200600_302600_NS6detail15normal_iteratorINS9_10device_ptrIbEEEENS0_8identityIbEEEE10hipError_tT2_T3_mT4_P12ihipStream_tbEUlT_E_NS1_11comp_targetILNS1_3genE10ELNS1_11target_archE1201ELNS1_3gpuE5ELNS1_3repE0EEENS1_30default_config_static_selectorELNS0_4arch9wavefront6targetE1EEEvT1_,"axG",@progbits,_ZN7rocprim17ROCPRIM_400000_NS6detail17trampoline_kernelINS0_14default_configENS1_25transform_config_selectorIbLb0EEEZNS1_14transform_implILb0ES3_S5_PbN6thrust23THRUST_200600_302600_NS6detail15normal_iteratorINS9_10device_ptrIbEEEENS0_8identityIbEEEE10hipError_tT2_T3_mT4_P12ihipStream_tbEUlT_E_NS1_11comp_targetILNS1_3genE10ELNS1_11target_archE1201ELNS1_3gpuE5ELNS1_3repE0EEENS1_30default_config_static_selectorELNS0_4arch9wavefront6targetE1EEEvT1_,comdat
	.protected	_ZN7rocprim17ROCPRIM_400000_NS6detail17trampoline_kernelINS0_14default_configENS1_25transform_config_selectorIbLb0EEEZNS1_14transform_implILb0ES3_S5_PbN6thrust23THRUST_200600_302600_NS6detail15normal_iteratorINS9_10device_ptrIbEEEENS0_8identityIbEEEE10hipError_tT2_T3_mT4_P12ihipStream_tbEUlT_E_NS1_11comp_targetILNS1_3genE10ELNS1_11target_archE1201ELNS1_3gpuE5ELNS1_3repE0EEENS1_30default_config_static_selectorELNS0_4arch9wavefront6targetE1EEEvT1_ ; -- Begin function _ZN7rocprim17ROCPRIM_400000_NS6detail17trampoline_kernelINS0_14default_configENS1_25transform_config_selectorIbLb0EEEZNS1_14transform_implILb0ES3_S5_PbN6thrust23THRUST_200600_302600_NS6detail15normal_iteratorINS9_10device_ptrIbEEEENS0_8identityIbEEEE10hipError_tT2_T3_mT4_P12ihipStream_tbEUlT_E_NS1_11comp_targetILNS1_3genE10ELNS1_11target_archE1201ELNS1_3gpuE5ELNS1_3repE0EEENS1_30default_config_static_selectorELNS0_4arch9wavefront6targetE1EEEvT1_
	.globl	_ZN7rocprim17ROCPRIM_400000_NS6detail17trampoline_kernelINS0_14default_configENS1_25transform_config_selectorIbLb0EEEZNS1_14transform_implILb0ES3_S5_PbN6thrust23THRUST_200600_302600_NS6detail15normal_iteratorINS9_10device_ptrIbEEEENS0_8identityIbEEEE10hipError_tT2_T3_mT4_P12ihipStream_tbEUlT_E_NS1_11comp_targetILNS1_3genE10ELNS1_11target_archE1201ELNS1_3gpuE5ELNS1_3repE0EEENS1_30default_config_static_selectorELNS0_4arch9wavefront6targetE1EEEvT1_
	.p2align	8
	.type	_ZN7rocprim17ROCPRIM_400000_NS6detail17trampoline_kernelINS0_14default_configENS1_25transform_config_selectorIbLb0EEEZNS1_14transform_implILb0ES3_S5_PbN6thrust23THRUST_200600_302600_NS6detail15normal_iteratorINS9_10device_ptrIbEEEENS0_8identityIbEEEE10hipError_tT2_T3_mT4_P12ihipStream_tbEUlT_E_NS1_11comp_targetILNS1_3genE10ELNS1_11target_archE1201ELNS1_3gpuE5ELNS1_3repE0EEENS1_30default_config_static_selectorELNS0_4arch9wavefront6targetE1EEEvT1_,@function
_ZN7rocprim17ROCPRIM_400000_NS6detail17trampoline_kernelINS0_14default_configENS1_25transform_config_selectorIbLb0EEEZNS1_14transform_implILb0ES3_S5_PbN6thrust23THRUST_200600_302600_NS6detail15normal_iteratorINS9_10device_ptrIbEEEENS0_8identityIbEEEE10hipError_tT2_T3_mT4_P12ihipStream_tbEUlT_E_NS1_11comp_targetILNS1_3genE10ELNS1_11target_archE1201ELNS1_3gpuE5ELNS1_3repE0EEENS1_30default_config_static_selectorELNS0_4arch9wavefront6targetE1EEEvT1_: ; @_ZN7rocprim17ROCPRIM_400000_NS6detail17trampoline_kernelINS0_14default_configENS1_25transform_config_selectorIbLb0EEEZNS1_14transform_implILb0ES3_S5_PbN6thrust23THRUST_200600_302600_NS6detail15normal_iteratorINS9_10device_ptrIbEEEENS0_8identityIbEEEE10hipError_tT2_T3_mT4_P12ihipStream_tbEUlT_E_NS1_11comp_targetILNS1_3genE10ELNS1_11target_archE1201ELNS1_3gpuE5ELNS1_3repE0EEENS1_30default_config_static_selectorELNS0_4arch9wavefront6targetE1EEEvT1_
; %bb.0:
	.section	.rodata,"a",@progbits
	.p2align	6, 0x0
	.amdhsa_kernel _ZN7rocprim17ROCPRIM_400000_NS6detail17trampoline_kernelINS0_14default_configENS1_25transform_config_selectorIbLb0EEEZNS1_14transform_implILb0ES3_S5_PbN6thrust23THRUST_200600_302600_NS6detail15normal_iteratorINS9_10device_ptrIbEEEENS0_8identityIbEEEE10hipError_tT2_T3_mT4_P12ihipStream_tbEUlT_E_NS1_11comp_targetILNS1_3genE10ELNS1_11target_archE1201ELNS1_3gpuE5ELNS1_3repE0EEENS1_30default_config_static_selectorELNS0_4arch9wavefront6targetE1EEEvT1_
		.amdhsa_group_segment_fixed_size 0
		.amdhsa_private_segment_fixed_size 0
		.amdhsa_kernarg_size 40
		.amdhsa_user_sgpr_count 2
		.amdhsa_user_sgpr_dispatch_ptr 0
		.amdhsa_user_sgpr_queue_ptr 0
		.amdhsa_user_sgpr_kernarg_segment_ptr 1
		.amdhsa_user_sgpr_dispatch_id 0
		.amdhsa_user_sgpr_kernarg_preload_length 0
		.amdhsa_user_sgpr_kernarg_preload_offset 0
		.amdhsa_user_sgpr_private_segment_size 0
		.amdhsa_uses_dynamic_stack 0
		.amdhsa_enable_private_segment 0
		.amdhsa_system_sgpr_workgroup_id_x 1
		.amdhsa_system_sgpr_workgroup_id_y 0
		.amdhsa_system_sgpr_workgroup_id_z 0
		.amdhsa_system_sgpr_workgroup_info 0
		.amdhsa_system_vgpr_workitem_id 0
		.amdhsa_next_free_vgpr 1
		.amdhsa_next_free_sgpr 0
		.amdhsa_accum_offset 4
		.amdhsa_reserve_vcc 0
		.amdhsa_float_round_mode_32 0
		.amdhsa_float_round_mode_16_64 0
		.amdhsa_float_denorm_mode_32 3
		.amdhsa_float_denorm_mode_16_64 3
		.amdhsa_dx10_clamp 1
		.amdhsa_ieee_mode 1
		.amdhsa_fp16_overflow 0
		.amdhsa_tg_split 0
		.amdhsa_exception_fp_ieee_invalid_op 0
		.amdhsa_exception_fp_denorm_src 0
		.amdhsa_exception_fp_ieee_div_zero 0
		.amdhsa_exception_fp_ieee_overflow 0
		.amdhsa_exception_fp_ieee_underflow 0
		.amdhsa_exception_fp_ieee_inexact 0
		.amdhsa_exception_int_div_zero 0
	.end_amdhsa_kernel
	.section	.text._ZN7rocprim17ROCPRIM_400000_NS6detail17trampoline_kernelINS0_14default_configENS1_25transform_config_selectorIbLb0EEEZNS1_14transform_implILb0ES3_S5_PbN6thrust23THRUST_200600_302600_NS6detail15normal_iteratorINS9_10device_ptrIbEEEENS0_8identityIbEEEE10hipError_tT2_T3_mT4_P12ihipStream_tbEUlT_E_NS1_11comp_targetILNS1_3genE10ELNS1_11target_archE1201ELNS1_3gpuE5ELNS1_3repE0EEENS1_30default_config_static_selectorELNS0_4arch9wavefront6targetE1EEEvT1_,"axG",@progbits,_ZN7rocprim17ROCPRIM_400000_NS6detail17trampoline_kernelINS0_14default_configENS1_25transform_config_selectorIbLb0EEEZNS1_14transform_implILb0ES3_S5_PbN6thrust23THRUST_200600_302600_NS6detail15normal_iteratorINS9_10device_ptrIbEEEENS0_8identityIbEEEE10hipError_tT2_T3_mT4_P12ihipStream_tbEUlT_E_NS1_11comp_targetILNS1_3genE10ELNS1_11target_archE1201ELNS1_3gpuE5ELNS1_3repE0EEENS1_30default_config_static_selectorELNS0_4arch9wavefront6targetE1EEEvT1_,comdat
.Lfunc_end1962:
	.size	_ZN7rocprim17ROCPRIM_400000_NS6detail17trampoline_kernelINS0_14default_configENS1_25transform_config_selectorIbLb0EEEZNS1_14transform_implILb0ES3_S5_PbN6thrust23THRUST_200600_302600_NS6detail15normal_iteratorINS9_10device_ptrIbEEEENS0_8identityIbEEEE10hipError_tT2_T3_mT4_P12ihipStream_tbEUlT_E_NS1_11comp_targetILNS1_3genE10ELNS1_11target_archE1201ELNS1_3gpuE5ELNS1_3repE0EEENS1_30default_config_static_selectorELNS0_4arch9wavefront6targetE1EEEvT1_, .Lfunc_end1962-_ZN7rocprim17ROCPRIM_400000_NS6detail17trampoline_kernelINS0_14default_configENS1_25transform_config_selectorIbLb0EEEZNS1_14transform_implILb0ES3_S5_PbN6thrust23THRUST_200600_302600_NS6detail15normal_iteratorINS9_10device_ptrIbEEEENS0_8identityIbEEEE10hipError_tT2_T3_mT4_P12ihipStream_tbEUlT_E_NS1_11comp_targetILNS1_3genE10ELNS1_11target_archE1201ELNS1_3gpuE5ELNS1_3repE0EEENS1_30default_config_static_selectorELNS0_4arch9wavefront6targetE1EEEvT1_
                                        ; -- End function
	.set _ZN7rocprim17ROCPRIM_400000_NS6detail17trampoline_kernelINS0_14default_configENS1_25transform_config_selectorIbLb0EEEZNS1_14transform_implILb0ES3_S5_PbN6thrust23THRUST_200600_302600_NS6detail15normal_iteratorINS9_10device_ptrIbEEEENS0_8identityIbEEEE10hipError_tT2_T3_mT4_P12ihipStream_tbEUlT_E_NS1_11comp_targetILNS1_3genE10ELNS1_11target_archE1201ELNS1_3gpuE5ELNS1_3repE0EEENS1_30default_config_static_selectorELNS0_4arch9wavefront6targetE1EEEvT1_.num_vgpr, 0
	.set _ZN7rocprim17ROCPRIM_400000_NS6detail17trampoline_kernelINS0_14default_configENS1_25transform_config_selectorIbLb0EEEZNS1_14transform_implILb0ES3_S5_PbN6thrust23THRUST_200600_302600_NS6detail15normal_iteratorINS9_10device_ptrIbEEEENS0_8identityIbEEEE10hipError_tT2_T3_mT4_P12ihipStream_tbEUlT_E_NS1_11comp_targetILNS1_3genE10ELNS1_11target_archE1201ELNS1_3gpuE5ELNS1_3repE0EEENS1_30default_config_static_selectorELNS0_4arch9wavefront6targetE1EEEvT1_.num_agpr, 0
	.set _ZN7rocprim17ROCPRIM_400000_NS6detail17trampoline_kernelINS0_14default_configENS1_25transform_config_selectorIbLb0EEEZNS1_14transform_implILb0ES3_S5_PbN6thrust23THRUST_200600_302600_NS6detail15normal_iteratorINS9_10device_ptrIbEEEENS0_8identityIbEEEE10hipError_tT2_T3_mT4_P12ihipStream_tbEUlT_E_NS1_11comp_targetILNS1_3genE10ELNS1_11target_archE1201ELNS1_3gpuE5ELNS1_3repE0EEENS1_30default_config_static_selectorELNS0_4arch9wavefront6targetE1EEEvT1_.numbered_sgpr, 0
	.set _ZN7rocprim17ROCPRIM_400000_NS6detail17trampoline_kernelINS0_14default_configENS1_25transform_config_selectorIbLb0EEEZNS1_14transform_implILb0ES3_S5_PbN6thrust23THRUST_200600_302600_NS6detail15normal_iteratorINS9_10device_ptrIbEEEENS0_8identityIbEEEE10hipError_tT2_T3_mT4_P12ihipStream_tbEUlT_E_NS1_11comp_targetILNS1_3genE10ELNS1_11target_archE1201ELNS1_3gpuE5ELNS1_3repE0EEENS1_30default_config_static_selectorELNS0_4arch9wavefront6targetE1EEEvT1_.num_named_barrier, 0
	.set _ZN7rocprim17ROCPRIM_400000_NS6detail17trampoline_kernelINS0_14default_configENS1_25transform_config_selectorIbLb0EEEZNS1_14transform_implILb0ES3_S5_PbN6thrust23THRUST_200600_302600_NS6detail15normal_iteratorINS9_10device_ptrIbEEEENS0_8identityIbEEEE10hipError_tT2_T3_mT4_P12ihipStream_tbEUlT_E_NS1_11comp_targetILNS1_3genE10ELNS1_11target_archE1201ELNS1_3gpuE5ELNS1_3repE0EEENS1_30default_config_static_selectorELNS0_4arch9wavefront6targetE1EEEvT1_.private_seg_size, 0
	.set _ZN7rocprim17ROCPRIM_400000_NS6detail17trampoline_kernelINS0_14default_configENS1_25transform_config_selectorIbLb0EEEZNS1_14transform_implILb0ES3_S5_PbN6thrust23THRUST_200600_302600_NS6detail15normal_iteratorINS9_10device_ptrIbEEEENS0_8identityIbEEEE10hipError_tT2_T3_mT4_P12ihipStream_tbEUlT_E_NS1_11comp_targetILNS1_3genE10ELNS1_11target_archE1201ELNS1_3gpuE5ELNS1_3repE0EEENS1_30default_config_static_selectorELNS0_4arch9wavefront6targetE1EEEvT1_.uses_vcc, 0
	.set _ZN7rocprim17ROCPRIM_400000_NS6detail17trampoline_kernelINS0_14default_configENS1_25transform_config_selectorIbLb0EEEZNS1_14transform_implILb0ES3_S5_PbN6thrust23THRUST_200600_302600_NS6detail15normal_iteratorINS9_10device_ptrIbEEEENS0_8identityIbEEEE10hipError_tT2_T3_mT4_P12ihipStream_tbEUlT_E_NS1_11comp_targetILNS1_3genE10ELNS1_11target_archE1201ELNS1_3gpuE5ELNS1_3repE0EEENS1_30default_config_static_selectorELNS0_4arch9wavefront6targetE1EEEvT1_.uses_flat_scratch, 0
	.set _ZN7rocprim17ROCPRIM_400000_NS6detail17trampoline_kernelINS0_14default_configENS1_25transform_config_selectorIbLb0EEEZNS1_14transform_implILb0ES3_S5_PbN6thrust23THRUST_200600_302600_NS6detail15normal_iteratorINS9_10device_ptrIbEEEENS0_8identityIbEEEE10hipError_tT2_T3_mT4_P12ihipStream_tbEUlT_E_NS1_11comp_targetILNS1_3genE10ELNS1_11target_archE1201ELNS1_3gpuE5ELNS1_3repE0EEENS1_30default_config_static_selectorELNS0_4arch9wavefront6targetE1EEEvT1_.has_dyn_sized_stack, 0
	.set _ZN7rocprim17ROCPRIM_400000_NS6detail17trampoline_kernelINS0_14default_configENS1_25transform_config_selectorIbLb0EEEZNS1_14transform_implILb0ES3_S5_PbN6thrust23THRUST_200600_302600_NS6detail15normal_iteratorINS9_10device_ptrIbEEEENS0_8identityIbEEEE10hipError_tT2_T3_mT4_P12ihipStream_tbEUlT_E_NS1_11comp_targetILNS1_3genE10ELNS1_11target_archE1201ELNS1_3gpuE5ELNS1_3repE0EEENS1_30default_config_static_selectorELNS0_4arch9wavefront6targetE1EEEvT1_.has_recursion, 0
	.set _ZN7rocprim17ROCPRIM_400000_NS6detail17trampoline_kernelINS0_14default_configENS1_25transform_config_selectorIbLb0EEEZNS1_14transform_implILb0ES3_S5_PbN6thrust23THRUST_200600_302600_NS6detail15normal_iteratorINS9_10device_ptrIbEEEENS0_8identityIbEEEE10hipError_tT2_T3_mT4_P12ihipStream_tbEUlT_E_NS1_11comp_targetILNS1_3genE10ELNS1_11target_archE1201ELNS1_3gpuE5ELNS1_3repE0EEENS1_30default_config_static_selectorELNS0_4arch9wavefront6targetE1EEEvT1_.has_indirect_call, 0
	.section	.AMDGPU.csdata,"",@progbits
; Kernel info:
; codeLenInByte = 0
; TotalNumSgprs: 6
; NumVgprs: 0
; NumAgprs: 0
; TotalNumVgprs: 0
; ScratchSize: 0
; MemoryBound: 0
; FloatMode: 240
; IeeeMode: 1
; LDSByteSize: 0 bytes/workgroup (compile time only)
; SGPRBlocks: 0
; VGPRBlocks: 0
; NumSGPRsForWavesPerEU: 6
; NumVGPRsForWavesPerEU: 1
; AccumOffset: 4
; Occupancy: 8
; WaveLimiterHint : 0
; COMPUTE_PGM_RSRC2:SCRATCH_EN: 0
; COMPUTE_PGM_RSRC2:USER_SGPR: 2
; COMPUTE_PGM_RSRC2:TRAP_HANDLER: 0
; COMPUTE_PGM_RSRC2:TGID_X_EN: 1
; COMPUTE_PGM_RSRC2:TGID_Y_EN: 0
; COMPUTE_PGM_RSRC2:TGID_Z_EN: 0
; COMPUTE_PGM_RSRC2:TIDIG_COMP_CNT: 0
; COMPUTE_PGM_RSRC3_GFX90A:ACCUM_OFFSET: 0
; COMPUTE_PGM_RSRC3_GFX90A:TG_SPLIT: 0
	.section	.text._ZN7rocprim17ROCPRIM_400000_NS6detail17trampoline_kernelINS0_14default_configENS1_25transform_config_selectorIbLb0EEEZNS1_14transform_implILb0ES3_S5_PbN6thrust23THRUST_200600_302600_NS6detail15normal_iteratorINS9_10device_ptrIbEEEENS0_8identityIbEEEE10hipError_tT2_T3_mT4_P12ihipStream_tbEUlT_E_NS1_11comp_targetILNS1_3genE10ELNS1_11target_archE1200ELNS1_3gpuE4ELNS1_3repE0EEENS1_30default_config_static_selectorELNS0_4arch9wavefront6targetE1EEEvT1_,"axG",@progbits,_ZN7rocprim17ROCPRIM_400000_NS6detail17trampoline_kernelINS0_14default_configENS1_25transform_config_selectorIbLb0EEEZNS1_14transform_implILb0ES3_S5_PbN6thrust23THRUST_200600_302600_NS6detail15normal_iteratorINS9_10device_ptrIbEEEENS0_8identityIbEEEE10hipError_tT2_T3_mT4_P12ihipStream_tbEUlT_E_NS1_11comp_targetILNS1_3genE10ELNS1_11target_archE1200ELNS1_3gpuE4ELNS1_3repE0EEENS1_30default_config_static_selectorELNS0_4arch9wavefront6targetE1EEEvT1_,comdat
	.protected	_ZN7rocprim17ROCPRIM_400000_NS6detail17trampoline_kernelINS0_14default_configENS1_25transform_config_selectorIbLb0EEEZNS1_14transform_implILb0ES3_S5_PbN6thrust23THRUST_200600_302600_NS6detail15normal_iteratorINS9_10device_ptrIbEEEENS0_8identityIbEEEE10hipError_tT2_T3_mT4_P12ihipStream_tbEUlT_E_NS1_11comp_targetILNS1_3genE10ELNS1_11target_archE1200ELNS1_3gpuE4ELNS1_3repE0EEENS1_30default_config_static_selectorELNS0_4arch9wavefront6targetE1EEEvT1_ ; -- Begin function _ZN7rocprim17ROCPRIM_400000_NS6detail17trampoline_kernelINS0_14default_configENS1_25transform_config_selectorIbLb0EEEZNS1_14transform_implILb0ES3_S5_PbN6thrust23THRUST_200600_302600_NS6detail15normal_iteratorINS9_10device_ptrIbEEEENS0_8identityIbEEEE10hipError_tT2_T3_mT4_P12ihipStream_tbEUlT_E_NS1_11comp_targetILNS1_3genE10ELNS1_11target_archE1200ELNS1_3gpuE4ELNS1_3repE0EEENS1_30default_config_static_selectorELNS0_4arch9wavefront6targetE1EEEvT1_
	.globl	_ZN7rocprim17ROCPRIM_400000_NS6detail17trampoline_kernelINS0_14default_configENS1_25transform_config_selectorIbLb0EEEZNS1_14transform_implILb0ES3_S5_PbN6thrust23THRUST_200600_302600_NS6detail15normal_iteratorINS9_10device_ptrIbEEEENS0_8identityIbEEEE10hipError_tT2_T3_mT4_P12ihipStream_tbEUlT_E_NS1_11comp_targetILNS1_3genE10ELNS1_11target_archE1200ELNS1_3gpuE4ELNS1_3repE0EEENS1_30default_config_static_selectorELNS0_4arch9wavefront6targetE1EEEvT1_
	.p2align	8
	.type	_ZN7rocprim17ROCPRIM_400000_NS6detail17trampoline_kernelINS0_14default_configENS1_25transform_config_selectorIbLb0EEEZNS1_14transform_implILb0ES3_S5_PbN6thrust23THRUST_200600_302600_NS6detail15normal_iteratorINS9_10device_ptrIbEEEENS0_8identityIbEEEE10hipError_tT2_T3_mT4_P12ihipStream_tbEUlT_E_NS1_11comp_targetILNS1_3genE10ELNS1_11target_archE1200ELNS1_3gpuE4ELNS1_3repE0EEENS1_30default_config_static_selectorELNS0_4arch9wavefront6targetE1EEEvT1_,@function
_ZN7rocprim17ROCPRIM_400000_NS6detail17trampoline_kernelINS0_14default_configENS1_25transform_config_selectorIbLb0EEEZNS1_14transform_implILb0ES3_S5_PbN6thrust23THRUST_200600_302600_NS6detail15normal_iteratorINS9_10device_ptrIbEEEENS0_8identityIbEEEE10hipError_tT2_T3_mT4_P12ihipStream_tbEUlT_E_NS1_11comp_targetILNS1_3genE10ELNS1_11target_archE1200ELNS1_3gpuE4ELNS1_3repE0EEENS1_30default_config_static_selectorELNS0_4arch9wavefront6targetE1EEEvT1_: ; @_ZN7rocprim17ROCPRIM_400000_NS6detail17trampoline_kernelINS0_14default_configENS1_25transform_config_selectorIbLb0EEEZNS1_14transform_implILb0ES3_S5_PbN6thrust23THRUST_200600_302600_NS6detail15normal_iteratorINS9_10device_ptrIbEEEENS0_8identityIbEEEE10hipError_tT2_T3_mT4_P12ihipStream_tbEUlT_E_NS1_11comp_targetILNS1_3genE10ELNS1_11target_archE1200ELNS1_3gpuE4ELNS1_3repE0EEENS1_30default_config_static_selectorELNS0_4arch9wavefront6targetE1EEEvT1_
; %bb.0:
	.section	.rodata,"a",@progbits
	.p2align	6, 0x0
	.amdhsa_kernel _ZN7rocprim17ROCPRIM_400000_NS6detail17trampoline_kernelINS0_14default_configENS1_25transform_config_selectorIbLb0EEEZNS1_14transform_implILb0ES3_S5_PbN6thrust23THRUST_200600_302600_NS6detail15normal_iteratorINS9_10device_ptrIbEEEENS0_8identityIbEEEE10hipError_tT2_T3_mT4_P12ihipStream_tbEUlT_E_NS1_11comp_targetILNS1_3genE10ELNS1_11target_archE1200ELNS1_3gpuE4ELNS1_3repE0EEENS1_30default_config_static_selectorELNS0_4arch9wavefront6targetE1EEEvT1_
		.amdhsa_group_segment_fixed_size 0
		.amdhsa_private_segment_fixed_size 0
		.amdhsa_kernarg_size 40
		.amdhsa_user_sgpr_count 2
		.amdhsa_user_sgpr_dispatch_ptr 0
		.amdhsa_user_sgpr_queue_ptr 0
		.amdhsa_user_sgpr_kernarg_segment_ptr 1
		.amdhsa_user_sgpr_dispatch_id 0
		.amdhsa_user_sgpr_kernarg_preload_length 0
		.amdhsa_user_sgpr_kernarg_preload_offset 0
		.amdhsa_user_sgpr_private_segment_size 0
		.amdhsa_uses_dynamic_stack 0
		.amdhsa_enable_private_segment 0
		.amdhsa_system_sgpr_workgroup_id_x 1
		.amdhsa_system_sgpr_workgroup_id_y 0
		.amdhsa_system_sgpr_workgroup_id_z 0
		.amdhsa_system_sgpr_workgroup_info 0
		.amdhsa_system_vgpr_workitem_id 0
		.amdhsa_next_free_vgpr 1
		.amdhsa_next_free_sgpr 0
		.amdhsa_accum_offset 4
		.amdhsa_reserve_vcc 0
		.amdhsa_float_round_mode_32 0
		.amdhsa_float_round_mode_16_64 0
		.amdhsa_float_denorm_mode_32 3
		.amdhsa_float_denorm_mode_16_64 3
		.amdhsa_dx10_clamp 1
		.amdhsa_ieee_mode 1
		.amdhsa_fp16_overflow 0
		.amdhsa_tg_split 0
		.amdhsa_exception_fp_ieee_invalid_op 0
		.amdhsa_exception_fp_denorm_src 0
		.amdhsa_exception_fp_ieee_div_zero 0
		.amdhsa_exception_fp_ieee_overflow 0
		.amdhsa_exception_fp_ieee_underflow 0
		.amdhsa_exception_fp_ieee_inexact 0
		.amdhsa_exception_int_div_zero 0
	.end_amdhsa_kernel
	.section	.text._ZN7rocprim17ROCPRIM_400000_NS6detail17trampoline_kernelINS0_14default_configENS1_25transform_config_selectorIbLb0EEEZNS1_14transform_implILb0ES3_S5_PbN6thrust23THRUST_200600_302600_NS6detail15normal_iteratorINS9_10device_ptrIbEEEENS0_8identityIbEEEE10hipError_tT2_T3_mT4_P12ihipStream_tbEUlT_E_NS1_11comp_targetILNS1_3genE10ELNS1_11target_archE1200ELNS1_3gpuE4ELNS1_3repE0EEENS1_30default_config_static_selectorELNS0_4arch9wavefront6targetE1EEEvT1_,"axG",@progbits,_ZN7rocprim17ROCPRIM_400000_NS6detail17trampoline_kernelINS0_14default_configENS1_25transform_config_selectorIbLb0EEEZNS1_14transform_implILb0ES3_S5_PbN6thrust23THRUST_200600_302600_NS6detail15normal_iteratorINS9_10device_ptrIbEEEENS0_8identityIbEEEE10hipError_tT2_T3_mT4_P12ihipStream_tbEUlT_E_NS1_11comp_targetILNS1_3genE10ELNS1_11target_archE1200ELNS1_3gpuE4ELNS1_3repE0EEENS1_30default_config_static_selectorELNS0_4arch9wavefront6targetE1EEEvT1_,comdat
.Lfunc_end1963:
	.size	_ZN7rocprim17ROCPRIM_400000_NS6detail17trampoline_kernelINS0_14default_configENS1_25transform_config_selectorIbLb0EEEZNS1_14transform_implILb0ES3_S5_PbN6thrust23THRUST_200600_302600_NS6detail15normal_iteratorINS9_10device_ptrIbEEEENS0_8identityIbEEEE10hipError_tT2_T3_mT4_P12ihipStream_tbEUlT_E_NS1_11comp_targetILNS1_3genE10ELNS1_11target_archE1200ELNS1_3gpuE4ELNS1_3repE0EEENS1_30default_config_static_selectorELNS0_4arch9wavefront6targetE1EEEvT1_, .Lfunc_end1963-_ZN7rocprim17ROCPRIM_400000_NS6detail17trampoline_kernelINS0_14default_configENS1_25transform_config_selectorIbLb0EEEZNS1_14transform_implILb0ES3_S5_PbN6thrust23THRUST_200600_302600_NS6detail15normal_iteratorINS9_10device_ptrIbEEEENS0_8identityIbEEEE10hipError_tT2_T3_mT4_P12ihipStream_tbEUlT_E_NS1_11comp_targetILNS1_3genE10ELNS1_11target_archE1200ELNS1_3gpuE4ELNS1_3repE0EEENS1_30default_config_static_selectorELNS0_4arch9wavefront6targetE1EEEvT1_
                                        ; -- End function
	.set _ZN7rocprim17ROCPRIM_400000_NS6detail17trampoline_kernelINS0_14default_configENS1_25transform_config_selectorIbLb0EEEZNS1_14transform_implILb0ES3_S5_PbN6thrust23THRUST_200600_302600_NS6detail15normal_iteratorINS9_10device_ptrIbEEEENS0_8identityIbEEEE10hipError_tT2_T3_mT4_P12ihipStream_tbEUlT_E_NS1_11comp_targetILNS1_3genE10ELNS1_11target_archE1200ELNS1_3gpuE4ELNS1_3repE0EEENS1_30default_config_static_selectorELNS0_4arch9wavefront6targetE1EEEvT1_.num_vgpr, 0
	.set _ZN7rocprim17ROCPRIM_400000_NS6detail17trampoline_kernelINS0_14default_configENS1_25transform_config_selectorIbLb0EEEZNS1_14transform_implILb0ES3_S5_PbN6thrust23THRUST_200600_302600_NS6detail15normal_iteratorINS9_10device_ptrIbEEEENS0_8identityIbEEEE10hipError_tT2_T3_mT4_P12ihipStream_tbEUlT_E_NS1_11comp_targetILNS1_3genE10ELNS1_11target_archE1200ELNS1_3gpuE4ELNS1_3repE0EEENS1_30default_config_static_selectorELNS0_4arch9wavefront6targetE1EEEvT1_.num_agpr, 0
	.set _ZN7rocprim17ROCPRIM_400000_NS6detail17trampoline_kernelINS0_14default_configENS1_25transform_config_selectorIbLb0EEEZNS1_14transform_implILb0ES3_S5_PbN6thrust23THRUST_200600_302600_NS6detail15normal_iteratorINS9_10device_ptrIbEEEENS0_8identityIbEEEE10hipError_tT2_T3_mT4_P12ihipStream_tbEUlT_E_NS1_11comp_targetILNS1_3genE10ELNS1_11target_archE1200ELNS1_3gpuE4ELNS1_3repE0EEENS1_30default_config_static_selectorELNS0_4arch9wavefront6targetE1EEEvT1_.numbered_sgpr, 0
	.set _ZN7rocprim17ROCPRIM_400000_NS6detail17trampoline_kernelINS0_14default_configENS1_25transform_config_selectorIbLb0EEEZNS1_14transform_implILb0ES3_S5_PbN6thrust23THRUST_200600_302600_NS6detail15normal_iteratorINS9_10device_ptrIbEEEENS0_8identityIbEEEE10hipError_tT2_T3_mT4_P12ihipStream_tbEUlT_E_NS1_11comp_targetILNS1_3genE10ELNS1_11target_archE1200ELNS1_3gpuE4ELNS1_3repE0EEENS1_30default_config_static_selectorELNS0_4arch9wavefront6targetE1EEEvT1_.num_named_barrier, 0
	.set _ZN7rocprim17ROCPRIM_400000_NS6detail17trampoline_kernelINS0_14default_configENS1_25transform_config_selectorIbLb0EEEZNS1_14transform_implILb0ES3_S5_PbN6thrust23THRUST_200600_302600_NS6detail15normal_iteratorINS9_10device_ptrIbEEEENS0_8identityIbEEEE10hipError_tT2_T3_mT4_P12ihipStream_tbEUlT_E_NS1_11comp_targetILNS1_3genE10ELNS1_11target_archE1200ELNS1_3gpuE4ELNS1_3repE0EEENS1_30default_config_static_selectorELNS0_4arch9wavefront6targetE1EEEvT1_.private_seg_size, 0
	.set _ZN7rocprim17ROCPRIM_400000_NS6detail17trampoline_kernelINS0_14default_configENS1_25transform_config_selectorIbLb0EEEZNS1_14transform_implILb0ES3_S5_PbN6thrust23THRUST_200600_302600_NS6detail15normal_iteratorINS9_10device_ptrIbEEEENS0_8identityIbEEEE10hipError_tT2_T3_mT4_P12ihipStream_tbEUlT_E_NS1_11comp_targetILNS1_3genE10ELNS1_11target_archE1200ELNS1_3gpuE4ELNS1_3repE0EEENS1_30default_config_static_selectorELNS0_4arch9wavefront6targetE1EEEvT1_.uses_vcc, 0
	.set _ZN7rocprim17ROCPRIM_400000_NS6detail17trampoline_kernelINS0_14default_configENS1_25transform_config_selectorIbLb0EEEZNS1_14transform_implILb0ES3_S5_PbN6thrust23THRUST_200600_302600_NS6detail15normal_iteratorINS9_10device_ptrIbEEEENS0_8identityIbEEEE10hipError_tT2_T3_mT4_P12ihipStream_tbEUlT_E_NS1_11comp_targetILNS1_3genE10ELNS1_11target_archE1200ELNS1_3gpuE4ELNS1_3repE0EEENS1_30default_config_static_selectorELNS0_4arch9wavefront6targetE1EEEvT1_.uses_flat_scratch, 0
	.set _ZN7rocprim17ROCPRIM_400000_NS6detail17trampoline_kernelINS0_14default_configENS1_25transform_config_selectorIbLb0EEEZNS1_14transform_implILb0ES3_S5_PbN6thrust23THRUST_200600_302600_NS6detail15normal_iteratorINS9_10device_ptrIbEEEENS0_8identityIbEEEE10hipError_tT2_T3_mT4_P12ihipStream_tbEUlT_E_NS1_11comp_targetILNS1_3genE10ELNS1_11target_archE1200ELNS1_3gpuE4ELNS1_3repE0EEENS1_30default_config_static_selectorELNS0_4arch9wavefront6targetE1EEEvT1_.has_dyn_sized_stack, 0
	.set _ZN7rocprim17ROCPRIM_400000_NS6detail17trampoline_kernelINS0_14default_configENS1_25transform_config_selectorIbLb0EEEZNS1_14transform_implILb0ES3_S5_PbN6thrust23THRUST_200600_302600_NS6detail15normal_iteratorINS9_10device_ptrIbEEEENS0_8identityIbEEEE10hipError_tT2_T3_mT4_P12ihipStream_tbEUlT_E_NS1_11comp_targetILNS1_3genE10ELNS1_11target_archE1200ELNS1_3gpuE4ELNS1_3repE0EEENS1_30default_config_static_selectorELNS0_4arch9wavefront6targetE1EEEvT1_.has_recursion, 0
	.set _ZN7rocprim17ROCPRIM_400000_NS6detail17trampoline_kernelINS0_14default_configENS1_25transform_config_selectorIbLb0EEEZNS1_14transform_implILb0ES3_S5_PbN6thrust23THRUST_200600_302600_NS6detail15normal_iteratorINS9_10device_ptrIbEEEENS0_8identityIbEEEE10hipError_tT2_T3_mT4_P12ihipStream_tbEUlT_E_NS1_11comp_targetILNS1_3genE10ELNS1_11target_archE1200ELNS1_3gpuE4ELNS1_3repE0EEENS1_30default_config_static_selectorELNS0_4arch9wavefront6targetE1EEEvT1_.has_indirect_call, 0
	.section	.AMDGPU.csdata,"",@progbits
; Kernel info:
; codeLenInByte = 0
; TotalNumSgprs: 6
; NumVgprs: 0
; NumAgprs: 0
; TotalNumVgprs: 0
; ScratchSize: 0
; MemoryBound: 0
; FloatMode: 240
; IeeeMode: 1
; LDSByteSize: 0 bytes/workgroup (compile time only)
; SGPRBlocks: 0
; VGPRBlocks: 0
; NumSGPRsForWavesPerEU: 6
; NumVGPRsForWavesPerEU: 1
; AccumOffset: 4
; Occupancy: 8
; WaveLimiterHint : 0
; COMPUTE_PGM_RSRC2:SCRATCH_EN: 0
; COMPUTE_PGM_RSRC2:USER_SGPR: 2
; COMPUTE_PGM_RSRC2:TRAP_HANDLER: 0
; COMPUTE_PGM_RSRC2:TGID_X_EN: 1
; COMPUTE_PGM_RSRC2:TGID_Y_EN: 0
; COMPUTE_PGM_RSRC2:TGID_Z_EN: 0
; COMPUTE_PGM_RSRC2:TIDIG_COMP_CNT: 0
; COMPUTE_PGM_RSRC3_GFX90A:ACCUM_OFFSET: 0
; COMPUTE_PGM_RSRC3_GFX90A:TG_SPLIT: 0
	.section	.text._ZN7rocprim17ROCPRIM_400000_NS6detail17trampoline_kernelINS0_14default_configENS1_25transform_config_selectorIbLb0EEEZNS1_14transform_implILb0ES3_S5_PbN6thrust23THRUST_200600_302600_NS6detail15normal_iteratorINS9_10device_ptrIbEEEENS0_8identityIbEEEE10hipError_tT2_T3_mT4_P12ihipStream_tbEUlT_E_NS1_11comp_targetILNS1_3genE9ELNS1_11target_archE1100ELNS1_3gpuE3ELNS1_3repE0EEENS1_30default_config_static_selectorELNS0_4arch9wavefront6targetE1EEEvT1_,"axG",@progbits,_ZN7rocprim17ROCPRIM_400000_NS6detail17trampoline_kernelINS0_14default_configENS1_25transform_config_selectorIbLb0EEEZNS1_14transform_implILb0ES3_S5_PbN6thrust23THRUST_200600_302600_NS6detail15normal_iteratorINS9_10device_ptrIbEEEENS0_8identityIbEEEE10hipError_tT2_T3_mT4_P12ihipStream_tbEUlT_E_NS1_11comp_targetILNS1_3genE9ELNS1_11target_archE1100ELNS1_3gpuE3ELNS1_3repE0EEENS1_30default_config_static_selectorELNS0_4arch9wavefront6targetE1EEEvT1_,comdat
	.protected	_ZN7rocprim17ROCPRIM_400000_NS6detail17trampoline_kernelINS0_14default_configENS1_25transform_config_selectorIbLb0EEEZNS1_14transform_implILb0ES3_S5_PbN6thrust23THRUST_200600_302600_NS6detail15normal_iteratorINS9_10device_ptrIbEEEENS0_8identityIbEEEE10hipError_tT2_T3_mT4_P12ihipStream_tbEUlT_E_NS1_11comp_targetILNS1_3genE9ELNS1_11target_archE1100ELNS1_3gpuE3ELNS1_3repE0EEENS1_30default_config_static_selectorELNS0_4arch9wavefront6targetE1EEEvT1_ ; -- Begin function _ZN7rocprim17ROCPRIM_400000_NS6detail17trampoline_kernelINS0_14default_configENS1_25transform_config_selectorIbLb0EEEZNS1_14transform_implILb0ES3_S5_PbN6thrust23THRUST_200600_302600_NS6detail15normal_iteratorINS9_10device_ptrIbEEEENS0_8identityIbEEEE10hipError_tT2_T3_mT4_P12ihipStream_tbEUlT_E_NS1_11comp_targetILNS1_3genE9ELNS1_11target_archE1100ELNS1_3gpuE3ELNS1_3repE0EEENS1_30default_config_static_selectorELNS0_4arch9wavefront6targetE1EEEvT1_
	.globl	_ZN7rocprim17ROCPRIM_400000_NS6detail17trampoline_kernelINS0_14default_configENS1_25transform_config_selectorIbLb0EEEZNS1_14transform_implILb0ES3_S5_PbN6thrust23THRUST_200600_302600_NS6detail15normal_iteratorINS9_10device_ptrIbEEEENS0_8identityIbEEEE10hipError_tT2_T3_mT4_P12ihipStream_tbEUlT_E_NS1_11comp_targetILNS1_3genE9ELNS1_11target_archE1100ELNS1_3gpuE3ELNS1_3repE0EEENS1_30default_config_static_selectorELNS0_4arch9wavefront6targetE1EEEvT1_
	.p2align	8
	.type	_ZN7rocprim17ROCPRIM_400000_NS6detail17trampoline_kernelINS0_14default_configENS1_25transform_config_selectorIbLb0EEEZNS1_14transform_implILb0ES3_S5_PbN6thrust23THRUST_200600_302600_NS6detail15normal_iteratorINS9_10device_ptrIbEEEENS0_8identityIbEEEE10hipError_tT2_T3_mT4_P12ihipStream_tbEUlT_E_NS1_11comp_targetILNS1_3genE9ELNS1_11target_archE1100ELNS1_3gpuE3ELNS1_3repE0EEENS1_30default_config_static_selectorELNS0_4arch9wavefront6targetE1EEEvT1_,@function
_ZN7rocprim17ROCPRIM_400000_NS6detail17trampoline_kernelINS0_14default_configENS1_25transform_config_selectorIbLb0EEEZNS1_14transform_implILb0ES3_S5_PbN6thrust23THRUST_200600_302600_NS6detail15normal_iteratorINS9_10device_ptrIbEEEENS0_8identityIbEEEE10hipError_tT2_T3_mT4_P12ihipStream_tbEUlT_E_NS1_11comp_targetILNS1_3genE9ELNS1_11target_archE1100ELNS1_3gpuE3ELNS1_3repE0EEENS1_30default_config_static_selectorELNS0_4arch9wavefront6targetE1EEEvT1_: ; @_ZN7rocprim17ROCPRIM_400000_NS6detail17trampoline_kernelINS0_14default_configENS1_25transform_config_selectorIbLb0EEEZNS1_14transform_implILb0ES3_S5_PbN6thrust23THRUST_200600_302600_NS6detail15normal_iteratorINS9_10device_ptrIbEEEENS0_8identityIbEEEE10hipError_tT2_T3_mT4_P12ihipStream_tbEUlT_E_NS1_11comp_targetILNS1_3genE9ELNS1_11target_archE1100ELNS1_3gpuE3ELNS1_3repE0EEENS1_30default_config_static_selectorELNS0_4arch9wavefront6targetE1EEEvT1_
; %bb.0:
	.section	.rodata,"a",@progbits
	.p2align	6, 0x0
	.amdhsa_kernel _ZN7rocprim17ROCPRIM_400000_NS6detail17trampoline_kernelINS0_14default_configENS1_25transform_config_selectorIbLb0EEEZNS1_14transform_implILb0ES3_S5_PbN6thrust23THRUST_200600_302600_NS6detail15normal_iteratorINS9_10device_ptrIbEEEENS0_8identityIbEEEE10hipError_tT2_T3_mT4_P12ihipStream_tbEUlT_E_NS1_11comp_targetILNS1_3genE9ELNS1_11target_archE1100ELNS1_3gpuE3ELNS1_3repE0EEENS1_30default_config_static_selectorELNS0_4arch9wavefront6targetE1EEEvT1_
		.amdhsa_group_segment_fixed_size 0
		.amdhsa_private_segment_fixed_size 0
		.amdhsa_kernarg_size 40
		.amdhsa_user_sgpr_count 2
		.amdhsa_user_sgpr_dispatch_ptr 0
		.amdhsa_user_sgpr_queue_ptr 0
		.amdhsa_user_sgpr_kernarg_segment_ptr 1
		.amdhsa_user_sgpr_dispatch_id 0
		.amdhsa_user_sgpr_kernarg_preload_length 0
		.amdhsa_user_sgpr_kernarg_preload_offset 0
		.amdhsa_user_sgpr_private_segment_size 0
		.amdhsa_uses_dynamic_stack 0
		.amdhsa_enable_private_segment 0
		.amdhsa_system_sgpr_workgroup_id_x 1
		.amdhsa_system_sgpr_workgroup_id_y 0
		.amdhsa_system_sgpr_workgroup_id_z 0
		.amdhsa_system_sgpr_workgroup_info 0
		.amdhsa_system_vgpr_workitem_id 0
		.amdhsa_next_free_vgpr 1
		.amdhsa_next_free_sgpr 0
		.amdhsa_accum_offset 4
		.amdhsa_reserve_vcc 0
		.amdhsa_float_round_mode_32 0
		.amdhsa_float_round_mode_16_64 0
		.amdhsa_float_denorm_mode_32 3
		.amdhsa_float_denorm_mode_16_64 3
		.amdhsa_dx10_clamp 1
		.amdhsa_ieee_mode 1
		.amdhsa_fp16_overflow 0
		.amdhsa_tg_split 0
		.amdhsa_exception_fp_ieee_invalid_op 0
		.amdhsa_exception_fp_denorm_src 0
		.amdhsa_exception_fp_ieee_div_zero 0
		.amdhsa_exception_fp_ieee_overflow 0
		.amdhsa_exception_fp_ieee_underflow 0
		.amdhsa_exception_fp_ieee_inexact 0
		.amdhsa_exception_int_div_zero 0
	.end_amdhsa_kernel
	.section	.text._ZN7rocprim17ROCPRIM_400000_NS6detail17trampoline_kernelINS0_14default_configENS1_25transform_config_selectorIbLb0EEEZNS1_14transform_implILb0ES3_S5_PbN6thrust23THRUST_200600_302600_NS6detail15normal_iteratorINS9_10device_ptrIbEEEENS0_8identityIbEEEE10hipError_tT2_T3_mT4_P12ihipStream_tbEUlT_E_NS1_11comp_targetILNS1_3genE9ELNS1_11target_archE1100ELNS1_3gpuE3ELNS1_3repE0EEENS1_30default_config_static_selectorELNS0_4arch9wavefront6targetE1EEEvT1_,"axG",@progbits,_ZN7rocprim17ROCPRIM_400000_NS6detail17trampoline_kernelINS0_14default_configENS1_25transform_config_selectorIbLb0EEEZNS1_14transform_implILb0ES3_S5_PbN6thrust23THRUST_200600_302600_NS6detail15normal_iteratorINS9_10device_ptrIbEEEENS0_8identityIbEEEE10hipError_tT2_T3_mT4_P12ihipStream_tbEUlT_E_NS1_11comp_targetILNS1_3genE9ELNS1_11target_archE1100ELNS1_3gpuE3ELNS1_3repE0EEENS1_30default_config_static_selectorELNS0_4arch9wavefront6targetE1EEEvT1_,comdat
.Lfunc_end1964:
	.size	_ZN7rocprim17ROCPRIM_400000_NS6detail17trampoline_kernelINS0_14default_configENS1_25transform_config_selectorIbLb0EEEZNS1_14transform_implILb0ES3_S5_PbN6thrust23THRUST_200600_302600_NS6detail15normal_iteratorINS9_10device_ptrIbEEEENS0_8identityIbEEEE10hipError_tT2_T3_mT4_P12ihipStream_tbEUlT_E_NS1_11comp_targetILNS1_3genE9ELNS1_11target_archE1100ELNS1_3gpuE3ELNS1_3repE0EEENS1_30default_config_static_selectorELNS0_4arch9wavefront6targetE1EEEvT1_, .Lfunc_end1964-_ZN7rocprim17ROCPRIM_400000_NS6detail17trampoline_kernelINS0_14default_configENS1_25transform_config_selectorIbLb0EEEZNS1_14transform_implILb0ES3_S5_PbN6thrust23THRUST_200600_302600_NS6detail15normal_iteratorINS9_10device_ptrIbEEEENS0_8identityIbEEEE10hipError_tT2_T3_mT4_P12ihipStream_tbEUlT_E_NS1_11comp_targetILNS1_3genE9ELNS1_11target_archE1100ELNS1_3gpuE3ELNS1_3repE0EEENS1_30default_config_static_selectorELNS0_4arch9wavefront6targetE1EEEvT1_
                                        ; -- End function
	.set _ZN7rocprim17ROCPRIM_400000_NS6detail17trampoline_kernelINS0_14default_configENS1_25transform_config_selectorIbLb0EEEZNS1_14transform_implILb0ES3_S5_PbN6thrust23THRUST_200600_302600_NS6detail15normal_iteratorINS9_10device_ptrIbEEEENS0_8identityIbEEEE10hipError_tT2_T3_mT4_P12ihipStream_tbEUlT_E_NS1_11comp_targetILNS1_3genE9ELNS1_11target_archE1100ELNS1_3gpuE3ELNS1_3repE0EEENS1_30default_config_static_selectorELNS0_4arch9wavefront6targetE1EEEvT1_.num_vgpr, 0
	.set _ZN7rocprim17ROCPRIM_400000_NS6detail17trampoline_kernelINS0_14default_configENS1_25transform_config_selectorIbLb0EEEZNS1_14transform_implILb0ES3_S5_PbN6thrust23THRUST_200600_302600_NS6detail15normal_iteratorINS9_10device_ptrIbEEEENS0_8identityIbEEEE10hipError_tT2_T3_mT4_P12ihipStream_tbEUlT_E_NS1_11comp_targetILNS1_3genE9ELNS1_11target_archE1100ELNS1_3gpuE3ELNS1_3repE0EEENS1_30default_config_static_selectorELNS0_4arch9wavefront6targetE1EEEvT1_.num_agpr, 0
	.set _ZN7rocprim17ROCPRIM_400000_NS6detail17trampoline_kernelINS0_14default_configENS1_25transform_config_selectorIbLb0EEEZNS1_14transform_implILb0ES3_S5_PbN6thrust23THRUST_200600_302600_NS6detail15normal_iteratorINS9_10device_ptrIbEEEENS0_8identityIbEEEE10hipError_tT2_T3_mT4_P12ihipStream_tbEUlT_E_NS1_11comp_targetILNS1_3genE9ELNS1_11target_archE1100ELNS1_3gpuE3ELNS1_3repE0EEENS1_30default_config_static_selectorELNS0_4arch9wavefront6targetE1EEEvT1_.numbered_sgpr, 0
	.set _ZN7rocprim17ROCPRIM_400000_NS6detail17trampoline_kernelINS0_14default_configENS1_25transform_config_selectorIbLb0EEEZNS1_14transform_implILb0ES3_S5_PbN6thrust23THRUST_200600_302600_NS6detail15normal_iteratorINS9_10device_ptrIbEEEENS0_8identityIbEEEE10hipError_tT2_T3_mT4_P12ihipStream_tbEUlT_E_NS1_11comp_targetILNS1_3genE9ELNS1_11target_archE1100ELNS1_3gpuE3ELNS1_3repE0EEENS1_30default_config_static_selectorELNS0_4arch9wavefront6targetE1EEEvT1_.num_named_barrier, 0
	.set _ZN7rocprim17ROCPRIM_400000_NS6detail17trampoline_kernelINS0_14default_configENS1_25transform_config_selectorIbLb0EEEZNS1_14transform_implILb0ES3_S5_PbN6thrust23THRUST_200600_302600_NS6detail15normal_iteratorINS9_10device_ptrIbEEEENS0_8identityIbEEEE10hipError_tT2_T3_mT4_P12ihipStream_tbEUlT_E_NS1_11comp_targetILNS1_3genE9ELNS1_11target_archE1100ELNS1_3gpuE3ELNS1_3repE0EEENS1_30default_config_static_selectorELNS0_4arch9wavefront6targetE1EEEvT1_.private_seg_size, 0
	.set _ZN7rocprim17ROCPRIM_400000_NS6detail17trampoline_kernelINS0_14default_configENS1_25transform_config_selectorIbLb0EEEZNS1_14transform_implILb0ES3_S5_PbN6thrust23THRUST_200600_302600_NS6detail15normal_iteratorINS9_10device_ptrIbEEEENS0_8identityIbEEEE10hipError_tT2_T3_mT4_P12ihipStream_tbEUlT_E_NS1_11comp_targetILNS1_3genE9ELNS1_11target_archE1100ELNS1_3gpuE3ELNS1_3repE0EEENS1_30default_config_static_selectorELNS0_4arch9wavefront6targetE1EEEvT1_.uses_vcc, 0
	.set _ZN7rocprim17ROCPRIM_400000_NS6detail17trampoline_kernelINS0_14default_configENS1_25transform_config_selectorIbLb0EEEZNS1_14transform_implILb0ES3_S5_PbN6thrust23THRUST_200600_302600_NS6detail15normal_iteratorINS9_10device_ptrIbEEEENS0_8identityIbEEEE10hipError_tT2_T3_mT4_P12ihipStream_tbEUlT_E_NS1_11comp_targetILNS1_3genE9ELNS1_11target_archE1100ELNS1_3gpuE3ELNS1_3repE0EEENS1_30default_config_static_selectorELNS0_4arch9wavefront6targetE1EEEvT1_.uses_flat_scratch, 0
	.set _ZN7rocprim17ROCPRIM_400000_NS6detail17trampoline_kernelINS0_14default_configENS1_25transform_config_selectorIbLb0EEEZNS1_14transform_implILb0ES3_S5_PbN6thrust23THRUST_200600_302600_NS6detail15normal_iteratorINS9_10device_ptrIbEEEENS0_8identityIbEEEE10hipError_tT2_T3_mT4_P12ihipStream_tbEUlT_E_NS1_11comp_targetILNS1_3genE9ELNS1_11target_archE1100ELNS1_3gpuE3ELNS1_3repE0EEENS1_30default_config_static_selectorELNS0_4arch9wavefront6targetE1EEEvT1_.has_dyn_sized_stack, 0
	.set _ZN7rocprim17ROCPRIM_400000_NS6detail17trampoline_kernelINS0_14default_configENS1_25transform_config_selectorIbLb0EEEZNS1_14transform_implILb0ES3_S5_PbN6thrust23THRUST_200600_302600_NS6detail15normal_iteratorINS9_10device_ptrIbEEEENS0_8identityIbEEEE10hipError_tT2_T3_mT4_P12ihipStream_tbEUlT_E_NS1_11comp_targetILNS1_3genE9ELNS1_11target_archE1100ELNS1_3gpuE3ELNS1_3repE0EEENS1_30default_config_static_selectorELNS0_4arch9wavefront6targetE1EEEvT1_.has_recursion, 0
	.set _ZN7rocprim17ROCPRIM_400000_NS6detail17trampoline_kernelINS0_14default_configENS1_25transform_config_selectorIbLb0EEEZNS1_14transform_implILb0ES3_S5_PbN6thrust23THRUST_200600_302600_NS6detail15normal_iteratorINS9_10device_ptrIbEEEENS0_8identityIbEEEE10hipError_tT2_T3_mT4_P12ihipStream_tbEUlT_E_NS1_11comp_targetILNS1_3genE9ELNS1_11target_archE1100ELNS1_3gpuE3ELNS1_3repE0EEENS1_30default_config_static_selectorELNS0_4arch9wavefront6targetE1EEEvT1_.has_indirect_call, 0
	.section	.AMDGPU.csdata,"",@progbits
; Kernel info:
; codeLenInByte = 0
; TotalNumSgprs: 6
; NumVgprs: 0
; NumAgprs: 0
; TotalNumVgprs: 0
; ScratchSize: 0
; MemoryBound: 0
; FloatMode: 240
; IeeeMode: 1
; LDSByteSize: 0 bytes/workgroup (compile time only)
; SGPRBlocks: 0
; VGPRBlocks: 0
; NumSGPRsForWavesPerEU: 6
; NumVGPRsForWavesPerEU: 1
; AccumOffset: 4
; Occupancy: 8
; WaveLimiterHint : 0
; COMPUTE_PGM_RSRC2:SCRATCH_EN: 0
; COMPUTE_PGM_RSRC2:USER_SGPR: 2
; COMPUTE_PGM_RSRC2:TRAP_HANDLER: 0
; COMPUTE_PGM_RSRC2:TGID_X_EN: 1
; COMPUTE_PGM_RSRC2:TGID_Y_EN: 0
; COMPUTE_PGM_RSRC2:TGID_Z_EN: 0
; COMPUTE_PGM_RSRC2:TIDIG_COMP_CNT: 0
; COMPUTE_PGM_RSRC3_GFX90A:ACCUM_OFFSET: 0
; COMPUTE_PGM_RSRC3_GFX90A:TG_SPLIT: 0
	.section	.text._ZN7rocprim17ROCPRIM_400000_NS6detail17trampoline_kernelINS0_14default_configENS1_25transform_config_selectorIbLb0EEEZNS1_14transform_implILb0ES3_S5_PbN6thrust23THRUST_200600_302600_NS6detail15normal_iteratorINS9_10device_ptrIbEEEENS0_8identityIbEEEE10hipError_tT2_T3_mT4_P12ihipStream_tbEUlT_E_NS1_11comp_targetILNS1_3genE8ELNS1_11target_archE1030ELNS1_3gpuE2ELNS1_3repE0EEENS1_30default_config_static_selectorELNS0_4arch9wavefront6targetE1EEEvT1_,"axG",@progbits,_ZN7rocprim17ROCPRIM_400000_NS6detail17trampoline_kernelINS0_14default_configENS1_25transform_config_selectorIbLb0EEEZNS1_14transform_implILb0ES3_S5_PbN6thrust23THRUST_200600_302600_NS6detail15normal_iteratorINS9_10device_ptrIbEEEENS0_8identityIbEEEE10hipError_tT2_T3_mT4_P12ihipStream_tbEUlT_E_NS1_11comp_targetILNS1_3genE8ELNS1_11target_archE1030ELNS1_3gpuE2ELNS1_3repE0EEENS1_30default_config_static_selectorELNS0_4arch9wavefront6targetE1EEEvT1_,comdat
	.protected	_ZN7rocprim17ROCPRIM_400000_NS6detail17trampoline_kernelINS0_14default_configENS1_25transform_config_selectorIbLb0EEEZNS1_14transform_implILb0ES3_S5_PbN6thrust23THRUST_200600_302600_NS6detail15normal_iteratorINS9_10device_ptrIbEEEENS0_8identityIbEEEE10hipError_tT2_T3_mT4_P12ihipStream_tbEUlT_E_NS1_11comp_targetILNS1_3genE8ELNS1_11target_archE1030ELNS1_3gpuE2ELNS1_3repE0EEENS1_30default_config_static_selectorELNS0_4arch9wavefront6targetE1EEEvT1_ ; -- Begin function _ZN7rocprim17ROCPRIM_400000_NS6detail17trampoline_kernelINS0_14default_configENS1_25transform_config_selectorIbLb0EEEZNS1_14transform_implILb0ES3_S5_PbN6thrust23THRUST_200600_302600_NS6detail15normal_iteratorINS9_10device_ptrIbEEEENS0_8identityIbEEEE10hipError_tT2_T3_mT4_P12ihipStream_tbEUlT_E_NS1_11comp_targetILNS1_3genE8ELNS1_11target_archE1030ELNS1_3gpuE2ELNS1_3repE0EEENS1_30default_config_static_selectorELNS0_4arch9wavefront6targetE1EEEvT1_
	.globl	_ZN7rocprim17ROCPRIM_400000_NS6detail17trampoline_kernelINS0_14default_configENS1_25transform_config_selectorIbLb0EEEZNS1_14transform_implILb0ES3_S5_PbN6thrust23THRUST_200600_302600_NS6detail15normal_iteratorINS9_10device_ptrIbEEEENS0_8identityIbEEEE10hipError_tT2_T3_mT4_P12ihipStream_tbEUlT_E_NS1_11comp_targetILNS1_3genE8ELNS1_11target_archE1030ELNS1_3gpuE2ELNS1_3repE0EEENS1_30default_config_static_selectorELNS0_4arch9wavefront6targetE1EEEvT1_
	.p2align	8
	.type	_ZN7rocprim17ROCPRIM_400000_NS6detail17trampoline_kernelINS0_14default_configENS1_25transform_config_selectorIbLb0EEEZNS1_14transform_implILb0ES3_S5_PbN6thrust23THRUST_200600_302600_NS6detail15normal_iteratorINS9_10device_ptrIbEEEENS0_8identityIbEEEE10hipError_tT2_T3_mT4_P12ihipStream_tbEUlT_E_NS1_11comp_targetILNS1_3genE8ELNS1_11target_archE1030ELNS1_3gpuE2ELNS1_3repE0EEENS1_30default_config_static_selectorELNS0_4arch9wavefront6targetE1EEEvT1_,@function
_ZN7rocprim17ROCPRIM_400000_NS6detail17trampoline_kernelINS0_14default_configENS1_25transform_config_selectorIbLb0EEEZNS1_14transform_implILb0ES3_S5_PbN6thrust23THRUST_200600_302600_NS6detail15normal_iteratorINS9_10device_ptrIbEEEENS0_8identityIbEEEE10hipError_tT2_T3_mT4_P12ihipStream_tbEUlT_E_NS1_11comp_targetILNS1_3genE8ELNS1_11target_archE1030ELNS1_3gpuE2ELNS1_3repE0EEENS1_30default_config_static_selectorELNS0_4arch9wavefront6targetE1EEEvT1_: ; @_ZN7rocprim17ROCPRIM_400000_NS6detail17trampoline_kernelINS0_14default_configENS1_25transform_config_selectorIbLb0EEEZNS1_14transform_implILb0ES3_S5_PbN6thrust23THRUST_200600_302600_NS6detail15normal_iteratorINS9_10device_ptrIbEEEENS0_8identityIbEEEE10hipError_tT2_T3_mT4_P12ihipStream_tbEUlT_E_NS1_11comp_targetILNS1_3genE8ELNS1_11target_archE1030ELNS1_3gpuE2ELNS1_3repE0EEENS1_30default_config_static_selectorELNS0_4arch9wavefront6targetE1EEEvT1_
; %bb.0:
	.section	.rodata,"a",@progbits
	.p2align	6, 0x0
	.amdhsa_kernel _ZN7rocprim17ROCPRIM_400000_NS6detail17trampoline_kernelINS0_14default_configENS1_25transform_config_selectorIbLb0EEEZNS1_14transform_implILb0ES3_S5_PbN6thrust23THRUST_200600_302600_NS6detail15normal_iteratorINS9_10device_ptrIbEEEENS0_8identityIbEEEE10hipError_tT2_T3_mT4_P12ihipStream_tbEUlT_E_NS1_11comp_targetILNS1_3genE8ELNS1_11target_archE1030ELNS1_3gpuE2ELNS1_3repE0EEENS1_30default_config_static_selectorELNS0_4arch9wavefront6targetE1EEEvT1_
		.amdhsa_group_segment_fixed_size 0
		.amdhsa_private_segment_fixed_size 0
		.amdhsa_kernarg_size 40
		.amdhsa_user_sgpr_count 2
		.amdhsa_user_sgpr_dispatch_ptr 0
		.amdhsa_user_sgpr_queue_ptr 0
		.amdhsa_user_sgpr_kernarg_segment_ptr 1
		.amdhsa_user_sgpr_dispatch_id 0
		.amdhsa_user_sgpr_kernarg_preload_length 0
		.amdhsa_user_sgpr_kernarg_preload_offset 0
		.amdhsa_user_sgpr_private_segment_size 0
		.amdhsa_uses_dynamic_stack 0
		.amdhsa_enable_private_segment 0
		.amdhsa_system_sgpr_workgroup_id_x 1
		.amdhsa_system_sgpr_workgroup_id_y 0
		.amdhsa_system_sgpr_workgroup_id_z 0
		.amdhsa_system_sgpr_workgroup_info 0
		.amdhsa_system_vgpr_workitem_id 0
		.amdhsa_next_free_vgpr 1
		.amdhsa_next_free_sgpr 0
		.amdhsa_accum_offset 4
		.amdhsa_reserve_vcc 0
		.amdhsa_float_round_mode_32 0
		.amdhsa_float_round_mode_16_64 0
		.amdhsa_float_denorm_mode_32 3
		.amdhsa_float_denorm_mode_16_64 3
		.amdhsa_dx10_clamp 1
		.amdhsa_ieee_mode 1
		.amdhsa_fp16_overflow 0
		.amdhsa_tg_split 0
		.amdhsa_exception_fp_ieee_invalid_op 0
		.amdhsa_exception_fp_denorm_src 0
		.amdhsa_exception_fp_ieee_div_zero 0
		.amdhsa_exception_fp_ieee_overflow 0
		.amdhsa_exception_fp_ieee_underflow 0
		.amdhsa_exception_fp_ieee_inexact 0
		.amdhsa_exception_int_div_zero 0
	.end_amdhsa_kernel
	.section	.text._ZN7rocprim17ROCPRIM_400000_NS6detail17trampoline_kernelINS0_14default_configENS1_25transform_config_selectorIbLb0EEEZNS1_14transform_implILb0ES3_S5_PbN6thrust23THRUST_200600_302600_NS6detail15normal_iteratorINS9_10device_ptrIbEEEENS0_8identityIbEEEE10hipError_tT2_T3_mT4_P12ihipStream_tbEUlT_E_NS1_11comp_targetILNS1_3genE8ELNS1_11target_archE1030ELNS1_3gpuE2ELNS1_3repE0EEENS1_30default_config_static_selectorELNS0_4arch9wavefront6targetE1EEEvT1_,"axG",@progbits,_ZN7rocprim17ROCPRIM_400000_NS6detail17trampoline_kernelINS0_14default_configENS1_25transform_config_selectorIbLb0EEEZNS1_14transform_implILb0ES3_S5_PbN6thrust23THRUST_200600_302600_NS6detail15normal_iteratorINS9_10device_ptrIbEEEENS0_8identityIbEEEE10hipError_tT2_T3_mT4_P12ihipStream_tbEUlT_E_NS1_11comp_targetILNS1_3genE8ELNS1_11target_archE1030ELNS1_3gpuE2ELNS1_3repE0EEENS1_30default_config_static_selectorELNS0_4arch9wavefront6targetE1EEEvT1_,comdat
.Lfunc_end1965:
	.size	_ZN7rocprim17ROCPRIM_400000_NS6detail17trampoline_kernelINS0_14default_configENS1_25transform_config_selectorIbLb0EEEZNS1_14transform_implILb0ES3_S5_PbN6thrust23THRUST_200600_302600_NS6detail15normal_iteratorINS9_10device_ptrIbEEEENS0_8identityIbEEEE10hipError_tT2_T3_mT4_P12ihipStream_tbEUlT_E_NS1_11comp_targetILNS1_3genE8ELNS1_11target_archE1030ELNS1_3gpuE2ELNS1_3repE0EEENS1_30default_config_static_selectorELNS0_4arch9wavefront6targetE1EEEvT1_, .Lfunc_end1965-_ZN7rocprim17ROCPRIM_400000_NS6detail17trampoline_kernelINS0_14default_configENS1_25transform_config_selectorIbLb0EEEZNS1_14transform_implILb0ES3_S5_PbN6thrust23THRUST_200600_302600_NS6detail15normal_iteratorINS9_10device_ptrIbEEEENS0_8identityIbEEEE10hipError_tT2_T3_mT4_P12ihipStream_tbEUlT_E_NS1_11comp_targetILNS1_3genE8ELNS1_11target_archE1030ELNS1_3gpuE2ELNS1_3repE0EEENS1_30default_config_static_selectorELNS0_4arch9wavefront6targetE1EEEvT1_
                                        ; -- End function
	.set _ZN7rocprim17ROCPRIM_400000_NS6detail17trampoline_kernelINS0_14default_configENS1_25transform_config_selectorIbLb0EEEZNS1_14transform_implILb0ES3_S5_PbN6thrust23THRUST_200600_302600_NS6detail15normal_iteratorINS9_10device_ptrIbEEEENS0_8identityIbEEEE10hipError_tT2_T3_mT4_P12ihipStream_tbEUlT_E_NS1_11comp_targetILNS1_3genE8ELNS1_11target_archE1030ELNS1_3gpuE2ELNS1_3repE0EEENS1_30default_config_static_selectorELNS0_4arch9wavefront6targetE1EEEvT1_.num_vgpr, 0
	.set _ZN7rocprim17ROCPRIM_400000_NS6detail17trampoline_kernelINS0_14default_configENS1_25transform_config_selectorIbLb0EEEZNS1_14transform_implILb0ES3_S5_PbN6thrust23THRUST_200600_302600_NS6detail15normal_iteratorINS9_10device_ptrIbEEEENS0_8identityIbEEEE10hipError_tT2_T3_mT4_P12ihipStream_tbEUlT_E_NS1_11comp_targetILNS1_3genE8ELNS1_11target_archE1030ELNS1_3gpuE2ELNS1_3repE0EEENS1_30default_config_static_selectorELNS0_4arch9wavefront6targetE1EEEvT1_.num_agpr, 0
	.set _ZN7rocprim17ROCPRIM_400000_NS6detail17trampoline_kernelINS0_14default_configENS1_25transform_config_selectorIbLb0EEEZNS1_14transform_implILb0ES3_S5_PbN6thrust23THRUST_200600_302600_NS6detail15normal_iteratorINS9_10device_ptrIbEEEENS0_8identityIbEEEE10hipError_tT2_T3_mT4_P12ihipStream_tbEUlT_E_NS1_11comp_targetILNS1_3genE8ELNS1_11target_archE1030ELNS1_3gpuE2ELNS1_3repE0EEENS1_30default_config_static_selectorELNS0_4arch9wavefront6targetE1EEEvT1_.numbered_sgpr, 0
	.set _ZN7rocprim17ROCPRIM_400000_NS6detail17trampoline_kernelINS0_14default_configENS1_25transform_config_selectorIbLb0EEEZNS1_14transform_implILb0ES3_S5_PbN6thrust23THRUST_200600_302600_NS6detail15normal_iteratorINS9_10device_ptrIbEEEENS0_8identityIbEEEE10hipError_tT2_T3_mT4_P12ihipStream_tbEUlT_E_NS1_11comp_targetILNS1_3genE8ELNS1_11target_archE1030ELNS1_3gpuE2ELNS1_3repE0EEENS1_30default_config_static_selectorELNS0_4arch9wavefront6targetE1EEEvT1_.num_named_barrier, 0
	.set _ZN7rocprim17ROCPRIM_400000_NS6detail17trampoline_kernelINS0_14default_configENS1_25transform_config_selectorIbLb0EEEZNS1_14transform_implILb0ES3_S5_PbN6thrust23THRUST_200600_302600_NS6detail15normal_iteratorINS9_10device_ptrIbEEEENS0_8identityIbEEEE10hipError_tT2_T3_mT4_P12ihipStream_tbEUlT_E_NS1_11comp_targetILNS1_3genE8ELNS1_11target_archE1030ELNS1_3gpuE2ELNS1_3repE0EEENS1_30default_config_static_selectorELNS0_4arch9wavefront6targetE1EEEvT1_.private_seg_size, 0
	.set _ZN7rocprim17ROCPRIM_400000_NS6detail17trampoline_kernelINS0_14default_configENS1_25transform_config_selectorIbLb0EEEZNS1_14transform_implILb0ES3_S5_PbN6thrust23THRUST_200600_302600_NS6detail15normal_iteratorINS9_10device_ptrIbEEEENS0_8identityIbEEEE10hipError_tT2_T3_mT4_P12ihipStream_tbEUlT_E_NS1_11comp_targetILNS1_3genE8ELNS1_11target_archE1030ELNS1_3gpuE2ELNS1_3repE0EEENS1_30default_config_static_selectorELNS0_4arch9wavefront6targetE1EEEvT1_.uses_vcc, 0
	.set _ZN7rocprim17ROCPRIM_400000_NS6detail17trampoline_kernelINS0_14default_configENS1_25transform_config_selectorIbLb0EEEZNS1_14transform_implILb0ES3_S5_PbN6thrust23THRUST_200600_302600_NS6detail15normal_iteratorINS9_10device_ptrIbEEEENS0_8identityIbEEEE10hipError_tT2_T3_mT4_P12ihipStream_tbEUlT_E_NS1_11comp_targetILNS1_3genE8ELNS1_11target_archE1030ELNS1_3gpuE2ELNS1_3repE0EEENS1_30default_config_static_selectorELNS0_4arch9wavefront6targetE1EEEvT1_.uses_flat_scratch, 0
	.set _ZN7rocprim17ROCPRIM_400000_NS6detail17trampoline_kernelINS0_14default_configENS1_25transform_config_selectorIbLb0EEEZNS1_14transform_implILb0ES3_S5_PbN6thrust23THRUST_200600_302600_NS6detail15normal_iteratorINS9_10device_ptrIbEEEENS0_8identityIbEEEE10hipError_tT2_T3_mT4_P12ihipStream_tbEUlT_E_NS1_11comp_targetILNS1_3genE8ELNS1_11target_archE1030ELNS1_3gpuE2ELNS1_3repE0EEENS1_30default_config_static_selectorELNS0_4arch9wavefront6targetE1EEEvT1_.has_dyn_sized_stack, 0
	.set _ZN7rocprim17ROCPRIM_400000_NS6detail17trampoline_kernelINS0_14default_configENS1_25transform_config_selectorIbLb0EEEZNS1_14transform_implILb0ES3_S5_PbN6thrust23THRUST_200600_302600_NS6detail15normal_iteratorINS9_10device_ptrIbEEEENS0_8identityIbEEEE10hipError_tT2_T3_mT4_P12ihipStream_tbEUlT_E_NS1_11comp_targetILNS1_3genE8ELNS1_11target_archE1030ELNS1_3gpuE2ELNS1_3repE0EEENS1_30default_config_static_selectorELNS0_4arch9wavefront6targetE1EEEvT1_.has_recursion, 0
	.set _ZN7rocprim17ROCPRIM_400000_NS6detail17trampoline_kernelINS0_14default_configENS1_25transform_config_selectorIbLb0EEEZNS1_14transform_implILb0ES3_S5_PbN6thrust23THRUST_200600_302600_NS6detail15normal_iteratorINS9_10device_ptrIbEEEENS0_8identityIbEEEE10hipError_tT2_T3_mT4_P12ihipStream_tbEUlT_E_NS1_11comp_targetILNS1_3genE8ELNS1_11target_archE1030ELNS1_3gpuE2ELNS1_3repE0EEENS1_30default_config_static_selectorELNS0_4arch9wavefront6targetE1EEEvT1_.has_indirect_call, 0
	.section	.AMDGPU.csdata,"",@progbits
; Kernel info:
; codeLenInByte = 0
; TotalNumSgprs: 6
; NumVgprs: 0
; NumAgprs: 0
; TotalNumVgprs: 0
; ScratchSize: 0
; MemoryBound: 0
; FloatMode: 240
; IeeeMode: 1
; LDSByteSize: 0 bytes/workgroup (compile time only)
; SGPRBlocks: 0
; VGPRBlocks: 0
; NumSGPRsForWavesPerEU: 6
; NumVGPRsForWavesPerEU: 1
; AccumOffset: 4
; Occupancy: 8
; WaveLimiterHint : 0
; COMPUTE_PGM_RSRC2:SCRATCH_EN: 0
; COMPUTE_PGM_RSRC2:USER_SGPR: 2
; COMPUTE_PGM_RSRC2:TRAP_HANDLER: 0
; COMPUTE_PGM_RSRC2:TGID_X_EN: 1
; COMPUTE_PGM_RSRC2:TGID_Y_EN: 0
; COMPUTE_PGM_RSRC2:TGID_Z_EN: 0
; COMPUTE_PGM_RSRC2:TIDIG_COMP_CNT: 0
; COMPUTE_PGM_RSRC3_GFX90A:ACCUM_OFFSET: 0
; COMPUTE_PGM_RSRC3_GFX90A:TG_SPLIT: 0
	.section	.text._ZN7rocprim17ROCPRIM_400000_NS6detail17trampoline_kernelINS0_14default_configENS1_38merge_sort_block_merge_config_selectorIbiEEZZNS1_27merge_sort_block_merge_implIS3_N6thrust23THRUST_200600_302600_NS6detail15normal_iteratorINS8_10device_ptrIbEEEENSA_INSB_IiEEEEjNS1_19radix_merge_compareILb0ELb1EbNS0_19identity_decomposerEEEEE10hipError_tT0_T1_T2_jT3_P12ihipStream_tbPNSt15iterator_traitsISK_E10value_typeEPNSQ_ISL_E10value_typeEPSM_NS1_7vsmem_tEENKUlT_SK_SL_SM_E_clIPbSD_PiSF_EESJ_SZ_SK_SL_SM_EUlSZ_E_NS1_11comp_targetILNS1_3genE0ELNS1_11target_archE4294967295ELNS1_3gpuE0ELNS1_3repE0EEENS1_48merge_mergepath_partition_config_static_selectorELNS0_4arch9wavefront6targetE1EEEvSL_,"axG",@progbits,_ZN7rocprim17ROCPRIM_400000_NS6detail17trampoline_kernelINS0_14default_configENS1_38merge_sort_block_merge_config_selectorIbiEEZZNS1_27merge_sort_block_merge_implIS3_N6thrust23THRUST_200600_302600_NS6detail15normal_iteratorINS8_10device_ptrIbEEEENSA_INSB_IiEEEEjNS1_19radix_merge_compareILb0ELb1EbNS0_19identity_decomposerEEEEE10hipError_tT0_T1_T2_jT3_P12ihipStream_tbPNSt15iterator_traitsISK_E10value_typeEPNSQ_ISL_E10value_typeEPSM_NS1_7vsmem_tEENKUlT_SK_SL_SM_E_clIPbSD_PiSF_EESJ_SZ_SK_SL_SM_EUlSZ_E_NS1_11comp_targetILNS1_3genE0ELNS1_11target_archE4294967295ELNS1_3gpuE0ELNS1_3repE0EEENS1_48merge_mergepath_partition_config_static_selectorELNS0_4arch9wavefront6targetE1EEEvSL_,comdat
	.protected	_ZN7rocprim17ROCPRIM_400000_NS6detail17trampoline_kernelINS0_14default_configENS1_38merge_sort_block_merge_config_selectorIbiEEZZNS1_27merge_sort_block_merge_implIS3_N6thrust23THRUST_200600_302600_NS6detail15normal_iteratorINS8_10device_ptrIbEEEENSA_INSB_IiEEEEjNS1_19radix_merge_compareILb0ELb1EbNS0_19identity_decomposerEEEEE10hipError_tT0_T1_T2_jT3_P12ihipStream_tbPNSt15iterator_traitsISK_E10value_typeEPNSQ_ISL_E10value_typeEPSM_NS1_7vsmem_tEENKUlT_SK_SL_SM_E_clIPbSD_PiSF_EESJ_SZ_SK_SL_SM_EUlSZ_E_NS1_11comp_targetILNS1_3genE0ELNS1_11target_archE4294967295ELNS1_3gpuE0ELNS1_3repE0EEENS1_48merge_mergepath_partition_config_static_selectorELNS0_4arch9wavefront6targetE1EEEvSL_ ; -- Begin function _ZN7rocprim17ROCPRIM_400000_NS6detail17trampoline_kernelINS0_14default_configENS1_38merge_sort_block_merge_config_selectorIbiEEZZNS1_27merge_sort_block_merge_implIS3_N6thrust23THRUST_200600_302600_NS6detail15normal_iteratorINS8_10device_ptrIbEEEENSA_INSB_IiEEEEjNS1_19radix_merge_compareILb0ELb1EbNS0_19identity_decomposerEEEEE10hipError_tT0_T1_T2_jT3_P12ihipStream_tbPNSt15iterator_traitsISK_E10value_typeEPNSQ_ISL_E10value_typeEPSM_NS1_7vsmem_tEENKUlT_SK_SL_SM_E_clIPbSD_PiSF_EESJ_SZ_SK_SL_SM_EUlSZ_E_NS1_11comp_targetILNS1_3genE0ELNS1_11target_archE4294967295ELNS1_3gpuE0ELNS1_3repE0EEENS1_48merge_mergepath_partition_config_static_selectorELNS0_4arch9wavefront6targetE1EEEvSL_
	.globl	_ZN7rocprim17ROCPRIM_400000_NS6detail17trampoline_kernelINS0_14default_configENS1_38merge_sort_block_merge_config_selectorIbiEEZZNS1_27merge_sort_block_merge_implIS3_N6thrust23THRUST_200600_302600_NS6detail15normal_iteratorINS8_10device_ptrIbEEEENSA_INSB_IiEEEEjNS1_19radix_merge_compareILb0ELb1EbNS0_19identity_decomposerEEEEE10hipError_tT0_T1_T2_jT3_P12ihipStream_tbPNSt15iterator_traitsISK_E10value_typeEPNSQ_ISL_E10value_typeEPSM_NS1_7vsmem_tEENKUlT_SK_SL_SM_E_clIPbSD_PiSF_EESJ_SZ_SK_SL_SM_EUlSZ_E_NS1_11comp_targetILNS1_3genE0ELNS1_11target_archE4294967295ELNS1_3gpuE0ELNS1_3repE0EEENS1_48merge_mergepath_partition_config_static_selectorELNS0_4arch9wavefront6targetE1EEEvSL_
	.p2align	8
	.type	_ZN7rocprim17ROCPRIM_400000_NS6detail17trampoline_kernelINS0_14default_configENS1_38merge_sort_block_merge_config_selectorIbiEEZZNS1_27merge_sort_block_merge_implIS3_N6thrust23THRUST_200600_302600_NS6detail15normal_iteratorINS8_10device_ptrIbEEEENSA_INSB_IiEEEEjNS1_19radix_merge_compareILb0ELb1EbNS0_19identity_decomposerEEEEE10hipError_tT0_T1_T2_jT3_P12ihipStream_tbPNSt15iterator_traitsISK_E10value_typeEPNSQ_ISL_E10value_typeEPSM_NS1_7vsmem_tEENKUlT_SK_SL_SM_E_clIPbSD_PiSF_EESJ_SZ_SK_SL_SM_EUlSZ_E_NS1_11comp_targetILNS1_3genE0ELNS1_11target_archE4294967295ELNS1_3gpuE0ELNS1_3repE0EEENS1_48merge_mergepath_partition_config_static_selectorELNS0_4arch9wavefront6targetE1EEEvSL_,@function
_ZN7rocprim17ROCPRIM_400000_NS6detail17trampoline_kernelINS0_14default_configENS1_38merge_sort_block_merge_config_selectorIbiEEZZNS1_27merge_sort_block_merge_implIS3_N6thrust23THRUST_200600_302600_NS6detail15normal_iteratorINS8_10device_ptrIbEEEENSA_INSB_IiEEEEjNS1_19radix_merge_compareILb0ELb1EbNS0_19identity_decomposerEEEEE10hipError_tT0_T1_T2_jT3_P12ihipStream_tbPNSt15iterator_traitsISK_E10value_typeEPNSQ_ISL_E10value_typeEPSM_NS1_7vsmem_tEENKUlT_SK_SL_SM_E_clIPbSD_PiSF_EESJ_SZ_SK_SL_SM_EUlSZ_E_NS1_11comp_targetILNS1_3genE0ELNS1_11target_archE4294967295ELNS1_3gpuE0ELNS1_3repE0EEENS1_48merge_mergepath_partition_config_static_selectorELNS0_4arch9wavefront6targetE1EEEvSL_: ; @_ZN7rocprim17ROCPRIM_400000_NS6detail17trampoline_kernelINS0_14default_configENS1_38merge_sort_block_merge_config_selectorIbiEEZZNS1_27merge_sort_block_merge_implIS3_N6thrust23THRUST_200600_302600_NS6detail15normal_iteratorINS8_10device_ptrIbEEEENSA_INSB_IiEEEEjNS1_19radix_merge_compareILb0ELb1EbNS0_19identity_decomposerEEEEE10hipError_tT0_T1_T2_jT3_P12ihipStream_tbPNSt15iterator_traitsISK_E10value_typeEPNSQ_ISL_E10value_typeEPSM_NS1_7vsmem_tEENKUlT_SK_SL_SM_E_clIPbSD_PiSF_EESJ_SZ_SK_SL_SM_EUlSZ_E_NS1_11comp_targetILNS1_3genE0ELNS1_11target_archE4294967295ELNS1_3gpuE0ELNS1_3repE0EEENS1_48merge_mergepath_partition_config_static_selectorELNS0_4arch9wavefront6targetE1EEEvSL_
; %bb.0:
	s_load_dword s5, s[2:3], 0x0
	v_and_b32_e32 v1, 0x3ff, v0
	v_lshl_or_b32 v2, s4, 7, v1
	s_waitcnt lgkmcnt(0)
	v_cmp_gt_u32_e32 vcc, s5, v2
	s_and_saveexec_b64 s[4:5], vcc
	s_cbranch_execz .LBB1966_6
; %bb.1:
	s_load_dwordx2 s[4:5], s[0:1], 0x4
	s_load_dwordx2 s[6:7], s[2:3], 0x4
	v_bfe_u32 v3, v0, 10, 10
	v_bfe_u32 v0, v0, 20, 10
	s_waitcnt lgkmcnt(0)
	s_lshr_b32 s0, s4, 16
	v_mul_u32_u24_e32 v3, s5, v3
	s_mul_i32 s0, s0, s5
	s_lshr_b32 s5, s6, 9
	s_and_b32 s5, s5, 0x7ffffe
	v_mul_u32_u24_e32 v1, s0, v1
	s_add_i32 s8, s5, -1
	s_sub_i32 s5, 0, s5
	v_add3_u32 v1, v1, v3, v0
	v_and_b32_e32 v0, s5, v2
	v_lshlrev_b32_e32 v4, 10, v0
	v_min_u32_e32 v0, s7, v4
	v_add_u32_e32 v4, s6, v4
	s_load_dwordx2 s[0:1], s[2:3], 0x20
	s_load_dword s4, s[2:3], 0x18
	v_min_u32_e32 v4, s7, v4
	v_add_u32_e32 v5, s6, v4
	v_and_b32_e32 v3, s8, v2
	v_min_u32_e32 v5, s7, v5
	v_sub_u32_e32 v6, v5, v0
	v_lshlrev_b32_e32 v3, 10, v3
	v_min_u32_e32 v10, v6, v3
	v_sub_u32_e32 v6, v4, v0
	v_sub_u32_e32 v3, v5, v4
	s_waitcnt lgkmcnt(0)
	s_and_b32 s4, s4, 1
	v_sub_u32_e64 v3, v10, v3 clamp
	v_min_u32_e32 v11, v10, v6
	v_mov_b32_e32 v5, s4
	v_cmp_lt_u32_e32 vcc, v3, v11
	ds_write_b8 v1, v5
	s_and_saveexec_b64 s[4:5], vcc
	s_cbranch_execz .LBB1966_5
; %bb.2:
	s_load_dwordx2 s[2:3], s[2:3], 0x10
	ds_read_u8 v12, v1
	v_mov_b32_e32 v5, 0
	v_mov_b32_e32 v1, v5
	s_waitcnt lgkmcnt(0)
	v_lshl_add_u64 v[6:7], s[2:3], 0, v[0:1]
	v_lshl_add_u64 v[8:9], s[2:3], 0, v[4:5]
	s_mov_b64 s[2:3], 0
.LBB1966_3:                             ; =>This Inner Loop Header: Depth=1
	v_add_u32_e32 v1, v11, v3
	v_lshrrev_b32_e32 v4, 1, v1
	v_mov_b32_e32 v15, v5
	v_xad_u32 v14, v4, -1, v10
	v_lshl_add_u64 v[16:17], v[6:7], 0, v[4:5]
	v_lshl_add_u64 v[14:15], v[8:9], 0, v[14:15]
	global_load_ubyte v1, v[16:17], off
	global_load_ubyte v13, v[14:15], off
	v_add_u32_e32 v14, 1, v4
	s_waitcnt vmcnt(1)
	v_bitop3_b16 v1, v1, 1, v12 bitop3:0x80
	s_waitcnt vmcnt(0)
	v_bitop3_b16 v13, v13, 1, v12 bitop3:0x80
	v_cmp_gt_u16_e32 vcc, v1, v13
	s_nop 1
	v_cndmask_b32_e32 v11, v11, v4, vcc
	v_cndmask_b32_e32 v3, v14, v3, vcc
	v_cmp_ge_u32_e32 vcc, v3, v11
	s_or_b64 s[2:3], vcc, s[2:3]
	s_andn2_b64 exec, exec, s[2:3]
	s_cbranch_execnz .LBB1966_3
; %bb.4:
	s_or_b64 exec, exec, s[2:3]
.LBB1966_5:
	s_or_b64 exec, exec, s[4:5]
	v_add_u32_e32 v4, v3, v0
	v_mov_b32_e32 v3, 0
	v_lshl_add_u64 v[0:1], v[2:3], 2, s[0:1]
	global_store_dword v[0:1], v4, off
.LBB1966_6:
	s_endpgm
	.section	.rodata,"a",@progbits
	.p2align	6, 0x0
	.amdhsa_kernel _ZN7rocprim17ROCPRIM_400000_NS6detail17trampoline_kernelINS0_14default_configENS1_38merge_sort_block_merge_config_selectorIbiEEZZNS1_27merge_sort_block_merge_implIS3_N6thrust23THRUST_200600_302600_NS6detail15normal_iteratorINS8_10device_ptrIbEEEENSA_INSB_IiEEEEjNS1_19radix_merge_compareILb0ELb1EbNS0_19identity_decomposerEEEEE10hipError_tT0_T1_T2_jT3_P12ihipStream_tbPNSt15iterator_traitsISK_E10value_typeEPNSQ_ISL_E10value_typeEPSM_NS1_7vsmem_tEENKUlT_SK_SL_SM_E_clIPbSD_PiSF_EESJ_SZ_SK_SL_SM_EUlSZ_E_NS1_11comp_targetILNS1_3genE0ELNS1_11target_archE4294967295ELNS1_3gpuE0ELNS1_3repE0EEENS1_48merge_mergepath_partition_config_static_selectorELNS0_4arch9wavefront6targetE1EEEvSL_
		.amdhsa_group_segment_fixed_size 128
		.amdhsa_private_segment_fixed_size 0
		.amdhsa_kernarg_size 40
		.amdhsa_user_sgpr_count 4
		.amdhsa_user_sgpr_dispatch_ptr 1
		.amdhsa_user_sgpr_queue_ptr 0
		.amdhsa_user_sgpr_kernarg_segment_ptr 1
		.amdhsa_user_sgpr_dispatch_id 0
		.amdhsa_user_sgpr_kernarg_preload_length 0
		.amdhsa_user_sgpr_kernarg_preload_offset 0
		.amdhsa_user_sgpr_private_segment_size 0
		.amdhsa_uses_dynamic_stack 0
		.amdhsa_enable_private_segment 0
		.amdhsa_system_sgpr_workgroup_id_x 1
		.amdhsa_system_sgpr_workgroup_id_y 0
		.amdhsa_system_sgpr_workgroup_id_z 0
		.amdhsa_system_sgpr_workgroup_info 0
		.amdhsa_system_vgpr_workitem_id 2
		.amdhsa_next_free_vgpr 18
		.amdhsa_next_free_sgpr 9
		.amdhsa_accum_offset 20
		.amdhsa_reserve_vcc 1
		.amdhsa_float_round_mode_32 0
		.amdhsa_float_round_mode_16_64 0
		.amdhsa_float_denorm_mode_32 3
		.amdhsa_float_denorm_mode_16_64 3
		.amdhsa_dx10_clamp 1
		.amdhsa_ieee_mode 1
		.amdhsa_fp16_overflow 0
		.amdhsa_tg_split 0
		.amdhsa_exception_fp_ieee_invalid_op 0
		.amdhsa_exception_fp_denorm_src 0
		.amdhsa_exception_fp_ieee_div_zero 0
		.amdhsa_exception_fp_ieee_overflow 0
		.amdhsa_exception_fp_ieee_underflow 0
		.amdhsa_exception_fp_ieee_inexact 0
		.amdhsa_exception_int_div_zero 0
	.end_amdhsa_kernel
	.section	.text._ZN7rocprim17ROCPRIM_400000_NS6detail17trampoline_kernelINS0_14default_configENS1_38merge_sort_block_merge_config_selectorIbiEEZZNS1_27merge_sort_block_merge_implIS3_N6thrust23THRUST_200600_302600_NS6detail15normal_iteratorINS8_10device_ptrIbEEEENSA_INSB_IiEEEEjNS1_19radix_merge_compareILb0ELb1EbNS0_19identity_decomposerEEEEE10hipError_tT0_T1_T2_jT3_P12ihipStream_tbPNSt15iterator_traitsISK_E10value_typeEPNSQ_ISL_E10value_typeEPSM_NS1_7vsmem_tEENKUlT_SK_SL_SM_E_clIPbSD_PiSF_EESJ_SZ_SK_SL_SM_EUlSZ_E_NS1_11comp_targetILNS1_3genE0ELNS1_11target_archE4294967295ELNS1_3gpuE0ELNS1_3repE0EEENS1_48merge_mergepath_partition_config_static_selectorELNS0_4arch9wavefront6targetE1EEEvSL_,"axG",@progbits,_ZN7rocprim17ROCPRIM_400000_NS6detail17trampoline_kernelINS0_14default_configENS1_38merge_sort_block_merge_config_selectorIbiEEZZNS1_27merge_sort_block_merge_implIS3_N6thrust23THRUST_200600_302600_NS6detail15normal_iteratorINS8_10device_ptrIbEEEENSA_INSB_IiEEEEjNS1_19radix_merge_compareILb0ELb1EbNS0_19identity_decomposerEEEEE10hipError_tT0_T1_T2_jT3_P12ihipStream_tbPNSt15iterator_traitsISK_E10value_typeEPNSQ_ISL_E10value_typeEPSM_NS1_7vsmem_tEENKUlT_SK_SL_SM_E_clIPbSD_PiSF_EESJ_SZ_SK_SL_SM_EUlSZ_E_NS1_11comp_targetILNS1_3genE0ELNS1_11target_archE4294967295ELNS1_3gpuE0ELNS1_3repE0EEENS1_48merge_mergepath_partition_config_static_selectorELNS0_4arch9wavefront6targetE1EEEvSL_,comdat
.Lfunc_end1966:
	.size	_ZN7rocprim17ROCPRIM_400000_NS6detail17trampoline_kernelINS0_14default_configENS1_38merge_sort_block_merge_config_selectorIbiEEZZNS1_27merge_sort_block_merge_implIS3_N6thrust23THRUST_200600_302600_NS6detail15normal_iteratorINS8_10device_ptrIbEEEENSA_INSB_IiEEEEjNS1_19radix_merge_compareILb0ELb1EbNS0_19identity_decomposerEEEEE10hipError_tT0_T1_T2_jT3_P12ihipStream_tbPNSt15iterator_traitsISK_E10value_typeEPNSQ_ISL_E10value_typeEPSM_NS1_7vsmem_tEENKUlT_SK_SL_SM_E_clIPbSD_PiSF_EESJ_SZ_SK_SL_SM_EUlSZ_E_NS1_11comp_targetILNS1_3genE0ELNS1_11target_archE4294967295ELNS1_3gpuE0ELNS1_3repE0EEENS1_48merge_mergepath_partition_config_static_selectorELNS0_4arch9wavefront6targetE1EEEvSL_, .Lfunc_end1966-_ZN7rocprim17ROCPRIM_400000_NS6detail17trampoline_kernelINS0_14default_configENS1_38merge_sort_block_merge_config_selectorIbiEEZZNS1_27merge_sort_block_merge_implIS3_N6thrust23THRUST_200600_302600_NS6detail15normal_iteratorINS8_10device_ptrIbEEEENSA_INSB_IiEEEEjNS1_19radix_merge_compareILb0ELb1EbNS0_19identity_decomposerEEEEE10hipError_tT0_T1_T2_jT3_P12ihipStream_tbPNSt15iterator_traitsISK_E10value_typeEPNSQ_ISL_E10value_typeEPSM_NS1_7vsmem_tEENKUlT_SK_SL_SM_E_clIPbSD_PiSF_EESJ_SZ_SK_SL_SM_EUlSZ_E_NS1_11comp_targetILNS1_3genE0ELNS1_11target_archE4294967295ELNS1_3gpuE0ELNS1_3repE0EEENS1_48merge_mergepath_partition_config_static_selectorELNS0_4arch9wavefront6targetE1EEEvSL_
                                        ; -- End function
	.set _ZN7rocprim17ROCPRIM_400000_NS6detail17trampoline_kernelINS0_14default_configENS1_38merge_sort_block_merge_config_selectorIbiEEZZNS1_27merge_sort_block_merge_implIS3_N6thrust23THRUST_200600_302600_NS6detail15normal_iteratorINS8_10device_ptrIbEEEENSA_INSB_IiEEEEjNS1_19radix_merge_compareILb0ELb1EbNS0_19identity_decomposerEEEEE10hipError_tT0_T1_T2_jT3_P12ihipStream_tbPNSt15iterator_traitsISK_E10value_typeEPNSQ_ISL_E10value_typeEPSM_NS1_7vsmem_tEENKUlT_SK_SL_SM_E_clIPbSD_PiSF_EESJ_SZ_SK_SL_SM_EUlSZ_E_NS1_11comp_targetILNS1_3genE0ELNS1_11target_archE4294967295ELNS1_3gpuE0ELNS1_3repE0EEENS1_48merge_mergepath_partition_config_static_selectorELNS0_4arch9wavefront6targetE1EEEvSL_.num_vgpr, 18
	.set _ZN7rocprim17ROCPRIM_400000_NS6detail17trampoline_kernelINS0_14default_configENS1_38merge_sort_block_merge_config_selectorIbiEEZZNS1_27merge_sort_block_merge_implIS3_N6thrust23THRUST_200600_302600_NS6detail15normal_iteratorINS8_10device_ptrIbEEEENSA_INSB_IiEEEEjNS1_19radix_merge_compareILb0ELb1EbNS0_19identity_decomposerEEEEE10hipError_tT0_T1_T2_jT3_P12ihipStream_tbPNSt15iterator_traitsISK_E10value_typeEPNSQ_ISL_E10value_typeEPSM_NS1_7vsmem_tEENKUlT_SK_SL_SM_E_clIPbSD_PiSF_EESJ_SZ_SK_SL_SM_EUlSZ_E_NS1_11comp_targetILNS1_3genE0ELNS1_11target_archE4294967295ELNS1_3gpuE0ELNS1_3repE0EEENS1_48merge_mergepath_partition_config_static_selectorELNS0_4arch9wavefront6targetE1EEEvSL_.num_agpr, 0
	.set _ZN7rocprim17ROCPRIM_400000_NS6detail17trampoline_kernelINS0_14default_configENS1_38merge_sort_block_merge_config_selectorIbiEEZZNS1_27merge_sort_block_merge_implIS3_N6thrust23THRUST_200600_302600_NS6detail15normal_iteratorINS8_10device_ptrIbEEEENSA_INSB_IiEEEEjNS1_19radix_merge_compareILb0ELb1EbNS0_19identity_decomposerEEEEE10hipError_tT0_T1_T2_jT3_P12ihipStream_tbPNSt15iterator_traitsISK_E10value_typeEPNSQ_ISL_E10value_typeEPSM_NS1_7vsmem_tEENKUlT_SK_SL_SM_E_clIPbSD_PiSF_EESJ_SZ_SK_SL_SM_EUlSZ_E_NS1_11comp_targetILNS1_3genE0ELNS1_11target_archE4294967295ELNS1_3gpuE0ELNS1_3repE0EEENS1_48merge_mergepath_partition_config_static_selectorELNS0_4arch9wavefront6targetE1EEEvSL_.numbered_sgpr, 9
	.set _ZN7rocprim17ROCPRIM_400000_NS6detail17trampoline_kernelINS0_14default_configENS1_38merge_sort_block_merge_config_selectorIbiEEZZNS1_27merge_sort_block_merge_implIS3_N6thrust23THRUST_200600_302600_NS6detail15normal_iteratorINS8_10device_ptrIbEEEENSA_INSB_IiEEEEjNS1_19radix_merge_compareILb0ELb1EbNS0_19identity_decomposerEEEEE10hipError_tT0_T1_T2_jT3_P12ihipStream_tbPNSt15iterator_traitsISK_E10value_typeEPNSQ_ISL_E10value_typeEPSM_NS1_7vsmem_tEENKUlT_SK_SL_SM_E_clIPbSD_PiSF_EESJ_SZ_SK_SL_SM_EUlSZ_E_NS1_11comp_targetILNS1_3genE0ELNS1_11target_archE4294967295ELNS1_3gpuE0ELNS1_3repE0EEENS1_48merge_mergepath_partition_config_static_selectorELNS0_4arch9wavefront6targetE1EEEvSL_.num_named_barrier, 0
	.set _ZN7rocprim17ROCPRIM_400000_NS6detail17trampoline_kernelINS0_14default_configENS1_38merge_sort_block_merge_config_selectorIbiEEZZNS1_27merge_sort_block_merge_implIS3_N6thrust23THRUST_200600_302600_NS6detail15normal_iteratorINS8_10device_ptrIbEEEENSA_INSB_IiEEEEjNS1_19radix_merge_compareILb0ELb1EbNS0_19identity_decomposerEEEEE10hipError_tT0_T1_T2_jT3_P12ihipStream_tbPNSt15iterator_traitsISK_E10value_typeEPNSQ_ISL_E10value_typeEPSM_NS1_7vsmem_tEENKUlT_SK_SL_SM_E_clIPbSD_PiSF_EESJ_SZ_SK_SL_SM_EUlSZ_E_NS1_11comp_targetILNS1_3genE0ELNS1_11target_archE4294967295ELNS1_3gpuE0ELNS1_3repE0EEENS1_48merge_mergepath_partition_config_static_selectorELNS0_4arch9wavefront6targetE1EEEvSL_.private_seg_size, 0
	.set _ZN7rocprim17ROCPRIM_400000_NS6detail17trampoline_kernelINS0_14default_configENS1_38merge_sort_block_merge_config_selectorIbiEEZZNS1_27merge_sort_block_merge_implIS3_N6thrust23THRUST_200600_302600_NS6detail15normal_iteratorINS8_10device_ptrIbEEEENSA_INSB_IiEEEEjNS1_19radix_merge_compareILb0ELb1EbNS0_19identity_decomposerEEEEE10hipError_tT0_T1_T2_jT3_P12ihipStream_tbPNSt15iterator_traitsISK_E10value_typeEPNSQ_ISL_E10value_typeEPSM_NS1_7vsmem_tEENKUlT_SK_SL_SM_E_clIPbSD_PiSF_EESJ_SZ_SK_SL_SM_EUlSZ_E_NS1_11comp_targetILNS1_3genE0ELNS1_11target_archE4294967295ELNS1_3gpuE0ELNS1_3repE0EEENS1_48merge_mergepath_partition_config_static_selectorELNS0_4arch9wavefront6targetE1EEEvSL_.uses_vcc, 1
	.set _ZN7rocprim17ROCPRIM_400000_NS6detail17trampoline_kernelINS0_14default_configENS1_38merge_sort_block_merge_config_selectorIbiEEZZNS1_27merge_sort_block_merge_implIS3_N6thrust23THRUST_200600_302600_NS6detail15normal_iteratorINS8_10device_ptrIbEEEENSA_INSB_IiEEEEjNS1_19radix_merge_compareILb0ELb1EbNS0_19identity_decomposerEEEEE10hipError_tT0_T1_T2_jT3_P12ihipStream_tbPNSt15iterator_traitsISK_E10value_typeEPNSQ_ISL_E10value_typeEPSM_NS1_7vsmem_tEENKUlT_SK_SL_SM_E_clIPbSD_PiSF_EESJ_SZ_SK_SL_SM_EUlSZ_E_NS1_11comp_targetILNS1_3genE0ELNS1_11target_archE4294967295ELNS1_3gpuE0ELNS1_3repE0EEENS1_48merge_mergepath_partition_config_static_selectorELNS0_4arch9wavefront6targetE1EEEvSL_.uses_flat_scratch, 0
	.set _ZN7rocprim17ROCPRIM_400000_NS6detail17trampoline_kernelINS0_14default_configENS1_38merge_sort_block_merge_config_selectorIbiEEZZNS1_27merge_sort_block_merge_implIS3_N6thrust23THRUST_200600_302600_NS6detail15normal_iteratorINS8_10device_ptrIbEEEENSA_INSB_IiEEEEjNS1_19radix_merge_compareILb0ELb1EbNS0_19identity_decomposerEEEEE10hipError_tT0_T1_T2_jT3_P12ihipStream_tbPNSt15iterator_traitsISK_E10value_typeEPNSQ_ISL_E10value_typeEPSM_NS1_7vsmem_tEENKUlT_SK_SL_SM_E_clIPbSD_PiSF_EESJ_SZ_SK_SL_SM_EUlSZ_E_NS1_11comp_targetILNS1_3genE0ELNS1_11target_archE4294967295ELNS1_3gpuE0ELNS1_3repE0EEENS1_48merge_mergepath_partition_config_static_selectorELNS0_4arch9wavefront6targetE1EEEvSL_.has_dyn_sized_stack, 0
	.set _ZN7rocprim17ROCPRIM_400000_NS6detail17trampoline_kernelINS0_14default_configENS1_38merge_sort_block_merge_config_selectorIbiEEZZNS1_27merge_sort_block_merge_implIS3_N6thrust23THRUST_200600_302600_NS6detail15normal_iteratorINS8_10device_ptrIbEEEENSA_INSB_IiEEEEjNS1_19radix_merge_compareILb0ELb1EbNS0_19identity_decomposerEEEEE10hipError_tT0_T1_T2_jT3_P12ihipStream_tbPNSt15iterator_traitsISK_E10value_typeEPNSQ_ISL_E10value_typeEPSM_NS1_7vsmem_tEENKUlT_SK_SL_SM_E_clIPbSD_PiSF_EESJ_SZ_SK_SL_SM_EUlSZ_E_NS1_11comp_targetILNS1_3genE0ELNS1_11target_archE4294967295ELNS1_3gpuE0ELNS1_3repE0EEENS1_48merge_mergepath_partition_config_static_selectorELNS0_4arch9wavefront6targetE1EEEvSL_.has_recursion, 0
	.set _ZN7rocprim17ROCPRIM_400000_NS6detail17trampoline_kernelINS0_14default_configENS1_38merge_sort_block_merge_config_selectorIbiEEZZNS1_27merge_sort_block_merge_implIS3_N6thrust23THRUST_200600_302600_NS6detail15normal_iteratorINS8_10device_ptrIbEEEENSA_INSB_IiEEEEjNS1_19radix_merge_compareILb0ELb1EbNS0_19identity_decomposerEEEEE10hipError_tT0_T1_T2_jT3_P12ihipStream_tbPNSt15iterator_traitsISK_E10value_typeEPNSQ_ISL_E10value_typeEPSM_NS1_7vsmem_tEENKUlT_SK_SL_SM_E_clIPbSD_PiSF_EESJ_SZ_SK_SL_SM_EUlSZ_E_NS1_11comp_targetILNS1_3genE0ELNS1_11target_archE4294967295ELNS1_3gpuE0ELNS1_3repE0EEENS1_48merge_mergepath_partition_config_static_selectorELNS0_4arch9wavefront6targetE1EEEvSL_.has_indirect_call, 0
	.section	.AMDGPU.csdata,"",@progbits
; Kernel info:
; codeLenInByte = 428
; TotalNumSgprs: 15
; NumVgprs: 18
; NumAgprs: 0
; TotalNumVgprs: 18
; ScratchSize: 0
; MemoryBound: 0
; FloatMode: 240
; IeeeMode: 1
; LDSByteSize: 128 bytes/workgroup (compile time only)
; SGPRBlocks: 1
; VGPRBlocks: 2
; NumSGPRsForWavesPerEU: 15
; NumVGPRsForWavesPerEU: 18
; AccumOffset: 20
; Occupancy: 8
; WaveLimiterHint : 0
; COMPUTE_PGM_RSRC2:SCRATCH_EN: 0
; COMPUTE_PGM_RSRC2:USER_SGPR: 4
; COMPUTE_PGM_RSRC2:TRAP_HANDLER: 0
; COMPUTE_PGM_RSRC2:TGID_X_EN: 1
; COMPUTE_PGM_RSRC2:TGID_Y_EN: 0
; COMPUTE_PGM_RSRC2:TGID_Z_EN: 0
; COMPUTE_PGM_RSRC2:TIDIG_COMP_CNT: 2
; COMPUTE_PGM_RSRC3_GFX90A:ACCUM_OFFSET: 4
; COMPUTE_PGM_RSRC3_GFX90A:TG_SPLIT: 0
	.section	.text._ZN7rocprim17ROCPRIM_400000_NS6detail17trampoline_kernelINS0_14default_configENS1_38merge_sort_block_merge_config_selectorIbiEEZZNS1_27merge_sort_block_merge_implIS3_N6thrust23THRUST_200600_302600_NS6detail15normal_iteratorINS8_10device_ptrIbEEEENSA_INSB_IiEEEEjNS1_19radix_merge_compareILb0ELb1EbNS0_19identity_decomposerEEEEE10hipError_tT0_T1_T2_jT3_P12ihipStream_tbPNSt15iterator_traitsISK_E10value_typeEPNSQ_ISL_E10value_typeEPSM_NS1_7vsmem_tEENKUlT_SK_SL_SM_E_clIPbSD_PiSF_EESJ_SZ_SK_SL_SM_EUlSZ_E_NS1_11comp_targetILNS1_3genE10ELNS1_11target_archE1201ELNS1_3gpuE5ELNS1_3repE0EEENS1_48merge_mergepath_partition_config_static_selectorELNS0_4arch9wavefront6targetE1EEEvSL_,"axG",@progbits,_ZN7rocprim17ROCPRIM_400000_NS6detail17trampoline_kernelINS0_14default_configENS1_38merge_sort_block_merge_config_selectorIbiEEZZNS1_27merge_sort_block_merge_implIS3_N6thrust23THRUST_200600_302600_NS6detail15normal_iteratorINS8_10device_ptrIbEEEENSA_INSB_IiEEEEjNS1_19radix_merge_compareILb0ELb1EbNS0_19identity_decomposerEEEEE10hipError_tT0_T1_T2_jT3_P12ihipStream_tbPNSt15iterator_traitsISK_E10value_typeEPNSQ_ISL_E10value_typeEPSM_NS1_7vsmem_tEENKUlT_SK_SL_SM_E_clIPbSD_PiSF_EESJ_SZ_SK_SL_SM_EUlSZ_E_NS1_11comp_targetILNS1_3genE10ELNS1_11target_archE1201ELNS1_3gpuE5ELNS1_3repE0EEENS1_48merge_mergepath_partition_config_static_selectorELNS0_4arch9wavefront6targetE1EEEvSL_,comdat
	.protected	_ZN7rocprim17ROCPRIM_400000_NS6detail17trampoline_kernelINS0_14default_configENS1_38merge_sort_block_merge_config_selectorIbiEEZZNS1_27merge_sort_block_merge_implIS3_N6thrust23THRUST_200600_302600_NS6detail15normal_iteratorINS8_10device_ptrIbEEEENSA_INSB_IiEEEEjNS1_19radix_merge_compareILb0ELb1EbNS0_19identity_decomposerEEEEE10hipError_tT0_T1_T2_jT3_P12ihipStream_tbPNSt15iterator_traitsISK_E10value_typeEPNSQ_ISL_E10value_typeEPSM_NS1_7vsmem_tEENKUlT_SK_SL_SM_E_clIPbSD_PiSF_EESJ_SZ_SK_SL_SM_EUlSZ_E_NS1_11comp_targetILNS1_3genE10ELNS1_11target_archE1201ELNS1_3gpuE5ELNS1_3repE0EEENS1_48merge_mergepath_partition_config_static_selectorELNS0_4arch9wavefront6targetE1EEEvSL_ ; -- Begin function _ZN7rocprim17ROCPRIM_400000_NS6detail17trampoline_kernelINS0_14default_configENS1_38merge_sort_block_merge_config_selectorIbiEEZZNS1_27merge_sort_block_merge_implIS3_N6thrust23THRUST_200600_302600_NS6detail15normal_iteratorINS8_10device_ptrIbEEEENSA_INSB_IiEEEEjNS1_19radix_merge_compareILb0ELb1EbNS0_19identity_decomposerEEEEE10hipError_tT0_T1_T2_jT3_P12ihipStream_tbPNSt15iterator_traitsISK_E10value_typeEPNSQ_ISL_E10value_typeEPSM_NS1_7vsmem_tEENKUlT_SK_SL_SM_E_clIPbSD_PiSF_EESJ_SZ_SK_SL_SM_EUlSZ_E_NS1_11comp_targetILNS1_3genE10ELNS1_11target_archE1201ELNS1_3gpuE5ELNS1_3repE0EEENS1_48merge_mergepath_partition_config_static_selectorELNS0_4arch9wavefront6targetE1EEEvSL_
	.globl	_ZN7rocprim17ROCPRIM_400000_NS6detail17trampoline_kernelINS0_14default_configENS1_38merge_sort_block_merge_config_selectorIbiEEZZNS1_27merge_sort_block_merge_implIS3_N6thrust23THRUST_200600_302600_NS6detail15normal_iteratorINS8_10device_ptrIbEEEENSA_INSB_IiEEEEjNS1_19radix_merge_compareILb0ELb1EbNS0_19identity_decomposerEEEEE10hipError_tT0_T1_T2_jT3_P12ihipStream_tbPNSt15iterator_traitsISK_E10value_typeEPNSQ_ISL_E10value_typeEPSM_NS1_7vsmem_tEENKUlT_SK_SL_SM_E_clIPbSD_PiSF_EESJ_SZ_SK_SL_SM_EUlSZ_E_NS1_11comp_targetILNS1_3genE10ELNS1_11target_archE1201ELNS1_3gpuE5ELNS1_3repE0EEENS1_48merge_mergepath_partition_config_static_selectorELNS0_4arch9wavefront6targetE1EEEvSL_
	.p2align	8
	.type	_ZN7rocprim17ROCPRIM_400000_NS6detail17trampoline_kernelINS0_14default_configENS1_38merge_sort_block_merge_config_selectorIbiEEZZNS1_27merge_sort_block_merge_implIS3_N6thrust23THRUST_200600_302600_NS6detail15normal_iteratorINS8_10device_ptrIbEEEENSA_INSB_IiEEEEjNS1_19radix_merge_compareILb0ELb1EbNS0_19identity_decomposerEEEEE10hipError_tT0_T1_T2_jT3_P12ihipStream_tbPNSt15iterator_traitsISK_E10value_typeEPNSQ_ISL_E10value_typeEPSM_NS1_7vsmem_tEENKUlT_SK_SL_SM_E_clIPbSD_PiSF_EESJ_SZ_SK_SL_SM_EUlSZ_E_NS1_11comp_targetILNS1_3genE10ELNS1_11target_archE1201ELNS1_3gpuE5ELNS1_3repE0EEENS1_48merge_mergepath_partition_config_static_selectorELNS0_4arch9wavefront6targetE1EEEvSL_,@function
_ZN7rocprim17ROCPRIM_400000_NS6detail17trampoline_kernelINS0_14default_configENS1_38merge_sort_block_merge_config_selectorIbiEEZZNS1_27merge_sort_block_merge_implIS3_N6thrust23THRUST_200600_302600_NS6detail15normal_iteratorINS8_10device_ptrIbEEEENSA_INSB_IiEEEEjNS1_19radix_merge_compareILb0ELb1EbNS0_19identity_decomposerEEEEE10hipError_tT0_T1_T2_jT3_P12ihipStream_tbPNSt15iterator_traitsISK_E10value_typeEPNSQ_ISL_E10value_typeEPSM_NS1_7vsmem_tEENKUlT_SK_SL_SM_E_clIPbSD_PiSF_EESJ_SZ_SK_SL_SM_EUlSZ_E_NS1_11comp_targetILNS1_3genE10ELNS1_11target_archE1201ELNS1_3gpuE5ELNS1_3repE0EEENS1_48merge_mergepath_partition_config_static_selectorELNS0_4arch9wavefront6targetE1EEEvSL_: ; @_ZN7rocprim17ROCPRIM_400000_NS6detail17trampoline_kernelINS0_14default_configENS1_38merge_sort_block_merge_config_selectorIbiEEZZNS1_27merge_sort_block_merge_implIS3_N6thrust23THRUST_200600_302600_NS6detail15normal_iteratorINS8_10device_ptrIbEEEENSA_INSB_IiEEEEjNS1_19radix_merge_compareILb0ELb1EbNS0_19identity_decomposerEEEEE10hipError_tT0_T1_T2_jT3_P12ihipStream_tbPNSt15iterator_traitsISK_E10value_typeEPNSQ_ISL_E10value_typeEPSM_NS1_7vsmem_tEENKUlT_SK_SL_SM_E_clIPbSD_PiSF_EESJ_SZ_SK_SL_SM_EUlSZ_E_NS1_11comp_targetILNS1_3genE10ELNS1_11target_archE1201ELNS1_3gpuE5ELNS1_3repE0EEENS1_48merge_mergepath_partition_config_static_selectorELNS0_4arch9wavefront6targetE1EEEvSL_
; %bb.0:
	.section	.rodata,"a",@progbits
	.p2align	6, 0x0
	.amdhsa_kernel _ZN7rocprim17ROCPRIM_400000_NS6detail17trampoline_kernelINS0_14default_configENS1_38merge_sort_block_merge_config_selectorIbiEEZZNS1_27merge_sort_block_merge_implIS3_N6thrust23THRUST_200600_302600_NS6detail15normal_iteratorINS8_10device_ptrIbEEEENSA_INSB_IiEEEEjNS1_19radix_merge_compareILb0ELb1EbNS0_19identity_decomposerEEEEE10hipError_tT0_T1_T2_jT3_P12ihipStream_tbPNSt15iterator_traitsISK_E10value_typeEPNSQ_ISL_E10value_typeEPSM_NS1_7vsmem_tEENKUlT_SK_SL_SM_E_clIPbSD_PiSF_EESJ_SZ_SK_SL_SM_EUlSZ_E_NS1_11comp_targetILNS1_3genE10ELNS1_11target_archE1201ELNS1_3gpuE5ELNS1_3repE0EEENS1_48merge_mergepath_partition_config_static_selectorELNS0_4arch9wavefront6targetE1EEEvSL_
		.amdhsa_group_segment_fixed_size 0
		.amdhsa_private_segment_fixed_size 0
		.amdhsa_kernarg_size 40
		.amdhsa_user_sgpr_count 2
		.amdhsa_user_sgpr_dispatch_ptr 0
		.amdhsa_user_sgpr_queue_ptr 0
		.amdhsa_user_sgpr_kernarg_segment_ptr 1
		.amdhsa_user_sgpr_dispatch_id 0
		.amdhsa_user_sgpr_kernarg_preload_length 0
		.amdhsa_user_sgpr_kernarg_preload_offset 0
		.amdhsa_user_sgpr_private_segment_size 0
		.amdhsa_uses_dynamic_stack 0
		.amdhsa_enable_private_segment 0
		.amdhsa_system_sgpr_workgroup_id_x 1
		.amdhsa_system_sgpr_workgroup_id_y 0
		.amdhsa_system_sgpr_workgroup_id_z 0
		.amdhsa_system_sgpr_workgroup_info 0
		.amdhsa_system_vgpr_workitem_id 0
		.amdhsa_next_free_vgpr 1
		.amdhsa_next_free_sgpr 0
		.amdhsa_accum_offset 4
		.amdhsa_reserve_vcc 0
		.amdhsa_float_round_mode_32 0
		.amdhsa_float_round_mode_16_64 0
		.amdhsa_float_denorm_mode_32 3
		.amdhsa_float_denorm_mode_16_64 3
		.amdhsa_dx10_clamp 1
		.amdhsa_ieee_mode 1
		.amdhsa_fp16_overflow 0
		.amdhsa_tg_split 0
		.amdhsa_exception_fp_ieee_invalid_op 0
		.amdhsa_exception_fp_denorm_src 0
		.amdhsa_exception_fp_ieee_div_zero 0
		.amdhsa_exception_fp_ieee_overflow 0
		.amdhsa_exception_fp_ieee_underflow 0
		.amdhsa_exception_fp_ieee_inexact 0
		.amdhsa_exception_int_div_zero 0
	.end_amdhsa_kernel
	.section	.text._ZN7rocprim17ROCPRIM_400000_NS6detail17trampoline_kernelINS0_14default_configENS1_38merge_sort_block_merge_config_selectorIbiEEZZNS1_27merge_sort_block_merge_implIS3_N6thrust23THRUST_200600_302600_NS6detail15normal_iteratorINS8_10device_ptrIbEEEENSA_INSB_IiEEEEjNS1_19radix_merge_compareILb0ELb1EbNS0_19identity_decomposerEEEEE10hipError_tT0_T1_T2_jT3_P12ihipStream_tbPNSt15iterator_traitsISK_E10value_typeEPNSQ_ISL_E10value_typeEPSM_NS1_7vsmem_tEENKUlT_SK_SL_SM_E_clIPbSD_PiSF_EESJ_SZ_SK_SL_SM_EUlSZ_E_NS1_11comp_targetILNS1_3genE10ELNS1_11target_archE1201ELNS1_3gpuE5ELNS1_3repE0EEENS1_48merge_mergepath_partition_config_static_selectorELNS0_4arch9wavefront6targetE1EEEvSL_,"axG",@progbits,_ZN7rocprim17ROCPRIM_400000_NS6detail17trampoline_kernelINS0_14default_configENS1_38merge_sort_block_merge_config_selectorIbiEEZZNS1_27merge_sort_block_merge_implIS3_N6thrust23THRUST_200600_302600_NS6detail15normal_iteratorINS8_10device_ptrIbEEEENSA_INSB_IiEEEEjNS1_19radix_merge_compareILb0ELb1EbNS0_19identity_decomposerEEEEE10hipError_tT0_T1_T2_jT3_P12ihipStream_tbPNSt15iterator_traitsISK_E10value_typeEPNSQ_ISL_E10value_typeEPSM_NS1_7vsmem_tEENKUlT_SK_SL_SM_E_clIPbSD_PiSF_EESJ_SZ_SK_SL_SM_EUlSZ_E_NS1_11comp_targetILNS1_3genE10ELNS1_11target_archE1201ELNS1_3gpuE5ELNS1_3repE0EEENS1_48merge_mergepath_partition_config_static_selectorELNS0_4arch9wavefront6targetE1EEEvSL_,comdat
.Lfunc_end1967:
	.size	_ZN7rocprim17ROCPRIM_400000_NS6detail17trampoline_kernelINS0_14default_configENS1_38merge_sort_block_merge_config_selectorIbiEEZZNS1_27merge_sort_block_merge_implIS3_N6thrust23THRUST_200600_302600_NS6detail15normal_iteratorINS8_10device_ptrIbEEEENSA_INSB_IiEEEEjNS1_19radix_merge_compareILb0ELb1EbNS0_19identity_decomposerEEEEE10hipError_tT0_T1_T2_jT3_P12ihipStream_tbPNSt15iterator_traitsISK_E10value_typeEPNSQ_ISL_E10value_typeEPSM_NS1_7vsmem_tEENKUlT_SK_SL_SM_E_clIPbSD_PiSF_EESJ_SZ_SK_SL_SM_EUlSZ_E_NS1_11comp_targetILNS1_3genE10ELNS1_11target_archE1201ELNS1_3gpuE5ELNS1_3repE0EEENS1_48merge_mergepath_partition_config_static_selectorELNS0_4arch9wavefront6targetE1EEEvSL_, .Lfunc_end1967-_ZN7rocprim17ROCPRIM_400000_NS6detail17trampoline_kernelINS0_14default_configENS1_38merge_sort_block_merge_config_selectorIbiEEZZNS1_27merge_sort_block_merge_implIS3_N6thrust23THRUST_200600_302600_NS6detail15normal_iteratorINS8_10device_ptrIbEEEENSA_INSB_IiEEEEjNS1_19radix_merge_compareILb0ELb1EbNS0_19identity_decomposerEEEEE10hipError_tT0_T1_T2_jT3_P12ihipStream_tbPNSt15iterator_traitsISK_E10value_typeEPNSQ_ISL_E10value_typeEPSM_NS1_7vsmem_tEENKUlT_SK_SL_SM_E_clIPbSD_PiSF_EESJ_SZ_SK_SL_SM_EUlSZ_E_NS1_11comp_targetILNS1_3genE10ELNS1_11target_archE1201ELNS1_3gpuE5ELNS1_3repE0EEENS1_48merge_mergepath_partition_config_static_selectorELNS0_4arch9wavefront6targetE1EEEvSL_
                                        ; -- End function
	.set _ZN7rocprim17ROCPRIM_400000_NS6detail17trampoline_kernelINS0_14default_configENS1_38merge_sort_block_merge_config_selectorIbiEEZZNS1_27merge_sort_block_merge_implIS3_N6thrust23THRUST_200600_302600_NS6detail15normal_iteratorINS8_10device_ptrIbEEEENSA_INSB_IiEEEEjNS1_19radix_merge_compareILb0ELb1EbNS0_19identity_decomposerEEEEE10hipError_tT0_T1_T2_jT3_P12ihipStream_tbPNSt15iterator_traitsISK_E10value_typeEPNSQ_ISL_E10value_typeEPSM_NS1_7vsmem_tEENKUlT_SK_SL_SM_E_clIPbSD_PiSF_EESJ_SZ_SK_SL_SM_EUlSZ_E_NS1_11comp_targetILNS1_3genE10ELNS1_11target_archE1201ELNS1_3gpuE5ELNS1_3repE0EEENS1_48merge_mergepath_partition_config_static_selectorELNS0_4arch9wavefront6targetE1EEEvSL_.num_vgpr, 0
	.set _ZN7rocprim17ROCPRIM_400000_NS6detail17trampoline_kernelINS0_14default_configENS1_38merge_sort_block_merge_config_selectorIbiEEZZNS1_27merge_sort_block_merge_implIS3_N6thrust23THRUST_200600_302600_NS6detail15normal_iteratorINS8_10device_ptrIbEEEENSA_INSB_IiEEEEjNS1_19radix_merge_compareILb0ELb1EbNS0_19identity_decomposerEEEEE10hipError_tT0_T1_T2_jT3_P12ihipStream_tbPNSt15iterator_traitsISK_E10value_typeEPNSQ_ISL_E10value_typeEPSM_NS1_7vsmem_tEENKUlT_SK_SL_SM_E_clIPbSD_PiSF_EESJ_SZ_SK_SL_SM_EUlSZ_E_NS1_11comp_targetILNS1_3genE10ELNS1_11target_archE1201ELNS1_3gpuE5ELNS1_3repE0EEENS1_48merge_mergepath_partition_config_static_selectorELNS0_4arch9wavefront6targetE1EEEvSL_.num_agpr, 0
	.set _ZN7rocprim17ROCPRIM_400000_NS6detail17trampoline_kernelINS0_14default_configENS1_38merge_sort_block_merge_config_selectorIbiEEZZNS1_27merge_sort_block_merge_implIS3_N6thrust23THRUST_200600_302600_NS6detail15normal_iteratorINS8_10device_ptrIbEEEENSA_INSB_IiEEEEjNS1_19radix_merge_compareILb0ELb1EbNS0_19identity_decomposerEEEEE10hipError_tT0_T1_T2_jT3_P12ihipStream_tbPNSt15iterator_traitsISK_E10value_typeEPNSQ_ISL_E10value_typeEPSM_NS1_7vsmem_tEENKUlT_SK_SL_SM_E_clIPbSD_PiSF_EESJ_SZ_SK_SL_SM_EUlSZ_E_NS1_11comp_targetILNS1_3genE10ELNS1_11target_archE1201ELNS1_3gpuE5ELNS1_3repE0EEENS1_48merge_mergepath_partition_config_static_selectorELNS0_4arch9wavefront6targetE1EEEvSL_.numbered_sgpr, 0
	.set _ZN7rocprim17ROCPRIM_400000_NS6detail17trampoline_kernelINS0_14default_configENS1_38merge_sort_block_merge_config_selectorIbiEEZZNS1_27merge_sort_block_merge_implIS3_N6thrust23THRUST_200600_302600_NS6detail15normal_iteratorINS8_10device_ptrIbEEEENSA_INSB_IiEEEEjNS1_19radix_merge_compareILb0ELb1EbNS0_19identity_decomposerEEEEE10hipError_tT0_T1_T2_jT3_P12ihipStream_tbPNSt15iterator_traitsISK_E10value_typeEPNSQ_ISL_E10value_typeEPSM_NS1_7vsmem_tEENKUlT_SK_SL_SM_E_clIPbSD_PiSF_EESJ_SZ_SK_SL_SM_EUlSZ_E_NS1_11comp_targetILNS1_3genE10ELNS1_11target_archE1201ELNS1_3gpuE5ELNS1_3repE0EEENS1_48merge_mergepath_partition_config_static_selectorELNS0_4arch9wavefront6targetE1EEEvSL_.num_named_barrier, 0
	.set _ZN7rocprim17ROCPRIM_400000_NS6detail17trampoline_kernelINS0_14default_configENS1_38merge_sort_block_merge_config_selectorIbiEEZZNS1_27merge_sort_block_merge_implIS3_N6thrust23THRUST_200600_302600_NS6detail15normal_iteratorINS8_10device_ptrIbEEEENSA_INSB_IiEEEEjNS1_19radix_merge_compareILb0ELb1EbNS0_19identity_decomposerEEEEE10hipError_tT0_T1_T2_jT3_P12ihipStream_tbPNSt15iterator_traitsISK_E10value_typeEPNSQ_ISL_E10value_typeEPSM_NS1_7vsmem_tEENKUlT_SK_SL_SM_E_clIPbSD_PiSF_EESJ_SZ_SK_SL_SM_EUlSZ_E_NS1_11comp_targetILNS1_3genE10ELNS1_11target_archE1201ELNS1_3gpuE5ELNS1_3repE0EEENS1_48merge_mergepath_partition_config_static_selectorELNS0_4arch9wavefront6targetE1EEEvSL_.private_seg_size, 0
	.set _ZN7rocprim17ROCPRIM_400000_NS6detail17trampoline_kernelINS0_14default_configENS1_38merge_sort_block_merge_config_selectorIbiEEZZNS1_27merge_sort_block_merge_implIS3_N6thrust23THRUST_200600_302600_NS6detail15normal_iteratorINS8_10device_ptrIbEEEENSA_INSB_IiEEEEjNS1_19radix_merge_compareILb0ELb1EbNS0_19identity_decomposerEEEEE10hipError_tT0_T1_T2_jT3_P12ihipStream_tbPNSt15iterator_traitsISK_E10value_typeEPNSQ_ISL_E10value_typeEPSM_NS1_7vsmem_tEENKUlT_SK_SL_SM_E_clIPbSD_PiSF_EESJ_SZ_SK_SL_SM_EUlSZ_E_NS1_11comp_targetILNS1_3genE10ELNS1_11target_archE1201ELNS1_3gpuE5ELNS1_3repE0EEENS1_48merge_mergepath_partition_config_static_selectorELNS0_4arch9wavefront6targetE1EEEvSL_.uses_vcc, 0
	.set _ZN7rocprim17ROCPRIM_400000_NS6detail17trampoline_kernelINS0_14default_configENS1_38merge_sort_block_merge_config_selectorIbiEEZZNS1_27merge_sort_block_merge_implIS3_N6thrust23THRUST_200600_302600_NS6detail15normal_iteratorINS8_10device_ptrIbEEEENSA_INSB_IiEEEEjNS1_19radix_merge_compareILb0ELb1EbNS0_19identity_decomposerEEEEE10hipError_tT0_T1_T2_jT3_P12ihipStream_tbPNSt15iterator_traitsISK_E10value_typeEPNSQ_ISL_E10value_typeEPSM_NS1_7vsmem_tEENKUlT_SK_SL_SM_E_clIPbSD_PiSF_EESJ_SZ_SK_SL_SM_EUlSZ_E_NS1_11comp_targetILNS1_3genE10ELNS1_11target_archE1201ELNS1_3gpuE5ELNS1_3repE0EEENS1_48merge_mergepath_partition_config_static_selectorELNS0_4arch9wavefront6targetE1EEEvSL_.uses_flat_scratch, 0
	.set _ZN7rocprim17ROCPRIM_400000_NS6detail17trampoline_kernelINS0_14default_configENS1_38merge_sort_block_merge_config_selectorIbiEEZZNS1_27merge_sort_block_merge_implIS3_N6thrust23THRUST_200600_302600_NS6detail15normal_iteratorINS8_10device_ptrIbEEEENSA_INSB_IiEEEEjNS1_19radix_merge_compareILb0ELb1EbNS0_19identity_decomposerEEEEE10hipError_tT0_T1_T2_jT3_P12ihipStream_tbPNSt15iterator_traitsISK_E10value_typeEPNSQ_ISL_E10value_typeEPSM_NS1_7vsmem_tEENKUlT_SK_SL_SM_E_clIPbSD_PiSF_EESJ_SZ_SK_SL_SM_EUlSZ_E_NS1_11comp_targetILNS1_3genE10ELNS1_11target_archE1201ELNS1_3gpuE5ELNS1_3repE0EEENS1_48merge_mergepath_partition_config_static_selectorELNS0_4arch9wavefront6targetE1EEEvSL_.has_dyn_sized_stack, 0
	.set _ZN7rocprim17ROCPRIM_400000_NS6detail17trampoline_kernelINS0_14default_configENS1_38merge_sort_block_merge_config_selectorIbiEEZZNS1_27merge_sort_block_merge_implIS3_N6thrust23THRUST_200600_302600_NS6detail15normal_iteratorINS8_10device_ptrIbEEEENSA_INSB_IiEEEEjNS1_19radix_merge_compareILb0ELb1EbNS0_19identity_decomposerEEEEE10hipError_tT0_T1_T2_jT3_P12ihipStream_tbPNSt15iterator_traitsISK_E10value_typeEPNSQ_ISL_E10value_typeEPSM_NS1_7vsmem_tEENKUlT_SK_SL_SM_E_clIPbSD_PiSF_EESJ_SZ_SK_SL_SM_EUlSZ_E_NS1_11comp_targetILNS1_3genE10ELNS1_11target_archE1201ELNS1_3gpuE5ELNS1_3repE0EEENS1_48merge_mergepath_partition_config_static_selectorELNS0_4arch9wavefront6targetE1EEEvSL_.has_recursion, 0
	.set _ZN7rocprim17ROCPRIM_400000_NS6detail17trampoline_kernelINS0_14default_configENS1_38merge_sort_block_merge_config_selectorIbiEEZZNS1_27merge_sort_block_merge_implIS3_N6thrust23THRUST_200600_302600_NS6detail15normal_iteratorINS8_10device_ptrIbEEEENSA_INSB_IiEEEEjNS1_19radix_merge_compareILb0ELb1EbNS0_19identity_decomposerEEEEE10hipError_tT0_T1_T2_jT3_P12ihipStream_tbPNSt15iterator_traitsISK_E10value_typeEPNSQ_ISL_E10value_typeEPSM_NS1_7vsmem_tEENKUlT_SK_SL_SM_E_clIPbSD_PiSF_EESJ_SZ_SK_SL_SM_EUlSZ_E_NS1_11comp_targetILNS1_3genE10ELNS1_11target_archE1201ELNS1_3gpuE5ELNS1_3repE0EEENS1_48merge_mergepath_partition_config_static_selectorELNS0_4arch9wavefront6targetE1EEEvSL_.has_indirect_call, 0
	.section	.AMDGPU.csdata,"",@progbits
; Kernel info:
; codeLenInByte = 0
; TotalNumSgprs: 6
; NumVgprs: 0
; NumAgprs: 0
; TotalNumVgprs: 0
; ScratchSize: 0
; MemoryBound: 0
; FloatMode: 240
; IeeeMode: 1
; LDSByteSize: 0 bytes/workgroup (compile time only)
; SGPRBlocks: 0
; VGPRBlocks: 0
; NumSGPRsForWavesPerEU: 6
; NumVGPRsForWavesPerEU: 1
; AccumOffset: 4
; Occupancy: 8
; WaveLimiterHint : 0
; COMPUTE_PGM_RSRC2:SCRATCH_EN: 0
; COMPUTE_PGM_RSRC2:USER_SGPR: 2
; COMPUTE_PGM_RSRC2:TRAP_HANDLER: 0
; COMPUTE_PGM_RSRC2:TGID_X_EN: 1
; COMPUTE_PGM_RSRC2:TGID_Y_EN: 0
; COMPUTE_PGM_RSRC2:TGID_Z_EN: 0
; COMPUTE_PGM_RSRC2:TIDIG_COMP_CNT: 0
; COMPUTE_PGM_RSRC3_GFX90A:ACCUM_OFFSET: 0
; COMPUTE_PGM_RSRC3_GFX90A:TG_SPLIT: 0
	.section	.text._ZN7rocprim17ROCPRIM_400000_NS6detail17trampoline_kernelINS0_14default_configENS1_38merge_sort_block_merge_config_selectorIbiEEZZNS1_27merge_sort_block_merge_implIS3_N6thrust23THRUST_200600_302600_NS6detail15normal_iteratorINS8_10device_ptrIbEEEENSA_INSB_IiEEEEjNS1_19radix_merge_compareILb0ELb1EbNS0_19identity_decomposerEEEEE10hipError_tT0_T1_T2_jT3_P12ihipStream_tbPNSt15iterator_traitsISK_E10value_typeEPNSQ_ISL_E10value_typeEPSM_NS1_7vsmem_tEENKUlT_SK_SL_SM_E_clIPbSD_PiSF_EESJ_SZ_SK_SL_SM_EUlSZ_E_NS1_11comp_targetILNS1_3genE5ELNS1_11target_archE942ELNS1_3gpuE9ELNS1_3repE0EEENS1_48merge_mergepath_partition_config_static_selectorELNS0_4arch9wavefront6targetE1EEEvSL_,"axG",@progbits,_ZN7rocprim17ROCPRIM_400000_NS6detail17trampoline_kernelINS0_14default_configENS1_38merge_sort_block_merge_config_selectorIbiEEZZNS1_27merge_sort_block_merge_implIS3_N6thrust23THRUST_200600_302600_NS6detail15normal_iteratorINS8_10device_ptrIbEEEENSA_INSB_IiEEEEjNS1_19radix_merge_compareILb0ELb1EbNS0_19identity_decomposerEEEEE10hipError_tT0_T1_T2_jT3_P12ihipStream_tbPNSt15iterator_traitsISK_E10value_typeEPNSQ_ISL_E10value_typeEPSM_NS1_7vsmem_tEENKUlT_SK_SL_SM_E_clIPbSD_PiSF_EESJ_SZ_SK_SL_SM_EUlSZ_E_NS1_11comp_targetILNS1_3genE5ELNS1_11target_archE942ELNS1_3gpuE9ELNS1_3repE0EEENS1_48merge_mergepath_partition_config_static_selectorELNS0_4arch9wavefront6targetE1EEEvSL_,comdat
	.protected	_ZN7rocprim17ROCPRIM_400000_NS6detail17trampoline_kernelINS0_14default_configENS1_38merge_sort_block_merge_config_selectorIbiEEZZNS1_27merge_sort_block_merge_implIS3_N6thrust23THRUST_200600_302600_NS6detail15normal_iteratorINS8_10device_ptrIbEEEENSA_INSB_IiEEEEjNS1_19radix_merge_compareILb0ELb1EbNS0_19identity_decomposerEEEEE10hipError_tT0_T1_T2_jT3_P12ihipStream_tbPNSt15iterator_traitsISK_E10value_typeEPNSQ_ISL_E10value_typeEPSM_NS1_7vsmem_tEENKUlT_SK_SL_SM_E_clIPbSD_PiSF_EESJ_SZ_SK_SL_SM_EUlSZ_E_NS1_11comp_targetILNS1_3genE5ELNS1_11target_archE942ELNS1_3gpuE9ELNS1_3repE0EEENS1_48merge_mergepath_partition_config_static_selectorELNS0_4arch9wavefront6targetE1EEEvSL_ ; -- Begin function _ZN7rocprim17ROCPRIM_400000_NS6detail17trampoline_kernelINS0_14default_configENS1_38merge_sort_block_merge_config_selectorIbiEEZZNS1_27merge_sort_block_merge_implIS3_N6thrust23THRUST_200600_302600_NS6detail15normal_iteratorINS8_10device_ptrIbEEEENSA_INSB_IiEEEEjNS1_19radix_merge_compareILb0ELb1EbNS0_19identity_decomposerEEEEE10hipError_tT0_T1_T2_jT3_P12ihipStream_tbPNSt15iterator_traitsISK_E10value_typeEPNSQ_ISL_E10value_typeEPSM_NS1_7vsmem_tEENKUlT_SK_SL_SM_E_clIPbSD_PiSF_EESJ_SZ_SK_SL_SM_EUlSZ_E_NS1_11comp_targetILNS1_3genE5ELNS1_11target_archE942ELNS1_3gpuE9ELNS1_3repE0EEENS1_48merge_mergepath_partition_config_static_selectorELNS0_4arch9wavefront6targetE1EEEvSL_
	.globl	_ZN7rocprim17ROCPRIM_400000_NS6detail17trampoline_kernelINS0_14default_configENS1_38merge_sort_block_merge_config_selectorIbiEEZZNS1_27merge_sort_block_merge_implIS3_N6thrust23THRUST_200600_302600_NS6detail15normal_iteratorINS8_10device_ptrIbEEEENSA_INSB_IiEEEEjNS1_19radix_merge_compareILb0ELb1EbNS0_19identity_decomposerEEEEE10hipError_tT0_T1_T2_jT3_P12ihipStream_tbPNSt15iterator_traitsISK_E10value_typeEPNSQ_ISL_E10value_typeEPSM_NS1_7vsmem_tEENKUlT_SK_SL_SM_E_clIPbSD_PiSF_EESJ_SZ_SK_SL_SM_EUlSZ_E_NS1_11comp_targetILNS1_3genE5ELNS1_11target_archE942ELNS1_3gpuE9ELNS1_3repE0EEENS1_48merge_mergepath_partition_config_static_selectorELNS0_4arch9wavefront6targetE1EEEvSL_
	.p2align	8
	.type	_ZN7rocprim17ROCPRIM_400000_NS6detail17trampoline_kernelINS0_14default_configENS1_38merge_sort_block_merge_config_selectorIbiEEZZNS1_27merge_sort_block_merge_implIS3_N6thrust23THRUST_200600_302600_NS6detail15normal_iteratorINS8_10device_ptrIbEEEENSA_INSB_IiEEEEjNS1_19radix_merge_compareILb0ELb1EbNS0_19identity_decomposerEEEEE10hipError_tT0_T1_T2_jT3_P12ihipStream_tbPNSt15iterator_traitsISK_E10value_typeEPNSQ_ISL_E10value_typeEPSM_NS1_7vsmem_tEENKUlT_SK_SL_SM_E_clIPbSD_PiSF_EESJ_SZ_SK_SL_SM_EUlSZ_E_NS1_11comp_targetILNS1_3genE5ELNS1_11target_archE942ELNS1_3gpuE9ELNS1_3repE0EEENS1_48merge_mergepath_partition_config_static_selectorELNS0_4arch9wavefront6targetE1EEEvSL_,@function
_ZN7rocprim17ROCPRIM_400000_NS6detail17trampoline_kernelINS0_14default_configENS1_38merge_sort_block_merge_config_selectorIbiEEZZNS1_27merge_sort_block_merge_implIS3_N6thrust23THRUST_200600_302600_NS6detail15normal_iteratorINS8_10device_ptrIbEEEENSA_INSB_IiEEEEjNS1_19radix_merge_compareILb0ELb1EbNS0_19identity_decomposerEEEEE10hipError_tT0_T1_T2_jT3_P12ihipStream_tbPNSt15iterator_traitsISK_E10value_typeEPNSQ_ISL_E10value_typeEPSM_NS1_7vsmem_tEENKUlT_SK_SL_SM_E_clIPbSD_PiSF_EESJ_SZ_SK_SL_SM_EUlSZ_E_NS1_11comp_targetILNS1_3genE5ELNS1_11target_archE942ELNS1_3gpuE9ELNS1_3repE0EEENS1_48merge_mergepath_partition_config_static_selectorELNS0_4arch9wavefront6targetE1EEEvSL_: ; @_ZN7rocprim17ROCPRIM_400000_NS6detail17trampoline_kernelINS0_14default_configENS1_38merge_sort_block_merge_config_selectorIbiEEZZNS1_27merge_sort_block_merge_implIS3_N6thrust23THRUST_200600_302600_NS6detail15normal_iteratorINS8_10device_ptrIbEEEENSA_INSB_IiEEEEjNS1_19radix_merge_compareILb0ELb1EbNS0_19identity_decomposerEEEEE10hipError_tT0_T1_T2_jT3_P12ihipStream_tbPNSt15iterator_traitsISK_E10value_typeEPNSQ_ISL_E10value_typeEPSM_NS1_7vsmem_tEENKUlT_SK_SL_SM_E_clIPbSD_PiSF_EESJ_SZ_SK_SL_SM_EUlSZ_E_NS1_11comp_targetILNS1_3genE5ELNS1_11target_archE942ELNS1_3gpuE9ELNS1_3repE0EEENS1_48merge_mergepath_partition_config_static_selectorELNS0_4arch9wavefront6targetE1EEEvSL_
; %bb.0:
	.section	.rodata,"a",@progbits
	.p2align	6, 0x0
	.amdhsa_kernel _ZN7rocprim17ROCPRIM_400000_NS6detail17trampoline_kernelINS0_14default_configENS1_38merge_sort_block_merge_config_selectorIbiEEZZNS1_27merge_sort_block_merge_implIS3_N6thrust23THRUST_200600_302600_NS6detail15normal_iteratorINS8_10device_ptrIbEEEENSA_INSB_IiEEEEjNS1_19radix_merge_compareILb0ELb1EbNS0_19identity_decomposerEEEEE10hipError_tT0_T1_T2_jT3_P12ihipStream_tbPNSt15iterator_traitsISK_E10value_typeEPNSQ_ISL_E10value_typeEPSM_NS1_7vsmem_tEENKUlT_SK_SL_SM_E_clIPbSD_PiSF_EESJ_SZ_SK_SL_SM_EUlSZ_E_NS1_11comp_targetILNS1_3genE5ELNS1_11target_archE942ELNS1_3gpuE9ELNS1_3repE0EEENS1_48merge_mergepath_partition_config_static_selectorELNS0_4arch9wavefront6targetE1EEEvSL_
		.amdhsa_group_segment_fixed_size 0
		.amdhsa_private_segment_fixed_size 0
		.amdhsa_kernarg_size 40
		.amdhsa_user_sgpr_count 2
		.amdhsa_user_sgpr_dispatch_ptr 0
		.amdhsa_user_sgpr_queue_ptr 0
		.amdhsa_user_sgpr_kernarg_segment_ptr 1
		.amdhsa_user_sgpr_dispatch_id 0
		.amdhsa_user_sgpr_kernarg_preload_length 0
		.amdhsa_user_sgpr_kernarg_preload_offset 0
		.amdhsa_user_sgpr_private_segment_size 0
		.amdhsa_uses_dynamic_stack 0
		.amdhsa_enable_private_segment 0
		.amdhsa_system_sgpr_workgroup_id_x 1
		.amdhsa_system_sgpr_workgroup_id_y 0
		.amdhsa_system_sgpr_workgroup_id_z 0
		.amdhsa_system_sgpr_workgroup_info 0
		.amdhsa_system_vgpr_workitem_id 0
		.amdhsa_next_free_vgpr 1
		.amdhsa_next_free_sgpr 0
		.amdhsa_accum_offset 4
		.amdhsa_reserve_vcc 0
		.amdhsa_float_round_mode_32 0
		.amdhsa_float_round_mode_16_64 0
		.amdhsa_float_denorm_mode_32 3
		.amdhsa_float_denorm_mode_16_64 3
		.amdhsa_dx10_clamp 1
		.amdhsa_ieee_mode 1
		.amdhsa_fp16_overflow 0
		.amdhsa_tg_split 0
		.amdhsa_exception_fp_ieee_invalid_op 0
		.amdhsa_exception_fp_denorm_src 0
		.amdhsa_exception_fp_ieee_div_zero 0
		.amdhsa_exception_fp_ieee_overflow 0
		.amdhsa_exception_fp_ieee_underflow 0
		.amdhsa_exception_fp_ieee_inexact 0
		.amdhsa_exception_int_div_zero 0
	.end_amdhsa_kernel
	.section	.text._ZN7rocprim17ROCPRIM_400000_NS6detail17trampoline_kernelINS0_14default_configENS1_38merge_sort_block_merge_config_selectorIbiEEZZNS1_27merge_sort_block_merge_implIS3_N6thrust23THRUST_200600_302600_NS6detail15normal_iteratorINS8_10device_ptrIbEEEENSA_INSB_IiEEEEjNS1_19radix_merge_compareILb0ELb1EbNS0_19identity_decomposerEEEEE10hipError_tT0_T1_T2_jT3_P12ihipStream_tbPNSt15iterator_traitsISK_E10value_typeEPNSQ_ISL_E10value_typeEPSM_NS1_7vsmem_tEENKUlT_SK_SL_SM_E_clIPbSD_PiSF_EESJ_SZ_SK_SL_SM_EUlSZ_E_NS1_11comp_targetILNS1_3genE5ELNS1_11target_archE942ELNS1_3gpuE9ELNS1_3repE0EEENS1_48merge_mergepath_partition_config_static_selectorELNS0_4arch9wavefront6targetE1EEEvSL_,"axG",@progbits,_ZN7rocprim17ROCPRIM_400000_NS6detail17trampoline_kernelINS0_14default_configENS1_38merge_sort_block_merge_config_selectorIbiEEZZNS1_27merge_sort_block_merge_implIS3_N6thrust23THRUST_200600_302600_NS6detail15normal_iteratorINS8_10device_ptrIbEEEENSA_INSB_IiEEEEjNS1_19radix_merge_compareILb0ELb1EbNS0_19identity_decomposerEEEEE10hipError_tT0_T1_T2_jT3_P12ihipStream_tbPNSt15iterator_traitsISK_E10value_typeEPNSQ_ISL_E10value_typeEPSM_NS1_7vsmem_tEENKUlT_SK_SL_SM_E_clIPbSD_PiSF_EESJ_SZ_SK_SL_SM_EUlSZ_E_NS1_11comp_targetILNS1_3genE5ELNS1_11target_archE942ELNS1_3gpuE9ELNS1_3repE0EEENS1_48merge_mergepath_partition_config_static_selectorELNS0_4arch9wavefront6targetE1EEEvSL_,comdat
.Lfunc_end1968:
	.size	_ZN7rocprim17ROCPRIM_400000_NS6detail17trampoline_kernelINS0_14default_configENS1_38merge_sort_block_merge_config_selectorIbiEEZZNS1_27merge_sort_block_merge_implIS3_N6thrust23THRUST_200600_302600_NS6detail15normal_iteratorINS8_10device_ptrIbEEEENSA_INSB_IiEEEEjNS1_19radix_merge_compareILb0ELb1EbNS0_19identity_decomposerEEEEE10hipError_tT0_T1_T2_jT3_P12ihipStream_tbPNSt15iterator_traitsISK_E10value_typeEPNSQ_ISL_E10value_typeEPSM_NS1_7vsmem_tEENKUlT_SK_SL_SM_E_clIPbSD_PiSF_EESJ_SZ_SK_SL_SM_EUlSZ_E_NS1_11comp_targetILNS1_3genE5ELNS1_11target_archE942ELNS1_3gpuE9ELNS1_3repE0EEENS1_48merge_mergepath_partition_config_static_selectorELNS0_4arch9wavefront6targetE1EEEvSL_, .Lfunc_end1968-_ZN7rocprim17ROCPRIM_400000_NS6detail17trampoline_kernelINS0_14default_configENS1_38merge_sort_block_merge_config_selectorIbiEEZZNS1_27merge_sort_block_merge_implIS3_N6thrust23THRUST_200600_302600_NS6detail15normal_iteratorINS8_10device_ptrIbEEEENSA_INSB_IiEEEEjNS1_19radix_merge_compareILb0ELb1EbNS0_19identity_decomposerEEEEE10hipError_tT0_T1_T2_jT3_P12ihipStream_tbPNSt15iterator_traitsISK_E10value_typeEPNSQ_ISL_E10value_typeEPSM_NS1_7vsmem_tEENKUlT_SK_SL_SM_E_clIPbSD_PiSF_EESJ_SZ_SK_SL_SM_EUlSZ_E_NS1_11comp_targetILNS1_3genE5ELNS1_11target_archE942ELNS1_3gpuE9ELNS1_3repE0EEENS1_48merge_mergepath_partition_config_static_selectorELNS0_4arch9wavefront6targetE1EEEvSL_
                                        ; -- End function
	.set _ZN7rocprim17ROCPRIM_400000_NS6detail17trampoline_kernelINS0_14default_configENS1_38merge_sort_block_merge_config_selectorIbiEEZZNS1_27merge_sort_block_merge_implIS3_N6thrust23THRUST_200600_302600_NS6detail15normal_iteratorINS8_10device_ptrIbEEEENSA_INSB_IiEEEEjNS1_19radix_merge_compareILb0ELb1EbNS0_19identity_decomposerEEEEE10hipError_tT0_T1_T2_jT3_P12ihipStream_tbPNSt15iterator_traitsISK_E10value_typeEPNSQ_ISL_E10value_typeEPSM_NS1_7vsmem_tEENKUlT_SK_SL_SM_E_clIPbSD_PiSF_EESJ_SZ_SK_SL_SM_EUlSZ_E_NS1_11comp_targetILNS1_3genE5ELNS1_11target_archE942ELNS1_3gpuE9ELNS1_3repE0EEENS1_48merge_mergepath_partition_config_static_selectorELNS0_4arch9wavefront6targetE1EEEvSL_.num_vgpr, 0
	.set _ZN7rocprim17ROCPRIM_400000_NS6detail17trampoline_kernelINS0_14default_configENS1_38merge_sort_block_merge_config_selectorIbiEEZZNS1_27merge_sort_block_merge_implIS3_N6thrust23THRUST_200600_302600_NS6detail15normal_iteratorINS8_10device_ptrIbEEEENSA_INSB_IiEEEEjNS1_19radix_merge_compareILb0ELb1EbNS0_19identity_decomposerEEEEE10hipError_tT0_T1_T2_jT3_P12ihipStream_tbPNSt15iterator_traitsISK_E10value_typeEPNSQ_ISL_E10value_typeEPSM_NS1_7vsmem_tEENKUlT_SK_SL_SM_E_clIPbSD_PiSF_EESJ_SZ_SK_SL_SM_EUlSZ_E_NS1_11comp_targetILNS1_3genE5ELNS1_11target_archE942ELNS1_3gpuE9ELNS1_3repE0EEENS1_48merge_mergepath_partition_config_static_selectorELNS0_4arch9wavefront6targetE1EEEvSL_.num_agpr, 0
	.set _ZN7rocprim17ROCPRIM_400000_NS6detail17trampoline_kernelINS0_14default_configENS1_38merge_sort_block_merge_config_selectorIbiEEZZNS1_27merge_sort_block_merge_implIS3_N6thrust23THRUST_200600_302600_NS6detail15normal_iteratorINS8_10device_ptrIbEEEENSA_INSB_IiEEEEjNS1_19radix_merge_compareILb0ELb1EbNS0_19identity_decomposerEEEEE10hipError_tT0_T1_T2_jT3_P12ihipStream_tbPNSt15iterator_traitsISK_E10value_typeEPNSQ_ISL_E10value_typeEPSM_NS1_7vsmem_tEENKUlT_SK_SL_SM_E_clIPbSD_PiSF_EESJ_SZ_SK_SL_SM_EUlSZ_E_NS1_11comp_targetILNS1_3genE5ELNS1_11target_archE942ELNS1_3gpuE9ELNS1_3repE0EEENS1_48merge_mergepath_partition_config_static_selectorELNS0_4arch9wavefront6targetE1EEEvSL_.numbered_sgpr, 0
	.set _ZN7rocprim17ROCPRIM_400000_NS6detail17trampoline_kernelINS0_14default_configENS1_38merge_sort_block_merge_config_selectorIbiEEZZNS1_27merge_sort_block_merge_implIS3_N6thrust23THRUST_200600_302600_NS6detail15normal_iteratorINS8_10device_ptrIbEEEENSA_INSB_IiEEEEjNS1_19radix_merge_compareILb0ELb1EbNS0_19identity_decomposerEEEEE10hipError_tT0_T1_T2_jT3_P12ihipStream_tbPNSt15iterator_traitsISK_E10value_typeEPNSQ_ISL_E10value_typeEPSM_NS1_7vsmem_tEENKUlT_SK_SL_SM_E_clIPbSD_PiSF_EESJ_SZ_SK_SL_SM_EUlSZ_E_NS1_11comp_targetILNS1_3genE5ELNS1_11target_archE942ELNS1_3gpuE9ELNS1_3repE0EEENS1_48merge_mergepath_partition_config_static_selectorELNS0_4arch9wavefront6targetE1EEEvSL_.num_named_barrier, 0
	.set _ZN7rocprim17ROCPRIM_400000_NS6detail17trampoline_kernelINS0_14default_configENS1_38merge_sort_block_merge_config_selectorIbiEEZZNS1_27merge_sort_block_merge_implIS3_N6thrust23THRUST_200600_302600_NS6detail15normal_iteratorINS8_10device_ptrIbEEEENSA_INSB_IiEEEEjNS1_19radix_merge_compareILb0ELb1EbNS0_19identity_decomposerEEEEE10hipError_tT0_T1_T2_jT3_P12ihipStream_tbPNSt15iterator_traitsISK_E10value_typeEPNSQ_ISL_E10value_typeEPSM_NS1_7vsmem_tEENKUlT_SK_SL_SM_E_clIPbSD_PiSF_EESJ_SZ_SK_SL_SM_EUlSZ_E_NS1_11comp_targetILNS1_3genE5ELNS1_11target_archE942ELNS1_3gpuE9ELNS1_3repE0EEENS1_48merge_mergepath_partition_config_static_selectorELNS0_4arch9wavefront6targetE1EEEvSL_.private_seg_size, 0
	.set _ZN7rocprim17ROCPRIM_400000_NS6detail17trampoline_kernelINS0_14default_configENS1_38merge_sort_block_merge_config_selectorIbiEEZZNS1_27merge_sort_block_merge_implIS3_N6thrust23THRUST_200600_302600_NS6detail15normal_iteratorINS8_10device_ptrIbEEEENSA_INSB_IiEEEEjNS1_19radix_merge_compareILb0ELb1EbNS0_19identity_decomposerEEEEE10hipError_tT0_T1_T2_jT3_P12ihipStream_tbPNSt15iterator_traitsISK_E10value_typeEPNSQ_ISL_E10value_typeEPSM_NS1_7vsmem_tEENKUlT_SK_SL_SM_E_clIPbSD_PiSF_EESJ_SZ_SK_SL_SM_EUlSZ_E_NS1_11comp_targetILNS1_3genE5ELNS1_11target_archE942ELNS1_3gpuE9ELNS1_3repE0EEENS1_48merge_mergepath_partition_config_static_selectorELNS0_4arch9wavefront6targetE1EEEvSL_.uses_vcc, 0
	.set _ZN7rocprim17ROCPRIM_400000_NS6detail17trampoline_kernelINS0_14default_configENS1_38merge_sort_block_merge_config_selectorIbiEEZZNS1_27merge_sort_block_merge_implIS3_N6thrust23THRUST_200600_302600_NS6detail15normal_iteratorINS8_10device_ptrIbEEEENSA_INSB_IiEEEEjNS1_19radix_merge_compareILb0ELb1EbNS0_19identity_decomposerEEEEE10hipError_tT0_T1_T2_jT3_P12ihipStream_tbPNSt15iterator_traitsISK_E10value_typeEPNSQ_ISL_E10value_typeEPSM_NS1_7vsmem_tEENKUlT_SK_SL_SM_E_clIPbSD_PiSF_EESJ_SZ_SK_SL_SM_EUlSZ_E_NS1_11comp_targetILNS1_3genE5ELNS1_11target_archE942ELNS1_3gpuE9ELNS1_3repE0EEENS1_48merge_mergepath_partition_config_static_selectorELNS0_4arch9wavefront6targetE1EEEvSL_.uses_flat_scratch, 0
	.set _ZN7rocprim17ROCPRIM_400000_NS6detail17trampoline_kernelINS0_14default_configENS1_38merge_sort_block_merge_config_selectorIbiEEZZNS1_27merge_sort_block_merge_implIS3_N6thrust23THRUST_200600_302600_NS6detail15normal_iteratorINS8_10device_ptrIbEEEENSA_INSB_IiEEEEjNS1_19radix_merge_compareILb0ELb1EbNS0_19identity_decomposerEEEEE10hipError_tT0_T1_T2_jT3_P12ihipStream_tbPNSt15iterator_traitsISK_E10value_typeEPNSQ_ISL_E10value_typeEPSM_NS1_7vsmem_tEENKUlT_SK_SL_SM_E_clIPbSD_PiSF_EESJ_SZ_SK_SL_SM_EUlSZ_E_NS1_11comp_targetILNS1_3genE5ELNS1_11target_archE942ELNS1_3gpuE9ELNS1_3repE0EEENS1_48merge_mergepath_partition_config_static_selectorELNS0_4arch9wavefront6targetE1EEEvSL_.has_dyn_sized_stack, 0
	.set _ZN7rocprim17ROCPRIM_400000_NS6detail17trampoline_kernelINS0_14default_configENS1_38merge_sort_block_merge_config_selectorIbiEEZZNS1_27merge_sort_block_merge_implIS3_N6thrust23THRUST_200600_302600_NS6detail15normal_iteratorINS8_10device_ptrIbEEEENSA_INSB_IiEEEEjNS1_19radix_merge_compareILb0ELb1EbNS0_19identity_decomposerEEEEE10hipError_tT0_T1_T2_jT3_P12ihipStream_tbPNSt15iterator_traitsISK_E10value_typeEPNSQ_ISL_E10value_typeEPSM_NS1_7vsmem_tEENKUlT_SK_SL_SM_E_clIPbSD_PiSF_EESJ_SZ_SK_SL_SM_EUlSZ_E_NS1_11comp_targetILNS1_3genE5ELNS1_11target_archE942ELNS1_3gpuE9ELNS1_3repE0EEENS1_48merge_mergepath_partition_config_static_selectorELNS0_4arch9wavefront6targetE1EEEvSL_.has_recursion, 0
	.set _ZN7rocprim17ROCPRIM_400000_NS6detail17trampoline_kernelINS0_14default_configENS1_38merge_sort_block_merge_config_selectorIbiEEZZNS1_27merge_sort_block_merge_implIS3_N6thrust23THRUST_200600_302600_NS6detail15normal_iteratorINS8_10device_ptrIbEEEENSA_INSB_IiEEEEjNS1_19radix_merge_compareILb0ELb1EbNS0_19identity_decomposerEEEEE10hipError_tT0_T1_T2_jT3_P12ihipStream_tbPNSt15iterator_traitsISK_E10value_typeEPNSQ_ISL_E10value_typeEPSM_NS1_7vsmem_tEENKUlT_SK_SL_SM_E_clIPbSD_PiSF_EESJ_SZ_SK_SL_SM_EUlSZ_E_NS1_11comp_targetILNS1_3genE5ELNS1_11target_archE942ELNS1_3gpuE9ELNS1_3repE0EEENS1_48merge_mergepath_partition_config_static_selectorELNS0_4arch9wavefront6targetE1EEEvSL_.has_indirect_call, 0
	.section	.AMDGPU.csdata,"",@progbits
; Kernel info:
; codeLenInByte = 0
; TotalNumSgprs: 6
; NumVgprs: 0
; NumAgprs: 0
; TotalNumVgprs: 0
; ScratchSize: 0
; MemoryBound: 0
; FloatMode: 240
; IeeeMode: 1
; LDSByteSize: 0 bytes/workgroup (compile time only)
; SGPRBlocks: 0
; VGPRBlocks: 0
; NumSGPRsForWavesPerEU: 6
; NumVGPRsForWavesPerEU: 1
; AccumOffset: 4
; Occupancy: 8
; WaveLimiterHint : 0
; COMPUTE_PGM_RSRC2:SCRATCH_EN: 0
; COMPUTE_PGM_RSRC2:USER_SGPR: 2
; COMPUTE_PGM_RSRC2:TRAP_HANDLER: 0
; COMPUTE_PGM_RSRC2:TGID_X_EN: 1
; COMPUTE_PGM_RSRC2:TGID_Y_EN: 0
; COMPUTE_PGM_RSRC2:TGID_Z_EN: 0
; COMPUTE_PGM_RSRC2:TIDIG_COMP_CNT: 0
; COMPUTE_PGM_RSRC3_GFX90A:ACCUM_OFFSET: 0
; COMPUTE_PGM_RSRC3_GFX90A:TG_SPLIT: 0
	.section	.text._ZN7rocprim17ROCPRIM_400000_NS6detail17trampoline_kernelINS0_14default_configENS1_38merge_sort_block_merge_config_selectorIbiEEZZNS1_27merge_sort_block_merge_implIS3_N6thrust23THRUST_200600_302600_NS6detail15normal_iteratorINS8_10device_ptrIbEEEENSA_INSB_IiEEEEjNS1_19radix_merge_compareILb0ELb1EbNS0_19identity_decomposerEEEEE10hipError_tT0_T1_T2_jT3_P12ihipStream_tbPNSt15iterator_traitsISK_E10value_typeEPNSQ_ISL_E10value_typeEPSM_NS1_7vsmem_tEENKUlT_SK_SL_SM_E_clIPbSD_PiSF_EESJ_SZ_SK_SL_SM_EUlSZ_E_NS1_11comp_targetILNS1_3genE4ELNS1_11target_archE910ELNS1_3gpuE8ELNS1_3repE0EEENS1_48merge_mergepath_partition_config_static_selectorELNS0_4arch9wavefront6targetE1EEEvSL_,"axG",@progbits,_ZN7rocprim17ROCPRIM_400000_NS6detail17trampoline_kernelINS0_14default_configENS1_38merge_sort_block_merge_config_selectorIbiEEZZNS1_27merge_sort_block_merge_implIS3_N6thrust23THRUST_200600_302600_NS6detail15normal_iteratorINS8_10device_ptrIbEEEENSA_INSB_IiEEEEjNS1_19radix_merge_compareILb0ELb1EbNS0_19identity_decomposerEEEEE10hipError_tT0_T1_T2_jT3_P12ihipStream_tbPNSt15iterator_traitsISK_E10value_typeEPNSQ_ISL_E10value_typeEPSM_NS1_7vsmem_tEENKUlT_SK_SL_SM_E_clIPbSD_PiSF_EESJ_SZ_SK_SL_SM_EUlSZ_E_NS1_11comp_targetILNS1_3genE4ELNS1_11target_archE910ELNS1_3gpuE8ELNS1_3repE0EEENS1_48merge_mergepath_partition_config_static_selectorELNS0_4arch9wavefront6targetE1EEEvSL_,comdat
	.protected	_ZN7rocprim17ROCPRIM_400000_NS6detail17trampoline_kernelINS0_14default_configENS1_38merge_sort_block_merge_config_selectorIbiEEZZNS1_27merge_sort_block_merge_implIS3_N6thrust23THRUST_200600_302600_NS6detail15normal_iteratorINS8_10device_ptrIbEEEENSA_INSB_IiEEEEjNS1_19radix_merge_compareILb0ELb1EbNS0_19identity_decomposerEEEEE10hipError_tT0_T1_T2_jT3_P12ihipStream_tbPNSt15iterator_traitsISK_E10value_typeEPNSQ_ISL_E10value_typeEPSM_NS1_7vsmem_tEENKUlT_SK_SL_SM_E_clIPbSD_PiSF_EESJ_SZ_SK_SL_SM_EUlSZ_E_NS1_11comp_targetILNS1_3genE4ELNS1_11target_archE910ELNS1_3gpuE8ELNS1_3repE0EEENS1_48merge_mergepath_partition_config_static_selectorELNS0_4arch9wavefront6targetE1EEEvSL_ ; -- Begin function _ZN7rocprim17ROCPRIM_400000_NS6detail17trampoline_kernelINS0_14default_configENS1_38merge_sort_block_merge_config_selectorIbiEEZZNS1_27merge_sort_block_merge_implIS3_N6thrust23THRUST_200600_302600_NS6detail15normal_iteratorINS8_10device_ptrIbEEEENSA_INSB_IiEEEEjNS1_19radix_merge_compareILb0ELb1EbNS0_19identity_decomposerEEEEE10hipError_tT0_T1_T2_jT3_P12ihipStream_tbPNSt15iterator_traitsISK_E10value_typeEPNSQ_ISL_E10value_typeEPSM_NS1_7vsmem_tEENKUlT_SK_SL_SM_E_clIPbSD_PiSF_EESJ_SZ_SK_SL_SM_EUlSZ_E_NS1_11comp_targetILNS1_3genE4ELNS1_11target_archE910ELNS1_3gpuE8ELNS1_3repE0EEENS1_48merge_mergepath_partition_config_static_selectorELNS0_4arch9wavefront6targetE1EEEvSL_
	.globl	_ZN7rocprim17ROCPRIM_400000_NS6detail17trampoline_kernelINS0_14default_configENS1_38merge_sort_block_merge_config_selectorIbiEEZZNS1_27merge_sort_block_merge_implIS3_N6thrust23THRUST_200600_302600_NS6detail15normal_iteratorINS8_10device_ptrIbEEEENSA_INSB_IiEEEEjNS1_19radix_merge_compareILb0ELb1EbNS0_19identity_decomposerEEEEE10hipError_tT0_T1_T2_jT3_P12ihipStream_tbPNSt15iterator_traitsISK_E10value_typeEPNSQ_ISL_E10value_typeEPSM_NS1_7vsmem_tEENKUlT_SK_SL_SM_E_clIPbSD_PiSF_EESJ_SZ_SK_SL_SM_EUlSZ_E_NS1_11comp_targetILNS1_3genE4ELNS1_11target_archE910ELNS1_3gpuE8ELNS1_3repE0EEENS1_48merge_mergepath_partition_config_static_selectorELNS0_4arch9wavefront6targetE1EEEvSL_
	.p2align	8
	.type	_ZN7rocprim17ROCPRIM_400000_NS6detail17trampoline_kernelINS0_14default_configENS1_38merge_sort_block_merge_config_selectorIbiEEZZNS1_27merge_sort_block_merge_implIS3_N6thrust23THRUST_200600_302600_NS6detail15normal_iteratorINS8_10device_ptrIbEEEENSA_INSB_IiEEEEjNS1_19radix_merge_compareILb0ELb1EbNS0_19identity_decomposerEEEEE10hipError_tT0_T1_T2_jT3_P12ihipStream_tbPNSt15iterator_traitsISK_E10value_typeEPNSQ_ISL_E10value_typeEPSM_NS1_7vsmem_tEENKUlT_SK_SL_SM_E_clIPbSD_PiSF_EESJ_SZ_SK_SL_SM_EUlSZ_E_NS1_11comp_targetILNS1_3genE4ELNS1_11target_archE910ELNS1_3gpuE8ELNS1_3repE0EEENS1_48merge_mergepath_partition_config_static_selectorELNS0_4arch9wavefront6targetE1EEEvSL_,@function
_ZN7rocprim17ROCPRIM_400000_NS6detail17trampoline_kernelINS0_14default_configENS1_38merge_sort_block_merge_config_selectorIbiEEZZNS1_27merge_sort_block_merge_implIS3_N6thrust23THRUST_200600_302600_NS6detail15normal_iteratorINS8_10device_ptrIbEEEENSA_INSB_IiEEEEjNS1_19radix_merge_compareILb0ELb1EbNS0_19identity_decomposerEEEEE10hipError_tT0_T1_T2_jT3_P12ihipStream_tbPNSt15iterator_traitsISK_E10value_typeEPNSQ_ISL_E10value_typeEPSM_NS1_7vsmem_tEENKUlT_SK_SL_SM_E_clIPbSD_PiSF_EESJ_SZ_SK_SL_SM_EUlSZ_E_NS1_11comp_targetILNS1_3genE4ELNS1_11target_archE910ELNS1_3gpuE8ELNS1_3repE0EEENS1_48merge_mergepath_partition_config_static_selectorELNS0_4arch9wavefront6targetE1EEEvSL_: ; @_ZN7rocprim17ROCPRIM_400000_NS6detail17trampoline_kernelINS0_14default_configENS1_38merge_sort_block_merge_config_selectorIbiEEZZNS1_27merge_sort_block_merge_implIS3_N6thrust23THRUST_200600_302600_NS6detail15normal_iteratorINS8_10device_ptrIbEEEENSA_INSB_IiEEEEjNS1_19radix_merge_compareILb0ELb1EbNS0_19identity_decomposerEEEEE10hipError_tT0_T1_T2_jT3_P12ihipStream_tbPNSt15iterator_traitsISK_E10value_typeEPNSQ_ISL_E10value_typeEPSM_NS1_7vsmem_tEENKUlT_SK_SL_SM_E_clIPbSD_PiSF_EESJ_SZ_SK_SL_SM_EUlSZ_E_NS1_11comp_targetILNS1_3genE4ELNS1_11target_archE910ELNS1_3gpuE8ELNS1_3repE0EEENS1_48merge_mergepath_partition_config_static_selectorELNS0_4arch9wavefront6targetE1EEEvSL_
; %bb.0:
	.section	.rodata,"a",@progbits
	.p2align	6, 0x0
	.amdhsa_kernel _ZN7rocprim17ROCPRIM_400000_NS6detail17trampoline_kernelINS0_14default_configENS1_38merge_sort_block_merge_config_selectorIbiEEZZNS1_27merge_sort_block_merge_implIS3_N6thrust23THRUST_200600_302600_NS6detail15normal_iteratorINS8_10device_ptrIbEEEENSA_INSB_IiEEEEjNS1_19radix_merge_compareILb0ELb1EbNS0_19identity_decomposerEEEEE10hipError_tT0_T1_T2_jT3_P12ihipStream_tbPNSt15iterator_traitsISK_E10value_typeEPNSQ_ISL_E10value_typeEPSM_NS1_7vsmem_tEENKUlT_SK_SL_SM_E_clIPbSD_PiSF_EESJ_SZ_SK_SL_SM_EUlSZ_E_NS1_11comp_targetILNS1_3genE4ELNS1_11target_archE910ELNS1_3gpuE8ELNS1_3repE0EEENS1_48merge_mergepath_partition_config_static_selectorELNS0_4arch9wavefront6targetE1EEEvSL_
		.amdhsa_group_segment_fixed_size 0
		.amdhsa_private_segment_fixed_size 0
		.amdhsa_kernarg_size 40
		.amdhsa_user_sgpr_count 2
		.amdhsa_user_sgpr_dispatch_ptr 0
		.amdhsa_user_sgpr_queue_ptr 0
		.amdhsa_user_sgpr_kernarg_segment_ptr 1
		.amdhsa_user_sgpr_dispatch_id 0
		.amdhsa_user_sgpr_kernarg_preload_length 0
		.amdhsa_user_sgpr_kernarg_preload_offset 0
		.amdhsa_user_sgpr_private_segment_size 0
		.amdhsa_uses_dynamic_stack 0
		.amdhsa_enable_private_segment 0
		.amdhsa_system_sgpr_workgroup_id_x 1
		.amdhsa_system_sgpr_workgroup_id_y 0
		.amdhsa_system_sgpr_workgroup_id_z 0
		.amdhsa_system_sgpr_workgroup_info 0
		.amdhsa_system_vgpr_workitem_id 0
		.amdhsa_next_free_vgpr 1
		.amdhsa_next_free_sgpr 0
		.amdhsa_accum_offset 4
		.amdhsa_reserve_vcc 0
		.amdhsa_float_round_mode_32 0
		.amdhsa_float_round_mode_16_64 0
		.amdhsa_float_denorm_mode_32 3
		.amdhsa_float_denorm_mode_16_64 3
		.amdhsa_dx10_clamp 1
		.amdhsa_ieee_mode 1
		.amdhsa_fp16_overflow 0
		.amdhsa_tg_split 0
		.amdhsa_exception_fp_ieee_invalid_op 0
		.amdhsa_exception_fp_denorm_src 0
		.amdhsa_exception_fp_ieee_div_zero 0
		.amdhsa_exception_fp_ieee_overflow 0
		.amdhsa_exception_fp_ieee_underflow 0
		.amdhsa_exception_fp_ieee_inexact 0
		.amdhsa_exception_int_div_zero 0
	.end_amdhsa_kernel
	.section	.text._ZN7rocprim17ROCPRIM_400000_NS6detail17trampoline_kernelINS0_14default_configENS1_38merge_sort_block_merge_config_selectorIbiEEZZNS1_27merge_sort_block_merge_implIS3_N6thrust23THRUST_200600_302600_NS6detail15normal_iteratorINS8_10device_ptrIbEEEENSA_INSB_IiEEEEjNS1_19radix_merge_compareILb0ELb1EbNS0_19identity_decomposerEEEEE10hipError_tT0_T1_T2_jT3_P12ihipStream_tbPNSt15iterator_traitsISK_E10value_typeEPNSQ_ISL_E10value_typeEPSM_NS1_7vsmem_tEENKUlT_SK_SL_SM_E_clIPbSD_PiSF_EESJ_SZ_SK_SL_SM_EUlSZ_E_NS1_11comp_targetILNS1_3genE4ELNS1_11target_archE910ELNS1_3gpuE8ELNS1_3repE0EEENS1_48merge_mergepath_partition_config_static_selectorELNS0_4arch9wavefront6targetE1EEEvSL_,"axG",@progbits,_ZN7rocprim17ROCPRIM_400000_NS6detail17trampoline_kernelINS0_14default_configENS1_38merge_sort_block_merge_config_selectorIbiEEZZNS1_27merge_sort_block_merge_implIS3_N6thrust23THRUST_200600_302600_NS6detail15normal_iteratorINS8_10device_ptrIbEEEENSA_INSB_IiEEEEjNS1_19radix_merge_compareILb0ELb1EbNS0_19identity_decomposerEEEEE10hipError_tT0_T1_T2_jT3_P12ihipStream_tbPNSt15iterator_traitsISK_E10value_typeEPNSQ_ISL_E10value_typeEPSM_NS1_7vsmem_tEENKUlT_SK_SL_SM_E_clIPbSD_PiSF_EESJ_SZ_SK_SL_SM_EUlSZ_E_NS1_11comp_targetILNS1_3genE4ELNS1_11target_archE910ELNS1_3gpuE8ELNS1_3repE0EEENS1_48merge_mergepath_partition_config_static_selectorELNS0_4arch9wavefront6targetE1EEEvSL_,comdat
.Lfunc_end1969:
	.size	_ZN7rocprim17ROCPRIM_400000_NS6detail17trampoline_kernelINS0_14default_configENS1_38merge_sort_block_merge_config_selectorIbiEEZZNS1_27merge_sort_block_merge_implIS3_N6thrust23THRUST_200600_302600_NS6detail15normal_iteratorINS8_10device_ptrIbEEEENSA_INSB_IiEEEEjNS1_19radix_merge_compareILb0ELb1EbNS0_19identity_decomposerEEEEE10hipError_tT0_T1_T2_jT3_P12ihipStream_tbPNSt15iterator_traitsISK_E10value_typeEPNSQ_ISL_E10value_typeEPSM_NS1_7vsmem_tEENKUlT_SK_SL_SM_E_clIPbSD_PiSF_EESJ_SZ_SK_SL_SM_EUlSZ_E_NS1_11comp_targetILNS1_3genE4ELNS1_11target_archE910ELNS1_3gpuE8ELNS1_3repE0EEENS1_48merge_mergepath_partition_config_static_selectorELNS0_4arch9wavefront6targetE1EEEvSL_, .Lfunc_end1969-_ZN7rocprim17ROCPRIM_400000_NS6detail17trampoline_kernelINS0_14default_configENS1_38merge_sort_block_merge_config_selectorIbiEEZZNS1_27merge_sort_block_merge_implIS3_N6thrust23THRUST_200600_302600_NS6detail15normal_iteratorINS8_10device_ptrIbEEEENSA_INSB_IiEEEEjNS1_19radix_merge_compareILb0ELb1EbNS0_19identity_decomposerEEEEE10hipError_tT0_T1_T2_jT3_P12ihipStream_tbPNSt15iterator_traitsISK_E10value_typeEPNSQ_ISL_E10value_typeEPSM_NS1_7vsmem_tEENKUlT_SK_SL_SM_E_clIPbSD_PiSF_EESJ_SZ_SK_SL_SM_EUlSZ_E_NS1_11comp_targetILNS1_3genE4ELNS1_11target_archE910ELNS1_3gpuE8ELNS1_3repE0EEENS1_48merge_mergepath_partition_config_static_selectorELNS0_4arch9wavefront6targetE1EEEvSL_
                                        ; -- End function
	.set _ZN7rocprim17ROCPRIM_400000_NS6detail17trampoline_kernelINS0_14default_configENS1_38merge_sort_block_merge_config_selectorIbiEEZZNS1_27merge_sort_block_merge_implIS3_N6thrust23THRUST_200600_302600_NS6detail15normal_iteratorINS8_10device_ptrIbEEEENSA_INSB_IiEEEEjNS1_19radix_merge_compareILb0ELb1EbNS0_19identity_decomposerEEEEE10hipError_tT0_T1_T2_jT3_P12ihipStream_tbPNSt15iterator_traitsISK_E10value_typeEPNSQ_ISL_E10value_typeEPSM_NS1_7vsmem_tEENKUlT_SK_SL_SM_E_clIPbSD_PiSF_EESJ_SZ_SK_SL_SM_EUlSZ_E_NS1_11comp_targetILNS1_3genE4ELNS1_11target_archE910ELNS1_3gpuE8ELNS1_3repE0EEENS1_48merge_mergepath_partition_config_static_selectorELNS0_4arch9wavefront6targetE1EEEvSL_.num_vgpr, 0
	.set _ZN7rocprim17ROCPRIM_400000_NS6detail17trampoline_kernelINS0_14default_configENS1_38merge_sort_block_merge_config_selectorIbiEEZZNS1_27merge_sort_block_merge_implIS3_N6thrust23THRUST_200600_302600_NS6detail15normal_iteratorINS8_10device_ptrIbEEEENSA_INSB_IiEEEEjNS1_19radix_merge_compareILb0ELb1EbNS0_19identity_decomposerEEEEE10hipError_tT0_T1_T2_jT3_P12ihipStream_tbPNSt15iterator_traitsISK_E10value_typeEPNSQ_ISL_E10value_typeEPSM_NS1_7vsmem_tEENKUlT_SK_SL_SM_E_clIPbSD_PiSF_EESJ_SZ_SK_SL_SM_EUlSZ_E_NS1_11comp_targetILNS1_3genE4ELNS1_11target_archE910ELNS1_3gpuE8ELNS1_3repE0EEENS1_48merge_mergepath_partition_config_static_selectorELNS0_4arch9wavefront6targetE1EEEvSL_.num_agpr, 0
	.set _ZN7rocprim17ROCPRIM_400000_NS6detail17trampoline_kernelINS0_14default_configENS1_38merge_sort_block_merge_config_selectorIbiEEZZNS1_27merge_sort_block_merge_implIS3_N6thrust23THRUST_200600_302600_NS6detail15normal_iteratorINS8_10device_ptrIbEEEENSA_INSB_IiEEEEjNS1_19radix_merge_compareILb0ELb1EbNS0_19identity_decomposerEEEEE10hipError_tT0_T1_T2_jT3_P12ihipStream_tbPNSt15iterator_traitsISK_E10value_typeEPNSQ_ISL_E10value_typeEPSM_NS1_7vsmem_tEENKUlT_SK_SL_SM_E_clIPbSD_PiSF_EESJ_SZ_SK_SL_SM_EUlSZ_E_NS1_11comp_targetILNS1_3genE4ELNS1_11target_archE910ELNS1_3gpuE8ELNS1_3repE0EEENS1_48merge_mergepath_partition_config_static_selectorELNS0_4arch9wavefront6targetE1EEEvSL_.numbered_sgpr, 0
	.set _ZN7rocprim17ROCPRIM_400000_NS6detail17trampoline_kernelINS0_14default_configENS1_38merge_sort_block_merge_config_selectorIbiEEZZNS1_27merge_sort_block_merge_implIS3_N6thrust23THRUST_200600_302600_NS6detail15normal_iteratorINS8_10device_ptrIbEEEENSA_INSB_IiEEEEjNS1_19radix_merge_compareILb0ELb1EbNS0_19identity_decomposerEEEEE10hipError_tT0_T1_T2_jT3_P12ihipStream_tbPNSt15iterator_traitsISK_E10value_typeEPNSQ_ISL_E10value_typeEPSM_NS1_7vsmem_tEENKUlT_SK_SL_SM_E_clIPbSD_PiSF_EESJ_SZ_SK_SL_SM_EUlSZ_E_NS1_11comp_targetILNS1_3genE4ELNS1_11target_archE910ELNS1_3gpuE8ELNS1_3repE0EEENS1_48merge_mergepath_partition_config_static_selectorELNS0_4arch9wavefront6targetE1EEEvSL_.num_named_barrier, 0
	.set _ZN7rocprim17ROCPRIM_400000_NS6detail17trampoline_kernelINS0_14default_configENS1_38merge_sort_block_merge_config_selectorIbiEEZZNS1_27merge_sort_block_merge_implIS3_N6thrust23THRUST_200600_302600_NS6detail15normal_iteratorINS8_10device_ptrIbEEEENSA_INSB_IiEEEEjNS1_19radix_merge_compareILb0ELb1EbNS0_19identity_decomposerEEEEE10hipError_tT0_T1_T2_jT3_P12ihipStream_tbPNSt15iterator_traitsISK_E10value_typeEPNSQ_ISL_E10value_typeEPSM_NS1_7vsmem_tEENKUlT_SK_SL_SM_E_clIPbSD_PiSF_EESJ_SZ_SK_SL_SM_EUlSZ_E_NS1_11comp_targetILNS1_3genE4ELNS1_11target_archE910ELNS1_3gpuE8ELNS1_3repE0EEENS1_48merge_mergepath_partition_config_static_selectorELNS0_4arch9wavefront6targetE1EEEvSL_.private_seg_size, 0
	.set _ZN7rocprim17ROCPRIM_400000_NS6detail17trampoline_kernelINS0_14default_configENS1_38merge_sort_block_merge_config_selectorIbiEEZZNS1_27merge_sort_block_merge_implIS3_N6thrust23THRUST_200600_302600_NS6detail15normal_iteratorINS8_10device_ptrIbEEEENSA_INSB_IiEEEEjNS1_19radix_merge_compareILb0ELb1EbNS0_19identity_decomposerEEEEE10hipError_tT0_T1_T2_jT3_P12ihipStream_tbPNSt15iterator_traitsISK_E10value_typeEPNSQ_ISL_E10value_typeEPSM_NS1_7vsmem_tEENKUlT_SK_SL_SM_E_clIPbSD_PiSF_EESJ_SZ_SK_SL_SM_EUlSZ_E_NS1_11comp_targetILNS1_3genE4ELNS1_11target_archE910ELNS1_3gpuE8ELNS1_3repE0EEENS1_48merge_mergepath_partition_config_static_selectorELNS0_4arch9wavefront6targetE1EEEvSL_.uses_vcc, 0
	.set _ZN7rocprim17ROCPRIM_400000_NS6detail17trampoline_kernelINS0_14default_configENS1_38merge_sort_block_merge_config_selectorIbiEEZZNS1_27merge_sort_block_merge_implIS3_N6thrust23THRUST_200600_302600_NS6detail15normal_iteratorINS8_10device_ptrIbEEEENSA_INSB_IiEEEEjNS1_19radix_merge_compareILb0ELb1EbNS0_19identity_decomposerEEEEE10hipError_tT0_T1_T2_jT3_P12ihipStream_tbPNSt15iterator_traitsISK_E10value_typeEPNSQ_ISL_E10value_typeEPSM_NS1_7vsmem_tEENKUlT_SK_SL_SM_E_clIPbSD_PiSF_EESJ_SZ_SK_SL_SM_EUlSZ_E_NS1_11comp_targetILNS1_3genE4ELNS1_11target_archE910ELNS1_3gpuE8ELNS1_3repE0EEENS1_48merge_mergepath_partition_config_static_selectorELNS0_4arch9wavefront6targetE1EEEvSL_.uses_flat_scratch, 0
	.set _ZN7rocprim17ROCPRIM_400000_NS6detail17trampoline_kernelINS0_14default_configENS1_38merge_sort_block_merge_config_selectorIbiEEZZNS1_27merge_sort_block_merge_implIS3_N6thrust23THRUST_200600_302600_NS6detail15normal_iteratorINS8_10device_ptrIbEEEENSA_INSB_IiEEEEjNS1_19radix_merge_compareILb0ELb1EbNS0_19identity_decomposerEEEEE10hipError_tT0_T1_T2_jT3_P12ihipStream_tbPNSt15iterator_traitsISK_E10value_typeEPNSQ_ISL_E10value_typeEPSM_NS1_7vsmem_tEENKUlT_SK_SL_SM_E_clIPbSD_PiSF_EESJ_SZ_SK_SL_SM_EUlSZ_E_NS1_11comp_targetILNS1_3genE4ELNS1_11target_archE910ELNS1_3gpuE8ELNS1_3repE0EEENS1_48merge_mergepath_partition_config_static_selectorELNS0_4arch9wavefront6targetE1EEEvSL_.has_dyn_sized_stack, 0
	.set _ZN7rocprim17ROCPRIM_400000_NS6detail17trampoline_kernelINS0_14default_configENS1_38merge_sort_block_merge_config_selectorIbiEEZZNS1_27merge_sort_block_merge_implIS3_N6thrust23THRUST_200600_302600_NS6detail15normal_iteratorINS8_10device_ptrIbEEEENSA_INSB_IiEEEEjNS1_19radix_merge_compareILb0ELb1EbNS0_19identity_decomposerEEEEE10hipError_tT0_T1_T2_jT3_P12ihipStream_tbPNSt15iterator_traitsISK_E10value_typeEPNSQ_ISL_E10value_typeEPSM_NS1_7vsmem_tEENKUlT_SK_SL_SM_E_clIPbSD_PiSF_EESJ_SZ_SK_SL_SM_EUlSZ_E_NS1_11comp_targetILNS1_3genE4ELNS1_11target_archE910ELNS1_3gpuE8ELNS1_3repE0EEENS1_48merge_mergepath_partition_config_static_selectorELNS0_4arch9wavefront6targetE1EEEvSL_.has_recursion, 0
	.set _ZN7rocprim17ROCPRIM_400000_NS6detail17trampoline_kernelINS0_14default_configENS1_38merge_sort_block_merge_config_selectorIbiEEZZNS1_27merge_sort_block_merge_implIS3_N6thrust23THRUST_200600_302600_NS6detail15normal_iteratorINS8_10device_ptrIbEEEENSA_INSB_IiEEEEjNS1_19radix_merge_compareILb0ELb1EbNS0_19identity_decomposerEEEEE10hipError_tT0_T1_T2_jT3_P12ihipStream_tbPNSt15iterator_traitsISK_E10value_typeEPNSQ_ISL_E10value_typeEPSM_NS1_7vsmem_tEENKUlT_SK_SL_SM_E_clIPbSD_PiSF_EESJ_SZ_SK_SL_SM_EUlSZ_E_NS1_11comp_targetILNS1_3genE4ELNS1_11target_archE910ELNS1_3gpuE8ELNS1_3repE0EEENS1_48merge_mergepath_partition_config_static_selectorELNS0_4arch9wavefront6targetE1EEEvSL_.has_indirect_call, 0
	.section	.AMDGPU.csdata,"",@progbits
; Kernel info:
; codeLenInByte = 0
; TotalNumSgprs: 6
; NumVgprs: 0
; NumAgprs: 0
; TotalNumVgprs: 0
; ScratchSize: 0
; MemoryBound: 0
; FloatMode: 240
; IeeeMode: 1
; LDSByteSize: 0 bytes/workgroup (compile time only)
; SGPRBlocks: 0
; VGPRBlocks: 0
; NumSGPRsForWavesPerEU: 6
; NumVGPRsForWavesPerEU: 1
; AccumOffset: 4
; Occupancy: 8
; WaveLimiterHint : 0
; COMPUTE_PGM_RSRC2:SCRATCH_EN: 0
; COMPUTE_PGM_RSRC2:USER_SGPR: 2
; COMPUTE_PGM_RSRC2:TRAP_HANDLER: 0
; COMPUTE_PGM_RSRC2:TGID_X_EN: 1
; COMPUTE_PGM_RSRC2:TGID_Y_EN: 0
; COMPUTE_PGM_RSRC2:TGID_Z_EN: 0
; COMPUTE_PGM_RSRC2:TIDIG_COMP_CNT: 0
; COMPUTE_PGM_RSRC3_GFX90A:ACCUM_OFFSET: 0
; COMPUTE_PGM_RSRC3_GFX90A:TG_SPLIT: 0
	.section	.text._ZN7rocprim17ROCPRIM_400000_NS6detail17trampoline_kernelINS0_14default_configENS1_38merge_sort_block_merge_config_selectorIbiEEZZNS1_27merge_sort_block_merge_implIS3_N6thrust23THRUST_200600_302600_NS6detail15normal_iteratorINS8_10device_ptrIbEEEENSA_INSB_IiEEEEjNS1_19radix_merge_compareILb0ELb1EbNS0_19identity_decomposerEEEEE10hipError_tT0_T1_T2_jT3_P12ihipStream_tbPNSt15iterator_traitsISK_E10value_typeEPNSQ_ISL_E10value_typeEPSM_NS1_7vsmem_tEENKUlT_SK_SL_SM_E_clIPbSD_PiSF_EESJ_SZ_SK_SL_SM_EUlSZ_E_NS1_11comp_targetILNS1_3genE3ELNS1_11target_archE908ELNS1_3gpuE7ELNS1_3repE0EEENS1_48merge_mergepath_partition_config_static_selectorELNS0_4arch9wavefront6targetE1EEEvSL_,"axG",@progbits,_ZN7rocprim17ROCPRIM_400000_NS6detail17trampoline_kernelINS0_14default_configENS1_38merge_sort_block_merge_config_selectorIbiEEZZNS1_27merge_sort_block_merge_implIS3_N6thrust23THRUST_200600_302600_NS6detail15normal_iteratorINS8_10device_ptrIbEEEENSA_INSB_IiEEEEjNS1_19radix_merge_compareILb0ELb1EbNS0_19identity_decomposerEEEEE10hipError_tT0_T1_T2_jT3_P12ihipStream_tbPNSt15iterator_traitsISK_E10value_typeEPNSQ_ISL_E10value_typeEPSM_NS1_7vsmem_tEENKUlT_SK_SL_SM_E_clIPbSD_PiSF_EESJ_SZ_SK_SL_SM_EUlSZ_E_NS1_11comp_targetILNS1_3genE3ELNS1_11target_archE908ELNS1_3gpuE7ELNS1_3repE0EEENS1_48merge_mergepath_partition_config_static_selectorELNS0_4arch9wavefront6targetE1EEEvSL_,comdat
	.protected	_ZN7rocprim17ROCPRIM_400000_NS6detail17trampoline_kernelINS0_14default_configENS1_38merge_sort_block_merge_config_selectorIbiEEZZNS1_27merge_sort_block_merge_implIS3_N6thrust23THRUST_200600_302600_NS6detail15normal_iteratorINS8_10device_ptrIbEEEENSA_INSB_IiEEEEjNS1_19radix_merge_compareILb0ELb1EbNS0_19identity_decomposerEEEEE10hipError_tT0_T1_T2_jT3_P12ihipStream_tbPNSt15iterator_traitsISK_E10value_typeEPNSQ_ISL_E10value_typeEPSM_NS1_7vsmem_tEENKUlT_SK_SL_SM_E_clIPbSD_PiSF_EESJ_SZ_SK_SL_SM_EUlSZ_E_NS1_11comp_targetILNS1_3genE3ELNS1_11target_archE908ELNS1_3gpuE7ELNS1_3repE0EEENS1_48merge_mergepath_partition_config_static_selectorELNS0_4arch9wavefront6targetE1EEEvSL_ ; -- Begin function _ZN7rocprim17ROCPRIM_400000_NS6detail17trampoline_kernelINS0_14default_configENS1_38merge_sort_block_merge_config_selectorIbiEEZZNS1_27merge_sort_block_merge_implIS3_N6thrust23THRUST_200600_302600_NS6detail15normal_iteratorINS8_10device_ptrIbEEEENSA_INSB_IiEEEEjNS1_19radix_merge_compareILb0ELb1EbNS0_19identity_decomposerEEEEE10hipError_tT0_T1_T2_jT3_P12ihipStream_tbPNSt15iterator_traitsISK_E10value_typeEPNSQ_ISL_E10value_typeEPSM_NS1_7vsmem_tEENKUlT_SK_SL_SM_E_clIPbSD_PiSF_EESJ_SZ_SK_SL_SM_EUlSZ_E_NS1_11comp_targetILNS1_3genE3ELNS1_11target_archE908ELNS1_3gpuE7ELNS1_3repE0EEENS1_48merge_mergepath_partition_config_static_selectorELNS0_4arch9wavefront6targetE1EEEvSL_
	.globl	_ZN7rocprim17ROCPRIM_400000_NS6detail17trampoline_kernelINS0_14default_configENS1_38merge_sort_block_merge_config_selectorIbiEEZZNS1_27merge_sort_block_merge_implIS3_N6thrust23THRUST_200600_302600_NS6detail15normal_iteratorINS8_10device_ptrIbEEEENSA_INSB_IiEEEEjNS1_19radix_merge_compareILb0ELb1EbNS0_19identity_decomposerEEEEE10hipError_tT0_T1_T2_jT3_P12ihipStream_tbPNSt15iterator_traitsISK_E10value_typeEPNSQ_ISL_E10value_typeEPSM_NS1_7vsmem_tEENKUlT_SK_SL_SM_E_clIPbSD_PiSF_EESJ_SZ_SK_SL_SM_EUlSZ_E_NS1_11comp_targetILNS1_3genE3ELNS1_11target_archE908ELNS1_3gpuE7ELNS1_3repE0EEENS1_48merge_mergepath_partition_config_static_selectorELNS0_4arch9wavefront6targetE1EEEvSL_
	.p2align	8
	.type	_ZN7rocprim17ROCPRIM_400000_NS6detail17trampoline_kernelINS0_14default_configENS1_38merge_sort_block_merge_config_selectorIbiEEZZNS1_27merge_sort_block_merge_implIS3_N6thrust23THRUST_200600_302600_NS6detail15normal_iteratorINS8_10device_ptrIbEEEENSA_INSB_IiEEEEjNS1_19radix_merge_compareILb0ELb1EbNS0_19identity_decomposerEEEEE10hipError_tT0_T1_T2_jT3_P12ihipStream_tbPNSt15iterator_traitsISK_E10value_typeEPNSQ_ISL_E10value_typeEPSM_NS1_7vsmem_tEENKUlT_SK_SL_SM_E_clIPbSD_PiSF_EESJ_SZ_SK_SL_SM_EUlSZ_E_NS1_11comp_targetILNS1_3genE3ELNS1_11target_archE908ELNS1_3gpuE7ELNS1_3repE0EEENS1_48merge_mergepath_partition_config_static_selectorELNS0_4arch9wavefront6targetE1EEEvSL_,@function
_ZN7rocprim17ROCPRIM_400000_NS6detail17trampoline_kernelINS0_14default_configENS1_38merge_sort_block_merge_config_selectorIbiEEZZNS1_27merge_sort_block_merge_implIS3_N6thrust23THRUST_200600_302600_NS6detail15normal_iteratorINS8_10device_ptrIbEEEENSA_INSB_IiEEEEjNS1_19radix_merge_compareILb0ELb1EbNS0_19identity_decomposerEEEEE10hipError_tT0_T1_T2_jT3_P12ihipStream_tbPNSt15iterator_traitsISK_E10value_typeEPNSQ_ISL_E10value_typeEPSM_NS1_7vsmem_tEENKUlT_SK_SL_SM_E_clIPbSD_PiSF_EESJ_SZ_SK_SL_SM_EUlSZ_E_NS1_11comp_targetILNS1_3genE3ELNS1_11target_archE908ELNS1_3gpuE7ELNS1_3repE0EEENS1_48merge_mergepath_partition_config_static_selectorELNS0_4arch9wavefront6targetE1EEEvSL_: ; @_ZN7rocprim17ROCPRIM_400000_NS6detail17trampoline_kernelINS0_14default_configENS1_38merge_sort_block_merge_config_selectorIbiEEZZNS1_27merge_sort_block_merge_implIS3_N6thrust23THRUST_200600_302600_NS6detail15normal_iteratorINS8_10device_ptrIbEEEENSA_INSB_IiEEEEjNS1_19radix_merge_compareILb0ELb1EbNS0_19identity_decomposerEEEEE10hipError_tT0_T1_T2_jT3_P12ihipStream_tbPNSt15iterator_traitsISK_E10value_typeEPNSQ_ISL_E10value_typeEPSM_NS1_7vsmem_tEENKUlT_SK_SL_SM_E_clIPbSD_PiSF_EESJ_SZ_SK_SL_SM_EUlSZ_E_NS1_11comp_targetILNS1_3genE3ELNS1_11target_archE908ELNS1_3gpuE7ELNS1_3repE0EEENS1_48merge_mergepath_partition_config_static_selectorELNS0_4arch9wavefront6targetE1EEEvSL_
; %bb.0:
	.section	.rodata,"a",@progbits
	.p2align	6, 0x0
	.amdhsa_kernel _ZN7rocprim17ROCPRIM_400000_NS6detail17trampoline_kernelINS0_14default_configENS1_38merge_sort_block_merge_config_selectorIbiEEZZNS1_27merge_sort_block_merge_implIS3_N6thrust23THRUST_200600_302600_NS6detail15normal_iteratorINS8_10device_ptrIbEEEENSA_INSB_IiEEEEjNS1_19radix_merge_compareILb0ELb1EbNS0_19identity_decomposerEEEEE10hipError_tT0_T1_T2_jT3_P12ihipStream_tbPNSt15iterator_traitsISK_E10value_typeEPNSQ_ISL_E10value_typeEPSM_NS1_7vsmem_tEENKUlT_SK_SL_SM_E_clIPbSD_PiSF_EESJ_SZ_SK_SL_SM_EUlSZ_E_NS1_11comp_targetILNS1_3genE3ELNS1_11target_archE908ELNS1_3gpuE7ELNS1_3repE0EEENS1_48merge_mergepath_partition_config_static_selectorELNS0_4arch9wavefront6targetE1EEEvSL_
		.amdhsa_group_segment_fixed_size 0
		.amdhsa_private_segment_fixed_size 0
		.amdhsa_kernarg_size 40
		.amdhsa_user_sgpr_count 2
		.amdhsa_user_sgpr_dispatch_ptr 0
		.amdhsa_user_sgpr_queue_ptr 0
		.amdhsa_user_sgpr_kernarg_segment_ptr 1
		.amdhsa_user_sgpr_dispatch_id 0
		.amdhsa_user_sgpr_kernarg_preload_length 0
		.amdhsa_user_sgpr_kernarg_preload_offset 0
		.amdhsa_user_sgpr_private_segment_size 0
		.amdhsa_uses_dynamic_stack 0
		.amdhsa_enable_private_segment 0
		.amdhsa_system_sgpr_workgroup_id_x 1
		.amdhsa_system_sgpr_workgroup_id_y 0
		.amdhsa_system_sgpr_workgroup_id_z 0
		.amdhsa_system_sgpr_workgroup_info 0
		.amdhsa_system_vgpr_workitem_id 0
		.amdhsa_next_free_vgpr 1
		.amdhsa_next_free_sgpr 0
		.amdhsa_accum_offset 4
		.amdhsa_reserve_vcc 0
		.amdhsa_float_round_mode_32 0
		.amdhsa_float_round_mode_16_64 0
		.amdhsa_float_denorm_mode_32 3
		.amdhsa_float_denorm_mode_16_64 3
		.amdhsa_dx10_clamp 1
		.amdhsa_ieee_mode 1
		.amdhsa_fp16_overflow 0
		.amdhsa_tg_split 0
		.amdhsa_exception_fp_ieee_invalid_op 0
		.amdhsa_exception_fp_denorm_src 0
		.amdhsa_exception_fp_ieee_div_zero 0
		.amdhsa_exception_fp_ieee_overflow 0
		.amdhsa_exception_fp_ieee_underflow 0
		.amdhsa_exception_fp_ieee_inexact 0
		.amdhsa_exception_int_div_zero 0
	.end_amdhsa_kernel
	.section	.text._ZN7rocprim17ROCPRIM_400000_NS6detail17trampoline_kernelINS0_14default_configENS1_38merge_sort_block_merge_config_selectorIbiEEZZNS1_27merge_sort_block_merge_implIS3_N6thrust23THRUST_200600_302600_NS6detail15normal_iteratorINS8_10device_ptrIbEEEENSA_INSB_IiEEEEjNS1_19radix_merge_compareILb0ELb1EbNS0_19identity_decomposerEEEEE10hipError_tT0_T1_T2_jT3_P12ihipStream_tbPNSt15iterator_traitsISK_E10value_typeEPNSQ_ISL_E10value_typeEPSM_NS1_7vsmem_tEENKUlT_SK_SL_SM_E_clIPbSD_PiSF_EESJ_SZ_SK_SL_SM_EUlSZ_E_NS1_11comp_targetILNS1_3genE3ELNS1_11target_archE908ELNS1_3gpuE7ELNS1_3repE0EEENS1_48merge_mergepath_partition_config_static_selectorELNS0_4arch9wavefront6targetE1EEEvSL_,"axG",@progbits,_ZN7rocprim17ROCPRIM_400000_NS6detail17trampoline_kernelINS0_14default_configENS1_38merge_sort_block_merge_config_selectorIbiEEZZNS1_27merge_sort_block_merge_implIS3_N6thrust23THRUST_200600_302600_NS6detail15normal_iteratorINS8_10device_ptrIbEEEENSA_INSB_IiEEEEjNS1_19radix_merge_compareILb0ELb1EbNS0_19identity_decomposerEEEEE10hipError_tT0_T1_T2_jT3_P12ihipStream_tbPNSt15iterator_traitsISK_E10value_typeEPNSQ_ISL_E10value_typeEPSM_NS1_7vsmem_tEENKUlT_SK_SL_SM_E_clIPbSD_PiSF_EESJ_SZ_SK_SL_SM_EUlSZ_E_NS1_11comp_targetILNS1_3genE3ELNS1_11target_archE908ELNS1_3gpuE7ELNS1_3repE0EEENS1_48merge_mergepath_partition_config_static_selectorELNS0_4arch9wavefront6targetE1EEEvSL_,comdat
.Lfunc_end1970:
	.size	_ZN7rocprim17ROCPRIM_400000_NS6detail17trampoline_kernelINS0_14default_configENS1_38merge_sort_block_merge_config_selectorIbiEEZZNS1_27merge_sort_block_merge_implIS3_N6thrust23THRUST_200600_302600_NS6detail15normal_iteratorINS8_10device_ptrIbEEEENSA_INSB_IiEEEEjNS1_19radix_merge_compareILb0ELb1EbNS0_19identity_decomposerEEEEE10hipError_tT0_T1_T2_jT3_P12ihipStream_tbPNSt15iterator_traitsISK_E10value_typeEPNSQ_ISL_E10value_typeEPSM_NS1_7vsmem_tEENKUlT_SK_SL_SM_E_clIPbSD_PiSF_EESJ_SZ_SK_SL_SM_EUlSZ_E_NS1_11comp_targetILNS1_3genE3ELNS1_11target_archE908ELNS1_3gpuE7ELNS1_3repE0EEENS1_48merge_mergepath_partition_config_static_selectorELNS0_4arch9wavefront6targetE1EEEvSL_, .Lfunc_end1970-_ZN7rocprim17ROCPRIM_400000_NS6detail17trampoline_kernelINS0_14default_configENS1_38merge_sort_block_merge_config_selectorIbiEEZZNS1_27merge_sort_block_merge_implIS3_N6thrust23THRUST_200600_302600_NS6detail15normal_iteratorINS8_10device_ptrIbEEEENSA_INSB_IiEEEEjNS1_19radix_merge_compareILb0ELb1EbNS0_19identity_decomposerEEEEE10hipError_tT0_T1_T2_jT3_P12ihipStream_tbPNSt15iterator_traitsISK_E10value_typeEPNSQ_ISL_E10value_typeEPSM_NS1_7vsmem_tEENKUlT_SK_SL_SM_E_clIPbSD_PiSF_EESJ_SZ_SK_SL_SM_EUlSZ_E_NS1_11comp_targetILNS1_3genE3ELNS1_11target_archE908ELNS1_3gpuE7ELNS1_3repE0EEENS1_48merge_mergepath_partition_config_static_selectorELNS0_4arch9wavefront6targetE1EEEvSL_
                                        ; -- End function
	.set _ZN7rocprim17ROCPRIM_400000_NS6detail17trampoline_kernelINS0_14default_configENS1_38merge_sort_block_merge_config_selectorIbiEEZZNS1_27merge_sort_block_merge_implIS3_N6thrust23THRUST_200600_302600_NS6detail15normal_iteratorINS8_10device_ptrIbEEEENSA_INSB_IiEEEEjNS1_19radix_merge_compareILb0ELb1EbNS0_19identity_decomposerEEEEE10hipError_tT0_T1_T2_jT3_P12ihipStream_tbPNSt15iterator_traitsISK_E10value_typeEPNSQ_ISL_E10value_typeEPSM_NS1_7vsmem_tEENKUlT_SK_SL_SM_E_clIPbSD_PiSF_EESJ_SZ_SK_SL_SM_EUlSZ_E_NS1_11comp_targetILNS1_3genE3ELNS1_11target_archE908ELNS1_3gpuE7ELNS1_3repE0EEENS1_48merge_mergepath_partition_config_static_selectorELNS0_4arch9wavefront6targetE1EEEvSL_.num_vgpr, 0
	.set _ZN7rocprim17ROCPRIM_400000_NS6detail17trampoline_kernelINS0_14default_configENS1_38merge_sort_block_merge_config_selectorIbiEEZZNS1_27merge_sort_block_merge_implIS3_N6thrust23THRUST_200600_302600_NS6detail15normal_iteratorINS8_10device_ptrIbEEEENSA_INSB_IiEEEEjNS1_19radix_merge_compareILb0ELb1EbNS0_19identity_decomposerEEEEE10hipError_tT0_T1_T2_jT3_P12ihipStream_tbPNSt15iterator_traitsISK_E10value_typeEPNSQ_ISL_E10value_typeEPSM_NS1_7vsmem_tEENKUlT_SK_SL_SM_E_clIPbSD_PiSF_EESJ_SZ_SK_SL_SM_EUlSZ_E_NS1_11comp_targetILNS1_3genE3ELNS1_11target_archE908ELNS1_3gpuE7ELNS1_3repE0EEENS1_48merge_mergepath_partition_config_static_selectorELNS0_4arch9wavefront6targetE1EEEvSL_.num_agpr, 0
	.set _ZN7rocprim17ROCPRIM_400000_NS6detail17trampoline_kernelINS0_14default_configENS1_38merge_sort_block_merge_config_selectorIbiEEZZNS1_27merge_sort_block_merge_implIS3_N6thrust23THRUST_200600_302600_NS6detail15normal_iteratorINS8_10device_ptrIbEEEENSA_INSB_IiEEEEjNS1_19radix_merge_compareILb0ELb1EbNS0_19identity_decomposerEEEEE10hipError_tT0_T1_T2_jT3_P12ihipStream_tbPNSt15iterator_traitsISK_E10value_typeEPNSQ_ISL_E10value_typeEPSM_NS1_7vsmem_tEENKUlT_SK_SL_SM_E_clIPbSD_PiSF_EESJ_SZ_SK_SL_SM_EUlSZ_E_NS1_11comp_targetILNS1_3genE3ELNS1_11target_archE908ELNS1_3gpuE7ELNS1_3repE0EEENS1_48merge_mergepath_partition_config_static_selectorELNS0_4arch9wavefront6targetE1EEEvSL_.numbered_sgpr, 0
	.set _ZN7rocprim17ROCPRIM_400000_NS6detail17trampoline_kernelINS0_14default_configENS1_38merge_sort_block_merge_config_selectorIbiEEZZNS1_27merge_sort_block_merge_implIS3_N6thrust23THRUST_200600_302600_NS6detail15normal_iteratorINS8_10device_ptrIbEEEENSA_INSB_IiEEEEjNS1_19radix_merge_compareILb0ELb1EbNS0_19identity_decomposerEEEEE10hipError_tT0_T1_T2_jT3_P12ihipStream_tbPNSt15iterator_traitsISK_E10value_typeEPNSQ_ISL_E10value_typeEPSM_NS1_7vsmem_tEENKUlT_SK_SL_SM_E_clIPbSD_PiSF_EESJ_SZ_SK_SL_SM_EUlSZ_E_NS1_11comp_targetILNS1_3genE3ELNS1_11target_archE908ELNS1_3gpuE7ELNS1_3repE0EEENS1_48merge_mergepath_partition_config_static_selectorELNS0_4arch9wavefront6targetE1EEEvSL_.num_named_barrier, 0
	.set _ZN7rocprim17ROCPRIM_400000_NS6detail17trampoline_kernelINS0_14default_configENS1_38merge_sort_block_merge_config_selectorIbiEEZZNS1_27merge_sort_block_merge_implIS3_N6thrust23THRUST_200600_302600_NS6detail15normal_iteratorINS8_10device_ptrIbEEEENSA_INSB_IiEEEEjNS1_19radix_merge_compareILb0ELb1EbNS0_19identity_decomposerEEEEE10hipError_tT0_T1_T2_jT3_P12ihipStream_tbPNSt15iterator_traitsISK_E10value_typeEPNSQ_ISL_E10value_typeEPSM_NS1_7vsmem_tEENKUlT_SK_SL_SM_E_clIPbSD_PiSF_EESJ_SZ_SK_SL_SM_EUlSZ_E_NS1_11comp_targetILNS1_3genE3ELNS1_11target_archE908ELNS1_3gpuE7ELNS1_3repE0EEENS1_48merge_mergepath_partition_config_static_selectorELNS0_4arch9wavefront6targetE1EEEvSL_.private_seg_size, 0
	.set _ZN7rocprim17ROCPRIM_400000_NS6detail17trampoline_kernelINS0_14default_configENS1_38merge_sort_block_merge_config_selectorIbiEEZZNS1_27merge_sort_block_merge_implIS3_N6thrust23THRUST_200600_302600_NS6detail15normal_iteratorINS8_10device_ptrIbEEEENSA_INSB_IiEEEEjNS1_19radix_merge_compareILb0ELb1EbNS0_19identity_decomposerEEEEE10hipError_tT0_T1_T2_jT3_P12ihipStream_tbPNSt15iterator_traitsISK_E10value_typeEPNSQ_ISL_E10value_typeEPSM_NS1_7vsmem_tEENKUlT_SK_SL_SM_E_clIPbSD_PiSF_EESJ_SZ_SK_SL_SM_EUlSZ_E_NS1_11comp_targetILNS1_3genE3ELNS1_11target_archE908ELNS1_3gpuE7ELNS1_3repE0EEENS1_48merge_mergepath_partition_config_static_selectorELNS0_4arch9wavefront6targetE1EEEvSL_.uses_vcc, 0
	.set _ZN7rocprim17ROCPRIM_400000_NS6detail17trampoline_kernelINS0_14default_configENS1_38merge_sort_block_merge_config_selectorIbiEEZZNS1_27merge_sort_block_merge_implIS3_N6thrust23THRUST_200600_302600_NS6detail15normal_iteratorINS8_10device_ptrIbEEEENSA_INSB_IiEEEEjNS1_19radix_merge_compareILb0ELb1EbNS0_19identity_decomposerEEEEE10hipError_tT0_T1_T2_jT3_P12ihipStream_tbPNSt15iterator_traitsISK_E10value_typeEPNSQ_ISL_E10value_typeEPSM_NS1_7vsmem_tEENKUlT_SK_SL_SM_E_clIPbSD_PiSF_EESJ_SZ_SK_SL_SM_EUlSZ_E_NS1_11comp_targetILNS1_3genE3ELNS1_11target_archE908ELNS1_3gpuE7ELNS1_3repE0EEENS1_48merge_mergepath_partition_config_static_selectorELNS0_4arch9wavefront6targetE1EEEvSL_.uses_flat_scratch, 0
	.set _ZN7rocprim17ROCPRIM_400000_NS6detail17trampoline_kernelINS0_14default_configENS1_38merge_sort_block_merge_config_selectorIbiEEZZNS1_27merge_sort_block_merge_implIS3_N6thrust23THRUST_200600_302600_NS6detail15normal_iteratorINS8_10device_ptrIbEEEENSA_INSB_IiEEEEjNS1_19radix_merge_compareILb0ELb1EbNS0_19identity_decomposerEEEEE10hipError_tT0_T1_T2_jT3_P12ihipStream_tbPNSt15iterator_traitsISK_E10value_typeEPNSQ_ISL_E10value_typeEPSM_NS1_7vsmem_tEENKUlT_SK_SL_SM_E_clIPbSD_PiSF_EESJ_SZ_SK_SL_SM_EUlSZ_E_NS1_11comp_targetILNS1_3genE3ELNS1_11target_archE908ELNS1_3gpuE7ELNS1_3repE0EEENS1_48merge_mergepath_partition_config_static_selectorELNS0_4arch9wavefront6targetE1EEEvSL_.has_dyn_sized_stack, 0
	.set _ZN7rocprim17ROCPRIM_400000_NS6detail17trampoline_kernelINS0_14default_configENS1_38merge_sort_block_merge_config_selectorIbiEEZZNS1_27merge_sort_block_merge_implIS3_N6thrust23THRUST_200600_302600_NS6detail15normal_iteratorINS8_10device_ptrIbEEEENSA_INSB_IiEEEEjNS1_19radix_merge_compareILb0ELb1EbNS0_19identity_decomposerEEEEE10hipError_tT0_T1_T2_jT3_P12ihipStream_tbPNSt15iterator_traitsISK_E10value_typeEPNSQ_ISL_E10value_typeEPSM_NS1_7vsmem_tEENKUlT_SK_SL_SM_E_clIPbSD_PiSF_EESJ_SZ_SK_SL_SM_EUlSZ_E_NS1_11comp_targetILNS1_3genE3ELNS1_11target_archE908ELNS1_3gpuE7ELNS1_3repE0EEENS1_48merge_mergepath_partition_config_static_selectorELNS0_4arch9wavefront6targetE1EEEvSL_.has_recursion, 0
	.set _ZN7rocprim17ROCPRIM_400000_NS6detail17trampoline_kernelINS0_14default_configENS1_38merge_sort_block_merge_config_selectorIbiEEZZNS1_27merge_sort_block_merge_implIS3_N6thrust23THRUST_200600_302600_NS6detail15normal_iteratorINS8_10device_ptrIbEEEENSA_INSB_IiEEEEjNS1_19radix_merge_compareILb0ELb1EbNS0_19identity_decomposerEEEEE10hipError_tT0_T1_T2_jT3_P12ihipStream_tbPNSt15iterator_traitsISK_E10value_typeEPNSQ_ISL_E10value_typeEPSM_NS1_7vsmem_tEENKUlT_SK_SL_SM_E_clIPbSD_PiSF_EESJ_SZ_SK_SL_SM_EUlSZ_E_NS1_11comp_targetILNS1_3genE3ELNS1_11target_archE908ELNS1_3gpuE7ELNS1_3repE0EEENS1_48merge_mergepath_partition_config_static_selectorELNS0_4arch9wavefront6targetE1EEEvSL_.has_indirect_call, 0
	.section	.AMDGPU.csdata,"",@progbits
; Kernel info:
; codeLenInByte = 0
; TotalNumSgprs: 6
; NumVgprs: 0
; NumAgprs: 0
; TotalNumVgprs: 0
; ScratchSize: 0
; MemoryBound: 0
; FloatMode: 240
; IeeeMode: 1
; LDSByteSize: 0 bytes/workgroup (compile time only)
; SGPRBlocks: 0
; VGPRBlocks: 0
; NumSGPRsForWavesPerEU: 6
; NumVGPRsForWavesPerEU: 1
; AccumOffset: 4
; Occupancy: 8
; WaveLimiterHint : 0
; COMPUTE_PGM_RSRC2:SCRATCH_EN: 0
; COMPUTE_PGM_RSRC2:USER_SGPR: 2
; COMPUTE_PGM_RSRC2:TRAP_HANDLER: 0
; COMPUTE_PGM_RSRC2:TGID_X_EN: 1
; COMPUTE_PGM_RSRC2:TGID_Y_EN: 0
; COMPUTE_PGM_RSRC2:TGID_Z_EN: 0
; COMPUTE_PGM_RSRC2:TIDIG_COMP_CNT: 0
; COMPUTE_PGM_RSRC3_GFX90A:ACCUM_OFFSET: 0
; COMPUTE_PGM_RSRC3_GFX90A:TG_SPLIT: 0
	.section	.text._ZN7rocprim17ROCPRIM_400000_NS6detail17trampoline_kernelINS0_14default_configENS1_38merge_sort_block_merge_config_selectorIbiEEZZNS1_27merge_sort_block_merge_implIS3_N6thrust23THRUST_200600_302600_NS6detail15normal_iteratorINS8_10device_ptrIbEEEENSA_INSB_IiEEEEjNS1_19radix_merge_compareILb0ELb1EbNS0_19identity_decomposerEEEEE10hipError_tT0_T1_T2_jT3_P12ihipStream_tbPNSt15iterator_traitsISK_E10value_typeEPNSQ_ISL_E10value_typeEPSM_NS1_7vsmem_tEENKUlT_SK_SL_SM_E_clIPbSD_PiSF_EESJ_SZ_SK_SL_SM_EUlSZ_E_NS1_11comp_targetILNS1_3genE2ELNS1_11target_archE906ELNS1_3gpuE6ELNS1_3repE0EEENS1_48merge_mergepath_partition_config_static_selectorELNS0_4arch9wavefront6targetE1EEEvSL_,"axG",@progbits,_ZN7rocprim17ROCPRIM_400000_NS6detail17trampoline_kernelINS0_14default_configENS1_38merge_sort_block_merge_config_selectorIbiEEZZNS1_27merge_sort_block_merge_implIS3_N6thrust23THRUST_200600_302600_NS6detail15normal_iteratorINS8_10device_ptrIbEEEENSA_INSB_IiEEEEjNS1_19radix_merge_compareILb0ELb1EbNS0_19identity_decomposerEEEEE10hipError_tT0_T1_T2_jT3_P12ihipStream_tbPNSt15iterator_traitsISK_E10value_typeEPNSQ_ISL_E10value_typeEPSM_NS1_7vsmem_tEENKUlT_SK_SL_SM_E_clIPbSD_PiSF_EESJ_SZ_SK_SL_SM_EUlSZ_E_NS1_11comp_targetILNS1_3genE2ELNS1_11target_archE906ELNS1_3gpuE6ELNS1_3repE0EEENS1_48merge_mergepath_partition_config_static_selectorELNS0_4arch9wavefront6targetE1EEEvSL_,comdat
	.protected	_ZN7rocprim17ROCPRIM_400000_NS6detail17trampoline_kernelINS0_14default_configENS1_38merge_sort_block_merge_config_selectorIbiEEZZNS1_27merge_sort_block_merge_implIS3_N6thrust23THRUST_200600_302600_NS6detail15normal_iteratorINS8_10device_ptrIbEEEENSA_INSB_IiEEEEjNS1_19radix_merge_compareILb0ELb1EbNS0_19identity_decomposerEEEEE10hipError_tT0_T1_T2_jT3_P12ihipStream_tbPNSt15iterator_traitsISK_E10value_typeEPNSQ_ISL_E10value_typeEPSM_NS1_7vsmem_tEENKUlT_SK_SL_SM_E_clIPbSD_PiSF_EESJ_SZ_SK_SL_SM_EUlSZ_E_NS1_11comp_targetILNS1_3genE2ELNS1_11target_archE906ELNS1_3gpuE6ELNS1_3repE0EEENS1_48merge_mergepath_partition_config_static_selectorELNS0_4arch9wavefront6targetE1EEEvSL_ ; -- Begin function _ZN7rocprim17ROCPRIM_400000_NS6detail17trampoline_kernelINS0_14default_configENS1_38merge_sort_block_merge_config_selectorIbiEEZZNS1_27merge_sort_block_merge_implIS3_N6thrust23THRUST_200600_302600_NS6detail15normal_iteratorINS8_10device_ptrIbEEEENSA_INSB_IiEEEEjNS1_19radix_merge_compareILb0ELb1EbNS0_19identity_decomposerEEEEE10hipError_tT0_T1_T2_jT3_P12ihipStream_tbPNSt15iterator_traitsISK_E10value_typeEPNSQ_ISL_E10value_typeEPSM_NS1_7vsmem_tEENKUlT_SK_SL_SM_E_clIPbSD_PiSF_EESJ_SZ_SK_SL_SM_EUlSZ_E_NS1_11comp_targetILNS1_3genE2ELNS1_11target_archE906ELNS1_3gpuE6ELNS1_3repE0EEENS1_48merge_mergepath_partition_config_static_selectorELNS0_4arch9wavefront6targetE1EEEvSL_
	.globl	_ZN7rocprim17ROCPRIM_400000_NS6detail17trampoline_kernelINS0_14default_configENS1_38merge_sort_block_merge_config_selectorIbiEEZZNS1_27merge_sort_block_merge_implIS3_N6thrust23THRUST_200600_302600_NS6detail15normal_iteratorINS8_10device_ptrIbEEEENSA_INSB_IiEEEEjNS1_19radix_merge_compareILb0ELb1EbNS0_19identity_decomposerEEEEE10hipError_tT0_T1_T2_jT3_P12ihipStream_tbPNSt15iterator_traitsISK_E10value_typeEPNSQ_ISL_E10value_typeEPSM_NS1_7vsmem_tEENKUlT_SK_SL_SM_E_clIPbSD_PiSF_EESJ_SZ_SK_SL_SM_EUlSZ_E_NS1_11comp_targetILNS1_3genE2ELNS1_11target_archE906ELNS1_3gpuE6ELNS1_3repE0EEENS1_48merge_mergepath_partition_config_static_selectorELNS0_4arch9wavefront6targetE1EEEvSL_
	.p2align	8
	.type	_ZN7rocprim17ROCPRIM_400000_NS6detail17trampoline_kernelINS0_14default_configENS1_38merge_sort_block_merge_config_selectorIbiEEZZNS1_27merge_sort_block_merge_implIS3_N6thrust23THRUST_200600_302600_NS6detail15normal_iteratorINS8_10device_ptrIbEEEENSA_INSB_IiEEEEjNS1_19radix_merge_compareILb0ELb1EbNS0_19identity_decomposerEEEEE10hipError_tT0_T1_T2_jT3_P12ihipStream_tbPNSt15iterator_traitsISK_E10value_typeEPNSQ_ISL_E10value_typeEPSM_NS1_7vsmem_tEENKUlT_SK_SL_SM_E_clIPbSD_PiSF_EESJ_SZ_SK_SL_SM_EUlSZ_E_NS1_11comp_targetILNS1_3genE2ELNS1_11target_archE906ELNS1_3gpuE6ELNS1_3repE0EEENS1_48merge_mergepath_partition_config_static_selectorELNS0_4arch9wavefront6targetE1EEEvSL_,@function
_ZN7rocprim17ROCPRIM_400000_NS6detail17trampoline_kernelINS0_14default_configENS1_38merge_sort_block_merge_config_selectorIbiEEZZNS1_27merge_sort_block_merge_implIS3_N6thrust23THRUST_200600_302600_NS6detail15normal_iteratorINS8_10device_ptrIbEEEENSA_INSB_IiEEEEjNS1_19radix_merge_compareILb0ELb1EbNS0_19identity_decomposerEEEEE10hipError_tT0_T1_T2_jT3_P12ihipStream_tbPNSt15iterator_traitsISK_E10value_typeEPNSQ_ISL_E10value_typeEPSM_NS1_7vsmem_tEENKUlT_SK_SL_SM_E_clIPbSD_PiSF_EESJ_SZ_SK_SL_SM_EUlSZ_E_NS1_11comp_targetILNS1_3genE2ELNS1_11target_archE906ELNS1_3gpuE6ELNS1_3repE0EEENS1_48merge_mergepath_partition_config_static_selectorELNS0_4arch9wavefront6targetE1EEEvSL_: ; @_ZN7rocprim17ROCPRIM_400000_NS6detail17trampoline_kernelINS0_14default_configENS1_38merge_sort_block_merge_config_selectorIbiEEZZNS1_27merge_sort_block_merge_implIS3_N6thrust23THRUST_200600_302600_NS6detail15normal_iteratorINS8_10device_ptrIbEEEENSA_INSB_IiEEEEjNS1_19radix_merge_compareILb0ELb1EbNS0_19identity_decomposerEEEEE10hipError_tT0_T1_T2_jT3_P12ihipStream_tbPNSt15iterator_traitsISK_E10value_typeEPNSQ_ISL_E10value_typeEPSM_NS1_7vsmem_tEENKUlT_SK_SL_SM_E_clIPbSD_PiSF_EESJ_SZ_SK_SL_SM_EUlSZ_E_NS1_11comp_targetILNS1_3genE2ELNS1_11target_archE906ELNS1_3gpuE6ELNS1_3repE0EEENS1_48merge_mergepath_partition_config_static_selectorELNS0_4arch9wavefront6targetE1EEEvSL_
; %bb.0:
	.section	.rodata,"a",@progbits
	.p2align	6, 0x0
	.amdhsa_kernel _ZN7rocprim17ROCPRIM_400000_NS6detail17trampoline_kernelINS0_14default_configENS1_38merge_sort_block_merge_config_selectorIbiEEZZNS1_27merge_sort_block_merge_implIS3_N6thrust23THRUST_200600_302600_NS6detail15normal_iteratorINS8_10device_ptrIbEEEENSA_INSB_IiEEEEjNS1_19radix_merge_compareILb0ELb1EbNS0_19identity_decomposerEEEEE10hipError_tT0_T1_T2_jT3_P12ihipStream_tbPNSt15iterator_traitsISK_E10value_typeEPNSQ_ISL_E10value_typeEPSM_NS1_7vsmem_tEENKUlT_SK_SL_SM_E_clIPbSD_PiSF_EESJ_SZ_SK_SL_SM_EUlSZ_E_NS1_11comp_targetILNS1_3genE2ELNS1_11target_archE906ELNS1_3gpuE6ELNS1_3repE0EEENS1_48merge_mergepath_partition_config_static_selectorELNS0_4arch9wavefront6targetE1EEEvSL_
		.amdhsa_group_segment_fixed_size 0
		.amdhsa_private_segment_fixed_size 0
		.amdhsa_kernarg_size 40
		.amdhsa_user_sgpr_count 2
		.amdhsa_user_sgpr_dispatch_ptr 0
		.amdhsa_user_sgpr_queue_ptr 0
		.amdhsa_user_sgpr_kernarg_segment_ptr 1
		.amdhsa_user_sgpr_dispatch_id 0
		.amdhsa_user_sgpr_kernarg_preload_length 0
		.amdhsa_user_sgpr_kernarg_preload_offset 0
		.amdhsa_user_sgpr_private_segment_size 0
		.amdhsa_uses_dynamic_stack 0
		.amdhsa_enable_private_segment 0
		.amdhsa_system_sgpr_workgroup_id_x 1
		.amdhsa_system_sgpr_workgroup_id_y 0
		.amdhsa_system_sgpr_workgroup_id_z 0
		.amdhsa_system_sgpr_workgroup_info 0
		.amdhsa_system_vgpr_workitem_id 0
		.amdhsa_next_free_vgpr 1
		.amdhsa_next_free_sgpr 0
		.amdhsa_accum_offset 4
		.amdhsa_reserve_vcc 0
		.amdhsa_float_round_mode_32 0
		.amdhsa_float_round_mode_16_64 0
		.amdhsa_float_denorm_mode_32 3
		.amdhsa_float_denorm_mode_16_64 3
		.amdhsa_dx10_clamp 1
		.amdhsa_ieee_mode 1
		.amdhsa_fp16_overflow 0
		.amdhsa_tg_split 0
		.amdhsa_exception_fp_ieee_invalid_op 0
		.amdhsa_exception_fp_denorm_src 0
		.amdhsa_exception_fp_ieee_div_zero 0
		.amdhsa_exception_fp_ieee_overflow 0
		.amdhsa_exception_fp_ieee_underflow 0
		.amdhsa_exception_fp_ieee_inexact 0
		.amdhsa_exception_int_div_zero 0
	.end_amdhsa_kernel
	.section	.text._ZN7rocprim17ROCPRIM_400000_NS6detail17trampoline_kernelINS0_14default_configENS1_38merge_sort_block_merge_config_selectorIbiEEZZNS1_27merge_sort_block_merge_implIS3_N6thrust23THRUST_200600_302600_NS6detail15normal_iteratorINS8_10device_ptrIbEEEENSA_INSB_IiEEEEjNS1_19radix_merge_compareILb0ELb1EbNS0_19identity_decomposerEEEEE10hipError_tT0_T1_T2_jT3_P12ihipStream_tbPNSt15iterator_traitsISK_E10value_typeEPNSQ_ISL_E10value_typeEPSM_NS1_7vsmem_tEENKUlT_SK_SL_SM_E_clIPbSD_PiSF_EESJ_SZ_SK_SL_SM_EUlSZ_E_NS1_11comp_targetILNS1_3genE2ELNS1_11target_archE906ELNS1_3gpuE6ELNS1_3repE0EEENS1_48merge_mergepath_partition_config_static_selectorELNS0_4arch9wavefront6targetE1EEEvSL_,"axG",@progbits,_ZN7rocprim17ROCPRIM_400000_NS6detail17trampoline_kernelINS0_14default_configENS1_38merge_sort_block_merge_config_selectorIbiEEZZNS1_27merge_sort_block_merge_implIS3_N6thrust23THRUST_200600_302600_NS6detail15normal_iteratorINS8_10device_ptrIbEEEENSA_INSB_IiEEEEjNS1_19radix_merge_compareILb0ELb1EbNS0_19identity_decomposerEEEEE10hipError_tT0_T1_T2_jT3_P12ihipStream_tbPNSt15iterator_traitsISK_E10value_typeEPNSQ_ISL_E10value_typeEPSM_NS1_7vsmem_tEENKUlT_SK_SL_SM_E_clIPbSD_PiSF_EESJ_SZ_SK_SL_SM_EUlSZ_E_NS1_11comp_targetILNS1_3genE2ELNS1_11target_archE906ELNS1_3gpuE6ELNS1_3repE0EEENS1_48merge_mergepath_partition_config_static_selectorELNS0_4arch9wavefront6targetE1EEEvSL_,comdat
.Lfunc_end1971:
	.size	_ZN7rocprim17ROCPRIM_400000_NS6detail17trampoline_kernelINS0_14default_configENS1_38merge_sort_block_merge_config_selectorIbiEEZZNS1_27merge_sort_block_merge_implIS3_N6thrust23THRUST_200600_302600_NS6detail15normal_iteratorINS8_10device_ptrIbEEEENSA_INSB_IiEEEEjNS1_19radix_merge_compareILb0ELb1EbNS0_19identity_decomposerEEEEE10hipError_tT0_T1_T2_jT3_P12ihipStream_tbPNSt15iterator_traitsISK_E10value_typeEPNSQ_ISL_E10value_typeEPSM_NS1_7vsmem_tEENKUlT_SK_SL_SM_E_clIPbSD_PiSF_EESJ_SZ_SK_SL_SM_EUlSZ_E_NS1_11comp_targetILNS1_3genE2ELNS1_11target_archE906ELNS1_3gpuE6ELNS1_3repE0EEENS1_48merge_mergepath_partition_config_static_selectorELNS0_4arch9wavefront6targetE1EEEvSL_, .Lfunc_end1971-_ZN7rocprim17ROCPRIM_400000_NS6detail17trampoline_kernelINS0_14default_configENS1_38merge_sort_block_merge_config_selectorIbiEEZZNS1_27merge_sort_block_merge_implIS3_N6thrust23THRUST_200600_302600_NS6detail15normal_iteratorINS8_10device_ptrIbEEEENSA_INSB_IiEEEEjNS1_19radix_merge_compareILb0ELb1EbNS0_19identity_decomposerEEEEE10hipError_tT0_T1_T2_jT3_P12ihipStream_tbPNSt15iterator_traitsISK_E10value_typeEPNSQ_ISL_E10value_typeEPSM_NS1_7vsmem_tEENKUlT_SK_SL_SM_E_clIPbSD_PiSF_EESJ_SZ_SK_SL_SM_EUlSZ_E_NS1_11comp_targetILNS1_3genE2ELNS1_11target_archE906ELNS1_3gpuE6ELNS1_3repE0EEENS1_48merge_mergepath_partition_config_static_selectorELNS0_4arch9wavefront6targetE1EEEvSL_
                                        ; -- End function
	.set _ZN7rocprim17ROCPRIM_400000_NS6detail17trampoline_kernelINS0_14default_configENS1_38merge_sort_block_merge_config_selectorIbiEEZZNS1_27merge_sort_block_merge_implIS3_N6thrust23THRUST_200600_302600_NS6detail15normal_iteratorINS8_10device_ptrIbEEEENSA_INSB_IiEEEEjNS1_19radix_merge_compareILb0ELb1EbNS0_19identity_decomposerEEEEE10hipError_tT0_T1_T2_jT3_P12ihipStream_tbPNSt15iterator_traitsISK_E10value_typeEPNSQ_ISL_E10value_typeEPSM_NS1_7vsmem_tEENKUlT_SK_SL_SM_E_clIPbSD_PiSF_EESJ_SZ_SK_SL_SM_EUlSZ_E_NS1_11comp_targetILNS1_3genE2ELNS1_11target_archE906ELNS1_3gpuE6ELNS1_3repE0EEENS1_48merge_mergepath_partition_config_static_selectorELNS0_4arch9wavefront6targetE1EEEvSL_.num_vgpr, 0
	.set _ZN7rocprim17ROCPRIM_400000_NS6detail17trampoline_kernelINS0_14default_configENS1_38merge_sort_block_merge_config_selectorIbiEEZZNS1_27merge_sort_block_merge_implIS3_N6thrust23THRUST_200600_302600_NS6detail15normal_iteratorINS8_10device_ptrIbEEEENSA_INSB_IiEEEEjNS1_19radix_merge_compareILb0ELb1EbNS0_19identity_decomposerEEEEE10hipError_tT0_T1_T2_jT3_P12ihipStream_tbPNSt15iterator_traitsISK_E10value_typeEPNSQ_ISL_E10value_typeEPSM_NS1_7vsmem_tEENKUlT_SK_SL_SM_E_clIPbSD_PiSF_EESJ_SZ_SK_SL_SM_EUlSZ_E_NS1_11comp_targetILNS1_3genE2ELNS1_11target_archE906ELNS1_3gpuE6ELNS1_3repE0EEENS1_48merge_mergepath_partition_config_static_selectorELNS0_4arch9wavefront6targetE1EEEvSL_.num_agpr, 0
	.set _ZN7rocprim17ROCPRIM_400000_NS6detail17trampoline_kernelINS0_14default_configENS1_38merge_sort_block_merge_config_selectorIbiEEZZNS1_27merge_sort_block_merge_implIS3_N6thrust23THRUST_200600_302600_NS6detail15normal_iteratorINS8_10device_ptrIbEEEENSA_INSB_IiEEEEjNS1_19radix_merge_compareILb0ELb1EbNS0_19identity_decomposerEEEEE10hipError_tT0_T1_T2_jT3_P12ihipStream_tbPNSt15iterator_traitsISK_E10value_typeEPNSQ_ISL_E10value_typeEPSM_NS1_7vsmem_tEENKUlT_SK_SL_SM_E_clIPbSD_PiSF_EESJ_SZ_SK_SL_SM_EUlSZ_E_NS1_11comp_targetILNS1_3genE2ELNS1_11target_archE906ELNS1_3gpuE6ELNS1_3repE0EEENS1_48merge_mergepath_partition_config_static_selectorELNS0_4arch9wavefront6targetE1EEEvSL_.numbered_sgpr, 0
	.set _ZN7rocprim17ROCPRIM_400000_NS6detail17trampoline_kernelINS0_14default_configENS1_38merge_sort_block_merge_config_selectorIbiEEZZNS1_27merge_sort_block_merge_implIS3_N6thrust23THRUST_200600_302600_NS6detail15normal_iteratorINS8_10device_ptrIbEEEENSA_INSB_IiEEEEjNS1_19radix_merge_compareILb0ELb1EbNS0_19identity_decomposerEEEEE10hipError_tT0_T1_T2_jT3_P12ihipStream_tbPNSt15iterator_traitsISK_E10value_typeEPNSQ_ISL_E10value_typeEPSM_NS1_7vsmem_tEENKUlT_SK_SL_SM_E_clIPbSD_PiSF_EESJ_SZ_SK_SL_SM_EUlSZ_E_NS1_11comp_targetILNS1_3genE2ELNS1_11target_archE906ELNS1_3gpuE6ELNS1_3repE0EEENS1_48merge_mergepath_partition_config_static_selectorELNS0_4arch9wavefront6targetE1EEEvSL_.num_named_barrier, 0
	.set _ZN7rocprim17ROCPRIM_400000_NS6detail17trampoline_kernelINS0_14default_configENS1_38merge_sort_block_merge_config_selectorIbiEEZZNS1_27merge_sort_block_merge_implIS3_N6thrust23THRUST_200600_302600_NS6detail15normal_iteratorINS8_10device_ptrIbEEEENSA_INSB_IiEEEEjNS1_19radix_merge_compareILb0ELb1EbNS0_19identity_decomposerEEEEE10hipError_tT0_T1_T2_jT3_P12ihipStream_tbPNSt15iterator_traitsISK_E10value_typeEPNSQ_ISL_E10value_typeEPSM_NS1_7vsmem_tEENKUlT_SK_SL_SM_E_clIPbSD_PiSF_EESJ_SZ_SK_SL_SM_EUlSZ_E_NS1_11comp_targetILNS1_3genE2ELNS1_11target_archE906ELNS1_3gpuE6ELNS1_3repE0EEENS1_48merge_mergepath_partition_config_static_selectorELNS0_4arch9wavefront6targetE1EEEvSL_.private_seg_size, 0
	.set _ZN7rocprim17ROCPRIM_400000_NS6detail17trampoline_kernelINS0_14default_configENS1_38merge_sort_block_merge_config_selectorIbiEEZZNS1_27merge_sort_block_merge_implIS3_N6thrust23THRUST_200600_302600_NS6detail15normal_iteratorINS8_10device_ptrIbEEEENSA_INSB_IiEEEEjNS1_19radix_merge_compareILb0ELb1EbNS0_19identity_decomposerEEEEE10hipError_tT0_T1_T2_jT3_P12ihipStream_tbPNSt15iterator_traitsISK_E10value_typeEPNSQ_ISL_E10value_typeEPSM_NS1_7vsmem_tEENKUlT_SK_SL_SM_E_clIPbSD_PiSF_EESJ_SZ_SK_SL_SM_EUlSZ_E_NS1_11comp_targetILNS1_3genE2ELNS1_11target_archE906ELNS1_3gpuE6ELNS1_3repE0EEENS1_48merge_mergepath_partition_config_static_selectorELNS0_4arch9wavefront6targetE1EEEvSL_.uses_vcc, 0
	.set _ZN7rocprim17ROCPRIM_400000_NS6detail17trampoline_kernelINS0_14default_configENS1_38merge_sort_block_merge_config_selectorIbiEEZZNS1_27merge_sort_block_merge_implIS3_N6thrust23THRUST_200600_302600_NS6detail15normal_iteratorINS8_10device_ptrIbEEEENSA_INSB_IiEEEEjNS1_19radix_merge_compareILb0ELb1EbNS0_19identity_decomposerEEEEE10hipError_tT0_T1_T2_jT3_P12ihipStream_tbPNSt15iterator_traitsISK_E10value_typeEPNSQ_ISL_E10value_typeEPSM_NS1_7vsmem_tEENKUlT_SK_SL_SM_E_clIPbSD_PiSF_EESJ_SZ_SK_SL_SM_EUlSZ_E_NS1_11comp_targetILNS1_3genE2ELNS1_11target_archE906ELNS1_3gpuE6ELNS1_3repE0EEENS1_48merge_mergepath_partition_config_static_selectorELNS0_4arch9wavefront6targetE1EEEvSL_.uses_flat_scratch, 0
	.set _ZN7rocprim17ROCPRIM_400000_NS6detail17trampoline_kernelINS0_14default_configENS1_38merge_sort_block_merge_config_selectorIbiEEZZNS1_27merge_sort_block_merge_implIS3_N6thrust23THRUST_200600_302600_NS6detail15normal_iteratorINS8_10device_ptrIbEEEENSA_INSB_IiEEEEjNS1_19radix_merge_compareILb0ELb1EbNS0_19identity_decomposerEEEEE10hipError_tT0_T1_T2_jT3_P12ihipStream_tbPNSt15iterator_traitsISK_E10value_typeEPNSQ_ISL_E10value_typeEPSM_NS1_7vsmem_tEENKUlT_SK_SL_SM_E_clIPbSD_PiSF_EESJ_SZ_SK_SL_SM_EUlSZ_E_NS1_11comp_targetILNS1_3genE2ELNS1_11target_archE906ELNS1_3gpuE6ELNS1_3repE0EEENS1_48merge_mergepath_partition_config_static_selectorELNS0_4arch9wavefront6targetE1EEEvSL_.has_dyn_sized_stack, 0
	.set _ZN7rocprim17ROCPRIM_400000_NS6detail17trampoline_kernelINS0_14default_configENS1_38merge_sort_block_merge_config_selectorIbiEEZZNS1_27merge_sort_block_merge_implIS3_N6thrust23THRUST_200600_302600_NS6detail15normal_iteratorINS8_10device_ptrIbEEEENSA_INSB_IiEEEEjNS1_19radix_merge_compareILb0ELb1EbNS0_19identity_decomposerEEEEE10hipError_tT0_T1_T2_jT3_P12ihipStream_tbPNSt15iterator_traitsISK_E10value_typeEPNSQ_ISL_E10value_typeEPSM_NS1_7vsmem_tEENKUlT_SK_SL_SM_E_clIPbSD_PiSF_EESJ_SZ_SK_SL_SM_EUlSZ_E_NS1_11comp_targetILNS1_3genE2ELNS1_11target_archE906ELNS1_3gpuE6ELNS1_3repE0EEENS1_48merge_mergepath_partition_config_static_selectorELNS0_4arch9wavefront6targetE1EEEvSL_.has_recursion, 0
	.set _ZN7rocprim17ROCPRIM_400000_NS6detail17trampoline_kernelINS0_14default_configENS1_38merge_sort_block_merge_config_selectorIbiEEZZNS1_27merge_sort_block_merge_implIS3_N6thrust23THRUST_200600_302600_NS6detail15normal_iteratorINS8_10device_ptrIbEEEENSA_INSB_IiEEEEjNS1_19radix_merge_compareILb0ELb1EbNS0_19identity_decomposerEEEEE10hipError_tT0_T1_T2_jT3_P12ihipStream_tbPNSt15iterator_traitsISK_E10value_typeEPNSQ_ISL_E10value_typeEPSM_NS1_7vsmem_tEENKUlT_SK_SL_SM_E_clIPbSD_PiSF_EESJ_SZ_SK_SL_SM_EUlSZ_E_NS1_11comp_targetILNS1_3genE2ELNS1_11target_archE906ELNS1_3gpuE6ELNS1_3repE0EEENS1_48merge_mergepath_partition_config_static_selectorELNS0_4arch9wavefront6targetE1EEEvSL_.has_indirect_call, 0
	.section	.AMDGPU.csdata,"",@progbits
; Kernel info:
; codeLenInByte = 0
; TotalNumSgprs: 6
; NumVgprs: 0
; NumAgprs: 0
; TotalNumVgprs: 0
; ScratchSize: 0
; MemoryBound: 0
; FloatMode: 240
; IeeeMode: 1
; LDSByteSize: 0 bytes/workgroup (compile time only)
; SGPRBlocks: 0
; VGPRBlocks: 0
; NumSGPRsForWavesPerEU: 6
; NumVGPRsForWavesPerEU: 1
; AccumOffset: 4
; Occupancy: 8
; WaveLimiterHint : 0
; COMPUTE_PGM_RSRC2:SCRATCH_EN: 0
; COMPUTE_PGM_RSRC2:USER_SGPR: 2
; COMPUTE_PGM_RSRC2:TRAP_HANDLER: 0
; COMPUTE_PGM_RSRC2:TGID_X_EN: 1
; COMPUTE_PGM_RSRC2:TGID_Y_EN: 0
; COMPUTE_PGM_RSRC2:TGID_Z_EN: 0
; COMPUTE_PGM_RSRC2:TIDIG_COMP_CNT: 0
; COMPUTE_PGM_RSRC3_GFX90A:ACCUM_OFFSET: 0
; COMPUTE_PGM_RSRC3_GFX90A:TG_SPLIT: 0
	.section	.text._ZN7rocprim17ROCPRIM_400000_NS6detail17trampoline_kernelINS0_14default_configENS1_38merge_sort_block_merge_config_selectorIbiEEZZNS1_27merge_sort_block_merge_implIS3_N6thrust23THRUST_200600_302600_NS6detail15normal_iteratorINS8_10device_ptrIbEEEENSA_INSB_IiEEEEjNS1_19radix_merge_compareILb0ELb1EbNS0_19identity_decomposerEEEEE10hipError_tT0_T1_T2_jT3_P12ihipStream_tbPNSt15iterator_traitsISK_E10value_typeEPNSQ_ISL_E10value_typeEPSM_NS1_7vsmem_tEENKUlT_SK_SL_SM_E_clIPbSD_PiSF_EESJ_SZ_SK_SL_SM_EUlSZ_E_NS1_11comp_targetILNS1_3genE9ELNS1_11target_archE1100ELNS1_3gpuE3ELNS1_3repE0EEENS1_48merge_mergepath_partition_config_static_selectorELNS0_4arch9wavefront6targetE1EEEvSL_,"axG",@progbits,_ZN7rocprim17ROCPRIM_400000_NS6detail17trampoline_kernelINS0_14default_configENS1_38merge_sort_block_merge_config_selectorIbiEEZZNS1_27merge_sort_block_merge_implIS3_N6thrust23THRUST_200600_302600_NS6detail15normal_iteratorINS8_10device_ptrIbEEEENSA_INSB_IiEEEEjNS1_19radix_merge_compareILb0ELb1EbNS0_19identity_decomposerEEEEE10hipError_tT0_T1_T2_jT3_P12ihipStream_tbPNSt15iterator_traitsISK_E10value_typeEPNSQ_ISL_E10value_typeEPSM_NS1_7vsmem_tEENKUlT_SK_SL_SM_E_clIPbSD_PiSF_EESJ_SZ_SK_SL_SM_EUlSZ_E_NS1_11comp_targetILNS1_3genE9ELNS1_11target_archE1100ELNS1_3gpuE3ELNS1_3repE0EEENS1_48merge_mergepath_partition_config_static_selectorELNS0_4arch9wavefront6targetE1EEEvSL_,comdat
	.protected	_ZN7rocprim17ROCPRIM_400000_NS6detail17trampoline_kernelINS0_14default_configENS1_38merge_sort_block_merge_config_selectorIbiEEZZNS1_27merge_sort_block_merge_implIS3_N6thrust23THRUST_200600_302600_NS6detail15normal_iteratorINS8_10device_ptrIbEEEENSA_INSB_IiEEEEjNS1_19radix_merge_compareILb0ELb1EbNS0_19identity_decomposerEEEEE10hipError_tT0_T1_T2_jT3_P12ihipStream_tbPNSt15iterator_traitsISK_E10value_typeEPNSQ_ISL_E10value_typeEPSM_NS1_7vsmem_tEENKUlT_SK_SL_SM_E_clIPbSD_PiSF_EESJ_SZ_SK_SL_SM_EUlSZ_E_NS1_11comp_targetILNS1_3genE9ELNS1_11target_archE1100ELNS1_3gpuE3ELNS1_3repE0EEENS1_48merge_mergepath_partition_config_static_selectorELNS0_4arch9wavefront6targetE1EEEvSL_ ; -- Begin function _ZN7rocprim17ROCPRIM_400000_NS6detail17trampoline_kernelINS0_14default_configENS1_38merge_sort_block_merge_config_selectorIbiEEZZNS1_27merge_sort_block_merge_implIS3_N6thrust23THRUST_200600_302600_NS6detail15normal_iteratorINS8_10device_ptrIbEEEENSA_INSB_IiEEEEjNS1_19radix_merge_compareILb0ELb1EbNS0_19identity_decomposerEEEEE10hipError_tT0_T1_T2_jT3_P12ihipStream_tbPNSt15iterator_traitsISK_E10value_typeEPNSQ_ISL_E10value_typeEPSM_NS1_7vsmem_tEENKUlT_SK_SL_SM_E_clIPbSD_PiSF_EESJ_SZ_SK_SL_SM_EUlSZ_E_NS1_11comp_targetILNS1_3genE9ELNS1_11target_archE1100ELNS1_3gpuE3ELNS1_3repE0EEENS1_48merge_mergepath_partition_config_static_selectorELNS0_4arch9wavefront6targetE1EEEvSL_
	.globl	_ZN7rocprim17ROCPRIM_400000_NS6detail17trampoline_kernelINS0_14default_configENS1_38merge_sort_block_merge_config_selectorIbiEEZZNS1_27merge_sort_block_merge_implIS3_N6thrust23THRUST_200600_302600_NS6detail15normal_iteratorINS8_10device_ptrIbEEEENSA_INSB_IiEEEEjNS1_19radix_merge_compareILb0ELb1EbNS0_19identity_decomposerEEEEE10hipError_tT0_T1_T2_jT3_P12ihipStream_tbPNSt15iterator_traitsISK_E10value_typeEPNSQ_ISL_E10value_typeEPSM_NS1_7vsmem_tEENKUlT_SK_SL_SM_E_clIPbSD_PiSF_EESJ_SZ_SK_SL_SM_EUlSZ_E_NS1_11comp_targetILNS1_3genE9ELNS1_11target_archE1100ELNS1_3gpuE3ELNS1_3repE0EEENS1_48merge_mergepath_partition_config_static_selectorELNS0_4arch9wavefront6targetE1EEEvSL_
	.p2align	8
	.type	_ZN7rocprim17ROCPRIM_400000_NS6detail17trampoline_kernelINS0_14default_configENS1_38merge_sort_block_merge_config_selectorIbiEEZZNS1_27merge_sort_block_merge_implIS3_N6thrust23THRUST_200600_302600_NS6detail15normal_iteratorINS8_10device_ptrIbEEEENSA_INSB_IiEEEEjNS1_19radix_merge_compareILb0ELb1EbNS0_19identity_decomposerEEEEE10hipError_tT0_T1_T2_jT3_P12ihipStream_tbPNSt15iterator_traitsISK_E10value_typeEPNSQ_ISL_E10value_typeEPSM_NS1_7vsmem_tEENKUlT_SK_SL_SM_E_clIPbSD_PiSF_EESJ_SZ_SK_SL_SM_EUlSZ_E_NS1_11comp_targetILNS1_3genE9ELNS1_11target_archE1100ELNS1_3gpuE3ELNS1_3repE0EEENS1_48merge_mergepath_partition_config_static_selectorELNS0_4arch9wavefront6targetE1EEEvSL_,@function
_ZN7rocprim17ROCPRIM_400000_NS6detail17trampoline_kernelINS0_14default_configENS1_38merge_sort_block_merge_config_selectorIbiEEZZNS1_27merge_sort_block_merge_implIS3_N6thrust23THRUST_200600_302600_NS6detail15normal_iteratorINS8_10device_ptrIbEEEENSA_INSB_IiEEEEjNS1_19radix_merge_compareILb0ELb1EbNS0_19identity_decomposerEEEEE10hipError_tT0_T1_T2_jT3_P12ihipStream_tbPNSt15iterator_traitsISK_E10value_typeEPNSQ_ISL_E10value_typeEPSM_NS1_7vsmem_tEENKUlT_SK_SL_SM_E_clIPbSD_PiSF_EESJ_SZ_SK_SL_SM_EUlSZ_E_NS1_11comp_targetILNS1_3genE9ELNS1_11target_archE1100ELNS1_3gpuE3ELNS1_3repE0EEENS1_48merge_mergepath_partition_config_static_selectorELNS0_4arch9wavefront6targetE1EEEvSL_: ; @_ZN7rocprim17ROCPRIM_400000_NS6detail17trampoline_kernelINS0_14default_configENS1_38merge_sort_block_merge_config_selectorIbiEEZZNS1_27merge_sort_block_merge_implIS3_N6thrust23THRUST_200600_302600_NS6detail15normal_iteratorINS8_10device_ptrIbEEEENSA_INSB_IiEEEEjNS1_19radix_merge_compareILb0ELb1EbNS0_19identity_decomposerEEEEE10hipError_tT0_T1_T2_jT3_P12ihipStream_tbPNSt15iterator_traitsISK_E10value_typeEPNSQ_ISL_E10value_typeEPSM_NS1_7vsmem_tEENKUlT_SK_SL_SM_E_clIPbSD_PiSF_EESJ_SZ_SK_SL_SM_EUlSZ_E_NS1_11comp_targetILNS1_3genE9ELNS1_11target_archE1100ELNS1_3gpuE3ELNS1_3repE0EEENS1_48merge_mergepath_partition_config_static_selectorELNS0_4arch9wavefront6targetE1EEEvSL_
; %bb.0:
	.section	.rodata,"a",@progbits
	.p2align	6, 0x0
	.amdhsa_kernel _ZN7rocprim17ROCPRIM_400000_NS6detail17trampoline_kernelINS0_14default_configENS1_38merge_sort_block_merge_config_selectorIbiEEZZNS1_27merge_sort_block_merge_implIS3_N6thrust23THRUST_200600_302600_NS6detail15normal_iteratorINS8_10device_ptrIbEEEENSA_INSB_IiEEEEjNS1_19radix_merge_compareILb0ELb1EbNS0_19identity_decomposerEEEEE10hipError_tT0_T1_T2_jT3_P12ihipStream_tbPNSt15iterator_traitsISK_E10value_typeEPNSQ_ISL_E10value_typeEPSM_NS1_7vsmem_tEENKUlT_SK_SL_SM_E_clIPbSD_PiSF_EESJ_SZ_SK_SL_SM_EUlSZ_E_NS1_11comp_targetILNS1_3genE9ELNS1_11target_archE1100ELNS1_3gpuE3ELNS1_3repE0EEENS1_48merge_mergepath_partition_config_static_selectorELNS0_4arch9wavefront6targetE1EEEvSL_
		.amdhsa_group_segment_fixed_size 0
		.amdhsa_private_segment_fixed_size 0
		.amdhsa_kernarg_size 40
		.amdhsa_user_sgpr_count 2
		.amdhsa_user_sgpr_dispatch_ptr 0
		.amdhsa_user_sgpr_queue_ptr 0
		.amdhsa_user_sgpr_kernarg_segment_ptr 1
		.amdhsa_user_sgpr_dispatch_id 0
		.amdhsa_user_sgpr_kernarg_preload_length 0
		.amdhsa_user_sgpr_kernarg_preload_offset 0
		.amdhsa_user_sgpr_private_segment_size 0
		.amdhsa_uses_dynamic_stack 0
		.amdhsa_enable_private_segment 0
		.amdhsa_system_sgpr_workgroup_id_x 1
		.amdhsa_system_sgpr_workgroup_id_y 0
		.amdhsa_system_sgpr_workgroup_id_z 0
		.amdhsa_system_sgpr_workgroup_info 0
		.amdhsa_system_vgpr_workitem_id 0
		.amdhsa_next_free_vgpr 1
		.amdhsa_next_free_sgpr 0
		.amdhsa_accum_offset 4
		.amdhsa_reserve_vcc 0
		.amdhsa_float_round_mode_32 0
		.amdhsa_float_round_mode_16_64 0
		.amdhsa_float_denorm_mode_32 3
		.amdhsa_float_denorm_mode_16_64 3
		.amdhsa_dx10_clamp 1
		.amdhsa_ieee_mode 1
		.amdhsa_fp16_overflow 0
		.amdhsa_tg_split 0
		.amdhsa_exception_fp_ieee_invalid_op 0
		.amdhsa_exception_fp_denorm_src 0
		.amdhsa_exception_fp_ieee_div_zero 0
		.amdhsa_exception_fp_ieee_overflow 0
		.amdhsa_exception_fp_ieee_underflow 0
		.amdhsa_exception_fp_ieee_inexact 0
		.amdhsa_exception_int_div_zero 0
	.end_amdhsa_kernel
	.section	.text._ZN7rocprim17ROCPRIM_400000_NS6detail17trampoline_kernelINS0_14default_configENS1_38merge_sort_block_merge_config_selectorIbiEEZZNS1_27merge_sort_block_merge_implIS3_N6thrust23THRUST_200600_302600_NS6detail15normal_iteratorINS8_10device_ptrIbEEEENSA_INSB_IiEEEEjNS1_19radix_merge_compareILb0ELb1EbNS0_19identity_decomposerEEEEE10hipError_tT0_T1_T2_jT3_P12ihipStream_tbPNSt15iterator_traitsISK_E10value_typeEPNSQ_ISL_E10value_typeEPSM_NS1_7vsmem_tEENKUlT_SK_SL_SM_E_clIPbSD_PiSF_EESJ_SZ_SK_SL_SM_EUlSZ_E_NS1_11comp_targetILNS1_3genE9ELNS1_11target_archE1100ELNS1_3gpuE3ELNS1_3repE0EEENS1_48merge_mergepath_partition_config_static_selectorELNS0_4arch9wavefront6targetE1EEEvSL_,"axG",@progbits,_ZN7rocprim17ROCPRIM_400000_NS6detail17trampoline_kernelINS0_14default_configENS1_38merge_sort_block_merge_config_selectorIbiEEZZNS1_27merge_sort_block_merge_implIS3_N6thrust23THRUST_200600_302600_NS6detail15normal_iteratorINS8_10device_ptrIbEEEENSA_INSB_IiEEEEjNS1_19radix_merge_compareILb0ELb1EbNS0_19identity_decomposerEEEEE10hipError_tT0_T1_T2_jT3_P12ihipStream_tbPNSt15iterator_traitsISK_E10value_typeEPNSQ_ISL_E10value_typeEPSM_NS1_7vsmem_tEENKUlT_SK_SL_SM_E_clIPbSD_PiSF_EESJ_SZ_SK_SL_SM_EUlSZ_E_NS1_11comp_targetILNS1_3genE9ELNS1_11target_archE1100ELNS1_3gpuE3ELNS1_3repE0EEENS1_48merge_mergepath_partition_config_static_selectorELNS0_4arch9wavefront6targetE1EEEvSL_,comdat
.Lfunc_end1972:
	.size	_ZN7rocprim17ROCPRIM_400000_NS6detail17trampoline_kernelINS0_14default_configENS1_38merge_sort_block_merge_config_selectorIbiEEZZNS1_27merge_sort_block_merge_implIS3_N6thrust23THRUST_200600_302600_NS6detail15normal_iteratorINS8_10device_ptrIbEEEENSA_INSB_IiEEEEjNS1_19radix_merge_compareILb0ELb1EbNS0_19identity_decomposerEEEEE10hipError_tT0_T1_T2_jT3_P12ihipStream_tbPNSt15iterator_traitsISK_E10value_typeEPNSQ_ISL_E10value_typeEPSM_NS1_7vsmem_tEENKUlT_SK_SL_SM_E_clIPbSD_PiSF_EESJ_SZ_SK_SL_SM_EUlSZ_E_NS1_11comp_targetILNS1_3genE9ELNS1_11target_archE1100ELNS1_3gpuE3ELNS1_3repE0EEENS1_48merge_mergepath_partition_config_static_selectorELNS0_4arch9wavefront6targetE1EEEvSL_, .Lfunc_end1972-_ZN7rocprim17ROCPRIM_400000_NS6detail17trampoline_kernelINS0_14default_configENS1_38merge_sort_block_merge_config_selectorIbiEEZZNS1_27merge_sort_block_merge_implIS3_N6thrust23THRUST_200600_302600_NS6detail15normal_iteratorINS8_10device_ptrIbEEEENSA_INSB_IiEEEEjNS1_19radix_merge_compareILb0ELb1EbNS0_19identity_decomposerEEEEE10hipError_tT0_T1_T2_jT3_P12ihipStream_tbPNSt15iterator_traitsISK_E10value_typeEPNSQ_ISL_E10value_typeEPSM_NS1_7vsmem_tEENKUlT_SK_SL_SM_E_clIPbSD_PiSF_EESJ_SZ_SK_SL_SM_EUlSZ_E_NS1_11comp_targetILNS1_3genE9ELNS1_11target_archE1100ELNS1_3gpuE3ELNS1_3repE0EEENS1_48merge_mergepath_partition_config_static_selectorELNS0_4arch9wavefront6targetE1EEEvSL_
                                        ; -- End function
	.set _ZN7rocprim17ROCPRIM_400000_NS6detail17trampoline_kernelINS0_14default_configENS1_38merge_sort_block_merge_config_selectorIbiEEZZNS1_27merge_sort_block_merge_implIS3_N6thrust23THRUST_200600_302600_NS6detail15normal_iteratorINS8_10device_ptrIbEEEENSA_INSB_IiEEEEjNS1_19radix_merge_compareILb0ELb1EbNS0_19identity_decomposerEEEEE10hipError_tT0_T1_T2_jT3_P12ihipStream_tbPNSt15iterator_traitsISK_E10value_typeEPNSQ_ISL_E10value_typeEPSM_NS1_7vsmem_tEENKUlT_SK_SL_SM_E_clIPbSD_PiSF_EESJ_SZ_SK_SL_SM_EUlSZ_E_NS1_11comp_targetILNS1_3genE9ELNS1_11target_archE1100ELNS1_3gpuE3ELNS1_3repE0EEENS1_48merge_mergepath_partition_config_static_selectorELNS0_4arch9wavefront6targetE1EEEvSL_.num_vgpr, 0
	.set _ZN7rocprim17ROCPRIM_400000_NS6detail17trampoline_kernelINS0_14default_configENS1_38merge_sort_block_merge_config_selectorIbiEEZZNS1_27merge_sort_block_merge_implIS3_N6thrust23THRUST_200600_302600_NS6detail15normal_iteratorINS8_10device_ptrIbEEEENSA_INSB_IiEEEEjNS1_19radix_merge_compareILb0ELb1EbNS0_19identity_decomposerEEEEE10hipError_tT0_T1_T2_jT3_P12ihipStream_tbPNSt15iterator_traitsISK_E10value_typeEPNSQ_ISL_E10value_typeEPSM_NS1_7vsmem_tEENKUlT_SK_SL_SM_E_clIPbSD_PiSF_EESJ_SZ_SK_SL_SM_EUlSZ_E_NS1_11comp_targetILNS1_3genE9ELNS1_11target_archE1100ELNS1_3gpuE3ELNS1_3repE0EEENS1_48merge_mergepath_partition_config_static_selectorELNS0_4arch9wavefront6targetE1EEEvSL_.num_agpr, 0
	.set _ZN7rocprim17ROCPRIM_400000_NS6detail17trampoline_kernelINS0_14default_configENS1_38merge_sort_block_merge_config_selectorIbiEEZZNS1_27merge_sort_block_merge_implIS3_N6thrust23THRUST_200600_302600_NS6detail15normal_iteratorINS8_10device_ptrIbEEEENSA_INSB_IiEEEEjNS1_19radix_merge_compareILb0ELb1EbNS0_19identity_decomposerEEEEE10hipError_tT0_T1_T2_jT3_P12ihipStream_tbPNSt15iterator_traitsISK_E10value_typeEPNSQ_ISL_E10value_typeEPSM_NS1_7vsmem_tEENKUlT_SK_SL_SM_E_clIPbSD_PiSF_EESJ_SZ_SK_SL_SM_EUlSZ_E_NS1_11comp_targetILNS1_3genE9ELNS1_11target_archE1100ELNS1_3gpuE3ELNS1_3repE0EEENS1_48merge_mergepath_partition_config_static_selectorELNS0_4arch9wavefront6targetE1EEEvSL_.numbered_sgpr, 0
	.set _ZN7rocprim17ROCPRIM_400000_NS6detail17trampoline_kernelINS0_14default_configENS1_38merge_sort_block_merge_config_selectorIbiEEZZNS1_27merge_sort_block_merge_implIS3_N6thrust23THRUST_200600_302600_NS6detail15normal_iteratorINS8_10device_ptrIbEEEENSA_INSB_IiEEEEjNS1_19radix_merge_compareILb0ELb1EbNS0_19identity_decomposerEEEEE10hipError_tT0_T1_T2_jT3_P12ihipStream_tbPNSt15iterator_traitsISK_E10value_typeEPNSQ_ISL_E10value_typeEPSM_NS1_7vsmem_tEENKUlT_SK_SL_SM_E_clIPbSD_PiSF_EESJ_SZ_SK_SL_SM_EUlSZ_E_NS1_11comp_targetILNS1_3genE9ELNS1_11target_archE1100ELNS1_3gpuE3ELNS1_3repE0EEENS1_48merge_mergepath_partition_config_static_selectorELNS0_4arch9wavefront6targetE1EEEvSL_.num_named_barrier, 0
	.set _ZN7rocprim17ROCPRIM_400000_NS6detail17trampoline_kernelINS0_14default_configENS1_38merge_sort_block_merge_config_selectorIbiEEZZNS1_27merge_sort_block_merge_implIS3_N6thrust23THRUST_200600_302600_NS6detail15normal_iteratorINS8_10device_ptrIbEEEENSA_INSB_IiEEEEjNS1_19radix_merge_compareILb0ELb1EbNS0_19identity_decomposerEEEEE10hipError_tT0_T1_T2_jT3_P12ihipStream_tbPNSt15iterator_traitsISK_E10value_typeEPNSQ_ISL_E10value_typeEPSM_NS1_7vsmem_tEENKUlT_SK_SL_SM_E_clIPbSD_PiSF_EESJ_SZ_SK_SL_SM_EUlSZ_E_NS1_11comp_targetILNS1_3genE9ELNS1_11target_archE1100ELNS1_3gpuE3ELNS1_3repE0EEENS1_48merge_mergepath_partition_config_static_selectorELNS0_4arch9wavefront6targetE1EEEvSL_.private_seg_size, 0
	.set _ZN7rocprim17ROCPRIM_400000_NS6detail17trampoline_kernelINS0_14default_configENS1_38merge_sort_block_merge_config_selectorIbiEEZZNS1_27merge_sort_block_merge_implIS3_N6thrust23THRUST_200600_302600_NS6detail15normal_iteratorINS8_10device_ptrIbEEEENSA_INSB_IiEEEEjNS1_19radix_merge_compareILb0ELb1EbNS0_19identity_decomposerEEEEE10hipError_tT0_T1_T2_jT3_P12ihipStream_tbPNSt15iterator_traitsISK_E10value_typeEPNSQ_ISL_E10value_typeEPSM_NS1_7vsmem_tEENKUlT_SK_SL_SM_E_clIPbSD_PiSF_EESJ_SZ_SK_SL_SM_EUlSZ_E_NS1_11comp_targetILNS1_3genE9ELNS1_11target_archE1100ELNS1_3gpuE3ELNS1_3repE0EEENS1_48merge_mergepath_partition_config_static_selectorELNS0_4arch9wavefront6targetE1EEEvSL_.uses_vcc, 0
	.set _ZN7rocprim17ROCPRIM_400000_NS6detail17trampoline_kernelINS0_14default_configENS1_38merge_sort_block_merge_config_selectorIbiEEZZNS1_27merge_sort_block_merge_implIS3_N6thrust23THRUST_200600_302600_NS6detail15normal_iteratorINS8_10device_ptrIbEEEENSA_INSB_IiEEEEjNS1_19radix_merge_compareILb0ELb1EbNS0_19identity_decomposerEEEEE10hipError_tT0_T1_T2_jT3_P12ihipStream_tbPNSt15iterator_traitsISK_E10value_typeEPNSQ_ISL_E10value_typeEPSM_NS1_7vsmem_tEENKUlT_SK_SL_SM_E_clIPbSD_PiSF_EESJ_SZ_SK_SL_SM_EUlSZ_E_NS1_11comp_targetILNS1_3genE9ELNS1_11target_archE1100ELNS1_3gpuE3ELNS1_3repE0EEENS1_48merge_mergepath_partition_config_static_selectorELNS0_4arch9wavefront6targetE1EEEvSL_.uses_flat_scratch, 0
	.set _ZN7rocprim17ROCPRIM_400000_NS6detail17trampoline_kernelINS0_14default_configENS1_38merge_sort_block_merge_config_selectorIbiEEZZNS1_27merge_sort_block_merge_implIS3_N6thrust23THRUST_200600_302600_NS6detail15normal_iteratorINS8_10device_ptrIbEEEENSA_INSB_IiEEEEjNS1_19radix_merge_compareILb0ELb1EbNS0_19identity_decomposerEEEEE10hipError_tT0_T1_T2_jT3_P12ihipStream_tbPNSt15iterator_traitsISK_E10value_typeEPNSQ_ISL_E10value_typeEPSM_NS1_7vsmem_tEENKUlT_SK_SL_SM_E_clIPbSD_PiSF_EESJ_SZ_SK_SL_SM_EUlSZ_E_NS1_11comp_targetILNS1_3genE9ELNS1_11target_archE1100ELNS1_3gpuE3ELNS1_3repE0EEENS1_48merge_mergepath_partition_config_static_selectorELNS0_4arch9wavefront6targetE1EEEvSL_.has_dyn_sized_stack, 0
	.set _ZN7rocprim17ROCPRIM_400000_NS6detail17trampoline_kernelINS0_14default_configENS1_38merge_sort_block_merge_config_selectorIbiEEZZNS1_27merge_sort_block_merge_implIS3_N6thrust23THRUST_200600_302600_NS6detail15normal_iteratorINS8_10device_ptrIbEEEENSA_INSB_IiEEEEjNS1_19radix_merge_compareILb0ELb1EbNS0_19identity_decomposerEEEEE10hipError_tT0_T1_T2_jT3_P12ihipStream_tbPNSt15iterator_traitsISK_E10value_typeEPNSQ_ISL_E10value_typeEPSM_NS1_7vsmem_tEENKUlT_SK_SL_SM_E_clIPbSD_PiSF_EESJ_SZ_SK_SL_SM_EUlSZ_E_NS1_11comp_targetILNS1_3genE9ELNS1_11target_archE1100ELNS1_3gpuE3ELNS1_3repE0EEENS1_48merge_mergepath_partition_config_static_selectorELNS0_4arch9wavefront6targetE1EEEvSL_.has_recursion, 0
	.set _ZN7rocprim17ROCPRIM_400000_NS6detail17trampoline_kernelINS0_14default_configENS1_38merge_sort_block_merge_config_selectorIbiEEZZNS1_27merge_sort_block_merge_implIS3_N6thrust23THRUST_200600_302600_NS6detail15normal_iteratorINS8_10device_ptrIbEEEENSA_INSB_IiEEEEjNS1_19radix_merge_compareILb0ELb1EbNS0_19identity_decomposerEEEEE10hipError_tT0_T1_T2_jT3_P12ihipStream_tbPNSt15iterator_traitsISK_E10value_typeEPNSQ_ISL_E10value_typeEPSM_NS1_7vsmem_tEENKUlT_SK_SL_SM_E_clIPbSD_PiSF_EESJ_SZ_SK_SL_SM_EUlSZ_E_NS1_11comp_targetILNS1_3genE9ELNS1_11target_archE1100ELNS1_3gpuE3ELNS1_3repE0EEENS1_48merge_mergepath_partition_config_static_selectorELNS0_4arch9wavefront6targetE1EEEvSL_.has_indirect_call, 0
	.section	.AMDGPU.csdata,"",@progbits
; Kernel info:
; codeLenInByte = 0
; TotalNumSgprs: 6
; NumVgprs: 0
; NumAgprs: 0
; TotalNumVgprs: 0
; ScratchSize: 0
; MemoryBound: 0
; FloatMode: 240
; IeeeMode: 1
; LDSByteSize: 0 bytes/workgroup (compile time only)
; SGPRBlocks: 0
; VGPRBlocks: 0
; NumSGPRsForWavesPerEU: 6
; NumVGPRsForWavesPerEU: 1
; AccumOffset: 4
; Occupancy: 8
; WaveLimiterHint : 0
; COMPUTE_PGM_RSRC2:SCRATCH_EN: 0
; COMPUTE_PGM_RSRC2:USER_SGPR: 2
; COMPUTE_PGM_RSRC2:TRAP_HANDLER: 0
; COMPUTE_PGM_RSRC2:TGID_X_EN: 1
; COMPUTE_PGM_RSRC2:TGID_Y_EN: 0
; COMPUTE_PGM_RSRC2:TGID_Z_EN: 0
; COMPUTE_PGM_RSRC2:TIDIG_COMP_CNT: 0
; COMPUTE_PGM_RSRC3_GFX90A:ACCUM_OFFSET: 0
; COMPUTE_PGM_RSRC3_GFX90A:TG_SPLIT: 0
	.section	.text._ZN7rocprim17ROCPRIM_400000_NS6detail17trampoline_kernelINS0_14default_configENS1_38merge_sort_block_merge_config_selectorIbiEEZZNS1_27merge_sort_block_merge_implIS3_N6thrust23THRUST_200600_302600_NS6detail15normal_iteratorINS8_10device_ptrIbEEEENSA_INSB_IiEEEEjNS1_19radix_merge_compareILb0ELb1EbNS0_19identity_decomposerEEEEE10hipError_tT0_T1_T2_jT3_P12ihipStream_tbPNSt15iterator_traitsISK_E10value_typeEPNSQ_ISL_E10value_typeEPSM_NS1_7vsmem_tEENKUlT_SK_SL_SM_E_clIPbSD_PiSF_EESJ_SZ_SK_SL_SM_EUlSZ_E_NS1_11comp_targetILNS1_3genE8ELNS1_11target_archE1030ELNS1_3gpuE2ELNS1_3repE0EEENS1_48merge_mergepath_partition_config_static_selectorELNS0_4arch9wavefront6targetE1EEEvSL_,"axG",@progbits,_ZN7rocprim17ROCPRIM_400000_NS6detail17trampoline_kernelINS0_14default_configENS1_38merge_sort_block_merge_config_selectorIbiEEZZNS1_27merge_sort_block_merge_implIS3_N6thrust23THRUST_200600_302600_NS6detail15normal_iteratorINS8_10device_ptrIbEEEENSA_INSB_IiEEEEjNS1_19radix_merge_compareILb0ELb1EbNS0_19identity_decomposerEEEEE10hipError_tT0_T1_T2_jT3_P12ihipStream_tbPNSt15iterator_traitsISK_E10value_typeEPNSQ_ISL_E10value_typeEPSM_NS1_7vsmem_tEENKUlT_SK_SL_SM_E_clIPbSD_PiSF_EESJ_SZ_SK_SL_SM_EUlSZ_E_NS1_11comp_targetILNS1_3genE8ELNS1_11target_archE1030ELNS1_3gpuE2ELNS1_3repE0EEENS1_48merge_mergepath_partition_config_static_selectorELNS0_4arch9wavefront6targetE1EEEvSL_,comdat
	.protected	_ZN7rocprim17ROCPRIM_400000_NS6detail17trampoline_kernelINS0_14default_configENS1_38merge_sort_block_merge_config_selectorIbiEEZZNS1_27merge_sort_block_merge_implIS3_N6thrust23THRUST_200600_302600_NS6detail15normal_iteratorINS8_10device_ptrIbEEEENSA_INSB_IiEEEEjNS1_19radix_merge_compareILb0ELb1EbNS0_19identity_decomposerEEEEE10hipError_tT0_T1_T2_jT3_P12ihipStream_tbPNSt15iterator_traitsISK_E10value_typeEPNSQ_ISL_E10value_typeEPSM_NS1_7vsmem_tEENKUlT_SK_SL_SM_E_clIPbSD_PiSF_EESJ_SZ_SK_SL_SM_EUlSZ_E_NS1_11comp_targetILNS1_3genE8ELNS1_11target_archE1030ELNS1_3gpuE2ELNS1_3repE0EEENS1_48merge_mergepath_partition_config_static_selectorELNS0_4arch9wavefront6targetE1EEEvSL_ ; -- Begin function _ZN7rocprim17ROCPRIM_400000_NS6detail17trampoline_kernelINS0_14default_configENS1_38merge_sort_block_merge_config_selectorIbiEEZZNS1_27merge_sort_block_merge_implIS3_N6thrust23THRUST_200600_302600_NS6detail15normal_iteratorINS8_10device_ptrIbEEEENSA_INSB_IiEEEEjNS1_19radix_merge_compareILb0ELb1EbNS0_19identity_decomposerEEEEE10hipError_tT0_T1_T2_jT3_P12ihipStream_tbPNSt15iterator_traitsISK_E10value_typeEPNSQ_ISL_E10value_typeEPSM_NS1_7vsmem_tEENKUlT_SK_SL_SM_E_clIPbSD_PiSF_EESJ_SZ_SK_SL_SM_EUlSZ_E_NS1_11comp_targetILNS1_3genE8ELNS1_11target_archE1030ELNS1_3gpuE2ELNS1_3repE0EEENS1_48merge_mergepath_partition_config_static_selectorELNS0_4arch9wavefront6targetE1EEEvSL_
	.globl	_ZN7rocprim17ROCPRIM_400000_NS6detail17trampoline_kernelINS0_14default_configENS1_38merge_sort_block_merge_config_selectorIbiEEZZNS1_27merge_sort_block_merge_implIS3_N6thrust23THRUST_200600_302600_NS6detail15normal_iteratorINS8_10device_ptrIbEEEENSA_INSB_IiEEEEjNS1_19radix_merge_compareILb0ELb1EbNS0_19identity_decomposerEEEEE10hipError_tT0_T1_T2_jT3_P12ihipStream_tbPNSt15iterator_traitsISK_E10value_typeEPNSQ_ISL_E10value_typeEPSM_NS1_7vsmem_tEENKUlT_SK_SL_SM_E_clIPbSD_PiSF_EESJ_SZ_SK_SL_SM_EUlSZ_E_NS1_11comp_targetILNS1_3genE8ELNS1_11target_archE1030ELNS1_3gpuE2ELNS1_3repE0EEENS1_48merge_mergepath_partition_config_static_selectorELNS0_4arch9wavefront6targetE1EEEvSL_
	.p2align	8
	.type	_ZN7rocprim17ROCPRIM_400000_NS6detail17trampoline_kernelINS0_14default_configENS1_38merge_sort_block_merge_config_selectorIbiEEZZNS1_27merge_sort_block_merge_implIS3_N6thrust23THRUST_200600_302600_NS6detail15normal_iteratorINS8_10device_ptrIbEEEENSA_INSB_IiEEEEjNS1_19radix_merge_compareILb0ELb1EbNS0_19identity_decomposerEEEEE10hipError_tT0_T1_T2_jT3_P12ihipStream_tbPNSt15iterator_traitsISK_E10value_typeEPNSQ_ISL_E10value_typeEPSM_NS1_7vsmem_tEENKUlT_SK_SL_SM_E_clIPbSD_PiSF_EESJ_SZ_SK_SL_SM_EUlSZ_E_NS1_11comp_targetILNS1_3genE8ELNS1_11target_archE1030ELNS1_3gpuE2ELNS1_3repE0EEENS1_48merge_mergepath_partition_config_static_selectorELNS0_4arch9wavefront6targetE1EEEvSL_,@function
_ZN7rocprim17ROCPRIM_400000_NS6detail17trampoline_kernelINS0_14default_configENS1_38merge_sort_block_merge_config_selectorIbiEEZZNS1_27merge_sort_block_merge_implIS3_N6thrust23THRUST_200600_302600_NS6detail15normal_iteratorINS8_10device_ptrIbEEEENSA_INSB_IiEEEEjNS1_19radix_merge_compareILb0ELb1EbNS0_19identity_decomposerEEEEE10hipError_tT0_T1_T2_jT3_P12ihipStream_tbPNSt15iterator_traitsISK_E10value_typeEPNSQ_ISL_E10value_typeEPSM_NS1_7vsmem_tEENKUlT_SK_SL_SM_E_clIPbSD_PiSF_EESJ_SZ_SK_SL_SM_EUlSZ_E_NS1_11comp_targetILNS1_3genE8ELNS1_11target_archE1030ELNS1_3gpuE2ELNS1_3repE0EEENS1_48merge_mergepath_partition_config_static_selectorELNS0_4arch9wavefront6targetE1EEEvSL_: ; @_ZN7rocprim17ROCPRIM_400000_NS6detail17trampoline_kernelINS0_14default_configENS1_38merge_sort_block_merge_config_selectorIbiEEZZNS1_27merge_sort_block_merge_implIS3_N6thrust23THRUST_200600_302600_NS6detail15normal_iteratorINS8_10device_ptrIbEEEENSA_INSB_IiEEEEjNS1_19radix_merge_compareILb0ELb1EbNS0_19identity_decomposerEEEEE10hipError_tT0_T1_T2_jT3_P12ihipStream_tbPNSt15iterator_traitsISK_E10value_typeEPNSQ_ISL_E10value_typeEPSM_NS1_7vsmem_tEENKUlT_SK_SL_SM_E_clIPbSD_PiSF_EESJ_SZ_SK_SL_SM_EUlSZ_E_NS1_11comp_targetILNS1_3genE8ELNS1_11target_archE1030ELNS1_3gpuE2ELNS1_3repE0EEENS1_48merge_mergepath_partition_config_static_selectorELNS0_4arch9wavefront6targetE1EEEvSL_
; %bb.0:
	.section	.rodata,"a",@progbits
	.p2align	6, 0x0
	.amdhsa_kernel _ZN7rocprim17ROCPRIM_400000_NS6detail17trampoline_kernelINS0_14default_configENS1_38merge_sort_block_merge_config_selectorIbiEEZZNS1_27merge_sort_block_merge_implIS3_N6thrust23THRUST_200600_302600_NS6detail15normal_iteratorINS8_10device_ptrIbEEEENSA_INSB_IiEEEEjNS1_19radix_merge_compareILb0ELb1EbNS0_19identity_decomposerEEEEE10hipError_tT0_T1_T2_jT3_P12ihipStream_tbPNSt15iterator_traitsISK_E10value_typeEPNSQ_ISL_E10value_typeEPSM_NS1_7vsmem_tEENKUlT_SK_SL_SM_E_clIPbSD_PiSF_EESJ_SZ_SK_SL_SM_EUlSZ_E_NS1_11comp_targetILNS1_3genE8ELNS1_11target_archE1030ELNS1_3gpuE2ELNS1_3repE0EEENS1_48merge_mergepath_partition_config_static_selectorELNS0_4arch9wavefront6targetE1EEEvSL_
		.amdhsa_group_segment_fixed_size 0
		.amdhsa_private_segment_fixed_size 0
		.amdhsa_kernarg_size 40
		.amdhsa_user_sgpr_count 2
		.amdhsa_user_sgpr_dispatch_ptr 0
		.amdhsa_user_sgpr_queue_ptr 0
		.amdhsa_user_sgpr_kernarg_segment_ptr 1
		.amdhsa_user_sgpr_dispatch_id 0
		.amdhsa_user_sgpr_kernarg_preload_length 0
		.amdhsa_user_sgpr_kernarg_preload_offset 0
		.amdhsa_user_sgpr_private_segment_size 0
		.amdhsa_uses_dynamic_stack 0
		.amdhsa_enable_private_segment 0
		.amdhsa_system_sgpr_workgroup_id_x 1
		.amdhsa_system_sgpr_workgroup_id_y 0
		.amdhsa_system_sgpr_workgroup_id_z 0
		.amdhsa_system_sgpr_workgroup_info 0
		.amdhsa_system_vgpr_workitem_id 0
		.amdhsa_next_free_vgpr 1
		.amdhsa_next_free_sgpr 0
		.amdhsa_accum_offset 4
		.amdhsa_reserve_vcc 0
		.amdhsa_float_round_mode_32 0
		.amdhsa_float_round_mode_16_64 0
		.amdhsa_float_denorm_mode_32 3
		.amdhsa_float_denorm_mode_16_64 3
		.amdhsa_dx10_clamp 1
		.amdhsa_ieee_mode 1
		.amdhsa_fp16_overflow 0
		.amdhsa_tg_split 0
		.amdhsa_exception_fp_ieee_invalid_op 0
		.amdhsa_exception_fp_denorm_src 0
		.amdhsa_exception_fp_ieee_div_zero 0
		.amdhsa_exception_fp_ieee_overflow 0
		.amdhsa_exception_fp_ieee_underflow 0
		.amdhsa_exception_fp_ieee_inexact 0
		.amdhsa_exception_int_div_zero 0
	.end_amdhsa_kernel
	.section	.text._ZN7rocprim17ROCPRIM_400000_NS6detail17trampoline_kernelINS0_14default_configENS1_38merge_sort_block_merge_config_selectorIbiEEZZNS1_27merge_sort_block_merge_implIS3_N6thrust23THRUST_200600_302600_NS6detail15normal_iteratorINS8_10device_ptrIbEEEENSA_INSB_IiEEEEjNS1_19radix_merge_compareILb0ELb1EbNS0_19identity_decomposerEEEEE10hipError_tT0_T1_T2_jT3_P12ihipStream_tbPNSt15iterator_traitsISK_E10value_typeEPNSQ_ISL_E10value_typeEPSM_NS1_7vsmem_tEENKUlT_SK_SL_SM_E_clIPbSD_PiSF_EESJ_SZ_SK_SL_SM_EUlSZ_E_NS1_11comp_targetILNS1_3genE8ELNS1_11target_archE1030ELNS1_3gpuE2ELNS1_3repE0EEENS1_48merge_mergepath_partition_config_static_selectorELNS0_4arch9wavefront6targetE1EEEvSL_,"axG",@progbits,_ZN7rocprim17ROCPRIM_400000_NS6detail17trampoline_kernelINS0_14default_configENS1_38merge_sort_block_merge_config_selectorIbiEEZZNS1_27merge_sort_block_merge_implIS3_N6thrust23THRUST_200600_302600_NS6detail15normal_iteratorINS8_10device_ptrIbEEEENSA_INSB_IiEEEEjNS1_19radix_merge_compareILb0ELb1EbNS0_19identity_decomposerEEEEE10hipError_tT0_T1_T2_jT3_P12ihipStream_tbPNSt15iterator_traitsISK_E10value_typeEPNSQ_ISL_E10value_typeEPSM_NS1_7vsmem_tEENKUlT_SK_SL_SM_E_clIPbSD_PiSF_EESJ_SZ_SK_SL_SM_EUlSZ_E_NS1_11comp_targetILNS1_3genE8ELNS1_11target_archE1030ELNS1_3gpuE2ELNS1_3repE0EEENS1_48merge_mergepath_partition_config_static_selectorELNS0_4arch9wavefront6targetE1EEEvSL_,comdat
.Lfunc_end1973:
	.size	_ZN7rocprim17ROCPRIM_400000_NS6detail17trampoline_kernelINS0_14default_configENS1_38merge_sort_block_merge_config_selectorIbiEEZZNS1_27merge_sort_block_merge_implIS3_N6thrust23THRUST_200600_302600_NS6detail15normal_iteratorINS8_10device_ptrIbEEEENSA_INSB_IiEEEEjNS1_19radix_merge_compareILb0ELb1EbNS0_19identity_decomposerEEEEE10hipError_tT0_T1_T2_jT3_P12ihipStream_tbPNSt15iterator_traitsISK_E10value_typeEPNSQ_ISL_E10value_typeEPSM_NS1_7vsmem_tEENKUlT_SK_SL_SM_E_clIPbSD_PiSF_EESJ_SZ_SK_SL_SM_EUlSZ_E_NS1_11comp_targetILNS1_3genE8ELNS1_11target_archE1030ELNS1_3gpuE2ELNS1_3repE0EEENS1_48merge_mergepath_partition_config_static_selectorELNS0_4arch9wavefront6targetE1EEEvSL_, .Lfunc_end1973-_ZN7rocprim17ROCPRIM_400000_NS6detail17trampoline_kernelINS0_14default_configENS1_38merge_sort_block_merge_config_selectorIbiEEZZNS1_27merge_sort_block_merge_implIS3_N6thrust23THRUST_200600_302600_NS6detail15normal_iteratorINS8_10device_ptrIbEEEENSA_INSB_IiEEEEjNS1_19radix_merge_compareILb0ELb1EbNS0_19identity_decomposerEEEEE10hipError_tT0_T1_T2_jT3_P12ihipStream_tbPNSt15iterator_traitsISK_E10value_typeEPNSQ_ISL_E10value_typeEPSM_NS1_7vsmem_tEENKUlT_SK_SL_SM_E_clIPbSD_PiSF_EESJ_SZ_SK_SL_SM_EUlSZ_E_NS1_11comp_targetILNS1_3genE8ELNS1_11target_archE1030ELNS1_3gpuE2ELNS1_3repE0EEENS1_48merge_mergepath_partition_config_static_selectorELNS0_4arch9wavefront6targetE1EEEvSL_
                                        ; -- End function
	.set _ZN7rocprim17ROCPRIM_400000_NS6detail17trampoline_kernelINS0_14default_configENS1_38merge_sort_block_merge_config_selectorIbiEEZZNS1_27merge_sort_block_merge_implIS3_N6thrust23THRUST_200600_302600_NS6detail15normal_iteratorINS8_10device_ptrIbEEEENSA_INSB_IiEEEEjNS1_19radix_merge_compareILb0ELb1EbNS0_19identity_decomposerEEEEE10hipError_tT0_T1_T2_jT3_P12ihipStream_tbPNSt15iterator_traitsISK_E10value_typeEPNSQ_ISL_E10value_typeEPSM_NS1_7vsmem_tEENKUlT_SK_SL_SM_E_clIPbSD_PiSF_EESJ_SZ_SK_SL_SM_EUlSZ_E_NS1_11comp_targetILNS1_3genE8ELNS1_11target_archE1030ELNS1_3gpuE2ELNS1_3repE0EEENS1_48merge_mergepath_partition_config_static_selectorELNS0_4arch9wavefront6targetE1EEEvSL_.num_vgpr, 0
	.set _ZN7rocprim17ROCPRIM_400000_NS6detail17trampoline_kernelINS0_14default_configENS1_38merge_sort_block_merge_config_selectorIbiEEZZNS1_27merge_sort_block_merge_implIS3_N6thrust23THRUST_200600_302600_NS6detail15normal_iteratorINS8_10device_ptrIbEEEENSA_INSB_IiEEEEjNS1_19radix_merge_compareILb0ELb1EbNS0_19identity_decomposerEEEEE10hipError_tT0_T1_T2_jT3_P12ihipStream_tbPNSt15iterator_traitsISK_E10value_typeEPNSQ_ISL_E10value_typeEPSM_NS1_7vsmem_tEENKUlT_SK_SL_SM_E_clIPbSD_PiSF_EESJ_SZ_SK_SL_SM_EUlSZ_E_NS1_11comp_targetILNS1_3genE8ELNS1_11target_archE1030ELNS1_3gpuE2ELNS1_3repE0EEENS1_48merge_mergepath_partition_config_static_selectorELNS0_4arch9wavefront6targetE1EEEvSL_.num_agpr, 0
	.set _ZN7rocprim17ROCPRIM_400000_NS6detail17trampoline_kernelINS0_14default_configENS1_38merge_sort_block_merge_config_selectorIbiEEZZNS1_27merge_sort_block_merge_implIS3_N6thrust23THRUST_200600_302600_NS6detail15normal_iteratorINS8_10device_ptrIbEEEENSA_INSB_IiEEEEjNS1_19radix_merge_compareILb0ELb1EbNS0_19identity_decomposerEEEEE10hipError_tT0_T1_T2_jT3_P12ihipStream_tbPNSt15iterator_traitsISK_E10value_typeEPNSQ_ISL_E10value_typeEPSM_NS1_7vsmem_tEENKUlT_SK_SL_SM_E_clIPbSD_PiSF_EESJ_SZ_SK_SL_SM_EUlSZ_E_NS1_11comp_targetILNS1_3genE8ELNS1_11target_archE1030ELNS1_3gpuE2ELNS1_3repE0EEENS1_48merge_mergepath_partition_config_static_selectorELNS0_4arch9wavefront6targetE1EEEvSL_.numbered_sgpr, 0
	.set _ZN7rocprim17ROCPRIM_400000_NS6detail17trampoline_kernelINS0_14default_configENS1_38merge_sort_block_merge_config_selectorIbiEEZZNS1_27merge_sort_block_merge_implIS3_N6thrust23THRUST_200600_302600_NS6detail15normal_iteratorINS8_10device_ptrIbEEEENSA_INSB_IiEEEEjNS1_19radix_merge_compareILb0ELb1EbNS0_19identity_decomposerEEEEE10hipError_tT0_T1_T2_jT3_P12ihipStream_tbPNSt15iterator_traitsISK_E10value_typeEPNSQ_ISL_E10value_typeEPSM_NS1_7vsmem_tEENKUlT_SK_SL_SM_E_clIPbSD_PiSF_EESJ_SZ_SK_SL_SM_EUlSZ_E_NS1_11comp_targetILNS1_3genE8ELNS1_11target_archE1030ELNS1_3gpuE2ELNS1_3repE0EEENS1_48merge_mergepath_partition_config_static_selectorELNS0_4arch9wavefront6targetE1EEEvSL_.num_named_barrier, 0
	.set _ZN7rocprim17ROCPRIM_400000_NS6detail17trampoline_kernelINS0_14default_configENS1_38merge_sort_block_merge_config_selectorIbiEEZZNS1_27merge_sort_block_merge_implIS3_N6thrust23THRUST_200600_302600_NS6detail15normal_iteratorINS8_10device_ptrIbEEEENSA_INSB_IiEEEEjNS1_19radix_merge_compareILb0ELb1EbNS0_19identity_decomposerEEEEE10hipError_tT0_T1_T2_jT3_P12ihipStream_tbPNSt15iterator_traitsISK_E10value_typeEPNSQ_ISL_E10value_typeEPSM_NS1_7vsmem_tEENKUlT_SK_SL_SM_E_clIPbSD_PiSF_EESJ_SZ_SK_SL_SM_EUlSZ_E_NS1_11comp_targetILNS1_3genE8ELNS1_11target_archE1030ELNS1_3gpuE2ELNS1_3repE0EEENS1_48merge_mergepath_partition_config_static_selectorELNS0_4arch9wavefront6targetE1EEEvSL_.private_seg_size, 0
	.set _ZN7rocprim17ROCPRIM_400000_NS6detail17trampoline_kernelINS0_14default_configENS1_38merge_sort_block_merge_config_selectorIbiEEZZNS1_27merge_sort_block_merge_implIS3_N6thrust23THRUST_200600_302600_NS6detail15normal_iteratorINS8_10device_ptrIbEEEENSA_INSB_IiEEEEjNS1_19radix_merge_compareILb0ELb1EbNS0_19identity_decomposerEEEEE10hipError_tT0_T1_T2_jT3_P12ihipStream_tbPNSt15iterator_traitsISK_E10value_typeEPNSQ_ISL_E10value_typeEPSM_NS1_7vsmem_tEENKUlT_SK_SL_SM_E_clIPbSD_PiSF_EESJ_SZ_SK_SL_SM_EUlSZ_E_NS1_11comp_targetILNS1_3genE8ELNS1_11target_archE1030ELNS1_3gpuE2ELNS1_3repE0EEENS1_48merge_mergepath_partition_config_static_selectorELNS0_4arch9wavefront6targetE1EEEvSL_.uses_vcc, 0
	.set _ZN7rocprim17ROCPRIM_400000_NS6detail17trampoline_kernelINS0_14default_configENS1_38merge_sort_block_merge_config_selectorIbiEEZZNS1_27merge_sort_block_merge_implIS3_N6thrust23THRUST_200600_302600_NS6detail15normal_iteratorINS8_10device_ptrIbEEEENSA_INSB_IiEEEEjNS1_19radix_merge_compareILb0ELb1EbNS0_19identity_decomposerEEEEE10hipError_tT0_T1_T2_jT3_P12ihipStream_tbPNSt15iterator_traitsISK_E10value_typeEPNSQ_ISL_E10value_typeEPSM_NS1_7vsmem_tEENKUlT_SK_SL_SM_E_clIPbSD_PiSF_EESJ_SZ_SK_SL_SM_EUlSZ_E_NS1_11comp_targetILNS1_3genE8ELNS1_11target_archE1030ELNS1_3gpuE2ELNS1_3repE0EEENS1_48merge_mergepath_partition_config_static_selectorELNS0_4arch9wavefront6targetE1EEEvSL_.uses_flat_scratch, 0
	.set _ZN7rocprim17ROCPRIM_400000_NS6detail17trampoline_kernelINS0_14default_configENS1_38merge_sort_block_merge_config_selectorIbiEEZZNS1_27merge_sort_block_merge_implIS3_N6thrust23THRUST_200600_302600_NS6detail15normal_iteratorINS8_10device_ptrIbEEEENSA_INSB_IiEEEEjNS1_19radix_merge_compareILb0ELb1EbNS0_19identity_decomposerEEEEE10hipError_tT0_T1_T2_jT3_P12ihipStream_tbPNSt15iterator_traitsISK_E10value_typeEPNSQ_ISL_E10value_typeEPSM_NS1_7vsmem_tEENKUlT_SK_SL_SM_E_clIPbSD_PiSF_EESJ_SZ_SK_SL_SM_EUlSZ_E_NS1_11comp_targetILNS1_3genE8ELNS1_11target_archE1030ELNS1_3gpuE2ELNS1_3repE0EEENS1_48merge_mergepath_partition_config_static_selectorELNS0_4arch9wavefront6targetE1EEEvSL_.has_dyn_sized_stack, 0
	.set _ZN7rocprim17ROCPRIM_400000_NS6detail17trampoline_kernelINS0_14default_configENS1_38merge_sort_block_merge_config_selectorIbiEEZZNS1_27merge_sort_block_merge_implIS3_N6thrust23THRUST_200600_302600_NS6detail15normal_iteratorINS8_10device_ptrIbEEEENSA_INSB_IiEEEEjNS1_19radix_merge_compareILb0ELb1EbNS0_19identity_decomposerEEEEE10hipError_tT0_T1_T2_jT3_P12ihipStream_tbPNSt15iterator_traitsISK_E10value_typeEPNSQ_ISL_E10value_typeEPSM_NS1_7vsmem_tEENKUlT_SK_SL_SM_E_clIPbSD_PiSF_EESJ_SZ_SK_SL_SM_EUlSZ_E_NS1_11comp_targetILNS1_3genE8ELNS1_11target_archE1030ELNS1_3gpuE2ELNS1_3repE0EEENS1_48merge_mergepath_partition_config_static_selectorELNS0_4arch9wavefront6targetE1EEEvSL_.has_recursion, 0
	.set _ZN7rocprim17ROCPRIM_400000_NS6detail17trampoline_kernelINS0_14default_configENS1_38merge_sort_block_merge_config_selectorIbiEEZZNS1_27merge_sort_block_merge_implIS3_N6thrust23THRUST_200600_302600_NS6detail15normal_iteratorINS8_10device_ptrIbEEEENSA_INSB_IiEEEEjNS1_19radix_merge_compareILb0ELb1EbNS0_19identity_decomposerEEEEE10hipError_tT0_T1_T2_jT3_P12ihipStream_tbPNSt15iterator_traitsISK_E10value_typeEPNSQ_ISL_E10value_typeEPSM_NS1_7vsmem_tEENKUlT_SK_SL_SM_E_clIPbSD_PiSF_EESJ_SZ_SK_SL_SM_EUlSZ_E_NS1_11comp_targetILNS1_3genE8ELNS1_11target_archE1030ELNS1_3gpuE2ELNS1_3repE0EEENS1_48merge_mergepath_partition_config_static_selectorELNS0_4arch9wavefront6targetE1EEEvSL_.has_indirect_call, 0
	.section	.AMDGPU.csdata,"",@progbits
; Kernel info:
; codeLenInByte = 0
; TotalNumSgprs: 6
; NumVgprs: 0
; NumAgprs: 0
; TotalNumVgprs: 0
; ScratchSize: 0
; MemoryBound: 0
; FloatMode: 240
; IeeeMode: 1
; LDSByteSize: 0 bytes/workgroup (compile time only)
; SGPRBlocks: 0
; VGPRBlocks: 0
; NumSGPRsForWavesPerEU: 6
; NumVGPRsForWavesPerEU: 1
; AccumOffset: 4
; Occupancy: 8
; WaveLimiterHint : 0
; COMPUTE_PGM_RSRC2:SCRATCH_EN: 0
; COMPUTE_PGM_RSRC2:USER_SGPR: 2
; COMPUTE_PGM_RSRC2:TRAP_HANDLER: 0
; COMPUTE_PGM_RSRC2:TGID_X_EN: 1
; COMPUTE_PGM_RSRC2:TGID_Y_EN: 0
; COMPUTE_PGM_RSRC2:TGID_Z_EN: 0
; COMPUTE_PGM_RSRC2:TIDIG_COMP_CNT: 0
; COMPUTE_PGM_RSRC3_GFX90A:ACCUM_OFFSET: 0
; COMPUTE_PGM_RSRC3_GFX90A:TG_SPLIT: 0
	.section	.text._ZN7rocprim17ROCPRIM_400000_NS6detail17trampoline_kernelINS0_14default_configENS1_38merge_sort_block_merge_config_selectorIbiEEZZNS1_27merge_sort_block_merge_implIS3_N6thrust23THRUST_200600_302600_NS6detail15normal_iteratorINS8_10device_ptrIbEEEENSA_INSB_IiEEEEjNS1_19radix_merge_compareILb0ELb1EbNS0_19identity_decomposerEEEEE10hipError_tT0_T1_T2_jT3_P12ihipStream_tbPNSt15iterator_traitsISK_E10value_typeEPNSQ_ISL_E10value_typeEPSM_NS1_7vsmem_tEENKUlT_SK_SL_SM_E_clIPbSD_PiSF_EESJ_SZ_SK_SL_SM_EUlSZ_E0_NS1_11comp_targetILNS1_3genE0ELNS1_11target_archE4294967295ELNS1_3gpuE0ELNS1_3repE0EEENS1_38merge_mergepath_config_static_selectorELNS0_4arch9wavefront6targetE1EEEvSL_,"axG",@progbits,_ZN7rocprim17ROCPRIM_400000_NS6detail17trampoline_kernelINS0_14default_configENS1_38merge_sort_block_merge_config_selectorIbiEEZZNS1_27merge_sort_block_merge_implIS3_N6thrust23THRUST_200600_302600_NS6detail15normal_iteratorINS8_10device_ptrIbEEEENSA_INSB_IiEEEEjNS1_19radix_merge_compareILb0ELb1EbNS0_19identity_decomposerEEEEE10hipError_tT0_T1_T2_jT3_P12ihipStream_tbPNSt15iterator_traitsISK_E10value_typeEPNSQ_ISL_E10value_typeEPSM_NS1_7vsmem_tEENKUlT_SK_SL_SM_E_clIPbSD_PiSF_EESJ_SZ_SK_SL_SM_EUlSZ_E0_NS1_11comp_targetILNS1_3genE0ELNS1_11target_archE4294967295ELNS1_3gpuE0ELNS1_3repE0EEENS1_38merge_mergepath_config_static_selectorELNS0_4arch9wavefront6targetE1EEEvSL_,comdat
	.protected	_ZN7rocprim17ROCPRIM_400000_NS6detail17trampoline_kernelINS0_14default_configENS1_38merge_sort_block_merge_config_selectorIbiEEZZNS1_27merge_sort_block_merge_implIS3_N6thrust23THRUST_200600_302600_NS6detail15normal_iteratorINS8_10device_ptrIbEEEENSA_INSB_IiEEEEjNS1_19radix_merge_compareILb0ELb1EbNS0_19identity_decomposerEEEEE10hipError_tT0_T1_T2_jT3_P12ihipStream_tbPNSt15iterator_traitsISK_E10value_typeEPNSQ_ISL_E10value_typeEPSM_NS1_7vsmem_tEENKUlT_SK_SL_SM_E_clIPbSD_PiSF_EESJ_SZ_SK_SL_SM_EUlSZ_E0_NS1_11comp_targetILNS1_3genE0ELNS1_11target_archE4294967295ELNS1_3gpuE0ELNS1_3repE0EEENS1_38merge_mergepath_config_static_selectorELNS0_4arch9wavefront6targetE1EEEvSL_ ; -- Begin function _ZN7rocprim17ROCPRIM_400000_NS6detail17trampoline_kernelINS0_14default_configENS1_38merge_sort_block_merge_config_selectorIbiEEZZNS1_27merge_sort_block_merge_implIS3_N6thrust23THRUST_200600_302600_NS6detail15normal_iteratorINS8_10device_ptrIbEEEENSA_INSB_IiEEEEjNS1_19radix_merge_compareILb0ELb1EbNS0_19identity_decomposerEEEEE10hipError_tT0_T1_T2_jT3_P12ihipStream_tbPNSt15iterator_traitsISK_E10value_typeEPNSQ_ISL_E10value_typeEPSM_NS1_7vsmem_tEENKUlT_SK_SL_SM_E_clIPbSD_PiSF_EESJ_SZ_SK_SL_SM_EUlSZ_E0_NS1_11comp_targetILNS1_3genE0ELNS1_11target_archE4294967295ELNS1_3gpuE0ELNS1_3repE0EEENS1_38merge_mergepath_config_static_selectorELNS0_4arch9wavefront6targetE1EEEvSL_
	.globl	_ZN7rocprim17ROCPRIM_400000_NS6detail17trampoline_kernelINS0_14default_configENS1_38merge_sort_block_merge_config_selectorIbiEEZZNS1_27merge_sort_block_merge_implIS3_N6thrust23THRUST_200600_302600_NS6detail15normal_iteratorINS8_10device_ptrIbEEEENSA_INSB_IiEEEEjNS1_19radix_merge_compareILb0ELb1EbNS0_19identity_decomposerEEEEE10hipError_tT0_T1_T2_jT3_P12ihipStream_tbPNSt15iterator_traitsISK_E10value_typeEPNSQ_ISL_E10value_typeEPSM_NS1_7vsmem_tEENKUlT_SK_SL_SM_E_clIPbSD_PiSF_EESJ_SZ_SK_SL_SM_EUlSZ_E0_NS1_11comp_targetILNS1_3genE0ELNS1_11target_archE4294967295ELNS1_3gpuE0ELNS1_3repE0EEENS1_38merge_mergepath_config_static_selectorELNS0_4arch9wavefront6targetE1EEEvSL_
	.p2align	8
	.type	_ZN7rocprim17ROCPRIM_400000_NS6detail17trampoline_kernelINS0_14default_configENS1_38merge_sort_block_merge_config_selectorIbiEEZZNS1_27merge_sort_block_merge_implIS3_N6thrust23THRUST_200600_302600_NS6detail15normal_iteratorINS8_10device_ptrIbEEEENSA_INSB_IiEEEEjNS1_19radix_merge_compareILb0ELb1EbNS0_19identity_decomposerEEEEE10hipError_tT0_T1_T2_jT3_P12ihipStream_tbPNSt15iterator_traitsISK_E10value_typeEPNSQ_ISL_E10value_typeEPSM_NS1_7vsmem_tEENKUlT_SK_SL_SM_E_clIPbSD_PiSF_EESJ_SZ_SK_SL_SM_EUlSZ_E0_NS1_11comp_targetILNS1_3genE0ELNS1_11target_archE4294967295ELNS1_3gpuE0ELNS1_3repE0EEENS1_38merge_mergepath_config_static_selectorELNS0_4arch9wavefront6targetE1EEEvSL_,@function
_ZN7rocprim17ROCPRIM_400000_NS6detail17trampoline_kernelINS0_14default_configENS1_38merge_sort_block_merge_config_selectorIbiEEZZNS1_27merge_sort_block_merge_implIS3_N6thrust23THRUST_200600_302600_NS6detail15normal_iteratorINS8_10device_ptrIbEEEENSA_INSB_IiEEEEjNS1_19radix_merge_compareILb0ELb1EbNS0_19identity_decomposerEEEEE10hipError_tT0_T1_T2_jT3_P12ihipStream_tbPNSt15iterator_traitsISK_E10value_typeEPNSQ_ISL_E10value_typeEPSM_NS1_7vsmem_tEENKUlT_SK_SL_SM_E_clIPbSD_PiSF_EESJ_SZ_SK_SL_SM_EUlSZ_E0_NS1_11comp_targetILNS1_3genE0ELNS1_11target_archE4294967295ELNS1_3gpuE0ELNS1_3repE0EEENS1_38merge_mergepath_config_static_selectorELNS0_4arch9wavefront6targetE1EEEvSL_: ; @_ZN7rocprim17ROCPRIM_400000_NS6detail17trampoline_kernelINS0_14default_configENS1_38merge_sort_block_merge_config_selectorIbiEEZZNS1_27merge_sort_block_merge_implIS3_N6thrust23THRUST_200600_302600_NS6detail15normal_iteratorINS8_10device_ptrIbEEEENSA_INSB_IiEEEEjNS1_19radix_merge_compareILb0ELb1EbNS0_19identity_decomposerEEEEE10hipError_tT0_T1_T2_jT3_P12ihipStream_tbPNSt15iterator_traitsISK_E10value_typeEPNSQ_ISL_E10value_typeEPSM_NS1_7vsmem_tEENKUlT_SK_SL_SM_E_clIPbSD_PiSF_EESJ_SZ_SK_SL_SM_EUlSZ_E0_NS1_11comp_targetILNS1_3genE0ELNS1_11target_archE4294967295ELNS1_3gpuE0ELNS1_3repE0EEENS1_38merge_mergepath_config_static_selectorELNS0_4arch9wavefront6targetE1EEEvSL_
; %bb.0:
	s_load_dwordx2 s[8:9], s[0:1], 0x4
	v_and_b32_e32 v4, 0x3ff, v0
	v_bfe_u32 v2, v0, 10, 10
	v_bfe_u32 v0, v0, 20, 10
	s_waitcnt lgkmcnt(0)
	s_lshr_b32 s0, s8, 16
	s_mul_i32 s0, s0, s9
	v_mul_lo_u32 v1, s0, v4
	s_load_dwordx4 s[16:19], s[2:3], 0x28
	s_load_dword s0, s[2:3], 0x34
	s_load_dwordx2 s[22:23], s[2:3], 0x40
	v_mul_u32_u24_e32 v2, s9, v2
	v_add3_u32 v12, v1, v2, v0
	s_waitcnt lgkmcnt(0)
	s_and_b32 s0, s0, 1
	v_mov_b32_e32 v0, s0
	s_add_u32 s24, s2, 64
	s_mul_i32 s0, s23, s6
	s_addc_u32 s25, s3, 0
	s_add_i32 s0, s0, s5
	s_mul_i32 s0, s0, s22
	s_add_i32 s20, s0, s4
	s_cmp_ge_u32 s20, s18
	ds_write_b8 v12, v0 offset:4224
	s_cbranch_scc1 .LBB1974_48
; %bb.1:
	s_load_dwordx8 s[8:15], s[2:3], 0x8
	s_load_dwordx2 s[0:1], s[2:3], 0x38
	s_lshr_b32 s29, s16, 10
	s_cmp_lg_u32 s20, s29
	s_mov_b32 s21, 0
	s_cselect_b64 s[18:19], -1, 0
	s_lshl_b64 s[2:3], s[20:21], 2
	s_waitcnt lgkmcnt(0)
	s_add_u32 s2, s0, s2
	s_addc_u32 s3, s1, s3
	s_load_dwordx2 s[0:1], s[2:3], 0x0
	s_lshr_b32 s2, s17, 9
	s_and_b32 s2, s2, 0x7ffffe
	s_sub_i32 s3, 0, s2
	s_and_b32 s2, s20, s3
	s_lshl_b32 s5, s2, 10
	s_lshl_b32 s6, s20, 10
	;; [unrolled: 1-line block ×3, first 2 shown]
	s_sub_i32 s7, s6, s5
	s_add_i32 s23, s2, s17
	s_add_i32 s7, s23, s7
	s_waitcnt lgkmcnt(0)
	s_sub_i32 s2, s7, s0
	s_sub_i32 s7, s7, s1
	;; [unrolled: 1-line block ×3, first 2 shown]
	s_min_u32 s2, s16, s2
	s_addk_i32 s7, 0x400
	s_or_b32 s3, s20, s3
	s_min_u32 s23, s16, s5
	s_add_i32 s5, s5, s17
	s_cmp_eq_u32 s3, -1
	s_cselect_b32 s3, s5, s7
	s_cselect_b32 s1, s23, s1
	s_min_u32 s17, s3, s16
	s_sub_i32 s7, s1, s0
	s_add_u32 s23, s8, s0
	s_addc_u32 s26, s9, 0
	s_add_u32 s27, s8, s2
	s_addc_u32 s28, s9, 0
	s_cmp_lt_u32 s4, s22
	v_mov_b32_e32 v1, 0
	s_cselect_b32 s1, 12, 18
	global_load_dword v0, v1, s[24:25] offset:14
	s_add_u32 s4, s24, s1
	s_addc_u32 s5, s25, 0
	global_load_ushort v2, v1, s[4:5]
	s_mov_b32 s1, s21
	s_mov_b32 s3, s21
	s_cmp_eq_u32 s20, s29
	s_waitcnt vmcnt(1)
	v_lshrrev_b32_e32 v3, 16, v0
	v_and_b32_e32 v0, 0xffff, v0
	v_mul_lo_u32 v0, v0, v3
	s_waitcnt vmcnt(0)
	v_mul_lo_u32 v14, v0, v2
	v_add_u32_e32 v8, v14, v4
	s_cbranch_scc1 .LBB1974_3
; %bb.2:
	v_subrev_u32_e32 v0, s7, v4
	v_mov_b32_e32 v5, s28
	v_mov_b32_e32 v9, s26
	v_cmp_gt_u32_e32 vcc, s7, v4
	v_mov_b32_e32 v10, s27
	v_mov_b32_e32 v13, s23
	v_min_u32_e32 v0, v4, v0
	v_cndmask_b32_e32 v3, v5, v9, vcc
	v_cndmask_b32_e32 v2, v10, v13, vcc
	v_lshl_add_u64 v[2:3], v[2:3], 0, v[0:1]
	v_subrev_u32_e32 v0, s7, v8
	v_cmp_gt_u32_e32 vcc, s7, v8
	v_min_u32_e32 v0, v8, v0
	v_add_u32_e32 v15, v8, v14
	v_cndmask_b32_e32 v7, v5, v9, vcc
	v_cndmask_b32_e32 v6, v10, v13, vcc
	v_lshl_add_u64 v[6:7], v[6:7], 0, v[0:1]
	v_subrev_u32_e32 v0, s7, v15
	v_cmp_gt_u32_e32 vcc, s7, v15
	v_min_u32_e32 v0, v15, v0
	s_mov_b32 s4, 0xc0c0004
	v_cndmask_b32_e32 v11, v5, v9, vcc
	v_cndmask_b32_e32 v10, v10, v13, vcc
	v_lshl_add_u64 v[0:1], v[10:11], 0, v[0:1]
	global_load_ubyte v5, v[6:7], off
	global_load_ubyte v9, v[2:3], off
	;; [unrolled: 1-line block ×3, first 2 shown]
	v_add_u32_e32 v0, v15, v14
	s_waitcnt vmcnt(1)
	v_perm_b32 v1, v9, v5, s4
	s_waitcnt vmcnt(0)
	v_lshl_or_b32 v13, v10, 16, v1
	s_mov_b64 s[4:5], -1
	s_sub_i32 s17, s17, s2
	s_cbranch_execz .LBB1974_4
	s_branch .LBB1974_11
.LBB1974_3:
	s_mov_b64 s[4:5], 0
                                        ; implicit-def: $vgpr0
                                        ; implicit-def: $vgpr13
	s_sub_i32 s17, s17, s2
.LBB1974_4:
	s_add_i32 s8, s17, s7
	v_cmp_gt_u32_e32 vcc, s8, v4
	v_mov_b32_e32 v13, 0
	s_and_saveexec_b64 s[4:5], vcc
	s_cbranch_execz .LBB1974_6
; %bb.5:
	v_mov_b32_e32 v0, s28
	v_mov_b32_e32 v1, s26
	v_cmp_gt_u32_e32 vcc, s7, v4
	v_mov_b32_e32 v2, s23
	v_mov_b32_e32 v3, 0
	v_cndmask_b32_e32 v1, v0, v1, vcc
	v_mov_b32_e32 v0, s27
	v_cndmask_b32_e32 v0, v0, v2, vcc
	v_subrev_u32_e32 v2, s7, v4
	v_min_u32_e32 v2, v4, v2
	v_lshl_add_u64 v[0:1], v[0:1], 0, v[2:3]
	global_load_ubyte v13, v[0:1], off
.LBB1974_6:
	s_or_b64 exec, exec, s[4:5]
	v_cmp_gt_u32_e32 vcc, s8, v8
	s_and_saveexec_b64 s[4:5], vcc
	s_cbranch_execz .LBB1974_8
; %bb.7:
	v_mov_b32_e32 v0, s28
	v_mov_b32_e32 v1, s26
	v_cmp_gt_u32_e32 vcc, s7, v8
	v_mov_b32_e32 v2, s23
	v_mov_b32_e32 v3, 0
	v_cndmask_b32_e32 v1, v0, v1, vcc
	v_mov_b32_e32 v0, s27
	v_cndmask_b32_e32 v0, v0, v2, vcc
	v_subrev_u32_e32 v2, s7, v8
	v_min_u32_e32 v2, v8, v2
	v_lshl_add_u64 v[0:1], v[0:1], 0, v[2:3]
	global_load_ubyte v0, v[0:1], off
	s_waitcnt vmcnt(0)
	v_lshlrev_b16_e32 v0, 8, v0
	v_or_b32_e32 v0, v13, v0
	v_and_b32_e32 v13, 0xffff, v0
.LBB1974_8:
	s_or_b64 exec, exec, s[4:5]
	v_add_u32_e32 v0, v8, v14
	v_cmp_gt_u32_e32 vcc, s8, v0
	s_and_saveexec_b64 s[4:5], vcc
	s_cbranch_execz .LBB1974_10
; %bb.9:
	v_mov_b32_e32 v1, s28
	v_mov_b32_e32 v2, s26
	v_cmp_gt_u32_e32 vcc, s7, v0
	v_mov_b32_e32 v7, 0
	s_nop 0
	v_cndmask_b32_e32 v3, v1, v2, vcc
	v_mov_b32_e32 v1, s27
	v_mov_b32_e32 v2, s23
	v_cndmask_b32_e32 v2, v1, v2, vcc
	v_subrev_u32_e32 v1, s7, v0
	v_min_u32_e32 v6, v0, v1
	v_lshl_add_u64 v[2:3], v[2:3], 0, v[6:7]
	global_load_ubyte v1, v[2:3], off
	s_waitcnt vmcnt(0)
	v_lshl_or_b32 v13, v1, 16, v13
.LBB1974_10:
	s_or_b64 exec, exec, s[4:5]
	v_add_u32_e32 v0, v0, v14
	v_cmp_gt_u32_e64 s[4:5], s8, v0
.LBB1974_11:
	s_and_saveexec_b64 s[8:9], s[4:5]
	s_cbranch_execz .LBB1974_13
; %bb.12:
	v_subrev_u32_e32 v1, s7, v0
	v_min_u32_e32 v2, v0, v1
	v_mov_b32_e32 v1, s28
	v_mov_b32_e32 v3, s26
	v_cmp_gt_u32_e32 vcc, s7, v0
	v_mov_b32_e32 v0, s27
	s_mov_b32 s4, 0x60504
	v_cndmask_b32_e32 v1, v1, v3, vcc
	v_mov_b32_e32 v3, s23
	v_cndmask_b32_e32 v0, v0, v3, vcc
	v_mov_b32_e32 v3, 0
	v_lshl_add_u64 v[0:1], v[0:1], 0, v[2:3]
	global_load_ubyte v0, v[0:1], off
	s_waitcnt vmcnt(0)
	v_perm_b32 v13, v13, v0, s4
.LBB1974_13:
	s_or_b64 exec, exec, s[8:9]
	s_lshl_b64 s[0:1], s[0:1], 2
	s_add_u32 s0, s12, s0
	s_addc_u32 s1, s13, s1
	s_lshl_b64 s[2:3], s[2:3], 2
	s_add_u32 s2, s12, s2
	s_waitcnt vmcnt(0)
	v_lshrrev_b32_e32 v15, 16, v13
	v_mov_b32_e32 v5, 0
	v_lshrrev_b32_e32 v16, 8, v13
	v_lshrrev_b32_e32 v17, 24, v13
	s_addc_u32 s3, s13, s3
	s_andn2_b64 vcc, exec, s[18:19]
	v_lshlrev_b32_e32 v6, 2, v4
	v_add_u32_e32 v10, v8, v14
	ds_write_b8 v4, v13
	ds_write_b8 v4, v16 offset:256
	ds_write_b8 v4, v15 offset:512
	;; [unrolled: 1-line block ×3, first 2 shown]
	s_cbranch_vccnz .LBB1974_15
; %bb.14:
	v_mov_b32_e32 v7, v5
	v_subrev_co_u32_e32 v2, vcc, s7, v4
	v_mov_b32_e32 v3, v5
	v_lshl_add_u64 v[0:1], s[0:1], 0, v[6:7]
	v_lshl_add_u64 v[2:3], v[2:3], 2, s[2:3]
	v_cndmask_b32_e32 v1, v3, v1, vcc
	v_cndmask_b32_e32 v0, v2, v0, vcc
	v_mov_b32_e32 v9, v5
	v_subrev_co_u32_e32 v18, vcc, s7, v8
	v_mov_b32_e32 v19, v5
	v_lshl_add_u64 v[2:3], v[8:9], 2, s[0:1]
	v_lshl_add_u64 v[18:19], v[18:19], 2, s[2:3]
	v_cndmask_b32_e32 v3, v19, v3, vcc
	v_cndmask_b32_e32 v2, v18, v2, vcc
	v_mov_b32_e32 v11, v5
	v_subrev_co_u32_e32 v18, vcc, s7, v10
	v_mov_b32_e32 v19, v5
	global_load_dword v0, v[0:1], off
	v_lshl_add_u64 v[18:19], v[18:19], 2, s[2:3]
	global_load_dword v1, v[2:3], off
	v_lshl_add_u64 v[2:3], v[10:11], 2, s[0:1]
	v_cndmask_b32_e32 v3, v19, v3, vcc
	v_cndmask_b32_e32 v2, v18, v2, vcc
	v_add_u32_e32 v18, v10, v14
	v_mov_b32_e32 v19, v5
	v_lshl_add_u64 v[20:21], v[18:19], 2, s[0:1]
	v_subrev_co_u32_e32 v18, vcc, s7, v18
	v_lshl_add_u64 v[18:19], v[18:19], 2, s[2:3]
	s_nop 0
	v_cndmask_b32_e32 v19, v19, v21, vcc
	v_cndmask_b32_e32 v18, v18, v20, vcc
	global_load_dword v2, v[2:3], off
	s_add_i32 s12, s17, s7
	global_load_dword v3, v[18:19], off
	s_cbranch_execz .LBB1974_16
	s_branch .LBB1974_23
.LBB1974_15:
                                        ; implicit-def: $vgpr0_vgpr1_vgpr2_vgpr3
                                        ; implicit-def: $sgpr12
.LBB1974_16:
	s_add_i32 s12, s17, s7
	s_waitcnt vmcnt(3)
	v_mov_b32_e32 v0, 0
	v_cmp_gt_u32_e32 vcc, s12, v4
	s_waitcnt vmcnt(2)
	v_mov_b32_e32 v1, v0
	s_waitcnt vmcnt(1)
	v_mov_b32_e32 v2, v0
	;; [unrolled: 2-line block ×3, first 2 shown]
	s_and_saveexec_b64 s[4:5], vcc
	s_cbranch_execnz .LBB1974_49
; %bb.17:
	s_or_b64 exec, exec, s[4:5]
	v_cmp_gt_u32_e32 vcc, s12, v8
	s_and_saveexec_b64 s[4:5], vcc
	s_cbranch_execnz .LBB1974_50
.LBB1974_18:
	s_or_b64 exec, exec, s[4:5]
	v_cmp_gt_u32_e32 vcc, s12, v10
	s_and_saveexec_b64 s[4:5], vcc
	s_cbranch_execz .LBB1974_20
.LBB1974_19:
	v_mov_b32_e32 v11, 0
	v_subrev_co_u32_e32 v18, vcc, s7, v10
	v_mov_b32_e32 v19, v11
	v_lshl_add_u64 v[8:9], v[10:11], 2, s[0:1]
	v_lshl_add_u64 v[18:19], v[18:19], 2, s[2:3]
	v_cndmask_b32_e32 v9, v19, v9, vcc
	v_cndmask_b32_e32 v8, v18, v8, vcc
	global_load_dword v2, v[8:9], off
.LBB1974_20:
	s_or_b64 exec, exec, s[4:5]
	v_add_u32_e32 v8, v10, v14
	v_cmp_gt_u32_e32 vcc, s12, v8
	s_and_saveexec_b64 s[4:5], vcc
	s_cbranch_execz .LBB1974_22
; %bb.21:
	v_mov_b32_e32 v9, 0
	v_lshl_add_u64 v[10:11], v[8:9], 2, s[0:1]
	v_subrev_co_u32_e32 v8, vcc, s7, v8
	v_lshl_add_u64 v[8:9], v[8:9], 2, s[2:3]
	s_nop 0
	v_cndmask_b32_e32 v9, v9, v11, vcc
	v_cndmask_b32_e32 v8, v8, v10, vcc
	global_load_dword v3, v[8:9], off
.LBB1974_22:
	s_or_b64 exec, exec, s[4:5]
.LBB1974_23:
	s_waitcnt lgkmcnt(0)
	s_barrier
	ds_read_u8 v8, v12 offset:4224
	v_lshlrev_b32_e32 v7, 2, v4
	v_min_u32_e32 v9, s12, v7
	v_min_u32_e32 v10, s7, v9
	s_waitcnt lgkmcnt(0)
	v_and_b32_e32 v8, 1, v8
	v_cmp_eq_u32_e32 vcc, 1, v8
	ds_write_b8 v12, v8 offset:4480
	v_sub_u32_e64 v8, v9, s17 clamp
	v_cmp_lt_u32_e64 s[0:1], v8, v10
	s_and_saveexec_b64 s[2:3], s[0:1]
	s_cbranch_execz .LBB1974_27
; %bb.24:
	ds_read_u8 v11, v12 offset:4480
	v_add_u32_e32 v14, s7, v9
	s_mov_b64 s[4:5], 0
.LBB1974_25:                            ; =>This Inner Loop Header: Depth=1
	v_add_u32_e32 v18, v10, v8
	v_lshrrev_b32_e32 v18, 1, v18
	v_xad_u32 v19, v18, -1, v14
	ds_read_u8 v20, v18
	ds_read_u8 v19, v19
	v_add_u32_e32 v21, 1, v18
	s_waitcnt lgkmcnt(1)
	v_bitop3_b16 v20, v20, 1, v11 bitop3:0x80
	s_waitcnt lgkmcnt(0)
	v_bitop3_b16 v19, v19, 1, v11 bitop3:0x80
	v_cmp_gt_u16_e64 s[0:1], v20, v19
	s_nop 1
	v_cndmask_b32_e64 v10, v10, v18, s[0:1]
	v_cndmask_b32_e64 v8, v21, v8, s[0:1]
	v_cmp_ge_u32_e64 s[0:1], v8, v10
	s_or_b64 s[4:5], s[0:1], s[4:5]
	s_andn2_b64 exec, exec, s[4:5]
	s_cbranch_execnz .LBB1974_25
; %bb.26:
	s_or_b64 exec, exec, s[4:5]
.LBB1974_27:
	s_or_b64 exec, exec, s[2:3]
	v_cndmask_b32_e64 v10, 0, 1, vcc
	ds_write_b8 v12, v10 offset:4992
	ds_read_u8 v10, v12 offset:4992
	v_sub_u32_e32 v9, v9, v8
	v_add_u32_e32 v14, s7, v9
	v_cmp_ge_u32_e32 vcc, s7, v8
	v_cmp_ge_u32_e64 s[0:1], s12, v14
	s_waitcnt lgkmcnt(0)
	v_and_b32_e32 v9, 1, v10
	ds_write_b8 v12, v9 offset:4736
	s_or_b64 s[0:1], vcc, s[0:1]
	v_mov_b32_e32 v10, 0
	v_mov_b32_e32 v18, 0
	;; [unrolled: 1-line block ×4, first 2 shown]
	s_and_saveexec_b64 s[8:9], s[0:1]
	s_cbranch_execz .LBB1974_33
; %bb.28:
	v_cmp_le_u32_e32 vcc, s7, v8
	v_cmp_gt_u32_e64 s[0:1], s7, v8
                                        ; implicit-def: $vgpr10
	s_and_saveexec_b64 s[2:3], s[0:1]
; %bb.29:
	ds_read_u8 v10, v8
; %bb.30:
	s_or_b64 exec, exec, s[2:3]
	v_cmp_le_u32_e64 s[0:1], s12, v14
	v_cmp_gt_u32_e64 s[2:3], s12, v14
                                        ; implicit-def: $vgpr13
	s_and_saveexec_b64 s[4:5], s[2:3]
; %bb.31:
	ds_read_u8 v13, v14
; %bb.32:
	s_or_b64 exec, exec, s[4:5]
	ds_read_u8 v12, v12 offset:4736
	v_cndmask_b32_e64 v9, 0, 1, s[0:1]
	s_or_b64 vcc, vcc, s[0:1]
	v_mov_b32_e32 v16, s7
	s_waitcnt lgkmcnt(0)
	v_bitop3_b16 v11, v12, 1, v13 bitop3:0x80
	v_bitop3_b16 v15, v12, 1, v10 bitop3:0x80
	v_cmp_le_u16_e64 s[2:3], v15, v11
	v_mov_b32_e32 v15, s12
	s_nop 0
	v_cndmask_b32_e64 v11, 0, 1, s[2:3]
	v_cndmask_b32_e32 v9, v11, v9, vcc
	v_and_b32_e32 v9, 1, v9
	v_cmp_eq_u32_e32 vcc, 1, v9
	s_nop 1
	v_cndmask_b32_e32 v9, v14, v8, vcc
	v_cndmask_b32_e32 v11, v15, v16, vcc
	v_add_u32_e32 v17, 1, v9
	v_add_u32_e32 v11, -1, v11
	v_min_u32_e32 v11, v17, v11
	ds_read_u8 v11, v11
	v_cndmask_b32_e32 v14, v17, v14, vcc
	v_cndmask_b32_e32 v8, v8, v17, vcc
	v_cmp_gt_u32_e64 s[2:3], s7, v8
	v_cmp_le_u32_e64 s[0:1], s12, v14
	s_waitcnt lgkmcnt(0)
	v_cndmask_b32_e32 v19, v11, v13, vcc
	v_cndmask_b32_e32 v20, v10, v11, vcc
	v_and_b32_e32 v11, v19, v12
	v_and_b32_e32 v17, v20, v12
	v_cmp_le_u16_sdwa s[4:5], v17, v11 src0_sel:BYTE_0 src1_sel:BYTE_0
	s_and_b64 s[2:3], s[2:3], s[4:5]
	s_or_b64 s[0:1], s[0:1], s[2:3]
	v_cndmask_b32_e64 v11, v14, v8, s[0:1]
	v_cndmask_b32_e64 v17, v15, v16, s[0:1]
	v_add_u32_e32 v18, 1, v11
	v_add_u32_e32 v17, -1, v17
	v_min_u32_e32 v17, v18, v17
	ds_read_u8 v17, v17
	v_cndmask_b32_e64 v14, v18, v14, s[0:1]
	v_cndmask_b32_e64 v8, v8, v18, s[0:1]
	v_cmp_gt_u32_e64 s[4:5], s7, v8
	v_cmp_le_u32_e64 s[2:3], s12, v14
	s_waitcnt lgkmcnt(0)
	v_cndmask_b32_e64 v21, v17, v19, s[0:1]
	v_cndmask_b32_e64 v17, v20, v17, s[0:1]
	v_and_b32_e32 v18, v21, v12
	v_and_b32_e32 v22, v17, v12
	v_cmp_le_u16_sdwa s[20:21], v22, v18 src0_sel:BYTE_0 src1_sel:BYTE_0
	s_and_b64 s[4:5], s[4:5], s[20:21]
	s_or_b64 s[2:3], s[2:3], s[4:5]
	v_cndmask_b32_e64 v18, v14, v8, s[2:3]
	v_cndmask_b32_e64 v15, v15, v16, s[2:3]
	v_add_u32_e32 v22, 1, v18
	v_add_u32_e32 v15, -1, v15
	v_min_u32_e32 v15, v22, v15
	ds_read_u8 v23, v15
	v_cndmask_b32_e64 v16, v19, v20, s[0:1]
	v_cndmask_b32_e64 v15, v21, v17, s[2:3]
	v_cndmask_b32_e32 v13, v13, v10, vcc
	v_cndmask_b32_e64 v10, v22, v14, s[2:3]
	s_waitcnt lgkmcnt(0)
	v_cndmask_b32_e64 v19, v23, v21, s[2:3]
	v_cndmask_b32_e64 v17, v17, v23, s[2:3]
	;; [unrolled: 1-line block ×3, first 2 shown]
	v_and_b32_e32 v14, v19, v12
	v_and_b32_e32 v12, v17, v12
	v_cmp_gt_u32_e64 s[0:1], s7, v8
	v_cmp_le_u16_sdwa s[2:3], v12, v14 src0_sel:BYTE_0 src1_sel:BYTE_0
	v_cmp_le_u32_e32 vcc, s12, v10
	s_and_b64 s[0:1], s[0:1], s[2:3]
	s_or_b64 vcc, vcc, s[0:1]
	v_cndmask_b32_e32 v10, v10, v8, vcc
	v_cndmask_b32_e32 v17, v19, v17, vcc
.LBB1974_33:
	s_or_b64 exec, exec, s[8:9]
	v_mad_u32_u24 v8, v4, 3, v4
	s_waitcnt lgkmcnt(0)
	s_barrier
	s_waitcnt vmcnt(0)
	ds_write2st64_b32 v8, v0, v1 offset1:4
	ds_write2st64_b32 v8, v2, v3 offset0:8 offset1:12
	v_lshlrev_b32_e32 v0, 2, v9
	v_lshlrev_b32_e32 v10, 2, v10
	s_waitcnt lgkmcnt(0)
	s_barrier
	v_lshlrev_b32_e32 v1, 2, v11
	v_lshlrev_b32_e32 v2, 2, v18
	ds_read_b32 v3, v0
	ds_read_b32 v8, v1
	;; [unrolled: 1-line block ×4, first 2 shown]
	v_lshrrev_b32_e32 v11, 3, v4
	v_and_b32_e32 v0, 0x7c, v11
	s_mov_b32 s2, 0xc0c0004
	v_add_u32_e32 v2, v0, v7
	v_perm_b32 v0, v13, v16, s2
	v_perm_b32 v1, v15, v17, s2
	v_add_u32_e32 v17, 0x100, v4
	v_add_u32_e32 v16, 0x200, v4
	;; [unrolled: 1-line block ×3, first 2 shown]
	s_add_u32 s0, s10, s6
	v_lshrrev_b32_e32 v12, 5, v17
	v_lshrrev_b32_e32 v13, 5, v16
	;; [unrolled: 1-line block ×3, first 2 shown]
	s_addc_u32 s1, s11, 0
	v_lshl_or_b32 v0, v1, 16, v0
	v_lshrrev_b32_e32 v22, 5, v4
	v_and_b32_e32 v19, 60, v12
	v_and_b32_e32 v20, 60, v13
	;; [unrolled: 1-line block ×3, first 2 shown]
	s_waitcnt lgkmcnt(0)
	s_barrier
	s_barrier
	s_mov_b32 s7, 0
	ds_write_b32 v2, v0
	v_and_b32_e32 v18, 28, v22
	v_lshl_add_u64 v[0:1], s[0:1], 0, v[4:5]
	s_and_b64 vcc, exec, s[18:19]
	v_add_u32_e32 v19, v19, v4
	v_add_u32_e32 v20, v20, v4
	;; [unrolled: 1-line block ×3, first 2 shown]
	v_lshlrev_b32_e32 v5, 2, v7
	s_waitcnt lgkmcnt(0)
	s_cbranch_vccz .LBB1974_35
; %bb.34:
	v_add_u32_e32 v23, v18, v4
	s_barrier
	ds_read_u8 v23, v23
	ds_read_u8 v24, v19 offset:256
	ds_read_u8 v25, v20 offset:512
	;; [unrolled: 1-line block ×3, first 2 shown]
	v_lshl_add_u32 v22, v22, 2, v7
	s_lshl_b64 s[0:1], s[6:7], 2
	s_waitcnt lgkmcnt(3)
	global_store_byte v[0:1], v23, off
	s_waitcnt lgkmcnt(2)
	global_store_byte v[0:1], v24, off offset:256
	s_waitcnt lgkmcnt(1)
	global_store_byte v[0:1], v25, off offset:512
	;; [unrolled: 2-line block ×3, first 2 shown]
	v_lshl_add_u32 v23, v11, 2, v5
	s_barrier
	ds_write2_b32 v23, v3, v8 offset1:1
	ds_write2_b32 v23, v9, v10 offset0:2 offset1:3
	v_lshl_add_u32 v23, v12, 2, v7
	v_lshl_add_u32 v24, v13, 2, v7
	s_waitcnt lgkmcnt(0)
	s_barrier
	ds_read_b32 v25, v22
	ds_read_b32 v23, v23 offset:1024
	ds_read_b32 v24, v24 offset:2048
	v_lshl_add_u32 v22, v14, 2, v7
	ds_read_b32 v22, v22 offset:3072
	s_add_u32 s0, s14, s0
	s_addc_u32 s1, s15, s1
	s_waitcnt lgkmcnt(3)
	global_store_dword v6, v25, s[0:1]
	s_waitcnt lgkmcnt(2)
	global_store_dword v6, v23, s[0:1] offset:1024
	s_waitcnt lgkmcnt(1)
	global_store_dword v6, v24, s[0:1] offset:2048
	s_mov_b64 s[4:5], -1
	s_cbranch_execz .LBB1974_36
	s_branch .LBB1974_46
.LBB1974_35:
	s_mov_b64 s[4:5], 0
                                        ; implicit-def: $vgpr22
.LBB1974_36:
	s_barrier
	s_waitcnt lgkmcnt(0)
	ds_read_u8 v22, v19 offset:256
	ds_read_u8 v20, v20 offset:512
	ds_read_u8 v19, v21 offset:768
	s_sub_i32 s8, s16, s6
	v_cmp_gt_u32_e32 vcc, s8, v4
	s_and_saveexec_b64 s[0:1], vcc
	s_cbranch_execnz .LBB1974_51
; %bb.37:
	s_or_b64 exec, exec, s[0:1]
	v_cmp_gt_u32_e64 s[0:1], s8, v17
	s_and_saveexec_b64 s[2:3], s[0:1]
	s_cbranch_execnz .LBB1974_52
.LBB1974_38:
	s_or_b64 exec, exec, s[2:3]
	v_cmp_gt_u32_e64 s[2:3], s8, v16
	s_and_saveexec_b64 s[4:5], s[2:3]
	s_cbranch_execnz .LBB1974_53
.LBB1974_39:
	s_or_b64 exec, exec, s[4:5]
	v_cmp_gt_u32_e64 s[4:5], s8, v15
	s_and_saveexec_b64 s[8:9], s[4:5]
	s_cbranch_execz .LBB1974_41
.LBB1974_40:
	s_waitcnt lgkmcnt(0)
	global_store_byte v[0:1], v19, off offset:768
.LBB1974_41:
	s_or_b64 exec, exec, s[8:9]
	v_lshl_add_u32 v0, v11, 2, v5
	s_waitcnt lgkmcnt(0)
	s_barrier
	ds_write2_b32 v0, v3, v8 offset1:1
	ds_write2_b32 v0, v9, v10 offset0:2 offset1:3
	v_lshl_add_u32 v0, v12, 2, v7
	s_waitcnt lgkmcnt(0)
	s_barrier
	v_lshl_add_u32 v1, v13, 2, v7
	v_lshl_add_u32 v5, v14, 2, v7
	ds_read_b32 v4, v0 offset:1024
	ds_read_b32 v3, v1 offset:2048
	;; [unrolled: 1-line block ×3, first 2 shown]
	s_lshl_b64 s[8:9], s[6:7], 2
	s_add_u32 s8, s14, s8
	s_addc_u32 s9, s15, s9
	v_mov_b32_e32 v7, 0
	v_lshl_add_u64 v[0:1], s[8:9], 0, v[6:7]
	s_and_saveexec_b64 s[8:9], vcc
	s_cbranch_execnz .LBB1974_54
; %bb.42:
	s_or_b64 exec, exec, s[8:9]
	s_and_saveexec_b64 s[8:9], s[0:1]
	s_cbranch_execnz .LBB1974_55
.LBB1974_43:
	s_or_b64 exec, exec, s[8:9]
	s_and_saveexec_b64 s[0:1], s[2:3]
	s_cbranch_execz .LBB1974_45
.LBB1974_44:
	s_waitcnt lgkmcnt(1)
	global_store_dword v[0:1], v3, off offset:2048
.LBB1974_45:
	s_or_b64 exec, exec, s[0:1]
.LBB1974_46:
	s_and_saveexec_b64 s[0:1], s[4:5]
	s_cbranch_execz .LBB1974_48
; %bb.47:
	s_lshl_b64 s[0:1], s[6:7], 2
	s_add_u32 s0, s14, s0
	s_addc_u32 s1, s15, s1
	s_waitcnt lgkmcnt(0)
	global_store_dword v6, v22, s[0:1] offset:3072
.LBB1974_48:
	s_endpgm
.LBB1974_49:
	v_mov_b32_e32 v7, v0
	v_subrev_co_u32_e32 v18, vcc, s7, v4
	v_mov_b32_e32 v19, v0
	v_lshl_add_u64 v[2:3], s[0:1], 0, v[6:7]
	v_lshl_add_u64 v[18:19], v[18:19], 2, s[2:3]
	v_cndmask_b32_e32 v3, v19, v3, vcc
	v_cndmask_b32_e32 v2, v18, v2, vcc
	global_load_dword v18, v[2:3], off
	v_mov_b32_e32 v19, v0
	v_mov_b32_e32 v20, v0
	;; [unrolled: 1-line block ×3, first 2 shown]
	s_waitcnt vmcnt(0)
	v_mov_b64_e32 v[0:1], v[18:19]
	v_mov_b64_e32 v[2:3], v[20:21]
	s_or_b64 exec, exec, s[4:5]
	v_cmp_gt_u32_e32 vcc, s12, v8
	s_and_saveexec_b64 s[4:5], vcc
	s_cbranch_execz .LBB1974_18
.LBB1974_50:
	v_mov_b32_e32 v9, 0
	v_lshl_add_u64 v[18:19], v[8:9], 2, s[0:1]
	v_subrev_co_u32_e32 v8, vcc, s7, v8
	v_lshl_add_u64 v[8:9], v[8:9], 2, s[2:3]
	s_nop 0
	v_cndmask_b32_e32 v9, v9, v19, vcc
	v_cndmask_b32_e32 v8, v8, v18, vcc
	global_load_dword v1, v[8:9], off
	s_or_b64 exec, exec, s[4:5]
	v_cmp_gt_u32_e32 vcc, s12, v10
	s_and_saveexec_b64 s[4:5], vcc
	s_cbranch_execnz .LBB1974_19
	s_branch .LBB1974_20
.LBB1974_51:
	v_add_u32_e32 v4, v18, v4
	ds_read_u8 v4, v4
	s_waitcnt lgkmcnt(0)
	global_store_byte v[0:1], v4, off
	s_or_b64 exec, exec, s[0:1]
	v_cmp_gt_u32_e64 s[0:1], s8, v17
	s_and_saveexec_b64 s[2:3], s[0:1]
	s_cbranch_execz .LBB1974_38
.LBB1974_52:
	s_waitcnt lgkmcnt(2)
	global_store_byte v[0:1], v22, off offset:256
	s_or_b64 exec, exec, s[2:3]
	v_cmp_gt_u32_e64 s[2:3], s8, v16
	s_and_saveexec_b64 s[4:5], s[2:3]
	s_cbranch_execz .LBB1974_39
.LBB1974_53:
	s_waitcnt lgkmcnt(1)
	global_store_byte v[0:1], v20, off offset:512
	s_or_b64 exec, exec, s[4:5]
	v_cmp_gt_u32_e64 s[4:5], s8, v15
	s_and_saveexec_b64 s[8:9], s[4:5]
	s_cbranch_execnz .LBB1974_40
	s_branch .LBB1974_41
.LBB1974_54:
	ds_read_b32 v2, v2
	s_waitcnt lgkmcnt(0)
	global_store_dword v[0:1], v2, off
	s_or_b64 exec, exec, s[8:9]
	s_and_saveexec_b64 s[8:9], s[0:1]
	s_cbranch_execz .LBB1974_43
.LBB1974_55:
	s_waitcnt lgkmcnt(2)
	global_store_dword v[0:1], v4, off offset:1024
	s_or_b64 exec, exec, s[8:9]
	s_and_saveexec_b64 s[0:1], s[2:3]
	s_cbranch_execnz .LBB1974_44
	s_branch .LBB1974_45
	.section	.rodata,"a",@progbits
	.p2align	6, 0x0
	.amdhsa_kernel _ZN7rocprim17ROCPRIM_400000_NS6detail17trampoline_kernelINS0_14default_configENS1_38merge_sort_block_merge_config_selectorIbiEEZZNS1_27merge_sort_block_merge_implIS3_N6thrust23THRUST_200600_302600_NS6detail15normal_iteratorINS8_10device_ptrIbEEEENSA_INSB_IiEEEEjNS1_19radix_merge_compareILb0ELb1EbNS0_19identity_decomposerEEEEE10hipError_tT0_T1_T2_jT3_P12ihipStream_tbPNSt15iterator_traitsISK_E10value_typeEPNSQ_ISL_E10value_typeEPSM_NS1_7vsmem_tEENKUlT_SK_SL_SM_E_clIPbSD_PiSF_EESJ_SZ_SK_SL_SM_EUlSZ_E0_NS1_11comp_targetILNS1_3genE0ELNS1_11target_archE4294967295ELNS1_3gpuE0ELNS1_3repE0EEENS1_38merge_mergepath_config_static_selectorELNS0_4arch9wavefront6targetE1EEEvSL_
		.amdhsa_group_segment_fixed_size 5248
		.amdhsa_private_segment_fixed_size 0
		.amdhsa_kernarg_size 320
		.amdhsa_user_sgpr_count 4
		.amdhsa_user_sgpr_dispatch_ptr 1
		.amdhsa_user_sgpr_queue_ptr 0
		.amdhsa_user_sgpr_kernarg_segment_ptr 1
		.amdhsa_user_sgpr_dispatch_id 0
		.amdhsa_user_sgpr_kernarg_preload_length 0
		.amdhsa_user_sgpr_kernarg_preload_offset 0
		.amdhsa_user_sgpr_private_segment_size 0
		.amdhsa_uses_dynamic_stack 0
		.amdhsa_enable_private_segment 0
		.amdhsa_system_sgpr_workgroup_id_x 1
		.amdhsa_system_sgpr_workgroup_id_y 1
		.amdhsa_system_sgpr_workgroup_id_z 1
		.amdhsa_system_sgpr_workgroup_info 0
		.amdhsa_system_vgpr_workitem_id 2
		.amdhsa_next_free_vgpr 27
		.amdhsa_next_free_sgpr 30
		.amdhsa_accum_offset 28
		.amdhsa_reserve_vcc 1
		.amdhsa_float_round_mode_32 0
		.amdhsa_float_round_mode_16_64 0
		.amdhsa_float_denorm_mode_32 3
		.amdhsa_float_denorm_mode_16_64 3
		.amdhsa_dx10_clamp 1
		.amdhsa_ieee_mode 1
		.amdhsa_fp16_overflow 0
		.amdhsa_tg_split 0
		.amdhsa_exception_fp_ieee_invalid_op 0
		.amdhsa_exception_fp_denorm_src 0
		.amdhsa_exception_fp_ieee_div_zero 0
		.amdhsa_exception_fp_ieee_overflow 0
		.amdhsa_exception_fp_ieee_underflow 0
		.amdhsa_exception_fp_ieee_inexact 0
		.amdhsa_exception_int_div_zero 0
	.end_amdhsa_kernel
	.section	.text._ZN7rocprim17ROCPRIM_400000_NS6detail17trampoline_kernelINS0_14default_configENS1_38merge_sort_block_merge_config_selectorIbiEEZZNS1_27merge_sort_block_merge_implIS3_N6thrust23THRUST_200600_302600_NS6detail15normal_iteratorINS8_10device_ptrIbEEEENSA_INSB_IiEEEEjNS1_19radix_merge_compareILb0ELb1EbNS0_19identity_decomposerEEEEE10hipError_tT0_T1_T2_jT3_P12ihipStream_tbPNSt15iterator_traitsISK_E10value_typeEPNSQ_ISL_E10value_typeEPSM_NS1_7vsmem_tEENKUlT_SK_SL_SM_E_clIPbSD_PiSF_EESJ_SZ_SK_SL_SM_EUlSZ_E0_NS1_11comp_targetILNS1_3genE0ELNS1_11target_archE4294967295ELNS1_3gpuE0ELNS1_3repE0EEENS1_38merge_mergepath_config_static_selectorELNS0_4arch9wavefront6targetE1EEEvSL_,"axG",@progbits,_ZN7rocprim17ROCPRIM_400000_NS6detail17trampoline_kernelINS0_14default_configENS1_38merge_sort_block_merge_config_selectorIbiEEZZNS1_27merge_sort_block_merge_implIS3_N6thrust23THRUST_200600_302600_NS6detail15normal_iteratorINS8_10device_ptrIbEEEENSA_INSB_IiEEEEjNS1_19radix_merge_compareILb0ELb1EbNS0_19identity_decomposerEEEEE10hipError_tT0_T1_T2_jT3_P12ihipStream_tbPNSt15iterator_traitsISK_E10value_typeEPNSQ_ISL_E10value_typeEPSM_NS1_7vsmem_tEENKUlT_SK_SL_SM_E_clIPbSD_PiSF_EESJ_SZ_SK_SL_SM_EUlSZ_E0_NS1_11comp_targetILNS1_3genE0ELNS1_11target_archE4294967295ELNS1_3gpuE0ELNS1_3repE0EEENS1_38merge_mergepath_config_static_selectorELNS0_4arch9wavefront6targetE1EEEvSL_,comdat
.Lfunc_end1974:
	.size	_ZN7rocprim17ROCPRIM_400000_NS6detail17trampoline_kernelINS0_14default_configENS1_38merge_sort_block_merge_config_selectorIbiEEZZNS1_27merge_sort_block_merge_implIS3_N6thrust23THRUST_200600_302600_NS6detail15normal_iteratorINS8_10device_ptrIbEEEENSA_INSB_IiEEEEjNS1_19radix_merge_compareILb0ELb1EbNS0_19identity_decomposerEEEEE10hipError_tT0_T1_T2_jT3_P12ihipStream_tbPNSt15iterator_traitsISK_E10value_typeEPNSQ_ISL_E10value_typeEPSM_NS1_7vsmem_tEENKUlT_SK_SL_SM_E_clIPbSD_PiSF_EESJ_SZ_SK_SL_SM_EUlSZ_E0_NS1_11comp_targetILNS1_3genE0ELNS1_11target_archE4294967295ELNS1_3gpuE0ELNS1_3repE0EEENS1_38merge_mergepath_config_static_selectorELNS0_4arch9wavefront6targetE1EEEvSL_, .Lfunc_end1974-_ZN7rocprim17ROCPRIM_400000_NS6detail17trampoline_kernelINS0_14default_configENS1_38merge_sort_block_merge_config_selectorIbiEEZZNS1_27merge_sort_block_merge_implIS3_N6thrust23THRUST_200600_302600_NS6detail15normal_iteratorINS8_10device_ptrIbEEEENSA_INSB_IiEEEEjNS1_19radix_merge_compareILb0ELb1EbNS0_19identity_decomposerEEEEE10hipError_tT0_T1_T2_jT3_P12ihipStream_tbPNSt15iterator_traitsISK_E10value_typeEPNSQ_ISL_E10value_typeEPSM_NS1_7vsmem_tEENKUlT_SK_SL_SM_E_clIPbSD_PiSF_EESJ_SZ_SK_SL_SM_EUlSZ_E0_NS1_11comp_targetILNS1_3genE0ELNS1_11target_archE4294967295ELNS1_3gpuE0ELNS1_3repE0EEENS1_38merge_mergepath_config_static_selectorELNS0_4arch9wavefront6targetE1EEEvSL_
                                        ; -- End function
	.set _ZN7rocprim17ROCPRIM_400000_NS6detail17trampoline_kernelINS0_14default_configENS1_38merge_sort_block_merge_config_selectorIbiEEZZNS1_27merge_sort_block_merge_implIS3_N6thrust23THRUST_200600_302600_NS6detail15normal_iteratorINS8_10device_ptrIbEEEENSA_INSB_IiEEEEjNS1_19radix_merge_compareILb0ELb1EbNS0_19identity_decomposerEEEEE10hipError_tT0_T1_T2_jT3_P12ihipStream_tbPNSt15iterator_traitsISK_E10value_typeEPNSQ_ISL_E10value_typeEPSM_NS1_7vsmem_tEENKUlT_SK_SL_SM_E_clIPbSD_PiSF_EESJ_SZ_SK_SL_SM_EUlSZ_E0_NS1_11comp_targetILNS1_3genE0ELNS1_11target_archE4294967295ELNS1_3gpuE0ELNS1_3repE0EEENS1_38merge_mergepath_config_static_selectorELNS0_4arch9wavefront6targetE1EEEvSL_.num_vgpr, 27
	.set _ZN7rocprim17ROCPRIM_400000_NS6detail17trampoline_kernelINS0_14default_configENS1_38merge_sort_block_merge_config_selectorIbiEEZZNS1_27merge_sort_block_merge_implIS3_N6thrust23THRUST_200600_302600_NS6detail15normal_iteratorINS8_10device_ptrIbEEEENSA_INSB_IiEEEEjNS1_19radix_merge_compareILb0ELb1EbNS0_19identity_decomposerEEEEE10hipError_tT0_T1_T2_jT3_P12ihipStream_tbPNSt15iterator_traitsISK_E10value_typeEPNSQ_ISL_E10value_typeEPSM_NS1_7vsmem_tEENKUlT_SK_SL_SM_E_clIPbSD_PiSF_EESJ_SZ_SK_SL_SM_EUlSZ_E0_NS1_11comp_targetILNS1_3genE0ELNS1_11target_archE4294967295ELNS1_3gpuE0ELNS1_3repE0EEENS1_38merge_mergepath_config_static_selectorELNS0_4arch9wavefront6targetE1EEEvSL_.num_agpr, 0
	.set _ZN7rocprim17ROCPRIM_400000_NS6detail17trampoline_kernelINS0_14default_configENS1_38merge_sort_block_merge_config_selectorIbiEEZZNS1_27merge_sort_block_merge_implIS3_N6thrust23THRUST_200600_302600_NS6detail15normal_iteratorINS8_10device_ptrIbEEEENSA_INSB_IiEEEEjNS1_19radix_merge_compareILb0ELb1EbNS0_19identity_decomposerEEEEE10hipError_tT0_T1_T2_jT3_P12ihipStream_tbPNSt15iterator_traitsISK_E10value_typeEPNSQ_ISL_E10value_typeEPSM_NS1_7vsmem_tEENKUlT_SK_SL_SM_E_clIPbSD_PiSF_EESJ_SZ_SK_SL_SM_EUlSZ_E0_NS1_11comp_targetILNS1_3genE0ELNS1_11target_archE4294967295ELNS1_3gpuE0ELNS1_3repE0EEENS1_38merge_mergepath_config_static_selectorELNS0_4arch9wavefront6targetE1EEEvSL_.numbered_sgpr, 30
	.set _ZN7rocprim17ROCPRIM_400000_NS6detail17trampoline_kernelINS0_14default_configENS1_38merge_sort_block_merge_config_selectorIbiEEZZNS1_27merge_sort_block_merge_implIS3_N6thrust23THRUST_200600_302600_NS6detail15normal_iteratorINS8_10device_ptrIbEEEENSA_INSB_IiEEEEjNS1_19radix_merge_compareILb0ELb1EbNS0_19identity_decomposerEEEEE10hipError_tT0_T1_T2_jT3_P12ihipStream_tbPNSt15iterator_traitsISK_E10value_typeEPNSQ_ISL_E10value_typeEPSM_NS1_7vsmem_tEENKUlT_SK_SL_SM_E_clIPbSD_PiSF_EESJ_SZ_SK_SL_SM_EUlSZ_E0_NS1_11comp_targetILNS1_3genE0ELNS1_11target_archE4294967295ELNS1_3gpuE0ELNS1_3repE0EEENS1_38merge_mergepath_config_static_selectorELNS0_4arch9wavefront6targetE1EEEvSL_.num_named_barrier, 0
	.set _ZN7rocprim17ROCPRIM_400000_NS6detail17trampoline_kernelINS0_14default_configENS1_38merge_sort_block_merge_config_selectorIbiEEZZNS1_27merge_sort_block_merge_implIS3_N6thrust23THRUST_200600_302600_NS6detail15normal_iteratorINS8_10device_ptrIbEEEENSA_INSB_IiEEEEjNS1_19radix_merge_compareILb0ELb1EbNS0_19identity_decomposerEEEEE10hipError_tT0_T1_T2_jT3_P12ihipStream_tbPNSt15iterator_traitsISK_E10value_typeEPNSQ_ISL_E10value_typeEPSM_NS1_7vsmem_tEENKUlT_SK_SL_SM_E_clIPbSD_PiSF_EESJ_SZ_SK_SL_SM_EUlSZ_E0_NS1_11comp_targetILNS1_3genE0ELNS1_11target_archE4294967295ELNS1_3gpuE0ELNS1_3repE0EEENS1_38merge_mergepath_config_static_selectorELNS0_4arch9wavefront6targetE1EEEvSL_.private_seg_size, 0
	.set _ZN7rocprim17ROCPRIM_400000_NS6detail17trampoline_kernelINS0_14default_configENS1_38merge_sort_block_merge_config_selectorIbiEEZZNS1_27merge_sort_block_merge_implIS3_N6thrust23THRUST_200600_302600_NS6detail15normal_iteratorINS8_10device_ptrIbEEEENSA_INSB_IiEEEEjNS1_19radix_merge_compareILb0ELb1EbNS0_19identity_decomposerEEEEE10hipError_tT0_T1_T2_jT3_P12ihipStream_tbPNSt15iterator_traitsISK_E10value_typeEPNSQ_ISL_E10value_typeEPSM_NS1_7vsmem_tEENKUlT_SK_SL_SM_E_clIPbSD_PiSF_EESJ_SZ_SK_SL_SM_EUlSZ_E0_NS1_11comp_targetILNS1_3genE0ELNS1_11target_archE4294967295ELNS1_3gpuE0ELNS1_3repE0EEENS1_38merge_mergepath_config_static_selectorELNS0_4arch9wavefront6targetE1EEEvSL_.uses_vcc, 1
	.set _ZN7rocprim17ROCPRIM_400000_NS6detail17trampoline_kernelINS0_14default_configENS1_38merge_sort_block_merge_config_selectorIbiEEZZNS1_27merge_sort_block_merge_implIS3_N6thrust23THRUST_200600_302600_NS6detail15normal_iteratorINS8_10device_ptrIbEEEENSA_INSB_IiEEEEjNS1_19radix_merge_compareILb0ELb1EbNS0_19identity_decomposerEEEEE10hipError_tT0_T1_T2_jT3_P12ihipStream_tbPNSt15iterator_traitsISK_E10value_typeEPNSQ_ISL_E10value_typeEPSM_NS1_7vsmem_tEENKUlT_SK_SL_SM_E_clIPbSD_PiSF_EESJ_SZ_SK_SL_SM_EUlSZ_E0_NS1_11comp_targetILNS1_3genE0ELNS1_11target_archE4294967295ELNS1_3gpuE0ELNS1_3repE0EEENS1_38merge_mergepath_config_static_selectorELNS0_4arch9wavefront6targetE1EEEvSL_.uses_flat_scratch, 0
	.set _ZN7rocprim17ROCPRIM_400000_NS6detail17trampoline_kernelINS0_14default_configENS1_38merge_sort_block_merge_config_selectorIbiEEZZNS1_27merge_sort_block_merge_implIS3_N6thrust23THRUST_200600_302600_NS6detail15normal_iteratorINS8_10device_ptrIbEEEENSA_INSB_IiEEEEjNS1_19radix_merge_compareILb0ELb1EbNS0_19identity_decomposerEEEEE10hipError_tT0_T1_T2_jT3_P12ihipStream_tbPNSt15iterator_traitsISK_E10value_typeEPNSQ_ISL_E10value_typeEPSM_NS1_7vsmem_tEENKUlT_SK_SL_SM_E_clIPbSD_PiSF_EESJ_SZ_SK_SL_SM_EUlSZ_E0_NS1_11comp_targetILNS1_3genE0ELNS1_11target_archE4294967295ELNS1_3gpuE0ELNS1_3repE0EEENS1_38merge_mergepath_config_static_selectorELNS0_4arch9wavefront6targetE1EEEvSL_.has_dyn_sized_stack, 0
	.set _ZN7rocprim17ROCPRIM_400000_NS6detail17trampoline_kernelINS0_14default_configENS1_38merge_sort_block_merge_config_selectorIbiEEZZNS1_27merge_sort_block_merge_implIS3_N6thrust23THRUST_200600_302600_NS6detail15normal_iteratorINS8_10device_ptrIbEEEENSA_INSB_IiEEEEjNS1_19radix_merge_compareILb0ELb1EbNS0_19identity_decomposerEEEEE10hipError_tT0_T1_T2_jT3_P12ihipStream_tbPNSt15iterator_traitsISK_E10value_typeEPNSQ_ISL_E10value_typeEPSM_NS1_7vsmem_tEENKUlT_SK_SL_SM_E_clIPbSD_PiSF_EESJ_SZ_SK_SL_SM_EUlSZ_E0_NS1_11comp_targetILNS1_3genE0ELNS1_11target_archE4294967295ELNS1_3gpuE0ELNS1_3repE0EEENS1_38merge_mergepath_config_static_selectorELNS0_4arch9wavefront6targetE1EEEvSL_.has_recursion, 0
	.set _ZN7rocprim17ROCPRIM_400000_NS6detail17trampoline_kernelINS0_14default_configENS1_38merge_sort_block_merge_config_selectorIbiEEZZNS1_27merge_sort_block_merge_implIS3_N6thrust23THRUST_200600_302600_NS6detail15normal_iteratorINS8_10device_ptrIbEEEENSA_INSB_IiEEEEjNS1_19radix_merge_compareILb0ELb1EbNS0_19identity_decomposerEEEEE10hipError_tT0_T1_T2_jT3_P12ihipStream_tbPNSt15iterator_traitsISK_E10value_typeEPNSQ_ISL_E10value_typeEPSM_NS1_7vsmem_tEENKUlT_SK_SL_SM_E_clIPbSD_PiSF_EESJ_SZ_SK_SL_SM_EUlSZ_E0_NS1_11comp_targetILNS1_3genE0ELNS1_11target_archE4294967295ELNS1_3gpuE0ELNS1_3repE0EEENS1_38merge_mergepath_config_static_selectorELNS0_4arch9wavefront6targetE1EEEvSL_.has_indirect_call, 0
	.section	.AMDGPU.csdata,"",@progbits
; Kernel info:
; codeLenInByte = 3364
; TotalNumSgprs: 36
; NumVgprs: 27
; NumAgprs: 0
; TotalNumVgprs: 27
; ScratchSize: 0
; MemoryBound: 0
; FloatMode: 240
; IeeeMode: 1
; LDSByteSize: 5248 bytes/workgroup (compile time only)
; SGPRBlocks: 4
; VGPRBlocks: 3
; NumSGPRsForWavesPerEU: 36
; NumVGPRsForWavesPerEU: 27
; AccumOffset: 28
; Occupancy: 8
; WaveLimiterHint : 1
; COMPUTE_PGM_RSRC2:SCRATCH_EN: 0
; COMPUTE_PGM_RSRC2:USER_SGPR: 4
; COMPUTE_PGM_RSRC2:TRAP_HANDLER: 0
; COMPUTE_PGM_RSRC2:TGID_X_EN: 1
; COMPUTE_PGM_RSRC2:TGID_Y_EN: 1
; COMPUTE_PGM_RSRC2:TGID_Z_EN: 1
; COMPUTE_PGM_RSRC2:TIDIG_COMP_CNT: 2
; COMPUTE_PGM_RSRC3_GFX90A:ACCUM_OFFSET: 6
; COMPUTE_PGM_RSRC3_GFX90A:TG_SPLIT: 0
	.section	.text._ZN7rocprim17ROCPRIM_400000_NS6detail17trampoline_kernelINS0_14default_configENS1_38merge_sort_block_merge_config_selectorIbiEEZZNS1_27merge_sort_block_merge_implIS3_N6thrust23THRUST_200600_302600_NS6detail15normal_iteratorINS8_10device_ptrIbEEEENSA_INSB_IiEEEEjNS1_19radix_merge_compareILb0ELb1EbNS0_19identity_decomposerEEEEE10hipError_tT0_T1_T2_jT3_P12ihipStream_tbPNSt15iterator_traitsISK_E10value_typeEPNSQ_ISL_E10value_typeEPSM_NS1_7vsmem_tEENKUlT_SK_SL_SM_E_clIPbSD_PiSF_EESJ_SZ_SK_SL_SM_EUlSZ_E0_NS1_11comp_targetILNS1_3genE10ELNS1_11target_archE1201ELNS1_3gpuE5ELNS1_3repE0EEENS1_38merge_mergepath_config_static_selectorELNS0_4arch9wavefront6targetE1EEEvSL_,"axG",@progbits,_ZN7rocprim17ROCPRIM_400000_NS6detail17trampoline_kernelINS0_14default_configENS1_38merge_sort_block_merge_config_selectorIbiEEZZNS1_27merge_sort_block_merge_implIS3_N6thrust23THRUST_200600_302600_NS6detail15normal_iteratorINS8_10device_ptrIbEEEENSA_INSB_IiEEEEjNS1_19radix_merge_compareILb0ELb1EbNS0_19identity_decomposerEEEEE10hipError_tT0_T1_T2_jT3_P12ihipStream_tbPNSt15iterator_traitsISK_E10value_typeEPNSQ_ISL_E10value_typeEPSM_NS1_7vsmem_tEENKUlT_SK_SL_SM_E_clIPbSD_PiSF_EESJ_SZ_SK_SL_SM_EUlSZ_E0_NS1_11comp_targetILNS1_3genE10ELNS1_11target_archE1201ELNS1_3gpuE5ELNS1_3repE0EEENS1_38merge_mergepath_config_static_selectorELNS0_4arch9wavefront6targetE1EEEvSL_,comdat
	.protected	_ZN7rocprim17ROCPRIM_400000_NS6detail17trampoline_kernelINS0_14default_configENS1_38merge_sort_block_merge_config_selectorIbiEEZZNS1_27merge_sort_block_merge_implIS3_N6thrust23THRUST_200600_302600_NS6detail15normal_iteratorINS8_10device_ptrIbEEEENSA_INSB_IiEEEEjNS1_19radix_merge_compareILb0ELb1EbNS0_19identity_decomposerEEEEE10hipError_tT0_T1_T2_jT3_P12ihipStream_tbPNSt15iterator_traitsISK_E10value_typeEPNSQ_ISL_E10value_typeEPSM_NS1_7vsmem_tEENKUlT_SK_SL_SM_E_clIPbSD_PiSF_EESJ_SZ_SK_SL_SM_EUlSZ_E0_NS1_11comp_targetILNS1_3genE10ELNS1_11target_archE1201ELNS1_3gpuE5ELNS1_3repE0EEENS1_38merge_mergepath_config_static_selectorELNS0_4arch9wavefront6targetE1EEEvSL_ ; -- Begin function _ZN7rocprim17ROCPRIM_400000_NS6detail17trampoline_kernelINS0_14default_configENS1_38merge_sort_block_merge_config_selectorIbiEEZZNS1_27merge_sort_block_merge_implIS3_N6thrust23THRUST_200600_302600_NS6detail15normal_iteratorINS8_10device_ptrIbEEEENSA_INSB_IiEEEEjNS1_19radix_merge_compareILb0ELb1EbNS0_19identity_decomposerEEEEE10hipError_tT0_T1_T2_jT3_P12ihipStream_tbPNSt15iterator_traitsISK_E10value_typeEPNSQ_ISL_E10value_typeEPSM_NS1_7vsmem_tEENKUlT_SK_SL_SM_E_clIPbSD_PiSF_EESJ_SZ_SK_SL_SM_EUlSZ_E0_NS1_11comp_targetILNS1_3genE10ELNS1_11target_archE1201ELNS1_3gpuE5ELNS1_3repE0EEENS1_38merge_mergepath_config_static_selectorELNS0_4arch9wavefront6targetE1EEEvSL_
	.globl	_ZN7rocprim17ROCPRIM_400000_NS6detail17trampoline_kernelINS0_14default_configENS1_38merge_sort_block_merge_config_selectorIbiEEZZNS1_27merge_sort_block_merge_implIS3_N6thrust23THRUST_200600_302600_NS6detail15normal_iteratorINS8_10device_ptrIbEEEENSA_INSB_IiEEEEjNS1_19radix_merge_compareILb0ELb1EbNS0_19identity_decomposerEEEEE10hipError_tT0_T1_T2_jT3_P12ihipStream_tbPNSt15iterator_traitsISK_E10value_typeEPNSQ_ISL_E10value_typeEPSM_NS1_7vsmem_tEENKUlT_SK_SL_SM_E_clIPbSD_PiSF_EESJ_SZ_SK_SL_SM_EUlSZ_E0_NS1_11comp_targetILNS1_3genE10ELNS1_11target_archE1201ELNS1_3gpuE5ELNS1_3repE0EEENS1_38merge_mergepath_config_static_selectorELNS0_4arch9wavefront6targetE1EEEvSL_
	.p2align	8
	.type	_ZN7rocprim17ROCPRIM_400000_NS6detail17trampoline_kernelINS0_14default_configENS1_38merge_sort_block_merge_config_selectorIbiEEZZNS1_27merge_sort_block_merge_implIS3_N6thrust23THRUST_200600_302600_NS6detail15normal_iteratorINS8_10device_ptrIbEEEENSA_INSB_IiEEEEjNS1_19radix_merge_compareILb0ELb1EbNS0_19identity_decomposerEEEEE10hipError_tT0_T1_T2_jT3_P12ihipStream_tbPNSt15iterator_traitsISK_E10value_typeEPNSQ_ISL_E10value_typeEPSM_NS1_7vsmem_tEENKUlT_SK_SL_SM_E_clIPbSD_PiSF_EESJ_SZ_SK_SL_SM_EUlSZ_E0_NS1_11comp_targetILNS1_3genE10ELNS1_11target_archE1201ELNS1_3gpuE5ELNS1_3repE0EEENS1_38merge_mergepath_config_static_selectorELNS0_4arch9wavefront6targetE1EEEvSL_,@function
_ZN7rocprim17ROCPRIM_400000_NS6detail17trampoline_kernelINS0_14default_configENS1_38merge_sort_block_merge_config_selectorIbiEEZZNS1_27merge_sort_block_merge_implIS3_N6thrust23THRUST_200600_302600_NS6detail15normal_iteratorINS8_10device_ptrIbEEEENSA_INSB_IiEEEEjNS1_19radix_merge_compareILb0ELb1EbNS0_19identity_decomposerEEEEE10hipError_tT0_T1_T2_jT3_P12ihipStream_tbPNSt15iterator_traitsISK_E10value_typeEPNSQ_ISL_E10value_typeEPSM_NS1_7vsmem_tEENKUlT_SK_SL_SM_E_clIPbSD_PiSF_EESJ_SZ_SK_SL_SM_EUlSZ_E0_NS1_11comp_targetILNS1_3genE10ELNS1_11target_archE1201ELNS1_3gpuE5ELNS1_3repE0EEENS1_38merge_mergepath_config_static_selectorELNS0_4arch9wavefront6targetE1EEEvSL_: ; @_ZN7rocprim17ROCPRIM_400000_NS6detail17trampoline_kernelINS0_14default_configENS1_38merge_sort_block_merge_config_selectorIbiEEZZNS1_27merge_sort_block_merge_implIS3_N6thrust23THRUST_200600_302600_NS6detail15normal_iteratorINS8_10device_ptrIbEEEENSA_INSB_IiEEEEjNS1_19radix_merge_compareILb0ELb1EbNS0_19identity_decomposerEEEEE10hipError_tT0_T1_T2_jT3_P12ihipStream_tbPNSt15iterator_traitsISK_E10value_typeEPNSQ_ISL_E10value_typeEPSM_NS1_7vsmem_tEENKUlT_SK_SL_SM_E_clIPbSD_PiSF_EESJ_SZ_SK_SL_SM_EUlSZ_E0_NS1_11comp_targetILNS1_3genE10ELNS1_11target_archE1201ELNS1_3gpuE5ELNS1_3repE0EEENS1_38merge_mergepath_config_static_selectorELNS0_4arch9wavefront6targetE1EEEvSL_
; %bb.0:
	.section	.rodata,"a",@progbits
	.p2align	6, 0x0
	.amdhsa_kernel _ZN7rocprim17ROCPRIM_400000_NS6detail17trampoline_kernelINS0_14default_configENS1_38merge_sort_block_merge_config_selectorIbiEEZZNS1_27merge_sort_block_merge_implIS3_N6thrust23THRUST_200600_302600_NS6detail15normal_iteratorINS8_10device_ptrIbEEEENSA_INSB_IiEEEEjNS1_19radix_merge_compareILb0ELb1EbNS0_19identity_decomposerEEEEE10hipError_tT0_T1_T2_jT3_P12ihipStream_tbPNSt15iterator_traitsISK_E10value_typeEPNSQ_ISL_E10value_typeEPSM_NS1_7vsmem_tEENKUlT_SK_SL_SM_E_clIPbSD_PiSF_EESJ_SZ_SK_SL_SM_EUlSZ_E0_NS1_11comp_targetILNS1_3genE10ELNS1_11target_archE1201ELNS1_3gpuE5ELNS1_3repE0EEENS1_38merge_mergepath_config_static_selectorELNS0_4arch9wavefront6targetE1EEEvSL_
		.amdhsa_group_segment_fixed_size 0
		.amdhsa_private_segment_fixed_size 0
		.amdhsa_kernarg_size 64
		.amdhsa_user_sgpr_count 2
		.amdhsa_user_sgpr_dispatch_ptr 0
		.amdhsa_user_sgpr_queue_ptr 0
		.amdhsa_user_sgpr_kernarg_segment_ptr 1
		.amdhsa_user_sgpr_dispatch_id 0
		.amdhsa_user_sgpr_kernarg_preload_length 0
		.amdhsa_user_sgpr_kernarg_preload_offset 0
		.amdhsa_user_sgpr_private_segment_size 0
		.amdhsa_uses_dynamic_stack 0
		.amdhsa_enable_private_segment 0
		.amdhsa_system_sgpr_workgroup_id_x 1
		.amdhsa_system_sgpr_workgroup_id_y 0
		.amdhsa_system_sgpr_workgroup_id_z 0
		.amdhsa_system_sgpr_workgroup_info 0
		.amdhsa_system_vgpr_workitem_id 0
		.amdhsa_next_free_vgpr 1
		.amdhsa_next_free_sgpr 0
		.amdhsa_accum_offset 4
		.amdhsa_reserve_vcc 0
		.amdhsa_float_round_mode_32 0
		.amdhsa_float_round_mode_16_64 0
		.amdhsa_float_denorm_mode_32 3
		.amdhsa_float_denorm_mode_16_64 3
		.amdhsa_dx10_clamp 1
		.amdhsa_ieee_mode 1
		.amdhsa_fp16_overflow 0
		.amdhsa_tg_split 0
		.amdhsa_exception_fp_ieee_invalid_op 0
		.amdhsa_exception_fp_denorm_src 0
		.amdhsa_exception_fp_ieee_div_zero 0
		.amdhsa_exception_fp_ieee_overflow 0
		.amdhsa_exception_fp_ieee_underflow 0
		.amdhsa_exception_fp_ieee_inexact 0
		.amdhsa_exception_int_div_zero 0
	.end_amdhsa_kernel
	.section	.text._ZN7rocprim17ROCPRIM_400000_NS6detail17trampoline_kernelINS0_14default_configENS1_38merge_sort_block_merge_config_selectorIbiEEZZNS1_27merge_sort_block_merge_implIS3_N6thrust23THRUST_200600_302600_NS6detail15normal_iteratorINS8_10device_ptrIbEEEENSA_INSB_IiEEEEjNS1_19radix_merge_compareILb0ELb1EbNS0_19identity_decomposerEEEEE10hipError_tT0_T1_T2_jT3_P12ihipStream_tbPNSt15iterator_traitsISK_E10value_typeEPNSQ_ISL_E10value_typeEPSM_NS1_7vsmem_tEENKUlT_SK_SL_SM_E_clIPbSD_PiSF_EESJ_SZ_SK_SL_SM_EUlSZ_E0_NS1_11comp_targetILNS1_3genE10ELNS1_11target_archE1201ELNS1_3gpuE5ELNS1_3repE0EEENS1_38merge_mergepath_config_static_selectorELNS0_4arch9wavefront6targetE1EEEvSL_,"axG",@progbits,_ZN7rocprim17ROCPRIM_400000_NS6detail17trampoline_kernelINS0_14default_configENS1_38merge_sort_block_merge_config_selectorIbiEEZZNS1_27merge_sort_block_merge_implIS3_N6thrust23THRUST_200600_302600_NS6detail15normal_iteratorINS8_10device_ptrIbEEEENSA_INSB_IiEEEEjNS1_19radix_merge_compareILb0ELb1EbNS0_19identity_decomposerEEEEE10hipError_tT0_T1_T2_jT3_P12ihipStream_tbPNSt15iterator_traitsISK_E10value_typeEPNSQ_ISL_E10value_typeEPSM_NS1_7vsmem_tEENKUlT_SK_SL_SM_E_clIPbSD_PiSF_EESJ_SZ_SK_SL_SM_EUlSZ_E0_NS1_11comp_targetILNS1_3genE10ELNS1_11target_archE1201ELNS1_3gpuE5ELNS1_3repE0EEENS1_38merge_mergepath_config_static_selectorELNS0_4arch9wavefront6targetE1EEEvSL_,comdat
.Lfunc_end1975:
	.size	_ZN7rocprim17ROCPRIM_400000_NS6detail17trampoline_kernelINS0_14default_configENS1_38merge_sort_block_merge_config_selectorIbiEEZZNS1_27merge_sort_block_merge_implIS3_N6thrust23THRUST_200600_302600_NS6detail15normal_iteratorINS8_10device_ptrIbEEEENSA_INSB_IiEEEEjNS1_19radix_merge_compareILb0ELb1EbNS0_19identity_decomposerEEEEE10hipError_tT0_T1_T2_jT3_P12ihipStream_tbPNSt15iterator_traitsISK_E10value_typeEPNSQ_ISL_E10value_typeEPSM_NS1_7vsmem_tEENKUlT_SK_SL_SM_E_clIPbSD_PiSF_EESJ_SZ_SK_SL_SM_EUlSZ_E0_NS1_11comp_targetILNS1_3genE10ELNS1_11target_archE1201ELNS1_3gpuE5ELNS1_3repE0EEENS1_38merge_mergepath_config_static_selectorELNS0_4arch9wavefront6targetE1EEEvSL_, .Lfunc_end1975-_ZN7rocprim17ROCPRIM_400000_NS6detail17trampoline_kernelINS0_14default_configENS1_38merge_sort_block_merge_config_selectorIbiEEZZNS1_27merge_sort_block_merge_implIS3_N6thrust23THRUST_200600_302600_NS6detail15normal_iteratorINS8_10device_ptrIbEEEENSA_INSB_IiEEEEjNS1_19radix_merge_compareILb0ELb1EbNS0_19identity_decomposerEEEEE10hipError_tT0_T1_T2_jT3_P12ihipStream_tbPNSt15iterator_traitsISK_E10value_typeEPNSQ_ISL_E10value_typeEPSM_NS1_7vsmem_tEENKUlT_SK_SL_SM_E_clIPbSD_PiSF_EESJ_SZ_SK_SL_SM_EUlSZ_E0_NS1_11comp_targetILNS1_3genE10ELNS1_11target_archE1201ELNS1_3gpuE5ELNS1_3repE0EEENS1_38merge_mergepath_config_static_selectorELNS0_4arch9wavefront6targetE1EEEvSL_
                                        ; -- End function
	.set _ZN7rocprim17ROCPRIM_400000_NS6detail17trampoline_kernelINS0_14default_configENS1_38merge_sort_block_merge_config_selectorIbiEEZZNS1_27merge_sort_block_merge_implIS3_N6thrust23THRUST_200600_302600_NS6detail15normal_iteratorINS8_10device_ptrIbEEEENSA_INSB_IiEEEEjNS1_19radix_merge_compareILb0ELb1EbNS0_19identity_decomposerEEEEE10hipError_tT0_T1_T2_jT3_P12ihipStream_tbPNSt15iterator_traitsISK_E10value_typeEPNSQ_ISL_E10value_typeEPSM_NS1_7vsmem_tEENKUlT_SK_SL_SM_E_clIPbSD_PiSF_EESJ_SZ_SK_SL_SM_EUlSZ_E0_NS1_11comp_targetILNS1_3genE10ELNS1_11target_archE1201ELNS1_3gpuE5ELNS1_3repE0EEENS1_38merge_mergepath_config_static_selectorELNS0_4arch9wavefront6targetE1EEEvSL_.num_vgpr, 0
	.set _ZN7rocprim17ROCPRIM_400000_NS6detail17trampoline_kernelINS0_14default_configENS1_38merge_sort_block_merge_config_selectorIbiEEZZNS1_27merge_sort_block_merge_implIS3_N6thrust23THRUST_200600_302600_NS6detail15normal_iteratorINS8_10device_ptrIbEEEENSA_INSB_IiEEEEjNS1_19radix_merge_compareILb0ELb1EbNS0_19identity_decomposerEEEEE10hipError_tT0_T1_T2_jT3_P12ihipStream_tbPNSt15iterator_traitsISK_E10value_typeEPNSQ_ISL_E10value_typeEPSM_NS1_7vsmem_tEENKUlT_SK_SL_SM_E_clIPbSD_PiSF_EESJ_SZ_SK_SL_SM_EUlSZ_E0_NS1_11comp_targetILNS1_3genE10ELNS1_11target_archE1201ELNS1_3gpuE5ELNS1_3repE0EEENS1_38merge_mergepath_config_static_selectorELNS0_4arch9wavefront6targetE1EEEvSL_.num_agpr, 0
	.set _ZN7rocprim17ROCPRIM_400000_NS6detail17trampoline_kernelINS0_14default_configENS1_38merge_sort_block_merge_config_selectorIbiEEZZNS1_27merge_sort_block_merge_implIS3_N6thrust23THRUST_200600_302600_NS6detail15normal_iteratorINS8_10device_ptrIbEEEENSA_INSB_IiEEEEjNS1_19radix_merge_compareILb0ELb1EbNS0_19identity_decomposerEEEEE10hipError_tT0_T1_T2_jT3_P12ihipStream_tbPNSt15iterator_traitsISK_E10value_typeEPNSQ_ISL_E10value_typeEPSM_NS1_7vsmem_tEENKUlT_SK_SL_SM_E_clIPbSD_PiSF_EESJ_SZ_SK_SL_SM_EUlSZ_E0_NS1_11comp_targetILNS1_3genE10ELNS1_11target_archE1201ELNS1_3gpuE5ELNS1_3repE0EEENS1_38merge_mergepath_config_static_selectorELNS0_4arch9wavefront6targetE1EEEvSL_.numbered_sgpr, 0
	.set _ZN7rocprim17ROCPRIM_400000_NS6detail17trampoline_kernelINS0_14default_configENS1_38merge_sort_block_merge_config_selectorIbiEEZZNS1_27merge_sort_block_merge_implIS3_N6thrust23THRUST_200600_302600_NS6detail15normal_iteratorINS8_10device_ptrIbEEEENSA_INSB_IiEEEEjNS1_19radix_merge_compareILb0ELb1EbNS0_19identity_decomposerEEEEE10hipError_tT0_T1_T2_jT3_P12ihipStream_tbPNSt15iterator_traitsISK_E10value_typeEPNSQ_ISL_E10value_typeEPSM_NS1_7vsmem_tEENKUlT_SK_SL_SM_E_clIPbSD_PiSF_EESJ_SZ_SK_SL_SM_EUlSZ_E0_NS1_11comp_targetILNS1_3genE10ELNS1_11target_archE1201ELNS1_3gpuE5ELNS1_3repE0EEENS1_38merge_mergepath_config_static_selectorELNS0_4arch9wavefront6targetE1EEEvSL_.num_named_barrier, 0
	.set _ZN7rocprim17ROCPRIM_400000_NS6detail17trampoline_kernelINS0_14default_configENS1_38merge_sort_block_merge_config_selectorIbiEEZZNS1_27merge_sort_block_merge_implIS3_N6thrust23THRUST_200600_302600_NS6detail15normal_iteratorINS8_10device_ptrIbEEEENSA_INSB_IiEEEEjNS1_19radix_merge_compareILb0ELb1EbNS0_19identity_decomposerEEEEE10hipError_tT0_T1_T2_jT3_P12ihipStream_tbPNSt15iterator_traitsISK_E10value_typeEPNSQ_ISL_E10value_typeEPSM_NS1_7vsmem_tEENKUlT_SK_SL_SM_E_clIPbSD_PiSF_EESJ_SZ_SK_SL_SM_EUlSZ_E0_NS1_11comp_targetILNS1_3genE10ELNS1_11target_archE1201ELNS1_3gpuE5ELNS1_3repE0EEENS1_38merge_mergepath_config_static_selectorELNS0_4arch9wavefront6targetE1EEEvSL_.private_seg_size, 0
	.set _ZN7rocprim17ROCPRIM_400000_NS6detail17trampoline_kernelINS0_14default_configENS1_38merge_sort_block_merge_config_selectorIbiEEZZNS1_27merge_sort_block_merge_implIS3_N6thrust23THRUST_200600_302600_NS6detail15normal_iteratorINS8_10device_ptrIbEEEENSA_INSB_IiEEEEjNS1_19radix_merge_compareILb0ELb1EbNS0_19identity_decomposerEEEEE10hipError_tT0_T1_T2_jT3_P12ihipStream_tbPNSt15iterator_traitsISK_E10value_typeEPNSQ_ISL_E10value_typeEPSM_NS1_7vsmem_tEENKUlT_SK_SL_SM_E_clIPbSD_PiSF_EESJ_SZ_SK_SL_SM_EUlSZ_E0_NS1_11comp_targetILNS1_3genE10ELNS1_11target_archE1201ELNS1_3gpuE5ELNS1_3repE0EEENS1_38merge_mergepath_config_static_selectorELNS0_4arch9wavefront6targetE1EEEvSL_.uses_vcc, 0
	.set _ZN7rocprim17ROCPRIM_400000_NS6detail17trampoline_kernelINS0_14default_configENS1_38merge_sort_block_merge_config_selectorIbiEEZZNS1_27merge_sort_block_merge_implIS3_N6thrust23THRUST_200600_302600_NS6detail15normal_iteratorINS8_10device_ptrIbEEEENSA_INSB_IiEEEEjNS1_19radix_merge_compareILb0ELb1EbNS0_19identity_decomposerEEEEE10hipError_tT0_T1_T2_jT3_P12ihipStream_tbPNSt15iterator_traitsISK_E10value_typeEPNSQ_ISL_E10value_typeEPSM_NS1_7vsmem_tEENKUlT_SK_SL_SM_E_clIPbSD_PiSF_EESJ_SZ_SK_SL_SM_EUlSZ_E0_NS1_11comp_targetILNS1_3genE10ELNS1_11target_archE1201ELNS1_3gpuE5ELNS1_3repE0EEENS1_38merge_mergepath_config_static_selectorELNS0_4arch9wavefront6targetE1EEEvSL_.uses_flat_scratch, 0
	.set _ZN7rocprim17ROCPRIM_400000_NS6detail17trampoline_kernelINS0_14default_configENS1_38merge_sort_block_merge_config_selectorIbiEEZZNS1_27merge_sort_block_merge_implIS3_N6thrust23THRUST_200600_302600_NS6detail15normal_iteratorINS8_10device_ptrIbEEEENSA_INSB_IiEEEEjNS1_19radix_merge_compareILb0ELb1EbNS0_19identity_decomposerEEEEE10hipError_tT0_T1_T2_jT3_P12ihipStream_tbPNSt15iterator_traitsISK_E10value_typeEPNSQ_ISL_E10value_typeEPSM_NS1_7vsmem_tEENKUlT_SK_SL_SM_E_clIPbSD_PiSF_EESJ_SZ_SK_SL_SM_EUlSZ_E0_NS1_11comp_targetILNS1_3genE10ELNS1_11target_archE1201ELNS1_3gpuE5ELNS1_3repE0EEENS1_38merge_mergepath_config_static_selectorELNS0_4arch9wavefront6targetE1EEEvSL_.has_dyn_sized_stack, 0
	.set _ZN7rocprim17ROCPRIM_400000_NS6detail17trampoline_kernelINS0_14default_configENS1_38merge_sort_block_merge_config_selectorIbiEEZZNS1_27merge_sort_block_merge_implIS3_N6thrust23THRUST_200600_302600_NS6detail15normal_iteratorINS8_10device_ptrIbEEEENSA_INSB_IiEEEEjNS1_19radix_merge_compareILb0ELb1EbNS0_19identity_decomposerEEEEE10hipError_tT0_T1_T2_jT3_P12ihipStream_tbPNSt15iterator_traitsISK_E10value_typeEPNSQ_ISL_E10value_typeEPSM_NS1_7vsmem_tEENKUlT_SK_SL_SM_E_clIPbSD_PiSF_EESJ_SZ_SK_SL_SM_EUlSZ_E0_NS1_11comp_targetILNS1_3genE10ELNS1_11target_archE1201ELNS1_3gpuE5ELNS1_3repE0EEENS1_38merge_mergepath_config_static_selectorELNS0_4arch9wavefront6targetE1EEEvSL_.has_recursion, 0
	.set _ZN7rocprim17ROCPRIM_400000_NS6detail17trampoline_kernelINS0_14default_configENS1_38merge_sort_block_merge_config_selectorIbiEEZZNS1_27merge_sort_block_merge_implIS3_N6thrust23THRUST_200600_302600_NS6detail15normal_iteratorINS8_10device_ptrIbEEEENSA_INSB_IiEEEEjNS1_19radix_merge_compareILb0ELb1EbNS0_19identity_decomposerEEEEE10hipError_tT0_T1_T2_jT3_P12ihipStream_tbPNSt15iterator_traitsISK_E10value_typeEPNSQ_ISL_E10value_typeEPSM_NS1_7vsmem_tEENKUlT_SK_SL_SM_E_clIPbSD_PiSF_EESJ_SZ_SK_SL_SM_EUlSZ_E0_NS1_11comp_targetILNS1_3genE10ELNS1_11target_archE1201ELNS1_3gpuE5ELNS1_3repE0EEENS1_38merge_mergepath_config_static_selectorELNS0_4arch9wavefront6targetE1EEEvSL_.has_indirect_call, 0
	.section	.AMDGPU.csdata,"",@progbits
; Kernel info:
; codeLenInByte = 0
; TotalNumSgprs: 6
; NumVgprs: 0
; NumAgprs: 0
; TotalNumVgprs: 0
; ScratchSize: 0
; MemoryBound: 0
; FloatMode: 240
; IeeeMode: 1
; LDSByteSize: 0 bytes/workgroup (compile time only)
; SGPRBlocks: 0
; VGPRBlocks: 0
; NumSGPRsForWavesPerEU: 6
; NumVGPRsForWavesPerEU: 1
; AccumOffset: 4
; Occupancy: 8
; WaveLimiterHint : 0
; COMPUTE_PGM_RSRC2:SCRATCH_EN: 0
; COMPUTE_PGM_RSRC2:USER_SGPR: 2
; COMPUTE_PGM_RSRC2:TRAP_HANDLER: 0
; COMPUTE_PGM_RSRC2:TGID_X_EN: 1
; COMPUTE_PGM_RSRC2:TGID_Y_EN: 0
; COMPUTE_PGM_RSRC2:TGID_Z_EN: 0
; COMPUTE_PGM_RSRC2:TIDIG_COMP_CNT: 0
; COMPUTE_PGM_RSRC3_GFX90A:ACCUM_OFFSET: 0
; COMPUTE_PGM_RSRC3_GFX90A:TG_SPLIT: 0
	.section	.text._ZN7rocprim17ROCPRIM_400000_NS6detail17trampoline_kernelINS0_14default_configENS1_38merge_sort_block_merge_config_selectorIbiEEZZNS1_27merge_sort_block_merge_implIS3_N6thrust23THRUST_200600_302600_NS6detail15normal_iteratorINS8_10device_ptrIbEEEENSA_INSB_IiEEEEjNS1_19radix_merge_compareILb0ELb1EbNS0_19identity_decomposerEEEEE10hipError_tT0_T1_T2_jT3_P12ihipStream_tbPNSt15iterator_traitsISK_E10value_typeEPNSQ_ISL_E10value_typeEPSM_NS1_7vsmem_tEENKUlT_SK_SL_SM_E_clIPbSD_PiSF_EESJ_SZ_SK_SL_SM_EUlSZ_E0_NS1_11comp_targetILNS1_3genE5ELNS1_11target_archE942ELNS1_3gpuE9ELNS1_3repE0EEENS1_38merge_mergepath_config_static_selectorELNS0_4arch9wavefront6targetE1EEEvSL_,"axG",@progbits,_ZN7rocprim17ROCPRIM_400000_NS6detail17trampoline_kernelINS0_14default_configENS1_38merge_sort_block_merge_config_selectorIbiEEZZNS1_27merge_sort_block_merge_implIS3_N6thrust23THRUST_200600_302600_NS6detail15normal_iteratorINS8_10device_ptrIbEEEENSA_INSB_IiEEEEjNS1_19radix_merge_compareILb0ELb1EbNS0_19identity_decomposerEEEEE10hipError_tT0_T1_T2_jT3_P12ihipStream_tbPNSt15iterator_traitsISK_E10value_typeEPNSQ_ISL_E10value_typeEPSM_NS1_7vsmem_tEENKUlT_SK_SL_SM_E_clIPbSD_PiSF_EESJ_SZ_SK_SL_SM_EUlSZ_E0_NS1_11comp_targetILNS1_3genE5ELNS1_11target_archE942ELNS1_3gpuE9ELNS1_3repE0EEENS1_38merge_mergepath_config_static_selectorELNS0_4arch9wavefront6targetE1EEEvSL_,comdat
	.protected	_ZN7rocprim17ROCPRIM_400000_NS6detail17trampoline_kernelINS0_14default_configENS1_38merge_sort_block_merge_config_selectorIbiEEZZNS1_27merge_sort_block_merge_implIS3_N6thrust23THRUST_200600_302600_NS6detail15normal_iteratorINS8_10device_ptrIbEEEENSA_INSB_IiEEEEjNS1_19radix_merge_compareILb0ELb1EbNS0_19identity_decomposerEEEEE10hipError_tT0_T1_T2_jT3_P12ihipStream_tbPNSt15iterator_traitsISK_E10value_typeEPNSQ_ISL_E10value_typeEPSM_NS1_7vsmem_tEENKUlT_SK_SL_SM_E_clIPbSD_PiSF_EESJ_SZ_SK_SL_SM_EUlSZ_E0_NS1_11comp_targetILNS1_3genE5ELNS1_11target_archE942ELNS1_3gpuE9ELNS1_3repE0EEENS1_38merge_mergepath_config_static_selectorELNS0_4arch9wavefront6targetE1EEEvSL_ ; -- Begin function _ZN7rocprim17ROCPRIM_400000_NS6detail17trampoline_kernelINS0_14default_configENS1_38merge_sort_block_merge_config_selectorIbiEEZZNS1_27merge_sort_block_merge_implIS3_N6thrust23THRUST_200600_302600_NS6detail15normal_iteratorINS8_10device_ptrIbEEEENSA_INSB_IiEEEEjNS1_19radix_merge_compareILb0ELb1EbNS0_19identity_decomposerEEEEE10hipError_tT0_T1_T2_jT3_P12ihipStream_tbPNSt15iterator_traitsISK_E10value_typeEPNSQ_ISL_E10value_typeEPSM_NS1_7vsmem_tEENKUlT_SK_SL_SM_E_clIPbSD_PiSF_EESJ_SZ_SK_SL_SM_EUlSZ_E0_NS1_11comp_targetILNS1_3genE5ELNS1_11target_archE942ELNS1_3gpuE9ELNS1_3repE0EEENS1_38merge_mergepath_config_static_selectorELNS0_4arch9wavefront6targetE1EEEvSL_
	.globl	_ZN7rocprim17ROCPRIM_400000_NS6detail17trampoline_kernelINS0_14default_configENS1_38merge_sort_block_merge_config_selectorIbiEEZZNS1_27merge_sort_block_merge_implIS3_N6thrust23THRUST_200600_302600_NS6detail15normal_iteratorINS8_10device_ptrIbEEEENSA_INSB_IiEEEEjNS1_19radix_merge_compareILb0ELb1EbNS0_19identity_decomposerEEEEE10hipError_tT0_T1_T2_jT3_P12ihipStream_tbPNSt15iterator_traitsISK_E10value_typeEPNSQ_ISL_E10value_typeEPSM_NS1_7vsmem_tEENKUlT_SK_SL_SM_E_clIPbSD_PiSF_EESJ_SZ_SK_SL_SM_EUlSZ_E0_NS1_11comp_targetILNS1_3genE5ELNS1_11target_archE942ELNS1_3gpuE9ELNS1_3repE0EEENS1_38merge_mergepath_config_static_selectorELNS0_4arch9wavefront6targetE1EEEvSL_
	.p2align	8
	.type	_ZN7rocprim17ROCPRIM_400000_NS6detail17trampoline_kernelINS0_14default_configENS1_38merge_sort_block_merge_config_selectorIbiEEZZNS1_27merge_sort_block_merge_implIS3_N6thrust23THRUST_200600_302600_NS6detail15normal_iteratorINS8_10device_ptrIbEEEENSA_INSB_IiEEEEjNS1_19radix_merge_compareILb0ELb1EbNS0_19identity_decomposerEEEEE10hipError_tT0_T1_T2_jT3_P12ihipStream_tbPNSt15iterator_traitsISK_E10value_typeEPNSQ_ISL_E10value_typeEPSM_NS1_7vsmem_tEENKUlT_SK_SL_SM_E_clIPbSD_PiSF_EESJ_SZ_SK_SL_SM_EUlSZ_E0_NS1_11comp_targetILNS1_3genE5ELNS1_11target_archE942ELNS1_3gpuE9ELNS1_3repE0EEENS1_38merge_mergepath_config_static_selectorELNS0_4arch9wavefront6targetE1EEEvSL_,@function
_ZN7rocprim17ROCPRIM_400000_NS6detail17trampoline_kernelINS0_14default_configENS1_38merge_sort_block_merge_config_selectorIbiEEZZNS1_27merge_sort_block_merge_implIS3_N6thrust23THRUST_200600_302600_NS6detail15normal_iteratorINS8_10device_ptrIbEEEENSA_INSB_IiEEEEjNS1_19radix_merge_compareILb0ELb1EbNS0_19identity_decomposerEEEEE10hipError_tT0_T1_T2_jT3_P12ihipStream_tbPNSt15iterator_traitsISK_E10value_typeEPNSQ_ISL_E10value_typeEPSM_NS1_7vsmem_tEENKUlT_SK_SL_SM_E_clIPbSD_PiSF_EESJ_SZ_SK_SL_SM_EUlSZ_E0_NS1_11comp_targetILNS1_3genE5ELNS1_11target_archE942ELNS1_3gpuE9ELNS1_3repE0EEENS1_38merge_mergepath_config_static_selectorELNS0_4arch9wavefront6targetE1EEEvSL_: ; @_ZN7rocprim17ROCPRIM_400000_NS6detail17trampoline_kernelINS0_14default_configENS1_38merge_sort_block_merge_config_selectorIbiEEZZNS1_27merge_sort_block_merge_implIS3_N6thrust23THRUST_200600_302600_NS6detail15normal_iteratorINS8_10device_ptrIbEEEENSA_INSB_IiEEEEjNS1_19radix_merge_compareILb0ELb1EbNS0_19identity_decomposerEEEEE10hipError_tT0_T1_T2_jT3_P12ihipStream_tbPNSt15iterator_traitsISK_E10value_typeEPNSQ_ISL_E10value_typeEPSM_NS1_7vsmem_tEENKUlT_SK_SL_SM_E_clIPbSD_PiSF_EESJ_SZ_SK_SL_SM_EUlSZ_E0_NS1_11comp_targetILNS1_3genE5ELNS1_11target_archE942ELNS1_3gpuE9ELNS1_3repE0EEENS1_38merge_mergepath_config_static_selectorELNS0_4arch9wavefront6targetE1EEEvSL_
; %bb.0:
	.section	.rodata,"a",@progbits
	.p2align	6, 0x0
	.amdhsa_kernel _ZN7rocprim17ROCPRIM_400000_NS6detail17trampoline_kernelINS0_14default_configENS1_38merge_sort_block_merge_config_selectorIbiEEZZNS1_27merge_sort_block_merge_implIS3_N6thrust23THRUST_200600_302600_NS6detail15normal_iteratorINS8_10device_ptrIbEEEENSA_INSB_IiEEEEjNS1_19radix_merge_compareILb0ELb1EbNS0_19identity_decomposerEEEEE10hipError_tT0_T1_T2_jT3_P12ihipStream_tbPNSt15iterator_traitsISK_E10value_typeEPNSQ_ISL_E10value_typeEPSM_NS1_7vsmem_tEENKUlT_SK_SL_SM_E_clIPbSD_PiSF_EESJ_SZ_SK_SL_SM_EUlSZ_E0_NS1_11comp_targetILNS1_3genE5ELNS1_11target_archE942ELNS1_3gpuE9ELNS1_3repE0EEENS1_38merge_mergepath_config_static_selectorELNS0_4arch9wavefront6targetE1EEEvSL_
		.amdhsa_group_segment_fixed_size 0
		.amdhsa_private_segment_fixed_size 0
		.amdhsa_kernarg_size 64
		.amdhsa_user_sgpr_count 2
		.amdhsa_user_sgpr_dispatch_ptr 0
		.amdhsa_user_sgpr_queue_ptr 0
		.amdhsa_user_sgpr_kernarg_segment_ptr 1
		.amdhsa_user_sgpr_dispatch_id 0
		.amdhsa_user_sgpr_kernarg_preload_length 0
		.amdhsa_user_sgpr_kernarg_preload_offset 0
		.amdhsa_user_sgpr_private_segment_size 0
		.amdhsa_uses_dynamic_stack 0
		.amdhsa_enable_private_segment 0
		.amdhsa_system_sgpr_workgroup_id_x 1
		.amdhsa_system_sgpr_workgroup_id_y 0
		.amdhsa_system_sgpr_workgroup_id_z 0
		.amdhsa_system_sgpr_workgroup_info 0
		.amdhsa_system_vgpr_workitem_id 0
		.amdhsa_next_free_vgpr 1
		.amdhsa_next_free_sgpr 0
		.amdhsa_accum_offset 4
		.amdhsa_reserve_vcc 0
		.amdhsa_float_round_mode_32 0
		.amdhsa_float_round_mode_16_64 0
		.amdhsa_float_denorm_mode_32 3
		.amdhsa_float_denorm_mode_16_64 3
		.amdhsa_dx10_clamp 1
		.amdhsa_ieee_mode 1
		.amdhsa_fp16_overflow 0
		.amdhsa_tg_split 0
		.amdhsa_exception_fp_ieee_invalid_op 0
		.amdhsa_exception_fp_denorm_src 0
		.amdhsa_exception_fp_ieee_div_zero 0
		.amdhsa_exception_fp_ieee_overflow 0
		.amdhsa_exception_fp_ieee_underflow 0
		.amdhsa_exception_fp_ieee_inexact 0
		.amdhsa_exception_int_div_zero 0
	.end_amdhsa_kernel
	.section	.text._ZN7rocprim17ROCPRIM_400000_NS6detail17trampoline_kernelINS0_14default_configENS1_38merge_sort_block_merge_config_selectorIbiEEZZNS1_27merge_sort_block_merge_implIS3_N6thrust23THRUST_200600_302600_NS6detail15normal_iteratorINS8_10device_ptrIbEEEENSA_INSB_IiEEEEjNS1_19radix_merge_compareILb0ELb1EbNS0_19identity_decomposerEEEEE10hipError_tT0_T1_T2_jT3_P12ihipStream_tbPNSt15iterator_traitsISK_E10value_typeEPNSQ_ISL_E10value_typeEPSM_NS1_7vsmem_tEENKUlT_SK_SL_SM_E_clIPbSD_PiSF_EESJ_SZ_SK_SL_SM_EUlSZ_E0_NS1_11comp_targetILNS1_3genE5ELNS1_11target_archE942ELNS1_3gpuE9ELNS1_3repE0EEENS1_38merge_mergepath_config_static_selectorELNS0_4arch9wavefront6targetE1EEEvSL_,"axG",@progbits,_ZN7rocprim17ROCPRIM_400000_NS6detail17trampoline_kernelINS0_14default_configENS1_38merge_sort_block_merge_config_selectorIbiEEZZNS1_27merge_sort_block_merge_implIS3_N6thrust23THRUST_200600_302600_NS6detail15normal_iteratorINS8_10device_ptrIbEEEENSA_INSB_IiEEEEjNS1_19radix_merge_compareILb0ELb1EbNS0_19identity_decomposerEEEEE10hipError_tT0_T1_T2_jT3_P12ihipStream_tbPNSt15iterator_traitsISK_E10value_typeEPNSQ_ISL_E10value_typeEPSM_NS1_7vsmem_tEENKUlT_SK_SL_SM_E_clIPbSD_PiSF_EESJ_SZ_SK_SL_SM_EUlSZ_E0_NS1_11comp_targetILNS1_3genE5ELNS1_11target_archE942ELNS1_3gpuE9ELNS1_3repE0EEENS1_38merge_mergepath_config_static_selectorELNS0_4arch9wavefront6targetE1EEEvSL_,comdat
.Lfunc_end1976:
	.size	_ZN7rocprim17ROCPRIM_400000_NS6detail17trampoline_kernelINS0_14default_configENS1_38merge_sort_block_merge_config_selectorIbiEEZZNS1_27merge_sort_block_merge_implIS3_N6thrust23THRUST_200600_302600_NS6detail15normal_iteratorINS8_10device_ptrIbEEEENSA_INSB_IiEEEEjNS1_19radix_merge_compareILb0ELb1EbNS0_19identity_decomposerEEEEE10hipError_tT0_T1_T2_jT3_P12ihipStream_tbPNSt15iterator_traitsISK_E10value_typeEPNSQ_ISL_E10value_typeEPSM_NS1_7vsmem_tEENKUlT_SK_SL_SM_E_clIPbSD_PiSF_EESJ_SZ_SK_SL_SM_EUlSZ_E0_NS1_11comp_targetILNS1_3genE5ELNS1_11target_archE942ELNS1_3gpuE9ELNS1_3repE0EEENS1_38merge_mergepath_config_static_selectorELNS0_4arch9wavefront6targetE1EEEvSL_, .Lfunc_end1976-_ZN7rocprim17ROCPRIM_400000_NS6detail17trampoline_kernelINS0_14default_configENS1_38merge_sort_block_merge_config_selectorIbiEEZZNS1_27merge_sort_block_merge_implIS3_N6thrust23THRUST_200600_302600_NS6detail15normal_iteratorINS8_10device_ptrIbEEEENSA_INSB_IiEEEEjNS1_19radix_merge_compareILb0ELb1EbNS0_19identity_decomposerEEEEE10hipError_tT0_T1_T2_jT3_P12ihipStream_tbPNSt15iterator_traitsISK_E10value_typeEPNSQ_ISL_E10value_typeEPSM_NS1_7vsmem_tEENKUlT_SK_SL_SM_E_clIPbSD_PiSF_EESJ_SZ_SK_SL_SM_EUlSZ_E0_NS1_11comp_targetILNS1_3genE5ELNS1_11target_archE942ELNS1_3gpuE9ELNS1_3repE0EEENS1_38merge_mergepath_config_static_selectorELNS0_4arch9wavefront6targetE1EEEvSL_
                                        ; -- End function
	.set _ZN7rocprim17ROCPRIM_400000_NS6detail17trampoline_kernelINS0_14default_configENS1_38merge_sort_block_merge_config_selectorIbiEEZZNS1_27merge_sort_block_merge_implIS3_N6thrust23THRUST_200600_302600_NS6detail15normal_iteratorINS8_10device_ptrIbEEEENSA_INSB_IiEEEEjNS1_19radix_merge_compareILb0ELb1EbNS0_19identity_decomposerEEEEE10hipError_tT0_T1_T2_jT3_P12ihipStream_tbPNSt15iterator_traitsISK_E10value_typeEPNSQ_ISL_E10value_typeEPSM_NS1_7vsmem_tEENKUlT_SK_SL_SM_E_clIPbSD_PiSF_EESJ_SZ_SK_SL_SM_EUlSZ_E0_NS1_11comp_targetILNS1_3genE5ELNS1_11target_archE942ELNS1_3gpuE9ELNS1_3repE0EEENS1_38merge_mergepath_config_static_selectorELNS0_4arch9wavefront6targetE1EEEvSL_.num_vgpr, 0
	.set _ZN7rocprim17ROCPRIM_400000_NS6detail17trampoline_kernelINS0_14default_configENS1_38merge_sort_block_merge_config_selectorIbiEEZZNS1_27merge_sort_block_merge_implIS3_N6thrust23THRUST_200600_302600_NS6detail15normal_iteratorINS8_10device_ptrIbEEEENSA_INSB_IiEEEEjNS1_19radix_merge_compareILb0ELb1EbNS0_19identity_decomposerEEEEE10hipError_tT0_T1_T2_jT3_P12ihipStream_tbPNSt15iterator_traitsISK_E10value_typeEPNSQ_ISL_E10value_typeEPSM_NS1_7vsmem_tEENKUlT_SK_SL_SM_E_clIPbSD_PiSF_EESJ_SZ_SK_SL_SM_EUlSZ_E0_NS1_11comp_targetILNS1_3genE5ELNS1_11target_archE942ELNS1_3gpuE9ELNS1_3repE0EEENS1_38merge_mergepath_config_static_selectorELNS0_4arch9wavefront6targetE1EEEvSL_.num_agpr, 0
	.set _ZN7rocprim17ROCPRIM_400000_NS6detail17trampoline_kernelINS0_14default_configENS1_38merge_sort_block_merge_config_selectorIbiEEZZNS1_27merge_sort_block_merge_implIS3_N6thrust23THRUST_200600_302600_NS6detail15normal_iteratorINS8_10device_ptrIbEEEENSA_INSB_IiEEEEjNS1_19radix_merge_compareILb0ELb1EbNS0_19identity_decomposerEEEEE10hipError_tT0_T1_T2_jT3_P12ihipStream_tbPNSt15iterator_traitsISK_E10value_typeEPNSQ_ISL_E10value_typeEPSM_NS1_7vsmem_tEENKUlT_SK_SL_SM_E_clIPbSD_PiSF_EESJ_SZ_SK_SL_SM_EUlSZ_E0_NS1_11comp_targetILNS1_3genE5ELNS1_11target_archE942ELNS1_3gpuE9ELNS1_3repE0EEENS1_38merge_mergepath_config_static_selectorELNS0_4arch9wavefront6targetE1EEEvSL_.numbered_sgpr, 0
	.set _ZN7rocprim17ROCPRIM_400000_NS6detail17trampoline_kernelINS0_14default_configENS1_38merge_sort_block_merge_config_selectorIbiEEZZNS1_27merge_sort_block_merge_implIS3_N6thrust23THRUST_200600_302600_NS6detail15normal_iteratorINS8_10device_ptrIbEEEENSA_INSB_IiEEEEjNS1_19radix_merge_compareILb0ELb1EbNS0_19identity_decomposerEEEEE10hipError_tT0_T1_T2_jT3_P12ihipStream_tbPNSt15iterator_traitsISK_E10value_typeEPNSQ_ISL_E10value_typeEPSM_NS1_7vsmem_tEENKUlT_SK_SL_SM_E_clIPbSD_PiSF_EESJ_SZ_SK_SL_SM_EUlSZ_E0_NS1_11comp_targetILNS1_3genE5ELNS1_11target_archE942ELNS1_3gpuE9ELNS1_3repE0EEENS1_38merge_mergepath_config_static_selectorELNS0_4arch9wavefront6targetE1EEEvSL_.num_named_barrier, 0
	.set _ZN7rocprim17ROCPRIM_400000_NS6detail17trampoline_kernelINS0_14default_configENS1_38merge_sort_block_merge_config_selectorIbiEEZZNS1_27merge_sort_block_merge_implIS3_N6thrust23THRUST_200600_302600_NS6detail15normal_iteratorINS8_10device_ptrIbEEEENSA_INSB_IiEEEEjNS1_19radix_merge_compareILb0ELb1EbNS0_19identity_decomposerEEEEE10hipError_tT0_T1_T2_jT3_P12ihipStream_tbPNSt15iterator_traitsISK_E10value_typeEPNSQ_ISL_E10value_typeEPSM_NS1_7vsmem_tEENKUlT_SK_SL_SM_E_clIPbSD_PiSF_EESJ_SZ_SK_SL_SM_EUlSZ_E0_NS1_11comp_targetILNS1_3genE5ELNS1_11target_archE942ELNS1_3gpuE9ELNS1_3repE0EEENS1_38merge_mergepath_config_static_selectorELNS0_4arch9wavefront6targetE1EEEvSL_.private_seg_size, 0
	.set _ZN7rocprim17ROCPRIM_400000_NS6detail17trampoline_kernelINS0_14default_configENS1_38merge_sort_block_merge_config_selectorIbiEEZZNS1_27merge_sort_block_merge_implIS3_N6thrust23THRUST_200600_302600_NS6detail15normal_iteratorINS8_10device_ptrIbEEEENSA_INSB_IiEEEEjNS1_19radix_merge_compareILb0ELb1EbNS0_19identity_decomposerEEEEE10hipError_tT0_T1_T2_jT3_P12ihipStream_tbPNSt15iterator_traitsISK_E10value_typeEPNSQ_ISL_E10value_typeEPSM_NS1_7vsmem_tEENKUlT_SK_SL_SM_E_clIPbSD_PiSF_EESJ_SZ_SK_SL_SM_EUlSZ_E0_NS1_11comp_targetILNS1_3genE5ELNS1_11target_archE942ELNS1_3gpuE9ELNS1_3repE0EEENS1_38merge_mergepath_config_static_selectorELNS0_4arch9wavefront6targetE1EEEvSL_.uses_vcc, 0
	.set _ZN7rocprim17ROCPRIM_400000_NS6detail17trampoline_kernelINS0_14default_configENS1_38merge_sort_block_merge_config_selectorIbiEEZZNS1_27merge_sort_block_merge_implIS3_N6thrust23THRUST_200600_302600_NS6detail15normal_iteratorINS8_10device_ptrIbEEEENSA_INSB_IiEEEEjNS1_19radix_merge_compareILb0ELb1EbNS0_19identity_decomposerEEEEE10hipError_tT0_T1_T2_jT3_P12ihipStream_tbPNSt15iterator_traitsISK_E10value_typeEPNSQ_ISL_E10value_typeEPSM_NS1_7vsmem_tEENKUlT_SK_SL_SM_E_clIPbSD_PiSF_EESJ_SZ_SK_SL_SM_EUlSZ_E0_NS1_11comp_targetILNS1_3genE5ELNS1_11target_archE942ELNS1_3gpuE9ELNS1_3repE0EEENS1_38merge_mergepath_config_static_selectorELNS0_4arch9wavefront6targetE1EEEvSL_.uses_flat_scratch, 0
	.set _ZN7rocprim17ROCPRIM_400000_NS6detail17trampoline_kernelINS0_14default_configENS1_38merge_sort_block_merge_config_selectorIbiEEZZNS1_27merge_sort_block_merge_implIS3_N6thrust23THRUST_200600_302600_NS6detail15normal_iteratorINS8_10device_ptrIbEEEENSA_INSB_IiEEEEjNS1_19radix_merge_compareILb0ELb1EbNS0_19identity_decomposerEEEEE10hipError_tT0_T1_T2_jT3_P12ihipStream_tbPNSt15iterator_traitsISK_E10value_typeEPNSQ_ISL_E10value_typeEPSM_NS1_7vsmem_tEENKUlT_SK_SL_SM_E_clIPbSD_PiSF_EESJ_SZ_SK_SL_SM_EUlSZ_E0_NS1_11comp_targetILNS1_3genE5ELNS1_11target_archE942ELNS1_3gpuE9ELNS1_3repE0EEENS1_38merge_mergepath_config_static_selectorELNS0_4arch9wavefront6targetE1EEEvSL_.has_dyn_sized_stack, 0
	.set _ZN7rocprim17ROCPRIM_400000_NS6detail17trampoline_kernelINS0_14default_configENS1_38merge_sort_block_merge_config_selectorIbiEEZZNS1_27merge_sort_block_merge_implIS3_N6thrust23THRUST_200600_302600_NS6detail15normal_iteratorINS8_10device_ptrIbEEEENSA_INSB_IiEEEEjNS1_19radix_merge_compareILb0ELb1EbNS0_19identity_decomposerEEEEE10hipError_tT0_T1_T2_jT3_P12ihipStream_tbPNSt15iterator_traitsISK_E10value_typeEPNSQ_ISL_E10value_typeEPSM_NS1_7vsmem_tEENKUlT_SK_SL_SM_E_clIPbSD_PiSF_EESJ_SZ_SK_SL_SM_EUlSZ_E0_NS1_11comp_targetILNS1_3genE5ELNS1_11target_archE942ELNS1_3gpuE9ELNS1_3repE0EEENS1_38merge_mergepath_config_static_selectorELNS0_4arch9wavefront6targetE1EEEvSL_.has_recursion, 0
	.set _ZN7rocprim17ROCPRIM_400000_NS6detail17trampoline_kernelINS0_14default_configENS1_38merge_sort_block_merge_config_selectorIbiEEZZNS1_27merge_sort_block_merge_implIS3_N6thrust23THRUST_200600_302600_NS6detail15normal_iteratorINS8_10device_ptrIbEEEENSA_INSB_IiEEEEjNS1_19radix_merge_compareILb0ELb1EbNS0_19identity_decomposerEEEEE10hipError_tT0_T1_T2_jT3_P12ihipStream_tbPNSt15iterator_traitsISK_E10value_typeEPNSQ_ISL_E10value_typeEPSM_NS1_7vsmem_tEENKUlT_SK_SL_SM_E_clIPbSD_PiSF_EESJ_SZ_SK_SL_SM_EUlSZ_E0_NS1_11comp_targetILNS1_3genE5ELNS1_11target_archE942ELNS1_3gpuE9ELNS1_3repE0EEENS1_38merge_mergepath_config_static_selectorELNS0_4arch9wavefront6targetE1EEEvSL_.has_indirect_call, 0
	.section	.AMDGPU.csdata,"",@progbits
; Kernel info:
; codeLenInByte = 0
; TotalNumSgprs: 6
; NumVgprs: 0
; NumAgprs: 0
; TotalNumVgprs: 0
; ScratchSize: 0
; MemoryBound: 0
; FloatMode: 240
; IeeeMode: 1
; LDSByteSize: 0 bytes/workgroup (compile time only)
; SGPRBlocks: 0
; VGPRBlocks: 0
; NumSGPRsForWavesPerEU: 6
; NumVGPRsForWavesPerEU: 1
; AccumOffset: 4
; Occupancy: 8
; WaveLimiterHint : 0
; COMPUTE_PGM_RSRC2:SCRATCH_EN: 0
; COMPUTE_PGM_RSRC2:USER_SGPR: 2
; COMPUTE_PGM_RSRC2:TRAP_HANDLER: 0
; COMPUTE_PGM_RSRC2:TGID_X_EN: 1
; COMPUTE_PGM_RSRC2:TGID_Y_EN: 0
; COMPUTE_PGM_RSRC2:TGID_Z_EN: 0
; COMPUTE_PGM_RSRC2:TIDIG_COMP_CNT: 0
; COMPUTE_PGM_RSRC3_GFX90A:ACCUM_OFFSET: 0
; COMPUTE_PGM_RSRC3_GFX90A:TG_SPLIT: 0
	.section	.text._ZN7rocprim17ROCPRIM_400000_NS6detail17trampoline_kernelINS0_14default_configENS1_38merge_sort_block_merge_config_selectorIbiEEZZNS1_27merge_sort_block_merge_implIS3_N6thrust23THRUST_200600_302600_NS6detail15normal_iteratorINS8_10device_ptrIbEEEENSA_INSB_IiEEEEjNS1_19radix_merge_compareILb0ELb1EbNS0_19identity_decomposerEEEEE10hipError_tT0_T1_T2_jT3_P12ihipStream_tbPNSt15iterator_traitsISK_E10value_typeEPNSQ_ISL_E10value_typeEPSM_NS1_7vsmem_tEENKUlT_SK_SL_SM_E_clIPbSD_PiSF_EESJ_SZ_SK_SL_SM_EUlSZ_E0_NS1_11comp_targetILNS1_3genE4ELNS1_11target_archE910ELNS1_3gpuE8ELNS1_3repE0EEENS1_38merge_mergepath_config_static_selectorELNS0_4arch9wavefront6targetE1EEEvSL_,"axG",@progbits,_ZN7rocprim17ROCPRIM_400000_NS6detail17trampoline_kernelINS0_14default_configENS1_38merge_sort_block_merge_config_selectorIbiEEZZNS1_27merge_sort_block_merge_implIS3_N6thrust23THRUST_200600_302600_NS6detail15normal_iteratorINS8_10device_ptrIbEEEENSA_INSB_IiEEEEjNS1_19radix_merge_compareILb0ELb1EbNS0_19identity_decomposerEEEEE10hipError_tT0_T1_T2_jT3_P12ihipStream_tbPNSt15iterator_traitsISK_E10value_typeEPNSQ_ISL_E10value_typeEPSM_NS1_7vsmem_tEENKUlT_SK_SL_SM_E_clIPbSD_PiSF_EESJ_SZ_SK_SL_SM_EUlSZ_E0_NS1_11comp_targetILNS1_3genE4ELNS1_11target_archE910ELNS1_3gpuE8ELNS1_3repE0EEENS1_38merge_mergepath_config_static_selectorELNS0_4arch9wavefront6targetE1EEEvSL_,comdat
	.protected	_ZN7rocprim17ROCPRIM_400000_NS6detail17trampoline_kernelINS0_14default_configENS1_38merge_sort_block_merge_config_selectorIbiEEZZNS1_27merge_sort_block_merge_implIS3_N6thrust23THRUST_200600_302600_NS6detail15normal_iteratorINS8_10device_ptrIbEEEENSA_INSB_IiEEEEjNS1_19radix_merge_compareILb0ELb1EbNS0_19identity_decomposerEEEEE10hipError_tT0_T1_T2_jT3_P12ihipStream_tbPNSt15iterator_traitsISK_E10value_typeEPNSQ_ISL_E10value_typeEPSM_NS1_7vsmem_tEENKUlT_SK_SL_SM_E_clIPbSD_PiSF_EESJ_SZ_SK_SL_SM_EUlSZ_E0_NS1_11comp_targetILNS1_3genE4ELNS1_11target_archE910ELNS1_3gpuE8ELNS1_3repE0EEENS1_38merge_mergepath_config_static_selectorELNS0_4arch9wavefront6targetE1EEEvSL_ ; -- Begin function _ZN7rocprim17ROCPRIM_400000_NS6detail17trampoline_kernelINS0_14default_configENS1_38merge_sort_block_merge_config_selectorIbiEEZZNS1_27merge_sort_block_merge_implIS3_N6thrust23THRUST_200600_302600_NS6detail15normal_iteratorINS8_10device_ptrIbEEEENSA_INSB_IiEEEEjNS1_19radix_merge_compareILb0ELb1EbNS0_19identity_decomposerEEEEE10hipError_tT0_T1_T2_jT3_P12ihipStream_tbPNSt15iterator_traitsISK_E10value_typeEPNSQ_ISL_E10value_typeEPSM_NS1_7vsmem_tEENKUlT_SK_SL_SM_E_clIPbSD_PiSF_EESJ_SZ_SK_SL_SM_EUlSZ_E0_NS1_11comp_targetILNS1_3genE4ELNS1_11target_archE910ELNS1_3gpuE8ELNS1_3repE0EEENS1_38merge_mergepath_config_static_selectorELNS0_4arch9wavefront6targetE1EEEvSL_
	.globl	_ZN7rocprim17ROCPRIM_400000_NS6detail17trampoline_kernelINS0_14default_configENS1_38merge_sort_block_merge_config_selectorIbiEEZZNS1_27merge_sort_block_merge_implIS3_N6thrust23THRUST_200600_302600_NS6detail15normal_iteratorINS8_10device_ptrIbEEEENSA_INSB_IiEEEEjNS1_19radix_merge_compareILb0ELb1EbNS0_19identity_decomposerEEEEE10hipError_tT0_T1_T2_jT3_P12ihipStream_tbPNSt15iterator_traitsISK_E10value_typeEPNSQ_ISL_E10value_typeEPSM_NS1_7vsmem_tEENKUlT_SK_SL_SM_E_clIPbSD_PiSF_EESJ_SZ_SK_SL_SM_EUlSZ_E0_NS1_11comp_targetILNS1_3genE4ELNS1_11target_archE910ELNS1_3gpuE8ELNS1_3repE0EEENS1_38merge_mergepath_config_static_selectorELNS0_4arch9wavefront6targetE1EEEvSL_
	.p2align	8
	.type	_ZN7rocprim17ROCPRIM_400000_NS6detail17trampoline_kernelINS0_14default_configENS1_38merge_sort_block_merge_config_selectorIbiEEZZNS1_27merge_sort_block_merge_implIS3_N6thrust23THRUST_200600_302600_NS6detail15normal_iteratorINS8_10device_ptrIbEEEENSA_INSB_IiEEEEjNS1_19radix_merge_compareILb0ELb1EbNS0_19identity_decomposerEEEEE10hipError_tT0_T1_T2_jT3_P12ihipStream_tbPNSt15iterator_traitsISK_E10value_typeEPNSQ_ISL_E10value_typeEPSM_NS1_7vsmem_tEENKUlT_SK_SL_SM_E_clIPbSD_PiSF_EESJ_SZ_SK_SL_SM_EUlSZ_E0_NS1_11comp_targetILNS1_3genE4ELNS1_11target_archE910ELNS1_3gpuE8ELNS1_3repE0EEENS1_38merge_mergepath_config_static_selectorELNS0_4arch9wavefront6targetE1EEEvSL_,@function
_ZN7rocprim17ROCPRIM_400000_NS6detail17trampoline_kernelINS0_14default_configENS1_38merge_sort_block_merge_config_selectorIbiEEZZNS1_27merge_sort_block_merge_implIS3_N6thrust23THRUST_200600_302600_NS6detail15normal_iteratorINS8_10device_ptrIbEEEENSA_INSB_IiEEEEjNS1_19radix_merge_compareILb0ELb1EbNS0_19identity_decomposerEEEEE10hipError_tT0_T1_T2_jT3_P12ihipStream_tbPNSt15iterator_traitsISK_E10value_typeEPNSQ_ISL_E10value_typeEPSM_NS1_7vsmem_tEENKUlT_SK_SL_SM_E_clIPbSD_PiSF_EESJ_SZ_SK_SL_SM_EUlSZ_E0_NS1_11comp_targetILNS1_3genE4ELNS1_11target_archE910ELNS1_3gpuE8ELNS1_3repE0EEENS1_38merge_mergepath_config_static_selectorELNS0_4arch9wavefront6targetE1EEEvSL_: ; @_ZN7rocprim17ROCPRIM_400000_NS6detail17trampoline_kernelINS0_14default_configENS1_38merge_sort_block_merge_config_selectorIbiEEZZNS1_27merge_sort_block_merge_implIS3_N6thrust23THRUST_200600_302600_NS6detail15normal_iteratorINS8_10device_ptrIbEEEENSA_INSB_IiEEEEjNS1_19radix_merge_compareILb0ELb1EbNS0_19identity_decomposerEEEEE10hipError_tT0_T1_T2_jT3_P12ihipStream_tbPNSt15iterator_traitsISK_E10value_typeEPNSQ_ISL_E10value_typeEPSM_NS1_7vsmem_tEENKUlT_SK_SL_SM_E_clIPbSD_PiSF_EESJ_SZ_SK_SL_SM_EUlSZ_E0_NS1_11comp_targetILNS1_3genE4ELNS1_11target_archE910ELNS1_3gpuE8ELNS1_3repE0EEENS1_38merge_mergepath_config_static_selectorELNS0_4arch9wavefront6targetE1EEEvSL_
; %bb.0:
	.section	.rodata,"a",@progbits
	.p2align	6, 0x0
	.amdhsa_kernel _ZN7rocprim17ROCPRIM_400000_NS6detail17trampoline_kernelINS0_14default_configENS1_38merge_sort_block_merge_config_selectorIbiEEZZNS1_27merge_sort_block_merge_implIS3_N6thrust23THRUST_200600_302600_NS6detail15normal_iteratorINS8_10device_ptrIbEEEENSA_INSB_IiEEEEjNS1_19radix_merge_compareILb0ELb1EbNS0_19identity_decomposerEEEEE10hipError_tT0_T1_T2_jT3_P12ihipStream_tbPNSt15iterator_traitsISK_E10value_typeEPNSQ_ISL_E10value_typeEPSM_NS1_7vsmem_tEENKUlT_SK_SL_SM_E_clIPbSD_PiSF_EESJ_SZ_SK_SL_SM_EUlSZ_E0_NS1_11comp_targetILNS1_3genE4ELNS1_11target_archE910ELNS1_3gpuE8ELNS1_3repE0EEENS1_38merge_mergepath_config_static_selectorELNS0_4arch9wavefront6targetE1EEEvSL_
		.amdhsa_group_segment_fixed_size 0
		.amdhsa_private_segment_fixed_size 0
		.amdhsa_kernarg_size 64
		.amdhsa_user_sgpr_count 2
		.amdhsa_user_sgpr_dispatch_ptr 0
		.amdhsa_user_sgpr_queue_ptr 0
		.amdhsa_user_sgpr_kernarg_segment_ptr 1
		.amdhsa_user_sgpr_dispatch_id 0
		.amdhsa_user_sgpr_kernarg_preload_length 0
		.amdhsa_user_sgpr_kernarg_preload_offset 0
		.amdhsa_user_sgpr_private_segment_size 0
		.amdhsa_uses_dynamic_stack 0
		.amdhsa_enable_private_segment 0
		.amdhsa_system_sgpr_workgroup_id_x 1
		.amdhsa_system_sgpr_workgroup_id_y 0
		.amdhsa_system_sgpr_workgroup_id_z 0
		.amdhsa_system_sgpr_workgroup_info 0
		.amdhsa_system_vgpr_workitem_id 0
		.amdhsa_next_free_vgpr 1
		.amdhsa_next_free_sgpr 0
		.amdhsa_accum_offset 4
		.amdhsa_reserve_vcc 0
		.amdhsa_float_round_mode_32 0
		.amdhsa_float_round_mode_16_64 0
		.amdhsa_float_denorm_mode_32 3
		.amdhsa_float_denorm_mode_16_64 3
		.amdhsa_dx10_clamp 1
		.amdhsa_ieee_mode 1
		.amdhsa_fp16_overflow 0
		.amdhsa_tg_split 0
		.amdhsa_exception_fp_ieee_invalid_op 0
		.amdhsa_exception_fp_denorm_src 0
		.amdhsa_exception_fp_ieee_div_zero 0
		.amdhsa_exception_fp_ieee_overflow 0
		.amdhsa_exception_fp_ieee_underflow 0
		.amdhsa_exception_fp_ieee_inexact 0
		.amdhsa_exception_int_div_zero 0
	.end_amdhsa_kernel
	.section	.text._ZN7rocprim17ROCPRIM_400000_NS6detail17trampoline_kernelINS0_14default_configENS1_38merge_sort_block_merge_config_selectorIbiEEZZNS1_27merge_sort_block_merge_implIS3_N6thrust23THRUST_200600_302600_NS6detail15normal_iteratorINS8_10device_ptrIbEEEENSA_INSB_IiEEEEjNS1_19radix_merge_compareILb0ELb1EbNS0_19identity_decomposerEEEEE10hipError_tT0_T1_T2_jT3_P12ihipStream_tbPNSt15iterator_traitsISK_E10value_typeEPNSQ_ISL_E10value_typeEPSM_NS1_7vsmem_tEENKUlT_SK_SL_SM_E_clIPbSD_PiSF_EESJ_SZ_SK_SL_SM_EUlSZ_E0_NS1_11comp_targetILNS1_3genE4ELNS1_11target_archE910ELNS1_3gpuE8ELNS1_3repE0EEENS1_38merge_mergepath_config_static_selectorELNS0_4arch9wavefront6targetE1EEEvSL_,"axG",@progbits,_ZN7rocprim17ROCPRIM_400000_NS6detail17trampoline_kernelINS0_14default_configENS1_38merge_sort_block_merge_config_selectorIbiEEZZNS1_27merge_sort_block_merge_implIS3_N6thrust23THRUST_200600_302600_NS6detail15normal_iteratorINS8_10device_ptrIbEEEENSA_INSB_IiEEEEjNS1_19radix_merge_compareILb0ELb1EbNS0_19identity_decomposerEEEEE10hipError_tT0_T1_T2_jT3_P12ihipStream_tbPNSt15iterator_traitsISK_E10value_typeEPNSQ_ISL_E10value_typeEPSM_NS1_7vsmem_tEENKUlT_SK_SL_SM_E_clIPbSD_PiSF_EESJ_SZ_SK_SL_SM_EUlSZ_E0_NS1_11comp_targetILNS1_3genE4ELNS1_11target_archE910ELNS1_3gpuE8ELNS1_3repE0EEENS1_38merge_mergepath_config_static_selectorELNS0_4arch9wavefront6targetE1EEEvSL_,comdat
.Lfunc_end1977:
	.size	_ZN7rocprim17ROCPRIM_400000_NS6detail17trampoline_kernelINS0_14default_configENS1_38merge_sort_block_merge_config_selectorIbiEEZZNS1_27merge_sort_block_merge_implIS3_N6thrust23THRUST_200600_302600_NS6detail15normal_iteratorINS8_10device_ptrIbEEEENSA_INSB_IiEEEEjNS1_19radix_merge_compareILb0ELb1EbNS0_19identity_decomposerEEEEE10hipError_tT0_T1_T2_jT3_P12ihipStream_tbPNSt15iterator_traitsISK_E10value_typeEPNSQ_ISL_E10value_typeEPSM_NS1_7vsmem_tEENKUlT_SK_SL_SM_E_clIPbSD_PiSF_EESJ_SZ_SK_SL_SM_EUlSZ_E0_NS1_11comp_targetILNS1_3genE4ELNS1_11target_archE910ELNS1_3gpuE8ELNS1_3repE0EEENS1_38merge_mergepath_config_static_selectorELNS0_4arch9wavefront6targetE1EEEvSL_, .Lfunc_end1977-_ZN7rocprim17ROCPRIM_400000_NS6detail17trampoline_kernelINS0_14default_configENS1_38merge_sort_block_merge_config_selectorIbiEEZZNS1_27merge_sort_block_merge_implIS3_N6thrust23THRUST_200600_302600_NS6detail15normal_iteratorINS8_10device_ptrIbEEEENSA_INSB_IiEEEEjNS1_19radix_merge_compareILb0ELb1EbNS0_19identity_decomposerEEEEE10hipError_tT0_T1_T2_jT3_P12ihipStream_tbPNSt15iterator_traitsISK_E10value_typeEPNSQ_ISL_E10value_typeEPSM_NS1_7vsmem_tEENKUlT_SK_SL_SM_E_clIPbSD_PiSF_EESJ_SZ_SK_SL_SM_EUlSZ_E0_NS1_11comp_targetILNS1_3genE4ELNS1_11target_archE910ELNS1_3gpuE8ELNS1_3repE0EEENS1_38merge_mergepath_config_static_selectorELNS0_4arch9wavefront6targetE1EEEvSL_
                                        ; -- End function
	.set _ZN7rocprim17ROCPRIM_400000_NS6detail17trampoline_kernelINS0_14default_configENS1_38merge_sort_block_merge_config_selectorIbiEEZZNS1_27merge_sort_block_merge_implIS3_N6thrust23THRUST_200600_302600_NS6detail15normal_iteratorINS8_10device_ptrIbEEEENSA_INSB_IiEEEEjNS1_19radix_merge_compareILb0ELb1EbNS0_19identity_decomposerEEEEE10hipError_tT0_T1_T2_jT3_P12ihipStream_tbPNSt15iterator_traitsISK_E10value_typeEPNSQ_ISL_E10value_typeEPSM_NS1_7vsmem_tEENKUlT_SK_SL_SM_E_clIPbSD_PiSF_EESJ_SZ_SK_SL_SM_EUlSZ_E0_NS1_11comp_targetILNS1_3genE4ELNS1_11target_archE910ELNS1_3gpuE8ELNS1_3repE0EEENS1_38merge_mergepath_config_static_selectorELNS0_4arch9wavefront6targetE1EEEvSL_.num_vgpr, 0
	.set _ZN7rocprim17ROCPRIM_400000_NS6detail17trampoline_kernelINS0_14default_configENS1_38merge_sort_block_merge_config_selectorIbiEEZZNS1_27merge_sort_block_merge_implIS3_N6thrust23THRUST_200600_302600_NS6detail15normal_iteratorINS8_10device_ptrIbEEEENSA_INSB_IiEEEEjNS1_19radix_merge_compareILb0ELb1EbNS0_19identity_decomposerEEEEE10hipError_tT0_T1_T2_jT3_P12ihipStream_tbPNSt15iterator_traitsISK_E10value_typeEPNSQ_ISL_E10value_typeEPSM_NS1_7vsmem_tEENKUlT_SK_SL_SM_E_clIPbSD_PiSF_EESJ_SZ_SK_SL_SM_EUlSZ_E0_NS1_11comp_targetILNS1_3genE4ELNS1_11target_archE910ELNS1_3gpuE8ELNS1_3repE0EEENS1_38merge_mergepath_config_static_selectorELNS0_4arch9wavefront6targetE1EEEvSL_.num_agpr, 0
	.set _ZN7rocprim17ROCPRIM_400000_NS6detail17trampoline_kernelINS0_14default_configENS1_38merge_sort_block_merge_config_selectorIbiEEZZNS1_27merge_sort_block_merge_implIS3_N6thrust23THRUST_200600_302600_NS6detail15normal_iteratorINS8_10device_ptrIbEEEENSA_INSB_IiEEEEjNS1_19radix_merge_compareILb0ELb1EbNS0_19identity_decomposerEEEEE10hipError_tT0_T1_T2_jT3_P12ihipStream_tbPNSt15iterator_traitsISK_E10value_typeEPNSQ_ISL_E10value_typeEPSM_NS1_7vsmem_tEENKUlT_SK_SL_SM_E_clIPbSD_PiSF_EESJ_SZ_SK_SL_SM_EUlSZ_E0_NS1_11comp_targetILNS1_3genE4ELNS1_11target_archE910ELNS1_3gpuE8ELNS1_3repE0EEENS1_38merge_mergepath_config_static_selectorELNS0_4arch9wavefront6targetE1EEEvSL_.numbered_sgpr, 0
	.set _ZN7rocprim17ROCPRIM_400000_NS6detail17trampoline_kernelINS0_14default_configENS1_38merge_sort_block_merge_config_selectorIbiEEZZNS1_27merge_sort_block_merge_implIS3_N6thrust23THRUST_200600_302600_NS6detail15normal_iteratorINS8_10device_ptrIbEEEENSA_INSB_IiEEEEjNS1_19radix_merge_compareILb0ELb1EbNS0_19identity_decomposerEEEEE10hipError_tT0_T1_T2_jT3_P12ihipStream_tbPNSt15iterator_traitsISK_E10value_typeEPNSQ_ISL_E10value_typeEPSM_NS1_7vsmem_tEENKUlT_SK_SL_SM_E_clIPbSD_PiSF_EESJ_SZ_SK_SL_SM_EUlSZ_E0_NS1_11comp_targetILNS1_3genE4ELNS1_11target_archE910ELNS1_3gpuE8ELNS1_3repE0EEENS1_38merge_mergepath_config_static_selectorELNS0_4arch9wavefront6targetE1EEEvSL_.num_named_barrier, 0
	.set _ZN7rocprim17ROCPRIM_400000_NS6detail17trampoline_kernelINS0_14default_configENS1_38merge_sort_block_merge_config_selectorIbiEEZZNS1_27merge_sort_block_merge_implIS3_N6thrust23THRUST_200600_302600_NS6detail15normal_iteratorINS8_10device_ptrIbEEEENSA_INSB_IiEEEEjNS1_19radix_merge_compareILb0ELb1EbNS0_19identity_decomposerEEEEE10hipError_tT0_T1_T2_jT3_P12ihipStream_tbPNSt15iterator_traitsISK_E10value_typeEPNSQ_ISL_E10value_typeEPSM_NS1_7vsmem_tEENKUlT_SK_SL_SM_E_clIPbSD_PiSF_EESJ_SZ_SK_SL_SM_EUlSZ_E0_NS1_11comp_targetILNS1_3genE4ELNS1_11target_archE910ELNS1_3gpuE8ELNS1_3repE0EEENS1_38merge_mergepath_config_static_selectorELNS0_4arch9wavefront6targetE1EEEvSL_.private_seg_size, 0
	.set _ZN7rocprim17ROCPRIM_400000_NS6detail17trampoline_kernelINS0_14default_configENS1_38merge_sort_block_merge_config_selectorIbiEEZZNS1_27merge_sort_block_merge_implIS3_N6thrust23THRUST_200600_302600_NS6detail15normal_iteratorINS8_10device_ptrIbEEEENSA_INSB_IiEEEEjNS1_19radix_merge_compareILb0ELb1EbNS0_19identity_decomposerEEEEE10hipError_tT0_T1_T2_jT3_P12ihipStream_tbPNSt15iterator_traitsISK_E10value_typeEPNSQ_ISL_E10value_typeEPSM_NS1_7vsmem_tEENKUlT_SK_SL_SM_E_clIPbSD_PiSF_EESJ_SZ_SK_SL_SM_EUlSZ_E0_NS1_11comp_targetILNS1_3genE4ELNS1_11target_archE910ELNS1_3gpuE8ELNS1_3repE0EEENS1_38merge_mergepath_config_static_selectorELNS0_4arch9wavefront6targetE1EEEvSL_.uses_vcc, 0
	.set _ZN7rocprim17ROCPRIM_400000_NS6detail17trampoline_kernelINS0_14default_configENS1_38merge_sort_block_merge_config_selectorIbiEEZZNS1_27merge_sort_block_merge_implIS3_N6thrust23THRUST_200600_302600_NS6detail15normal_iteratorINS8_10device_ptrIbEEEENSA_INSB_IiEEEEjNS1_19radix_merge_compareILb0ELb1EbNS0_19identity_decomposerEEEEE10hipError_tT0_T1_T2_jT3_P12ihipStream_tbPNSt15iterator_traitsISK_E10value_typeEPNSQ_ISL_E10value_typeEPSM_NS1_7vsmem_tEENKUlT_SK_SL_SM_E_clIPbSD_PiSF_EESJ_SZ_SK_SL_SM_EUlSZ_E0_NS1_11comp_targetILNS1_3genE4ELNS1_11target_archE910ELNS1_3gpuE8ELNS1_3repE0EEENS1_38merge_mergepath_config_static_selectorELNS0_4arch9wavefront6targetE1EEEvSL_.uses_flat_scratch, 0
	.set _ZN7rocprim17ROCPRIM_400000_NS6detail17trampoline_kernelINS0_14default_configENS1_38merge_sort_block_merge_config_selectorIbiEEZZNS1_27merge_sort_block_merge_implIS3_N6thrust23THRUST_200600_302600_NS6detail15normal_iteratorINS8_10device_ptrIbEEEENSA_INSB_IiEEEEjNS1_19radix_merge_compareILb0ELb1EbNS0_19identity_decomposerEEEEE10hipError_tT0_T1_T2_jT3_P12ihipStream_tbPNSt15iterator_traitsISK_E10value_typeEPNSQ_ISL_E10value_typeEPSM_NS1_7vsmem_tEENKUlT_SK_SL_SM_E_clIPbSD_PiSF_EESJ_SZ_SK_SL_SM_EUlSZ_E0_NS1_11comp_targetILNS1_3genE4ELNS1_11target_archE910ELNS1_3gpuE8ELNS1_3repE0EEENS1_38merge_mergepath_config_static_selectorELNS0_4arch9wavefront6targetE1EEEvSL_.has_dyn_sized_stack, 0
	.set _ZN7rocprim17ROCPRIM_400000_NS6detail17trampoline_kernelINS0_14default_configENS1_38merge_sort_block_merge_config_selectorIbiEEZZNS1_27merge_sort_block_merge_implIS3_N6thrust23THRUST_200600_302600_NS6detail15normal_iteratorINS8_10device_ptrIbEEEENSA_INSB_IiEEEEjNS1_19radix_merge_compareILb0ELb1EbNS0_19identity_decomposerEEEEE10hipError_tT0_T1_T2_jT3_P12ihipStream_tbPNSt15iterator_traitsISK_E10value_typeEPNSQ_ISL_E10value_typeEPSM_NS1_7vsmem_tEENKUlT_SK_SL_SM_E_clIPbSD_PiSF_EESJ_SZ_SK_SL_SM_EUlSZ_E0_NS1_11comp_targetILNS1_3genE4ELNS1_11target_archE910ELNS1_3gpuE8ELNS1_3repE0EEENS1_38merge_mergepath_config_static_selectorELNS0_4arch9wavefront6targetE1EEEvSL_.has_recursion, 0
	.set _ZN7rocprim17ROCPRIM_400000_NS6detail17trampoline_kernelINS0_14default_configENS1_38merge_sort_block_merge_config_selectorIbiEEZZNS1_27merge_sort_block_merge_implIS3_N6thrust23THRUST_200600_302600_NS6detail15normal_iteratorINS8_10device_ptrIbEEEENSA_INSB_IiEEEEjNS1_19radix_merge_compareILb0ELb1EbNS0_19identity_decomposerEEEEE10hipError_tT0_T1_T2_jT3_P12ihipStream_tbPNSt15iterator_traitsISK_E10value_typeEPNSQ_ISL_E10value_typeEPSM_NS1_7vsmem_tEENKUlT_SK_SL_SM_E_clIPbSD_PiSF_EESJ_SZ_SK_SL_SM_EUlSZ_E0_NS1_11comp_targetILNS1_3genE4ELNS1_11target_archE910ELNS1_3gpuE8ELNS1_3repE0EEENS1_38merge_mergepath_config_static_selectorELNS0_4arch9wavefront6targetE1EEEvSL_.has_indirect_call, 0
	.section	.AMDGPU.csdata,"",@progbits
; Kernel info:
; codeLenInByte = 0
; TotalNumSgprs: 6
; NumVgprs: 0
; NumAgprs: 0
; TotalNumVgprs: 0
; ScratchSize: 0
; MemoryBound: 0
; FloatMode: 240
; IeeeMode: 1
; LDSByteSize: 0 bytes/workgroup (compile time only)
; SGPRBlocks: 0
; VGPRBlocks: 0
; NumSGPRsForWavesPerEU: 6
; NumVGPRsForWavesPerEU: 1
; AccumOffset: 4
; Occupancy: 8
; WaveLimiterHint : 0
; COMPUTE_PGM_RSRC2:SCRATCH_EN: 0
; COMPUTE_PGM_RSRC2:USER_SGPR: 2
; COMPUTE_PGM_RSRC2:TRAP_HANDLER: 0
; COMPUTE_PGM_RSRC2:TGID_X_EN: 1
; COMPUTE_PGM_RSRC2:TGID_Y_EN: 0
; COMPUTE_PGM_RSRC2:TGID_Z_EN: 0
; COMPUTE_PGM_RSRC2:TIDIG_COMP_CNT: 0
; COMPUTE_PGM_RSRC3_GFX90A:ACCUM_OFFSET: 0
; COMPUTE_PGM_RSRC3_GFX90A:TG_SPLIT: 0
	.section	.text._ZN7rocprim17ROCPRIM_400000_NS6detail17trampoline_kernelINS0_14default_configENS1_38merge_sort_block_merge_config_selectorIbiEEZZNS1_27merge_sort_block_merge_implIS3_N6thrust23THRUST_200600_302600_NS6detail15normal_iteratorINS8_10device_ptrIbEEEENSA_INSB_IiEEEEjNS1_19radix_merge_compareILb0ELb1EbNS0_19identity_decomposerEEEEE10hipError_tT0_T1_T2_jT3_P12ihipStream_tbPNSt15iterator_traitsISK_E10value_typeEPNSQ_ISL_E10value_typeEPSM_NS1_7vsmem_tEENKUlT_SK_SL_SM_E_clIPbSD_PiSF_EESJ_SZ_SK_SL_SM_EUlSZ_E0_NS1_11comp_targetILNS1_3genE3ELNS1_11target_archE908ELNS1_3gpuE7ELNS1_3repE0EEENS1_38merge_mergepath_config_static_selectorELNS0_4arch9wavefront6targetE1EEEvSL_,"axG",@progbits,_ZN7rocprim17ROCPRIM_400000_NS6detail17trampoline_kernelINS0_14default_configENS1_38merge_sort_block_merge_config_selectorIbiEEZZNS1_27merge_sort_block_merge_implIS3_N6thrust23THRUST_200600_302600_NS6detail15normal_iteratorINS8_10device_ptrIbEEEENSA_INSB_IiEEEEjNS1_19radix_merge_compareILb0ELb1EbNS0_19identity_decomposerEEEEE10hipError_tT0_T1_T2_jT3_P12ihipStream_tbPNSt15iterator_traitsISK_E10value_typeEPNSQ_ISL_E10value_typeEPSM_NS1_7vsmem_tEENKUlT_SK_SL_SM_E_clIPbSD_PiSF_EESJ_SZ_SK_SL_SM_EUlSZ_E0_NS1_11comp_targetILNS1_3genE3ELNS1_11target_archE908ELNS1_3gpuE7ELNS1_3repE0EEENS1_38merge_mergepath_config_static_selectorELNS0_4arch9wavefront6targetE1EEEvSL_,comdat
	.protected	_ZN7rocprim17ROCPRIM_400000_NS6detail17trampoline_kernelINS0_14default_configENS1_38merge_sort_block_merge_config_selectorIbiEEZZNS1_27merge_sort_block_merge_implIS3_N6thrust23THRUST_200600_302600_NS6detail15normal_iteratorINS8_10device_ptrIbEEEENSA_INSB_IiEEEEjNS1_19radix_merge_compareILb0ELb1EbNS0_19identity_decomposerEEEEE10hipError_tT0_T1_T2_jT3_P12ihipStream_tbPNSt15iterator_traitsISK_E10value_typeEPNSQ_ISL_E10value_typeEPSM_NS1_7vsmem_tEENKUlT_SK_SL_SM_E_clIPbSD_PiSF_EESJ_SZ_SK_SL_SM_EUlSZ_E0_NS1_11comp_targetILNS1_3genE3ELNS1_11target_archE908ELNS1_3gpuE7ELNS1_3repE0EEENS1_38merge_mergepath_config_static_selectorELNS0_4arch9wavefront6targetE1EEEvSL_ ; -- Begin function _ZN7rocprim17ROCPRIM_400000_NS6detail17trampoline_kernelINS0_14default_configENS1_38merge_sort_block_merge_config_selectorIbiEEZZNS1_27merge_sort_block_merge_implIS3_N6thrust23THRUST_200600_302600_NS6detail15normal_iteratorINS8_10device_ptrIbEEEENSA_INSB_IiEEEEjNS1_19radix_merge_compareILb0ELb1EbNS0_19identity_decomposerEEEEE10hipError_tT0_T1_T2_jT3_P12ihipStream_tbPNSt15iterator_traitsISK_E10value_typeEPNSQ_ISL_E10value_typeEPSM_NS1_7vsmem_tEENKUlT_SK_SL_SM_E_clIPbSD_PiSF_EESJ_SZ_SK_SL_SM_EUlSZ_E0_NS1_11comp_targetILNS1_3genE3ELNS1_11target_archE908ELNS1_3gpuE7ELNS1_3repE0EEENS1_38merge_mergepath_config_static_selectorELNS0_4arch9wavefront6targetE1EEEvSL_
	.globl	_ZN7rocprim17ROCPRIM_400000_NS6detail17trampoline_kernelINS0_14default_configENS1_38merge_sort_block_merge_config_selectorIbiEEZZNS1_27merge_sort_block_merge_implIS3_N6thrust23THRUST_200600_302600_NS6detail15normal_iteratorINS8_10device_ptrIbEEEENSA_INSB_IiEEEEjNS1_19radix_merge_compareILb0ELb1EbNS0_19identity_decomposerEEEEE10hipError_tT0_T1_T2_jT3_P12ihipStream_tbPNSt15iterator_traitsISK_E10value_typeEPNSQ_ISL_E10value_typeEPSM_NS1_7vsmem_tEENKUlT_SK_SL_SM_E_clIPbSD_PiSF_EESJ_SZ_SK_SL_SM_EUlSZ_E0_NS1_11comp_targetILNS1_3genE3ELNS1_11target_archE908ELNS1_3gpuE7ELNS1_3repE0EEENS1_38merge_mergepath_config_static_selectorELNS0_4arch9wavefront6targetE1EEEvSL_
	.p2align	8
	.type	_ZN7rocprim17ROCPRIM_400000_NS6detail17trampoline_kernelINS0_14default_configENS1_38merge_sort_block_merge_config_selectorIbiEEZZNS1_27merge_sort_block_merge_implIS3_N6thrust23THRUST_200600_302600_NS6detail15normal_iteratorINS8_10device_ptrIbEEEENSA_INSB_IiEEEEjNS1_19radix_merge_compareILb0ELb1EbNS0_19identity_decomposerEEEEE10hipError_tT0_T1_T2_jT3_P12ihipStream_tbPNSt15iterator_traitsISK_E10value_typeEPNSQ_ISL_E10value_typeEPSM_NS1_7vsmem_tEENKUlT_SK_SL_SM_E_clIPbSD_PiSF_EESJ_SZ_SK_SL_SM_EUlSZ_E0_NS1_11comp_targetILNS1_3genE3ELNS1_11target_archE908ELNS1_3gpuE7ELNS1_3repE0EEENS1_38merge_mergepath_config_static_selectorELNS0_4arch9wavefront6targetE1EEEvSL_,@function
_ZN7rocprim17ROCPRIM_400000_NS6detail17trampoline_kernelINS0_14default_configENS1_38merge_sort_block_merge_config_selectorIbiEEZZNS1_27merge_sort_block_merge_implIS3_N6thrust23THRUST_200600_302600_NS6detail15normal_iteratorINS8_10device_ptrIbEEEENSA_INSB_IiEEEEjNS1_19radix_merge_compareILb0ELb1EbNS0_19identity_decomposerEEEEE10hipError_tT0_T1_T2_jT3_P12ihipStream_tbPNSt15iterator_traitsISK_E10value_typeEPNSQ_ISL_E10value_typeEPSM_NS1_7vsmem_tEENKUlT_SK_SL_SM_E_clIPbSD_PiSF_EESJ_SZ_SK_SL_SM_EUlSZ_E0_NS1_11comp_targetILNS1_3genE3ELNS1_11target_archE908ELNS1_3gpuE7ELNS1_3repE0EEENS1_38merge_mergepath_config_static_selectorELNS0_4arch9wavefront6targetE1EEEvSL_: ; @_ZN7rocprim17ROCPRIM_400000_NS6detail17trampoline_kernelINS0_14default_configENS1_38merge_sort_block_merge_config_selectorIbiEEZZNS1_27merge_sort_block_merge_implIS3_N6thrust23THRUST_200600_302600_NS6detail15normal_iteratorINS8_10device_ptrIbEEEENSA_INSB_IiEEEEjNS1_19radix_merge_compareILb0ELb1EbNS0_19identity_decomposerEEEEE10hipError_tT0_T1_T2_jT3_P12ihipStream_tbPNSt15iterator_traitsISK_E10value_typeEPNSQ_ISL_E10value_typeEPSM_NS1_7vsmem_tEENKUlT_SK_SL_SM_E_clIPbSD_PiSF_EESJ_SZ_SK_SL_SM_EUlSZ_E0_NS1_11comp_targetILNS1_3genE3ELNS1_11target_archE908ELNS1_3gpuE7ELNS1_3repE0EEENS1_38merge_mergepath_config_static_selectorELNS0_4arch9wavefront6targetE1EEEvSL_
; %bb.0:
	.section	.rodata,"a",@progbits
	.p2align	6, 0x0
	.amdhsa_kernel _ZN7rocprim17ROCPRIM_400000_NS6detail17trampoline_kernelINS0_14default_configENS1_38merge_sort_block_merge_config_selectorIbiEEZZNS1_27merge_sort_block_merge_implIS3_N6thrust23THRUST_200600_302600_NS6detail15normal_iteratorINS8_10device_ptrIbEEEENSA_INSB_IiEEEEjNS1_19radix_merge_compareILb0ELb1EbNS0_19identity_decomposerEEEEE10hipError_tT0_T1_T2_jT3_P12ihipStream_tbPNSt15iterator_traitsISK_E10value_typeEPNSQ_ISL_E10value_typeEPSM_NS1_7vsmem_tEENKUlT_SK_SL_SM_E_clIPbSD_PiSF_EESJ_SZ_SK_SL_SM_EUlSZ_E0_NS1_11comp_targetILNS1_3genE3ELNS1_11target_archE908ELNS1_3gpuE7ELNS1_3repE0EEENS1_38merge_mergepath_config_static_selectorELNS0_4arch9wavefront6targetE1EEEvSL_
		.amdhsa_group_segment_fixed_size 0
		.amdhsa_private_segment_fixed_size 0
		.amdhsa_kernarg_size 64
		.amdhsa_user_sgpr_count 2
		.amdhsa_user_sgpr_dispatch_ptr 0
		.amdhsa_user_sgpr_queue_ptr 0
		.amdhsa_user_sgpr_kernarg_segment_ptr 1
		.amdhsa_user_sgpr_dispatch_id 0
		.amdhsa_user_sgpr_kernarg_preload_length 0
		.amdhsa_user_sgpr_kernarg_preload_offset 0
		.amdhsa_user_sgpr_private_segment_size 0
		.amdhsa_uses_dynamic_stack 0
		.amdhsa_enable_private_segment 0
		.amdhsa_system_sgpr_workgroup_id_x 1
		.amdhsa_system_sgpr_workgroup_id_y 0
		.amdhsa_system_sgpr_workgroup_id_z 0
		.amdhsa_system_sgpr_workgroup_info 0
		.amdhsa_system_vgpr_workitem_id 0
		.amdhsa_next_free_vgpr 1
		.amdhsa_next_free_sgpr 0
		.amdhsa_accum_offset 4
		.amdhsa_reserve_vcc 0
		.amdhsa_float_round_mode_32 0
		.amdhsa_float_round_mode_16_64 0
		.amdhsa_float_denorm_mode_32 3
		.amdhsa_float_denorm_mode_16_64 3
		.amdhsa_dx10_clamp 1
		.amdhsa_ieee_mode 1
		.amdhsa_fp16_overflow 0
		.amdhsa_tg_split 0
		.amdhsa_exception_fp_ieee_invalid_op 0
		.amdhsa_exception_fp_denorm_src 0
		.amdhsa_exception_fp_ieee_div_zero 0
		.amdhsa_exception_fp_ieee_overflow 0
		.amdhsa_exception_fp_ieee_underflow 0
		.amdhsa_exception_fp_ieee_inexact 0
		.amdhsa_exception_int_div_zero 0
	.end_amdhsa_kernel
	.section	.text._ZN7rocprim17ROCPRIM_400000_NS6detail17trampoline_kernelINS0_14default_configENS1_38merge_sort_block_merge_config_selectorIbiEEZZNS1_27merge_sort_block_merge_implIS3_N6thrust23THRUST_200600_302600_NS6detail15normal_iteratorINS8_10device_ptrIbEEEENSA_INSB_IiEEEEjNS1_19radix_merge_compareILb0ELb1EbNS0_19identity_decomposerEEEEE10hipError_tT0_T1_T2_jT3_P12ihipStream_tbPNSt15iterator_traitsISK_E10value_typeEPNSQ_ISL_E10value_typeEPSM_NS1_7vsmem_tEENKUlT_SK_SL_SM_E_clIPbSD_PiSF_EESJ_SZ_SK_SL_SM_EUlSZ_E0_NS1_11comp_targetILNS1_3genE3ELNS1_11target_archE908ELNS1_3gpuE7ELNS1_3repE0EEENS1_38merge_mergepath_config_static_selectorELNS0_4arch9wavefront6targetE1EEEvSL_,"axG",@progbits,_ZN7rocprim17ROCPRIM_400000_NS6detail17trampoline_kernelINS0_14default_configENS1_38merge_sort_block_merge_config_selectorIbiEEZZNS1_27merge_sort_block_merge_implIS3_N6thrust23THRUST_200600_302600_NS6detail15normal_iteratorINS8_10device_ptrIbEEEENSA_INSB_IiEEEEjNS1_19radix_merge_compareILb0ELb1EbNS0_19identity_decomposerEEEEE10hipError_tT0_T1_T2_jT3_P12ihipStream_tbPNSt15iterator_traitsISK_E10value_typeEPNSQ_ISL_E10value_typeEPSM_NS1_7vsmem_tEENKUlT_SK_SL_SM_E_clIPbSD_PiSF_EESJ_SZ_SK_SL_SM_EUlSZ_E0_NS1_11comp_targetILNS1_3genE3ELNS1_11target_archE908ELNS1_3gpuE7ELNS1_3repE0EEENS1_38merge_mergepath_config_static_selectorELNS0_4arch9wavefront6targetE1EEEvSL_,comdat
.Lfunc_end1978:
	.size	_ZN7rocprim17ROCPRIM_400000_NS6detail17trampoline_kernelINS0_14default_configENS1_38merge_sort_block_merge_config_selectorIbiEEZZNS1_27merge_sort_block_merge_implIS3_N6thrust23THRUST_200600_302600_NS6detail15normal_iteratorINS8_10device_ptrIbEEEENSA_INSB_IiEEEEjNS1_19radix_merge_compareILb0ELb1EbNS0_19identity_decomposerEEEEE10hipError_tT0_T1_T2_jT3_P12ihipStream_tbPNSt15iterator_traitsISK_E10value_typeEPNSQ_ISL_E10value_typeEPSM_NS1_7vsmem_tEENKUlT_SK_SL_SM_E_clIPbSD_PiSF_EESJ_SZ_SK_SL_SM_EUlSZ_E0_NS1_11comp_targetILNS1_3genE3ELNS1_11target_archE908ELNS1_3gpuE7ELNS1_3repE0EEENS1_38merge_mergepath_config_static_selectorELNS0_4arch9wavefront6targetE1EEEvSL_, .Lfunc_end1978-_ZN7rocprim17ROCPRIM_400000_NS6detail17trampoline_kernelINS0_14default_configENS1_38merge_sort_block_merge_config_selectorIbiEEZZNS1_27merge_sort_block_merge_implIS3_N6thrust23THRUST_200600_302600_NS6detail15normal_iteratorINS8_10device_ptrIbEEEENSA_INSB_IiEEEEjNS1_19radix_merge_compareILb0ELb1EbNS0_19identity_decomposerEEEEE10hipError_tT0_T1_T2_jT3_P12ihipStream_tbPNSt15iterator_traitsISK_E10value_typeEPNSQ_ISL_E10value_typeEPSM_NS1_7vsmem_tEENKUlT_SK_SL_SM_E_clIPbSD_PiSF_EESJ_SZ_SK_SL_SM_EUlSZ_E0_NS1_11comp_targetILNS1_3genE3ELNS1_11target_archE908ELNS1_3gpuE7ELNS1_3repE0EEENS1_38merge_mergepath_config_static_selectorELNS0_4arch9wavefront6targetE1EEEvSL_
                                        ; -- End function
	.set _ZN7rocprim17ROCPRIM_400000_NS6detail17trampoline_kernelINS0_14default_configENS1_38merge_sort_block_merge_config_selectorIbiEEZZNS1_27merge_sort_block_merge_implIS3_N6thrust23THRUST_200600_302600_NS6detail15normal_iteratorINS8_10device_ptrIbEEEENSA_INSB_IiEEEEjNS1_19radix_merge_compareILb0ELb1EbNS0_19identity_decomposerEEEEE10hipError_tT0_T1_T2_jT3_P12ihipStream_tbPNSt15iterator_traitsISK_E10value_typeEPNSQ_ISL_E10value_typeEPSM_NS1_7vsmem_tEENKUlT_SK_SL_SM_E_clIPbSD_PiSF_EESJ_SZ_SK_SL_SM_EUlSZ_E0_NS1_11comp_targetILNS1_3genE3ELNS1_11target_archE908ELNS1_3gpuE7ELNS1_3repE0EEENS1_38merge_mergepath_config_static_selectorELNS0_4arch9wavefront6targetE1EEEvSL_.num_vgpr, 0
	.set _ZN7rocprim17ROCPRIM_400000_NS6detail17trampoline_kernelINS0_14default_configENS1_38merge_sort_block_merge_config_selectorIbiEEZZNS1_27merge_sort_block_merge_implIS3_N6thrust23THRUST_200600_302600_NS6detail15normal_iteratorINS8_10device_ptrIbEEEENSA_INSB_IiEEEEjNS1_19radix_merge_compareILb0ELb1EbNS0_19identity_decomposerEEEEE10hipError_tT0_T1_T2_jT3_P12ihipStream_tbPNSt15iterator_traitsISK_E10value_typeEPNSQ_ISL_E10value_typeEPSM_NS1_7vsmem_tEENKUlT_SK_SL_SM_E_clIPbSD_PiSF_EESJ_SZ_SK_SL_SM_EUlSZ_E0_NS1_11comp_targetILNS1_3genE3ELNS1_11target_archE908ELNS1_3gpuE7ELNS1_3repE0EEENS1_38merge_mergepath_config_static_selectorELNS0_4arch9wavefront6targetE1EEEvSL_.num_agpr, 0
	.set _ZN7rocprim17ROCPRIM_400000_NS6detail17trampoline_kernelINS0_14default_configENS1_38merge_sort_block_merge_config_selectorIbiEEZZNS1_27merge_sort_block_merge_implIS3_N6thrust23THRUST_200600_302600_NS6detail15normal_iteratorINS8_10device_ptrIbEEEENSA_INSB_IiEEEEjNS1_19radix_merge_compareILb0ELb1EbNS0_19identity_decomposerEEEEE10hipError_tT0_T1_T2_jT3_P12ihipStream_tbPNSt15iterator_traitsISK_E10value_typeEPNSQ_ISL_E10value_typeEPSM_NS1_7vsmem_tEENKUlT_SK_SL_SM_E_clIPbSD_PiSF_EESJ_SZ_SK_SL_SM_EUlSZ_E0_NS1_11comp_targetILNS1_3genE3ELNS1_11target_archE908ELNS1_3gpuE7ELNS1_3repE0EEENS1_38merge_mergepath_config_static_selectorELNS0_4arch9wavefront6targetE1EEEvSL_.numbered_sgpr, 0
	.set _ZN7rocprim17ROCPRIM_400000_NS6detail17trampoline_kernelINS0_14default_configENS1_38merge_sort_block_merge_config_selectorIbiEEZZNS1_27merge_sort_block_merge_implIS3_N6thrust23THRUST_200600_302600_NS6detail15normal_iteratorINS8_10device_ptrIbEEEENSA_INSB_IiEEEEjNS1_19radix_merge_compareILb0ELb1EbNS0_19identity_decomposerEEEEE10hipError_tT0_T1_T2_jT3_P12ihipStream_tbPNSt15iterator_traitsISK_E10value_typeEPNSQ_ISL_E10value_typeEPSM_NS1_7vsmem_tEENKUlT_SK_SL_SM_E_clIPbSD_PiSF_EESJ_SZ_SK_SL_SM_EUlSZ_E0_NS1_11comp_targetILNS1_3genE3ELNS1_11target_archE908ELNS1_3gpuE7ELNS1_3repE0EEENS1_38merge_mergepath_config_static_selectorELNS0_4arch9wavefront6targetE1EEEvSL_.num_named_barrier, 0
	.set _ZN7rocprim17ROCPRIM_400000_NS6detail17trampoline_kernelINS0_14default_configENS1_38merge_sort_block_merge_config_selectorIbiEEZZNS1_27merge_sort_block_merge_implIS3_N6thrust23THRUST_200600_302600_NS6detail15normal_iteratorINS8_10device_ptrIbEEEENSA_INSB_IiEEEEjNS1_19radix_merge_compareILb0ELb1EbNS0_19identity_decomposerEEEEE10hipError_tT0_T1_T2_jT3_P12ihipStream_tbPNSt15iterator_traitsISK_E10value_typeEPNSQ_ISL_E10value_typeEPSM_NS1_7vsmem_tEENKUlT_SK_SL_SM_E_clIPbSD_PiSF_EESJ_SZ_SK_SL_SM_EUlSZ_E0_NS1_11comp_targetILNS1_3genE3ELNS1_11target_archE908ELNS1_3gpuE7ELNS1_3repE0EEENS1_38merge_mergepath_config_static_selectorELNS0_4arch9wavefront6targetE1EEEvSL_.private_seg_size, 0
	.set _ZN7rocprim17ROCPRIM_400000_NS6detail17trampoline_kernelINS0_14default_configENS1_38merge_sort_block_merge_config_selectorIbiEEZZNS1_27merge_sort_block_merge_implIS3_N6thrust23THRUST_200600_302600_NS6detail15normal_iteratorINS8_10device_ptrIbEEEENSA_INSB_IiEEEEjNS1_19radix_merge_compareILb0ELb1EbNS0_19identity_decomposerEEEEE10hipError_tT0_T1_T2_jT3_P12ihipStream_tbPNSt15iterator_traitsISK_E10value_typeEPNSQ_ISL_E10value_typeEPSM_NS1_7vsmem_tEENKUlT_SK_SL_SM_E_clIPbSD_PiSF_EESJ_SZ_SK_SL_SM_EUlSZ_E0_NS1_11comp_targetILNS1_3genE3ELNS1_11target_archE908ELNS1_3gpuE7ELNS1_3repE0EEENS1_38merge_mergepath_config_static_selectorELNS0_4arch9wavefront6targetE1EEEvSL_.uses_vcc, 0
	.set _ZN7rocprim17ROCPRIM_400000_NS6detail17trampoline_kernelINS0_14default_configENS1_38merge_sort_block_merge_config_selectorIbiEEZZNS1_27merge_sort_block_merge_implIS3_N6thrust23THRUST_200600_302600_NS6detail15normal_iteratorINS8_10device_ptrIbEEEENSA_INSB_IiEEEEjNS1_19radix_merge_compareILb0ELb1EbNS0_19identity_decomposerEEEEE10hipError_tT0_T1_T2_jT3_P12ihipStream_tbPNSt15iterator_traitsISK_E10value_typeEPNSQ_ISL_E10value_typeEPSM_NS1_7vsmem_tEENKUlT_SK_SL_SM_E_clIPbSD_PiSF_EESJ_SZ_SK_SL_SM_EUlSZ_E0_NS1_11comp_targetILNS1_3genE3ELNS1_11target_archE908ELNS1_3gpuE7ELNS1_3repE0EEENS1_38merge_mergepath_config_static_selectorELNS0_4arch9wavefront6targetE1EEEvSL_.uses_flat_scratch, 0
	.set _ZN7rocprim17ROCPRIM_400000_NS6detail17trampoline_kernelINS0_14default_configENS1_38merge_sort_block_merge_config_selectorIbiEEZZNS1_27merge_sort_block_merge_implIS3_N6thrust23THRUST_200600_302600_NS6detail15normal_iteratorINS8_10device_ptrIbEEEENSA_INSB_IiEEEEjNS1_19radix_merge_compareILb0ELb1EbNS0_19identity_decomposerEEEEE10hipError_tT0_T1_T2_jT3_P12ihipStream_tbPNSt15iterator_traitsISK_E10value_typeEPNSQ_ISL_E10value_typeEPSM_NS1_7vsmem_tEENKUlT_SK_SL_SM_E_clIPbSD_PiSF_EESJ_SZ_SK_SL_SM_EUlSZ_E0_NS1_11comp_targetILNS1_3genE3ELNS1_11target_archE908ELNS1_3gpuE7ELNS1_3repE0EEENS1_38merge_mergepath_config_static_selectorELNS0_4arch9wavefront6targetE1EEEvSL_.has_dyn_sized_stack, 0
	.set _ZN7rocprim17ROCPRIM_400000_NS6detail17trampoline_kernelINS0_14default_configENS1_38merge_sort_block_merge_config_selectorIbiEEZZNS1_27merge_sort_block_merge_implIS3_N6thrust23THRUST_200600_302600_NS6detail15normal_iteratorINS8_10device_ptrIbEEEENSA_INSB_IiEEEEjNS1_19radix_merge_compareILb0ELb1EbNS0_19identity_decomposerEEEEE10hipError_tT0_T1_T2_jT3_P12ihipStream_tbPNSt15iterator_traitsISK_E10value_typeEPNSQ_ISL_E10value_typeEPSM_NS1_7vsmem_tEENKUlT_SK_SL_SM_E_clIPbSD_PiSF_EESJ_SZ_SK_SL_SM_EUlSZ_E0_NS1_11comp_targetILNS1_3genE3ELNS1_11target_archE908ELNS1_3gpuE7ELNS1_3repE0EEENS1_38merge_mergepath_config_static_selectorELNS0_4arch9wavefront6targetE1EEEvSL_.has_recursion, 0
	.set _ZN7rocprim17ROCPRIM_400000_NS6detail17trampoline_kernelINS0_14default_configENS1_38merge_sort_block_merge_config_selectorIbiEEZZNS1_27merge_sort_block_merge_implIS3_N6thrust23THRUST_200600_302600_NS6detail15normal_iteratorINS8_10device_ptrIbEEEENSA_INSB_IiEEEEjNS1_19radix_merge_compareILb0ELb1EbNS0_19identity_decomposerEEEEE10hipError_tT0_T1_T2_jT3_P12ihipStream_tbPNSt15iterator_traitsISK_E10value_typeEPNSQ_ISL_E10value_typeEPSM_NS1_7vsmem_tEENKUlT_SK_SL_SM_E_clIPbSD_PiSF_EESJ_SZ_SK_SL_SM_EUlSZ_E0_NS1_11comp_targetILNS1_3genE3ELNS1_11target_archE908ELNS1_3gpuE7ELNS1_3repE0EEENS1_38merge_mergepath_config_static_selectorELNS0_4arch9wavefront6targetE1EEEvSL_.has_indirect_call, 0
	.section	.AMDGPU.csdata,"",@progbits
; Kernel info:
; codeLenInByte = 0
; TotalNumSgprs: 6
; NumVgprs: 0
; NumAgprs: 0
; TotalNumVgprs: 0
; ScratchSize: 0
; MemoryBound: 0
; FloatMode: 240
; IeeeMode: 1
; LDSByteSize: 0 bytes/workgroup (compile time only)
; SGPRBlocks: 0
; VGPRBlocks: 0
; NumSGPRsForWavesPerEU: 6
; NumVGPRsForWavesPerEU: 1
; AccumOffset: 4
; Occupancy: 8
; WaveLimiterHint : 0
; COMPUTE_PGM_RSRC2:SCRATCH_EN: 0
; COMPUTE_PGM_RSRC2:USER_SGPR: 2
; COMPUTE_PGM_RSRC2:TRAP_HANDLER: 0
; COMPUTE_PGM_RSRC2:TGID_X_EN: 1
; COMPUTE_PGM_RSRC2:TGID_Y_EN: 0
; COMPUTE_PGM_RSRC2:TGID_Z_EN: 0
; COMPUTE_PGM_RSRC2:TIDIG_COMP_CNT: 0
; COMPUTE_PGM_RSRC3_GFX90A:ACCUM_OFFSET: 0
; COMPUTE_PGM_RSRC3_GFX90A:TG_SPLIT: 0
	.section	.text._ZN7rocprim17ROCPRIM_400000_NS6detail17trampoline_kernelINS0_14default_configENS1_38merge_sort_block_merge_config_selectorIbiEEZZNS1_27merge_sort_block_merge_implIS3_N6thrust23THRUST_200600_302600_NS6detail15normal_iteratorINS8_10device_ptrIbEEEENSA_INSB_IiEEEEjNS1_19radix_merge_compareILb0ELb1EbNS0_19identity_decomposerEEEEE10hipError_tT0_T1_T2_jT3_P12ihipStream_tbPNSt15iterator_traitsISK_E10value_typeEPNSQ_ISL_E10value_typeEPSM_NS1_7vsmem_tEENKUlT_SK_SL_SM_E_clIPbSD_PiSF_EESJ_SZ_SK_SL_SM_EUlSZ_E0_NS1_11comp_targetILNS1_3genE2ELNS1_11target_archE906ELNS1_3gpuE6ELNS1_3repE0EEENS1_38merge_mergepath_config_static_selectorELNS0_4arch9wavefront6targetE1EEEvSL_,"axG",@progbits,_ZN7rocprim17ROCPRIM_400000_NS6detail17trampoline_kernelINS0_14default_configENS1_38merge_sort_block_merge_config_selectorIbiEEZZNS1_27merge_sort_block_merge_implIS3_N6thrust23THRUST_200600_302600_NS6detail15normal_iteratorINS8_10device_ptrIbEEEENSA_INSB_IiEEEEjNS1_19radix_merge_compareILb0ELb1EbNS0_19identity_decomposerEEEEE10hipError_tT0_T1_T2_jT3_P12ihipStream_tbPNSt15iterator_traitsISK_E10value_typeEPNSQ_ISL_E10value_typeEPSM_NS1_7vsmem_tEENKUlT_SK_SL_SM_E_clIPbSD_PiSF_EESJ_SZ_SK_SL_SM_EUlSZ_E0_NS1_11comp_targetILNS1_3genE2ELNS1_11target_archE906ELNS1_3gpuE6ELNS1_3repE0EEENS1_38merge_mergepath_config_static_selectorELNS0_4arch9wavefront6targetE1EEEvSL_,comdat
	.protected	_ZN7rocprim17ROCPRIM_400000_NS6detail17trampoline_kernelINS0_14default_configENS1_38merge_sort_block_merge_config_selectorIbiEEZZNS1_27merge_sort_block_merge_implIS3_N6thrust23THRUST_200600_302600_NS6detail15normal_iteratorINS8_10device_ptrIbEEEENSA_INSB_IiEEEEjNS1_19radix_merge_compareILb0ELb1EbNS0_19identity_decomposerEEEEE10hipError_tT0_T1_T2_jT3_P12ihipStream_tbPNSt15iterator_traitsISK_E10value_typeEPNSQ_ISL_E10value_typeEPSM_NS1_7vsmem_tEENKUlT_SK_SL_SM_E_clIPbSD_PiSF_EESJ_SZ_SK_SL_SM_EUlSZ_E0_NS1_11comp_targetILNS1_3genE2ELNS1_11target_archE906ELNS1_3gpuE6ELNS1_3repE0EEENS1_38merge_mergepath_config_static_selectorELNS0_4arch9wavefront6targetE1EEEvSL_ ; -- Begin function _ZN7rocprim17ROCPRIM_400000_NS6detail17trampoline_kernelINS0_14default_configENS1_38merge_sort_block_merge_config_selectorIbiEEZZNS1_27merge_sort_block_merge_implIS3_N6thrust23THRUST_200600_302600_NS6detail15normal_iteratorINS8_10device_ptrIbEEEENSA_INSB_IiEEEEjNS1_19radix_merge_compareILb0ELb1EbNS0_19identity_decomposerEEEEE10hipError_tT0_T1_T2_jT3_P12ihipStream_tbPNSt15iterator_traitsISK_E10value_typeEPNSQ_ISL_E10value_typeEPSM_NS1_7vsmem_tEENKUlT_SK_SL_SM_E_clIPbSD_PiSF_EESJ_SZ_SK_SL_SM_EUlSZ_E0_NS1_11comp_targetILNS1_3genE2ELNS1_11target_archE906ELNS1_3gpuE6ELNS1_3repE0EEENS1_38merge_mergepath_config_static_selectorELNS0_4arch9wavefront6targetE1EEEvSL_
	.globl	_ZN7rocprim17ROCPRIM_400000_NS6detail17trampoline_kernelINS0_14default_configENS1_38merge_sort_block_merge_config_selectorIbiEEZZNS1_27merge_sort_block_merge_implIS3_N6thrust23THRUST_200600_302600_NS6detail15normal_iteratorINS8_10device_ptrIbEEEENSA_INSB_IiEEEEjNS1_19radix_merge_compareILb0ELb1EbNS0_19identity_decomposerEEEEE10hipError_tT0_T1_T2_jT3_P12ihipStream_tbPNSt15iterator_traitsISK_E10value_typeEPNSQ_ISL_E10value_typeEPSM_NS1_7vsmem_tEENKUlT_SK_SL_SM_E_clIPbSD_PiSF_EESJ_SZ_SK_SL_SM_EUlSZ_E0_NS1_11comp_targetILNS1_3genE2ELNS1_11target_archE906ELNS1_3gpuE6ELNS1_3repE0EEENS1_38merge_mergepath_config_static_selectorELNS0_4arch9wavefront6targetE1EEEvSL_
	.p2align	8
	.type	_ZN7rocprim17ROCPRIM_400000_NS6detail17trampoline_kernelINS0_14default_configENS1_38merge_sort_block_merge_config_selectorIbiEEZZNS1_27merge_sort_block_merge_implIS3_N6thrust23THRUST_200600_302600_NS6detail15normal_iteratorINS8_10device_ptrIbEEEENSA_INSB_IiEEEEjNS1_19radix_merge_compareILb0ELb1EbNS0_19identity_decomposerEEEEE10hipError_tT0_T1_T2_jT3_P12ihipStream_tbPNSt15iterator_traitsISK_E10value_typeEPNSQ_ISL_E10value_typeEPSM_NS1_7vsmem_tEENKUlT_SK_SL_SM_E_clIPbSD_PiSF_EESJ_SZ_SK_SL_SM_EUlSZ_E0_NS1_11comp_targetILNS1_3genE2ELNS1_11target_archE906ELNS1_3gpuE6ELNS1_3repE0EEENS1_38merge_mergepath_config_static_selectorELNS0_4arch9wavefront6targetE1EEEvSL_,@function
_ZN7rocprim17ROCPRIM_400000_NS6detail17trampoline_kernelINS0_14default_configENS1_38merge_sort_block_merge_config_selectorIbiEEZZNS1_27merge_sort_block_merge_implIS3_N6thrust23THRUST_200600_302600_NS6detail15normal_iteratorINS8_10device_ptrIbEEEENSA_INSB_IiEEEEjNS1_19radix_merge_compareILb0ELb1EbNS0_19identity_decomposerEEEEE10hipError_tT0_T1_T2_jT3_P12ihipStream_tbPNSt15iterator_traitsISK_E10value_typeEPNSQ_ISL_E10value_typeEPSM_NS1_7vsmem_tEENKUlT_SK_SL_SM_E_clIPbSD_PiSF_EESJ_SZ_SK_SL_SM_EUlSZ_E0_NS1_11comp_targetILNS1_3genE2ELNS1_11target_archE906ELNS1_3gpuE6ELNS1_3repE0EEENS1_38merge_mergepath_config_static_selectorELNS0_4arch9wavefront6targetE1EEEvSL_: ; @_ZN7rocprim17ROCPRIM_400000_NS6detail17trampoline_kernelINS0_14default_configENS1_38merge_sort_block_merge_config_selectorIbiEEZZNS1_27merge_sort_block_merge_implIS3_N6thrust23THRUST_200600_302600_NS6detail15normal_iteratorINS8_10device_ptrIbEEEENSA_INSB_IiEEEEjNS1_19radix_merge_compareILb0ELb1EbNS0_19identity_decomposerEEEEE10hipError_tT0_T1_T2_jT3_P12ihipStream_tbPNSt15iterator_traitsISK_E10value_typeEPNSQ_ISL_E10value_typeEPSM_NS1_7vsmem_tEENKUlT_SK_SL_SM_E_clIPbSD_PiSF_EESJ_SZ_SK_SL_SM_EUlSZ_E0_NS1_11comp_targetILNS1_3genE2ELNS1_11target_archE906ELNS1_3gpuE6ELNS1_3repE0EEENS1_38merge_mergepath_config_static_selectorELNS0_4arch9wavefront6targetE1EEEvSL_
; %bb.0:
	.section	.rodata,"a",@progbits
	.p2align	6, 0x0
	.amdhsa_kernel _ZN7rocprim17ROCPRIM_400000_NS6detail17trampoline_kernelINS0_14default_configENS1_38merge_sort_block_merge_config_selectorIbiEEZZNS1_27merge_sort_block_merge_implIS3_N6thrust23THRUST_200600_302600_NS6detail15normal_iteratorINS8_10device_ptrIbEEEENSA_INSB_IiEEEEjNS1_19radix_merge_compareILb0ELb1EbNS0_19identity_decomposerEEEEE10hipError_tT0_T1_T2_jT3_P12ihipStream_tbPNSt15iterator_traitsISK_E10value_typeEPNSQ_ISL_E10value_typeEPSM_NS1_7vsmem_tEENKUlT_SK_SL_SM_E_clIPbSD_PiSF_EESJ_SZ_SK_SL_SM_EUlSZ_E0_NS1_11comp_targetILNS1_3genE2ELNS1_11target_archE906ELNS1_3gpuE6ELNS1_3repE0EEENS1_38merge_mergepath_config_static_selectorELNS0_4arch9wavefront6targetE1EEEvSL_
		.amdhsa_group_segment_fixed_size 0
		.amdhsa_private_segment_fixed_size 0
		.amdhsa_kernarg_size 64
		.amdhsa_user_sgpr_count 2
		.amdhsa_user_sgpr_dispatch_ptr 0
		.amdhsa_user_sgpr_queue_ptr 0
		.amdhsa_user_sgpr_kernarg_segment_ptr 1
		.amdhsa_user_sgpr_dispatch_id 0
		.amdhsa_user_sgpr_kernarg_preload_length 0
		.amdhsa_user_sgpr_kernarg_preload_offset 0
		.amdhsa_user_sgpr_private_segment_size 0
		.amdhsa_uses_dynamic_stack 0
		.amdhsa_enable_private_segment 0
		.amdhsa_system_sgpr_workgroup_id_x 1
		.amdhsa_system_sgpr_workgroup_id_y 0
		.amdhsa_system_sgpr_workgroup_id_z 0
		.amdhsa_system_sgpr_workgroup_info 0
		.amdhsa_system_vgpr_workitem_id 0
		.amdhsa_next_free_vgpr 1
		.amdhsa_next_free_sgpr 0
		.amdhsa_accum_offset 4
		.amdhsa_reserve_vcc 0
		.amdhsa_float_round_mode_32 0
		.amdhsa_float_round_mode_16_64 0
		.amdhsa_float_denorm_mode_32 3
		.amdhsa_float_denorm_mode_16_64 3
		.amdhsa_dx10_clamp 1
		.amdhsa_ieee_mode 1
		.amdhsa_fp16_overflow 0
		.amdhsa_tg_split 0
		.amdhsa_exception_fp_ieee_invalid_op 0
		.amdhsa_exception_fp_denorm_src 0
		.amdhsa_exception_fp_ieee_div_zero 0
		.amdhsa_exception_fp_ieee_overflow 0
		.amdhsa_exception_fp_ieee_underflow 0
		.amdhsa_exception_fp_ieee_inexact 0
		.amdhsa_exception_int_div_zero 0
	.end_amdhsa_kernel
	.section	.text._ZN7rocprim17ROCPRIM_400000_NS6detail17trampoline_kernelINS0_14default_configENS1_38merge_sort_block_merge_config_selectorIbiEEZZNS1_27merge_sort_block_merge_implIS3_N6thrust23THRUST_200600_302600_NS6detail15normal_iteratorINS8_10device_ptrIbEEEENSA_INSB_IiEEEEjNS1_19radix_merge_compareILb0ELb1EbNS0_19identity_decomposerEEEEE10hipError_tT0_T1_T2_jT3_P12ihipStream_tbPNSt15iterator_traitsISK_E10value_typeEPNSQ_ISL_E10value_typeEPSM_NS1_7vsmem_tEENKUlT_SK_SL_SM_E_clIPbSD_PiSF_EESJ_SZ_SK_SL_SM_EUlSZ_E0_NS1_11comp_targetILNS1_3genE2ELNS1_11target_archE906ELNS1_3gpuE6ELNS1_3repE0EEENS1_38merge_mergepath_config_static_selectorELNS0_4arch9wavefront6targetE1EEEvSL_,"axG",@progbits,_ZN7rocprim17ROCPRIM_400000_NS6detail17trampoline_kernelINS0_14default_configENS1_38merge_sort_block_merge_config_selectorIbiEEZZNS1_27merge_sort_block_merge_implIS3_N6thrust23THRUST_200600_302600_NS6detail15normal_iteratorINS8_10device_ptrIbEEEENSA_INSB_IiEEEEjNS1_19radix_merge_compareILb0ELb1EbNS0_19identity_decomposerEEEEE10hipError_tT0_T1_T2_jT3_P12ihipStream_tbPNSt15iterator_traitsISK_E10value_typeEPNSQ_ISL_E10value_typeEPSM_NS1_7vsmem_tEENKUlT_SK_SL_SM_E_clIPbSD_PiSF_EESJ_SZ_SK_SL_SM_EUlSZ_E0_NS1_11comp_targetILNS1_3genE2ELNS1_11target_archE906ELNS1_3gpuE6ELNS1_3repE0EEENS1_38merge_mergepath_config_static_selectorELNS0_4arch9wavefront6targetE1EEEvSL_,comdat
.Lfunc_end1979:
	.size	_ZN7rocprim17ROCPRIM_400000_NS6detail17trampoline_kernelINS0_14default_configENS1_38merge_sort_block_merge_config_selectorIbiEEZZNS1_27merge_sort_block_merge_implIS3_N6thrust23THRUST_200600_302600_NS6detail15normal_iteratorINS8_10device_ptrIbEEEENSA_INSB_IiEEEEjNS1_19radix_merge_compareILb0ELb1EbNS0_19identity_decomposerEEEEE10hipError_tT0_T1_T2_jT3_P12ihipStream_tbPNSt15iterator_traitsISK_E10value_typeEPNSQ_ISL_E10value_typeEPSM_NS1_7vsmem_tEENKUlT_SK_SL_SM_E_clIPbSD_PiSF_EESJ_SZ_SK_SL_SM_EUlSZ_E0_NS1_11comp_targetILNS1_3genE2ELNS1_11target_archE906ELNS1_3gpuE6ELNS1_3repE0EEENS1_38merge_mergepath_config_static_selectorELNS0_4arch9wavefront6targetE1EEEvSL_, .Lfunc_end1979-_ZN7rocprim17ROCPRIM_400000_NS6detail17trampoline_kernelINS0_14default_configENS1_38merge_sort_block_merge_config_selectorIbiEEZZNS1_27merge_sort_block_merge_implIS3_N6thrust23THRUST_200600_302600_NS6detail15normal_iteratorINS8_10device_ptrIbEEEENSA_INSB_IiEEEEjNS1_19radix_merge_compareILb0ELb1EbNS0_19identity_decomposerEEEEE10hipError_tT0_T1_T2_jT3_P12ihipStream_tbPNSt15iterator_traitsISK_E10value_typeEPNSQ_ISL_E10value_typeEPSM_NS1_7vsmem_tEENKUlT_SK_SL_SM_E_clIPbSD_PiSF_EESJ_SZ_SK_SL_SM_EUlSZ_E0_NS1_11comp_targetILNS1_3genE2ELNS1_11target_archE906ELNS1_3gpuE6ELNS1_3repE0EEENS1_38merge_mergepath_config_static_selectorELNS0_4arch9wavefront6targetE1EEEvSL_
                                        ; -- End function
	.set _ZN7rocprim17ROCPRIM_400000_NS6detail17trampoline_kernelINS0_14default_configENS1_38merge_sort_block_merge_config_selectorIbiEEZZNS1_27merge_sort_block_merge_implIS3_N6thrust23THRUST_200600_302600_NS6detail15normal_iteratorINS8_10device_ptrIbEEEENSA_INSB_IiEEEEjNS1_19radix_merge_compareILb0ELb1EbNS0_19identity_decomposerEEEEE10hipError_tT0_T1_T2_jT3_P12ihipStream_tbPNSt15iterator_traitsISK_E10value_typeEPNSQ_ISL_E10value_typeEPSM_NS1_7vsmem_tEENKUlT_SK_SL_SM_E_clIPbSD_PiSF_EESJ_SZ_SK_SL_SM_EUlSZ_E0_NS1_11comp_targetILNS1_3genE2ELNS1_11target_archE906ELNS1_3gpuE6ELNS1_3repE0EEENS1_38merge_mergepath_config_static_selectorELNS0_4arch9wavefront6targetE1EEEvSL_.num_vgpr, 0
	.set _ZN7rocprim17ROCPRIM_400000_NS6detail17trampoline_kernelINS0_14default_configENS1_38merge_sort_block_merge_config_selectorIbiEEZZNS1_27merge_sort_block_merge_implIS3_N6thrust23THRUST_200600_302600_NS6detail15normal_iteratorINS8_10device_ptrIbEEEENSA_INSB_IiEEEEjNS1_19radix_merge_compareILb0ELb1EbNS0_19identity_decomposerEEEEE10hipError_tT0_T1_T2_jT3_P12ihipStream_tbPNSt15iterator_traitsISK_E10value_typeEPNSQ_ISL_E10value_typeEPSM_NS1_7vsmem_tEENKUlT_SK_SL_SM_E_clIPbSD_PiSF_EESJ_SZ_SK_SL_SM_EUlSZ_E0_NS1_11comp_targetILNS1_3genE2ELNS1_11target_archE906ELNS1_3gpuE6ELNS1_3repE0EEENS1_38merge_mergepath_config_static_selectorELNS0_4arch9wavefront6targetE1EEEvSL_.num_agpr, 0
	.set _ZN7rocprim17ROCPRIM_400000_NS6detail17trampoline_kernelINS0_14default_configENS1_38merge_sort_block_merge_config_selectorIbiEEZZNS1_27merge_sort_block_merge_implIS3_N6thrust23THRUST_200600_302600_NS6detail15normal_iteratorINS8_10device_ptrIbEEEENSA_INSB_IiEEEEjNS1_19radix_merge_compareILb0ELb1EbNS0_19identity_decomposerEEEEE10hipError_tT0_T1_T2_jT3_P12ihipStream_tbPNSt15iterator_traitsISK_E10value_typeEPNSQ_ISL_E10value_typeEPSM_NS1_7vsmem_tEENKUlT_SK_SL_SM_E_clIPbSD_PiSF_EESJ_SZ_SK_SL_SM_EUlSZ_E0_NS1_11comp_targetILNS1_3genE2ELNS1_11target_archE906ELNS1_3gpuE6ELNS1_3repE0EEENS1_38merge_mergepath_config_static_selectorELNS0_4arch9wavefront6targetE1EEEvSL_.numbered_sgpr, 0
	.set _ZN7rocprim17ROCPRIM_400000_NS6detail17trampoline_kernelINS0_14default_configENS1_38merge_sort_block_merge_config_selectorIbiEEZZNS1_27merge_sort_block_merge_implIS3_N6thrust23THRUST_200600_302600_NS6detail15normal_iteratorINS8_10device_ptrIbEEEENSA_INSB_IiEEEEjNS1_19radix_merge_compareILb0ELb1EbNS0_19identity_decomposerEEEEE10hipError_tT0_T1_T2_jT3_P12ihipStream_tbPNSt15iterator_traitsISK_E10value_typeEPNSQ_ISL_E10value_typeEPSM_NS1_7vsmem_tEENKUlT_SK_SL_SM_E_clIPbSD_PiSF_EESJ_SZ_SK_SL_SM_EUlSZ_E0_NS1_11comp_targetILNS1_3genE2ELNS1_11target_archE906ELNS1_3gpuE6ELNS1_3repE0EEENS1_38merge_mergepath_config_static_selectorELNS0_4arch9wavefront6targetE1EEEvSL_.num_named_barrier, 0
	.set _ZN7rocprim17ROCPRIM_400000_NS6detail17trampoline_kernelINS0_14default_configENS1_38merge_sort_block_merge_config_selectorIbiEEZZNS1_27merge_sort_block_merge_implIS3_N6thrust23THRUST_200600_302600_NS6detail15normal_iteratorINS8_10device_ptrIbEEEENSA_INSB_IiEEEEjNS1_19radix_merge_compareILb0ELb1EbNS0_19identity_decomposerEEEEE10hipError_tT0_T1_T2_jT3_P12ihipStream_tbPNSt15iterator_traitsISK_E10value_typeEPNSQ_ISL_E10value_typeEPSM_NS1_7vsmem_tEENKUlT_SK_SL_SM_E_clIPbSD_PiSF_EESJ_SZ_SK_SL_SM_EUlSZ_E0_NS1_11comp_targetILNS1_3genE2ELNS1_11target_archE906ELNS1_3gpuE6ELNS1_3repE0EEENS1_38merge_mergepath_config_static_selectorELNS0_4arch9wavefront6targetE1EEEvSL_.private_seg_size, 0
	.set _ZN7rocprim17ROCPRIM_400000_NS6detail17trampoline_kernelINS0_14default_configENS1_38merge_sort_block_merge_config_selectorIbiEEZZNS1_27merge_sort_block_merge_implIS3_N6thrust23THRUST_200600_302600_NS6detail15normal_iteratorINS8_10device_ptrIbEEEENSA_INSB_IiEEEEjNS1_19radix_merge_compareILb0ELb1EbNS0_19identity_decomposerEEEEE10hipError_tT0_T1_T2_jT3_P12ihipStream_tbPNSt15iterator_traitsISK_E10value_typeEPNSQ_ISL_E10value_typeEPSM_NS1_7vsmem_tEENKUlT_SK_SL_SM_E_clIPbSD_PiSF_EESJ_SZ_SK_SL_SM_EUlSZ_E0_NS1_11comp_targetILNS1_3genE2ELNS1_11target_archE906ELNS1_3gpuE6ELNS1_3repE0EEENS1_38merge_mergepath_config_static_selectorELNS0_4arch9wavefront6targetE1EEEvSL_.uses_vcc, 0
	.set _ZN7rocprim17ROCPRIM_400000_NS6detail17trampoline_kernelINS0_14default_configENS1_38merge_sort_block_merge_config_selectorIbiEEZZNS1_27merge_sort_block_merge_implIS3_N6thrust23THRUST_200600_302600_NS6detail15normal_iteratorINS8_10device_ptrIbEEEENSA_INSB_IiEEEEjNS1_19radix_merge_compareILb0ELb1EbNS0_19identity_decomposerEEEEE10hipError_tT0_T1_T2_jT3_P12ihipStream_tbPNSt15iterator_traitsISK_E10value_typeEPNSQ_ISL_E10value_typeEPSM_NS1_7vsmem_tEENKUlT_SK_SL_SM_E_clIPbSD_PiSF_EESJ_SZ_SK_SL_SM_EUlSZ_E0_NS1_11comp_targetILNS1_3genE2ELNS1_11target_archE906ELNS1_3gpuE6ELNS1_3repE0EEENS1_38merge_mergepath_config_static_selectorELNS0_4arch9wavefront6targetE1EEEvSL_.uses_flat_scratch, 0
	.set _ZN7rocprim17ROCPRIM_400000_NS6detail17trampoline_kernelINS0_14default_configENS1_38merge_sort_block_merge_config_selectorIbiEEZZNS1_27merge_sort_block_merge_implIS3_N6thrust23THRUST_200600_302600_NS6detail15normal_iteratorINS8_10device_ptrIbEEEENSA_INSB_IiEEEEjNS1_19radix_merge_compareILb0ELb1EbNS0_19identity_decomposerEEEEE10hipError_tT0_T1_T2_jT3_P12ihipStream_tbPNSt15iterator_traitsISK_E10value_typeEPNSQ_ISL_E10value_typeEPSM_NS1_7vsmem_tEENKUlT_SK_SL_SM_E_clIPbSD_PiSF_EESJ_SZ_SK_SL_SM_EUlSZ_E0_NS1_11comp_targetILNS1_3genE2ELNS1_11target_archE906ELNS1_3gpuE6ELNS1_3repE0EEENS1_38merge_mergepath_config_static_selectorELNS0_4arch9wavefront6targetE1EEEvSL_.has_dyn_sized_stack, 0
	.set _ZN7rocprim17ROCPRIM_400000_NS6detail17trampoline_kernelINS0_14default_configENS1_38merge_sort_block_merge_config_selectorIbiEEZZNS1_27merge_sort_block_merge_implIS3_N6thrust23THRUST_200600_302600_NS6detail15normal_iteratorINS8_10device_ptrIbEEEENSA_INSB_IiEEEEjNS1_19radix_merge_compareILb0ELb1EbNS0_19identity_decomposerEEEEE10hipError_tT0_T1_T2_jT3_P12ihipStream_tbPNSt15iterator_traitsISK_E10value_typeEPNSQ_ISL_E10value_typeEPSM_NS1_7vsmem_tEENKUlT_SK_SL_SM_E_clIPbSD_PiSF_EESJ_SZ_SK_SL_SM_EUlSZ_E0_NS1_11comp_targetILNS1_3genE2ELNS1_11target_archE906ELNS1_3gpuE6ELNS1_3repE0EEENS1_38merge_mergepath_config_static_selectorELNS0_4arch9wavefront6targetE1EEEvSL_.has_recursion, 0
	.set _ZN7rocprim17ROCPRIM_400000_NS6detail17trampoline_kernelINS0_14default_configENS1_38merge_sort_block_merge_config_selectorIbiEEZZNS1_27merge_sort_block_merge_implIS3_N6thrust23THRUST_200600_302600_NS6detail15normal_iteratorINS8_10device_ptrIbEEEENSA_INSB_IiEEEEjNS1_19radix_merge_compareILb0ELb1EbNS0_19identity_decomposerEEEEE10hipError_tT0_T1_T2_jT3_P12ihipStream_tbPNSt15iterator_traitsISK_E10value_typeEPNSQ_ISL_E10value_typeEPSM_NS1_7vsmem_tEENKUlT_SK_SL_SM_E_clIPbSD_PiSF_EESJ_SZ_SK_SL_SM_EUlSZ_E0_NS1_11comp_targetILNS1_3genE2ELNS1_11target_archE906ELNS1_3gpuE6ELNS1_3repE0EEENS1_38merge_mergepath_config_static_selectorELNS0_4arch9wavefront6targetE1EEEvSL_.has_indirect_call, 0
	.section	.AMDGPU.csdata,"",@progbits
; Kernel info:
; codeLenInByte = 0
; TotalNumSgprs: 6
; NumVgprs: 0
; NumAgprs: 0
; TotalNumVgprs: 0
; ScratchSize: 0
; MemoryBound: 0
; FloatMode: 240
; IeeeMode: 1
; LDSByteSize: 0 bytes/workgroup (compile time only)
; SGPRBlocks: 0
; VGPRBlocks: 0
; NumSGPRsForWavesPerEU: 6
; NumVGPRsForWavesPerEU: 1
; AccumOffset: 4
; Occupancy: 8
; WaveLimiterHint : 0
; COMPUTE_PGM_RSRC2:SCRATCH_EN: 0
; COMPUTE_PGM_RSRC2:USER_SGPR: 2
; COMPUTE_PGM_RSRC2:TRAP_HANDLER: 0
; COMPUTE_PGM_RSRC2:TGID_X_EN: 1
; COMPUTE_PGM_RSRC2:TGID_Y_EN: 0
; COMPUTE_PGM_RSRC2:TGID_Z_EN: 0
; COMPUTE_PGM_RSRC2:TIDIG_COMP_CNT: 0
; COMPUTE_PGM_RSRC3_GFX90A:ACCUM_OFFSET: 0
; COMPUTE_PGM_RSRC3_GFX90A:TG_SPLIT: 0
	.section	.text._ZN7rocprim17ROCPRIM_400000_NS6detail17trampoline_kernelINS0_14default_configENS1_38merge_sort_block_merge_config_selectorIbiEEZZNS1_27merge_sort_block_merge_implIS3_N6thrust23THRUST_200600_302600_NS6detail15normal_iteratorINS8_10device_ptrIbEEEENSA_INSB_IiEEEEjNS1_19radix_merge_compareILb0ELb1EbNS0_19identity_decomposerEEEEE10hipError_tT0_T1_T2_jT3_P12ihipStream_tbPNSt15iterator_traitsISK_E10value_typeEPNSQ_ISL_E10value_typeEPSM_NS1_7vsmem_tEENKUlT_SK_SL_SM_E_clIPbSD_PiSF_EESJ_SZ_SK_SL_SM_EUlSZ_E0_NS1_11comp_targetILNS1_3genE9ELNS1_11target_archE1100ELNS1_3gpuE3ELNS1_3repE0EEENS1_38merge_mergepath_config_static_selectorELNS0_4arch9wavefront6targetE1EEEvSL_,"axG",@progbits,_ZN7rocprim17ROCPRIM_400000_NS6detail17trampoline_kernelINS0_14default_configENS1_38merge_sort_block_merge_config_selectorIbiEEZZNS1_27merge_sort_block_merge_implIS3_N6thrust23THRUST_200600_302600_NS6detail15normal_iteratorINS8_10device_ptrIbEEEENSA_INSB_IiEEEEjNS1_19radix_merge_compareILb0ELb1EbNS0_19identity_decomposerEEEEE10hipError_tT0_T1_T2_jT3_P12ihipStream_tbPNSt15iterator_traitsISK_E10value_typeEPNSQ_ISL_E10value_typeEPSM_NS1_7vsmem_tEENKUlT_SK_SL_SM_E_clIPbSD_PiSF_EESJ_SZ_SK_SL_SM_EUlSZ_E0_NS1_11comp_targetILNS1_3genE9ELNS1_11target_archE1100ELNS1_3gpuE3ELNS1_3repE0EEENS1_38merge_mergepath_config_static_selectorELNS0_4arch9wavefront6targetE1EEEvSL_,comdat
	.protected	_ZN7rocprim17ROCPRIM_400000_NS6detail17trampoline_kernelINS0_14default_configENS1_38merge_sort_block_merge_config_selectorIbiEEZZNS1_27merge_sort_block_merge_implIS3_N6thrust23THRUST_200600_302600_NS6detail15normal_iteratorINS8_10device_ptrIbEEEENSA_INSB_IiEEEEjNS1_19radix_merge_compareILb0ELb1EbNS0_19identity_decomposerEEEEE10hipError_tT0_T1_T2_jT3_P12ihipStream_tbPNSt15iterator_traitsISK_E10value_typeEPNSQ_ISL_E10value_typeEPSM_NS1_7vsmem_tEENKUlT_SK_SL_SM_E_clIPbSD_PiSF_EESJ_SZ_SK_SL_SM_EUlSZ_E0_NS1_11comp_targetILNS1_3genE9ELNS1_11target_archE1100ELNS1_3gpuE3ELNS1_3repE0EEENS1_38merge_mergepath_config_static_selectorELNS0_4arch9wavefront6targetE1EEEvSL_ ; -- Begin function _ZN7rocprim17ROCPRIM_400000_NS6detail17trampoline_kernelINS0_14default_configENS1_38merge_sort_block_merge_config_selectorIbiEEZZNS1_27merge_sort_block_merge_implIS3_N6thrust23THRUST_200600_302600_NS6detail15normal_iteratorINS8_10device_ptrIbEEEENSA_INSB_IiEEEEjNS1_19radix_merge_compareILb0ELb1EbNS0_19identity_decomposerEEEEE10hipError_tT0_T1_T2_jT3_P12ihipStream_tbPNSt15iterator_traitsISK_E10value_typeEPNSQ_ISL_E10value_typeEPSM_NS1_7vsmem_tEENKUlT_SK_SL_SM_E_clIPbSD_PiSF_EESJ_SZ_SK_SL_SM_EUlSZ_E0_NS1_11comp_targetILNS1_3genE9ELNS1_11target_archE1100ELNS1_3gpuE3ELNS1_3repE0EEENS1_38merge_mergepath_config_static_selectorELNS0_4arch9wavefront6targetE1EEEvSL_
	.globl	_ZN7rocprim17ROCPRIM_400000_NS6detail17trampoline_kernelINS0_14default_configENS1_38merge_sort_block_merge_config_selectorIbiEEZZNS1_27merge_sort_block_merge_implIS3_N6thrust23THRUST_200600_302600_NS6detail15normal_iteratorINS8_10device_ptrIbEEEENSA_INSB_IiEEEEjNS1_19radix_merge_compareILb0ELb1EbNS0_19identity_decomposerEEEEE10hipError_tT0_T1_T2_jT3_P12ihipStream_tbPNSt15iterator_traitsISK_E10value_typeEPNSQ_ISL_E10value_typeEPSM_NS1_7vsmem_tEENKUlT_SK_SL_SM_E_clIPbSD_PiSF_EESJ_SZ_SK_SL_SM_EUlSZ_E0_NS1_11comp_targetILNS1_3genE9ELNS1_11target_archE1100ELNS1_3gpuE3ELNS1_3repE0EEENS1_38merge_mergepath_config_static_selectorELNS0_4arch9wavefront6targetE1EEEvSL_
	.p2align	8
	.type	_ZN7rocprim17ROCPRIM_400000_NS6detail17trampoline_kernelINS0_14default_configENS1_38merge_sort_block_merge_config_selectorIbiEEZZNS1_27merge_sort_block_merge_implIS3_N6thrust23THRUST_200600_302600_NS6detail15normal_iteratorINS8_10device_ptrIbEEEENSA_INSB_IiEEEEjNS1_19radix_merge_compareILb0ELb1EbNS0_19identity_decomposerEEEEE10hipError_tT0_T1_T2_jT3_P12ihipStream_tbPNSt15iterator_traitsISK_E10value_typeEPNSQ_ISL_E10value_typeEPSM_NS1_7vsmem_tEENKUlT_SK_SL_SM_E_clIPbSD_PiSF_EESJ_SZ_SK_SL_SM_EUlSZ_E0_NS1_11comp_targetILNS1_3genE9ELNS1_11target_archE1100ELNS1_3gpuE3ELNS1_3repE0EEENS1_38merge_mergepath_config_static_selectorELNS0_4arch9wavefront6targetE1EEEvSL_,@function
_ZN7rocprim17ROCPRIM_400000_NS6detail17trampoline_kernelINS0_14default_configENS1_38merge_sort_block_merge_config_selectorIbiEEZZNS1_27merge_sort_block_merge_implIS3_N6thrust23THRUST_200600_302600_NS6detail15normal_iteratorINS8_10device_ptrIbEEEENSA_INSB_IiEEEEjNS1_19radix_merge_compareILb0ELb1EbNS0_19identity_decomposerEEEEE10hipError_tT0_T1_T2_jT3_P12ihipStream_tbPNSt15iterator_traitsISK_E10value_typeEPNSQ_ISL_E10value_typeEPSM_NS1_7vsmem_tEENKUlT_SK_SL_SM_E_clIPbSD_PiSF_EESJ_SZ_SK_SL_SM_EUlSZ_E0_NS1_11comp_targetILNS1_3genE9ELNS1_11target_archE1100ELNS1_3gpuE3ELNS1_3repE0EEENS1_38merge_mergepath_config_static_selectorELNS0_4arch9wavefront6targetE1EEEvSL_: ; @_ZN7rocprim17ROCPRIM_400000_NS6detail17trampoline_kernelINS0_14default_configENS1_38merge_sort_block_merge_config_selectorIbiEEZZNS1_27merge_sort_block_merge_implIS3_N6thrust23THRUST_200600_302600_NS6detail15normal_iteratorINS8_10device_ptrIbEEEENSA_INSB_IiEEEEjNS1_19radix_merge_compareILb0ELb1EbNS0_19identity_decomposerEEEEE10hipError_tT0_T1_T2_jT3_P12ihipStream_tbPNSt15iterator_traitsISK_E10value_typeEPNSQ_ISL_E10value_typeEPSM_NS1_7vsmem_tEENKUlT_SK_SL_SM_E_clIPbSD_PiSF_EESJ_SZ_SK_SL_SM_EUlSZ_E0_NS1_11comp_targetILNS1_3genE9ELNS1_11target_archE1100ELNS1_3gpuE3ELNS1_3repE0EEENS1_38merge_mergepath_config_static_selectorELNS0_4arch9wavefront6targetE1EEEvSL_
; %bb.0:
	.section	.rodata,"a",@progbits
	.p2align	6, 0x0
	.amdhsa_kernel _ZN7rocprim17ROCPRIM_400000_NS6detail17trampoline_kernelINS0_14default_configENS1_38merge_sort_block_merge_config_selectorIbiEEZZNS1_27merge_sort_block_merge_implIS3_N6thrust23THRUST_200600_302600_NS6detail15normal_iteratorINS8_10device_ptrIbEEEENSA_INSB_IiEEEEjNS1_19radix_merge_compareILb0ELb1EbNS0_19identity_decomposerEEEEE10hipError_tT0_T1_T2_jT3_P12ihipStream_tbPNSt15iterator_traitsISK_E10value_typeEPNSQ_ISL_E10value_typeEPSM_NS1_7vsmem_tEENKUlT_SK_SL_SM_E_clIPbSD_PiSF_EESJ_SZ_SK_SL_SM_EUlSZ_E0_NS1_11comp_targetILNS1_3genE9ELNS1_11target_archE1100ELNS1_3gpuE3ELNS1_3repE0EEENS1_38merge_mergepath_config_static_selectorELNS0_4arch9wavefront6targetE1EEEvSL_
		.amdhsa_group_segment_fixed_size 0
		.amdhsa_private_segment_fixed_size 0
		.amdhsa_kernarg_size 64
		.amdhsa_user_sgpr_count 2
		.amdhsa_user_sgpr_dispatch_ptr 0
		.amdhsa_user_sgpr_queue_ptr 0
		.amdhsa_user_sgpr_kernarg_segment_ptr 1
		.amdhsa_user_sgpr_dispatch_id 0
		.amdhsa_user_sgpr_kernarg_preload_length 0
		.amdhsa_user_sgpr_kernarg_preload_offset 0
		.amdhsa_user_sgpr_private_segment_size 0
		.amdhsa_uses_dynamic_stack 0
		.amdhsa_enable_private_segment 0
		.amdhsa_system_sgpr_workgroup_id_x 1
		.amdhsa_system_sgpr_workgroup_id_y 0
		.amdhsa_system_sgpr_workgroup_id_z 0
		.amdhsa_system_sgpr_workgroup_info 0
		.amdhsa_system_vgpr_workitem_id 0
		.amdhsa_next_free_vgpr 1
		.amdhsa_next_free_sgpr 0
		.amdhsa_accum_offset 4
		.amdhsa_reserve_vcc 0
		.amdhsa_float_round_mode_32 0
		.amdhsa_float_round_mode_16_64 0
		.amdhsa_float_denorm_mode_32 3
		.amdhsa_float_denorm_mode_16_64 3
		.amdhsa_dx10_clamp 1
		.amdhsa_ieee_mode 1
		.amdhsa_fp16_overflow 0
		.amdhsa_tg_split 0
		.amdhsa_exception_fp_ieee_invalid_op 0
		.amdhsa_exception_fp_denorm_src 0
		.amdhsa_exception_fp_ieee_div_zero 0
		.amdhsa_exception_fp_ieee_overflow 0
		.amdhsa_exception_fp_ieee_underflow 0
		.amdhsa_exception_fp_ieee_inexact 0
		.amdhsa_exception_int_div_zero 0
	.end_amdhsa_kernel
	.section	.text._ZN7rocprim17ROCPRIM_400000_NS6detail17trampoline_kernelINS0_14default_configENS1_38merge_sort_block_merge_config_selectorIbiEEZZNS1_27merge_sort_block_merge_implIS3_N6thrust23THRUST_200600_302600_NS6detail15normal_iteratorINS8_10device_ptrIbEEEENSA_INSB_IiEEEEjNS1_19radix_merge_compareILb0ELb1EbNS0_19identity_decomposerEEEEE10hipError_tT0_T1_T2_jT3_P12ihipStream_tbPNSt15iterator_traitsISK_E10value_typeEPNSQ_ISL_E10value_typeEPSM_NS1_7vsmem_tEENKUlT_SK_SL_SM_E_clIPbSD_PiSF_EESJ_SZ_SK_SL_SM_EUlSZ_E0_NS1_11comp_targetILNS1_3genE9ELNS1_11target_archE1100ELNS1_3gpuE3ELNS1_3repE0EEENS1_38merge_mergepath_config_static_selectorELNS0_4arch9wavefront6targetE1EEEvSL_,"axG",@progbits,_ZN7rocprim17ROCPRIM_400000_NS6detail17trampoline_kernelINS0_14default_configENS1_38merge_sort_block_merge_config_selectorIbiEEZZNS1_27merge_sort_block_merge_implIS3_N6thrust23THRUST_200600_302600_NS6detail15normal_iteratorINS8_10device_ptrIbEEEENSA_INSB_IiEEEEjNS1_19radix_merge_compareILb0ELb1EbNS0_19identity_decomposerEEEEE10hipError_tT0_T1_T2_jT3_P12ihipStream_tbPNSt15iterator_traitsISK_E10value_typeEPNSQ_ISL_E10value_typeEPSM_NS1_7vsmem_tEENKUlT_SK_SL_SM_E_clIPbSD_PiSF_EESJ_SZ_SK_SL_SM_EUlSZ_E0_NS1_11comp_targetILNS1_3genE9ELNS1_11target_archE1100ELNS1_3gpuE3ELNS1_3repE0EEENS1_38merge_mergepath_config_static_selectorELNS0_4arch9wavefront6targetE1EEEvSL_,comdat
.Lfunc_end1980:
	.size	_ZN7rocprim17ROCPRIM_400000_NS6detail17trampoline_kernelINS0_14default_configENS1_38merge_sort_block_merge_config_selectorIbiEEZZNS1_27merge_sort_block_merge_implIS3_N6thrust23THRUST_200600_302600_NS6detail15normal_iteratorINS8_10device_ptrIbEEEENSA_INSB_IiEEEEjNS1_19radix_merge_compareILb0ELb1EbNS0_19identity_decomposerEEEEE10hipError_tT0_T1_T2_jT3_P12ihipStream_tbPNSt15iterator_traitsISK_E10value_typeEPNSQ_ISL_E10value_typeEPSM_NS1_7vsmem_tEENKUlT_SK_SL_SM_E_clIPbSD_PiSF_EESJ_SZ_SK_SL_SM_EUlSZ_E0_NS1_11comp_targetILNS1_3genE9ELNS1_11target_archE1100ELNS1_3gpuE3ELNS1_3repE0EEENS1_38merge_mergepath_config_static_selectorELNS0_4arch9wavefront6targetE1EEEvSL_, .Lfunc_end1980-_ZN7rocprim17ROCPRIM_400000_NS6detail17trampoline_kernelINS0_14default_configENS1_38merge_sort_block_merge_config_selectorIbiEEZZNS1_27merge_sort_block_merge_implIS3_N6thrust23THRUST_200600_302600_NS6detail15normal_iteratorINS8_10device_ptrIbEEEENSA_INSB_IiEEEEjNS1_19radix_merge_compareILb0ELb1EbNS0_19identity_decomposerEEEEE10hipError_tT0_T1_T2_jT3_P12ihipStream_tbPNSt15iterator_traitsISK_E10value_typeEPNSQ_ISL_E10value_typeEPSM_NS1_7vsmem_tEENKUlT_SK_SL_SM_E_clIPbSD_PiSF_EESJ_SZ_SK_SL_SM_EUlSZ_E0_NS1_11comp_targetILNS1_3genE9ELNS1_11target_archE1100ELNS1_3gpuE3ELNS1_3repE0EEENS1_38merge_mergepath_config_static_selectorELNS0_4arch9wavefront6targetE1EEEvSL_
                                        ; -- End function
	.set _ZN7rocprim17ROCPRIM_400000_NS6detail17trampoline_kernelINS0_14default_configENS1_38merge_sort_block_merge_config_selectorIbiEEZZNS1_27merge_sort_block_merge_implIS3_N6thrust23THRUST_200600_302600_NS6detail15normal_iteratorINS8_10device_ptrIbEEEENSA_INSB_IiEEEEjNS1_19radix_merge_compareILb0ELb1EbNS0_19identity_decomposerEEEEE10hipError_tT0_T1_T2_jT3_P12ihipStream_tbPNSt15iterator_traitsISK_E10value_typeEPNSQ_ISL_E10value_typeEPSM_NS1_7vsmem_tEENKUlT_SK_SL_SM_E_clIPbSD_PiSF_EESJ_SZ_SK_SL_SM_EUlSZ_E0_NS1_11comp_targetILNS1_3genE9ELNS1_11target_archE1100ELNS1_3gpuE3ELNS1_3repE0EEENS1_38merge_mergepath_config_static_selectorELNS0_4arch9wavefront6targetE1EEEvSL_.num_vgpr, 0
	.set _ZN7rocprim17ROCPRIM_400000_NS6detail17trampoline_kernelINS0_14default_configENS1_38merge_sort_block_merge_config_selectorIbiEEZZNS1_27merge_sort_block_merge_implIS3_N6thrust23THRUST_200600_302600_NS6detail15normal_iteratorINS8_10device_ptrIbEEEENSA_INSB_IiEEEEjNS1_19radix_merge_compareILb0ELb1EbNS0_19identity_decomposerEEEEE10hipError_tT0_T1_T2_jT3_P12ihipStream_tbPNSt15iterator_traitsISK_E10value_typeEPNSQ_ISL_E10value_typeEPSM_NS1_7vsmem_tEENKUlT_SK_SL_SM_E_clIPbSD_PiSF_EESJ_SZ_SK_SL_SM_EUlSZ_E0_NS1_11comp_targetILNS1_3genE9ELNS1_11target_archE1100ELNS1_3gpuE3ELNS1_3repE0EEENS1_38merge_mergepath_config_static_selectorELNS0_4arch9wavefront6targetE1EEEvSL_.num_agpr, 0
	.set _ZN7rocprim17ROCPRIM_400000_NS6detail17trampoline_kernelINS0_14default_configENS1_38merge_sort_block_merge_config_selectorIbiEEZZNS1_27merge_sort_block_merge_implIS3_N6thrust23THRUST_200600_302600_NS6detail15normal_iteratorINS8_10device_ptrIbEEEENSA_INSB_IiEEEEjNS1_19radix_merge_compareILb0ELb1EbNS0_19identity_decomposerEEEEE10hipError_tT0_T1_T2_jT3_P12ihipStream_tbPNSt15iterator_traitsISK_E10value_typeEPNSQ_ISL_E10value_typeEPSM_NS1_7vsmem_tEENKUlT_SK_SL_SM_E_clIPbSD_PiSF_EESJ_SZ_SK_SL_SM_EUlSZ_E0_NS1_11comp_targetILNS1_3genE9ELNS1_11target_archE1100ELNS1_3gpuE3ELNS1_3repE0EEENS1_38merge_mergepath_config_static_selectorELNS0_4arch9wavefront6targetE1EEEvSL_.numbered_sgpr, 0
	.set _ZN7rocprim17ROCPRIM_400000_NS6detail17trampoline_kernelINS0_14default_configENS1_38merge_sort_block_merge_config_selectorIbiEEZZNS1_27merge_sort_block_merge_implIS3_N6thrust23THRUST_200600_302600_NS6detail15normal_iteratorINS8_10device_ptrIbEEEENSA_INSB_IiEEEEjNS1_19radix_merge_compareILb0ELb1EbNS0_19identity_decomposerEEEEE10hipError_tT0_T1_T2_jT3_P12ihipStream_tbPNSt15iterator_traitsISK_E10value_typeEPNSQ_ISL_E10value_typeEPSM_NS1_7vsmem_tEENKUlT_SK_SL_SM_E_clIPbSD_PiSF_EESJ_SZ_SK_SL_SM_EUlSZ_E0_NS1_11comp_targetILNS1_3genE9ELNS1_11target_archE1100ELNS1_3gpuE3ELNS1_3repE0EEENS1_38merge_mergepath_config_static_selectorELNS0_4arch9wavefront6targetE1EEEvSL_.num_named_barrier, 0
	.set _ZN7rocprim17ROCPRIM_400000_NS6detail17trampoline_kernelINS0_14default_configENS1_38merge_sort_block_merge_config_selectorIbiEEZZNS1_27merge_sort_block_merge_implIS3_N6thrust23THRUST_200600_302600_NS6detail15normal_iteratorINS8_10device_ptrIbEEEENSA_INSB_IiEEEEjNS1_19radix_merge_compareILb0ELb1EbNS0_19identity_decomposerEEEEE10hipError_tT0_T1_T2_jT3_P12ihipStream_tbPNSt15iterator_traitsISK_E10value_typeEPNSQ_ISL_E10value_typeEPSM_NS1_7vsmem_tEENKUlT_SK_SL_SM_E_clIPbSD_PiSF_EESJ_SZ_SK_SL_SM_EUlSZ_E0_NS1_11comp_targetILNS1_3genE9ELNS1_11target_archE1100ELNS1_3gpuE3ELNS1_3repE0EEENS1_38merge_mergepath_config_static_selectorELNS0_4arch9wavefront6targetE1EEEvSL_.private_seg_size, 0
	.set _ZN7rocprim17ROCPRIM_400000_NS6detail17trampoline_kernelINS0_14default_configENS1_38merge_sort_block_merge_config_selectorIbiEEZZNS1_27merge_sort_block_merge_implIS3_N6thrust23THRUST_200600_302600_NS6detail15normal_iteratorINS8_10device_ptrIbEEEENSA_INSB_IiEEEEjNS1_19radix_merge_compareILb0ELb1EbNS0_19identity_decomposerEEEEE10hipError_tT0_T1_T2_jT3_P12ihipStream_tbPNSt15iterator_traitsISK_E10value_typeEPNSQ_ISL_E10value_typeEPSM_NS1_7vsmem_tEENKUlT_SK_SL_SM_E_clIPbSD_PiSF_EESJ_SZ_SK_SL_SM_EUlSZ_E0_NS1_11comp_targetILNS1_3genE9ELNS1_11target_archE1100ELNS1_3gpuE3ELNS1_3repE0EEENS1_38merge_mergepath_config_static_selectorELNS0_4arch9wavefront6targetE1EEEvSL_.uses_vcc, 0
	.set _ZN7rocprim17ROCPRIM_400000_NS6detail17trampoline_kernelINS0_14default_configENS1_38merge_sort_block_merge_config_selectorIbiEEZZNS1_27merge_sort_block_merge_implIS3_N6thrust23THRUST_200600_302600_NS6detail15normal_iteratorINS8_10device_ptrIbEEEENSA_INSB_IiEEEEjNS1_19radix_merge_compareILb0ELb1EbNS0_19identity_decomposerEEEEE10hipError_tT0_T1_T2_jT3_P12ihipStream_tbPNSt15iterator_traitsISK_E10value_typeEPNSQ_ISL_E10value_typeEPSM_NS1_7vsmem_tEENKUlT_SK_SL_SM_E_clIPbSD_PiSF_EESJ_SZ_SK_SL_SM_EUlSZ_E0_NS1_11comp_targetILNS1_3genE9ELNS1_11target_archE1100ELNS1_3gpuE3ELNS1_3repE0EEENS1_38merge_mergepath_config_static_selectorELNS0_4arch9wavefront6targetE1EEEvSL_.uses_flat_scratch, 0
	.set _ZN7rocprim17ROCPRIM_400000_NS6detail17trampoline_kernelINS0_14default_configENS1_38merge_sort_block_merge_config_selectorIbiEEZZNS1_27merge_sort_block_merge_implIS3_N6thrust23THRUST_200600_302600_NS6detail15normal_iteratorINS8_10device_ptrIbEEEENSA_INSB_IiEEEEjNS1_19radix_merge_compareILb0ELb1EbNS0_19identity_decomposerEEEEE10hipError_tT0_T1_T2_jT3_P12ihipStream_tbPNSt15iterator_traitsISK_E10value_typeEPNSQ_ISL_E10value_typeEPSM_NS1_7vsmem_tEENKUlT_SK_SL_SM_E_clIPbSD_PiSF_EESJ_SZ_SK_SL_SM_EUlSZ_E0_NS1_11comp_targetILNS1_3genE9ELNS1_11target_archE1100ELNS1_3gpuE3ELNS1_3repE0EEENS1_38merge_mergepath_config_static_selectorELNS0_4arch9wavefront6targetE1EEEvSL_.has_dyn_sized_stack, 0
	.set _ZN7rocprim17ROCPRIM_400000_NS6detail17trampoline_kernelINS0_14default_configENS1_38merge_sort_block_merge_config_selectorIbiEEZZNS1_27merge_sort_block_merge_implIS3_N6thrust23THRUST_200600_302600_NS6detail15normal_iteratorINS8_10device_ptrIbEEEENSA_INSB_IiEEEEjNS1_19radix_merge_compareILb0ELb1EbNS0_19identity_decomposerEEEEE10hipError_tT0_T1_T2_jT3_P12ihipStream_tbPNSt15iterator_traitsISK_E10value_typeEPNSQ_ISL_E10value_typeEPSM_NS1_7vsmem_tEENKUlT_SK_SL_SM_E_clIPbSD_PiSF_EESJ_SZ_SK_SL_SM_EUlSZ_E0_NS1_11comp_targetILNS1_3genE9ELNS1_11target_archE1100ELNS1_3gpuE3ELNS1_3repE0EEENS1_38merge_mergepath_config_static_selectorELNS0_4arch9wavefront6targetE1EEEvSL_.has_recursion, 0
	.set _ZN7rocprim17ROCPRIM_400000_NS6detail17trampoline_kernelINS0_14default_configENS1_38merge_sort_block_merge_config_selectorIbiEEZZNS1_27merge_sort_block_merge_implIS3_N6thrust23THRUST_200600_302600_NS6detail15normal_iteratorINS8_10device_ptrIbEEEENSA_INSB_IiEEEEjNS1_19radix_merge_compareILb0ELb1EbNS0_19identity_decomposerEEEEE10hipError_tT0_T1_T2_jT3_P12ihipStream_tbPNSt15iterator_traitsISK_E10value_typeEPNSQ_ISL_E10value_typeEPSM_NS1_7vsmem_tEENKUlT_SK_SL_SM_E_clIPbSD_PiSF_EESJ_SZ_SK_SL_SM_EUlSZ_E0_NS1_11comp_targetILNS1_3genE9ELNS1_11target_archE1100ELNS1_3gpuE3ELNS1_3repE0EEENS1_38merge_mergepath_config_static_selectorELNS0_4arch9wavefront6targetE1EEEvSL_.has_indirect_call, 0
	.section	.AMDGPU.csdata,"",@progbits
; Kernel info:
; codeLenInByte = 0
; TotalNumSgprs: 6
; NumVgprs: 0
; NumAgprs: 0
; TotalNumVgprs: 0
; ScratchSize: 0
; MemoryBound: 0
; FloatMode: 240
; IeeeMode: 1
; LDSByteSize: 0 bytes/workgroup (compile time only)
; SGPRBlocks: 0
; VGPRBlocks: 0
; NumSGPRsForWavesPerEU: 6
; NumVGPRsForWavesPerEU: 1
; AccumOffset: 4
; Occupancy: 8
; WaveLimiterHint : 0
; COMPUTE_PGM_RSRC2:SCRATCH_EN: 0
; COMPUTE_PGM_RSRC2:USER_SGPR: 2
; COMPUTE_PGM_RSRC2:TRAP_HANDLER: 0
; COMPUTE_PGM_RSRC2:TGID_X_EN: 1
; COMPUTE_PGM_RSRC2:TGID_Y_EN: 0
; COMPUTE_PGM_RSRC2:TGID_Z_EN: 0
; COMPUTE_PGM_RSRC2:TIDIG_COMP_CNT: 0
; COMPUTE_PGM_RSRC3_GFX90A:ACCUM_OFFSET: 0
; COMPUTE_PGM_RSRC3_GFX90A:TG_SPLIT: 0
	.section	.text._ZN7rocprim17ROCPRIM_400000_NS6detail17trampoline_kernelINS0_14default_configENS1_38merge_sort_block_merge_config_selectorIbiEEZZNS1_27merge_sort_block_merge_implIS3_N6thrust23THRUST_200600_302600_NS6detail15normal_iteratorINS8_10device_ptrIbEEEENSA_INSB_IiEEEEjNS1_19radix_merge_compareILb0ELb1EbNS0_19identity_decomposerEEEEE10hipError_tT0_T1_T2_jT3_P12ihipStream_tbPNSt15iterator_traitsISK_E10value_typeEPNSQ_ISL_E10value_typeEPSM_NS1_7vsmem_tEENKUlT_SK_SL_SM_E_clIPbSD_PiSF_EESJ_SZ_SK_SL_SM_EUlSZ_E0_NS1_11comp_targetILNS1_3genE8ELNS1_11target_archE1030ELNS1_3gpuE2ELNS1_3repE0EEENS1_38merge_mergepath_config_static_selectorELNS0_4arch9wavefront6targetE1EEEvSL_,"axG",@progbits,_ZN7rocprim17ROCPRIM_400000_NS6detail17trampoline_kernelINS0_14default_configENS1_38merge_sort_block_merge_config_selectorIbiEEZZNS1_27merge_sort_block_merge_implIS3_N6thrust23THRUST_200600_302600_NS6detail15normal_iteratorINS8_10device_ptrIbEEEENSA_INSB_IiEEEEjNS1_19radix_merge_compareILb0ELb1EbNS0_19identity_decomposerEEEEE10hipError_tT0_T1_T2_jT3_P12ihipStream_tbPNSt15iterator_traitsISK_E10value_typeEPNSQ_ISL_E10value_typeEPSM_NS1_7vsmem_tEENKUlT_SK_SL_SM_E_clIPbSD_PiSF_EESJ_SZ_SK_SL_SM_EUlSZ_E0_NS1_11comp_targetILNS1_3genE8ELNS1_11target_archE1030ELNS1_3gpuE2ELNS1_3repE0EEENS1_38merge_mergepath_config_static_selectorELNS0_4arch9wavefront6targetE1EEEvSL_,comdat
	.protected	_ZN7rocprim17ROCPRIM_400000_NS6detail17trampoline_kernelINS0_14default_configENS1_38merge_sort_block_merge_config_selectorIbiEEZZNS1_27merge_sort_block_merge_implIS3_N6thrust23THRUST_200600_302600_NS6detail15normal_iteratorINS8_10device_ptrIbEEEENSA_INSB_IiEEEEjNS1_19radix_merge_compareILb0ELb1EbNS0_19identity_decomposerEEEEE10hipError_tT0_T1_T2_jT3_P12ihipStream_tbPNSt15iterator_traitsISK_E10value_typeEPNSQ_ISL_E10value_typeEPSM_NS1_7vsmem_tEENKUlT_SK_SL_SM_E_clIPbSD_PiSF_EESJ_SZ_SK_SL_SM_EUlSZ_E0_NS1_11comp_targetILNS1_3genE8ELNS1_11target_archE1030ELNS1_3gpuE2ELNS1_3repE0EEENS1_38merge_mergepath_config_static_selectorELNS0_4arch9wavefront6targetE1EEEvSL_ ; -- Begin function _ZN7rocprim17ROCPRIM_400000_NS6detail17trampoline_kernelINS0_14default_configENS1_38merge_sort_block_merge_config_selectorIbiEEZZNS1_27merge_sort_block_merge_implIS3_N6thrust23THRUST_200600_302600_NS6detail15normal_iteratorINS8_10device_ptrIbEEEENSA_INSB_IiEEEEjNS1_19radix_merge_compareILb0ELb1EbNS0_19identity_decomposerEEEEE10hipError_tT0_T1_T2_jT3_P12ihipStream_tbPNSt15iterator_traitsISK_E10value_typeEPNSQ_ISL_E10value_typeEPSM_NS1_7vsmem_tEENKUlT_SK_SL_SM_E_clIPbSD_PiSF_EESJ_SZ_SK_SL_SM_EUlSZ_E0_NS1_11comp_targetILNS1_3genE8ELNS1_11target_archE1030ELNS1_3gpuE2ELNS1_3repE0EEENS1_38merge_mergepath_config_static_selectorELNS0_4arch9wavefront6targetE1EEEvSL_
	.globl	_ZN7rocprim17ROCPRIM_400000_NS6detail17trampoline_kernelINS0_14default_configENS1_38merge_sort_block_merge_config_selectorIbiEEZZNS1_27merge_sort_block_merge_implIS3_N6thrust23THRUST_200600_302600_NS6detail15normal_iteratorINS8_10device_ptrIbEEEENSA_INSB_IiEEEEjNS1_19radix_merge_compareILb0ELb1EbNS0_19identity_decomposerEEEEE10hipError_tT0_T1_T2_jT3_P12ihipStream_tbPNSt15iterator_traitsISK_E10value_typeEPNSQ_ISL_E10value_typeEPSM_NS1_7vsmem_tEENKUlT_SK_SL_SM_E_clIPbSD_PiSF_EESJ_SZ_SK_SL_SM_EUlSZ_E0_NS1_11comp_targetILNS1_3genE8ELNS1_11target_archE1030ELNS1_3gpuE2ELNS1_3repE0EEENS1_38merge_mergepath_config_static_selectorELNS0_4arch9wavefront6targetE1EEEvSL_
	.p2align	8
	.type	_ZN7rocprim17ROCPRIM_400000_NS6detail17trampoline_kernelINS0_14default_configENS1_38merge_sort_block_merge_config_selectorIbiEEZZNS1_27merge_sort_block_merge_implIS3_N6thrust23THRUST_200600_302600_NS6detail15normal_iteratorINS8_10device_ptrIbEEEENSA_INSB_IiEEEEjNS1_19radix_merge_compareILb0ELb1EbNS0_19identity_decomposerEEEEE10hipError_tT0_T1_T2_jT3_P12ihipStream_tbPNSt15iterator_traitsISK_E10value_typeEPNSQ_ISL_E10value_typeEPSM_NS1_7vsmem_tEENKUlT_SK_SL_SM_E_clIPbSD_PiSF_EESJ_SZ_SK_SL_SM_EUlSZ_E0_NS1_11comp_targetILNS1_3genE8ELNS1_11target_archE1030ELNS1_3gpuE2ELNS1_3repE0EEENS1_38merge_mergepath_config_static_selectorELNS0_4arch9wavefront6targetE1EEEvSL_,@function
_ZN7rocprim17ROCPRIM_400000_NS6detail17trampoline_kernelINS0_14default_configENS1_38merge_sort_block_merge_config_selectorIbiEEZZNS1_27merge_sort_block_merge_implIS3_N6thrust23THRUST_200600_302600_NS6detail15normal_iteratorINS8_10device_ptrIbEEEENSA_INSB_IiEEEEjNS1_19radix_merge_compareILb0ELb1EbNS0_19identity_decomposerEEEEE10hipError_tT0_T1_T2_jT3_P12ihipStream_tbPNSt15iterator_traitsISK_E10value_typeEPNSQ_ISL_E10value_typeEPSM_NS1_7vsmem_tEENKUlT_SK_SL_SM_E_clIPbSD_PiSF_EESJ_SZ_SK_SL_SM_EUlSZ_E0_NS1_11comp_targetILNS1_3genE8ELNS1_11target_archE1030ELNS1_3gpuE2ELNS1_3repE0EEENS1_38merge_mergepath_config_static_selectorELNS0_4arch9wavefront6targetE1EEEvSL_: ; @_ZN7rocprim17ROCPRIM_400000_NS6detail17trampoline_kernelINS0_14default_configENS1_38merge_sort_block_merge_config_selectorIbiEEZZNS1_27merge_sort_block_merge_implIS3_N6thrust23THRUST_200600_302600_NS6detail15normal_iteratorINS8_10device_ptrIbEEEENSA_INSB_IiEEEEjNS1_19radix_merge_compareILb0ELb1EbNS0_19identity_decomposerEEEEE10hipError_tT0_T1_T2_jT3_P12ihipStream_tbPNSt15iterator_traitsISK_E10value_typeEPNSQ_ISL_E10value_typeEPSM_NS1_7vsmem_tEENKUlT_SK_SL_SM_E_clIPbSD_PiSF_EESJ_SZ_SK_SL_SM_EUlSZ_E0_NS1_11comp_targetILNS1_3genE8ELNS1_11target_archE1030ELNS1_3gpuE2ELNS1_3repE0EEENS1_38merge_mergepath_config_static_selectorELNS0_4arch9wavefront6targetE1EEEvSL_
; %bb.0:
	.section	.rodata,"a",@progbits
	.p2align	6, 0x0
	.amdhsa_kernel _ZN7rocprim17ROCPRIM_400000_NS6detail17trampoline_kernelINS0_14default_configENS1_38merge_sort_block_merge_config_selectorIbiEEZZNS1_27merge_sort_block_merge_implIS3_N6thrust23THRUST_200600_302600_NS6detail15normal_iteratorINS8_10device_ptrIbEEEENSA_INSB_IiEEEEjNS1_19radix_merge_compareILb0ELb1EbNS0_19identity_decomposerEEEEE10hipError_tT0_T1_T2_jT3_P12ihipStream_tbPNSt15iterator_traitsISK_E10value_typeEPNSQ_ISL_E10value_typeEPSM_NS1_7vsmem_tEENKUlT_SK_SL_SM_E_clIPbSD_PiSF_EESJ_SZ_SK_SL_SM_EUlSZ_E0_NS1_11comp_targetILNS1_3genE8ELNS1_11target_archE1030ELNS1_3gpuE2ELNS1_3repE0EEENS1_38merge_mergepath_config_static_selectorELNS0_4arch9wavefront6targetE1EEEvSL_
		.amdhsa_group_segment_fixed_size 0
		.amdhsa_private_segment_fixed_size 0
		.amdhsa_kernarg_size 64
		.amdhsa_user_sgpr_count 2
		.amdhsa_user_sgpr_dispatch_ptr 0
		.amdhsa_user_sgpr_queue_ptr 0
		.amdhsa_user_sgpr_kernarg_segment_ptr 1
		.amdhsa_user_sgpr_dispatch_id 0
		.amdhsa_user_sgpr_kernarg_preload_length 0
		.amdhsa_user_sgpr_kernarg_preload_offset 0
		.amdhsa_user_sgpr_private_segment_size 0
		.amdhsa_uses_dynamic_stack 0
		.amdhsa_enable_private_segment 0
		.amdhsa_system_sgpr_workgroup_id_x 1
		.amdhsa_system_sgpr_workgroup_id_y 0
		.amdhsa_system_sgpr_workgroup_id_z 0
		.amdhsa_system_sgpr_workgroup_info 0
		.amdhsa_system_vgpr_workitem_id 0
		.amdhsa_next_free_vgpr 1
		.amdhsa_next_free_sgpr 0
		.amdhsa_accum_offset 4
		.amdhsa_reserve_vcc 0
		.amdhsa_float_round_mode_32 0
		.amdhsa_float_round_mode_16_64 0
		.amdhsa_float_denorm_mode_32 3
		.amdhsa_float_denorm_mode_16_64 3
		.amdhsa_dx10_clamp 1
		.amdhsa_ieee_mode 1
		.amdhsa_fp16_overflow 0
		.amdhsa_tg_split 0
		.amdhsa_exception_fp_ieee_invalid_op 0
		.amdhsa_exception_fp_denorm_src 0
		.amdhsa_exception_fp_ieee_div_zero 0
		.amdhsa_exception_fp_ieee_overflow 0
		.amdhsa_exception_fp_ieee_underflow 0
		.amdhsa_exception_fp_ieee_inexact 0
		.amdhsa_exception_int_div_zero 0
	.end_amdhsa_kernel
	.section	.text._ZN7rocprim17ROCPRIM_400000_NS6detail17trampoline_kernelINS0_14default_configENS1_38merge_sort_block_merge_config_selectorIbiEEZZNS1_27merge_sort_block_merge_implIS3_N6thrust23THRUST_200600_302600_NS6detail15normal_iteratorINS8_10device_ptrIbEEEENSA_INSB_IiEEEEjNS1_19radix_merge_compareILb0ELb1EbNS0_19identity_decomposerEEEEE10hipError_tT0_T1_T2_jT3_P12ihipStream_tbPNSt15iterator_traitsISK_E10value_typeEPNSQ_ISL_E10value_typeEPSM_NS1_7vsmem_tEENKUlT_SK_SL_SM_E_clIPbSD_PiSF_EESJ_SZ_SK_SL_SM_EUlSZ_E0_NS1_11comp_targetILNS1_3genE8ELNS1_11target_archE1030ELNS1_3gpuE2ELNS1_3repE0EEENS1_38merge_mergepath_config_static_selectorELNS0_4arch9wavefront6targetE1EEEvSL_,"axG",@progbits,_ZN7rocprim17ROCPRIM_400000_NS6detail17trampoline_kernelINS0_14default_configENS1_38merge_sort_block_merge_config_selectorIbiEEZZNS1_27merge_sort_block_merge_implIS3_N6thrust23THRUST_200600_302600_NS6detail15normal_iteratorINS8_10device_ptrIbEEEENSA_INSB_IiEEEEjNS1_19radix_merge_compareILb0ELb1EbNS0_19identity_decomposerEEEEE10hipError_tT0_T1_T2_jT3_P12ihipStream_tbPNSt15iterator_traitsISK_E10value_typeEPNSQ_ISL_E10value_typeEPSM_NS1_7vsmem_tEENKUlT_SK_SL_SM_E_clIPbSD_PiSF_EESJ_SZ_SK_SL_SM_EUlSZ_E0_NS1_11comp_targetILNS1_3genE8ELNS1_11target_archE1030ELNS1_3gpuE2ELNS1_3repE0EEENS1_38merge_mergepath_config_static_selectorELNS0_4arch9wavefront6targetE1EEEvSL_,comdat
.Lfunc_end1981:
	.size	_ZN7rocprim17ROCPRIM_400000_NS6detail17trampoline_kernelINS0_14default_configENS1_38merge_sort_block_merge_config_selectorIbiEEZZNS1_27merge_sort_block_merge_implIS3_N6thrust23THRUST_200600_302600_NS6detail15normal_iteratorINS8_10device_ptrIbEEEENSA_INSB_IiEEEEjNS1_19radix_merge_compareILb0ELb1EbNS0_19identity_decomposerEEEEE10hipError_tT0_T1_T2_jT3_P12ihipStream_tbPNSt15iterator_traitsISK_E10value_typeEPNSQ_ISL_E10value_typeEPSM_NS1_7vsmem_tEENKUlT_SK_SL_SM_E_clIPbSD_PiSF_EESJ_SZ_SK_SL_SM_EUlSZ_E0_NS1_11comp_targetILNS1_3genE8ELNS1_11target_archE1030ELNS1_3gpuE2ELNS1_3repE0EEENS1_38merge_mergepath_config_static_selectorELNS0_4arch9wavefront6targetE1EEEvSL_, .Lfunc_end1981-_ZN7rocprim17ROCPRIM_400000_NS6detail17trampoline_kernelINS0_14default_configENS1_38merge_sort_block_merge_config_selectorIbiEEZZNS1_27merge_sort_block_merge_implIS3_N6thrust23THRUST_200600_302600_NS6detail15normal_iteratorINS8_10device_ptrIbEEEENSA_INSB_IiEEEEjNS1_19radix_merge_compareILb0ELb1EbNS0_19identity_decomposerEEEEE10hipError_tT0_T1_T2_jT3_P12ihipStream_tbPNSt15iterator_traitsISK_E10value_typeEPNSQ_ISL_E10value_typeEPSM_NS1_7vsmem_tEENKUlT_SK_SL_SM_E_clIPbSD_PiSF_EESJ_SZ_SK_SL_SM_EUlSZ_E0_NS1_11comp_targetILNS1_3genE8ELNS1_11target_archE1030ELNS1_3gpuE2ELNS1_3repE0EEENS1_38merge_mergepath_config_static_selectorELNS0_4arch9wavefront6targetE1EEEvSL_
                                        ; -- End function
	.set _ZN7rocprim17ROCPRIM_400000_NS6detail17trampoline_kernelINS0_14default_configENS1_38merge_sort_block_merge_config_selectorIbiEEZZNS1_27merge_sort_block_merge_implIS3_N6thrust23THRUST_200600_302600_NS6detail15normal_iteratorINS8_10device_ptrIbEEEENSA_INSB_IiEEEEjNS1_19radix_merge_compareILb0ELb1EbNS0_19identity_decomposerEEEEE10hipError_tT0_T1_T2_jT3_P12ihipStream_tbPNSt15iterator_traitsISK_E10value_typeEPNSQ_ISL_E10value_typeEPSM_NS1_7vsmem_tEENKUlT_SK_SL_SM_E_clIPbSD_PiSF_EESJ_SZ_SK_SL_SM_EUlSZ_E0_NS1_11comp_targetILNS1_3genE8ELNS1_11target_archE1030ELNS1_3gpuE2ELNS1_3repE0EEENS1_38merge_mergepath_config_static_selectorELNS0_4arch9wavefront6targetE1EEEvSL_.num_vgpr, 0
	.set _ZN7rocprim17ROCPRIM_400000_NS6detail17trampoline_kernelINS0_14default_configENS1_38merge_sort_block_merge_config_selectorIbiEEZZNS1_27merge_sort_block_merge_implIS3_N6thrust23THRUST_200600_302600_NS6detail15normal_iteratorINS8_10device_ptrIbEEEENSA_INSB_IiEEEEjNS1_19radix_merge_compareILb0ELb1EbNS0_19identity_decomposerEEEEE10hipError_tT0_T1_T2_jT3_P12ihipStream_tbPNSt15iterator_traitsISK_E10value_typeEPNSQ_ISL_E10value_typeEPSM_NS1_7vsmem_tEENKUlT_SK_SL_SM_E_clIPbSD_PiSF_EESJ_SZ_SK_SL_SM_EUlSZ_E0_NS1_11comp_targetILNS1_3genE8ELNS1_11target_archE1030ELNS1_3gpuE2ELNS1_3repE0EEENS1_38merge_mergepath_config_static_selectorELNS0_4arch9wavefront6targetE1EEEvSL_.num_agpr, 0
	.set _ZN7rocprim17ROCPRIM_400000_NS6detail17trampoline_kernelINS0_14default_configENS1_38merge_sort_block_merge_config_selectorIbiEEZZNS1_27merge_sort_block_merge_implIS3_N6thrust23THRUST_200600_302600_NS6detail15normal_iteratorINS8_10device_ptrIbEEEENSA_INSB_IiEEEEjNS1_19radix_merge_compareILb0ELb1EbNS0_19identity_decomposerEEEEE10hipError_tT0_T1_T2_jT3_P12ihipStream_tbPNSt15iterator_traitsISK_E10value_typeEPNSQ_ISL_E10value_typeEPSM_NS1_7vsmem_tEENKUlT_SK_SL_SM_E_clIPbSD_PiSF_EESJ_SZ_SK_SL_SM_EUlSZ_E0_NS1_11comp_targetILNS1_3genE8ELNS1_11target_archE1030ELNS1_3gpuE2ELNS1_3repE0EEENS1_38merge_mergepath_config_static_selectorELNS0_4arch9wavefront6targetE1EEEvSL_.numbered_sgpr, 0
	.set _ZN7rocprim17ROCPRIM_400000_NS6detail17trampoline_kernelINS0_14default_configENS1_38merge_sort_block_merge_config_selectorIbiEEZZNS1_27merge_sort_block_merge_implIS3_N6thrust23THRUST_200600_302600_NS6detail15normal_iteratorINS8_10device_ptrIbEEEENSA_INSB_IiEEEEjNS1_19radix_merge_compareILb0ELb1EbNS0_19identity_decomposerEEEEE10hipError_tT0_T1_T2_jT3_P12ihipStream_tbPNSt15iterator_traitsISK_E10value_typeEPNSQ_ISL_E10value_typeEPSM_NS1_7vsmem_tEENKUlT_SK_SL_SM_E_clIPbSD_PiSF_EESJ_SZ_SK_SL_SM_EUlSZ_E0_NS1_11comp_targetILNS1_3genE8ELNS1_11target_archE1030ELNS1_3gpuE2ELNS1_3repE0EEENS1_38merge_mergepath_config_static_selectorELNS0_4arch9wavefront6targetE1EEEvSL_.num_named_barrier, 0
	.set _ZN7rocprim17ROCPRIM_400000_NS6detail17trampoline_kernelINS0_14default_configENS1_38merge_sort_block_merge_config_selectorIbiEEZZNS1_27merge_sort_block_merge_implIS3_N6thrust23THRUST_200600_302600_NS6detail15normal_iteratorINS8_10device_ptrIbEEEENSA_INSB_IiEEEEjNS1_19radix_merge_compareILb0ELb1EbNS0_19identity_decomposerEEEEE10hipError_tT0_T1_T2_jT3_P12ihipStream_tbPNSt15iterator_traitsISK_E10value_typeEPNSQ_ISL_E10value_typeEPSM_NS1_7vsmem_tEENKUlT_SK_SL_SM_E_clIPbSD_PiSF_EESJ_SZ_SK_SL_SM_EUlSZ_E0_NS1_11comp_targetILNS1_3genE8ELNS1_11target_archE1030ELNS1_3gpuE2ELNS1_3repE0EEENS1_38merge_mergepath_config_static_selectorELNS0_4arch9wavefront6targetE1EEEvSL_.private_seg_size, 0
	.set _ZN7rocprim17ROCPRIM_400000_NS6detail17trampoline_kernelINS0_14default_configENS1_38merge_sort_block_merge_config_selectorIbiEEZZNS1_27merge_sort_block_merge_implIS3_N6thrust23THRUST_200600_302600_NS6detail15normal_iteratorINS8_10device_ptrIbEEEENSA_INSB_IiEEEEjNS1_19radix_merge_compareILb0ELb1EbNS0_19identity_decomposerEEEEE10hipError_tT0_T1_T2_jT3_P12ihipStream_tbPNSt15iterator_traitsISK_E10value_typeEPNSQ_ISL_E10value_typeEPSM_NS1_7vsmem_tEENKUlT_SK_SL_SM_E_clIPbSD_PiSF_EESJ_SZ_SK_SL_SM_EUlSZ_E0_NS1_11comp_targetILNS1_3genE8ELNS1_11target_archE1030ELNS1_3gpuE2ELNS1_3repE0EEENS1_38merge_mergepath_config_static_selectorELNS0_4arch9wavefront6targetE1EEEvSL_.uses_vcc, 0
	.set _ZN7rocprim17ROCPRIM_400000_NS6detail17trampoline_kernelINS0_14default_configENS1_38merge_sort_block_merge_config_selectorIbiEEZZNS1_27merge_sort_block_merge_implIS3_N6thrust23THRUST_200600_302600_NS6detail15normal_iteratorINS8_10device_ptrIbEEEENSA_INSB_IiEEEEjNS1_19radix_merge_compareILb0ELb1EbNS0_19identity_decomposerEEEEE10hipError_tT0_T1_T2_jT3_P12ihipStream_tbPNSt15iterator_traitsISK_E10value_typeEPNSQ_ISL_E10value_typeEPSM_NS1_7vsmem_tEENKUlT_SK_SL_SM_E_clIPbSD_PiSF_EESJ_SZ_SK_SL_SM_EUlSZ_E0_NS1_11comp_targetILNS1_3genE8ELNS1_11target_archE1030ELNS1_3gpuE2ELNS1_3repE0EEENS1_38merge_mergepath_config_static_selectorELNS0_4arch9wavefront6targetE1EEEvSL_.uses_flat_scratch, 0
	.set _ZN7rocprim17ROCPRIM_400000_NS6detail17trampoline_kernelINS0_14default_configENS1_38merge_sort_block_merge_config_selectorIbiEEZZNS1_27merge_sort_block_merge_implIS3_N6thrust23THRUST_200600_302600_NS6detail15normal_iteratorINS8_10device_ptrIbEEEENSA_INSB_IiEEEEjNS1_19radix_merge_compareILb0ELb1EbNS0_19identity_decomposerEEEEE10hipError_tT0_T1_T2_jT3_P12ihipStream_tbPNSt15iterator_traitsISK_E10value_typeEPNSQ_ISL_E10value_typeEPSM_NS1_7vsmem_tEENKUlT_SK_SL_SM_E_clIPbSD_PiSF_EESJ_SZ_SK_SL_SM_EUlSZ_E0_NS1_11comp_targetILNS1_3genE8ELNS1_11target_archE1030ELNS1_3gpuE2ELNS1_3repE0EEENS1_38merge_mergepath_config_static_selectorELNS0_4arch9wavefront6targetE1EEEvSL_.has_dyn_sized_stack, 0
	.set _ZN7rocprim17ROCPRIM_400000_NS6detail17trampoline_kernelINS0_14default_configENS1_38merge_sort_block_merge_config_selectorIbiEEZZNS1_27merge_sort_block_merge_implIS3_N6thrust23THRUST_200600_302600_NS6detail15normal_iteratorINS8_10device_ptrIbEEEENSA_INSB_IiEEEEjNS1_19radix_merge_compareILb0ELb1EbNS0_19identity_decomposerEEEEE10hipError_tT0_T1_T2_jT3_P12ihipStream_tbPNSt15iterator_traitsISK_E10value_typeEPNSQ_ISL_E10value_typeEPSM_NS1_7vsmem_tEENKUlT_SK_SL_SM_E_clIPbSD_PiSF_EESJ_SZ_SK_SL_SM_EUlSZ_E0_NS1_11comp_targetILNS1_3genE8ELNS1_11target_archE1030ELNS1_3gpuE2ELNS1_3repE0EEENS1_38merge_mergepath_config_static_selectorELNS0_4arch9wavefront6targetE1EEEvSL_.has_recursion, 0
	.set _ZN7rocprim17ROCPRIM_400000_NS6detail17trampoline_kernelINS0_14default_configENS1_38merge_sort_block_merge_config_selectorIbiEEZZNS1_27merge_sort_block_merge_implIS3_N6thrust23THRUST_200600_302600_NS6detail15normal_iteratorINS8_10device_ptrIbEEEENSA_INSB_IiEEEEjNS1_19radix_merge_compareILb0ELb1EbNS0_19identity_decomposerEEEEE10hipError_tT0_T1_T2_jT3_P12ihipStream_tbPNSt15iterator_traitsISK_E10value_typeEPNSQ_ISL_E10value_typeEPSM_NS1_7vsmem_tEENKUlT_SK_SL_SM_E_clIPbSD_PiSF_EESJ_SZ_SK_SL_SM_EUlSZ_E0_NS1_11comp_targetILNS1_3genE8ELNS1_11target_archE1030ELNS1_3gpuE2ELNS1_3repE0EEENS1_38merge_mergepath_config_static_selectorELNS0_4arch9wavefront6targetE1EEEvSL_.has_indirect_call, 0
	.section	.AMDGPU.csdata,"",@progbits
; Kernel info:
; codeLenInByte = 0
; TotalNumSgprs: 6
; NumVgprs: 0
; NumAgprs: 0
; TotalNumVgprs: 0
; ScratchSize: 0
; MemoryBound: 0
; FloatMode: 240
; IeeeMode: 1
; LDSByteSize: 0 bytes/workgroup (compile time only)
; SGPRBlocks: 0
; VGPRBlocks: 0
; NumSGPRsForWavesPerEU: 6
; NumVGPRsForWavesPerEU: 1
; AccumOffset: 4
; Occupancy: 8
; WaveLimiterHint : 0
; COMPUTE_PGM_RSRC2:SCRATCH_EN: 0
; COMPUTE_PGM_RSRC2:USER_SGPR: 2
; COMPUTE_PGM_RSRC2:TRAP_HANDLER: 0
; COMPUTE_PGM_RSRC2:TGID_X_EN: 1
; COMPUTE_PGM_RSRC2:TGID_Y_EN: 0
; COMPUTE_PGM_RSRC2:TGID_Z_EN: 0
; COMPUTE_PGM_RSRC2:TIDIG_COMP_CNT: 0
; COMPUTE_PGM_RSRC3_GFX90A:ACCUM_OFFSET: 0
; COMPUTE_PGM_RSRC3_GFX90A:TG_SPLIT: 0
	.section	.text._ZN7rocprim17ROCPRIM_400000_NS6detail17trampoline_kernelINS0_14default_configENS1_38merge_sort_block_merge_config_selectorIbiEEZZNS1_27merge_sort_block_merge_implIS3_N6thrust23THRUST_200600_302600_NS6detail15normal_iteratorINS8_10device_ptrIbEEEENSA_INSB_IiEEEEjNS1_19radix_merge_compareILb0ELb1EbNS0_19identity_decomposerEEEEE10hipError_tT0_T1_T2_jT3_P12ihipStream_tbPNSt15iterator_traitsISK_E10value_typeEPNSQ_ISL_E10value_typeEPSM_NS1_7vsmem_tEENKUlT_SK_SL_SM_E_clIPbSD_PiSF_EESJ_SZ_SK_SL_SM_EUlSZ_E1_NS1_11comp_targetILNS1_3genE0ELNS1_11target_archE4294967295ELNS1_3gpuE0ELNS1_3repE0EEENS1_36merge_oddeven_config_static_selectorELNS0_4arch9wavefront6targetE1EEEvSL_,"axG",@progbits,_ZN7rocprim17ROCPRIM_400000_NS6detail17trampoline_kernelINS0_14default_configENS1_38merge_sort_block_merge_config_selectorIbiEEZZNS1_27merge_sort_block_merge_implIS3_N6thrust23THRUST_200600_302600_NS6detail15normal_iteratorINS8_10device_ptrIbEEEENSA_INSB_IiEEEEjNS1_19radix_merge_compareILb0ELb1EbNS0_19identity_decomposerEEEEE10hipError_tT0_T1_T2_jT3_P12ihipStream_tbPNSt15iterator_traitsISK_E10value_typeEPNSQ_ISL_E10value_typeEPSM_NS1_7vsmem_tEENKUlT_SK_SL_SM_E_clIPbSD_PiSF_EESJ_SZ_SK_SL_SM_EUlSZ_E1_NS1_11comp_targetILNS1_3genE0ELNS1_11target_archE4294967295ELNS1_3gpuE0ELNS1_3repE0EEENS1_36merge_oddeven_config_static_selectorELNS0_4arch9wavefront6targetE1EEEvSL_,comdat
	.protected	_ZN7rocprim17ROCPRIM_400000_NS6detail17trampoline_kernelINS0_14default_configENS1_38merge_sort_block_merge_config_selectorIbiEEZZNS1_27merge_sort_block_merge_implIS3_N6thrust23THRUST_200600_302600_NS6detail15normal_iteratorINS8_10device_ptrIbEEEENSA_INSB_IiEEEEjNS1_19radix_merge_compareILb0ELb1EbNS0_19identity_decomposerEEEEE10hipError_tT0_T1_T2_jT3_P12ihipStream_tbPNSt15iterator_traitsISK_E10value_typeEPNSQ_ISL_E10value_typeEPSM_NS1_7vsmem_tEENKUlT_SK_SL_SM_E_clIPbSD_PiSF_EESJ_SZ_SK_SL_SM_EUlSZ_E1_NS1_11comp_targetILNS1_3genE0ELNS1_11target_archE4294967295ELNS1_3gpuE0ELNS1_3repE0EEENS1_36merge_oddeven_config_static_selectorELNS0_4arch9wavefront6targetE1EEEvSL_ ; -- Begin function _ZN7rocprim17ROCPRIM_400000_NS6detail17trampoline_kernelINS0_14default_configENS1_38merge_sort_block_merge_config_selectorIbiEEZZNS1_27merge_sort_block_merge_implIS3_N6thrust23THRUST_200600_302600_NS6detail15normal_iteratorINS8_10device_ptrIbEEEENSA_INSB_IiEEEEjNS1_19radix_merge_compareILb0ELb1EbNS0_19identity_decomposerEEEEE10hipError_tT0_T1_T2_jT3_P12ihipStream_tbPNSt15iterator_traitsISK_E10value_typeEPNSQ_ISL_E10value_typeEPSM_NS1_7vsmem_tEENKUlT_SK_SL_SM_E_clIPbSD_PiSF_EESJ_SZ_SK_SL_SM_EUlSZ_E1_NS1_11comp_targetILNS1_3genE0ELNS1_11target_archE4294967295ELNS1_3gpuE0ELNS1_3repE0EEENS1_36merge_oddeven_config_static_selectorELNS0_4arch9wavefront6targetE1EEEvSL_
	.globl	_ZN7rocprim17ROCPRIM_400000_NS6detail17trampoline_kernelINS0_14default_configENS1_38merge_sort_block_merge_config_selectorIbiEEZZNS1_27merge_sort_block_merge_implIS3_N6thrust23THRUST_200600_302600_NS6detail15normal_iteratorINS8_10device_ptrIbEEEENSA_INSB_IiEEEEjNS1_19radix_merge_compareILb0ELb1EbNS0_19identity_decomposerEEEEE10hipError_tT0_T1_T2_jT3_P12ihipStream_tbPNSt15iterator_traitsISK_E10value_typeEPNSQ_ISL_E10value_typeEPSM_NS1_7vsmem_tEENKUlT_SK_SL_SM_E_clIPbSD_PiSF_EESJ_SZ_SK_SL_SM_EUlSZ_E1_NS1_11comp_targetILNS1_3genE0ELNS1_11target_archE4294967295ELNS1_3gpuE0ELNS1_3repE0EEENS1_36merge_oddeven_config_static_selectorELNS0_4arch9wavefront6targetE1EEEvSL_
	.p2align	8
	.type	_ZN7rocprim17ROCPRIM_400000_NS6detail17trampoline_kernelINS0_14default_configENS1_38merge_sort_block_merge_config_selectorIbiEEZZNS1_27merge_sort_block_merge_implIS3_N6thrust23THRUST_200600_302600_NS6detail15normal_iteratorINS8_10device_ptrIbEEEENSA_INSB_IiEEEEjNS1_19radix_merge_compareILb0ELb1EbNS0_19identity_decomposerEEEEE10hipError_tT0_T1_T2_jT3_P12ihipStream_tbPNSt15iterator_traitsISK_E10value_typeEPNSQ_ISL_E10value_typeEPSM_NS1_7vsmem_tEENKUlT_SK_SL_SM_E_clIPbSD_PiSF_EESJ_SZ_SK_SL_SM_EUlSZ_E1_NS1_11comp_targetILNS1_3genE0ELNS1_11target_archE4294967295ELNS1_3gpuE0ELNS1_3repE0EEENS1_36merge_oddeven_config_static_selectorELNS0_4arch9wavefront6targetE1EEEvSL_,@function
_ZN7rocprim17ROCPRIM_400000_NS6detail17trampoline_kernelINS0_14default_configENS1_38merge_sort_block_merge_config_selectorIbiEEZZNS1_27merge_sort_block_merge_implIS3_N6thrust23THRUST_200600_302600_NS6detail15normal_iteratorINS8_10device_ptrIbEEEENSA_INSB_IiEEEEjNS1_19radix_merge_compareILb0ELb1EbNS0_19identity_decomposerEEEEE10hipError_tT0_T1_T2_jT3_P12ihipStream_tbPNSt15iterator_traitsISK_E10value_typeEPNSQ_ISL_E10value_typeEPSM_NS1_7vsmem_tEENKUlT_SK_SL_SM_E_clIPbSD_PiSF_EESJ_SZ_SK_SL_SM_EUlSZ_E1_NS1_11comp_targetILNS1_3genE0ELNS1_11target_archE4294967295ELNS1_3gpuE0ELNS1_3repE0EEENS1_36merge_oddeven_config_static_selectorELNS0_4arch9wavefront6targetE1EEEvSL_: ; @_ZN7rocprim17ROCPRIM_400000_NS6detail17trampoline_kernelINS0_14default_configENS1_38merge_sort_block_merge_config_selectorIbiEEZZNS1_27merge_sort_block_merge_implIS3_N6thrust23THRUST_200600_302600_NS6detail15normal_iteratorINS8_10device_ptrIbEEEENSA_INSB_IiEEEEjNS1_19radix_merge_compareILb0ELb1EbNS0_19identity_decomposerEEEEE10hipError_tT0_T1_T2_jT3_P12ihipStream_tbPNSt15iterator_traitsISK_E10value_typeEPNSQ_ISL_E10value_typeEPSM_NS1_7vsmem_tEENKUlT_SK_SL_SM_E_clIPbSD_PiSF_EESJ_SZ_SK_SL_SM_EUlSZ_E1_NS1_11comp_targetILNS1_3genE0ELNS1_11target_archE4294967295ELNS1_3gpuE0ELNS1_3repE0EEENS1_36merge_oddeven_config_static_selectorELNS0_4arch9wavefront6targetE1EEEvSL_
; %bb.0:
	s_load_dwordx2 s[6:7], s[0:1], 0x4
	v_and_b32_e32 v1, 0x3ff, v0
	v_bfe_u32 v3, v0, 10, 10
	v_bfe_u32 v0, v0, 20, 10
	s_waitcnt lgkmcnt(0)
	s_lshr_b32 s0, s6, 16
	s_mul_i32 s0, s0, s7
	v_mul_lo_u32 v2, s0, v1
	s_load_dwordx2 s[18:19], s[2:3], 0x20
	s_load_dword s0, s[2:3], 0x28
	v_mul_u32_u24_e32 v3, s7, v3
	v_add3_u32 v4, v2, v3, v0
	s_waitcnt lgkmcnt(0)
	s_and_b32 s0, s0, 1
	v_mov_b32_e32 v0, s0
	s_lshr_b32 s0, s18, 8
	s_cmp_eq_u32 s4, s0
	s_cselect_b64 s[16:17], -1, 0
	s_cmp_lg_u32 s4, s0
	s_cselect_b64 s[0:1], -1, 0
	s_lshl_b32 s20, s4, 8
	s_sub_i32 s5, s18, s20
	v_cmp_gt_u32_e64 s[6:7], s5, v1
	s_or_b64 s[0:1], s[0:1], s[6:7]
	ds_write_b8 v4, v0
	s_and_saveexec_b64 s[8:9], s[0:1]
	s_cbranch_execz .LBB1982_24
; %bb.1:
	s_load_dwordx8 s[8:15], s[2:3], 0x0
	s_mov_b32 s21, 0
	v_lshlrev_b32_e32 v0, 2, v1
	s_waitcnt lgkmcnt(0)
	s_add_u32 s0, s8, s20
	s_addc_u32 s1, s9, 0
	s_lshl_b64 s[2:3], s[20:21], 2
	s_add_u32 s2, s12, s2
	s_addc_u32 s3, s13, s3
	global_load_dword v2, v0, s[2:3]
	global_load_ubyte v3, v1, s[0:1]
	s_lshr_b32 s0, s19, 8
	s_sub_i32 s1, 0, s0
	s_and_b32 s1, s4, s1
	s_and_b32 s0, s1, s0
	s_lshl_b32 s4, s1, 8
	s_sub_i32 s5, 0, s19
	s_cmp_eq_u32 s0, 0
	s_cselect_b64 s[0:1], -1, 0
	s_and_b64 s[2:3], s[0:1], exec
	s_cselect_b32 s12, s19, s5
	s_add_i32 s12, s12, s4
	s_mov_b64 s[2:3], -1
	s_cmp_gt_u32 s18, s12
	v_add_u32_e32 v0, s20, v1
	s_cbranch_scc1 .LBB1982_9
; %bb.2:
	s_and_b64 vcc, exec, s[16:17]
	s_cbranch_vccz .LBB1982_6
; %bb.3:
	v_cmp_gt_u32_e32 vcc, s18, v0
	s_and_saveexec_b64 s[2:3], vcc
	s_cbranch_execz .LBB1982_5
; %bb.4:
	v_mov_b32_e32 v1, 0
	v_lshl_add_u64 v[6:7], v[0:1], 2, s[14:15]
	s_waitcnt vmcnt(0)
	global_store_byte v0, v3, s[10:11]
	global_store_dword v[6:7], v2, off
.LBB1982_5:
	s_or_b64 exec, exec, s[2:3]
	s_mov_b64 s[2:3], 0
.LBB1982_6:
	s_andn2_b64 vcc, exec, s[2:3]
	s_cbranch_vccnz .LBB1982_8
; %bb.7:
	v_mov_b32_e32 v1, 0
	v_lshl_add_u64 v[6:7], v[0:1], 2, s[14:15]
	s_waitcnt vmcnt(0)
	global_store_byte v0, v3, s[10:11]
	global_store_dword v[6:7], v2, off
.LBB1982_8:
	s_mov_b64 s[2:3], 0
.LBB1982_9:
	s_andn2_b64 vcc, exec, s[2:3]
	s_cbranch_vccnz .LBB1982_24
; %bb.10:
	ds_read_u8 v1, v4
	s_min_u32 s13, s12, s18
	s_add_i32 s2, s13, s19
	s_min_u32 s18, s2, s18
	s_min_u32 s2, s4, s13
	s_add_i32 s4, s4, s13
	v_subrev_u32_e32 v0, s4, v0
	v_add_u32_e32 v0, s2, v0
	s_waitcnt vmcnt(0) lgkmcnt(0)
	v_and_b32_e32 v4, v1, v3
	s_mov_b64 s[2:3], -1
	s_and_b64 vcc, exec, s[16:17]
	s_cbranch_vccz .LBB1982_18
; %bb.11:
	s_and_saveexec_b64 s[2:3], s[6:7]
	s_cbranch_execz .LBB1982_17
; %bb.12:
	s_cmp_ge_u32 s12, s18
	v_mov_b32_e32 v5, s13
	s_cbranch_scc1 .LBB1982_16
; %bb.13:
	s_mov_b64 s[4:5], 0
	v_mov_b32_e32 v6, s18
	v_mov_b32_e32 v5, s13
.LBB1982_14:                            ; =>This Inner Loop Header: Depth=1
	v_add_u32_e32 v7, v5, v6
	v_lshrrev_b32_e32 v7, 1, v7
	global_load_ubyte v8, v7, s[8:9]
	v_add_u32_e32 v9, 1, v7
	s_waitcnt vmcnt(0)
	v_and_b32_e32 v8, v1, v8
	v_cmp_gt_u16_sdwa s[6:7], v4, v8 src0_sel:BYTE_0 src1_sel:DWORD
	s_nop 1
	v_cndmask_b32_e64 v10, 0, 1, s[6:7]
	v_cmp_le_u16_sdwa s[6:7], v8, v4 src0_sel:DWORD src1_sel:BYTE_0
	s_nop 1
	v_cndmask_b32_e64 v8, 0, 1, s[6:7]
	v_cndmask_b32_e64 v8, v8, v10, s[0:1]
	v_and_b32_e32 v8, 1, v8
	v_cmp_eq_u32_e32 vcc, 1, v8
	s_nop 1
	v_cndmask_b32_e32 v6, v7, v6, vcc
	v_cndmask_b32_e32 v5, v5, v9, vcc
	v_cmp_ge_u32_e32 vcc, v5, v6
	s_or_b64 s[4:5], vcc, s[4:5]
	s_andn2_b64 exec, exec, s[4:5]
	s_cbranch_execnz .LBB1982_14
; %bb.15:
	s_or_b64 exec, exec, s[4:5]
.LBB1982_16:
	v_add_u32_e32 v6, v5, v0
	v_mov_b32_e32 v7, 0
	global_store_byte v6, v3, s[10:11]
	v_lshl_add_u64 v[6:7], v[6:7], 2, s[14:15]
	global_store_dword v[6:7], v2, off
.LBB1982_17:
	s_or_b64 exec, exec, s[2:3]
	s_mov_b64 s[2:3], 0
.LBB1982_18:
	s_andn2_b64 vcc, exec, s[2:3]
	s_cbranch_vccnz .LBB1982_24
; %bb.19:
	s_cmp_ge_u32 s12, s18
	v_mov_b32_e32 v5, s13
	s_cbranch_scc1 .LBB1982_23
; %bb.20:
	s_mov_b64 s[2:3], 0
	v_mov_b32_e32 v6, s18
	v_mov_b32_e32 v5, s13
.LBB1982_21:                            ; =>This Inner Loop Header: Depth=1
	v_add_u32_e32 v7, v5, v6
	v_lshrrev_b32_e32 v7, 1, v7
	global_load_ubyte v8, v7, s[8:9]
	v_add_u32_e32 v9, 1, v7
	s_waitcnt vmcnt(0)
	v_and_b32_e32 v8, v1, v8
	v_cmp_gt_u16_sdwa s[4:5], v4, v8 src0_sel:BYTE_0 src1_sel:DWORD
	s_nop 1
	v_cndmask_b32_e64 v10, 0, 1, s[4:5]
	v_cmp_le_u16_sdwa s[4:5], v8, v4 src0_sel:DWORD src1_sel:BYTE_0
	s_nop 1
	v_cndmask_b32_e64 v8, 0, 1, s[4:5]
	v_cndmask_b32_e64 v8, v8, v10, s[0:1]
	v_and_b32_e32 v8, 1, v8
	v_cmp_eq_u32_e32 vcc, 1, v8
	s_nop 1
	v_cndmask_b32_e32 v6, v7, v6, vcc
	v_cndmask_b32_e32 v5, v5, v9, vcc
	v_cmp_ge_u32_e32 vcc, v5, v6
	s_or_b64 s[2:3], vcc, s[2:3]
	s_andn2_b64 exec, exec, s[2:3]
	s_cbranch_execnz .LBB1982_21
; %bb.22:
	s_or_b64 exec, exec, s[2:3]
.LBB1982_23:
	v_add_u32_e32 v0, v5, v0
	v_mov_b32_e32 v1, 0
	global_store_byte v0, v3, s[10:11]
	v_lshl_add_u64 v[0:1], v[0:1], 2, s[14:15]
	global_store_dword v[0:1], v2, off
.LBB1982_24:
	s_endpgm
	.section	.rodata,"a",@progbits
	.p2align	6, 0x0
	.amdhsa_kernel _ZN7rocprim17ROCPRIM_400000_NS6detail17trampoline_kernelINS0_14default_configENS1_38merge_sort_block_merge_config_selectorIbiEEZZNS1_27merge_sort_block_merge_implIS3_N6thrust23THRUST_200600_302600_NS6detail15normal_iteratorINS8_10device_ptrIbEEEENSA_INSB_IiEEEEjNS1_19radix_merge_compareILb0ELb1EbNS0_19identity_decomposerEEEEE10hipError_tT0_T1_T2_jT3_P12ihipStream_tbPNSt15iterator_traitsISK_E10value_typeEPNSQ_ISL_E10value_typeEPSM_NS1_7vsmem_tEENKUlT_SK_SL_SM_E_clIPbSD_PiSF_EESJ_SZ_SK_SL_SM_EUlSZ_E1_NS1_11comp_targetILNS1_3genE0ELNS1_11target_archE4294967295ELNS1_3gpuE0ELNS1_3repE0EEENS1_36merge_oddeven_config_static_selectorELNS0_4arch9wavefront6targetE1EEEvSL_
		.amdhsa_group_segment_fixed_size 256
		.amdhsa_private_segment_fixed_size 0
		.amdhsa_kernarg_size 48
		.amdhsa_user_sgpr_count 4
		.amdhsa_user_sgpr_dispatch_ptr 1
		.amdhsa_user_sgpr_queue_ptr 0
		.amdhsa_user_sgpr_kernarg_segment_ptr 1
		.amdhsa_user_sgpr_dispatch_id 0
		.amdhsa_user_sgpr_kernarg_preload_length 0
		.amdhsa_user_sgpr_kernarg_preload_offset 0
		.amdhsa_user_sgpr_private_segment_size 0
		.amdhsa_uses_dynamic_stack 0
		.amdhsa_enable_private_segment 0
		.amdhsa_system_sgpr_workgroup_id_x 1
		.amdhsa_system_sgpr_workgroup_id_y 0
		.amdhsa_system_sgpr_workgroup_id_z 0
		.amdhsa_system_sgpr_workgroup_info 0
		.amdhsa_system_vgpr_workitem_id 2
		.amdhsa_next_free_vgpr 11
		.amdhsa_next_free_sgpr 22
		.amdhsa_accum_offset 12
		.amdhsa_reserve_vcc 1
		.amdhsa_float_round_mode_32 0
		.amdhsa_float_round_mode_16_64 0
		.amdhsa_float_denorm_mode_32 3
		.amdhsa_float_denorm_mode_16_64 3
		.amdhsa_dx10_clamp 1
		.amdhsa_ieee_mode 1
		.amdhsa_fp16_overflow 0
		.amdhsa_tg_split 0
		.amdhsa_exception_fp_ieee_invalid_op 0
		.amdhsa_exception_fp_denorm_src 0
		.amdhsa_exception_fp_ieee_div_zero 0
		.amdhsa_exception_fp_ieee_overflow 0
		.amdhsa_exception_fp_ieee_underflow 0
		.amdhsa_exception_fp_ieee_inexact 0
		.amdhsa_exception_int_div_zero 0
	.end_amdhsa_kernel
	.section	.text._ZN7rocprim17ROCPRIM_400000_NS6detail17trampoline_kernelINS0_14default_configENS1_38merge_sort_block_merge_config_selectorIbiEEZZNS1_27merge_sort_block_merge_implIS3_N6thrust23THRUST_200600_302600_NS6detail15normal_iteratorINS8_10device_ptrIbEEEENSA_INSB_IiEEEEjNS1_19radix_merge_compareILb0ELb1EbNS0_19identity_decomposerEEEEE10hipError_tT0_T1_T2_jT3_P12ihipStream_tbPNSt15iterator_traitsISK_E10value_typeEPNSQ_ISL_E10value_typeEPSM_NS1_7vsmem_tEENKUlT_SK_SL_SM_E_clIPbSD_PiSF_EESJ_SZ_SK_SL_SM_EUlSZ_E1_NS1_11comp_targetILNS1_3genE0ELNS1_11target_archE4294967295ELNS1_3gpuE0ELNS1_3repE0EEENS1_36merge_oddeven_config_static_selectorELNS0_4arch9wavefront6targetE1EEEvSL_,"axG",@progbits,_ZN7rocprim17ROCPRIM_400000_NS6detail17trampoline_kernelINS0_14default_configENS1_38merge_sort_block_merge_config_selectorIbiEEZZNS1_27merge_sort_block_merge_implIS3_N6thrust23THRUST_200600_302600_NS6detail15normal_iteratorINS8_10device_ptrIbEEEENSA_INSB_IiEEEEjNS1_19radix_merge_compareILb0ELb1EbNS0_19identity_decomposerEEEEE10hipError_tT0_T1_T2_jT3_P12ihipStream_tbPNSt15iterator_traitsISK_E10value_typeEPNSQ_ISL_E10value_typeEPSM_NS1_7vsmem_tEENKUlT_SK_SL_SM_E_clIPbSD_PiSF_EESJ_SZ_SK_SL_SM_EUlSZ_E1_NS1_11comp_targetILNS1_3genE0ELNS1_11target_archE4294967295ELNS1_3gpuE0ELNS1_3repE0EEENS1_36merge_oddeven_config_static_selectorELNS0_4arch9wavefront6targetE1EEEvSL_,comdat
.Lfunc_end1982:
	.size	_ZN7rocprim17ROCPRIM_400000_NS6detail17trampoline_kernelINS0_14default_configENS1_38merge_sort_block_merge_config_selectorIbiEEZZNS1_27merge_sort_block_merge_implIS3_N6thrust23THRUST_200600_302600_NS6detail15normal_iteratorINS8_10device_ptrIbEEEENSA_INSB_IiEEEEjNS1_19radix_merge_compareILb0ELb1EbNS0_19identity_decomposerEEEEE10hipError_tT0_T1_T2_jT3_P12ihipStream_tbPNSt15iterator_traitsISK_E10value_typeEPNSQ_ISL_E10value_typeEPSM_NS1_7vsmem_tEENKUlT_SK_SL_SM_E_clIPbSD_PiSF_EESJ_SZ_SK_SL_SM_EUlSZ_E1_NS1_11comp_targetILNS1_3genE0ELNS1_11target_archE4294967295ELNS1_3gpuE0ELNS1_3repE0EEENS1_36merge_oddeven_config_static_selectorELNS0_4arch9wavefront6targetE1EEEvSL_, .Lfunc_end1982-_ZN7rocprim17ROCPRIM_400000_NS6detail17trampoline_kernelINS0_14default_configENS1_38merge_sort_block_merge_config_selectorIbiEEZZNS1_27merge_sort_block_merge_implIS3_N6thrust23THRUST_200600_302600_NS6detail15normal_iteratorINS8_10device_ptrIbEEEENSA_INSB_IiEEEEjNS1_19radix_merge_compareILb0ELb1EbNS0_19identity_decomposerEEEEE10hipError_tT0_T1_T2_jT3_P12ihipStream_tbPNSt15iterator_traitsISK_E10value_typeEPNSQ_ISL_E10value_typeEPSM_NS1_7vsmem_tEENKUlT_SK_SL_SM_E_clIPbSD_PiSF_EESJ_SZ_SK_SL_SM_EUlSZ_E1_NS1_11comp_targetILNS1_3genE0ELNS1_11target_archE4294967295ELNS1_3gpuE0ELNS1_3repE0EEENS1_36merge_oddeven_config_static_selectorELNS0_4arch9wavefront6targetE1EEEvSL_
                                        ; -- End function
	.set _ZN7rocprim17ROCPRIM_400000_NS6detail17trampoline_kernelINS0_14default_configENS1_38merge_sort_block_merge_config_selectorIbiEEZZNS1_27merge_sort_block_merge_implIS3_N6thrust23THRUST_200600_302600_NS6detail15normal_iteratorINS8_10device_ptrIbEEEENSA_INSB_IiEEEEjNS1_19radix_merge_compareILb0ELb1EbNS0_19identity_decomposerEEEEE10hipError_tT0_T1_T2_jT3_P12ihipStream_tbPNSt15iterator_traitsISK_E10value_typeEPNSQ_ISL_E10value_typeEPSM_NS1_7vsmem_tEENKUlT_SK_SL_SM_E_clIPbSD_PiSF_EESJ_SZ_SK_SL_SM_EUlSZ_E1_NS1_11comp_targetILNS1_3genE0ELNS1_11target_archE4294967295ELNS1_3gpuE0ELNS1_3repE0EEENS1_36merge_oddeven_config_static_selectorELNS0_4arch9wavefront6targetE1EEEvSL_.num_vgpr, 11
	.set _ZN7rocprim17ROCPRIM_400000_NS6detail17trampoline_kernelINS0_14default_configENS1_38merge_sort_block_merge_config_selectorIbiEEZZNS1_27merge_sort_block_merge_implIS3_N6thrust23THRUST_200600_302600_NS6detail15normal_iteratorINS8_10device_ptrIbEEEENSA_INSB_IiEEEEjNS1_19radix_merge_compareILb0ELb1EbNS0_19identity_decomposerEEEEE10hipError_tT0_T1_T2_jT3_P12ihipStream_tbPNSt15iterator_traitsISK_E10value_typeEPNSQ_ISL_E10value_typeEPSM_NS1_7vsmem_tEENKUlT_SK_SL_SM_E_clIPbSD_PiSF_EESJ_SZ_SK_SL_SM_EUlSZ_E1_NS1_11comp_targetILNS1_3genE0ELNS1_11target_archE4294967295ELNS1_3gpuE0ELNS1_3repE0EEENS1_36merge_oddeven_config_static_selectorELNS0_4arch9wavefront6targetE1EEEvSL_.num_agpr, 0
	.set _ZN7rocprim17ROCPRIM_400000_NS6detail17trampoline_kernelINS0_14default_configENS1_38merge_sort_block_merge_config_selectorIbiEEZZNS1_27merge_sort_block_merge_implIS3_N6thrust23THRUST_200600_302600_NS6detail15normal_iteratorINS8_10device_ptrIbEEEENSA_INSB_IiEEEEjNS1_19radix_merge_compareILb0ELb1EbNS0_19identity_decomposerEEEEE10hipError_tT0_T1_T2_jT3_P12ihipStream_tbPNSt15iterator_traitsISK_E10value_typeEPNSQ_ISL_E10value_typeEPSM_NS1_7vsmem_tEENKUlT_SK_SL_SM_E_clIPbSD_PiSF_EESJ_SZ_SK_SL_SM_EUlSZ_E1_NS1_11comp_targetILNS1_3genE0ELNS1_11target_archE4294967295ELNS1_3gpuE0ELNS1_3repE0EEENS1_36merge_oddeven_config_static_selectorELNS0_4arch9wavefront6targetE1EEEvSL_.numbered_sgpr, 22
	.set _ZN7rocprim17ROCPRIM_400000_NS6detail17trampoline_kernelINS0_14default_configENS1_38merge_sort_block_merge_config_selectorIbiEEZZNS1_27merge_sort_block_merge_implIS3_N6thrust23THRUST_200600_302600_NS6detail15normal_iteratorINS8_10device_ptrIbEEEENSA_INSB_IiEEEEjNS1_19radix_merge_compareILb0ELb1EbNS0_19identity_decomposerEEEEE10hipError_tT0_T1_T2_jT3_P12ihipStream_tbPNSt15iterator_traitsISK_E10value_typeEPNSQ_ISL_E10value_typeEPSM_NS1_7vsmem_tEENKUlT_SK_SL_SM_E_clIPbSD_PiSF_EESJ_SZ_SK_SL_SM_EUlSZ_E1_NS1_11comp_targetILNS1_3genE0ELNS1_11target_archE4294967295ELNS1_3gpuE0ELNS1_3repE0EEENS1_36merge_oddeven_config_static_selectorELNS0_4arch9wavefront6targetE1EEEvSL_.num_named_barrier, 0
	.set _ZN7rocprim17ROCPRIM_400000_NS6detail17trampoline_kernelINS0_14default_configENS1_38merge_sort_block_merge_config_selectorIbiEEZZNS1_27merge_sort_block_merge_implIS3_N6thrust23THRUST_200600_302600_NS6detail15normal_iteratorINS8_10device_ptrIbEEEENSA_INSB_IiEEEEjNS1_19radix_merge_compareILb0ELb1EbNS0_19identity_decomposerEEEEE10hipError_tT0_T1_T2_jT3_P12ihipStream_tbPNSt15iterator_traitsISK_E10value_typeEPNSQ_ISL_E10value_typeEPSM_NS1_7vsmem_tEENKUlT_SK_SL_SM_E_clIPbSD_PiSF_EESJ_SZ_SK_SL_SM_EUlSZ_E1_NS1_11comp_targetILNS1_3genE0ELNS1_11target_archE4294967295ELNS1_3gpuE0ELNS1_3repE0EEENS1_36merge_oddeven_config_static_selectorELNS0_4arch9wavefront6targetE1EEEvSL_.private_seg_size, 0
	.set _ZN7rocprim17ROCPRIM_400000_NS6detail17trampoline_kernelINS0_14default_configENS1_38merge_sort_block_merge_config_selectorIbiEEZZNS1_27merge_sort_block_merge_implIS3_N6thrust23THRUST_200600_302600_NS6detail15normal_iteratorINS8_10device_ptrIbEEEENSA_INSB_IiEEEEjNS1_19radix_merge_compareILb0ELb1EbNS0_19identity_decomposerEEEEE10hipError_tT0_T1_T2_jT3_P12ihipStream_tbPNSt15iterator_traitsISK_E10value_typeEPNSQ_ISL_E10value_typeEPSM_NS1_7vsmem_tEENKUlT_SK_SL_SM_E_clIPbSD_PiSF_EESJ_SZ_SK_SL_SM_EUlSZ_E1_NS1_11comp_targetILNS1_3genE0ELNS1_11target_archE4294967295ELNS1_3gpuE0ELNS1_3repE0EEENS1_36merge_oddeven_config_static_selectorELNS0_4arch9wavefront6targetE1EEEvSL_.uses_vcc, 1
	.set _ZN7rocprim17ROCPRIM_400000_NS6detail17trampoline_kernelINS0_14default_configENS1_38merge_sort_block_merge_config_selectorIbiEEZZNS1_27merge_sort_block_merge_implIS3_N6thrust23THRUST_200600_302600_NS6detail15normal_iteratorINS8_10device_ptrIbEEEENSA_INSB_IiEEEEjNS1_19radix_merge_compareILb0ELb1EbNS0_19identity_decomposerEEEEE10hipError_tT0_T1_T2_jT3_P12ihipStream_tbPNSt15iterator_traitsISK_E10value_typeEPNSQ_ISL_E10value_typeEPSM_NS1_7vsmem_tEENKUlT_SK_SL_SM_E_clIPbSD_PiSF_EESJ_SZ_SK_SL_SM_EUlSZ_E1_NS1_11comp_targetILNS1_3genE0ELNS1_11target_archE4294967295ELNS1_3gpuE0ELNS1_3repE0EEENS1_36merge_oddeven_config_static_selectorELNS0_4arch9wavefront6targetE1EEEvSL_.uses_flat_scratch, 0
	.set _ZN7rocprim17ROCPRIM_400000_NS6detail17trampoline_kernelINS0_14default_configENS1_38merge_sort_block_merge_config_selectorIbiEEZZNS1_27merge_sort_block_merge_implIS3_N6thrust23THRUST_200600_302600_NS6detail15normal_iteratorINS8_10device_ptrIbEEEENSA_INSB_IiEEEEjNS1_19radix_merge_compareILb0ELb1EbNS0_19identity_decomposerEEEEE10hipError_tT0_T1_T2_jT3_P12ihipStream_tbPNSt15iterator_traitsISK_E10value_typeEPNSQ_ISL_E10value_typeEPSM_NS1_7vsmem_tEENKUlT_SK_SL_SM_E_clIPbSD_PiSF_EESJ_SZ_SK_SL_SM_EUlSZ_E1_NS1_11comp_targetILNS1_3genE0ELNS1_11target_archE4294967295ELNS1_3gpuE0ELNS1_3repE0EEENS1_36merge_oddeven_config_static_selectorELNS0_4arch9wavefront6targetE1EEEvSL_.has_dyn_sized_stack, 0
	.set _ZN7rocprim17ROCPRIM_400000_NS6detail17trampoline_kernelINS0_14default_configENS1_38merge_sort_block_merge_config_selectorIbiEEZZNS1_27merge_sort_block_merge_implIS3_N6thrust23THRUST_200600_302600_NS6detail15normal_iteratorINS8_10device_ptrIbEEEENSA_INSB_IiEEEEjNS1_19radix_merge_compareILb0ELb1EbNS0_19identity_decomposerEEEEE10hipError_tT0_T1_T2_jT3_P12ihipStream_tbPNSt15iterator_traitsISK_E10value_typeEPNSQ_ISL_E10value_typeEPSM_NS1_7vsmem_tEENKUlT_SK_SL_SM_E_clIPbSD_PiSF_EESJ_SZ_SK_SL_SM_EUlSZ_E1_NS1_11comp_targetILNS1_3genE0ELNS1_11target_archE4294967295ELNS1_3gpuE0ELNS1_3repE0EEENS1_36merge_oddeven_config_static_selectorELNS0_4arch9wavefront6targetE1EEEvSL_.has_recursion, 0
	.set _ZN7rocprim17ROCPRIM_400000_NS6detail17trampoline_kernelINS0_14default_configENS1_38merge_sort_block_merge_config_selectorIbiEEZZNS1_27merge_sort_block_merge_implIS3_N6thrust23THRUST_200600_302600_NS6detail15normal_iteratorINS8_10device_ptrIbEEEENSA_INSB_IiEEEEjNS1_19radix_merge_compareILb0ELb1EbNS0_19identity_decomposerEEEEE10hipError_tT0_T1_T2_jT3_P12ihipStream_tbPNSt15iterator_traitsISK_E10value_typeEPNSQ_ISL_E10value_typeEPSM_NS1_7vsmem_tEENKUlT_SK_SL_SM_E_clIPbSD_PiSF_EESJ_SZ_SK_SL_SM_EUlSZ_E1_NS1_11comp_targetILNS1_3genE0ELNS1_11target_archE4294967295ELNS1_3gpuE0ELNS1_3repE0EEENS1_36merge_oddeven_config_static_selectorELNS0_4arch9wavefront6targetE1EEEvSL_.has_indirect_call, 0
	.section	.AMDGPU.csdata,"",@progbits
; Kernel info:
; codeLenInByte = 804
; TotalNumSgprs: 28
; NumVgprs: 11
; NumAgprs: 0
; TotalNumVgprs: 11
; ScratchSize: 0
; MemoryBound: 0
; FloatMode: 240
; IeeeMode: 1
; LDSByteSize: 256 bytes/workgroup (compile time only)
; SGPRBlocks: 3
; VGPRBlocks: 1
; NumSGPRsForWavesPerEU: 28
; NumVGPRsForWavesPerEU: 11
; AccumOffset: 12
; Occupancy: 8
; WaveLimiterHint : 0
; COMPUTE_PGM_RSRC2:SCRATCH_EN: 0
; COMPUTE_PGM_RSRC2:USER_SGPR: 4
; COMPUTE_PGM_RSRC2:TRAP_HANDLER: 0
; COMPUTE_PGM_RSRC2:TGID_X_EN: 1
; COMPUTE_PGM_RSRC2:TGID_Y_EN: 0
; COMPUTE_PGM_RSRC2:TGID_Z_EN: 0
; COMPUTE_PGM_RSRC2:TIDIG_COMP_CNT: 2
; COMPUTE_PGM_RSRC3_GFX90A:ACCUM_OFFSET: 2
; COMPUTE_PGM_RSRC3_GFX90A:TG_SPLIT: 0
	.section	.text._ZN7rocprim17ROCPRIM_400000_NS6detail17trampoline_kernelINS0_14default_configENS1_38merge_sort_block_merge_config_selectorIbiEEZZNS1_27merge_sort_block_merge_implIS3_N6thrust23THRUST_200600_302600_NS6detail15normal_iteratorINS8_10device_ptrIbEEEENSA_INSB_IiEEEEjNS1_19radix_merge_compareILb0ELb1EbNS0_19identity_decomposerEEEEE10hipError_tT0_T1_T2_jT3_P12ihipStream_tbPNSt15iterator_traitsISK_E10value_typeEPNSQ_ISL_E10value_typeEPSM_NS1_7vsmem_tEENKUlT_SK_SL_SM_E_clIPbSD_PiSF_EESJ_SZ_SK_SL_SM_EUlSZ_E1_NS1_11comp_targetILNS1_3genE10ELNS1_11target_archE1201ELNS1_3gpuE5ELNS1_3repE0EEENS1_36merge_oddeven_config_static_selectorELNS0_4arch9wavefront6targetE1EEEvSL_,"axG",@progbits,_ZN7rocprim17ROCPRIM_400000_NS6detail17trampoline_kernelINS0_14default_configENS1_38merge_sort_block_merge_config_selectorIbiEEZZNS1_27merge_sort_block_merge_implIS3_N6thrust23THRUST_200600_302600_NS6detail15normal_iteratorINS8_10device_ptrIbEEEENSA_INSB_IiEEEEjNS1_19radix_merge_compareILb0ELb1EbNS0_19identity_decomposerEEEEE10hipError_tT0_T1_T2_jT3_P12ihipStream_tbPNSt15iterator_traitsISK_E10value_typeEPNSQ_ISL_E10value_typeEPSM_NS1_7vsmem_tEENKUlT_SK_SL_SM_E_clIPbSD_PiSF_EESJ_SZ_SK_SL_SM_EUlSZ_E1_NS1_11comp_targetILNS1_3genE10ELNS1_11target_archE1201ELNS1_3gpuE5ELNS1_3repE0EEENS1_36merge_oddeven_config_static_selectorELNS0_4arch9wavefront6targetE1EEEvSL_,comdat
	.protected	_ZN7rocprim17ROCPRIM_400000_NS6detail17trampoline_kernelINS0_14default_configENS1_38merge_sort_block_merge_config_selectorIbiEEZZNS1_27merge_sort_block_merge_implIS3_N6thrust23THRUST_200600_302600_NS6detail15normal_iteratorINS8_10device_ptrIbEEEENSA_INSB_IiEEEEjNS1_19radix_merge_compareILb0ELb1EbNS0_19identity_decomposerEEEEE10hipError_tT0_T1_T2_jT3_P12ihipStream_tbPNSt15iterator_traitsISK_E10value_typeEPNSQ_ISL_E10value_typeEPSM_NS1_7vsmem_tEENKUlT_SK_SL_SM_E_clIPbSD_PiSF_EESJ_SZ_SK_SL_SM_EUlSZ_E1_NS1_11comp_targetILNS1_3genE10ELNS1_11target_archE1201ELNS1_3gpuE5ELNS1_3repE0EEENS1_36merge_oddeven_config_static_selectorELNS0_4arch9wavefront6targetE1EEEvSL_ ; -- Begin function _ZN7rocprim17ROCPRIM_400000_NS6detail17trampoline_kernelINS0_14default_configENS1_38merge_sort_block_merge_config_selectorIbiEEZZNS1_27merge_sort_block_merge_implIS3_N6thrust23THRUST_200600_302600_NS6detail15normal_iteratorINS8_10device_ptrIbEEEENSA_INSB_IiEEEEjNS1_19radix_merge_compareILb0ELb1EbNS0_19identity_decomposerEEEEE10hipError_tT0_T1_T2_jT3_P12ihipStream_tbPNSt15iterator_traitsISK_E10value_typeEPNSQ_ISL_E10value_typeEPSM_NS1_7vsmem_tEENKUlT_SK_SL_SM_E_clIPbSD_PiSF_EESJ_SZ_SK_SL_SM_EUlSZ_E1_NS1_11comp_targetILNS1_3genE10ELNS1_11target_archE1201ELNS1_3gpuE5ELNS1_3repE0EEENS1_36merge_oddeven_config_static_selectorELNS0_4arch9wavefront6targetE1EEEvSL_
	.globl	_ZN7rocprim17ROCPRIM_400000_NS6detail17trampoline_kernelINS0_14default_configENS1_38merge_sort_block_merge_config_selectorIbiEEZZNS1_27merge_sort_block_merge_implIS3_N6thrust23THRUST_200600_302600_NS6detail15normal_iteratorINS8_10device_ptrIbEEEENSA_INSB_IiEEEEjNS1_19radix_merge_compareILb0ELb1EbNS0_19identity_decomposerEEEEE10hipError_tT0_T1_T2_jT3_P12ihipStream_tbPNSt15iterator_traitsISK_E10value_typeEPNSQ_ISL_E10value_typeEPSM_NS1_7vsmem_tEENKUlT_SK_SL_SM_E_clIPbSD_PiSF_EESJ_SZ_SK_SL_SM_EUlSZ_E1_NS1_11comp_targetILNS1_3genE10ELNS1_11target_archE1201ELNS1_3gpuE5ELNS1_3repE0EEENS1_36merge_oddeven_config_static_selectorELNS0_4arch9wavefront6targetE1EEEvSL_
	.p2align	8
	.type	_ZN7rocprim17ROCPRIM_400000_NS6detail17trampoline_kernelINS0_14default_configENS1_38merge_sort_block_merge_config_selectorIbiEEZZNS1_27merge_sort_block_merge_implIS3_N6thrust23THRUST_200600_302600_NS6detail15normal_iteratorINS8_10device_ptrIbEEEENSA_INSB_IiEEEEjNS1_19radix_merge_compareILb0ELb1EbNS0_19identity_decomposerEEEEE10hipError_tT0_T1_T2_jT3_P12ihipStream_tbPNSt15iterator_traitsISK_E10value_typeEPNSQ_ISL_E10value_typeEPSM_NS1_7vsmem_tEENKUlT_SK_SL_SM_E_clIPbSD_PiSF_EESJ_SZ_SK_SL_SM_EUlSZ_E1_NS1_11comp_targetILNS1_3genE10ELNS1_11target_archE1201ELNS1_3gpuE5ELNS1_3repE0EEENS1_36merge_oddeven_config_static_selectorELNS0_4arch9wavefront6targetE1EEEvSL_,@function
_ZN7rocprim17ROCPRIM_400000_NS6detail17trampoline_kernelINS0_14default_configENS1_38merge_sort_block_merge_config_selectorIbiEEZZNS1_27merge_sort_block_merge_implIS3_N6thrust23THRUST_200600_302600_NS6detail15normal_iteratorINS8_10device_ptrIbEEEENSA_INSB_IiEEEEjNS1_19radix_merge_compareILb0ELb1EbNS0_19identity_decomposerEEEEE10hipError_tT0_T1_T2_jT3_P12ihipStream_tbPNSt15iterator_traitsISK_E10value_typeEPNSQ_ISL_E10value_typeEPSM_NS1_7vsmem_tEENKUlT_SK_SL_SM_E_clIPbSD_PiSF_EESJ_SZ_SK_SL_SM_EUlSZ_E1_NS1_11comp_targetILNS1_3genE10ELNS1_11target_archE1201ELNS1_3gpuE5ELNS1_3repE0EEENS1_36merge_oddeven_config_static_selectorELNS0_4arch9wavefront6targetE1EEEvSL_: ; @_ZN7rocprim17ROCPRIM_400000_NS6detail17trampoline_kernelINS0_14default_configENS1_38merge_sort_block_merge_config_selectorIbiEEZZNS1_27merge_sort_block_merge_implIS3_N6thrust23THRUST_200600_302600_NS6detail15normal_iteratorINS8_10device_ptrIbEEEENSA_INSB_IiEEEEjNS1_19radix_merge_compareILb0ELb1EbNS0_19identity_decomposerEEEEE10hipError_tT0_T1_T2_jT3_P12ihipStream_tbPNSt15iterator_traitsISK_E10value_typeEPNSQ_ISL_E10value_typeEPSM_NS1_7vsmem_tEENKUlT_SK_SL_SM_E_clIPbSD_PiSF_EESJ_SZ_SK_SL_SM_EUlSZ_E1_NS1_11comp_targetILNS1_3genE10ELNS1_11target_archE1201ELNS1_3gpuE5ELNS1_3repE0EEENS1_36merge_oddeven_config_static_selectorELNS0_4arch9wavefront6targetE1EEEvSL_
; %bb.0:
	.section	.rodata,"a",@progbits
	.p2align	6, 0x0
	.amdhsa_kernel _ZN7rocprim17ROCPRIM_400000_NS6detail17trampoline_kernelINS0_14default_configENS1_38merge_sort_block_merge_config_selectorIbiEEZZNS1_27merge_sort_block_merge_implIS3_N6thrust23THRUST_200600_302600_NS6detail15normal_iteratorINS8_10device_ptrIbEEEENSA_INSB_IiEEEEjNS1_19radix_merge_compareILb0ELb1EbNS0_19identity_decomposerEEEEE10hipError_tT0_T1_T2_jT3_P12ihipStream_tbPNSt15iterator_traitsISK_E10value_typeEPNSQ_ISL_E10value_typeEPSM_NS1_7vsmem_tEENKUlT_SK_SL_SM_E_clIPbSD_PiSF_EESJ_SZ_SK_SL_SM_EUlSZ_E1_NS1_11comp_targetILNS1_3genE10ELNS1_11target_archE1201ELNS1_3gpuE5ELNS1_3repE0EEENS1_36merge_oddeven_config_static_selectorELNS0_4arch9wavefront6targetE1EEEvSL_
		.amdhsa_group_segment_fixed_size 0
		.amdhsa_private_segment_fixed_size 0
		.amdhsa_kernarg_size 48
		.amdhsa_user_sgpr_count 2
		.amdhsa_user_sgpr_dispatch_ptr 0
		.amdhsa_user_sgpr_queue_ptr 0
		.amdhsa_user_sgpr_kernarg_segment_ptr 1
		.amdhsa_user_sgpr_dispatch_id 0
		.amdhsa_user_sgpr_kernarg_preload_length 0
		.amdhsa_user_sgpr_kernarg_preload_offset 0
		.amdhsa_user_sgpr_private_segment_size 0
		.amdhsa_uses_dynamic_stack 0
		.amdhsa_enable_private_segment 0
		.amdhsa_system_sgpr_workgroup_id_x 1
		.amdhsa_system_sgpr_workgroup_id_y 0
		.amdhsa_system_sgpr_workgroup_id_z 0
		.amdhsa_system_sgpr_workgroup_info 0
		.amdhsa_system_vgpr_workitem_id 0
		.amdhsa_next_free_vgpr 1
		.amdhsa_next_free_sgpr 0
		.amdhsa_accum_offset 4
		.amdhsa_reserve_vcc 0
		.amdhsa_float_round_mode_32 0
		.amdhsa_float_round_mode_16_64 0
		.amdhsa_float_denorm_mode_32 3
		.amdhsa_float_denorm_mode_16_64 3
		.amdhsa_dx10_clamp 1
		.amdhsa_ieee_mode 1
		.amdhsa_fp16_overflow 0
		.amdhsa_tg_split 0
		.amdhsa_exception_fp_ieee_invalid_op 0
		.amdhsa_exception_fp_denorm_src 0
		.amdhsa_exception_fp_ieee_div_zero 0
		.amdhsa_exception_fp_ieee_overflow 0
		.amdhsa_exception_fp_ieee_underflow 0
		.amdhsa_exception_fp_ieee_inexact 0
		.amdhsa_exception_int_div_zero 0
	.end_amdhsa_kernel
	.section	.text._ZN7rocprim17ROCPRIM_400000_NS6detail17trampoline_kernelINS0_14default_configENS1_38merge_sort_block_merge_config_selectorIbiEEZZNS1_27merge_sort_block_merge_implIS3_N6thrust23THRUST_200600_302600_NS6detail15normal_iteratorINS8_10device_ptrIbEEEENSA_INSB_IiEEEEjNS1_19radix_merge_compareILb0ELb1EbNS0_19identity_decomposerEEEEE10hipError_tT0_T1_T2_jT3_P12ihipStream_tbPNSt15iterator_traitsISK_E10value_typeEPNSQ_ISL_E10value_typeEPSM_NS1_7vsmem_tEENKUlT_SK_SL_SM_E_clIPbSD_PiSF_EESJ_SZ_SK_SL_SM_EUlSZ_E1_NS1_11comp_targetILNS1_3genE10ELNS1_11target_archE1201ELNS1_3gpuE5ELNS1_3repE0EEENS1_36merge_oddeven_config_static_selectorELNS0_4arch9wavefront6targetE1EEEvSL_,"axG",@progbits,_ZN7rocprim17ROCPRIM_400000_NS6detail17trampoline_kernelINS0_14default_configENS1_38merge_sort_block_merge_config_selectorIbiEEZZNS1_27merge_sort_block_merge_implIS3_N6thrust23THRUST_200600_302600_NS6detail15normal_iteratorINS8_10device_ptrIbEEEENSA_INSB_IiEEEEjNS1_19radix_merge_compareILb0ELb1EbNS0_19identity_decomposerEEEEE10hipError_tT0_T1_T2_jT3_P12ihipStream_tbPNSt15iterator_traitsISK_E10value_typeEPNSQ_ISL_E10value_typeEPSM_NS1_7vsmem_tEENKUlT_SK_SL_SM_E_clIPbSD_PiSF_EESJ_SZ_SK_SL_SM_EUlSZ_E1_NS1_11comp_targetILNS1_3genE10ELNS1_11target_archE1201ELNS1_3gpuE5ELNS1_3repE0EEENS1_36merge_oddeven_config_static_selectorELNS0_4arch9wavefront6targetE1EEEvSL_,comdat
.Lfunc_end1983:
	.size	_ZN7rocprim17ROCPRIM_400000_NS6detail17trampoline_kernelINS0_14default_configENS1_38merge_sort_block_merge_config_selectorIbiEEZZNS1_27merge_sort_block_merge_implIS3_N6thrust23THRUST_200600_302600_NS6detail15normal_iteratorINS8_10device_ptrIbEEEENSA_INSB_IiEEEEjNS1_19radix_merge_compareILb0ELb1EbNS0_19identity_decomposerEEEEE10hipError_tT0_T1_T2_jT3_P12ihipStream_tbPNSt15iterator_traitsISK_E10value_typeEPNSQ_ISL_E10value_typeEPSM_NS1_7vsmem_tEENKUlT_SK_SL_SM_E_clIPbSD_PiSF_EESJ_SZ_SK_SL_SM_EUlSZ_E1_NS1_11comp_targetILNS1_3genE10ELNS1_11target_archE1201ELNS1_3gpuE5ELNS1_3repE0EEENS1_36merge_oddeven_config_static_selectorELNS0_4arch9wavefront6targetE1EEEvSL_, .Lfunc_end1983-_ZN7rocprim17ROCPRIM_400000_NS6detail17trampoline_kernelINS0_14default_configENS1_38merge_sort_block_merge_config_selectorIbiEEZZNS1_27merge_sort_block_merge_implIS3_N6thrust23THRUST_200600_302600_NS6detail15normal_iteratorINS8_10device_ptrIbEEEENSA_INSB_IiEEEEjNS1_19radix_merge_compareILb0ELb1EbNS0_19identity_decomposerEEEEE10hipError_tT0_T1_T2_jT3_P12ihipStream_tbPNSt15iterator_traitsISK_E10value_typeEPNSQ_ISL_E10value_typeEPSM_NS1_7vsmem_tEENKUlT_SK_SL_SM_E_clIPbSD_PiSF_EESJ_SZ_SK_SL_SM_EUlSZ_E1_NS1_11comp_targetILNS1_3genE10ELNS1_11target_archE1201ELNS1_3gpuE5ELNS1_3repE0EEENS1_36merge_oddeven_config_static_selectorELNS0_4arch9wavefront6targetE1EEEvSL_
                                        ; -- End function
	.set _ZN7rocprim17ROCPRIM_400000_NS6detail17trampoline_kernelINS0_14default_configENS1_38merge_sort_block_merge_config_selectorIbiEEZZNS1_27merge_sort_block_merge_implIS3_N6thrust23THRUST_200600_302600_NS6detail15normal_iteratorINS8_10device_ptrIbEEEENSA_INSB_IiEEEEjNS1_19radix_merge_compareILb0ELb1EbNS0_19identity_decomposerEEEEE10hipError_tT0_T1_T2_jT3_P12ihipStream_tbPNSt15iterator_traitsISK_E10value_typeEPNSQ_ISL_E10value_typeEPSM_NS1_7vsmem_tEENKUlT_SK_SL_SM_E_clIPbSD_PiSF_EESJ_SZ_SK_SL_SM_EUlSZ_E1_NS1_11comp_targetILNS1_3genE10ELNS1_11target_archE1201ELNS1_3gpuE5ELNS1_3repE0EEENS1_36merge_oddeven_config_static_selectorELNS0_4arch9wavefront6targetE1EEEvSL_.num_vgpr, 0
	.set _ZN7rocprim17ROCPRIM_400000_NS6detail17trampoline_kernelINS0_14default_configENS1_38merge_sort_block_merge_config_selectorIbiEEZZNS1_27merge_sort_block_merge_implIS3_N6thrust23THRUST_200600_302600_NS6detail15normal_iteratorINS8_10device_ptrIbEEEENSA_INSB_IiEEEEjNS1_19radix_merge_compareILb0ELb1EbNS0_19identity_decomposerEEEEE10hipError_tT0_T1_T2_jT3_P12ihipStream_tbPNSt15iterator_traitsISK_E10value_typeEPNSQ_ISL_E10value_typeEPSM_NS1_7vsmem_tEENKUlT_SK_SL_SM_E_clIPbSD_PiSF_EESJ_SZ_SK_SL_SM_EUlSZ_E1_NS1_11comp_targetILNS1_3genE10ELNS1_11target_archE1201ELNS1_3gpuE5ELNS1_3repE0EEENS1_36merge_oddeven_config_static_selectorELNS0_4arch9wavefront6targetE1EEEvSL_.num_agpr, 0
	.set _ZN7rocprim17ROCPRIM_400000_NS6detail17trampoline_kernelINS0_14default_configENS1_38merge_sort_block_merge_config_selectorIbiEEZZNS1_27merge_sort_block_merge_implIS3_N6thrust23THRUST_200600_302600_NS6detail15normal_iteratorINS8_10device_ptrIbEEEENSA_INSB_IiEEEEjNS1_19radix_merge_compareILb0ELb1EbNS0_19identity_decomposerEEEEE10hipError_tT0_T1_T2_jT3_P12ihipStream_tbPNSt15iterator_traitsISK_E10value_typeEPNSQ_ISL_E10value_typeEPSM_NS1_7vsmem_tEENKUlT_SK_SL_SM_E_clIPbSD_PiSF_EESJ_SZ_SK_SL_SM_EUlSZ_E1_NS1_11comp_targetILNS1_3genE10ELNS1_11target_archE1201ELNS1_3gpuE5ELNS1_3repE0EEENS1_36merge_oddeven_config_static_selectorELNS0_4arch9wavefront6targetE1EEEvSL_.numbered_sgpr, 0
	.set _ZN7rocprim17ROCPRIM_400000_NS6detail17trampoline_kernelINS0_14default_configENS1_38merge_sort_block_merge_config_selectorIbiEEZZNS1_27merge_sort_block_merge_implIS3_N6thrust23THRUST_200600_302600_NS6detail15normal_iteratorINS8_10device_ptrIbEEEENSA_INSB_IiEEEEjNS1_19radix_merge_compareILb0ELb1EbNS0_19identity_decomposerEEEEE10hipError_tT0_T1_T2_jT3_P12ihipStream_tbPNSt15iterator_traitsISK_E10value_typeEPNSQ_ISL_E10value_typeEPSM_NS1_7vsmem_tEENKUlT_SK_SL_SM_E_clIPbSD_PiSF_EESJ_SZ_SK_SL_SM_EUlSZ_E1_NS1_11comp_targetILNS1_3genE10ELNS1_11target_archE1201ELNS1_3gpuE5ELNS1_3repE0EEENS1_36merge_oddeven_config_static_selectorELNS0_4arch9wavefront6targetE1EEEvSL_.num_named_barrier, 0
	.set _ZN7rocprim17ROCPRIM_400000_NS6detail17trampoline_kernelINS0_14default_configENS1_38merge_sort_block_merge_config_selectorIbiEEZZNS1_27merge_sort_block_merge_implIS3_N6thrust23THRUST_200600_302600_NS6detail15normal_iteratorINS8_10device_ptrIbEEEENSA_INSB_IiEEEEjNS1_19radix_merge_compareILb0ELb1EbNS0_19identity_decomposerEEEEE10hipError_tT0_T1_T2_jT3_P12ihipStream_tbPNSt15iterator_traitsISK_E10value_typeEPNSQ_ISL_E10value_typeEPSM_NS1_7vsmem_tEENKUlT_SK_SL_SM_E_clIPbSD_PiSF_EESJ_SZ_SK_SL_SM_EUlSZ_E1_NS1_11comp_targetILNS1_3genE10ELNS1_11target_archE1201ELNS1_3gpuE5ELNS1_3repE0EEENS1_36merge_oddeven_config_static_selectorELNS0_4arch9wavefront6targetE1EEEvSL_.private_seg_size, 0
	.set _ZN7rocprim17ROCPRIM_400000_NS6detail17trampoline_kernelINS0_14default_configENS1_38merge_sort_block_merge_config_selectorIbiEEZZNS1_27merge_sort_block_merge_implIS3_N6thrust23THRUST_200600_302600_NS6detail15normal_iteratorINS8_10device_ptrIbEEEENSA_INSB_IiEEEEjNS1_19radix_merge_compareILb0ELb1EbNS0_19identity_decomposerEEEEE10hipError_tT0_T1_T2_jT3_P12ihipStream_tbPNSt15iterator_traitsISK_E10value_typeEPNSQ_ISL_E10value_typeEPSM_NS1_7vsmem_tEENKUlT_SK_SL_SM_E_clIPbSD_PiSF_EESJ_SZ_SK_SL_SM_EUlSZ_E1_NS1_11comp_targetILNS1_3genE10ELNS1_11target_archE1201ELNS1_3gpuE5ELNS1_3repE0EEENS1_36merge_oddeven_config_static_selectorELNS0_4arch9wavefront6targetE1EEEvSL_.uses_vcc, 0
	.set _ZN7rocprim17ROCPRIM_400000_NS6detail17trampoline_kernelINS0_14default_configENS1_38merge_sort_block_merge_config_selectorIbiEEZZNS1_27merge_sort_block_merge_implIS3_N6thrust23THRUST_200600_302600_NS6detail15normal_iteratorINS8_10device_ptrIbEEEENSA_INSB_IiEEEEjNS1_19radix_merge_compareILb0ELb1EbNS0_19identity_decomposerEEEEE10hipError_tT0_T1_T2_jT3_P12ihipStream_tbPNSt15iterator_traitsISK_E10value_typeEPNSQ_ISL_E10value_typeEPSM_NS1_7vsmem_tEENKUlT_SK_SL_SM_E_clIPbSD_PiSF_EESJ_SZ_SK_SL_SM_EUlSZ_E1_NS1_11comp_targetILNS1_3genE10ELNS1_11target_archE1201ELNS1_3gpuE5ELNS1_3repE0EEENS1_36merge_oddeven_config_static_selectorELNS0_4arch9wavefront6targetE1EEEvSL_.uses_flat_scratch, 0
	.set _ZN7rocprim17ROCPRIM_400000_NS6detail17trampoline_kernelINS0_14default_configENS1_38merge_sort_block_merge_config_selectorIbiEEZZNS1_27merge_sort_block_merge_implIS3_N6thrust23THRUST_200600_302600_NS6detail15normal_iteratorINS8_10device_ptrIbEEEENSA_INSB_IiEEEEjNS1_19radix_merge_compareILb0ELb1EbNS0_19identity_decomposerEEEEE10hipError_tT0_T1_T2_jT3_P12ihipStream_tbPNSt15iterator_traitsISK_E10value_typeEPNSQ_ISL_E10value_typeEPSM_NS1_7vsmem_tEENKUlT_SK_SL_SM_E_clIPbSD_PiSF_EESJ_SZ_SK_SL_SM_EUlSZ_E1_NS1_11comp_targetILNS1_3genE10ELNS1_11target_archE1201ELNS1_3gpuE5ELNS1_3repE0EEENS1_36merge_oddeven_config_static_selectorELNS0_4arch9wavefront6targetE1EEEvSL_.has_dyn_sized_stack, 0
	.set _ZN7rocprim17ROCPRIM_400000_NS6detail17trampoline_kernelINS0_14default_configENS1_38merge_sort_block_merge_config_selectorIbiEEZZNS1_27merge_sort_block_merge_implIS3_N6thrust23THRUST_200600_302600_NS6detail15normal_iteratorINS8_10device_ptrIbEEEENSA_INSB_IiEEEEjNS1_19radix_merge_compareILb0ELb1EbNS0_19identity_decomposerEEEEE10hipError_tT0_T1_T2_jT3_P12ihipStream_tbPNSt15iterator_traitsISK_E10value_typeEPNSQ_ISL_E10value_typeEPSM_NS1_7vsmem_tEENKUlT_SK_SL_SM_E_clIPbSD_PiSF_EESJ_SZ_SK_SL_SM_EUlSZ_E1_NS1_11comp_targetILNS1_3genE10ELNS1_11target_archE1201ELNS1_3gpuE5ELNS1_3repE0EEENS1_36merge_oddeven_config_static_selectorELNS0_4arch9wavefront6targetE1EEEvSL_.has_recursion, 0
	.set _ZN7rocprim17ROCPRIM_400000_NS6detail17trampoline_kernelINS0_14default_configENS1_38merge_sort_block_merge_config_selectorIbiEEZZNS1_27merge_sort_block_merge_implIS3_N6thrust23THRUST_200600_302600_NS6detail15normal_iteratorINS8_10device_ptrIbEEEENSA_INSB_IiEEEEjNS1_19radix_merge_compareILb0ELb1EbNS0_19identity_decomposerEEEEE10hipError_tT0_T1_T2_jT3_P12ihipStream_tbPNSt15iterator_traitsISK_E10value_typeEPNSQ_ISL_E10value_typeEPSM_NS1_7vsmem_tEENKUlT_SK_SL_SM_E_clIPbSD_PiSF_EESJ_SZ_SK_SL_SM_EUlSZ_E1_NS1_11comp_targetILNS1_3genE10ELNS1_11target_archE1201ELNS1_3gpuE5ELNS1_3repE0EEENS1_36merge_oddeven_config_static_selectorELNS0_4arch9wavefront6targetE1EEEvSL_.has_indirect_call, 0
	.section	.AMDGPU.csdata,"",@progbits
; Kernel info:
; codeLenInByte = 0
; TotalNumSgprs: 6
; NumVgprs: 0
; NumAgprs: 0
; TotalNumVgprs: 0
; ScratchSize: 0
; MemoryBound: 0
; FloatMode: 240
; IeeeMode: 1
; LDSByteSize: 0 bytes/workgroup (compile time only)
; SGPRBlocks: 0
; VGPRBlocks: 0
; NumSGPRsForWavesPerEU: 6
; NumVGPRsForWavesPerEU: 1
; AccumOffset: 4
; Occupancy: 8
; WaveLimiterHint : 0
; COMPUTE_PGM_RSRC2:SCRATCH_EN: 0
; COMPUTE_PGM_RSRC2:USER_SGPR: 2
; COMPUTE_PGM_RSRC2:TRAP_HANDLER: 0
; COMPUTE_PGM_RSRC2:TGID_X_EN: 1
; COMPUTE_PGM_RSRC2:TGID_Y_EN: 0
; COMPUTE_PGM_RSRC2:TGID_Z_EN: 0
; COMPUTE_PGM_RSRC2:TIDIG_COMP_CNT: 0
; COMPUTE_PGM_RSRC3_GFX90A:ACCUM_OFFSET: 0
; COMPUTE_PGM_RSRC3_GFX90A:TG_SPLIT: 0
	.section	.text._ZN7rocprim17ROCPRIM_400000_NS6detail17trampoline_kernelINS0_14default_configENS1_38merge_sort_block_merge_config_selectorIbiEEZZNS1_27merge_sort_block_merge_implIS3_N6thrust23THRUST_200600_302600_NS6detail15normal_iteratorINS8_10device_ptrIbEEEENSA_INSB_IiEEEEjNS1_19radix_merge_compareILb0ELb1EbNS0_19identity_decomposerEEEEE10hipError_tT0_T1_T2_jT3_P12ihipStream_tbPNSt15iterator_traitsISK_E10value_typeEPNSQ_ISL_E10value_typeEPSM_NS1_7vsmem_tEENKUlT_SK_SL_SM_E_clIPbSD_PiSF_EESJ_SZ_SK_SL_SM_EUlSZ_E1_NS1_11comp_targetILNS1_3genE5ELNS1_11target_archE942ELNS1_3gpuE9ELNS1_3repE0EEENS1_36merge_oddeven_config_static_selectorELNS0_4arch9wavefront6targetE1EEEvSL_,"axG",@progbits,_ZN7rocprim17ROCPRIM_400000_NS6detail17trampoline_kernelINS0_14default_configENS1_38merge_sort_block_merge_config_selectorIbiEEZZNS1_27merge_sort_block_merge_implIS3_N6thrust23THRUST_200600_302600_NS6detail15normal_iteratorINS8_10device_ptrIbEEEENSA_INSB_IiEEEEjNS1_19radix_merge_compareILb0ELb1EbNS0_19identity_decomposerEEEEE10hipError_tT0_T1_T2_jT3_P12ihipStream_tbPNSt15iterator_traitsISK_E10value_typeEPNSQ_ISL_E10value_typeEPSM_NS1_7vsmem_tEENKUlT_SK_SL_SM_E_clIPbSD_PiSF_EESJ_SZ_SK_SL_SM_EUlSZ_E1_NS1_11comp_targetILNS1_3genE5ELNS1_11target_archE942ELNS1_3gpuE9ELNS1_3repE0EEENS1_36merge_oddeven_config_static_selectorELNS0_4arch9wavefront6targetE1EEEvSL_,comdat
	.protected	_ZN7rocprim17ROCPRIM_400000_NS6detail17trampoline_kernelINS0_14default_configENS1_38merge_sort_block_merge_config_selectorIbiEEZZNS1_27merge_sort_block_merge_implIS3_N6thrust23THRUST_200600_302600_NS6detail15normal_iteratorINS8_10device_ptrIbEEEENSA_INSB_IiEEEEjNS1_19radix_merge_compareILb0ELb1EbNS0_19identity_decomposerEEEEE10hipError_tT0_T1_T2_jT3_P12ihipStream_tbPNSt15iterator_traitsISK_E10value_typeEPNSQ_ISL_E10value_typeEPSM_NS1_7vsmem_tEENKUlT_SK_SL_SM_E_clIPbSD_PiSF_EESJ_SZ_SK_SL_SM_EUlSZ_E1_NS1_11comp_targetILNS1_3genE5ELNS1_11target_archE942ELNS1_3gpuE9ELNS1_3repE0EEENS1_36merge_oddeven_config_static_selectorELNS0_4arch9wavefront6targetE1EEEvSL_ ; -- Begin function _ZN7rocprim17ROCPRIM_400000_NS6detail17trampoline_kernelINS0_14default_configENS1_38merge_sort_block_merge_config_selectorIbiEEZZNS1_27merge_sort_block_merge_implIS3_N6thrust23THRUST_200600_302600_NS6detail15normal_iteratorINS8_10device_ptrIbEEEENSA_INSB_IiEEEEjNS1_19radix_merge_compareILb0ELb1EbNS0_19identity_decomposerEEEEE10hipError_tT0_T1_T2_jT3_P12ihipStream_tbPNSt15iterator_traitsISK_E10value_typeEPNSQ_ISL_E10value_typeEPSM_NS1_7vsmem_tEENKUlT_SK_SL_SM_E_clIPbSD_PiSF_EESJ_SZ_SK_SL_SM_EUlSZ_E1_NS1_11comp_targetILNS1_3genE5ELNS1_11target_archE942ELNS1_3gpuE9ELNS1_3repE0EEENS1_36merge_oddeven_config_static_selectorELNS0_4arch9wavefront6targetE1EEEvSL_
	.globl	_ZN7rocprim17ROCPRIM_400000_NS6detail17trampoline_kernelINS0_14default_configENS1_38merge_sort_block_merge_config_selectorIbiEEZZNS1_27merge_sort_block_merge_implIS3_N6thrust23THRUST_200600_302600_NS6detail15normal_iteratorINS8_10device_ptrIbEEEENSA_INSB_IiEEEEjNS1_19radix_merge_compareILb0ELb1EbNS0_19identity_decomposerEEEEE10hipError_tT0_T1_T2_jT3_P12ihipStream_tbPNSt15iterator_traitsISK_E10value_typeEPNSQ_ISL_E10value_typeEPSM_NS1_7vsmem_tEENKUlT_SK_SL_SM_E_clIPbSD_PiSF_EESJ_SZ_SK_SL_SM_EUlSZ_E1_NS1_11comp_targetILNS1_3genE5ELNS1_11target_archE942ELNS1_3gpuE9ELNS1_3repE0EEENS1_36merge_oddeven_config_static_selectorELNS0_4arch9wavefront6targetE1EEEvSL_
	.p2align	8
	.type	_ZN7rocprim17ROCPRIM_400000_NS6detail17trampoline_kernelINS0_14default_configENS1_38merge_sort_block_merge_config_selectorIbiEEZZNS1_27merge_sort_block_merge_implIS3_N6thrust23THRUST_200600_302600_NS6detail15normal_iteratorINS8_10device_ptrIbEEEENSA_INSB_IiEEEEjNS1_19radix_merge_compareILb0ELb1EbNS0_19identity_decomposerEEEEE10hipError_tT0_T1_T2_jT3_P12ihipStream_tbPNSt15iterator_traitsISK_E10value_typeEPNSQ_ISL_E10value_typeEPSM_NS1_7vsmem_tEENKUlT_SK_SL_SM_E_clIPbSD_PiSF_EESJ_SZ_SK_SL_SM_EUlSZ_E1_NS1_11comp_targetILNS1_3genE5ELNS1_11target_archE942ELNS1_3gpuE9ELNS1_3repE0EEENS1_36merge_oddeven_config_static_selectorELNS0_4arch9wavefront6targetE1EEEvSL_,@function
_ZN7rocprim17ROCPRIM_400000_NS6detail17trampoline_kernelINS0_14default_configENS1_38merge_sort_block_merge_config_selectorIbiEEZZNS1_27merge_sort_block_merge_implIS3_N6thrust23THRUST_200600_302600_NS6detail15normal_iteratorINS8_10device_ptrIbEEEENSA_INSB_IiEEEEjNS1_19radix_merge_compareILb0ELb1EbNS0_19identity_decomposerEEEEE10hipError_tT0_T1_T2_jT3_P12ihipStream_tbPNSt15iterator_traitsISK_E10value_typeEPNSQ_ISL_E10value_typeEPSM_NS1_7vsmem_tEENKUlT_SK_SL_SM_E_clIPbSD_PiSF_EESJ_SZ_SK_SL_SM_EUlSZ_E1_NS1_11comp_targetILNS1_3genE5ELNS1_11target_archE942ELNS1_3gpuE9ELNS1_3repE0EEENS1_36merge_oddeven_config_static_selectorELNS0_4arch9wavefront6targetE1EEEvSL_: ; @_ZN7rocprim17ROCPRIM_400000_NS6detail17trampoline_kernelINS0_14default_configENS1_38merge_sort_block_merge_config_selectorIbiEEZZNS1_27merge_sort_block_merge_implIS3_N6thrust23THRUST_200600_302600_NS6detail15normal_iteratorINS8_10device_ptrIbEEEENSA_INSB_IiEEEEjNS1_19radix_merge_compareILb0ELb1EbNS0_19identity_decomposerEEEEE10hipError_tT0_T1_T2_jT3_P12ihipStream_tbPNSt15iterator_traitsISK_E10value_typeEPNSQ_ISL_E10value_typeEPSM_NS1_7vsmem_tEENKUlT_SK_SL_SM_E_clIPbSD_PiSF_EESJ_SZ_SK_SL_SM_EUlSZ_E1_NS1_11comp_targetILNS1_3genE5ELNS1_11target_archE942ELNS1_3gpuE9ELNS1_3repE0EEENS1_36merge_oddeven_config_static_selectorELNS0_4arch9wavefront6targetE1EEEvSL_
; %bb.0:
	.section	.rodata,"a",@progbits
	.p2align	6, 0x0
	.amdhsa_kernel _ZN7rocprim17ROCPRIM_400000_NS6detail17trampoline_kernelINS0_14default_configENS1_38merge_sort_block_merge_config_selectorIbiEEZZNS1_27merge_sort_block_merge_implIS3_N6thrust23THRUST_200600_302600_NS6detail15normal_iteratorINS8_10device_ptrIbEEEENSA_INSB_IiEEEEjNS1_19radix_merge_compareILb0ELb1EbNS0_19identity_decomposerEEEEE10hipError_tT0_T1_T2_jT3_P12ihipStream_tbPNSt15iterator_traitsISK_E10value_typeEPNSQ_ISL_E10value_typeEPSM_NS1_7vsmem_tEENKUlT_SK_SL_SM_E_clIPbSD_PiSF_EESJ_SZ_SK_SL_SM_EUlSZ_E1_NS1_11comp_targetILNS1_3genE5ELNS1_11target_archE942ELNS1_3gpuE9ELNS1_3repE0EEENS1_36merge_oddeven_config_static_selectorELNS0_4arch9wavefront6targetE1EEEvSL_
		.amdhsa_group_segment_fixed_size 0
		.amdhsa_private_segment_fixed_size 0
		.amdhsa_kernarg_size 48
		.amdhsa_user_sgpr_count 2
		.amdhsa_user_sgpr_dispatch_ptr 0
		.amdhsa_user_sgpr_queue_ptr 0
		.amdhsa_user_sgpr_kernarg_segment_ptr 1
		.amdhsa_user_sgpr_dispatch_id 0
		.amdhsa_user_sgpr_kernarg_preload_length 0
		.amdhsa_user_sgpr_kernarg_preload_offset 0
		.amdhsa_user_sgpr_private_segment_size 0
		.amdhsa_uses_dynamic_stack 0
		.amdhsa_enable_private_segment 0
		.amdhsa_system_sgpr_workgroup_id_x 1
		.amdhsa_system_sgpr_workgroup_id_y 0
		.amdhsa_system_sgpr_workgroup_id_z 0
		.amdhsa_system_sgpr_workgroup_info 0
		.amdhsa_system_vgpr_workitem_id 0
		.amdhsa_next_free_vgpr 1
		.amdhsa_next_free_sgpr 0
		.amdhsa_accum_offset 4
		.amdhsa_reserve_vcc 0
		.amdhsa_float_round_mode_32 0
		.amdhsa_float_round_mode_16_64 0
		.amdhsa_float_denorm_mode_32 3
		.amdhsa_float_denorm_mode_16_64 3
		.amdhsa_dx10_clamp 1
		.amdhsa_ieee_mode 1
		.amdhsa_fp16_overflow 0
		.amdhsa_tg_split 0
		.amdhsa_exception_fp_ieee_invalid_op 0
		.amdhsa_exception_fp_denorm_src 0
		.amdhsa_exception_fp_ieee_div_zero 0
		.amdhsa_exception_fp_ieee_overflow 0
		.amdhsa_exception_fp_ieee_underflow 0
		.amdhsa_exception_fp_ieee_inexact 0
		.amdhsa_exception_int_div_zero 0
	.end_amdhsa_kernel
	.section	.text._ZN7rocprim17ROCPRIM_400000_NS6detail17trampoline_kernelINS0_14default_configENS1_38merge_sort_block_merge_config_selectorIbiEEZZNS1_27merge_sort_block_merge_implIS3_N6thrust23THRUST_200600_302600_NS6detail15normal_iteratorINS8_10device_ptrIbEEEENSA_INSB_IiEEEEjNS1_19radix_merge_compareILb0ELb1EbNS0_19identity_decomposerEEEEE10hipError_tT0_T1_T2_jT3_P12ihipStream_tbPNSt15iterator_traitsISK_E10value_typeEPNSQ_ISL_E10value_typeEPSM_NS1_7vsmem_tEENKUlT_SK_SL_SM_E_clIPbSD_PiSF_EESJ_SZ_SK_SL_SM_EUlSZ_E1_NS1_11comp_targetILNS1_3genE5ELNS1_11target_archE942ELNS1_3gpuE9ELNS1_3repE0EEENS1_36merge_oddeven_config_static_selectorELNS0_4arch9wavefront6targetE1EEEvSL_,"axG",@progbits,_ZN7rocprim17ROCPRIM_400000_NS6detail17trampoline_kernelINS0_14default_configENS1_38merge_sort_block_merge_config_selectorIbiEEZZNS1_27merge_sort_block_merge_implIS3_N6thrust23THRUST_200600_302600_NS6detail15normal_iteratorINS8_10device_ptrIbEEEENSA_INSB_IiEEEEjNS1_19radix_merge_compareILb0ELb1EbNS0_19identity_decomposerEEEEE10hipError_tT0_T1_T2_jT3_P12ihipStream_tbPNSt15iterator_traitsISK_E10value_typeEPNSQ_ISL_E10value_typeEPSM_NS1_7vsmem_tEENKUlT_SK_SL_SM_E_clIPbSD_PiSF_EESJ_SZ_SK_SL_SM_EUlSZ_E1_NS1_11comp_targetILNS1_3genE5ELNS1_11target_archE942ELNS1_3gpuE9ELNS1_3repE0EEENS1_36merge_oddeven_config_static_selectorELNS0_4arch9wavefront6targetE1EEEvSL_,comdat
.Lfunc_end1984:
	.size	_ZN7rocprim17ROCPRIM_400000_NS6detail17trampoline_kernelINS0_14default_configENS1_38merge_sort_block_merge_config_selectorIbiEEZZNS1_27merge_sort_block_merge_implIS3_N6thrust23THRUST_200600_302600_NS6detail15normal_iteratorINS8_10device_ptrIbEEEENSA_INSB_IiEEEEjNS1_19radix_merge_compareILb0ELb1EbNS0_19identity_decomposerEEEEE10hipError_tT0_T1_T2_jT3_P12ihipStream_tbPNSt15iterator_traitsISK_E10value_typeEPNSQ_ISL_E10value_typeEPSM_NS1_7vsmem_tEENKUlT_SK_SL_SM_E_clIPbSD_PiSF_EESJ_SZ_SK_SL_SM_EUlSZ_E1_NS1_11comp_targetILNS1_3genE5ELNS1_11target_archE942ELNS1_3gpuE9ELNS1_3repE0EEENS1_36merge_oddeven_config_static_selectorELNS0_4arch9wavefront6targetE1EEEvSL_, .Lfunc_end1984-_ZN7rocprim17ROCPRIM_400000_NS6detail17trampoline_kernelINS0_14default_configENS1_38merge_sort_block_merge_config_selectorIbiEEZZNS1_27merge_sort_block_merge_implIS3_N6thrust23THRUST_200600_302600_NS6detail15normal_iteratorINS8_10device_ptrIbEEEENSA_INSB_IiEEEEjNS1_19radix_merge_compareILb0ELb1EbNS0_19identity_decomposerEEEEE10hipError_tT0_T1_T2_jT3_P12ihipStream_tbPNSt15iterator_traitsISK_E10value_typeEPNSQ_ISL_E10value_typeEPSM_NS1_7vsmem_tEENKUlT_SK_SL_SM_E_clIPbSD_PiSF_EESJ_SZ_SK_SL_SM_EUlSZ_E1_NS1_11comp_targetILNS1_3genE5ELNS1_11target_archE942ELNS1_3gpuE9ELNS1_3repE0EEENS1_36merge_oddeven_config_static_selectorELNS0_4arch9wavefront6targetE1EEEvSL_
                                        ; -- End function
	.set _ZN7rocprim17ROCPRIM_400000_NS6detail17trampoline_kernelINS0_14default_configENS1_38merge_sort_block_merge_config_selectorIbiEEZZNS1_27merge_sort_block_merge_implIS3_N6thrust23THRUST_200600_302600_NS6detail15normal_iteratorINS8_10device_ptrIbEEEENSA_INSB_IiEEEEjNS1_19radix_merge_compareILb0ELb1EbNS0_19identity_decomposerEEEEE10hipError_tT0_T1_T2_jT3_P12ihipStream_tbPNSt15iterator_traitsISK_E10value_typeEPNSQ_ISL_E10value_typeEPSM_NS1_7vsmem_tEENKUlT_SK_SL_SM_E_clIPbSD_PiSF_EESJ_SZ_SK_SL_SM_EUlSZ_E1_NS1_11comp_targetILNS1_3genE5ELNS1_11target_archE942ELNS1_3gpuE9ELNS1_3repE0EEENS1_36merge_oddeven_config_static_selectorELNS0_4arch9wavefront6targetE1EEEvSL_.num_vgpr, 0
	.set _ZN7rocprim17ROCPRIM_400000_NS6detail17trampoline_kernelINS0_14default_configENS1_38merge_sort_block_merge_config_selectorIbiEEZZNS1_27merge_sort_block_merge_implIS3_N6thrust23THRUST_200600_302600_NS6detail15normal_iteratorINS8_10device_ptrIbEEEENSA_INSB_IiEEEEjNS1_19radix_merge_compareILb0ELb1EbNS0_19identity_decomposerEEEEE10hipError_tT0_T1_T2_jT3_P12ihipStream_tbPNSt15iterator_traitsISK_E10value_typeEPNSQ_ISL_E10value_typeEPSM_NS1_7vsmem_tEENKUlT_SK_SL_SM_E_clIPbSD_PiSF_EESJ_SZ_SK_SL_SM_EUlSZ_E1_NS1_11comp_targetILNS1_3genE5ELNS1_11target_archE942ELNS1_3gpuE9ELNS1_3repE0EEENS1_36merge_oddeven_config_static_selectorELNS0_4arch9wavefront6targetE1EEEvSL_.num_agpr, 0
	.set _ZN7rocprim17ROCPRIM_400000_NS6detail17trampoline_kernelINS0_14default_configENS1_38merge_sort_block_merge_config_selectorIbiEEZZNS1_27merge_sort_block_merge_implIS3_N6thrust23THRUST_200600_302600_NS6detail15normal_iteratorINS8_10device_ptrIbEEEENSA_INSB_IiEEEEjNS1_19radix_merge_compareILb0ELb1EbNS0_19identity_decomposerEEEEE10hipError_tT0_T1_T2_jT3_P12ihipStream_tbPNSt15iterator_traitsISK_E10value_typeEPNSQ_ISL_E10value_typeEPSM_NS1_7vsmem_tEENKUlT_SK_SL_SM_E_clIPbSD_PiSF_EESJ_SZ_SK_SL_SM_EUlSZ_E1_NS1_11comp_targetILNS1_3genE5ELNS1_11target_archE942ELNS1_3gpuE9ELNS1_3repE0EEENS1_36merge_oddeven_config_static_selectorELNS0_4arch9wavefront6targetE1EEEvSL_.numbered_sgpr, 0
	.set _ZN7rocprim17ROCPRIM_400000_NS6detail17trampoline_kernelINS0_14default_configENS1_38merge_sort_block_merge_config_selectorIbiEEZZNS1_27merge_sort_block_merge_implIS3_N6thrust23THRUST_200600_302600_NS6detail15normal_iteratorINS8_10device_ptrIbEEEENSA_INSB_IiEEEEjNS1_19radix_merge_compareILb0ELb1EbNS0_19identity_decomposerEEEEE10hipError_tT0_T1_T2_jT3_P12ihipStream_tbPNSt15iterator_traitsISK_E10value_typeEPNSQ_ISL_E10value_typeEPSM_NS1_7vsmem_tEENKUlT_SK_SL_SM_E_clIPbSD_PiSF_EESJ_SZ_SK_SL_SM_EUlSZ_E1_NS1_11comp_targetILNS1_3genE5ELNS1_11target_archE942ELNS1_3gpuE9ELNS1_3repE0EEENS1_36merge_oddeven_config_static_selectorELNS0_4arch9wavefront6targetE1EEEvSL_.num_named_barrier, 0
	.set _ZN7rocprim17ROCPRIM_400000_NS6detail17trampoline_kernelINS0_14default_configENS1_38merge_sort_block_merge_config_selectorIbiEEZZNS1_27merge_sort_block_merge_implIS3_N6thrust23THRUST_200600_302600_NS6detail15normal_iteratorINS8_10device_ptrIbEEEENSA_INSB_IiEEEEjNS1_19radix_merge_compareILb0ELb1EbNS0_19identity_decomposerEEEEE10hipError_tT0_T1_T2_jT3_P12ihipStream_tbPNSt15iterator_traitsISK_E10value_typeEPNSQ_ISL_E10value_typeEPSM_NS1_7vsmem_tEENKUlT_SK_SL_SM_E_clIPbSD_PiSF_EESJ_SZ_SK_SL_SM_EUlSZ_E1_NS1_11comp_targetILNS1_3genE5ELNS1_11target_archE942ELNS1_3gpuE9ELNS1_3repE0EEENS1_36merge_oddeven_config_static_selectorELNS0_4arch9wavefront6targetE1EEEvSL_.private_seg_size, 0
	.set _ZN7rocprim17ROCPRIM_400000_NS6detail17trampoline_kernelINS0_14default_configENS1_38merge_sort_block_merge_config_selectorIbiEEZZNS1_27merge_sort_block_merge_implIS3_N6thrust23THRUST_200600_302600_NS6detail15normal_iteratorINS8_10device_ptrIbEEEENSA_INSB_IiEEEEjNS1_19radix_merge_compareILb0ELb1EbNS0_19identity_decomposerEEEEE10hipError_tT0_T1_T2_jT3_P12ihipStream_tbPNSt15iterator_traitsISK_E10value_typeEPNSQ_ISL_E10value_typeEPSM_NS1_7vsmem_tEENKUlT_SK_SL_SM_E_clIPbSD_PiSF_EESJ_SZ_SK_SL_SM_EUlSZ_E1_NS1_11comp_targetILNS1_3genE5ELNS1_11target_archE942ELNS1_3gpuE9ELNS1_3repE0EEENS1_36merge_oddeven_config_static_selectorELNS0_4arch9wavefront6targetE1EEEvSL_.uses_vcc, 0
	.set _ZN7rocprim17ROCPRIM_400000_NS6detail17trampoline_kernelINS0_14default_configENS1_38merge_sort_block_merge_config_selectorIbiEEZZNS1_27merge_sort_block_merge_implIS3_N6thrust23THRUST_200600_302600_NS6detail15normal_iteratorINS8_10device_ptrIbEEEENSA_INSB_IiEEEEjNS1_19radix_merge_compareILb0ELb1EbNS0_19identity_decomposerEEEEE10hipError_tT0_T1_T2_jT3_P12ihipStream_tbPNSt15iterator_traitsISK_E10value_typeEPNSQ_ISL_E10value_typeEPSM_NS1_7vsmem_tEENKUlT_SK_SL_SM_E_clIPbSD_PiSF_EESJ_SZ_SK_SL_SM_EUlSZ_E1_NS1_11comp_targetILNS1_3genE5ELNS1_11target_archE942ELNS1_3gpuE9ELNS1_3repE0EEENS1_36merge_oddeven_config_static_selectorELNS0_4arch9wavefront6targetE1EEEvSL_.uses_flat_scratch, 0
	.set _ZN7rocprim17ROCPRIM_400000_NS6detail17trampoline_kernelINS0_14default_configENS1_38merge_sort_block_merge_config_selectorIbiEEZZNS1_27merge_sort_block_merge_implIS3_N6thrust23THRUST_200600_302600_NS6detail15normal_iteratorINS8_10device_ptrIbEEEENSA_INSB_IiEEEEjNS1_19radix_merge_compareILb0ELb1EbNS0_19identity_decomposerEEEEE10hipError_tT0_T1_T2_jT3_P12ihipStream_tbPNSt15iterator_traitsISK_E10value_typeEPNSQ_ISL_E10value_typeEPSM_NS1_7vsmem_tEENKUlT_SK_SL_SM_E_clIPbSD_PiSF_EESJ_SZ_SK_SL_SM_EUlSZ_E1_NS1_11comp_targetILNS1_3genE5ELNS1_11target_archE942ELNS1_3gpuE9ELNS1_3repE0EEENS1_36merge_oddeven_config_static_selectorELNS0_4arch9wavefront6targetE1EEEvSL_.has_dyn_sized_stack, 0
	.set _ZN7rocprim17ROCPRIM_400000_NS6detail17trampoline_kernelINS0_14default_configENS1_38merge_sort_block_merge_config_selectorIbiEEZZNS1_27merge_sort_block_merge_implIS3_N6thrust23THRUST_200600_302600_NS6detail15normal_iteratorINS8_10device_ptrIbEEEENSA_INSB_IiEEEEjNS1_19radix_merge_compareILb0ELb1EbNS0_19identity_decomposerEEEEE10hipError_tT0_T1_T2_jT3_P12ihipStream_tbPNSt15iterator_traitsISK_E10value_typeEPNSQ_ISL_E10value_typeEPSM_NS1_7vsmem_tEENKUlT_SK_SL_SM_E_clIPbSD_PiSF_EESJ_SZ_SK_SL_SM_EUlSZ_E1_NS1_11comp_targetILNS1_3genE5ELNS1_11target_archE942ELNS1_3gpuE9ELNS1_3repE0EEENS1_36merge_oddeven_config_static_selectorELNS0_4arch9wavefront6targetE1EEEvSL_.has_recursion, 0
	.set _ZN7rocprim17ROCPRIM_400000_NS6detail17trampoline_kernelINS0_14default_configENS1_38merge_sort_block_merge_config_selectorIbiEEZZNS1_27merge_sort_block_merge_implIS3_N6thrust23THRUST_200600_302600_NS6detail15normal_iteratorINS8_10device_ptrIbEEEENSA_INSB_IiEEEEjNS1_19radix_merge_compareILb0ELb1EbNS0_19identity_decomposerEEEEE10hipError_tT0_T1_T2_jT3_P12ihipStream_tbPNSt15iterator_traitsISK_E10value_typeEPNSQ_ISL_E10value_typeEPSM_NS1_7vsmem_tEENKUlT_SK_SL_SM_E_clIPbSD_PiSF_EESJ_SZ_SK_SL_SM_EUlSZ_E1_NS1_11comp_targetILNS1_3genE5ELNS1_11target_archE942ELNS1_3gpuE9ELNS1_3repE0EEENS1_36merge_oddeven_config_static_selectorELNS0_4arch9wavefront6targetE1EEEvSL_.has_indirect_call, 0
	.section	.AMDGPU.csdata,"",@progbits
; Kernel info:
; codeLenInByte = 0
; TotalNumSgprs: 6
; NumVgprs: 0
; NumAgprs: 0
; TotalNumVgprs: 0
; ScratchSize: 0
; MemoryBound: 0
; FloatMode: 240
; IeeeMode: 1
; LDSByteSize: 0 bytes/workgroup (compile time only)
; SGPRBlocks: 0
; VGPRBlocks: 0
; NumSGPRsForWavesPerEU: 6
; NumVGPRsForWavesPerEU: 1
; AccumOffset: 4
; Occupancy: 8
; WaveLimiterHint : 0
; COMPUTE_PGM_RSRC2:SCRATCH_EN: 0
; COMPUTE_PGM_RSRC2:USER_SGPR: 2
; COMPUTE_PGM_RSRC2:TRAP_HANDLER: 0
; COMPUTE_PGM_RSRC2:TGID_X_EN: 1
; COMPUTE_PGM_RSRC2:TGID_Y_EN: 0
; COMPUTE_PGM_RSRC2:TGID_Z_EN: 0
; COMPUTE_PGM_RSRC2:TIDIG_COMP_CNT: 0
; COMPUTE_PGM_RSRC3_GFX90A:ACCUM_OFFSET: 0
; COMPUTE_PGM_RSRC3_GFX90A:TG_SPLIT: 0
	.section	.text._ZN7rocprim17ROCPRIM_400000_NS6detail17trampoline_kernelINS0_14default_configENS1_38merge_sort_block_merge_config_selectorIbiEEZZNS1_27merge_sort_block_merge_implIS3_N6thrust23THRUST_200600_302600_NS6detail15normal_iteratorINS8_10device_ptrIbEEEENSA_INSB_IiEEEEjNS1_19radix_merge_compareILb0ELb1EbNS0_19identity_decomposerEEEEE10hipError_tT0_T1_T2_jT3_P12ihipStream_tbPNSt15iterator_traitsISK_E10value_typeEPNSQ_ISL_E10value_typeEPSM_NS1_7vsmem_tEENKUlT_SK_SL_SM_E_clIPbSD_PiSF_EESJ_SZ_SK_SL_SM_EUlSZ_E1_NS1_11comp_targetILNS1_3genE4ELNS1_11target_archE910ELNS1_3gpuE8ELNS1_3repE0EEENS1_36merge_oddeven_config_static_selectorELNS0_4arch9wavefront6targetE1EEEvSL_,"axG",@progbits,_ZN7rocprim17ROCPRIM_400000_NS6detail17trampoline_kernelINS0_14default_configENS1_38merge_sort_block_merge_config_selectorIbiEEZZNS1_27merge_sort_block_merge_implIS3_N6thrust23THRUST_200600_302600_NS6detail15normal_iteratorINS8_10device_ptrIbEEEENSA_INSB_IiEEEEjNS1_19radix_merge_compareILb0ELb1EbNS0_19identity_decomposerEEEEE10hipError_tT0_T1_T2_jT3_P12ihipStream_tbPNSt15iterator_traitsISK_E10value_typeEPNSQ_ISL_E10value_typeEPSM_NS1_7vsmem_tEENKUlT_SK_SL_SM_E_clIPbSD_PiSF_EESJ_SZ_SK_SL_SM_EUlSZ_E1_NS1_11comp_targetILNS1_3genE4ELNS1_11target_archE910ELNS1_3gpuE8ELNS1_3repE0EEENS1_36merge_oddeven_config_static_selectorELNS0_4arch9wavefront6targetE1EEEvSL_,comdat
	.protected	_ZN7rocprim17ROCPRIM_400000_NS6detail17trampoline_kernelINS0_14default_configENS1_38merge_sort_block_merge_config_selectorIbiEEZZNS1_27merge_sort_block_merge_implIS3_N6thrust23THRUST_200600_302600_NS6detail15normal_iteratorINS8_10device_ptrIbEEEENSA_INSB_IiEEEEjNS1_19radix_merge_compareILb0ELb1EbNS0_19identity_decomposerEEEEE10hipError_tT0_T1_T2_jT3_P12ihipStream_tbPNSt15iterator_traitsISK_E10value_typeEPNSQ_ISL_E10value_typeEPSM_NS1_7vsmem_tEENKUlT_SK_SL_SM_E_clIPbSD_PiSF_EESJ_SZ_SK_SL_SM_EUlSZ_E1_NS1_11comp_targetILNS1_3genE4ELNS1_11target_archE910ELNS1_3gpuE8ELNS1_3repE0EEENS1_36merge_oddeven_config_static_selectorELNS0_4arch9wavefront6targetE1EEEvSL_ ; -- Begin function _ZN7rocprim17ROCPRIM_400000_NS6detail17trampoline_kernelINS0_14default_configENS1_38merge_sort_block_merge_config_selectorIbiEEZZNS1_27merge_sort_block_merge_implIS3_N6thrust23THRUST_200600_302600_NS6detail15normal_iteratorINS8_10device_ptrIbEEEENSA_INSB_IiEEEEjNS1_19radix_merge_compareILb0ELb1EbNS0_19identity_decomposerEEEEE10hipError_tT0_T1_T2_jT3_P12ihipStream_tbPNSt15iterator_traitsISK_E10value_typeEPNSQ_ISL_E10value_typeEPSM_NS1_7vsmem_tEENKUlT_SK_SL_SM_E_clIPbSD_PiSF_EESJ_SZ_SK_SL_SM_EUlSZ_E1_NS1_11comp_targetILNS1_3genE4ELNS1_11target_archE910ELNS1_3gpuE8ELNS1_3repE0EEENS1_36merge_oddeven_config_static_selectorELNS0_4arch9wavefront6targetE1EEEvSL_
	.globl	_ZN7rocprim17ROCPRIM_400000_NS6detail17trampoline_kernelINS0_14default_configENS1_38merge_sort_block_merge_config_selectorIbiEEZZNS1_27merge_sort_block_merge_implIS3_N6thrust23THRUST_200600_302600_NS6detail15normal_iteratorINS8_10device_ptrIbEEEENSA_INSB_IiEEEEjNS1_19radix_merge_compareILb0ELb1EbNS0_19identity_decomposerEEEEE10hipError_tT0_T1_T2_jT3_P12ihipStream_tbPNSt15iterator_traitsISK_E10value_typeEPNSQ_ISL_E10value_typeEPSM_NS1_7vsmem_tEENKUlT_SK_SL_SM_E_clIPbSD_PiSF_EESJ_SZ_SK_SL_SM_EUlSZ_E1_NS1_11comp_targetILNS1_3genE4ELNS1_11target_archE910ELNS1_3gpuE8ELNS1_3repE0EEENS1_36merge_oddeven_config_static_selectorELNS0_4arch9wavefront6targetE1EEEvSL_
	.p2align	8
	.type	_ZN7rocprim17ROCPRIM_400000_NS6detail17trampoline_kernelINS0_14default_configENS1_38merge_sort_block_merge_config_selectorIbiEEZZNS1_27merge_sort_block_merge_implIS3_N6thrust23THRUST_200600_302600_NS6detail15normal_iteratorINS8_10device_ptrIbEEEENSA_INSB_IiEEEEjNS1_19radix_merge_compareILb0ELb1EbNS0_19identity_decomposerEEEEE10hipError_tT0_T1_T2_jT3_P12ihipStream_tbPNSt15iterator_traitsISK_E10value_typeEPNSQ_ISL_E10value_typeEPSM_NS1_7vsmem_tEENKUlT_SK_SL_SM_E_clIPbSD_PiSF_EESJ_SZ_SK_SL_SM_EUlSZ_E1_NS1_11comp_targetILNS1_3genE4ELNS1_11target_archE910ELNS1_3gpuE8ELNS1_3repE0EEENS1_36merge_oddeven_config_static_selectorELNS0_4arch9wavefront6targetE1EEEvSL_,@function
_ZN7rocprim17ROCPRIM_400000_NS6detail17trampoline_kernelINS0_14default_configENS1_38merge_sort_block_merge_config_selectorIbiEEZZNS1_27merge_sort_block_merge_implIS3_N6thrust23THRUST_200600_302600_NS6detail15normal_iteratorINS8_10device_ptrIbEEEENSA_INSB_IiEEEEjNS1_19radix_merge_compareILb0ELb1EbNS0_19identity_decomposerEEEEE10hipError_tT0_T1_T2_jT3_P12ihipStream_tbPNSt15iterator_traitsISK_E10value_typeEPNSQ_ISL_E10value_typeEPSM_NS1_7vsmem_tEENKUlT_SK_SL_SM_E_clIPbSD_PiSF_EESJ_SZ_SK_SL_SM_EUlSZ_E1_NS1_11comp_targetILNS1_3genE4ELNS1_11target_archE910ELNS1_3gpuE8ELNS1_3repE0EEENS1_36merge_oddeven_config_static_selectorELNS0_4arch9wavefront6targetE1EEEvSL_: ; @_ZN7rocprim17ROCPRIM_400000_NS6detail17trampoline_kernelINS0_14default_configENS1_38merge_sort_block_merge_config_selectorIbiEEZZNS1_27merge_sort_block_merge_implIS3_N6thrust23THRUST_200600_302600_NS6detail15normal_iteratorINS8_10device_ptrIbEEEENSA_INSB_IiEEEEjNS1_19radix_merge_compareILb0ELb1EbNS0_19identity_decomposerEEEEE10hipError_tT0_T1_T2_jT3_P12ihipStream_tbPNSt15iterator_traitsISK_E10value_typeEPNSQ_ISL_E10value_typeEPSM_NS1_7vsmem_tEENKUlT_SK_SL_SM_E_clIPbSD_PiSF_EESJ_SZ_SK_SL_SM_EUlSZ_E1_NS1_11comp_targetILNS1_3genE4ELNS1_11target_archE910ELNS1_3gpuE8ELNS1_3repE0EEENS1_36merge_oddeven_config_static_selectorELNS0_4arch9wavefront6targetE1EEEvSL_
; %bb.0:
	.section	.rodata,"a",@progbits
	.p2align	6, 0x0
	.amdhsa_kernel _ZN7rocprim17ROCPRIM_400000_NS6detail17trampoline_kernelINS0_14default_configENS1_38merge_sort_block_merge_config_selectorIbiEEZZNS1_27merge_sort_block_merge_implIS3_N6thrust23THRUST_200600_302600_NS6detail15normal_iteratorINS8_10device_ptrIbEEEENSA_INSB_IiEEEEjNS1_19radix_merge_compareILb0ELb1EbNS0_19identity_decomposerEEEEE10hipError_tT0_T1_T2_jT3_P12ihipStream_tbPNSt15iterator_traitsISK_E10value_typeEPNSQ_ISL_E10value_typeEPSM_NS1_7vsmem_tEENKUlT_SK_SL_SM_E_clIPbSD_PiSF_EESJ_SZ_SK_SL_SM_EUlSZ_E1_NS1_11comp_targetILNS1_3genE4ELNS1_11target_archE910ELNS1_3gpuE8ELNS1_3repE0EEENS1_36merge_oddeven_config_static_selectorELNS0_4arch9wavefront6targetE1EEEvSL_
		.amdhsa_group_segment_fixed_size 0
		.amdhsa_private_segment_fixed_size 0
		.amdhsa_kernarg_size 48
		.amdhsa_user_sgpr_count 2
		.amdhsa_user_sgpr_dispatch_ptr 0
		.amdhsa_user_sgpr_queue_ptr 0
		.amdhsa_user_sgpr_kernarg_segment_ptr 1
		.amdhsa_user_sgpr_dispatch_id 0
		.amdhsa_user_sgpr_kernarg_preload_length 0
		.amdhsa_user_sgpr_kernarg_preload_offset 0
		.amdhsa_user_sgpr_private_segment_size 0
		.amdhsa_uses_dynamic_stack 0
		.amdhsa_enable_private_segment 0
		.amdhsa_system_sgpr_workgroup_id_x 1
		.amdhsa_system_sgpr_workgroup_id_y 0
		.amdhsa_system_sgpr_workgroup_id_z 0
		.amdhsa_system_sgpr_workgroup_info 0
		.amdhsa_system_vgpr_workitem_id 0
		.amdhsa_next_free_vgpr 1
		.amdhsa_next_free_sgpr 0
		.amdhsa_accum_offset 4
		.amdhsa_reserve_vcc 0
		.amdhsa_float_round_mode_32 0
		.amdhsa_float_round_mode_16_64 0
		.amdhsa_float_denorm_mode_32 3
		.amdhsa_float_denorm_mode_16_64 3
		.amdhsa_dx10_clamp 1
		.amdhsa_ieee_mode 1
		.amdhsa_fp16_overflow 0
		.amdhsa_tg_split 0
		.amdhsa_exception_fp_ieee_invalid_op 0
		.amdhsa_exception_fp_denorm_src 0
		.amdhsa_exception_fp_ieee_div_zero 0
		.amdhsa_exception_fp_ieee_overflow 0
		.amdhsa_exception_fp_ieee_underflow 0
		.amdhsa_exception_fp_ieee_inexact 0
		.amdhsa_exception_int_div_zero 0
	.end_amdhsa_kernel
	.section	.text._ZN7rocprim17ROCPRIM_400000_NS6detail17trampoline_kernelINS0_14default_configENS1_38merge_sort_block_merge_config_selectorIbiEEZZNS1_27merge_sort_block_merge_implIS3_N6thrust23THRUST_200600_302600_NS6detail15normal_iteratorINS8_10device_ptrIbEEEENSA_INSB_IiEEEEjNS1_19radix_merge_compareILb0ELb1EbNS0_19identity_decomposerEEEEE10hipError_tT0_T1_T2_jT3_P12ihipStream_tbPNSt15iterator_traitsISK_E10value_typeEPNSQ_ISL_E10value_typeEPSM_NS1_7vsmem_tEENKUlT_SK_SL_SM_E_clIPbSD_PiSF_EESJ_SZ_SK_SL_SM_EUlSZ_E1_NS1_11comp_targetILNS1_3genE4ELNS1_11target_archE910ELNS1_3gpuE8ELNS1_3repE0EEENS1_36merge_oddeven_config_static_selectorELNS0_4arch9wavefront6targetE1EEEvSL_,"axG",@progbits,_ZN7rocprim17ROCPRIM_400000_NS6detail17trampoline_kernelINS0_14default_configENS1_38merge_sort_block_merge_config_selectorIbiEEZZNS1_27merge_sort_block_merge_implIS3_N6thrust23THRUST_200600_302600_NS6detail15normal_iteratorINS8_10device_ptrIbEEEENSA_INSB_IiEEEEjNS1_19radix_merge_compareILb0ELb1EbNS0_19identity_decomposerEEEEE10hipError_tT0_T1_T2_jT3_P12ihipStream_tbPNSt15iterator_traitsISK_E10value_typeEPNSQ_ISL_E10value_typeEPSM_NS1_7vsmem_tEENKUlT_SK_SL_SM_E_clIPbSD_PiSF_EESJ_SZ_SK_SL_SM_EUlSZ_E1_NS1_11comp_targetILNS1_3genE4ELNS1_11target_archE910ELNS1_3gpuE8ELNS1_3repE0EEENS1_36merge_oddeven_config_static_selectorELNS0_4arch9wavefront6targetE1EEEvSL_,comdat
.Lfunc_end1985:
	.size	_ZN7rocprim17ROCPRIM_400000_NS6detail17trampoline_kernelINS0_14default_configENS1_38merge_sort_block_merge_config_selectorIbiEEZZNS1_27merge_sort_block_merge_implIS3_N6thrust23THRUST_200600_302600_NS6detail15normal_iteratorINS8_10device_ptrIbEEEENSA_INSB_IiEEEEjNS1_19radix_merge_compareILb0ELb1EbNS0_19identity_decomposerEEEEE10hipError_tT0_T1_T2_jT3_P12ihipStream_tbPNSt15iterator_traitsISK_E10value_typeEPNSQ_ISL_E10value_typeEPSM_NS1_7vsmem_tEENKUlT_SK_SL_SM_E_clIPbSD_PiSF_EESJ_SZ_SK_SL_SM_EUlSZ_E1_NS1_11comp_targetILNS1_3genE4ELNS1_11target_archE910ELNS1_3gpuE8ELNS1_3repE0EEENS1_36merge_oddeven_config_static_selectorELNS0_4arch9wavefront6targetE1EEEvSL_, .Lfunc_end1985-_ZN7rocprim17ROCPRIM_400000_NS6detail17trampoline_kernelINS0_14default_configENS1_38merge_sort_block_merge_config_selectorIbiEEZZNS1_27merge_sort_block_merge_implIS3_N6thrust23THRUST_200600_302600_NS6detail15normal_iteratorINS8_10device_ptrIbEEEENSA_INSB_IiEEEEjNS1_19radix_merge_compareILb0ELb1EbNS0_19identity_decomposerEEEEE10hipError_tT0_T1_T2_jT3_P12ihipStream_tbPNSt15iterator_traitsISK_E10value_typeEPNSQ_ISL_E10value_typeEPSM_NS1_7vsmem_tEENKUlT_SK_SL_SM_E_clIPbSD_PiSF_EESJ_SZ_SK_SL_SM_EUlSZ_E1_NS1_11comp_targetILNS1_3genE4ELNS1_11target_archE910ELNS1_3gpuE8ELNS1_3repE0EEENS1_36merge_oddeven_config_static_selectorELNS0_4arch9wavefront6targetE1EEEvSL_
                                        ; -- End function
	.set _ZN7rocprim17ROCPRIM_400000_NS6detail17trampoline_kernelINS0_14default_configENS1_38merge_sort_block_merge_config_selectorIbiEEZZNS1_27merge_sort_block_merge_implIS3_N6thrust23THRUST_200600_302600_NS6detail15normal_iteratorINS8_10device_ptrIbEEEENSA_INSB_IiEEEEjNS1_19radix_merge_compareILb0ELb1EbNS0_19identity_decomposerEEEEE10hipError_tT0_T1_T2_jT3_P12ihipStream_tbPNSt15iterator_traitsISK_E10value_typeEPNSQ_ISL_E10value_typeEPSM_NS1_7vsmem_tEENKUlT_SK_SL_SM_E_clIPbSD_PiSF_EESJ_SZ_SK_SL_SM_EUlSZ_E1_NS1_11comp_targetILNS1_3genE4ELNS1_11target_archE910ELNS1_3gpuE8ELNS1_3repE0EEENS1_36merge_oddeven_config_static_selectorELNS0_4arch9wavefront6targetE1EEEvSL_.num_vgpr, 0
	.set _ZN7rocprim17ROCPRIM_400000_NS6detail17trampoline_kernelINS0_14default_configENS1_38merge_sort_block_merge_config_selectorIbiEEZZNS1_27merge_sort_block_merge_implIS3_N6thrust23THRUST_200600_302600_NS6detail15normal_iteratorINS8_10device_ptrIbEEEENSA_INSB_IiEEEEjNS1_19radix_merge_compareILb0ELb1EbNS0_19identity_decomposerEEEEE10hipError_tT0_T1_T2_jT3_P12ihipStream_tbPNSt15iterator_traitsISK_E10value_typeEPNSQ_ISL_E10value_typeEPSM_NS1_7vsmem_tEENKUlT_SK_SL_SM_E_clIPbSD_PiSF_EESJ_SZ_SK_SL_SM_EUlSZ_E1_NS1_11comp_targetILNS1_3genE4ELNS1_11target_archE910ELNS1_3gpuE8ELNS1_3repE0EEENS1_36merge_oddeven_config_static_selectorELNS0_4arch9wavefront6targetE1EEEvSL_.num_agpr, 0
	.set _ZN7rocprim17ROCPRIM_400000_NS6detail17trampoline_kernelINS0_14default_configENS1_38merge_sort_block_merge_config_selectorIbiEEZZNS1_27merge_sort_block_merge_implIS3_N6thrust23THRUST_200600_302600_NS6detail15normal_iteratorINS8_10device_ptrIbEEEENSA_INSB_IiEEEEjNS1_19radix_merge_compareILb0ELb1EbNS0_19identity_decomposerEEEEE10hipError_tT0_T1_T2_jT3_P12ihipStream_tbPNSt15iterator_traitsISK_E10value_typeEPNSQ_ISL_E10value_typeEPSM_NS1_7vsmem_tEENKUlT_SK_SL_SM_E_clIPbSD_PiSF_EESJ_SZ_SK_SL_SM_EUlSZ_E1_NS1_11comp_targetILNS1_3genE4ELNS1_11target_archE910ELNS1_3gpuE8ELNS1_3repE0EEENS1_36merge_oddeven_config_static_selectorELNS0_4arch9wavefront6targetE1EEEvSL_.numbered_sgpr, 0
	.set _ZN7rocprim17ROCPRIM_400000_NS6detail17trampoline_kernelINS0_14default_configENS1_38merge_sort_block_merge_config_selectorIbiEEZZNS1_27merge_sort_block_merge_implIS3_N6thrust23THRUST_200600_302600_NS6detail15normal_iteratorINS8_10device_ptrIbEEEENSA_INSB_IiEEEEjNS1_19radix_merge_compareILb0ELb1EbNS0_19identity_decomposerEEEEE10hipError_tT0_T1_T2_jT3_P12ihipStream_tbPNSt15iterator_traitsISK_E10value_typeEPNSQ_ISL_E10value_typeEPSM_NS1_7vsmem_tEENKUlT_SK_SL_SM_E_clIPbSD_PiSF_EESJ_SZ_SK_SL_SM_EUlSZ_E1_NS1_11comp_targetILNS1_3genE4ELNS1_11target_archE910ELNS1_3gpuE8ELNS1_3repE0EEENS1_36merge_oddeven_config_static_selectorELNS0_4arch9wavefront6targetE1EEEvSL_.num_named_barrier, 0
	.set _ZN7rocprim17ROCPRIM_400000_NS6detail17trampoline_kernelINS0_14default_configENS1_38merge_sort_block_merge_config_selectorIbiEEZZNS1_27merge_sort_block_merge_implIS3_N6thrust23THRUST_200600_302600_NS6detail15normal_iteratorINS8_10device_ptrIbEEEENSA_INSB_IiEEEEjNS1_19radix_merge_compareILb0ELb1EbNS0_19identity_decomposerEEEEE10hipError_tT0_T1_T2_jT3_P12ihipStream_tbPNSt15iterator_traitsISK_E10value_typeEPNSQ_ISL_E10value_typeEPSM_NS1_7vsmem_tEENKUlT_SK_SL_SM_E_clIPbSD_PiSF_EESJ_SZ_SK_SL_SM_EUlSZ_E1_NS1_11comp_targetILNS1_3genE4ELNS1_11target_archE910ELNS1_3gpuE8ELNS1_3repE0EEENS1_36merge_oddeven_config_static_selectorELNS0_4arch9wavefront6targetE1EEEvSL_.private_seg_size, 0
	.set _ZN7rocprim17ROCPRIM_400000_NS6detail17trampoline_kernelINS0_14default_configENS1_38merge_sort_block_merge_config_selectorIbiEEZZNS1_27merge_sort_block_merge_implIS3_N6thrust23THRUST_200600_302600_NS6detail15normal_iteratorINS8_10device_ptrIbEEEENSA_INSB_IiEEEEjNS1_19radix_merge_compareILb0ELb1EbNS0_19identity_decomposerEEEEE10hipError_tT0_T1_T2_jT3_P12ihipStream_tbPNSt15iterator_traitsISK_E10value_typeEPNSQ_ISL_E10value_typeEPSM_NS1_7vsmem_tEENKUlT_SK_SL_SM_E_clIPbSD_PiSF_EESJ_SZ_SK_SL_SM_EUlSZ_E1_NS1_11comp_targetILNS1_3genE4ELNS1_11target_archE910ELNS1_3gpuE8ELNS1_3repE0EEENS1_36merge_oddeven_config_static_selectorELNS0_4arch9wavefront6targetE1EEEvSL_.uses_vcc, 0
	.set _ZN7rocprim17ROCPRIM_400000_NS6detail17trampoline_kernelINS0_14default_configENS1_38merge_sort_block_merge_config_selectorIbiEEZZNS1_27merge_sort_block_merge_implIS3_N6thrust23THRUST_200600_302600_NS6detail15normal_iteratorINS8_10device_ptrIbEEEENSA_INSB_IiEEEEjNS1_19radix_merge_compareILb0ELb1EbNS0_19identity_decomposerEEEEE10hipError_tT0_T1_T2_jT3_P12ihipStream_tbPNSt15iterator_traitsISK_E10value_typeEPNSQ_ISL_E10value_typeEPSM_NS1_7vsmem_tEENKUlT_SK_SL_SM_E_clIPbSD_PiSF_EESJ_SZ_SK_SL_SM_EUlSZ_E1_NS1_11comp_targetILNS1_3genE4ELNS1_11target_archE910ELNS1_3gpuE8ELNS1_3repE0EEENS1_36merge_oddeven_config_static_selectorELNS0_4arch9wavefront6targetE1EEEvSL_.uses_flat_scratch, 0
	.set _ZN7rocprim17ROCPRIM_400000_NS6detail17trampoline_kernelINS0_14default_configENS1_38merge_sort_block_merge_config_selectorIbiEEZZNS1_27merge_sort_block_merge_implIS3_N6thrust23THRUST_200600_302600_NS6detail15normal_iteratorINS8_10device_ptrIbEEEENSA_INSB_IiEEEEjNS1_19radix_merge_compareILb0ELb1EbNS0_19identity_decomposerEEEEE10hipError_tT0_T1_T2_jT3_P12ihipStream_tbPNSt15iterator_traitsISK_E10value_typeEPNSQ_ISL_E10value_typeEPSM_NS1_7vsmem_tEENKUlT_SK_SL_SM_E_clIPbSD_PiSF_EESJ_SZ_SK_SL_SM_EUlSZ_E1_NS1_11comp_targetILNS1_3genE4ELNS1_11target_archE910ELNS1_3gpuE8ELNS1_3repE0EEENS1_36merge_oddeven_config_static_selectorELNS0_4arch9wavefront6targetE1EEEvSL_.has_dyn_sized_stack, 0
	.set _ZN7rocprim17ROCPRIM_400000_NS6detail17trampoline_kernelINS0_14default_configENS1_38merge_sort_block_merge_config_selectorIbiEEZZNS1_27merge_sort_block_merge_implIS3_N6thrust23THRUST_200600_302600_NS6detail15normal_iteratorINS8_10device_ptrIbEEEENSA_INSB_IiEEEEjNS1_19radix_merge_compareILb0ELb1EbNS0_19identity_decomposerEEEEE10hipError_tT0_T1_T2_jT3_P12ihipStream_tbPNSt15iterator_traitsISK_E10value_typeEPNSQ_ISL_E10value_typeEPSM_NS1_7vsmem_tEENKUlT_SK_SL_SM_E_clIPbSD_PiSF_EESJ_SZ_SK_SL_SM_EUlSZ_E1_NS1_11comp_targetILNS1_3genE4ELNS1_11target_archE910ELNS1_3gpuE8ELNS1_3repE0EEENS1_36merge_oddeven_config_static_selectorELNS0_4arch9wavefront6targetE1EEEvSL_.has_recursion, 0
	.set _ZN7rocprim17ROCPRIM_400000_NS6detail17trampoline_kernelINS0_14default_configENS1_38merge_sort_block_merge_config_selectorIbiEEZZNS1_27merge_sort_block_merge_implIS3_N6thrust23THRUST_200600_302600_NS6detail15normal_iteratorINS8_10device_ptrIbEEEENSA_INSB_IiEEEEjNS1_19radix_merge_compareILb0ELb1EbNS0_19identity_decomposerEEEEE10hipError_tT0_T1_T2_jT3_P12ihipStream_tbPNSt15iterator_traitsISK_E10value_typeEPNSQ_ISL_E10value_typeEPSM_NS1_7vsmem_tEENKUlT_SK_SL_SM_E_clIPbSD_PiSF_EESJ_SZ_SK_SL_SM_EUlSZ_E1_NS1_11comp_targetILNS1_3genE4ELNS1_11target_archE910ELNS1_3gpuE8ELNS1_3repE0EEENS1_36merge_oddeven_config_static_selectorELNS0_4arch9wavefront6targetE1EEEvSL_.has_indirect_call, 0
	.section	.AMDGPU.csdata,"",@progbits
; Kernel info:
; codeLenInByte = 0
; TotalNumSgprs: 6
; NumVgprs: 0
; NumAgprs: 0
; TotalNumVgprs: 0
; ScratchSize: 0
; MemoryBound: 0
; FloatMode: 240
; IeeeMode: 1
; LDSByteSize: 0 bytes/workgroup (compile time only)
; SGPRBlocks: 0
; VGPRBlocks: 0
; NumSGPRsForWavesPerEU: 6
; NumVGPRsForWavesPerEU: 1
; AccumOffset: 4
; Occupancy: 8
; WaveLimiterHint : 0
; COMPUTE_PGM_RSRC2:SCRATCH_EN: 0
; COMPUTE_PGM_RSRC2:USER_SGPR: 2
; COMPUTE_PGM_RSRC2:TRAP_HANDLER: 0
; COMPUTE_PGM_RSRC2:TGID_X_EN: 1
; COMPUTE_PGM_RSRC2:TGID_Y_EN: 0
; COMPUTE_PGM_RSRC2:TGID_Z_EN: 0
; COMPUTE_PGM_RSRC2:TIDIG_COMP_CNT: 0
; COMPUTE_PGM_RSRC3_GFX90A:ACCUM_OFFSET: 0
; COMPUTE_PGM_RSRC3_GFX90A:TG_SPLIT: 0
	.section	.text._ZN7rocprim17ROCPRIM_400000_NS6detail17trampoline_kernelINS0_14default_configENS1_38merge_sort_block_merge_config_selectorIbiEEZZNS1_27merge_sort_block_merge_implIS3_N6thrust23THRUST_200600_302600_NS6detail15normal_iteratorINS8_10device_ptrIbEEEENSA_INSB_IiEEEEjNS1_19radix_merge_compareILb0ELb1EbNS0_19identity_decomposerEEEEE10hipError_tT0_T1_T2_jT3_P12ihipStream_tbPNSt15iterator_traitsISK_E10value_typeEPNSQ_ISL_E10value_typeEPSM_NS1_7vsmem_tEENKUlT_SK_SL_SM_E_clIPbSD_PiSF_EESJ_SZ_SK_SL_SM_EUlSZ_E1_NS1_11comp_targetILNS1_3genE3ELNS1_11target_archE908ELNS1_3gpuE7ELNS1_3repE0EEENS1_36merge_oddeven_config_static_selectorELNS0_4arch9wavefront6targetE1EEEvSL_,"axG",@progbits,_ZN7rocprim17ROCPRIM_400000_NS6detail17trampoline_kernelINS0_14default_configENS1_38merge_sort_block_merge_config_selectorIbiEEZZNS1_27merge_sort_block_merge_implIS3_N6thrust23THRUST_200600_302600_NS6detail15normal_iteratorINS8_10device_ptrIbEEEENSA_INSB_IiEEEEjNS1_19radix_merge_compareILb0ELb1EbNS0_19identity_decomposerEEEEE10hipError_tT0_T1_T2_jT3_P12ihipStream_tbPNSt15iterator_traitsISK_E10value_typeEPNSQ_ISL_E10value_typeEPSM_NS1_7vsmem_tEENKUlT_SK_SL_SM_E_clIPbSD_PiSF_EESJ_SZ_SK_SL_SM_EUlSZ_E1_NS1_11comp_targetILNS1_3genE3ELNS1_11target_archE908ELNS1_3gpuE7ELNS1_3repE0EEENS1_36merge_oddeven_config_static_selectorELNS0_4arch9wavefront6targetE1EEEvSL_,comdat
	.protected	_ZN7rocprim17ROCPRIM_400000_NS6detail17trampoline_kernelINS0_14default_configENS1_38merge_sort_block_merge_config_selectorIbiEEZZNS1_27merge_sort_block_merge_implIS3_N6thrust23THRUST_200600_302600_NS6detail15normal_iteratorINS8_10device_ptrIbEEEENSA_INSB_IiEEEEjNS1_19radix_merge_compareILb0ELb1EbNS0_19identity_decomposerEEEEE10hipError_tT0_T1_T2_jT3_P12ihipStream_tbPNSt15iterator_traitsISK_E10value_typeEPNSQ_ISL_E10value_typeEPSM_NS1_7vsmem_tEENKUlT_SK_SL_SM_E_clIPbSD_PiSF_EESJ_SZ_SK_SL_SM_EUlSZ_E1_NS1_11comp_targetILNS1_3genE3ELNS1_11target_archE908ELNS1_3gpuE7ELNS1_3repE0EEENS1_36merge_oddeven_config_static_selectorELNS0_4arch9wavefront6targetE1EEEvSL_ ; -- Begin function _ZN7rocprim17ROCPRIM_400000_NS6detail17trampoline_kernelINS0_14default_configENS1_38merge_sort_block_merge_config_selectorIbiEEZZNS1_27merge_sort_block_merge_implIS3_N6thrust23THRUST_200600_302600_NS6detail15normal_iteratorINS8_10device_ptrIbEEEENSA_INSB_IiEEEEjNS1_19radix_merge_compareILb0ELb1EbNS0_19identity_decomposerEEEEE10hipError_tT0_T1_T2_jT3_P12ihipStream_tbPNSt15iterator_traitsISK_E10value_typeEPNSQ_ISL_E10value_typeEPSM_NS1_7vsmem_tEENKUlT_SK_SL_SM_E_clIPbSD_PiSF_EESJ_SZ_SK_SL_SM_EUlSZ_E1_NS1_11comp_targetILNS1_3genE3ELNS1_11target_archE908ELNS1_3gpuE7ELNS1_3repE0EEENS1_36merge_oddeven_config_static_selectorELNS0_4arch9wavefront6targetE1EEEvSL_
	.globl	_ZN7rocprim17ROCPRIM_400000_NS6detail17trampoline_kernelINS0_14default_configENS1_38merge_sort_block_merge_config_selectorIbiEEZZNS1_27merge_sort_block_merge_implIS3_N6thrust23THRUST_200600_302600_NS6detail15normal_iteratorINS8_10device_ptrIbEEEENSA_INSB_IiEEEEjNS1_19radix_merge_compareILb0ELb1EbNS0_19identity_decomposerEEEEE10hipError_tT0_T1_T2_jT3_P12ihipStream_tbPNSt15iterator_traitsISK_E10value_typeEPNSQ_ISL_E10value_typeEPSM_NS1_7vsmem_tEENKUlT_SK_SL_SM_E_clIPbSD_PiSF_EESJ_SZ_SK_SL_SM_EUlSZ_E1_NS1_11comp_targetILNS1_3genE3ELNS1_11target_archE908ELNS1_3gpuE7ELNS1_3repE0EEENS1_36merge_oddeven_config_static_selectorELNS0_4arch9wavefront6targetE1EEEvSL_
	.p2align	8
	.type	_ZN7rocprim17ROCPRIM_400000_NS6detail17trampoline_kernelINS0_14default_configENS1_38merge_sort_block_merge_config_selectorIbiEEZZNS1_27merge_sort_block_merge_implIS3_N6thrust23THRUST_200600_302600_NS6detail15normal_iteratorINS8_10device_ptrIbEEEENSA_INSB_IiEEEEjNS1_19radix_merge_compareILb0ELb1EbNS0_19identity_decomposerEEEEE10hipError_tT0_T1_T2_jT3_P12ihipStream_tbPNSt15iterator_traitsISK_E10value_typeEPNSQ_ISL_E10value_typeEPSM_NS1_7vsmem_tEENKUlT_SK_SL_SM_E_clIPbSD_PiSF_EESJ_SZ_SK_SL_SM_EUlSZ_E1_NS1_11comp_targetILNS1_3genE3ELNS1_11target_archE908ELNS1_3gpuE7ELNS1_3repE0EEENS1_36merge_oddeven_config_static_selectorELNS0_4arch9wavefront6targetE1EEEvSL_,@function
_ZN7rocprim17ROCPRIM_400000_NS6detail17trampoline_kernelINS0_14default_configENS1_38merge_sort_block_merge_config_selectorIbiEEZZNS1_27merge_sort_block_merge_implIS3_N6thrust23THRUST_200600_302600_NS6detail15normal_iteratorINS8_10device_ptrIbEEEENSA_INSB_IiEEEEjNS1_19radix_merge_compareILb0ELb1EbNS0_19identity_decomposerEEEEE10hipError_tT0_T1_T2_jT3_P12ihipStream_tbPNSt15iterator_traitsISK_E10value_typeEPNSQ_ISL_E10value_typeEPSM_NS1_7vsmem_tEENKUlT_SK_SL_SM_E_clIPbSD_PiSF_EESJ_SZ_SK_SL_SM_EUlSZ_E1_NS1_11comp_targetILNS1_3genE3ELNS1_11target_archE908ELNS1_3gpuE7ELNS1_3repE0EEENS1_36merge_oddeven_config_static_selectorELNS0_4arch9wavefront6targetE1EEEvSL_: ; @_ZN7rocprim17ROCPRIM_400000_NS6detail17trampoline_kernelINS0_14default_configENS1_38merge_sort_block_merge_config_selectorIbiEEZZNS1_27merge_sort_block_merge_implIS3_N6thrust23THRUST_200600_302600_NS6detail15normal_iteratorINS8_10device_ptrIbEEEENSA_INSB_IiEEEEjNS1_19radix_merge_compareILb0ELb1EbNS0_19identity_decomposerEEEEE10hipError_tT0_T1_T2_jT3_P12ihipStream_tbPNSt15iterator_traitsISK_E10value_typeEPNSQ_ISL_E10value_typeEPSM_NS1_7vsmem_tEENKUlT_SK_SL_SM_E_clIPbSD_PiSF_EESJ_SZ_SK_SL_SM_EUlSZ_E1_NS1_11comp_targetILNS1_3genE3ELNS1_11target_archE908ELNS1_3gpuE7ELNS1_3repE0EEENS1_36merge_oddeven_config_static_selectorELNS0_4arch9wavefront6targetE1EEEvSL_
; %bb.0:
	.section	.rodata,"a",@progbits
	.p2align	6, 0x0
	.amdhsa_kernel _ZN7rocprim17ROCPRIM_400000_NS6detail17trampoline_kernelINS0_14default_configENS1_38merge_sort_block_merge_config_selectorIbiEEZZNS1_27merge_sort_block_merge_implIS3_N6thrust23THRUST_200600_302600_NS6detail15normal_iteratorINS8_10device_ptrIbEEEENSA_INSB_IiEEEEjNS1_19radix_merge_compareILb0ELb1EbNS0_19identity_decomposerEEEEE10hipError_tT0_T1_T2_jT3_P12ihipStream_tbPNSt15iterator_traitsISK_E10value_typeEPNSQ_ISL_E10value_typeEPSM_NS1_7vsmem_tEENKUlT_SK_SL_SM_E_clIPbSD_PiSF_EESJ_SZ_SK_SL_SM_EUlSZ_E1_NS1_11comp_targetILNS1_3genE3ELNS1_11target_archE908ELNS1_3gpuE7ELNS1_3repE0EEENS1_36merge_oddeven_config_static_selectorELNS0_4arch9wavefront6targetE1EEEvSL_
		.amdhsa_group_segment_fixed_size 0
		.amdhsa_private_segment_fixed_size 0
		.amdhsa_kernarg_size 48
		.amdhsa_user_sgpr_count 2
		.amdhsa_user_sgpr_dispatch_ptr 0
		.amdhsa_user_sgpr_queue_ptr 0
		.amdhsa_user_sgpr_kernarg_segment_ptr 1
		.amdhsa_user_sgpr_dispatch_id 0
		.amdhsa_user_sgpr_kernarg_preload_length 0
		.amdhsa_user_sgpr_kernarg_preload_offset 0
		.amdhsa_user_sgpr_private_segment_size 0
		.amdhsa_uses_dynamic_stack 0
		.amdhsa_enable_private_segment 0
		.amdhsa_system_sgpr_workgroup_id_x 1
		.amdhsa_system_sgpr_workgroup_id_y 0
		.amdhsa_system_sgpr_workgroup_id_z 0
		.amdhsa_system_sgpr_workgroup_info 0
		.amdhsa_system_vgpr_workitem_id 0
		.amdhsa_next_free_vgpr 1
		.amdhsa_next_free_sgpr 0
		.amdhsa_accum_offset 4
		.amdhsa_reserve_vcc 0
		.amdhsa_float_round_mode_32 0
		.amdhsa_float_round_mode_16_64 0
		.amdhsa_float_denorm_mode_32 3
		.amdhsa_float_denorm_mode_16_64 3
		.amdhsa_dx10_clamp 1
		.amdhsa_ieee_mode 1
		.amdhsa_fp16_overflow 0
		.amdhsa_tg_split 0
		.amdhsa_exception_fp_ieee_invalid_op 0
		.amdhsa_exception_fp_denorm_src 0
		.amdhsa_exception_fp_ieee_div_zero 0
		.amdhsa_exception_fp_ieee_overflow 0
		.amdhsa_exception_fp_ieee_underflow 0
		.amdhsa_exception_fp_ieee_inexact 0
		.amdhsa_exception_int_div_zero 0
	.end_amdhsa_kernel
	.section	.text._ZN7rocprim17ROCPRIM_400000_NS6detail17trampoline_kernelINS0_14default_configENS1_38merge_sort_block_merge_config_selectorIbiEEZZNS1_27merge_sort_block_merge_implIS3_N6thrust23THRUST_200600_302600_NS6detail15normal_iteratorINS8_10device_ptrIbEEEENSA_INSB_IiEEEEjNS1_19radix_merge_compareILb0ELb1EbNS0_19identity_decomposerEEEEE10hipError_tT0_T1_T2_jT3_P12ihipStream_tbPNSt15iterator_traitsISK_E10value_typeEPNSQ_ISL_E10value_typeEPSM_NS1_7vsmem_tEENKUlT_SK_SL_SM_E_clIPbSD_PiSF_EESJ_SZ_SK_SL_SM_EUlSZ_E1_NS1_11comp_targetILNS1_3genE3ELNS1_11target_archE908ELNS1_3gpuE7ELNS1_3repE0EEENS1_36merge_oddeven_config_static_selectorELNS0_4arch9wavefront6targetE1EEEvSL_,"axG",@progbits,_ZN7rocprim17ROCPRIM_400000_NS6detail17trampoline_kernelINS0_14default_configENS1_38merge_sort_block_merge_config_selectorIbiEEZZNS1_27merge_sort_block_merge_implIS3_N6thrust23THRUST_200600_302600_NS6detail15normal_iteratorINS8_10device_ptrIbEEEENSA_INSB_IiEEEEjNS1_19radix_merge_compareILb0ELb1EbNS0_19identity_decomposerEEEEE10hipError_tT0_T1_T2_jT3_P12ihipStream_tbPNSt15iterator_traitsISK_E10value_typeEPNSQ_ISL_E10value_typeEPSM_NS1_7vsmem_tEENKUlT_SK_SL_SM_E_clIPbSD_PiSF_EESJ_SZ_SK_SL_SM_EUlSZ_E1_NS1_11comp_targetILNS1_3genE3ELNS1_11target_archE908ELNS1_3gpuE7ELNS1_3repE0EEENS1_36merge_oddeven_config_static_selectorELNS0_4arch9wavefront6targetE1EEEvSL_,comdat
.Lfunc_end1986:
	.size	_ZN7rocprim17ROCPRIM_400000_NS6detail17trampoline_kernelINS0_14default_configENS1_38merge_sort_block_merge_config_selectorIbiEEZZNS1_27merge_sort_block_merge_implIS3_N6thrust23THRUST_200600_302600_NS6detail15normal_iteratorINS8_10device_ptrIbEEEENSA_INSB_IiEEEEjNS1_19radix_merge_compareILb0ELb1EbNS0_19identity_decomposerEEEEE10hipError_tT0_T1_T2_jT3_P12ihipStream_tbPNSt15iterator_traitsISK_E10value_typeEPNSQ_ISL_E10value_typeEPSM_NS1_7vsmem_tEENKUlT_SK_SL_SM_E_clIPbSD_PiSF_EESJ_SZ_SK_SL_SM_EUlSZ_E1_NS1_11comp_targetILNS1_3genE3ELNS1_11target_archE908ELNS1_3gpuE7ELNS1_3repE0EEENS1_36merge_oddeven_config_static_selectorELNS0_4arch9wavefront6targetE1EEEvSL_, .Lfunc_end1986-_ZN7rocprim17ROCPRIM_400000_NS6detail17trampoline_kernelINS0_14default_configENS1_38merge_sort_block_merge_config_selectorIbiEEZZNS1_27merge_sort_block_merge_implIS3_N6thrust23THRUST_200600_302600_NS6detail15normal_iteratorINS8_10device_ptrIbEEEENSA_INSB_IiEEEEjNS1_19radix_merge_compareILb0ELb1EbNS0_19identity_decomposerEEEEE10hipError_tT0_T1_T2_jT3_P12ihipStream_tbPNSt15iterator_traitsISK_E10value_typeEPNSQ_ISL_E10value_typeEPSM_NS1_7vsmem_tEENKUlT_SK_SL_SM_E_clIPbSD_PiSF_EESJ_SZ_SK_SL_SM_EUlSZ_E1_NS1_11comp_targetILNS1_3genE3ELNS1_11target_archE908ELNS1_3gpuE7ELNS1_3repE0EEENS1_36merge_oddeven_config_static_selectorELNS0_4arch9wavefront6targetE1EEEvSL_
                                        ; -- End function
	.set _ZN7rocprim17ROCPRIM_400000_NS6detail17trampoline_kernelINS0_14default_configENS1_38merge_sort_block_merge_config_selectorIbiEEZZNS1_27merge_sort_block_merge_implIS3_N6thrust23THRUST_200600_302600_NS6detail15normal_iteratorINS8_10device_ptrIbEEEENSA_INSB_IiEEEEjNS1_19radix_merge_compareILb0ELb1EbNS0_19identity_decomposerEEEEE10hipError_tT0_T1_T2_jT3_P12ihipStream_tbPNSt15iterator_traitsISK_E10value_typeEPNSQ_ISL_E10value_typeEPSM_NS1_7vsmem_tEENKUlT_SK_SL_SM_E_clIPbSD_PiSF_EESJ_SZ_SK_SL_SM_EUlSZ_E1_NS1_11comp_targetILNS1_3genE3ELNS1_11target_archE908ELNS1_3gpuE7ELNS1_3repE0EEENS1_36merge_oddeven_config_static_selectorELNS0_4arch9wavefront6targetE1EEEvSL_.num_vgpr, 0
	.set _ZN7rocprim17ROCPRIM_400000_NS6detail17trampoline_kernelINS0_14default_configENS1_38merge_sort_block_merge_config_selectorIbiEEZZNS1_27merge_sort_block_merge_implIS3_N6thrust23THRUST_200600_302600_NS6detail15normal_iteratorINS8_10device_ptrIbEEEENSA_INSB_IiEEEEjNS1_19radix_merge_compareILb0ELb1EbNS0_19identity_decomposerEEEEE10hipError_tT0_T1_T2_jT3_P12ihipStream_tbPNSt15iterator_traitsISK_E10value_typeEPNSQ_ISL_E10value_typeEPSM_NS1_7vsmem_tEENKUlT_SK_SL_SM_E_clIPbSD_PiSF_EESJ_SZ_SK_SL_SM_EUlSZ_E1_NS1_11comp_targetILNS1_3genE3ELNS1_11target_archE908ELNS1_3gpuE7ELNS1_3repE0EEENS1_36merge_oddeven_config_static_selectorELNS0_4arch9wavefront6targetE1EEEvSL_.num_agpr, 0
	.set _ZN7rocprim17ROCPRIM_400000_NS6detail17trampoline_kernelINS0_14default_configENS1_38merge_sort_block_merge_config_selectorIbiEEZZNS1_27merge_sort_block_merge_implIS3_N6thrust23THRUST_200600_302600_NS6detail15normal_iteratorINS8_10device_ptrIbEEEENSA_INSB_IiEEEEjNS1_19radix_merge_compareILb0ELb1EbNS0_19identity_decomposerEEEEE10hipError_tT0_T1_T2_jT3_P12ihipStream_tbPNSt15iterator_traitsISK_E10value_typeEPNSQ_ISL_E10value_typeEPSM_NS1_7vsmem_tEENKUlT_SK_SL_SM_E_clIPbSD_PiSF_EESJ_SZ_SK_SL_SM_EUlSZ_E1_NS1_11comp_targetILNS1_3genE3ELNS1_11target_archE908ELNS1_3gpuE7ELNS1_3repE0EEENS1_36merge_oddeven_config_static_selectorELNS0_4arch9wavefront6targetE1EEEvSL_.numbered_sgpr, 0
	.set _ZN7rocprim17ROCPRIM_400000_NS6detail17trampoline_kernelINS0_14default_configENS1_38merge_sort_block_merge_config_selectorIbiEEZZNS1_27merge_sort_block_merge_implIS3_N6thrust23THRUST_200600_302600_NS6detail15normal_iteratorINS8_10device_ptrIbEEEENSA_INSB_IiEEEEjNS1_19radix_merge_compareILb0ELb1EbNS0_19identity_decomposerEEEEE10hipError_tT0_T1_T2_jT3_P12ihipStream_tbPNSt15iterator_traitsISK_E10value_typeEPNSQ_ISL_E10value_typeEPSM_NS1_7vsmem_tEENKUlT_SK_SL_SM_E_clIPbSD_PiSF_EESJ_SZ_SK_SL_SM_EUlSZ_E1_NS1_11comp_targetILNS1_3genE3ELNS1_11target_archE908ELNS1_3gpuE7ELNS1_3repE0EEENS1_36merge_oddeven_config_static_selectorELNS0_4arch9wavefront6targetE1EEEvSL_.num_named_barrier, 0
	.set _ZN7rocprim17ROCPRIM_400000_NS6detail17trampoline_kernelINS0_14default_configENS1_38merge_sort_block_merge_config_selectorIbiEEZZNS1_27merge_sort_block_merge_implIS3_N6thrust23THRUST_200600_302600_NS6detail15normal_iteratorINS8_10device_ptrIbEEEENSA_INSB_IiEEEEjNS1_19radix_merge_compareILb0ELb1EbNS0_19identity_decomposerEEEEE10hipError_tT0_T1_T2_jT3_P12ihipStream_tbPNSt15iterator_traitsISK_E10value_typeEPNSQ_ISL_E10value_typeEPSM_NS1_7vsmem_tEENKUlT_SK_SL_SM_E_clIPbSD_PiSF_EESJ_SZ_SK_SL_SM_EUlSZ_E1_NS1_11comp_targetILNS1_3genE3ELNS1_11target_archE908ELNS1_3gpuE7ELNS1_3repE0EEENS1_36merge_oddeven_config_static_selectorELNS0_4arch9wavefront6targetE1EEEvSL_.private_seg_size, 0
	.set _ZN7rocprim17ROCPRIM_400000_NS6detail17trampoline_kernelINS0_14default_configENS1_38merge_sort_block_merge_config_selectorIbiEEZZNS1_27merge_sort_block_merge_implIS3_N6thrust23THRUST_200600_302600_NS6detail15normal_iteratorINS8_10device_ptrIbEEEENSA_INSB_IiEEEEjNS1_19radix_merge_compareILb0ELb1EbNS0_19identity_decomposerEEEEE10hipError_tT0_T1_T2_jT3_P12ihipStream_tbPNSt15iterator_traitsISK_E10value_typeEPNSQ_ISL_E10value_typeEPSM_NS1_7vsmem_tEENKUlT_SK_SL_SM_E_clIPbSD_PiSF_EESJ_SZ_SK_SL_SM_EUlSZ_E1_NS1_11comp_targetILNS1_3genE3ELNS1_11target_archE908ELNS1_3gpuE7ELNS1_3repE0EEENS1_36merge_oddeven_config_static_selectorELNS0_4arch9wavefront6targetE1EEEvSL_.uses_vcc, 0
	.set _ZN7rocprim17ROCPRIM_400000_NS6detail17trampoline_kernelINS0_14default_configENS1_38merge_sort_block_merge_config_selectorIbiEEZZNS1_27merge_sort_block_merge_implIS3_N6thrust23THRUST_200600_302600_NS6detail15normal_iteratorINS8_10device_ptrIbEEEENSA_INSB_IiEEEEjNS1_19radix_merge_compareILb0ELb1EbNS0_19identity_decomposerEEEEE10hipError_tT0_T1_T2_jT3_P12ihipStream_tbPNSt15iterator_traitsISK_E10value_typeEPNSQ_ISL_E10value_typeEPSM_NS1_7vsmem_tEENKUlT_SK_SL_SM_E_clIPbSD_PiSF_EESJ_SZ_SK_SL_SM_EUlSZ_E1_NS1_11comp_targetILNS1_3genE3ELNS1_11target_archE908ELNS1_3gpuE7ELNS1_3repE0EEENS1_36merge_oddeven_config_static_selectorELNS0_4arch9wavefront6targetE1EEEvSL_.uses_flat_scratch, 0
	.set _ZN7rocprim17ROCPRIM_400000_NS6detail17trampoline_kernelINS0_14default_configENS1_38merge_sort_block_merge_config_selectorIbiEEZZNS1_27merge_sort_block_merge_implIS3_N6thrust23THRUST_200600_302600_NS6detail15normal_iteratorINS8_10device_ptrIbEEEENSA_INSB_IiEEEEjNS1_19radix_merge_compareILb0ELb1EbNS0_19identity_decomposerEEEEE10hipError_tT0_T1_T2_jT3_P12ihipStream_tbPNSt15iterator_traitsISK_E10value_typeEPNSQ_ISL_E10value_typeEPSM_NS1_7vsmem_tEENKUlT_SK_SL_SM_E_clIPbSD_PiSF_EESJ_SZ_SK_SL_SM_EUlSZ_E1_NS1_11comp_targetILNS1_3genE3ELNS1_11target_archE908ELNS1_3gpuE7ELNS1_3repE0EEENS1_36merge_oddeven_config_static_selectorELNS0_4arch9wavefront6targetE1EEEvSL_.has_dyn_sized_stack, 0
	.set _ZN7rocprim17ROCPRIM_400000_NS6detail17trampoline_kernelINS0_14default_configENS1_38merge_sort_block_merge_config_selectorIbiEEZZNS1_27merge_sort_block_merge_implIS3_N6thrust23THRUST_200600_302600_NS6detail15normal_iteratorINS8_10device_ptrIbEEEENSA_INSB_IiEEEEjNS1_19radix_merge_compareILb0ELb1EbNS0_19identity_decomposerEEEEE10hipError_tT0_T1_T2_jT3_P12ihipStream_tbPNSt15iterator_traitsISK_E10value_typeEPNSQ_ISL_E10value_typeEPSM_NS1_7vsmem_tEENKUlT_SK_SL_SM_E_clIPbSD_PiSF_EESJ_SZ_SK_SL_SM_EUlSZ_E1_NS1_11comp_targetILNS1_3genE3ELNS1_11target_archE908ELNS1_3gpuE7ELNS1_3repE0EEENS1_36merge_oddeven_config_static_selectorELNS0_4arch9wavefront6targetE1EEEvSL_.has_recursion, 0
	.set _ZN7rocprim17ROCPRIM_400000_NS6detail17trampoline_kernelINS0_14default_configENS1_38merge_sort_block_merge_config_selectorIbiEEZZNS1_27merge_sort_block_merge_implIS3_N6thrust23THRUST_200600_302600_NS6detail15normal_iteratorINS8_10device_ptrIbEEEENSA_INSB_IiEEEEjNS1_19radix_merge_compareILb0ELb1EbNS0_19identity_decomposerEEEEE10hipError_tT0_T1_T2_jT3_P12ihipStream_tbPNSt15iterator_traitsISK_E10value_typeEPNSQ_ISL_E10value_typeEPSM_NS1_7vsmem_tEENKUlT_SK_SL_SM_E_clIPbSD_PiSF_EESJ_SZ_SK_SL_SM_EUlSZ_E1_NS1_11comp_targetILNS1_3genE3ELNS1_11target_archE908ELNS1_3gpuE7ELNS1_3repE0EEENS1_36merge_oddeven_config_static_selectorELNS0_4arch9wavefront6targetE1EEEvSL_.has_indirect_call, 0
	.section	.AMDGPU.csdata,"",@progbits
; Kernel info:
; codeLenInByte = 0
; TotalNumSgprs: 6
; NumVgprs: 0
; NumAgprs: 0
; TotalNumVgprs: 0
; ScratchSize: 0
; MemoryBound: 0
; FloatMode: 240
; IeeeMode: 1
; LDSByteSize: 0 bytes/workgroup (compile time only)
; SGPRBlocks: 0
; VGPRBlocks: 0
; NumSGPRsForWavesPerEU: 6
; NumVGPRsForWavesPerEU: 1
; AccumOffset: 4
; Occupancy: 8
; WaveLimiterHint : 0
; COMPUTE_PGM_RSRC2:SCRATCH_EN: 0
; COMPUTE_PGM_RSRC2:USER_SGPR: 2
; COMPUTE_PGM_RSRC2:TRAP_HANDLER: 0
; COMPUTE_PGM_RSRC2:TGID_X_EN: 1
; COMPUTE_PGM_RSRC2:TGID_Y_EN: 0
; COMPUTE_PGM_RSRC2:TGID_Z_EN: 0
; COMPUTE_PGM_RSRC2:TIDIG_COMP_CNT: 0
; COMPUTE_PGM_RSRC3_GFX90A:ACCUM_OFFSET: 0
; COMPUTE_PGM_RSRC3_GFX90A:TG_SPLIT: 0
	.section	.text._ZN7rocprim17ROCPRIM_400000_NS6detail17trampoline_kernelINS0_14default_configENS1_38merge_sort_block_merge_config_selectorIbiEEZZNS1_27merge_sort_block_merge_implIS3_N6thrust23THRUST_200600_302600_NS6detail15normal_iteratorINS8_10device_ptrIbEEEENSA_INSB_IiEEEEjNS1_19radix_merge_compareILb0ELb1EbNS0_19identity_decomposerEEEEE10hipError_tT0_T1_T2_jT3_P12ihipStream_tbPNSt15iterator_traitsISK_E10value_typeEPNSQ_ISL_E10value_typeEPSM_NS1_7vsmem_tEENKUlT_SK_SL_SM_E_clIPbSD_PiSF_EESJ_SZ_SK_SL_SM_EUlSZ_E1_NS1_11comp_targetILNS1_3genE2ELNS1_11target_archE906ELNS1_3gpuE6ELNS1_3repE0EEENS1_36merge_oddeven_config_static_selectorELNS0_4arch9wavefront6targetE1EEEvSL_,"axG",@progbits,_ZN7rocprim17ROCPRIM_400000_NS6detail17trampoline_kernelINS0_14default_configENS1_38merge_sort_block_merge_config_selectorIbiEEZZNS1_27merge_sort_block_merge_implIS3_N6thrust23THRUST_200600_302600_NS6detail15normal_iteratorINS8_10device_ptrIbEEEENSA_INSB_IiEEEEjNS1_19radix_merge_compareILb0ELb1EbNS0_19identity_decomposerEEEEE10hipError_tT0_T1_T2_jT3_P12ihipStream_tbPNSt15iterator_traitsISK_E10value_typeEPNSQ_ISL_E10value_typeEPSM_NS1_7vsmem_tEENKUlT_SK_SL_SM_E_clIPbSD_PiSF_EESJ_SZ_SK_SL_SM_EUlSZ_E1_NS1_11comp_targetILNS1_3genE2ELNS1_11target_archE906ELNS1_3gpuE6ELNS1_3repE0EEENS1_36merge_oddeven_config_static_selectorELNS0_4arch9wavefront6targetE1EEEvSL_,comdat
	.protected	_ZN7rocprim17ROCPRIM_400000_NS6detail17trampoline_kernelINS0_14default_configENS1_38merge_sort_block_merge_config_selectorIbiEEZZNS1_27merge_sort_block_merge_implIS3_N6thrust23THRUST_200600_302600_NS6detail15normal_iteratorINS8_10device_ptrIbEEEENSA_INSB_IiEEEEjNS1_19radix_merge_compareILb0ELb1EbNS0_19identity_decomposerEEEEE10hipError_tT0_T1_T2_jT3_P12ihipStream_tbPNSt15iterator_traitsISK_E10value_typeEPNSQ_ISL_E10value_typeEPSM_NS1_7vsmem_tEENKUlT_SK_SL_SM_E_clIPbSD_PiSF_EESJ_SZ_SK_SL_SM_EUlSZ_E1_NS1_11comp_targetILNS1_3genE2ELNS1_11target_archE906ELNS1_3gpuE6ELNS1_3repE0EEENS1_36merge_oddeven_config_static_selectorELNS0_4arch9wavefront6targetE1EEEvSL_ ; -- Begin function _ZN7rocprim17ROCPRIM_400000_NS6detail17trampoline_kernelINS0_14default_configENS1_38merge_sort_block_merge_config_selectorIbiEEZZNS1_27merge_sort_block_merge_implIS3_N6thrust23THRUST_200600_302600_NS6detail15normal_iteratorINS8_10device_ptrIbEEEENSA_INSB_IiEEEEjNS1_19radix_merge_compareILb0ELb1EbNS0_19identity_decomposerEEEEE10hipError_tT0_T1_T2_jT3_P12ihipStream_tbPNSt15iterator_traitsISK_E10value_typeEPNSQ_ISL_E10value_typeEPSM_NS1_7vsmem_tEENKUlT_SK_SL_SM_E_clIPbSD_PiSF_EESJ_SZ_SK_SL_SM_EUlSZ_E1_NS1_11comp_targetILNS1_3genE2ELNS1_11target_archE906ELNS1_3gpuE6ELNS1_3repE0EEENS1_36merge_oddeven_config_static_selectorELNS0_4arch9wavefront6targetE1EEEvSL_
	.globl	_ZN7rocprim17ROCPRIM_400000_NS6detail17trampoline_kernelINS0_14default_configENS1_38merge_sort_block_merge_config_selectorIbiEEZZNS1_27merge_sort_block_merge_implIS3_N6thrust23THRUST_200600_302600_NS6detail15normal_iteratorINS8_10device_ptrIbEEEENSA_INSB_IiEEEEjNS1_19radix_merge_compareILb0ELb1EbNS0_19identity_decomposerEEEEE10hipError_tT0_T1_T2_jT3_P12ihipStream_tbPNSt15iterator_traitsISK_E10value_typeEPNSQ_ISL_E10value_typeEPSM_NS1_7vsmem_tEENKUlT_SK_SL_SM_E_clIPbSD_PiSF_EESJ_SZ_SK_SL_SM_EUlSZ_E1_NS1_11comp_targetILNS1_3genE2ELNS1_11target_archE906ELNS1_3gpuE6ELNS1_3repE0EEENS1_36merge_oddeven_config_static_selectorELNS0_4arch9wavefront6targetE1EEEvSL_
	.p2align	8
	.type	_ZN7rocprim17ROCPRIM_400000_NS6detail17trampoline_kernelINS0_14default_configENS1_38merge_sort_block_merge_config_selectorIbiEEZZNS1_27merge_sort_block_merge_implIS3_N6thrust23THRUST_200600_302600_NS6detail15normal_iteratorINS8_10device_ptrIbEEEENSA_INSB_IiEEEEjNS1_19radix_merge_compareILb0ELb1EbNS0_19identity_decomposerEEEEE10hipError_tT0_T1_T2_jT3_P12ihipStream_tbPNSt15iterator_traitsISK_E10value_typeEPNSQ_ISL_E10value_typeEPSM_NS1_7vsmem_tEENKUlT_SK_SL_SM_E_clIPbSD_PiSF_EESJ_SZ_SK_SL_SM_EUlSZ_E1_NS1_11comp_targetILNS1_3genE2ELNS1_11target_archE906ELNS1_3gpuE6ELNS1_3repE0EEENS1_36merge_oddeven_config_static_selectorELNS0_4arch9wavefront6targetE1EEEvSL_,@function
_ZN7rocprim17ROCPRIM_400000_NS6detail17trampoline_kernelINS0_14default_configENS1_38merge_sort_block_merge_config_selectorIbiEEZZNS1_27merge_sort_block_merge_implIS3_N6thrust23THRUST_200600_302600_NS6detail15normal_iteratorINS8_10device_ptrIbEEEENSA_INSB_IiEEEEjNS1_19radix_merge_compareILb0ELb1EbNS0_19identity_decomposerEEEEE10hipError_tT0_T1_T2_jT3_P12ihipStream_tbPNSt15iterator_traitsISK_E10value_typeEPNSQ_ISL_E10value_typeEPSM_NS1_7vsmem_tEENKUlT_SK_SL_SM_E_clIPbSD_PiSF_EESJ_SZ_SK_SL_SM_EUlSZ_E1_NS1_11comp_targetILNS1_3genE2ELNS1_11target_archE906ELNS1_3gpuE6ELNS1_3repE0EEENS1_36merge_oddeven_config_static_selectorELNS0_4arch9wavefront6targetE1EEEvSL_: ; @_ZN7rocprim17ROCPRIM_400000_NS6detail17trampoline_kernelINS0_14default_configENS1_38merge_sort_block_merge_config_selectorIbiEEZZNS1_27merge_sort_block_merge_implIS3_N6thrust23THRUST_200600_302600_NS6detail15normal_iteratorINS8_10device_ptrIbEEEENSA_INSB_IiEEEEjNS1_19radix_merge_compareILb0ELb1EbNS0_19identity_decomposerEEEEE10hipError_tT0_T1_T2_jT3_P12ihipStream_tbPNSt15iterator_traitsISK_E10value_typeEPNSQ_ISL_E10value_typeEPSM_NS1_7vsmem_tEENKUlT_SK_SL_SM_E_clIPbSD_PiSF_EESJ_SZ_SK_SL_SM_EUlSZ_E1_NS1_11comp_targetILNS1_3genE2ELNS1_11target_archE906ELNS1_3gpuE6ELNS1_3repE0EEENS1_36merge_oddeven_config_static_selectorELNS0_4arch9wavefront6targetE1EEEvSL_
; %bb.0:
	.section	.rodata,"a",@progbits
	.p2align	6, 0x0
	.amdhsa_kernel _ZN7rocprim17ROCPRIM_400000_NS6detail17trampoline_kernelINS0_14default_configENS1_38merge_sort_block_merge_config_selectorIbiEEZZNS1_27merge_sort_block_merge_implIS3_N6thrust23THRUST_200600_302600_NS6detail15normal_iteratorINS8_10device_ptrIbEEEENSA_INSB_IiEEEEjNS1_19radix_merge_compareILb0ELb1EbNS0_19identity_decomposerEEEEE10hipError_tT0_T1_T2_jT3_P12ihipStream_tbPNSt15iterator_traitsISK_E10value_typeEPNSQ_ISL_E10value_typeEPSM_NS1_7vsmem_tEENKUlT_SK_SL_SM_E_clIPbSD_PiSF_EESJ_SZ_SK_SL_SM_EUlSZ_E1_NS1_11comp_targetILNS1_3genE2ELNS1_11target_archE906ELNS1_3gpuE6ELNS1_3repE0EEENS1_36merge_oddeven_config_static_selectorELNS0_4arch9wavefront6targetE1EEEvSL_
		.amdhsa_group_segment_fixed_size 0
		.amdhsa_private_segment_fixed_size 0
		.amdhsa_kernarg_size 48
		.amdhsa_user_sgpr_count 2
		.amdhsa_user_sgpr_dispatch_ptr 0
		.amdhsa_user_sgpr_queue_ptr 0
		.amdhsa_user_sgpr_kernarg_segment_ptr 1
		.amdhsa_user_sgpr_dispatch_id 0
		.amdhsa_user_sgpr_kernarg_preload_length 0
		.amdhsa_user_sgpr_kernarg_preload_offset 0
		.amdhsa_user_sgpr_private_segment_size 0
		.amdhsa_uses_dynamic_stack 0
		.amdhsa_enable_private_segment 0
		.amdhsa_system_sgpr_workgroup_id_x 1
		.amdhsa_system_sgpr_workgroup_id_y 0
		.amdhsa_system_sgpr_workgroup_id_z 0
		.amdhsa_system_sgpr_workgroup_info 0
		.amdhsa_system_vgpr_workitem_id 0
		.amdhsa_next_free_vgpr 1
		.amdhsa_next_free_sgpr 0
		.amdhsa_accum_offset 4
		.amdhsa_reserve_vcc 0
		.amdhsa_float_round_mode_32 0
		.amdhsa_float_round_mode_16_64 0
		.amdhsa_float_denorm_mode_32 3
		.amdhsa_float_denorm_mode_16_64 3
		.amdhsa_dx10_clamp 1
		.amdhsa_ieee_mode 1
		.amdhsa_fp16_overflow 0
		.amdhsa_tg_split 0
		.amdhsa_exception_fp_ieee_invalid_op 0
		.amdhsa_exception_fp_denorm_src 0
		.amdhsa_exception_fp_ieee_div_zero 0
		.amdhsa_exception_fp_ieee_overflow 0
		.amdhsa_exception_fp_ieee_underflow 0
		.amdhsa_exception_fp_ieee_inexact 0
		.amdhsa_exception_int_div_zero 0
	.end_amdhsa_kernel
	.section	.text._ZN7rocprim17ROCPRIM_400000_NS6detail17trampoline_kernelINS0_14default_configENS1_38merge_sort_block_merge_config_selectorIbiEEZZNS1_27merge_sort_block_merge_implIS3_N6thrust23THRUST_200600_302600_NS6detail15normal_iteratorINS8_10device_ptrIbEEEENSA_INSB_IiEEEEjNS1_19radix_merge_compareILb0ELb1EbNS0_19identity_decomposerEEEEE10hipError_tT0_T1_T2_jT3_P12ihipStream_tbPNSt15iterator_traitsISK_E10value_typeEPNSQ_ISL_E10value_typeEPSM_NS1_7vsmem_tEENKUlT_SK_SL_SM_E_clIPbSD_PiSF_EESJ_SZ_SK_SL_SM_EUlSZ_E1_NS1_11comp_targetILNS1_3genE2ELNS1_11target_archE906ELNS1_3gpuE6ELNS1_3repE0EEENS1_36merge_oddeven_config_static_selectorELNS0_4arch9wavefront6targetE1EEEvSL_,"axG",@progbits,_ZN7rocprim17ROCPRIM_400000_NS6detail17trampoline_kernelINS0_14default_configENS1_38merge_sort_block_merge_config_selectorIbiEEZZNS1_27merge_sort_block_merge_implIS3_N6thrust23THRUST_200600_302600_NS6detail15normal_iteratorINS8_10device_ptrIbEEEENSA_INSB_IiEEEEjNS1_19radix_merge_compareILb0ELb1EbNS0_19identity_decomposerEEEEE10hipError_tT0_T1_T2_jT3_P12ihipStream_tbPNSt15iterator_traitsISK_E10value_typeEPNSQ_ISL_E10value_typeEPSM_NS1_7vsmem_tEENKUlT_SK_SL_SM_E_clIPbSD_PiSF_EESJ_SZ_SK_SL_SM_EUlSZ_E1_NS1_11comp_targetILNS1_3genE2ELNS1_11target_archE906ELNS1_3gpuE6ELNS1_3repE0EEENS1_36merge_oddeven_config_static_selectorELNS0_4arch9wavefront6targetE1EEEvSL_,comdat
.Lfunc_end1987:
	.size	_ZN7rocprim17ROCPRIM_400000_NS6detail17trampoline_kernelINS0_14default_configENS1_38merge_sort_block_merge_config_selectorIbiEEZZNS1_27merge_sort_block_merge_implIS3_N6thrust23THRUST_200600_302600_NS6detail15normal_iteratorINS8_10device_ptrIbEEEENSA_INSB_IiEEEEjNS1_19radix_merge_compareILb0ELb1EbNS0_19identity_decomposerEEEEE10hipError_tT0_T1_T2_jT3_P12ihipStream_tbPNSt15iterator_traitsISK_E10value_typeEPNSQ_ISL_E10value_typeEPSM_NS1_7vsmem_tEENKUlT_SK_SL_SM_E_clIPbSD_PiSF_EESJ_SZ_SK_SL_SM_EUlSZ_E1_NS1_11comp_targetILNS1_3genE2ELNS1_11target_archE906ELNS1_3gpuE6ELNS1_3repE0EEENS1_36merge_oddeven_config_static_selectorELNS0_4arch9wavefront6targetE1EEEvSL_, .Lfunc_end1987-_ZN7rocprim17ROCPRIM_400000_NS6detail17trampoline_kernelINS0_14default_configENS1_38merge_sort_block_merge_config_selectorIbiEEZZNS1_27merge_sort_block_merge_implIS3_N6thrust23THRUST_200600_302600_NS6detail15normal_iteratorINS8_10device_ptrIbEEEENSA_INSB_IiEEEEjNS1_19radix_merge_compareILb0ELb1EbNS0_19identity_decomposerEEEEE10hipError_tT0_T1_T2_jT3_P12ihipStream_tbPNSt15iterator_traitsISK_E10value_typeEPNSQ_ISL_E10value_typeEPSM_NS1_7vsmem_tEENKUlT_SK_SL_SM_E_clIPbSD_PiSF_EESJ_SZ_SK_SL_SM_EUlSZ_E1_NS1_11comp_targetILNS1_3genE2ELNS1_11target_archE906ELNS1_3gpuE6ELNS1_3repE0EEENS1_36merge_oddeven_config_static_selectorELNS0_4arch9wavefront6targetE1EEEvSL_
                                        ; -- End function
	.set _ZN7rocprim17ROCPRIM_400000_NS6detail17trampoline_kernelINS0_14default_configENS1_38merge_sort_block_merge_config_selectorIbiEEZZNS1_27merge_sort_block_merge_implIS3_N6thrust23THRUST_200600_302600_NS6detail15normal_iteratorINS8_10device_ptrIbEEEENSA_INSB_IiEEEEjNS1_19radix_merge_compareILb0ELb1EbNS0_19identity_decomposerEEEEE10hipError_tT0_T1_T2_jT3_P12ihipStream_tbPNSt15iterator_traitsISK_E10value_typeEPNSQ_ISL_E10value_typeEPSM_NS1_7vsmem_tEENKUlT_SK_SL_SM_E_clIPbSD_PiSF_EESJ_SZ_SK_SL_SM_EUlSZ_E1_NS1_11comp_targetILNS1_3genE2ELNS1_11target_archE906ELNS1_3gpuE6ELNS1_3repE0EEENS1_36merge_oddeven_config_static_selectorELNS0_4arch9wavefront6targetE1EEEvSL_.num_vgpr, 0
	.set _ZN7rocprim17ROCPRIM_400000_NS6detail17trampoline_kernelINS0_14default_configENS1_38merge_sort_block_merge_config_selectorIbiEEZZNS1_27merge_sort_block_merge_implIS3_N6thrust23THRUST_200600_302600_NS6detail15normal_iteratorINS8_10device_ptrIbEEEENSA_INSB_IiEEEEjNS1_19radix_merge_compareILb0ELb1EbNS0_19identity_decomposerEEEEE10hipError_tT0_T1_T2_jT3_P12ihipStream_tbPNSt15iterator_traitsISK_E10value_typeEPNSQ_ISL_E10value_typeEPSM_NS1_7vsmem_tEENKUlT_SK_SL_SM_E_clIPbSD_PiSF_EESJ_SZ_SK_SL_SM_EUlSZ_E1_NS1_11comp_targetILNS1_3genE2ELNS1_11target_archE906ELNS1_3gpuE6ELNS1_3repE0EEENS1_36merge_oddeven_config_static_selectorELNS0_4arch9wavefront6targetE1EEEvSL_.num_agpr, 0
	.set _ZN7rocprim17ROCPRIM_400000_NS6detail17trampoline_kernelINS0_14default_configENS1_38merge_sort_block_merge_config_selectorIbiEEZZNS1_27merge_sort_block_merge_implIS3_N6thrust23THRUST_200600_302600_NS6detail15normal_iteratorINS8_10device_ptrIbEEEENSA_INSB_IiEEEEjNS1_19radix_merge_compareILb0ELb1EbNS0_19identity_decomposerEEEEE10hipError_tT0_T1_T2_jT3_P12ihipStream_tbPNSt15iterator_traitsISK_E10value_typeEPNSQ_ISL_E10value_typeEPSM_NS1_7vsmem_tEENKUlT_SK_SL_SM_E_clIPbSD_PiSF_EESJ_SZ_SK_SL_SM_EUlSZ_E1_NS1_11comp_targetILNS1_3genE2ELNS1_11target_archE906ELNS1_3gpuE6ELNS1_3repE0EEENS1_36merge_oddeven_config_static_selectorELNS0_4arch9wavefront6targetE1EEEvSL_.numbered_sgpr, 0
	.set _ZN7rocprim17ROCPRIM_400000_NS6detail17trampoline_kernelINS0_14default_configENS1_38merge_sort_block_merge_config_selectorIbiEEZZNS1_27merge_sort_block_merge_implIS3_N6thrust23THRUST_200600_302600_NS6detail15normal_iteratorINS8_10device_ptrIbEEEENSA_INSB_IiEEEEjNS1_19radix_merge_compareILb0ELb1EbNS0_19identity_decomposerEEEEE10hipError_tT0_T1_T2_jT3_P12ihipStream_tbPNSt15iterator_traitsISK_E10value_typeEPNSQ_ISL_E10value_typeEPSM_NS1_7vsmem_tEENKUlT_SK_SL_SM_E_clIPbSD_PiSF_EESJ_SZ_SK_SL_SM_EUlSZ_E1_NS1_11comp_targetILNS1_3genE2ELNS1_11target_archE906ELNS1_3gpuE6ELNS1_3repE0EEENS1_36merge_oddeven_config_static_selectorELNS0_4arch9wavefront6targetE1EEEvSL_.num_named_barrier, 0
	.set _ZN7rocprim17ROCPRIM_400000_NS6detail17trampoline_kernelINS0_14default_configENS1_38merge_sort_block_merge_config_selectorIbiEEZZNS1_27merge_sort_block_merge_implIS3_N6thrust23THRUST_200600_302600_NS6detail15normal_iteratorINS8_10device_ptrIbEEEENSA_INSB_IiEEEEjNS1_19radix_merge_compareILb0ELb1EbNS0_19identity_decomposerEEEEE10hipError_tT0_T1_T2_jT3_P12ihipStream_tbPNSt15iterator_traitsISK_E10value_typeEPNSQ_ISL_E10value_typeEPSM_NS1_7vsmem_tEENKUlT_SK_SL_SM_E_clIPbSD_PiSF_EESJ_SZ_SK_SL_SM_EUlSZ_E1_NS1_11comp_targetILNS1_3genE2ELNS1_11target_archE906ELNS1_3gpuE6ELNS1_3repE0EEENS1_36merge_oddeven_config_static_selectorELNS0_4arch9wavefront6targetE1EEEvSL_.private_seg_size, 0
	.set _ZN7rocprim17ROCPRIM_400000_NS6detail17trampoline_kernelINS0_14default_configENS1_38merge_sort_block_merge_config_selectorIbiEEZZNS1_27merge_sort_block_merge_implIS3_N6thrust23THRUST_200600_302600_NS6detail15normal_iteratorINS8_10device_ptrIbEEEENSA_INSB_IiEEEEjNS1_19radix_merge_compareILb0ELb1EbNS0_19identity_decomposerEEEEE10hipError_tT0_T1_T2_jT3_P12ihipStream_tbPNSt15iterator_traitsISK_E10value_typeEPNSQ_ISL_E10value_typeEPSM_NS1_7vsmem_tEENKUlT_SK_SL_SM_E_clIPbSD_PiSF_EESJ_SZ_SK_SL_SM_EUlSZ_E1_NS1_11comp_targetILNS1_3genE2ELNS1_11target_archE906ELNS1_3gpuE6ELNS1_3repE0EEENS1_36merge_oddeven_config_static_selectorELNS0_4arch9wavefront6targetE1EEEvSL_.uses_vcc, 0
	.set _ZN7rocprim17ROCPRIM_400000_NS6detail17trampoline_kernelINS0_14default_configENS1_38merge_sort_block_merge_config_selectorIbiEEZZNS1_27merge_sort_block_merge_implIS3_N6thrust23THRUST_200600_302600_NS6detail15normal_iteratorINS8_10device_ptrIbEEEENSA_INSB_IiEEEEjNS1_19radix_merge_compareILb0ELb1EbNS0_19identity_decomposerEEEEE10hipError_tT0_T1_T2_jT3_P12ihipStream_tbPNSt15iterator_traitsISK_E10value_typeEPNSQ_ISL_E10value_typeEPSM_NS1_7vsmem_tEENKUlT_SK_SL_SM_E_clIPbSD_PiSF_EESJ_SZ_SK_SL_SM_EUlSZ_E1_NS1_11comp_targetILNS1_3genE2ELNS1_11target_archE906ELNS1_3gpuE6ELNS1_3repE0EEENS1_36merge_oddeven_config_static_selectorELNS0_4arch9wavefront6targetE1EEEvSL_.uses_flat_scratch, 0
	.set _ZN7rocprim17ROCPRIM_400000_NS6detail17trampoline_kernelINS0_14default_configENS1_38merge_sort_block_merge_config_selectorIbiEEZZNS1_27merge_sort_block_merge_implIS3_N6thrust23THRUST_200600_302600_NS6detail15normal_iteratorINS8_10device_ptrIbEEEENSA_INSB_IiEEEEjNS1_19radix_merge_compareILb0ELb1EbNS0_19identity_decomposerEEEEE10hipError_tT0_T1_T2_jT3_P12ihipStream_tbPNSt15iterator_traitsISK_E10value_typeEPNSQ_ISL_E10value_typeEPSM_NS1_7vsmem_tEENKUlT_SK_SL_SM_E_clIPbSD_PiSF_EESJ_SZ_SK_SL_SM_EUlSZ_E1_NS1_11comp_targetILNS1_3genE2ELNS1_11target_archE906ELNS1_3gpuE6ELNS1_3repE0EEENS1_36merge_oddeven_config_static_selectorELNS0_4arch9wavefront6targetE1EEEvSL_.has_dyn_sized_stack, 0
	.set _ZN7rocprim17ROCPRIM_400000_NS6detail17trampoline_kernelINS0_14default_configENS1_38merge_sort_block_merge_config_selectorIbiEEZZNS1_27merge_sort_block_merge_implIS3_N6thrust23THRUST_200600_302600_NS6detail15normal_iteratorINS8_10device_ptrIbEEEENSA_INSB_IiEEEEjNS1_19radix_merge_compareILb0ELb1EbNS0_19identity_decomposerEEEEE10hipError_tT0_T1_T2_jT3_P12ihipStream_tbPNSt15iterator_traitsISK_E10value_typeEPNSQ_ISL_E10value_typeEPSM_NS1_7vsmem_tEENKUlT_SK_SL_SM_E_clIPbSD_PiSF_EESJ_SZ_SK_SL_SM_EUlSZ_E1_NS1_11comp_targetILNS1_3genE2ELNS1_11target_archE906ELNS1_3gpuE6ELNS1_3repE0EEENS1_36merge_oddeven_config_static_selectorELNS0_4arch9wavefront6targetE1EEEvSL_.has_recursion, 0
	.set _ZN7rocprim17ROCPRIM_400000_NS6detail17trampoline_kernelINS0_14default_configENS1_38merge_sort_block_merge_config_selectorIbiEEZZNS1_27merge_sort_block_merge_implIS3_N6thrust23THRUST_200600_302600_NS6detail15normal_iteratorINS8_10device_ptrIbEEEENSA_INSB_IiEEEEjNS1_19radix_merge_compareILb0ELb1EbNS0_19identity_decomposerEEEEE10hipError_tT0_T1_T2_jT3_P12ihipStream_tbPNSt15iterator_traitsISK_E10value_typeEPNSQ_ISL_E10value_typeEPSM_NS1_7vsmem_tEENKUlT_SK_SL_SM_E_clIPbSD_PiSF_EESJ_SZ_SK_SL_SM_EUlSZ_E1_NS1_11comp_targetILNS1_3genE2ELNS1_11target_archE906ELNS1_3gpuE6ELNS1_3repE0EEENS1_36merge_oddeven_config_static_selectorELNS0_4arch9wavefront6targetE1EEEvSL_.has_indirect_call, 0
	.section	.AMDGPU.csdata,"",@progbits
; Kernel info:
; codeLenInByte = 0
; TotalNumSgprs: 6
; NumVgprs: 0
; NumAgprs: 0
; TotalNumVgprs: 0
; ScratchSize: 0
; MemoryBound: 0
; FloatMode: 240
; IeeeMode: 1
; LDSByteSize: 0 bytes/workgroup (compile time only)
; SGPRBlocks: 0
; VGPRBlocks: 0
; NumSGPRsForWavesPerEU: 6
; NumVGPRsForWavesPerEU: 1
; AccumOffset: 4
; Occupancy: 8
; WaveLimiterHint : 0
; COMPUTE_PGM_RSRC2:SCRATCH_EN: 0
; COMPUTE_PGM_RSRC2:USER_SGPR: 2
; COMPUTE_PGM_RSRC2:TRAP_HANDLER: 0
; COMPUTE_PGM_RSRC2:TGID_X_EN: 1
; COMPUTE_PGM_RSRC2:TGID_Y_EN: 0
; COMPUTE_PGM_RSRC2:TGID_Z_EN: 0
; COMPUTE_PGM_RSRC2:TIDIG_COMP_CNT: 0
; COMPUTE_PGM_RSRC3_GFX90A:ACCUM_OFFSET: 0
; COMPUTE_PGM_RSRC3_GFX90A:TG_SPLIT: 0
	.section	.text._ZN7rocprim17ROCPRIM_400000_NS6detail17trampoline_kernelINS0_14default_configENS1_38merge_sort_block_merge_config_selectorIbiEEZZNS1_27merge_sort_block_merge_implIS3_N6thrust23THRUST_200600_302600_NS6detail15normal_iteratorINS8_10device_ptrIbEEEENSA_INSB_IiEEEEjNS1_19radix_merge_compareILb0ELb1EbNS0_19identity_decomposerEEEEE10hipError_tT0_T1_T2_jT3_P12ihipStream_tbPNSt15iterator_traitsISK_E10value_typeEPNSQ_ISL_E10value_typeEPSM_NS1_7vsmem_tEENKUlT_SK_SL_SM_E_clIPbSD_PiSF_EESJ_SZ_SK_SL_SM_EUlSZ_E1_NS1_11comp_targetILNS1_3genE9ELNS1_11target_archE1100ELNS1_3gpuE3ELNS1_3repE0EEENS1_36merge_oddeven_config_static_selectorELNS0_4arch9wavefront6targetE1EEEvSL_,"axG",@progbits,_ZN7rocprim17ROCPRIM_400000_NS6detail17trampoline_kernelINS0_14default_configENS1_38merge_sort_block_merge_config_selectorIbiEEZZNS1_27merge_sort_block_merge_implIS3_N6thrust23THRUST_200600_302600_NS6detail15normal_iteratorINS8_10device_ptrIbEEEENSA_INSB_IiEEEEjNS1_19radix_merge_compareILb0ELb1EbNS0_19identity_decomposerEEEEE10hipError_tT0_T1_T2_jT3_P12ihipStream_tbPNSt15iterator_traitsISK_E10value_typeEPNSQ_ISL_E10value_typeEPSM_NS1_7vsmem_tEENKUlT_SK_SL_SM_E_clIPbSD_PiSF_EESJ_SZ_SK_SL_SM_EUlSZ_E1_NS1_11comp_targetILNS1_3genE9ELNS1_11target_archE1100ELNS1_3gpuE3ELNS1_3repE0EEENS1_36merge_oddeven_config_static_selectorELNS0_4arch9wavefront6targetE1EEEvSL_,comdat
	.protected	_ZN7rocprim17ROCPRIM_400000_NS6detail17trampoline_kernelINS0_14default_configENS1_38merge_sort_block_merge_config_selectorIbiEEZZNS1_27merge_sort_block_merge_implIS3_N6thrust23THRUST_200600_302600_NS6detail15normal_iteratorINS8_10device_ptrIbEEEENSA_INSB_IiEEEEjNS1_19radix_merge_compareILb0ELb1EbNS0_19identity_decomposerEEEEE10hipError_tT0_T1_T2_jT3_P12ihipStream_tbPNSt15iterator_traitsISK_E10value_typeEPNSQ_ISL_E10value_typeEPSM_NS1_7vsmem_tEENKUlT_SK_SL_SM_E_clIPbSD_PiSF_EESJ_SZ_SK_SL_SM_EUlSZ_E1_NS1_11comp_targetILNS1_3genE9ELNS1_11target_archE1100ELNS1_3gpuE3ELNS1_3repE0EEENS1_36merge_oddeven_config_static_selectorELNS0_4arch9wavefront6targetE1EEEvSL_ ; -- Begin function _ZN7rocprim17ROCPRIM_400000_NS6detail17trampoline_kernelINS0_14default_configENS1_38merge_sort_block_merge_config_selectorIbiEEZZNS1_27merge_sort_block_merge_implIS3_N6thrust23THRUST_200600_302600_NS6detail15normal_iteratorINS8_10device_ptrIbEEEENSA_INSB_IiEEEEjNS1_19radix_merge_compareILb0ELb1EbNS0_19identity_decomposerEEEEE10hipError_tT0_T1_T2_jT3_P12ihipStream_tbPNSt15iterator_traitsISK_E10value_typeEPNSQ_ISL_E10value_typeEPSM_NS1_7vsmem_tEENKUlT_SK_SL_SM_E_clIPbSD_PiSF_EESJ_SZ_SK_SL_SM_EUlSZ_E1_NS1_11comp_targetILNS1_3genE9ELNS1_11target_archE1100ELNS1_3gpuE3ELNS1_3repE0EEENS1_36merge_oddeven_config_static_selectorELNS0_4arch9wavefront6targetE1EEEvSL_
	.globl	_ZN7rocprim17ROCPRIM_400000_NS6detail17trampoline_kernelINS0_14default_configENS1_38merge_sort_block_merge_config_selectorIbiEEZZNS1_27merge_sort_block_merge_implIS3_N6thrust23THRUST_200600_302600_NS6detail15normal_iteratorINS8_10device_ptrIbEEEENSA_INSB_IiEEEEjNS1_19radix_merge_compareILb0ELb1EbNS0_19identity_decomposerEEEEE10hipError_tT0_T1_T2_jT3_P12ihipStream_tbPNSt15iterator_traitsISK_E10value_typeEPNSQ_ISL_E10value_typeEPSM_NS1_7vsmem_tEENKUlT_SK_SL_SM_E_clIPbSD_PiSF_EESJ_SZ_SK_SL_SM_EUlSZ_E1_NS1_11comp_targetILNS1_3genE9ELNS1_11target_archE1100ELNS1_3gpuE3ELNS1_3repE0EEENS1_36merge_oddeven_config_static_selectorELNS0_4arch9wavefront6targetE1EEEvSL_
	.p2align	8
	.type	_ZN7rocprim17ROCPRIM_400000_NS6detail17trampoline_kernelINS0_14default_configENS1_38merge_sort_block_merge_config_selectorIbiEEZZNS1_27merge_sort_block_merge_implIS3_N6thrust23THRUST_200600_302600_NS6detail15normal_iteratorINS8_10device_ptrIbEEEENSA_INSB_IiEEEEjNS1_19radix_merge_compareILb0ELb1EbNS0_19identity_decomposerEEEEE10hipError_tT0_T1_T2_jT3_P12ihipStream_tbPNSt15iterator_traitsISK_E10value_typeEPNSQ_ISL_E10value_typeEPSM_NS1_7vsmem_tEENKUlT_SK_SL_SM_E_clIPbSD_PiSF_EESJ_SZ_SK_SL_SM_EUlSZ_E1_NS1_11comp_targetILNS1_3genE9ELNS1_11target_archE1100ELNS1_3gpuE3ELNS1_3repE0EEENS1_36merge_oddeven_config_static_selectorELNS0_4arch9wavefront6targetE1EEEvSL_,@function
_ZN7rocprim17ROCPRIM_400000_NS6detail17trampoline_kernelINS0_14default_configENS1_38merge_sort_block_merge_config_selectorIbiEEZZNS1_27merge_sort_block_merge_implIS3_N6thrust23THRUST_200600_302600_NS6detail15normal_iteratorINS8_10device_ptrIbEEEENSA_INSB_IiEEEEjNS1_19radix_merge_compareILb0ELb1EbNS0_19identity_decomposerEEEEE10hipError_tT0_T1_T2_jT3_P12ihipStream_tbPNSt15iterator_traitsISK_E10value_typeEPNSQ_ISL_E10value_typeEPSM_NS1_7vsmem_tEENKUlT_SK_SL_SM_E_clIPbSD_PiSF_EESJ_SZ_SK_SL_SM_EUlSZ_E1_NS1_11comp_targetILNS1_3genE9ELNS1_11target_archE1100ELNS1_3gpuE3ELNS1_3repE0EEENS1_36merge_oddeven_config_static_selectorELNS0_4arch9wavefront6targetE1EEEvSL_: ; @_ZN7rocprim17ROCPRIM_400000_NS6detail17trampoline_kernelINS0_14default_configENS1_38merge_sort_block_merge_config_selectorIbiEEZZNS1_27merge_sort_block_merge_implIS3_N6thrust23THRUST_200600_302600_NS6detail15normal_iteratorINS8_10device_ptrIbEEEENSA_INSB_IiEEEEjNS1_19radix_merge_compareILb0ELb1EbNS0_19identity_decomposerEEEEE10hipError_tT0_T1_T2_jT3_P12ihipStream_tbPNSt15iterator_traitsISK_E10value_typeEPNSQ_ISL_E10value_typeEPSM_NS1_7vsmem_tEENKUlT_SK_SL_SM_E_clIPbSD_PiSF_EESJ_SZ_SK_SL_SM_EUlSZ_E1_NS1_11comp_targetILNS1_3genE9ELNS1_11target_archE1100ELNS1_3gpuE3ELNS1_3repE0EEENS1_36merge_oddeven_config_static_selectorELNS0_4arch9wavefront6targetE1EEEvSL_
; %bb.0:
	.section	.rodata,"a",@progbits
	.p2align	6, 0x0
	.amdhsa_kernel _ZN7rocprim17ROCPRIM_400000_NS6detail17trampoline_kernelINS0_14default_configENS1_38merge_sort_block_merge_config_selectorIbiEEZZNS1_27merge_sort_block_merge_implIS3_N6thrust23THRUST_200600_302600_NS6detail15normal_iteratorINS8_10device_ptrIbEEEENSA_INSB_IiEEEEjNS1_19radix_merge_compareILb0ELb1EbNS0_19identity_decomposerEEEEE10hipError_tT0_T1_T2_jT3_P12ihipStream_tbPNSt15iterator_traitsISK_E10value_typeEPNSQ_ISL_E10value_typeEPSM_NS1_7vsmem_tEENKUlT_SK_SL_SM_E_clIPbSD_PiSF_EESJ_SZ_SK_SL_SM_EUlSZ_E1_NS1_11comp_targetILNS1_3genE9ELNS1_11target_archE1100ELNS1_3gpuE3ELNS1_3repE0EEENS1_36merge_oddeven_config_static_selectorELNS0_4arch9wavefront6targetE1EEEvSL_
		.amdhsa_group_segment_fixed_size 0
		.amdhsa_private_segment_fixed_size 0
		.amdhsa_kernarg_size 48
		.amdhsa_user_sgpr_count 2
		.amdhsa_user_sgpr_dispatch_ptr 0
		.amdhsa_user_sgpr_queue_ptr 0
		.amdhsa_user_sgpr_kernarg_segment_ptr 1
		.amdhsa_user_sgpr_dispatch_id 0
		.amdhsa_user_sgpr_kernarg_preload_length 0
		.amdhsa_user_sgpr_kernarg_preload_offset 0
		.amdhsa_user_sgpr_private_segment_size 0
		.amdhsa_uses_dynamic_stack 0
		.amdhsa_enable_private_segment 0
		.amdhsa_system_sgpr_workgroup_id_x 1
		.amdhsa_system_sgpr_workgroup_id_y 0
		.amdhsa_system_sgpr_workgroup_id_z 0
		.amdhsa_system_sgpr_workgroup_info 0
		.amdhsa_system_vgpr_workitem_id 0
		.amdhsa_next_free_vgpr 1
		.amdhsa_next_free_sgpr 0
		.amdhsa_accum_offset 4
		.amdhsa_reserve_vcc 0
		.amdhsa_float_round_mode_32 0
		.amdhsa_float_round_mode_16_64 0
		.amdhsa_float_denorm_mode_32 3
		.amdhsa_float_denorm_mode_16_64 3
		.amdhsa_dx10_clamp 1
		.amdhsa_ieee_mode 1
		.amdhsa_fp16_overflow 0
		.amdhsa_tg_split 0
		.amdhsa_exception_fp_ieee_invalid_op 0
		.amdhsa_exception_fp_denorm_src 0
		.amdhsa_exception_fp_ieee_div_zero 0
		.amdhsa_exception_fp_ieee_overflow 0
		.amdhsa_exception_fp_ieee_underflow 0
		.amdhsa_exception_fp_ieee_inexact 0
		.amdhsa_exception_int_div_zero 0
	.end_amdhsa_kernel
	.section	.text._ZN7rocprim17ROCPRIM_400000_NS6detail17trampoline_kernelINS0_14default_configENS1_38merge_sort_block_merge_config_selectorIbiEEZZNS1_27merge_sort_block_merge_implIS3_N6thrust23THRUST_200600_302600_NS6detail15normal_iteratorINS8_10device_ptrIbEEEENSA_INSB_IiEEEEjNS1_19radix_merge_compareILb0ELb1EbNS0_19identity_decomposerEEEEE10hipError_tT0_T1_T2_jT3_P12ihipStream_tbPNSt15iterator_traitsISK_E10value_typeEPNSQ_ISL_E10value_typeEPSM_NS1_7vsmem_tEENKUlT_SK_SL_SM_E_clIPbSD_PiSF_EESJ_SZ_SK_SL_SM_EUlSZ_E1_NS1_11comp_targetILNS1_3genE9ELNS1_11target_archE1100ELNS1_3gpuE3ELNS1_3repE0EEENS1_36merge_oddeven_config_static_selectorELNS0_4arch9wavefront6targetE1EEEvSL_,"axG",@progbits,_ZN7rocprim17ROCPRIM_400000_NS6detail17trampoline_kernelINS0_14default_configENS1_38merge_sort_block_merge_config_selectorIbiEEZZNS1_27merge_sort_block_merge_implIS3_N6thrust23THRUST_200600_302600_NS6detail15normal_iteratorINS8_10device_ptrIbEEEENSA_INSB_IiEEEEjNS1_19radix_merge_compareILb0ELb1EbNS0_19identity_decomposerEEEEE10hipError_tT0_T1_T2_jT3_P12ihipStream_tbPNSt15iterator_traitsISK_E10value_typeEPNSQ_ISL_E10value_typeEPSM_NS1_7vsmem_tEENKUlT_SK_SL_SM_E_clIPbSD_PiSF_EESJ_SZ_SK_SL_SM_EUlSZ_E1_NS1_11comp_targetILNS1_3genE9ELNS1_11target_archE1100ELNS1_3gpuE3ELNS1_3repE0EEENS1_36merge_oddeven_config_static_selectorELNS0_4arch9wavefront6targetE1EEEvSL_,comdat
.Lfunc_end1988:
	.size	_ZN7rocprim17ROCPRIM_400000_NS6detail17trampoline_kernelINS0_14default_configENS1_38merge_sort_block_merge_config_selectorIbiEEZZNS1_27merge_sort_block_merge_implIS3_N6thrust23THRUST_200600_302600_NS6detail15normal_iteratorINS8_10device_ptrIbEEEENSA_INSB_IiEEEEjNS1_19radix_merge_compareILb0ELb1EbNS0_19identity_decomposerEEEEE10hipError_tT0_T1_T2_jT3_P12ihipStream_tbPNSt15iterator_traitsISK_E10value_typeEPNSQ_ISL_E10value_typeEPSM_NS1_7vsmem_tEENKUlT_SK_SL_SM_E_clIPbSD_PiSF_EESJ_SZ_SK_SL_SM_EUlSZ_E1_NS1_11comp_targetILNS1_3genE9ELNS1_11target_archE1100ELNS1_3gpuE3ELNS1_3repE0EEENS1_36merge_oddeven_config_static_selectorELNS0_4arch9wavefront6targetE1EEEvSL_, .Lfunc_end1988-_ZN7rocprim17ROCPRIM_400000_NS6detail17trampoline_kernelINS0_14default_configENS1_38merge_sort_block_merge_config_selectorIbiEEZZNS1_27merge_sort_block_merge_implIS3_N6thrust23THRUST_200600_302600_NS6detail15normal_iteratorINS8_10device_ptrIbEEEENSA_INSB_IiEEEEjNS1_19radix_merge_compareILb0ELb1EbNS0_19identity_decomposerEEEEE10hipError_tT0_T1_T2_jT3_P12ihipStream_tbPNSt15iterator_traitsISK_E10value_typeEPNSQ_ISL_E10value_typeEPSM_NS1_7vsmem_tEENKUlT_SK_SL_SM_E_clIPbSD_PiSF_EESJ_SZ_SK_SL_SM_EUlSZ_E1_NS1_11comp_targetILNS1_3genE9ELNS1_11target_archE1100ELNS1_3gpuE3ELNS1_3repE0EEENS1_36merge_oddeven_config_static_selectorELNS0_4arch9wavefront6targetE1EEEvSL_
                                        ; -- End function
	.set _ZN7rocprim17ROCPRIM_400000_NS6detail17trampoline_kernelINS0_14default_configENS1_38merge_sort_block_merge_config_selectorIbiEEZZNS1_27merge_sort_block_merge_implIS3_N6thrust23THRUST_200600_302600_NS6detail15normal_iteratorINS8_10device_ptrIbEEEENSA_INSB_IiEEEEjNS1_19radix_merge_compareILb0ELb1EbNS0_19identity_decomposerEEEEE10hipError_tT0_T1_T2_jT3_P12ihipStream_tbPNSt15iterator_traitsISK_E10value_typeEPNSQ_ISL_E10value_typeEPSM_NS1_7vsmem_tEENKUlT_SK_SL_SM_E_clIPbSD_PiSF_EESJ_SZ_SK_SL_SM_EUlSZ_E1_NS1_11comp_targetILNS1_3genE9ELNS1_11target_archE1100ELNS1_3gpuE3ELNS1_3repE0EEENS1_36merge_oddeven_config_static_selectorELNS0_4arch9wavefront6targetE1EEEvSL_.num_vgpr, 0
	.set _ZN7rocprim17ROCPRIM_400000_NS6detail17trampoline_kernelINS0_14default_configENS1_38merge_sort_block_merge_config_selectorIbiEEZZNS1_27merge_sort_block_merge_implIS3_N6thrust23THRUST_200600_302600_NS6detail15normal_iteratorINS8_10device_ptrIbEEEENSA_INSB_IiEEEEjNS1_19radix_merge_compareILb0ELb1EbNS0_19identity_decomposerEEEEE10hipError_tT0_T1_T2_jT3_P12ihipStream_tbPNSt15iterator_traitsISK_E10value_typeEPNSQ_ISL_E10value_typeEPSM_NS1_7vsmem_tEENKUlT_SK_SL_SM_E_clIPbSD_PiSF_EESJ_SZ_SK_SL_SM_EUlSZ_E1_NS1_11comp_targetILNS1_3genE9ELNS1_11target_archE1100ELNS1_3gpuE3ELNS1_3repE0EEENS1_36merge_oddeven_config_static_selectorELNS0_4arch9wavefront6targetE1EEEvSL_.num_agpr, 0
	.set _ZN7rocprim17ROCPRIM_400000_NS6detail17trampoline_kernelINS0_14default_configENS1_38merge_sort_block_merge_config_selectorIbiEEZZNS1_27merge_sort_block_merge_implIS3_N6thrust23THRUST_200600_302600_NS6detail15normal_iteratorINS8_10device_ptrIbEEEENSA_INSB_IiEEEEjNS1_19radix_merge_compareILb0ELb1EbNS0_19identity_decomposerEEEEE10hipError_tT0_T1_T2_jT3_P12ihipStream_tbPNSt15iterator_traitsISK_E10value_typeEPNSQ_ISL_E10value_typeEPSM_NS1_7vsmem_tEENKUlT_SK_SL_SM_E_clIPbSD_PiSF_EESJ_SZ_SK_SL_SM_EUlSZ_E1_NS1_11comp_targetILNS1_3genE9ELNS1_11target_archE1100ELNS1_3gpuE3ELNS1_3repE0EEENS1_36merge_oddeven_config_static_selectorELNS0_4arch9wavefront6targetE1EEEvSL_.numbered_sgpr, 0
	.set _ZN7rocprim17ROCPRIM_400000_NS6detail17trampoline_kernelINS0_14default_configENS1_38merge_sort_block_merge_config_selectorIbiEEZZNS1_27merge_sort_block_merge_implIS3_N6thrust23THRUST_200600_302600_NS6detail15normal_iteratorINS8_10device_ptrIbEEEENSA_INSB_IiEEEEjNS1_19radix_merge_compareILb0ELb1EbNS0_19identity_decomposerEEEEE10hipError_tT0_T1_T2_jT3_P12ihipStream_tbPNSt15iterator_traitsISK_E10value_typeEPNSQ_ISL_E10value_typeEPSM_NS1_7vsmem_tEENKUlT_SK_SL_SM_E_clIPbSD_PiSF_EESJ_SZ_SK_SL_SM_EUlSZ_E1_NS1_11comp_targetILNS1_3genE9ELNS1_11target_archE1100ELNS1_3gpuE3ELNS1_3repE0EEENS1_36merge_oddeven_config_static_selectorELNS0_4arch9wavefront6targetE1EEEvSL_.num_named_barrier, 0
	.set _ZN7rocprim17ROCPRIM_400000_NS6detail17trampoline_kernelINS0_14default_configENS1_38merge_sort_block_merge_config_selectorIbiEEZZNS1_27merge_sort_block_merge_implIS3_N6thrust23THRUST_200600_302600_NS6detail15normal_iteratorINS8_10device_ptrIbEEEENSA_INSB_IiEEEEjNS1_19radix_merge_compareILb0ELb1EbNS0_19identity_decomposerEEEEE10hipError_tT0_T1_T2_jT3_P12ihipStream_tbPNSt15iterator_traitsISK_E10value_typeEPNSQ_ISL_E10value_typeEPSM_NS1_7vsmem_tEENKUlT_SK_SL_SM_E_clIPbSD_PiSF_EESJ_SZ_SK_SL_SM_EUlSZ_E1_NS1_11comp_targetILNS1_3genE9ELNS1_11target_archE1100ELNS1_3gpuE3ELNS1_3repE0EEENS1_36merge_oddeven_config_static_selectorELNS0_4arch9wavefront6targetE1EEEvSL_.private_seg_size, 0
	.set _ZN7rocprim17ROCPRIM_400000_NS6detail17trampoline_kernelINS0_14default_configENS1_38merge_sort_block_merge_config_selectorIbiEEZZNS1_27merge_sort_block_merge_implIS3_N6thrust23THRUST_200600_302600_NS6detail15normal_iteratorINS8_10device_ptrIbEEEENSA_INSB_IiEEEEjNS1_19radix_merge_compareILb0ELb1EbNS0_19identity_decomposerEEEEE10hipError_tT0_T1_T2_jT3_P12ihipStream_tbPNSt15iterator_traitsISK_E10value_typeEPNSQ_ISL_E10value_typeEPSM_NS1_7vsmem_tEENKUlT_SK_SL_SM_E_clIPbSD_PiSF_EESJ_SZ_SK_SL_SM_EUlSZ_E1_NS1_11comp_targetILNS1_3genE9ELNS1_11target_archE1100ELNS1_3gpuE3ELNS1_3repE0EEENS1_36merge_oddeven_config_static_selectorELNS0_4arch9wavefront6targetE1EEEvSL_.uses_vcc, 0
	.set _ZN7rocprim17ROCPRIM_400000_NS6detail17trampoline_kernelINS0_14default_configENS1_38merge_sort_block_merge_config_selectorIbiEEZZNS1_27merge_sort_block_merge_implIS3_N6thrust23THRUST_200600_302600_NS6detail15normal_iteratorINS8_10device_ptrIbEEEENSA_INSB_IiEEEEjNS1_19radix_merge_compareILb0ELb1EbNS0_19identity_decomposerEEEEE10hipError_tT0_T1_T2_jT3_P12ihipStream_tbPNSt15iterator_traitsISK_E10value_typeEPNSQ_ISL_E10value_typeEPSM_NS1_7vsmem_tEENKUlT_SK_SL_SM_E_clIPbSD_PiSF_EESJ_SZ_SK_SL_SM_EUlSZ_E1_NS1_11comp_targetILNS1_3genE9ELNS1_11target_archE1100ELNS1_3gpuE3ELNS1_3repE0EEENS1_36merge_oddeven_config_static_selectorELNS0_4arch9wavefront6targetE1EEEvSL_.uses_flat_scratch, 0
	.set _ZN7rocprim17ROCPRIM_400000_NS6detail17trampoline_kernelINS0_14default_configENS1_38merge_sort_block_merge_config_selectorIbiEEZZNS1_27merge_sort_block_merge_implIS3_N6thrust23THRUST_200600_302600_NS6detail15normal_iteratorINS8_10device_ptrIbEEEENSA_INSB_IiEEEEjNS1_19radix_merge_compareILb0ELb1EbNS0_19identity_decomposerEEEEE10hipError_tT0_T1_T2_jT3_P12ihipStream_tbPNSt15iterator_traitsISK_E10value_typeEPNSQ_ISL_E10value_typeEPSM_NS1_7vsmem_tEENKUlT_SK_SL_SM_E_clIPbSD_PiSF_EESJ_SZ_SK_SL_SM_EUlSZ_E1_NS1_11comp_targetILNS1_3genE9ELNS1_11target_archE1100ELNS1_3gpuE3ELNS1_3repE0EEENS1_36merge_oddeven_config_static_selectorELNS0_4arch9wavefront6targetE1EEEvSL_.has_dyn_sized_stack, 0
	.set _ZN7rocprim17ROCPRIM_400000_NS6detail17trampoline_kernelINS0_14default_configENS1_38merge_sort_block_merge_config_selectorIbiEEZZNS1_27merge_sort_block_merge_implIS3_N6thrust23THRUST_200600_302600_NS6detail15normal_iteratorINS8_10device_ptrIbEEEENSA_INSB_IiEEEEjNS1_19radix_merge_compareILb0ELb1EbNS0_19identity_decomposerEEEEE10hipError_tT0_T1_T2_jT3_P12ihipStream_tbPNSt15iterator_traitsISK_E10value_typeEPNSQ_ISL_E10value_typeEPSM_NS1_7vsmem_tEENKUlT_SK_SL_SM_E_clIPbSD_PiSF_EESJ_SZ_SK_SL_SM_EUlSZ_E1_NS1_11comp_targetILNS1_3genE9ELNS1_11target_archE1100ELNS1_3gpuE3ELNS1_3repE0EEENS1_36merge_oddeven_config_static_selectorELNS0_4arch9wavefront6targetE1EEEvSL_.has_recursion, 0
	.set _ZN7rocprim17ROCPRIM_400000_NS6detail17trampoline_kernelINS0_14default_configENS1_38merge_sort_block_merge_config_selectorIbiEEZZNS1_27merge_sort_block_merge_implIS3_N6thrust23THRUST_200600_302600_NS6detail15normal_iteratorINS8_10device_ptrIbEEEENSA_INSB_IiEEEEjNS1_19radix_merge_compareILb0ELb1EbNS0_19identity_decomposerEEEEE10hipError_tT0_T1_T2_jT3_P12ihipStream_tbPNSt15iterator_traitsISK_E10value_typeEPNSQ_ISL_E10value_typeEPSM_NS1_7vsmem_tEENKUlT_SK_SL_SM_E_clIPbSD_PiSF_EESJ_SZ_SK_SL_SM_EUlSZ_E1_NS1_11comp_targetILNS1_3genE9ELNS1_11target_archE1100ELNS1_3gpuE3ELNS1_3repE0EEENS1_36merge_oddeven_config_static_selectorELNS0_4arch9wavefront6targetE1EEEvSL_.has_indirect_call, 0
	.section	.AMDGPU.csdata,"",@progbits
; Kernel info:
; codeLenInByte = 0
; TotalNumSgprs: 6
; NumVgprs: 0
; NumAgprs: 0
; TotalNumVgprs: 0
; ScratchSize: 0
; MemoryBound: 0
; FloatMode: 240
; IeeeMode: 1
; LDSByteSize: 0 bytes/workgroup (compile time only)
; SGPRBlocks: 0
; VGPRBlocks: 0
; NumSGPRsForWavesPerEU: 6
; NumVGPRsForWavesPerEU: 1
; AccumOffset: 4
; Occupancy: 8
; WaveLimiterHint : 0
; COMPUTE_PGM_RSRC2:SCRATCH_EN: 0
; COMPUTE_PGM_RSRC2:USER_SGPR: 2
; COMPUTE_PGM_RSRC2:TRAP_HANDLER: 0
; COMPUTE_PGM_RSRC2:TGID_X_EN: 1
; COMPUTE_PGM_RSRC2:TGID_Y_EN: 0
; COMPUTE_PGM_RSRC2:TGID_Z_EN: 0
; COMPUTE_PGM_RSRC2:TIDIG_COMP_CNT: 0
; COMPUTE_PGM_RSRC3_GFX90A:ACCUM_OFFSET: 0
; COMPUTE_PGM_RSRC3_GFX90A:TG_SPLIT: 0
	.section	.text._ZN7rocprim17ROCPRIM_400000_NS6detail17trampoline_kernelINS0_14default_configENS1_38merge_sort_block_merge_config_selectorIbiEEZZNS1_27merge_sort_block_merge_implIS3_N6thrust23THRUST_200600_302600_NS6detail15normal_iteratorINS8_10device_ptrIbEEEENSA_INSB_IiEEEEjNS1_19radix_merge_compareILb0ELb1EbNS0_19identity_decomposerEEEEE10hipError_tT0_T1_T2_jT3_P12ihipStream_tbPNSt15iterator_traitsISK_E10value_typeEPNSQ_ISL_E10value_typeEPSM_NS1_7vsmem_tEENKUlT_SK_SL_SM_E_clIPbSD_PiSF_EESJ_SZ_SK_SL_SM_EUlSZ_E1_NS1_11comp_targetILNS1_3genE8ELNS1_11target_archE1030ELNS1_3gpuE2ELNS1_3repE0EEENS1_36merge_oddeven_config_static_selectorELNS0_4arch9wavefront6targetE1EEEvSL_,"axG",@progbits,_ZN7rocprim17ROCPRIM_400000_NS6detail17trampoline_kernelINS0_14default_configENS1_38merge_sort_block_merge_config_selectorIbiEEZZNS1_27merge_sort_block_merge_implIS3_N6thrust23THRUST_200600_302600_NS6detail15normal_iteratorINS8_10device_ptrIbEEEENSA_INSB_IiEEEEjNS1_19radix_merge_compareILb0ELb1EbNS0_19identity_decomposerEEEEE10hipError_tT0_T1_T2_jT3_P12ihipStream_tbPNSt15iterator_traitsISK_E10value_typeEPNSQ_ISL_E10value_typeEPSM_NS1_7vsmem_tEENKUlT_SK_SL_SM_E_clIPbSD_PiSF_EESJ_SZ_SK_SL_SM_EUlSZ_E1_NS1_11comp_targetILNS1_3genE8ELNS1_11target_archE1030ELNS1_3gpuE2ELNS1_3repE0EEENS1_36merge_oddeven_config_static_selectorELNS0_4arch9wavefront6targetE1EEEvSL_,comdat
	.protected	_ZN7rocprim17ROCPRIM_400000_NS6detail17trampoline_kernelINS0_14default_configENS1_38merge_sort_block_merge_config_selectorIbiEEZZNS1_27merge_sort_block_merge_implIS3_N6thrust23THRUST_200600_302600_NS6detail15normal_iteratorINS8_10device_ptrIbEEEENSA_INSB_IiEEEEjNS1_19radix_merge_compareILb0ELb1EbNS0_19identity_decomposerEEEEE10hipError_tT0_T1_T2_jT3_P12ihipStream_tbPNSt15iterator_traitsISK_E10value_typeEPNSQ_ISL_E10value_typeEPSM_NS1_7vsmem_tEENKUlT_SK_SL_SM_E_clIPbSD_PiSF_EESJ_SZ_SK_SL_SM_EUlSZ_E1_NS1_11comp_targetILNS1_3genE8ELNS1_11target_archE1030ELNS1_3gpuE2ELNS1_3repE0EEENS1_36merge_oddeven_config_static_selectorELNS0_4arch9wavefront6targetE1EEEvSL_ ; -- Begin function _ZN7rocprim17ROCPRIM_400000_NS6detail17trampoline_kernelINS0_14default_configENS1_38merge_sort_block_merge_config_selectorIbiEEZZNS1_27merge_sort_block_merge_implIS3_N6thrust23THRUST_200600_302600_NS6detail15normal_iteratorINS8_10device_ptrIbEEEENSA_INSB_IiEEEEjNS1_19radix_merge_compareILb0ELb1EbNS0_19identity_decomposerEEEEE10hipError_tT0_T1_T2_jT3_P12ihipStream_tbPNSt15iterator_traitsISK_E10value_typeEPNSQ_ISL_E10value_typeEPSM_NS1_7vsmem_tEENKUlT_SK_SL_SM_E_clIPbSD_PiSF_EESJ_SZ_SK_SL_SM_EUlSZ_E1_NS1_11comp_targetILNS1_3genE8ELNS1_11target_archE1030ELNS1_3gpuE2ELNS1_3repE0EEENS1_36merge_oddeven_config_static_selectorELNS0_4arch9wavefront6targetE1EEEvSL_
	.globl	_ZN7rocprim17ROCPRIM_400000_NS6detail17trampoline_kernelINS0_14default_configENS1_38merge_sort_block_merge_config_selectorIbiEEZZNS1_27merge_sort_block_merge_implIS3_N6thrust23THRUST_200600_302600_NS6detail15normal_iteratorINS8_10device_ptrIbEEEENSA_INSB_IiEEEEjNS1_19radix_merge_compareILb0ELb1EbNS0_19identity_decomposerEEEEE10hipError_tT0_T1_T2_jT3_P12ihipStream_tbPNSt15iterator_traitsISK_E10value_typeEPNSQ_ISL_E10value_typeEPSM_NS1_7vsmem_tEENKUlT_SK_SL_SM_E_clIPbSD_PiSF_EESJ_SZ_SK_SL_SM_EUlSZ_E1_NS1_11comp_targetILNS1_3genE8ELNS1_11target_archE1030ELNS1_3gpuE2ELNS1_3repE0EEENS1_36merge_oddeven_config_static_selectorELNS0_4arch9wavefront6targetE1EEEvSL_
	.p2align	8
	.type	_ZN7rocprim17ROCPRIM_400000_NS6detail17trampoline_kernelINS0_14default_configENS1_38merge_sort_block_merge_config_selectorIbiEEZZNS1_27merge_sort_block_merge_implIS3_N6thrust23THRUST_200600_302600_NS6detail15normal_iteratorINS8_10device_ptrIbEEEENSA_INSB_IiEEEEjNS1_19radix_merge_compareILb0ELb1EbNS0_19identity_decomposerEEEEE10hipError_tT0_T1_T2_jT3_P12ihipStream_tbPNSt15iterator_traitsISK_E10value_typeEPNSQ_ISL_E10value_typeEPSM_NS1_7vsmem_tEENKUlT_SK_SL_SM_E_clIPbSD_PiSF_EESJ_SZ_SK_SL_SM_EUlSZ_E1_NS1_11comp_targetILNS1_3genE8ELNS1_11target_archE1030ELNS1_3gpuE2ELNS1_3repE0EEENS1_36merge_oddeven_config_static_selectorELNS0_4arch9wavefront6targetE1EEEvSL_,@function
_ZN7rocprim17ROCPRIM_400000_NS6detail17trampoline_kernelINS0_14default_configENS1_38merge_sort_block_merge_config_selectorIbiEEZZNS1_27merge_sort_block_merge_implIS3_N6thrust23THRUST_200600_302600_NS6detail15normal_iteratorINS8_10device_ptrIbEEEENSA_INSB_IiEEEEjNS1_19radix_merge_compareILb0ELb1EbNS0_19identity_decomposerEEEEE10hipError_tT0_T1_T2_jT3_P12ihipStream_tbPNSt15iterator_traitsISK_E10value_typeEPNSQ_ISL_E10value_typeEPSM_NS1_7vsmem_tEENKUlT_SK_SL_SM_E_clIPbSD_PiSF_EESJ_SZ_SK_SL_SM_EUlSZ_E1_NS1_11comp_targetILNS1_3genE8ELNS1_11target_archE1030ELNS1_3gpuE2ELNS1_3repE0EEENS1_36merge_oddeven_config_static_selectorELNS0_4arch9wavefront6targetE1EEEvSL_: ; @_ZN7rocprim17ROCPRIM_400000_NS6detail17trampoline_kernelINS0_14default_configENS1_38merge_sort_block_merge_config_selectorIbiEEZZNS1_27merge_sort_block_merge_implIS3_N6thrust23THRUST_200600_302600_NS6detail15normal_iteratorINS8_10device_ptrIbEEEENSA_INSB_IiEEEEjNS1_19radix_merge_compareILb0ELb1EbNS0_19identity_decomposerEEEEE10hipError_tT0_T1_T2_jT3_P12ihipStream_tbPNSt15iterator_traitsISK_E10value_typeEPNSQ_ISL_E10value_typeEPSM_NS1_7vsmem_tEENKUlT_SK_SL_SM_E_clIPbSD_PiSF_EESJ_SZ_SK_SL_SM_EUlSZ_E1_NS1_11comp_targetILNS1_3genE8ELNS1_11target_archE1030ELNS1_3gpuE2ELNS1_3repE0EEENS1_36merge_oddeven_config_static_selectorELNS0_4arch9wavefront6targetE1EEEvSL_
; %bb.0:
	.section	.rodata,"a",@progbits
	.p2align	6, 0x0
	.amdhsa_kernel _ZN7rocprim17ROCPRIM_400000_NS6detail17trampoline_kernelINS0_14default_configENS1_38merge_sort_block_merge_config_selectorIbiEEZZNS1_27merge_sort_block_merge_implIS3_N6thrust23THRUST_200600_302600_NS6detail15normal_iteratorINS8_10device_ptrIbEEEENSA_INSB_IiEEEEjNS1_19radix_merge_compareILb0ELb1EbNS0_19identity_decomposerEEEEE10hipError_tT0_T1_T2_jT3_P12ihipStream_tbPNSt15iterator_traitsISK_E10value_typeEPNSQ_ISL_E10value_typeEPSM_NS1_7vsmem_tEENKUlT_SK_SL_SM_E_clIPbSD_PiSF_EESJ_SZ_SK_SL_SM_EUlSZ_E1_NS1_11comp_targetILNS1_3genE8ELNS1_11target_archE1030ELNS1_3gpuE2ELNS1_3repE0EEENS1_36merge_oddeven_config_static_selectorELNS0_4arch9wavefront6targetE1EEEvSL_
		.amdhsa_group_segment_fixed_size 0
		.amdhsa_private_segment_fixed_size 0
		.amdhsa_kernarg_size 48
		.amdhsa_user_sgpr_count 2
		.amdhsa_user_sgpr_dispatch_ptr 0
		.amdhsa_user_sgpr_queue_ptr 0
		.amdhsa_user_sgpr_kernarg_segment_ptr 1
		.amdhsa_user_sgpr_dispatch_id 0
		.amdhsa_user_sgpr_kernarg_preload_length 0
		.amdhsa_user_sgpr_kernarg_preload_offset 0
		.amdhsa_user_sgpr_private_segment_size 0
		.amdhsa_uses_dynamic_stack 0
		.amdhsa_enable_private_segment 0
		.amdhsa_system_sgpr_workgroup_id_x 1
		.amdhsa_system_sgpr_workgroup_id_y 0
		.amdhsa_system_sgpr_workgroup_id_z 0
		.amdhsa_system_sgpr_workgroup_info 0
		.amdhsa_system_vgpr_workitem_id 0
		.amdhsa_next_free_vgpr 1
		.amdhsa_next_free_sgpr 0
		.amdhsa_accum_offset 4
		.amdhsa_reserve_vcc 0
		.amdhsa_float_round_mode_32 0
		.amdhsa_float_round_mode_16_64 0
		.amdhsa_float_denorm_mode_32 3
		.amdhsa_float_denorm_mode_16_64 3
		.amdhsa_dx10_clamp 1
		.amdhsa_ieee_mode 1
		.amdhsa_fp16_overflow 0
		.amdhsa_tg_split 0
		.amdhsa_exception_fp_ieee_invalid_op 0
		.amdhsa_exception_fp_denorm_src 0
		.amdhsa_exception_fp_ieee_div_zero 0
		.amdhsa_exception_fp_ieee_overflow 0
		.amdhsa_exception_fp_ieee_underflow 0
		.amdhsa_exception_fp_ieee_inexact 0
		.amdhsa_exception_int_div_zero 0
	.end_amdhsa_kernel
	.section	.text._ZN7rocprim17ROCPRIM_400000_NS6detail17trampoline_kernelINS0_14default_configENS1_38merge_sort_block_merge_config_selectorIbiEEZZNS1_27merge_sort_block_merge_implIS3_N6thrust23THRUST_200600_302600_NS6detail15normal_iteratorINS8_10device_ptrIbEEEENSA_INSB_IiEEEEjNS1_19radix_merge_compareILb0ELb1EbNS0_19identity_decomposerEEEEE10hipError_tT0_T1_T2_jT3_P12ihipStream_tbPNSt15iterator_traitsISK_E10value_typeEPNSQ_ISL_E10value_typeEPSM_NS1_7vsmem_tEENKUlT_SK_SL_SM_E_clIPbSD_PiSF_EESJ_SZ_SK_SL_SM_EUlSZ_E1_NS1_11comp_targetILNS1_3genE8ELNS1_11target_archE1030ELNS1_3gpuE2ELNS1_3repE0EEENS1_36merge_oddeven_config_static_selectorELNS0_4arch9wavefront6targetE1EEEvSL_,"axG",@progbits,_ZN7rocprim17ROCPRIM_400000_NS6detail17trampoline_kernelINS0_14default_configENS1_38merge_sort_block_merge_config_selectorIbiEEZZNS1_27merge_sort_block_merge_implIS3_N6thrust23THRUST_200600_302600_NS6detail15normal_iteratorINS8_10device_ptrIbEEEENSA_INSB_IiEEEEjNS1_19radix_merge_compareILb0ELb1EbNS0_19identity_decomposerEEEEE10hipError_tT0_T1_T2_jT3_P12ihipStream_tbPNSt15iterator_traitsISK_E10value_typeEPNSQ_ISL_E10value_typeEPSM_NS1_7vsmem_tEENKUlT_SK_SL_SM_E_clIPbSD_PiSF_EESJ_SZ_SK_SL_SM_EUlSZ_E1_NS1_11comp_targetILNS1_3genE8ELNS1_11target_archE1030ELNS1_3gpuE2ELNS1_3repE0EEENS1_36merge_oddeven_config_static_selectorELNS0_4arch9wavefront6targetE1EEEvSL_,comdat
.Lfunc_end1989:
	.size	_ZN7rocprim17ROCPRIM_400000_NS6detail17trampoline_kernelINS0_14default_configENS1_38merge_sort_block_merge_config_selectorIbiEEZZNS1_27merge_sort_block_merge_implIS3_N6thrust23THRUST_200600_302600_NS6detail15normal_iteratorINS8_10device_ptrIbEEEENSA_INSB_IiEEEEjNS1_19radix_merge_compareILb0ELb1EbNS0_19identity_decomposerEEEEE10hipError_tT0_T1_T2_jT3_P12ihipStream_tbPNSt15iterator_traitsISK_E10value_typeEPNSQ_ISL_E10value_typeEPSM_NS1_7vsmem_tEENKUlT_SK_SL_SM_E_clIPbSD_PiSF_EESJ_SZ_SK_SL_SM_EUlSZ_E1_NS1_11comp_targetILNS1_3genE8ELNS1_11target_archE1030ELNS1_3gpuE2ELNS1_3repE0EEENS1_36merge_oddeven_config_static_selectorELNS0_4arch9wavefront6targetE1EEEvSL_, .Lfunc_end1989-_ZN7rocprim17ROCPRIM_400000_NS6detail17trampoline_kernelINS0_14default_configENS1_38merge_sort_block_merge_config_selectorIbiEEZZNS1_27merge_sort_block_merge_implIS3_N6thrust23THRUST_200600_302600_NS6detail15normal_iteratorINS8_10device_ptrIbEEEENSA_INSB_IiEEEEjNS1_19radix_merge_compareILb0ELb1EbNS0_19identity_decomposerEEEEE10hipError_tT0_T1_T2_jT3_P12ihipStream_tbPNSt15iterator_traitsISK_E10value_typeEPNSQ_ISL_E10value_typeEPSM_NS1_7vsmem_tEENKUlT_SK_SL_SM_E_clIPbSD_PiSF_EESJ_SZ_SK_SL_SM_EUlSZ_E1_NS1_11comp_targetILNS1_3genE8ELNS1_11target_archE1030ELNS1_3gpuE2ELNS1_3repE0EEENS1_36merge_oddeven_config_static_selectorELNS0_4arch9wavefront6targetE1EEEvSL_
                                        ; -- End function
	.set _ZN7rocprim17ROCPRIM_400000_NS6detail17trampoline_kernelINS0_14default_configENS1_38merge_sort_block_merge_config_selectorIbiEEZZNS1_27merge_sort_block_merge_implIS3_N6thrust23THRUST_200600_302600_NS6detail15normal_iteratorINS8_10device_ptrIbEEEENSA_INSB_IiEEEEjNS1_19radix_merge_compareILb0ELb1EbNS0_19identity_decomposerEEEEE10hipError_tT0_T1_T2_jT3_P12ihipStream_tbPNSt15iterator_traitsISK_E10value_typeEPNSQ_ISL_E10value_typeEPSM_NS1_7vsmem_tEENKUlT_SK_SL_SM_E_clIPbSD_PiSF_EESJ_SZ_SK_SL_SM_EUlSZ_E1_NS1_11comp_targetILNS1_3genE8ELNS1_11target_archE1030ELNS1_3gpuE2ELNS1_3repE0EEENS1_36merge_oddeven_config_static_selectorELNS0_4arch9wavefront6targetE1EEEvSL_.num_vgpr, 0
	.set _ZN7rocprim17ROCPRIM_400000_NS6detail17trampoline_kernelINS0_14default_configENS1_38merge_sort_block_merge_config_selectorIbiEEZZNS1_27merge_sort_block_merge_implIS3_N6thrust23THRUST_200600_302600_NS6detail15normal_iteratorINS8_10device_ptrIbEEEENSA_INSB_IiEEEEjNS1_19radix_merge_compareILb0ELb1EbNS0_19identity_decomposerEEEEE10hipError_tT0_T1_T2_jT3_P12ihipStream_tbPNSt15iterator_traitsISK_E10value_typeEPNSQ_ISL_E10value_typeEPSM_NS1_7vsmem_tEENKUlT_SK_SL_SM_E_clIPbSD_PiSF_EESJ_SZ_SK_SL_SM_EUlSZ_E1_NS1_11comp_targetILNS1_3genE8ELNS1_11target_archE1030ELNS1_3gpuE2ELNS1_3repE0EEENS1_36merge_oddeven_config_static_selectorELNS0_4arch9wavefront6targetE1EEEvSL_.num_agpr, 0
	.set _ZN7rocprim17ROCPRIM_400000_NS6detail17trampoline_kernelINS0_14default_configENS1_38merge_sort_block_merge_config_selectorIbiEEZZNS1_27merge_sort_block_merge_implIS3_N6thrust23THRUST_200600_302600_NS6detail15normal_iteratorINS8_10device_ptrIbEEEENSA_INSB_IiEEEEjNS1_19radix_merge_compareILb0ELb1EbNS0_19identity_decomposerEEEEE10hipError_tT0_T1_T2_jT3_P12ihipStream_tbPNSt15iterator_traitsISK_E10value_typeEPNSQ_ISL_E10value_typeEPSM_NS1_7vsmem_tEENKUlT_SK_SL_SM_E_clIPbSD_PiSF_EESJ_SZ_SK_SL_SM_EUlSZ_E1_NS1_11comp_targetILNS1_3genE8ELNS1_11target_archE1030ELNS1_3gpuE2ELNS1_3repE0EEENS1_36merge_oddeven_config_static_selectorELNS0_4arch9wavefront6targetE1EEEvSL_.numbered_sgpr, 0
	.set _ZN7rocprim17ROCPRIM_400000_NS6detail17trampoline_kernelINS0_14default_configENS1_38merge_sort_block_merge_config_selectorIbiEEZZNS1_27merge_sort_block_merge_implIS3_N6thrust23THRUST_200600_302600_NS6detail15normal_iteratorINS8_10device_ptrIbEEEENSA_INSB_IiEEEEjNS1_19radix_merge_compareILb0ELb1EbNS0_19identity_decomposerEEEEE10hipError_tT0_T1_T2_jT3_P12ihipStream_tbPNSt15iterator_traitsISK_E10value_typeEPNSQ_ISL_E10value_typeEPSM_NS1_7vsmem_tEENKUlT_SK_SL_SM_E_clIPbSD_PiSF_EESJ_SZ_SK_SL_SM_EUlSZ_E1_NS1_11comp_targetILNS1_3genE8ELNS1_11target_archE1030ELNS1_3gpuE2ELNS1_3repE0EEENS1_36merge_oddeven_config_static_selectorELNS0_4arch9wavefront6targetE1EEEvSL_.num_named_barrier, 0
	.set _ZN7rocprim17ROCPRIM_400000_NS6detail17trampoline_kernelINS0_14default_configENS1_38merge_sort_block_merge_config_selectorIbiEEZZNS1_27merge_sort_block_merge_implIS3_N6thrust23THRUST_200600_302600_NS6detail15normal_iteratorINS8_10device_ptrIbEEEENSA_INSB_IiEEEEjNS1_19radix_merge_compareILb0ELb1EbNS0_19identity_decomposerEEEEE10hipError_tT0_T1_T2_jT3_P12ihipStream_tbPNSt15iterator_traitsISK_E10value_typeEPNSQ_ISL_E10value_typeEPSM_NS1_7vsmem_tEENKUlT_SK_SL_SM_E_clIPbSD_PiSF_EESJ_SZ_SK_SL_SM_EUlSZ_E1_NS1_11comp_targetILNS1_3genE8ELNS1_11target_archE1030ELNS1_3gpuE2ELNS1_3repE0EEENS1_36merge_oddeven_config_static_selectorELNS0_4arch9wavefront6targetE1EEEvSL_.private_seg_size, 0
	.set _ZN7rocprim17ROCPRIM_400000_NS6detail17trampoline_kernelINS0_14default_configENS1_38merge_sort_block_merge_config_selectorIbiEEZZNS1_27merge_sort_block_merge_implIS3_N6thrust23THRUST_200600_302600_NS6detail15normal_iteratorINS8_10device_ptrIbEEEENSA_INSB_IiEEEEjNS1_19radix_merge_compareILb0ELb1EbNS0_19identity_decomposerEEEEE10hipError_tT0_T1_T2_jT3_P12ihipStream_tbPNSt15iterator_traitsISK_E10value_typeEPNSQ_ISL_E10value_typeEPSM_NS1_7vsmem_tEENKUlT_SK_SL_SM_E_clIPbSD_PiSF_EESJ_SZ_SK_SL_SM_EUlSZ_E1_NS1_11comp_targetILNS1_3genE8ELNS1_11target_archE1030ELNS1_3gpuE2ELNS1_3repE0EEENS1_36merge_oddeven_config_static_selectorELNS0_4arch9wavefront6targetE1EEEvSL_.uses_vcc, 0
	.set _ZN7rocprim17ROCPRIM_400000_NS6detail17trampoline_kernelINS0_14default_configENS1_38merge_sort_block_merge_config_selectorIbiEEZZNS1_27merge_sort_block_merge_implIS3_N6thrust23THRUST_200600_302600_NS6detail15normal_iteratorINS8_10device_ptrIbEEEENSA_INSB_IiEEEEjNS1_19radix_merge_compareILb0ELb1EbNS0_19identity_decomposerEEEEE10hipError_tT0_T1_T2_jT3_P12ihipStream_tbPNSt15iterator_traitsISK_E10value_typeEPNSQ_ISL_E10value_typeEPSM_NS1_7vsmem_tEENKUlT_SK_SL_SM_E_clIPbSD_PiSF_EESJ_SZ_SK_SL_SM_EUlSZ_E1_NS1_11comp_targetILNS1_3genE8ELNS1_11target_archE1030ELNS1_3gpuE2ELNS1_3repE0EEENS1_36merge_oddeven_config_static_selectorELNS0_4arch9wavefront6targetE1EEEvSL_.uses_flat_scratch, 0
	.set _ZN7rocprim17ROCPRIM_400000_NS6detail17trampoline_kernelINS0_14default_configENS1_38merge_sort_block_merge_config_selectorIbiEEZZNS1_27merge_sort_block_merge_implIS3_N6thrust23THRUST_200600_302600_NS6detail15normal_iteratorINS8_10device_ptrIbEEEENSA_INSB_IiEEEEjNS1_19radix_merge_compareILb0ELb1EbNS0_19identity_decomposerEEEEE10hipError_tT0_T1_T2_jT3_P12ihipStream_tbPNSt15iterator_traitsISK_E10value_typeEPNSQ_ISL_E10value_typeEPSM_NS1_7vsmem_tEENKUlT_SK_SL_SM_E_clIPbSD_PiSF_EESJ_SZ_SK_SL_SM_EUlSZ_E1_NS1_11comp_targetILNS1_3genE8ELNS1_11target_archE1030ELNS1_3gpuE2ELNS1_3repE0EEENS1_36merge_oddeven_config_static_selectorELNS0_4arch9wavefront6targetE1EEEvSL_.has_dyn_sized_stack, 0
	.set _ZN7rocprim17ROCPRIM_400000_NS6detail17trampoline_kernelINS0_14default_configENS1_38merge_sort_block_merge_config_selectorIbiEEZZNS1_27merge_sort_block_merge_implIS3_N6thrust23THRUST_200600_302600_NS6detail15normal_iteratorINS8_10device_ptrIbEEEENSA_INSB_IiEEEEjNS1_19radix_merge_compareILb0ELb1EbNS0_19identity_decomposerEEEEE10hipError_tT0_T1_T2_jT3_P12ihipStream_tbPNSt15iterator_traitsISK_E10value_typeEPNSQ_ISL_E10value_typeEPSM_NS1_7vsmem_tEENKUlT_SK_SL_SM_E_clIPbSD_PiSF_EESJ_SZ_SK_SL_SM_EUlSZ_E1_NS1_11comp_targetILNS1_3genE8ELNS1_11target_archE1030ELNS1_3gpuE2ELNS1_3repE0EEENS1_36merge_oddeven_config_static_selectorELNS0_4arch9wavefront6targetE1EEEvSL_.has_recursion, 0
	.set _ZN7rocprim17ROCPRIM_400000_NS6detail17trampoline_kernelINS0_14default_configENS1_38merge_sort_block_merge_config_selectorIbiEEZZNS1_27merge_sort_block_merge_implIS3_N6thrust23THRUST_200600_302600_NS6detail15normal_iteratorINS8_10device_ptrIbEEEENSA_INSB_IiEEEEjNS1_19radix_merge_compareILb0ELb1EbNS0_19identity_decomposerEEEEE10hipError_tT0_T1_T2_jT3_P12ihipStream_tbPNSt15iterator_traitsISK_E10value_typeEPNSQ_ISL_E10value_typeEPSM_NS1_7vsmem_tEENKUlT_SK_SL_SM_E_clIPbSD_PiSF_EESJ_SZ_SK_SL_SM_EUlSZ_E1_NS1_11comp_targetILNS1_3genE8ELNS1_11target_archE1030ELNS1_3gpuE2ELNS1_3repE0EEENS1_36merge_oddeven_config_static_selectorELNS0_4arch9wavefront6targetE1EEEvSL_.has_indirect_call, 0
	.section	.AMDGPU.csdata,"",@progbits
; Kernel info:
; codeLenInByte = 0
; TotalNumSgprs: 6
; NumVgprs: 0
; NumAgprs: 0
; TotalNumVgprs: 0
; ScratchSize: 0
; MemoryBound: 0
; FloatMode: 240
; IeeeMode: 1
; LDSByteSize: 0 bytes/workgroup (compile time only)
; SGPRBlocks: 0
; VGPRBlocks: 0
; NumSGPRsForWavesPerEU: 6
; NumVGPRsForWavesPerEU: 1
; AccumOffset: 4
; Occupancy: 8
; WaveLimiterHint : 0
; COMPUTE_PGM_RSRC2:SCRATCH_EN: 0
; COMPUTE_PGM_RSRC2:USER_SGPR: 2
; COMPUTE_PGM_RSRC2:TRAP_HANDLER: 0
; COMPUTE_PGM_RSRC2:TGID_X_EN: 1
; COMPUTE_PGM_RSRC2:TGID_Y_EN: 0
; COMPUTE_PGM_RSRC2:TGID_Z_EN: 0
; COMPUTE_PGM_RSRC2:TIDIG_COMP_CNT: 0
; COMPUTE_PGM_RSRC3_GFX90A:ACCUM_OFFSET: 0
; COMPUTE_PGM_RSRC3_GFX90A:TG_SPLIT: 0
	.section	.text._ZN7rocprim17ROCPRIM_400000_NS6detail17trampoline_kernelINS0_14default_configENS1_38merge_sort_block_merge_config_selectorIbiEEZZNS1_27merge_sort_block_merge_implIS3_N6thrust23THRUST_200600_302600_NS6detail15normal_iteratorINS8_10device_ptrIbEEEENSA_INSB_IiEEEEjNS1_19radix_merge_compareILb0ELb1EbNS0_19identity_decomposerEEEEE10hipError_tT0_T1_T2_jT3_P12ihipStream_tbPNSt15iterator_traitsISK_E10value_typeEPNSQ_ISL_E10value_typeEPSM_NS1_7vsmem_tEENKUlT_SK_SL_SM_E_clISD_PbSF_PiEESJ_SZ_SK_SL_SM_EUlSZ_E_NS1_11comp_targetILNS1_3genE0ELNS1_11target_archE4294967295ELNS1_3gpuE0ELNS1_3repE0EEENS1_48merge_mergepath_partition_config_static_selectorELNS0_4arch9wavefront6targetE1EEEvSL_,"axG",@progbits,_ZN7rocprim17ROCPRIM_400000_NS6detail17trampoline_kernelINS0_14default_configENS1_38merge_sort_block_merge_config_selectorIbiEEZZNS1_27merge_sort_block_merge_implIS3_N6thrust23THRUST_200600_302600_NS6detail15normal_iteratorINS8_10device_ptrIbEEEENSA_INSB_IiEEEEjNS1_19radix_merge_compareILb0ELb1EbNS0_19identity_decomposerEEEEE10hipError_tT0_T1_T2_jT3_P12ihipStream_tbPNSt15iterator_traitsISK_E10value_typeEPNSQ_ISL_E10value_typeEPSM_NS1_7vsmem_tEENKUlT_SK_SL_SM_E_clISD_PbSF_PiEESJ_SZ_SK_SL_SM_EUlSZ_E_NS1_11comp_targetILNS1_3genE0ELNS1_11target_archE4294967295ELNS1_3gpuE0ELNS1_3repE0EEENS1_48merge_mergepath_partition_config_static_selectorELNS0_4arch9wavefront6targetE1EEEvSL_,comdat
	.protected	_ZN7rocprim17ROCPRIM_400000_NS6detail17trampoline_kernelINS0_14default_configENS1_38merge_sort_block_merge_config_selectorIbiEEZZNS1_27merge_sort_block_merge_implIS3_N6thrust23THRUST_200600_302600_NS6detail15normal_iteratorINS8_10device_ptrIbEEEENSA_INSB_IiEEEEjNS1_19radix_merge_compareILb0ELb1EbNS0_19identity_decomposerEEEEE10hipError_tT0_T1_T2_jT3_P12ihipStream_tbPNSt15iterator_traitsISK_E10value_typeEPNSQ_ISL_E10value_typeEPSM_NS1_7vsmem_tEENKUlT_SK_SL_SM_E_clISD_PbSF_PiEESJ_SZ_SK_SL_SM_EUlSZ_E_NS1_11comp_targetILNS1_3genE0ELNS1_11target_archE4294967295ELNS1_3gpuE0ELNS1_3repE0EEENS1_48merge_mergepath_partition_config_static_selectorELNS0_4arch9wavefront6targetE1EEEvSL_ ; -- Begin function _ZN7rocprim17ROCPRIM_400000_NS6detail17trampoline_kernelINS0_14default_configENS1_38merge_sort_block_merge_config_selectorIbiEEZZNS1_27merge_sort_block_merge_implIS3_N6thrust23THRUST_200600_302600_NS6detail15normal_iteratorINS8_10device_ptrIbEEEENSA_INSB_IiEEEEjNS1_19radix_merge_compareILb0ELb1EbNS0_19identity_decomposerEEEEE10hipError_tT0_T1_T2_jT3_P12ihipStream_tbPNSt15iterator_traitsISK_E10value_typeEPNSQ_ISL_E10value_typeEPSM_NS1_7vsmem_tEENKUlT_SK_SL_SM_E_clISD_PbSF_PiEESJ_SZ_SK_SL_SM_EUlSZ_E_NS1_11comp_targetILNS1_3genE0ELNS1_11target_archE4294967295ELNS1_3gpuE0ELNS1_3repE0EEENS1_48merge_mergepath_partition_config_static_selectorELNS0_4arch9wavefront6targetE1EEEvSL_
	.globl	_ZN7rocprim17ROCPRIM_400000_NS6detail17trampoline_kernelINS0_14default_configENS1_38merge_sort_block_merge_config_selectorIbiEEZZNS1_27merge_sort_block_merge_implIS3_N6thrust23THRUST_200600_302600_NS6detail15normal_iteratorINS8_10device_ptrIbEEEENSA_INSB_IiEEEEjNS1_19radix_merge_compareILb0ELb1EbNS0_19identity_decomposerEEEEE10hipError_tT0_T1_T2_jT3_P12ihipStream_tbPNSt15iterator_traitsISK_E10value_typeEPNSQ_ISL_E10value_typeEPSM_NS1_7vsmem_tEENKUlT_SK_SL_SM_E_clISD_PbSF_PiEESJ_SZ_SK_SL_SM_EUlSZ_E_NS1_11comp_targetILNS1_3genE0ELNS1_11target_archE4294967295ELNS1_3gpuE0ELNS1_3repE0EEENS1_48merge_mergepath_partition_config_static_selectorELNS0_4arch9wavefront6targetE1EEEvSL_
	.p2align	8
	.type	_ZN7rocprim17ROCPRIM_400000_NS6detail17trampoline_kernelINS0_14default_configENS1_38merge_sort_block_merge_config_selectorIbiEEZZNS1_27merge_sort_block_merge_implIS3_N6thrust23THRUST_200600_302600_NS6detail15normal_iteratorINS8_10device_ptrIbEEEENSA_INSB_IiEEEEjNS1_19radix_merge_compareILb0ELb1EbNS0_19identity_decomposerEEEEE10hipError_tT0_T1_T2_jT3_P12ihipStream_tbPNSt15iterator_traitsISK_E10value_typeEPNSQ_ISL_E10value_typeEPSM_NS1_7vsmem_tEENKUlT_SK_SL_SM_E_clISD_PbSF_PiEESJ_SZ_SK_SL_SM_EUlSZ_E_NS1_11comp_targetILNS1_3genE0ELNS1_11target_archE4294967295ELNS1_3gpuE0ELNS1_3repE0EEENS1_48merge_mergepath_partition_config_static_selectorELNS0_4arch9wavefront6targetE1EEEvSL_,@function
_ZN7rocprim17ROCPRIM_400000_NS6detail17trampoline_kernelINS0_14default_configENS1_38merge_sort_block_merge_config_selectorIbiEEZZNS1_27merge_sort_block_merge_implIS3_N6thrust23THRUST_200600_302600_NS6detail15normal_iteratorINS8_10device_ptrIbEEEENSA_INSB_IiEEEEjNS1_19radix_merge_compareILb0ELb1EbNS0_19identity_decomposerEEEEE10hipError_tT0_T1_T2_jT3_P12ihipStream_tbPNSt15iterator_traitsISK_E10value_typeEPNSQ_ISL_E10value_typeEPSM_NS1_7vsmem_tEENKUlT_SK_SL_SM_E_clISD_PbSF_PiEESJ_SZ_SK_SL_SM_EUlSZ_E_NS1_11comp_targetILNS1_3genE0ELNS1_11target_archE4294967295ELNS1_3gpuE0ELNS1_3repE0EEENS1_48merge_mergepath_partition_config_static_selectorELNS0_4arch9wavefront6targetE1EEEvSL_: ; @_ZN7rocprim17ROCPRIM_400000_NS6detail17trampoline_kernelINS0_14default_configENS1_38merge_sort_block_merge_config_selectorIbiEEZZNS1_27merge_sort_block_merge_implIS3_N6thrust23THRUST_200600_302600_NS6detail15normal_iteratorINS8_10device_ptrIbEEEENSA_INSB_IiEEEEjNS1_19radix_merge_compareILb0ELb1EbNS0_19identity_decomposerEEEEE10hipError_tT0_T1_T2_jT3_P12ihipStream_tbPNSt15iterator_traitsISK_E10value_typeEPNSQ_ISL_E10value_typeEPSM_NS1_7vsmem_tEENKUlT_SK_SL_SM_E_clISD_PbSF_PiEESJ_SZ_SK_SL_SM_EUlSZ_E_NS1_11comp_targetILNS1_3genE0ELNS1_11target_archE4294967295ELNS1_3gpuE0ELNS1_3repE0EEENS1_48merge_mergepath_partition_config_static_selectorELNS0_4arch9wavefront6targetE1EEEvSL_
; %bb.0:
	s_load_dword s5, s[2:3], 0x0
	v_and_b32_e32 v1, 0x3ff, v0
	v_lshl_or_b32 v2, s4, 7, v1
	s_waitcnt lgkmcnt(0)
	v_cmp_gt_u32_e32 vcc, s5, v2
	s_and_saveexec_b64 s[4:5], vcc
	s_cbranch_execz .LBB1990_6
; %bb.1:
	s_load_dwordx2 s[4:5], s[0:1], 0x4
	s_load_dwordx2 s[6:7], s[2:3], 0x4
	v_bfe_u32 v3, v0, 10, 10
	v_bfe_u32 v0, v0, 20, 10
	s_waitcnt lgkmcnt(0)
	s_lshr_b32 s0, s4, 16
	v_mul_u32_u24_e32 v3, s5, v3
	s_mul_i32 s0, s0, s5
	s_lshr_b32 s5, s6, 9
	s_and_b32 s5, s5, 0x7ffffe
	v_mul_u32_u24_e32 v1, s0, v1
	s_add_i32 s8, s5, -1
	s_sub_i32 s5, 0, s5
	v_add3_u32 v1, v1, v3, v0
	v_and_b32_e32 v0, s5, v2
	v_lshlrev_b32_e32 v4, 10, v0
	v_min_u32_e32 v0, s7, v4
	v_add_u32_e32 v4, s6, v4
	s_load_dwordx2 s[0:1], s[2:3], 0x20
	s_load_dword s4, s[2:3], 0x18
	v_min_u32_e32 v4, s7, v4
	v_add_u32_e32 v5, s6, v4
	v_and_b32_e32 v3, s8, v2
	v_min_u32_e32 v5, s7, v5
	v_sub_u32_e32 v6, v5, v0
	v_lshlrev_b32_e32 v3, 10, v3
	v_min_u32_e32 v10, v6, v3
	v_sub_u32_e32 v6, v4, v0
	v_sub_u32_e32 v3, v5, v4
	s_waitcnt lgkmcnt(0)
	s_and_b32 s4, s4, 1
	v_sub_u32_e64 v3, v10, v3 clamp
	v_min_u32_e32 v11, v10, v6
	v_mov_b32_e32 v5, s4
	v_cmp_lt_u32_e32 vcc, v3, v11
	ds_write_b8 v1, v5
	s_and_saveexec_b64 s[4:5], vcc
	s_cbranch_execz .LBB1990_5
; %bb.2:
	s_load_dwordx2 s[2:3], s[2:3], 0x10
	ds_read_u8 v12, v1
	v_mov_b32_e32 v5, 0
	v_mov_b32_e32 v1, v5
	s_waitcnt lgkmcnt(0)
	v_lshl_add_u64 v[6:7], s[2:3], 0, v[0:1]
	v_lshl_add_u64 v[8:9], s[2:3], 0, v[4:5]
	s_mov_b64 s[2:3], 0
.LBB1990_3:                             ; =>This Inner Loop Header: Depth=1
	v_add_u32_e32 v1, v11, v3
	v_lshrrev_b32_e32 v4, 1, v1
	v_mov_b32_e32 v15, v5
	v_xad_u32 v14, v4, -1, v10
	v_lshl_add_u64 v[16:17], v[6:7], 0, v[4:5]
	v_lshl_add_u64 v[14:15], v[8:9], 0, v[14:15]
	flat_load_ubyte v1, v[16:17]
	flat_load_ubyte v13, v[14:15]
	v_add_u32_e32 v14, 1, v4
	s_waitcnt vmcnt(0) lgkmcnt(0)
	v_bitop3_b16 v1, v1, 1, v12 bitop3:0x80
	v_bitop3_b16 v13, v13, 1, v12 bitop3:0x80
	v_cmp_gt_u16_e32 vcc, v1, v13
	s_nop 1
	v_cndmask_b32_e32 v11, v11, v4, vcc
	v_cndmask_b32_e32 v3, v14, v3, vcc
	v_cmp_ge_u32_e32 vcc, v3, v11
	s_or_b64 s[2:3], vcc, s[2:3]
	s_andn2_b64 exec, exec, s[2:3]
	s_cbranch_execnz .LBB1990_3
; %bb.4:
	s_or_b64 exec, exec, s[2:3]
.LBB1990_5:
	s_or_b64 exec, exec, s[4:5]
	v_add_u32_e32 v4, v3, v0
	v_mov_b32_e32 v3, 0
	v_lshl_add_u64 v[0:1], v[2:3], 2, s[0:1]
	global_store_dword v[0:1], v4, off
.LBB1990_6:
	s_endpgm
	.section	.rodata,"a",@progbits
	.p2align	6, 0x0
	.amdhsa_kernel _ZN7rocprim17ROCPRIM_400000_NS6detail17trampoline_kernelINS0_14default_configENS1_38merge_sort_block_merge_config_selectorIbiEEZZNS1_27merge_sort_block_merge_implIS3_N6thrust23THRUST_200600_302600_NS6detail15normal_iteratorINS8_10device_ptrIbEEEENSA_INSB_IiEEEEjNS1_19radix_merge_compareILb0ELb1EbNS0_19identity_decomposerEEEEE10hipError_tT0_T1_T2_jT3_P12ihipStream_tbPNSt15iterator_traitsISK_E10value_typeEPNSQ_ISL_E10value_typeEPSM_NS1_7vsmem_tEENKUlT_SK_SL_SM_E_clISD_PbSF_PiEESJ_SZ_SK_SL_SM_EUlSZ_E_NS1_11comp_targetILNS1_3genE0ELNS1_11target_archE4294967295ELNS1_3gpuE0ELNS1_3repE0EEENS1_48merge_mergepath_partition_config_static_selectorELNS0_4arch9wavefront6targetE1EEEvSL_
		.amdhsa_group_segment_fixed_size 128
		.amdhsa_private_segment_fixed_size 0
		.amdhsa_kernarg_size 40
		.amdhsa_user_sgpr_count 4
		.amdhsa_user_sgpr_dispatch_ptr 1
		.amdhsa_user_sgpr_queue_ptr 0
		.amdhsa_user_sgpr_kernarg_segment_ptr 1
		.amdhsa_user_sgpr_dispatch_id 0
		.amdhsa_user_sgpr_kernarg_preload_length 0
		.amdhsa_user_sgpr_kernarg_preload_offset 0
		.amdhsa_user_sgpr_private_segment_size 0
		.amdhsa_uses_dynamic_stack 0
		.amdhsa_enable_private_segment 0
		.amdhsa_system_sgpr_workgroup_id_x 1
		.amdhsa_system_sgpr_workgroup_id_y 0
		.amdhsa_system_sgpr_workgroup_id_z 0
		.amdhsa_system_sgpr_workgroup_info 0
		.amdhsa_system_vgpr_workitem_id 2
		.amdhsa_next_free_vgpr 18
		.amdhsa_next_free_sgpr 9
		.amdhsa_accum_offset 20
		.amdhsa_reserve_vcc 1
		.amdhsa_float_round_mode_32 0
		.amdhsa_float_round_mode_16_64 0
		.amdhsa_float_denorm_mode_32 3
		.amdhsa_float_denorm_mode_16_64 3
		.amdhsa_dx10_clamp 1
		.amdhsa_ieee_mode 1
		.amdhsa_fp16_overflow 0
		.amdhsa_tg_split 0
		.amdhsa_exception_fp_ieee_invalid_op 0
		.amdhsa_exception_fp_denorm_src 0
		.amdhsa_exception_fp_ieee_div_zero 0
		.amdhsa_exception_fp_ieee_overflow 0
		.amdhsa_exception_fp_ieee_underflow 0
		.amdhsa_exception_fp_ieee_inexact 0
		.amdhsa_exception_int_div_zero 0
	.end_amdhsa_kernel
	.section	.text._ZN7rocprim17ROCPRIM_400000_NS6detail17trampoline_kernelINS0_14default_configENS1_38merge_sort_block_merge_config_selectorIbiEEZZNS1_27merge_sort_block_merge_implIS3_N6thrust23THRUST_200600_302600_NS6detail15normal_iteratorINS8_10device_ptrIbEEEENSA_INSB_IiEEEEjNS1_19radix_merge_compareILb0ELb1EbNS0_19identity_decomposerEEEEE10hipError_tT0_T1_T2_jT3_P12ihipStream_tbPNSt15iterator_traitsISK_E10value_typeEPNSQ_ISL_E10value_typeEPSM_NS1_7vsmem_tEENKUlT_SK_SL_SM_E_clISD_PbSF_PiEESJ_SZ_SK_SL_SM_EUlSZ_E_NS1_11comp_targetILNS1_3genE0ELNS1_11target_archE4294967295ELNS1_3gpuE0ELNS1_3repE0EEENS1_48merge_mergepath_partition_config_static_selectorELNS0_4arch9wavefront6targetE1EEEvSL_,"axG",@progbits,_ZN7rocprim17ROCPRIM_400000_NS6detail17trampoline_kernelINS0_14default_configENS1_38merge_sort_block_merge_config_selectorIbiEEZZNS1_27merge_sort_block_merge_implIS3_N6thrust23THRUST_200600_302600_NS6detail15normal_iteratorINS8_10device_ptrIbEEEENSA_INSB_IiEEEEjNS1_19radix_merge_compareILb0ELb1EbNS0_19identity_decomposerEEEEE10hipError_tT0_T1_T2_jT3_P12ihipStream_tbPNSt15iterator_traitsISK_E10value_typeEPNSQ_ISL_E10value_typeEPSM_NS1_7vsmem_tEENKUlT_SK_SL_SM_E_clISD_PbSF_PiEESJ_SZ_SK_SL_SM_EUlSZ_E_NS1_11comp_targetILNS1_3genE0ELNS1_11target_archE4294967295ELNS1_3gpuE0ELNS1_3repE0EEENS1_48merge_mergepath_partition_config_static_selectorELNS0_4arch9wavefront6targetE1EEEvSL_,comdat
.Lfunc_end1990:
	.size	_ZN7rocprim17ROCPRIM_400000_NS6detail17trampoline_kernelINS0_14default_configENS1_38merge_sort_block_merge_config_selectorIbiEEZZNS1_27merge_sort_block_merge_implIS3_N6thrust23THRUST_200600_302600_NS6detail15normal_iteratorINS8_10device_ptrIbEEEENSA_INSB_IiEEEEjNS1_19radix_merge_compareILb0ELb1EbNS0_19identity_decomposerEEEEE10hipError_tT0_T1_T2_jT3_P12ihipStream_tbPNSt15iterator_traitsISK_E10value_typeEPNSQ_ISL_E10value_typeEPSM_NS1_7vsmem_tEENKUlT_SK_SL_SM_E_clISD_PbSF_PiEESJ_SZ_SK_SL_SM_EUlSZ_E_NS1_11comp_targetILNS1_3genE0ELNS1_11target_archE4294967295ELNS1_3gpuE0ELNS1_3repE0EEENS1_48merge_mergepath_partition_config_static_selectorELNS0_4arch9wavefront6targetE1EEEvSL_, .Lfunc_end1990-_ZN7rocprim17ROCPRIM_400000_NS6detail17trampoline_kernelINS0_14default_configENS1_38merge_sort_block_merge_config_selectorIbiEEZZNS1_27merge_sort_block_merge_implIS3_N6thrust23THRUST_200600_302600_NS6detail15normal_iteratorINS8_10device_ptrIbEEEENSA_INSB_IiEEEEjNS1_19radix_merge_compareILb0ELb1EbNS0_19identity_decomposerEEEEE10hipError_tT0_T1_T2_jT3_P12ihipStream_tbPNSt15iterator_traitsISK_E10value_typeEPNSQ_ISL_E10value_typeEPSM_NS1_7vsmem_tEENKUlT_SK_SL_SM_E_clISD_PbSF_PiEESJ_SZ_SK_SL_SM_EUlSZ_E_NS1_11comp_targetILNS1_3genE0ELNS1_11target_archE4294967295ELNS1_3gpuE0ELNS1_3repE0EEENS1_48merge_mergepath_partition_config_static_selectorELNS0_4arch9wavefront6targetE1EEEvSL_
                                        ; -- End function
	.set _ZN7rocprim17ROCPRIM_400000_NS6detail17trampoline_kernelINS0_14default_configENS1_38merge_sort_block_merge_config_selectorIbiEEZZNS1_27merge_sort_block_merge_implIS3_N6thrust23THRUST_200600_302600_NS6detail15normal_iteratorINS8_10device_ptrIbEEEENSA_INSB_IiEEEEjNS1_19radix_merge_compareILb0ELb1EbNS0_19identity_decomposerEEEEE10hipError_tT0_T1_T2_jT3_P12ihipStream_tbPNSt15iterator_traitsISK_E10value_typeEPNSQ_ISL_E10value_typeEPSM_NS1_7vsmem_tEENKUlT_SK_SL_SM_E_clISD_PbSF_PiEESJ_SZ_SK_SL_SM_EUlSZ_E_NS1_11comp_targetILNS1_3genE0ELNS1_11target_archE4294967295ELNS1_3gpuE0ELNS1_3repE0EEENS1_48merge_mergepath_partition_config_static_selectorELNS0_4arch9wavefront6targetE1EEEvSL_.num_vgpr, 18
	.set _ZN7rocprim17ROCPRIM_400000_NS6detail17trampoline_kernelINS0_14default_configENS1_38merge_sort_block_merge_config_selectorIbiEEZZNS1_27merge_sort_block_merge_implIS3_N6thrust23THRUST_200600_302600_NS6detail15normal_iteratorINS8_10device_ptrIbEEEENSA_INSB_IiEEEEjNS1_19radix_merge_compareILb0ELb1EbNS0_19identity_decomposerEEEEE10hipError_tT0_T1_T2_jT3_P12ihipStream_tbPNSt15iterator_traitsISK_E10value_typeEPNSQ_ISL_E10value_typeEPSM_NS1_7vsmem_tEENKUlT_SK_SL_SM_E_clISD_PbSF_PiEESJ_SZ_SK_SL_SM_EUlSZ_E_NS1_11comp_targetILNS1_3genE0ELNS1_11target_archE4294967295ELNS1_3gpuE0ELNS1_3repE0EEENS1_48merge_mergepath_partition_config_static_selectorELNS0_4arch9wavefront6targetE1EEEvSL_.num_agpr, 0
	.set _ZN7rocprim17ROCPRIM_400000_NS6detail17trampoline_kernelINS0_14default_configENS1_38merge_sort_block_merge_config_selectorIbiEEZZNS1_27merge_sort_block_merge_implIS3_N6thrust23THRUST_200600_302600_NS6detail15normal_iteratorINS8_10device_ptrIbEEEENSA_INSB_IiEEEEjNS1_19radix_merge_compareILb0ELb1EbNS0_19identity_decomposerEEEEE10hipError_tT0_T1_T2_jT3_P12ihipStream_tbPNSt15iterator_traitsISK_E10value_typeEPNSQ_ISL_E10value_typeEPSM_NS1_7vsmem_tEENKUlT_SK_SL_SM_E_clISD_PbSF_PiEESJ_SZ_SK_SL_SM_EUlSZ_E_NS1_11comp_targetILNS1_3genE0ELNS1_11target_archE4294967295ELNS1_3gpuE0ELNS1_3repE0EEENS1_48merge_mergepath_partition_config_static_selectorELNS0_4arch9wavefront6targetE1EEEvSL_.numbered_sgpr, 9
	.set _ZN7rocprim17ROCPRIM_400000_NS6detail17trampoline_kernelINS0_14default_configENS1_38merge_sort_block_merge_config_selectorIbiEEZZNS1_27merge_sort_block_merge_implIS3_N6thrust23THRUST_200600_302600_NS6detail15normal_iteratorINS8_10device_ptrIbEEEENSA_INSB_IiEEEEjNS1_19radix_merge_compareILb0ELb1EbNS0_19identity_decomposerEEEEE10hipError_tT0_T1_T2_jT3_P12ihipStream_tbPNSt15iterator_traitsISK_E10value_typeEPNSQ_ISL_E10value_typeEPSM_NS1_7vsmem_tEENKUlT_SK_SL_SM_E_clISD_PbSF_PiEESJ_SZ_SK_SL_SM_EUlSZ_E_NS1_11comp_targetILNS1_3genE0ELNS1_11target_archE4294967295ELNS1_3gpuE0ELNS1_3repE0EEENS1_48merge_mergepath_partition_config_static_selectorELNS0_4arch9wavefront6targetE1EEEvSL_.num_named_barrier, 0
	.set _ZN7rocprim17ROCPRIM_400000_NS6detail17trampoline_kernelINS0_14default_configENS1_38merge_sort_block_merge_config_selectorIbiEEZZNS1_27merge_sort_block_merge_implIS3_N6thrust23THRUST_200600_302600_NS6detail15normal_iteratorINS8_10device_ptrIbEEEENSA_INSB_IiEEEEjNS1_19radix_merge_compareILb0ELb1EbNS0_19identity_decomposerEEEEE10hipError_tT0_T1_T2_jT3_P12ihipStream_tbPNSt15iterator_traitsISK_E10value_typeEPNSQ_ISL_E10value_typeEPSM_NS1_7vsmem_tEENKUlT_SK_SL_SM_E_clISD_PbSF_PiEESJ_SZ_SK_SL_SM_EUlSZ_E_NS1_11comp_targetILNS1_3genE0ELNS1_11target_archE4294967295ELNS1_3gpuE0ELNS1_3repE0EEENS1_48merge_mergepath_partition_config_static_selectorELNS0_4arch9wavefront6targetE1EEEvSL_.private_seg_size, 0
	.set _ZN7rocprim17ROCPRIM_400000_NS6detail17trampoline_kernelINS0_14default_configENS1_38merge_sort_block_merge_config_selectorIbiEEZZNS1_27merge_sort_block_merge_implIS3_N6thrust23THRUST_200600_302600_NS6detail15normal_iteratorINS8_10device_ptrIbEEEENSA_INSB_IiEEEEjNS1_19radix_merge_compareILb0ELb1EbNS0_19identity_decomposerEEEEE10hipError_tT0_T1_T2_jT3_P12ihipStream_tbPNSt15iterator_traitsISK_E10value_typeEPNSQ_ISL_E10value_typeEPSM_NS1_7vsmem_tEENKUlT_SK_SL_SM_E_clISD_PbSF_PiEESJ_SZ_SK_SL_SM_EUlSZ_E_NS1_11comp_targetILNS1_3genE0ELNS1_11target_archE4294967295ELNS1_3gpuE0ELNS1_3repE0EEENS1_48merge_mergepath_partition_config_static_selectorELNS0_4arch9wavefront6targetE1EEEvSL_.uses_vcc, 1
	.set _ZN7rocprim17ROCPRIM_400000_NS6detail17trampoline_kernelINS0_14default_configENS1_38merge_sort_block_merge_config_selectorIbiEEZZNS1_27merge_sort_block_merge_implIS3_N6thrust23THRUST_200600_302600_NS6detail15normal_iteratorINS8_10device_ptrIbEEEENSA_INSB_IiEEEEjNS1_19radix_merge_compareILb0ELb1EbNS0_19identity_decomposerEEEEE10hipError_tT0_T1_T2_jT3_P12ihipStream_tbPNSt15iterator_traitsISK_E10value_typeEPNSQ_ISL_E10value_typeEPSM_NS1_7vsmem_tEENKUlT_SK_SL_SM_E_clISD_PbSF_PiEESJ_SZ_SK_SL_SM_EUlSZ_E_NS1_11comp_targetILNS1_3genE0ELNS1_11target_archE4294967295ELNS1_3gpuE0ELNS1_3repE0EEENS1_48merge_mergepath_partition_config_static_selectorELNS0_4arch9wavefront6targetE1EEEvSL_.uses_flat_scratch, 0
	.set _ZN7rocprim17ROCPRIM_400000_NS6detail17trampoline_kernelINS0_14default_configENS1_38merge_sort_block_merge_config_selectorIbiEEZZNS1_27merge_sort_block_merge_implIS3_N6thrust23THRUST_200600_302600_NS6detail15normal_iteratorINS8_10device_ptrIbEEEENSA_INSB_IiEEEEjNS1_19radix_merge_compareILb0ELb1EbNS0_19identity_decomposerEEEEE10hipError_tT0_T1_T2_jT3_P12ihipStream_tbPNSt15iterator_traitsISK_E10value_typeEPNSQ_ISL_E10value_typeEPSM_NS1_7vsmem_tEENKUlT_SK_SL_SM_E_clISD_PbSF_PiEESJ_SZ_SK_SL_SM_EUlSZ_E_NS1_11comp_targetILNS1_3genE0ELNS1_11target_archE4294967295ELNS1_3gpuE0ELNS1_3repE0EEENS1_48merge_mergepath_partition_config_static_selectorELNS0_4arch9wavefront6targetE1EEEvSL_.has_dyn_sized_stack, 0
	.set _ZN7rocprim17ROCPRIM_400000_NS6detail17trampoline_kernelINS0_14default_configENS1_38merge_sort_block_merge_config_selectorIbiEEZZNS1_27merge_sort_block_merge_implIS3_N6thrust23THRUST_200600_302600_NS6detail15normal_iteratorINS8_10device_ptrIbEEEENSA_INSB_IiEEEEjNS1_19radix_merge_compareILb0ELb1EbNS0_19identity_decomposerEEEEE10hipError_tT0_T1_T2_jT3_P12ihipStream_tbPNSt15iterator_traitsISK_E10value_typeEPNSQ_ISL_E10value_typeEPSM_NS1_7vsmem_tEENKUlT_SK_SL_SM_E_clISD_PbSF_PiEESJ_SZ_SK_SL_SM_EUlSZ_E_NS1_11comp_targetILNS1_3genE0ELNS1_11target_archE4294967295ELNS1_3gpuE0ELNS1_3repE0EEENS1_48merge_mergepath_partition_config_static_selectorELNS0_4arch9wavefront6targetE1EEEvSL_.has_recursion, 0
	.set _ZN7rocprim17ROCPRIM_400000_NS6detail17trampoline_kernelINS0_14default_configENS1_38merge_sort_block_merge_config_selectorIbiEEZZNS1_27merge_sort_block_merge_implIS3_N6thrust23THRUST_200600_302600_NS6detail15normal_iteratorINS8_10device_ptrIbEEEENSA_INSB_IiEEEEjNS1_19radix_merge_compareILb0ELb1EbNS0_19identity_decomposerEEEEE10hipError_tT0_T1_T2_jT3_P12ihipStream_tbPNSt15iterator_traitsISK_E10value_typeEPNSQ_ISL_E10value_typeEPSM_NS1_7vsmem_tEENKUlT_SK_SL_SM_E_clISD_PbSF_PiEESJ_SZ_SK_SL_SM_EUlSZ_E_NS1_11comp_targetILNS1_3genE0ELNS1_11target_archE4294967295ELNS1_3gpuE0ELNS1_3repE0EEENS1_48merge_mergepath_partition_config_static_selectorELNS0_4arch9wavefront6targetE1EEEvSL_.has_indirect_call, 0
	.section	.AMDGPU.csdata,"",@progbits
; Kernel info:
; codeLenInByte = 424
; TotalNumSgprs: 15
; NumVgprs: 18
; NumAgprs: 0
; TotalNumVgprs: 18
; ScratchSize: 0
; MemoryBound: 0
; FloatMode: 240
; IeeeMode: 1
; LDSByteSize: 128 bytes/workgroup (compile time only)
; SGPRBlocks: 1
; VGPRBlocks: 2
; NumSGPRsForWavesPerEU: 15
; NumVGPRsForWavesPerEU: 18
; AccumOffset: 20
; Occupancy: 8
; WaveLimiterHint : 0
; COMPUTE_PGM_RSRC2:SCRATCH_EN: 0
; COMPUTE_PGM_RSRC2:USER_SGPR: 4
; COMPUTE_PGM_RSRC2:TRAP_HANDLER: 0
; COMPUTE_PGM_RSRC2:TGID_X_EN: 1
; COMPUTE_PGM_RSRC2:TGID_Y_EN: 0
; COMPUTE_PGM_RSRC2:TGID_Z_EN: 0
; COMPUTE_PGM_RSRC2:TIDIG_COMP_CNT: 2
; COMPUTE_PGM_RSRC3_GFX90A:ACCUM_OFFSET: 4
; COMPUTE_PGM_RSRC3_GFX90A:TG_SPLIT: 0
	.section	.text._ZN7rocprim17ROCPRIM_400000_NS6detail17trampoline_kernelINS0_14default_configENS1_38merge_sort_block_merge_config_selectorIbiEEZZNS1_27merge_sort_block_merge_implIS3_N6thrust23THRUST_200600_302600_NS6detail15normal_iteratorINS8_10device_ptrIbEEEENSA_INSB_IiEEEEjNS1_19radix_merge_compareILb0ELb1EbNS0_19identity_decomposerEEEEE10hipError_tT0_T1_T2_jT3_P12ihipStream_tbPNSt15iterator_traitsISK_E10value_typeEPNSQ_ISL_E10value_typeEPSM_NS1_7vsmem_tEENKUlT_SK_SL_SM_E_clISD_PbSF_PiEESJ_SZ_SK_SL_SM_EUlSZ_E_NS1_11comp_targetILNS1_3genE10ELNS1_11target_archE1201ELNS1_3gpuE5ELNS1_3repE0EEENS1_48merge_mergepath_partition_config_static_selectorELNS0_4arch9wavefront6targetE1EEEvSL_,"axG",@progbits,_ZN7rocprim17ROCPRIM_400000_NS6detail17trampoline_kernelINS0_14default_configENS1_38merge_sort_block_merge_config_selectorIbiEEZZNS1_27merge_sort_block_merge_implIS3_N6thrust23THRUST_200600_302600_NS6detail15normal_iteratorINS8_10device_ptrIbEEEENSA_INSB_IiEEEEjNS1_19radix_merge_compareILb0ELb1EbNS0_19identity_decomposerEEEEE10hipError_tT0_T1_T2_jT3_P12ihipStream_tbPNSt15iterator_traitsISK_E10value_typeEPNSQ_ISL_E10value_typeEPSM_NS1_7vsmem_tEENKUlT_SK_SL_SM_E_clISD_PbSF_PiEESJ_SZ_SK_SL_SM_EUlSZ_E_NS1_11comp_targetILNS1_3genE10ELNS1_11target_archE1201ELNS1_3gpuE5ELNS1_3repE0EEENS1_48merge_mergepath_partition_config_static_selectorELNS0_4arch9wavefront6targetE1EEEvSL_,comdat
	.protected	_ZN7rocprim17ROCPRIM_400000_NS6detail17trampoline_kernelINS0_14default_configENS1_38merge_sort_block_merge_config_selectorIbiEEZZNS1_27merge_sort_block_merge_implIS3_N6thrust23THRUST_200600_302600_NS6detail15normal_iteratorINS8_10device_ptrIbEEEENSA_INSB_IiEEEEjNS1_19radix_merge_compareILb0ELb1EbNS0_19identity_decomposerEEEEE10hipError_tT0_T1_T2_jT3_P12ihipStream_tbPNSt15iterator_traitsISK_E10value_typeEPNSQ_ISL_E10value_typeEPSM_NS1_7vsmem_tEENKUlT_SK_SL_SM_E_clISD_PbSF_PiEESJ_SZ_SK_SL_SM_EUlSZ_E_NS1_11comp_targetILNS1_3genE10ELNS1_11target_archE1201ELNS1_3gpuE5ELNS1_3repE0EEENS1_48merge_mergepath_partition_config_static_selectorELNS0_4arch9wavefront6targetE1EEEvSL_ ; -- Begin function _ZN7rocprim17ROCPRIM_400000_NS6detail17trampoline_kernelINS0_14default_configENS1_38merge_sort_block_merge_config_selectorIbiEEZZNS1_27merge_sort_block_merge_implIS3_N6thrust23THRUST_200600_302600_NS6detail15normal_iteratorINS8_10device_ptrIbEEEENSA_INSB_IiEEEEjNS1_19radix_merge_compareILb0ELb1EbNS0_19identity_decomposerEEEEE10hipError_tT0_T1_T2_jT3_P12ihipStream_tbPNSt15iterator_traitsISK_E10value_typeEPNSQ_ISL_E10value_typeEPSM_NS1_7vsmem_tEENKUlT_SK_SL_SM_E_clISD_PbSF_PiEESJ_SZ_SK_SL_SM_EUlSZ_E_NS1_11comp_targetILNS1_3genE10ELNS1_11target_archE1201ELNS1_3gpuE5ELNS1_3repE0EEENS1_48merge_mergepath_partition_config_static_selectorELNS0_4arch9wavefront6targetE1EEEvSL_
	.globl	_ZN7rocprim17ROCPRIM_400000_NS6detail17trampoline_kernelINS0_14default_configENS1_38merge_sort_block_merge_config_selectorIbiEEZZNS1_27merge_sort_block_merge_implIS3_N6thrust23THRUST_200600_302600_NS6detail15normal_iteratorINS8_10device_ptrIbEEEENSA_INSB_IiEEEEjNS1_19radix_merge_compareILb0ELb1EbNS0_19identity_decomposerEEEEE10hipError_tT0_T1_T2_jT3_P12ihipStream_tbPNSt15iterator_traitsISK_E10value_typeEPNSQ_ISL_E10value_typeEPSM_NS1_7vsmem_tEENKUlT_SK_SL_SM_E_clISD_PbSF_PiEESJ_SZ_SK_SL_SM_EUlSZ_E_NS1_11comp_targetILNS1_3genE10ELNS1_11target_archE1201ELNS1_3gpuE5ELNS1_3repE0EEENS1_48merge_mergepath_partition_config_static_selectorELNS0_4arch9wavefront6targetE1EEEvSL_
	.p2align	8
	.type	_ZN7rocprim17ROCPRIM_400000_NS6detail17trampoline_kernelINS0_14default_configENS1_38merge_sort_block_merge_config_selectorIbiEEZZNS1_27merge_sort_block_merge_implIS3_N6thrust23THRUST_200600_302600_NS6detail15normal_iteratorINS8_10device_ptrIbEEEENSA_INSB_IiEEEEjNS1_19radix_merge_compareILb0ELb1EbNS0_19identity_decomposerEEEEE10hipError_tT0_T1_T2_jT3_P12ihipStream_tbPNSt15iterator_traitsISK_E10value_typeEPNSQ_ISL_E10value_typeEPSM_NS1_7vsmem_tEENKUlT_SK_SL_SM_E_clISD_PbSF_PiEESJ_SZ_SK_SL_SM_EUlSZ_E_NS1_11comp_targetILNS1_3genE10ELNS1_11target_archE1201ELNS1_3gpuE5ELNS1_3repE0EEENS1_48merge_mergepath_partition_config_static_selectorELNS0_4arch9wavefront6targetE1EEEvSL_,@function
_ZN7rocprim17ROCPRIM_400000_NS6detail17trampoline_kernelINS0_14default_configENS1_38merge_sort_block_merge_config_selectorIbiEEZZNS1_27merge_sort_block_merge_implIS3_N6thrust23THRUST_200600_302600_NS6detail15normal_iteratorINS8_10device_ptrIbEEEENSA_INSB_IiEEEEjNS1_19radix_merge_compareILb0ELb1EbNS0_19identity_decomposerEEEEE10hipError_tT0_T1_T2_jT3_P12ihipStream_tbPNSt15iterator_traitsISK_E10value_typeEPNSQ_ISL_E10value_typeEPSM_NS1_7vsmem_tEENKUlT_SK_SL_SM_E_clISD_PbSF_PiEESJ_SZ_SK_SL_SM_EUlSZ_E_NS1_11comp_targetILNS1_3genE10ELNS1_11target_archE1201ELNS1_3gpuE5ELNS1_3repE0EEENS1_48merge_mergepath_partition_config_static_selectorELNS0_4arch9wavefront6targetE1EEEvSL_: ; @_ZN7rocprim17ROCPRIM_400000_NS6detail17trampoline_kernelINS0_14default_configENS1_38merge_sort_block_merge_config_selectorIbiEEZZNS1_27merge_sort_block_merge_implIS3_N6thrust23THRUST_200600_302600_NS6detail15normal_iteratorINS8_10device_ptrIbEEEENSA_INSB_IiEEEEjNS1_19radix_merge_compareILb0ELb1EbNS0_19identity_decomposerEEEEE10hipError_tT0_T1_T2_jT3_P12ihipStream_tbPNSt15iterator_traitsISK_E10value_typeEPNSQ_ISL_E10value_typeEPSM_NS1_7vsmem_tEENKUlT_SK_SL_SM_E_clISD_PbSF_PiEESJ_SZ_SK_SL_SM_EUlSZ_E_NS1_11comp_targetILNS1_3genE10ELNS1_11target_archE1201ELNS1_3gpuE5ELNS1_3repE0EEENS1_48merge_mergepath_partition_config_static_selectorELNS0_4arch9wavefront6targetE1EEEvSL_
; %bb.0:
	.section	.rodata,"a",@progbits
	.p2align	6, 0x0
	.amdhsa_kernel _ZN7rocprim17ROCPRIM_400000_NS6detail17trampoline_kernelINS0_14default_configENS1_38merge_sort_block_merge_config_selectorIbiEEZZNS1_27merge_sort_block_merge_implIS3_N6thrust23THRUST_200600_302600_NS6detail15normal_iteratorINS8_10device_ptrIbEEEENSA_INSB_IiEEEEjNS1_19radix_merge_compareILb0ELb1EbNS0_19identity_decomposerEEEEE10hipError_tT0_T1_T2_jT3_P12ihipStream_tbPNSt15iterator_traitsISK_E10value_typeEPNSQ_ISL_E10value_typeEPSM_NS1_7vsmem_tEENKUlT_SK_SL_SM_E_clISD_PbSF_PiEESJ_SZ_SK_SL_SM_EUlSZ_E_NS1_11comp_targetILNS1_3genE10ELNS1_11target_archE1201ELNS1_3gpuE5ELNS1_3repE0EEENS1_48merge_mergepath_partition_config_static_selectorELNS0_4arch9wavefront6targetE1EEEvSL_
		.amdhsa_group_segment_fixed_size 0
		.amdhsa_private_segment_fixed_size 0
		.amdhsa_kernarg_size 40
		.amdhsa_user_sgpr_count 2
		.amdhsa_user_sgpr_dispatch_ptr 0
		.amdhsa_user_sgpr_queue_ptr 0
		.amdhsa_user_sgpr_kernarg_segment_ptr 1
		.amdhsa_user_sgpr_dispatch_id 0
		.amdhsa_user_sgpr_kernarg_preload_length 0
		.amdhsa_user_sgpr_kernarg_preload_offset 0
		.amdhsa_user_sgpr_private_segment_size 0
		.amdhsa_uses_dynamic_stack 0
		.amdhsa_enable_private_segment 0
		.amdhsa_system_sgpr_workgroup_id_x 1
		.amdhsa_system_sgpr_workgroup_id_y 0
		.amdhsa_system_sgpr_workgroup_id_z 0
		.amdhsa_system_sgpr_workgroup_info 0
		.amdhsa_system_vgpr_workitem_id 0
		.amdhsa_next_free_vgpr 1
		.amdhsa_next_free_sgpr 0
		.amdhsa_accum_offset 4
		.amdhsa_reserve_vcc 0
		.amdhsa_float_round_mode_32 0
		.amdhsa_float_round_mode_16_64 0
		.amdhsa_float_denorm_mode_32 3
		.amdhsa_float_denorm_mode_16_64 3
		.amdhsa_dx10_clamp 1
		.amdhsa_ieee_mode 1
		.amdhsa_fp16_overflow 0
		.amdhsa_tg_split 0
		.amdhsa_exception_fp_ieee_invalid_op 0
		.amdhsa_exception_fp_denorm_src 0
		.amdhsa_exception_fp_ieee_div_zero 0
		.amdhsa_exception_fp_ieee_overflow 0
		.amdhsa_exception_fp_ieee_underflow 0
		.amdhsa_exception_fp_ieee_inexact 0
		.amdhsa_exception_int_div_zero 0
	.end_amdhsa_kernel
	.section	.text._ZN7rocprim17ROCPRIM_400000_NS6detail17trampoline_kernelINS0_14default_configENS1_38merge_sort_block_merge_config_selectorIbiEEZZNS1_27merge_sort_block_merge_implIS3_N6thrust23THRUST_200600_302600_NS6detail15normal_iteratorINS8_10device_ptrIbEEEENSA_INSB_IiEEEEjNS1_19radix_merge_compareILb0ELb1EbNS0_19identity_decomposerEEEEE10hipError_tT0_T1_T2_jT3_P12ihipStream_tbPNSt15iterator_traitsISK_E10value_typeEPNSQ_ISL_E10value_typeEPSM_NS1_7vsmem_tEENKUlT_SK_SL_SM_E_clISD_PbSF_PiEESJ_SZ_SK_SL_SM_EUlSZ_E_NS1_11comp_targetILNS1_3genE10ELNS1_11target_archE1201ELNS1_3gpuE5ELNS1_3repE0EEENS1_48merge_mergepath_partition_config_static_selectorELNS0_4arch9wavefront6targetE1EEEvSL_,"axG",@progbits,_ZN7rocprim17ROCPRIM_400000_NS6detail17trampoline_kernelINS0_14default_configENS1_38merge_sort_block_merge_config_selectorIbiEEZZNS1_27merge_sort_block_merge_implIS3_N6thrust23THRUST_200600_302600_NS6detail15normal_iteratorINS8_10device_ptrIbEEEENSA_INSB_IiEEEEjNS1_19radix_merge_compareILb0ELb1EbNS0_19identity_decomposerEEEEE10hipError_tT0_T1_T2_jT3_P12ihipStream_tbPNSt15iterator_traitsISK_E10value_typeEPNSQ_ISL_E10value_typeEPSM_NS1_7vsmem_tEENKUlT_SK_SL_SM_E_clISD_PbSF_PiEESJ_SZ_SK_SL_SM_EUlSZ_E_NS1_11comp_targetILNS1_3genE10ELNS1_11target_archE1201ELNS1_3gpuE5ELNS1_3repE0EEENS1_48merge_mergepath_partition_config_static_selectorELNS0_4arch9wavefront6targetE1EEEvSL_,comdat
.Lfunc_end1991:
	.size	_ZN7rocprim17ROCPRIM_400000_NS6detail17trampoline_kernelINS0_14default_configENS1_38merge_sort_block_merge_config_selectorIbiEEZZNS1_27merge_sort_block_merge_implIS3_N6thrust23THRUST_200600_302600_NS6detail15normal_iteratorINS8_10device_ptrIbEEEENSA_INSB_IiEEEEjNS1_19radix_merge_compareILb0ELb1EbNS0_19identity_decomposerEEEEE10hipError_tT0_T1_T2_jT3_P12ihipStream_tbPNSt15iterator_traitsISK_E10value_typeEPNSQ_ISL_E10value_typeEPSM_NS1_7vsmem_tEENKUlT_SK_SL_SM_E_clISD_PbSF_PiEESJ_SZ_SK_SL_SM_EUlSZ_E_NS1_11comp_targetILNS1_3genE10ELNS1_11target_archE1201ELNS1_3gpuE5ELNS1_3repE0EEENS1_48merge_mergepath_partition_config_static_selectorELNS0_4arch9wavefront6targetE1EEEvSL_, .Lfunc_end1991-_ZN7rocprim17ROCPRIM_400000_NS6detail17trampoline_kernelINS0_14default_configENS1_38merge_sort_block_merge_config_selectorIbiEEZZNS1_27merge_sort_block_merge_implIS3_N6thrust23THRUST_200600_302600_NS6detail15normal_iteratorINS8_10device_ptrIbEEEENSA_INSB_IiEEEEjNS1_19radix_merge_compareILb0ELb1EbNS0_19identity_decomposerEEEEE10hipError_tT0_T1_T2_jT3_P12ihipStream_tbPNSt15iterator_traitsISK_E10value_typeEPNSQ_ISL_E10value_typeEPSM_NS1_7vsmem_tEENKUlT_SK_SL_SM_E_clISD_PbSF_PiEESJ_SZ_SK_SL_SM_EUlSZ_E_NS1_11comp_targetILNS1_3genE10ELNS1_11target_archE1201ELNS1_3gpuE5ELNS1_3repE0EEENS1_48merge_mergepath_partition_config_static_selectorELNS0_4arch9wavefront6targetE1EEEvSL_
                                        ; -- End function
	.set _ZN7rocprim17ROCPRIM_400000_NS6detail17trampoline_kernelINS0_14default_configENS1_38merge_sort_block_merge_config_selectorIbiEEZZNS1_27merge_sort_block_merge_implIS3_N6thrust23THRUST_200600_302600_NS6detail15normal_iteratorINS8_10device_ptrIbEEEENSA_INSB_IiEEEEjNS1_19radix_merge_compareILb0ELb1EbNS0_19identity_decomposerEEEEE10hipError_tT0_T1_T2_jT3_P12ihipStream_tbPNSt15iterator_traitsISK_E10value_typeEPNSQ_ISL_E10value_typeEPSM_NS1_7vsmem_tEENKUlT_SK_SL_SM_E_clISD_PbSF_PiEESJ_SZ_SK_SL_SM_EUlSZ_E_NS1_11comp_targetILNS1_3genE10ELNS1_11target_archE1201ELNS1_3gpuE5ELNS1_3repE0EEENS1_48merge_mergepath_partition_config_static_selectorELNS0_4arch9wavefront6targetE1EEEvSL_.num_vgpr, 0
	.set _ZN7rocprim17ROCPRIM_400000_NS6detail17trampoline_kernelINS0_14default_configENS1_38merge_sort_block_merge_config_selectorIbiEEZZNS1_27merge_sort_block_merge_implIS3_N6thrust23THRUST_200600_302600_NS6detail15normal_iteratorINS8_10device_ptrIbEEEENSA_INSB_IiEEEEjNS1_19radix_merge_compareILb0ELb1EbNS0_19identity_decomposerEEEEE10hipError_tT0_T1_T2_jT3_P12ihipStream_tbPNSt15iterator_traitsISK_E10value_typeEPNSQ_ISL_E10value_typeEPSM_NS1_7vsmem_tEENKUlT_SK_SL_SM_E_clISD_PbSF_PiEESJ_SZ_SK_SL_SM_EUlSZ_E_NS1_11comp_targetILNS1_3genE10ELNS1_11target_archE1201ELNS1_3gpuE5ELNS1_3repE0EEENS1_48merge_mergepath_partition_config_static_selectorELNS0_4arch9wavefront6targetE1EEEvSL_.num_agpr, 0
	.set _ZN7rocprim17ROCPRIM_400000_NS6detail17trampoline_kernelINS0_14default_configENS1_38merge_sort_block_merge_config_selectorIbiEEZZNS1_27merge_sort_block_merge_implIS3_N6thrust23THRUST_200600_302600_NS6detail15normal_iteratorINS8_10device_ptrIbEEEENSA_INSB_IiEEEEjNS1_19radix_merge_compareILb0ELb1EbNS0_19identity_decomposerEEEEE10hipError_tT0_T1_T2_jT3_P12ihipStream_tbPNSt15iterator_traitsISK_E10value_typeEPNSQ_ISL_E10value_typeEPSM_NS1_7vsmem_tEENKUlT_SK_SL_SM_E_clISD_PbSF_PiEESJ_SZ_SK_SL_SM_EUlSZ_E_NS1_11comp_targetILNS1_3genE10ELNS1_11target_archE1201ELNS1_3gpuE5ELNS1_3repE0EEENS1_48merge_mergepath_partition_config_static_selectorELNS0_4arch9wavefront6targetE1EEEvSL_.numbered_sgpr, 0
	.set _ZN7rocprim17ROCPRIM_400000_NS6detail17trampoline_kernelINS0_14default_configENS1_38merge_sort_block_merge_config_selectorIbiEEZZNS1_27merge_sort_block_merge_implIS3_N6thrust23THRUST_200600_302600_NS6detail15normal_iteratorINS8_10device_ptrIbEEEENSA_INSB_IiEEEEjNS1_19radix_merge_compareILb0ELb1EbNS0_19identity_decomposerEEEEE10hipError_tT0_T1_T2_jT3_P12ihipStream_tbPNSt15iterator_traitsISK_E10value_typeEPNSQ_ISL_E10value_typeEPSM_NS1_7vsmem_tEENKUlT_SK_SL_SM_E_clISD_PbSF_PiEESJ_SZ_SK_SL_SM_EUlSZ_E_NS1_11comp_targetILNS1_3genE10ELNS1_11target_archE1201ELNS1_3gpuE5ELNS1_3repE0EEENS1_48merge_mergepath_partition_config_static_selectorELNS0_4arch9wavefront6targetE1EEEvSL_.num_named_barrier, 0
	.set _ZN7rocprim17ROCPRIM_400000_NS6detail17trampoline_kernelINS0_14default_configENS1_38merge_sort_block_merge_config_selectorIbiEEZZNS1_27merge_sort_block_merge_implIS3_N6thrust23THRUST_200600_302600_NS6detail15normal_iteratorINS8_10device_ptrIbEEEENSA_INSB_IiEEEEjNS1_19radix_merge_compareILb0ELb1EbNS0_19identity_decomposerEEEEE10hipError_tT0_T1_T2_jT3_P12ihipStream_tbPNSt15iterator_traitsISK_E10value_typeEPNSQ_ISL_E10value_typeEPSM_NS1_7vsmem_tEENKUlT_SK_SL_SM_E_clISD_PbSF_PiEESJ_SZ_SK_SL_SM_EUlSZ_E_NS1_11comp_targetILNS1_3genE10ELNS1_11target_archE1201ELNS1_3gpuE5ELNS1_3repE0EEENS1_48merge_mergepath_partition_config_static_selectorELNS0_4arch9wavefront6targetE1EEEvSL_.private_seg_size, 0
	.set _ZN7rocprim17ROCPRIM_400000_NS6detail17trampoline_kernelINS0_14default_configENS1_38merge_sort_block_merge_config_selectorIbiEEZZNS1_27merge_sort_block_merge_implIS3_N6thrust23THRUST_200600_302600_NS6detail15normal_iteratorINS8_10device_ptrIbEEEENSA_INSB_IiEEEEjNS1_19radix_merge_compareILb0ELb1EbNS0_19identity_decomposerEEEEE10hipError_tT0_T1_T2_jT3_P12ihipStream_tbPNSt15iterator_traitsISK_E10value_typeEPNSQ_ISL_E10value_typeEPSM_NS1_7vsmem_tEENKUlT_SK_SL_SM_E_clISD_PbSF_PiEESJ_SZ_SK_SL_SM_EUlSZ_E_NS1_11comp_targetILNS1_3genE10ELNS1_11target_archE1201ELNS1_3gpuE5ELNS1_3repE0EEENS1_48merge_mergepath_partition_config_static_selectorELNS0_4arch9wavefront6targetE1EEEvSL_.uses_vcc, 0
	.set _ZN7rocprim17ROCPRIM_400000_NS6detail17trampoline_kernelINS0_14default_configENS1_38merge_sort_block_merge_config_selectorIbiEEZZNS1_27merge_sort_block_merge_implIS3_N6thrust23THRUST_200600_302600_NS6detail15normal_iteratorINS8_10device_ptrIbEEEENSA_INSB_IiEEEEjNS1_19radix_merge_compareILb0ELb1EbNS0_19identity_decomposerEEEEE10hipError_tT0_T1_T2_jT3_P12ihipStream_tbPNSt15iterator_traitsISK_E10value_typeEPNSQ_ISL_E10value_typeEPSM_NS1_7vsmem_tEENKUlT_SK_SL_SM_E_clISD_PbSF_PiEESJ_SZ_SK_SL_SM_EUlSZ_E_NS1_11comp_targetILNS1_3genE10ELNS1_11target_archE1201ELNS1_3gpuE5ELNS1_3repE0EEENS1_48merge_mergepath_partition_config_static_selectorELNS0_4arch9wavefront6targetE1EEEvSL_.uses_flat_scratch, 0
	.set _ZN7rocprim17ROCPRIM_400000_NS6detail17trampoline_kernelINS0_14default_configENS1_38merge_sort_block_merge_config_selectorIbiEEZZNS1_27merge_sort_block_merge_implIS3_N6thrust23THRUST_200600_302600_NS6detail15normal_iteratorINS8_10device_ptrIbEEEENSA_INSB_IiEEEEjNS1_19radix_merge_compareILb0ELb1EbNS0_19identity_decomposerEEEEE10hipError_tT0_T1_T2_jT3_P12ihipStream_tbPNSt15iterator_traitsISK_E10value_typeEPNSQ_ISL_E10value_typeEPSM_NS1_7vsmem_tEENKUlT_SK_SL_SM_E_clISD_PbSF_PiEESJ_SZ_SK_SL_SM_EUlSZ_E_NS1_11comp_targetILNS1_3genE10ELNS1_11target_archE1201ELNS1_3gpuE5ELNS1_3repE0EEENS1_48merge_mergepath_partition_config_static_selectorELNS0_4arch9wavefront6targetE1EEEvSL_.has_dyn_sized_stack, 0
	.set _ZN7rocprim17ROCPRIM_400000_NS6detail17trampoline_kernelINS0_14default_configENS1_38merge_sort_block_merge_config_selectorIbiEEZZNS1_27merge_sort_block_merge_implIS3_N6thrust23THRUST_200600_302600_NS6detail15normal_iteratorINS8_10device_ptrIbEEEENSA_INSB_IiEEEEjNS1_19radix_merge_compareILb0ELb1EbNS0_19identity_decomposerEEEEE10hipError_tT0_T1_T2_jT3_P12ihipStream_tbPNSt15iterator_traitsISK_E10value_typeEPNSQ_ISL_E10value_typeEPSM_NS1_7vsmem_tEENKUlT_SK_SL_SM_E_clISD_PbSF_PiEESJ_SZ_SK_SL_SM_EUlSZ_E_NS1_11comp_targetILNS1_3genE10ELNS1_11target_archE1201ELNS1_3gpuE5ELNS1_3repE0EEENS1_48merge_mergepath_partition_config_static_selectorELNS0_4arch9wavefront6targetE1EEEvSL_.has_recursion, 0
	.set _ZN7rocprim17ROCPRIM_400000_NS6detail17trampoline_kernelINS0_14default_configENS1_38merge_sort_block_merge_config_selectorIbiEEZZNS1_27merge_sort_block_merge_implIS3_N6thrust23THRUST_200600_302600_NS6detail15normal_iteratorINS8_10device_ptrIbEEEENSA_INSB_IiEEEEjNS1_19radix_merge_compareILb0ELb1EbNS0_19identity_decomposerEEEEE10hipError_tT0_T1_T2_jT3_P12ihipStream_tbPNSt15iterator_traitsISK_E10value_typeEPNSQ_ISL_E10value_typeEPSM_NS1_7vsmem_tEENKUlT_SK_SL_SM_E_clISD_PbSF_PiEESJ_SZ_SK_SL_SM_EUlSZ_E_NS1_11comp_targetILNS1_3genE10ELNS1_11target_archE1201ELNS1_3gpuE5ELNS1_3repE0EEENS1_48merge_mergepath_partition_config_static_selectorELNS0_4arch9wavefront6targetE1EEEvSL_.has_indirect_call, 0
	.section	.AMDGPU.csdata,"",@progbits
; Kernel info:
; codeLenInByte = 0
; TotalNumSgprs: 6
; NumVgprs: 0
; NumAgprs: 0
; TotalNumVgprs: 0
; ScratchSize: 0
; MemoryBound: 0
; FloatMode: 240
; IeeeMode: 1
; LDSByteSize: 0 bytes/workgroup (compile time only)
; SGPRBlocks: 0
; VGPRBlocks: 0
; NumSGPRsForWavesPerEU: 6
; NumVGPRsForWavesPerEU: 1
; AccumOffset: 4
; Occupancy: 8
; WaveLimiterHint : 0
; COMPUTE_PGM_RSRC2:SCRATCH_EN: 0
; COMPUTE_PGM_RSRC2:USER_SGPR: 2
; COMPUTE_PGM_RSRC2:TRAP_HANDLER: 0
; COMPUTE_PGM_RSRC2:TGID_X_EN: 1
; COMPUTE_PGM_RSRC2:TGID_Y_EN: 0
; COMPUTE_PGM_RSRC2:TGID_Z_EN: 0
; COMPUTE_PGM_RSRC2:TIDIG_COMP_CNT: 0
; COMPUTE_PGM_RSRC3_GFX90A:ACCUM_OFFSET: 0
; COMPUTE_PGM_RSRC3_GFX90A:TG_SPLIT: 0
	.section	.text._ZN7rocprim17ROCPRIM_400000_NS6detail17trampoline_kernelINS0_14default_configENS1_38merge_sort_block_merge_config_selectorIbiEEZZNS1_27merge_sort_block_merge_implIS3_N6thrust23THRUST_200600_302600_NS6detail15normal_iteratorINS8_10device_ptrIbEEEENSA_INSB_IiEEEEjNS1_19radix_merge_compareILb0ELb1EbNS0_19identity_decomposerEEEEE10hipError_tT0_T1_T2_jT3_P12ihipStream_tbPNSt15iterator_traitsISK_E10value_typeEPNSQ_ISL_E10value_typeEPSM_NS1_7vsmem_tEENKUlT_SK_SL_SM_E_clISD_PbSF_PiEESJ_SZ_SK_SL_SM_EUlSZ_E_NS1_11comp_targetILNS1_3genE5ELNS1_11target_archE942ELNS1_3gpuE9ELNS1_3repE0EEENS1_48merge_mergepath_partition_config_static_selectorELNS0_4arch9wavefront6targetE1EEEvSL_,"axG",@progbits,_ZN7rocprim17ROCPRIM_400000_NS6detail17trampoline_kernelINS0_14default_configENS1_38merge_sort_block_merge_config_selectorIbiEEZZNS1_27merge_sort_block_merge_implIS3_N6thrust23THRUST_200600_302600_NS6detail15normal_iteratorINS8_10device_ptrIbEEEENSA_INSB_IiEEEEjNS1_19radix_merge_compareILb0ELb1EbNS0_19identity_decomposerEEEEE10hipError_tT0_T1_T2_jT3_P12ihipStream_tbPNSt15iterator_traitsISK_E10value_typeEPNSQ_ISL_E10value_typeEPSM_NS1_7vsmem_tEENKUlT_SK_SL_SM_E_clISD_PbSF_PiEESJ_SZ_SK_SL_SM_EUlSZ_E_NS1_11comp_targetILNS1_3genE5ELNS1_11target_archE942ELNS1_3gpuE9ELNS1_3repE0EEENS1_48merge_mergepath_partition_config_static_selectorELNS0_4arch9wavefront6targetE1EEEvSL_,comdat
	.protected	_ZN7rocprim17ROCPRIM_400000_NS6detail17trampoline_kernelINS0_14default_configENS1_38merge_sort_block_merge_config_selectorIbiEEZZNS1_27merge_sort_block_merge_implIS3_N6thrust23THRUST_200600_302600_NS6detail15normal_iteratorINS8_10device_ptrIbEEEENSA_INSB_IiEEEEjNS1_19radix_merge_compareILb0ELb1EbNS0_19identity_decomposerEEEEE10hipError_tT0_T1_T2_jT3_P12ihipStream_tbPNSt15iterator_traitsISK_E10value_typeEPNSQ_ISL_E10value_typeEPSM_NS1_7vsmem_tEENKUlT_SK_SL_SM_E_clISD_PbSF_PiEESJ_SZ_SK_SL_SM_EUlSZ_E_NS1_11comp_targetILNS1_3genE5ELNS1_11target_archE942ELNS1_3gpuE9ELNS1_3repE0EEENS1_48merge_mergepath_partition_config_static_selectorELNS0_4arch9wavefront6targetE1EEEvSL_ ; -- Begin function _ZN7rocprim17ROCPRIM_400000_NS6detail17trampoline_kernelINS0_14default_configENS1_38merge_sort_block_merge_config_selectorIbiEEZZNS1_27merge_sort_block_merge_implIS3_N6thrust23THRUST_200600_302600_NS6detail15normal_iteratorINS8_10device_ptrIbEEEENSA_INSB_IiEEEEjNS1_19radix_merge_compareILb0ELb1EbNS0_19identity_decomposerEEEEE10hipError_tT0_T1_T2_jT3_P12ihipStream_tbPNSt15iterator_traitsISK_E10value_typeEPNSQ_ISL_E10value_typeEPSM_NS1_7vsmem_tEENKUlT_SK_SL_SM_E_clISD_PbSF_PiEESJ_SZ_SK_SL_SM_EUlSZ_E_NS1_11comp_targetILNS1_3genE5ELNS1_11target_archE942ELNS1_3gpuE9ELNS1_3repE0EEENS1_48merge_mergepath_partition_config_static_selectorELNS0_4arch9wavefront6targetE1EEEvSL_
	.globl	_ZN7rocprim17ROCPRIM_400000_NS6detail17trampoline_kernelINS0_14default_configENS1_38merge_sort_block_merge_config_selectorIbiEEZZNS1_27merge_sort_block_merge_implIS3_N6thrust23THRUST_200600_302600_NS6detail15normal_iteratorINS8_10device_ptrIbEEEENSA_INSB_IiEEEEjNS1_19radix_merge_compareILb0ELb1EbNS0_19identity_decomposerEEEEE10hipError_tT0_T1_T2_jT3_P12ihipStream_tbPNSt15iterator_traitsISK_E10value_typeEPNSQ_ISL_E10value_typeEPSM_NS1_7vsmem_tEENKUlT_SK_SL_SM_E_clISD_PbSF_PiEESJ_SZ_SK_SL_SM_EUlSZ_E_NS1_11comp_targetILNS1_3genE5ELNS1_11target_archE942ELNS1_3gpuE9ELNS1_3repE0EEENS1_48merge_mergepath_partition_config_static_selectorELNS0_4arch9wavefront6targetE1EEEvSL_
	.p2align	8
	.type	_ZN7rocprim17ROCPRIM_400000_NS6detail17trampoline_kernelINS0_14default_configENS1_38merge_sort_block_merge_config_selectorIbiEEZZNS1_27merge_sort_block_merge_implIS3_N6thrust23THRUST_200600_302600_NS6detail15normal_iteratorINS8_10device_ptrIbEEEENSA_INSB_IiEEEEjNS1_19radix_merge_compareILb0ELb1EbNS0_19identity_decomposerEEEEE10hipError_tT0_T1_T2_jT3_P12ihipStream_tbPNSt15iterator_traitsISK_E10value_typeEPNSQ_ISL_E10value_typeEPSM_NS1_7vsmem_tEENKUlT_SK_SL_SM_E_clISD_PbSF_PiEESJ_SZ_SK_SL_SM_EUlSZ_E_NS1_11comp_targetILNS1_3genE5ELNS1_11target_archE942ELNS1_3gpuE9ELNS1_3repE0EEENS1_48merge_mergepath_partition_config_static_selectorELNS0_4arch9wavefront6targetE1EEEvSL_,@function
_ZN7rocprim17ROCPRIM_400000_NS6detail17trampoline_kernelINS0_14default_configENS1_38merge_sort_block_merge_config_selectorIbiEEZZNS1_27merge_sort_block_merge_implIS3_N6thrust23THRUST_200600_302600_NS6detail15normal_iteratorINS8_10device_ptrIbEEEENSA_INSB_IiEEEEjNS1_19radix_merge_compareILb0ELb1EbNS0_19identity_decomposerEEEEE10hipError_tT0_T1_T2_jT3_P12ihipStream_tbPNSt15iterator_traitsISK_E10value_typeEPNSQ_ISL_E10value_typeEPSM_NS1_7vsmem_tEENKUlT_SK_SL_SM_E_clISD_PbSF_PiEESJ_SZ_SK_SL_SM_EUlSZ_E_NS1_11comp_targetILNS1_3genE5ELNS1_11target_archE942ELNS1_3gpuE9ELNS1_3repE0EEENS1_48merge_mergepath_partition_config_static_selectorELNS0_4arch9wavefront6targetE1EEEvSL_: ; @_ZN7rocprim17ROCPRIM_400000_NS6detail17trampoline_kernelINS0_14default_configENS1_38merge_sort_block_merge_config_selectorIbiEEZZNS1_27merge_sort_block_merge_implIS3_N6thrust23THRUST_200600_302600_NS6detail15normal_iteratorINS8_10device_ptrIbEEEENSA_INSB_IiEEEEjNS1_19radix_merge_compareILb0ELb1EbNS0_19identity_decomposerEEEEE10hipError_tT0_T1_T2_jT3_P12ihipStream_tbPNSt15iterator_traitsISK_E10value_typeEPNSQ_ISL_E10value_typeEPSM_NS1_7vsmem_tEENKUlT_SK_SL_SM_E_clISD_PbSF_PiEESJ_SZ_SK_SL_SM_EUlSZ_E_NS1_11comp_targetILNS1_3genE5ELNS1_11target_archE942ELNS1_3gpuE9ELNS1_3repE0EEENS1_48merge_mergepath_partition_config_static_selectorELNS0_4arch9wavefront6targetE1EEEvSL_
; %bb.0:
	.section	.rodata,"a",@progbits
	.p2align	6, 0x0
	.amdhsa_kernel _ZN7rocprim17ROCPRIM_400000_NS6detail17trampoline_kernelINS0_14default_configENS1_38merge_sort_block_merge_config_selectorIbiEEZZNS1_27merge_sort_block_merge_implIS3_N6thrust23THRUST_200600_302600_NS6detail15normal_iteratorINS8_10device_ptrIbEEEENSA_INSB_IiEEEEjNS1_19radix_merge_compareILb0ELb1EbNS0_19identity_decomposerEEEEE10hipError_tT0_T1_T2_jT3_P12ihipStream_tbPNSt15iterator_traitsISK_E10value_typeEPNSQ_ISL_E10value_typeEPSM_NS1_7vsmem_tEENKUlT_SK_SL_SM_E_clISD_PbSF_PiEESJ_SZ_SK_SL_SM_EUlSZ_E_NS1_11comp_targetILNS1_3genE5ELNS1_11target_archE942ELNS1_3gpuE9ELNS1_3repE0EEENS1_48merge_mergepath_partition_config_static_selectorELNS0_4arch9wavefront6targetE1EEEvSL_
		.amdhsa_group_segment_fixed_size 0
		.amdhsa_private_segment_fixed_size 0
		.amdhsa_kernarg_size 40
		.amdhsa_user_sgpr_count 2
		.amdhsa_user_sgpr_dispatch_ptr 0
		.amdhsa_user_sgpr_queue_ptr 0
		.amdhsa_user_sgpr_kernarg_segment_ptr 1
		.amdhsa_user_sgpr_dispatch_id 0
		.amdhsa_user_sgpr_kernarg_preload_length 0
		.amdhsa_user_sgpr_kernarg_preload_offset 0
		.amdhsa_user_sgpr_private_segment_size 0
		.amdhsa_uses_dynamic_stack 0
		.amdhsa_enable_private_segment 0
		.amdhsa_system_sgpr_workgroup_id_x 1
		.amdhsa_system_sgpr_workgroup_id_y 0
		.amdhsa_system_sgpr_workgroup_id_z 0
		.amdhsa_system_sgpr_workgroup_info 0
		.amdhsa_system_vgpr_workitem_id 0
		.amdhsa_next_free_vgpr 1
		.amdhsa_next_free_sgpr 0
		.amdhsa_accum_offset 4
		.amdhsa_reserve_vcc 0
		.amdhsa_float_round_mode_32 0
		.amdhsa_float_round_mode_16_64 0
		.amdhsa_float_denorm_mode_32 3
		.amdhsa_float_denorm_mode_16_64 3
		.amdhsa_dx10_clamp 1
		.amdhsa_ieee_mode 1
		.amdhsa_fp16_overflow 0
		.amdhsa_tg_split 0
		.amdhsa_exception_fp_ieee_invalid_op 0
		.amdhsa_exception_fp_denorm_src 0
		.amdhsa_exception_fp_ieee_div_zero 0
		.amdhsa_exception_fp_ieee_overflow 0
		.amdhsa_exception_fp_ieee_underflow 0
		.amdhsa_exception_fp_ieee_inexact 0
		.amdhsa_exception_int_div_zero 0
	.end_amdhsa_kernel
	.section	.text._ZN7rocprim17ROCPRIM_400000_NS6detail17trampoline_kernelINS0_14default_configENS1_38merge_sort_block_merge_config_selectorIbiEEZZNS1_27merge_sort_block_merge_implIS3_N6thrust23THRUST_200600_302600_NS6detail15normal_iteratorINS8_10device_ptrIbEEEENSA_INSB_IiEEEEjNS1_19radix_merge_compareILb0ELb1EbNS0_19identity_decomposerEEEEE10hipError_tT0_T1_T2_jT3_P12ihipStream_tbPNSt15iterator_traitsISK_E10value_typeEPNSQ_ISL_E10value_typeEPSM_NS1_7vsmem_tEENKUlT_SK_SL_SM_E_clISD_PbSF_PiEESJ_SZ_SK_SL_SM_EUlSZ_E_NS1_11comp_targetILNS1_3genE5ELNS1_11target_archE942ELNS1_3gpuE9ELNS1_3repE0EEENS1_48merge_mergepath_partition_config_static_selectorELNS0_4arch9wavefront6targetE1EEEvSL_,"axG",@progbits,_ZN7rocprim17ROCPRIM_400000_NS6detail17trampoline_kernelINS0_14default_configENS1_38merge_sort_block_merge_config_selectorIbiEEZZNS1_27merge_sort_block_merge_implIS3_N6thrust23THRUST_200600_302600_NS6detail15normal_iteratorINS8_10device_ptrIbEEEENSA_INSB_IiEEEEjNS1_19radix_merge_compareILb0ELb1EbNS0_19identity_decomposerEEEEE10hipError_tT0_T1_T2_jT3_P12ihipStream_tbPNSt15iterator_traitsISK_E10value_typeEPNSQ_ISL_E10value_typeEPSM_NS1_7vsmem_tEENKUlT_SK_SL_SM_E_clISD_PbSF_PiEESJ_SZ_SK_SL_SM_EUlSZ_E_NS1_11comp_targetILNS1_3genE5ELNS1_11target_archE942ELNS1_3gpuE9ELNS1_3repE0EEENS1_48merge_mergepath_partition_config_static_selectorELNS0_4arch9wavefront6targetE1EEEvSL_,comdat
.Lfunc_end1992:
	.size	_ZN7rocprim17ROCPRIM_400000_NS6detail17trampoline_kernelINS0_14default_configENS1_38merge_sort_block_merge_config_selectorIbiEEZZNS1_27merge_sort_block_merge_implIS3_N6thrust23THRUST_200600_302600_NS6detail15normal_iteratorINS8_10device_ptrIbEEEENSA_INSB_IiEEEEjNS1_19radix_merge_compareILb0ELb1EbNS0_19identity_decomposerEEEEE10hipError_tT0_T1_T2_jT3_P12ihipStream_tbPNSt15iterator_traitsISK_E10value_typeEPNSQ_ISL_E10value_typeEPSM_NS1_7vsmem_tEENKUlT_SK_SL_SM_E_clISD_PbSF_PiEESJ_SZ_SK_SL_SM_EUlSZ_E_NS1_11comp_targetILNS1_3genE5ELNS1_11target_archE942ELNS1_3gpuE9ELNS1_3repE0EEENS1_48merge_mergepath_partition_config_static_selectorELNS0_4arch9wavefront6targetE1EEEvSL_, .Lfunc_end1992-_ZN7rocprim17ROCPRIM_400000_NS6detail17trampoline_kernelINS0_14default_configENS1_38merge_sort_block_merge_config_selectorIbiEEZZNS1_27merge_sort_block_merge_implIS3_N6thrust23THRUST_200600_302600_NS6detail15normal_iteratorINS8_10device_ptrIbEEEENSA_INSB_IiEEEEjNS1_19radix_merge_compareILb0ELb1EbNS0_19identity_decomposerEEEEE10hipError_tT0_T1_T2_jT3_P12ihipStream_tbPNSt15iterator_traitsISK_E10value_typeEPNSQ_ISL_E10value_typeEPSM_NS1_7vsmem_tEENKUlT_SK_SL_SM_E_clISD_PbSF_PiEESJ_SZ_SK_SL_SM_EUlSZ_E_NS1_11comp_targetILNS1_3genE5ELNS1_11target_archE942ELNS1_3gpuE9ELNS1_3repE0EEENS1_48merge_mergepath_partition_config_static_selectorELNS0_4arch9wavefront6targetE1EEEvSL_
                                        ; -- End function
	.set _ZN7rocprim17ROCPRIM_400000_NS6detail17trampoline_kernelINS0_14default_configENS1_38merge_sort_block_merge_config_selectorIbiEEZZNS1_27merge_sort_block_merge_implIS3_N6thrust23THRUST_200600_302600_NS6detail15normal_iteratorINS8_10device_ptrIbEEEENSA_INSB_IiEEEEjNS1_19radix_merge_compareILb0ELb1EbNS0_19identity_decomposerEEEEE10hipError_tT0_T1_T2_jT3_P12ihipStream_tbPNSt15iterator_traitsISK_E10value_typeEPNSQ_ISL_E10value_typeEPSM_NS1_7vsmem_tEENKUlT_SK_SL_SM_E_clISD_PbSF_PiEESJ_SZ_SK_SL_SM_EUlSZ_E_NS1_11comp_targetILNS1_3genE5ELNS1_11target_archE942ELNS1_3gpuE9ELNS1_3repE0EEENS1_48merge_mergepath_partition_config_static_selectorELNS0_4arch9wavefront6targetE1EEEvSL_.num_vgpr, 0
	.set _ZN7rocprim17ROCPRIM_400000_NS6detail17trampoline_kernelINS0_14default_configENS1_38merge_sort_block_merge_config_selectorIbiEEZZNS1_27merge_sort_block_merge_implIS3_N6thrust23THRUST_200600_302600_NS6detail15normal_iteratorINS8_10device_ptrIbEEEENSA_INSB_IiEEEEjNS1_19radix_merge_compareILb0ELb1EbNS0_19identity_decomposerEEEEE10hipError_tT0_T1_T2_jT3_P12ihipStream_tbPNSt15iterator_traitsISK_E10value_typeEPNSQ_ISL_E10value_typeEPSM_NS1_7vsmem_tEENKUlT_SK_SL_SM_E_clISD_PbSF_PiEESJ_SZ_SK_SL_SM_EUlSZ_E_NS1_11comp_targetILNS1_3genE5ELNS1_11target_archE942ELNS1_3gpuE9ELNS1_3repE0EEENS1_48merge_mergepath_partition_config_static_selectorELNS0_4arch9wavefront6targetE1EEEvSL_.num_agpr, 0
	.set _ZN7rocprim17ROCPRIM_400000_NS6detail17trampoline_kernelINS0_14default_configENS1_38merge_sort_block_merge_config_selectorIbiEEZZNS1_27merge_sort_block_merge_implIS3_N6thrust23THRUST_200600_302600_NS6detail15normal_iteratorINS8_10device_ptrIbEEEENSA_INSB_IiEEEEjNS1_19radix_merge_compareILb0ELb1EbNS0_19identity_decomposerEEEEE10hipError_tT0_T1_T2_jT3_P12ihipStream_tbPNSt15iterator_traitsISK_E10value_typeEPNSQ_ISL_E10value_typeEPSM_NS1_7vsmem_tEENKUlT_SK_SL_SM_E_clISD_PbSF_PiEESJ_SZ_SK_SL_SM_EUlSZ_E_NS1_11comp_targetILNS1_3genE5ELNS1_11target_archE942ELNS1_3gpuE9ELNS1_3repE0EEENS1_48merge_mergepath_partition_config_static_selectorELNS0_4arch9wavefront6targetE1EEEvSL_.numbered_sgpr, 0
	.set _ZN7rocprim17ROCPRIM_400000_NS6detail17trampoline_kernelINS0_14default_configENS1_38merge_sort_block_merge_config_selectorIbiEEZZNS1_27merge_sort_block_merge_implIS3_N6thrust23THRUST_200600_302600_NS6detail15normal_iteratorINS8_10device_ptrIbEEEENSA_INSB_IiEEEEjNS1_19radix_merge_compareILb0ELb1EbNS0_19identity_decomposerEEEEE10hipError_tT0_T1_T2_jT3_P12ihipStream_tbPNSt15iterator_traitsISK_E10value_typeEPNSQ_ISL_E10value_typeEPSM_NS1_7vsmem_tEENKUlT_SK_SL_SM_E_clISD_PbSF_PiEESJ_SZ_SK_SL_SM_EUlSZ_E_NS1_11comp_targetILNS1_3genE5ELNS1_11target_archE942ELNS1_3gpuE9ELNS1_3repE0EEENS1_48merge_mergepath_partition_config_static_selectorELNS0_4arch9wavefront6targetE1EEEvSL_.num_named_barrier, 0
	.set _ZN7rocprim17ROCPRIM_400000_NS6detail17trampoline_kernelINS0_14default_configENS1_38merge_sort_block_merge_config_selectorIbiEEZZNS1_27merge_sort_block_merge_implIS3_N6thrust23THRUST_200600_302600_NS6detail15normal_iteratorINS8_10device_ptrIbEEEENSA_INSB_IiEEEEjNS1_19radix_merge_compareILb0ELb1EbNS0_19identity_decomposerEEEEE10hipError_tT0_T1_T2_jT3_P12ihipStream_tbPNSt15iterator_traitsISK_E10value_typeEPNSQ_ISL_E10value_typeEPSM_NS1_7vsmem_tEENKUlT_SK_SL_SM_E_clISD_PbSF_PiEESJ_SZ_SK_SL_SM_EUlSZ_E_NS1_11comp_targetILNS1_3genE5ELNS1_11target_archE942ELNS1_3gpuE9ELNS1_3repE0EEENS1_48merge_mergepath_partition_config_static_selectorELNS0_4arch9wavefront6targetE1EEEvSL_.private_seg_size, 0
	.set _ZN7rocprim17ROCPRIM_400000_NS6detail17trampoline_kernelINS0_14default_configENS1_38merge_sort_block_merge_config_selectorIbiEEZZNS1_27merge_sort_block_merge_implIS3_N6thrust23THRUST_200600_302600_NS6detail15normal_iteratorINS8_10device_ptrIbEEEENSA_INSB_IiEEEEjNS1_19radix_merge_compareILb0ELb1EbNS0_19identity_decomposerEEEEE10hipError_tT0_T1_T2_jT3_P12ihipStream_tbPNSt15iterator_traitsISK_E10value_typeEPNSQ_ISL_E10value_typeEPSM_NS1_7vsmem_tEENKUlT_SK_SL_SM_E_clISD_PbSF_PiEESJ_SZ_SK_SL_SM_EUlSZ_E_NS1_11comp_targetILNS1_3genE5ELNS1_11target_archE942ELNS1_3gpuE9ELNS1_3repE0EEENS1_48merge_mergepath_partition_config_static_selectorELNS0_4arch9wavefront6targetE1EEEvSL_.uses_vcc, 0
	.set _ZN7rocprim17ROCPRIM_400000_NS6detail17trampoline_kernelINS0_14default_configENS1_38merge_sort_block_merge_config_selectorIbiEEZZNS1_27merge_sort_block_merge_implIS3_N6thrust23THRUST_200600_302600_NS6detail15normal_iteratorINS8_10device_ptrIbEEEENSA_INSB_IiEEEEjNS1_19radix_merge_compareILb0ELb1EbNS0_19identity_decomposerEEEEE10hipError_tT0_T1_T2_jT3_P12ihipStream_tbPNSt15iterator_traitsISK_E10value_typeEPNSQ_ISL_E10value_typeEPSM_NS1_7vsmem_tEENKUlT_SK_SL_SM_E_clISD_PbSF_PiEESJ_SZ_SK_SL_SM_EUlSZ_E_NS1_11comp_targetILNS1_3genE5ELNS1_11target_archE942ELNS1_3gpuE9ELNS1_3repE0EEENS1_48merge_mergepath_partition_config_static_selectorELNS0_4arch9wavefront6targetE1EEEvSL_.uses_flat_scratch, 0
	.set _ZN7rocprim17ROCPRIM_400000_NS6detail17trampoline_kernelINS0_14default_configENS1_38merge_sort_block_merge_config_selectorIbiEEZZNS1_27merge_sort_block_merge_implIS3_N6thrust23THRUST_200600_302600_NS6detail15normal_iteratorINS8_10device_ptrIbEEEENSA_INSB_IiEEEEjNS1_19radix_merge_compareILb0ELb1EbNS0_19identity_decomposerEEEEE10hipError_tT0_T1_T2_jT3_P12ihipStream_tbPNSt15iterator_traitsISK_E10value_typeEPNSQ_ISL_E10value_typeEPSM_NS1_7vsmem_tEENKUlT_SK_SL_SM_E_clISD_PbSF_PiEESJ_SZ_SK_SL_SM_EUlSZ_E_NS1_11comp_targetILNS1_3genE5ELNS1_11target_archE942ELNS1_3gpuE9ELNS1_3repE0EEENS1_48merge_mergepath_partition_config_static_selectorELNS0_4arch9wavefront6targetE1EEEvSL_.has_dyn_sized_stack, 0
	.set _ZN7rocprim17ROCPRIM_400000_NS6detail17trampoline_kernelINS0_14default_configENS1_38merge_sort_block_merge_config_selectorIbiEEZZNS1_27merge_sort_block_merge_implIS3_N6thrust23THRUST_200600_302600_NS6detail15normal_iteratorINS8_10device_ptrIbEEEENSA_INSB_IiEEEEjNS1_19radix_merge_compareILb0ELb1EbNS0_19identity_decomposerEEEEE10hipError_tT0_T1_T2_jT3_P12ihipStream_tbPNSt15iterator_traitsISK_E10value_typeEPNSQ_ISL_E10value_typeEPSM_NS1_7vsmem_tEENKUlT_SK_SL_SM_E_clISD_PbSF_PiEESJ_SZ_SK_SL_SM_EUlSZ_E_NS1_11comp_targetILNS1_3genE5ELNS1_11target_archE942ELNS1_3gpuE9ELNS1_3repE0EEENS1_48merge_mergepath_partition_config_static_selectorELNS0_4arch9wavefront6targetE1EEEvSL_.has_recursion, 0
	.set _ZN7rocprim17ROCPRIM_400000_NS6detail17trampoline_kernelINS0_14default_configENS1_38merge_sort_block_merge_config_selectorIbiEEZZNS1_27merge_sort_block_merge_implIS3_N6thrust23THRUST_200600_302600_NS6detail15normal_iteratorINS8_10device_ptrIbEEEENSA_INSB_IiEEEEjNS1_19radix_merge_compareILb0ELb1EbNS0_19identity_decomposerEEEEE10hipError_tT0_T1_T2_jT3_P12ihipStream_tbPNSt15iterator_traitsISK_E10value_typeEPNSQ_ISL_E10value_typeEPSM_NS1_7vsmem_tEENKUlT_SK_SL_SM_E_clISD_PbSF_PiEESJ_SZ_SK_SL_SM_EUlSZ_E_NS1_11comp_targetILNS1_3genE5ELNS1_11target_archE942ELNS1_3gpuE9ELNS1_3repE0EEENS1_48merge_mergepath_partition_config_static_selectorELNS0_4arch9wavefront6targetE1EEEvSL_.has_indirect_call, 0
	.section	.AMDGPU.csdata,"",@progbits
; Kernel info:
; codeLenInByte = 0
; TotalNumSgprs: 6
; NumVgprs: 0
; NumAgprs: 0
; TotalNumVgprs: 0
; ScratchSize: 0
; MemoryBound: 0
; FloatMode: 240
; IeeeMode: 1
; LDSByteSize: 0 bytes/workgroup (compile time only)
; SGPRBlocks: 0
; VGPRBlocks: 0
; NumSGPRsForWavesPerEU: 6
; NumVGPRsForWavesPerEU: 1
; AccumOffset: 4
; Occupancy: 8
; WaveLimiterHint : 0
; COMPUTE_PGM_RSRC2:SCRATCH_EN: 0
; COMPUTE_PGM_RSRC2:USER_SGPR: 2
; COMPUTE_PGM_RSRC2:TRAP_HANDLER: 0
; COMPUTE_PGM_RSRC2:TGID_X_EN: 1
; COMPUTE_PGM_RSRC2:TGID_Y_EN: 0
; COMPUTE_PGM_RSRC2:TGID_Z_EN: 0
; COMPUTE_PGM_RSRC2:TIDIG_COMP_CNT: 0
; COMPUTE_PGM_RSRC3_GFX90A:ACCUM_OFFSET: 0
; COMPUTE_PGM_RSRC3_GFX90A:TG_SPLIT: 0
	.section	.text._ZN7rocprim17ROCPRIM_400000_NS6detail17trampoline_kernelINS0_14default_configENS1_38merge_sort_block_merge_config_selectorIbiEEZZNS1_27merge_sort_block_merge_implIS3_N6thrust23THRUST_200600_302600_NS6detail15normal_iteratorINS8_10device_ptrIbEEEENSA_INSB_IiEEEEjNS1_19radix_merge_compareILb0ELb1EbNS0_19identity_decomposerEEEEE10hipError_tT0_T1_T2_jT3_P12ihipStream_tbPNSt15iterator_traitsISK_E10value_typeEPNSQ_ISL_E10value_typeEPSM_NS1_7vsmem_tEENKUlT_SK_SL_SM_E_clISD_PbSF_PiEESJ_SZ_SK_SL_SM_EUlSZ_E_NS1_11comp_targetILNS1_3genE4ELNS1_11target_archE910ELNS1_3gpuE8ELNS1_3repE0EEENS1_48merge_mergepath_partition_config_static_selectorELNS0_4arch9wavefront6targetE1EEEvSL_,"axG",@progbits,_ZN7rocprim17ROCPRIM_400000_NS6detail17trampoline_kernelINS0_14default_configENS1_38merge_sort_block_merge_config_selectorIbiEEZZNS1_27merge_sort_block_merge_implIS3_N6thrust23THRUST_200600_302600_NS6detail15normal_iteratorINS8_10device_ptrIbEEEENSA_INSB_IiEEEEjNS1_19radix_merge_compareILb0ELb1EbNS0_19identity_decomposerEEEEE10hipError_tT0_T1_T2_jT3_P12ihipStream_tbPNSt15iterator_traitsISK_E10value_typeEPNSQ_ISL_E10value_typeEPSM_NS1_7vsmem_tEENKUlT_SK_SL_SM_E_clISD_PbSF_PiEESJ_SZ_SK_SL_SM_EUlSZ_E_NS1_11comp_targetILNS1_3genE4ELNS1_11target_archE910ELNS1_3gpuE8ELNS1_3repE0EEENS1_48merge_mergepath_partition_config_static_selectorELNS0_4arch9wavefront6targetE1EEEvSL_,comdat
	.protected	_ZN7rocprim17ROCPRIM_400000_NS6detail17trampoline_kernelINS0_14default_configENS1_38merge_sort_block_merge_config_selectorIbiEEZZNS1_27merge_sort_block_merge_implIS3_N6thrust23THRUST_200600_302600_NS6detail15normal_iteratorINS8_10device_ptrIbEEEENSA_INSB_IiEEEEjNS1_19radix_merge_compareILb0ELb1EbNS0_19identity_decomposerEEEEE10hipError_tT0_T1_T2_jT3_P12ihipStream_tbPNSt15iterator_traitsISK_E10value_typeEPNSQ_ISL_E10value_typeEPSM_NS1_7vsmem_tEENKUlT_SK_SL_SM_E_clISD_PbSF_PiEESJ_SZ_SK_SL_SM_EUlSZ_E_NS1_11comp_targetILNS1_3genE4ELNS1_11target_archE910ELNS1_3gpuE8ELNS1_3repE0EEENS1_48merge_mergepath_partition_config_static_selectorELNS0_4arch9wavefront6targetE1EEEvSL_ ; -- Begin function _ZN7rocprim17ROCPRIM_400000_NS6detail17trampoline_kernelINS0_14default_configENS1_38merge_sort_block_merge_config_selectorIbiEEZZNS1_27merge_sort_block_merge_implIS3_N6thrust23THRUST_200600_302600_NS6detail15normal_iteratorINS8_10device_ptrIbEEEENSA_INSB_IiEEEEjNS1_19radix_merge_compareILb0ELb1EbNS0_19identity_decomposerEEEEE10hipError_tT0_T1_T2_jT3_P12ihipStream_tbPNSt15iterator_traitsISK_E10value_typeEPNSQ_ISL_E10value_typeEPSM_NS1_7vsmem_tEENKUlT_SK_SL_SM_E_clISD_PbSF_PiEESJ_SZ_SK_SL_SM_EUlSZ_E_NS1_11comp_targetILNS1_3genE4ELNS1_11target_archE910ELNS1_3gpuE8ELNS1_3repE0EEENS1_48merge_mergepath_partition_config_static_selectorELNS0_4arch9wavefront6targetE1EEEvSL_
	.globl	_ZN7rocprim17ROCPRIM_400000_NS6detail17trampoline_kernelINS0_14default_configENS1_38merge_sort_block_merge_config_selectorIbiEEZZNS1_27merge_sort_block_merge_implIS3_N6thrust23THRUST_200600_302600_NS6detail15normal_iteratorINS8_10device_ptrIbEEEENSA_INSB_IiEEEEjNS1_19radix_merge_compareILb0ELb1EbNS0_19identity_decomposerEEEEE10hipError_tT0_T1_T2_jT3_P12ihipStream_tbPNSt15iterator_traitsISK_E10value_typeEPNSQ_ISL_E10value_typeEPSM_NS1_7vsmem_tEENKUlT_SK_SL_SM_E_clISD_PbSF_PiEESJ_SZ_SK_SL_SM_EUlSZ_E_NS1_11comp_targetILNS1_3genE4ELNS1_11target_archE910ELNS1_3gpuE8ELNS1_3repE0EEENS1_48merge_mergepath_partition_config_static_selectorELNS0_4arch9wavefront6targetE1EEEvSL_
	.p2align	8
	.type	_ZN7rocprim17ROCPRIM_400000_NS6detail17trampoline_kernelINS0_14default_configENS1_38merge_sort_block_merge_config_selectorIbiEEZZNS1_27merge_sort_block_merge_implIS3_N6thrust23THRUST_200600_302600_NS6detail15normal_iteratorINS8_10device_ptrIbEEEENSA_INSB_IiEEEEjNS1_19radix_merge_compareILb0ELb1EbNS0_19identity_decomposerEEEEE10hipError_tT0_T1_T2_jT3_P12ihipStream_tbPNSt15iterator_traitsISK_E10value_typeEPNSQ_ISL_E10value_typeEPSM_NS1_7vsmem_tEENKUlT_SK_SL_SM_E_clISD_PbSF_PiEESJ_SZ_SK_SL_SM_EUlSZ_E_NS1_11comp_targetILNS1_3genE4ELNS1_11target_archE910ELNS1_3gpuE8ELNS1_3repE0EEENS1_48merge_mergepath_partition_config_static_selectorELNS0_4arch9wavefront6targetE1EEEvSL_,@function
_ZN7rocprim17ROCPRIM_400000_NS6detail17trampoline_kernelINS0_14default_configENS1_38merge_sort_block_merge_config_selectorIbiEEZZNS1_27merge_sort_block_merge_implIS3_N6thrust23THRUST_200600_302600_NS6detail15normal_iteratorINS8_10device_ptrIbEEEENSA_INSB_IiEEEEjNS1_19radix_merge_compareILb0ELb1EbNS0_19identity_decomposerEEEEE10hipError_tT0_T1_T2_jT3_P12ihipStream_tbPNSt15iterator_traitsISK_E10value_typeEPNSQ_ISL_E10value_typeEPSM_NS1_7vsmem_tEENKUlT_SK_SL_SM_E_clISD_PbSF_PiEESJ_SZ_SK_SL_SM_EUlSZ_E_NS1_11comp_targetILNS1_3genE4ELNS1_11target_archE910ELNS1_3gpuE8ELNS1_3repE0EEENS1_48merge_mergepath_partition_config_static_selectorELNS0_4arch9wavefront6targetE1EEEvSL_: ; @_ZN7rocprim17ROCPRIM_400000_NS6detail17trampoline_kernelINS0_14default_configENS1_38merge_sort_block_merge_config_selectorIbiEEZZNS1_27merge_sort_block_merge_implIS3_N6thrust23THRUST_200600_302600_NS6detail15normal_iteratorINS8_10device_ptrIbEEEENSA_INSB_IiEEEEjNS1_19radix_merge_compareILb0ELb1EbNS0_19identity_decomposerEEEEE10hipError_tT0_T1_T2_jT3_P12ihipStream_tbPNSt15iterator_traitsISK_E10value_typeEPNSQ_ISL_E10value_typeEPSM_NS1_7vsmem_tEENKUlT_SK_SL_SM_E_clISD_PbSF_PiEESJ_SZ_SK_SL_SM_EUlSZ_E_NS1_11comp_targetILNS1_3genE4ELNS1_11target_archE910ELNS1_3gpuE8ELNS1_3repE0EEENS1_48merge_mergepath_partition_config_static_selectorELNS0_4arch9wavefront6targetE1EEEvSL_
; %bb.0:
	.section	.rodata,"a",@progbits
	.p2align	6, 0x0
	.amdhsa_kernel _ZN7rocprim17ROCPRIM_400000_NS6detail17trampoline_kernelINS0_14default_configENS1_38merge_sort_block_merge_config_selectorIbiEEZZNS1_27merge_sort_block_merge_implIS3_N6thrust23THRUST_200600_302600_NS6detail15normal_iteratorINS8_10device_ptrIbEEEENSA_INSB_IiEEEEjNS1_19radix_merge_compareILb0ELb1EbNS0_19identity_decomposerEEEEE10hipError_tT0_T1_T2_jT3_P12ihipStream_tbPNSt15iterator_traitsISK_E10value_typeEPNSQ_ISL_E10value_typeEPSM_NS1_7vsmem_tEENKUlT_SK_SL_SM_E_clISD_PbSF_PiEESJ_SZ_SK_SL_SM_EUlSZ_E_NS1_11comp_targetILNS1_3genE4ELNS1_11target_archE910ELNS1_3gpuE8ELNS1_3repE0EEENS1_48merge_mergepath_partition_config_static_selectorELNS0_4arch9wavefront6targetE1EEEvSL_
		.amdhsa_group_segment_fixed_size 0
		.amdhsa_private_segment_fixed_size 0
		.amdhsa_kernarg_size 40
		.amdhsa_user_sgpr_count 2
		.amdhsa_user_sgpr_dispatch_ptr 0
		.amdhsa_user_sgpr_queue_ptr 0
		.amdhsa_user_sgpr_kernarg_segment_ptr 1
		.amdhsa_user_sgpr_dispatch_id 0
		.amdhsa_user_sgpr_kernarg_preload_length 0
		.amdhsa_user_sgpr_kernarg_preload_offset 0
		.amdhsa_user_sgpr_private_segment_size 0
		.amdhsa_uses_dynamic_stack 0
		.amdhsa_enable_private_segment 0
		.amdhsa_system_sgpr_workgroup_id_x 1
		.amdhsa_system_sgpr_workgroup_id_y 0
		.amdhsa_system_sgpr_workgroup_id_z 0
		.amdhsa_system_sgpr_workgroup_info 0
		.amdhsa_system_vgpr_workitem_id 0
		.amdhsa_next_free_vgpr 1
		.amdhsa_next_free_sgpr 0
		.amdhsa_accum_offset 4
		.amdhsa_reserve_vcc 0
		.amdhsa_float_round_mode_32 0
		.amdhsa_float_round_mode_16_64 0
		.amdhsa_float_denorm_mode_32 3
		.amdhsa_float_denorm_mode_16_64 3
		.amdhsa_dx10_clamp 1
		.amdhsa_ieee_mode 1
		.amdhsa_fp16_overflow 0
		.amdhsa_tg_split 0
		.amdhsa_exception_fp_ieee_invalid_op 0
		.amdhsa_exception_fp_denorm_src 0
		.amdhsa_exception_fp_ieee_div_zero 0
		.amdhsa_exception_fp_ieee_overflow 0
		.amdhsa_exception_fp_ieee_underflow 0
		.amdhsa_exception_fp_ieee_inexact 0
		.amdhsa_exception_int_div_zero 0
	.end_amdhsa_kernel
	.section	.text._ZN7rocprim17ROCPRIM_400000_NS6detail17trampoline_kernelINS0_14default_configENS1_38merge_sort_block_merge_config_selectorIbiEEZZNS1_27merge_sort_block_merge_implIS3_N6thrust23THRUST_200600_302600_NS6detail15normal_iteratorINS8_10device_ptrIbEEEENSA_INSB_IiEEEEjNS1_19radix_merge_compareILb0ELb1EbNS0_19identity_decomposerEEEEE10hipError_tT0_T1_T2_jT3_P12ihipStream_tbPNSt15iterator_traitsISK_E10value_typeEPNSQ_ISL_E10value_typeEPSM_NS1_7vsmem_tEENKUlT_SK_SL_SM_E_clISD_PbSF_PiEESJ_SZ_SK_SL_SM_EUlSZ_E_NS1_11comp_targetILNS1_3genE4ELNS1_11target_archE910ELNS1_3gpuE8ELNS1_3repE0EEENS1_48merge_mergepath_partition_config_static_selectorELNS0_4arch9wavefront6targetE1EEEvSL_,"axG",@progbits,_ZN7rocprim17ROCPRIM_400000_NS6detail17trampoline_kernelINS0_14default_configENS1_38merge_sort_block_merge_config_selectorIbiEEZZNS1_27merge_sort_block_merge_implIS3_N6thrust23THRUST_200600_302600_NS6detail15normal_iteratorINS8_10device_ptrIbEEEENSA_INSB_IiEEEEjNS1_19radix_merge_compareILb0ELb1EbNS0_19identity_decomposerEEEEE10hipError_tT0_T1_T2_jT3_P12ihipStream_tbPNSt15iterator_traitsISK_E10value_typeEPNSQ_ISL_E10value_typeEPSM_NS1_7vsmem_tEENKUlT_SK_SL_SM_E_clISD_PbSF_PiEESJ_SZ_SK_SL_SM_EUlSZ_E_NS1_11comp_targetILNS1_3genE4ELNS1_11target_archE910ELNS1_3gpuE8ELNS1_3repE0EEENS1_48merge_mergepath_partition_config_static_selectorELNS0_4arch9wavefront6targetE1EEEvSL_,comdat
.Lfunc_end1993:
	.size	_ZN7rocprim17ROCPRIM_400000_NS6detail17trampoline_kernelINS0_14default_configENS1_38merge_sort_block_merge_config_selectorIbiEEZZNS1_27merge_sort_block_merge_implIS3_N6thrust23THRUST_200600_302600_NS6detail15normal_iteratorINS8_10device_ptrIbEEEENSA_INSB_IiEEEEjNS1_19radix_merge_compareILb0ELb1EbNS0_19identity_decomposerEEEEE10hipError_tT0_T1_T2_jT3_P12ihipStream_tbPNSt15iterator_traitsISK_E10value_typeEPNSQ_ISL_E10value_typeEPSM_NS1_7vsmem_tEENKUlT_SK_SL_SM_E_clISD_PbSF_PiEESJ_SZ_SK_SL_SM_EUlSZ_E_NS1_11comp_targetILNS1_3genE4ELNS1_11target_archE910ELNS1_3gpuE8ELNS1_3repE0EEENS1_48merge_mergepath_partition_config_static_selectorELNS0_4arch9wavefront6targetE1EEEvSL_, .Lfunc_end1993-_ZN7rocprim17ROCPRIM_400000_NS6detail17trampoline_kernelINS0_14default_configENS1_38merge_sort_block_merge_config_selectorIbiEEZZNS1_27merge_sort_block_merge_implIS3_N6thrust23THRUST_200600_302600_NS6detail15normal_iteratorINS8_10device_ptrIbEEEENSA_INSB_IiEEEEjNS1_19radix_merge_compareILb0ELb1EbNS0_19identity_decomposerEEEEE10hipError_tT0_T1_T2_jT3_P12ihipStream_tbPNSt15iterator_traitsISK_E10value_typeEPNSQ_ISL_E10value_typeEPSM_NS1_7vsmem_tEENKUlT_SK_SL_SM_E_clISD_PbSF_PiEESJ_SZ_SK_SL_SM_EUlSZ_E_NS1_11comp_targetILNS1_3genE4ELNS1_11target_archE910ELNS1_3gpuE8ELNS1_3repE0EEENS1_48merge_mergepath_partition_config_static_selectorELNS0_4arch9wavefront6targetE1EEEvSL_
                                        ; -- End function
	.set _ZN7rocprim17ROCPRIM_400000_NS6detail17trampoline_kernelINS0_14default_configENS1_38merge_sort_block_merge_config_selectorIbiEEZZNS1_27merge_sort_block_merge_implIS3_N6thrust23THRUST_200600_302600_NS6detail15normal_iteratorINS8_10device_ptrIbEEEENSA_INSB_IiEEEEjNS1_19radix_merge_compareILb0ELb1EbNS0_19identity_decomposerEEEEE10hipError_tT0_T1_T2_jT3_P12ihipStream_tbPNSt15iterator_traitsISK_E10value_typeEPNSQ_ISL_E10value_typeEPSM_NS1_7vsmem_tEENKUlT_SK_SL_SM_E_clISD_PbSF_PiEESJ_SZ_SK_SL_SM_EUlSZ_E_NS1_11comp_targetILNS1_3genE4ELNS1_11target_archE910ELNS1_3gpuE8ELNS1_3repE0EEENS1_48merge_mergepath_partition_config_static_selectorELNS0_4arch9wavefront6targetE1EEEvSL_.num_vgpr, 0
	.set _ZN7rocprim17ROCPRIM_400000_NS6detail17trampoline_kernelINS0_14default_configENS1_38merge_sort_block_merge_config_selectorIbiEEZZNS1_27merge_sort_block_merge_implIS3_N6thrust23THRUST_200600_302600_NS6detail15normal_iteratorINS8_10device_ptrIbEEEENSA_INSB_IiEEEEjNS1_19radix_merge_compareILb0ELb1EbNS0_19identity_decomposerEEEEE10hipError_tT0_T1_T2_jT3_P12ihipStream_tbPNSt15iterator_traitsISK_E10value_typeEPNSQ_ISL_E10value_typeEPSM_NS1_7vsmem_tEENKUlT_SK_SL_SM_E_clISD_PbSF_PiEESJ_SZ_SK_SL_SM_EUlSZ_E_NS1_11comp_targetILNS1_3genE4ELNS1_11target_archE910ELNS1_3gpuE8ELNS1_3repE0EEENS1_48merge_mergepath_partition_config_static_selectorELNS0_4arch9wavefront6targetE1EEEvSL_.num_agpr, 0
	.set _ZN7rocprim17ROCPRIM_400000_NS6detail17trampoline_kernelINS0_14default_configENS1_38merge_sort_block_merge_config_selectorIbiEEZZNS1_27merge_sort_block_merge_implIS3_N6thrust23THRUST_200600_302600_NS6detail15normal_iteratorINS8_10device_ptrIbEEEENSA_INSB_IiEEEEjNS1_19radix_merge_compareILb0ELb1EbNS0_19identity_decomposerEEEEE10hipError_tT0_T1_T2_jT3_P12ihipStream_tbPNSt15iterator_traitsISK_E10value_typeEPNSQ_ISL_E10value_typeEPSM_NS1_7vsmem_tEENKUlT_SK_SL_SM_E_clISD_PbSF_PiEESJ_SZ_SK_SL_SM_EUlSZ_E_NS1_11comp_targetILNS1_3genE4ELNS1_11target_archE910ELNS1_3gpuE8ELNS1_3repE0EEENS1_48merge_mergepath_partition_config_static_selectorELNS0_4arch9wavefront6targetE1EEEvSL_.numbered_sgpr, 0
	.set _ZN7rocprim17ROCPRIM_400000_NS6detail17trampoline_kernelINS0_14default_configENS1_38merge_sort_block_merge_config_selectorIbiEEZZNS1_27merge_sort_block_merge_implIS3_N6thrust23THRUST_200600_302600_NS6detail15normal_iteratorINS8_10device_ptrIbEEEENSA_INSB_IiEEEEjNS1_19radix_merge_compareILb0ELb1EbNS0_19identity_decomposerEEEEE10hipError_tT0_T1_T2_jT3_P12ihipStream_tbPNSt15iterator_traitsISK_E10value_typeEPNSQ_ISL_E10value_typeEPSM_NS1_7vsmem_tEENKUlT_SK_SL_SM_E_clISD_PbSF_PiEESJ_SZ_SK_SL_SM_EUlSZ_E_NS1_11comp_targetILNS1_3genE4ELNS1_11target_archE910ELNS1_3gpuE8ELNS1_3repE0EEENS1_48merge_mergepath_partition_config_static_selectorELNS0_4arch9wavefront6targetE1EEEvSL_.num_named_barrier, 0
	.set _ZN7rocprim17ROCPRIM_400000_NS6detail17trampoline_kernelINS0_14default_configENS1_38merge_sort_block_merge_config_selectorIbiEEZZNS1_27merge_sort_block_merge_implIS3_N6thrust23THRUST_200600_302600_NS6detail15normal_iteratorINS8_10device_ptrIbEEEENSA_INSB_IiEEEEjNS1_19radix_merge_compareILb0ELb1EbNS0_19identity_decomposerEEEEE10hipError_tT0_T1_T2_jT3_P12ihipStream_tbPNSt15iterator_traitsISK_E10value_typeEPNSQ_ISL_E10value_typeEPSM_NS1_7vsmem_tEENKUlT_SK_SL_SM_E_clISD_PbSF_PiEESJ_SZ_SK_SL_SM_EUlSZ_E_NS1_11comp_targetILNS1_3genE4ELNS1_11target_archE910ELNS1_3gpuE8ELNS1_3repE0EEENS1_48merge_mergepath_partition_config_static_selectorELNS0_4arch9wavefront6targetE1EEEvSL_.private_seg_size, 0
	.set _ZN7rocprim17ROCPRIM_400000_NS6detail17trampoline_kernelINS0_14default_configENS1_38merge_sort_block_merge_config_selectorIbiEEZZNS1_27merge_sort_block_merge_implIS3_N6thrust23THRUST_200600_302600_NS6detail15normal_iteratorINS8_10device_ptrIbEEEENSA_INSB_IiEEEEjNS1_19radix_merge_compareILb0ELb1EbNS0_19identity_decomposerEEEEE10hipError_tT0_T1_T2_jT3_P12ihipStream_tbPNSt15iterator_traitsISK_E10value_typeEPNSQ_ISL_E10value_typeEPSM_NS1_7vsmem_tEENKUlT_SK_SL_SM_E_clISD_PbSF_PiEESJ_SZ_SK_SL_SM_EUlSZ_E_NS1_11comp_targetILNS1_3genE4ELNS1_11target_archE910ELNS1_3gpuE8ELNS1_3repE0EEENS1_48merge_mergepath_partition_config_static_selectorELNS0_4arch9wavefront6targetE1EEEvSL_.uses_vcc, 0
	.set _ZN7rocprim17ROCPRIM_400000_NS6detail17trampoline_kernelINS0_14default_configENS1_38merge_sort_block_merge_config_selectorIbiEEZZNS1_27merge_sort_block_merge_implIS3_N6thrust23THRUST_200600_302600_NS6detail15normal_iteratorINS8_10device_ptrIbEEEENSA_INSB_IiEEEEjNS1_19radix_merge_compareILb0ELb1EbNS0_19identity_decomposerEEEEE10hipError_tT0_T1_T2_jT3_P12ihipStream_tbPNSt15iterator_traitsISK_E10value_typeEPNSQ_ISL_E10value_typeEPSM_NS1_7vsmem_tEENKUlT_SK_SL_SM_E_clISD_PbSF_PiEESJ_SZ_SK_SL_SM_EUlSZ_E_NS1_11comp_targetILNS1_3genE4ELNS1_11target_archE910ELNS1_3gpuE8ELNS1_3repE0EEENS1_48merge_mergepath_partition_config_static_selectorELNS0_4arch9wavefront6targetE1EEEvSL_.uses_flat_scratch, 0
	.set _ZN7rocprim17ROCPRIM_400000_NS6detail17trampoline_kernelINS0_14default_configENS1_38merge_sort_block_merge_config_selectorIbiEEZZNS1_27merge_sort_block_merge_implIS3_N6thrust23THRUST_200600_302600_NS6detail15normal_iteratorINS8_10device_ptrIbEEEENSA_INSB_IiEEEEjNS1_19radix_merge_compareILb0ELb1EbNS0_19identity_decomposerEEEEE10hipError_tT0_T1_T2_jT3_P12ihipStream_tbPNSt15iterator_traitsISK_E10value_typeEPNSQ_ISL_E10value_typeEPSM_NS1_7vsmem_tEENKUlT_SK_SL_SM_E_clISD_PbSF_PiEESJ_SZ_SK_SL_SM_EUlSZ_E_NS1_11comp_targetILNS1_3genE4ELNS1_11target_archE910ELNS1_3gpuE8ELNS1_3repE0EEENS1_48merge_mergepath_partition_config_static_selectorELNS0_4arch9wavefront6targetE1EEEvSL_.has_dyn_sized_stack, 0
	.set _ZN7rocprim17ROCPRIM_400000_NS6detail17trampoline_kernelINS0_14default_configENS1_38merge_sort_block_merge_config_selectorIbiEEZZNS1_27merge_sort_block_merge_implIS3_N6thrust23THRUST_200600_302600_NS6detail15normal_iteratorINS8_10device_ptrIbEEEENSA_INSB_IiEEEEjNS1_19radix_merge_compareILb0ELb1EbNS0_19identity_decomposerEEEEE10hipError_tT0_T1_T2_jT3_P12ihipStream_tbPNSt15iterator_traitsISK_E10value_typeEPNSQ_ISL_E10value_typeEPSM_NS1_7vsmem_tEENKUlT_SK_SL_SM_E_clISD_PbSF_PiEESJ_SZ_SK_SL_SM_EUlSZ_E_NS1_11comp_targetILNS1_3genE4ELNS1_11target_archE910ELNS1_3gpuE8ELNS1_3repE0EEENS1_48merge_mergepath_partition_config_static_selectorELNS0_4arch9wavefront6targetE1EEEvSL_.has_recursion, 0
	.set _ZN7rocprim17ROCPRIM_400000_NS6detail17trampoline_kernelINS0_14default_configENS1_38merge_sort_block_merge_config_selectorIbiEEZZNS1_27merge_sort_block_merge_implIS3_N6thrust23THRUST_200600_302600_NS6detail15normal_iteratorINS8_10device_ptrIbEEEENSA_INSB_IiEEEEjNS1_19radix_merge_compareILb0ELb1EbNS0_19identity_decomposerEEEEE10hipError_tT0_T1_T2_jT3_P12ihipStream_tbPNSt15iterator_traitsISK_E10value_typeEPNSQ_ISL_E10value_typeEPSM_NS1_7vsmem_tEENKUlT_SK_SL_SM_E_clISD_PbSF_PiEESJ_SZ_SK_SL_SM_EUlSZ_E_NS1_11comp_targetILNS1_3genE4ELNS1_11target_archE910ELNS1_3gpuE8ELNS1_3repE0EEENS1_48merge_mergepath_partition_config_static_selectorELNS0_4arch9wavefront6targetE1EEEvSL_.has_indirect_call, 0
	.section	.AMDGPU.csdata,"",@progbits
; Kernel info:
; codeLenInByte = 0
; TotalNumSgprs: 6
; NumVgprs: 0
; NumAgprs: 0
; TotalNumVgprs: 0
; ScratchSize: 0
; MemoryBound: 0
; FloatMode: 240
; IeeeMode: 1
; LDSByteSize: 0 bytes/workgroup (compile time only)
; SGPRBlocks: 0
; VGPRBlocks: 0
; NumSGPRsForWavesPerEU: 6
; NumVGPRsForWavesPerEU: 1
; AccumOffset: 4
; Occupancy: 8
; WaveLimiterHint : 0
; COMPUTE_PGM_RSRC2:SCRATCH_EN: 0
; COMPUTE_PGM_RSRC2:USER_SGPR: 2
; COMPUTE_PGM_RSRC2:TRAP_HANDLER: 0
; COMPUTE_PGM_RSRC2:TGID_X_EN: 1
; COMPUTE_PGM_RSRC2:TGID_Y_EN: 0
; COMPUTE_PGM_RSRC2:TGID_Z_EN: 0
; COMPUTE_PGM_RSRC2:TIDIG_COMP_CNT: 0
; COMPUTE_PGM_RSRC3_GFX90A:ACCUM_OFFSET: 0
; COMPUTE_PGM_RSRC3_GFX90A:TG_SPLIT: 0
	.section	.text._ZN7rocprim17ROCPRIM_400000_NS6detail17trampoline_kernelINS0_14default_configENS1_38merge_sort_block_merge_config_selectorIbiEEZZNS1_27merge_sort_block_merge_implIS3_N6thrust23THRUST_200600_302600_NS6detail15normal_iteratorINS8_10device_ptrIbEEEENSA_INSB_IiEEEEjNS1_19radix_merge_compareILb0ELb1EbNS0_19identity_decomposerEEEEE10hipError_tT0_T1_T2_jT3_P12ihipStream_tbPNSt15iterator_traitsISK_E10value_typeEPNSQ_ISL_E10value_typeEPSM_NS1_7vsmem_tEENKUlT_SK_SL_SM_E_clISD_PbSF_PiEESJ_SZ_SK_SL_SM_EUlSZ_E_NS1_11comp_targetILNS1_3genE3ELNS1_11target_archE908ELNS1_3gpuE7ELNS1_3repE0EEENS1_48merge_mergepath_partition_config_static_selectorELNS0_4arch9wavefront6targetE1EEEvSL_,"axG",@progbits,_ZN7rocprim17ROCPRIM_400000_NS6detail17trampoline_kernelINS0_14default_configENS1_38merge_sort_block_merge_config_selectorIbiEEZZNS1_27merge_sort_block_merge_implIS3_N6thrust23THRUST_200600_302600_NS6detail15normal_iteratorINS8_10device_ptrIbEEEENSA_INSB_IiEEEEjNS1_19radix_merge_compareILb0ELb1EbNS0_19identity_decomposerEEEEE10hipError_tT0_T1_T2_jT3_P12ihipStream_tbPNSt15iterator_traitsISK_E10value_typeEPNSQ_ISL_E10value_typeEPSM_NS1_7vsmem_tEENKUlT_SK_SL_SM_E_clISD_PbSF_PiEESJ_SZ_SK_SL_SM_EUlSZ_E_NS1_11comp_targetILNS1_3genE3ELNS1_11target_archE908ELNS1_3gpuE7ELNS1_3repE0EEENS1_48merge_mergepath_partition_config_static_selectorELNS0_4arch9wavefront6targetE1EEEvSL_,comdat
	.protected	_ZN7rocprim17ROCPRIM_400000_NS6detail17trampoline_kernelINS0_14default_configENS1_38merge_sort_block_merge_config_selectorIbiEEZZNS1_27merge_sort_block_merge_implIS3_N6thrust23THRUST_200600_302600_NS6detail15normal_iteratorINS8_10device_ptrIbEEEENSA_INSB_IiEEEEjNS1_19radix_merge_compareILb0ELb1EbNS0_19identity_decomposerEEEEE10hipError_tT0_T1_T2_jT3_P12ihipStream_tbPNSt15iterator_traitsISK_E10value_typeEPNSQ_ISL_E10value_typeEPSM_NS1_7vsmem_tEENKUlT_SK_SL_SM_E_clISD_PbSF_PiEESJ_SZ_SK_SL_SM_EUlSZ_E_NS1_11comp_targetILNS1_3genE3ELNS1_11target_archE908ELNS1_3gpuE7ELNS1_3repE0EEENS1_48merge_mergepath_partition_config_static_selectorELNS0_4arch9wavefront6targetE1EEEvSL_ ; -- Begin function _ZN7rocprim17ROCPRIM_400000_NS6detail17trampoline_kernelINS0_14default_configENS1_38merge_sort_block_merge_config_selectorIbiEEZZNS1_27merge_sort_block_merge_implIS3_N6thrust23THRUST_200600_302600_NS6detail15normal_iteratorINS8_10device_ptrIbEEEENSA_INSB_IiEEEEjNS1_19radix_merge_compareILb0ELb1EbNS0_19identity_decomposerEEEEE10hipError_tT0_T1_T2_jT3_P12ihipStream_tbPNSt15iterator_traitsISK_E10value_typeEPNSQ_ISL_E10value_typeEPSM_NS1_7vsmem_tEENKUlT_SK_SL_SM_E_clISD_PbSF_PiEESJ_SZ_SK_SL_SM_EUlSZ_E_NS1_11comp_targetILNS1_3genE3ELNS1_11target_archE908ELNS1_3gpuE7ELNS1_3repE0EEENS1_48merge_mergepath_partition_config_static_selectorELNS0_4arch9wavefront6targetE1EEEvSL_
	.globl	_ZN7rocprim17ROCPRIM_400000_NS6detail17trampoline_kernelINS0_14default_configENS1_38merge_sort_block_merge_config_selectorIbiEEZZNS1_27merge_sort_block_merge_implIS3_N6thrust23THRUST_200600_302600_NS6detail15normal_iteratorINS8_10device_ptrIbEEEENSA_INSB_IiEEEEjNS1_19radix_merge_compareILb0ELb1EbNS0_19identity_decomposerEEEEE10hipError_tT0_T1_T2_jT3_P12ihipStream_tbPNSt15iterator_traitsISK_E10value_typeEPNSQ_ISL_E10value_typeEPSM_NS1_7vsmem_tEENKUlT_SK_SL_SM_E_clISD_PbSF_PiEESJ_SZ_SK_SL_SM_EUlSZ_E_NS1_11comp_targetILNS1_3genE3ELNS1_11target_archE908ELNS1_3gpuE7ELNS1_3repE0EEENS1_48merge_mergepath_partition_config_static_selectorELNS0_4arch9wavefront6targetE1EEEvSL_
	.p2align	8
	.type	_ZN7rocprim17ROCPRIM_400000_NS6detail17trampoline_kernelINS0_14default_configENS1_38merge_sort_block_merge_config_selectorIbiEEZZNS1_27merge_sort_block_merge_implIS3_N6thrust23THRUST_200600_302600_NS6detail15normal_iteratorINS8_10device_ptrIbEEEENSA_INSB_IiEEEEjNS1_19radix_merge_compareILb0ELb1EbNS0_19identity_decomposerEEEEE10hipError_tT0_T1_T2_jT3_P12ihipStream_tbPNSt15iterator_traitsISK_E10value_typeEPNSQ_ISL_E10value_typeEPSM_NS1_7vsmem_tEENKUlT_SK_SL_SM_E_clISD_PbSF_PiEESJ_SZ_SK_SL_SM_EUlSZ_E_NS1_11comp_targetILNS1_3genE3ELNS1_11target_archE908ELNS1_3gpuE7ELNS1_3repE0EEENS1_48merge_mergepath_partition_config_static_selectorELNS0_4arch9wavefront6targetE1EEEvSL_,@function
_ZN7rocprim17ROCPRIM_400000_NS6detail17trampoline_kernelINS0_14default_configENS1_38merge_sort_block_merge_config_selectorIbiEEZZNS1_27merge_sort_block_merge_implIS3_N6thrust23THRUST_200600_302600_NS6detail15normal_iteratorINS8_10device_ptrIbEEEENSA_INSB_IiEEEEjNS1_19radix_merge_compareILb0ELb1EbNS0_19identity_decomposerEEEEE10hipError_tT0_T1_T2_jT3_P12ihipStream_tbPNSt15iterator_traitsISK_E10value_typeEPNSQ_ISL_E10value_typeEPSM_NS1_7vsmem_tEENKUlT_SK_SL_SM_E_clISD_PbSF_PiEESJ_SZ_SK_SL_SM_EUlSZ_E_NS1_11comp_targetILNS1_3genE3ELNS1_11target_archE908ELNS1_3gpuE7ELNS1_3repE0EEENS1_48merge_mergepath_partition_config_static_selectorELNS0_4arch9wavefront6targetE1EEEvSL_: ; @_ZN7rocprim17ROCPRIM_400000_NS6detail17trampoline_kernelINS0_14default_configENS1_38merge_sort_block_merge_config_selectorIbiEEZZNS1_27merge_sort_block_merge_implIS3_N6thrust23THRUST_200600_302600_NS6detail15normal_iteratorINS8_10device_ptrIbEEEENSA_INSB_IiEEEEjNS1_19radix_merge_compareILb0ELb1EbNS0_19identity_decomposerEEEEE10hipError_tT0_T1_T2_jT3_P12ihipStream_tbPNSt15iterator_traitsISK_E10value_typeEPNSQ_ISL_E10value_typeEPSM_NS1_7vsmem_tEENKUlT_SK_SL_SM_E_clISD_PbSF_PiEESJ_SZ_SK_SL_SM_EUlSZ_E_NS1_11comp_targetILNS1_3genE3ELNS1_11target_archE908ELNS1_3gpuE7ELNS1_3repE0EEENS1_48merge_mergepath_partition_config_static_selectorELNS0_4arch9wavefront6targetE1EEEvSL_
; %bb.0:
	.section	.rodata,"a",@progbits
	.p2align	6, 0x0
	.amdhsa_kernel _ZN7rocprim17ROCPRIM_400000_NS6detail17trampoline_kernelINS0_14default_configENS1_38merge_sort_block_merge_config_selectorIbiEEZZNS1_27merge_sort_block_merge_implIS3_N6thrust23THRUST_200600_302600_NS6detail15normal_iteratorINS8_10device_ptrIbEEEENSA_INSB_IiEEEEjNS1_19radix_merge_compareILb0ELb1EbNS0_19identity_decomposerEEEEE10hipError_tT0_T1_T2_jT3_P12ihipStream_tbPNSt15iterator_traitsISK_E10value_typeEPNSQ_ISL_E10value_typeEPSM_NS1_7vsmem_tEENKUlT_SK_SL_SM_E_clISD_PbSF_PiEESJ_SZ_SK_SL_SM_EUlSZ_E_NS1_11comp_targetILNS1_3genE3ELNS1_11target_archE908ELNS1_3gpuE7ELNS1_3repE0EEENS1_48merge_mergepath_partition_config_static_selectorELNS0_4arch9wavefront6targetE1EEEvSL_
		.amdhsa_group_segment_fixed_size 0
		.amdhsa_private_segment_fixed_size 0
		.amdhsa_kernarg_size 40
		.amdhsa_user_sgpr_count 2
		.amdhsa_user_sgpr_dispatch_ptr 0
		.amdhsa_user_sgpr_queue_ptr 0
		.amdhsa_user_sgpr_kernarg_segment_ptr 1
		.amdhsa_user_sgpr_dispatch_id 0
		.amdhsa_user_sgpr_kernarg_preload_length 0
		.amdhsa_user_sgpr_kernarg_preload_offset 0
		.amdhsa_user_sgpr_private_segment_size 0
		.amdhsa_uses_dynamic_stack 0
		.amdhsa_enable_private_segment 0
		.amdhsa_system_sgpr_workgroup_id_x 1
		.amdhsa_system_sgpr_workgroup_id_y 0
		.amdhsa_system_sgpr_workgroup_id_z 0
		.amdhsa_system_sgpr_workgroup_info 0
		.amdhsa_system_vgpr_workitem_id 0
		.amdhsa_next_free_vgpr 1
		.amdhsa_next_free_sgpr 0
		.amdhsa_accum_offset 4
		.amdhsa_reserve_vcc 0
		.amdhsa_float_round_mode_32 0
		.amdhsa_float_round_mode_16_64 0
		.amdhsa_float_denorm_mode_32 3
		.amdhsa_float_denorm_mode_16_64 3
		.amdhsa_dx10_clamp 1
		.amdhsa_ieee_mode 1
		.amdhsa_fp16_overflow 0
		.amdhsa_tg_split 0
		.amdhsa_exception_fp_ieee_invalid_op 0
		.amdhsa_exception_fp_denorm_src 0
		.amdhsa_exception_fp_ieee_div_zero 0
		.amdhsa_exception_fp_ieee_overflow 0
		.amdhsa_exception_fp_ieee_underflow 0
		.amdhsa_exception_fp_ieee_inexact 0
		.amdhsa_exception_int_div_zero 0
	.end_amdhsa_kernel
	.section	.text._ZN7rocprim17ROCPRIM_400000_NS6detail17trampoline_kernelINS0_14default_configENS1_38merge_sort_block_merge_config_selectorIbiEEZZNS1_27merge_sort_block_merge_implIS3_N6thrust23THRUST_200600_302600_NS6detail15normal_iteratorINS8_10device_ptrIbEEEENSA_INSB_IiEEEEjNS1_19radix_merge_compareILb0ELb1EbNS0_19identity_decomposerEEEEE10hipError_tT0_T1_T2_jT3_P12ihipStream_tbPNSt15iterator_traitsISK_E10value_typeEPNSQ_ISL_E10value_typeEPSM_NS1_7vsmem_tEENKUlT_SK_SL_SM_E_clISD_PbSF_PiEESJ_SZ_SK_SL_SM_EUlSZ_E_NS1_11comp_targetILNS1_3genE3ELNS1_11target_archE908ELNS1_3gpuE7ELNS1_3repE0EEENS1_48merge_mergepath_partition_config_static_selectorELNS0_4arch9wavefront6targetE1EEEvSL_,"axG",@progbits,_ZN7rocprim17ROCPRIM_400000_NS6detail17trampoline_kernelINS0_14default_configENS1_38merge_sort_block_merge_config_selectorIbiEEZZNS1_27merge_sort_block_merge_implIS3_N6thrust23THRUST_200600_302600_NS6detail15normal_iteratorINS8_10device_ptrIbEEEENSA_INSB_IiEEEEjNS1_19radix_merge_compareILb0ELb1EbNS0_19identity_decomposerEEEEE10hipError_tT0_T1_T2_jT3_P12ihipStream_tbPNSt15iterator_traitsISK_E10value_typeEPNSQ_ISL_E10value_typeEPSM_NS1_7vsmem_tEENKUlT_SK_SL_SM_E_clISD_PbSF_PiEESJ_SZ_SK_SL_SM_EUlSZ_E_NS1_11comp_targetILNS1_3genE3ELNS1_11target_archE908ELNS1_3gpuE7ELNS1_3repE0EEENS1_48merge_mergepath_partition_config_static_selectorELNS0_4arch9wavefront6targetE1EEEvSL_,comdat
.Lfunc_end1994:
	.size	_ZN7rocprim17ROCPRIM_400000_NS6detail17trampoline_kernelINS0_14default_configENS1_38merge_sort_block_merge_config_selectorIbiEEZZNS1_27merge_sort_block_merge_implIS3_N6thrust23THRUST_200600_302600_NS6detail15normal_iteratorINS8_10device_ptrIbEEEENSA_INSB_IiEEEEjNS1_19radix_merge_compareILb0ELb1EbNS0_19identity_decomposerEEEEE10hipError_tT0_T1_T2_jT3_P12ihipStream_tbPNSt15iterator_traitsISK_E10value_typeEPNSQ_ISL_E10value_typeEPSM_NS1_7vsmem_tEENKUlT_SK_SL_SM_E_clISD_PbSF_PiEESJ_SZ_SK_SL_SM_EUlSZ_E_NS1_11comp_targetILNS1_3genE3ELNS1_11target_archE908ELNS1_3gpuE7ELNS1_3repE0EEENS1_48merge_mergepath_partition_config_static_selectorELNS0_4arch9wavefront6targetE1EEEvSL_, .Lfunc_end1994-_ZN7rocprim17ROCPRIM_400000_NS6detail17trampoline_kernelINS0_14default_configENS1_38merge_sort_block_merge_config_selectorIbiEEZZNS1_27merge_sort_block_merge_implIS3_N6thrust23THRUST_200600_302600_NS6detail15normal_iteratorINS8_10device_ptrIbEEEENSA_INSB_IiEEEEjNS1_19radix_merge_compareILb0ELb1EbNS0_19identity_decomposerEEEEE10hipError_tT0_T1_T2_jT3_P12ihipStream_tbPNSt15iterator_traitsISK_E10value_typeEPNSQ_ISL_E10value_typeEPSM_NS1_7vsmem_tEENKUlT_SK_SL_SM_E_clISD_PbSF_PiEESJ_SZ_SK_SL_SM_EUlSZ_E_NS1_11comp_targetILNS1_3genE3ELNS1_11target_archE908ELNS1_3gpuE7ELNS1_3repE0EEENS1_48merge_mergepath_partition_config_static_selectorELNS0_4arch9wavefront6targetE1EEEvSL_
                                        ; -- End function
	.set _ZN7rocprim17ROCPRIM_400000_NS6detail17trampoline_kernelINS0_14default_configENS1_38merge_sort_block_merge_config_selectorIbiEEZZNS1_27merge_sort_block_merge_implIS3_N6thrust23THRUST_200600_302600_NS6detail15normal_iteratorINS8_10device_ptrIbEEEENSA_INSB_IiEEEEjNS1_19radix_merge_compareILb0ELb1EbNS0_19identity_decomposerEEEEE10hipError_tT0_T1_T2_jT3_P12ihipStream_tbPNSt15iterator_traitsISK_E10value_typeEPNSQ_ISL_E10value_typeEPSM_NS1_7vsmem_tEENKUlT_SK_SL_SM_E_clISD_PbSF_PiEESJ_SZ_SK_SL_SM_EUlSZ_E_NS1_11comp_targetILNS1_3genE3ELNS1_11target_archE908ELNS1_3gpuE7ELNS1_3repE0EEENS1_48merge_mergepath_partition_config_static_selectorELNS0_4arch9wavefront6targetE1EEEvSL_.num_vgpr, 0
	.set _ZN7rocprim17ROCPRIM_400000_NS6detail17trampoline_kernelINS0_14default_configENS1_38merge_sort_block_merge_config_selectorIbiEEZZNS1_27merge_sort_block_merge_implIS3_N6thrust23THRUST_200600_302600_NS6detail15normal_iteratorINS8_10device_ptrIbEEEENSA_INSB_IiEEEEjNS1_19radix_merge_compareILb0ELb1EbNS0_19identity_decomposerEEEEE10hipError_tT0_T1_T2_jT3_P12ihipStream_tbPNSt15iterator_traitsISK_E10value_typeEPNSQ_ISL_E10value_typeEPSM_NS1_7vsmem_tEENKUlT_SK_SL_SM_E_clISD_PbSF_PiEESJ_SZ_SK_SL_SM_EUlSZ_E_NS1_11comp_targetILNS1_3genE3ELNS1_11target_archE908ELNS1_3gpuE7ELNS1_3repE0EEENS1_48merge_mergepath_partition_config_static_selectorELNS0_4arch9wavefront6targetE1EEEvSL_.num_agpr, 0
	.set _ZN7rocprim17ROCPRIM_400000_NS6detail17trampoline_kernelINS0_14default_configENS1_38merge_sort_block_merge_config_selectorIbiEEZZNS1_27merge_sort_block_merge_implIS3_N6thrust23THRUST_200600_302600_NS6detail15normal_iteratorINS8_10device_ptrIbEEEENSA_INSB_IiEEEEjNS1_19radix_merge_compareILb0ELb1EbNS0_19identity_decomposerEEEEE10hipError_tT0_T1_T2_jT3_P12ihipStream_tbPNSt15iterator_traitsISK_E10value_typeEPNSQ_ISL_E10value_typeEPSM_NS1_7vsmem_tEENKUlT_SK_SL_SM_E_clISD_PbSF_PiEESJ_SZ_SK_SL_SM_EUlSZ_E_NS1_11comp_targetILNS1_3genE3ELNS1_11target_archE908ELNS1_3gpuE7ELNS1_3repE0EEENS1_48merge_mergepath_partition_config_static_selectorELNS0_4arch9wavefront6targetE1EEEvSL_.numbered_sgpr, 0
	.set _ZN7rocprim17ROCPRIM_400000_NS6detail17trampoline_kernelINS0_14default_configENS1_38merge_sort_block_merge_config_selectorIbiEEZZNS1_27merge_sort_block_merge_implIS3_N6thrust23THRUST_200600_302600_NS6detail15normal_iteratorINS8_10device_ptrIbEEEENSA_INSB_IiEEEEjNS1_19radix_merge_compareILb0ELb1EbNS0_19identity_decomposerEEEEE10hipError_tT0_T1_T2_jT3_P12ihipStream_tbPNSt15iterator_traitsISK_E10value_typeEPNSQ_ISL_E10value_typeEPSM_NS1_7vsmem_tEENKUlT_SK_SL_SM_E_clISD_PbSF_PiEESJ_SZ_SK_SL_SM_EUlSZ_E_NS1_11comp_targetILNS1_3genE3ELNS1_11target_archE908ELNS1_3gpuE7ELNS1_3repE0EEENS1_48merge_mergepath_partition_config_static_selectorELNS0_4arch9wavefront6targetE1EEEvSL_.num_named_barrier, 0
	.set _ZN7rocprim17ROCPRIM_400000_NS6detail17trampoline_kernelINS0_14default_configENS1_38merge_sort_block_merge_config_selectorIbiEEZZNS1_27merge_sort_block_merge_implIS3_N6thrust23THRUST_200600_302600_NS6detail15normal_iteratorINS8_10device_ptrIbEEEENSA_INSB_IiEEEEjNS1_19radix_merge_compareILb0ELb1EbNS0_19identity_decomposerEEEEE10hipError_tT0_T1_T2_jT3_P12ihipStream_tbPNSt15iterator_traitsISK_E10value_typeEPNSQ_ISL_E10value_typeEPSM_NS1_7vsmem_tEENKUlT_SK_SL_SM_E_clISD_PbSF_PiEESJ_SZ_SK_SL_SM_EUlSZ_E_NS1_11comp_targetILNS1_3genE3ELNS1_11target_archE908ELNS1_3gpuE7ELNS1_3repE0EEENS1_48merge_mergepath_partition_config_static_selectorELNS0_4arch9wavefront6targetE1EEEvSL_.private_seg_size, 0
	.set _ZN7rocprim17ROCPRIM_400000_NS6detail17trampoline_kernelINS0_14default_configENS1_38merge_sort_block_merge_config_selectorIbiEEZZNS1_27merge_sort_block_merge_implIS3_N6thrust23THRUST_200600_302600_NS6detail15normal_iteratorINS8_10device_ptrIbEEEENSA_INSB_IiEEEEjNS1_19radix_merge_compareILb0ELb1EbNS0_19identity_decomposerEEEEE10hipError_tT0_T1_T2_jT3_P12ihipStream_tbPNSt15iterator_traitsISK_E10value_typeEPNSQ_ISL_E10value_typeEPSM_NS1_7vsmem_tEENKUlT_SK_SL_SM_E_clISD_PbSF_PiEESJ_SZ_SK_SL_SM_EUlSZ_E_NS1_11comp_targetILNS1_3genE3ELNS1_11target_archE908ELNS1_3gpuE7ELNS1_3repE0EEENS1_48merge_mergepath_partition_config_static_selectorELNS0_4arch9wavefront6targetE1EEEvSL_.uses_vcc, 0
	.set _ZN7rocprim17ROCPRIM_400000_NS6detail17trampoline_kernelINS0_14default_configENS1_38merge_sort_block_merge_config_selectorIbiEEZZNS1_27merge_sort_block_merge_implIS3_N6thrust23THRUST_200600_302600_NS6detail15normal_iteratorINS8_10device_ptrIbEEEENSA_INSB_IiEEEEjNS1_19radix_merge_compareILb0ELb1EbNS0_19identity_decomposerEEEEE10hipError_tT0_T1_T2_jT3_P12ihipStream_tbPNSt15iterator_traitsISK_E10value_typeEPNSQ_ISL_E10value_typeEPSM_NS1_7vsmem_tEENKUlT_SK_SL_SM_E_clISD_PbSF_PiEESJ_SZ_SK_SL_SM_EUlSZ_E_NS1_11comp_targetILNS1_3genE3ELNS1_11target_archE908ELNS1_3gpuE7ELNS1_3repE0EEENS1_48merge_mergepath_partition_config_static_selectorELNS0_4arch9wavefront6targetE1EEEvSL_.uses_flat_scratch, 0
	.set _ZN7rocprim17ROCPRIM_400000_NS6detail17trampoline_kernelINS0_14default_configENS1_38merge_sort_block_merge_config_selectorIbiEEZZNS1_27merge_sort_block_merge_implIS3_N6thrust23THRUST_200600_302600_NS6detail15normal_iteratorINS8_10device_ptrIbEEEENSA_INSB_IiEEEEjNS1_19radix_merge_compareILb0ELb1EbNS0_19identity_decomposerEEEEE10hipError_tT0_T1_T2_jT3_P12ihipStream_tbPNSt15iterator_traitsISK_E10value_typeEPNSQ_ISL_E10value_typeEPSM_NS1_7vsmem_tEENKUlT_SK_SL_SM_E_clISD_PbSF_PiEESJ_SZ_SK_SL_SM_EUlSZ_E_NS1_11comp_targetILNS1_3genE3ELNS1_11target_archE908ELNS1_3gpuE7ELNS1_3repE0EEENS1_48merge_mergepath_partition_config_static_selectorELNS0_4arch9wavefront6targetE1EEEvSL_.has_dyn_sized_stack, 0
	.set _ZN7rocprim17ROCPRIM_400000_NS6detail17trampoline_kernelINS0_14default_configENS1_38merge_sort_block_merge_config_selectorIbiEEZZNS1_27merge_sort_block_merge_implIS3_N6thrust23THRUST_200600_302600_NS6detail15normal_iteratorINS8_10device_ptrIbEEEENSA_INSB_IiEEEEjNS1_19radix_merge_compareILb0ELb1EbNS0_19identity_decomposerEEEEE10hipError_tT0_T1_T2_jT3_P12ihipStream_tbPNSt15iterator_traitsISK_E10value_typeEPNSQ_ISL_E10value_typeEPSM_NS1_7vsmem_tEENKUlT_SK_SL_SM_E_clISD_PbSF_PiEESJ_SZ_SK_SL_SM_EUlSZ_E_NS1_11comp_targetILNS1_3genE3ELNS1_11target_archE908ELNS1_3gpuE7ELNS1_3repE0EEENS1_48merge_mergepath_partition_config_static_selectorELNS0_4arch9wavefront6targetE1EEEvSL_.has_recursion, 0
	.set _ZN7rocprim17ROCPRIM_400000_NS6detail17trampoline_kernelINS0_14default_configENS1_38merge_sort_block_merge_config_selectorIbiEEZZNS1_27merge_sort_block_merge_implIS3_N6thrust23THRUST_200600_302600_NS6detail15normal_iteratorINS8_10device_ptrIbEEEENSA_INSB_IiEEEEjNS1_19radix_merge_compareILb0ELb1EbNS0_19identity_decomposerEEEEE10hipError_tT0_T1_T2_jT3_P12ihipStream_tbPNSt15iterator_traitsISK_E10value_typeEPNSQ_ISL_E10value_typeEPSM_NS1_7vsmem_tEENKUlT_SK_SL_SM_E_clISD_PbSF_PiEESJ_SZ_SK_SL_SM_EUlSZ_E_NS1_11comp_targetILNS1_3genE3ELNS1_11target_archE908ELNS1_3gpuE7ELNS1_3repE0EEENS1_48merge_mergepath_partition_config_static_selectorELNS0_4arch9wavefront6targetE1EEEvSL_.has_indirect_call, 0
	.section	.AMDGPU.csdata,"",@progbits
; Kernel info:
; codeLenInByte = 0
; TotalNumSgprs: 6
; NumVgprs: 0
; NumAgprs: 0
; TotalNumVgprs: 0
; ScratchSize: 0
; MemoryBound: 0
; FloatMode: 240
; IeeeMode: 1
; LDSByteSize: 0 bytes/workgroup (compile time only)
; SGPRBlocks: 0
; VGPRBlocks: 0
; NumSGPRsForWavesPerEU: 6
; NumVGPRsForWavesPerEU: 1
; AccumOffset: 4
; Occupancy: 8
; WaveLimiterHint : 0
; COMPUTE_PGM_RSRC2:SCRATCH_EN: 0
; COMPUTE_PGM_RSRC2:USER_SGPR: 2
; COMPUTE_PGM_RSRC2:TRAP_HANDLER: 0
; COMPUTE_PGM_RSRC2:TGID_X_EN: 1
; COMPUTE_PGM_RSRC2:TGID_Y_EN: 0
; COMPUTE_PGM_RSRC2:TGID_Z_EN: 0
; COMPUTE_PGM_RSRC2:TIDIG_COMP_CNT: 0
; COMPUTE_PGM_RSRC3_GFX90A:ACCUM_OFFSET: 0
; COMPUTE_PGM_RSRC3_GFX90A:TG_SPLIT: 0
	.section	.text._ZN7rocprim17ROCPRIM_400000_NS6detail17trampoline_kernelINS0_14default_configENS1_38merge_sort_block_merge_config_selectorIbiEEZZNS1_27merge_sort_block_merge_implIS3_N6thrust23THRUST_200600_302600_NS6detail15normal_iteratorINS8_10device_ptrIbEEEENSA_INSB_IiEEEEjNS1_19radix_merge_compareILb0ELb1EbNS0_19identity_decomposerEEEEE10hipError_tT0_T1_T2_jT3_P12ihipStream_tbPNSt15iterator_traitsISK_E10value_typeEPNSQ_ISL_E10value_typeEPSM_NS1_7vsmem_tEENKUlT_SK_SL_SM_E_clISD_PbSF_PiEESJ_SZ_SK_SL_SM_EUlSZ_E_NS1_11comp_targetILNS1_3genE2ELNS1_11target_archE906ELNS1_3gpuE6ELNS1_3repE0EEENS1_48merge_mergepath_partition_config_static_selectorELNS0_4arch9wavefront6targetE1EEEvSL_,"axG",@progbits,_ZN7rocprim17ROCPRIM_400000_NS6detail17trampoline_kernelINS0_14default_configENS1_38merge_sort_block_merge_config_selectorIbiEEZZNS1_27merge_sort_block_merge_implIS3_N6thrust23THRUST_200600_302600_NS6detail15normal_iteratorINS8_10device_ptrIbEEEENSA_INSB_IiEEEEjNS1_19radix_merge_compareILb0ELb1EbNS0_19identity_decomposerEEEEE10hipError_tT0_T1_T2_jT3_P12ihipStream_tbPNSt15iterator_traitsISK_E10value_typeEPNSQ_ISL_E10value_typeEPSM_NS1_7vsmem_tEENKUlT_SK_SL_SM_E_clISD_PbSF_PiEESJ_SZ_SK_SL_SM_EUlSZ_E_NS1_11comp_targetILNS1_3genE2ELNS1_11target_archE906ELNS1_3gpuE6ELNS1_3repE0EEENS1_48merge_mergepath_partition_config_static_selectorELNS0_4arch9wavefront6targetE1EEEvSL_,comdat
	.protected	_ZN7rocprim17ROCPRIM_400000_NS6detail17trampoline_kernelINS0_14default_configENS1_38merge_sort_block_merge_config_selectorIbiEEZZNS1_27merge_sort_block_merge_implIS3_N6thrust23THRUST_200600_302600_NS6detail15normal_iteratorINS8_10device_ptrIbEEEENSA_INSB_IiEEEEjNS1_19radix_merge_compareILb0ELb1EbNS0_19identity_decomposerEEEEE10hipError_tT0_T1_T2_jT3_P12ihipStream_tbPNSt15iterator_traitsISK_E10value_typeEPNSQ_ISL_E10value_typeEPSM_NS1_7vsmem_tEENKUlT_SK_SL_SM_E_clISD_PbSF_PiEESJ_SZ_SK_SL_SM_EUlSZ_E_NS1_11comp_targetILNS1_3genE2ELNS1_11target_archE906ELNS1_3gpuE6ELNS1_3repE0EEENS1_48merge_mergepath_partition_config_static_selectorELNS0_4arch9wavefront6targetE1EEEvSL_ ; -- Begin function _ZN7rocprim17ROCPRIM_400000_NS6detail17trampoline_kernelINS0_14default_configENS1_38merge_sort_block_merge_config_selectorIbiEEZZNS1_27merge_sort_block_merge_implIS3_N6thrust23THRUST_200600_302600_NS6detail15normal_iteratorINS8_10device_ptrIbEEEENSA_INSB_IiEEEEjNS1_19radix_merge_compareILb0ELb1EbNS0_19identity_decomposerEEEEE10hipError_tT0_T1_T2_jT3_P12ihipStream_tbPNSt15iterator_traitsISK_E10value_typeEPNSQ_ISL_E10value_typeEPSM_NS1_7vsmem_tEENKUlT_SK_SL_SM_E_clISD_PbSF_PiEESJ_SZ_SK_SL_SM_EUlSZ_E_NS1_11comp_targetILNS1_3genE2ELNS1_11target_archE906ELNS1_3gpuE6ELNS1_3repE0EEENS1_48merge_mergepath_partition_config_static_selectorELNS0_4arch9wavefront6targetE1EEEvSL_
	.globl	_ZN7rocprim17ROCPRIM_400000_NS6detail17trampoline_kernelINS0_14default_configENS1_38merge_sort_block_merge_config_selectorIbiEEZZNS1_27merge_sort_block_merge_implIS3_N6thrust23THRUST_200600_302600_NS6detail15normal_iteratorINS8_10device_ptrIbEEEENSA_INSB_IiEEEEjNS1_19radix_merge_compareILb0ELb1EbNS0_19identity_decomposerEEEEE10hipError_tT0_T1_T2_jT3_P12ihipStream_tbPNSt15iterator_traitsISK_E10value_typeEPNSQ_ISL_E10value_typeEPSM_NS1_7vsmem_tEENKUlT_SK_SL_SM_E_clISD_PbSF_PiEESJ_SZ_SK_SL_SM_EUlSZ_E_NS1_11comp_targetILNS1_3genE2ELNS1_11target_archE906ELNS1_3gpuE6ELNS1_3repE0EEENS1_48merge_mergepath_partition_config_static_selectorELNS0_4arch9wavefront6targetE1EEEvSL_
	.p2align	8
	.type	_ZN7rocprim17ROCPRIM_400000_NS6detail17trampoline_kernelINS0_14default_configENS1_38merge_sort_block_merge_config_selectorIbiEEZZNS1_27merge_sort_block_merge_implIS3_N6thrust23THRUST_200600_302600_NS6detail15normal_iteratorINS8_10device_ptrIbEEEENSA_INSB_IiEEEEjNS1_19radix_merge_compareILb0ELb1EbNS0_19identity_decomposerEEEEE10hipError_tT0_T1_T2_jT3_P12ihipStream_tbPNSt15iterator_traitsISK_E10value_typeEPNSQ_ISL_E10value_typeEPSM_NS1_7vsmem_tEENKUlT_SK_SL_SM_E_clISD_PbSF_PiEESJ_SZ_SK_SL_SM_EUlSZ_E_NS1_11comp_targetILNS1_3genE2ELNS1_11target_archE906ELNS1_3gpuE6ELNS1_3repE0EEENS1_48merge_mergepath_partition_config_static_selectorELNS0_4arch9wavefront6targetE1EEEvSL_,@function
_ZN7rocprim17ROCPRIM_400000_NS6detail17trampoline_kernelINS0_14default_configENS1_38merge_sort_block_merge_config_selectorIbiEEZZNS1_27merge_sort_block_merge_implIS3_N6thrust23THRUST_200600_302600_NS6detail15normal_iteratorINS8_10device_ptrIbEEEENSA_INSB_IiEEEEjNS1_19radix_merge_compareILb0ELb1EbNS0_19identity_decomposerEEEEE10hipError_tT0_T1_T2_jT3_P12ihipStream_tbPNSt15iterator_traitsISK_E10value_typeEPNSQ_ISL_E10value_typeEPSM_NS1_7vsmem_tEENKUlT_SK_SL_SM_E_clISD_PbSF_PiEESJ_SZ_SK_SL_SM_EUlSZ_E_NS1_11comp_targetILNS1_3genE2ELNS1_11target_archE906ELNS1_3gpuE6ELNS1_3repE0EEENS1_48merge_mergepath_partition_config_static_selectorELNS0_4arch9wavefront6targetE1EEEvSL_: ; @_ZN7rocprim17ROCPRIM_400000_NS6detail17trampoline_kernelINS0_14default_configENS1_38merge_sort_block_merge_config_selectorIbiEEZZNS1_27merge_sort_block_merge_implIS3_N6thrust23THRUST_200600_302600_NS6detail15normal_iteratorINS8_10device_ptrIbEEEENSA_INSB_IiEEEEjNS1_19radix_merge_compareILb0ELb1EbNS0_19identity_decomposerEEEEE10hipError_tT0_T1_T2_jT3_P12ihipStream_tbPNSt15iterator_traitsISK_E10value_typeEPNSQ_ISL_E10value_typeEPSM_NS1_7vsmem_tEENKUlT_SK_SL_SM_E_clISD_PbSF_PiEESJ_SZ_SK_SL_SM_EUlSZ_E_NS1_11comp_targetILNS1_3genE2ELNS1_11target_archE906ELNS1_3gpuE6ELNS1_3repE0EEENS1_48merge_mergepath_partition_config_static_selectorELNS0_4arch9wavefront6targetE1EEEvSL_
; %bb.0:
	.section	.rodata,"a",@progbits
	.p2align	6, 0x0
	.amdhsa_kernel _ZN7rocprim17ROCPRIM_400000_NS6detail17trampoline_kernelINS0_14default_configENS1_38merge_sort_block_merge_config_selectorIbiEEZZNS1_27merge_sort_block_merge_implIS3_N6thrust23THRUST_200600_302600_NS6detail15normal_iteratorINS8_10device_ptrIbEEEENSA_INSB_IiEEEEjNS1_19radix_merge_compareILb0ELb1EbNS0_19identity_decomposerEEEEE10hipError_tT0_T1_T2_jT3_P12ihipStream_tbPNSt15iterator_traitsISK_E10value_typeEPNSQ_ISL_E10value_typeEPSM_NS1_7vsmem_tEENKUlT_SK_SL_SM_E_clISD_PbSF_PiEESJ_SZ_SK_SL_SM_EUlSZ_E_NS1_11comp_targetILNS1_3genE2ELNS1_11target_archE906ELNS1_3gpuE6ELNS1_3repE0EEENS1_48merge_mergepath_partition_config_static_selectorELNS0_4arch9wavefront6targetE1EEEvSL_
		.amdhsa_group_segment_fixed_size 0
		.amdhsa_private_segment_fixed_size 0
		.amdhsa_kernarg_size 40
		.amdhsa_user_sgpr_count 2
		.amdhsa_user_sgpr_dispatch_ptr 0
		.amdhsa_user_sgpr_queue_ptr 0
		.amdhsa_user_sgpr_kernarg_segment_ptr 1
		.amdhsa_user_sgpr_dispatch_id 0
		.amdhsa_user_sgpr_kernarg_preload_length 0
		.amdhsa_user_sgpr_kernarg_preload_offset 0
		.amdhsa_user_sgpr_private_segment_size 0
		.amdhsa_uses_dynamic_stack 0
		.amdhsa_enable_private_segment 0
		.amdhsa_system_sgpr_workgroup_id_x 1
		.amdhsa_system_sgpr_workgroup_id_y 0
		.amdhsa_system_sgpr_workgroup_id_z 0
		.amdhsa_system_sgpr_workgroup_info 0
		.amdhsa_system_vgpr_workitem_id 0
		.amdhsa_next_free_vgpr 1
		.amdhsa_next_free_sgpr 0
		.amdhsa_accum_offset 4
		.amdhsa_reserve_vcc 0
		.amdhsa_float_round_mode_32 0
		.amdhsa_float_round_mode_16_64 0
		.amdhsa_float_denorm_mode_32 3
		.amdhsa_float_denorm_mode_16_64 3
		.amdhsa_dx10_clamp 1
		.amdhsa_ieee_mode 1
		.amdhsa_fp16_overflow 0
		.amdhsa_tg_split 0
		.amdhsa_exception_fp_ieee_invalid_op 0
		.amdhsa_exception_fp_denorm_src 0
		.amdhsa_exception_fp_ieee_div_zero 0
		.amdhsa_exception_fp_ieee_overflow 0
		.amdhsa_exception_fp_ieee_underflow 0
		.amdhsa_exception_fp_ieee_inexact 0
		.amdhsa_exception_int_div_zero 0
	.end_amdhsa_kernel
	.section	.text._ZN7rocprim17ROCPRIM_400000_NS6detail17trampoline_kernelINS0_14default_configENS1_38merge_sort_block_merge_config_selectorIbiEEZZNS1_27merge_sort_block_merge_implIS3_N6thrust23THRUST_200600_302600_NS6detail15normal_iteratorINS8_10device_ptrIbEEEENSA_INSB_IiEEEEjNS1_19radix_merge_compareILb0ELb1EbNS0_19identity_decomposerEEEEE10hipError_tT0_T1_T2_jT3_P12ihipStream_tbPNSt15iterator_traitsISK_E10value_typeEPNSQ_ISL_E10value_typeEPSM_NS1_7vsmem_tEENKUlT_SK_SL_SM_E_clISD_PbSF_PiEESJ_SZ_SK_SL_SM_EUlSZ_E_NS1_11comp_targetILNS1_3genE2ELNS1_11target_archE906ELNS1_3gpuE6ELNS1_3repE0EEENS1_48merge_mergepath_partition_config_static_selectorELNS0_4arch9wavefront6targetE1EEEvSL_,"axG",@progbits,_ZN7rocprim17ROCPRIM_400000_NS6detail17trampoline_kernelINS0_14default_configENS1_38merge_sort_block_merge_config_selectorIbiEEZZNS1_27merge_sort_block_merge_implIS3_N6thrust23THRUST_200600_302600_NS6detail15normal_iteratorINS8_10device_ptrIbEEEENSA_INSB_IiEEEEjNS1_19radix_merge_compareILb0ELb1EbNS0_19identity_decomposerEEEEE10hipError_tT0_T1_T2_jT3_P12ihipStream_tbPNSt15iterator_traitsISK_E10value_typeEPNSQ_ISL_E10value_typeEPSM_NS1_7vsmem_tEENKUlT_SK_SL_SM_E_clISD_PbSF_PiEESJ_SZ_SK_SL_SM_EUlSZ_E_NS1_11comp_targetILNS1_3genE2ELNS1_11target_archE906ELNS1_3gpuE6ELNS1_3repE0EEENS1_48merge_mergepath_partition_config_static_selectorELNS0_4arch9wavefront6targetE1EEEvSL_,comdat
.Lfunc_end1995:
	.size	_ZN7rocprim17ROCPRIM_400000_NS6detail17trampoline_kernelINS0_14default_configENS1_38merge_sort_block_merge_config_selectorIbiEEZZNS1_27merge_sort_block_merge_implIS3_N6thrust23THRUST_200600_302600_NS6detail15normal_iteratorINS8_10device_ptrIbEEEENSA_INSB_IiEEEEjNS1_19radix_merge_compareILb0ELb1EbNS0_19identity_decomposerEEEEE10hipError_tT0_T1_T2_jT3_P12ihipStream_tbPNSt15iterator_traitsISK_E10value_typeEPNSQ_ISL_E10value_typeEPSM_NS1_7vsmem_tEENKUlT_SK_SL_SM_E_clISD_PbSF_PiEESJ_SZ_SK_SL_SM_EUlSZ_E_NS1_11comp_targetILNS1_3genE2ELNS1_11target_archE906ELNS1_3gpuE6ELNS1_3repE0EEENS1_48merge_mergepath_partition_config_static_selectorELNS0_4arch9wavefront6targetE1EEEvSL_, .Lfunc_end1995-_ZN7rocprim17ROCPRIM_400000_NS6detail17trampoline_kernelINS0_14default_configENS1_38merge_sort_block_merge_config_selectorIbiEEZZNS1_27merge_sort_block_merge_implIS3_N6thrust23THRUST_200600_302600_NS6detail15normal_iteratorINS8_10device_ptrIbEEEENSA_INSB_IiEEEEjNS1_19radix_merge_compareILb0ELb1EbNS0_19identity_decomposerEEEEE10hipError_tT0_T1_T2_jT3_P12ihipStream_tbPNSt15iterator_traitsISK_E10value_typeEPNSQ_ISL_E10value_typeEPSM_NS1_7vsmem_tEENKUlT_SK_SL_SM_E_clISD_PbSF_PiEESJ_SZ_SK_SL_SM_EUlSZ_E_NS1_11comp_targetILNS1_3genE2ELNS1_11target_archE906ELNS1_3gpuE6ELNS1_3repE0EEENS1_48merge_mergepath_partition_config_static_selectorELNS0_4arch9wavefront6targetE1EEEvSL_
                                        ; -- End function
	.set _ZN7rocprim17ROCPRIM_400000_NS6detail17trampoline_kernelINS0_14default_configENS1_38merge_sort_block_merge_config_selectorIbiEEZZNS1_27merge_sort_block_merge_implIS3_N6thrust23THRUST_200600_302600_NS6detail15normal_iteratorINS8_10device_ptrIbEEEENSA_INSB_IiEEEEjNS1_19radix_merge_compareILb0ELb1EbNS0_19identity_decomposerEEEEE10hipError_tT0_T1_T2_jT3_P12ihipStream_tbPNSt15iterator_traitsISK_E10value_typeEPNSQ_ISL_E10value_typeEPSM_NS1_7vsmem_tEENKUlT_SK_SL_SM_E_clISD_PbSF_PiEESJ_SZ_SK_SL_SM_EUlSZ_E_NS1_11comp_targetILNS1_3genE2ELNS1_11target_archE906ELNS1_3gpuE6ELNS1_3repE0EEENS1_48merge_mergepath_partition_config_static_selectorELNS0_4arch9wavefront6targetE1EEEvSL_.num_vgpr, 0
	.set _ZN7rocprim17ROCPRIM_400000_NS6detail17trampoline_kernelINS0_14default_configENS1_38merge_sort_block_merge_config_selectorIbiEEZZNS1_27merge_sort_block_merge_implIS3_N6thrust23THRUST_200600_302600_NS6detail15normal_iteratorINS8_10device_ptrIbEEEENSA_INSB_IiEEEEjNS1_19radix_merge_compareILb0ELb1EbNS0_19identity_decomposerEEEEE10hipError_tT0_T1_T2_jT3_P12ihipStream_tbPNSt15iterator_traitsISK_E10value_typeEPNSQ_ISL_E10value_typeEPSM_NS1_7vsmem_tEENKUlT_SK_SL_SM_E_clISD_PbSF_PiEESJ_SZ_SK_SL_SM_EUlSZ_E_NS1_11comp_targetILNS1_3genE2ELNS1_11target_archE906ELNS1_3gpuE6ELNS1_3repE0EEENS1_48merge_mergepath_partition_config_static_selectorELNS0_4arch9wavefront6targetE1EEEvSL_.num_agpr, 0
	.set _ZN7rocprim17ROCPRIM_400000_NS6detail17trampoline_kernelINS0_14default_configENS1_38merge_sort_block_merge_config_selectorIbiEEZZNS1_27merge_sort_block_merge_implIS3_N6thrust23THRUST_200600_302600_NS6detail15normal_iteratorINS8_10device_ptrIbEEEENSA_INSB_IiEEEEjNS1_19radix_merge_compareILb0ELb1EbNS0_19identity_decomposerEEEEE10hipError_tT0_T1_T2_jT3_P12ihipStream_tbPNSt15iterator_traitsISK_E10value_typeEPNSQ_ISL_E10value_typeEPSM_NS1_7vsmem_tEENKUlT_SK_SL_SM_E_clISD_PbSF_PiEESJ_SZ_SK_SL_SM_EUlSZ_E_NS1_11comp_targetILNS1_3genE2ELNS1_11target_archE906ELNS1_3gpuE6ELNS1_3repE0EEENS1_48merge_mergepath_partition_config_static_selectorELNS0_4arch9wavefront6targetE1EEEvSL_.numbered_sgpr, 0
	.set _ZN7rocprim17ROCPRIM_400000_NS6detail17trampoline_kernelINS0_14default_configENS1_38merge_sort_block_merge_config_selectorIbiEEZZNS1_27merge_sort_block_merge_implIS3_N6thrust23THRUST_200600_302600_NS6detail15normal_iteratorINS8_10device_ptrIbEEEENSA_INSB_IiEEEEjNS1_19radix_merge_compareILb0ELb1EbNS0_19identity_decomposerEEEEE10hipError_tT0_T1_T2_jT3_P12ihipStream_tbPNSt15iterator_traitsISK_E10value_typeEPNSQ_ISL_E10value_typeEPSM_NS1_7vsmem_tEENKUlT_SK_SL_SM_E_clISD_PbSF_PiEESJ_SZ_SK_SL_SM_EUlSZ_E_NS1_11comp_targetILNS1_3genE2ELNS1_11target_archE906ELNS1_3gpuE6ELNS1_3repE0EEENS1_48merge_mergepath_partition_config_static_selectorELNS0_4arch9wavefront6targetE1EEEvSL_.num_named_barrier, 0
	.set _ZN7rocprim17ROCPRIM_400000_NS6detail17trampoline_kernelINS0_14default_configENS1_38merge_sort_block_merge_config_selectorIbiEEZZNS1_27merge_sort_block_merge_implIS3_N6thrust23THRUST_200600_302600_NS6detail15normal_iteratorINS8_10device_ptrIbEEEENSA_INSB_IiEEEEjNS1_19radix_merge_compareILb0ELb1EbNS0_19identity_decomposerEEEEE10hipError_tT0_T1_T2_jT3_P12ihipStream_tbPNSt15iterator_traitsISK_E10value_typeEPNSQ_ISL_E10value_typeEPSM_NS1_7vsmem_tEENKUlT_SK_SL_SM_E_clISD_PbSF_PiEESJ_SZ_SK_SL_SM_EUlSZ_E_NS1_11comp_targetILNS1_3genE2ELNS1_11target_archE906ELNS1_3gpuE6ELNS1_3repE0EEENS1_48merge_mergepath_partition_config_static_selectorELNS0_4arch9wavefront6targetE1EEEvSL_.private_seg_size, 0
	.set _ZN7rocprim17ROCPRIM_400000_NS6detail17trampoline_kernelINS0_14default_configENS1_38merge_sort_block_merge_config_selectorIbiEEZZNS1_27merge_sort_block_merge_implIS3_N6thrust23THRUST_200600_302600_NS6detail15normal_iteratorINS8_10device_ptrIbEEEENSA_INSB_IiEEEEjNS1_19radix_merge_compareILb0ELb1EbNS0_19identity_decomposerEEEEE10hipError_tT0_T1_T2_jT3_P12ihipStream_tbPNSt15iterator_traitsISK_E10value_typeEPNSQ_ISL_E10value_typeEPSM_NS1_7vsmem_tEENKUlT_SK_SL_SM_E_clISD_PbSF_PiEESJ_SZ_SK_SL_SM_EUlSZ_E_NS1_11comp_targetILNS1_3genE2ELNS1_11target_archE906ELNS1_3gpuE6ELNS1_3repE0EEENS1_48merge_mergepath_partition_config_static_selectorELNS0_4arch9wavefront6targetE1EEEvSL_.uses_vcc, 0
	.set _ZN7rocprim17ROCPRIM_400000_NS6detail17trampoline_kernelINS0_14default_configENS1_38merge_sort_block_merge_config_selectorIbiEEZZNS1_27merge_sort_block_merge_implIS3_N6thrust23THRUST_200600_302600_NS6detail15normal_iteratorINS8_10device_ptrIbEEEENSA_INSB_IiEEEEjNS1_19radix_merge_compareILb0ELb1EbNS0_19identity_decomposerEEEEE10hipError_tT0_T1_T2_jT3_P12ihipStream_tbPNSt15iterator_traitsISK_E10value_typeEPNSQ_ISL_E10value_typeEPSM_NS1_7vsmem_tEENKUlT_SK_SL_SM_E_clISD_PbSF_PiEESJ_SZ_SK_SL_SM_EUlSZ_E_NS1_11comp_targetILNS1_3genE2ELNS1_11target_archE906ELNS1_3gpuE6ELNS1_3repE0EEENS1_48merge_mergepath_partition_config_static_selectorELNS0_4arch9wavefront6targetE1EEEvSL_.uses_flat_scratch, 0
	.set _ZN7rocprim17ROCPRIM_400000_NS6detail17trampoline_kernelINS0_14default_configENS1_38merge_sort_block_merge_config_selectorIbiEEZZNS1_27merge_sort_block_merge_implIS3_N6thrust23THRUST_200600_302600_NS6detail15normal_iteratorINS8_10device_ptrIbEEEENSA_INSB_IiEEEEjNS1_19radix_merge_compareILb0ELb1EbNS0_19identity_decomposerEEEEE10hipError_tT0_T1_T2_jT3_P12ihipStream_tbPNSt15iterator_traitsISK_E10value_typeEPNSQ_ISL_E10value_typeEPSM_NS1_7vsmem_tEENKUlT_SK_SL_SM_E_clISD_PbSF_PiEESJ_SZ_SK_SL_SM_EUlSZ_E_NS1_11comp_targetILNS1_3genE2ELNS1_11target_archE906ELNS1_3gpuE6ELNS1_3repE0EEENS1_48merge_mergepath_partition_config_static_selectorELNS0_4arch9wavefront6targetE1EEEvSL_.has_dyn_sized_stack, 0
	.set _ZN7rocprim17ROCPRIM_400000_NS6detail17trampoline_kernelINS0_14default_configENS1_38merge_sort_block_merge_config_selectorIbiEEZZNS1_27merge_sort_block_merge_implIS3_N6thrust23THRUST_200600_302600_NS6detail15normal_iteratorINS8_10device_ptrIbEEEENSA_INSB_IiEEEEjNS1_19radix_merge_compareILb0ELb1EbNS0_19identity_decomposerEEEEE10hipError_tT0_T1_T2_jT3_P12ihipStream_tbPNSt15iterator_traitsISK_E10value_typeEPNSQ_ISL_E10value_typeEPSM_NS1_7vsmem_tEENKUlT_SK_SL_SM_E_clISD_PbSF_PiEESJ_SZ_SK_SL_SM_EUlSZ_E_NS1_11comp_targetILNS1_3genE2ELNS1_11target_archE906ELNS1_3gpuE6ELNS1_3repE0EEENS1_48merge_mergepath_partition_config_static_selectorELNS0_4arch9wavefront6targetE1EEEvSL_.has_recursion, 0
	.set _ZN7rocprim17ROCPRIM_400000_NS6detail17trampoline_kernelINS0_14default_configENS1_38merge_sort_block_merge_config_selectorIbiEEZZNS1_27merge_sort_block_merge_implIS3_N6thrust23THRUST_200600_302600_NS6detail15normal_iteratorINS8_10device_ptrIbEEEENSA_INSB_IiEEEEjNS1_19radix_merge_compareILb0ELb1EbNS0_19identity_decomposerEEEEE10hipError_tT0_T1_T2_jT3_P12ihipStream_tbPNSt15iterator_traitsISK_E10value_typeEPNSQ_ISL_E10value_typeEPSM_NS1_7vsmem_tEENKUlT_SK_SL_SM_E_clISD_PbSF_PiEESJ_SZ_SK_SL_SM_EUlSZ_E_NS1_11comp_targetILNS1_3genE2ELNS1_11target_archE906ELNS1_3gpuE6ELNS1_3repE0EEENS1_48merge_mergepath_partition_config_static_selectorELNS0_4arch9wavefront6targetE1EEEvSL_.has_indirect_call, 0
	.section	.AMDGPU.csdata,"",@progbits
; Kernel info:
; codeLenInByte = 0
; TotalNumSgprs: 6
; NumVgprs: 0
; NumAgprs: 0
; TotalNumVgprs: 0
; ScratchSize: 0
; MemoryBound: 0
; FloatMode: 240
; IeeeMode: 1
; LDSByteSize: 0 bytes/workgroup (compile time only)
; SGPRBlocks: 0
; VGPRBlocks: 0
; NumSGPRsForWavesPerEU: 6
; NumVGPRsForWavesPerEU: 1
; AccumOffset: 4
; Occupancy: 8
; WaveLimiterHint : 0
; COMPUTE_PGM_RSRC2:SCRATCH_EN: 0
; COMPUTE_PGM_RSRC2:USER_SGPR: 2
; COMPUTE_PGM_RSRC2:TRAP_HANDLER: 0
; COMPUTE_PGM_RSRC2:TGID_X_EN: 1
; COMPUTE_PGM_RSRC2:TGID_Y_EN: 0
; COMPUTE_PGM_RSRC2:TGID_Z_EN: 0
; COMPUTE_PGM_RSRC2:TIDIG_COMP_CNT: 0
; COMPUTE_PGM_RSRC3_GFX90A:ACCUM_OFFSET: 0
; COMPUTE_PGM_RSRC3_GFX90A:TG_SPLIT: 0
	.section	.text._ZN7rocprim17ROCPRIM_400000_NS6detail17trampoline_kernelINS0_14default_configENS1_38merge_sort_block_merge_config_selectorIbiEEZZNS1_27merge_sort_block_merge_implIS3_N6thrust23THRUST_200600_302600_NS6detail15normal_iteratorINS8_10device_ptrIbEEEENSA_INSB_IiEEEEjNS1_19radix_merge_compareILb0ELb1EbNS0_19identity_decomposerEEEEE10hipError_tT0_T1_T2_jT3_P12ihipStream_tbPNSt15iterator_traitsISK_E10value_typeEPNSQ_ISL_E10value_typeEPSM_NS1_7vsmem_tEENKUlT_SK_SL_SM_E_clISD_PbSF_PiEESJ_SZ_SK_SL_SM_EUlSZ_E_NS1_11comp_targetILNS1_3genE9ELNS1_11target_archE1100ELNS1_3gpuE3ELNS1_3repE0EEENS1_48merge_mergepath_partition_config_static_selectorELNS0_4arch9wavefront6targetE1EEEvSL_,"axG",@progbits,_ZN7rocprim17ROCPRIM_400000_NS6detail17trampoline_kernelINS0_14default_configENS1_38merge_sort_block_merge_config_selectorIbiEEZZNS1_27merge_sort_block_merge_implIS3_N6thrust23THRUST_200600_302600_NS6detail15normal_iteratorINS8_10device_ptrIbEEEENSA_INSB_IiEEEEjNS1_19radix_merge_compareILb0ELb1EbNS0_19identity_decomposerEEEEE10hipError_tT0_T1_T2_jT3_P12ihipStream_tbPNSt15iterator_traitsISK_E10value_typeEPNSQ_ISL_E10value_typeEPSM_NS1_7vsmem_tEENKUlT_SK_SL_SM_E_clISD_PbSF_PiEESJ_SZ_SK_SL_SM_EUlSZ_E_NS1_11comp_targetILNS1_3genE9ELNS1_11target_archE1100ELNS1_3gpuE3ELNS1_3repE0EEENS1_48merge_mergepath_partition_config_static_selectorELNS0_4arch9wavefront6targetE1EEEvSL_,comdat
	.protected	_ZN7rocprim17ROCPRIM_400000_NS6detail17trampoline_kernelINS0_14default_configENS1_38merge_sort_block_merge_config_selectorIbiEEZZNS1_27merge_sort_block_merge_implIS3_N6thrust23THRUST_200600_302600_NS6detail15normal_iteratorINS8_10device_ptrIbEEEENSA_INSB_IiEEEEjNS1_19radix_merge_compareILb0ELb1EbNS0_19identity_decomposerEEEEE10hipError_tT0_T1_T2_jT3_P12ihipStream_tbPNSt15iterator_traitsISK_E10value_typeEPNSQ_ISL_E10value_typeEPSM_NS1_7vsmem_tEENKUlT_SK_SL_SM_E_clISD_PbSF_PiEESJ_SZ_SK_SL_SM_EUlSZ_E_NS1_11comp_targetILNS1_3genE9ELNS1_11target_archE1100ELNS1_3gpuE3ELNS1_3repE0EEENS1_48merge_mergepath_partition_config_static_selectorELNS0_4arch9wavefront6targetE1EEEvSL_ ; -- Begin function _ZN7rocprim17ROCPRIM_400000_NS6detail17trampoline_kernelINS0_14default_configENS1_38merge_sort_block_merge_config_selectorIbiEEZZNS1_27merge_sort_block_merge_implIS3_N6thrust23THRUST_200600_302600_NS6detail15normal_iteratorINS8_10device_ptrIbEEEENSA_INSB_IiEEEEjNS1_19radix_merge_compareILb0ELb1EbNS0_19identity_decomposerEEEEE10hipError_tT0_T1_T2_jT3_P12ihipStream_tbPNSt15iterator_traitsISK_E10value_typeEPNSQ_ISL_E10value_typeEPSM_NS1_7vsmem_tEENKUlT_SK_SL_SM_E_clISD_PbSF_PiEESJ_SZ_SK_SL_SM_EUlSZ_E_NS1_11comp_targetILNS1_3genE9ELNS1_11target_archE1100ELNS1_3gpuE3ELNS1_3repE0EEENS1_48merge_mergepath_partition_config_static_selectorELNS0_4arch9wavefront6targetE1EEEvSL_
	.globl	_ZN7rocprim17ROCPRIM_400000_NS6detail17trampoline_kernelINS0_14default_configENS1_38merge_sort_block_merge_config_selectorIbiEEZZNS1_27merge_sort_block_merge_implIS3_N6thrust23THRUST_200600_302600_NS6detail15normal_iteratorINS8_10device_ptrIbEEEENSA_INSB_IiEEEEjNS1_19radix_merge_compareILb0ELb1EbNS0_19identity_decomposerEEEEE10hipError_tT0_T1_T2_jT3_P12ihipStream_tbPNSt15iterator_traitsISK_E10value_typeEPNSQ_ISL_E10value_typeEPSM_NS1_7vsmem_tEENKUlT_SK_SL_SM_E_clISD_PbSF_PiEESJ_SZ_SK_SL_SM_EUlSZ_E_NS1_11comp_targetILNS1_3genE9ELNS1_11target_archE1100ELNS1_3gpuE3ELNS1_3repE0EEENS1_48merge_mergepath_partition_config_static_selectorELNS0_4arch9wavefront6targetE1EEEvSL_
	.p2align	8
	.type	_ZN7rocprim17ROCPRIM_400000_NS6detail17trampoline_kernelINS0_14default_configENS1_38merge_sort_block_merge_config_selectorIbiEEZZNS1_27merge_sort_block_merge_implIS3_N6thrust23THRUST_200600_302600_NS6detail15normal_iteratorINS8_10device_ptrIbEEEENSA_INSB_IiEEEEjNS1_19radix_merge_compareILb0ELb1EbNS0_19identity_decomposerEEEEE10hipError_tT0_T1_T2_jT3_P12ihipStream_tbPNSt15iterator_traitsISK_E10value_typeEPNSQ_ISL_E10value_typeEPSM_NS1_7vsmem_tEENKUlT_SK_SL_SM_E_clISD_PbSF_PiEESJ_SZ_SK_SL_SM_EUlSZ_E_NS1_11comp_targetILNS1_3genE9ELNS1_11target_archE1100ELNS1_3gpuE3ELNS1_3repE0EEENS1_48merge_mergepath_partition_config_static_selectorELNS0_4arch9wavefront6targetE1EEEvSL_,@function
_ZN7rocprim17ROCPRIM_400000_NS6detail17trampoline_kernelINS0_14default_configENS1_38merge_sort_block_merge_config_selectorIbiEEZZNS1_27merge_sort_block_merge_implIS3_N6thrust23THRUST_200600_302600_NS6detail15normal_iteratorINS8_10device_ptrIbEEEENSA_INSB_IiEEEEjNS1_19radix_merge_compareILb0ELb1EbNS0_19identity_decomposerEEEEE10hipError_tT0_T1_T2_jT3_P12ihipStream_tbPNSt15iterator_traitsISK_E10value_typeEPNSQ_ISL_E10value_typeEPSM_NS1_7vsmem_tEENKUlT_SK_SL_SM_E_clISD_PbSF_PiEESJ_SZ_SK_SL_SM_EUlSZ_E_NS1_11comp_targetILNS1_3genE9ELNS1_11target_archE1100ELNS1_3gpuE3ELNS1_3repE0EEENS1_48merge_mergepath_partition_config_static_selectorELNS0_4arch9wavefront6targetE1EEEvSL_: ; @_ZN7rocprim17ROCPRIM_400000_NS6detail17trampoline_kernelINS0_14default_configENS1_38merge_sort_block_merge_config_selectorIbiEEZZNS1_27merge_sort_block_merge_implIS3_N6thrust23THRUST_200600_302600_NS6detail15normal_iteratorINS8_10device_ptrIbEEEENSA_INSB_IiEEEEjNS1_19radix_merge_compareILb0ELb1EbNS0_19identity_decomposerEEEEE10hipError_tT0_T1_T2_jT3_P12ihipStream_tbPNSt15iterator_traitsISK_E10value_typeEPNSQ_ISL_E10value_typeEPSM_NS1_7vsmem_tEENKUlT_SK_SL_SM_E_clISD_PbSF_PiEESJ_SZ_SK_SL_SM_EUlSZ_E_NS1_11comp_targetILNS1_3genE9ELNS1_11target_archE1100ELNS1_3gpuE3ELNS1_3repE0EEENS1_48merge_mergepath_partition_config_static_selectorELNS0_4arch9wavefront6targetE1EEEvSL_
; %bb.0:
	.section	.rodata,"a",@progbits
	.p2align	6, 0x0
	.amdhsa_kernel _ZN7rocprim17ROCPRIM_400000_NS6detail17trampoline_kernelINS0_14default_configENS1_38merge_sort_block_merge_config_selectorIbiEEZZNS1_27merge_sort_block_merge_implIS3_N6thrust23THRUST_200600_302600_NS6detail15normal_iteratorINS8_10device_ptrIbEEEENSA_INSB_IiEEEEjNS1_19radix_merge_compareILb0ELb1EbNS0_19identity_decomposerEEEEE10hipError_tT0_T1_T2_jT3_P12ihipStream_tbPNSt15iterator_traitsISK_E10value_typeEPNSQ_ISL_E10value_typeEPSM_NS1_7vsmem_tEENKUlT_SK_SL_SM_E_clISD_PbSF_PiEESJ_SZ_SK_SL_SM_EUlSZ_E_NS1_11comp_targetILNS1_3genE9ELNS1_11target_archE1100ELNS1_3gpuE3ELNS1_3repE0EEENS1_48merge_mergepath_partition_config_static_selectorELNS0_4arch9wavefront6targetE1EEEvSL_
		.amdhsa_group_segment_fixed_size 0
		.amdhsa_private_segment_fixed_size 0
		.amdhsa_kernarg_size 40
		.amdhsa_user_sgpr_count 2
		.amdhsa_user_sgpr_dispatch_ptr 0
		.amdhsa_user_sgpr_queue_ptr 0
		.amdhsa_user_sgpr_kernarg_segment_ptr 1
		.amdhsa_user_sgpr_dispatch_id 0
		.amdhsa_user_sgpr_kernarg_preload_length 0
		.amdhsa_user_sgpr_kernarg_preload_offset 0
		.amdhsa_user_sgpr_private_segment_size 0
		.amdhsa_uses_dynamic_stack 0
		.amdhsa_enable_private_segment 0
		.amdhsa_system_sgpr_workgroup_id_x 1
		.amdhsa_system_sgpr_workgroup_id_y 0
		.amdhsa_system_sgpr_workgroup_id_z 0
		.amdhsa_system_sgpr_workgroup_info 0
		.amdhsa_system_vgpr_workitem_id 0
		.amdhsa_next_free_vgpr 1
		.amdhsa_next_free_sgpr 0
		.amdhsa_accum_offset 4
		.amdhsa_reserve_vcc 0
		.amdhsa_float_round_mode_32 0
		.amdhsa_float_round_mode_16_64 0
		.amdhsa_float_denorm_mode_32 3
		.amdhsa_float_denorm_mode_16_64 3
		.amdhsa_dx10_clamp 1
		.amdhsa_ieee_mode 1
		.amdhsa_fp16_overflow 0
		.amdhsa_tg_split 0
		.amdhsa_exception_fp_ieee_invalid_op 0
		.amdhsa_exception_fp_denorm_src 0
		.amdhsa_exception_fp_ieee_div_zero 0
		.amdhsa_exception_fp_ieee_overflow 0
		.amdhsa_exception_fp_ieee_underflow 0
		.amdhsa_exception_fp_ieee_inexact 0
		.amdhsa_exception_int_div_zero 0
	.end_amdhsa_kernel
	.section	.text._ZN7rocprim17ROCPRIM_400000_NS6detail17trampoline_kernelINS0_14default_configENS1_38merge_sort_block_merge_config_selectorIbiEEZZNS1_27merge_sort_block_merge_implIS3_N6thrust23THRUST_200600_302600_NS6detail15normal_iteratorINS8_10device_ptrIbEEEENSA_INSB_IiEEEEjNS1_19radix_merge_compareILb0ELb1EbNS0_19identity_decomposerEEEEE10hipError_tT0_T1_T2_jT3_P12ihipStream_tbPNSt15iterator_traitsISK_E10value_typeEPNSQ_ISL_E10value_typeEPSM_NS1_7vsmem_tEENKUlT_SK_SL_SM_E_clISD_PbSF_PiEESJ_SZ_SK_SL_SM_EUlSZ_E_NS1_11comp_targetILNS1_3genE9ELNS1_11target_archE1100ELNS1_3gpuE3ELNS1_3repE0EEENS1_48merge_mergepath_partition_config_static_selectorELNS0_4arch9wavefront6targetE1EEEvSL_,"axG",@progbits,_ZN7rocprim17ROCPRIM_400000_NS6detail17trampoline_kernelINS0_14default_configENS1_38merge_sort_block_merge_config_selectorIbiEEZZNS1_27merge_sort_block_merge_implIS3_N6thrust23THRUST_200600_302600_NS6detail15normal_iteratorINS8_10device_ptrIbEEEENSA_INSB_IiEEEEjNS1_19radix_merge_compareILb0ELb1EbNS0_19identity_decomposerEEEEE10hipError_tT0_T1_T2_jT3_P12ihipStream_tbPNSt15iterator_traitsISK_E10value_typeEPNSQ_ISL_E10value_typeEPSM_NS1_7vsmem_tEENKUlT_SK_SL_SM_E_clISD_PbSF_PiEESJ_SZ_SK_SL_SM_EUlSZ_E_NS1_11comp_targetILNS1_3genE9ELNS1_11target_archE1100ELNS1_3gpuE3ELNS1_3repE0EEENS1_48merge_mergepath_partition_config_static_selectorELNS0_4arch9wavefront6targetE1EEEvSL_,comdat
.Lfunc_end1996:
	.size	_ZN7rocprim17ROCPRIM_400000_NS6detail17trampoline_kernelINS0_14default_configENS1_38merge_sort_block_merge_config_selectorIbiEEZZNS1_27merge_sort_block_merge_implIS3_N6thrust23THRUST_200600_302600_NS6detail15normal_iteratorINS8_10device_ptrIbEEEENSA_INSB_IiEEEEjNS1_19radix_merge_compareILb0ELb1EbNS0_19identity_decomposerEEEEE10hipError_tT0_T1_T2_jT3_P12ihipStream_tbPNSt15iterator_traitsISK_E10value_typeEPNSQ_ISL_E10value_typeEPSM_NS1_7vsmem_tEENKUlT_SK_SL_SM_E_clISD_PbSF_PiEESJ_SZ_SK_SL_SM_EUlSZ_E_NS1_11comp_targetILNS1_3genE9ELNS1_11target_archE1100ELNS1_3gpuE3ELNS1_3repE0EEENS1_48merge_mergepath_partition_config_static_selectorELNS0_4arch9wavefront6targetE1EEEvSL_, .Lfunc_end1996-_ZN7rocprim17ROCPRIM_400000_NS6detail17trampoline_kernelINS0_14default_configENS1_38merge_sort_block_merge_config_selectorIbiEEZZNS1_27merge_sort_block_merge_implIS3_N6thrust23THRUST_200600_302600_NS6detail15normal_iteratorINS8_10device_ptrIbEEEENSA_INSB_IiEEEEjNS1_19radix_merge_compareILb0ELb1EbNS0_19identity_decomposerEEEEE10hipError_tT0_T1_T2_jT3_P12ihipStream_tbPNSt15iterator_traitsISK_E10value_typeEPNSQ_ISL_E10value_typeEPSM_NS1_7vsmem_tEENKUlT_SK_SL_SM_E_clISD_PbSF_PiEESJ_SZ_SK_SL_SM_EUlSZ_E_NS1_11comp_targetILNS1_3genE9ELNS1_11target_archE1100ELNS1_3gpuE3ELNS1_3repE0EEENS1_48merge_mergepath_partition_config_static_selectorELNS0_4arch9wavefront6targetE1EEEvSL_
                                        ; -- End function
	.set _ZN7rocprim17ROCPRIM_400000_NS6detail17trampoline_kernelINS0_14default_configENS1_38merge_sort_block_merge_config_selectorIbiEEZZNS1_27merge_sort_block_merge_implIS3_N6thrust23THRUST_200600_302600_NS6detail15normal_iteratorINS8_10device_ptrIbEEEENSA_INSB_IiEEEEjNS1_19radix_merge_compareILb0ELb1EbNS0_19identity_decomposerEEEEE10hipError_tT0_T1_T2_jT3_P12ihipStream_tbPNSt15iterator_traitsISK_E10value_typeEPNSQ_ISL_E10value_typeEPSM_NS1_7vsmem_tEENKUlT_SK_SL_SM_E_clISD_PbSF_PiEESJ_SZ_SK_SL_SM_EUlSZ_E_NS1_11comp_targetILNS1_3genE9ELNS1_11target_archE1100ELNS1_3gpuE3ELNS1_3repE0EEENS1_48merge_mergepath_partition_config_static_selectorELNS0_4arch9wavefront6targetE1EEEvSL_.num_vgpr, 0
	.set _ZN7rocprim17ROCPRIM_400000_NS6detail17trampoline_kernelINS0_14default_configENS1_38merge_sort_block_merge_config_selectorIbiEEZZNS1_27merge_sort_block_merge_implIS3_N6thrust23THRUST_200600_302600_NS6detail15normal_iteratorINS8_10device_ptrIbEEEENSA_INSB_IiEEEEjNS1_19radix_merge_compareILb0ELb1EbNS0_19identity_decomposerEEEEE10hipError_tT0_T1_T2_jT3_P12ihipStream_tbPNSt15iterator_traitsISK_E10value_typeEPNSQ_ISL_E10value_typeEPSM_NS1_7vsmem_tEENKUlT_SK_SL_SM_E_clISD_PbSF_PiEESJ_SZ_SK_SL_SM_EUlSZ_E_NS1_11comp_targetILNS1_3genE9ELNS1_11target_archE1100ELNS1_3gpuE3ELNS1_3repE0EEENS1_48merge_mergepath_partition_config_static_selectorELNS0_4arch9wavefront6targetE1EEEvSL_.num_agpr, 0
	.set _ZN7rocprim17ROCPRIM_400000_NS6detail17trampoline_kernelINS0_14default_configENS1_38merge_sort_block_merge_config_selectorIbiEEZZNS1_27merge_sort_block_merge_implIS3_N6thrust23THRUST_200600_302600_NS6detail15normal_iteratorINS8_10device_ptrIbEEEENSA_INSB_IiEEEEjNS1_19radix_merge_compareILb0ELb1EbNS0_19identity_decomposerEEEEE10hipError_tT0_T1_T2_jT3_P12ihipStream_tbPNSt15iterator_traitsISK_E10value_typeEPNSQ_ISL_E10value_typeEPSM_NS1_7vsmem_tEENKUlT_SK_SL_SM_E_clISD_PbSF_PiEESJ_SZ_SK_SL_SM_EUlSZ_E_NS1_11comp_targetILNS1_3genE9ELNS1_11target_archE1100ELNS1_3gpuE3ELNS1_3repE0EEENS1_48merge_mergepath_partition_config_static_selectorELNS0_4arch9wavefront6targetE1EEEvSL_.numbered_sgpr, 0
	.set _ZN7rocprim17ROCPRIM_400000_NS6detail17trampoline_kernelINS0_14default_configENS1_38merge_sort_block_merge_config_selectorIbiEEZZNS1_27merge_sort_block_merge_implIS3_N6thrust23THRUST_200600_302600_NS6detail15normal_iteratorINS8_10device_ptrIbEEEENSA_INSB_IiEEEEjNS1_19radix_merge_compareILb0ELb1EbNS0_19identity_decomposerEEEEE10hipError_tT0_T1_T2_jT3_P12ihipStream_tbPNSt15iterator_traitsISK_E10value_typeEPNSQ_ISL_E10value_typeEPSM_NS1_7vsmem_tEENKUlT_SK_SL_SM_E_clISD_PbSF_PiEESJ_SZ_SK_SL_SM_EUlSZ_E_NS1_11comp_targetILNS1_3genE9ELNS1_11target_archE1100ELNS1_3gpuE3ELNS1_3repE0EEENS1_48merge_mergepath_partition_config_static_selectorELNS0_4arch9wavefront6targetE1EEEvSL_.num_named_barrier, 0
	.set _ZN7rocprim17ROCPRIM_400000_NS6detail17trampoline_kernelINS0_14default_configENS1_38merge_sort_block_merge_config_selectorIbiEEZZNS1_27merge_sort_block_merge_implIS3_N6thrust23THRUST_200600_302600_NS6detail15normal_iteratorINS8_10device_ptrIbEEEENSA_INSB_IiEEEEjNS1_19radix_merge_compareILb0ELb1EbNS0_19identity_decomposerEEEEE10hipError_tT0_T1_T2_jT3_P12ihipStream_tbPNSt15iterator_traitsISK_E10value_typeEPNSQ_ISL_E10value_typeEPSM_NS1_7vsmem_tEENKUlT_SK_SL_SM_E_clISD_PbSF_PiEESJ_SZ_SK_SL_SM_EUlSZ_E_NS1_11comp_targetILNS1_3genE9ELNS1_11target_archE1100ELNS1_3gpuE3ELNS1_3repE0EEENS1_48merge_mergepath_partition_config_static_selectorELNS0_4arch9wavefront6targetE1EEEvSL_.private_seg_size, 0
	.set _ZN7rocprim17ROCPRIM_400000_NS6detail17trampoline_kernelINS0_14default_configENS1_38merge_sort_block_merge_config_selectorIbiEEZZNS1_27merge_sort_block_merge_implIS3_N6thrust23THRUST_200600_302600_NS6detail15normal_iteratorINS8_10device_ptrIbEEEENSA_INSB_IiEEEEjNS1_19radix_merge_compareILb0ELb1EbNS0_19identity_decomposerEEEEE10hipError_tT0_T1_T2_jT3_P12ihipStream_tbPNSt15iterator_traitsISK_E10value_typeEPNSQ_ISL_E10value_typeEPSM_NS1_7vsmem_tEENKUlT_SK_SL_SM_E_clISD_PbSF_PiEESJ_SZ_SK_SL_SM_EUlSZ_E_NS1_11comp_targetILNS1_3genE9ELNS1_11target_archE1100ELNS1_3gpuE3ELNS1_3repE0EEENS1_48merge_mergepath_partition_config_static_selectorELNS0_4arch9wavefront6targetE1EEEvSL_.uses_vcc, 0
	.set _ZN7rocprim17ROCPRIM_400000_NS6detail17trampoline_kernelINS0_14default_configENS1_38merge_sort_block_merge_config_selectorIbiEEZZNS1_27merge_sort_block_merge_implIS3_N6thrust23THRUST_200600_302600_NS6detail15normal_iteratorINS8_10device_ptrIbEEEENSA_INSB_IiEEEEjNS1_19radix_merge_compareILb0ELb1EbNS0_19identity_decomposerEEEEE10hipError_tT0_T1_T2_jT3_P12ihipStream_tbPNSt15iterator_traitsISK_E10value_typeEPNSQ_ISL_E10value_typeEPSM_NS1_7vsmem_tEENKUlT_SK_SL_SM_E_clISD_PbSF_PiEESJ_SZ_SK_SL_SM_EUlSZ_E_NS1_11comp_targetILNS1_3genE9ELNS1_11target_archE1100ELNS1_3gpuE3ELNS1_3repE0EEENS1_48merge_mergepath_partition_config_static_selectorELNS0_4arch9wavefront6targetE1EEEvSL_.uses_flat_scratch, 0
	.set _ZN7rocprim17ROCPRIM_400000_NS6detail17trampoline_kernelINS0_14default_configENS1_38merge_sort_block_merge_config_selectorIbiEEZZNS1_27merge_sort_block_merge_implIS3_N6thrust23THRUST_200600_302600_NS6detail15normal_iteratorINS8_10device_ptrIbEEEENSA_INSB_IiEEEEjNS1_19radix_merge_compareILb0ELb1EbNS0_19identity_decomposerEEEEE10hipError_tT0_T1_T2_jT3_P12ihipStream_tbPNSt15iterator_traitsISK_E10value_typeEPNSQ_ISL_E10value_typeEPSM_NS1_7vsmem_tEENKUlT_SK_SL_SM_E_clISD_PbSF_PiEESJ_SZ_SK_SL_SM_EUlSZ_E_NS1_11comp_targetILNS1_3genE9ELNS1_11target_archE1100ELNS1_3gpuE3ELNS1_3repE0EEENS1_48merge_mergepath_partition_config_static_selectorELNS0_4arch9wavefront6targetE1EEEvSL_.has_dyn_sized_stack, 0
	.set _ZN7rocprim17ROCPRIM_400000_NS6detail17trampoline_kernelINS0_14default_configENS1_38merge_sort_block_merge_config_selectorIbiEEZZNS1_27merge_sort_block_merge_implIS3_N6thrust23THRUST_200600_302600_NS6detail15normal_iteratorINS8_10device_ptrIbEEEENSA_INSB_IiEEEEjNS1_19radix_merge_compareILb0ELb1EbNS0_19identity_decomposerEEEEE10hipError_tT0_T1_T2_jT3_P12ihipStream_tbPNSt15iterator_traitsISK_E10value_typeEPNSQ_ISL_E10value_typeEPSM_NS1_7vsmem_tEENKUlT_SK_SL_SM_E_clISD_PbSF_PiEESJ_SZ_SK_SL_SM_EUlSZ_E_NS1_11comp_targetILNS1_3genE9ELNS1_11target_archE1100ELNS1_3gpuE3ELNS1_3repE0EEENS1_48merge_mergepath_partition_config_static_selectorELNS0_4arch9wavefront6targetE1EEEvSL_.has_recursion, 0
	.set _ZN7rocprim17ROCPRIM_400000_NS6detail17trampoline_kernelINS0_14default_configENS1_38merge_sort_block_merge_config_selectorIbiEEZZNS1_27merge_sort_block_merge_implIS3_N6thrust23THRUST_200600_302600_NS6detail15normal_iteratorINS8_10device_ptrIbEEEENSA_INSB_IiEEEEjNS1_19radix_merge_compareILb0ELb1EbNS0_19identity_decomposerEEEEE10hipError_tT0_T1_T2_jT3_P12ihipStream_tbPNSt15iterator_traitsISK_E10value_typeEPNSQ_ISL_E10value_typeEPSM_NS1_7vsmem_tEENKUlT_SK_SL_SM_E_clISD_PbSF_PiEESJ_SZ_SK_SL_SM_EUlSZ_E_NS1_11comp_targetILNS1_3genE9ELNS1_11target_archE1100ELNS1_3gpuE3ELNS1_3repE0EEENS1_48merge_mergepath_partition_config_static_selectorELNS0_4arch9wavefront6targetE1EEEvSL_.has_indirect_call, 0
	.section	.AMDGPU.csdata,"",@progbits
; Kernel info:
; codeLenInByte = 0
; TotalNumSgprs: 6
; NumVgprs: 0
; NumAgprs: 0
; TotalNumVgprs: 0
; ScratchSize: 0
; MemoryBound: 0
; FloatMode: 240
; IeeeMode: 1
; LDSByteSize: 0 bytes/workgroup (compile time only)
; SGPRBlocks: 0
; VGPRBlocks: 0
; NumSGPRsForWavesPerEU: 6
; NumVGPRsForWavesPerEU: 1
; AccumOffset: 4
; Occupancy: 8
; WaveLimiterHint : 0
; COMPUTE_PGM_RSRC2:SCRATCH_EN: 0
; COMPUTE_PGM_RSRC2:USER_SGPR: 2
; COMPUTE_PGM_RSRC2:TRAP_HANDLER: 0
; COMPUTE_PGM_RSRC2:TGID_X_EN: 1
; COMPUTE_PGM_RSRC2:TGID_Y_EN: 0
; COMPUTE_PGM_RSRC2:TGID_Z_EN: 0
; COMPUTE_PGM_RSRC2:TIDIG_COMP_CNT: 0
; COMPUTE_PGM_RSRC3_GFX90A:ACCUM_OFFSET: 0
; COMPUTE_PGM_RSRC3_GFX90A:TG_SPLIT: 0
	.section	.text._ZN7rocprim17ROCPRIM_400000_NS6detail17trampoline_kernelINS0_14default_configENS1_38merge_sort_block_merge_config_selectorIbiEEZZNS1_27merge_sort_block_merge_implIS3_N6thrust23THRUST_200600_302600_NS6detail15normal_iteratorINS8_10device_ptrIbEEEENSA_INSB_IiEEEEjNS1_19radix_merge_compareILb0ELb1EbNS0_19identity_decomposerEEEEE10hipError_tT0_T1_T2_jT3_P12ihipStream_tbPNSt15iterator_traitsISK_E10value_typeEPNSQ_ISL_E10value_typeEPSM_NS1_7vsmem_tEENKUlT_SK_SL_SM_E_clISD_PbSF_PiEESJ_SZ_SK_SL_SM_EUlSZ_E_NS1_11comp_targetILNS1_3genE8ELNS1_11target_archE1030ELNS1_3gpuE2ELNS1_3repE0EEENS1_48merge_mergepath_partition_config_static_selectorELNS0_4arch9wavefront6targetE1EEEvSL_,"axG",@progbits,_ZN7rocprim17ROCPRIM_400000_NS6detail17trampoline_kernelINS0_14default_configENS1_38merge_sort_block_merge_config_selectorIbiEEZZNS1_27merge_sort_block_merge_implIS3_N6thrust23THRUST_200600_302600_NS6detail15normal_iteratorINS8_10device_ptrIbEEEENSA_INSB_IiEEEEjNS1_19radix_merge_compareILb0ELb1EbNS0_19identity_decomposerEEEEE10hipError_tT0_T1_T2_jT3_P12ihipStream_tbPNSt15iterator_traitsISK_E10value_typeEPNSQ_ISL_E10value_typeEPSM_NS1_7vsmem_tEENKUlT_SK_SL_SM_E_clISD_PbSF_PiEESJ_SZ_SK_SL_SM_EUlSZ_E_NS1_11comp_targetILNS1_3genE8ELNS1_11target_archE1030ELNS1_3gpuE2ELNS1_3repE0EEENS1_48merge_mergepath_partition_config_static_selectorELNS0_4arch9wavefront6targetE1EEEvSL_,comdat
	.protected	_ZN7rocprim17ROCPRIM_400000_NS6detail17trampoline_kernelINS0_14default_configENS1_38merge_sort_block_merge_config_selectorIbiEEZZNS1_27merge_sort_block_merge_implIS3_N6thrust23THRUST_200600_302600_NS6detail15normal_iteratorINS8_10device_ptrIbEEEENSA_INSB_IiEEEEjNS1_19radix_merge_compareILb0ELb1EbNS0_19identity_decomposerEEEEE10hipError_tT0_T1_T2_jT3_P12ihipStream_tbPNSt15iterator_traitsISK_E10value_typeEPNSQ_ISL_E10value_typeEPSM_NS1_7vsmem_tEENKUlT_SK_SL_SM_E_clISD_PbSF_PiEESJ_SZ_SK_SL_SM_EUlSZ_E_NS1_11comp_targetILNS1_3genE8ELNS1_11target_archE1030ELNS1_3gpuE2ELNS1_3repE0EEENS1_48merge_mergepath_partition_config_static_selectorELNS0_4arch9wavefront6targetE1EEEvSL_ ; -- Begin function _ZN7rocprim17ROCPRIM_400000_NS6detail17trampoline_kernelINS0_14default_configENS1_38merge_sort_block_merge_config_selectorIbiEEZZNS1_27merge_sort_block_merge_implIS3_N6thrust23THRUST_200600_302600_NS6detail15normal_iteratorINS8_10device_ptrIbEEEENSA_INSB_IiEEEEjNS1_19radix_merge_compareILb0ELb1EbNS0_19identity_decomposerEEEEE10hipError_tT0_T1_T2_jT3_P12ihipStream_tbPNSt15iterator_traitsISK_E10value_typeEPNSQ_ISL_E10value_typeEPSM_NS1_7vsmem_tEENKUlT_SK_SL_SM_E_clISD_PbSF_PiEESJ_SZ_SK_SL_SM_EUlSZ_E_NS1_11comp_targetILNS1_3genE8ELNS1_11target_archE1030ELNS1_3gpuE2ELNS1_3repE0EEENS1_48merge_mergepath_partition_config_static_selectorELNS0_4arch9wavefront6targetE1EEEvSL_
	.globl	_ZN7rocprim17ROCPRIM_400000_NS6detail17trampoline_kernelINS0_14default_configENS1_38merge_sort_block_merge_config_selectorIbiEEZZNS1_27merge_sort_block_merge_implIS3_N6thrust23THRUST_200600_302600_NS6detail15normal_iteratorINS8_10device_ptrIbEEEENSA_INSB_IiEEEEjNS1_19radix_merge_compareILb0ELb1EbNS0_19identity_decomposerEEEEE10hipError_tT0_T1_T2_jT3_P12ihipStream_tbPNSt15iterator_traitsISK_E10value_typeEPNSQ_ISL_E10value_typeEPSM_NS1_7vsmem_tEENKUlT_SK_SL_SM_E_clISD_PbSF_PiEESJ_SZ_SK_SL_SM_EUlSZ_E_NS1_11comp_targetILNS1_3genE8ELNS1_11target_archE1030ELNS1_3gpuE2ELNS1_3repE0EEENS1_48merge_mergepath_partition_config_static_selectorELNS0_4arch9wavefront6targetE1EEEvSL_
	.p2align	8
	.type	_ZN7rocprim17ROCPRIM_400000_NS6detail17trampoline_kernelINS0_14default_configENS1_38merge_sort_block_merge_config_selectorIbiEEZZNS1_27merge_sort_block_merge_implIS3_N6thrust23THRUST_200600_302600_NS6detail15normal_iteratorINS8_10device_ptrIbEEEENSA_INSB_IiEEEEjNS1_19radix_merge_compareILb0ELb1EbNS0_19identity_decomposerEEEEE10hipError_tT0_T1_T2_jT3_P12ihipStream_tbPNSt15iterator_traitsISK_E10value_typeEPNSQ_ISL_E10value_typeEPSM_NS1_7vsmem_tEENKUlT_SK_SL_SM_E_clISD_PbSF_PiEESJ_SZ_SK_SL_SM_EUlSZ_E_NS1_11comp_targetILNS1_3genE8ELNS1_11target_archE1030ELNS1_3gpuE2ELNS1_3repE0EEENS1_48merge_mergepath_partition_config_static_selectorELNS0_4arch9wavefront6targetE1EEEvSL_,@function
_ZN7rocprim17ROCPRIM_400000_NS6detail17trampoline_kernelINS0_14default_configENS1_38merge_sort_block_merge_config_selectorIbiEEZZNS1_27merge_sort_block_merge_implIS3_N6thrust23THRUST_200600_302600_NS6detail15normal_iteratorINS8_10device_ptrIbEEEENSA_INSB_IiEEEEjNS1_19radix_merge_compareILb0ELb1EbNS0_19identity_decomposerEEEEE10hipError_tT0_T1_T2_jT3_P12ihipStream_tbPNSt15iterator_traitsISK_E10value_typeEPNSQ_ISL_E10value_typeEPSM_NS1_7vsmem_tEENKUlT_SK_SL_SM_E_clISD_PbSF_PiEESJ_SZ_SK_SL_SM_EUlSZ_E_NS1_11comp_targetILNS1_3genE8ELNS1_11target_archE1030ELNS1_3gpuE2ELNS1_3repE0EEENS1_48merge_mergepath_partition_config_static_selectorELNS0_4arch9wavefront6targetE1EEEvSL_: ; @_ZN7rocprim17ROCPRIM_400000_NS6detail17trampoline_kernelINS0_14default_configENS1_38merge_sort_block_merge_config_selectorIbiEEZZNS1_27merge_sort_block_merge_implIS3_N6thrust23THRUST_200600_302600_NS6detail15normal_iteratorINS8_10device_ptrIbEEEENSA_INSB_IiEEEEjNS1_19radix_merge_compareILb0ELb1EbNS0_19identity_decomposerEEEEE10hipError_tT0_T1_T2_jT3_P12ihipStream_tbPNSt15iterator_traitsISK_E10value_typeEPNSQ_ISL_E10value_typeEPSM_NS1_7vsmem_tEENKUlT_SK_SL_SM_E_clISD_PbSF_PiEESJ_SZ_SK_SL_SM_EUlSZ_E_NS1_11comp_targetILNS1_3genE8ELNS1_11target_archE1030ELNS1_3gpuE2ELNS1_3repE0EEENS1_48merge_mergepath_partition_config_static_selectorELNS0_4arch9wavefront6targetE1EEEvSL_
; %bb.0:
	.section	.rodata,"a",@progbits
	.p2align	6, 0x0
	.amdhsa_kernel _ZN7rocprim17ROCPRIM_400000_NS6detail17trampoline_kernelINS0_14default_configENS1_38merge_sort_block_merge_config_selectorIbiEEZZNS1_27merge_sort_block_merge_implIS3_N6thrust23THRUST_200600_302600_NS6detail15normal_iteratorINS8_10device_ptrIbEEEENSA_INSB_IiEEEEjNS1_19radix_merge_compareILb0ELb1EbNS0_19identity_decomposerEEEEE10hipError_tT0_T1_T2_jT3_P12ihipStream_tbPNSt15iterator_traitsISK_E10value_typeEPNSQ_ISL_E10value_typeEPSM_NS1_7vsmem_tEENKUlT_SK_SL_SM_E_clISD_PbSF_PiEESJ_SZ_SK_SL_SM_EUlSZ_E_NS1_11comp_targetILNS1_3genE8ELNS1_11target_archE1030ELNS1_3gpuE2ELNS1_3repE0EEENS1_48merge_mergepath_partition_config_static_selectorELNS0_4arch9wavefront6targetE1EEEvSL_
		.amdhsa_group_segment_fixed_size 0
		.amdhsa_private_segment_fixed_size 0
		.amdhsa_kernarg_size 40
		.amdhsa_user_sgpr_count 2
		.amdhsa_user_sgpr_dispatch_ptr 0
		.amdhsa_user_sgpr_queue_ptr 0
		.amdhsa_user_sgpr_kernarg_segment_ptr 1
		.amdhsa_user_sgpr_dispatch_id 0
		.amdhsa_user_sgpr_kernarg_preload_length 0
		.amdhsa_user_sgpr_kernarg_preload_offset 0
		.amdhsa_user_sgpr_private_segment_size 0
		.amdhsa_uses_dynamic_stack 0
		.amdhsa_enable_private_segment 0
		.amdhsa_system_sgpr_workgroup_id_x 1
		.amdhsa_system_sgpr_workgroup_id_y 0
		.amdhsa_system_sgpr_workgroup_id_z 0
		.amdhsa_system_sgpr_workgroup_info 0
		.amdhsa_system_vgpr_workitem_id 0
		.amdhsa_next_free_vgpr 1
		.amdhsa_next_free_sgpr 0
		.amdhsa_accum_offset 4
		.amdhsa_reserve_vcc 0
		.amdhsa_float_round_mode_32 0
		.amdhsa_float_round_mode_16_64 0
		.amdhsa_float_denorm_mode_32 3
		.amdhsa_float_denorm_mode_16_64 3
		.amdhsa_dx10_clamp 1
		.amdhsa_ieee_mode 1
		.amdhsa_fp16_overflow 0
		.amdhsa_tg_split 0
		.amdhsa_exception_fp_ieee_invalid_op 0
		.amdhsa_exception_fp_denorm_src 0
		.amdhsa_exception_fp_ieee_div_zero 0
		.amdhsa_exception_fp_ieee_overflow 0
		.amdhsa_exception_fp_ieee_underflow 0
		.amdhsa_exception_fp_ieee_inexact 0
		.amdhsa_exception_int_div_zero 0
	.end_amdhsa_kernel
	.section	.text._ZN7rocprim17ROCPRIM_400000_NS6detail17trampoline_kernelINS0_14default_configENS1_38merge_sort_block_merge_config_selectorIbiEEZZNS1_27merge_sort_block_merge_implIS3_N6thrust23THRUST_200600_302600_NS6detail15normal_iteratorINS8_10device_ptrIbEEEENSA_INSB_IiEEEEjNS1_19radix_merge_compareILb0ELb1EbNS0_19identity_decomposerEEEEE10hipError_tT0_T1_T2_jT3_P12ihipStream_tbPNSt15iterator_traitsISK_E10value_typeEPNSQ_ISL_E10value_typeEPSM_NS1_7vsmem_tEENKUlT_SK_SL_SM_E_clISD_PbSF_PiEESJ_SZ_SK_SL_SM_EUlSZ_E_NS1_11comp_targetILNS1_3genE8ELNS1_11target_archE1030ELNS1_3gpuE2ELNS1_3repE0EEENS1_48merge_mergepath_partition_config_static_selectorELNS0_4arch9wavefront6targetE1EEEvSL_,"axG",@progbits,_ZN7rocprim17ROCPRIM_400000_NS6detail17trampoline_kernelINS0_14default_configENS1_38merge_sort_block_merge_config_selectorIbiEEZZNS1_27merge_sort_block_merge_implIS3_N6thrust23THRUST_200600_302600_NS6detail15normal_iteratorINS8_10device_ptrIbEEEENSA_INSB_IiEEEEjNS1_19radix_merge_compareILb0ELb1EbNS0_19identity_decomposerEEEEE10hipError_tT0_T1_T2_jT3_P12ihipStream_tbPNSt15iterator_traitsISK_E10value_typeEPNSQ_ISL_E10value_typeEPSM_NS1_7vsmem_tEENKUlT_SK_SL_SM_E_clISD_PbSF_PiEESJ_SZ_SK_SL_SM_EUlSZ_E_NS1_11comp_targetILNS1_3genE8ELNS1_11target_archE1030ELNS1_3gpuE2ELNS1_3repE0EEENS1_48merge_mergepath_partition_config_static_selectorELNS0_4arch9wavefront6targetE1EEEvSL_,comdat
.Lfunc_end1997:
	.size	_ZN7rocprim17ROCPRIM_400000_NS6detail17trampoline_kernelINS0_14default_configENS1_38merge_sort_block_merge_config_selectorIbiEEZZNS1_27merge_sort_block_merge_implIS3_N6thrust23THRUST_200600_302600_NS6detail15normal_iteratorINS8_10device_ptrIbEEEENSA_INSB_IiEEEEjNS1_19radix_merge_compareILb0ELb1EbNS0_19identity_decomposerEEEEE10hipError_tT0_T1_T2_jT3_P12ihipStream_tbPNSt15iterator_traitsISK_E10value_typeEPNSQ_ISL_E10value_typeEPSM_NS1_7vsmem_tEENKUlT_SK_SL_SM_E_clISD_PbSF_PiEESJ_SZ_SK_SL_SM_EUlSZ_E_NS1_11comp_targetILNS1_3genE8ELNS1_11target_archE1030ELNS1_3gpuE2ELNS1_3repE0EEENS1_48merge_mergepath_partition_config_static_selectorELNS0_4arch9wavefront6targetE1EEEvSL_, .Lfunc_end1997-_ZN7rocprim17ROCPRIM_400000_NS6detail17trampoline_kernelINS0_14default_configENS1_38merge_sort_block_merge_config_selectorIbiEEZZNS1_27merge_sort_block_merge_implIS3_N6thrust23THRUST_200600_302600_NS6detail15normal_iteratorINS8_10device_ptrIbEEEENSA_INSB_IiEEEEjNS1_19radix_merge_compareILb0ELb1EbNS0_19identity_decomposerEEEEE10hipError_tT0_T1_T2_jT3_P12ihipStream_tbPNSt15iterator_traitsISK_E10value_typeEPNSQ_ISL_E10value_typeEPSM_NS1_7vsmem_tEENKUlT_SK_SL_SM_E_clISD_PbSF_PiEESJ_SZ_SK_SL_SM_EUlSZ_E_NS1_11comp_targetILNS1_3genE8ELNS1_11target_archE1030ELNS1_3gpuE2ELNS1_3repE0EEENS1_48merge_mergepath_partition_config_static_selectorELNS0_4arch9wavefront6targetE1EEEvSL_
                                        ; -- End function
	.set _ZN7rocprim17ROCPRIM_400000_NS6detail17trampoline_kernelINS0_14default_configENS1_38merge_sort_block_merge_config_selectorIbiEEZZNS1_27merge_sort_block_merge_implIS3_N6thrust23THRUST_200600_302600_NS6detail15normal_iteratorINS8_10device_ptrIbEEEENSA_INSB_IiEEEEjNS1_19radix_merge_compareILb0ELb1EbNS0_19identity_decomposerEEEEE10hipError_tT0_T1_T2_jT3_P12ihipStream_tbPNSt15iterator_traitsISK_E10value_typeEPNSQ_ISL_E10value_typeEPSM_NS1_7vsmem_tEENKUlT_SK_SL_SM_E_clISD_PbSF_PiEESJ_SZ_SK_SL_SM_EUlSZ_E_NS1_11comp_targetILNS1_3genE8ELNS1_11target_archE1030ELNS1_3gpuE2ELNS1_3repE0EEENS1_48merge_mergepath_partition_config_static_selectorELNS0_4arch9wavefront6targetE1EEEvSL_.num_vgpr, 0
	.set _ZN7rocprim17ROCPRIM_400000_NS6detail17trampoline_kernelINS0_14default_configENS1_38merge_sort_block_merge_config_selectorIbiEEZZNS1_27merge_sort_block_merge_implIS3_N6thrust23THRUST_200600_302600_NS6detail15normal_iteratorINS8_10device_ptrIbEEEENSA_INSB_IiEEEEjNS1_19radix_merge_compareILb0ELb1EbNS0_19identity_decomposerEEEEE10hipError_tT0_T1_T2_jT3_P12ihipStream_tbPNSt15iterator_traitsISK_E10value_typeEPNSQ_ISL_E10value_typeEPSM_NS1_7vsmem_tEENKUlT_SK_SL_SM_E_clISD_PbSF_PiEESJ_SZ_SK_SL_SM_EUlSZ_E_NS1_11comp_targetILNS1_3genE8ELNS1_11target_archE1030ELNS1_3gpuE2ELNS1_3repE0EEENS1_48merge_mergepath_partition_config_static_selectorELNS0_4arch9wavefront6targetE1EEEvSL_.num_agpr, 0
	.set _ZN7rocprim17ROCPRIM_400000_NS6detail17trampoline_kernelINS0_14default_configENS1_38merge_sort_block_merge_config_selectorIbiEEZZNS1_27merge_sort_block_merge_implIS3_N6thrust23THRUST_200600_302600_NS6detail15normal_iteratorINS8_10device_ptrIbEEEENSA_INSB_IiEEEEjNS1_19radix_merge_compareILb0ELb1EbNS0_19identity_decomposerEEEEE10hipError_tT0_T1_T2_jT3_P12ihipStream_tbPNSt15iterator_traitsISK_E10value_typeEPNSQ_ISL_E10value_typeEPSM_NS1_7vsmem_tEENKUlT_SK_SL_SM_E_clISD_PbSF_PiEESJ_SZ_SK_SL_SM_EUlSZ_E_NS1_11comp_targetILNS1_3genE8ELNS1_11target_archE1030ELNS1_3gpuE2ELNS1_3repE0EEENS1_48merge_mergepath_partition_config_static_selectorELNS0_4arch9wavefront6targetE1EEEvSL_.numbered_sgpr, 0
	.set _ZN7rocprim17ROCPRIM_400000_NS6detail17trampoline_kernelINS0_14default_configENS1_38merge_sort_block_merge_config_selectorIbiEEZZNS1_27merge_sort_block_merge_implIS3_N6thrust23THRUST_200600_302600_NS6detail15normal_iteratorINS8_10device_ptrIbEEEENSA_INSB_IiEEEEjNS1_19radix_merge_compareILb0ELb1EbNS0_19identity_decomposerEEEEE10hipError_tT0_T1_T2_jT3_P12ihipStream_tbPNSt15iterator_traitsISK_E10value_typeEPNSQ_ISL_E10value_typeEPSM_NS1_7vsmem_tEENKUlT_SK_SL_SM_E_clISD_PbSF_PiEESJ_SZ_SK_SL_SM_EUlSZ_E_NS1_11comp_targetILNS1_3genE8ELNS1_11target_archE1030ELNS1_3gpuE2ELNS1_3repE0EEENS1_48merge_mergepath_partition_config_static_selectorELNS0_4arch9wavefront6targetE1EEEvSL_.num_named_barrier, 0
	.set _ZN7rocprim17ROCPRIM_400000_NS6detail17trampoline_kernelINS0_14default_configENS1_38merge_sort_block_merge_config_selectorIbiEEZZNS1_27merge_sort_block_merge_implIS3_N6thrust23THRUST_200600_302600_NS6detail15normal_iteratorINS8_10device_ptrIbEEEENSA_INSB_IiEEEEjNS1_19radix_merge_compareILb0ELb1EbNS0_19identity_decomposerEEEEE10hipError_tT0_T1_T2_jT3_P12ihipStream_tbPNSt15iterator_traitsISK_E10value_typeEPNSQ_ISL_E10value_typeEPSM_NS1_7vsmem_tEENKUlT_SK_SL_SM_E_clISD_PbSF_PiEESJ_SZ_SK_SL_SM_EUlSZ_E_NS1_11comp_targetILNS1_3genE8ELNS1_11target_archE1030ELNS1_3gpuE2ELNS1_3repE0EEENS1_48merge_mergepath_partition_config_static_selectorELNS0_4arch9wavefront6targetE1EEEvSL_.private_seg_size, 0
	.set _ZN7rocprim17ROCPRIM_400000_NS6detail17trampoline_kernelINS0_14default_configENS1_38merge_sort_block_merge_config_selectorIbiEEZZNS1_27merge_sort_block_merge_implIS3_N6thrust23THRUST_200600_302600_NS6detail15normal_iteratorINS8_10device_ptrIbEEEENSA_INSB_IiEEEEjNS1_19radix_merge_compareILb0ELb1EbNS0_19identity_decomposerEEEEE10hipError_tT0_T1_T2_jT3_P12ihipStream_tbPNSt15iterator_traitsISK_E10value_typeEPNSQ_ISL_E10value_typeEPSM_NS1_7vsmem_tEENKUlT_SK_SL_SM_E_clISD_PbSF_PiEESJ_SZ_SK_SL_SM_EUlSZ_E_NS1_11comp_targetILNS1_3genE8ELNS1_11target_archE1030ELNS1_3gpuE2ELNS1_3repE0EEENS1_48merge_mergepath_partition_config_static_selectorELNS0_4arch9wavefront6targetE1EEEvSL_.uses_vcc, 0
	.set _ZN7rocprim17ROCPRIM_400000_NS6detail17trampoline_kernelINS0_14default_configENS1_38merge_sort_block_merge_config_selectorIbiEEZZNS1_27merge_sort_block_merge_implIS3_N6thrust23THRUST_200600_302600_NS6detail15normal_iteratorINS8_10device_ptrIbEEEENSA_INSB_IiEEEEjNS1_19radix_merge_compareILb0ELb1EbNS0_19identity_decomposerEEEEE10hipError_tT0_T1_T2_jT3_P12ihipStream_tbPNSt15iterator_traitsISK_E10value_typeEPNSQ_ISL_E10value_typeEPSM_NS1_7vsmem_tEENKUlT_SK_SL_SM_E_clISD_PbSF_PiEESJ_SZ_SK_SL_SM_EUlSZ_E_NS1_11comp_targetILNS1_3genE8ELNS1_11target_archE1030ELNS1_3gpuE2ELNS1_3repE0EEENS1_48merge_mergepath_partition_config_static_selectorELNS0_4arch9wavefront6targetE1EEEvSL_.uses_flat_scratch, 0
	.set _ZN7rocprim17ROCPRIM_400000_NS6detail17trampoline_kernelINS0_14default_configENS1_38merge_sort_block_merge_config_selectorIbiEEZZNS1_27merge_sort_block_merge_implIS3_N6thrust23THRUST_200600_302600_NS6detail15normal_iteratorINS8_10device_ptrIbEEEENSA_INSB_IiEEEEjNS1_19radix_merge_compareILb0ELb1EbNS0_19identity_decomposerEEEEE10hipError_tT0_T1_T2_jT3_P12ihipStream_tbPNSt15iterator_traitsISK_E10value_typeEPNSQ_ISL_E10value_typeEPSM_NS1_7vsmem_tEENKUlT_SK_SL_SM_E_clISD_PbSF_PiEESJ_SZ_SK_SL_SM_EUlSZ_E_NS1_11comp_targetILNS1_3genE8ELNS1_11target_archE1030ELNS1_3gpuE2ELNS1_3repE0EEENS1_48merge_mergepath_partition_config_static_selectorELNS0_4arch9wavefront6targetE1EEEvSL_.has_dyn_sized_stack, 0
	.set _ZN7rocprim17ROCPRIM_400000_NS6detail17trampoline_kernelINS0_14default_configENS1_38merge_sort_block_merge_config_selectorIbiEEZZNS1_27merge_sort_block_merge_implIS3_N6thrust23THRUST_200600_302600_NS6detail15normal_iteratorINS8_10device_ptrIbEEEENSA_INSB_IiEEEEjNS1_19radix_merge_compareILb0ELb1EbNS0_19identity_decomposerEEEEE10hipError_tT0_T1_T2_jT3_P12ihipStream_tbPNSt15iterator_traitsISK_E10value_typeEPNSQ_ISL_E10value_typeEPSM_NS1_7vsmem_tEENKUlT_SK_SL_SM_E_clISD_PbSF_PiEESJ_SZ_SK_SL_SM_EUlSZ_E_NS1_11comp_targetILNS1_3genE8ELNS1_11target_archE1030ELNS1_3gpuE2ELNS1_3repE0EEENS1_48merge_mergepath_partition_config_static_selectorELNS0_4arch9wavefront6targetE1EEEvSL_.has_recursion, 0
	.set _ZN7rocprim17ROCPRIM_400000_NS6detail17trampoline_kernelINS0_14default_configENS1_38merge_sort_block_merge_config_selectorIbiEEZZNS1_27merge_sort_block_merge_implIS3_N6thrust23THRUST_200600_302600_NS6detail15normal_iteratorINS8_10device_ptrIbEEEENSA_INSB_IiEEEEjNS1_19radix_merge_compareILb0ELb1EbNS0_19identity_decomposerEEEEE10hipError_tT0_T1_T2_jT3_P12ihipStream_tbPNSt15iterator_traitsISK_E10value_typeEPNSQ_ISL_E10value_typeEPSM_NS1_7vsmem_tEENKUlT_SK_SL_SM_E_clISD_PbSF_PiEESJ_SZ_SK_SL_SM_EUlSZ_E_NS1_11comp_targetILNS1_3genE8ELNS1_11target_archE1030ELNS1_3gpuE2ELNS1_3repE0EEENS1_48merge_mergepath_partition_config_static_selectorELNS0_4arch9wavefront6targetE1EEEvSL_.has_indirect_call, 0
	.section	.AMDGPU.csdata,"",@progbits
; Kernel info:
; codeLenInByte = 0
; TotalNumSgprs: 6
; NumVgprs: 0
; NumAgprs: 0
; TotalNumVgprs: 0
; ScratchSize: 0
; MemoryBound: 0
; FloatMode: 240
; IeeeMode: 1
; LDSByteSize: 0 bytes/workgroup (compile time only)
; SGPRBlocks: 0
; VGPRBlocks: 0
; NumSGPRsForWavesPerEU: 6
; NumVGPRsForWavesPerEU: 1
; AccumOffset: 4
; Occupancy: 8
; WaveLimiterHint : 0
; COMPUTE_PGM_RSRC2:SCRATCH_EN: 0
; COMPUTE_PGM_RSRC2:USER_SGPR: 2
; COMPUTE_PGM_RSRC2:TRAP_HANDLER: 0
; COMPUTE_PGM_RSRC2:TGID_X_EN: 1
; COMPUTE_PGM_RSRC2:TGID_Y_EN: 0
; COMPUTE_PGM_RSRC2:TGID_Z_EN: 0
; COMPUTE_PGM_RSRC2:TIDIG_COMP_CNT: 0
; COMPUTE_PGM_RSRC3_GFX90A:ACCUM_OFFSET: 0
; COMPUTE_PGM_RSRC3_GFX90A:TG_SPLIT: 0
	.section	.text._ZN7rocprim17ROCPRIM_400000_NS6detail17trampoline_kernelINS0_14default_configENS1_38merge_sort_block_merge_config_selectorIbiEEZZNS1_27merge_sort_block_merge_implIS3_N6thrust23THRUST_200600_302600_NS6detail15normal_iteratorINS8_10device_ptrIbEEEENSA_INSB_IiEEEEjNS1_19radix_merge_compareILb0ELb1EbNS0_19identity_decomposerEEEEE10hipError_tT0_T1_T2_jT3_P12ihipStream_tbPNSt15iterator_traitsISK_E10value_typeEPNSQ_ISL_E10value_typeEPSM_NS1_7vsmem_tEENKUlT_SK_SL_SM_E_clISD_PbSF_PiEESJ_SZ_SK_SL_SM_EUlSZ_E0_NS1_11comp_targetILNS1_3genE0ELNS1_11target_archE4294967295ELNS1_3gpuE0ELNS1_3repE0EEENS1_38merge_mergepath_config_static_selectorELNS0_4arch9wavefront6targetE1EEEvSL_,"axG",@progbits,_ZN7rocprim17ROCPRIM_400000_NS6detail17trampoline_kernelINS0_14default_configENS1_38merge_sort_block_merge_config_selectorIbiEEZZNS1_27merge_sort_block_merge_implIS3_N6thrust23THRUST_200600_302600_NS6detail15normal_iteratorINS8_10device_ptrIbEEEENSA_INSB_IiEEEEjNS1_19radix_merge_compareILb0ELb1EbNS0_19identity_decomposerEEEEE10hipError_tT0_T1_T2_jT3_P12ihipStream_tbPNSt15iterator_traitsISK_E10value_typeEPNSQ_ISL_E10value_typeEPSM_NS1_7vsmem_tEENKUlT_SK_SL_SM_E_clISD_PbSF_PiEESJ_SZ_SK_SL_SM_EUlSZ_E0_NS1_11comp_targetILNS1_3genE0ELNS1_11target_archE4294967295ELNS1_3gpuE0ELNS1_3repE0EEENS1_38merge_mergepath_config_static_selectorELNS0_4arch9wavefront6targetE1EEEvSL_,comdat
	.protected	_ZN7rocprim17ROCPRIM_400000_NS6detail17trampoline_kernelINS0_14default_configENS1_38merge_sort_block_merge_config_selectorIbiEEZZNS1_27merge_sort_block_merge_implIS3_N6thrust23THRUST_200600_302600_NS6detail15normal_iteratorINS8_10device_ptrIbEEEENSA_INSB_IiEEEEjNS1_19radix_merge_compareILb0ELb1EbNS0_19identity_decomposerEEEEE10hipError_tT0_T1_T2_jT3_P12ihipStream_tbPNSt15iterator_traitsISK_E10value_typeEPNSQ_ISL_E10value_typeEPSM_NS1_7vsmem_tEENKUlT_SK_SL_SM_E_clISD_PbSF_PiEESJ_SZ_SK_SL_SM_EUlSZ_E0_NS1_11comp_targetILNS1_3genE0ELNS1_11target_archE4294967295ELNS1_3gpuE0ELNS1_3repE0EEENS1_38merge_mergepath_config_static_selectorELNS0_4arch9wavefront6targetE1EEEvSL_ ; -- Begin function _ZN7rocprim17ROCPRIM_400000_NS6detail17trampoline_kernelINS0_14default_configENS1_38merge_sort_block_merge_config_selectorIbiEEZZNS1_27merge_sort_block_merge_implIS3_N6thrust23THRUST_200600_302600_NS6detail15normal_iteratorINS8_10device_ptrIbEEEENSA_INSB_IiEEEEjNS1_19radix_merge_compareILb0ELb1EbNS0_19identity_decomposerEEEEE10hipError_tT0_T1_T2_jT3_P12ihipStream_tbPNSt15iterator_traitsISK_E10value_typeEPNSQ_ISL_E10value_typeEPSM_NS1_7vsmem_tEENKUlT_SK_SL_SM_E_clISD_PbSF_PiEESJ_SZ_SK_SL_SM_EUlSZ_E0_NS1_11comp_targetILNS1_3genE0ELNS1_11target_archE4294967295ELNS1_3gpuE0ELNS1_3repE0EEENS1_38merge_mergepath_config_static_selectorELNS0_4arch9wavefront6targetE1EEEvSL_
	.globl	_ZN7rocprim17ROCPRIM_400000_NS6detail17trampoline_kernelINS0_14default_configENS1_38merge_sort_block_merge_config_selectorIbiEEZZNS1_27merge_sort_block_merge_implIS3_N6thrust23THRUST_200600_302600_NS6detail15normal_iteratorINS8_10device_ptrIbEEEENSA_INSB_IiEEEEjNS1_19radix_merge_compareILb0ELb1EbNS0_19identity_decomposerEEEEE10hipError_tT0_T1_T2_jT3_P12ihipStream_tbPNSt15iterator_traitsISK_E10value_typeEPNSQ_ISL_E10value_typeEPSM_NS1_7vsmem_tEENKUlT_SK_SL_SM_E_clISD_PbSF_PiEESJ_SZ_SK_SL_SM_EUlSZ_E0_NS1_11comp_targetILNS1_3genE0ELNS1_11target_archE4294967295ELNS1_3gpuE0ELNS1_3repE0EEENS1_38merge_mergepath_config_static_selectorELNS0_4arch9wavefront6targetE1EEEvSL_
	.p2align	8
	.type	_ZN7rocprim17ROCPRIM_400000_NS6detail17trampoline_kernelINS0_14default_configENS1_38merge_sort_block_merge_config_selectorIbiEEZZNS1_27merge_sort_block_merge_implIS3_N6thrust23THRUST_200600_302600_NS6detail15normal_iteratorINS8_10device_ptrIbEEEENSA_INSB_IiEEEEjNS1_19radix_merge_compareILb0ELb1EbNS0_19identity_decomposerEEEEE10hipError_tT0_T1_T2_jT3_P12ihipStream_tbPNSt15iterator_traitsISK_E10value_typeEPNSQ_ISL_E10value_typeEPSM_NS1_7vsmem_tEENKUlT_SK_SL_SM_E_clISD_PbSF_PiEESJ_SZ_SK_SL_SM_EUlSZ_E0_NS1_11comp_targetILNS1_3genE0ELNS1_11target_archE4294967295ELNS1_3gpuE0ELNS1_3repE0EEENS1_38merge_mergepath_config_static_selectorELNS0_4arch9wavefront6targetE1EEEvSL_,@function
_ZN7rocprim17ROCPRIM_400000_NS6detail17trampoline_kernelINS0_14default_configENS1_38merge_sort_block_merge_config_selectorIbiEEZZNS1_27merge_sort_block_merge_implIS3_N6thrust23THRUST_200600_302600_NS6detail15normal_iteratorINS8_10device_ptrIbEEEENSA_INSB_IiEEEEjNS1_19radix_merge_compareILb0ELb1EbNS0_19identity_decomposerEEEEE10hipError_tT0_T1_T2_jT3_P12ihipStream_tbPNSt15iterator_traitsISK_E10value_typeEPNSQ_ISL_E10value_typeEPSM_NS1_7vsmem_tEENKUlT_SK_SL_SM_E_clISD_PbSF_PiEESJ_SZ_SK_SL_SM_EUlSZ_E0_NS1_11comp_targetILNS1_3genE0ELNS1_11target_archE4294967295ELNS1_3gpuE0ELNS1_3repE0EEENS1_38merge_mergepath_config_static_selectorELNS0_4arch9wavefront6targetE1EEEvSL_: ; @_ZN7rocprim17ROCPRIM_400000_NS6detail17trampoline_kernelINS0_14default_configENS1_38merge_sort_block_merge_config_selectorIbiEEZZNS1_27merge_sort_block_merge_implIS3_N6thrust23THRUST_200600_302600_NS6detail15normal_iteratorINS8_10device_ptrIbEEEENSA_INSB_IiEEEEjNS1_19radix_merge_compareILb0ELb1EbNS0_19identity_decomposerEEEEE10hipError_tT0_T1_T2_jT3_P12ihipStream_tbPNSt15iterator_traitsISK_E10value_typeEPNSQ_ISL_E10value_typeEPSM_NS1_7vsmem_tEENKUlT_SK_SL_SM_E_clISD_PbSF_PiEESJ_SZ_SK_SL_SM_EUlSZ_E0_NS1_11comp_targetILNS1_3genE0ELNS1_11target_archE4294967295ELNS1_3gpuE0ELNS1_3repE0EEENS1_38merge_mergepath_config_static_selectorELNS0_4arch9wavefront6targetE1EEEvSL_
; %bb.0:
	s_load_dwordx2 s[8:9], s[0:1], 0x4
	v_and_b32_e32 v4, 0x3ff, v0
	v_bfe_u32 v2, v0, 10, 10
	v_bfe_u32 v0, v0, 20, 10
	s_waitcnt lgkmcnt(0)
	s_lshr_b32 s0, s8, 16
	s_mul_i32 s0, s0, s9
	v_mul_lo_u32 v1, s0, v4
	s_load_dwordx4 s[16:19], s[2:3], 0x28
	s_load_dword s0, s[2:3], 0x34
	s_load_dwordx2 s[24:25], s[2:3], 0x40
	v_mul_u32_u24_e32 v2, s9, v2
	v_add3_u32 v14, v1, v2, v0
	s_waitcnt lgkmcnt(0)
	s_and_b32 s0, s0, 1
	v_mov_b32_e32 v0, s0
	s_add_u32 s26, s2, 64
	s_mul_i32 s0, s25, s6
	s_addc_u32 s27, s3, 0
	s_add_i32 s0, s0, s5
	s_mul_i32 s0, s0, s24
	s_add_i32 s22, s0, s4
	s_cmp_ge_u32 s22, s18
	ds_write_b8 v14, v0 offset:4224
	s_cbranch_scc1 .LBB1998_46
; %bb.1:
	s_load_dwordx8 s[8:15], s[2:3], 0x8
	s_load_dwordx2 s[0:1], s[2:3], 0x38
	s_lshr_b32 s25, s16, 10
	s_cmp_lg_u32 s22, s25
	s_mov_b32 s23, 0
	s_cselect_b64 s[18:19], -1, 0
	s_lshl_b64 s[2:3], s[22:23], 2
	s_waitcnt lgkmcnt(0)
	s_add_u32 s2, s0, s2
	s_addc_u32 s3, s1, s3
	s_load_dwordx2 s[0:1], s[2:3], 0x0
	s_lshr_b32 s2, s17, 9
	s_and_b32 s2, s2, 0x7ffffe
	s_sub_i32 s3, 0, s2
	s_and_b32 s2, s22, s3
	s_lshl_b32 s5, s2, 10
	s_lshl_b32 s6, s22, 10
	;; [unrolled: 1-line block ×3, first 2 shown]
	s_sub_i32 s7, s6, s5
	s_add_i32 s20, s2, s17
	s_add_i32 s7, s20, s7
	s_waitcnt lgkmcnt(0)
	s_sub_i32 s2, s7, s0
	s_sub_i32 s7, s7, s1
	;; [unrolled: 1-line block ×3, first 2 shown]
	s_min_u32 s2, s16, s2
	s_addk_i32 s7, 0x400
	s_or_b32 s3, s22, s3
	s_min_u32 s20, s16, s5
	s_add_i32 s5, s5, s17
	s_cmp_eq_u32 s3, -1
	s_cselect_b32 s3, s5, s7
	s_cselect_b32 s1, s20, s1
	s_min_u32 s17, s3, s16
	s_sub_i32 s7, s1, s0
	s_add_u32 s20, s8, s0
	s_addc_u32 s21, s9, 0
	s_add_u32 s8, s8, s2
	s_addc_u32 s9, s9, 0
	s_cmp_lt_u32 s4, s24
	v_mov_b32_e32 v1, 0
	s_cselect_b32 s1, 12, 18
	global_load_dword v0, v1, s[26:27] offset:14
	s_add_u32 s4, s26, s1
	s_addc_u32 s5, s27, 0
	global_load_ushort v2, v1, s[4:5]
	s_mov_b32 s1, s23
	s_mov_b32 s3, s23
	s_cmp_eq_u32 s22, s25
	s_waitcnt vmcnt(1)
	v_lshrrev_b32_e32 v3, 16, v0
	v_and_b32_e32 v0, 0xffff, v0
	v_mul_lo_u32 v0, v0, v3
	s_waitcnt vmcnt(0)
	v_mul_lo_u32 v13, v0, v2
	v_add_u32_e32 v10, v13, v4
	v_add_u32_e32 v8, v10, v13
	s_cbranch_scc1 .LBB1998_3
; %bb.2:
	v_mov_b32_e32 v5, v1
	v_subrev_co_u32_e32 v0, vcc, s7, v4
	v_lshl_add_u64 v[2:3], s[20:21], 0, v[4:5]
	v_lshl_add_u64 v[6:7], s[8:9], 0, v[0:1]
	v_cndmask_b32_e32 v3, v7, v3, vcc
	v_cndmask_b32_e32 v2, v6, v2, vcc
	v_mov_b32_e32 v11, v1
	v_subrev_co_u32_e32 v0, vcc, s7, v10
	v_lshl_add_u64 v[6:7], s[20:21], 0, v[10:11]
	v_lshl_add_u64 v[16:17], s[8:9], 0, v[0:1]
	v_cndmask_b32_e32 v7, v17, v7, vcc
	v_cndmask_b32_e32 v6, v16, v6, vcc
	v_mov_b32_e32 v9, v1
	v_subrev_co_u32_e32 v0, vcc, s7, v8
	v_lshl_add_u64 v[16:17], s[20:21], 0, v[8:9]
	v_lshl_add_u64 v[0:1], s[8:9], 0, v[0:1]
	v_cndmask_b32_e32 v1, v1, v17, vcc
	v_cndmask_b32_e32 v0, v0, v16, vcc
	global_load_ubyte v5, v[2:3], off
	global_load_ubyte v9, v[6:7], off
	;; [unrolled: 1-line block ×3, first 2 shown]
	s_mov_b32 s4, 0xc0c0004
	v_add_u32_e32 v0, v8, v13
	s_waitcnt vmcnt(1)
	v_perm_b32 v1, v5, v9, s4
	s_waitcnt vmcnt(0)
	v_lshl_or_b32 v15, v11, 16, v1
	s_mov_b64 s[4:5], -1
	s_sub_i32 s17, s17, s2
	s_cbranch_execz .LBB1998_4
	s_branch .LBB1998_9
.LBB1998_3:
	s_mov_b64 s[4:5], 0
                                        ; implicit-def: $vgpr0
                                        ; implicit-def: $vgpr15
	s_sub_i32 s17, s17, s2
.LBB1998_4:
	s_add_i32 s22, s17, s7
	v_cmp_gt_u32_e32 vcc, s22, v4
	v_mov_b32_e32 v15, 0
	s_and_saveexec_b64 s[4:5], vcc
	s_cbranch_execnz .LBB1998_47
; %bb.5:
	s_or_b64 exec, exec, s[4:5]
	v_cmp_gt_u32_e32 vcc, s22, v10
	s_and_saveexec_b64 s[4:5], vcc
	s_cbranch_execnz .LBB1998_48
.LBB1998_6:
	s_or_b64 exec, exec, s[4:5]
	v_cmp_gt_u32_e32 vcc, s22, v8
	s_and_saveexec_b64 s[4:5], vcc
	s_cbranch_execz .LBB1998_8
.LBB1998_7:
	v_mov_b32_e32 v9, 0
	v_subrev_co_u32_e32 v2, vcc, s7, v8
	v_mov_b32_e32 v3, v9
	v_lshl_add_u64 v[0:1], s[20:21], 0, v[8:9]
	v_lshl_add_u64 v[2:3], s[8:9], 0, v[2:3]
	v_cndmask_b32_e32 v1, v3, v1, vcc
	v_cndmask_b32_e32 v0, v2, v0, vcc
	global_load_ubyte v0, v[0:1], off
	s_waitcnt vmcnt(0)
	v_lshl_or_b32 v15, v0, 16, v15
.LBB1998_8:
	s_or_b64 exec, exec, s[4:5]
	v_add_u32_e32 v0, v8, v13
	v_cmp_gt_u32_e64 s[4:5], s22, v0
.LBB1998_9:
	s_and_saveexec_b64 s[22:23], s[4:5]
	s_cbranch_execz .LBB1998_11
; %bb.10:
	v_mov_b32_e32 v3, 0
	v_mov_b32_e32 v1, v3
	v_subrev_co_u32_e32 v2, vcc, s7, v0
	v_lshl_add_u64 v[6:7], s[20:21], 0, v[0:1]
	v_lshl_add_u64 v[0:1], s[8:9], 0, v[2:3]
	v_cndmask_b32_e32 v1, v1, v7, vcc
	v_cndmask_b32_e32 v0, v0, v6, vcc
	global_load_ubyte v0, v[0:1], off
	s_mov_b32 s4, 0x60504
	s_waitcnt vmcnt(0)
	v_perm_b32 v15, v15, v0, s4
.LBB1998_11:
	s_or_b64 exec, exec, s[22:23]
	s_lshl_b64 s[0:1], s[0:1], 2
	s_add_u32 s0, s12, s0
	s_addc_u32 s1, s13, s1
	s_lshl_b64 s[2:3], s[2:3], 2
	s_add_u32 s2, s12, s2
	s_waitcnt vmcnt(0)
	v_lshrrev_b32_e32 v16, 16, v15
	v_mov_b32_e32 v5, 0
	v_lshrrev_b32_e32 v17, 8, v15
	v_lshrrev_b32_e32 v18, 24, v15
	s_addc_u32 s3, s13, s3
	s_andn2_b64 vcc, exec, s[18:19]
	v_lshlrev_b32_e32 v6, 2, v4
	ds_write_b8 v4, v15
	ds_write_b8 v4, v17 offset:256
	ds_write_b8 v4, v16 offset:512
	;; [unrolled: 1-line block ×3, first 2 shown]
	s_cbranch_vccnz .LBB1998_13
; %bb.12:
	v_mov_b32_e32 v7, v5
	v_subrev_co_u32_e32 v2, vcc, s7, v4
	v_mov_b32_e32 v3, v5
	v_lshl_add_u64 v[0:1], s[0:1], 0, v[6:7]
	v_lshl_add_u64 v[2:3], v[2:3], 2, s[2:3]
	v_cndmask_b32_e32 v1, v3, v1, vcc
	v_cndmask_b32_e32 v0, v2, v0, vcc
	v_mov_b32_e32 v11, v5
	v_subrev_co_u32_e32 v20, vcc, s7, v10
	v_mov_b32_e32 v21, v5
	v_lshl_add_u64 v[2:3], v[10:11], 2, s[0:1]
	v_lshl_add_u64 v[20:21], v[20:21], 2, s[2:3]
	v_cndmask_b32_e32 v3, v21, v3, vcc
	v_cndmask_b32_e32 v2, v20, v2, vcc
	v_mov_b32_e32 v9, v5
	v_subrev_co_u32_e32 v20, vcc, s7, v8
	v_mov_b32_e32 v21, v5
	global_load_dword v0, v[0:1], off
	v_lshl_add_u64 v[20:21], v[20:21], 2, s[2:3]
	global_load_dword v1, v[2:3], off
	v_lshl_add_u64 v[2:3], v[8:9], 2, s[0:1]
	v_cndmask_b32_e32 v3, v21, v3, vcc
	v_cndmask_b32_e32 v2, v20, v2, vcc
	global_load_dword v2, v[2:3], off
	s_add_i32 s12, s17, s7
	v_mov_b32_e32 v3, v5
	v_add_u32_e32 v12, v8, v13
	s_mov_b64 s[4:5], -1
	v_mov_b32_e32 v9, s12
	s_cbranch_execz .LBB1998_14
	s_branch .LBB1998_19
.LBB1998_13:
	s_mov_b64 s[4:5], 0
                                        ; implicit-def: $vgpr12
                                        ; implicit-def: $vgpr0_vgpr1_vgpr2_vgpr3
                                        ; implicit-def: $vgpr9
.LBB1998_14:
	s_add_i32 s8, s17, s7
	s_waitcnt vmcnt(2)
	v_mov_b32_e32 v0, 0
	v_cmp_gt_u32_e32 vcc, s8, v4
	s_waitcnt vmcnt(1)
	v_mov_b32_e32 v1, v0
	s_waitcnt vmcnt(0)
	v_mov_b32_e32 v2, v0
	v_mov_b32_e32 v3, v0
	s_and_saveexec_b64 s[4:5], vcc
	s_cbranch_execnz .LBB1998_49
; %bb.15:
	s_or_b64 exec, exec, s[4:5]
	v_cmp_gt_u32_e32 vcc, s8, v10
	s_and_saveexec_b64 s[4:5], vcc
	s_cbranch_execnz .LBB1998_50
.LBB1998_16:
	s_or_b64 exec, exec, s[4:5]
	v_cmp_gt_u32_e32 vcc, s8, v8
	s_and_saveexec_b64 s[4:5], vcc
	s_cbranch_execz .LBB1998_18
.LBB1998_17:
	v_mov_b32_e32 v9, 0
	v_subrev_co_u32_e32 v20, vcc, s7, v8
	v_mov_b32_e32 v21, v9
	v_lshl_add_u64 v[10:11], v[8:9], 2, s[0:1]
	v_lshl_add_u64 v[20:21], v[20:21], 2, s[2:3]
	v_cndmask_b32_e32 v11, v21, v11, vcc
	v_cndmask_b32_e32 v10, v20, v10, vcc
	global_load_dword v2, v[10:11], off
.LBB1998_18:
	s_or_b64 exec, exec, s[4:5]
	v_add_u32_e32 v12, v8, v13
	v_cmp_gt_u32_e64 s[4:5], s8, v12
	v_mov_b32_e32 v9, s8
.LBB1998_19:
	s_and_saveexec_b64 s[8:9], s[4:5]
	s_cbranch_execz .LBB1998_21
; %bb.20:
	v_mov_b32_e32 v11, 0
	v_mov_b32_e32 v13, v11
	v_subrev_co_u32_e32 v10, vcc, s7, v12
	v_lshl_add_u64 v[20:21], v[12:13], 2, s[0:1]
	v_lshl_add_u64 v[10:11], v[10:11], 2, s[2:3]
	v_cndmask_b32_e32 v11, v11, v21, vcc
	v_cndmask_b32_e32 v10, v10, v20, vcc
	global_load_dword v3, v[10:11], off
.LBB1998_21:
	s_or_b64 exec, exec, s[8:9]
	s_waitcnt lgkmcnt(0)
	s_barrier
	ds_read_u8 v8, v14 offset:4224
	v_lshlrev_b32_e32 v7, 2, v4
	v_min_u32_e32 v10, v9, v7
	v_min_u32_e32 v11, s7, v10
	s_waitcnt lgkmcnt(0)
	v_and_b32_e32 v8, 1, v8
	v_cmp_eq_u32_e32 vcc, 1, v8
	ds_write_b8 v14, v8 offset:4480
	v_sub_u32_e64 v8, v10, s17 clamp
	v_cmp_lt_u32_e64 s[0:1], v8, v11
	s_and_saveexec_b64 s[2:3], s[0:1]
	s_cbranch_execz .LBB1998_25
; %bb.22:
	ds_read_u8 v12, v14 offset:4480
	v_add_u32_e32 v13, s7, v10
	s_mov_b64 s[4:5], 0
.LBB1998_23:                            ; =>This Inner Loop Header: Depth=1
	v_add_u32_e32 v19, v11, v8
	v_lshrrev_b32_e32 v19, 1, v19
	v_xad_u32 v20, v19, -1, v13
	ds_read_u8 v21, v19
	ds_read_u8 v20, v20
	v_add_u32_e32 v22, 1, v19
	s_waitcnt lgkmcnt(1)
	v_bitop3_b16 v21, v21, 1, v12 bitop3:0x80
	s_waitcnt lgkmcnt(0)
	v_bitop3_b16 v20, v20, 1, v12 bitop3:0x80
	v_cmp_gt_u16_e64 s[0:1], v21, v20
	s_nop 1
	v_cndmask_b32_e64 v11, v11, v19, s[0:1]
	v_cndmask_b32_e64 v8, v22, v8, s[0:1]
	v_cmp_ge_u32_e64 s[0:1], v8, v11
	s_or_b64 s[4:5], s[0:1], s[4:5]
	s_andn2_b64 exec, exec, s[4:5]
	s_cbranch_execnz .LBB1998_23
; %bb.24:
	s_or_b64 exec, exec, s[4:5]
.LBB1998_25:
	s_or_b64 exec, exec, s[2:3]
	v_cndmask_b32_e64 v11, 0, 1, vcc
	ds_write_b8 v14, v11 offset:4992
	ds_read_u8 v11, v14 offset:4992
	v_sub_u32_e32 v10, v10, v8
	v_add_u32_e32 v13, s7, v10
	v_cmp_ge_u32_e32 vcc, s7, v8
	v_cmp_le_u32_e64 s[0:1], v13, v9
	s_waitcnt lgkmcnt(0)
	v_and_b32_e32 v10, 1, v11
	ds_write_b8 v14, v10 offset:4736
	s_or_b64 s[0:1], vcc, s[0:1]
	v_mov_b32_e32 v11, 0
	v_mov_b32_e32 v19, 0
	;; [unrolled: 1-line block ×4, first 2 shown]
	s_and_saveexec_b64 s[8:9], s[0:1]
	s_cbranch_execz .LBB1998_31
; %bb.26:
	v_cmp_le_u32_e32 vcc, s7, v8
	v_cmp_gt_u32_e64 s[0:1], s7, v8
                                        ; implicit-def: $vgpr11
	s_and_saveexec_b64 s[2:3], s[0:1]
; %bb.27:
	ds_read_u8 v11, v8
; %bb.28:
	s_or_b64 exec, exec, s[2:3]
	v_cmp_ge_u32_e64 s[0:1], v13, v9
	v_cmp_lt_u32_e64 s[2:3], v13, v9
                                        ; implicit-def: $vgpr15
	s_and_saveexec_b64 s[4:5], s[2:3]
; %bb.29:
	ds_read_u8 v15, v13
; %bb.30:
	s_or_b64 exec, exec, s[4:5]
	ds_read_u8 v14, v14 offset:4736
	v_cndmask_b32_e64 v10, 0, 1, s[0:1]
	s_or_b64 vcc, vcc, s[0:1]
	s_waitcnt lgkmcnt(0)
	v_bitop3_b16 v12, v14, 1, v15 bitop3:0x80
	v_bitop3_b16 v16, v14, 1, v11 bitop3:0x80
	v_cmp_le_u16_e64 s[2:3], v16, v12
	v_mov_b32_e32 v16, s7
	s_nop 0
	v_cndmask_b32_e64 v12, 0, 1, s[2:3]
	v_cndmask_b32_e32 v10, v12, v10, vcc
	v_and_b32_e32 v10, 1, v10
	v_cmp_eq_u32_e32 vcc, 1, v10
	s_nop 1
	v_cndmask_b32_e32 v10, v13, v8, vcc
	v_cndmask_b32_e32 v12, v9, v16, vcc
	v_add_u32_e32 v17, 1, v10
	v_add_u32_e32 v12, -1, v12
	v_min_u32_e32 v12, v17, v12
	ds_read_u8 v12, v12
	v_cndmask_b32_e32 v13, v17, v13, vcc
	v_cndmask_b32_e32 v8, v8, v17, vcc
	v_cmp_gt_u32_e64 s[2:3], s7, v8
	v_cmp_ge_u32_e64 s[0:1], v13, v9
	s_waitcnt lgkmcnt(0)
	v_cndmask_b32_e32 v18, v12, v15, vcc
	v_cndmask_b32_e32 v20, v11, v12, vcc
	v_and_b32_e32 v12, v18, v14
	v_and_b32_e32 v17, v20, v14
	v_cmp_le_u16_sdwa s[4:5], v17, v12 src0_sel:BYTE_0 src1_sel:BYTE_0
	s_and_b64 s[2:3], s[2:3], s[4:5]
	s_or_b64 s[0:1], s[0:1], s[2:3]
	v_cndmask_b32_e64 v12, v13, v8, s[0:1]
	v_cndmask_b32_e64 v17, v9, v16, s[0:1]
	v_add_u32_e32 v19, 1, v12
	v_add_u32_e32 v17, -1, v17
	v_min_u32_e32 v17, v19, v17
	ds_read_u8 v17, v17
	v_cndmask_b32_e64 v13, v19, v13, s[0:1]
	v_cndmask_b32_e64 v8, v8, v19, s[0:1]
	v_cmp_gt_u32_e64 s[4:5], s7, v8
	v_cmp_ge_u32_e64 s[2:3], v13, v9
	s_waitcnt lgkmcnt(0)
	v_cndmask_b32_e64 v21, v17, v18, s[0:1]
	v_cndmask_b32_e64 v22, v20, v17, s[0:1]
	v_and_b32_e32 v17, v21, v14
	v_and_b32_e32 v19, v22, v14
	v_cmp_le_u16_sdwa s[12:13], v19, v17 src0_sel:BYTE_0 src1_sel:BYTE_0
	s_and_b64 s[4:5], s[4:5], s[12:13]
	s_or_b64 s[2:3], s[2:3], s[4:5]
	v_cndmask_b32_e64 v19, v13, v8, s[2:3]
	v_cndmask_b32_e64 v16, v9, v16, s[2:3]
	v_add_u32_e32 v23, 1, v19
	v_add_u32_e32 v16, -1, v16
	v_min_u32_e32 v16, v23, v16
	ds_read_u8 v24, v16
	v_cndmask_b32_e32 v15, v15, v11, vcc
	v_cndmask_b32_e64 v17, v18, v20, s[0:1]
	v_cndmask_b32_e64 v11, v23, v13, s[2:3]
	;; [unrolled: 1-line block ×3, first 2 shown]
	s_waitcnt lgkmcnt(0)
	v_cndmask_b32_e64 v18, v24, v21, s[2:3]
	v_cndmask_b32_e64 v20, v22, v24, s[2:3]
	v_cmp_ge_u32_e32 vcc, v11, v9
	v_and_b32_e32 v9, v18, v14
	v_and_b32_e32 v13, v20, v14
	v_cndmask_b32_e64 v16, v21, v22, s[2:3]
	v_cmp_gt_u32_e64 s[0:1], s7, v8
	v_cmp_le_u16_sdwa s[2:3], v13, v9 src0_sel:BYTE_0 src1_sel:BYTE_0
	s_and_b64 s[0:1], s[0:1], s[2:3]
	s_or_b64 vcc, vcc, s[0:1]
	v_cndmask_b32_e32 v11, v11, v8, vcc
	v_cndmask_b32_e32 v18, v18, v20, vcc
.LBB1998_31:
	s_or_b64 exec, exec, s[8:9]
	v_mad_u32_u24 v8, v4, 3, v4
	s_waitcnt lgkmcnt(0)
	s_barrier
	s_waitcnt vmcnt(0)
	ds_write2st64_b32 v8, v0, v1 offset1:4
	ds_write2st64_b32 v8, v2, v3 offset0:8 offset1:12
	v_lshlrev_b32_e32 v0, 2, v10
	v_lshlrev_b32_e32 v10, 2, v11
	s_waitcnt lgkmcnt(0)
	s_barrier
	v_lshlrev_b32_e32 v1, 2, v12
	v_lshlrev_b32_e32 v2, 2, v19
	ds_read_b32 v3, v0
	ds_read_b32 v8, v1
	;; [unrolled: 1-line block ×4, first 2 shown]
	v_lshrrev_b32_e32 v11, 3, v4
	v_and_b32_e32 v0, 0x7c, v11
	s_mov_b32 s2, 0xc0c0004
	v_add_u32_e32 v2, v0, v7
	v_perm_b32 v0, v15, v17, s2
	v_perm_b32 v1, v16, v18, s2
	v_add_u32_e32 v17, 0x100, v4
	v_add_u32_e32 v16, 0x200, v4
	;; [unrolled: 1-line block ×3, first 2 shown]
	s_add_u32 s0, s10, s6
	v_lshrrev_b32_e32 v12, 5, v17
	v_lshrrev_b32_e32 v13, 5, v16
	;; [unrolled: 1-line block ×3, first 2 shown]
	s_addc_u32 s1, s11, 0
	v_lshl_or_b32 v0, v1, 16, v0
	v_lshrrev_b32_e32 v22, 5, v4
	v_and_b32_e32 v19, 60, v12
	v_and_b32_e32 v20, 60, v13
	;; [unrolled: 1-line block ×3, first 2 shown]
	s_waitcnt lgkmcnt(0)
	s_barrier
	s_barrier
	s_mov_b32 s7, 0
	ds_write_b32 v2, v0
	v_and_b32_e32 v18, 28, v22
	v_lshl_add_u64 v[0:1], s[0:1], 0, v[4:5]
	s_and_b64 vcc, exec, s[18:19]
	v_add_u32_e32 v19, v19, v4
	v_add_u32_e32 v20, v20, v4
	;; [unrolled: 1-line block ×3, first 2 shown]
	v_lshlrev_b32_e32 v5, 2, v7
	s_waitcnt lgkmcnt(0)
	s_cbranch_vccz .LBB1998_33
; %bb.32:
	v_add_u32_e32 v23, v18, v4
	s_barrier
	ds_read_u8 v23, v23
	ds_read_u8 v24, v19 offset:256
	ds_read_u8 v25, v20 offset:512
	;; [unrolled: 1-line block ×3, first 2 shown]
	v_lshl_add_u32 v22, v22, 2, v7
	s_lshl_b64 s[0:1], s[6:7], 2
	s_waitcnt lgkmcnt(3)
	global_store_byte v[0:1], v23, off
	s_waitcnt lgkmcnt(2)
	global_store_byte v[0:1], v24, off offset:256
	s_waitcnt lgkmcnt(1)
	global_store_byte v[0:1], v25, off offset:512
	;; [unrolled: 2-line block ×3, first 2 shown]
	v_lshl_add_u32 v23, v11, 2, v5
	s_barrier
	ds_write2_b32 v23, v3, v8 offset1:1
	ds_write2_b32 v23, v9, v10 offset0:2 offset1:3
	v_lshl_add_u32 v23, v12, 2, v7
	v_lshl_add_u32 v24, v13, 2, v7
	s_waitcnt lgkmcnt(0)
	s_barrier
	ds_read_b32 v25, v22
	ds_read_b32 v23, v23 offset:1024
	ds_read_b32 v24, v24 offset:2048
	v_lshl_add_u32 v22, v14, 2, v7
	ds_read_b32 v22, v22 offset:3072
	s_add_u32 s0, s14, s0
	s_addc_u32 s1, s15, s1
	s_waitcnt lgkmcnt(3)
	global_store_dword v6, v25, s[0:1]
	s_waitcnt lgkmcnt(2)
	global_store_dword v6, v23, s[0:1] offset:1024
	s_waitcnt lgkmcnt(1)
	global_store_dword v6, v24, s[0:1] offset:2048
	s_mov_b64 s[4:5], -1
	s_cbranch_execz .LBB1998_34
	s_branch .LBB1998_44
.LBB1998_33:
	s_mov_b64 s[4:5], 0
                                        ; implicit-def: $vgpr22
.LBB1998_34:
	s_barrier
	s_waitcnt lgkmcnt(0)
	ds_read_u8 v22, v19 offset:256
	ds_read_u8 v20, v20 offset:512
	;; [unrolled: 1-line block ×3, first 2 shown]
	s_sub_i32 s8, s16, s6
	v_cmp_gt_u32_e32 vcc, s8, v4
	s_and_saveexec_b64 s[0:1], vcc
	s_cbranch_execnz .LBB1998_51
; %bb.35:
	s_or_b64 exec, exec, s[0:1]
	v_cmp_gt_u32_e64 s[0:1], s8, v17
	s_and_saveexec_b64 s[2:3], s[0:1]
	s_cbranch_execnz .LBB1998_52
.LBB1998_36:
	s_or_b64 exec, exec, s[2:3]
	v_cmp_gt_u32_e64 s[2:3], s8, v16
	s_and_saveexec_b64 s[4:5], s[2:3]
	s_cbranch_execnz .LBB1998_53
.LBB1998_37:
	s_or_b64 exec, exec, s[4:5]
	v_cmp_gt_u32_e64 s[4:5], s8, v15
	s_and_saveexec_b64 s[8:9], s[4:5]
	s_cbranch_execz .LBB1998_39
.LBB1998_38:
	s_waitcnt lgkmcnt(0)
	global_store_byte v[0:1], v19, off offset:768
.LBB1998_39:
	s_or_b64 exec, exec, s[8:9]
	v_lshl_add_u32 v0, v11, 2, v5
	s_waitcnt lgkmcnt(0)
	s_barrier
	ds_write2_b32 v0, v3, v8 offset1:1
	ds_write2_b32 v0, v9, v10 offset0:2 offset1:3
	v_lshl_add_u32 v0, v12, 2, v7
	s_waitcnt lgkmcnt(0)
	s_barrier
	v_lshl_add_u32 v1, v13, 2, v7
	v_lshl_add_u32 v5, v14, 2, v7
	ds_read_b32 v4, v0 offset:1024
	ds_read_b32 v3, v1 offset:2048
	;; [unrolled: 1-line block ×3, first 2 shown]
	s_lshl_b64 s[8:9], s[6:7], 2
	s_add_u32 s8, s14, s8
	s_addc_u32 s9, s15, s9
	v_mov_b32_e32 v7, 0
	v_lshl_add_u64 v[0:1], s[8:9], 0, v[6:7]
	s_and_saveexec_b64 s[8:9], vcc
	s_cbranch_execnz .LBB1998_54
; %bb.40:
	s_or_b64 exec, exec, s[8:9]
	s_and_saveexec_b64 s[8:9], s[0:1]
	s_cbranch_execnz .LBB1998_55
.LBB1998_41:
	s_or_b64 exec, exec, s[8:9]
	s_and_saveexec_b64 s[0:1], s[2:3]
	s_cbranch_execz .LBB1998_43
.LBB1998_42:
	s_waitcnt lgkmcnt(1)
	global_store_dword v[0:1], v3, off offset:2048
.LBB1998_43:
	s_or_b64 exec, exec, s[0:1]
.LBB1998_44:
	s_and_saveexec_b64 s[0:1], s[4:5]
	s_cbranch_execz .LBB1998_46
; %bb.45:
	s_lshl_b64 s[0:1], s[6:7], 2
	s_add_u32 s0, s14, s0
	s_addc_u32 s1, s15, s1
	s_waitcnt lgkmcnt(0)
	global_store_dword v6, v22, s[0:1] offset:3072
.LBB1998_46:
	s_endpgm
.LBB1998_47:
	v_mov_b32_e32 v5, 0
	v_subrev_co_u32_e32 v2, vcc, s7, v4
	v_mov_b32_e32 v3, v5
	v_lshl_add_u64 v[0:1], s[20:21], 0, v[4:5]
	v_lshl_add_u64 v[2:3], s[8:9], 0, v[2:3]
	v_cndmask_b32_e32 v1, v3, v1, vcc
	v_cndmask_b32_e32 v0, v2, v0, vcc
	global_load_ubyte v15, v[0:1], off
	s_or_b64 exec, exec, s[4:5]
	v_cmp_gt_u32_e32 vcc, s22, v10
	s_and_saveexec_b64 s[4:5], vcc
	s_cbranch_execz .LBB1998_6
.LBB1998_48:
	v_mov_b32_e32 v11, 0
	v_subrev_co_u32_e32 v2, vcc, s7, v10
	v_mov_b32_e32 v3, v11
	v_lshl_add_u64 v[0:1], s[20:21], 0, v[10:11]
	v_lshl_add_u64 v[2:3], s[8:9], 0, v[2:3]
	v_cndmask_b32_e32 v1, v3, v1, vcc
	v_cndmask_b32_e32 v0, v2, v0, vcc
	global_load_ubyte v0, v[0:1], off
	s_waitcnt vmcnt(0)
	v_lshlrev_b16_e32 v0, 8, v0
	v_or_b32_e32 v0, v15, v0
	v_and_b32_e32 v15, 0xffff, v0
	s_or_b64 exec, exec, s[4:5]
	v_cmp_gt_u32_e32 vcc, s22, v8
	s_and_saveexec_b64 s[4:5], vcc
	s_cbranch_execnz .LBB1998_7
	s_branch .LBB1998_8
.LBB1998_49:
	v_mov_b32_e32 v7, v0
	v_subrev_co_u32_e32 v20, vcc, s7, v4
	v_mov_b32_e32 v21, v0
	v_lshl_add_u64 v[2:3], s[0:1], 0, v[6:7]
	v_lshl_add_u64 v[20:21], v[20:21], 2, s[2:3]
	v_cndmask_b32_e32 v3, v21, v3, vcc
	v_cndmask_b32_e32 v2, v20, v2, vcc
	global_load_dword v20, v[2:3], off
	v_mov_b32_e32 v21, v0
	v_mov_b32_e32 v22, v0
	;; [unrolled: 1-line block ×3, first 2 shown]
	s_waitcnt vmcnt(0)
	v_mov_b64_e32 v[0:1], v[20:21]
	v_mov_b64_e32 v[2:3], v[22:23]
	s_or_b64 exec, exec, s[4:5]
	v_cmp_gt_u32_e32 vcc, s8, v10
	s_and_saveexec_b64 s[4:5], vcc
	s_cbranch_execz .LBB1998_16
.LBB1998_50:
	v_mov_b32_e32 v11, 0
	v_lshl_add_u64 v[20:21], v[10:11], 2, s[0:1]
	v_subrev_co_u32_e32 v10, vcc, s7, v10
	v_lshl_add_u64 v[10:11], v[10:11], 2, s[2:3]
	s_nop 0
	v_cndmask_b32_e32 v11, v11, v21, vcc
	v_cndmask_b32_e32 v10, v10, v20, vcc
	global_load_dword v1, v[10:11], off
	s_or_b64 exec, exec, s[4:5]
	v_cmp_gt_u32_e32 vcc, s8, v8
	s_and_saveexec_b64 s[4:5], vcc
	s_cbranch_execnz .LBB1998_17
	s_branch .LBB1998_18
.LBB1998_51:
	v_add_u32_e32 v4, v18, v4
	ds_read_u8 v4, v4
	s_waitcnt lgkmcnt(0)
	global_store_byte v[0:1], v4, off
	s_or_b64 exec, exec, s[0:1]
	v_cmp_gt_u32_e64 s[0:1], s8, v17
	s_and_saveexec_b64 s[2:3], s[0:1]
	s_cbranch_execz .LBB1998_36
.LBB1998_52:
	s_waitcnt lgkmcnt(2)
	global_store_byte v[0:1], v22, off offset:256
	s_or_b64 exec, exec, s[2:3]
	v_cmp_gt_u32_e64 s[2:3], s8, v16
	s_and_saveexec_b64 s[4:5], s[2:3]
	s_cbranch_execz .LBB1998_37
.LBB1998_53:
	s_waitcnt lgkmcnt(1)
	global_store_byte v[0:1], v20, off offset:512
	s_or_b64 exec, exec, s[4:5]
	v_cmp_gt_u32_e64 s[4:5], s8, v15
	s_and_saveexec_b64 s[8:9], s[4:5]
	s_cbranch_execnz .LBB1998_38
	s_branch .LBB1998_39
.LBB1998_54:
	ds_read_b32 v2, v2
	s_waitcnt lgkmcnt(0)
	global_store_dword v[0:1], v2, off
	s_or_b64 exec, exec, s[8:9]
	s_and_saveexec_b64 s[8:9], s[0:1]
	s_cbranch_execz .LBB1998_41
.LBB1998_55:
	s_waitcnt lgkmcnt(2)
	global_store_dword v[0:1], v4, off offset:1024
	s_or_b64 exec, exec, s[8:9]
	s_and_saveexec_b64 s[0:1], s[2:3]
	s_cbranch_execnz .LBB1998_42
	s_branch .LBB1998_43
	.section	.rodata,"a",@progbits
	.p2align	6, 0x0
	.amdhsa_kernel _ZN7rocprim17ROCPRIM_400000_NS6detail17trampoline_kernelINS0_14default_configENS1_38merge_sort_block_merge_config_selectorIbiEEZZNS1_27merge_sort_block_merge_implIS3_N6thrust23THRUST_200600_302600_NS6detail15normal_iteratorINS8_10device_ptrIbEEEENSA_INSB_IiEEEEjNS1_19radix_merge_compareILb0ELb1EbNS0_19identity_decomposerEEEEE10hipError_tT0_T1_T2_jT3_P12ihipStream_tbPNSt15iterator_traitsISK_E10value_typeEPNSQ_ISL_E10value_typeEPSM_NS1_7vsmem_tEENKUlT_SK_SL_SM_E_clISD_PbSF_PiEESJ_SZ_SK_SL_SM_EUlSZ_E0_NS1_11comp_targetILNS1_3genE0ELNS1_11target_archE4294967295ELNS1_3gpuE0ELNS1_3repE0EEENS1_38merge_mergepath_config_static_selectorELNS0_4arch9wavefront6targetE1EEEvSL_
		.amdhsa_group_segment_fixed_size 5248
		.amdhsa_private_segment_fixed_size 0
		.amdhsa_kernarg_size 320
		.amdhsa_user_sgpr_count 4
		.amdhsa_user_sgpr_dispatch_ptr 1
		.amdhsa_user_sgpr_queue_ptr 0
		.amdhsa_user_sgpr_kernarg_segment_ptr 1
		.amdhsa_user_sgpr_dispatch_id 0
		.amdhsa_user_sgpr_kernarg_preload_length 0
		.amdhsa_user_sgpr_kernarg_preload_offset 0
		.amdhsa_user_sgpr_private_segment_size 0
		.amdhsa_uses_dynamic_stack 0
		.amdhsa_enable_private_segment 0
		.amdhsa_system_sgpr_workgroup_id_x 1
		.amdhsa_system_sgpr_workgroup_id_y 1
		.amdhsa_system_sgpr_workgroup_id_z 1
		.amdhsa_system_sgpr_workgroup_info 0
		.amdhsa_system_vgpr_workitem_id 2
		.amdhsa_next_free_vgpr 27
		.amdhsa_next_free_sgpr 28
		.amdhsa_accum_offset 28
		.amdhsa_reserve_vcc 1
		.amdhsa_float_round_mode_32 0
		.amdhsa_float_round_mode_16_64 0
		.amdhsa_float_denorm_mode_32 3
		.amdhsa_float_denorm_mode_16_64 3
		.amdhsa_dx10_clamp 1
		.amdhsa_ieee_mode 1
		.amdhsa_fp16_overflow 0
		.amdhsa_tg_split 0
		.amdhsa_exception_fp_ieee_invalid_op 0
		.amdhsa_exception_fp_denorm_src 0
		.amdhsa_exception_fp_ieee_div_zero 0
		.amdhsa_exception_fp_ieee_overflow 0
		.amdhsa_exception_fp_ieee_underflow 0
		.amdhsa_exception_fp_ieee_inexact 0
		.amdhsa_exception_int_div_zero 0
	.end_amdhsa_kernel
	.section	.text._ZN7rocprim17ROCPRIM_400000_NS6detail17trampoline_kernelINS0_14default_configENS1_38merge_sort_block_merge_config_selectorIbiEEZZNS1_27merge_sort_block_merge_implIS3_N6thrust23THRUST_200600_302600_NS6detail15normal_iteratorINS8_10device_ptrIbEEEENSA_INSB_IiEEEEjNS1_19radix_merge_compareILb0ELb1EbNS0_19identity_decomposerEEEEE10hipError_tT0_T1_T2_jT3_P12ihipStream_tbPNSt15iterator_traitsISK_E10value_typeEPNSQ_ISL_E10value_typeEPSM_NS1_7vsmem_tEENKUlT_SK_SL_SM_E_clISD_PbSF_PiEESJ_SZ_SK_SL_SM_EUlSZ_E0_NS1_11comp_targetILNS1_3genE0ELNS1_11target_archE4294967295ELNS1_3gpuE0ELNS1_3repE0EEENS1_38merge_mergepath_config_static_selectorELNS0_4arch9wavefront6targetE1EEEvSL_,"axG",@progbits,_ZN7rocprim17ROCPRIM_400000_NS6detail17trampoline_kernelINS0_14default_configENS1_38merge_sort_block_merge_config_selectorIbiEEZZNS1_27merge_sort_block_merge_implIS3_N6thrust23THRUST_200600_302600_NS6detail15normal_iteratorINS8_10device_ptrIbEEEENSA_INSB_IiEEEEjNS1_19radix_merge_compareILb0ELb1EbNS0_19identity_decomposerEEEEE10hipError_tT0_T1_T2_jT3_P12ihipStream_tbPNSt15iterator_traitsISK_E10value_typeEPNSQ_ISL_E10value_typeEPSM_NS1_7vsmem_tEENKUlT_SK_SL_SM_E_clISD_PbSF_PiEESJ_SZ_SK_SL_SM_EUlSZ_E0_NS1_11comp_targetILNS1_3genE0ELNS1_11target_archE4294967295ELNS1_3gpuE0ELNS1_3repE0EEENS1_38merge_mergepath_config_static_selectorELNS0_4arch9wavefront6targetE1EEEvSL_,comdat
.Lfunc_end1998:
	.size	_ZN7rocprim17ROCPRIM_400000_NS6detail17trampoline_kernelINS0_14default_configENS1_38merge_sort_block_merge_config_selectorIbiEEZZNS1_27merge_sort_block_merge_implIS3_N6thrust23THRUST_200600_302600_NS6detail15normal_iteratorINS8_10device_ptrIbEEEENSA_INSB_IiEEEEjNS1_19radix_merge_compareILb0ELb1EbNS0_19identity_decomposerEEEEE10hipError_tT0_T1_T2_jT3_P12ihipStream_tbPNSt15iterator_traitsISK_E10value_typeEPNSQ_ISL_E10value_typeEPSM_NS1_7vsmem_tEENKUlT_SK_SL_SM_E_clISD_PbSF_PiEESJ_SZ_SK_SL_SM_EUlSZ_E0_NS1_11comp_targetILNS1_3genE0ELNS1_11target_archE4294967295ELNS1_3gpuE0ELNS1_3repE0EEENS1_38merge_mergepath_config_static_selectorELNS0_4arch9wavefront6targetE1EEEvSL_, .Lfunc_end1998-_ZN7rocprim17ROCPRIM_400000_NS6detail17trampoline_kernelINS0_14default_configENS1_38merge_sort_block_merge_config_selectorIbiEEZZNS1_27merge_sort_block_merge_implIS3_N6thrust23THRUST_200600_302600_NS6detail15normal_iteratorINS8_10device_ptrIbEEEENSA_INSB_IiEEEEjNS1_19radix_merge_compareILb0ELb1EbNS0_19identity_decomposerEEEEE10hipError_tT0_T1_T2_jT3_P12ihipStream_tbPNSt15iterator_traitsISK_E10value_typeEPNSQ_ISL_E10value_typeEPSM_NS1_7vsmem_tEENKUlT_SK_SL_SM_E_clISD_PbSF_PiEESJ_SZ_SK_SL_SM_EUlSZ_E0_NS1_11comp_targetILNS1_3genE0ELNS1_11target_archE4294967295ELNS1_3gpuE0ELNS1_3repE0EEENS1_38merge_mergepath_config_static_selectorELNS0_4arch9wavefront6targetE1EEEvSL_
                                        ; -- End function
	.set _ZN7rocprim17ROCPRIM_400000_NS6detail17trampoline_kernelINS0_14default_configENS1_38merge_sort_block_merge_config_selectorIbiEEZZNS1_27merge_sort_block_merge_implIS3_N6thrust23THRUST_200600_302600_NS6detail15normal_iteratorINS8_10device_ptrIbEEEENSA_INSB_IiEEEEjNS1_19radix_merge_compareILb0ELb1EbNS0_19identity_decomposerEEEEE10hipError_tT0_T1_T2_jT3_P12ihipStream_tbPNSt15iterator_traitsISK_E10value_typeEPNSQ_ISL_E10value_typeEPSM_NS1_7vsmem_tEENKUlT_SK_SL_SM_E_clISD_PbSF_PiEESJ_SZ_SK_SL_SM_EUlSZ_E0_NS1_11comp_targetILNS1_3genE0ELNS1_11target_archE4294967295ELNS1_3gpuE0ELNS1_3repE0EEENS1_38merge_mergepath_config_static_selectorELNS0_4arch9wavefront6targetE1EEEvSL_.num_vgpr, 27
	.set _ZN7rocprim17ROCPRIM_400000_NS6detail17trampoline_kernelINS0_14default_configENS1_38merge_sort_block_merge_config_selectorIbiEEZZNS1_27merge_sort_block_merge_implIS3_N6thrust23THRUST_200600_302600_NS6detail15normal_iteratorINS8_10device_ptrIbEEEENSA_INSB_IiEEEEjNS1_19radix_merge_compareILb0ELb1EbNS0_19identity_decomposerEEEEE10hipError_tT0_T1_T2_jT3_P12ihipStream_tbPNSt15iterator_traitsISK_E10value_typeEPNSQ_ISL_E10value_typeEPSM_NS1_7vsmem_tEENKUlT_SK_SL_SM_E_clISD_PbSF_PiEESJ_SZ_SK_SL_SM_EUlSZ_E0_NS1_11comp_targetILNS1_3genE0ELNS1_11target_archE4294967295ELNS1_3gpuE0ELNS1_3repE0EEENS1_38merge_mergepath_config_static_selectorELNS0_4arch9wavefront6targetE1EEEvSL_.num_agpr, 0
	.set _ZN7rocprim17ROCPRIM_400000_NS6detail17trampoline_kernelINS0_14default_configENS1_38merge_sort_block_merge_config_selectorIbiEEZZNS1_27merge_sort_block_merge_implIS3_N6thrust23THRUST_200600_302600_NS6detail15normal_iteratorINS8_10device_ptrIbEEEENSA_INSB_IiEEEEjNS1_19radix_merge_compareILb0ELb1EbNS0_19identity_decomposerEEEEE10hipError_tT0_T1_T2_jT3_P12ihipStream_tbPNSt15iterator_traitsISK_E10value_typeEPNSQ_ISL_E10value_typeEPSM_NS1_7vsmem_tEENKUlT_SK_SL_SM_E_clISD_PbSF_PiEESJ_SZ_SK_SL_SM_EUlSZ_E0_NS1_11comp_targetILNS1_3genE0ELNS1_11target_archE4294967295ELNS1_3gpuE0ELNS1_3repE0EEENS1_38merge_mergepath_config_static_selectorELNS0_4arch9wavefront6targetE1EEEvSL_.numbered_sgpr, 28
	.set _ZN7rocprim17ROCPRIM_400000_NS6detail17trampoline_kernelINS0_14default_configENS1_38merge_sort_block_merge_config_selectorIbiEEZZNS1_27merge_sort_block_merge_implIS3_N6thrust23THRUST_200600_302600_NS6detail15normal_iteratorINS8_10device_ptrIbEEEENSA_INSB_IiEEEEjNS1_19radix_merge_compareILb0ELb1EbNS0_19identity_decomposerEEEEE10hipError_tT0_T1_T2_jT3_P12ihipStream_tbPNSt15iterator_traitsISK_E10value_typeEPNSQ_ISL_E10value_typeEPSM_NS1_7vsmem_tEENKUlT_SK_SL_SM_E_clISD_PbSF_PiEESJ_SZ_SK_SL_SM_EUlSZ_E0_NS1_11comp_targetILNS1_3genE0ELNS1_11target_archE4294967295ELNS1_3gpuE0ELNS1_3repE0EEENS1_38merge_mergepath_config_static_selectorELNS0_4arch9wavefront6targetE1EEEvSL_.num_named_barrier, 0
	.set _ZN7rocprim17ROCPRIM_400000_NS6detail17trampoline_kernelINS0_14default_configENS1_38merge_sort_block_merge_config_selectorIbiEEZZNS1_27merge_sort_block_merge_implIS3_N6thrust23THRUST_200600_302600_NS6detail15normal_iteratorINS8_10device_ptrIbEEEENSA_INSB_IiEEEEjNS1_19radix_merge_compareILb0ELb1EbNS0_19identity_decomposerEEEEE10hipError_tT0_T1_T2_jT3_P12ihipStream_tbPNSt15iterator_traitsISK_E10value_typeEPNSQ_ISL_E10value_typeEPSM_NS1_7vsmem_tEENKUlT_SK_SL_SM_E_clISD_PbSF_PiEESJ_SZ_SK_SL_SM_EUlSZ_E0_NS1_11comp_targetILNS1_3genE0ELNS1_11target_archE4294967295ELNS1_3gpuE0ELNS1_3repE0EEENS1_38merge_mergepath_config_static_selectorELNS0_4arch9wavefront6targetE1EEEvSL_.private_seg_size, 0
	.set _ZN7rocprim17ROCPRIM_400000_NS6detail17trampoline_kernelINS0_14default_configENS1_38merge_sort_block_merge_config_selectorIbiEEZZNS1_27merge_sort_block_merge_implIS3_N6thrust23THRUST_200600_302600_NS6detail15normal_iteratorINS8_10device_ptrIbEEEENSA_INSB_IiEEEEjNS1_19radix_merge_compareILb0ELb1EbNS0_19identity_decomposerEEEEE10hipError_tT0_T1_T2_jT3_P12ihipStream_tbPNSt15iterator_traitsISK_E10value_typeEPNSQ_ISL_E10value_typeEPSM_NS1_7vsmem_tEENKUlT_SK_SL_SM_E_clISD_PbSF_PiEESJ_SZ_SK_SL_SM_EUlSZ_E0_NS1_11comp_targetILNS1_3genE0ELNS1_11target_archE4294967295ELNS1_3gpuE0ELNS1_3repE0EEENS1_38merge_mergepath_config_static_selectorELNS0_4arch9wavefront6targetE1EEEvSL_.uses_vcc, 1
	.set _ZN7rocprim17ROCPRIM_400000_NS6detail17trampoline_kernelINS0_14default_configENS1_38merge_sort_block_merge_config_selectorIbiEEZZNS1_27merge_sort_block_merge_implIS3_N6thrust23THRUST_200600_302600_NS6detail15normal_iteratorINS8_10device_ptrIbEEEENSA_INSB_IiEEEEjNS1_19radix_merge_compareILb0ELb1EbNS0_19identity_decomposerEEEEE10hipError_tT0_T1_T2_jT3_P12ihipStream_tbPNSt15iterator_traitsISK_E10value_typeEPNSQ_ISL_E10value_typeEPSM_NS1_7vsmem_tEENKUlT_SK_SL_SM_E_clISD_PbSF_PiEESJ_SZ_SK_SL_SM_EUlSZ_E0_NS1_11comp_targetILNS1_3genE0ELNS1_11target_archE4294967295ELNS1_3gpuE0ELNS1_3repE0EEENS1_38merge_mergepath_config_static_selectorELNS0_4arch9wavefront6targetE1EEEvSL_.uses_flat_scratch, 0
	.set _ZN7rocprim17ROCPRIM_400000_NS6detail17trampoline_kernelINS0_14default_configENS1_38merge_sort_block_merge_config_selectorIbiEEZZNS1_27merge_sort_block_merge_implIS3_N6thrust23THRUST_200600_302600_NS6detail15normal_iteratorINS8_10device_ptrIbEEEENSA_INSB_IiEEEEjNS1_19radix_merge_compareILb0ELb1EbNS0_19identity_decomposerEEEEE10hipError_tT0_T1_T2_jT3_P12ihipStream_tbPNSt15iterator_traitsISK_E10value_typeEPNSQ_ISL_E10value_typeEPSM_NS1_7vsmem_tEENKUlT_SK_SL_SM_E_clISD_PbSF_PiEESJ_SZ_SK_SL_SM_EUlSZ_E0_NS1_11comp_targetILNS1_3genE0ELNS1_11target_archE4294967295ELNS1_3gpuE0ELNS1_3repE0EEENS1_38merge_mergepath_config_static_selectorELNS0_4arch9wavefront6targetE1EEEvSL_.has_dyn_sized_stack, 0
	.set _ZN7rocprim17ROCPRIM_400000_NS6detail17trampoline_kernelINS0_14default_configENS1_38merge_sort_block_merge_config_selectorIbiEEZZNS1_27merge_sort_block_merge_implIS3_N6thrust23THRUST_200600_302600_NS6detail15normal_iteratorINS8_10device_ptrIbEEEENSA_INSB_IiEEEEjNS1_19radix_merge_compareILb0ELb1EbNS0_19identity_decomposerEEEEE10hipError_tT0_T1_T2_jT3_P12ihipStream_tbPNSt15iterator_traitsISK_E10value_typeEPNSQ_ISL_E10value_typeEPSM_NS1_7vsmem_tEENKUlT_SK_SL_SM_E_clISD_PbSF_PiEESJ_SZ_SK_SL_SM_EUlSZ_E0_NS1_11comp_targetILNS1_3genE0ELNS1_11target_archE4294967295ELNS1_3gpuE0ELNS1_3repE0EEENS1_38merge_mergepath_config_static_selectorELNS0_4arch9wavefront6targetE1EEEvSL_.has_recursion, 0
	.set _ZN7rocprim17ROCPRIM_400000_NS6detail17trampoline_kernelINS0_14default_configENS1_38merge_sort_block_merge_config_selectorIbiEEZZNS1_27merge_sort_block_merge_implIS3_N6thrust23THRUST_200600_302600_NS6detail15normal_iteratorINS8_10device_ptrIbEEEENSA_INSB_IiEEEEjNS1_19radix_merge_compareILb0ELb1EbNS0_19identity_decomposerEEEEE10hipError_tT0_T1_T2_jT3_P12ihipStream_tbPNSt15iterator_traitsISK_E10value_typeEPNSQ_ISL_E10value_typeEPSM_NS1_7vsmem_tEENKUlT_SK_SL_SM_E_clISD_PbSF_PiEESJ_SZ_SK_SL_SM_EUlSZ_E0_NS1_11comp_targetILNS1_3genE0ELNS1_11target_archE4294967295ELNS1_3gpuE0ELNS1_3repE0EEENS1_38merge_mergepath_config_static_selectorELNS0_4arch9wavefront6targetE1EEEvSL_.has_indirect_call, 0
	.section	.AMDGPU.csdata,"",@progbits
; Kernel info:
; codeLenInByte = 3308
; TotalNumSgprs: 34
; NumVgprs: 27
; NumAgprs: 0
; TotalNumVgprs: 27
; ScratchSize: 0
; MemoryBound: 0
; FloatMode: 240
; IeeeMode: 1
; LDSByteSize: 5248 bytes/workgroup (compile time only)
; SGPRBlocks: 4
; VGPRBlocks: 3
; NumSGPRsForWavesPerEU: 34
; NumVGPRsForWavesPerEU: 27
; AccumOffset: 28
; Occupancy: 8
; WaveLimiterHint : 1
; COMPUTE_PGM_RSRC2:SCRATCH_EN: 0
; COMPUTE_PGM_RSRC2:USER_SGPR: 4
; COMPUTE_PGM_RSRC2:TRAP_HANDLER: 0
; COMPUTE_PGM_RSRC2:TGID_X_EN: 1
; COMPUTE_PGM_RSRC2:TGID_Y_EN: 1
; COMPUTE_PGM_RSRC2:TGID_Z_EN: 1
; COMPUTE_PGM_RSRC2:TIDIG_COMP_CNT: 2
; COMPUTE_PGM_RSRC3_GFX90A:ACCUM_OFFSET: 6
; COMPUTE_PGM_RSRC3_GFX90A:TG_SPLIT: 0
	.section	.text._ZN7rocprim17ROCPRIM_400000_NS6detail17trampoline_kernelINS0_14default_configENS1_38merge_sort_block_merge_config_selectorIbiEEZZNS1_27merge_sort_block_merge_implIS3_N6thrust23THRUST_200600_302600_NS6detail15normal_iteratorINS8_10device_ptrIbEEEENSA_INSB_IiEEEEjNS1_19radix_merge_compareILb0ELb1EbNS0_19identity_decomposerEEEEE10hipError_tT0_T1_T2_jT3_P12ihipStream_tbPNSt15iterator_traitsISK_E10value_typeEPNSQ_ISL_E10value_typeEPSM_NS1_7vsmem_tEENKUlT_SK_SL_SM_E_clISD_PbSF_PiEESJ_SZ_SK_SL_SM_EUlSZ_E0_NS1_11comp_targetILNS1_3genE10ELNS1_11target_archE1201ELNS1_3gpuE5ELNS1_3repE0EEENS1_38merge_mergepath_config_static_selectorELNS0_4arch9wavefront6targetE1EEEvSL_,"axG",@progbits,_ZN7rocprim17ROCPRIM_400000_NS6detail17trampoline_kernelINS0_14default_configENS1_38merge_sort_block_merge_config_selectorIbiEEZZNS1_27merge_sort_block_merge_implIS3_N6thrust23THRUST_200600_302600_NS6detail15normal_iteratorINS8_10device_ptrIbEEEENSA_INSB_IiEEEEjNS1_19radix_merge_compareILb0ELb1EbNS0_19identity_decomposerEEEEE10hipError_tT0_T1_T2_jT3_P12ihipStream_tbPNSt15iterator_traitsISK_E10value_typeEPNSQ_ISL_E10value_typeEPSM_NS1_7vsmem_tEENKUlT_SK_SL_SM_E_clISD_PbSF_PiEESJ_SZ_SK_SL_SM_EUlSZ_E0_NS1_11comp_targetILNS1_3genE10ELNS1_11target_archE1201ELNS1_3gpuE5ELNS1_3repE0EEENS1_38merge_mergepath_config_static_selectorELNS0_4arch9wavefront6targetE1EEEvSL_,comdat
	.protected	_ZN7rocprim17ROCPRIM_400000_NS6detail17trampoline_kernelINS0_14default_configENS1_38merge_sort_block_merge_config_selectorIbiEEZZNS1_27merge_sort_block_merge_implIS3_N6thrust23THRUST_200600_302600_NS6detail15normal_iteratorINS8_10device_ptrIbEEEENSA_INSB_IiEEEEjNS1_19radix_merge_compareILb0ELb1EbNS0_19identity_decomposerEEEEE10hipError_tT0_T1_T2_jT3_P12ihipStream_tbPNSt15iterator_traitsISK_E10value_typeEPNSQ_ISL_E10value_typeEPSM_NS1_7vsmem_tEENKUlT_SK_SL_SM_E_clISD_PbSF_PiEESJ_SZ_SK_SL_SM_EUlSZ_E0_NS1_11comp_targetILNS1_3genE10ELNS1_11target_archE1201ELNS1_3gpuE5ELNS1_3repE0EEENS1_38merge_mergepath_config_static_selectorELNS0_4arch9wavefront6targetE1EEEvSL_ ; -- Begin function _ZN7rocprim17ROCPRIM_400000_NS6detail17trampoline_kernelINS0_14default_configENS1_38merge_sort_block_merge_config_selectorIbiEEZZNS1_27merge_sort_block_merge_implIS3_N6thrust23THRUST_200600_302600_NS6detail15normal_iteratorINS8_10device_ptrIbEEEENSA_INSB_IiEEEEjNS1_19radix_merge_compareILb0ELb1EbNS0_19identity_decomposerEEEEE10hipError_tT0_T1_T2_jT3_P12ihipStream_tbPNSt15iterator_traitsISK_E10value_typeEPNSQ_ISL_E10value_typeEPSM_NS1_7vsmem_tEENKUlT_SK_SL_SM_E_clISD_PbSF_PiEESJ_SZ_SK_SL_SM_EUlSZ_E0_NS1_11comp_targetILNS1_3genE10ELNS1_11target_archE1201ELNS1_3gpuE5ELNS1_3repE0EEENS1_38merge_mergepath_config_static_selectorELNS0_4arch9wavefront6targetE1EEEvSL_
	.globl	_ZN7rocprim17ROCPRIM_400000_NS6detail17trampoline_kernelINS0_14default_configENS1_38merge_sort_block_merge_config_selectorIbiEEZZNS1_27merge_sort_block_merge_implIS3_N6thrust23THRUST_200600_302600_NS6detail15normal_iteratorINS8_10device_ptrIbEEEENSA_INSB_IiEEEEjNS1_19radix_merge_compareILb0ELb1EbNS0_19identity_decomposerEEEEE10hipError_tT0_T1_T2_jT3_P12ihipStream_tbPNSt15iterator_traitsISK_E10value_typeEPNSQ_ISL_E10value_typeEPSM_NS1_7vsmem_tEENKUlT_SK_SL_SM_E_clISD_PbSF_PiEESJ_SZ_SK_SL_SM_EUlSZ_E0_NS1_11comp_targetILNS1_3genE10ELNS1_11target_archE1201ELNS1_3gpuE5ELNS1_3repE0EEENS1_38merge_mergepath_config_static_selectorELNS0_4arch9wavefront6targetE1EEEvSL_
	.p2align	8
	.type	_ZN7rocprim17ROCPRIM_400000_NS6detail17trampoline_kernelINS0_14default_configENS1_38merge_sort_block_merge_config_selectorIbiEEZZNS1_27merge_sort_block_merge_implIS3_N6thrust23THRUST_200600_302600_NS6detail15normal_iteratorINS8_10device_ptrIbEEEENSA_INSB_IiEEEEjNS1_19radix_merge_compareILb0ELb1EbNS0_19identity_decomposerEEEEE10hipError_tT0_T1_T2_jT3_P12ihipStream_tbPNSt15iterator_traitsISK_E10value_typeEPNSQ_ISL_E10value_typeEPSM_NS1_7vsmem_tEENKUlT_SK_SL_SM_E_clISD_PbSF_PiEESJ_SZ_SK_SL_SM_EUlSZ_E0_NS1_11comp_targetILNS1_3genE10ELNS1_11target_archE1201ELNS1_3gpuE5ELNS1_3repE0EEENS1_38merge_mergepath_config_static_selectorELNS0_4arch9wavefront6targetE1EEEvSL_,@function
_ZN7rocprim17ROCPRIM_400000_NS6detail17trampoline_kernelINS0_14default_configENS1_38merge_sort_block_merge_config_selectorIbiEEZZNS1_27merge_sort_block_merge_implIS3_N6thrust23THRUST_200600_302600_NS6detail15normal_iteratorINS8_10device_ptrIbEEEENSA_INSB_IiEEEEjNS1_19radix_merge_compareILb0ELb1EbNS0_19identity_decomposerEEEEE10hipError_tT0_T1_T2_jT3_P12ihipStream_tbPNSt15iterator_traitsISK_E10value_typeEPNSQ_ISL_E10value_typeEPSM_NS1_7vsmem_tEENKUlT_SK_SL_SM_E_clISD_PbSF_PiEESJ_SZ_SK_SL_SM_EUlSZ_E0_NS1_11comp_targetILNS1_3genE10ELNS1_11target_archE1201ELNS1_3gpuE5ELNS1_3repE0EEENS1_38merge_mergepath_config_static_selectorELNS0_4arch9wavefront6targetE1EEEvSL_: ; @_ZN7rocprim17ROCPRIM_400000_NS6detail17trampoline_kernelINS0_14default_configENS1_38merge_sort_block_merge_config_selectorIbiEEZZNS1_27merge_sort_block_merge_implIS3_N6thrust23THRUST_200600_302600_NS6detail15normal_iteratorINS8_10device_ptrIbEEEENSA_INSB_IiEEEEjNS1_19radix_merge_compareILb0ELb1EbNS0_19identity_decomposerEEEEE10hipError_tT0_T1_T2_jT3_P12ihipStream_tbPNSt15iterator_traitsISK_E10value_typeEPNSQ_ISL_E10value_typeEPSM_NS1_7vsmem_tEENKUlT_SK_SL_SM_E_clISD_PbSF_PiEESJ_SZ_SK_SL_SM_EUlSZ_E0_NS1_11comp_targetILNS1_3genE10ELNS1_11target_archE1201ELNS1_3gpuE5ELNS1_3repE0EEENS1_38merge_mergepath_config_static_selectorELNS0_4arch9wavefront6targetE1EEEvSL_
; %bb.0:
	.section	.rodata,"a",@progbits
	.p2align	6, 0x0
	.amdhsa_kernel _ZN7rocprim17ROCPRIM_400000_NS6detail17trampoline_kernelINS0_14default_configENS1_38merge_sort_block_merge_config_selectorIbiEEZZNS1_27merge_sort_block_merge_implIS3_N6thrust23THRUST_200600_302600_NS6detail15normal_iteratorINS8_10device_ptrIbEEEENSA_INSB_IiEEEEjNS1_19radix_merge_compareILb0ELb1EbNS0_19identity_decomposerEEEEE10hipError_tT0_T1_T2_jT3_P12ihipStream_tbPNSt15iterator_traitsISK_E10value_typeEPNSQ_ISL_E10value_typeEPSM_NS1_7vsmem_tEENKUlT_SK_SL_SM_E_clISD_PbSF_PiEESJ_SZ_SK_SL_SM_EUlSZ_E0_NS1_11comp_targetILNS1_3genE10ELNS1_11target_archE1201ELNS1_3gpuE5ELNS1_3repE0EEENS1_38merge_mergepath_config_static_selectorELNS0_4arch9wavefront6targetE1EEEvSL_
		.amdhsa_group_segment_fixed_size 0
		.amdhsa_private_segment_fixed_size 0
		.amdhsa_kernarg_size 64
		.amdhsa_user_sgpr_count 2
		.amdhsa_user_sgpr_dispatch_ptr 0
		.amdhsa_user_sgpr_queue_ptr 0
		.amdhsa_user_sgpr_kernarg_segment_ptr 1
		.amdhsa_user_sgpr_dispatch_id 0
		.amdhsa_user_sgpr_kernarg_preload_length 0
		.amdhsa_user_sgpr_kernarg_preload_offset 0
		.amdhsa_user_sgpr_private_segment_size 0
		.amdhsa_uses_dynamic_stack 0
		.amdhsa_enable_private_segment 0
		.amdhsa_system_sgpr_workgroup_id_x 1
		.amdhsa_system_sgpr_workgroup_id_y 0
		.amdhsa_system_sgpr_workgroup_id_z 0
		.amdhsa_system_sgpr_workgroup_info 0
		.amdhsa_system_vgpr_workitem_id 0
		.amdhsa_next_free_vgpr 1
		.amdhsa_next_free_sgpr 0
		.amdhsa_accum_offset 4
		.amdhsa_reserve_vcc 0
		.amdhsa_float_round_mode_32 0
		.amdhsa_float_round_mode_16_64 0
		.amdhsa_float_denorm_mode_32 3
		.amdhsa_float_denorm_mode_16_64 3
		.amdhsa_dx10_clamp 1
		.amdhsa_ieee_mode 1
		.amdhsa_fp16_overflow 0
		.amdhsa_tg_split 0
		.amdhsa_exception_fp_ieee_invalid_op 0
		.amdhsa_exception_fp_denorm_src 0
		.amdhsa_exception_fp_ieee_div_zero 0
		.amdhsa_exception_fp_ieee_overflow 0
		.amdhsa_exception_fp_ieee_underflow 0
		.amdhsa_exception_fp_ieee_inexact 0
		.amdhsa_exception_int_div_zero 0
	.end_amdhsa_kernel
	.section	.text._ZN7rocprim17ROCPRIM_400000_NS6detail17trampoline_kernelINS0_14default_configENS1_38merge_sort_block_merge_config_selectorIbiEEZZNS1_27merge_sort_block_merge_implIS3_N6thrust23THRUST_200600_302600_NS6detail15normal_iteratorINS8_10device_ptrIbEEEENSA_INSB_IiEEEEjNS1_19radix_merge_compareILb0ELb1EbNS0_19identity_decomposerEEEEE10hipError_tT0_T1_T2_jT3_P12ihipStream_tbPNSt15iterator_traitsISK_E10value_typeEPNSQ_ISL_E10value_typeEPSM_NS1_7vsmem_tEENKUlT_SK_SL_SM_E_clISD_PbSF_PiEESJ_SZ_SK_SL_SM_EUlSZ_E0_NS1_11comp_targetILNS1_3genE10ELNS1_11target_archE1201ELNS1_3gpuE5ELNS1_3repE0EEENS1_38merge_mergepath_config_static_selectorELNS0_4arch9wavefront6targetE1EEEvSL_,"axG",@progbits,_ZN7rocprim17ROCPRIM_400000_NS6detail17trampoline_kernelINS0_14default_configENS1_38merge_sort_block_merge_config_selectorIbiEEZZNS1_27merge_sort_block_merge_implIS3_N6thrust23THRUST_200600_302600_NS6detail15normal_iteratorINS8_10device_ptrIbEEEENSA_INSB_IiEEEEjNS1_19radix_merge_compareILb0ELb1EbNS0_19identity_decomposerEEEEE10hipError_tT0_T1_T2_jT3_P12ihipStream_tbPNSt15iterator_traitsISK_E10value_typeEPNSQ_ISL_E10value_typeEPSM_NS1_7vsmem_tEENKUlT_SK_SL_SM_E_clISD_PbSF_PiEESJ_SZ_SK_SL_SM_EUlSZ_E0_NS1_11comp_targetILNS1_3genE10ELNS1_11target_archE1201ELNS1_3gpuE5ELNS1_3repE0EEENS1_38merge_mergepath_config_static_selectorELNS0_4arch9wavefront6targetE1EEEvSL_,comdat
.Lfunc_end1999:
	.size	_ZN7rocprim17ROCPRIM_400000_NS6detail17trampoline_kernelINS0_14default_configENS1_38merge_sort_block_merge_config_selectorIbiEEZZNS1_27merge_sort_block_merge_implIS3_N6thrust23THRUST_200600_302600_NS6detail15normal_iteratorINS8_10device_ptrIbEEEENSA_INSB_IiEEEEjNS1_19radix_merge_compareILb0ELb1EbNS0_19identity_decomposerEEEEE10hipError_tT0_T1_T2_jT3_P12ihipStream_tbPNSt15iterator_traitsISK_E10value_typeEPNSQ_ISL_E10value_typeEPSM_NS1_7vsmem_tEENKUlT_SK_SL_SM_E_clISD_PbSF_PiEESJ_SZ_SK_SL_SM_EUlSZ_E0_NS1_11comp_targetILNS1_3genE10ELNS1_11target_archE1201ELNS1_3gpuE5ELNS1_3repE0EEENS1_38merge_mergepath_config_static_selectorELNS0_4arch9wavefront6targetE1EEEvSL_, .Lfunc_end1999-_ZN7rocprim17ROCPRIM_400000_NS6detail17trampoline_kernelINS0_14default_configENS1_38merge_sort_block_merge_config_selectorIbiEEZZNS1_27merge_sort_block_merge_implIS3_N6thrust23THRUST_200600_302600_NS6detail15normal_iteratorINS8_10device_ptrIbEEEENSA_INSB_IiEEEEjNS1_19radix_merge_compareILb0ELb1EbNS0_19identity_decomposerEEEEE10hipError_tT0_T1_T2_jT3_P12ihipStream_tbPNSt15iterator_traitsISK_E10value_typeEPNSQ_ISL_E10value_typeEPSM_NS1_7vsmem_tEENKUlT_SK_SL_SM_E_clISD_PbSF_PiEESJ_SZ_SK_SL_SM_EUlSZ_E0_NS1_11comp_targetILNS1_3genE10ELNS1_11target_archE1201ELNS1_3gpuE5ELNS1_3repE0EEENS1_38merge_mergepath_config_static_selectorELNS0_4arch9wavefront6targetE1EEEvSL_
                                        ; -- End function
	.set _ZN7rocprim17ROCPRIM_400000_NS6detail17trampoline_kernelINS0_14default_configENS1_38merge_sort_block_merge_config_selectorIbiEEZZNS1_27merge_sort_block_merge_implIS3_N6thrust23THRUST_200600_302600_NS6detail15normal_iteratorINS8_10device_ptrIbEEEENSA_INSB_IiEEEEjNS1_19radix_merge_compareILb0ELb1EbNS0_19identity_decomposerEEEEE10hipError_tT0_T1_T2_jT3_P12ihipStream_tbPNSt15iterator_traitsISK_E10value_typeEPNSQ_ISL_E10value_typeEPSM_NS1_7vsmem_tEENKUlT_SK_SL_SM_E_clISD_PbSF_PiEESJ_SZ_SK_SL_SM_EUlSZ_E0_NS1_11comp_targetILNS1_3genE10ELNS1_11target_archE1201ELNS1_3gpuE5ELNS1_3repE0EEENS1_38merge_mergepath_config_static_selectorELNS0_4arch9wavefront6targetE1EEEvSL_.num_vgpr, 0
	.set _ZN7rocprim17ROCPRIM_400000_NS6detail17trampoline_kernelINS0_14default_configENS1_38merge_sort_block_merge_config_selectorIbiEEZZNS1_27merge_sort_block_merge_implIS3_N6thrust23THRUST_200600_302600_NS6detail15normal_iteratorINS8_10device_ptrIbEEEENSA_INSB_IiEEEEjNS1_19radix_merge_compareILb0ELb1EbNS0_19identity_decomposerEEEEE10hipError_tT0_T1_T2_jT3_P12ihipStream_tbPNSt15iterator_traitsISK_E10value_typeEPNSQ_ISL_E10value_typeEPSM_NS1_7vsmem_tEENKUlT_SK_SL_SM_E_clISD_PbSF_PiEESJ_SZ_SK_SL_SM_EUlSZ_E0_NS1_11comp_targetILNS1_3genE10ELNS1_11target_archE1201ELNS1_3gpuE5ELNS1_3repE0EEENS1_38merge_mergepath_config_static_selectorELNS0_4arch9wavefront6targetE1EEEvSL_.num_agpr, 0
	.set _ZN7rocprim17ROCPRIM_400000_NS6detail17trampoline_kernelINS0_14default_configENS1_38merge_sort_block_merge_config_selectorIbiEEZZNS1_27merge_sort_block_merge_implIS3_N6thrust23THRUST_200600_302600_NS6detail15normal_iteratorINS8_10device_ptrIbEEEENSA_INSB_IiEEEEjNS1_19radix_merge_compareILb0ELb1EbNS0_19identity_decomposerEEEEE10hipError_tT0_T1_T2_jT3_P12ihipStream_tbPNSt15iterator_traitsISK_E10value_typeEPNSQ_ISL_E10value_typeEPSM_NS1_7vsmem_tEENKUlT_SK_SL_SM_E_clISD_PbSF_PiEESJ_SZ_SK_SL_SM_EUlSZ_E0_NS1_11comp_targetILNS1_3genE10ELNS1_11target_archE1201ELNS1_3gpuE5ELNS1_3repE0EEENS1_38merge_mergepath_config_static_selectorELNS0_4arch9wavefront6targetE1EEEvSL_.numbered_sgpr, 0
	.set _ZN7rocprim17ROCPRIM_400000_NS6detail17trampoline_kernelINS0_14default_configENS1_38merge_sort_block_merge_config_selectorIbiEEZZNS1_27merge_sort_block_merge_implIS3_N6thrust23THRUST_200600_302600_NS6detail15normal_iteratorINS8_10device_ptrIbEEEENSA_INSB_IiEEEEjNS1_19radix_merge_compareILb0ELb1EbNS0_19identity_decomposerEEEEE10hipError_tT0_T1_T2_jT3_P12ihipStream_tbPNSt15iterator_traitsISK_E10value_typeEPNSQ_ISL_E10value_typeEPSM_NS1_7vsmem_tEENKUlT_SK_SL_SM_E_clISD_PbSF_PiEESJ_SZ_SK_SL_SM_EUlSZ_E0_NS1_11comp_targetILNS1_3genE10ELNS1_11target_archE1201ELNS1_3gpuE5ELNS1_3repE0EEENS1_38merge_mergepath_config_static_selectorELNS0_4arch9wavefront6targetE1EEEvSL_.num_named_barrier, 0
	.set _ZN7rocprim17ROCPRIM_400000_NS6detail17trampoline_kernelINS0_14default_configENS1_38merge_sort_block_merge_config_selectorIbiEEZZNS1_27merge_sort_block_merge_implIS3_N6thrust23THRUST_200600_302600_NS6detail15normal_iteratorINS8_10device_ptrIbEEEENSA_INSB_IiEEEEjNS1_19radix_merge_compareILb0ELb1EbNS0_19identity_decomposerEEEEE10hipError_tT0_T1_T2_jT3_P12ihipStream_tbPNSt15iterator_traitsISK_E10value_typeEPNSQ_ISL_E10value_typeEPSM_NS1_7vsmem_tEENKUlT_SK_SL_SM_E_clISD_PbSF_PiEESJ_SZ_SK_SL_SM_EUlSZ_E0_NS1_11comp_targetILNS1_3genE10ELNS1_11target_archE1201ELNS1_3gpuE5ELNS1_3repE0EEENS1_38merge_mergepath_config_static_selectorELNS0_4arch9wavefront6targetE1EEEvSL_.private_seg_size, 0
	.set _ZN7rocprim17ROCPRIM_400000_NS6detail17trampoline_kernelINS0_14default_configENS1_38merge_sort_block_merge_config_selectorIbiEEZZNS1_27merge_sort_block_merge_implIS3_N6thrust23THRUST_200600_302600_NS6detail15normal_iteratorINS8_10device_ptrIbEEEENSA_INSB_IiEEEEjNS1_19radix_merge_compareILb0ELb1EbNS0_19identity_decomposerEEEEE10hipError_tT0_T1_T2_jT3_P12ihipStream_tbPNSt15iterator_traitsISK_E10value_typeEPNSQ_ISL_E10value_typeEPSM_NS1_7vsmem_tEENKUlT_SK_SL_SM_E_clISD_PbSF_PiEESJ_SZ_SK_SL_SM_EUlSZ_E0_NS1_11comp_targetILNS1_3genE10ELNS1_11target_archE1201ELNS1_3gpuE5ELNS1_3repE0EEENS1_38merge_mergepath_config_static_selectorELNS0_4arch9wavefront6targetE1EEEvSL_.uses_vcc, 0
	.set _ZN7rocprim17ROCPRIM_400000_NS6detail17trampoline_kernelINS0_14default_configENS1_38merge_sort_block_merge_config_selectorIbiEEZZNS1_27merge_sort_block_merge_implIS3_N6thrust23THRUST_200600_302600_NS6detail15normal_iteratorINS8_10device_ptrIbEEEENSA_INSB_IiEEEEjNS1_19radix_merge_compareILb0ELb1EbNS0_19identity_decomposerEEEEE10hipError_tT0_T1_T2_jT3_P12ihipStream_tbPNSt15iterator_traitsISK_E10value_typeEPNSQ_ISL_E10value_typeEPSM_NS1_7vsmem_tEENKUlT_SK_SL_SM_E_clISD_PbSF_PiEESJ_SZ_SK_SL_SM_EUlSZ_E0_NS1_11comp_targetILNS1_3genE10ELNS1_11target_archE1201ELNS1_3gpuE5ELNS1_3repE0EEENS1_38merge_mergepath_config_static_selectorELNS0_4arch9wavefront6targetE1EEEvSL_.uses_flat_scratch, 0
	.set _ZN7rocprim17ROCPRIM_400000_NS6detail17trampoline_kernelINS0_14default_configENS1_38merge_sort_block_merge_config_selectorIbiEEZZNS1_27merge_sort_block_merge_implIS3_N6thrust23THRUST_200600_302600_NS6detail15normal_iteratorINS8_10device_ptrIbEEEENSA_INSB_IiEEEEjNS1_19radix_merge_compareILb0ELb1EbNS0_19identity_decomposerEEEEE10hipError_tT0_T1_T2_jT3_P12ihipStream_tbPNSt15iterator_traitsISK_E10value_typeEPNSQ_ISL_E10value_typeEPSM_NS1_7vsmem_tEENKUlT_SK_SL_SM_E_clISD_PbSF_PiEESJ_SZ_SK_SL_SM_EUlSZ_E0_NS1_11comp_targetILNS1_3genE10ELNS1_11target_archE1201ELNS1_3gpuE5ELNS1_3repE0EEENS1_38merge_mergepath_config_static_selectorELNS0_4arch9wavefront6targetE1EEEvSL_.has_dyn_sized_stack, 0
	.set _ZN7rocprim17ROCPRIM_400000_NS6detail17trampoline_kernelINS0_14default_configENS1_38merge_sort_block_merge_config_selectorIbiEEZZNS1_27merge_sort_block_merge_implIS3_N6thrust23THRUST_200600_302600_NS6detail15normal_iteratorINS8_10device_ptrIbEEEENSA_INSB_IiEEEEjNS1_19radix_merge_compareILb0ELb1EbNS0_19identity_decomposerEEEEE10hipError_tT0_T1_T2_jT3_P12ihipStream_tbPNSt15iterator_traitsISK_E10value_typeEPNSQ_ISL_E10value_typeEPSM_NS1_7vsmem_tEENKUlT_SK_SL_SM_E_clISD_PbSF_PiEESJ_SZ_SK_SL_SM_EUlSZ_E0_NS1_11comp_targetILNS1_3genE10ELNS1_11target_archE1201ELNS1_3gpuE5ELNS1_3repE0EEENS1_38merge_mergepath_config_static_selectorELNS0_4arch9wavefront6targetE1EEEvSL_.has_recursion, 0
	.set _ZN7rocprim17ROCPRIM_400000_NS6detail17trampoline_kernelINS0_14default_configENS1_38merge_sort_block_merge_config_selectorIbiEEZZNS1_27merge_sort_block_merge_implIS3_N6thrust23THRUST_200600_302600_NS6detail15normal_iteratorINS8_10device_ptrIbEEEENSA_INSB_IiEEEEjNS1_19radix_merge_compareILb0ELb1EbNS0_19identity_decomposerEEEEE10hipError_tT0_T1_T2_jT3_P12ihipStream_tbPNSt15iterator_traitsISK_E10value_typeEPNSQ_ISL_E10value_typeEPSM_NS1_7vsmem_tEENKUlT_SK_SL_SM_E_clISD_PbSF_PiEESJ_SZ_SK_SL_SM_EUlSZ_E0_NS1_11comp_targetILNS1_3genE10ELNS1_11target_archE1201ELNS1_3gpuE5ELNS1_3repE0EEENS1_38merge_mergepath_config_static_selectorELNS0_4arch9wavefront6targetE1EEEvSL_.has_indirect_call, 0
	.section	.AMDGPU.csdata,"",@progbits
; Kernel info:
; codeLenInByte = 0
; TotalNumSgprs: 6
; NumVgprs: 0
; NumAgprs: 0
; TotalNumVgprs: 0
; ScratchSize: 0
; MemoryBound: 0
; FloatMode: 240
; IeeeMode: 1
; LDSByteSize: 0 bytes/workgroup (compile time only)
; SGPRBlocks: 0
; VGPRBlocks: 0
; NumSGPRsForWavesPerEU: 6
; NumVGPRsForWavesPerEU: 1
; AccumOffset: 4
; Occupancy: 8
; WaveLimiterHint : 0
; COMPUTE_PGM_RSRC2:SCRATCH_EN: 0
; COMPUTE_PGM_RSRC2:USER_SGPR: 2
; COMPUTE_PGM_RSRC2:TRAP_HANDLER: 0
; COMPUTE_PGM_RSRC2:TGID_X_EN: 1
; COMPUTE_PGM_RSRC2:TGID_Y_EN: 0
; COMPUTE_PGM_RSRC2:TGID_Z_EN: 0
; COMPUTE_PGM_RSRC2:TIDIG_COMP_CNT: 0
; COMPUTE_PGM_RSRC3_GFX90A:ACCUM_OFFSET: 0
; COMPUTE_PGM_RSRC3_GFX90A:TG_SPLIT: 0
	.section	.text._ZN7rocprim17ROCPRIM_400000_NS6detail17trampoline_kernelINS0_14default_configENS1_38merge_sort_block_merge_config_selectorIbiEEZZNS1_27merge_sort_block_merge_implIS3_N6thrust23THRUST_200600_302600_NS6detail15normal_iteratorINS8_10device_ptrIbEEEENSA_INSB_IiEEEEjNS1_19radix_merge_compareILb0ELb1EbNS0_19identity_decomposerEEEEE10hipError_tT0_T1_T2_jT3_P12ihipStream_tbPNSt15iterator_traitsISK_E10value_typeEPNSQ_ISL_E10value_typeEPSM_NS1_7vsmem_tEENKUlT_SK_SL_SM_E_clISD_PbSF_PiEESJ_SZ_SK_SL_SM_EUlSZ_E0_NS1_11comp_targetILNS1_3genE5ELNS1_11target_archE942ELNS1_3gpuE9ELNS1_3repE0EEENS1_38merge_mergepath_config_static_selectorELNS0_4arch9wavefront6targetE1EEEvSL_,"axG",@progbits,_ZN7rocprim17ROCPRIM_400000_NS6detail17trampoline_kernelINS0_14default_configENS1_38merge_sort_block_merge_config_selectorIbiEEZZNS1_27merge_sort_block_merge_implIS3_N6thrust23THRUST_200600_302600_NS6detail15normal_iteratorINS8_10device_ptrIbEEEENSA_INSB_IiEEEEjNS1_19radix_merge_compareILb0ELb1EbNS0_19identity_decomposerEEEEE10hipError_tT0_T1_T2_jT3_P12ihipStream_tbPNSt15iterator_traitsISK_E10value_typeEPNSQ_ISL_E10value_typeEPSM_NS1_7vsmem_tEENKUlT_SK_SL_SM_E_clISD_PbSF_PiEESJ_SZ_SK_SL_SM_EUlSZ_E0_NS1_11comp_targetILNS1_3genE5ELNS1_11target_archE942ELNS1_3gpuE9ELNS1_3repE0EEENS1_38merge_mergepath_config_static_selectorELNS0_4arch9wavefront6targetE1EEEvSL_,comdat
	.protected	_ZN7rocprim17ROCPRIM_400000_NS6detail17trampoline_kernelINS0_14default_configENS1_38merge_sort_block_merge_config_selectorIbiEEZZNS1_27merge_sort_block_merge_implIS3_N6thrust23THRUST_200600_302600_NS6detail15normal_iteratorINS8_10device_ptrIbEEEENSA_INSB_IiEEEEjNS1_19radix_merge_compareILb0ELb1EbNS0_19identity_decomposerEEEEE10hipError_tT0_T1_T2_jT3_P12ihipStream_tbPNSt15iterator_traitsISK_E10value_typeEPNSQ_ISL_E10value_typeEPSM_NS1_7vsmem_tEENKUlT_SK_SL_SM_E_clISD_PbSF_PiEESJ_SZ_SK_SL_SM_EUlSZ_E0_NS1_11comp_targetILNS1_3genE5ELNS1_11target_archE942ELNS1_3gpuE9ELNS1_3repE0EEENS1_38merge_mergepath_config_static_selectorELNS0_4arch9wavefront6targetE1EEEvSL_ ; -- Begin function _ZN7rocprim17ROCPRIM_400000_NS6detail17trampoline_kernelINS0_14default_configENS1_38merge_sort_block_merge_config_selectorIbiEEZZNS1_27merge_sort_block_merge_implIS3_N6thrust23THRUST_200600_302600_NS6detail15normal_iteratorINS8_10device_ptrIbEEEENSA_INSB_IiEEEEjNS1_19radix_merge_compareILb0ELb1EbNS0_19identity_decomposerEEEEE10hipError_tT0_T1_T2_jT3_P12ihipStream_tbPNSt15iterator_traitsISK_E10value_typeEPNSQ_ISL_E10value_typeEPSM_NS1_7vsmem_tEENKUlT_SK_SL_SM_E_clISD_PbSF_PiEESJ_SZ_SK_SL_SM_EUlSZ_E0_NS1_11comp_targetILNS1_3genE5ELNS1_11target_archE942ELNS1_3gpuE9ELNS1_3repE0EEENS1_38merge_mergepath_config_static_selectorELNS0_4arch9wavefront6targetE1EEEvSL_
	.globl	_ZN7rocprim17ROCPRIM_400000_NS6detail17trampoline_kernelINS0_14default_configENS1_38merge_sort_block_merge_config_selectorIbiEEZZNS1_27merge_sort_block_merge_implIS3_N6thrust23THRUST_200600_302600_NS6detail15normal_iteratorINS8_10device_ptrIbEEEENSA_INSB_IiEEEEjNS1_19radix_merge_compareILb0ELb1EbNS0_19identity_decomposerEEEEE10hipError_tT0_T1_T2_jT3_P12ihipStream_tbPNSt15iterator_traitsISK_E10value_typeEPNSQ_ISL_E10value_typeEPSM_NS1_7vsmem_tEENKUlT_SK_SL_SM_E_clISD_PbSF_PiEESJ_SZ_SK_SL_SM_EUlSZ_E0_NS1_11comp_targetILNS1_3genE5ELNS1_11target_archE942ELNS1_3gpuE9ELNS1_3repE0EEENS1_38merge_mergepath_config_static_selectorELNS0_4arch9wavefront6targetE1EEEvSL_
	.p2align	8
	.type	_ZN7rocprim17ROCPRIM_400000_NS6detail17trampoline_kernelINS0_14default_configENS1_38merge_sort_block_merge_config_selectorIbiEEZZNS1_27merge_sort_block_merge_implIS3_N6thrust23THRUST_200600_302600_NS6detail15normal_iteratorINS8_10device_ptrIbEEEENSA_INSB_IiEEEEjNS1_19radix_merge_compareILb0ELb1EbNS0_19identity_decomposerEEEEE10hipError_tT0_T1_T2_jT3_P12ihipStream_tbPNSt15iterator_traitsISK_E10value_typeEPNSQ_ISL_E10value_typeEPSM_NS1_7vsmem_tEENKUlT_SK_SL_SM_E_clISD_PbSF_PiEESJ_SZ_SK_SL_SM_EUlSZ_E0_NS1_11comp_targetILNS1_3genE5ELNS1_11target_archE942ELNS1_3gpuE9ELNS1_3repE0EEENS1_38merge_mergepath_config_static_selectorELNS0_4arch9wavefront6targetE1EEEvSL_,@function
_ZN7rocprim17ROCPRIM_400000_NS6detail17trampoline_kernelINS0_14default_configENS1_38merge_sort_block_merge_config_selectorIbiEEZZNS1_27merge_sort_block_merge_implIS3_N6thrust23THRUST_200600_302600_NS6detail15normal_iteratorINS8_10device_ptrIbEEEENSA_INSB_IiEEEEjNS1_19radix_merge_compareILb0ELb1EbNS0_19identity_decomposerEEEEE10hipError_tT0_T1_T2_jT3_P12ihipStream_tbPNSt15iterator_traitsISK_E10value_typeEPNSQ_ISL_E10value_typeEPSM_NS1_7vsmem_tEENKUlT_SK_SL_SM_E_clISD_PbSF_PiEESJ_SZ_SK_SL_SM_EUlSZ_E0_NS1_11comp_targetILNS1_3genE5ELNS1_11target_archE942ELNS1_3gpuE9ELNS1_3repE0EEENS1_38merge_mergepath_config_static_selectorELNS0_4arch9wavefront6targetE1EEEvSL_: ; @_ZN7rocprim17ROCPRIM_400000_NS6detail17trampoline_kernelINS0_14default_configENS1_38merge_sort_block_merge_config_selectorIbiEEZZNS1_27merge_sort_block_merge_implIS3_N6thrust23THRUST_200600_302600_NS6detail15normal_iteratorINS8_10device_ptrIbEEEENSA_INSB_IiEEEEjNS1_19radix_merge_compareILb0ELb1EbNS0_19identity_decomposerEEEEE10hipError_tT0_T1_T2_jT3_P12ihipStream_tbPNSt15iterator_traitsISK_E10value_typeEPNSQ_ISL_E10value_typeEPSM_NS1_7vsmem_tEENKUlT_SK_SL_SM_E_clISD_PbSF_PiEESJ_SZ_SK_SL_SM_EUlSZ_E0_NS1_11comp_targetILNS1_3genE5ELNS1_11target_archE942ELNS1_3gpuE9ELNS1_3repE0EEENS1_38merge_mergepath_config_static_selectorELNS0_4arch9wavefront6targetE1EEEvSL_
; %bb.0:
	.section	.rodata,"a",@progbits
	.p2align	6, 0x0
	.amdhsa_kernel _ZN7rocprim17ROCPRIM_400000_NS6detail17trampoline_kernelINS0_14default_configENS1_38merge_sort_block_merge_config_selectorIbiEEZZNS1_27merge_sort_block_merge_implIS3_N6thrust23THRUST_200600_302600_NS6detail15normal_iteratorINS8_10device_ptrIbEEEENSA_INSB_IiEEEEjNS1_19radix_merge_compareILb0ELb1EbNS0_19identity_decomposerEEEEE10hipError_tT0_T1_T2_jT3_P12ihipStream_tbPNSt15iterator_traitsISK_E10value_typeEPNSQ_ISL_E10value_typeEPSM_NS1_7vsmem_tEENKUlT_SK_SL_SM_E_clISD_PbSF_PiEESJ_SZ_SK_SL_SM_EUlSZ_E0_NS1_11comp_targetILNS1_3genE5ELNS1_11target_archE942ELNS1_3gpuE9ELNS1_3repE0EEENS1_38merge_mergepath_config_static_selectorELNS0_4arch9wavefront6targetE1EEEvSL_
		.amdhsa_group_segment_fixed_size 0
		.amdhsa_private_segment_fixed_size 0
		.amdhsa_kernarg_size 64
		.amdhsa_user_sgpr_count 2
		.amdhsa_user_sgpr_dispatch_ptr 0
		.amdhsa_user_sgpr_queue_ptr 0
		.amdhsa_user_sgpr_kernarg_segment_ptr 1
		.amdhsa_user_sgpr_dispatch_id 0
		.amdhsa_user_sgpr_kernarg_preload_length 0
		.amdhsa_user_sgpr_kernarg_preload_offset 0
		.amdhsa_user_sgpr_private_segment_size 0
		.amdhsa_uses_dynamic_stack 0
		.amdhsa_enable_private_segment 0
		.amdhsa_system_sgpr_workgroup_id_x 1
		.amdhsa_system_sgpr_workgroup_id_y 0
		.amdhsa_system_sgpr_workgroup_id_z 0
		.amdhsa_system_sgpr_workgroup_info 0
		.amdhsa_system_vgpr_workitem_id 0
		.amdhsa_next_free_vgpr 1
		.amdhsa_next_free_sgpr 0
		.amdhsa_accum_offset 4
		.amdhsa_reserve_vcc 0
		.amdhsa_float_round_mode_32 0
		.amdhsa_float_round_mode_16_64 0
		.amdhsa_float_denorm_mode_32 3
		.amdhsa_float_denorm_mode_16_64 3
		.amdhsa_dx10_clamp 1
		.amdhsa_ieee_mode 1
		.amdhsa_fp16_overflow 0
		.amdhsa_tg_split 0
		.amdhsa_exception_fp_ieee_invalid_op 0
		.amdhsa_exception_fp_denorm_src 0
		.amdhsa_exception_fp_ieee_div_zero 0
		.amdhsa_exception_fp_ieee_overflow 0
		.amdhsa_exception_fp_ieee_underflow 0
		.amdhsa_exception_fp_ieee_inexact 0
		.amdhsa_exception_int_div_zero 0
	.end_amdhsa_kernel
	.section	.text._ZN7rocprim17ROCPRIM_400000_NS6detail17trampoline_kernelINS0_14default_configENS1_38merge_sort_block_merge_config_selectorIbiEEZZNS1_27merge_sort_block_merge_implIS3_N6thrust23THRUST_200600_302600_NS6detail15normal_iteratorINS8_10device_ptrIbEEEENSA_INSB_IiEEEEjNS1_19radix_merge_compareILb0ELb1EbNS0_19identity_decomposerEEEEE10hipError_tT0_T1_T2_jT3_P12ihipStream_tbPNSt15iterator_traitsISK_E10value_typeEPNSQ_ISL_E10value_typeEPSM_NS1_7vsmem_tEENKUlT_SK_SL_SM_E_clISD_PbSF_PiEESJ_SZ_SK_SL_SM_EUlSZ_E0_NS1_11comp_targetILNS1_3genE5ELNS1_11target_archE942ELNS1_3gpuE9ELNS1_3repE0EEENS1_38merge_mergepath_config_static_selectorELNS0_4arch9wavefront6targetE1EEEvSL_,"axG",@progbits,_ZN7rocprim17ROCPRIM_400000_NS6detail17trampoline_kernelINS0_14default_configENS1_38merge_sort_block_merge_config_selectorIbiEEZZNS1_27merge_sort_block_merge_implIS3_N6thrust23THRUST_200600_302600_NS6detail15normal_iteratorINS8_10device_ptrIbEEEENSA_INSB_IiEEEEjNS1_19radix_merge_compareILb0ELb1EbNS0_19identity_decomposerEEEEE10hipError_tT0_T1_T2_jT3_P12ihipStream_tbPNSt15iterator_traitsISK_E10value_typeEPNSQ_ISL_E10value_typeEPSM_NS1_7vsmem_tEENKUlT_SK_SL_SM_E_clISD_PbSF_PiEESJ_SZ_SK_SL_SM_EUlSZ_E0_NS1_11comp_targetILNS1_3genE5ELNS1_11target_archE942ELNS1_3gpuE9ELNS1_3repE0EEENS1_38merge_mergepath_config_static_selectorELNS0_4arch9wavefront6targetE1EEEvSL_,comdat
.Lfunc_end2000:
	.size	_ZN7rocprim17ROCPRIM_400000_NS6detail17trampoline_kernelINS0_14default_configENS1_38merge_sort_block_merge_config_selectorIbiEEZZNS1_27merge_sort_block_merge_implIS3_N6thrust23THRUST_200600_302600_NS6detail15normal_iteratorINS8_10device_ptrIbEEEENSA_INSB_IiEEEEjNS1_19radix_merge_compareILb0ELb1EbNS0_19identity_decomposerEEEEE10hipError_tT0_T1_T2_jT3_P12ihipStream_tbPNSt15iterator_traitsISK_E10value_typeEPNSQ_ISL_E10value_typeEPSM_NS1_7vsmem_tEENKUlT_SK_SL_SM_E_clISD_PbSF_PiEESJ_SZ_SK_SL_SM_EUlSZ_E0_NS1_11comp_targetILNS1_3genE5ELNS1_11target_archE942ELNS1_3gpuE9ELNS1_3repE0EEENS1_38merge_mergepath_config_static_selectorELNS0_4arch9wavefront6targetE1EEEvSL_, .Lfunc_end2000-_ZN7rocprim17ROCPRIM_400000_NS6detail17trampoline_kernelINS0_14default_configENS1_38merge_sort_block_merge_config_selectorIbiEEZZNS1_27merge_sort_block_merge_implIS3_N6thrust23THRUST_200600_302600_NS6detail15normal_iteratorINS8_10device_ptrIbEEEENSA_INSB_IiEEEEjNS1_19radix_merge_compareILb0ELb1EbNS0_19identity_decomposerEEEEE10hipError_tT0_T1_T2_jT3_P12ihipStream_tbPNSt15iterator_traitsISK_E10value_typeEPNSQ_ISL_E10value_typeEPSM_NS1_7vsmem_tEENKUlT_SK_SL_SM_E_clISD_PbSF_PiEESJ_SZ_SK_SL_SM_EUlSZ_E0_NS1_11comp_targetILNS1_3genE5ELNS1_11target_archE942ELNS1_3gpuE9ELNS1_3repE0EEENS1_38merge_mergepath_config_static_selectorELNS0_4arch9wavefront6targetE1EEEvSL_
                                        ; -- End function
	.set _ZN7rocprim17ROCPRIM_400000_NS6detail17trampoline_kernelINS0_14default_configENS1_38merge_sort_block_merge_config_selectorIbiEEZZNS1_27merge_sort_block_merge_implIS3_N6thrust23THRUST_200600_302600_NS6detail15normal_iteratorINS8_10device_ptrIbEEEENSA_INSB_IiEEEEjNS1_19radix_merge_compareILb0ELb1EbNS0_19identity_decomposerEEEEE10hipError_tT0_T1_T2_jT3_P12ihipStream_tbPNSt15iterator_traitsISK_E10value_typeEPNSQ_ISL_E10value_typeEPSM_NS1_7vsmem_tEENKUlT_SK_SL_SM_E_clISD_PbSF_PiEESJ_SZ_SK_SL_SM_EUlSZ_E0_NS1_11comp_targetILNS1_3genE5ELNS1_11target_archE942ELNS1_3gpuE9ELNS1_3repE0EEENS1_38merge_mergepath_config_static_selectorELNS0_4arch9wavefront6targetE1EEEvSL_.num_vgpr, 0
	.set _ZN7rocprim17ROCPRIM_400000_NS6detail17trampoline_kernelINS0_14default_configENS1_38merge_sort_block_merge_config_selectorIbiEEZZNS1_27merge_sort_block_merge_implIS3_N6thrust23THRUST_200600_302600_NS6detail15normal_iteratorINS8_10device_ptrIbEEEENSA_INSB_IiEEEEjNS1_19radix_merge_compareILb0ELb1EbNS0_19identity_decomposerEEEEE10hipError_tT0_T1_T2_jT3_P12ihipStream_tbPNSt15iterator_traitsISK_E10value_typeEPNSQ_ISL_E10value_typeEPSM_NS1_7vsmem_tEENKUlT_SK_SL_SM_E_clISD_PbSF_PiEESJ_SZ_SK_SL_SM_EUlSZ_E0_NS1_11comp_targetILNS1_3genE5ELNS1_11target_archE942ELNS1_3gpuE9ELNS1_3repE0EEENS1_38merge_mergepath_config_static_selectorELNS0_4arch9wavefront6targetE1EEEvSL_.num_agpr, 0
	.set _ZN7rocprim17ROCPRIM_400000_NS6detail17trampoline_kernelINS0_14default_configENS1_38merge_sort_block_merge_config_selectorIbiEEZZNS1_27merge_sort_block_merge_implIS3_N6thrust23THRUST_200600_302600_NS6detail15normal_iteratorINS8_10device_ptrIbEEEENSA_INSB_IiEEEEjNS1_19radix_merge_compareILb0ELb1EbNS0_19identity_decomposerEEEEE10hipError_tT0_T1_T2_jT3_P12ihipStream_tbPNSt15iterator_traitsISK_E10value_typeEPNSQ_ISL_E10value_typeEPSM_NS1_7vsmem_tEENKUlT_SK_SL_SM_E_clISD_PbSF_PiEESJ_SZ_SK_SL_SM_EUlSZ_E0_NS1_11comp_targetILNS1_3genE5ELNS1_11target_archE942ELNS1_3gpuE9ELNS1_3repE0EEENS1_38merge_mergepath_config_static_selectorELNS0_4arch9wavefront6targetE1EEEvSL_.numbered_sgpr, 0
	.set _ZN7rocprim17ROCPRIM_400000_NS6detail17trampoline_kernelINS0_14default_configENS1_38merge_sort_block_merge_config_selectorIbiEEZZNS1_27merge_sort_block_merge_implIS3_N6thrust23THRUST_200600_302600_NS6detail15normal_iteratorINS8_10device_ptrIbEEEENSA_INSB_IiEEEEjNS1_19radix_merge_compareILb0ELb1EbNS0_19identity_decomposerEEEEE10hipError_tT0_T1_T2_jT3_P12ihipStream_tbPNSt15iterator_traitsISK_E10value_typeEPNSQ_ISL_E10value_typeEPSM_NS1_7vsmem_tEENKUlT_SK_SL_SM_E_clISD_PbSF_PiEESJ_SZ_SK_SL_SM_EUlSZ_E0_NS1_11comp_targetILNS1_3genE5ELNS1_11target_archE942ELNS1_3gpuE9ELNS1_3repE0EEENS1_38merge_mergepath_config_static_selectorELNS0_4arch9wavefront6targetE1EEEvSL_.num_named_barrier, 0
	.set _ZN7rocprim17ROCPRIM_400000_NS6detail17trampoline_kernelINS0_14default_configENS1_38merge_sort_block_merge_config_selectorIbiEEZZNS1_27merge_sort_block_merge_implIS3_N6thrust23THRUST_200600_302600_NS6detail15normal_iteratorINS8_10device_ptrIbEEEENSA_INSB_IiEEEEjNS1_19radix_merge_compareILb0ELb1EbNS0_19identity_decomposerEEEEE10hipError_tT0_T1_T2_jT3_P12ihipStream_tbPNSt15iterator_traitsISK_E10value_typeEPNSQ_ISL_E10value_typeEPSM_NS1_7vsmem_tEENKUlT_SK_SL_SM_E_clISD_PbSF_PiEESJ_SZ_SK_SL_SM_EUlSZ_E0_NS1_11comp_targetILNS1_3genE5ELNS1_11target_archE942ELNS1_3gpuE9ELNS1_3repE0EEENS1_38merge_mergepath_config_static_selectorELNS0_4arch9wavefront6targetE1EEEvSL_.private_seg_size, 0
	.set _ZN7rocprim17ROCPRIM_400000_NS6detail17trampoline_kernelINS0_14default_configENS1_38merge_sort_block_merge_config_selectorIbiEEZZNS1_27merge_sort_block_merge_implIS3_N6thrust23THRUST_200600_302600_NS6detail15normal_iteratorINS8_10device_ptrIbEEEENSA_INSB_IiEEEEjNS1_19radix_merge_compareILb0ELb1EbNS0_19identity_decomposerEEEEE10hipError_tT0_T1_T2_jT3_P12ihipStream_tbPNSt15iterator_traitsISK_E10value_typeEPNSQ_ISL_E10value_typeEPSM_NS1_7vsmem_tEENKUlT_SK_SL_SM_E_clISD_PbSF_PiEESJ_SZ_SK_SL_SM_EUlSZ_E0_NS1_11comp_targetILNS1_3genE5ELNS1_11target_archE942ELNS1_3gpuE9ELNS1_3repE0EEENS1_38merge_mergepath_config_static_selectorELNS0_4arch9wavefront6targetE1EEEvSL_.uses_vcc, 0
	.set _ZN7rocprim17ROCPRIM_400000_NS6detail17trampoline_kernelINS0_14default_configENS1_38merge_sort_block_merge_config_selectorIbiEEZZNS1_27merge_sort_block_merge_implIS3_N6thrust23THRUST_200600_302600_NS6detail15normal_iteratorINS8_10device_ptrIbEEEENSA_INSB_IiEEEEjNS1_19radix_merge_compareILb0ELb1EbNS0_19identity_decomposerEEEEE10hipError_tT0_T1_T2_jT3_P12ihipStream_tbPNSt15iterator_traitsISK_E10value_typeEPNSQ_ISL_E10value_typeEPSM_NS1_7vsmem_tEENKUlT_SK_SL_SM_E_clISD_PbSF_PiEESJ_SZ_SK_SL_SM_EUlSZ_E0_NS1_11comp_targetILNS1_3genE5ELNS1_11target_archE942ELNS1_3gpuE9ELNS1_3repE0EEENS1_38merge_mergepath_config_static_selectorELNS0_4arch9wavefront6targetE1EEEvSL_.uses_flat_scratch, 0
	.set _ZN7rocprim17ROCPRIM_400000_NS6detail17trampoline_kernelINS0_14default_configENS1_38merge_sort_block_merge_config_selectorIbiEEZZNS1_27merge_sort_block_merge_implIS3_N6thrust23THRUST_200600_302600_NS6detail15normal_iteratorINS8_10device_ptrIbEEEENSA_INSB_IiEEEEjNS1_19radix_merge_compareILb0ELb1EbNS0_19identity_decomposerEEEEE10hipError_tT0_T1_T2_jT3_P12ihipStream_tbPNSt15iterator_traitsISK_E10value_typeEPNSQ_ISL_E10value_typeEPSM_NS1_7vsmem_tEENKUlT_SK_SL_SM_E_clISD_PbSF_PiEESJ_SZ_SK_SL_SM_EUlSZ_E0_NS1_11comp_targetILNS1_3genE5ELNS1_11target_archE942ELNS1_3gpuE9ELNS1_3repE0EEENS1_38merge_mergepath_config_static_selectorELNS0_4arch9wavefront6targetE1EEEvSL_.has_dyn_sized_stack, 0
	.set _ZN7rocprim17ROCPRIM_400000_NS6detail17trampoline_kernelINS0_14default_configENS1_38merge_sort_block_merge_config_selectorIbiEEZZNS1_27merge_sort_block_merge_implIS3_N6thrust23THRUST_200600_302600_NS6detail15normal_iteratorINS8_10device_ptrIbEEEENSA_INSB_IiEEEEjNS1_19radix_merge_compareILb0ELb1EbNS0_19identity_decomposerEEEEE10hipError_tT0_T1_T2_jT3_P12ihipStream_tbPNSt15iterator_traitsISK_E10value_typeEPNSQ_ISL_E10value_typeEPSM_NS1_7vsmem_tEENKUlT_SK_SL_SM_E_clISD_PbSF_PiEESJ_SZ_SK_SL_SM_EUlSZ_E0_NS1_11comp_targetILNS1_3genE5ELNS1_11target_archE942ELNS1_3gpuE9ELNS1_3repE0EEENS1_38merge_mergepath_config_static_selectorELNS0_4arch9wavefront6targetE1EEEvSL_.has_recursion, 0
	.set _ZN7rocprim17ROCPRIM_400000_NS6detail17trampoline_kernelINS0_14default_configENS1_38merge_sort_block_merge_config_selectorIbiEEZZNS1_27merge_sort_block_merge_implIS3_N6thrust23THRUST_200600_302600_NS6detail15normal_iteratorINS8_10device_ptrIbEEEENSA_INSB_IiEEEEjNS1_19radix_merge_compareILb0ELb1EbNS0_19identity_decomposerEEEEE10hipError_tT0_T1_T2_jT3_P12ihipStream_tbPNSt15iterator_traitsISK_E10value_typeEPNSQ_ISL_E10value_typeEPSM_NS1_7vsmem_tEENKUlT_SK_SL_SM_E_clISD_PbSF_PiEESJ_SZ_SK_SL_SM_EUlSZ_E0_NS1_11comp_targetILNS1_3genE5ELNS1_11target_archE942ELNS1_3gpuE9ELNS1_3repE0EEENS1_38merge_mergepath_config_static_selectorELNS0_4arch9wavefront6targetE1EEEvSL_.has_indirect_call, 0
	.section	.AMDGPU.csdata,"",@progbits
; Kernel info:
; codeLenInByte = 0
; TotalNumSgprs: 6
; NumVgprs: 0
; NumAgprs: 0
; TotalNumVgprs: 0
; ScratchSize: 0
; MemoryBound: 0
; FloatMode: 240
; IeeeMode: 1
; LDSByteSize: 0 bytes/workgroup (compile time only)
; SGPRBlocks: 0
; VGPRBlocks: 0
; NumSGPRsForWavesPerEU: 6
; NumVGPRsForWavesPerEU: 1
; AccumOffset: 4
; Occupancy: 8
; WaveLimiterHint : 0
; COMPUTE_PGM_RSRC2:SCRATCH_EN: 0
; COMPUTE_PGM_RSRC2:USER_SGPR: 2
; COMPUTE_PGM_RSRC2:TRAP_HANDLER: 0
; COMPUTE_PGM_RSRC2:TGID_X_EN: 1
; COMPUTE_PGM_RSRC2:TGID_Y_EN: 0
; COMPUTE_PGM_RSRC2:TGID_Z_EN: 0
; COMPUTE_PGM_RSRC2:TIDIG_COMP_CNT: 0
; COMPUTE_PGM_RSRC3_GFX90A:ACCUM_OFFSET: 0
; COMPUTE_PGM_RSRC3_GFX90A:TG_SPLIT: 0
	.section	.text._ZN7rocprim17ROCPRIM_400000_NS6detail17trampoline_kernelINS0_14default_configENS1_38merge_sort_block_merge_config_selectorIbiEEZZNS1_27merge_sort_block_merge_implIS3_N6thrust23THRUST_200600_302600_NS6detail15normal_iteratorINS8_10device_ptrIbEEEENSA_INSB_IiEEEEjNS1_19radix_merge_compareILb0ELb1EbNS0_19identity_decomposerEEEEE10hipError_tT0_T1_T2_jT3_P12ihipStream_tbPNSt15iterator_traitsISK_E10value_typeEPNSQ_ISL_E10value_typeEPSM_NS1_7vsmem_tEENKUlT_SK_SL_SM_E_clISD_PbSF_PiEESJ_SZ_SK_SL_SM_EUlSZ_E0_NS1_11comp_targetILNS1_3genE4ELNS1_11target_archE910ELNS1_3gpuE8ELNS1_3repE0EEENS1_38merge_mergepath_config_static_selectorELNS0_4arch9wavefront6targetE1EEEvSL_,"axG",@progbits,_ZN7rocprim17ROCPRIM_400000_NS6detail17trampoline_kernelINS0_14default_configENS1_38merge_sort_block_merge_config_selectorIbiEEZZNS1_27merge_sort_block_merge_implIS3_N6thrust23THRUST_200600_302600_NS6detail15normal_iteratorINS8_10device_ptrIbEEEENSA_INSB_IiEEEEjNS1_19radix_merge_compareILb0ELb1EbNS0_19identity_decomposerEEEEE10hipError_tT0_T1_T2_jT3_P12ihipStream_tbPNSt15iterator_traitsISK_E10value_typeEPNSQ_ISL_E10value_typeEPSM_NS1_7vsmem_tEENKUlT_SK_SL_SM_E_clISD_PbSF_PiEESJ_SZ_SK_SL_SM_EUlSZ_E0_NS1_11comp_targetILNS1_3genE4ELNS1_11target_archE910ELNS1_3gpuE8ELNS1_3repE0EEENS1_38merge_mergepath_config_static_selectorELNS0_4arch9wavefront6targetE1EEEvSL_,comdat
	.protected	_ZN7rocprim17ROCPRIM_400000_NS6detail17trampoline_kernelINS0_14default_configENS1_38merge_sort_block_merge_config_selectorIbiEEZZNS1_27merge_sort_block_merge_implIS3_N6thrust23THRUST_200600_302600_NS6detail15normal_iteratorINS8_10device_ptrIbEEEENSA_INSB_IiEEEEjNS1_19radix_merge_compareILb0ELb1EbNS0_19identity_decomposerEEEEE10hipError_tT0_T1_T2_jT3_P12ihipStream_tbPNSt15iterator_traitsISK_E10value_typeEPNSQ_ISL_E10value_typeEPSM_NS1_7vsmem_tEENKUlT_SK_SL_SM_E_clISD_PbSF_PiEESJ_SZ_SK_SL_SM_EUlSZ_E0_NS1_11comp_targetILNS1_3genE4ELNS1_11target_archE910ELNS1_3gpuE8ELNS1_3repE0EEENS1_38merge_mergepath_config_static_selectorELNS0_4arch9wavefront6targetE1EEEvSL_ ; -- Begin function _ZN7rocprim17ROCPRIM_400000_NS6detail17trampoline_kernelINS0_14default_configENS1_38merge_sort_block_merge_config_selectorIbiEEZZNS1_27merge_sort_block_merge_implIS3_N6thrust23THRUST_200600_302600_NS6detail15normal_iteratorINS8_10device_ptrIbEEEENSA_INSB_IiEEEEjNS1_19radix_merge_compareILb0ELb1EbNS0_19identity_decomposerEEEEE10hipError_tT0_T1_T2_jT3_P12ihipStream_tbPNSt15iterator_traitsISK_E10value_typeEPNSQ_ISL_E10value_typeEPSM_NS1_7vsmem_tEENKUlT_SK_SL_SM_E_clISD_PbSF_PiEESJ_SZ_SK_SL_SM_EUlSZ_E0_NS1_11comp_targetILNS1_3genE4ELNS1_11target_archE910ELNS1_3gpuE8ELNS1_3repE0EEENS1_38merge_mergepath_config_static_selectorELNS0_4arch9wavefront6targetE1EEEvSL_
	.globl	_ZN7rocprim17ROCPRIM_400000_NS6detail17trampoline_kernelINS0_14default_configENS1_38merge_sort_block_merge_config_selectorIbiEEZZNS1_27merge_sort_block_merge_implIS3_N6thrust23THRUST_200600_302600_NS6detail15normal_iteratorINS8_10device_ptrIbEEEENSA_INSB_IiEEEEjNS1_19radix_merge_compareILb0ELb1EbNS0_19identity_decomposerEEEEE10hipError_tT0_T1_T2_jT3_P12ihipStream_tbPNSt15iterator_traitsISK_E10value_typeEPNSQ_ISL_E10value_typeEPSM_NS1_7vsmem_tEENKUlT_SK_SL_SM_E_clISD_PbSF_PiEESJ_SZ_SK_SL_SM_EUlSZ_E0_NS1_11comp_targetILNS1_3genE4ELNS1_11target_archE910ELNS1_3gpuE8ELNS1_3repE0EEENS1_38merge_mergepath_config_static_selectorELNS0_4arch9wavefront6targetE1EEEvSL_
	.p2align	8
	.type	_ZN7rocprim17ROCPRIM_400000_NS6detail17trampoline_kernelINS0_14default_configENS1_38merge_sort_block_merge_config_selectorIbiEEZZNS1_27merge_sort_block_merge_implIS3_N6thrust23THRUST_200600_302600_NS6detail15normal_iteratorINS8_10device_ptrIbEEEENSA_INSB_IiEEEEjNS1_19radix_merge_compareILb0ELb1EbNS0_19identity_decomposerEEEEE10hipError_tT0_T1_T2_jT3_P12ihipStream_tbPNSt15iterator_traitsISK_E10value_typeEPNSQ_ISL_E10value_typeEPSM_NS1_7vsmem_tEENKUlT_SK_SL_SM_E_clISD_PbSF_PiEESJ_SZ_SK_SL_SM_EUlSZ_E0_NS1_11comp_targetILNS1_3genE4ELNS1_11target_archE910ELNS1_3gpuE8ELNS1_3repE0EEENS1_38merge_mergepath_config_static_selectorELNS0_4arch9wavefront6targetE1EEEvSL_,@function
_ZN7rocprim17ROCPRIM_400000_NS6detail17trampoline_kernelINS0_14default_configENS1_38merge_sort_block_merge_config_selectorIbiEEZZNS1_27merge_sort_block_merge_implIS3_N6thrust23THRUST_200600_302600_NS6detail15normal_iteratorINS8_10device_ptrIbEEEENSA_INSB_IiEEEEjNS1_19radix_merge_compareILb0ELb1EbNS0_19identity_decomposerEEEEE10hipError_tT0_T1_T2_jT3_P12ihipStream_tbPNSt15iterator_traitsISK_E10value_typeEPNSQ_ISL_E10value_typeEPSM_NS1_7vsmem_tEENKUlT_SK_SL_SM_E_clISD_PbSF_PiEESJ_SZ_SK_SL_SM_EUlSZ_E0_NS1_11comp_targetILNS1_3genE4ELNS1_11target_archE910ELNS1_3gpuE8ELNS1_3repE0EEENS1_38merge_mergepath_config_static_selectorELNS0_4arch9wavefront6targetE1EEEvSL_: ; @_ZN7rocprim17ROCPRIM_400000_NS6detail17trampoline_kernelINS0_14default_configENS1_38merge_sort_block_merge_config_selectorIbiEEZZNS1_27merge_sort_block_merge_implIS3_N6thrust23THRUST_200600_302600_NS6detail15normal_iteratorINS8_10device_ptrIbEEEENSA_INSB_IiEEEEjNS1_19radix_merge_compareILb0ELb1EbNS0_19identity_decomposerEEEEE10hipError_tT0_T1_T2_jT3_P12ihipStream_tbPNSt15iterator_traitsISK_E10value_typeEPNSQ_ISL_E10value_typeEPSM_NS1_7vsmem_tEENKUlT_SK_SL_SM_E_clISD_PbSF_PiEESJ_SZ_SK_SL_SM_EUlSZ_E0_NS1_11comp_targetILNS1_3genE4ELNS1_11target_archE910ELNS1_3gpuE8ELNS1_3repE0EEENS1_38merge_mergepath_config_static_selectorELNS0_4arch9wavefront6targetE1EEEvSL_
; %bb.0:
	.section	.rodata,"a",@progbits
	.p2align	6, 0x0
	.amdhsa_kernel _ZN7rocprim17ROCPRIM_400000_NS6detail17trampoline_kernelINS0_14default_configENS1_38merge_sort_block_merge_config_selectorIbiEEZZNS1_27merge_sort_block_merge_implIS3_N6thrust23THRUST_200600_302600_NS6detail15normal_iteratorINS8_10device_ptrIbEEEENSA_INSB_IiEEEEjNS1_19radix_merge_compareILb0ELb1EbNS0_19identity_decomposerEEEEE10hipError_tT0_T1_T2_jT3_P12ihipStream_tbPNSt15iterator_traitsISK_E10value_typeEPNSQ_ISL_E10value_typeEPSM_NS1_7vsmem_tEENKUlT_SK_SL_SM_E_clISD_PbSF_PiEESJ_SZ_SK_SL_SM_EUlSZ_E0_NS1_11comp_targetILNS1_3genE4ELNS1_11target_archE910ELNS1_3gpuE8ELNS1_3repE0EEENS1_38merge_mergepath_config_static_selectorELNS0_4arch9wavefront6targetE1EEEvSL_
		.amdhsa_group_segment_fixed_size 0
		.amdhsa_private_segment_fixed_size 0
		.amdhsa_kernarg_size 64
		.amdhsa_user_sgpr_count 2
		.amdhsa_user_sgpr_dispatch_ptr 0
		.amdhsa_user_sgpr_queue_ptr 0
		.amdhsa_user_sgpr_kernarg_segment_ptr 1
		.amdhsa_user_sgpr_dispatch_id 0
		.amdhsa_user_sgpr_kernarg_preload_length 0
		.amdhsa_user_sgpr_kernarg_preload_offset 0
		.amdhsa_user_sgpr_private_segment_size 0
		.amdhsa_uses_dynamic_stack 0
		.amdhsa_enable_private_segment 0
		.amdhsa_system_sgpr_workgroup_id_x 1
		.amdhsa_system_sgpr_workgroup_id_y 0
		.amdhsa_system_sgpr_workgroup_id_z 0
		.amdhsa_system_sgpr_workgroup_info 0
		.amdhsa_system_vgpr_workitem_id 0
		.amdhsa_next_free_vgpr 1
		.amdhsa_next_free_sgpr 0
		.amdhsa_accum_offset 4
		.amdhsa_reserve_vcc 0
		.amdhsa_float_round_mode_32 0
		.amdhsa_float_round_mode_16_64 0
		.amdhsa_float_denorm_mode_32 3
		.amdhsa_float_denorm_mode_16_64 3
		.amdhsa_dx10_clamp 1
		.amdhsa_ieee_mode 1
		.amdhsa_fp16_overflow 0
		.amdhsa_tg_split 0
		.amdhsa_exception_fp_ieee_invalid_op 0
		.amdhsa_exception_fp_denorm_src 0
		.amdhsa_exception_fp_ieee_div_zero 0
		.amdhsa_exception_fp_ieee_overflow 0
		.amdhsa_exception_fp_ieee_underflow 0
		.amdhsa_exception_fp_ieee_inexact 0
		.amdhsa_exception_int_div_zero 0
	.end_amdhsa_kernel
	.section	.text._ZN7rocprim17ROCPRIM_400000_NS6detail17trampoline_kernelINS0_14default_configENS1_38merge_sort_block_merge_config_selectorIbiEEZZNS1_27merge_sort_block_merge_implIS3_N6thrust23THRUST_200600_302600_NS6detail15normal_iteratorINS8_10device_ptrIbEEEENSA_INSB_IiEEEEjNS1_19radix_merge_compareILb0ELb1EbNS0_19identity_decomposerEEEEE10hipError_tT0_T1_T2_jT3_P12ihipStream_tbPNSt15iterator_traitsISK_E10value_typeEPNSQ_ISL_E10value_typeEPSM_NS1_7vsmem_tEENKUlT_SK_SL_SM_E_clISD_PbSF_PiEESJ_SZ_SK_SL_SM_EUlSZ_E0_NS1_11comp_targetILNS1_3genE4ELNS1_11target_archE910ELNS1_3gpuE8ELNS1_3repE0EEENS1_38merge_mergepath_config_static_selectorELNS0_4arch9wavefront6targetE1EEEvSL_,"axG",@progbits,_ZN7rocprim17ROCPRIM_400000_NS6detail17trampoline_kernelINS0_14default_configENS1_38merge_sort_block_merge_config_selectorIbiEEZZNS1_27merge_sort_block_merge_implIS3_N6thrust23THRUST_200600_302600_NS6detail15normal_iteratorINS8_10device_ptrIbEEEENSA_INSB_IiEEEEjNS1_19radix_merge_compareILb0ELb1EbNS0_19identity_decomposerEEEEE10hipError_tT0_T1_T2_jT3_P12ihipStream_tbPNSt15iterator_traitsISK_E10value_typeEPNSQ_ISL_E10value_typeEPSM_NS1_7vsmem_tEENKUlT_SK_SL_SM_E_clISD_PbSF_PiEESJ_SZ_SK_SL_SM_EUlSZ_E0_NS1_11comp_targetILNS1_3genE4ELNS1_11target_archE910ELNS1_3gpuE8ELNS1_3repE0EEENS1_38merge_mergepath_config_static_selectorELNS0_4arch9wavefront6targetE1EEEvSL_,comdat
.Lfunc_end2001:
	.size	_ZN7rocprim17ROCPRIM_400000_NS6detail17trampoline_kernelINS0_14default_configENS1_38merge_sort_block_merge_config_selectorIbiEEZZNS1_27merge_sort_block_merge_implIS3_N6thrust23THRUST_200600_302600_NS6detail15normal_iteratorINS8_10device_ptrIbEEEENSA_INSB_IiEEEEjNS1_19radix_merge_compareILb0ELb1EbNS0_19identity_decomposerEEEEE10hipError_tT0_T1_T2_jT3_P12ihipStream_tbPNSt15iterator_traitsISK_E10value_typeEPNSQ_ISL_E10value_typeEPSM_NS1_7vsmem_tEENKUlT_SK_SL_SM_E_clISD_PbSF_PiEESJ_SZ_SK_SL_SM_EUlSZ_E0_NS1_11comp_targetILNS1_3genE4ELNS1_11target_archE910ELNS1_3gpuE8ELNS1_3repE0EEENS1_38merge_mergepath_config_static_selectorELNS0_4arch9wavefront6targetE1EEEvSL_, .Lfunc_end2001-_ZN7rocprim17ROCPRIM_400000_NS6detail17trampoline_kernelINS0_14default_configENS1_38merge_sort_block_merge_config_selectorIbiEEZZNS1_27merge_sort_block_merge_implIS3_N6thrust23THRUST_200600_302600_NS6detail15normal_iteratorINS8_10device_ptrIbEEEENSA_INSB_IiEEEEjNS1_19radix_merge_compareILb0ELb1EbNS0_19identity_decomposerEEEEE10hipError_tT0_T1_T2_jT3_P12ihipStream_tbPNSt15iterator_traitsISK_E10value_typeEPNSQ_ISL_E10value_typeEPSM_NS1_7vsmem_tEENKUlT_SK_SL_SM_E_clISD_PbSF_PiEESJ_SZ_SK_SL_SM_EUlSZ_E0_NS1_11comp_targetILNS1_3genE4ELNS1_11target_archE910ELNS1_3gpuE8ELNS1_3repE0EEENS1_38merge_mergepath_config_static_selectorELNS0_4arch9wavefront6targetE1EEEvSL_
                                        ; -- End function
	.set _ZN7rocprim17ROCPRIM_400000_NS6detail17trampoline_kernelINS0_14default_configENS1_38merge_sort_block_merge_config_selectorIbiEEZZNS1_27merge_sort_block_merge_implIS3_N6thrust23THRUST_200600_302600_NS6detail15normal_iteratorINS8_10device_ptrIbEEEENSA_INSB_IiEEEEjNS1_19radix_merge_compareILb0ELb1EbNS0_19identity_decomposerEEEEE10hipError_tT0_T1_T2_jT3_P12ihipStream_tbPNSt15iterator_traitsISK_E10value_typeEPNSQ_ISL_E10value_typeEPSM_NS1_7vsmem_tEENKUlT_SK_SL_SM_E_clISD_PbSF_PiEESJ_SZ_SK_SL_SM_EUlSZ_E0_NS1_11comp_targetILNS1_3genE4ELNS1_11target_archE910ELNS1_3gpuE8ELNS1_3repE0EEENS1_38merge_mergepath_config_static_selectorELNS0_4arch9wavefront6targetE1EEEvSL_.num_vgpr, 0
	.set _ZN7rocprim17ROCPRIM_400000_NS6detail17trampoline_kernelINS0_14default_configENS1_38merge_sort_block_merge_config_selectorIbiEEZZNS1_27merge_sort_block_merge_implIS3_N6thrust23THRUST_200600_302600_NS6detail15normal_iteratorINS8_10device_ptrIbEEEENSA_INSB_IiEEEEjNS1_19radix_merge_compareILb0ELb1EbNS0_19identity_decomposerEEEEE10hipError_tT0_T1_T2_jT3_P12ihipStream_tbPNSt15iterator_traitsISK_E10value_typeEPNSQ_ISL_E10value_typeEPSM_NS1_7vsmem_tEENKUlT_SK_SL_SM_E_clISD_PbSF_PiEESJ_SZ_SK_SL_SM_EUlSZ_E0_NS1_11comp_targetILNS1_3genE4ELNS1_11target_archE910ELNS1_3gpuE8ELNS1_3repE0EEENS1_38merge_mergepath_config_static_selectorELNS0_4arch9wavefront6targetE1EEEvSL_.num_agpr, 0
	.set _ZN7rocprim17ROCPRIM_400000_NS6detail17trampoline_kernelINS0_14default_configENS1_38merge_sort_block_merge_config_selectorIbiEEZZNS1_27merge_sort_block_merge_implIS3_N6thrust23THRUST_200600_302600_NS6detail15normal_iteratorINS8_10device_ptrIbEEEENSA_INSB_IiEEEEjNS1_19radix_merge_compareILb0ELb1EbNS0_19identity_decomposerEEEEE10hipError_tT0_T1_T2_jT3_P12ihipStream_tbPNSt15iterator_traitsISK_E10value_typeEPNSQ_ISL_E10value_typeEPSM_NS1_7vsmem_tEENKUlT_SK_SL_SM_E_clISD_PbSF_PiEESJ_SZ_SK_SL_SM_EUlSZ_E0_NS1_11comp_targetILNS1_3genE4ELNS1_11target_archE910ELNS1_3gpuE8ELNS1_3repE0EEENS1_38merge_mergepath_config_static_selectorELNS0_4arch9wavefront6targetE1EEEvSL_.numbered_sgpr, 0
	.set _ZN7rocprim17ROCPRIM_400000_NS6detail17trampoline_kernelINS0_14default_configENS1_38merge_sort_block_merge_config_selectorIbiEEZZNS1_27merge_sort_block_merge_implIS3_N6thrust23THRUST_200600_302600_NS6detail15normal_iteratorINS8_10device_ptrIbEEEENSA_INSB_IiEEEEjNS1_19radix_merge_compareILb0ELb1EbNS0_19identity_decomposerEEEEE10hipError_tT0_T1_T2_jT3_P12ihipStream_tbPNSt15iterator_traitsISK_E10value_typeEPNSQ_ISL_E10value_typeEPSM_NS1_7vsmem_tEENKUlT_SK_SL_SM_E_clISD_PbSF_PiEESJ_SZ_SK_SL_SM_EUlSZ_E0_NS1_11comp_targetILNS1_3genE4ELNS1_11target_archE910ELNS1_3gpuE8ELNS1_3repE0EEENS1_38merge_mergepath_config_static_selectorELNS0_4arch9wavefront6targetE1EEEvSL_.num_named_barrier, 0
	.set _ZN7rocprim17ROCPRIM_400000_NS6detail17trampoline_kernelINS0_14default_configENS1_38merge_sort_block_merge_config_selectorIbiEEZZNS1_27merge_sort_block_merge_implIS3_N6thrust23THRUST_200600_302600_NS6detail15normal_iteratorINS8_10device_ptrIbEEEENSA_INSB_IiEEEEjNS1_19radix_merge_compareILb0ELb1EbNS0_19identity_decomposerEEEEE10hipError_tT0_T1_T2_jT3_P12ihipStream_tbPNSt15iterator_traitsISK_E10value_typeEPNSQ_ISL_E10value_typeEPSM_NS1_7vsmem_tEENKUlT_SK_SL_SM_E_clISD_PbSF_PiEESJ_SZ_SK_SL_SM_EUlSZ_E0_NS1_11comp_targetILNS1_3genE4ELNS1_11target_archE910ELNS1_3gpuE8ELNS1_3repE0EEENS1_38merge_mergepath_config_static_selectorELNS0_4arch9wavefront6targetE1EEEvSL_.private_seg_size, 0
	.set _ZN7rocprim17ROCPRIM_400000_NS6detail17trampoline_kernelINS0_14default_configENS1_38merge_sort_block_merge_config_selectorIbiEEZZNS1_27merge_sort_block_merge_implIS3_N6thrust23THRUST_200600_302600_NS6detail15normal_iteratorINS8_10device_ptrIbEEEENSA_INSB_IiEEEEjNS1_19radix_merge_compareILb0ELb1EbNS0_19identity_decomposerEEEEE10hipError_tT0_T1_T2_jT3_P12ihipStream_tbPNSt15iterator_traitsISK_E10value_typeEPNSQ_ISL_E10value_typeEPSM_NS1_7vsmem_tEENKUlT_SK_SL_SM_E_clISD_PbSF_PiEESJ_SZ_SK_SL_SM_EUlSZ_E0_NS1_11comp_targetILNS1_3genE4ELNS1_11target_archE910ELNS1_3gpuE8ELNS1_3repE0EEENS1_38merge_mergepath_config_static_selectorELNS0_4arch9wavefront6targetE1EEEvSL_.uses_vcc, 0
	.set _ZN7rocprim17ROCPRIM_400000_NS6detail17trampoline_kernelINS0_14default_configENS1_38merge_sort_block_merge_config_selectorIbiEEZZNS1_27merge_sort_block_merge_implIS3_N6thrust23THRUST_200600_302600_NS6detail15normal_iteratorINS8_10device_ptrIbEEEENSA_INSB_IiEEEEjNS1_19radix_merge_compareILb0ELb1EbNS0_19identity_decomposerEEEEE10hipError_tT0_T1_T2_jT3_P12ihipStream_tbPNSt15iterator_traitsISK_E10value_typeEPNSQ_ISL_E10value_typeEPSM_NS1_7vsmem_tEENKUlT_SK_SL_SM_E_clISD_PbSF_PiEESJ_SZ_SK_SL_SM_EUlSZ_E0_NS1_11comp_targetILNS1_3genE4ELNS1_11target_archE910ELNS1_3gpuE8ELNS1_3repE0EEENS1_38merge_mergepath_config_static_selectorELNS0_4arch9wavefront6targetE1EEEvSL_.uses_flat_scratch, 0
	.set _ZN7rocprim17ROCPRIM_400000_NS6detail17trampoline_kernelINS0_14default_configENS1_38merge_sort_block_merge_config_selectorIbiEEZZNS1_27merge_sort_block_merge_implIS3_N6thrust23THRUST_200600_302600_NS6detail15normal_iteratorINS8_10device_ptrIbEEEENSA_INSB_IiEEEEjNS1_19radix_merge_compareILb0ELb1EbNS0_19identity_decomposerEEEEE10hipError_tT0_T1_T2_jT3_P12ihipStream_tbPNSt15iterator_traitsISK_E10value_typeEPNSQ_ISL_E10value_typeEPSM_NS1_7vsmem_tEENKUlT_SK_SL_SM_E_clISD_PbSF_PiEESJ_SZ_SK_SL_SM_EUlSZ_E0_NS1_11comp_targetILNS1_3genE4ELNS1_11target_archE910ELNS1_3gpuE8ELNS1_3repE0EEENS1_38merge_mergepath_config_static_selectorELNS0_4arch9wavefront6targetE1EEEvSL_.has_dyn_sized_stack, 0
	.set _ZN7rocprim17ROCPRIM_400000_NS6detail17trampoline_kernelINS0_14default_configENS1_38merge_sort_block_merge_config_selectorIbiEEZZNS1_27merge_sort_block_merge_implIS3_N6thrust23THRUST_200600_302600_NS6detail15normal_iteratorINS8_10device_ptrIbEEEENSA_INSB_IiEEEEjNS1_19radix_merge_compareILb0ELb1EbNS0_19identity_decomposerEEEEE10hipError_tT0_T1_T2_jT3_P12ihipStream_tbPNSt15iterator_traitsISK_E10value_typeEPNSQ_ISL_E10value_typeEPSM_NS1_7vsmem_tEENKUlT_SK_SL_SM_E_clISD_PbSF_PiEESJ_SZ_SK_SL_SM_EUlSZ_E0_NS1_11comp_targetILNS1_3genE4ELNS1_11target_archE910ELNS1_3gpuE8ELNS1_3repE0EEENS1_38merge_mergepath_config_static_selectorELNS0_4arch9wavefront6targetE1EEEvSL_.has_recursion, 0
	.set _ZN7rocprim17ROCPRIM_400000_NS6detail17trampoline_kernelINS0_14default_configENS1_38merge_sort_block_merge_config_selectorIbiEEZZNS1_27merge_sort_block_merge_implIS3_N6thrust23THRUST_200600_302600_NS6detail15normal_iteratorINS8_10device_ptrIbEEEENSA_INSB_IiEEEEjNS1_19radix_merge_compareILb0ELb1EbNS0_19identity_decomposerEEEEE10hipError_tT0_T1_T2_jT3_P12ihipStream_tbPNSt15iterator_traitsISK_E10value_typeEPNSQ_ISL_E10value_typeEPSM_NS1_7vsmem_tEENKUlT_SK_SL_SM_E_clISD_PbSF_PiEESJ_SZ_SK_SL_SM_EUlSZ_E0_NS1_11comp_targetILNS1_3genE4ELNS1_11target_archE910ELNS1_3gpuE8ELNS1_3repE0EEENS1_38merge_mergepath_config_static_selectorELNS0_4arch9wavefront6targetE1EEEvSL_.has_indirect_call, 0
	.section	.AMDGPU.csdata,"",@progbits
; Kernel info:
; codeLenInByte = 0
; TotalNumSgprs: 6
; NumVgprs: 0
; NumAgprs: 0
; TotalNumVgprs: 0
; ScratchSize: 0
; MemoryBound: 0
; FloatMode: 240
; IeeeMode: 1
; LDSByteSize: 0 bytes/workgroup (compile time only)
; SGPRBlocks: 0
; VGPRBlocks: 0
; NumSGPRsForWavesPerEU: 6
; NumVGPRsForWavesPerEU: 1
; AccumOffset: 4
; Occupancy: 8
; WaveLimiterHint : 0
; COMPUTE_PGM_RSRC2:SCRATCH_EN: 0
; COMPUTE_PGM_RSRC2:USER_SGPR: 2
; COMPUTE_PGM_RSRC2:TRAP_HANDLER: 0
; COMPUTE_PGM_RSRC2:TGID_X_EN: 1
; COMPUTE_PGM_RSRC2:TGID_Y_EN: 0
; COMPUTE_PGM_RSRC2:TGID_Z_EN: 0
; COMPUTE_PGM_RSRC2:TIDIG_COMP_CNT: 0
; COMPUTE_PGM_RSRC3_GFX90A:ACCUM_OFFSET: 0
; COMPUTE_PGM_RSRC3_GFX90A:TG_SPLIT: 0
	.section	.text._ZN7rocprim17ROCPRIM_400000_NS6detail17trampoline_kernelINS0_14default_configENS1_38merge_sort_block_merge_config_selectorIbiEEZZNS1_27merge_sort_block_merge_implIS3_N6thrust23THRUST_200600_302600_NS6detail15normal_iteratorINS8_10device_ptrIbEEEENSA_INSB_IiEEEEjNS1_19radix_merge_compareILb0ELb1EbNS0_19identity_decomposerEEEEE10hipError_tT0_T1_T2_jT3_P12ihipStream_tbPNSt15iterator_traitsISK_E10value_typeEPNSQ_ISL_E10value_typeEPSM_NS1_7vsmem_tEENKUlT_SK_SL_SM_E_clISD_PbSF_PiEESJ_SZ_SK_SL_SM_EUlSZ_E0_NS1_11comp_targetILNS1_3genE3ELNS1_11target_archE908ELNS1_3gpuE7ELNS1_3repE0EEENS1_38merge_mergepath_config_static_selectorELNS0_4arch9wavefront6targetE1EEEvSL_,"axG",@progbits,_ZN7rocprim17ROCPRIM_400000_NS6detail17trampoline_kernelINS0_14default_configENS1_38merge_sort_block_merge_config_selectorIbiEEZZNS1_27merge_sort_block_merge_implIS3_N6thrust23THRUST_200600_302600_NS6detail15normal_iteratorINS8_10device_ptrIbEEEENSA_INSB_IiEEEEjNS1_19radix_merge_compareILb0ELb1EbNS0_19identity_decomposerEEEEE10hipError_tT0_T1_T2_jT3_P12ihipStream_tbPNSt15iterator_traitsISK_E10value_typeEPNSQ_ISL_E10value_typeEPSM_NS1_7vsmem_tEENKUlT_SK_SL_SM_E_clISD_PbSF_PiEESJ_SZ_SK_SL_SM_EUlSZ_E0_NS1_11comp_targetILNS1_3genE3ELNS1_11target_archE908ELNS1_3gpuE7ELNS1_3repE0EEENS1_38merge_mergepath_config_static_selectorELNS0_4arch9wavefront6targetE1EEEvSL_,comdat
	.protected	_ZN7rocprim17ROCPRIM_400000_NS6detail17trampoline_kernelINS0_14default_configENS1_38merge_sort_block_merge_config_selectorIbiEEZZNS1_27merge_sort_block_merge_implIS3_N6thrust23THRUST_200600_302600_NS6detail15normal_iteratorINS8_10device_ptrIbEEEENSA_INSB_IiEEEEjNS1_19radix_merge_compareILb0ELb1EbNS0_19identity_decomposerEEEEE10hipError_tT0_T1_T2_jT3_P12ihipStream_tbPNSt15iterator_traitsISK_E10value_typeEPNSQ_ISL_E10value_typeEPSM_NS1_7vsmem_tEENKUlT_SK_SL_SM_E_clISD_PbSF_PiEESJ_SZ_SK_SL_SM_EUlSZ_E0_NS1_11comp_targetILNS1_3genE3ELNS1_11target_archE908ELNS1_3gpuE7ELNS1_3repE0EEENS1_38merge_mergepath_config_static_selectorELNS0_4arch9wavefront6targetE1EEEvSL_ ; -- Begin function _ZN7rocprim17ROCPRIM_400000_NS6detail17trampoline_kernelINS0_14default_configENS1_38merge_sort_block_merge_config_selectorIbiEEZZNS1_27merge_sort_block_merge_implIS3_N6thrust23THRUST_200600_302600_NS6detail15normal_iteratorINS8_10device_ptrIbEEEENSA_INSB_IiEEEEjNS1_19radix_merge_compareILb0ELb1EbNS0_19identity_decomposerEEEEE10hipError_tT0_T1_T2_jT3_P12ihipStream_tbPNSt15iterator_traitsISK_E10value_typeEPNSQ_ISL_E10value_typeEPSM_NS1_7vsmem_tEENKUlT_SK_SL_SM_E_clISD_PbSF_PiEESJ_SZ_SK_SL_SM_EUlSZ_E0_NS1_11comp_targetILNS1_3genE3ELNS1_11target_archE908ELNS1_3gpuE7ELNS1_3repE0EEENS1_38merge_mergepath_config_static_selectorELNS0_4arch9wavefront6targetE1EEEvSL_
	.globl	_ZN7rocprim17ROCPRIM_400000_NS6detail17trampoline_kernelINS0_14default_configENS1_38merge_sort_block_merge_config_selectorIbiEEZZNS1_27merge_sort_block_merge_implIS3_N6thrust23THRUST_200600_302600_NS6detail15normal_iteratorINS8_10device_ptrIbEEEENSA_INSB_IiEEEEjNS1_19radix_merge_compareILb0ELb1EbNS0_19identity_decomposerEEEEE10hipError_tT0_T1_T2_jT3_P12ihipStream_tbPNSt15iterator_traitsISK_E10value_typeEPNSQ_ISL_E10value_typeEPSM_NS1_7vsmem_tEENKUlT_SK_SL_SM_E_clISD_PbSF_PiEESJ_SZ_SK_SL_SM_EUlSZ_E0_NS1_11comp_targetILNS1_3genE3ELNS1_11target_archE908ELNS1_3gpuE7ELNS1_3repE0EEENS1_38merge_mergepath_config_static_selectorELNS0_4arch9wavefront6targetE1EEEvSL_
	.p2align	8
	.type	_ZN7rocprim17ROCPRIM_400000_NS6detail17trampoline_kernelINS0_14default_configENS1_38merge_sort_block_merge_config_selectorIbiEEZZNS1_27merge_sort_block_merge_implIS3_N6thrust23THRUST_200600_302600_NS6detail15normal_iteratorINS8_10device_ptrIbEEEENSA_INSB_IiEEEEjNS1_19radix_merge_compareILb0ELb1EbNS0_19identity_decomposerEEEEE10hipError_tT0_T1_T2_jT3_P12ihipStream_tbPNSt15iterator_traitsISK_E10value_typeEPNSQ_ISL_E10value_typeEPSM_NS1_7vsmem_tEENKUlT_SK_SL_SM_E_clISD_PbSF_PiEESJ_SZ_SK_SL_SM_EUlSZ_E0_NS1_11comp_targetILNS1_3genE3ELNS1_11target_archE908ELNS1_3gpuE7ELNS1_3repE0EEENS1_38merge_mergepath_config_static_selectorELNS0_4arch9wavefront6targetE1EEEvSL_,@function
_ZN7rocprim17ROCPRIM_400000_NS6detail17trampoline_kernelINS0_14default_configENS1_38merge_sort_block_merge_config_selectorIbiEEZZNS1_27merge_sort_block_merge_implIS3_N6thrust23THRUST_200600_302600_NS6detail15normal_iteratorINS8_10device_ptrIbEEEENSA_INSB_IiEEEEjNS1_19radix_merge_compareILb0ELb1EbNS0_19identity_decomposerEEEEE10hipError_tT0_T1_T2_jT3_P12ihipStream_tbPNSt15iterator_traitsISK_E10value_typeEPNSQ_ISL_E10value_typeEPSM_NS1_7vsmem_tEENKUlT_SK_SL_SM_E_clISD_PbSF_PiEESJ_SZ_SK_SL_SM_EUlSZ_E0_NS1_11comp_targetILNS1_3genE3ELNS1_11target_archE908ELNS1_3gpuE7ELNS1_3repE0EEENS1_38merge_mergepath_config_static_selectorELNS0_4arch9wavefront6targetE1EEEvSL_: ; @_ZN7rocprim17ROCPRIM_400000_NS6detail17trampoline_kernelINS0_14default_configENS1_38merge_sort_block_merge_config_selectorIbiEEZZNS1_27merge_sort_block_merge_implIS3_N6thrust23THRUST_200600_302600_NS6detail15normal_iteratorINS8_10device_ptrIbEEEENSA_INSB_IiEEEEjNS1_19radix_merge_compareILb0ELb1EbNS0_19identity_decomposerEEEEE10hipError_tT0_T1_T2_jT3_P12ihipStream_tbPNSt15iterator_traitsISK_E10value_typeEPNSQ_ISL_E10value_typeEPSM_NS1_7vsmem_tEENKUlT_SK_SL_SM_E_clISD_PbSF_PiEESJ_SZ_SK_SL_SM_EUlSZ_E0_NS1_11comp_targetILNS1_3genE3ELNS1_11target_archE908ELNS1_3gpuE7ELNS1_3repE0EEENS1_38merge_mergepath_config_static_selectorELNS0_4arch9wavefront6targetE1EEEvSL_
; %bb.0:
	.section	.rodata,"a",@progbits
	.p2align	6, 0x0
	.amdhsa_kernel _ZN7rocprim17ROCPRIM_400000_NS6detail17trampoline_kernelINS0_14default_configENS1_38merge_sort_block_merge_config_selectorIbiEEZZNS1_27merge_sort_block_merge_implIS3_N6thrust23THRUST_200600_302600_NS6detail15normal_iteratorINS8_10device_ptrIbEEEENSA_INSB_IiEEEEjNS1_19radix_merge_compareILb0ELb1EbNS0_19identity_decomposerEEEEE10hipError_tT0_T1_T2_jT3_P12ihipStream_tbPNSt15iterator_traitsISK_E10value_typeEPNSQ_ISL_E10value_typeEPSM_NS1_7vsmem_tEENKUlT_SK_SL_SM_E_clISD_PbSF_PiEESJ_SZ_SK_SL_SM_EUlSZ_E0_NS1_11comp_targetILNS1_3genE3ELNS1_11target_archE908ELNS1_3gpuE7ELNS1_3repE0EEENS1_38merge_mergepath_config_static_selectorELNS0_4arch9wavefront6targetE1EEEvSL_
		.amdhsa_group_segment_fixed_size 0
		.amdhsa_private_segment_fixed_size 0
		.amdhsa_kernarg_size 64
		.amdhsa_user_sgpr_count 2
		.amdhsa_user_sgpr_dispatch_ptr 0
		.amdhsa_user_sgpr_queue_ptr 0
		.amdhsa_user_sgpr_kernarg_segment_ptr 1
		.amdhsa_user_sgpr_dispatch_id 0
		.amdhsa_user_sgpr_kernarg_preload_length 0
		.amdhsa_user_sgpr_kernarg_preload_offset 0
		.amdhsa_user_sgpr_private_segment_size 0
		.amdhsa_uses_dynamic_stack 0
		.amdhsa_enable_private_segment 0
		.amdhsa_system_sgpr_workgroup_id_x 1
		.amdhsa_system_sgpr_workgroup_id_y 0
		.amdhsa_system_sgpr_workgroup_id_z 0
		.amdhsa_system_sgpr_workgroup_info 0
		.amdhsa_system_vgpr_workitem_id 0
		.amdhsa_next_free_vgpr 1
		.amdhsa_next_free_sgpr 0
		.amdhsa_accum_offset 4
		.amdhsa_reserve_vcc 0
		.amdhsa_float_round_mode_32 0
		.amdhsa_float_round_mode_16_64 0
		.amdhsa_float_denorm_mode_32 3
		.amdhsa_float_denorm_mode_16_64 3
		.amdhsa_dx10_clamp 1
		.amdhsa_ieee_mode 1
		.amdhsa_fp16_overflow 0
		.amdhsa_tg_split 0
		.amdhsa_exception_fp_ieee_invalid_op 0
		.amdhsa_exception_fp_denorm_src 0
		.amdhsa_exception_fp_ieee_div_zero 0
		.amdhsa_exception_fp_ieee_overflow 0
		.amdhsa_exception_fp_ieee_underflow 0
		.amdhsa_exception_fp_ieee_inexact 0
		.amdhsa_exception_int_div_zero 0
	.end_amdhsa_kernel
	.section	.text._ZN7rocprim17ROCPRIM_400000_NS6detail17trampoline_kernelINS0_14default_configENS1_38merge_sort_block_merge_config_selectorIbiEEZZNS1_27merge_sort_block_merge_implIS3_N6thrust23THRUST_200600_302600_NS6detail15normal_iteratorINS8_10device_ptrIbEEEENSA_INSB_IiEEEEjNS1_19radix_merge_compareILb0ELb1EbNS0_19identity_decomposerEEEEE10hipError_tT0_T1_T2_jT3_P12ihipStream_tbPNSt15iterator_traitsISK_E10value_typeEPNSQ_ISL_E10value_typeEPSM_NS1_7vsmem_tEENKUlT_SK_SL_SM_E_clISD_PbSF_PiEESJ_SZ_SK_SL_SM_EUlSZ_E0_NS1_11comp_targetILNS1_3genE3ELNS1_11target_archE908ELNS1_3gpuE7ELNS1_3repE0EEENS1_38merge_mergepath_config_static_selectorELNS0_4arch9wavefront6targetE1EEEvSL_,"axG",@progbits,_ZN7rocprim17ROCPRIM_400000_NS6detail17trampoline_kernelINS0_14default_configENS1_38merge_sort_block_merge_config_selectorIbiEEZZNS1_27merge_sort_block_merge_implIS3_N6thrust23THRUST_200600_302600_NS6detail15normal_iteratorINS8_10device_ptrIbEEEENSA_INSB_IiEEEEjNS1_19radix_merge_compareILb0ELb1EbNS0_19identity_decomposerEEEEE10hipError_tT0_T1_T2_jT3_P12ihipStream_tbPNSt15iterator_traitsISK_E10value_typeEPNSQ_ISL_E10value_typeEPSM_NS1_7vsmem_tEENKUlT_SK_SL_SM_E_clISD_PbSF_PiEESJ_SZ_SK_SL_SM_EUlSZ_E0_NS1_11comp_targetILNS1_3genE3ELNS1_11target_archE908ELNS1_3gpuE7ELNS1_3repE0EEENS1_38merge_mergepath_config_static_selectorELNS0_4arch9wavefront6targetE1EEEvSL_,comdat
.Lfunc_end2002:
	.size	_ZN7rocprim17ROCPRIM_400000_NS6detail17trampoline_kernelINS0_14default_configENS1_38merge_sort_block_merge_config_selectorIbiEEZZNS1_27merge_sort_block_merge_implIS3_N6thrust23THRUST_200600_302600_NS6detail15normal_iteratorINS8_10device_ptrIbEEEENSA_INSB_IiEEEEjNS1_19radix_merge_compareILb0ELb1EbNS0_19identity_decomposerEEEEE10hipError_tT0_T1_T2_jT3_P12ihipStream_tbPNSt15iterator_traitsISK_E10value_typeEPNSQ_ISL_E10value_typeEPSM_NS1_7vsmem_tEENKUlT_SK_SL_SM_E_clISD_PbSF_PiEESJ_SZ_SK_SL_SM_EUlSZ_E0_NS1_11comp_targetILNS1_3genE3ELNS1_11target_archE908ELNS1_3gpuE7ELNS1_3repE0EEENS1_38merge_mergepath_config_static_selectorELNS0_4arch9wavefront6targetE1EEEvSL_, .Lfunc_end2002-_ZN7rocprim17ROCPRIM_400000_NS6detail17trampoline_kernelINS0_14default_configENS1_38merge_sort_block_merge_config_selectorIbiEEZZNS1_27merge_sort_block_merge_implIS3_N6thrust23THRUST_200600_302600_NS6detail15normal_iteratorINS8_10device_ptrIbEEEENSA_INSB_IiEEEEjNS1_19radix_merge_compareILb0ELb1EbNS0_19identity_decomposerEEEEE10hipError_tT0_T1_T2_jT3_P12ihipStream_tbPNSt15iterator_traitsISK_E10value_typeEPNSQ_ISL_E10value_typeEPSM_NS1_7vsmem_tEENKUlT_SK_SL_SM_E_clISD_PbSF_PiEESJ_SZ_SK_SL_SM_EUlSZ_E0_NS1_11comp_targetILNS1_3genE3ELNS1_11target_archE908ELNS1_3gpuE7ELNS1_3repE0EEENS1_38merge_mergepath_config_static_selectorELNS0_4arch9wavefront6targetE1EEEvSL_
                                        ; -- End function
	.set _ZN7rocprim17ROCPRIM_400000_NS6detail17trampoline_kernelINS0_14default_configENS1_38merge_sort_block_merge_config_selectorIbiEEZZNS1_27merge_sort_block_merge_implIS3_N6thrust23THRUST_200600_302600_NS6detail15normal_iteratorINS8_10device_ptrIbEEEENSA_INSB_IiEEEEjNS1_19radix_merge_compareILb0ELb1EbNS0_19identity_decomposerEEEEE10hipError_tT0_T1_T2_jT3_P12ihipStream_tbPNSt15iterator_traitsISK_E10value_typeEPNSQ_ISL_E10value_typeEPSM_NS1_7vsmem_tEENKUlT_SK_SL_SM_E_clISD_PbSF_PiEESJ_SZ_SK_SL_SM_EUlSZ_E0_NS1_11comp_targetILNS1_3genE3ELNS1_11target_archE908ELNS1_3gpuE7ELNS1_3repE0EEENS1_38merge_mergepath_config_static_selectorELNS0_4arch9wavefront6targetE1EEEvSL_.num_vgpr, 0
	.set _ZN7rocprim17ROCPRIM_400000_NS6detail17trampoline_kernelINS0_14default_configENS1_38merge_sort_block_merge_config_selectorIbiEEZZNS1_27merge_sort_block_merge_implIS3_N6thrust23THRUST_200600_302600_NS6detail15normal_iteratorINS8_10device_ptrIbEEEENSA_INSB_IiEEEEjNS1_19radix_merge_compareILb0ELb1EbNS0_19identity_decomposerEEEEE10hipError_tT0_T1_T2_jT3_P12ihipStream_tbPNSt15iterator_traitsISK_E10value_typeEPNSQ_ISL_E10value_typeEPSM_NS1_7vsmem_tEENKUlT_SK_SL_SM_E_clISD_PbSF_PiEESJ_SZ_SK_SL_SM_EUlSZ_E0_NS1_11comp_targetILNS1_3genE3ELNS1_11target_archE908ELNS1_3gpuE7ELNS1_3repE0EEENS1_38merge_mergepath_config_static_selectorELNS0_4arch9wavefront6targetE1EEEvSL_.num_agpr, 0
	.set _ZN7rocprim17ROCPRIM_400000_NS6detail17trampoline_kernelINS0_14default_configENS1_38merge_sort_block_merge_config_selectorIbiEEZZNS1_27merge_sort_block_merge_implIS3_N6thrust23THRUST_200600_302600_NS6detail15normal_iteratorINS8_10device_ptrIbEEEENSA_INSB_IiEEEEjNS1_19radix_merge_compareILb0ELb1EbNS0_19identity_decomposerEEEEE10hipError_tT0_T1_T2_jT3_P12ihipStream_tbPNSt15iterator_traitsISK_E10value_typeEPNSQ_ISL_E10value_typeEPSM_NS1_7vsmem_tEENKUlT_SK_SL_SM_E_clISD_PbSF_PiEESJ_SZ_SK_SL_SM_EUlSZ_E0_NS1_11comp_targetILNS1_3genE3ELNS1_11target_archE908ELNS1_3gpuE7ELNS1_3repE0EEENS1_38merge_mergepath_config_static_selectorELNS0_4arch9wavefront6targetE1EEEvSL_.numbered_sgpr, 0
	.set _ZN7rocprim17ROCPRIM_400000_NS6detail17trampoline_kernelINS0_14default_configENS1_38merge_sort_block_merge_config_selectorIbiEEZZNS1_27merge_sort_block_merge_implIS3_N6thrust23THRUST_200600_302600_NS6detail15normal_iteratorINS8_10device_ptrIbEEEENSA_INSB_IiEEEEjNS1_19radix_merge_compareILb0ELb1EbNS0_19identity_decomposerEEEEE10hipError_tT0_T1_T2_jT3_P12ihipStream_tbPNSt15iterator_traitsISK_E10value_typeEPNSQ_ISL_E10value_typeEPSM_NS1_7vsmem_tEENKUlT_SK_SL_SM_E_clISD_PbSF_PiEESJ_SZ_SK_SL_SM_EUlSZ_E0_NS1_11comp_targetILNS1_3genE3ELNS1_11target_archE908ELNS1_3gpuE7ELNS1_3repE0EEENS1_38merge_mergepath_config_static_selectorELNS0_4arch9wavefront6targetE1EEEvSL_.num_named_barrier, 0
	.set _ZN7rocprim17ROCPRIM_400000_NS6detail17trampoline_kernelINS0_14default_configENS1_38merge_sort_block_merge_config_selectorIbiEEZZNS1_27merge_sort_block_merge_implIS3_N6thrust23THRUST_200600_302600_NS6detail15normal_iteratorINS8_10device_ptrIbEEEENSA_INSB_IiEEEEjNS1_19radix_merge_compareILb0ELb1EbNS0_19identity_decomposerEEEEE10hipError_tT0_T1_T2_jT3_P12ihipStream_tbPNSt15iterator_traitsISK_E10value_typeEPNSQ_ISL_E10value_typeEPSM_NS1_7vsmem_tEENKUlT_SK_SL_SM_E_clISD_PbSF_PiEESJ_SZ_SK_SL_SM_EUlSZ_E0_NS1_11comp_targetILNS1_3genE3ELNS1_11target_archE908ELNS1_3gpuE7ELNS1_3repE0EEENS1_38merge_mergepath_config_static_selectorELNS0_4arch9wavefront6targetE1EEEvSL_.private_seg_size, 0
	.set _ZN7rocprim17ROCPRIM_400000_NS6detail17trampoline_kernelINS0_14default_configENS1_38merge_sort_block_merge_config_selectorIbiEEZZNS1_27merge_sort_block_merge_implIS3_N6thrust23THRUST_200600_302600_NS6detail15normal_iteratorINS8_10device_ptrIbEEEENSA_INSB_IiEEEEjNS1_19radix_merge_compareILb0ELb1EbNS0_19identity_decomposerEEEEE10hipError_tT0_T1_T2_jT3_P12ihipStream_tbPNSt15iterator_traitsISK_E10value_typeEPNSQ_ISL_E10value_typeEPSM_NS1_7vsmem_tEENKUlT_SK_SL_SM_E_clISD_PbSF_PiEESJ_SZ_SK_SL_SM_EUlSZ_E0_NS1_11comp_targetILNS1_3genE3ELNS1_11target_archE908ELNS1_3gpuE7ELNS1_3repE0EEENS1_38merge_mergepath_config_static_selectorELNS0_4arch9wavefront6targetE1EEEvSL_.uses_vcc, 0
	.set _ZN7rocprim17ROCPRIM_400000_NS6detail17trampoline_kernelINS0_14default_configENS1_38merge_sort_block_merge_config_selectorIbiEEZZNS1_27merge_sort_block_merge_implIS3_N6thrust23THRUST_200600_302600_NS6detail15normal_iteratorINS8_10device_ptrIbEEEENSA_INSB_IiEEEEjNS1_19radix_merge_compareILb0ELb1EbNS0_19identity_decomposerEEEEE10hipError_tT0_T1_T2_jT3_P12ihipStream_tbPNSt15iterator_traitsISK_E10value_typeEPNSQ_ISL_E10value_typeEPSM_NS1_7vsmem_tEENKUlT_SK_SL_SM_E_clISD_PbSF_PiEESJ_SZ_SK_SL_SM_EUlSZ_E0_NS1_11comp_targetILNS1_3genE3ELNS1_11target_archE908ELNS1_3gpuE7ELNS1_3repE0EEENS1_38merge_mergepath_config_static_selectorELNS0_4arch9wavefront6targetE1EEEvSL_.uses_flat_scratch, 0
	.set _ZN7rocprim17ROCPRIM_400000_NS6detail17trampoline_kernelINS0_14default_configENS1_38merge_sort_block_merge_config_selectorIbiEEZZNS1_27merge_sort_block_merge_implIS3_N6thrust23THRUST_200600_302600_NS6detail15normal_iteratorINS8_10device_ptrIbEEEENSA_INSB_IiEEEEjNS1_19radix_merge_compareILb0ELb1EbNS0_19identity_decomposerEEEEE10hipError_tT0_T1_T2_jT3_P12ihipStream_tbPNSt15iterator_traitsISK_E10value_typeEPNSQ_ISL_E10value_typeEPSM_NS1_7vsmem_tEENKUlT_SK_SL_SM_E_clISD_PbSF_PiEESJ_SZ_SK_SL_SM_EUlSZ_E0_NS1_11comp_targetILNS1_3genE3ELNS1_11target_archE908ELNS1_3gpuE7ELNS1_3repE0EEENS1_38merge_mergepath_config_static_selectorELNS0_4arch9wavefront6targetE1EEEvSL_.has_dyn_sized_stack, 0
	.set _ZN7rocprim17ROCPRIM_400000_NS6detail17trampoline_kernelINS0_14default_configENS1_38merge_sort_block_merge_config_selectorIbiEEZZNS1_27merge_sort_block_merge_implIS3_N6thrust23THRUST_200600_302600_NS6detail15normal_iteratorINS8_10device_ptrIbEEEENSA_INSB_IiEEEEjNS1_19radix_merge_compareILb0ELb1EbNS0_19identity_decomposerEEEEE10hipError_tT0_T1_T2_jT3_P12ihipStream_tbPNSt15iterator_traitsISK_E10value_typeEPNSQ_ISL_E10value_typeEPSM_NS1_7vsmem_tEENKUlT_SK_SL_SM_E_clISD_PbSF_PiEESJ_SZ_SK_SL_SM_EUlSZ_E0_NS1_11comp_targetILNS1_3genE3ELNS1_11target_archE908ELNS1_3gpuE7ELNS1_3repE0EEENS1_38merge_mergepath_config_static_selectorELNS0_4arch9wavefront6targetE1EEEvSL_.has_recursion, 0
	.set _ZN7rocprim17ROCPRIM_400000_NS6detail17trampoline_kernelINS0_14default_configENS1_38merge_sort_block_merge_config_selectorIbiEEZZNS1_27merge_sort_block_merge_implIS3_N6thrust23THRUST_200600_302600_NS6detail15normal_iteratorINS8_10device_ptrIbEEEENSA_INSB_IiEEEEjNS1_19radix_merge_compareILb0ELb1EbNS0_19identity_decomposerEEEEE10hipError_tT0_T1_T2_jT3_P12ihipStream_tbPNSt15iterator_traitsISK_E10value_typeEPNSQ_ISL_E10value_typeEPSM_NS1_7vsmem_tEENKUlT_SK_SL_SM_E_clISD_PbSF_PiEESJ_SZ_SK_SL_SM_EUlSZ_E0_NS1_11comp_targetILNS1_3genE3ELNS1_11target_archE908ELNS1_3gpuE7ELNS1_3repE0EEENS1_38merge_mergepath_config_static_selectorELNS0_4arch9wavefront6targetE1EEEvSL_.has_indirect_call, 0
	.section	.AMDGPU.csdata,"",@progbits
; Kernel info:
; codeLenInByte = 0
; TotalNumSgprs: 6
; NumVgprs: 0
; NumAgprs: 0
; TotalNumVgprs: 0
; ScratchSize: 0
; MemoryBound: 0
; FloatMode: 240
; IeeeMode: 1
; LDSByteSize: 0 bytes/workgroup (compile time only)
; SGPRBlocks: 0
; VGPRBlocks: 0
; NumSGPRsForWavesPerEU: 6
; NumVGPRsForWavesPerEU: 1
; AccumOffset: 4
; Occupancy: 8
; WaveLimiterHint : 0
; COMPUTE_PGM_RSRC2:SCRATCH_EN: 0
; COMPUTE_PGM_RSRC2:USER_SGPR: 2
; COMPUTE_PGM_RSRC2:TRAP_HANDLER: 0
; COMPUTE_PGM_RSRC2:TGID_X_EN: 1
; COMPUTE_PGM_RSRC2:TGID_Y_EN: 0
; COMPUTE_PGM_RSRC2:TGID_Z_EN: 0
; COMPUTE_PGM_RSRC2:TIDIG_COMP_CNT: 0
; COMPUTE_PGM_RSRC3_GFX90A:ACCUM_OFFSET: 0
; COMPUTE_PGM_RSRC3_GFX90A:TG_SPLIT: 0
	.section	.text._ZN7rocprim17ROCPRIM_400000_NS6detail17trampoline_kernelINS0_14default_configENS1_38merge_sort_block_merge_config_selectorIbiEEZZNS1_27merge_sort_block_merge_implIS3_N6thrust23THRUST_200600_302600_NS6detail15normal_iteratorINS8_10device_ptrIbEEEENSA_INSB_IiEEEEjNS1_19radix_merge_compareILb0ELb1EbNS0_19identity_decomposerEEEEE10hipError_tT0_T1_T2_jT3_P12ihipStream_tbPNSt15iterator_traitsISK_E10value_typeEPNSQ_ISL_E10value_typeEPSM_NS1_7vsmem_tEENKUlT_SK_SL_SM_E_clISD_PbSF_PiEESJ_SZ_SK_SL_SM_EUlSZ_E0_NS1_11comp_targetILNS1_3genE2ELNS1_11target_archE906ELNS1_3gpuE6ELNS1_3repE0EEENS1_38merge_mergepath_config_static_selectorELNS0_4arch9wavefront6targetE1EEEvSL_,"axG",@progbits,_ZN7rocprim17ROCPRIM_400000_NS6detail17trampoline_kernelINS0_14default_configENS1_38merge_sort_block_merge_config_selectorIbiEEZZNS1_27merge_sort_block_merge_implIS3_N6thrust23THRUST_200600_302600_NS6detail15normal_iteratorINS8_10device_ptrIbEEEENSA_INSB_IiEEEEjNS1_19radix_merge_compareILb0ELb1EbNS0_19identity_decomposerEEEEE10hipError_tT0_T1_T2_jT3_P12ihipStream_tbPNSt15iterator_traitsISK_E10value_typeEPNSQ_ISL_E10value_typeEPSM_NS1_7vsmem_tEENKUlT_SK_SL_SM_E_clISD_PbSF_PiEESJ_SZ_SK_SL_SM_EUlSZ_E0_NS1_11comp_targetILNS1_3genE2ELNS1_11target_archE906ELNS1_3gpuE6ELNS1_3repE0EEENS1_38merge_mergepath_config_static_selectorELNS0_4arch9wavefront6targetE1EEEvSL_,comdat
	.protected	_ZN7rocprim17ROCPRIM_400000_NS6detail17trampoline_kernelINS0_14default_configENS1_38merge_sort_block_merge_config_selectorIbiEEZZNS1_27merge_sort_block_merge_implIS3_N6thrust23THRUST_200600_302600_NS6detail15normal_iteratorINS8_10device_ptrIbEEEENSA_INSB_IiEEEEjNS1_19radix_merge_compareILb0ELb1EbNS0_19identity_decomposerEEEEE10hipError_tT0_T1_T2_jT3_P12ihipStream_tbPNSt15iterator_traitsISK_E10value_typeEPNSQ_ISL_E10value_typeEPSM_NS1_7vsmem_tEENKUlT_SK_SL_SM_E_clISD_PbSF_PiEESJ_SZ_SK_SL_SM_EUlSZ_E0_NS1_11comp_targetILNS1_3genE2ELNS1_11target_archE906ELNS1_3gpuE6ELNS1_3repE0EEENS1_38merge_mergepath_config_static_selectorELNS0_4arch9wavefront6targetE1EEEvSL_ ; -- Begin function _ZN7rocprim17ROCPRIM_400000_NS6detail17trampoline_kernelINS0_14default_configENS1_38merge_sort_block_merge_config_selectorIbiEEZZNS1_27merge_sort_block_merge_implIS3_N6thrust23THRUST_200600_302600_NS6detail15normal_iteratorINS8_10device_ptrIbEEEENSA_INSB_IiEEEEjNS1_19radix_merge_compareILb0ELb1EbNS0_19identity_decomposerEEEEE10hipError_tT0_T1_T2_jT3_P12ihipStream_tbPNSt15iterator_traitsISK_E10value_typeEPNSQ_ISL_E10value_typeEPSM_NS1_7vsmem_tEENKUlT_SK_SL_SM_E_clISD_PbSF_PiEESJ_SZ_SK_SL_SM_EUlSZ_E0_NS1_11comp_targetILNS1_3genE2ELNS1_11target_archE906ELNS1_3gpuE6ELNS1_3repE0EEENS1_38merge_mergepath_config_static_selectorELNS0_4arch9wavefront6targetE1EEEvSL_
	.globl	_ZN7rocprim17ROCPRIM_400000_NS6detail17trampoline_kernelINS0_14default_configENS1_38merge_sort_block_merge_config_selectorIbiEEZZNS1_27merge_sort_block_merge_implIS3_N6thrust23THRUST_200600_302600_NS6detail15normal_iteratorINS8_10device_ptrIbEEEENSA_INSB_IiEEEEjNS1_19radix_merge_compareILb0ELb1EbNS0_19identity_decomposerEEEEE10hipError_tT0_T1_T2_jT3_P12ihipStream_tbPNSt15iterator_traitsISK_E10value_typeEPNSQ_ISL_E10value_typeEPSM_NS1_7vsmem_tEENKUlT_SK_SL_SM_E_clISD_PbSF_PiEESJ_SZ_SK_SL_SM_EUlSZ_E0_NS1_11comp_targetILNS1_3genE2ELNS1_11target_archE906ELNS1_3gpuE6ELNS1_3repE0EEENS1_38merge_mergepath_config_static_selectorELNS0_4arch9wavefront6targetE1EEEvSL_
	.p2align	8
	.type	_ZN7rocprim17ROCPRIM_400000_NS6detail17trampoline_kernelINS0_14default_configENS1_38merge_sort_block_merge_config_selectorIbiEEZZNS1_27merge_sort_block_merge_implIS3_N6thrust23THRUST_200600_302600_NS6detail15normal_iteratorINS8_10device_ptrIbEEEENSA_INSB_IiEEEEjNS1_19radix_merge_compareILb0ELb1EbNS0_19identity_decomposerEEEEE10hipError_tT0_T1_T2_jT3_P12ihipStream_tbPNSt15iterator_traitsISK_E10value_typeEPNSQ_ISL_E10value_typeEPSM_NS1_7vsmem_tEENKUlT_SK_SL_SM_E_clISD_PbSF_PiEESJ_SZ_SK_SL_SM_EUlSZ_E0_NS1_11comp_targetILNS1_3genE2ELNS1_11target_archE906ELNS1_3gpuE6ELNS1_3repE0EEENS1_38merge_mergepath_config_static_selectorELNS0_4arch9wavefront6targetE1EEEvSL_,@function
_ZN7rocprim17ROCPRIM_400000_NS6detail17trampoline_kernelINS0_14default_configENS1_38merge_sort_block_merge_config_selectorIbiEEZZNS1_27merge_sort_block_merge_implIS3_N6thrust23THRUST_200600_302600_NS6detail15normal_iteratorINS8_10device_ptrIbEEEENSA_INSB_IiEEEEjNS1_19radix_merge_compareILb0ELb1EbNS0_19identity_decomposerEEEEE10hipError_tT0_T1_T2_jT3_P12ihipStream_tbPNSt15iterator_traitsISK_E10value_typeEPNSQ_ISL_E10value_typeEPSM_NS1_7vsmem_tEENKUlT_SK_SL_SM_E_clISD_PbSF_PiEESJ_SZ_SK_SL_SM_EUlSZ_E0_NS1_11comp_targetILNS1_3genE2ELNS1_11target_archE906ELNS1_3gpuE6ELNS1_3repE0EEENS1_38merge_mergepath_config_static_selectorELNS0_4arch9wavefront6targetE1EEEvSL_: ; @_ZN7rocprim17ROCPRIM_400000_NS6detail17trampoline_kernelINS0_14default_configENS1_38merge_sort_block_merge_config_selectorIbiEEZZNS1_27merge_sort_block_merge_implIS3_N6thrust23THRUST_200600_302600_NS6detail15normal_iteratorINS8_10device_ptrIbEEEENSA_INSB_IiEEEEjNS1_19radix_merge_compareILb0ELb1EbNS0_19identity_decomposerEEEEE10hipError_tT0_T1_T2_jT3_P12ihipStream_tbPNSt15iterator_traitsISK_E10value_typeEPNSQ_ISL_E10value_typeEPSM_NS1_7vsmem_tEENKUlT_SK_SL_SM_E_clISD_PbSF_PiEESJ_SZ_SK_SL_SM_EUlSZ_E0_NS1_11comp_targetILNS1_3genE2ELNS1_11target_archE906ELNS1_3gpuE6ELNS1_3repE0EEENS1_38merge_mergepath_config_static_selectorELNS0_4arch9wavefront6targetE1EEEvSL_
; %bb.0:
	.section	.rodata,"a",@progbits
	.p2align	6, 0x0
	.amdhsa_kernel _ZN7rocprim17ROCPRIM_400000_NS6detail17trampoline_kernelINS0_14default_configENS1_38merge_sort_block_merge_config_selectorIbiEEZZNS1_27merge_sort_block_merge_implIS3_N6thrust23THRUST_200600_302600_NS6detail15normal_iteratorINS8_10device_ptrIbEEEENSA_INSB_IiEEEEjNS1_19radix_merge_compareILb0ELb1EbNS0_19identity_decomposerEEEEE10hipError_tT0_T1_T2_jT3_P12ihipStream_tbPNSt15iterator_traitsISK_E10value_typeEPNSQ_ISL_E10value_typeEPSM_NS1_7vsmem_tEENKUlT_SK_SL_SM_E_clISD_PbSF_PiEESJ_SZ_SK_SL_SM_EUlSZ_E0_NS1_11comp_targetILNS1_3genE2ELNS1_11target_archE906ELNS1_3gpuE6ELNS1_3repE0EEENS1_38merge_mergepath_config_static_selectorELNS0_4arch9wavefront6targetE1EEEvSL_
		.amdhsa_group_segment_fixed_size 0
		.amdhsa_private_segment_fixed_size 0
		.amdhsa_kernarg_size 64
		.amdhsa_user_sgpr_count 2
		.amdhsa_user_sgpr_dispatch_ptr 0
		.amdhsa_user_sgpr_queue_ptr 0
		.amdhsa_user_sgpr_kernarg_segment_ptr 1
		.amdhsa_user_sgpr_dispatch_id 0
		.amdhsa_user_sgpr_kernarg_preload_length 0
		.amdhsa_user_sgpr_kernarg_preload_offset 0
		.amdhsa_user_sgpr_private_segment_size 0
		.amdhsa_uses_dynamic_stack 0
		.amdhsa_enable_private_segment 0
		.amdhsa_system_sgpr_workgroup_id_x 1
		.amdhsa_system_sgpr_workgroup_id_y 0
		.amdhsa_system_sgpr_workgroup_id_z 0
		.amdhsa_system_sgpr_workgroup_info 0
		.amdhsa_system_vgpr_workitem_id 0
		.amdhsa_next_free_vgpr 1
		.amdhsa_next_free_sgpr 0
		.amdhsa_accum_offset 4
		.amdhsa_reserve_vcc 0
		.amdhsa_float_round_mode_32 0
		.amdhsa_float_round_mode_16_64 0
		.amdhsa_float_denorm_mode_32 3
		.amdhsa_float_denorm_mode_16_64 3
		.amdhsa_dx10_clamp 1
		.amdhsa_ieee_mode 1
		.amdhsa_fp16_overflow 0
		.amdhsa_tg_split 0
		.amdhsa_exception_fp_ieee_invalid_op 0
		.amdhsa_exception_fp_denorm_src 0
		.amdhsa_exception_fp_ieee_div_zero 0
		.amdhsa_exception_fp_ieee_overflow 0
		.amdhsa_exception_fp_ieee_underflow 0
		.amdhsa_exception_fp_ieee_inexact 0
		.amdhsa_exception_int_div_zero 0
	.end_amdhsa_kernel
	.section	.text._ZN7rocprim17ROCPRIM_400000_NS6detail17trampoline_kernelINS0_14default_configENS1_38merge_sort_block_merge_config_selectorIbiEEZZNS1_27merge_sort_block_merge_implIS3_N6thrust23THRUST_200600_302600_NS6detail15normal_iteratorINS8_10device_ptrIbEEEENSA_INSB_IiEEEEjNS1_19radix_merge_compareILb0ELb1EbNS0_19identity_decomposerEEEEE10hipError_tT0_T1_T2_jT3_P12ihipStream_tbPNSt15iterator_traitsISK_E10value_typeEPNSQ_ISL_E10value_typeEPSM_NS1_7vsmem_tEENKUlT_SK_SL_SM_E_clISD_PbSF_PiEESJ_SZ_SK_SL_SM_EUlSZ_E0_NS1_11comp_targetILNS1_3genE2ELNS1_11target_archE906ELNS1_3gpuE6ELNS1_3repE0EEENS1_38merge_mergepath_config_static_selectorELNS0_4arch9wavefront6targetE1EEEvSL_,"axG",@progbits,_ZN7rocprim17ROCPRIM_400000_NS6detail17trampoline_kernelINS0_14default_configENS1_38merge_sort_block_merge_config_selectorIbiEEZZNS1_27merge_sort_block_merge_implIS3_N6thrust23THRUST_200600_302600_NS6detail15normal_iteratorINS8_10device_ptrIbEEEENSA_INSB_IiEEEEjNS1_19radix_merge_compareILb0ELb1EbNS0_19identity_decomposerEEEEE10hipError_tT0_T1_T2_jT3_P12ihipStream_tbPNSt15iterator_traitsISK_E10value_typeEPNSQ_ISL_E10value_typeEPSM_NS1_7vsmem_tEENKUlT_SK_SL_SM_E_clISD_PbSF_PiEESJ_SZ_SK_SL_SM_EUlSZ_E0_NS1_11comp_targetILNS1_3genE2ELNS1_11target_archE906ELNS1_3gpuE6ELNS1_3repE0EEENS1_38merge_mergepath_config_static_selectorELNS0_4arch9wavefront6targetE1EEEvSL_,comdat
.Lfunc_end2003:
	.size	_ZN7rocprim17ROCPRIM_400000_NS6detail17trampoline_kernelINS0_14default_configENS1_38merge_sort_block_merge_config_selectorIbiEEZZNS1_27merge_sort_block_merge_implIS3_N6thrust23THRUST_200600_302600_NS6detail15normal_iteratorINS8_10device_ptrIbEEEENSA_INSB_IiEEEEjNS1_19radix_merge_compareILb0ELb1EbNS0_19identity_decomposerEEEEE10hipError_tT0_T1_T2_jT3_P12ihipStream_tbPNSt15iterator_traitsISK_E10value_typeEPNSQ_ISL_E10value_typeEPSM_NS1_7vsmem_tEENKUlT_SK_SL_SM_E_clISD_PbSF_PiEESJ_SZ_SK_SL_SM_EUlSZ_E0_NS1_11comp_targetILNS1_3genE2ELNS1_11target_archE906ELNS1_3gpuE6ELNS1_3repE0EEENS1_38merge_mergepath_config_static_selectorELNS0_4arch9wavefront6targetE1EEEvSL_, .Lfunc_end2003-_ZN7rocprim17ROCPRIM_400000_NS6detail17trampoline_kernelINS0_14default_configENS1_38merge_sort_block_merge_config_selectorIbiEEZZNS1_27merge_sort_block_merge_implIS3_N6thrust23THRUST_200600_302600_NS6detail15normal_iteratorINS8_10device_ptrIbEEEENSA_INSB_IiEEEEjNS1_19radix_merge_compareILb0ELb1EbNS0_19identity_decomposerEEEEE10hipError_tT0_T1_T2_jT3_P12ihipStream_tbPNSt15iterator_traitsISK_E10value_typeEPNSQ_ISL_E10value_typeEPSM_NS1_7vsmem_tEENKUlT_SK_SL_SM_E_clISD_PbSF_PiEESJ_SZ_SK_SL_SM_EUlSZ_E0_NS1_11comp_targetILNS1_3genE2ELNS1_11target_archE906ELNS1_3gpuE6ELNS1_3repE0EEENS1_38merge_mergepath_config_static_selectorELNS0_4arch9wavefront6targetE1EEEvSL_
                                        ; -- End function
	.set _ZN7rocprim17ROCPRIM_400000_NS6detail17trampoline_kernelINS0_14default_configENS1_38merge_sort_block_merge_config_selectorIbiEEZZNS1_27merge_sort_block_merge_implIS3_N6thrust23THRUST_200600_302600_NS6detail15normal_iteratorINS8_10device_ptrIbEEEENSA_INSB_IiEEEEjNS1_19radix_merge_compareILb0ELb1EbNS0_19identity_decomposerEEEEE10hipError_tT0_T1_T2_jT3_P12ihipStream_tbPNSt15iterator_traitsISK_E10value_typeEPNSQ_ISL_E10value_typeEPSM_NS1_7vsmem_tEENKUlT_SK_SL_SM_E_clISD_PbSF_PiEESJ_SZ_SK_SL_SM_EUlSZ_E0_NS1_11comp_targetILNS1_3genE2ELNS1_11target_archE906ELNS1_3gpuE6ELNS1_3repE0EEENS1_38merge_mergepath_config_static_selectorELNS0_4arch9wavefront6targetE1EEEvSL_.num_vgpr, 0
	.set _ZN7rocprim17ROCPRIM_400000_NS6detail17trampoline_kernelINS0_14default_configENS1_38merge_sort_block_merge_config_selectorIbiEEZZNS1_27merge_sort_block_merge_implIS3_N6thrust23THRUST_200600_302600_NS6detail15normal_iteratorINS8_10device_ptrIbEEEENSA_INSB_IiEEEEjNS1_19radix_merge_compareILb0ELb1EbNS0_19identity_decomposerEEEEE10hipError_tT0_T1_T2_jT3_P12ihipStream_tbPNSt15iterator_traitsISK_E10value_typeEPNSQ_ISL_E10value_typeEPSM_NS1_7vsmem_tEENKUlT_SK_SL_SM_E_clISD_PbSF_PiEESJ_SZ_SK_SL_SM_EUlSZ_E0_NS1_11comp_targetILNS1_3genE2ELNS1_11target_archE906ELNS1_3gpuE6ELNS1_3repE0EEENS1_38merge_mergepath_config_static_selectorELNS0_4arch9wavefront6targetE1EEEvSL_.num_agpr, 0
	.set _ZN7rocprim17ROCPRIM_400000_NS6detail17trampoline_kernelINS0_14default_configENS1_38merge_sort_block_merge_config_selectorIbiEEZZNS1_27merge_sort_block_merge_implIS3_N6thrust23THRUST_200600_302600_NS6detail15normal_iteratorINS8_10device_ptrIbEEEENSA_INSB_IiEEEEjNS1_19radix_merge_compareILb0ELb1EbNS0_19identity_decomposerEEEEE10hipError_tT0_T1_T2_jT3_P12ihipStream_tbPNSt15iterator_traitsISK_E10value_typeEPNSQ_ISL_E10value_typeEPSM_NS1_7vsmem_tEENKUlT_SK_SL_SM_E_clISD_PbSF_PiEESJ_SZ_SK_SL_SM_EUlSZ_E0_NS1_11comp_targetILNS1_3genE2ELNS1_11target_archE906ELNS1_3gpuE6ELNS1_3repE0EEENS1_38merge_mergepath_config_static_selectorELNS0_4arch9wavefront6targetE1EEEvSL_.numbered_sgpr, 0
	.set _ZN7rocprim17ROCPRIM_400000_NS6detail17trampoline_kernelINS0_14default_configENS1_38merge_sort_block_merge_config_selectorIbiEEZZNS1_27merge_sort_block_merge_implIS3_N6thrust23THRUST_200600_302600_NS6detail15normal_iteratorINS8_10device_ptrIbEEEENSA_INSB_IiEEEEjNS1_19radix_merge_compareILb0ELb1EbNS0_19identity_decomposerEEEEE10hipError_tT0_T1_T2_jT3_P12ihipStream_tbPNSt15iterator_traitsISK_E10value_typeEPNSQ_ISL_E10value_typeEPSM_NS1_7vsmem_tEENKUlT_SK_SL_SM_E_clISD_PbSF_PiEESJ_SZ_SK_SL_SM_EUlSZ_E0_NS1_11comp_targetILNS1_3genE2ELNS1_11target_archE906ELNS1_3gpuE6ELNS1_3repE0EEENS1_38merge_mergepath_config_static_selectorELNS0_4arch9wavefront6targetE1EEEvSL_.num_named_barrier, 0
	.set _ZN7rocprim17ROCPRIM_400000_NS6detail17trampoline_kernelINS0_14default_configENS1_38merge_sort_block_merge_config_selectorIbiEEZZNS1_27merge_sort_block_merge_implIS3_N6thrust23THRUST_200600_302600_NS6detail15normal_iteratorINS8_10device_ptrIbEEEENSA_INSB_IiEEEEjNS1_19radix_merge_compareILb0ELb1EbNS0_19identity_decomposerEEEEE10hipError_tT0_T1_T2_jT3_P12ihipStream_tbPNSt15iterator_traitsISK_E10value_typeEPNSQ_ISL_E10value_typeEPSM_NS1_7vsmem_tEENKUlT_SK_SL_SM_E_clISD_PbSF_PiEESJ_SZ_SK_SL_SM_EUlSZ_E0_NS1_11comp_targetILNS1_3genE2ELNS1_11target_archE906ELNS1_3gpuE6ELNS1_3repE0EEENS1_38merge_mergepath_config_static_selectorELNS0_4arch9wavefront6targetE1EEEvSL_.private_seg_size, 0
	.set _ZN7rocprim17ROCPRIM_400000_NS6detail17trampoline_kernelINS0_14default_configENS1_38merge_sort_block_merge_config_selectorIbiEEZZNS1_27merge_sort_block_merge_implIS3_N6thrust23THRUST_200600_302600_NS6detail15normal_iteratorINS8_10device_ptrIbEEEENSA_INSB_IiEEEEjNS1_19radix_merge_compareILb0ELb1EbNS0_19identity_decomposerEEEEE10hipError_tT0_T1_T2_jT3_P12ihipStream_tbPNSt15iterator_traitsISK_E10value_typeEPNSQ_ISL_E10value_typeEPSM_NS1_7vsmem_tEENKUlT_SK_SL_SM_E_clISD_PbSF_PiEESJ_SZ_SK_SL_SM_EUlSZ_E0_NS1_11comp_targetILNS1_3genE2ELNS1_11target_archE906ELNS1_3gpuE6ELNS1_3repE0EEENS1_38merge_mergepath_config_static_selectorELNS0_4arch9wavefront6targetE1EEEvSL_.uses_vcc, 0
	.set _ZN7rocprim17ROCPRIM_400000_NS6detail17trampoline_kernelINS0_14default_configENS1_38merge_sort_block_merge_config_selectorIbiEEZZNS1_27merge_sort_block_merge_implIS3_N6thrust23THRUST_200600_302600_NS6detail15normal_iteratorINS8_10device_ptrIbEEEENSA_INSB_IiEEEEjNS1_19radix_merge_compareILb0ELb1EbNS0_19identity_decomposerEEEEE10hipError_tT0_T1_T2_jT3_P12ihipStream_tbPNSt15iterator_traitsISK_E10value_typeEPNSQ_ISL_E10value_typeEPSM_NS1_7vsmem_tEENKUlT_SK_SL_SM_E_clISD_PbSF_PiEESJ_SZ_SK_SL_SM_EUlSZ_E0_NS1_11comp_targetILNS1_3genE2ELNS1_11target_archE906ELNS1_3gpuE6ELNS1_3repE0EEENS1_38merge_mergepath_config_static_selectorELNS0_4arch9wavefront6targetE1EEEvSL_.uses_flat_scratch, 0
	.set _ZN7rocprim17ROCPRIM_400000_NS6detail17trampoline_kernelINS0_14default_configENS1_38merge_sort_block_merge_config_selectorIbiEEZZNS1_27merge_sort_block_merge_implIS3_N6thrust23THRUST_200600_302600_NS6detail15normal_iteratorINS8_10device_ptrIbEEEENSA_INSB_IiEEEEjNS1_19radix_merge_compareILb0ELb1EbNS0_19identity_decomposerEEEEE10hipError_tT0_T1_T2_jT3_P12ihipStream_tbPNSt15iterator_traitsISK_E10value_typeEPNSQ_ISL_E10value_typeEPSM_NS1_7vsmem_tEENKUlT_SK_SL_SM_E_clISD_PbSF_PiEESJ_SZ_SK_SL_SM_EUlSZ_E0_NS1_11comp_targetILNS1_3genE2ELNS1_11target_archE906ELNS1_3gpuE6ELNS1_3repE0EEENS1_38merge_mergepath_config_static_selectorELNS0_4arch9wavefront6targetE1EEEvSL_.has_dyn_sized_stack, 0
	.set _ZN7rocprim17ROCPRIM_400000_NS6detail17trampoline_kernelINS0_14default_configENS1_38merge_sort_block_merge_config_selectorIbiEEZZNS1_27merge_sort_block_merge_implIS3_N6thrust23THRUST_200600_302600_NS6detail15normal_iteratorINS8_10device_ptrIbEEEENSA_INSB_IiEEEEjNS1_19radix_merge_compareILb0ELb1EbNS0_19identity_decomposerEEEEE10hipError_tT0_T1_T2_jT3_P12ihipStream_tbPNSt15iterator_traitsISK_E10value_typeEPNSQ_ISL_E10value_typeEPSM_NS1_7vsmem_tEENKUlT_SK_SL_SM_E_clISD_PbSF_PiEESJ_SZ_SK_SL_SM_EUlSZ_E0_NS1_11comp_targetILNS1_3genE2ELNS1_11target_archE906ELNS1_3gpuE6ELNS1_3repE0EEENS1_38merge_mergepath_config_static_selectorELNS0_4arch9wavefront6targetE1EEEvSL_.has_recursion, 0
	.set _ZN7rocprim17ROCPRIM_400000_NS6detail17trampoline_kernelINS0_14default_configENS1_38merge_sort_block_merge_config_selectorIbiEEZZNS1_27merge_sort_block_merge_implIS3_N6thrust23THRUST_200600_302600_NS6detail15normal_iteratorINS8_10device_ptrIbEEEENSA_INSB_IiEEEEjNS1_19radix_merge_compareILb0ELb1EbNS0_19identity_decomposerEEEEE10hipError_tT0_T1_T2_jT3_P12ihipStream_tbPNSt15iterator_traitsISK_E10value_typeEPNSQ_ISL_E10value_typeEPSM_NS1_7vsmem_tEENKUlT_SK_SL_SM_E_clISD_PbSF_PiEESJ_SZ_SK_SL_SM_EUlSZ_E0_NS1_11comp_targetILNS1_3genE2ELNS1_11target_archE906ELNS1_3gpuE6ELNS1_3repE0EEENS1_38merge_mergepath_config_static_selectorELNS0_4arch9wavefront6targetE1EEEvSL_.has_indirect_call, 0
	.section	.AMDGPU.csdata,"",@progbits
; Kernel info:
; codeLenInByte = 0
; TotalNumSgprs: 6
; NumVgprs: 0
; NumAgprs: 0
; TotalNumVgprs: 0
; ScratchSize: 0
; MemoryBound: 0
; FloatMode: 240
; IeeeMode: 1
; LDSByteSize: 0 bytes/workgroup (compile time only)
; SGPRBlocks: 0
; VGPRBlocks: 0
; NumSGPRsForWavesPerEU: 6
; NumVGPRsForWavesPerEU: 1
; AccumOffset: 4
; Occupancy: 8
; WaveLimiterHint : 0
; COMPUTE_PGM_RSRC2:SCRATCH_EN: 0
; COMPUTE_PGM_RSRC2:USER_SGPR: 2
; COMPUTE_PGM_RSRC2:TRAP_HANDLER: 0
; COMPUTE_PGM_RSRC2:TGID_X_EN: 1
; COMPUTE_PGM_RSRC2:TGID_Y_EN: 0
; COMPUTE_PGM_RSRC2:TGID_Z_EN: 0
; COMPUTE_PGM_RSRC2:TIDIG_COMP_CNT: 0
; COMPUTE_PGM_RSRC3_GFX90A:ACCUM_OFFSET: 0
; COMPUTE_PGM_RSRC3_GFX90A:TG_SPLIT: 0
	.section	.text._ZN7rocprim17ROCPRIM_400000_NS6detail17trampoline_kernelINS0_14default_configENS1_38merge_sort_block_merge_config_selectorIbiEEZZNS1_27merge_sort_block_merge_implIS3_N6thrust23THRUST_200600_302600_NS6detail15normal_iteratorINS8_10device_ptrIbEEEENSA_INSB_IiEEEEjNS1_19radix_merge_compareILb0ELb1EbNS0_19identity_decomposerEEEEE10hipError_tT0_T1_T2_jT3_P12ihipStream_tbPNSt15iterator_traitsISK_E10value_typeEPNSQ_ISL_E10value_typeEPSM_NS1_7vsmem_tEENKUlT_SK_SL_SM_E_clISD_PbSF_PiEESJ_SZ_SK_SL_SM_EUlSZ_E0_NS1_11comp_targetILNS1_3genE9ELNS1_11target_archE1100ELNS1_3gpuE3ELNS1_3repE0EEENS1_38merge_mergepath_config_static_selectorELNS0_4arch9wavefront6targetE1EEEvSL_,"axG",@progbits,_ZN7rocprim17ROCPRIM_400000_NS6detail17trampoline_kernelINS0_14default_configENS1_38merge_sort_block_merge_config_selectorIbiEEZZNS1_27merge_sort_block_merge_implIS3_N6thrust23THRUST_200600_302600_NS6detail15normal_iteratorINS8_10device_ptrIbEEEENSA_INSB_IiEEEEjNS1_19radix_merge_compareILb0ELb1EbNS0_19identity_decomposerEEEEE10hipError_tT0_T1_T2_jT3_P12ihipStream_tbPNSt15iterator_traitsISK_E10value_typeEPNSQ_ISL_E10value_typeEPSM_NS1_7vsmem_tEENKUlT_SK_SL_SM_E_clISD_PbSF_PiEESJ_SZ_SK_SL_SM_EUlSZ_E0_NS1_11comp_targetILNS1_3genE9ELNS1_11target_archE1100ELNS1_3gpuE3ELNS1_3repE0EEENS1_38merge_mergepath_config_static_selectorELNS0_4arch9wavefront6targetE1EEEvSL_,comdat
	.protected	_ZN7rocprim17ROCPRIM_400000_NS6detail17trampoline_kernelINS0_14default_configENS1_38merge_sort_block_merge_config_selectorIbiEEZZNS1_27merge_sort_block_merge_implIS3_N6thrust23THRUST_200600_302600_NS6detail15normal_iteratorINS8_10device_ptrIbEEEENSA_INSB_IiEEEEjNS1_19radix_merge_compareILb0ELb1EbNS0_19identity_decomposerEEEEE10hipError_tT0_T1_T2_jT3_P12ihipStream_tbPNSt15iterator_traitsISK_E10value_typeEPNSQ_ISL_E10value_typeEPSM_NS1_7vsmem_tEENKUlT_SK_SL_SM_E_clISD_PbSF_PiEESJ_SZ_SK_SL_SM_EUlSZ_E0_NS1_11comp_targetILNS1_3genE9ELNS1_11target_archE1100ELNS1_3gpuE3ELNS1_3repE0EEENS1_38merge_mergepath_config_static_selectorELNS0_4arch9wavefront6targetE1EEEvSL_ ; -- Begin function _ZN7rocprim17ROCPRIM_400000_NS6detail17trampoline_kernelINS0_14default_configENS1_38merge_sort_block_merge_config_selectorIbiEEZZNS1_27merge_sort_block_merge_implIS3_N6thrust23THRUST_200600_302600_NS6detail15normal_iteratorINS8_10device_ptrIbEEEENSA_INSB_IiEEEEjNS1_19radix_merge_compareILb0ELb1EbNS0_19identity_decomposerEEEEE10hipError_tT0_T1_T2_jT3_P12ihipStream_tbPNSt15iterator_traitsISK_E10value_typeEPNSQ_ISL_E10value_typeEPSM_NS1_7vsmem_tEENKUlT_SK_SL_SM_E_clISD_PbSF_PiEESJ_SZ_SK_SL_SM_EUlSZ_E0_NS1_11comp_targetILNS1_3genE9ELNS1_11target_archE1100ELNS1_3gpuE3ELNS1_3repE0EEENS1_38merge_mergepath_config_static_selectorELNS0_4arch9wavefront6targetE1EEEvSL_
	.globl	_ZN7rocprim17ROCPRIM_400000_NS6detail17trampoline_kernelINS0_14default_configENS1_38merge_sort_block_merge_config_selectorIbiEEZZNS1_27merge_sort_block_merge_implIS3_N6thrust23THRUST_200600_302600_NS6detail15normal_iteratorINS8_10device_ptrIbEEEENSA_INSB_IiEEEEjNS1_19radix_merge_compareILb0ELb1EbNS0_19identity_decomposerEEEEE10hipError_tT0_T1_T2_jT3_P12ihipStream_tbPNSt15iterator_traitsISK_E10value_typeEPNSQ_ISL_E10value_typeEPSM_NS1_7vsmem_tEENKUlT_SK_SL_SM_E_clISD_PbSF_PiEESJ_SZ_SK_SL_SM_EUlSZ_E0_NS1_11comp_targetILNS1_3genE9ELNS1_11target_archE1100ELNS1_3gpuE3ELNS1_3repE0EEENS1_38merge_mergepath_config_static_selectorELNS0_4arch9wavefront6targetE1EEEvSL_
	.p2align	8
	.type	_ZN7rocprim17ROCPRIM_400000_NS6detail17trampoline_kernelINS0_14default_configENS1_38merge_sort_block_merge_config_selectorIbiEEZZNS1_27merge_sort_block_merge_implIS3_N6thrust23THRUST_200600_302600_NS6detail15normal_iteratorINS8_10device_ptrIbEEEENSA_INSB_IiEEEEjNS1_19radix_merge_compareILb0ELb1EbNS0_19identity_decomposerEEEEE10hipError_tT0_T1_T2_jT3_P12ihipStream_tbPNSt15iterator_traitsISK_E10value_typeEPNSQ_ISL_E10value_typeEPSM_NS1_7vsmem_tEENKUlT_SK_SL_SM_E_clISD_PbSF_PiEESJ_SZ_SK_SL_SM_EUlSZ_E0_NS1_11comp_targetILNS1_3genE9ELNS1_11target_archE1100ELNS1_3gpuE3ELNS1_3repE0EEENS1_38merge_mergepath_config_static_selectorELNS0_4arch9wavefront6targetE1EEEvSL_,@function
_ZN7rocprim17ROCPRIM_400000_NS6detail17trampoline_kernelINS0_14default_configENS1_38merge_sort_block_merge_config_selectorIbiEEZZNS1_27merge_sort_block_merge_implIS3_N6thrust23THRUST_200600_302600_NS6detail15normal_iteratorINS8_10device_ptrIbEEEENSA_INSB_IiEEEEjNS1_19radix_merge_compareILb0ELb1EbNS0_19identity_decomposerEEEEE10hipError_tT0_T1_T2_jT3_P12ihipStream_tbPNSt15iterator_traitsISK_E10value_typeEPNSQ_ISL_E10value_typeEPSM_NS1_7vsmem_tEENKUlT_SK_SL_SM_E_clISD_PbSF_PiEESJ_SZ_SK_SL_SM_EUlSZ_E0_NS1_11comp_targetILNS1_3genE9ELNS1_11target_archE1100ELNS1_3gpuE3ELNS1_3repE0EEENS1_38merge_mergepath_config_static_selectorELNS0_4arch9wavefront6targetE1EEEvSL_: ; @_ZN7rocprim17ROCPRIM_400000_NS6detail17trampoline_kernelINS0_14default_configENS1_38merge_sort_block_merge_config_selectorIbiEEZZNS1_27merge_sort_block_merge_implIS3_N6thrust23THRUST_200600_302600_NS6detail15normal_iteratorINS8_10device_ptrIbEEEENSA_INSB_IiEEEEjNS1_19radix_merge_compareILb0ELb1EbNS0_19identity_decomposerEEEEE10hipError_tT0_T1_T2_jT3_P12ihipStream_tbPNSt15iterator_traitsISK_E10value_typeEPNSQ_ISL_E10value_typeEPSM_NS1_7vsmem_tEENKUlT_SK_SL_SM_E_clISD_PbSF_PiEESJ_SZ_SK_SL_SM_EUlSZ_E0_NS1_11comp_targetILNS1_3genE9ELNS1_11target_archE1100ELNS1_3gpuE3ELNS1_3repE0EEENS1_38merge_mergepath_config_static_selectorELNS0_4arch9wavefront6targetE1EEEvSL_
; %bb.0:
	.section	.rodata,"a",@progbits
	.p2align	6, 0x0
	.amdhsa_kernel _ZN7rocprim17ROCPRIM_400000_NS6detail17trampoline_kernelINS0_14default_configENS1_38merge_sort_block_merge_config_selectorIbiEEZZNS1_27merge_sort_block_merge_implIS3_N6thrust23THRUST_200600_302600_NS6detail15normal_iteratorINS8_10device_ptrIbEEEENSA_INSB_IiEEEEjNS1_19radix_merge_compareILb0ELb1EbNS0_19identity_decomposerEEEEE10hipError_tT0_T1_T2_jT3_P12ihipStream_tbPNSt15iterator_traitsISK_E10value_typeEPNSQ_ISL_E10value_typeEPSM_NS1_7vsmem_tEENKUlT_SK_SL_SM_E_clISD_PbSF_PiEESJ_SZ_SK_SL_SM_EUlSZ_E0_NS1_11comp_targetILNS1_3genE9ELNS1_11target_archE1100ELNS1_3gpuE3ELNS1_3repE0EEENS1_38merge_mergepath_config_static_selectorELNS0_4arch9wavefront6targetE1EEEvSL_
		.amdhsa_group_segment_fixed_size 0
		.amdhsa_private_segment_fixed_size 0
		.amdhsa_kernarg_size 64
		.amdhsa_user_sgpr_count 2
		.amdhsa_user_sgpr_dispatch_ptr 0
		.amdhsa_user_sgpr_queue_ptr 0
		.amdhsa_user_sgpr_kernarg_segment_ptr 1
		.amdhsa_user_sgpr_dispatch_id 0
		.amdhsa_user_sgpr_kernarg_preload_length 0
		.amdhsa_user_sgpr_kernarg_preload_offset 0
		.amdhsa_user_sgpr_private_segment_size 0
		.amdhsa_uses_dynamic_stack 0
		.amdhsa_enable_private_segment 0
		.amdhsa_system_sgpr_workgroup_id_x 1
		.amdhsa_system_sgpr_workgroup_id_y 0
		.amdhsa_system_sgpr_workgroup_id_z 0
		.amdhsa_system_sgpr_workgroup_info 0
		.amdhsa_system_vgpr_workitem_id 0
		.amdhsa_next_free_vgpr 1
		.amdhsa_next_free_sgpr 0
		.amdhsa_accum_offset 4
		.amdhsa_reserve_vcc 0
		.amdhsa_float_round_mode_32 0
		.amdhsa_float_round_mode_16_64 0
		.amdhsa_float_denorm_mode_32 3
		.amdhsa_float_denorm_mode_16_64 3
		.amdhsa_dx10_clamp 1
		.amdhsa_ieee_mode 1
		.amdhsa_fp16_overflow 0
		.amdhsa_tg_split 0
		.amdhsa_exception_fp_ieee_invalid_op 0
		.amdhsa_exception_fp_denorm_src 0
		.amdhsa_exception_fp_ieee_div_zero 0
		.amdhsa_exception_fp_ieee_overflow 0
		.amdhsa_exception_fp_ieee_underflow 0
		.amdhsa_exception_fp_ieee_inexact 0
		.amdhsa_exception_int_div_zero 0
	.end_amdhsa_kernel
	.section	.text._ZN7rocprim17ROCPRIM_400000_NS6detail17trampoline_kernelINS0_14default_configENS1_38merge_sort_block_merge_config_selectorIbiEEZZNS1_27merge_sort_block_merge_implIS3_N6thrust23THRUST_200600_302600_NS6detail15normal_iteratorINS8_10device_ptrIbEEEENSA_INSB_IiEEEEjNS1_19radix_merge_compareILb0ELb1EbNS0_19identity_decomposerEEEEE10hipError_tT0_T1_T2_jT3_P12ihipStream_tbPNSt15iterator_traitsISK_E10value_typeEPNSQ_ISL_E10value_typeEPSM_NS1_7vsmem_tEENKUlT_SK_SL_SM_E_clISD_PbSF_PiEESJ_SZ_SK_SL_SM_EUlSZ_E0_NS1_11comp_targetILNS1_3genE9ELNS1_11target_archE1100ELNS1_3gpuE3ELNS1_3repE0EEENS1_38merge_mergepath_config_static_selectorELNS0_4arch9wavefront6targetE1EEEvSL_,"axG",@progbits,_ZN7rocprim17ROCPRIM_400000_NS6detail17trampoline_kernelINS0_14default_configENS1_38merge_sort_block_merge_config_selectorIbiEEZZNS1_27merge_sort_block_merge_implIS3_N6thrust23THRUST_200600_302600_NS6detail15normal_iteratorINS8_10device_ptrIbEEEENSA_INSB_IiEEEEjNS1_19radix_merge_compareILb0ELb1EbNS0_19identity_decomposerEEEEE10hipError_tT0_T1_T2_jT3_P12ihipStream_tbPNSt15iterator_traitsISK_E10value_typeEPNSQ_ISL_E10value_typeEPSM_NS1_7vsmem_tEENKUlT_SK_SL_SM_E_clISD_PbSF_PiEESJ_SZ_SK_SL_SM_EUlSZ_E0_NS1_11comp_targetILNS1_3genE9ELNS1_11target_archE1100ELNS1_3gpuE3ELNS1_3repE0EEENS1_38merge_mergepath_config_static_selectorELNS0_4arch9wavefront6targetE1EEEvSL_,comdat
.Lfunc_end2004:
	.size	_ZN7rocprim17ROCPRIM_400000_NS6detail17trampoline_kernelINS0_14default_configENS1_38merge_sort_block_merge_config_selectorIbiEEZZNS1_27merge_sort_block_merge_implIS3_N6thrust23THRUST_200600_302600_NS6detail15normal_iteratorINS8_10device_ptrIbEEEENSA_INSB_IiEEEEjNS1_19radix_merge_compareILb0ELb1EbNS0_19identity_decomposerEEEEE10hipError_tT0_T1_T2_jT3_P12ihipStream_tbPNSt15iterator_traitsISK_E10value_typeEPNSQ_ISL_E10value_typeEPSM_NS1_7vsmem_tEENKUlT_SK_SL_SM_E_clISD_PbSF_PiEESJ_SZ_SK_SL_SM_EUlSZ_E0_NS1_11comp_targetILNS1_3genE9ELNS1_11target_archE1100ELNS1_3gpuE3ELNS1_3repE0EEENS1_38merge_mergepath_config_static_selectorELNS0_4arch9wavefront6targetE1EEEvSL_, .Lfunc_end2004-_ZN7rocprim17ROCPRIM_400000_NS6detail17trampoline_kernelINS0_14default_configENS1_38merge_sort_block_merge_config_selectorIbiEEZZNS1_27merge_sort_block_merge_implIS3_N6thrust23THRUST_200600_302600_NS6detail15normal_iteratorINS8_10device_ptrIbEEEENSA_INSB_IiEEEEjNS1_19radix_merge_compareILb0ELb1EbNS0_19identity_decomposerEEEEE10hipError_tT0_T1_T2_jT3_P12ihipStream_tbPNSt15iterator_traitsISK_E10value_typeEPNSQ_ISL_E10value_typeEPSM_NS1_7vsmem_tEENKUlT_SK_SL_SM_E_clISD_PbSF_PiEESJ_SZ_SK_SL_SM_EUlSZ_E0_NS1_11comp_targetILNS1_3genE9ELNS1_11target_archE1100ELNS1_3gpuE3ELNS1_3repE0EEENS1_38merge_mergepath_config_static_selectorELNS0_4arch9wavefront6targetE1EEEvSL_
                                        ; -- End function
	.set _ZN7rocprim17ROCPRIM_400000_NS6detail17trampoline_kernelINS0_14default_configENS1_38merge_sort_block_merge_config_selectorIbiEEZZNS1_27merge_sort_block_merge_implIS3_N6thrust23THRUST_200600_302600_NS6detail15normal_iteratorINS8_10device_ptrIbEEEENSA_INSB_IiEEEEjNS1_19radix_merge_compareILb0ELb1EbNS0_19identity_decomposerEEEEE10hipError_tT0_T1_T2_jT3_P12ihipStream_tbPNSt15iterator_traitsISK_E10value_typeEPNSQ_ISL_E10value_typeEPSM_NS1_7vsmem_tEENKUlT_SK_SL_SM_E_clISD_PbSF_PiEESJ_SZ_SK_SL_SM_EUlSZ_E0_NS1_11comp_targetILNS1_3genE9ELNS1_11target_archE1100ELNS1_3gpuE3ELNS1_3repE0EEENS1_38merge_mergepath_config_static_selectorELNS0_4arch9wavefront6targetE1EEEvSL_.num_vgpr, 0
	.set _ZN7rocprim17ROCPRIM_400000_NS6detail17trampoline_kernelINS0_14default_configENS1_38merge_sort_block_merge_config_selectorIbiEEZZNS1_27merge_sort_block_merge_implIS3_N6thrust23THRUST_200600_302600_NS6detail15normal_iteratorINS8_10device_ptrIbEEEENSA_INSB_IiEEEEjNS1_19radix_merge_compareILb0ELb1EbNS0_19identity_decomposerEEEEE10hipError_tT0_T1_T2_jT3_P12ihipStream_tbPNSt15iterator_traitsISK_E10value_typeEPNSQ_ISL_E10value_typeEPSM_NS1_7vsmem_tEENKUlT_SK_SL_SM_E_clISD_PbSF_PiEESJ_SZ_SK_SL_SM_EUlSZ_E0_NS1_11comp_targetILNS1_3genE9ELNS1_11target_archE1100ELNS1_3gpuE3ELNS1_3repE0EEENS1_38merge_mergepath_config_static_selectorELNS0_4arch9wavefront6targetE1EEEvSL_.num_agpr, 0
	.set _ZN7rocprim17ROCPRIM_400000_NS6detail17trampoline_kernelINS0_14default_configENS1_38merge_sort_block_merge_config_selectorIbiEEZZNS1_27merge_sort_block_merge_implIS3_N6thrust23THRUST_200600_302600_NS6detail15normal_iteratorINS8_10device_ptrIbEEEENSA_INSB_IiEEEEjNS1_19radix_merge_compareILb0ELb1EbNS0_19identity_decomposerEEEEE10hipError_tT0_T1_T2_jT3_P12ihipStream_tbPNSt15iterator_traitsISK_E10value_typeEPNSQ_ISL_E10value_typeEPSM_NS1_7vsmem_tEENKUlT_SK_SL_SM_E_clISD_PbSF_PiEESJ_SZ_SK_SL_SM_EUlSZ_E0_NS1_11comp_targetILNS1_3genE9ELNS1_11target_archE1100ELNS1_3gpuE3ELNS1_3repE0EEENS1_38merge_mergepath_config_static_selectorELNS0_4arch9wavefront6targetE1EEEvSL_.numbered_sgpr, 0
	.set _ZN7rocprim17ROCPRIM_400000_NS6detail17trampoline_kernelINS0_14default_configENS1_38merge_sort_block_merge_config_selectorIbiEEZZNS1_27merge_sort_block_merge_implIS3_N6thrust23THRUST_200600_302600_NS6detail15normal_iteratorINS8_10device_ptrIbEEEENSA_INSB_IiEEEEjNS1_19radix_merge_compareILb0ELb1EbNS0_19identity_decomposerEEEEE10hipError_tT0_T1_T2_jT3_P12ihipStream_tbPNSt15iterator_traitsISK_E10value_typeEPNSQ_ISL_E10value_typeEPSM_NS1_7vsmem_tEENKUlT_SK_SL_SM_E_clISD_PbSF_PiEESJ_SZ_SK_SL_SM_EUlSZ_E0_NS1_11comp_targetILNS1_3genE9ELNS1_11target_archE1100ELNS1_3gpuE3ELNS1_3repE0EEENS1_38merge_mergepath_config_static_selectorELNS0_4arch9wavefront6targetE1EEEvSL_.num_named_barrier, 0
	.set _ZN7rocprim17ROCPRIM_400000_NS6detail17trampoline_kernelINS0_14default_configENS1_38merge_sort_block_merge_config_selectorIbiEEZZNS1_27merge_sort_block_merge_implIS3_N6thrust23THRUST_200600_302600_NS6detail15normal_iteratorINS8_10device_ptrIbEEEENSA_INSB_IiEEEEjNS1_19radix_merge_compareILb0ELb1EbNS0_19identity_decomposerEEEEE10hipError_tT0_T1_T2_jT3_P12ihipStream_tbPNSt15iterator_traitsISK_E10value_typeEPNSQ_ISL_E10value_typeEPSM_NS1_7vsmem_tEENKUlT_SK_SL_SM_E_clISD_PbSF_PiEESJ_SZ_SK_SL_SM_EUlSZ_E0_NS1_11comp_targetILNS1_3genE9ELNS1_11target_archE1100ELNS1_3gpuE3ELNS1_3repE0EEENS1_38merge_mergepath_config_static_selectorELNS0_4arch9wavefront6targetE1EEEvSL_.private_seg_size, 0
	.set _ZN7rocprim17ROCPRIM_400000_NS6detail17trampoline_kernelINS0_14default_configENS1_38merge_sort_block_merge_config_selectorIbiEEZZNS1_27merge_sort_block_merge_implIS3_N6thrust23THRUST_200600_302600_NS6detail15normal_iteratorINS8_10device_ptrIbEEEENSA_INSB_IiEEEEjNS1_19radix_merge_compareILb0ELb1EbNS0_19identity_decomposerEEEEE10hipError_tT0_T1_T2_jT3_P12ihipStream_tbPNSt15iterator_traitsISK_E10value_typeEPNSQ_ISL_E10value_typeEPSM_NS1_7vsmem_tEENKUlT_SK_SL_SM_E_clISD_PbSF_PiEESJ_SZ_SK_SL_SM_EUlSZ_E0_NS1_11comp_targetILNS1_3genE9ELNS1_11target_archE1100ELNS1_3gpuE3ELNS1_3repE0EEENS1_38merge_mergepath_config_static_selectorELNS0_4arch9wavefront6targetE1EEEvSL_.uses_vcc, 0
	.set _ZN7rocprim17ROCPRIM_400000_NS6detail17trampoline_kernelINS0_14default_configENS1_38merge_sort_block_merge_config_selectorIbiEEZZNS1_27merge_sort_block_merge_implIS3_N6thrust23THRUST_200600_302600_NS6detail15normal_iteratorINS8_10device_ptrIbEEEENSA_INSB_IiEEEEjNS1_19radix_merge_compareILb0ELb1EbNS0_19identity_decomposerEEEEE10hipError_tT0_T1_T2_jT3_P12ihipStream_tbPNSt15iterator_traitsISK_E10value_typeEPNSQ_ISL_E10value_typeEPSM_NS1_7vsmem_tEENKUlT_SK_SL_SM_E_clISD_PbSF_PiEESJ_SZ_SK_SL_SM_EUlSZ_E0_NS1_11comp_targetILNS1_3genE9ELNS1_11target_archE1100ELNS1_3gpuE3ELNS1_3repE0EEENS1_38merge_mergepath_config_static_selectorELNS0_4arch9wavefront6targetE1EEEvSL_.uses_flat_scratch, 0
	.set _ZN7rocprim17ROCPRIM_400000_NS6detail17trampoline_kernelINS0_14default_configENS1_38merge_sort_block_merge_config_selectorIbiEEZZNS1_27merge_sort_block_merge_implIS3_N6thrust23THRUST_200600_302600_NS6detail15normal_iteratorINS8_10device_ptrIbEEEENSA_INSB_IiEEEEjNS1_19radix_merge_compareILb0ELb1EbNS0_19identity_decomposerEEEEE10hipError_tT0_T1_T2_jT3_P12ihipStream_tbPNSt15iterator_traitsISK_E10value_typeEPNSQ_ISL_E10value_typeEPSM_NS1_7vsmem_tEENKUlT_SK_SL_SM_E_clISD_PbSF_PiEESJ_SZ_SK_SL_SM_EUlSZ_E0_NS1_11comp_targetILNS1_3genE9ELNS1_11target_archE1100ELNS1_3gpuE3ELNS1_3repE0EEENS1_38merge_mergepath_config_static_selectorELNS0_4arch9wavefront6targetE1EEEvSL_.has_dyn_sized_stack, 0
	.set _ZN7rocprim17ROCPRIM_400000_NS6detail17trampoline_kernelINS0_14default_configENS1_38merge_sort_block_merge_config_selectorIbiEEZZNS1_27merge_sort_block_merge_implIS3_N6thrust23THRUST_200600_302600_NS6detail15normal_iteratorINS8_10device_ptrIbEEEENSA_INSB_IiEEEEjNS1_19radix_merge_compareILb0ELb1EbNS0_19identity_decomposerEEEEE10hipError_tT0_T1_T2_jT3_P12ihipStream_tbPNSt15iterator_traitsISK_E10value_typeEPNSQ_ISL_E10value_typeEPSM_NS1_7vsmem_tEENKUlT_SK_SL_SM_E_clISD_PbSF_PiEESJ_SZ_SK_SL_SM_EUlSZ_E0_NS1_11comp_targetILNS1_3genE9ELNS1_11target_archE1100ELNS1_3gpuE3ELNS1_3repE0EEENS1_38merge_mergepath_config_static_selectorELNS0_4arch9wavefront6targetE1EEEvSL_.has_recursion, 0
	.set _ZN7rocprim17ROCPRIM_400000_NS6detail17trampoline_kernelINS0_14default_configENS1_38merge_sort_block_merge_config_selectorIbiEEZZNS1_27merge_sort_block_merge_implIS3_N6thrust23THRUST_200600_302600_NS6detail15normal_iteratorINS8_10device_ptrIbEEEENSA_INSB_IiEEEEjNS1_19radix_merge_compareILb0ELb1EbNS0_19identity_decomposerEEEEE10hipError_tT0_T1_T2_jT3_P12ihipStream_tbPNSt15iterator_traitsISK_E10value_typeEPNSQ_ISL_E10value_typeEPSM_NS1_7vsmem_tEENKUlT_SK_SL_SM_E_clISD_PbSF_PiEESJ_SZ_SK_SL_SM_EUlSZ_E0_NS1_11comp_targetILNS1_3genE9ELNS1_11target_archE1100ELNS1_3gpuE3ELNS1_3repE0EEENS1_38merge_mergepath_config_static_selectorELNS0_4arch9wavefront6targetE1EEEvSL_.has_indirect_call, 0
	.section	.AMDGPU.csdata,"",@progbits
; Kernel info:
; codeLenInByte = 0
; TotalNumSgprs: 6
; NumVgprs: 0
; NumAgprs: 0
; TotalNumVgprs: 0
; ScratchSize: 0
; MemoryBound: 0
; FloatMode: 240
; IeeeMode: 1
; LDSByteSize: 0 bytes/workgroup (compile time only)
; SGPRBlocks: 0
; VGPRBlocks: 0
; NumSGPRsForWavesPerEU: 6
; NumVGPRsForWavesPerEU: 1
; AccumOffset: 4
; Occupancy: 8
; WaveLimiterHint : 0
; COMPUTE_PGM_RSRC2:SCRATCH_EN: 0
; COMPUTE_PGM_RSRC2:USER_SGPR: 2
; COMPUTE_PGM_RSRC2:TRAP_HANDLER: 0
; COMPUTE_PGM_RSRC2:TGID_X_EN: 1
; COMPUTE_PGM_RSRC2:TGID_Y_EN: 0
; COMPUTE_PGM_RSRC2:TGID_Z_EN: 0
; COMPUTE_PGM_RSRC2:TIDIG_COMP_CNT: 0
; COMPUTE_PGM_RSRC3_GFX90A:ACCUM_OFFSET: 0
; COMPUTE_PGM_RSRC3_GFX90A:TG_SPLIT: 0
	.section	.text._ZN7rocprim17ROCPRIM_400000_NS6detail17trampoline_kernelINS0_14default_configENS1_38merge_sort_block_merge_config_selectorIbiEEZZNS1_27merge_sort_block_merge_implIS3_N6thrust23THRUST_200600_302600_NS6detail15normal_iteratorINS8_10device_ptrIbEEEENSA_INSB_IiEEEEjNS1_19radix_merge_compareILb0ELb1EbNS0_19identity_decomposerEEEEE10hipError_tT0_T1_T2_jT3_P12ihipStream_tbPNSt15iterator_traitsISK_E10value_typeEPNSQ_ISL_E10value_typeEPSM_NS1_7vsmem_tEENKUlT_SK_SL_SM_E_clISD_PbSF_PiEESJ_SZ_SK_SL_SM_EUlSZ_E0_NS1_11comp_targetILNS1_3genE8ELNS1_11target_archE1030ELNS1_3gpuE2ELNS1_3repE0EEENS1_38merge_mergepath_config_static_selectorELNS0_4arch9wavefront6targetE1EEEvSL_,"axG",@progbits,_ZN7rocprim17ROCPRIM_400000_NS6detail17trampoline_kernelINS0_14default_configENS1_38merge_sort_block_merge_config_selectorIbiEEZZNS1_27merge_sort_block_merge_implIS3_N6thrust23THRUST_200600_302600_NS6detail15normal_iteratorINS8_10device_ptrIbEEEENSA_INSB_IiEEEEjNS1_19radix_merge_compareILb0ELb1EbNS0_19identity_decomposerEEEEE10hipError_tT0_T1_T2_jT3_P12ihipStream_tbPNSt15iterator_traitsISK_E10value_typeEPNSQ_ISL_E10value_typeEPSM_NS1_7vsmem_tEENKUlT_SK_SL_SM_E_clISD_PbSF_PiEESJ_SZ_SK_SL_SM_EUlSZ_E0_NS1_11comp_targetILNS1_3genE8ELNS1_11target_archE1030ELNS1_3gpuE2ELNS1_3repE0EEENS1_38merge_mergepath_config_static_selectorELNS0_4arch9wavefront6targetE1EEEvSL_,comdat
	.protected	_ZN7rocprim17ROCPRIM_400000_NS6detail17trampoline_kernelINS0_14default_configENS1_38merge_sort_block_merge_config_selectorIbiEEZZNS1_27merge_sort_block_merge_implIS3_N6thrust23THRUST_200600_302600_NS6detail15normal_iteratorINS8_10device_ptrIbEEEENSA_INSB_IiEEEEjNS1_19radix_merge_compareILb0ELb1EbNS0_19identity_decomposerEEEEE10hipError_tT0_T1_T2_jT3_P12ihipStream_tbPNSt15iterator_traitsISK_E10value_typeEPNSQ_ISL_E10value_typeEPSM_NS1_7vsmem_tEENKUlT_SK_SL_SM_E_clISD_PbSF_PiEESJ_SZ_SK_SL_SM_EUlSZ_E0_NS1_11comp_targetILNS1_3genE8ELNS1_11target_archE1030ELNS1_3gpuE2ELNS1_3repE0EEENS1_38merge_mergepath_config_static_selectorELNS0_4arch9wavefront6targetE1EEEvSL_ ; -- Begin function _ZN7rocprim17ROCPRIM_400000_NS6detail17trampoline_kernelINS0_14default_configENS1_38merge_sort_block_merge_config_selectorIbiEEZZNS1_27merge_sort_block_merge_implIS3_N6thrust23THRUST_200600_302600_NS6detail15normal_iteratorINS8_10device_ptrIbEEEENSA_INSB_IiEEEEjNS1_19radix_merge_compareILb0ELb1EbNS0_19identity_decomposerEEEEE10hipError_tT0_T1_T2_jT3_P12ihipStream_tbPNSt15iterator_traitsISK_E10value_typeEPNSQ_ISL_E10value_typeEPSM_NS1_7vsmem_tEENKUlT_SK_SL_SM_E_clISD_PbSF_PiEESJ_SZ_SK_SL_SM_EUlSZ_E0_NS1_11comp_targetILNS1_3genE8ELNS1_11target_archE1030ELNS1_3gpuE2ELNS1_3repE0EEENS1_38merge_mergepath_config_static_selectorELNS0_4arch9wavefront6targetE1EEEvSL_
	.globl	_ZN7rocprim17ROCPRIM_400000_NS6detail17trampoline_kernelINS0_14default_configENS1_38merge_sort_block_merge_config_selectorIbiEEZZNS1_27merge_sort_block_merge_implIS3_N6thrust23THRUST_200600_302600_NS6detail15normal_iteratorINS8_10device_ptrIbEEEENSA_INSB_IiEEEEjNS1_19radix_merge_compareILb0ELb1EbNS0_19identity_decomposerEEEEE10hipError_tT0_T1_T2_jT3_P12ihipStream_tbPNSt15iterator_traitsISK_E10value_typeEPNSQ_ISL_E10value_typeEPSM_NS1_7vsmem_tEENKUlT_SK_SL_SM_E_clISD_PbSF_PiEESJ_SZ_SK_SL_SM_EUlSZ_E0_NS1_11comp_targetILNS1_3genE8ELNS1_11target_archE1030ELNS1_3gpuE2ELNS1_3repE0EEENS1_38merge_mergepath_config_static_selectorELNS0_4arch9wavefront6targetE1EEEvSL_
	.p2align	8
	.type	_ZN7rocprim17ROCPRIM_400000_NS6detail17trampoline_kernelINS0_14default_configENS1_38merge_sort_block_merge_config_selectorIbiEEZZNS1_27merge_sort_block_merge_implIS3_N6thrust23THRUST_200600_302600_NS6detail15normal_iteratorINS8_10device_ptrIbEEEENSA_INSB_IiEEEEjNS1_19radix_merge_compareILb0ELb1EbNS0_19identity_decomposerEEEEE10hipError_tT0_T1_T2_jT3_P12ihipStream_tbPNSt15iterator_traitsISK_E10value_typeEPNSQ_ISL_E10value_typeEPSM_NS1_7vsmem_tEENKUlT_SK_SL_SM_E_clISD_PbSF_PiEESJ_SZ_SK_SL_SM_EUlSZ_E0_NS1_11comp_targetILNS1_3genE8ELNS1_11target_archE1030ELNS1_3gpuE2ELNS1_3repE0EEENS1_38merge_mergepath_config_static_selectorELNS0_4arch9wavefront6targetE1EEEvSL_,@function
_ZN7rocprim17ROCPRIM_400000_NS6detail17trampoline_kernelINS0_14default_configENS1_38merge_sort_block_merge_config_selectorIbiEEZZNS1_27merge_sort_block_merge_implIS3_N6thrust23THRUST_200600_302600_NS6detail15normal_iteratorINS8_10device_ptrIbEEEENSA_INSB_IiEEEEjNS1_19radix_merge_compareILb0ELb1EbNS0_19identity_decomposerEEEEE10hipError_tT0_T1_T2_jT3_P12ihipStream_tbPNSt15iterator_traitsISK_E10value_typeEPNSQ_ISL_E10value_typeEPSM_NS1_7vsmem_tEENKUlT_SK_SL_SM_E_clISD_PbSF_PiEESJ_SZ_SK_SL_SM_EUlSZ_E0_NS1_11comp_targetILNS1_3genE8ELNS1_11target_archE1030ELNS1_3gpuE2ELNS1_3repE0EEENS1_38merge_mergepath_config_static_selectorELNS0_4arch9wavefront6targetE1EEEvSL_: ; @_ZN7rocprim17ROCPRIM_400000_NS6detail17trampoline_kernelINS0_14default_configENS1_38merge_sort_block_merge_config_selectorIbiEEZZNS1_27merge_sort_block_merge_implIS3_N6thrust23THRUST_200600_302600_NS6detail15normal_iteratorINS8_10device_ptrIbEEEENSA_INSB_IiEEEEjNS1_19radix_merge_compareILb0ELb1EbNS0_19identity_decomposerEEEEE10hipError_tT0_T1_T2_jT3_P12ihipStream_tbPNSt15iterator_traitsISK_E10value_typeEPNSQ_ISL_E10value_typeEPSM_NS1_7vsmem_tEENKUlT_SK_SL_SM_E_clISD_PbSF_PiEESJ_SZ_SK_SL_SM_EUlSZ_E0_NS1_11comp_targetILNS1_3genE8ELNS1_11target_archE1030ELNS1_3gpuE2ELNS1_3repE0EEENS1_38merge_mergepath_config_static_selectorELNS0_4arch9wavefront6targetE1EEEvSL_
; %bb.0:
	.section	.rodata,"a",@progbits
	.p2align	6, 0x0
	.amdhsa_kernel _ZN7rocprim17ROCPRIM_400000_NS6detail17trampoline_kernelINS0_14default_configENS1_38merge_sort_block_merge_config_selectorIbiEEZZNS1_27merge_sort_block_merge_implIS3_N6thrust23THRUST_200600_302600_NS6detail15normal_iteratorINS8_10device_ptrIbEEEENSA_INSB_IiEEEEjNS1_19radix_merge_compareILb0ELb1EbNS0_19identity_decomposerEEEEE10hipError_tT0_T1_T2_jT3_P12ihipStream_tbPNSt15iterator_traitsISK_E10value_typeEPNSQ_ISL_E10value_typeEPSM_NS1_7vsmem_tEENKUlT_SK_SL_SM_E_clISD_PbSF_PiEESJ_SZ_SK_SL_SM_EUlSZ_E0_NS1_11comp_targetILNS1_3genE8ELNS1_11target_archE1030ELNS1_3gpuE2ELNS1_3repE0EEENS1_38merge_mergepath_config_static_selectorELNS0_4arch9wavefront6targetE1EEEvSL_
		.amdhsa_group_segment_fixed_size 0
		.amdhsa_private_segment_fixed_size 0
		.amdhsa_kernarg_size 64
		.amdhsa_user_sgpr_count 2
		.amdhsa_user_sgpr_dispatch_ptr 0
		.amdhsa_user_sgpr_queue_ptr 0
		.amdhsa_user_sgpr_kernarg_segment_ptr 1
		.amdhsa_user_sgpr_dispatch_id 0
		.amdhsa_user_sgpr_kernarg_preload_length 0
		.amdhsa_user_sgpr_kernarg_preload_offset 0
		.amdhsa_user_sgpr_private_segment_size 0
		.amdhsa_uses_dynamic_stack 0
		.amdhsa_enable_private_segment 0
		.amdhsa_system_sgpr_workgroup_id_x 1
		.amdhsa_system_sgpr_workgroup_id_y 0
		.amdhsa_system_sgpr_workgroup_id_z 0
		.amdhsa_system_sgpr_workgroup_info 0
		.amdhsa_system_vgpr_workitem_id 0
		.amdhsa_next_free_vgpr 1
		.amdhsa_next_free_sgpr 0
		.amdhsa_accum_offset 4
		.amdhsa_reserve_vcc 0
		.amdhsa_float_round_mode_32 0
		.amdhsa_float_round_mode_16_64 0
		.amdhsa_float_denorm_mode_32 3
		.amdhsa_float_denorm_mode_16_64 3
		.amdhsa_dx10_clamp 1
		.amdhsa_ieee_mode 1
		.amdhsa_fp16_overflow 0
		.amdhsa_tg_split 0
		.amdhsa_exception_fp_ieee_invalid_op 0
		.amdhsa_exception_fp_denorm_src 0
		.amdhsa_exception_fp_ieee_div_zero 0
		.amdhsa_exception_fp_ieee_overflow 0
		.amdhsa_exception_fp_ieee_underflow 0
		.amdhsa_exception_fp_ieee_inexact 0
		.amdhsa_exception_int_div_zero 0
	.end_amdhsa_kernel
	.section	.text._ZN7rocprim17ROCPRIM_400000_NS6detail17trampoline_kernelINS0_14default_configENS1_38merge_sort_block_merge_config_selectorIbiEEZZNS1_27merge_sort_block_merge_implIS3_N6thrust23THRUST_200600_302600_NS6detail15normal_iteratorINS8_10device_ptrIbEEEENSA_INSB_IiEEEEjNS1_19radix_merge_compareILb0ELb1EbNS0_19identity_decomposerEEEEE10hipError_tT0_T1_T2_jT3_P12ihipStream_tbPNSt15iterator_traitsISK_E10value_typeEPNSQ_ISL_E10value_typeEPSM_NS1_7vsmem_tEENKUlT_SK_SL_SM_E_clISD_PbSF_PiEESJ_SZ_SK_SL_SM_EUlSZ_E0_NS1_11comp_targetILNS1_3genE8ELNS1_11target_archE1030ELNS1_3gpuE2ELNS1_3repE0EEENS1_38merge_mergepath_config_static_selectorELNS0_4arch9wavefront6targetE1EEEvSL_,"axG",@progbits,_ZN7rocprim17ROCPRIM_400000_NS6detail17trampoline_kernelINS0_14default_configENS1_38merge_sort_block_merge_config_selectorIbiEEZZNS1_27merge_sort_block_merge_implIS3_N6thrust23THRUST_200600_302600_NS6detail15normal_iteratorINS8_10device_ptrIbEEEENSA_INSB_IiEEEEjNS1_19radix_merge_compareILb0ELb1EbNS0_19identity_decomposerEEEEE10hipError_tT0_T1_T2_jT3_P12ihipStream_tbPNSt15iterator_traitsISK_E10value_typeEPNSQ_ISL_E10value_typeEPSM_NS1_7vsmem_tEENKUlT_SK_SL_SM_E_clISD_PbSF_PiEESJ_SZ_SK_SL_SM_EUlSZ_E0_NS1_11comp_targetILNS1_3genE8ELNS1_11target_archE1030ELNS1_3gpuE2ELNS1_3repE0EEENS1_38merge_mergepath_config_static_selectorELNS0_4arch9wavefront6targetE1EEEvSL_,comdat
.Lfunc_end2005:
	.size	_ZN7rocprim17ROCPRIM_400000_NS6detail17trampoline_kernelINS0_14default_configENS1_38merge_sort_block_merge_config_selectorIbiEEZZNS1_27merge_sort_block_merge_implIS3_N6thrust23THRUST_200600_302600_NS6detail15normal_iteratorINS8_10device_ptrIbEEEENSA_INSB_IiEEEEjNS1_19radix_merge_compareILb0ELb1EbNS0_19identity_decomposerEEEEE10hipError_tT0_T1_T2_jT3_P12ihipStream_tbPNSt15iterator_traitsISK_E10value_typeEPNSQ_ISL_E10value_typeEPSM_NS1_7vsmem_tEENKUlT_SK_SL_SM_E_clISD_PbSF_PiEESJ_SZ_SK_SL_SM_EUlSZ_E0_NS1_11comp_targetILNS1_3genE8ELNS1_11target_archE1030ELNS1_3gpuE2ELNS1_3repE0EEENS1_38merge_mergepath_config_static_selectorELNS0_4arch9wavefront6targetE1EEEvSL_, .Lfunc_end2005-_ZN7rocprim17ROCPRIM_400000_NS6detail17trampoline_kernelINS0_14default_configENS1_38merge_sort_block_merge_config_selectorIbiEEZZNS1_27merge_sort_block_merge_implIS3_N6thrust23THRUST_200600_302600_NS6detail15normal_iteratorINS8_10device_ptrIbEEEENSA_INSB_IiEEEEjNS1_19radix_merge_compareILb0ELb1EbNS0_19identity_decomposerEEEEE10hipError_tT0_T1_T2_jT3_P12ihipStream_tbPNSt15iterator_traitsISK_E10value_typeEPNSQ_ISL_E10value_typeEPSM_NS1_7vsmem_tEENKUlT_SK_SL_SM_E_clISD_PbSF_PiEESJ_SZ_SK_SL_SM_EUlSZ_E0_NS1_11comp_targetILNS1_3genE8ELNS1_11target_archE1030ELNS1_3gpuE2ELNS1_3repE0EEENS1_38merge_mergepath_config_static_selectorELNS0_4arch9wavefront6targetE1EEEvSL_
                                        ; -- End function
	.set _ZN7rocprim17ROCPRIM_400000_NS6detail17trampoline_kernelINS0_14default_configENS1_38merge_sort_block_merge_config_selectorIbiEEZZNS1_27merge_sort_block_merge_implIS3_N6thrust23THRUST_200600_302600_NS6detail15normal_iteratorINS8_10device_ptrIbEEEENSA_INSB_IiEEEEjNS1_19radix_merge_compareILb0ELb1EbNS0_19identity_decomposerEEEEE10hipError_tT0_T1_T2_jT3_P12ihipStream_tbPNSt15iterator_traitsISK_E10value_typeEPNSQ_ISL_E10value_typeEPSM_NS1_7vsmem_tEENKUlT_SK_SL_SM_E_clISD_PbSF_PiEESJ_SZ_SK_SL_SM_EUlSZ_E0_NS1_11comp_targetILNS1_3genE8ELNS1_11target_archE1030ELNS1_3gpuE2ELNS1_3repE0EEENS1_38merge_mergepath_config_static_selectorELNS0_4arch9wavefront6targetE1EEEvSL_.num_vgpr, 0
	.set _ZN7rocprim17ROCPRIM_400000_NS6detail17trampoline_kernelINS0_14default_configENS1_38merge_sort_block_merge_config_selectorIbiEEZZNS1_27merge_sort_block_merge_implIS3_N6thrust23THRUST_200600_302600_NS6detail15normal_iteratorINS8_10device_ptrIbEEEENSA_INSB_IiEEEEjNS1_19radix_merge_compareILb0ELb1EbNS0_19identity_decomposerEEEEE10hipError_tT0_T1_T2_jT3_P12ihipStream_tbPNSt15iterator_traitsISK_E10value_typeEPNSQ_ISL_E10value_typeEPSM_NS1_7vsmem_tEENKUlT_SK_SL_SM_E_clISD_PbSF_PiEESJ_SZ_SK_SL_SM_EUlSZ_E0_NS1_11comp_targetILNS1_3genE8ELNS1_11target_archE1030ELNS1_3gpuE2ELNS1_3repE0EEENS1_38merge_mergepath_config_static_selectorELNS0_4arch9wavefront6targetE1EEEvSL_.num_agpr, 0
	.set _ZN7rocprim17ROCPRIM_400000_NS6detail17trampoline_kernelINS0_14default_configENS1_38merge_sort_block_merge_config_selectorIbiEEZZNS1_27merge_sort_block_merge_implIS3_N6thrust23THRUST_200600_302600_NS6detail15normal_iteratorINS8_10device_ptrIbEEEENSA_INSB_IiEEEEjNS1_19radix_merge_compareILb0ELb1EbNS0_19identity_decomposerEEEEE10hipError_tT0_T1_T2_jT3_P12ihipStream_tbPNSt15iterator_traitsISK_E10value_typeEPNSQ_ISL_E10value_typeEPSM_NS1_7vsmem_tEENKUlT_SK_SL_SM_E_clISD_PbSF_PiEESJ_SZ_SK_SL_SM_EUlSZ_E0_NS1_11comp_targetILNS1_3genE8ELNS1_11target_archE1030ELNS1_3gpuE2ELNS1_3repE0EEENS1_38merge_mergepath_config_static_selectorELNS0_4arch9wavefront6targetE1EEEvSL_.numbered_sgpr, 0
	.set _ZN7rocprim17ROCPRIM_400000_NS6detail17trampoline_kernelINS0_14default_configENS1_38merge_sort_block_merge_config_selectorIbiEEZZNS1_27merge_sort_block_merge_implIS3_N6thrust23THRUST_200600_302600_NS6detail15normal_iteratorINS8_10device_ptrIbEEEENSA_INSB_IiEEEEjNS1_19radix_merge_compareILb0ELb1EbNS0_19identity_decomposerEEEEE10hipError_tT0_T1_T2_jT3_P12ihipStream_tbPNSt15iterator_traitsISK_E10value_typeEPNSQ_ISL_E10value_typeEPSM_NS1_7vsmem_tEENKUlT_SK_SL_SM_E_clISD_PbSF_PiEESJ_SZ_SK_SL_SM_EUlSZ_E0_NS1_11comp_targetILNS1_3genE8ELNS1_11target_archE1030ELNS1_3gpuE2ELNS1_3repE0EEENS1_38merge_mergepath_config_static_selectorELNS0_4arch9wavefront6targetE1EEEvSL_.num_named_barrier, 0
	.set _ZN7rocprim17ROCPRIM_400000_NS6detail17trampoline_kernelINS0_14default_configENS1_38merge_sort_block_merge_config_selectorIbiEEZZNS1_27merge_sort_block_merge_implIS3_N6thrust23THRUST_200600_302600_NS6detail15normal_iteratorINS8_10device_ptrIbEEEENSA_INSB_IiEEEEjNS1_19radix_merge_compareILb0ELb1EbNS0_19identity_decomposerEEEEE10hipError_tT0_T1_T2_jT3_P12ihipStream_tbPNSt15iterator_traitsISK_E10value_typeEPNSQ_ISL_E10value_typeEPSM_NS1_7vsmem_tEENKUlT_SK_SL_SM_E_clISD_PbSF_PiEESJ_SZ_SK_SL_SM_EUlSZ_E0_NS1_11comp_targetILNS1_3genE8ELNS1_11target_archE1030ELNS1_3gpuE2ELNS1_3repE0EEENS1_38merge_mergepath_config_static_selectorELNS0_4arch9wavefront6targetE1EEEvSL_.private_seg_size, 0
	.set _ZN7rocprim17ROCPRIM_400000_NS6detail17trampoline_kernelINS0_14default_configENS1_38merge_sort_block_merge_config_selectorIbiEEZZNS1_27merge_sort_block_merge_implIS3_N6thrust23THRUST_200600_302600_NS6detail15normal_iteratorINS8_10device_ptrIbEEEENSA_INSB_IiEEEEjNS1_19radix_merge_compareILb0ELb1EbNS0_19identity_decomposerEEEEE10hipError_tT0_T1_T2_jT3_P12ihipStream_tbPNSt15iterator_traitsISK_E10value_typeEPNSQ_ISL_E10value_typeEPSM_NS1_7vsmem_tEENKUlT_SK_SL_SM_E_clISD_PbSF_PiEESJ_SZ_SK_SL_SM_EUlSZ_E0_NS1_11comp_targetILNS1_3genE8ELNS1_11target_archE1030ELNS1_3gpuE2ELNS1_3repE0EEENS1_38merge_mergepath_config_static_selectorELNS0_4arch9wavefront6targetE1EEEvSL_.uses_vcc, 0
	.set _ZN7rocprim17ROCPRIM_400000_NS6detail17trampoline_kernelINS0_14default_configENS1_38merge_sort_block_merge_config_selectorIbiEEZZNS1_27merge_sort_block_merge_implIS3_N6thrust23THRUST_200600_302600_NS6detail15normal_iteratorINS8_10device_ptrIbEEEENSA_INSB_IiEEEEjNS1_19radix_merge_compareILb0ELb1EbNS0_19identity_decomposerEEEEE10hipError_tT0_T1_T2_jT3_P12ihipStream_tbPNSt15iterator_traitsISK_E10value_typeEPNSQ_ISL_E10value_typeEPSM_NS1_7vsmem_tEENKUlT_SK_SL_SM_E_clISD_PbSF_PiEESJ_SZ_SK_SL_SM_EUlSZ_E0_NS1_11comp_targetILNS1_3genE8ELNS1_11target_archE1030ELNS1_3gpuE2ELNS1_3repE0EEENS1_38merge_mergepath_config_static_selectorELNS0_4arch9wavefront6targetE1EEEvSL_.uses_flat_scratch, 0
	.set _ZN7rocprim17ROCPRIM_400000_NS6detail17trampoline_kernelINS0_14default_configENS1_38merge_sort_block_merge_config_selectorIbiEEZZNS1_27merge_sort_block_merge_implIS3_N6thrust23THRUST_200600_302600_NS6detail15normal_iteratorINS8_10device_ptrIbEEEENSA_INSB_IiEEEEjNS1_19radix_merge_compareILb0ELb1EbNS0_19identity_decomposerEEEEE10hipError_tT0_T1_T2_jT3_P12ihipStream_tbPNSt15iterator_traitsISK_E10value_typeEPNSQ_ISL_E10value_typeEPSM_NS1_7vsmem_tEENKUlT_SK_SL_SM_E_clISD_PbSF_PiEESJ_SZ_SK_SL_SM_EUlSZ_E0_NS1_11comp_targetILNS1_3genE8ELNS1_11target_archE1030ELNS1_3gpuE2ELNS1_3repE0EEENS1_38merge_mergepath_config_static_selectorELNS0_4arch9wavefront6targetE1EEEvSL_.has_dyn_sized_stack, 0
	.set _ZN7rocprim17ROCPRIM_400000_NS6detail17trampoline_kernelINS0_14default_configENS1_38merge_sort_block_merge_config_selectorIbiEEZZNS1_27merge_sort_block_merge_implIS3_N6thrust23THRUST_200600_302600_NS6detail15normal_iteratorINS8_10device_ptrIbEEEENSA_INSB_IiEEEEjNS1_19radix_merge_compareILb0ELb1EbNS0_19identity_decomposerEEEEE10hipError_tT0_T1_T2_jT3_P12ihipStream_tbPNSt15iterator_traitsISK_E10value_typeEPNSQ_ISL_E10value_typeEPSM_NS1_7vsmem_tEENKUlT_SK_SL_SM_E_clISD_PbSF_PiEESJ_SZ_SK_SL_SM_EUlSZ_E0_NS1_11comp_targetILNS1_3genE8ELNS1_11target_archE1030ELNS1_3gpuE2ELNS1_3repE0EEENS1_38merge_mergepath_config_static_selectorELNS0_4arch9wavefront6targetE1EEEvSL_.has_recursion, 0
	.set _ZN7rocprim17ROCPRIM_400000_NS6detail17trampoline_kernelINS0_14default_configENS1_38merge_sort_block_merge_config_selectorIbiEEZZNS1_27merge_sort_block_merge_implIS3_N6thrust23THRUST_200600_302600_NS6detail15normal_iteratorINS8_10device_ptrIbEEEENSA_INSB_IiEEEEjNS1_19radix_merge_compareILb0ELb1EbNS0_19identity_decomposerEEEEE10hipError_tT0_T1_T2_jT3_P12ihipStream_tbPNSt15iterator_traitsISK_E10value_typeEPNSQ_ISL_E10value_typeEPSM_NS1_7vsmem_tEENKUlT_SK_SL_SM_E_clISD_PbSF_PiEESJ_SZ_SK_SL_SM_EUlSZ_E0_NS1_11comp_targetILNS1_3genE8ELNS1_11target_archE1030ELNS1_3gpuE2ELNS1_3repE0EEENS1_38merge_mergepath_config_static_selectorELNS0_4arch9wavefront6targetE1EEEvSL_.has_indirect_call, 0
	.section	.AMDGPU.csdata,"",@progbits
; Kernel info:
; codeLenInByte = 0
; TotalNumSgprs: 6
; NumVgprs: 0
; NumAgprs: 0
; TotalNumVgprs: 0
; ScratchSize: 0
; MemoryBound: 0
; FloatMode: 240
; IeeeMode: 1
; LDSByteSize: 0 bytes/workgroup (compile time only)
; SGPRBlocks: 0
; VGPRBlocks: 0
; NumSGPRsForWavesPerEU: 6
; NumVGPRsForWavesPerEU: 1
; AccumOffset: 4
; Occupancy: 8
; WaveLimiterHint : 0
; COMPUTE_PGM_RSRC2:SCRATCH_EN: 0
; COMPUTE_PGM_RSRC2:USER_SGPR: 2
; COMPUTE_PGM_RSRC2:TRAP_HANDLER: 0
; COMPUTE_PGM_RSRC2:TGID_X_EN: 1
; COMPUTE_PGM_RSRC2:TGID_Y_EN: 0
; COMPUTE_PGM_RSRC2:TGID_Z_EN: 0
; COMPUTE_PGM_RSRC2:TIDIG_COMP_CNT: 0
; COMPUTE_PGM_RSRC3_GFX90A:ACCUM_OFFSET: 0
; COMPUTE_PGM_RSRC3_GFX90A:TG_SPLIT: 0
	.section	.text._ZN7rocprim17ROCPRIM_400000_NS6detail17trampoline_kernelINS0_14default_configENS1_38merge_sort_block_merge_config_selectorIbiEEZZNS1_27merge_sort_block_merge_implIS3_N6thrust23THRUST_200600_302600_NS6detail15normal_iteratorINS8_10device_ptrIbEEEENSA_INSB_IiEEEEjNS1_19radix_merge_compareILb0ELb1EbNS0_19identity_decomposerEEEEE10hipError_tT0_T1_T2_jT3_P12ihipStream_tbPNSt15iterator_traitsISK_E10value_typeEPNSQ_ISL_E10value_typeEPSM_NS1_7vsmem_tEENKUlT_SK_SL_SM_E_clISD_PbSF_PiEESJ_SZ_SK_SL_SM_EUlSZ_E1_NS1_11comp_targetILNS1_3genE0ELNS1_11target_archE4294967295ELNS1_3gpuE0ELNS1_3repE0EEENS1_36merge_oddeven_config_static_selectorELNS0_4arch9wavefront6targetE1EEEvSL_,"axG",@progbits,_ZN7rocprim17ROCPRIM_400000_NS6detail17trampoline_kernelINS0_14default_configENS1_38merge_sort_block_merge_config_selectorIbiEEZZNS1_27merge_sort_block_merge_implIS3_N6thrust23THRUST_200600_302600_NS6detail15normal_iteratorINS8_10device_ptrIbEEEENSA_INSB_IiEEEEjNS1_19radix_merge_compareILb0ELb1EbNS0_19identity_decomposerEEEEE10hipError_tT0_T1_T2_jT3_P12ihipStream_tbPNSt15iterator_traitsISK_E10value_typeEPNSQ_ISL_E10value_typeEPSM_NS1_7vsmem_tEENKUlT_SK_SL_SM_E_clISD_PbSF_PiEESJ_SZ_SK_SL_SM_EUlSZ_E1_NS1_11comp_targetILNS1_3genE0ELNS1_11target_archE4294967295ELNS1_3gpuE0ELNS1_3repE0EEENS1_36merge_oddeven_config_static_selectorELNS0_4arch9wavefront6targetE1EEEvSL_,comdat
	.protected	_ZN7rocprim17ROCPRIM_400000_NS6detail17trampoline_kernelINS0_14default_configENS1_38merge_sort_block_merge_config_selectorIbiEEZZNS1_27merge_sort_block_merge_implIS3_N6thrust23THRUST_200600_302600_NS6detail15normal_iteratorINS8_10device_ptrIbEEEENSA_INSB_IiEEEEjNS1_19radix_merge_compareILb0ELb1EbNS0_19identity_decomposerEEEEE10hipError_tT0_T1_T2_jT3_P12ihipStream_tbPNSt15iterator_traitsISK_E10value_typeEPNSQ_ISL_E10value_typeEPSM_NS1_7vsmem_tEENKUlT_SK_SL_SM_E_clISD_PbSF_PiEESJ_SZ_SK_SL_SM_EUlSZ_E1_NS1_11comp_targetILNS1_3genE0ELNS1_11target_archE4294967295ELNS1_3gpuE0ELNS1_3repE0EEENS1_36merge_oddeven_config_static_selectorELNS0_4arch9wavefront6targetE1EEEvSL_ ; -- Begin function _ZN7rocprim17ROCPRIM_400000_NS6detail17trampoline_kernelINS0_14default_configENS1_38merge_sort_block_merge_config_selectorIbiEEZZNS1_27merge_sort_block_merge_implIS3_N6thrust23THRUST_200600_302600_NS6detail15normal_iteratorINS8_10device_ptrIbEEEENSA_INSB_IiEEEEjNS1_19radix_merge_compareILb0ELb1EbNS0_19identity_decomposerEEEEE10hipError_tT0_T1_T2_jT3_P12ihipStream_tbPNSt15iterator_traitsISK_E10value_typeEPNSQ_ISL_E10value_typeEPSM_NS1_7vsmem_tEENKUlT_SK_SL_SM_E_clISD_PbSF_PiEESJ_SZ_SK_SL_SM_EUlSZ_E1_NS1_11comp_targetILNS1_3genE0ELNS1_11target_archE4294967295ELNS1_3gpuE0ELNS1_3repE0EEENS1_36merge_oddeven_config_static_selectorELNS0_4arch9wavefront6targetE1EEEvSL_
	.globl	_ZN7rocprim17ROCPRIM_400000_NS6detail17trampoline_kernelINS0_14default_configENS1_38merge_sort_block_merge_config_selectorIbiEEZZNS1_27merge_sort_block_merge_implIS3_N6thrust23THRUST_200600_302600_NS6detail15normal_iteratorINS8_10device_ptrIbEEEENSA_INSB_IiEEEEjNS1_19radix_merge_compareILb0ELb1EbNS0_19identity_decomposerEEEEE10hipError_tT0_T1_T2_jT3_P12ihipStream_tbPNSt15iterator_traitsISK_E10value_typeEPNSQ_ISL_E10value_typeEPSM_NS1_7vsmem_tEENKUlT_SK_SL_SM_E_clISD_PbSF_PiEESJ_SZ_SK_SL_SM_EUlSZ_E1_NS1_11comp_targetILNS1_3genE0ELNS1_11target_archE4294967295ELNS1_3gpuE0ELNS1_3repE0EEENS1_36merge_oddeven_config_static_selectorELNS0_4arch9wavefront6targetE1EEEvSL_
	.p2align	8
	.type	_ZN7rocprim17ROCPRIM_400000_NS6detail17trampoline_kernelINS0_14default_configENS1_38merge_sort_block_merge_config_selectorIbiEEZZNS1_27merge_sort_block_merge_implIS3_N6thrust23THRUST_200600_302600_NS6detail15normal_iteratorINS8_10device_ptrIbEEEENSA_INSB_IiEEEEjNS1_19radix_merge_compareILb0ELb1EbNS0_19identity_decomposerEEEEE10hipError_tT0_T1_T2_jT3_P12ihipStream_tbPNSt15iterator_traitsISK_E10value_typeEPNSQ_ISL_E10value_typeEPSM_NS1_7vsmem_tEENKUlT_SK_SL_SM_E_clISD_PbSF_PiEESJ_SZ_SK_SL_SM_EUlSZ_E1_NS1_11comp_targetILNS1_3genE0ELNS1_11target_archE4294967295ELNS1_3gpuE0ELNS1_3repE0EEENS1_36merge_oddeven_config_static_selectorELNS0_4arch9wavefront6targetE1EEEvSL_,@function
_ZN7rocprim17ROCPRIM_400000_NS6detail17trampoline_kernelINS0_14default_configENS1_38merge_sort_block_merge_config_selectorIbiEEZZNS1_27merge_sort_block_merge_implIS3_N6thrust23THRUST_200600_302600_NS6detail15normal_iteratorINS8_10device_ptrIbEEEENSA_INSB_IiEEEEjNS1_19radix_merge_compareILb0ELb1EbNS0_19identity_decomposerEEEEE10hipError_tT0_T1_T2_jT3_P12ihipStream_tbPNSt15iterator_traitsISK_E10value_typeEPNSQ_ISL_E10value_typeEPSM_NS1_7vsmem_tEENKUlT_SK_SL_SM_E_clISD_PbSF_PiEESJ_SZ_SK_SL_SM_EUlSZ_E1_NS1_11comp_targetILNS1_3genE0ELNS1_11target_archE4294967295ELNS1_3gpuE0ELNS1_3repE0EEENS1_36merge_oddeven_config_static_selectorELNS0_4arch9wavefront6targetE1EEEvSL_: ; @_ZN7rocprim17ROCPRIM_400000_NS6detail17trampoline_kernelINS0_14default_configENS1_38merge_sort_block_merge_config_selectorIbiEEZZNS1_27merge_sort_block_merge_implIS3_N6thrust23THRUST_200600_302600_NS6detail15normal_iteratorINS8_10device_ptrIbEEEENSA_INSB_IiEEEEjNS1_19radix_merge_compareILb0ELb1EbNS0_19identity_decomposerEEEEE10hipError_tT0_T1_T2_jT3_P12ihipStream_tbPNSt15iterator_traitsISK_E10value_typeEPNSQ_ISL_E10value_typeEPSM_NS1_7vsmem_tEENKUlT_SK_SL_SM_E_clISD_PbSF_PiEESJ_SZ_SK_SL_SM_EUlSZ_E1_NS1_11comp_targetILNS1_3genE0ELNS1_11target_archE4294967295ELNS1_3gpuE0ELNS1_3repE0EEENS1_36merge_oddeven_config_static_selectorELNS0_4arch9wavefront6targetE1EEEvSL_
; %bb.0:
	s_load_dwordx2 s[6:7], s[0:1], 0x4
	v_and_b32_e32 v1, 0x3ff, v0
	v_bfe_u32 v3, v0, 10, 10
	v_bfe_u32 v0, v0, 20, 10
	s_waitcnt lgkmcnt(0)
	s_lshr_b32 s0, s6, 16
	s_mul_i32 s0, s0, s7
	v_mul_lo_u32 v2, s0, v1
	s_load_dwordx2 s[18:19], s[2:3], 0x20
	s_load_dword s0, s[2:3], 0x28
	v_mul_u32_u24_e32 v3, s7, v3
	v_add3_u32 v4, v2, v3, v0
	s_waitcnt lgkmcnt(0)
	s_and_b32 s0, s0, 1
	v_mov_b32_e32 v0, s0
	s_lshr_b32 s0, s18, 8
	s_cmp_eq_u32 s4, s0
	s_cselect_b64 s[16:17], -1, 0
	s_cmp_lg_u32 s4, s0
	s_cselect_b64 s[0:1], -1, 0
	s_lshl_b32 s20, s4, 8
	s_sub_i32 s5, s18, s20
	v_cmp_gt_u32_e64 s[6:7], s5, v1
	s_or_b64 s[0:1], s[0:1], s[6:7]
	ds_write_b8 v4, v0
	s_and_saveexec_b64 s[8:9], s[0:1]
	s_cbranch_execz .LBB2006_24
; %bb.1:
	s_load_dwordx8 s[8:15], s[2:3], 0x0
	s_mov_b32 s21, 0
	v_lshlrev_b32_e32 v0, 2, v1
	s_waitcnt lgkmcnt(0)
	s_add_u32 s0, s8, s20
	s_addc_u32 s1, s9, 0
	s_lshl_b64 s[2:3], s[20:21], 2
	s_add_u32 s2, s12, s2
	s_addc_u32 s3, s13, s3
	global_load_dword v2, v0, s[2:3]
	global_load_ubyte v3, v1, s[0:1]
	s_lshr_b32 s0, s19, 8
	s_sub_i32 s1, 0, s0
	s_and_b32 s1, s4, s1
	s_and_b32 s0, s1, s0
	s_lshl_b32 s4, s1, 8
	s_sub_i32 s5, 0, s19
	s_cmp_eq_u32 s0, 0
	s_cselect_b64 s[0:1], -1, 0
	s_and_b64 s[2:3], s[0:1], exec
	s_cselect_b32 s12, s19, s5
	s_add_i32 s12, s12, s4
	s_mov_b64 s[2:3], -1
	s_cmp_gt_u32 s18, s12
	v_add_u32_e32 v0, s20, v1
	s_cbranch_scc1 .LBB2006_9
; %bb.2:
	s_and_b64 vcc, exec, s[16:17]
	s_cbranch_vccz .LBB2006_6
; %bb.3:
	v_cmp_gt_u32_e32 vcc, s18, v0
	s_and_saveexec_b64 s[2:3], vcc
	s_cbranch_execz .LBB2006_5
; %bb.4:
	v_mov_b32_e32 v1, 0
	v_lshl_add_u64 v[6:7], v[0:1], 2, s[14:15]
	s_waitcnt vmcnt(0)
	global_store_byte v0, v3, s[10:11]
	global_store_dword v[6:7], v2, off
.LBB2006_5:
	s_or_b64 exec, exec, s[2:3]
	s_mov_b64 s[2:3], 0
.LBB2006_6:
	s_andn2_b64 vcc, exec, s[2:3]
	s_cbranch_vccnz .LBB2006_8
; %bb.7:
	v_mov_b32_e32 v1, 0
	v_lshl_add_u64 v[6:7], v[0:1], 2, s[14:15]
	s_waitcnt vmcnt(0)
	global_store_byte v0, v3, s[10:11]
	global_store_dword v[6:7], v2, off
.LBB2006_8:
	s_mov_b64 s[2:3], 0
.LBB2006_9:
	s_andn2_b64 vcc, exec, s[2:3]
	s_cbranch_vccnz .LBB2006_24
; %bb.10:
	ds_read_u8 v1, v4
	s_min_u32 s13, s12, s18
	s_add_i32 s2, s13, s19
	s_min_u32 s18, s2, s18
	s_min_u32 s2, s4, s13
	s_add_i32 s4, s4, s13
	v_subrev_u32_e32 v0, s4, v0
	v_add_u32_e32 v0, s2, v0
	s_waitcnt vmcnt(0) lgkmcnt(0)
	v_and_b32_e32 v4, v1, v3
	s_mov_b64 s[2:3], -1
	s_and_b64 vcc, exec, s[16:17]
	s_cbranch_vccz .LBB2006_18
; %bb.11:
	s_and_saveexec_b64 s[2:3], s[6:7]
	s_cbranch_execz .LBB2006_17
; %bb.12:
	s_cmp_ge_u32 s12, s18
	v_mov_b32_e32 v5, s13
	s_cbranch_scc1 .LBB2006_16
; %bb.13:
	s_mov_b64 s[4:5], 0
	v_mov_b32_e32 v6, s18
	v_mov_b32_e32 v5, s13
.LBB2006_14:                            ; =>This Inner Loop Header: Depth=1
	v_add_u32_e32 v7, v5, v6
	v_lshrrev_b32_e32 v7, 1, v7
	global_load_ubyte v8, v7, s[8:9]
	v_add_u32_e32 v9, 1, v7
	s_waitcnt vmcnt(0)
	v_and_b32_e32 v8, v1, v8
	v_cmp_gt_u16_sdwa s[6:7], v4, v8 src0_sel:BYTE_0 src1_sel:DWORD
	s_nop 1
	v_cndmask_b32_e64 v10, 0, 1, s[6:7]
	v_cmp_le_u16_sdwa s[6:7], v8, v4 src0_sel:DWORD src1_sel:BYTE_0
	s_nop 1
	v_cndmask_b32_e64 v8, 0, 1, s[6:7]
	v_cndmask_b32_e64 v8, v8, v10, s[0:1]
	v_and_b32_e32 v8, 1, v8
	v_cmp_eq_u32_e32 vcc, 1, v8
	s_nop 1
	v_cndmask_b32_e32 v6, v7, v6, vcc
	v_cndmask_b32_e32 v5, v5, v9, vcc
	v_cmp_ge_u32_e32 vcc, v5, v6
	s_or_b64 s[4:5], vcc, s[4:5]
	s_andn2_b64 exec, exec, s[4:5]
	s_cbranch_execnz .LBB2006_14
; %bb.15:
	s_or_b64 exec, exec, s[4:5]
.LBB2006_16:
	v_add_u32_e32 v6, v5, v0
	v_mov_b32_e32 v7, 0
	global_store_byte v6, v3, s[10:11]
	v_lshl_add_u64 v[6:7], v[6:7], 2, s[14:15]
	global_store_dword v[6:7], v2, off
.LBB2006_17:
	s_or_b64 exec, exec, s[2:3]
	s_mov_b64 s[2:3], 0
.LBB2006_18:
	s_andn2_b64 vcc, exec, s[2:3]
	s_cbranch_vccnz .LBB2006_24
; %bb.19:
	s_cmp_ge_u32 s12, s18
	v_mov_b32_e32 v5, s13
	s_cbranch_scc1 .LBB2006_23
; %bb.20:
	s_mov_b64 s[2:3], 0
	v_mov_b32_e32 v6, s18
	v_mov_b32_e32 v5, s13
.LBB2006_21:                            ; =>This Inner Loop Header: Depth=1
	v_add_u32_e32 v7, v5, v6
	v_lshrrev_b32_e32 v7, 1, v7
	global_load_ubyte v8, v7, s[8:9]
	v_add_u32_e32 v9, 1, v7
	s_waitcnt vmcnt(0)
	v_and_b32_e32 v8, v1, v8
	v_cmp_gt_u16_sdwa s[4:5], v4, v8 src0_sel:BYTE_0 src1_sel:DWORD
	s_nop 1
	v_cndmask_b32_e64 v10, 0, 1, s[4:5]
	v_cmp_le_u16_sdwa s[4:5], v8, v4 src0_sel:DWORD src1_sel:BYTE_0
	s_nop 1
	v_cndmask_b32_e64 v8, 0, 1, s[4:5]
	v_cndmask_b32_e64 v8, v8, v10, s[0:1]
	v_and_b32_e32 v8, 1, v8
	v_cmp_eq_u32_e32 vcc, 1, v8
	s_nop 1
	v_cndmask_b32_e32 v6, v7, v6, vcc
	v_cndmask_b32_e32 v5, v5, v9, vcc
	v_cmp_ge_u32_e32 vcc, v5, v6
	s_or_b64 s[2:3], vcc, s[2:3]
	s_andn2_b64 exec, exec, s[2:3]
	s_cbranch_execnz .LBB2006_21
; %bb.22:
	s_or_b64 exec, exec, s[2:3]
.LBB2006_23:
	v_add_u32_e32 v0, v5, v0
	v_mov_b32_e32 v1, 0
	global_store_byte v0, v3, s[10:11]
	v_lshl_add_u64 v[0:1], v[0:1], 2, s[14:15]
	global_store_dword v[0:1], v2, off
.LBB2006_24:
	s_endpgm
	.section	.rodata,"a",@progbits
	.p2align	6, 0x0
	.amdhsa_kernel _ZN7rocprim17ROCPRIM_400000_NS6detail17trampoline_kernelINS0_14default_configENS1_38merge_sort_block_merge_config_selectorIbiEEZZNS1_27merge_sort_block_merge_implIS3_N6thrust23THRUST_200600_302600_NS6detail15normal_iteratorINS8_10device_ptrIbEEEENSA_INSB_IiEEEEjNS1_19radix_merge_compareILb0ELb1EbNS0_19identity_decomposerEEEEE10hipError_tT0_T1_T2_jT3_P12ihipStream_tbPNSt15iterator_traitsISK_E10value_typeEPNSQ_ISL_E10value_typeEPSM_NS1_7vsmem_tEENKUlT_SK_SL_SM_E_clISD_PbSF_PiEESJ_SZ_SK_SL_SM_EUlSZ_E1_NS1_11comp_targetILNS1_3genE0ELNS1_11target_archE4294967295ELNS1_3gpuE0ELNS1_3repE0EEENS1_36merge_oddeven_config_static_selectorELNS0_4arch9wavefront6targetE1EEEvSL_
		.amdhsa_group_segment_fixed_size 256
		.amdhsa_private_segment_fixed_size 0
		.amdhsa_kernarg_size 48
		.amdhsa_user_sgpr_count 4
		.amdhsa_user_sgpr_dispatch_ptr 1
		.amdhsa_user_sgpr_queue_ptr 0
		.amdhsa_user_sgpr_kernarg_segment_ptr 1
		.amdhsa_user_sgpr_dispatch_id 0
		.amdhsa_user_sgpr_kernarg_preload_length 0
		.amdhsa_user_sgpr_kernarg_preload_offset 0
		.amdhsa_user_sgpr_private_segment_size 0
		.amdhsa_uses_dynamic_stack 0
		.amdhsa_enable_private_segment 0
		.amdhsa_system_sgpr_workgroup_id_x 1
		.amdhsa_system_sgpr_workgroup_id_y 0
		.amdhsa_system_sgpr_workgroup_id_z 0
		.amdhsa_system_sgpr_workgroup_info 0
		.amdhsa_system_vgpr_workitem_id 2
		.amdhsa_next_free_vgpr 11
		.amdhsa_next_free_sgpr 22
		.amdhsa_accum_offset 12
		.amdhsa_reserve_vcc 1
		.amdhsa_float_round_mode_32 0
		.amdhsa_float_round_mode_16_64 0
		.amdhsa_float_denorm_mode_32 3
		.amdhsa_float_denorm_mode_16_64 3
		.amdhsa_dx10_clamp 1
		.amdhsa_ieee_mode 1
		.amdhsa_fp16_overflow 0
		.amdhsa_tg_split 0
		.amdhsa_exception_fp_ieee_invalid_op 0
		.amdhsa_exception_fp_denorm_src 0
		.amdhsa_exception_fp_ieee_div_zero 0
		.amdhsa_exception_fp_ieee_overflow 0
		.amdhsa_exception_fp_ieee_underflow 0
		.amdhsa_exception_fp_ieee_inexact 0
		.amdhsa_exception_int_div_zero 0
	.end_amdhsa_kernel
	.section	.text._ZN7rocprim17ROCPRIM_400000_NS6detail17trampoline_kernelINS0_14default_configENS1_38merge_sort_block_merge_config_selectorIbiEEZZNS1_27merge_sort_block_merge_implIS3_N6thrust23THRUST_200600_302600_NS6detail15normal_iteratorINS8_10device_ptrIbEEEENSA_INSB_IiEEEEjNS1_19radix_merge_compareILb0ELb1EbNS0_19identity_decomposerEEEEE10hipError_tT0_T1_T2_jT3_P12ihipStream_tbPNSt15iterator_traitsISK_E10value_typeEPNSQ_ISL_E10value_typeEPSM_NS1_7vsmem_tEENKUlT_SK_SL_SM_E_clISD_PbSF_PiEESJ_SZ_SK_SL_SM_EUlSZ_E1_NS1_11comp_targetILNS1_3genE0ELNS1_11target_archE4294967295ELNS1_3gpuE0ELNS1_3repE0EEENS1_36merge_oddeven_config_static_selectorELNS0_4arch9wavefront6targetE1EEEvSL_,"axG",@progbits,_ZN7rocprim17ROCPRIM_400000_NS6detail17trampoline_kernelINS0_14default_configENS1_38merge_sort_block_merge_config_selectorIbiEEZZNS1_27merge_sort_block_merge_implIS3_N6thrust23THRUST_200600_302600_NS6detail15normal_iteratorINS8_10device_ptrIbEEEENSA_INSB_IiEEEEjNS1_19radix_merge_compareILb0ELb1EbNS0_19identity_decomposerEEEEE10hipError_tT0_T1_T2_jT3_P12ihipStream_tbPNSt15iterator_traitsISK_E10value_typeEPNSQ_ISL_E10value_typeEPSM_NS1_7vsmem_tEENKUlT_SK_SL_SM_E_clISD_PbSF_PiEESJ_SZ_SK_SL_SM_EUlSZ_E1_NS1_11comp_targetILNS1_3genE0ELNS1_11target_archE4294967295ELNS1_3gpuE0ELNS1_3repE0EEENS1_36merge_oddeven_config_static_selectorELNS0_4arch9wavefront6targetE1EEEvSL_,comdat
.Lfunc_end2006:
	.size	_ZN7rocprim17ROCPRIM_400000_NS6detail17trampoline_kernelINS0_14default_configENS1_38merge_sort_block_merge_config_selectorIbiEEZZNS1_27merge_sort_block_merge_implIS3_N6thrust23THRUST_200600_302600_NS6detail15normal_iteratorINS8_10device_ptrIbEEEENSA_INSB_IiEEEEjNS1_19radix_merge_compareILb0ELb1EbNS0_19identity_decomposerEEEEE10hipError_tT0_T1_T2_jT3_P12ihipStream_tbPNSt15iterator_traitsISK_E10value_typeEPNSQ_ISL_E10value_typeEPSM_NS1_7vsmem_tEENKUlT_SK_SL_SM_E_clISD_PbSF_PiEESJ_SZ_SK_SL_SM_EUlSZ_E1_NS1_11comp_targetILNS1_3genE0ELNS1_11target_archE4294967295ELNS1_3gpuE0ELNS1_3repE0EEENS1_36merge_oddeven_config_static_selectorELNS0_4arch9wavefront6targetE1EEEvSL_, .Lfunc_end2006-_ZN7rocprim17ROCPRIM_400000_NS6detail17trampoline_kernelINS0_14default_configENS1_38merge_sort_block_merge_config_selectorIbiEEZZNS1_27merge_sort_block_merge_implIS3_N6thrust23THRUST_200600_302600_NS6detail15normal_iteratorINS8_10device_ptrIbEEEENSA_INSB_IiEEEEjNS1_19radix_merge_compareILb0ELb1EbNS0_19identity_decomposerEEEEE10hipError_tT0_T1_T2_jT3_P12ihipStream_tbPNSt15iterator_traitsISK_E10value_typeEPNSQ_ISL_E10value_typeEPSM_NS1_7vsmem_tEENKUlT_SK_SL_SM_E_clISD_PbSF_PiEESJ_SZ_SK_SL_SM_EUlSZ_E1_NS1_11comp_targetILNS1_3genE0ELNS1_11target_archE4294967295ELNS1_3gpuE0ELNS1_3repE0EEENS1_36merge_oddeven_config_static_selectorELNS0_4arch9wavefront6targetE1EEEvSL_
                                        ; -- End function
	.set _ZN7rocprim17ROCPRIM_400000_NS6detail17trampoline_kernelINS0_14default_configENS1_38merge_sort_block_merge_config_selectorIbiEEZZNS1_27merge_sort_block_merge_implIS3_N6thrust23THRUST_200600_302600_NS6detail15normal_iteratorINS8_10device_ptrIbEEEENSA_INSB_IiEEEEjNS1_19radix_merge_compareILb0ELb1EbNS0_19identity_decomposerEEEEE10hipError_tT0_T1_T2_jT3_P12ihipStream_tbPNSt15iterator_traitsISK_E10value_typeEPNSQ_ISL_E10value_typeEPSM_NS1_7vsmem_tEENKUlT_SK_SL_SM_E_clISD_PbSF_PiEESJ_SZ_SK_SL_SM_EUlSZ_E1_NS1_11comp_targetILNS1_3genE0ELNS1_11target_archE4294967295ELNS1_3gpuE0ELNS1_3repE0EEENS1_36merge_oddeven_config_static_selectorELNS0_4arch9wavefront6targetE1EEEvSL_.num_vgpr, 11
	.set _ZN7rocprim17ROCPRIM_400000_NS6detail17trampoline_kernelINS0_14default_configENS1_38merge_sort_block_merge_config_selectorIbiEEZZNS1_27merge_sort_block_merge_implIS3_N6thrust23THRUST_200600_302600_NS6detail15normal_iteratorINS8_10device_ptrIbEEEENSA_INSB_IiEEEEjNS1_19radix_merge_compareILb0ELb1EbNS0_19identity_decomposerEEEEE10hipError_tT0_T1_T2_jT3_P12ihipStream_tbPNSt15iterator_traitsISK_E10value_typeEPNSQ_ISL_E10value_typeEPSM_NS1_7vsmem_tEENKUlT_SK_SL_SM_E_clISD_PbSF_PiEESJ_SZ_SK_SL_SM_EUlSZ_E1_NS1_11comp_targetILNS1_3genE0ELNS1_11target_archE4294967295ELNS1_3gpuE0ELNS1_3repE0EEENS1_36merge_oddeven_config_static_selectorELNS0_4arch9wavefront6targetE1EEEvSL_.num_agpr, 0
	.set _ZN7rocprim17ROCPRIM_400000_NS6detail17trampoline_kernelINS0_14default_configENS1_38merge_sort_block_merge_config_selectorIbiEEZZNS1_27merge_sort_block_merge_implIS3_N6thrust23THRUST_200600_302600_NS6detail15normal_iteratorINS8_10device_ptrIbEEEENSA_INSB_IiEEEEjNS1_19radix_merge_compareILb0ELb1EbNS0_19identity_decomposerEEEEE10hipError_tT0_T1_T2_jT3_P12ihipStream_tbPNSt15iterator_traitsISK_E10value_typeEPNSQ_ISL_E10value_typeEPSM_NS1_7vsmem_tEENKUlT_SK_SL_SM_E_clISD_PbSF_PiEESJ_SZ_SK_SL_SM_EUlSZ_E1_NS1_11comp_targetILNS1_3genE0ELNS1_11target_archE4294967295ELNS1_3gpuE0ELNS1_3repE0EEENS1_36merge_oddeven_config_static_selectorELNS0_4arch9wavefront6targetE1EEEvSL_.numbered_sgpr, 22
	.set _ZN7rocprim17ROCPRIM_400000_NS6detail17trampoline_kernelINS0_14default_configENS1_38merge_sort_block_merge_config_selectorIbiEEZZNS1_27merge_sort_block_merge_implIS3_N6thrust23THRUST_200600_302600_NS6detail15normal_iteratorINS8_10device_ptrIbEEEENSA_INSB_IiEEEEjNS1_19radix_merge_compareILb0ELb1EbNS0_19identity_decomposerEEEEE10hipError_tT0_T1_T2_jT3_P12ihipStream_tbPNSt15iterator_traitsISK_E10value_typeEPNSQ_ISL_E10value_typeEPSM_NS1_7vsmem_tEENKUlT_SK_SL_SM_E_clISD_PbSF_PiEESJ_SZ_SK_SL_SM_EUlSZ_E1_NS1_11comp_targetILNS1_3genE0ELNS1_11target_archE4294967295ELNS1_3gpuE0ELNS1_3repE0EEENS1_36merge_oddeven_config_static_selectorELNS0_4arch9wavefront6targetE1EEEvSL_.num_named_barrier, 0
	.set _ZN7rocprim17ROCPRIM_400000_NS6detail17trampoline_kernelINS0_14default_configENS1_38merge_sort_block_merge_config_selectorIbiEEZZNS1_27merge_sort_block_merge_implIS3_N6thrust23THRUST_200600_302600_NS6detail15normal_iteratorINS8_10device_ptrIbEEEENSA_INSB_IiEEEEjNS1_19radix_merge_compareILb0ELb1EbNS0_19identity_decomposerEEEEE10hipError_tT0_T1_T2_jT3_P12ihipStream_tbPNSt15iterator_traitsISK_E10value_typeEPNSQ_ISL_E10value_typeEPSM_NS1_7vsmem_tEENKUlT_SK_SL_SM_E_clISD_PbSF_PiEESJ_SZ_SK_SL_SM_EUlSZ_E1_NS1_11comp_targetILNS1_3genE0ELNS1_11target_archE4294967295ELNS1_3gpuE0ELNS1_3repE0EEENS1_36merge_oddeven_config_static_selectorELNS0_4arch9wavefront6targetE1EEEvSL_.private_seg_size, 0
	.set _ZN7rocprim17ROCPRIM_400000_NS6detail17trampoline_kernelINS0_14default_configENS1_38merge_sort_block_merge_config_selectorIbiEEZZNS1_27merge_sort_block_merge_implIS3_N6thrust23THRUST_200600_302600_NS6detail15normal_iteratorINS8_10device_ptrIbEEEENSA_INSB_IiEEEEjNS1_19radix_merge_compareILb0ELb1EbNS0_19identity_decomposerEEEEE10hipError_tT0_T1_T2_jT3_P12ihipStream_tbPNSt15iterator_traitsISK_E10value_typeEPNSQ_ISL_E10value_typeEPSM_NS1_7vsmem_tEENKUlT_SK_SL_SM_E_clISD_PbSF_PiEESJ_SZ_SK_SL_SM_EUlSZ_E1_NS1_11comp_targetILNS1_3genE0ELNS1_11target_archE4294967295ELNS1_3gpuE0ELNS1_3repE0EEENS1_36merge_oddeven_config_static_selectorELNS0_4arch9wavefront6targetE1EEEvSL_.uses_vcc, 1
	.set _ZN7rocprim17ROCPRIM_400000_NS6detail17trampoline_kernelINS0_14default_configENS1_38merge_sort_block_merge_config_selectorIbiEEZZNS1_27merge_sort_block_merge_implIS3_N6thrust23THRUST_200600_302600_NS6detail15normal_iteratorINS8_10device_ptrIbEEEENSA_INSB_IiEEEEjNS1_19radix_merge_compareILb0ELb1EbNS0_19identity_decomposerEEEEE10hipError_tT0_T1_T2_jT3_P12ihipStream_tbPNSt15iterator_traitsISK_E10value_typeEPNSQ_ISL_E10value_typeEPSM_NS1_7vsmem_tEENKUlT_SK_SL_SM_E_clISD_PbSF_PiEESJ_SZ_SK_SL_SM_EUlSZ_E1_NS1_11comp_targetILNS1_3genE0ELNS1_11target_archE4294967295ELNS1_3gpuE0ELNS1_3repE0EEENS1_36merge_oddeven_config_static_selectorELNS0_4arch9wavefront6targetE1EEEvSL_.uses_flat_scratch, 0
	.set _ZN7rocprim17ROCPRIM_400000_NS6detail17trampoline_kernelINS0_14default_configENS1_38merge_sort_block_merge_config_selectorIbiEEZZNS1_27merge_sort_block_merge_implIS3_N6thrust23THRUST_200600_302600_NS6detail15normal_iteratorINS8_10device_ptrIbEEEENSA_INSB_IiEEEEjNS1_19radix_merge_compareILb0ELb1EbNS0_19identity_decomposerEEEEE10hipError_tT0_T1_T2_jT3_P12ihipStream_tbPNSt15iterator_traitsISK_E10value_typeEPNSQ_ISL_E10value_typeEPSM_NS1_7vsmem_tEENKUlT_SK_SL_SM_E_clISD_PbSF_PiEESJ_SZ_SK_SL_SM_EUlSZ_E1_NS1_11comp_targetILNS1_3genE0ELNS1_11target_archE4294967295ELNS1_3gpuE0ELNS1_3repE0EEENS1_36merge_oddeven_config_static_selectorELNS0_4arch9wavefront6targetE1EEEvSL_.has_dyn_sized_stack, 0
	.set _ZN7rocprim17ROCPRIM_400000_NS6detail17trampoline_kernelINS0_14default_configENS1_38merge_sort_block_merge_config_selectorIbiEEZZNS1_27merge_sort_block_merge_implIS3_N6thrust23THRUST_200600_302600_NS6detail15normal_iteratorINS8_10device_ptrIbEEEENSA_INSB_IiEEEEjNS1_19radix_merge_compareILb0ELb1EbNS0_19identity_decomposerEEEEE10hipError_tT0_T1_T2_jT3_P12ihipStream_tbPNSt15iterator_traitsISK_E10value_typeEPNSQ_ISL_E10value_typeEPSM_NS1_7vsmem_tEENKUlT_SK_SL_SM_E_clISD_PbSF_PiEESJ_SZ_SK_SL_SM_EUlSZ_E1_NS1_11comp_targetILNS1_3genE0ELNS1_11target_archE4294967295ELNS1_3gpuE0ELNS1_3repE0EEENS1_36merge_oddeven_config_static_selectorELNS0_4arch9wavefront6targetE1EEEvSL_.has_recursion, 0
	.set _ZN7rocprim17ROCPRIM_400000_NS6detail17trampoline_kernelINS0_14default_configENS1_38merge_sort_block_merge_config_selectorIbiEEZZNS1_27merge_sort_block_merge_implIS3_N6thrust23THRUST_200600_302600_NS6detail15normal_iteratorINS8_10device_ptrIbEEEENSA_INSB_IiEEEEjNS1_19radix_merge_compareILb0ELb1EbNS0_19identity_decomposerEEEEE10hipError_tT0_T1_T2_jT3_P12ihipStream_tbPNSt15iterator_traitsISK_E10value_typeEPNSQ_ISL_E10value_typeEPSM_NS1_7vsmem_tEENKUlT_SK_SL_SM_E_clISD_PbSF_PiEESJ_SZ_SK_SL_SM_EUlSZ_E1_NS1_11comp_targetILNS1_3genE0ELNS1_11target_archE4294967295ELNS1_3gpuE0ELNS1_3repE0EEENS1_36merge_oddeven_config_static_selectorELNS0_4arch9wavefront6targetE1EEEvSL_.has_indirect_call, 0
	.section	.AMDGPU.csdata,"",@progbits
; Kernel info:
; codeLenInByte = 804
; TotalNumSgprs: 28
; NumVgprs: 11
; NumAgprs: 0
; TotalNumVgprs: 11
; ScratchSize: 0
; MemoryBound: 0
; FloatMode: 240
; IeeeMode: 1
; LDSByteSize: 256 bytes/workgroup (compile time only)
; SGPRBlocks: 3
; VGPRBlocks: 1
; NumSGPRsForWavesPerEU: 28
; NumVGPRsForWavesPerEU: 11
; AccumOffset: 12
; Occupancy: 8
; WaveLimiterHint : 0
; COMPUTE_PGM_RSRC2:SCRATCH_EN: 0
; COMPUTE_PGM_RSRC2:USER_SGPR: 4
; COMPUTE_PGM_RSRC2:TRAP_HANDLER: 0
; COMPUTE_PGM_RSRC2:TGID_X_EN: 1
; COMPUTE_PGM_RSRC2:TGID_Y_EN: 0
; COMPUTE_PGM_RSRC2:TGID_Z_EN: 0
; COMPUTE_PGM_RSRC2:TIDIG_COMP_CNT: 2
; COMPUTE_PGM_RSRC3_GFX90A:ACCUM_OFFSET: 2
; COMPUTE_PGM_RSRC3_GFX90A:TG_SPLIT: 0
	.section	.text._ZN7rocprim17ROCPRIM_400000_NS6detail17trampoline_kernelINS0_14default_configENS1_38merge_sort_block_merge_config_selectorIbiEEZZNS1_27merge_sort_block_merge_implIS3_N6thrust23THRUST_200600_302600_NS6detail15normal_iteratorINS8_10device_ptrIbEEEENSA_INSB_IiEEEEjNS1_19radix_merge_compareILb0ELb1EbNS0_19identity_decomposerEEEEE10hipError_tT0_T1_T2_jT3_P12ihipStream_tbPNSt15iterator_traitsISK_E10value_typeEPNSQ_ISL_E10value_typeEPSM_NS1_7vsmem_tEENKUlT_SK_SL_SM_E_clISD_PbSF_PiEESJ_SZ_SK_SL_SM_EUlSZ_E1_NS1_11comp_targetILNS1_3genE10ELNS1_11target_archE1201ELNS1_3gpuE5ELNS1_3repE0EEENS1_36merge_oddeven_config_static_selectorELNS0_4arch9wavefront6targetE1EEEvSL_,"axG",@progbits,_ZN7rocprim17ROCPRIM_400000_NS6detail17trampoline_kernelINS0_14default_configENS1_38merge_sort_block_merge_config_selectorIbiEEZZNS1_27merge_sort_block_merge_implIS3_N6thrust23THRUST_200600_302600_NS6detail15normal_iteratorINS8_10device_ptrIbEEEENSA_INSB_IiEEEEjNS1_19radix_merge_compareILb0ELb1EbNS0_19identity_decomposerEEEEE10hipError_tT0_T1_T2_jT3_P12ihipStream_tbPNSt15iterator_traitsISK_E10value_typeEPNSQ_ISL_E10value_typeEPSM_NS1_7vsmem_tEENKUlT_SK_SL_SM_E_clISD_PbSF_PiEESJ_SZ_SK_SL_SM_EUlSZ_E1_NS1_11comp_targetILNS1_3genE10ELNS1_11target_archE1201ELNS1_3gpuE5ELNS1_3repE0EEENS1_36merge_oddeven_config_static_selectorELNS0_4arch9wavefront6targetE1EEEvSL_,comdat
	.protected	_ZN7rocprim17ROCPRIM_400000_NS6detail17trampoline_kernelINS0_14default_configENS1_38merge_sort_block_merge_config_selectorIbiEEZZNS1_27merge_sort_block_merge_implIS3_N6thrust23THRUST_200600_302600_NS6detail15normal_iteratorINS8_10device_ptrIbEEEENSA_INSB_IiEEEEjNS1_19radix_merge_compareILb0ELb1EbNS0_19identity_decomposerEEEEE10hipError_tT0_T1_T2_jT3_P12ihipStream_tbPNSt15iterator_traitsISK_E10value_typeEPNSQ_ISL_E10value_typeEPSM_NS1_7vsmem_tEENKUlT_SK_SL_SM_E_clISD_PbSF_PiEESJ_SZ_SK_SL_SM_EUlSZ_E1_NS1_11comp_targetILNS1_3genE10ELNS1_11target_archE1201ELNS1_3gpuE5ELNS1_3repE0EEENS1_36merge_oddeven_config_static_selectorELNS0_4arch9wavefront6targetE1EEEvSL_ ; -- Begin function _ZN7rocprim17ROCPRIM_400000_NS6detail17trampoline_kernelINS0_14default_configENS1_38merge_sort_block_merge_config_selectorIbiEEZZNS1_27merge_sort_block_merge_implIS3_N6thrust23THRUST_200600_302600_NS6detail15normal_iteratorINS8_10device_ptrIbEEEENSA_INSB_IiEEEEjNS1_19radix_merge_compareILb0ELb1EbNS0_19identity_decomposerEEEEE10hipError_tT0_T1_T2_jT3_P12ihipStream_tbPNSt15iterator_traitsISK_E10value_typeEPNSQ_ISL_E10value_typeEPSM_NS1_7vsmem_tEENKUlT_SK_SL_SM_E_clISD_PbSF_PiEESJ_SZ_SK_SL_SM_EUlSZ_E1_NS1_11comp_targetILNS1_3genE10ELNS1_11target_archE1201ELNS1_3gpuE5ELNS1_3repE0EEENS1_36merge_oddeven_config_static_selectorELNS0_4arch9wavefront6targetE1EEEvSL_
	.globl	_ZN7rocprim17ROCPRIM_400000_NS6detail17trampoline_kernelINS0_14default_configENS1_38merge_sort_block_merge_config_selectorIbiEEZZNS1_27merge_sort_block_merge_implIS3_N6thrust23THRUST_200600_302600_NS6detail15normal_iteratorINS8_10device_ptrIbEEEENSA_INSB_IiEEEEjNS1_19radix_merge_compareILb0ELb1EbNS0_19identity_decomposerEEEEE10hipError_tT0_T1_T2_jT3_P12ihipStream_tbPNSt15iterator_traitsISK_E10value_typeEPNSQ_ISL_E10value_typeEPSM_NS1_7vsmem_tEENKUlT_SK_SL_SM_E_clISD_PbSF_PiEESJ_SZ_SK_SL_SM_EUlSZ_E1_NS1_11comp_targetILNS1_3genE10ELNS1_11target_archE1201ELNS1_3gpuE5ELNS1_3repE0EEENS1_36merge_oddeven_config_static_selectorELNS0_4arch9wavefront6targetE1EEEvSL_
	.p2align	8
	.type	_ZN7rocprim17ROCPRIM_400000_NS6detail17trampoline_kernelINS0_14default_configENS1_38merge_sort_block_merge_config_selectorIbiEEZZNS1_27merge_sort_block_merge_implIS3_N6thrust23THRUST_200600_302600_NS6detail15normal_iteratorINS8_10device_ptrIbEEEENSA_INSB_IiEEEEjNS1_19radix_merge_compareILb0ELb1EbNS0_19identity_decomposerEEEEE10hipError_tT0_T1_T2_jT3_P12ihipStream_tbPNSt15iterator_traitsISK_E10value_typeEPNSQ_ISL_E10value_typeEPSM_NS1_7vsmem_tEENKUlT_SK_SL_SM_E_clISD_PbSF_PiEESJ_SZ_SK_SL_SM_EUlSZ_E1_NS1_11comp_targetILNS1_3genE10ELNS1_11target_archE1201ELNS1_3gpuE5ELNS1_3repE0EEENS1_36merge_oddeven_config_static_selectorELNS0_4arch9wavefront6targetE1EEEvSL_,@function
_ZN7rocprim17ROCPRIM_400000_NS6detail17trampoline_kernelINS0_14default_configENS1_38merge_sort_block_merge_config_selectorIbiEEZZNS1_27merge_sort_block_merge_implIS3_N6thrust23THRUST_200600_302600_NS6detail15normal_iteratorINS8_10device_ptrIbEEEENSA_INSB_IiEEEEjNS1_19radix_merge_compareILb0ELb1EbNS0_19identity_decomposerEEEEE10hipError_tT0_T1_T2_jT3_P12ihipStream_tbPNSt15iterator_traitsISK_E10value_typeEPNSQ_ISL_E10value_typeEPSM_NS1_7vsmem_tEENKUlT_SK_SL_SM_E_clISD_PbSF_PiEESJ_SZ_SK_SL_SM_EUlSZ_E1_NS1_11comp_targetILNS1_3genE10ELNS1_11target_archE1201ELNS1_3gpuE5ELNS1_3repE0EEENS1_36merge_oddeven_config_static_selectorELNS0_4arch9wavefront6targetE1EEEvSL_: ; @_ZN7rocprim17ROCPRIM_400000_NS6detail17trampoline_kernelINS0_14default_configENS1_38merge_sort_block_merge_config_selectorIbiEEZZNS1_27merge_sort_block_merge_implIS3_N6thrust23THRUST_200600_302600_NS6detail15normal_iteratorINS8_10device_ptrIbEEEENSA_INSB_IiEEEEjNS1_19radix_merge_compareILb0ELb1EbNS0_19identity_decomposerEEEEE10hipError_tT0_T1_T2_jT3_P12ihipStream_tbPNSt15iterator_traitsISK_E10value_typeEPNSQ_ISL_E10value_typeEPSM_NS1_7vsmem_tEENKUlT_SK_SL_SM_E_clISD_PbSF_PiEESJ_SZ_SK_SL_SM_EUlSZ_E1_NS1_11comp_targetILNS1_3genE10ELNS1_11target_archE1201ELNS1_3gpuE5ELNS1_3repE0EEENS1_36merge_oddeven_config_static_selectorELNS0_4arch9wavefront6targetE1EEEvSL_
; %bb.0:
	.section	.rodata,"a",@progbits
	.p2align	6, 0x0
	.amdhsa_kernel _ZN7rocprim17ROCPRIM_400000_NS6detail17trampoline_kernelINS0_14default_configENS1_38merge_sort_block_merge_config_selectorIbiEEZZNS1_27merge_sort_block_merge_implIS3_N6thrust23THRUST_200600_302600_NS6detail15normal_iteratorINS8_10device_ptrIbEEEENSA_INSB_IiEEEEjNS1_19radix_merge_compareILb0ELb1EbNS0_19identity_decomposerEEEEE10hipError_tT0_T1_T2_jT3_P12ihipStream_tbPNSt15iterator_traitsISK_E10value_typeEPNSQ_ISL_E10value_typeEPSM_NS1_7vsmem_tEENKUlT_SK_SL_SM_E_clISD_PbSF_PiEESJ_SZ_SK_SL_SM_EUlSZ_E1_NS1_11comp_targetILNS1_3genE10ELNS1_11target_archE1201ELNS1_3gpuE5ELNS1_3repE0EEENS1_36merge_oddeven_config_static_selectorELNS0_4arch9wavefront6targetE1EEEvSL_
		.amdhsa_group_segment_fixed_size 0
		.amdhsa_private_segment_fixed_size 0
		.amdhsa_kernarg_size 48
		.amdhsa_user_sgpr_count 2
		.amdhsa_user_sgpr_dispatch_ptr 0
		.amdhsa_user_sgpr_queue_ptr 0
		.amdhsa_user_sgpr_kernarg_segment_ptr 1
		.amdhsa_user_sgpr_dispatch_id 0
		.amdhsa_user_sgpr_kernarg_preload_length 0
		.amdhsa_user_sgpr_kernarg_preload_offset 0
		.amdhsa_user_sgpr_private_segment_size 0
		.amdhsa_uses_dynamic_stack 0
		.amdhsa_enable_private_segment 0
		.amdhsa_system_sgpr_workgroup_id_x 1
		.amdhsa_system_sgpr_workgroup_id_y 0
		.amdhsa_system_sgpr_workgroup_id_z 0
		.amdhsa_system_sgpr_workgroup_info 0
		.amdhsa_system_vgpr_workitem_id 0
		.amdhsa_next_free_vgpr 1
		.amdhsa_next_free_sgpr 0
		.amdhsa_accum_offset 4
		.amdhsa_reserve_vcc 0
		.amdhsa_float_round_mode_32 0
		.amdhsa_float_round_mode_16_64 0
		.amdhsa_float_denorm_mode_32 3
		.amdhsa_float_denorm_mode_16_64 3
		.amdhsa_dx10_clamp 1
		.amdhsa_ieee_mode 1
		.amdhsa_fp16_overflow 0
		.amdhsa_tg_split 0
		.amdhsa_exception_fp_ieee_invalid_op 0
		.amdhsa_exception_fp_denorm_src 0
		.amdhsa_exception_fp_ieee_div_zero 0
		.amdhsa_exception_fp_ieee_overflow 0
		.amdhsa_exception_fp_ieee_underflow 0
		.amdhsa_exception_fp_ieee_inexact 0
		.amdhsa_exception_int_div_zero 0
	.end_amdhsa_kernel
	.section	.text._ZN7rocprim17ROCPRIM_400000_NS6detail17trampoline_kernelINS0_14default_configENS1_38merge_sort_block_merge_config_selectorIbiEEZZNS1_27merge_sort_block_merge_implIS3_N6thrust23THRUST_200600_302600_NS6detail15normal_iteratorINS8_10device_ptrIbEEEENSA_INSB_IiEEEEjNS1_19radix_merge_compareILb0ELb1EbNS0_19identity_decomposerEEEEE10hipError_tT0_T1_T2_jT3_P12ihipStream_tbPNSt15iterator_traitsISK_E10value_typeEPNSQ_ISL_E10value_typeEPSM_NS1_7vsmem_tEENKUlT_SK_SL_SM_E_clISD_PbSF_PiEESJ_SZ_SK_SL_SM_EUlSZ_E1_NS1_11comp_targetILNS1_3genE10ELNS1_11target_archE1201ELNS1_3gpuE5ELNS1_3repE0EEENS1_36merge_oddeven_config_static_selectorELNS0_4arch9wavefront6targetE1EEEvSL_,"axG",@progbits,_ZN7rocprim17ROCPRIM_400000_NS6detail17trampoline_kernelINS0_14default_configENS1_38merge_sort_block_merge_config_selectorIbiEEZZNS1_27merge_sort_block_merge_implIS3_N6thrust23THRUST_200600_302600_NS6detail15normal_iteratorINS8_10device_ptrIbEEEENSA_INSB_IiEEEEjNS1_19radix_merge_compareILb0ELb1EbNS0_19identity_decomposerEEEEE10hipError_tT0_T1_T2_jT3_P12ihipStream_tbPNSt15iterator_traitsISK_E10value_typeEPNSQ_ISL_E10value_typeEPSM_NS1_7vsmem_tEENKUlT_SK_SL_SM_E_clISD_PbSF_PiEESJ_SZ_SK_SL_SM_EUlSZ_E1_NS1_11comp_targetILNS1_3genE10ELNS1_11target_archE1201ELNS1_3gpuE5ELNS1_3repE0EEENS1_36merge_oddeven_config_static_selectorELNS0_4arch9wavefront6targetE1EEEvSL_,comdat
.Lfunc_end2007:
	.size	_ZN7rocprim17ROCPRIM_400000_NS6detail17trampoline_kernelINS0_14default_configENS1_38merge_sort_block_merge_config_selectorIbiEEZZNS1_27merge_sort_block_merge_implIS3_N6thrust23THRUST_200600_302600_NS6detail15normal_iteratorINS8_10device_ptrIbEEEENSA_INSB_IiEEEEjNS1_19radix_merge_compareILb0ELb1EbNS0_19identity_decomposerEEEEE10hipError_tT0_T1_T2_jT3_P12ihipStream_tbPNSt15iterator_traitsISK_E10value_typeEPNSQ_ISL_E10value_typeEPSM_NS1_7vsmem_tEENKUlT_SK_SL_SM_E_clISD_PbSF_PiEESJ_SZ_SK_SL_SM_EUlSZ_E1_NS1_11comp_targetILNS1_3genE10ELNS1_11target_archE1201ELNS1_3gpuE5ELNS1_3repE0EEENS1_36merge_oddeven_config_static_selectorELNS0_4arch9wavefront6targetE1EEEvSL_, .Lfunc_end2007-_ZN7rocprim17ROCPRIM_400000_NS6detail17trampoline_kernelINS0_14default_configENS1_38merge_sort_block_merge_config_selectorIbiEEZZNS1_27merge_sort_block_merge_implIS3_N6thrust23THRUST_200600_302600_NS6detail15normal_iteratorINS8_10device_ptrIbEEEENSA_INSB_IiEEEEjNS1_19radix_merge_compareILb0ELb1EbNS0_19identity_decomposerEEEEE10hipError_tT0_T1_T2_jT3_P12ihipStream_tbPNSt15iterator_traitsISK_E10value_typeEPNSQ_ISL_E10value_typeEPSM_NS1_7vsmem_tEENKUlT_SK_SL_SM_E_clISD_PbSF_PiEESJ_SZ_SK_SL_SM_EUlSZ_E1_NS1_11comp_targetILNS1_3genE10ELNS1_11target_archE1201ELNS1_3gpuE5ELNS1_3repE0EEENS1_36merge_oddeven_config_static_selectorELNS0_4arch9wavefront6targetE1EEEvSL_
                                        ; -- End function
	.set _ZN7rocprim17ROCPRIM_400000_NS6detail17trampoline_kernelINS0_14default_configENS1_38merge_sort_block_merge_config_selectorIbiEEZZNS1_27merge_sort_block_merge_implIS3_N6thrust23THRUST_200600_302600_NS6detail15normal_iteratorINS8_10device_ptrIbEEEENSA_INSB_IiEEEEjNS1_19radix_merge_compareILb0ELb1EbNS0_19identity_decomposerEEEEE10hipError_tT0_T1_T2_jT3_P12ihipStream_tbPNSt15iterator_traitsISK_E10value_typeEPNSQ_ISL_E10value_typeEPSM_NS1_7vsmem_tEENKUlT_SK_SL_SM_E_clISD_PbSF_PiEESJ_SZ_SK_SL_SM_EUlSZ_E1_NS1_11comp_targetILNS1_3genE10ELNS1_11target_archE1201ELNS1_3gpuE5ELNS1_3repE0EEENS1_36merge_oddeven_config_static_selectorELNS0_4arch9wavefront6targetE1EEEvSL_.num_vgpr, 0
	.set _ZN7rocprim17ROCPRIM_400000_NS6detail17trampoline_kernelINS0_14default_configENS1_38merge_sort_block_merge_config_selectorIbiEEZZNS1_27merge_sort_block_merge_implIS3_N6thrust23THRUST_200600_302600_NS6detail15normal_iteratorINS8_10device_ptrIbEEEENSA_INSB_IiEEEEjNS1_19radix_merge_compareILb0ELb1EbNS0_19identity_decomposerEEEEE10hipError_tT0_T1_T2_jT3_P12ihipStream_tbPNSt15iterator_traitsISK_E10value_typeEPNSQ_ISL_E10value_typeEPSM_NS1_7vsmem_tEENKUlT_SK_SL_SM_E_clISD_PbSF_PiEESJ_SZ_SK_SL_SM_EUlSZ_E1_NS1_11comp_targetILNS1_3genE10ELNS1_11target_archE1201ELNS1_3gpuE5ELNS1_3repE0EEENS1_36merge_oddeven_config_static_selectorELNS0_4arch9wavefront6targetE1EEEvSL_.num_agpr, 0
	.set _ZN7rocprim17ROCPRIM_400000_NS6detail17trampoline_kernelINS0_14default_configENS1_38merge_sort_block_merge_config_selectorIbiEEZZNS1_27merge_sort_block_merge_implIS3_N6thrust23THRUST_200600_302600_NS6detail15normal_iteratorINS8_10device_ptrIbEEEENSA_INSB_IiEEEEjNS1_19radix_merge_compareILb0ELb1EbNS0_19identity_decomposerEEEEE10hipError_tT0_T1_T2_jT3_P12ihipStream_tbPNSt15iterator_traitsISK_E10value_typeEPNSQ_ISL_E10value_typeEPSM_NS1_7vsmem_tEENKUlT_SK_SL_SM_E_clISD_PbSF_PiEESJ_SZ_SK_SL_SM_EUlSZ_E1_NS1_11comp_targetILNS1_3genE10ELNS1_11target_archE1201ELNS1_3gpuE5ELNS1_3repE0EEENS1_36merge_oddeven_config_static_selectorELNS0_4arch9wavefront6targetE1EEEvSL_.numbered_sgpr, 0
	.set _ZN7rocprim17ROCPRIM_400000_NS6detail17trampoline_kernelINS0_14default_configENS1_38merge_sort_block_merge_config_selectorIbiEEZZNS1_27merge_sort_block_merge_implIS3_N6thrust23THRUST_200600_302600_NS6detail15normal_iteratorINS8_10device_ptrIbEEEENSA_INSB_IiEEEEjNS1_19radix_merge_compareILb0ELb1EbNS0_19identity_decomposerEEEEE10hipError_tT0_T1_T2_jT3_P12ihipStream_tbPNSt15iterator_traitsISK_E10value_typeEPNSQ_ISL_E10value_typeEPSM_NS1_7vsmem_tEENKUlT_SK_SL_SM_E_clISD_PbSF_PiEESJ_SZ_SK_SL_SM_EUlSZ_E1_NS1_11comp_targetILNS1_3genE10ELNS1_11target_archE1201ELNS1_3gpuE5ELNS1_3repE0EEENS1_36merge_oddeven_config_static_selectorELNS0_4arch9wavefront6targetE1EEEvSL_.num_named_barrier, 0
	.set _ZN7rocprim17ROCPRIM_400000_NS6detail17trampoline_kernelINS0_14default_configENS1_38merge_sort_block_merge_config_selectorIbiEEZZNS1_27merge_sort_block_merge_implIS3_N6thrust23THRUST_200600_302600_NS6detail15normal_iteratorINS8_10device_ptrIbEEEENSA_INSB_IiEEEEjNS1_19radix_merge_compareILb0ELb1EbNS0_19identity_decomposerEEEEE10hipError_tT0_T1_T2_jT3_P12ihipStream_tbPNSt15iterator_traitsISK_E10value_typeEPNSQ_ISL_E10value_typeEPSM_NS1_7vsmem_tEENKUlT_SK_SL_SM_E_clISD_PbSF_PiEESJ_SZ_SK_SL_SM_EUlSZ_E1_NS1_11comp_targetILNS1_3genE10ELNS1_11target_archE1201ELNS1_3gpuE5ELNS1_3repE0EEENS1_36merge_oddeven_config_static_selectorELNS0_4arch9wavefront6targetE1EEEvSL_.private_seg_size, 0
	.set _ZN7rocprim17ROCPRIM_400000_NS6detail17trampoline_kernelINS0_14default_configENS1_38merge_sort_block_merge_config_selectorIbiEEZZNS1_27merge_sort_block_merge_implIS3_N6thrust23THRUST_200600_302600_NS6detail15normal_iteratorINS8_10device_ptrIbEEEENSA_INSB_IiEEEEjNS1_19radix_merge_compareILb0ELb1EbNS0_19identity_decomposerEEEEE10hipError_tT0_T1_T2_jT3_P12ihipStream_tbPNSt15iterator_traitsISK_E10value_typeEPNSQ_ISL_E10value_typeEPSM_NS1_7vsmem_tEENKUlT_SK_SL_SM_E_clISD_PbSF_PiEESJ_SZ_SK_SL_SM_EUlSZ_E1_NS1_11comp_targetILNS1_3genE10ELNS1_11target_archE1201ELNS1_3gpuE5ELNS1_3repE0EEENS1_36merge_oddeven_config_static_selectorELNS0_4arch9wavefront6targetE1EEEvSL_.uses_vcc, 0
	.set _ZN7rocprim17ROCPRIM_400000_NS6detail17trampoline_kernelINS0_14default_configENS1_38merge_sort_block_merge_config_selectorIbiEEZZNS1_27merge_sort_block_merge_implIS3_N6thrust23THRUST_200600_302600_NS6detail15normal_iteratorINS8_10device_ptrIbEEEENSA_INSB_IiEEEEjNS1_19radix_merge_compareILb0ELb1EbNS0_19identity_decomposerEEEEE10hipError_tT0_T1_T2_jT3_P12ihipStream_tbPNSt15iterator_traitsISK_E10value_typeEPNSQ_ISL_E10value_typeEPSM_NS1_7vsmem_tEENKUlT_SK_SL_SM_E_clISD_PbSF_PiEESJ_SZ_SK_SL_SM_EUlSZ_E1_NS1_11comp_targetILNS1_3genE10ELNS1_11target_archE1201ELNS1_3gpuE5ELNS1_3repE0EEENS1_36merge_oddeven_config_static_selectorELNS0_4arch9wavefront6targetE1EEEvSL_.uses_flat_scratch, 0
	.set _ZN7rocprim17ROCPRIM_400000_NS6detail17trampoline_kernelINS0_14default_configENS1_38merge_sort_block_merge_config_selectorIbiEEZZNS1_27merge_sort_block_merge_implIS3_N6thrust23THRUST_200600_302600_NS6detail15normal_iteratorINS8_10device_ptrIbEEEENSA_INSB_IiEEEEjNS1_19radix_merge_compareILb0ELb1EbNS0_19identity_decomposerEEEEE10hipError_tT0_T1_T2_jT3_P12ihipStream_tbPNSt15iterator_traitsISK_E10value_typeEPNSQ_ISL_E10value_typeEPSM_NS1_7vsmem_tEENKUlT_SK_SL_SM_E_clISD_PbSF_PiEESJ_SZ_SK_SL_SM_EUlSZ_E1_NS1_11comp_targetILNS1_3genE10ELNS1_11target_archE1201ELNS1_3gpuE5ELNS1_3repE0EEENS1_36merge_oddeven_config_static_selectorELNS0_4arch9wavefront6targetE1EEEvSL_.has_dyn_sized_stack, 0
	.set _ZN7rocprim17ROCPRIM_400000_NS6detail17trampoline_kernelINS0_14default_configENS1_38merge_sort_block_merge_config_selectorIbiEEZZNS1_27merge_sort_block_merge_implIS3_N6thrust23THRUST_200600_302600_NS6detail15normal_iteratorINS8_10device_ptrIbEEEENSA_INSB_IiEEEEjNS1_19radix_merge_compareILb0ELb1EbNS0_19identity_decomposerEEEEE10hipError_tT0_T1_T2_jT3_P12ihipStream_tbPNSt15iterator_traitsISK_E10value_typeEPNSQ_ISL_E10value_typeEPSM_NS1_7vsmem_tEENKUlT_SK_SL_SM_E_clISD_PbSF_PiEESJ_SZ_SK_SL_SM_EUlSZ_E1_NS1_11comp_targetILNS1_3genE10ELNS1_11target_archE1201ELNS1_3gpuE5ELNS1_3repE0EEENS1_36merge_oddeven_config_static_selectorELNS0_4arch9wavefront6targetE1EEEvSL_.has_recursion, 0
	.set _ZN7rocprim17ROCPRIM_400000_NS6detail17trampoline_kernelINS0_14default_configENS1_38merge_sort_block_merge_config_selectorIbiEEZZNS1_27merge_sort_block_merge_implIS3_N6thrust23THRUST_200600_302600_NS6detail15normal_iteratorINS8_10device_ptrIbEEEENSA_INSB_IiEEEEjNS1_19radix_merge_compareILb0ELb1EbNS0_19identity_decomposerEEEEE10hipError_tT0_T1_T2_jT3_P12ihipStream_tbPNSt15iterator_traitsISK_E10value_typeEPNSQ_ISL_E10value_typeEPSM_NS1_7vsmem_tEENKUlT_SK_SL_SM_E_clISD_PbSF_PiEESJ_SZ_SK_SL_SM_EUlSZ_E1_NS1_11comp_targetILNS1_3genE10ELNS1_11target_archE1201ELNS1_3gpuE5ELNS1_3repE0EEENS1_36merge_oddeven_config_static_selectorELNS0_4arch9wavefront6targetE1EEEvSL_.has_indirect_call, 0
	.section	.AMDGPU.csdata,"",@progbits
; Kernel info:
; codeLenInByte = 0
; TotalNumSgprs: 6
; NumVgprs: 0
; NumAgprs: 0
; TotalNumVgprs: 0
; ScratchSize: 0
; MemoryBound: 0
; FloatMode: 240
; IeeeMode: 1
; LDSByteSize: 0 bytes/workgroup (compile time only)
; SGPRBlocks: 0
; VGPRBlocks: 0
; NumSGPRsForWavesPerEU: 6
; NumVGPRsForWavesPerEU: 1
; AccumOffset: 4
; Occupancy: 8
; WaveLimiterHint : 0
; COMPUTE_PGM_RSRC2:SCRATCH_EN: 0
; COMPUTE_PGM_RSRC2:USER_SGPR: 2
; COMPUTE_PGM_RSRC2:TRAP_HANDLER: 0
; COMPUTE_PGM_RSRC2:TGID_X_EN: 1
; COMPUTE_PGM_RSRC2:TGID_Y_EN: 0
; COMPUTE_PGM_RSRC2:TGID_Z_EN: 0
; COMPUTE_PGM_RSRC2:TIDIG_COMP_CNT: 0
; COMPUTE_PGM_RSRC3_GFX90A:ACCUM_OFFSET: 0
; COMPUTE_PGM_RSRC3_GFX90A:TG_SPLIT: 0
	.section	.text._ZN7rocprim17ROCPRIM_400000_NS6detail17trampoline_kernelINS0_14default_configENS1_38merge_sort_block_merge_config_selectorIbiEEZZNS1_27merge_sort_block_merge_implIS3_N6thrust23THRUST_200600_302600_NS6detail15normal_iteratorINS8_10device_ptrIbEEEENSA_INSB_IiEEEEjNS1_19radix_merge_compareILb0ELb1EbNS0_19identity_decomposerEEEEE10hipError_tT0_T1_T2_jT3_P12ihipStream_tbPNSt15iterator_traitsISK_E10value_typeEPNSQ_ISL_E10value_typeEPSM_NS1_7vsmem_tEENKUlT_SK_SL_SM_E_clISD_PbSF_PiEESJ_SZ_SK_SL_SM_EUlSZ_E1_NS1_11comp_targetILNS1_3genE5ELNS1_11target_archE942ELNS1_3gpuE9ELNS1_3repE0EEENS1_36merge_oddeven_config_static_selectorELNS0_4arch9wavefront6targetE1EEEvSL_,"axG",@progbits,_ZN7rocprim17ROCPRIM_400000_NS6detail17trampoline_kernelINS0_14default_configENS1_38merge_sort_block_merge_config_selectorIbiEEZZNS1_27merge_sort_block_merge_implIS3_N6thrust23THRUST_200600_302600_NS6detail15normal_iteratorINS8_10device_ptrIbEEEENSA_INSB_IiEEEEjNS1_19radix_merge_compareILb0ELb1EbNS0_19identity_decomposerEEEEE10hipError_tT0_T1_T2_jT3_P12ihipStream_tbPNSt15iterator_traitsISK_E10value_typeEPNSQ_ISL_E10value_typeEPSM_NS1_7vsmem_tEENKUlT_SK_SL_SM_E_clISD_PbSF_PiEESJ_SZ_SK_SL_SM_EUlSZ_E1_NS1_11comp_targetILNS1_3genE5ELNS1_11target_archE942ELNS1_3gpuE9ELNS1_3repE0EEENS1_36merge_oddeven_config_static_selectorELNS0_4arch9wavefront6targetE1EEEvSL_,comdat
	.protected	_ZN7rocprim17ROCPRIM_400000_NS6detail17trampoline_kernelINS0_14default_configENS1_38merge_sort_block_merge_config_selectorIbiEEZZNS1_27merge_sort_block_merge_implIS3_N6thrust23THRUST_200600_302600_NS6detail15normal_iteratorINS8_10device_ptrIbEEEENSA_INSB_IiEEEEjNS1_19radix_merge_compareILb0ELb1EbNS0_19identity_decomposerEEEEE10hipError_tT0_T1_T2_jT3_P12ihipStream_tbPNSt15iterator_traitsISK_E10value_typeEPNSQ_ISL_E10value_typeEPSM_NS1_7vsmem_tEENKUlT_SK_SL_SM_E_clISD_PbSF_PiEESJ_SZ_SK_SL_SM_EUlSZ_E1_NS1_11comp_targetILNS1_3genE5ELNS1_11target_archE942ELNS1_3gpuE9ELNS1_3repE0EEENS1_36merge_oddeven_config_static_selectorELNS0_4arch9wavefront6targetE1EEEvSL_ ; -- Begin function _ZN7rocprim17ROCPRIM_400000_NS6detail17trampoline_kernelINS0_14default_configENS1_38merge_sort_block_merge_config_selectorIbiEEZZNS1_27merge_sort_block_merge_implIS3_N6thrust23THRUST_200600_302600_NS6detail15normal_iteratorINS8_10device_ptrIbEEEENSA_INSB_IiEEEEjNS1_19radix_merge_compareILb0ELb1EbNS0_19identity_decomposerEEEEE10hipError_tT0_T1_T2_jT3_P12ihipStream_tbPNSt15iterator_traitsISK_E10value_typeEPNSQ_ISL_E10value_typeEPSM_NS1_7vsmem_tEENKUlT_SK_SL_SM_E_clISD_PbSF_PiEESJ_SZ_SK_SL_SM_EUlSZ_E1_NS1_11comp_targetILNS1_3genE5ELNS1_11target_archE942ELNS1_3gpuE9ELNS1_3repE0EEENS1_36merge_oddeven_config_static_selectorELNS0_4arch9wavefront6targetE1EEEvSL_
	.globl	_ZN7rocprim17ROCPRIM_400000_NS6detail17trampoline_kernelINS0_14default_configENS1_38merge_sort_block_merge_config_selectorIbiEEZZNS1_27merge_sort_block_merge_implIS3_N6thrust23THRUST_200600_302600_NS6detail15normal_iteratorINS8_10device_ptrIbEEEENSA_INSB_IiEEEEjNS1_19radix_merge_compareILb0ELb1EbNS0_19identity_decomposerEEEEE10hipError_tT0_T1_T2_jT3_P12ihipStream_tbPNSt15iterator_traitsISK_E10value_typeEPNSQ_ISL_E10value_typeEPSM_NS1_7vsmem_tEENKUlT_SK_SL_SM_E_clISD_PbSF_PiEESJ_SZ_SK_SL_SM_EUlSZ_E1_NS1_11comp_targetILNS1_3genE5ELNS1_11target_archE942ELNS1_3gpuE9ELNS1_3repE0EEENS1_36merge_oddeven_config_static_selectorELNS0_4arch9wavefront6targetE1EEEvSL_
	.p2align	8
	.type	_ZN7rocprim17ROCPRIM_400000_NS6detail17trampoline_kernelINS0_14default_configENS1_38merge_sort_block_merge_config_selectorIbiEEZZNS1_27merge_sort_block_merge_implIS3_N6thrust23THRUST_200600_302600_NS6detail15normal_iteratorINS8_10device_ptrIbEEEENSA_INSB_IiEEEEjNS1_19radix_merge_compareILb0ELb1EbNS0_19identity_decomposerEEEEE10hipError_tT0_T1_T2_jT3_P12ihipStream_tbPNSt15iterator_traitsISK_E10value_typeEPNSQ_ISL_E10value_typeEPSM_NS1_7vsmem_tEENKUlT_SK_SL_SM_E_clISD_PbSF_PiEESJ_SZ_SK_SL_SM_EUlSZ_E1_NS1_11comp_targetILNS1_3genE5ELNS1_11target_archE942ELNS1_3gpuE9ELNS1_3repE0EEENS1_36merge_oddeven_config_static_selectorELNS0_4arch9wavefront6targetE1EEEvSL_,@function
_ZN7rocprim17ROCPRIM_400000_NS6detail17trampoline_kernelINS0_14default_configENS1_38merge_sort_block_merge_config_selectorIbiEEZZNS1_27merge_sort_block_merge_implIS3_N6thrust23THRUST_200600_302600_NS6detail15normal_iteratorINS8_10device_ptrIbEEEENSA_INSB_IiEEEEjNS1_19radix_merge_compareILb0ELb1EbNS0_19identity_decomposerEEEEE10hipError_tT0_T1_T2_jT3_P12ihipStream_tbPNSt15iterator_traitsISK_E10value_typeEPNSQ_ISL_E10value_typeEPSM_NS1_7vsmem_tEENKUlT_SK_SL_SM_E_clISD_PbSF_PiEESJ_SZ_SK_SL_SM_EUlSZ_E1_NS1_11comp_targetILNS1_3genE5ELNS1_11target_archE942ELNS1_3gpuE9ELNS1_3repE0EEENS1_36merge_oddeven_config_static_selectorELNS0_4arch9wavefront6targetE1EEEvSL_: ; @_ZN7rocprim17ROCPRIM_400000_NS6detail17trampoline_kernelINS0_14default_configENS1_38merge_sort_block_merge_config_selectorIbiEEZZNS1_27merge_sort_block_merge_implIS3_N6thrust23THRUST_200600_302600_NS6detail15normal_iteratorINS8_10device_ptrIbEEEENSA_INSB_IiEEEEjNS1_19radix_merge_compareILb0ELb1EbNS0_19identity_decomposerEEEEE10hipError_tT0_T1_T2_jT3_P12ihipStream_tbPNSt15iterator_traitsISK_E10value_typeEPNSQ_ISL_E10value_typeEPSM_NS1_7vsmem_tEENKUlT_SK_SL_SM_E_clISD_PbSF_PiEESJ_SZ_SK_SL_SM_EUlSZ_E1_NS1_11comp_targetILNS1_3genE5ELNS1_11target_archE942ELNS1_3gpuE9ELNS1_3repE0EEENS1_36merge_oddeven_config_static_selectorELNS0_4arch9wavefront6targetE1EEEvSL_
; %bb.0:
	.section	.rodata,"a",@progbits
	.p2align	6, 0x0
	.amdhsa_kernel _ZN7rocprim17ROCPRIM_400000_NS6detail17trampoline_kernelINS0_14default_configENS1_38merge_sort_block_merge_config_selectorIbiEEZZNS1_27merge_sort_block_merge_implIS3_N6thrust23THRUST_200600_302600_NS6detail15normal_iteratorINS8_10device_ptrIbEEEENSA_INSB_IiEEEEjNS1_19radix_merge_compareILb0ELb1EbNS0_19identity_decomposerEEEEE10hipError_tT0_T1_T2_jT3_P12ihipStream_tbPNSt15iterator_traitsISK_E10value_typeEPNSQ_ISL_E10value_typeEPSM_NS1_7vsmem_tEENKUlT_SK_SL_SM_E_clISD_PbSF_PiEESJ_SZ_SK_SL_SM_EUlSZ_E1_NS1_11comp_targetILNS1_3genE5ELNS1_11target_archE942ELNS1_3gpuE9ELNS1_3repE0EEENS1_36merge_oddeven_config_static_selectorELNS0_4arch9wavefront6targetE1EEEvSL_
		.amdhsa_group_segment_fixed_size 0
		.amdhsa_private_segment_fixed_size 0
		.amdhsa_kernarg_size 48
		.amdhsa_user_sgpr_count 2
		.amdhsa_user_sgpr_dispatch_ptr 0
		.amdhsa_user_sgpr_queue_ptr 0
		.amdhsa_user_sgpr_kernarg_segment_ptr 1
		.amdhsa_user_sgpr_dispatch_id 0
		.amdhsa_user_sgpr_kernarg_preload_length 0
		.amdhsa_user_sgpr_kernarg_preload_offset 0
		.amdhsa_user_sgpr_private_segment_size 0
		.amdhsa_uses_dynamic_stack 0
		.amdhsa_enable_private_segment 0
		.amdhsa_system_sgpr_workgroup_id_x 1
		.amdhsa_system_sgpr_workgroup_id_y 0
		.amdhsa_system_sgpr_workgroup_id_z 0
		.amdhsa_system_sgpr_workgroup_info 0
		.amdhsa_system_vgpr_workitem_id 0
		.amdhsa_next_free_vgpr 1
		.amdhsa_next_free_sgpr 0
		.amdhsa_accum_offset 4
		.amdhsa_reserve_vcc 0
		.amdhsa_float_round_mode_32 0
		.amdhsa_float_round_mode_16_64 0
		.amdhsa_float_denorm_mode_32 3
		.amdhsa_float_denorm_mode_16_64 3
		.amdhsa_dx10_clamp 1
		.amdhsa_ieee_mode 1
		.amdhsa_fp16_overflow 0
		.amdhsa_tg_split 0
		.amdhsa_exception_fp_ieee_invalid_op 0
		.amdhsa_exception_fp_denorm_src 0
		.amdhsa_exception_fp_ieee_div_zero 0
		.amdhsa_exception_fp_ieee_overflow 0
		.amdhsa_exception_fp_ieee_underflow 0
		.amdhsa_exception_fp_ieee_inexact 0
		.amdhsa_exception_int_div_zero 0
	.end_amdhsa_kernel
	.section	.text._ZN7rocprim17ROCPRIM_400000_NS6detail17trampoline_kernelINS0_14default_configENS1_38merge_sort_block_merge_config_selectorIbiEEZZNS1_27merge_sort_block_merge_implIS3_N6thrust23THRUST_200600_302600_NS6detail15normal_iteratorINS8_10device_ptrIbEEEENSA_INSB_IiEEEEjNS1_19radix_merge_compareILb0ELb1EbNS0_19identity_decomposerEEEEE10hipError_tT0_T1_T2_jT3_P12ihipStream_tbPNSt15iterator_traitsISK_E10value_typeEPNSQ_ISL_E10value_typeEPSM_NS1_7vsmem_tEENKUlT_SK_SL_SM_E_clISD_PbSF_PiEESJ_SZ_SK_SL_SM_EUlSZ_E1_NS1_11comp_targetILNS1_3genE5ELNS1_11target_archE942ELNS1_3gpuE9ELNS1_3repE0EEENS1_36merge_oddeven_config_static_selectorELNS0_4arch9wavefront6targetE1EEEvSL_,"axG",@progbits,_ZN7rocprim17ROCPRIM_400000_NS6detail17trampoline_kernelINS0_14default_configENS1_38merge_sort_block_merge_config_selectorIbiEEZZNS1_27merge_sort_block_merge_implIS3_N6thrust23THRUST_200600_302600_NS6detail15normal_iteratorINS8_10device_ptrIbEEEENSA_INSB_IiEEEEjNS1_19radix_merge_compareILb0ELb1EbNS0_19identity_decomposerEEEEE10hipError_tT0_T1_T2_jT3_P12ihipStream_tbPNSt15iterator_traitsISK_E10value_typeEPNSQ_ISL_E10value_typeEPSM_NS1_7vsmem_tEENKUlT_SK_SL_SM_E_clISD_PbSF_PiEESJ_SZ_SK_SL_SM_EUlSZ_E1_NS1_11comp_targetILNS1_3genE5ELNS1_11target_archE942ELNS1_3gpuE9ELNS1_3repE0EEENS1_36merge_oddeven_config_static_selectorELNS0_4arch9wavefront6targetE1EEEvSL_,comdat
.Lfunc_end2008:
	.size	_ZN7rocprim17ROCPRIM_400000_NS6detail17trampoline_kernelINS0_14default_configENS1_38merge_sort_block_merge_config_selectorIbiEEZZNS1_27merge_sort_block_merge_implIS3_N6thrust23THRUST_200600_302600_NS6detail15normal_iteratorINS8_10device_ptrIbEEEENSA_INSB_IiEEEEjNS1_19radix_merge_compareILb0ELb1EbNS0_19identity_decomposerEEEEE10hipError_tT0_T1_T2_jT3_P12ihipStream_tbPNSt15iterator_traitsISK_E10value_typeEPNSQ_ISL_E10value_typeEPSM_NS1_7vsmem_tEENKUlT_SK_SL_SM_E_clISD_PbSF_PiEESJ_SZ_SK_SL_SM_EUlSZ_E1_NS1_11comp_targetILNS1_3genE5ELNS1_11target_archE942ELNS1_3gpuE9ELNS1_3repE0EEENS1_36merge_oddeven_config_static_selectorELNS0_4arch9wavefront6targetE1EEEvSL_, .Lfunc_end2008-_ZN7rocprim17ROCPRIM_400000_NS6detail17trampoline_kernelINS0_14default_configENS1_38merge_sort_block_merge_config_selectorIbiEEZZNS1_27merge_sort_block_merge_implIS3_N6thrust23THRUST_200600_302600_NS6detail15normal_iteratorINS8_10device_ptrIbEEEENSA_INSB_IiEEEEjNS1_19radix_merge_compareILb0ELb1EbNS0_19identity_decomposerEEEEE10hipError_tT0_T1_T2_jT3_P12ihipStream_tbPNSt15iterator_traitsISK_E10value_typeEPNSQ_ISL_E10value_typeEPSM_NS1_7vsmem_tEENKUlT_SK_SL_SM_E_clISD_PbSF_PiEESJ_SZ_SK_SL_SM_EUlSZ_E1_NS1_11comp_targetILNS1_3genE5ELNS1_11target_archE942ELNS1_3gpuE9ELNS1_3repE0EEENS1_36merge_oddeven_config_static_selectorELNS0_4arch9wavefront6targetE1EEEvSL_
                                        ; -- End function
	.set _ZN7rocprim17ROCPRIM_400000_NS6detail17trampoline_kernelINS0_14default_configENS1_38merge_sort_block_merge_config_selectorIbiEEZZNS1_27merge_sort_block_merge_implIS3_N6thrust23THRUST_200600_302600_NS6detail15normal_iteratorINS8_10device_ptrIbEEEENSA_INSB_IiEEEEjNS1_19radix_merge_compareILb0ELb1EbNS0_19identity_decomposerEEEEE10hipError_tT0_T1_T2_jT3_P12ihipStream_tbPNSt15iterator_traitsISK_E10value_typeEPNSQ_ISL_E10value_typeEPSM_NS1_7vsmem_tEENKUlT_SK_SL_SM_E_clISD_PbSF_PiEESJ_SZ_SK_SL_SM_EUlSZ_E1_NS1_11comp_targetILNS1_3genE5ELNS1_11target_archE942ELNS1_3gpuE9ELNS1_3repE0EEENS1_36merge_oddeven_config_static_selectorELNS0_4arch9wavefront6targetE1EEEvSL_.num_vgpr, 0
	.set _ZN7rocprim17ROCPRIM_400000_NS6detail17trampoline_kernelINS0_14default_configENS1_38merge_sort_block_merge_config_selectorIbiEEZZNS1_27merge_sort_block_merge_implIS3_N6thrust23THRUST_200600_302600_NS6detail15normal_iteratorINS8_10device_ptrIbEEEENSA_INSB_IiEEEEjNS1_19radix_merge_compareILb0ELb1EbNS0_19identity_decomposerEEEEE10hipError_tT0_T1_T2_jT3_P12ihipStream_tbPNSt15iterator_traitsISK_E10value_typeEPNSQ_ISL_E10value_typeEPSM_NS1_7vsmem_tEENKUlT_SK_SL_SM_E_clISD_PbSF_PiEESJ_SZ_SK_SL_SM_EUlSZ_E1_NS1_11comp_targetILNS1_3genE5ELNS1_11target_archE942ELNS1_3gpuE9ELNS1_3repE0EEENS1_36merge_oddeven_config_static_selectorELNS0_4arch9wavefront6targetE1EEEvSL_.num_agpr, 0
	.set _ZN7rocprim17ROCPRIM_400000_NS6detail17trampoline_kernelINS0_14default_configENS1_38merge_sort_block_merge_config_selectorIbiEEZZNS1_27merge_sort_block_merge_implIS3_N6thrust23THRUST_200600_302600_NS6detail15normal_iteratorINS8_10device_ptrIbEEEENSA_INSB_IiEEEEjNS1_19radix_merge_compareILb0ELb1EbNS0_19identity_decomposerEEEEE10hipError_tT0_T1_T2_jT3_P12ihipStream_tbPNSt15iterator_traitsISK_E10value_typeEPNSQ_ISL_E10value_typeEPSM_NS1_7vsmem_tEENKUlT_SK_SL_SM_E_clISD_PbSF_PiEESJ_SZ_SK_SL_SM_EUlSZ_E1_NS1_11comp_targetILNS1_3genE5ELNS1_11target_archE942ELNS1_3gpuE9ELNS1_3repE0EEENS1_36merge_oddeven_config_static_selectorELNS0_4arch9wavefront6targetE1EEEvSL_.numbered_sgpr, 0
	.set _ZN7rocprim17ROCPRIM_400000_NS6detail17trampoline_kernelINS0_14default_configENS1_38merge_sort_block_merge_config_selectorIbiEEZZNS1_27merge_sort_block_merge_implIS3_N6thrust23THRUST_200600_302600_NS6detail15normal_iteratorINS8_10device_ptrIbEEEENSA_INSB_IiEEEEjNS1_19radix_merge_compareILb0ELb1EbNS0_19identity_decomposerEEEEE10hipError_tT0_T1_T2_jT3_P12ihipStream_tbPNSt15iterator_traitsISK_E10value_typeEPNSQ_ISL_E10value_typeEPSM_NS1_7vsmem_tEENKUlT_SK_SL_SM_E_clISD_PbSF_PiEESJ_SZ_SK_SL_SM_EUlSZ_E1_NS1_11comp_targetILNS1_3genE5ELNS1_11target_archE942ELNS1_3gpuE9ELNS1_3repE0EEENS1_36merge_oddeven_config_static_selectorELNS0_4arch9wavefront6targetE1EEEvSL_.num_named_barrier, 0
	.set _ZN7rocprim17ROCPRIM_400000_NS6detail17trampoline_kernelINS0_14default_configENS1_38merge_sort_block_merge_config_selectorIbiEEZZNS1_27merge_sort_block_merge_implIS3_N6thrust23THRUST_200600_302600_NS6detail15normal_iteratorINS8_10device_ptrIbEEEENSA_INSB_IiEEEEjNS1_19radix_merge_compareILb0ELb1EbNS0_19identity_decomposerEEEEE10hipError_tT0_T1_T2_jT3_P12ihipStream_tbPNSt15iterator_traitsISK_E10value_typeEPNSQ_ISL_E10value_typeEPSM_NS1_7vsmem_tEENKUlT_SK_SL_SM_E_clISD_PbSF_PiEESJ_SZ_SK_SL_SM_EUlSZ_E1_NS1_11comp_targetILNS1_3genE5ELNS1_11target_archE942ELNS1_3gpuE9ELNS1_3repE0EEENS1_36merge_oddeven_config_static_selectorELNS0_4arch9wavefront6targetE1EEEvSL_.private_seg_size, 0
	.set _ZN7rocprim17ROCPRIM_400000_NS6detail17trampoline_kernelINS0_14default_configENS1_38merge_sort_block_merge_config_selectorIbiEEZZNS1_27merge_sort_block_merge_implIS3_N6thrust23THRUST_200600_302600_NS6detail15normal_iteratorINS8_10device_ptrIbEEEENSA_INSB_IiEEEEjNS1_19radix_merge_compareILb0ELb1EbNS0_19identity_decomposerEEEEE10hipError_tT0_T1_T2_jT3_P12ihipStream_tbPNSt15iterator_traitsISK_E10value_typeEPNSQ_ISL_E10value_typeEPSM_NS1_7vsmem_tEENKUlT_SK_SL_SM_E_clISD_PbSF_PiEESJ_SZ_SK_SL_SM_EUlSZ_E1_NS1_11comp_targetILNS1_3genE5ELNS1_11target_archE942ELNS1_3gpuE9ELNS1_3repE0EEENS1_36merge_oddeven_config_static_selectorELNS0_4arch9wavefront6targetE1EEEvSL_.uses_vcc, 0
	.set _ZN7rocprim17ROCPRIM_400000_NS6detail17trampoline_kernelINS0_14default_configENS1_38merge_sort_block_merge_config_selectorIbiEEZZNS1_27merge_sort_block_merge_implIS3_N6thrust23THRUST_200600_302600_NS6detail15normal_iteratorINS8_10device_ptrIbEEEENSA_INSB_IiEEEEjNS1_19radix_merge_compareILb0ELb1EbNS0_19identity_decomposerEEEEE10hipError_tT0_T1_T2_jT3_P12ihipStream_tbPNSt15iterator_traitsISK_E10value_typeEPNSQ_ISL_E10value_typeEPSM_NS1_7vsmem_tEENKUlT_SK_SL_SM_E_clISD_PbSF_PiEESJ_SZ_SK_SL_SM_EUlSZ_E1_NS1_11comp_targetILNS1_3genE5ELNS1_11target_archE942ELNS1_3gpuE9ELNS1_3repE0EEENS1_36merge_oddeven_config_static_selectorELNS0_4arch9wavefront6targetE1EEEvSL_.uses_flat_scratch, 0
	.set _ZN7rocprim17ROCPRIM_400000_NS6detail17trampoline_kernelINS0_14default_configENS1_38merge_sort_block_merge_config_selectorIbiEEZZNS1_27merge_sort_block_merge_implIS3_N6thrust23THRUST_200600_302600_NS6detail15normal_iteratorINS8_10device_ptrIbEEEENSA_INSB_IiEEEEjNS1_19radix_merge_compareILb0ELb1EbNS0_19identity_decomposerEEEEE10hipError_tT0_T1_T2_jT3_P12ihipStream_tbPNSt15iterator_traitsISK_E10value_typeEPNSQ_ISL_E10value_typeEPSM_NS1_7vsmem_tEENKUlT_SK_SL_SM_E_clISD_PbSF_PiEESJ_SZ_SK_SL_SM_EUlSZ_E1_NS1_11comp_targetILNS1_3genE5ELNS1_11target_archE942ELNS1_3gpuE9ELNS1_3repE0EEENS1_36merge_oddeven_config_static_selectorELNS0_4arch9wavefront6targetE1EEEvSL_.has_dyn_sized_stack, 0
	.set _ZN7rocprim17ROCPRIM_400000_NS6detail17trampoline_kernelINS0_14default_configENS1_38merge_sort_block_merge_config_selectorIbiEEZZNS1_27merge_sort_block_merge_implIS3_N6thrust23THRUST_200600_302600_NS6detail15normal_iteratorINS8_10device_ptrIbEEEENSA_INSB_IiEEEEjNS1_19radix_merge_compareILb0ELb1EbNS0_19identity_decomposerEEEEE10hipError_tT0_T1_T2_jT3_P12ihipStream_tbPNSt15iterator_traitsISK_E10value_typeEPNSQ_ISL_E10value_typeEPSM_NS1_7vsmem_tEENKUlT_SK_SL_SM_E_clISD_PbSF_PiEESJ_SZ_SK_SL_SM_EUlSZ_E1_NS1_11comp_targetILNS1_3genE5ELNS1_11target_archE942ELNS1_3gpuE9ELNS1_3repE0EEENS1_36merge_oddeven_config_static_selectorELNS0_4arch9wavefront6targetE1EEEvSL_.has_recursion, 0
	.set _ZN7rocprim17ROCPRIM_400000_NS6detail17trampoline_kernelINS0_14default_configENS1_38merge_sort_block_merge_config_selectorIbiEEZZNS1_27merge_sort_block_merge_implIS3_N6thrust23THRUST_200600_302600_NS6detail15normal_iteratorINS8_10device_ptrIbEEEENSA_INSB_IiEEEEjNS1_19radix_merge_compareILb0ELb1EbNS0_19identity_decomposerEEEEE10hipError_tT0_T1_T2_jT3_P12ihipStream_tbPNSt15iterator_traitsISK_E10value_typeEPNSQ_ISL_E10value_typeEPSM_NS1_7vsmem_tEENKUlT_SK_SL_SM_E_clISD_PbSF_PiEESJ_SZ_SK_SL_SM_EUlSZ_E1_NS1_11comp_targetILNS1_3genE5ELNS1_11target_archE942ELNS1_3gpuE9ELNS1_3repE0EEENS1_36merge_oddeven_config_static_selectorELNS0_4arch9wavefront6targetE1EEEvSL_.has_indirect_call, 0
	.section	.AMDGPU.csdata,"",@progbits
; Kernel info:
; codeLenInByte = 0
; TotalNumSgprs: 6
; NumVgprs: 0
; NumAgprs: 0
; TotalNumVgprs: 0
; ScratchSize: 0
; MemoryBound: 0
; FloatMode: 240
; IeeeMode: 1
; LDSByteSize: 0 bytes/workgroup (compile time only)
; SGPRBlocks: 0
; VGPRBlocks: 0
; NumSGPRsForWavesPerEU: 6
; NumVGPRsForWavesPerEU: 1
; AccumOffset: 4
; Occupancy: 8
; WaveLimiterHint : 0
; COMPUTE_PGM_RSRC2:SCRATCH_EN: 0
; COMPUTE_PGM_RSRC2:USER_SGPR: 2
; COMPUTE_PGM_RSRC2:TRAP_HANDLER: 0
; COMPUTE_PGM_RSRC2:TGID_X_EN: 1
; COMPUTE_PGM_RSRC2:TGID_Y_EN: 0
; COMPUTE_PGM_RSRC2:TGID_Z_EN: 0
; COMPUTE_PGM_RSRC2:TIDIG_COMP_CNT: 0
; COMPUTE_PGM_RSRC3_GFX90A:ACCUM_OFFSET: 0
; COMPUTE_PGM_RSRC3_GFX90A:TG_SPLIT: 0
	.section	.text._ZN7rocprim17ROCPRIM_400000_NS6detail17trampoline_kernelINS0_14default_configENS1_38merge_sort_block_merge_config_selectorIbiEEZZNS1_27merge_sort_block_merge_implIS3_N6thrust23THRUST_200600_302600_NS6detail15normal_iteratorINS8_10device_ptrIbEEEENSA_INSB_IiEEEEjNS1_19radix_merge_compareILb0ELb1EbNS0_19identity_decomposerEEEEE10hipError_tT0_T1_T2_jT3_P12ihipStream_tbPNSt15iterator_traitsISK_E10value_typeEPNSQ_ISL_E10value_typeEPSM_NS1_7vsmem_tEENKUlT_SK_SL_SM_E_clISD_PbSF_PiEESJ_SZ_SK_SL_SM_EUlSZ_E1_NS1_11comp_targetILNS1_3genE4ELNS1_11target_archE910ELNS1_3gpuE8ELNS1_3repE0EEENS1_36merge_oddeven_config_static_selectorELNS0_4arch9wavefront6targetE1EEEvSL_,"axG",@progbits,_ZN7rocprim17ROCPRIM_400000_NS6detail17trampoline_kernelINS0_14default_configENS1_38merge_sort_block_merge_config_selectorIbiEEZZNS1_27merge_sort_block_merge_implIS3_N6thrust23THRUST_200600_302600_NS6detail15normal_iteratorINS8_10device_ptrIbEEEENSA_INSB_IiEEEEjNS1_19radix_merge_compareILb0ELb1EbNS0_19identity_decomposerEEEEE10hipError_tT0_T1_T2_jT3_P12ihipStream_tbPNSt15iterator_traitsISK_E10value_typeEPNSQ_ISL_E10value_typeEPSM_NS1_7vsmem_tEENKUlT_SK_SL_SM_E_clISD_PbSF_PiEESJ_SZ_SK_SL_SM_EUlSZ_E1_NS1_11comp_targetILNS1_3genE4ELNS1_11target_archE910ELNS1_3gpuE8ELNS1_3repE0EEENS1_36merge_oddeven_config_static_selectorELNS0_4arch9wavefront6targetE1EEEvSL_,comdat
	.protected	_ZN7rocprim17ROCPRIM_400000_NS6detail17trampoline_kernelINS0_14default_configENS1_38merge_sort_block_merge_config_selectorIbiEEZZNS1_27merge_sort_block_merge_implIS3_N6thrust23THRUST_200600_302600_NS6detail15normal_iteratorINS8_10device_ptrIbEEEENSA_INSB_IiEEEEjNS1_19radix_merge_compareILb0ELb1EbNS0_19identity_decomposerEEEEE10hipError_tT0_T1_T2_jT3_P12ihipStream_tbPNSt15iterator_traitsISK_E10value_typeEPNSQ_ISL_E10value_typeEPSM_NS1_7vsmem_tEENKUlT_SK_SL_SM_E_clISD_PbSF_PiEESJ_SZ_SK_SL_SM_EUlSZ_E1_NS1_11comp_targetILNS1_3genE4ELNS1_11target_archE910ELNS1_3gpuE8ELNS1_3repE0EEENS1_36merge_oddeven_config_static_selectorELNS0_4arch9wavefront6targetE1EEEvSL_ ; -- Begin function _ZN7rocprim17ROCPRIM_400000_NS6detail17trampoline_kernelINS0_14default_configENS1_38merge_sort_block_merge_config_selectorIbiEEZZNS1_27merge_sort_block_merge_implIS3_N6thrust23THRUST_200600_302600_NS6detail15normal_iteratorINS8_10device_ptrIbEEEENSA_INSB_IiEEEEjNS1_19radix_merge_compareILb0ELb1EbNS0_19identity_decomposerEEEEE10hipError_tT0_T1_T2_jT3_P12ihipStream_tbPNSt15iterator_traitsISK_E10value_typeEPNSQ_ISL_E10value_typeEPSM_NS1_7vsmem_tEENKUlT_SK_SL_SM_E_clISD_PbSF_PiEESJ_SZ_SK_SL_SM_EUlSZ_E1_NS1_11comp_targetILNS1_3genE4ELNS1_11target_archE910ELNS1_3gpuE8ELNS1_3repE0EEENS1_36merge_oddeven_config_static_selectorELNS0_4arch9wavefront6targetE1EEEvSL_
	.globl	_ZN7rocprim17ROCPRIM_400000_NS6detail17trampoline_kernelINS0_14default_configENS1_38merge_sort_block_merge_config_selectorIbiEEZZNS1_27merge_sort_block_merge_implIS3_N6thrust23THRUST_200600_302600_NS6detail15normal_iteratorINS8_10device_ptrIbEEEENSA_INSB_IiEEEEjNS1_19radix_merge_compareILb0ELb1EbNS0_19identity_decomposerEEEEE10hipError_tT0_T1_T2_jT3_P12ihipStream_tbPNSt15iterator_traitsISK_E10value_typeEPNSQ_ISL_E10value_typeEPSM_NS1_7vsmem_tEENKUlT_SK_SL_SM_E_clISD_PbSF_PiEESJ_SZ_SK_SL_SM_EUlSZ_E1_NS1_11comp_targetILNS1_3genE4ELNS1_11target_archE910ELNS1_3gpuE8ELNS1_3repE0EEENS1_36merge_oddeven_config_static_selectorELNS0_4arch9wavefront6targetE1EEEvSL_
	.p2align	8
	.type	_ZN7rocprim17ROCPRIM_400000_NS6detail17trampoline_kernelINS0_14default_configENS1_38merge_sort_block_merge_config_selectorIbiEEZZNS1_27merge_sort_block_merge_implIS3_N6thrust23THRUST_200600_302600_NS6detail15normal_iteratorINS8_10device_ptrIbEEEENSA_INSB_IiEEEEjNS1_19radix_merge_compareILb0ELb1EbNS0_19identity_decomposerEEEEE10hipError_tT0_T1_T2_jT3_P12ihipStream_tbPNSt15iterator_traitsISK_E10value_typeEPNSQ_ISL_E10value_typeEPSM_NS1_7vsmem_tEENKUlT_SK_SL_SM_E_clISD_PbSF_PiEESJ_SZ_SK_SL_SM_EUlSZ_E1_NS1_11comp_targetILNS1_3genE4ELNS1_11target_archE910ELNS1_3gpuE8ELNS1_3repE0EEENS1_36merge_oddeven_config_static_selectorELNS0_4arch9wavefront6targetE1EEEvSL_,@function
_ZN7rocprim17ROCPRIM_400000_NS6detail17trampoline_kernelINS0_14default_configENS1_38merge_sort_block_merge_config_selectorIbiEEZZNS1_27merge_sort_block_merge_implIS3_N6thrust23THRUST_200600_302600_NS6detail15normal_iteratorINS8_10device_ptrIbEEEENSA_INSB_IiEEEEjNS1_19radix_merge_compareILb0ELb1EbNS0_19identity_decomposerEEEEE10hipError_tT0_T1_T2_jT3_P12ihipStream_tbPNSt15iterator_traitsISK_E10value_typeEPNSQ_ISL_E10value_typeEPSM_NS1_7vsmem_tEENKUlT_SK_SL_SM_E_clISD_PbSF_PiEESJ_SZ_SK_SL_SM_EUlSZ_E1_NS1_11comp_targetILNS1_3genE4ELNS1_11target_archE910ELNS1_3gpuE8ELNS1_3repE0EEENS1_36merge_oddeven_config_static_selectorELNS0_4arch9wavefront6targetE1EEEvSL_: ; @_ZN7rocprim17ROCPRIM_400000_NS6detail17trampoline_kernelINS0_14default_configENS1_38merge_sort_block_merge_config_selectorIbiEEZZNS1_27merge_sort_block_merge_implIS3_N6thrust23THRUST_200600_302600_NS6detail15normal_iteratorINS8_10device_ptrIbEEEENSA_INSB_IiEEEEjNS1_19radix_merge_compareILb0ELb1EbNS0_19identity_decomposerEEEEE10hipError_tT0_T1_T2_jT3_P12ihipStream_tbPNSt15iterator_traitsISK_E10value_typeEPNSQ_ISL_E10value_typeEPSM_NS1_7vsmem_tEENKUlT_SK_SL_SM_E_clISD_PbSF_PiEESJ_SZ_SK_SL_SM_EUlSZ_E1_NS1_11comp_targetILNS1_3genE4ELNS1_11target_archE910ELNS1_3gpuE8ELNS1_3repE0EEENS1_36merge_oddeven_config_static_selectorELNS0_4arch9wavefront6targetE1EEEvSL_
; %bb.0:
	.section	.rodata,"a",@progbits
	.p2align	6, 0x0
	.amdhsa_kernel _ZN7rocprim17ROCPRIM_400000_NS6detail17trampoline_kernelINS0_14default_configENS1_38merge_sort_block_merge_config_selectorIbiEEZZNS1_27merge_sort_block_merge_implIS3_N6thrust23THRUST_200600_302600_NS6detail15normal_iteratorINS8_10device_ptrIbEEEENSA_INSB_IiEEEEjNS1_19radix_merge_compareILb0ELb1EbNS0_19identity_decomposerEEEEE10hipError_tT0_T1_T2_jT3_P12ihipStream_tbPNSt15iterator_traitsISK_E10value_typeEPNSQ_ISL_E10value_typeEPSM_NS1_7vsmem_tEENKUlT_SK_SL_SM_E_clISD_PbSF_PiEESJ_SZ_SK_SL_SM_EUlSZ_E1_NS1_11comp_targetILNS1_3genE4ELNS1_11target_archE910ELNS1_3gpuE8ELNS1_3repE0EEENS1_36merge_oddeven_config_static_selectorELNS0_4arch9wavefront6targetE1EEEvSL_
		.amdhsa_group_segment_fixed_size 0
		.amdhsa_private_segment_fixed_size 0
		.amdhsa_kernarg_size 48
		.amdhsa_user_sgpr_count 2
		.amdhsa_user_sgpr_dispatch_ptr 0
		.amdhsa_user_sgpr_queue_ptr 0
		.amdhsa_user_sgpr_kernarg_segment_ptr 1
		.amdhsa_user_sgpr_dispatch_id 0
		.amdhsa_user_sgpr_kernarg_preload_length 0
		.amdhsa_user_sgpr_kernarg_preload_offset 0
		.amdhsa_user_sgpr_private_segment_size 0
		.amdhsa_uses_dynamic_stack 0
		.amdhsa_enable_private_segment 0
		.amdhsa_system_sgpr_workgroup_id_x 1
		.amdhsa_system_sgpr_workgroup_id_y 0
		.amdhsa_system_sgpr_workgroup_id_z 0
		.amdhsa_system_sgpr_workgroup_info 0
		.amdhsa_system_vgpr_workitem_id 0
		.amdhsa_next_free_vgpr 1
		.amdhsa_next_free_sgpr 0
		.amdhsa_accum_offset 4
		.amdhsa_reserve_vcc 0
		.amdhsa_float_round_mode_32 0
		.amdhsa_float_round_mode_16_64 0
		.amdhsa_float_denorm_mode_32 3
		.amdhsa_float_denorm_mode_16_64 3
		.amdhsa_dx10_clamp 1
		.amdhsa_ieee_mode 1
		.amdhsa_fp16_overflow 0
		.amdhsa_tg_split 0
		.amdhsa_exception_fp_ieee_invalid_op 0
		.amdhsa_exception_fp_denorm_src 0
		.amdhsa_exception_fp_ieee_div_zero 0
		.amdhsa_exception_fp_ieee_overflow 0
		.amdhsa_exception_fp_ieee_underflow 0
		.amdhsa_exception_fp_ieee_inexact 0
		.amdhsa_exception_int_div_zero 0
	.end_amdhsa_kernel
	.section	.text._ZN7rocprim17ROCPRIM_400000_NS6detail17trampoline_kernelINS0_14default_configENS1_38merge_sort_block_merge_config_selectorIbiEEZZNS1_27merge_sort_block_merge_implIS3_N6thrust23THRUST_200600_302600_NS6detail15normal_iteratorINS8_10device_ptrIbEEEENSA_INSB_IiEEEEjNS1_19radix_merge_compareILb0ELb1EbNS0_19identity_decomposerEEEEE10hipError_tT0_T1_T2_jT3_P12ihipStream_tbPNSt15iterator_traitsISK_E10value_typeEPNSQ_ISL_E10value_typeEPSM_NS1_7vsmem_tEENKUlT_SK_SL_SM_E_clISD_PbSF_PiEESJ_SZ_SK_SL_SM_EUlSZ_E1_NS1_11comp_targetILNS1_3genE4ELNS1_11target_archE910ELNS1_3gpuE8ELNS1_3repE0EEENS1_36merge_oddeven_config_static_selectorELNS0_4arch9wavefront6targetE1EEEvSL_,"axG",@progbits,_ZN7rocprim17ROCPRIM_400000_NS6detail17trampoline_kernelINS0_14default_configENS1_38merge_sort_block_merge_config_selectorIbiEEZZNS1_27merge_sort_block_merge_implIS3_N6thrust23THRUST_200600_302600_NS6detail15normal_iteratorINS8_10device_ptrIbEEEENSA_INSB_IiEEEEjNS1_19radix_merge_compareILb0ELb1EbNS0_19identity_decomposerEEEEE10hipError_tT0_T1_T2_jT3_P12ihipStream_tbPNSt15iterator_traitsISK_E10value_typeEPNSQ_ISL_E10value_typeEPSM_NS1_7vsmem_tEENKUlT_SK_SL_SM_E_clISD_PbSF_PiEESJ_SZ_SK_SL_SM_EUlSZ_E1_NS1_11comp_targetILNS1_3genE4ELNS1_11target_archE910ELNS1_3gpuE8ELNS1_3repE0EEENS1_36merge_oddeven_config_static_selectorELNS0_4arch9wavefront6targetE1EEEvSL_,comdat
.Lfunc_end2009:
	.size	_ZN7rocprim17ROCPRIM_400000_NS6detail17trampoline_kernelINS0_14default_configENS1_38merge_sort_block_merge_config_selectorIbiEEZZNS1_27merge_sort_block_merge_implIS3_N6thrust23THRUST_200600_302600_NS6detail15normal_iteratorINS8_10device_ptrIbEEEENSA_INSB_IiEEEEjNS1_19radix_merge_compareILb0ELb1EbNS0_19identity_decomposerEEEEE10hipError_tT0_T1_T2_jT3_P12ihipStream_tbPNSt15iterator_traitsISK_E10value_typeEPNSQ_ISL_E10value_typeEPSM_NS1_7vsmem_tEENKUlT_SK_SL_SM_E_clISD_PbSF_PiEESJ_SZ_SK_SL_SM_EUlSZ_E1_NS1_11comp_targetILNS1_3genE4ELNS1_11target_archE910ELNS1_3gpuE8ELNS1_3repE0EEENS1_36merge_oddeven_config_static_selectorELNS0_4arch9wavefront6targetE1EEEvSL_, .Lfunc_end2009-_ZN7rocprim17ROCPRIM_400000_NS6detail17trampoline_kernelINS0_14default_configENS1_38merge_sort_block_merge_config_selectorIbiEEZZNS1_27merge_sort_block_merge_implIS3_N6thrust23THRUST_200600_302600_NS6detail15normal_iteratorINS8_10device_ptrIbEEEENSA_INSB_IiEEEEjNS1_19radix_merge_compareILb0ELb1EbNS0_19identity_decomposerEEEEE10hipError_tT0_T1_T2_jT3_P12ihipStream_tbPNSt15iterator_traitsISK_E10value_typeEPNSQ_ISL_E10value_typeEPSM_NS1_7vsmem_tEENKUlT_SK_SL_SM_E_clISD_PbSF_PiEESJ_SZ_SK_SL_SM_EUlSZ_E1_NS1_11comp_targetILNS1_3genE4ELNS1_11target_archE910ELNS1_3gpuE8ELNS1_3repE0EEENS1_36merge_oddeven_config_static_selectorELNS0_4arch9wavefront6targetE1EEEvSL_
                                        ; -- End function
	.set _ZN7rocprim17ROCPRIM_400000_NS6detail17trampoline_kernelINS0_14default_configENS1_38merge_sort_block_merge_config_selectorIbiEEZZNS1_27merge_sort_block_merge_implIS3_N6thrust23THRUST_200600_302600_NS6detail15normal_iteratorINS8_10device_ptrIbEEEENSA_INSB_IiEEEEjNS1_19radix_merge_compareILb0ELb1EbNS0_19identity_decomposerEEEEE10hipError_tT0_T1_T2_jT3_P12ihipStream_tbPNSt15iterator_traitsISK_E10value_typeEPNSQ_ISL_E10value_typeEPSM_NS1_7vsmem_tEENKUlT_SK_SL_SM_E_clISD_PbSF_PiEESJ_SZ_SK_SL_SM_EUlSZ_E1_NS1_11comp_targetILNS1_3genE4ELNS1_11target_archE910ELNS1_3gpuE8ELNS1_3repE0EEENS1_36merge_oddeven_config_static_selectorELNS0_4arch9wavefront6targetE1EEEvSL_.num_vgpr, 0
	.set _ZN7rocprim17ROCPRIM_400000_NS6detail17trampoline_kernelINS0_14default_configENS1_38merge_sort_block_merge_config_selectorIbiEEZZNS1_27merge_sort_block_merge_implIS3_N6thrust23THRUST_200600_302600_NS6detail15normal_iteratorINS8_10device_ptrIbEEEENSA_INSB_IiEEEEjNS1_19radix_merge_compareILb0ELb1EbNS0_19identity_decomposerEEEEE10hipError_tT0_T1_T2_jT3_P12ihipStream_tbPNSt15iterator_traitsISK_E10value_typeEPNSQ_ISL_E10value_typeEPSM_NS1_7vsmem_tEENKUlT_SK_SL_SM_E_clISD_PbSF_PiEESJ_SZ_SK_SL_SM_EUlSZ_E1_NS1_11comp_targetILNS1_3genE4ELNS1_11target_archE910ELNS1_3gpuE8ELNS1_3repE0EEENS1_36merge_oddeven_config_static_selectorELNS0_4arch9wavefront6targetE1EEEvSL_.num_agpr, 0
	.set _ZN7rocprim17ROCPRIM_400000_NS6detail17trampoline_kernelINS0_14default_configENS1_38merge_sort_block_merge_config_selectorIbiEEZZNS1_27merge_sort_block_merge_implIS3_N6thrust23THRUST_200600_302600_NS6detail15normal_iteratorINS8_10device_ptrIbEEEENSA_INSB_IiEEEEjNS1_19radix_merge_compareILb0ELb1EbNS0_19identity_decomposerEEEEE10hipError_tT0_T1_T2_jT3_P12ihipStream_tbPNSt15iterator_traitsISK_E10value_typeEPNSQ_ISL_E10value_typeEPSM_NS1_7vsmem_tEENKUlT_SK_SL_SM_E_clISD_PbSF_PiEESJ_SZ_SK_SL_SM_EUlSZ_E1_NS1_11comp_targetILNS1_3genE4ELNS1_11target_archE910ELNS1_3gpuE8ELNS1_3repE0EEENS1_36merge_oddeven_config_static_selectorELNS0_4arch9wavefront6targetE1EEEvSL_.numbered_sgpr, 0
	.set _ZN7rocprim17ROCPRIM_400000_NS6detail17trampoline_kernelINS0_14default_configENS1_38merge_sort_block_merge_config_selectorIbiEEZZNS1_27merge_sort_block_merge_implIS3_N6thrust23THRUST_200600_302600_NS6detail15normal_iteratorINS8_10device_ptrIbEEEENSA_INSB_IiEEEEjNS1_19radix_merge_compareILb0ELb1EbNS0_19identity_decomposerEEEEE10hipError_tT0_T1_T2_jT3_P12ihipStream_tbPNSt15iterator_traitsISK_E10value_typeEPNSQ_ISL_E10value_typeEPSM_NS1_7vsmem_tEENKUlT_SK_SL_SM_E_clISD_PbSF_PiEESJ_SZ_SK_SL_SM_EUlSZ_E1_NS1_11comp_targetILNS1_3genE4ELNS1_11target_archE910ELNS1_3gpuE8ELNS1_3repE0EEENS1_36merge_oddeven_config_static_selectorELNS0_4arch9wavefront6targetE1EEEvSL_.num_named_barrier, 0
	.set _ZN7rocprim17ROCPRIM_400000_NS6detail17trampoline_kernelINS0_14default_configENS1_38merge_sort_block_merge_config_selectorIbiEEZZNS1_27merge_sort_block_merge_implIS3_N6thrust23THRUST_200600_302600_NS6detail15normal_iteratorINS8_10device_ptrIbEEEENSA_INSB_IiEEEEjNS1_19radix_merge_compareILb0ELb1EbNS0_19identity_decomposerEEEEE10hipError_tT0_T1_T2_jT3_P12ihipStream_tbPNSt15iterator_traitsISK_E10value_typeEPNSQ_ISL_E10value_typeEPSM_NS1_7vsmem_tEENKUlT_SK_SL_SM_E_clISD_PbSF_PiEESJ_SZ_SK_SL_SM_EUlSZ_E1_NS1_11comp_targetILNS1_3genE4ELNS1_11target_archE910ELNS1_3gpuE8ELNS1_3repE0EEENS1_36merge_oddeven_config_static_selectorELNS0_4arch9wavefront6targetE1EEEvSL_.private_seg_size, 0
	.set _ZN7rocprim17ROCPRIM_400000_NS6detail17trampoline_kernelINS0_14default_configENS1_38merge_sort_block_merge_config_selectorIbiEEZZNS1_27merge_sort_block_merge_implIS3_N6thrust23THRUST_200600_302600_NS6detail15normal_iteratorINS8_10device_ptrIbEEEENSA_INSB_IiEEEEjNS1_19radix_merge_compareILb0ELb1EbNS0_19identity_decomposerEEEEE10hipError_tT0_T1_T2_jT3_P12ihipStream_tbPNSt15iterator_traitsISK_E10value_typeEPNSQ_ISL_E10value_typeEPSM_NS1_7vsmem_tEENKUlT_SK_SL_SM_E_clISD_PbSF_PiEESJ_SZ_SK_SL_SM_EUlSZ_E1_NS1_11comp_targetILNS1_3genE4ELNS1_11target_archE910ELNS1_3gpuE8ELNS1_3repE0EEENS1_36merge_oddeven_config_static_selectorELNS0_4arch9wavefront6targetE1EEEvSL_.uses_vcc, 0
	.set _ZN7rocprim17ROCPRIM_400000_NS6detail17trampoline_kernelINS0_14default_configENS1_38merge_sort_block_merge_config_selectorIbiEEZZNS1_27merge_sort_block_merge_implIS3_N6thrust23THRUST_200600_302600_NS6detail15normal_iteratorINS8_10device_ptrIbEEEENSA_INSB_IiEEEEjNS1_19radix_merge_compareILb0ELb1EbNS0_19identity_decomposerEEEEE10hipError_tT0_T1_T2_jT3_P12ihipStream_tbPNSt15iterator_traitsISK_E10value_typeEPNSQ_ISL_E10value_typeEPSM_NS1_7vsmem_tEENKUlT_SK_SL_SM_E_clISD_PbSF_PiEESJ_SZ_SK_SL_SM_EUlSZ_E1_NS1_11comp_targetILNS1_3genE4ELNS1_11target_archE910ELNS1_3gpuE8ELNS1_3repE0EEENS1_36merge_oddeven_config_static_selectorELNS0_4arch9wavefront6targetE1EEEvSL_.uses_flat_scratch, 0
	.set _ZN7rocprim17ROCPRIM_400000_NS6detail17trampoline_kernelINS0_14default_configENS1_38merge_sort_block_merge_config_selectorIbiEEZZNS1_27merge_sort_block_merge_implIS3_N6thrust23THRUST_200600_302600_NS6detail15normal_iteratorINS8_10device_ptrIbEEEENSA_INSB_IiEEEEjNS1_19radix_merge_compareILb0ELb1EbNS0_19identity_decomposerEEEEE10hipError_tT0_T1_T2_jT3_P12ihipStream_tbPNSt15iterator_traitsISK_E10value_typeEPNSQ_ISL_E10value_typeEPSM_NS1_7vsmem_tEENKUlT_SK_SL_SM_E_clISD_PbSF_PiEESJ_SZ_SK_SL_SM_EUlSZ_E1_NS1_11comp_targetILNS1_3genE4ELNS1_11target_archE910ELNS1_3gpuE8ELNS1_3repE0EEENS1_36merge_oddeven_config_static_selectorELNS0_4arch9wavefront6targetE1EEEvSL_.has_dyn_sized_stack, 0
	.set _ZN7rocprim17ROCPRIM_400000_NS6detail17trampoline_kernelINS0_14default_configENS1_38merge_sort_block_merge_config_selectorIbiEEZZNS1_27merge_sort_block_merge_implIS3_N6thrust23THRUST_200600_302600_NS6detail15normal_iteratorINS8_10device_ptrIbEEEENSA_INSB_IiEEEEjNS1_19radix_merge_compareILb0ELb1EbNS0_19identity_decomposerEEEEE10hipError_tT0_T1_T2_jT3_P12ihipStream_tbPNSt15iterator_traitsISK_E10value_typeEPNSQ_ISL_E10value_typeEPSM_NS1_7vsmem_tEENKUlT_SK_SL_SM_E_clISD_PbSF_PiEESJ_SZ_SK_SL_SM_EUlSZ_E1_NS1_11comp_targetILNS1_3genE4ELNS1_11target_archE910ELNS1_3gpuE8ELNS1_3repE0EEENS1_36merge_oddeven_config_static_selectorELNS0_4arch9wavefront6targetE1EEEvSL_.has_recursion, 0
	.set _ZN7rocprim17ROCPRIM_400000_NS6detail17trampoline_kernelINS0_14default_configENS1_38merge_sort_block_merge_config_selectorIbiEEZZNS1_27merge_sort_block_merge_implIS3_N6thrust23THRUST_200600_302600_NS6detail15normal_iteratorINS8_10device_ptrIbEEEENSA_INSB_IiEEEEjNS1_19radix_merge_compareILb0ELb1EbNS0_19identity_decomposerEEEEE10hipError_tT0_T1_T2_jT3_P12ihipStream_tbPNSt15iterator_traitsISK_E10value_typeEPNSQ_ISL_E10value_typeEPSM_NS1_7vsmem_tEENKUlT_SK_SL_SM_E_clISD_PbSF_PiEESJ_SZ_SK_SL_SM_EUlSZ_E1_NS1_11comp_targetILNS1_3genE4ELNS1_11target_archE910ELNS1_3gpuE8ELNS1_3repE0EEENS1_36merge_oddeven_config_static_selectorELNS0_4arch9wavefront6targetE1EEEvSL_.has_indirect_call, 0
	.section	.AMDGPU.csdata,"",@progbits
; Kernel info:
; codeLenInByte = 0
; TotalNumSgprs: 6
; NumVgprs: 0
; NumAgprs: 0
; TotalNumVgprs: 0
; ScratchSize: 0
; MemoryBound: 0
; FloatMode: 240
; IeeeMode: 1
; LDSByteSize: 0 bytes/workgroup (compile time only)
; SGPRBlocks: 0
; VGPRBlocks: 0
; NumSGPRsForWavesPerEU: 6
; NumVGPRsForWavesPerEU: 1
; AccumOffset: 4
; Occupancy: 8
; WaveLimiterHint : 0
; COMPUTE_PGM_RSRC2:SCRATCH_EN: 0
; COMPUTE_PGM_RSRC2:USER_SGPR: 2
; COMPUTE_PGM_RSRC2:TRAP_HANDLER: 0
; COMPUTE_PGM_RSRC2:TGID_X_EN: 1
; COMPUTE_PGM_RSRC2:TGID_Y_EN: 0
; COMPUTE_PGM_RSRC2:TGID_Z_EN: 0
; COMPUTE_PGM_RSRC2:TIDIG_COMP_CNT: 0
; COMPUTE_PGM_RSRC3_GFX90A:ACCUM_OFFSET: 0
; COMPUTE_PGM_RSRC3_GFX90A:TG_SPLIT: 0
	.section	.text._ZN7rocprim17ROCPRIM_400000_NS6detail17trampoline_kernelINS0_14default_configENS1_38merge_sort_block_merge_config_selectorIbiEEZZNS1_27merge_sort_block_merge_implIS3_N6thrust23THRUST_200600_302600_NS6detail15normal_iteratorINS8_10device_ptrIbEEEENSA_INSB_IiEEEEjNS1_19radix_merge_compareILb0ELb1EbNS0_19identity_decomposerEEEEE10hipError_tT0_T1_T2_jT3_P12ihipStream_tbPNSt15iterator_traitsISK_E10value_typeEPNSQ_ISL_E10value_typeEPSM_NS1_7vsmem_tEENKUlT_SK_SL_SM_E_clISD_PbSF_PiEESJ_SZ_SK_SL_SM_EUlSZ_E1_NS1_11comp_targetILNS1_3genE3ELNS1_11target_archE908ELNS1_3gpuE7ELNS1_3repE0EEENS1_36merge_oddeven_config_static_selectorELNS0_4arch9wavefront6targetE1EEEvSL_,"axG",@progbits,_ZN7rocprim17ROCPRIM_400000_NS6detail17trampoline_kernelINS0_14default_configENS1_38merge_sort_block_merge_config_selectorIbiEEZZNS1_27merge_sort_block_merge_implIS3_N6thrust23THRUST_200600_302600_NS6detail15normal_iteratorINS8_10device_ptrIbEEEENSA_INSB_IiEEEEjNS1_19radix_merge_compareILb0ELb1EbNS0_19identity_decomposerEEEEE10hipError_tT0_T1_T2_jT3_P12ihipStream_tbPNSt15iterator_traitsISK_E10value_typeEPNSQ_ISL_E10value_typeEPSM_NS1_7vsmem_tEENKUlT_SK_SL_SM_E_clISD_PbSF_PiEESJ_SZ_SK_SL_SM_EUlSZ_E1_NS1_11comp_targetILNS1_3genE3ELNS1_11target_archE908ELNS1_3gpuE7ELNS1_3repE0EEENS1_36merge_oddeven_config_static_selectorELNS0_4arch9wavefront6targetE1EEEvSL_,comdat
	.protected	_ZN7rocprim17ROCPRIM_400000_NS6detail17trampoline_kernelINS0_14default_configENS1_38merge_sort_block_merge_config_selectorIbiEEZZNS1_27merge_sort_block_merge_implIS3_N6thrust23THRUST_200600_302600_NS6detail15normal_iteratorINS8_10device_ptrIbEEEENSA_INSB_IiEEEEjNS1_19radix_merge_compareILb0ELb1EbNS0_19identity_decomposerEEEEE10hipError_tT0_T1_T2_jT3_P12ihipStream_tbPNSt15iterator_traitsISK_E10value_typeEPNSQ_ISL_E10value_typeEPSM_NS1_7vsmem_tEENKUlT_SK_SL_SM_E_clISD_PbSF_PiEESJ_SZ_SK_SL_SM_EUlSZ_E1_NS1_11comp_targetILNS1_3genE3ELNS1_11target_archE908ELNS1_3gpuE7ELNS1_3repE0EEENS1_36merge_oddeven_config_static_selectorELNS0_4arch9wavefront6targetE1EEEvSL_ ; -- Begin function _ZN7rocprim17ROCPRIM_400000_NS6detail17trampoline_kernelINS0_14default_configENS1_38merge_sort_block_merge_config_selectorIbiEEZZNS1_27merge_sort_block_merge_implIS3_N6thrust23THRUST_200600_302600_NS6detail15normal_iteratorINS8_10device_ptrIbEEEENSA_INSB_IiEEEEjNS1_19radix_merge_compareILb0ELb1EbNS0_19identity_decomposerEEEEE10hipError_tT0_T1_T2_jT3_P12ihipStream_tbPNSt15iterator_traitsISK_E10value_typeEPNSQ_ISL_E10value_typeEPSM_NS1_7vsmem_tEENKUlT_SK_SL_SM_E_clISD_PbSF_PiEESJ_SZ_SK_SL_SM_EUlSZ_E1_NS1_11comp_targetILNS1_3genE3ELNS1_11target_archE908ELNS1_3gpuE7ELNS1_3repE0EEENS1_36merge_oddeven_config_static_selectorELNS0_4arch9wavefront6targetE1EEEvSL_
	.globl	_ZN7rocprim17ROCPRIM_400000_NS6detail17trampoline_kernelINS0_14default_configENS1_38merge_sort_block_merge_config_selectorIbiEEZZNS1_27merge_sort_block_merge_implIS3_N6thrust23THRUST_200600_302600_NS6detail15normal_iteratorINS8_10device_ptrIbEEEENSA_INSB_IiEEEEjNS1_19radix_merge_compareILb0ELb1EbNS0_19identity_decomposerEEEEE10hipError_tT0_T1_T2_jT3_P12ihipStream_tbPNSt15iterator_traitsISK_E10value_typeEPNSQ_ISL_E10value_typeEPSM_NS1_7vsmem_tEENKUlT_SK_SL_SM_E_clISD_PbSF_PiEESJ_SZ_SK_SL_SM_EUlSZ_E1_NS1_11comp_targetILNS1_3genE3ELNS1_11target_archE908ELNS1_3gpuE7ELNS1_3repE0EEENS1_36merge_oddeven_config_static_selectorELNS0_4arch9wavefront6targetE1EEEvSL_
	.p2align	8
	.type	_ZN7rocprim17ROCPRIM_400000_NS6detail17trampoline_kernelINS0_14default_configENS1_38merge_sort_block_merge_config_selectorIbiEEZZNS1_27merge_sort_block_merge_implIS3_N6thrust23THRUST_200600_302600_NS6detail15normal_iteratorINS8_10device_ptrIbEEEENSA_INSB_IiEEEEjNS1_19radix_merge_compareILb0ELb1EbNS0_19identity_decomposerEEEEE10hipError_tT0_T1_T2_jT3_P12ihipStream_tbPNSt15iterator_traitsISK_E10value_typeEPNSQ_ISL_E10value_typeEPSM_NS1_7vsmem_tEENKUlT_SK_SL_SM_E_clISD_PbSF_PiEESJ_SZ_SK_SL_SM_EUlSZ_E1_NS1_11comp_targetILNS1_3genE3ELNS1_11target_archE908ELNS1_3gpuE7ELNS1_3repE0EEENS1_36merge_oddeven_config_static_selectorELNS0_4arch9wavefront6targetE1EEEvSL_,@function
_ZN7rocprim17ROCPRIM_400000_NS6detail17trampoline_kernelINS0_14default_configENS1_38merge_sort_block_merge_config_selectorIbiEEZZNS1_27merge_sort_block_merge_implIS3_N6thrust23THRUST_200600_302600_NS6detail15normal_iteratorINS8_10device_ptrIbEEEENSA_INSB_IiEEEEjNS1_19radix_merge_compareILb0ELb1EbNS0_19identity_decomposerEEEEE10hipError_tT0_T1_T2_jT3_P12ihipStream_tbPNSt15iterator_traitsISK_E10value_typeEPNSQ_ISL_E10value_typeEPSM_NS1_7vsmem_tEENKUlT_SK_SL_SM_E_clISD_PbSF_PiEESJ_SZ_SK_SL_SM_EUlSZ_E1_NS1_11comp_targetILNS1_3genE3ELNS1_11target_archE908ELNS1_3gpuE7ELNS1_3repE0EEENS1_36merge_oddeven_config_static_selectorELNS0_4arch9wavefront6targetE1EEEvSL_: ; @_ZN7rocprim17ROCPRIM_400000_NS6detail17trampoline_kernelINS0_14default_configENS1_38merge_sort_block_merge_config_selectorIbiEEZZNS1_27merge_sort_block_merge_implIS3_N6thrust23THRUST_200600_302600_NS6detail15normal_iteratorINS8_10device_ptrIbEEEENSA_INSB_IiEEEEjNS1_19radix_merge_compareILb0ELb1EbNS0_19identity_decomposerEEEEE10hipError_tT0_T1_T2_jT3_P12ihipStream_tbPNSt15iterator_traitsISK_E10value_typeEPNSQ_ISL_E10value_typeEPSM_NS1_7vsmem_tEENKUlT_SK_SL_SM_E_clISD_PbSF_PiEESJ_SZ_SK_SL_SM_EUlSZ_E1_NS1_11comp_targetILNS1_3genE3ELNS1_11target_archE908ELNS1_3gpuE7ELNS1_3repE0EEENS1_36merge_oddeven_config_static_selectorELNS0_4arch9wavefront6targetE1EEEvSL_
; %bb.0:
	.section	.rodata,"a",@progbits
	.p2align	6, 0x0
	.amdhsa_kernel _ZN7rocprim17ROCPRIM_400000_NS6detail17trampoline_kernelINS0_14default_configENS1_38merge_sort_block_merge_config_selectorIbiEEZZNS1_27merge_sort_block_merge_implIS3_N6thrust23THRUST_200600_302600_NS6detail15normal_iteratorINS8_10device_ptrIbEEEENSA_INSB_IiEEEEjNS1_19radix_merge_compareILb0ELb1EbNS0_19identity_decomposerEEEEE10hipError_tT0_T1_T2_jT3_P12ihipStream_tbPNSt15iterator_traitsISK_E10value_typeEPNSQ_ISL_E10value_typeEPSM_NS1_7vsmem_tEENKUlT_SK_SL_SM_E_clISD_PbSF_PiEESJ_SZ_SK_SL_SM_EUlSZ_E1_NS1_11comp_targetILNS1_3genE3ELNS1_11target_archE908ELNS1_3gpuE7ELNS1_3repE0EEENS1_36merge_oddeven_config_static_selectorELNS0_4arch9wavefront6targetE1EEEvSL_
		.amdhsa_group_segment_fixed_size 0
		.amdhsa_private_segment_fixed_size 0
		.amdhsa_kernarg_size 48
		.amdhsa_user_sgpr_count 2
		.amdhsa_user_sgpr_dispatch_ptr 0
		.amdhsa_user_sgpr_queue_ptr 0
		.amdhsa_user_sgpr_kernarg_segment_ptr 1
		.amdhsa_user_sgpr_dispatch_id 0
		.amdhsa_user_sgpr_kernarg_preload_length 0
		.amdhsa_user_sgpr_kernarg_preload_offset 0
		.amdhsa_user_sgpr_private_segment_size 0
		.amdhsa_uses_dynamic_stack 0
		.amdhsa_enable_private_segment 0
		.amdhsa_system_sgpr_workgroup_id_x 1
		.amdhsa_system_sgpr_workgroup_id_y 0
		.amdhsa_system_sgpr_workgroup_id_z 0
		.amdhsa_system_sgpr_workgroup_info 0
		.amdhsa_system_vgpr_workitem_id 0
		.amdhsa_next_free_vgpr 1
		.amdhsa_next_free_sgpr 0
		.amdhsa_accum_offset 4
		.amdhsa_reserve_vcc 0
		.amdhsa_float_round_mode_32 0
		.amdhsa_float_round_mode_16_64 0
		.amdhsa_float_denorm_mode_32 3
		.amdhsa_float_denorm_mode_16_64 3
		.amdhsa_dx10_clamp 1
		.amdhsa_ieee_mode 1
		.amdhsa_fp16_overflow 0
		.amdhsa_tg_split 0
		.amdhsa_exception_fp_ieee_invalid_op 0
		.amdhsa_exception_fp_denorm_src 0
		.amdhsa_exception_fp_ieee_div_zero 0
		.amdhsa_exception_fp_ieee_overflow 0
		.amdhsa_exception_fp_ieee_underflow 0
		.amdhsa_exception_fp_ieee_inexact 0
		.amdhsa_exception_int_div_zero 0
	.end_amdhsa_kernel
	.section	.text._ZN7rocprim17ROCPRIM_400000_NS6detail17trampoline_kernelINS0_14default_configENS1_38merge_sort_block_merge_config_selectorIbiEEZZNS1_27merge_sort_block_merge_implIS3_N6thrust23THRUST_200600_302600_NS6detail15normal_iteratorINS8_10device_ptrIbEEEENSA_INSB_IiEEEEjNS1_19radix_merge_compareILb0ELb1EbNS0_19identity_decomposerEEEEE10hipError_tT0_T1_T2_jT3_P12ihipStream_tbPNSt15iterator_traitsISK_E10value_typeEPNSQ_ISL_E10value_typeEPSM_NS1_7vsmem_tEENKUlT_SK_SL_SM_E_clISD_PbSF_PiEESJ_SZ_SK_SL_SM_EUlSZ_E1_NS1_11comp_targetILNS1_3genE3ELNS1_11target_archE908ELNS1_3gpuE7ELNS1_3repE0EEENS1_36merge_oddeven_config_static_selectorELNS0_4arch9wavefront6targetE1EEEvSL_,"axG",@progbits,_ZN7rocprim17ROCPRIM_400000_NS6detail17trampoline_kernelINS0_14default_configENS1_38merge_sort_block_merge_config_selectorIbiEEZZNS1_27merge_sort_block_merge_implIS3_N6thrust23THRUST_200600_302600_NS6detail15normal_iteratorINS8_10device_ptrIbEEEENSA_INSB_IiEEEEjNS1_19radix_merge_compareILb0ELb1EbNS0_19identity_decomposerEEEEE10hipError_tT0_T1_T2_jT3_P12ihipStream_tbPNSt15iterator_traitsISK_E10value_typeEPNSQ_ISL_E10value_typeEPSM_NS1_7vsmem_tEENKUlT_SK_SL_SM_E_clISD_PbSF_PiEESJ_SZ_SK_SL_SM_EUlSZ_E1_NS1_11comp_targetILNS1_3genE3ELNS1_11target_archE908ELNS1_3gpuE7ELNS1_3repE0EEENS1_36merge_oddeven_config_static_selectorELNS0_4arch9wavefront6targetE1EEEvSL_,comdat
.Lfunc_end2010:
	.size	_ZN7rocprim17ROCPRIM_400000_NS6detail17trampoline_kernelINS0_14default_configENS1_38merge_sort_block_merge_config_selectorIbiEEZZNS1_27merge_sort_block_merge_implIS3_N6thrust23THRUST_200600_302600_NS6detail15normal_iteratorINS8_10device_ptrIbEEEENSA_INSB_IiEEEEjNS1_19radix_merge_compareILb0ELb1EbNS0_19identity_decomposerEEEEE10hipError_tT0_T1_T2_jT3_P12ihipStream_tbPNSt15iterator_traitsISK_E10value_typeEPNSQ_ISL_E10value_typeEPSM_NS1_7vsmem_tEENKUlT_SK_SL_SM_E_clISD_PbSF_PiEESJ_SZ_SK_SL_SM_EUlSZ_E1_NS1_11comp_targetILNS1_3genE3ELNS1_11target_archE908ELNS1_3gpuE7ELNS1_3repE0EEENS1_36merge_oddeven_config_static_selectorELNS0_4arch9wavefront6targetE1EEEvSL_, .Lfunc_end2010-_ZN7rocprim17ROCPRIM_400000_NS6detail17trampoline_kernelINS0_14default_configENS1_38merge_sort_block_merge_config_selectorIbiEEZZNS1_27merge_sort_block_merge_implIS3_N6thrust23THRUST_200600_302600_NS6detail15normal_iteratorINS8_10device_ptrIbEEEENSA_INSB_IiEEEEjNS1_19radix_merge_compareILb0ELb1EbNS0_19identity_decomposerEEEEE10hipError_tT0_T1_T2_jT3_P12ihipStream_tbPNSt15iterator_traitsISK_E10value_typeEPNSQ_ISL_E10value_typeEPSM_NS1_7vsmem_tEENKUlT_SK_SL_SM_E_clISD_PbSF_PiEESJ_SZ_SK_SL_SM_EUlSZ_E1_NS1_11comp_targetILNS1_3genE3ELNS1_11target_archE908ELNS1_3gpuE7ELNS1_3repE0EEENS1_36merge_oddeven_config_static_selectorELNS0_4arch9wavefront6targetE1EEEvSL_
                                        ; -- End function
	.set _ZN7rocprim17ROCPRIM_400000_NS6detail17trampoline_kernelINS0_14default_configENS1_38merge_sort_block_merge_config_selectorIbiEEZZNS1_27merge_sort_block_merge_implIS3_N6thrust23THRUST_200600_302600_NS6detail15normal_iteratorINS8_10device_ptrIbEEEENSA_INSB_IiEEEEjNS1_19radix_merge_compareILb0ELb1EbNS0_19identity_decomposerEEEEE10hipError_tT0_T1_T2_jT3_P12ihipStream_tbPNSt15iterator_traitsISK_E10value_typeEPNSQ_ISL_E10value_typeEPSM_NS1_7vsmem_tEENKUlT_SK_SL_SM_E_clISD_PbSF_PiEESJ_SZ_SK_SL_SM_EUlSZ_E1_NS1_11comp_targetILNS1_3genE3ELNS1_11target_archE908ELNS1_3gpuE7ELNS1_3repE0EEENS1_36merge_oddeven_config_static_selectorELNS0_4arch9wavefront6targetE1EEEvSL_.num_vgpr, 0
	.set _ZN7rocprim17ROCPRIM_400000_NS6detail17trampoline_kernelINS0_14default_configENS1_38merge_sort_block_merge_config_selectorIbiEEZZNS1_27merge_sort_block_merge_implIS3_N6thrust23THRUST_200600_302600_NS6detail15normal_iteratorINS8_10device_ptrIbEEEENSA_INSB_IiEEEEjNS1_19radix_merge_compareILb0ELb1EbNS0_19identity_decomposerEEEEE10hipError_tT0_T1_T2_jT3_P12ihipStream_tbPNSt15iterator_traitsISK_E10value_typeEPNSQ_ISL_E10value_typeEPSM_NS1_7vsmem_tEENKUlT_SK_SL_SM_E_clISD_PbSF_PiEESJ_SZ_SK_SL_SM_EUlSZ_E1_NS1_11comp_targetILNS1_3genE3ELNS1_11target_archE908ELNS1_3gpuE7ELNS1_3repE0EEENS1_36merge_oddeven_config_static_selectorELNS0_4arch9wavefront6targetE1EEEvSL_.num_agpr, 0
	.set _ZN7rocprim17ROCPRIM_400000_NS6detail17trampoline_kernelINS0_14default_configENS1_38merge_sort_block_merge_config_selectorIbiEEZZNS1_27merge_sort_block_merge_implIS3_N6thrust23THRUST_200600_302600_NS6detail15normal_iteratorINS8_10device_ptrIbEEEENSA_INSB_IiEEEEjNS1_19radix_merge_compareILb0ELb1EbNS0_19identity_decomposerEEEEE10hipError_tT0_T1_T2_jT3_P12ihipStream_tbPNSt15iterator_traitsISK_E10value_typeEPNSQ_ISL_E10value_typeEPSM_NS1_7vsmem_tEENKUlT_SK_SL_SM_E_clISD_PbSF_PiEESJ_SZ_SK_SL_SM_EUlSZ_E1_NS1_11comp_targetILNS1_3genE3ELNS1_11target_archE908ELNS1_3gpuE7ELNS1_3repE0EEENS1_36merge_oddeven_config_static_selectorELNS0_4arch9wavefront6targetE1EEEvSL_.numbered_sgpr, 0
	.set _ZN7rocprim17ROCPRIM_400000_NS6detail17trampoline_kernelINS0_14default_configENS1_38merge_sort_block_merge_config_selectorIbiEEZZNS1_27merge_sort_block_merge_implIS3_N6thrust23THRUST_200600_302600_NS6detail15normal_iteratorINS8_10device_ptrIbEEEENSA_INSB_IiEEEEjNS1_19radix_merge_compareILb0ELb1EbNS0_19identity_decomposerEEEEE10hipError_tT0_T1_T2_jT3_P12ihipStream_tbPNSt15iterator_traitsISK_E10value_typeEPNSQ_ISL_E10value_typeEPSM_NS1_7vsmem_tEENKUlT_SK_SL_SM_E_clISD_PbSF_PiEESJ_SZ_SK_SL_SM_EUlSZ_E1_NS1_11comp_targetILNS1_3genE3ELNS1_11target_archE908ELNS1_3gpuE7ELNS1_3repE0EEENS1_36merge_oddeven_config_static_selectorELNS0_4arch9wavefront6targetE1EEEvSL_.num_named_barrier, 0
	.set _ZN7rocprim17ROCPRIM_400000_NS6detail17trampoline_kernelINS0_14default_configENS1_38merge_sort_block_merge_config_selectorIbiEEZZNS1_27merge_sort_block_merge_implIS3_N6thrust23THRUST_200600_302600_NS6detail15normal_iteratorINS8_10device_ptrIbEEEENSA_INSB_IiEEEEjNS1_19radix_merge_compareILb0ELb1EbNS0_19identity_decomposerEEEEE10hipError_tT0_T1_T2_jT3_P12ihipStream_tbPNSt15iterator_traitsISK_E10value_typeEPNSQ_ISL_E10value_typeEPSM_NS1_7vsmem_tEENKUlT_SK_SL_SM_E_clISD_PbSF_PiEESJ_SZ_SK_SL_SM_EUlSZ_E1_NS1_11comp_targetILNS1_3genE3ELNS1_11target_archE908ELNS1_3gpuE7ELNS1_3repE0EEENS1_36merge_oddeven_config_static_selectorELNS0_4arch9wavefront6targetE1EEEvSL_.private_seg_size, 0
	.set _ZN7rocprim17ROCPRIM_400000_NS6detail17trampoline_kernelINS0_14default_configENS1_38merge_sort_block_merge_config_selectorIbiEEZZNS1_27merge_sort_block_merge_implIS3_N6thrust23THRUST_200600_302600_NS6detail15normal_iteratorINS8_10device_ptrIbEEEENSA_INSB_IiEEEEjNS1_19radix_merge_compareILb0ELb1EbNS0_19identity_decomposerEEEEE10hipError_tT0_T1_T2_jT3_P12ihipStream_tbPNSt15iterator_traitsISK_E10value_typeEPNSQ_ISL_E10value_typeEPSM_NS1_7vsmem_tEENKUlT_SK_SL_SM_E_clISD_PbSF_PiEESJ_SZ_SK_SL_SM_EUlSZ_E1_NS1_11comp_targetILNS1_3genE3ELNS1_11target_archE908ELNS1_3gpuE7ELNS1_3repE0EEENS1_36merge_oddeven_config_static_selectorELNS0_4arch9wavefront6targetE1EEEvSL_.uses_vcc, 0
	.set _ZN7rocprim17ROCPRIM_400000_NS6detail17trampoline_kernelINS0_14default_configENS1_38merge_sort_block_merge_config_selectorIbiEEZZNS1_27merge_sort_block_merge_implIS3_N6thrust23THRUST_200600_302600_NS6detail15normal_iteratorINS8_10device_ptrIbEEEENSA_INSB_IiEEEEjNS1_19radix_merge_compareILb0ELb1EbNS0_19identity_decomposerEEEEE10hipError_tT0_T1_T2_jT3_P12ihipStream_tbPNSt15iterator_traitsISK_E10value_typeEPNSQ_ISL_E10value_typeEPSM_NS1_7vsmem_tEENKUlT_SK_SL_SM_E_clISD_PbSF_PiEESJ_SZ_SK_SL_SM_EUlSZ_E1_NS1_11comp_targetILNS1_3genE3ELNS1_11target_archE908ELNS1_3gpuE7ELNS1_3repE0EEENS1_36merge_oddeven_config_static_selectorELNS0_4arch9wavefront6targetE1EEEvSL_.uses_flat_scratch, 0
	.set _ZN7rocprim17ROCPRIM_400000_NS6detail17trampoline_kernelINS0_14default_configENS1_38merge_sort_block_merge_config_selectorIbiEEZZNS1_27merge_sort_block_merge_implIS3_N6thrust23THRUST_200600_302600_NS6detail15normal_iteratorINS8_10device_ptrIbEEEENSA_INSB_IiEEEEjNS1_19radix_merge_compareILb0ELb1EbNS0_19identity_decomposerEEEEE10hipError_tT0_T1_T2_jT3_P12ihipStream_tbPNSt15iterator_traitsISK_E10value_typeEPNSQ_ISL_E10value_typeEPSM_NS1_7vsmem_tEENKUlT_SK_SL_SM_E_clISD_PbSF_PiEESJ_SZ_SK_SL_SM_EUlSZ_E1_NS1_11comp_targetILNS1_3genE3ELNS1_11target_archE908ELNS1_3gpuE7ELNS1_3repE0EEENS1_36merge_oddeven_config_static_selectorELNS0_4arch9wavefront6targetE1EEEvSL_.has_dyn_sized_stack, 0
	.set _ZN7rocprim17ROCPRIM_400000_NS6detail17trampoline_kernelINS0_14default_configENS1_38merge_sort_block_merge_config_selectorIbiEEZZNS1_27merge_sort_block_merge_implIS3_N6thrust23THRUST_200600_302600_NS6detail15normal_iteratorINS8_10device_ptrIbEEEENSA_INSB_IiEEEEjNS1_19radix_merge_compareILb0ELb1EbNS0_19identity_decomposerEEEEE10hipError_tT0_T1_T2_jT3_P12ihipStream_tbPNSt15iterator_traitsISK_E10value_typeEPNSQ_ISL_E10value_typeEPSM_NS1_7vsmem_tEENKUlT_SK_SL_SM_E_clISD_PbSF_PiEESJ_SZ_SK_SL_SM_EUlSZ_E1_NS1_11comp_targetILNS1_3genE3ELNS1_11target_archE908ELNS1_3gpuE7ELNS1_3repE0EEENS1_36merge_oddeven_config_static_selectorELNS0_4arch9wavefront6targetE1EEEvSL_.has_recursion, 0
	.set _ZN7rocprim17ROCPRIM_400000_NS6detail17trampoline_kernelINS0_14default_configENS1_38merge_sort_block_merge_config_selectorIbiEEZZNS1_27merge_sort_block_merge_implIS3_N6thrust23THRUST_200600_302600_NS6detail15normal_iteratorINS8_10device_ptrIbEEEENSA_INSB_IiEEEEjNS1_19radix_merge_compareILb0ELb1EbNS0_19identity_decomposerEEEEE10hipError_tT0_T1_T2_jT3_P12ihipStream_tbPNSt15iterator_traitsISK_E10value_typeEPNSQ_ISL_E10value_typeEPSM_NS1_7vsmem_tEENKUlT_SK_SL_SM_E_clISD_PbSF_PiEESJ_SZ_SK_SL_SM_EUlSZ_E1_NS1_11comp_targetILNS1_3genE3ELNS1_11target_archE908ELNS1_3gpuE7ELNS1_3repE0EEENS1_36merge_oddeven_config_static_selectorELNS0_4arch9wavefront6targetE1EEEvSL_.has_indirect_call, 0
	.section	.AMDGPU.csdata,"",@progbits
; Kernel info:
; codeLenInByte = 0
; TotalNumSgprs: 6
; NumVgprs: 0
; NumAgprs: 0
; TotalNumVgprs: 0
; ScratchSize: 0
; MemoryBound: 0
; FloatMode: 240
; IeeeMode: 1
; LDSByteSize: 0 bytes/workgroup (compile time only)
; SGPRBlocks: 0
; VGPRBlocks: 0
; NumSGPRsForWavesPerEU: 6
; NumVGPRsForWavesPerEU: 1
; AccumOffset: 4
; Occupancy: 8
; WaveLimiterHint : 0
; COMPUTE_PGM_RSRC2:SCRATCH_EN: 0
; COMPUTE_PGM_RSRC2:USER_SGPR: 2
; COMPUTE_PGM_RSRC2:TRAP_HANDLER: 0
; COMPUTE_PGM_RSRC2:TGID_X_EN: 1
; COMPUTE_PGM_RSRC2:TGID_Y_EN: 0
; COMPUTE_PGM_RSRC2:TGID_Z_EN: 0
; COMPUTE_PGM_RSRC2:TIDIG_COMP_CNT: 0
; COMPUTE_PGM_RSRC3_GFX90A:ACCUM_OFFSET: 0
; COMPUTE_PGM_RSRC3_GFX90A:TG_SPLIT: 0
	.section	.text._ZN7rocprim17ROCPRIM_400000_NS6detail17trampoline_kernelINS0_14default_configENS1_38merge_sort_block_merge_config_selectorIbiEEZZNS1_27merge_sort_block_merge_implIS3_N6thrust23THRUST_200600_302600_NS6detail15normal_iteratorINS8_10device_ptrIbEEEENSA_INSB_IiEEEEjNS1_19radix_merge_compareILb0ELb1EbNS0_19identity_decomposerEEEEE10hipError_tT0_T1_T2_jT3_P12ihipStream_tbPNSt15iterator_traitsISK_E10value_typeEPNSQ_ISL_E10value_typeEPSM_NS1_7vsmem_tEENKUlT_SK_SL_SM_E_clISD_PbSF_PiEESJ_SZ_SK_SL_SM_EUlSZ_E1_NS1_11comp_targetILNS1_3genE2ELNS1_11target_archE906ELNS1_3gpuE6ELNS1_3repE0EEENS1_36merge_oddeven_config_static_selectorELNS0_4arch9wavefront6targetE1EEEvSL_,"axG",@progbits,_ZN7rocprim17ROCPRIM_400000_NS6detail17trampoline_kernelINS0_14default_configENS1_38merge_sort_block_merge_config_selectorIbiEEZZNS1_27merge_sort_block_merge_implIS3_N6thrust23THRUST_200600_302600_NS6detail15normal_iteratorINS8_10device_ptrIbEEEENSA_INSB_IiEEEEjNS1_19radix_merge_compareILb0ELb1EbNS0_19identity_decomposerEEEEE10hipError_tT0_T1_T2_jT3_P12ihipStream_tbPNSt15iterator_traitsISK_E10value_typeEPNSQ_ISL_E10value_typeEPSM_NS1_7vsmem_tEENKUlT_SK_SL_SM_E_clISD_PbSF_PiEESJ_SZ_SK_SL_SM_EUlSZ_E1_NS1_11comp_targetILNS1_3genE2ELNS1_11target_archE906ELNS1_3gpuE6ELNS1_3repE0EEENS1_36merge_oddeven_config_static_selectorELNS0_4arch9wavefront6targetE1EEEvSL_,comdat
	.protected	_ZN7rocprim17ROCPRIM_400000_NS6detail17trampoline_kernelINS0_14default_configENS1_38merge_sort_block_merge_config_selectorIbiEEZZNS1_27merge_sort_block_merge_implIS3_N6thrust23THRUST_200600_302600_NS6detail15normal_iteratorINS8_10device_ptrIbEEEENSA_INSB_IiEEEEjNS1_19radix_merge_compareILb0ELb1EbNS0_19identity_decomposerEEEEE10hipError_tT0_T1_T2_jT3_P12ihipStream_tbPNSt15iterator_traitsISK_E10value_typeEPNSQ_ISL_E10value_typeEPSM_NS1_7vsmem_tEENKUlT_SK_SL_SM_E_clISD_PbSF_PiEESJ_SZ_SK_SL_SM_EUlSZ_E1_NS1_11comp_targetILNS1_3genE2ELNS1_11target_archE906ELNS1_3gpuE6ELNS1_3repE0EEENS1_36merge_oddeven_config_static_selectorELNS0_4arch9wavefront6targetE1EEEvSL_ ; -- Begin function _ZN7rocprim17ROCPRIM_400000_NS6detail17trampoline_kernelINS0_14default_configENS1_38merge_sort_block_merge_config_selectorIbiEEZZNS1_27merge_sort_block_merge_implIS3_N6thrust23THRUST_200600_302600_NS6detail15normal_iteratorINS8_10device_ptrIbEEEENSA_INSB_IiEEEEjNS1_19radix_merge_compareILb0ELb1EbNS0_19identity_decomposerEEEEE10hipError_tT0_T1_T2_jT3_P12ihipStream_tbPNSt15iterator_traitsISK_E10value_typeEPNSQ_ISL_E10value_typeEPSM_NS1_7vsmem_tEENKUlT_SK_SL_SM_E_clISD_PbSF_PiEESJ_SZ_SK_SL_SM_EUlSZ_E1_NS1_11comp_targetILNS1_3genE2ELNS1_11target_archE906ELNS1_3gpuE6ELNS1_3repE0EEENS1_36merge_oddeven_config_static_selectorELNS0_4arch9wavefront6targetE1EEEvSL_
	.globl	_ZN7rocprim17ROCPRIM_400000_NS6detail17trampoline_kernelINS0_14default_configENS1_38merge_sort_block_merge_config_selectorIbiEEZZNS1_27merge_sort_block_merge_implIS3_N6thrust23THRUST_200600_302600_NS6detail15normal_iteratorINS8_10device_ptrIbEEEENSA_INSB_IiEEEEjNS1_19radix_merge_compareILb0ELb1EbNS0_19identity_decomposerEEEEE10hipError_tT0_T1_T2_jT3_P12ihipStream_tbPNSt15iterator_traitsISK_E10value_typeEPNSQ_ISL_E10value_typeEPSM_NS1_7vsmem_tEENKUlT_SK_SL_SM_E_clISD_PbSF_PiEESJ_SZ_SK_SL_SM_EUlSZ_E1_NS1_11comp_targetILNS1_3genE2ELNS1_11target_archE906ELNS1_3gpuE6ELNS1_3repE0EEENS1_36merge_oddeven_config_static_selectorELNS0_4arch9wavefront6targetE1EEEvSL_
	.p2align	8
	.type	_ZN7rocprim17ROCPRIM_400000_NS6detail17trampoline_kernelINS0_14default_configENS1_38merge_sort_block_merge_config_selectorIbiEEZZNS1_27merge_sort_block_merge_implIS3_N6thrust23THRUST_200600_302600_NS6detail15normal_iteratorINS8_10device_ptrIbEEEENSA_INSB_IiEEEEjNS1_19radix_merge_compareILb0ELb1EbNS0_19identity_decomposerEEEEE10hipError_tT0_T1_T2_jT3_P12ihipStream_tbPNSt15iterator_traitsISK_E10value_typeEPNSQ_ISL_E10value_typeEPSM_NS1_7vsmem_tEENKUlT_SK_SL_SM_E_clISD_PbSF_PiEESJ_SZ_SK_SL_SM_EUlSZ_E1_NS1_11comp_targetILNS1_3genE2ELNS1_11target_archE906ELNS1_3gpuE6ELNS1_3repE0EEENS1_36merge_oddeven_config_static_selectorELNS0_4arch9wavefront6targetE1EEEvSL_,@function
_ZN7rocprim17ROCPRIM_400000_NS6detail17trampoline_kernelINS0_14default_configENS1_38merge_sort_block_merge_config_selectorIbiEEZZNS1_27merge_sort_block_merge_implIS3_N6thrust23THRUST_200600_302600_NS6detail15normal_iteratorINS8_10device_ptrIbEEEENSA_INSB_IiEEEEjNS1_19radix_merge_compareILb0ELb1EbNS0_19identity_decomposerEEEEE10hipError_tT0_T1_T2_jT3_P12ihipStream_tbPNSt15iterator_traitsISK_E10value_typeEPNSQ_ISL_E10value_typeEPSM_NS1_7vsmem_tEENKUlT_SK_SL_SM_E_clISD_PbSF_PiEESJ_SZ_SK_SL_SM_EUlSZ_E1_NS1_11comp_targetILNS1_3genE2ELNS1_11target_archE906ELNS1_3gpuE6ELNS1_3repE0EEENS1_36merge_oddeven_config_static_selectorELNS0_4arch9wavefront6targetE1EEEvSL_: ; @_ZN7rocprim17ROCPRIM_400000_NS6detail17trampoline_kernelINS0_14default_configENS1_38merge_sort_block_merge_config_selectorIbiEEZZNS1_27merge_sort_block_merge_implIS3_N6thrust23THRUST_200600_302600_NS6detail15normal_iteratorINS8_10device_ptrIbEEEENSA_INSB_IiEEEEjNS1_19radix_merge_compareILb0ELb1EbNS0_19identity_decomposerEEEEE10hipError_tT0_T1_T2_jT3_P12ihipStream_tbPNSt15iterator_traitsISK_E10value_typeEPNSQ_ISL_E10value_typeEPSM_NS1_7vsmem_tEENKUlT_SK_SL_SM_E_clISD_PbSF_PiEESJ_SZ_SK_SL_SM_EUlSZ_E1_NS1_11comp_targetILNS1_3genE2ELNS1_11target_archE906ELNS1_3gpuE6ELNS1_3repE0EEENS1_36merge_oddeven_config_static_selectorELNS0_4arch9wavefront6targetE1EEEvSL_
; %bb.0:
	.section	.rodata,"a",@progbits
	.p2align	6, 0x0
	.amdhsa_kernel _ZN7rocprim17ROCPRIM_400000_NS6detail17trampoline_kernelINS0_14default_configENS1_38merge_sort_block_merge_config_selectorIbiEEZZNS1_27merge_sort_block_merge_implIS3_N6thrust23THRUST_200600_302600_NS6detail15normal_iteratorINS8_10device_ptrIbEEEENSA_INSB_IiEEEEjNS1_19radix_merge_compareILb0ELb1EbNS0_19identity_decomposerEEEEE10hipError_tT0_T1_T2_jT3_P12ihipStream_tbPNSt15iterator_traitsISK_E10value_typeEPNSQ_ISL_E10value_typeEPSM_NS1_7vsmem_tEENKUlT_SK_SL_SM_E_clISD_PbSF_PiEESJ_SZ_SK_SL_SM_EUlSZ_E1_NS1_11comp_targetILNS1_3genE2ELNS1_11target_archE906ELNS1_3gpuE6ELNS1_3repE0EEENS1_36merge_oddeven_config_static_selectorELNS0_4arch9wavefront6targetE1EEEvSL_
		.amdhsa_group_segment_fixed_size 0
		.amdhsa_private_segment_fixed_size 0
		.amdhsa_kernarg_size 48
		.amdhsa_user_sgpr_count 2
		.amdhsa_user_sgpr_dispatch_ptr 0
		.amdhsa_user_sgpr_queue_ptr 0
		.amdhsa_user_sgpr_kernarg_segment_ptr 1
		.amdhsa_user_sgpr_dispatch_id 0
		.amdhsa_user_sgpr_kernarg_preload_length 0
		.amdhsa_user_sgpr_kernarg_preload_offset 0
		.amdhsa_user_sgpr_private_segment_size 0
		.amdhsa_uses_dynamic_stack 0
		.amdhsa_enable_private_segment 0
		.amdhsa_system_sgpr_workgroup_id_x 1
		.amdhsa_system_sgpr_workgroup_id_y 0
		.amdhsa_system_sgpr_workgroup_id_z 0
		.amdhsa_system_sgpr_workgroup_info 0
		.amdhsa_system_vgpr_workitem_id 0
		.amdhsa_next_free_vgpr 1
		.amdhsa_next_free_sgpr 0
		.amdhsa_accum_offset 4
		.amdhsa_reserve_vcc 0
		.amdhsa_float_round_mode_32 0
		.amdhsa_float_round_mode_16_64 0
		.amdhsa_float_denorm_mode_32 3
		.amdhsa_float_denorm_mode_16_64 3
		.amdhsa_dx10_clamp 1
		.amdhsa_ieee_mode 1
		.amdhsa_fp16_overflow 0
		.amdhsa_tg_split 0
		.amdhsa_exception_fp_ieee_invalid_op 0
		.amdhsa_exception_fp_denorm_src 0
		.amdhsa_exception_fp_ieee_div_zero 0
		.amdhsa_exception_fp_ieee_overflow 0
		.amdhsa_exception_fp_ieee_underflow 0
		.amdhsa_exception_fp_ieee_inexact 0
		.amdhsa_exception_int_div_zero 0
	.end_amdhsa_kernel
	.section	.text._ZN7rocprim17ROCPRIM_400000_NS6detail17trampoline_kernelINS0_14default_configENS1_38merge_sort_block_merge_config_selectorIbiEEZZNS1_27merge_sort_block_merge_implIS3_N6thrust23THRUST_200600_302600_NS6detail15normal_iteratorINS8_10device_ptrIbEEEENSA_INSB_IiEEEEjNS1_19radix_merge_compareILb0ELb1EbNS0_19identity_decomposerEEEEE10hipError_tT0_T1_T2_jT3_P12ihipStream_tbPNSt15iterator_traitsISK_E10value_typeEPNSQ_ISL_E10value_typeEPSM_NS1_7vsmem_tEENKUlT_SK_SL_SM_E_clISD_PbSF_PiEESJ_SZ_SK_SL_SM_EUlSZ_E1_NS1_11comp_targetILNS1_3genE2ELNS1_11target_archE906ELNS1_3gpuE6ELNS1_3repE0EEENS1_36merge_oddeven_config_static_selectorELNS0_4arch9wavefront6targetE1EEEvSL_,"axG",@progbits,_ZN7rocprim17ROCPRIM_400000_NS6detail17trampoline_kernelINS0_14default_configENS1_38merge_sort_block_merge_config_selectorIbiEEZZNS1_27merge_sort_block_merge_implIS3_N6thrust23THRUST_200600_302600_NS6detail15normal_iteratorINS8_10device_ptrIbEEEENSA_INSB_IiEEEEjNS1_19radix_merge_compareILb0ELb1EbNS0_19identity_decomposerEEEEE10hipError_tT0_T1_T2_jT3_P12ihipStream_tbPNSt15iterator_traitsISK_E10value_typeEPNSQ_ISL_E10value_typeEPSM_NS1_7vsmem_tEENKUlT_SK_SL_SM_E_clISD_PbSF_PiEESJ_SZ_SK_SL_SM_EUlSZ_E1_NS1_11comp_targetILNS1_3genE2ELNS1_11target_archE906ELNS1_3gpuE6ELNS1_3repE0EEENS1_36merge_oddeven_config_static_selectorELNS0_4arch9wavefront6targetE1EEEvSL_,comdat
.Lfunc_end2011:
	.size	_ZN7rocprim17ROCPRIM_400000_NS6detail17trampoline_kernelINS0_14default_configENS1_38merge_sort_block_merge_config_selectorIbiEEZZNS1_27merge_sort_block_merge_implIS3_N6thrust23THRUST_200600_302600_NS6detail15normal_iteratorINS8_10device_ptrIbEEEENSA_INSB_IiEEEEjNS1_19radix_merge_compareILb0ELb1EbNS0_19identity_decomposerEEEEE10hipError_tT0_T1_T2_jT3_P12ihipStream_tbPNSt15iterator_traitsISK_E10value_typeEPNSQ_ISL_E10value_typeEPSM_NS1_7vsmem_tEENKUlT_SK_SL_SM_E_clISD_PbSF_PiEESJ_SZ_SK_SL_SM_EUlSZ_E1_NS1_11comp_targetILNS1_3genE2ELNS1_11target_archE906ELNS1_3gpuE6ELNS1_3repE0EEENS1_36merge_oddeven_config_static_selectorELNS0_4arch9wavefront6targetE1EEEvSL_, .Lfunc_end2011-_ZN7rocprim17ROCPRIM_400000_NS6detail17trampoline_kernelINS0_14default_configENS1_38merge_sort_block_merge_config_selectorIbiEEZZNS1_27merge_sort_block_merge_implIS3_N6thrust23THRUST_200600_302600_NS6detail15normal_iteratorINS8_10device_ptrIbEEEENSA_INSB_IiEEEEjNS1_19radix_merge_compareILb0ELb1EbNS0_19identity_decomposerEEEEE10hipError_tT0_T1_T2_jT3_P12ihipStream_tbPNSt15iterator_traitsISK_E10value_typeEPNSQ_ISL_E10value_typeEPSM_NS1_7vsmem_tEENKUlT_SK_SL_SM_E_clISD_PbSF_PiEESJ_SZ_SK_SL_SM_EUlSZ_E1_NS1_11comp_targetILNS1_3genE2ELNS1_11target_archE906ELNS1_3gpuE6ELNS1_3repE0EEENS1_36merge_oddeven_config_static_selectorELNS0_4arch9wavefront6targetE1EEEvSL_
                                        ; -- End function
	.set _ZN7rocprim17ROCPRIM_400000_NS6detail17trampoline_kernelINS0_14default_configENS1_38merge_sort_block_merge_config_selectorIbiEEZZNS1_27merge_sort_block_merge_implIS3_N6thrust23THRUST_200600_302600_NS6detail15normal_iteratorINS8_10device_ptrIbEEEENSA_INSB_IiEEEEjNS1_19radix_merge_compareILb0ELb1EbNS0_19identity_decomposerEEEEE10hipError_tT0_T1_T2_jT3_P12ihipStream_tbPNSt15iterator_traitsISK_E10value_typeEPNSQ_ISL_E10value_typeEPSM_NS1_7vsmem_tEENKUlT_SK_SL_SM_E_clISD_PbSF_PiEESJ_SZ_SK_SL_SM_EUlSZ_E1_NS1_11comp_targetILNS1_3genE2ELNS1_11target_archE906ELNS1_3gpuE6ELNS1_3repE0EEENS1_36merge_oddeven_config_static_selectorELNS0_4arch9wavefront6targetE1EEEvSL_.num_vgpr, 0
	.set _ZN7rocprim17ROCPRIM_400000_NS6detail17trampoline_kernelINS0_14default_configENS1_38merge_sort_block_merge_config_selectorIbiEEZZNS1_27merge_sort_block_merge_implIS3_N6thrust23THRUST_200600_302600_NS6detail15normal_iteratorINS8_10device_ptrIbEEEENSA_INSB_IiEEEEjNS1_19radix_merge_compareILb0ELb1EbNS0_19identity_decomposerEEEEE10hipError_tT0_T1_T2_jT3_P12ihipStream_tbPNSt15iterator_traitsISK_E10value_typeEPNSQ_ISL_E10value_typeEPSM_NS1_7vsmem_tEENKUlT_SK_SL_SM_E_clISD_PbSF_PiEESJ_SZ_SK_SL_SM_EUlSZ_E1_NS1_11comp_targetILNS1_3genE2ELNS1_11target_archE906ELNS1_3gpuE6ELNS1_3repE0EEENS1_36merge_oddeven_config_static_selectorELNS0_4arch9wavefront6targetE1EEEvSL_.num_agpr, 0
	.set _ZN7rocprim17ROCPRIM_400000_NS6detail17trampoline_kernelINS0_14default_configENS1_38merge_sort_block_merge_config_selectorIbiEEZZNS1_27merge_sort_block_merge_implIS3_N6thrust23THRUST_200600_302600_NS6detail15normal_iteratorINS8_10device_ptrIbEEEENSA_INSB_IiEEEEjNS1_19radix_merge_compareILb0ELb1EbNS0_19identity_decomposerEEEEE10hipError_tT0_T1_T2_jT3_P12ihipStream_tbPNSt15iterator_traitsISK_E10value_typeEPNSQ_ISL_E10value_typeEPSM_NS1_7vsmem_tEENKUlT_SK_SL_SM_E_clISD_PbSF_PiEESJ_SZ_SK_SL_SM_EUlSZ_E1_NS1_11comp_targetILNS1_3genE2ELNS1_11target_archE906ELNS1_3gpuE6ELNS1_3repE0EEENS1_36merge_oddeven_config_static_selectorELNS0_4arch9wavefront6targetE1EEEvSL_.numbered_sgpr, 0
	.set _ZN7rocprim17ROCPRIM_400000_NS6detail17trampoline_kernelINS0_14default_configENS1_38merge_sort_block_merge_config_selectorIbiEEZZNS1_27merge_sort_block_merge_implIS3_N6thrust23THRUST_200600_302600_NS6detail15normal_iteratorINS8_10device_ptrIbEEEENSA_INSB_IiEEEEjNS1_19radix_merge_compareILb0ELb1EbNS0_19identity_decomposerEEEEE10hipError_tT0_T1_T2_jT3_P12ihipStream_tbPNSt15iterator_traitsISK_E10value_typeEPNSQ_ISL_E10value_typeEPSM_NS1_7vsmem_tEENKUlT_SK_SL_SM_E_clISD_PbSF_PiEESJ_SZ_SK_SL_SM_EUlSZ_E1_NS1_11comp_targetILNS1_3genE2ELNS1_11target_archE906ELNS1_3gpuE6ELNS1_3repE0EEENS1_36merge_oddeven_config_static_selectorELNS0_4arch9wavefront6targetE1EEEvSL_.num_named_barrier, 0
	.set _ZN7rocprim17ROCPRIM_400000_NS6detail17trampoline_kernelINS0_14default_configENS1_38merge_sort_block_merge_config_selectorIbiEEZZNS1_27merge_sort_block_merge_implIS3_N6thrust23THRUST_200600_302600_NS6detail15normal_iteratorINS8_10device_ptrIbEEEENSA_INSB_IiEEEEjNS1_19radix_merge_compareILb0ELb1EbNS0_19identity_decomposerEEEEE10hipError_tT0_T1_T2_jT3_P12ihipStream_tbPNSt15iterator_traitsISK_E10value_typeEPNSQ_ISL_E10value_typeEPSM_NS1_7vsmem_tEENKUlT_SK_SL_SM_E_clISD_PbSF_PiEESJ_SZ_SK_SL_SM_EUlSZ_E1_NS1_11comp_targetILNS1_3genE2ELNS1_11target_archE906ELNS1_3gpuE6ELNS1_3repE0EEENS1_36merge_oddeven_config_static_selectorELNS0_4arch9wavefront6targetE1EEEvSL_.private_seg_size, 0
	.set _ZN7rocprim17ROCPRIM_400000_NS6detail17trampoline_kernelINS0_14default_configENS1_38merge_sort_block_merge_config_selectorIbiEEZZNS1_27merge_sort_block_merge_implIS3_N6thrust23THRUST_200600_302600_NS6detail15normal_iteratorINS8_10device_ptrIbEEEENSA_INSB_IiEEEEjNS1_19radix_merge_compareILb0ELb1EbNS0_19identity_decomposerEEEEE10hipError_tT0_T1_T2_jT3_P12ihipStream_tbPNSt15iterator_traitsISK_E10value_typeEPNSQ_ISL_E10value_typeEPSM_NS1_7vsmem_tEENKUlT_SK_SL_SM_E_clISD_PbSF_PiEESJ_SZ_SK_SL_SM_EUlSZ_E1_NS1_11comp_targetILNS1_3genE2ELNS1_11target_archE906ELNS1_3gpuE6ELNS1_3repE0EEENS1_36merge_oddeven_config_static_selectorELNS0_4arch9wavefront6targetE1EEEvSL_.uses_vcc, 0
	.set _ZN7rocprim17ROCPRIM_400000_NS6detail17trampoline_kernelINS0_14default_configENS1_38merge_sort_block_merge_config_selectorIbiEEZZNS1_27merge_sort_block_merge_implIS3_N6thrust23THRUST_200600_302600_NS6detail15normal_iteratorINS8_10device_ptrIbEEEENSA_INSB_IiEEEEjNS1_19radix_merge_compareILb0ELb1EbNS0_19identity_decomposerEEEEE10hipError_tT0_T1_T2_jT3_P12ihipStream_tbPNSt15iterator_traitsISK_E10value_typeEPNSQ_ISL_E10value_typeEPSM_NS1_7vsmem_tEENKUlT_SK_SL_SM_E_clISD_PbSF_PiEESJ_SZ_SK_SL_SM_EUlSZ_E1_NS1_11comp_targetILNS1_3genE2ELNS1_11target_archE906ELNS1_3gpuE6ELNS1_3repE0EEENS1_36merge_oddeven_config_static_selectorELNS0_4arch9wavefront6targetE1EEEvSL_.uses_flat_scratch, 0
	.set _ZN7rocprim17ROCPRIM_400000_NS6detail17trampoline_kernelINS0_14default_configENS1_38merge_sort_block_merge_config_selectorIbiEEZZNS1_27merge_sort_block_merge_implIS3_N6thrust23THRUST_200600_302600_NS6detail15normal_iteratorINS8_10device_ptrIbEEEENSA_INSB_IiEEEEjNS1_19radix_merge_compareILb0ELb1EbNS0_19identity_decomposerEEEEE10hipError_tT0_T1_T2_jT3_P12ihipStream_tbPNSt15iterator_traitsISK_E10value_typeEPNSQ_ISL_E10value_typeEPSM_NS1_7vsmem_tEENKUlT_SK_SL_SM_E_clISD_PbSF_PiEESJ_SZ_SK_SL_SM_EUlSZ_E1_NS1_11comp_targetILNS1_3genE2ELNS1_11target_archE906ELNS1_3gpuE6ELNS1_3repE0EEENS1_36merge_oddeven_config_static_selectorELNS0_4arch9wavefront6targetE1EEEvSL_.has_dyn_sized_stack, 0
	.set _ZN7rocprim17ROCPRIM_400000_NS6detail17trampoline_kernelINS0_14default_configENS1_38merge_sort_block_merge_config_selectorIbiEEZZNS1_27merge_sort_block_merge_implIS3_N6thrust23THRUST_200600_302600_NS6detail15normal_iteratorINS8_10device_ptrIbEEEENSA_INSB_IiEEEEjNS1_19radix_merge_compareILb0ELb1EbNS0_19identity_decomposerEEEEE10hipError_tT0_T1_T2_jT3_P12ihipStream_tbPNSt15iterator_traitsISK_E10value_typeEPNSQ_ISL_E10value_typeEPSM_NS1_7vsmem_tEENKUlT_SK_SL_SM_E_clISD_PbSF_PiEESJ_SZ_SK_SL_SM_EUlSZ_E1_NS1_11comp_targetILNS1_3genE2ELNS1_11target_archE906ELNS1_3gpuE6ELNS1_3repE0EEENS1_36merge_oddeven_config_static_selectorELNS0_4arch9wavefront6targetE1EEEvSL_.has_recursion, 0
	.set _ZN7rocprim17ROCPRIM_400000_NS6detail17trampoline_kernelINS0_14default_configENS1_38merge_sort_block_merge_config_selectorIbiEEZZNS1_27merge_sort_block_merge_implIS3_N6thrust23THRUST_200600_302600_NS6detail15normal_iteratorINS8_10device_ptrIbEEEENSA_INSB_IiEEEEjNS1_19radix_merge_compareILb0ELb1EbNS0_19identity_decomposerEEEEE10hipError_tT0_T1_T2_jT3_P12ihipStream_tbPNSt15iterator_traitsISK_E10value_typeEPNSQ_ISL_E10value_typeEPSM_NS1_7vsmem_tEENKUlT_SK_SL_SM_E_clISD_PbSF_PiEESJ_SZ_SK_SL_SM_EUlSZ_E1_NS1_11comp_targetILNS1_3genE2ELNS1_11target_archE906ELNS1_3gpuE6ELNS1_3repE0EEENS1_36merge_oddeven_config_static_selectorELNS0_4arch9wavefront6targetE1EEEvSL_.has_indirect_call, 0
	.section	.AMDGPU.csdata,"",@progbits
; Kernel info:
; codeLenInByte = 0
; TotalNumSgprs: 6
; NumVgprs: 0
; NumAgprs: 0
; TotalNumVgprs: 0
; ScratchSize: 0
; MemoryBound: 0
; FloatMode: 240
; IeeeMode: 1
; LDSByteSize: 0 bytes/workgroup (compile time only)
; SGPRBlocks: 0
; VGPRBlocks: 0
; NumSGPRsForWavesPerEU: 6
; NumVGPRsForWavesPerEU: 1
; AccumOffset: 4
; Occupancy: 8
; WaveLimiterHint : 0
; COMPUTE_PGM_RSRC2:SCRATCH_EN: 0
; COMPUTE_PGM_RSRC2:USER_SGPR: 2
; COMPUTE_PGM_RSRC2:TRAP_HANDLER: 0
; COMPUTE_PGM_RSRC2:TGID_X_EN: 1
; COMPUTE_PGM_RSRC2:TGID_Y_EN: 0
; COMPUTE_PGM_RSRC2:TGID_Z_EN: 0
; COMPUTE_PGM_RSRC2:TIDIG_COMP_CNT: 0
; COMPUTE_PGM_RSRC3_GFX90A:ACCUM_OFFSET: 0
; COMPUTE_PGM_RSRC3_GFX90A:TG_SPLIT: 0
	.section	.text._ZN7rocprim17ROCPRIM_400000_NS6detail17trampoline_kernelINS0_14default_configENS1_38merge_sort_block_merge_config_selectorIbiEEZZNS1_27merge_sort_block_merge_implIS3_N6thrust23THRUST_200600_302600_NS6detail15normal_iteratorINS8_10device_ptrIbEEEENSA_INSB_IiEEEEjNS1_19radix_merge_compareILb0ELb1EbNS0_19identity_decomposerEEEEE10hipError_tT0_T1_T2_jT3_P12ihipStream_tbPNSt15iterator_traitsISK_E10value_typeEPNSQ_ISL_E10value_typeEPSM_NS1_7vsmem_tEENKUlT_SK_SL_SM_E_clISD_PbSF_PiEESJ_SZ_SK_SL_SM_EUlSZ_E1_NS1_11comp_targetILNS1_3genE9ELNS1_11target_archE1100ELNS1_3gpuE3ELNS1_3repE0EEENS1_36merge_oddeven_config_static_selectorELNS0_4arch9wavefront6targetE1EEEvSL_,"axG",@progbits,_ZN7rocprim17ROCPRIM_400000_NS6detail17trampoline_kernelINS0_14default_configENS1_38merge_sort_block_merge_config_selectorIbiEEZZNS1_27merge_sort_block_merge_implIS3_N6thrust23THRUST_200600_302600_NS6detail15normal_iteratorINS8_10device_ptrIbEEEENSA_INSB_IiEEEEjNS1_19radix_merge_compareILb0ELb1EbNS0_19identity_decomposerEEEEE10hipError_tT0_T1_T2_jT3_P12ihipStream_tbPNSt15iterator_traitsISK_E10value_typeEPNSQ_ISL_E10value_typeEPSM_NS1_7vsmem_tEENKUlT_SK_SL_SM_E_clISD_PbSF_PiEESJ_SZ_SK_SL_SM_EUlSZ_E1_NS1_11comp_targetILNS1_3genE9ELNS1_11target_archE1100ELNS1_3gpuE3ELNS1_3repE0EEENS1_36merge_oddeven_config_static_selectorELNS0_4arch9wavefront6targetE1EEEvSL_,comdat
	.protected	_ZN7rocprim17ROCPRIM_400000_NS6detail17trampoline_kernelINS0_14default_configENS1_38merge_sort_block_merge_config_selectorIbiEEZZNS1_27merge_sort_block_merge_implIS3_N6thrust23THRUST_200600_302600_NS6detail15normal_iteratorINS8_10device_ptrIbEEEENSA_INSB_IiEEEEjNS1_19radix_merge_compareILb0ELb1EbNS0_19identity_decomposerEEEEE10hipError_tT0_T1_T2_jT3_P12ihipStream_tbPNSt15iterator_traitsISK_E10value_typeEPNSQ_ISL_E10value_typeEPSM_NS1_7vsmem_tEENKUlT_SK_SL_SM_E_clISD_PbSF_PiEESJ_SZ_SK_SL_SM_EUlSZ_E1_NS1_11comp_targetILNS1_3genE9ELNS1_11target_archE1100ELNS1_3gpuE3ELNS1_3repE0EEENS1_36merge_oddeven_config_static_selectorELNS0_4arch9wavefront6targetE1EEEvSL_ ; -- Begin function _ZN7rocprim17ROCPRIM_400000_NS6detail17trampoline_kernelINS0_14default_configENS1_38merge_sort_block_merge_config_selectorIbiEEZZNS1_27merge_sort_block_merge_implIS3_N6thrust23THRUST_200600_302600_NS6detail15normal_iteratorINS8_10device_ptrIbEEEENSA_INSB_IiEEEEjNS1_19radix_merge_compareILb0ELb1EbNS0_19identity_decomposerEEEEE10hipError_tT0_T1_T2_jT3_P12ihipStream_tbPNSt15iterator_traitsISK_E10value_typeEPNSQ_ISL_E10value_typeEPSM_NS1_7vsmem_tEENKUlT_SK_SL_SM_E_clISD_PbSF_PiEESJ_SZ_SK_SL_SM_EUlSZ_E1_NS1_11comp_targetILNS1_3genE9ELNS1_11target_archE1100ELNS1_3gpuE3ELNS1_3repE0EEENS1_36merge_oddeven_config_static_selectorELNS0_4arch9wavefront6targetE1EEEvSL_
	.globl	_ZN7rocprim17ROCPRIM_400000_NS6detail17trampoline_kernelINS0_14default_configENS1_38merge_sort_block_merge_config_selectorIbiEEZZNS1_27merge_sort_block_merge_implIS3_N6thrust23THRUST_200600_302600_NS6detail15normal_iteratorINS8_10device_ptrIbEEEENSA_INSB_IiEEEEjNS1_19radix_merge_compareILb0ELb1EbNS0_19identity_decomposerEEEEE10hipError_tT0_T1_T2_jT3_P12ihipStream_tbPNSt15iterator_traitsISK_E10value_typeEPNSQ_ISL_E10value_typeEPSM_NS1_7vsmem_tEENKUlT_SK_SL_SM_E_clISD_PbSF_PiEESJ_SZ_SK_SL_SM_EUlSZ_E1_NS1_11comp_targetILNS1_3genE9ELNS1_11target_archE1100ELNS1_3gpuE3ELNS1_3repE0EEENS1_36merge_oddeven_config_static_selectorELNS0_4arch9wavefront6targetE1EEEvSL_
	.p2align	8
	.type	_ZN7rocprim17ROCPRIM_400000_NS6detail17trampoline_kernelINS0_14default_configENS1_38merge_sort_block_merge_config_selectorIbiEEZZNS1_27merge_sort_block_merge_implIS3_N6thrust23THRUST_200600_302600_NS6detail15normal_iteratorINS8_10device_ptrIbEEEENSA_INSB_IiEEEEjNS1_19radix_merge_compareILb0ELb1EbNS0_19identity_decomposerEEEEE10hipError_tT0_T1_T2_jT3_P12ihipStream_tbPNSt15iterator_traitsISK_E10value_typeEPNSQ_ISL_E10value_typeEPSM_NS1_7vsmem_tEENKUlT_SK_SL_SM_E_clISD_PbSF_PiEESJ_SZ_SK_SL_SM_EUlSZ_E1_NS1_11comp_targetILNS1_3genE9ELNS1_11target_archE1100ELNS1_3gpuE3ELNS1_3repE0EEENS1_36merge_oddeven_config_static_selectorELNS0_4arch9wavefront6targetE1EEEvSL_,@function
_ZN7rocprim17ROCPRIM_400000_NS6detail17trampoline_kernelINS0_14default_configENS1_38merge_sort_block_merge_config_selectorIbiEEZZNS1_27merge_sort_block_merge_implIS3_N6thrust23THRUST_200600_302600_NS6detail15normal_iteratorINS8_10device_ptrIbEEEENSA_INSB_IiEEEEjNS1_19radix_merge_compareILb0ELb1EbNS0_19identity_decomposerEEEEE10hipError_tT0_T1_T2_jT3_P12ihipStream_tbPNSt15iterator_traitsISK_E10value_typeEPNSQ_ISL_E10value_typeEPSM_NS1_7vsmem_tEENKUlT_SK_SL_SM_E_clISD_PbSF_PiEESJ_SZ_SK_SL_SM_EUlSZ_E1_NS1_11comp_targetILNS1_3genE9ELNS1_11target_archE1100ELNS1_3gpuE3ELNS1_3repE0EEENS1_36merge_oddeven_config_static_selectorELNS0_4arch9wavefront6targetE1EEEvSL_: ; @_ZN7rocprim17ROCPRIM_400000_NS6detail17trampoline_kernelINS0_14default_configENS1_38merge_sort_block_merge_config_selectorIbiEEZZNS1_27merge_sort_block_merge_implIS3_N6thrust23THRUST_200600_302600_NS6detail15normal_iteratorINS8_10device_ptrIbEEEENSA_INSB_IiEEEEjNS1_19radix_merge_compareILb0ELb1EbNS0_19identity_decomposerEEEEE10hipError_tT0_T1_T2_jT3_P12ihipStream_tbPNSt15iterator_traitsISK_E10value_typeEPNSQ_ISL_E10value_typeEPSM_NS1_7vsmem_tEENKUlT_SK_SL_SM_E_clISD_PbSF_PiEESJ_SZ_SK_SL_SM_EUlSZ_E1_NS1_11comp_targetILNS1_3genE9ELNS1_11target_archE1100ELNS1_3gpuE3ELNS1_3repE0EEENS1_36merge_oddeven_config_static_selectorELNS0_4arch9wavefront6targetE1EEEvSL_
; %bb.0:
	.section	.rodata,"a",@progbits
	.p2align	6, 0x0
	.amdhsa_kernel _ZN7rocprim17ROCPRIM_400000_NS6detail17trampoline_kernelINS0_14default_configENS1_38merge_sort_block_merge_config_selectorIbiEEZZNS1_27merge_sort_block_merge_implIS3_N6thrust23THRUST_200600_302600_NS6detail15normal_iteratorINS8_10device_ptrIbEEEENSA_INSB_IiEEEEjNS1_19radix_merge_compareILb0ELb1EbNS0_19identity_decomposerEEEEE10hipError_tT0_T1_T2_jT3_P12ihipStream_tbPNSt15iterator_traitsISK_E10value_typeEPNSQ_ISL_E10value_typeEPSM_NS1_7vsmem_tEENKUlT_SK_SL_SM_E_clISD_PbSF_PiEESJ_SZ_SK_SL_SM_EUlSZ_E1_NS1_11comp_targetILNS1_3genE9ELNS1_11target_archE1100ELNS1_3gpuE3ELNS1_3repE0EEENS1_36merge_oddeven_config_static_selectorELNS0_4arch9wavefront6targetE1EEEvSL_
		.amdhsa_group_segment_fixed_size 0
		.amdhsa_private_segment_fixed_size 0
		.amdhsa_kernarg_size 48
		.amdhsa_user_sgpr_count 2
		.amdhsa_user_sgpr_dispatch_ptr 0
		.amdhsa_user_sgpr_queue_ptr 0
		.amdhsa_user_sgpr_kernarg_segment_ptr 1
		.amdhsa_user_sgpr_dispatch_id 0
		.amdhsa_user_sgpr_kernarg_preload_length 0
		.amdhsa_user_sgpr_kernarg_preload_offset 0
		.amdhsa_user_sgpr_private_segment_size 0
		.amdhsa_uses_dynamic_stack 0
		.amdhsa_enable_private_segment 0
		.amdhsa_system_sgpr_workgroup_id_x 1
		.amdhsa_system_sgpr_workgroup_id_y 0
		.amdhsa_system_sgpr_workgroup_id_z 0
		.amdhsa_system_sgpr_workgroup_info 0
		.amdhsa_system_vgpr_workitem_id 0
		.amdhsa_next_free_vgpr 1
		.amdhsa_next_free_sgpr 0
		.amdhsa_accum_offset 4
		.amdhsa_reserve_vcc 0
		.amdhsa_float_round_mode_32 0
		.amdhsa_float_round_mode_16_64 0
		.amdhsa_float_denorm_mode_32 3
		.amdhsa_float_denorm_mode_16_64 3
		.amdhsa_dx10_clamp 1
		.amdhsa_ieee_mode 1
		.amdhsa_fp16_overflow 0
		.amdhsa_tg_split 0
		.amdhsa_exception_fp_ieee_invalid_op 0
		.amdhsa_exception_fp_denorm_src 0
		.amdhsa_exception_fp_ieee_div_zero 0
		.amdhsa_exception_fp_ieee_overflow 0
		.amdhsa_exception_fp_ieee_underflow 0
		.amdhsa_exception_fp_ieee_inexact 0
		.amdhsa_exception_int_div_zero 0
	.end_amdhsa_kernel
	.section	.text._ZN7rocprim17ROCPRIM_400000_NS6detail17trampoline_kernelINS0_14default_configENS1_38merge_sort_block_merge_config_selectorIbiEEZZNS1_27merge_sort_block_merge_implIS3_N6thrust23THRUST_200600_302600_NS6detail15normal_iteratorINS8_10device_ptrIbEEEENSA_INSB_IiEEEEjNS1_19radix_merge_compareILb0ELb1EbNS0_19identity_decomposerEEEEE10hipError_tT0_T1_T2_jT3_P12ihipStream_tbPNSt15iterator_traitsISK_E10value_typeEPNSQ_ISL_E10value_typeEPSM_NS1_7vsmem_tEENKUlT_SK_SL_SM_E_clISD_PbSF_PiEESJ_SZ_SK_SL_SM_EUlSZ_E1_NS1_11comp_targetILNS1_3genE9ELNS1_11target_archE1100ELNS1_3gpuE3ELNS1_3repE0EEENS1_36merge_oddeven_config_static_selectorELNS0_4arch9wavefront6targetE1EEEvSL_,"axG",@progbits,_ZN7rocprim17ROCPRIM_400000_NS6detail17trampoline_kernelINS0_14default_configENS1_38merge_sort_block_merge_config_selectorIbiEEZZNS1_27merge_sort_block_merge_implIS3_N6thrust23THRUST_200600_302600_NS6detail15normal_iteratorINS8_10device_ptrIbEEEENSA_INSB_IiEEEEjNS1_19radix_merge_compareILb0ELb1EbNS0_19identity_decomposerEEEEE10hipError_tT0_T1_T2_jT3_P12ihipStream_tbPNSt15iterator_traitsISK_E10value_typeEPNSQ_ISL_E10value_typeEPSM_NS1_7vsmem_tEENKUlT_SK_SL_SM_E_clISD_PbSF_PiEESJ_SZ_SK_SL_SM_EUlSZ_E1_NS1_11comp_targetILNS1_3genE9ELNS1_11target_archE1100ELNS1_3gpuE3ELNS1_3repE0EEENS1_36merge_oddeven_config_static_selectorELNS0_4arch9wavefront6targetE1EEEvSL_,comdat
.Lfunc_end2012:
	.size	_ZN7rocprim17ROCPRIM_400000_NS6detail17trampoline_kernelINS0_14default_configENS1_38merge_sort_block_merge_config_selectorIbiEEZZNS1_27merge_sort_block_merge_implIS3_N6thrust23THRUST_200600_302600_NS6detail15normal_iteratorINS8_10device_ptrIbEEEENSA_INSB_IiEEEEjNS1_19radix_merge_compareILb0ELb1EbNS0_19identity_decomposerEEEEE10hipError_tT0_T1_T2_jT3_P12ihipStream_tbPNSt15iterator_traitsISK_E10value_typeEPNSQ_ISL_E10value_typeEPSM_NS1_7vsmem_tEENKUlT_SK_SL_SM_E_clISD_PbSF_PiEESJ_SZ_SK_SL_SM_EUlSZ_E1_NS1_11comp_targetILNS1_3genE9ELNS1_11target_archE1100ELNS1_3gpuE3ELNS1_3repE0EEENS1_36merge_oddeven_config_static_selectorELNS0_4arch9wavefront6targetE1EEEvSL_, .Lfunc_end2012-_ZN7rocprim17ROCPRIM_400000_NS6detail17trampoline_kernelINS0_14default_configENS1_38merge_sort_block_merge_config_selectorIbiEEZZNS1_27merge_sort_block_merge_implIS3_N6thrust23THRUST_200600_302600_NS6detail15normal_iteratorINS8_10device_ptrIbEEEENSA_INSB_IiEEEEjNS1_19radix_merge_compareILb0ELb1EbNS0_19identity_decomposerEEEEE10hipError_tT0_T1_T2_jT3_P12ihipStream_tbPNSt15iterator_traitsISK_E10value_typeEPNSQ_ISL_E10value_typeEPSM_NS1_7vsmem_tEENKUlT_SK_SL_SM_E_clISD_PbSF_PiEESJ_SZ_SK_SL_SM_EUlSZ_E1_NS1_11comp_targetILNS1_3genE9ELNS1_11target_archE1100ELNS1_3gpuE3ELNS1_3repE0EEENS1_36merge_oddeven_config_static_selectorELNS0_4arch9wavefront6targetE1EEEvSL_
                                        ; -- End function
	.set _ZN7rocprim17ROCPRIM_400000_NS6detail17trampoline_kernelINS0_14default_configENS1_38merge_sort_block_merge_config_selectorIbiEEZZNS1_27merge_sort_block_merge_implIS3_N6thrust23THRUST_200600_302600_NS6detail15normal_iteratorINS8_10device_ptrIbEEEENSA_INSB_IiEEEEjNS1_19radix_merge_compareILb0ELb1EbNS0_19identity_decomposerEEEEE10hipError_tT0_T1_T2_jT3_P12ihipStream_tbPNSt15iterator_traitsISK_E10value_typeEPNSQ_ISL_E10value_typeEPSM_NS1_7vsmem_tEENKUlT_SK_SL_SM_E_clISD_PbSF_PiEESJ_SZ_SK_SL_SM_EUlSZ_E1_NS1_11comp_targetILNS1_3genE9ELNS1_11target_archE1100ELNS1_3gpuE3ELNS1_3repE0EEENS1_36merge_oddeven_config_static_selectorELNS0_4arch9wavefront6targetE1EEEvSL_.num_vgpr, 0
	.set _ZN7rocprim17ROCPRIM_400000_NS6detail17trampoline_kernelINS0_14default_configENS1_38merge_sort_block_merge_config_selectorIbiEEZZNS1_27merge_sort_block_merge_implIS3_N6thrust23THRUST_200600_302600_NS6detail15normal_iteratorINS8_10device_ptrIbEEEENSA_INSB_IiEEEEjNS1_19radix_merge_compareILb0ELb1EbNS0_19identity_decomposerEEEEE10hipError_tT0_T1_T2_jT3_P12ihipStream_tbPNSt15iterator_traitsISK_E10value_typeEPNSQ_ISL_E10value_typeEPSM_NS1_7vsmem_tEENKUlT_SK_SL_SM_E_clISD_PbSF_PiEESJ_SZ_SK_SL_SM_EUlSZ_E1_NS1_11comp_targetILNS1_3genE9ELNS1_11target_archE1100ELNS1_3gpuE3ELNS1_3repE0EEENS1_36merge_oddeven_config_static_selectorELNS0_4arch9wavefront6targetE1EEEvSL_.num_agpr, 0
	.set _ZN7rocprim17ROCPRIM_400000_NS6detail17trampoline_kernelINS0_14default_configENS1_38merge_sort_block_merge_config_selectorIbiEEZZNS1_27merge_sort_block_merge_implIS3_N6thrust23THRUST_200600_302600_NS6detail15normal_iteratorINS8_10device_ptrIbEEEENSA_INSB_IiEEEEjNS1_19radix_merge_compareILb0ELb1EbNS0_19identity_decomposerEEEEE10hipError_tT0_T1_T2_jT3_P12ihipStream_tbPNSt15iterator_traitsISK_E10value_typeEPNSQ_ISL_E10value_typeEPSM_NS1_7vsmem_tEENKUlT_SK_SL_SM_E_clISD_PbSF_PiEESJ_SZ_SK_SL_SM_EUlSZ_E1_NS1_11comp_targetILNS1_3genE9ELNS1_11target_archE1100ELNS1_3gpuE3ELNS1_3repE0EEENS1_36merge_oddeven_config_static_selectorELNS0_4arch9wavefront6targetE1EEEvSL_.numbered_sgpr, 0
	.set _ZN7rocprim17ROCPRIM_400000_NS6detail17trampoline_kernelINS0_14default_configENS1_38merge_sort_block_merge_config_selectorIbiEEZZNS1_27merge_sort_block_merge_implIS3_N6thrust23THRUST_200600_302600_NS6detail15normal_iteratorINS8_10device_ptrIbEEEENSA_INSB_IiEEEEjNS1_19radix_merge_compareILb0ELb1EbNS0_19identity_decomposerEEEEE10hipError_tT0_T1_T2_jT3_P12ihipStream_tbPNSt15iterator_traitsISK_E10value_typeEPNSQ_ISL_E10value_typeEPSM_NS1_7vsmem_tEENKUlT_SK_SL_SM_E_clISD_PbSF_PiEESJ_SZ_SK_SL_SM_EUlSZ_E1_NS1_11comp_targetILNS1_3genE9ELNS1_11target_archE1100ELNS1_3gpuE3ELNS1_3repE0EEENS1_36merge_oddeven_config_static_selectorELNS0_4arch9wavefront6targetE1EEEvSL_.num_named_barrier, 0
	.set _ZN7rocprim17ROCPRIM_400000_NS6detail17trampoline_kernelINS0_14default_configENS1_38merge_sort_block_merge_config_selectorIbiEEZZNS1_27merge_sort_block_merge_implIS3_N6thrust23THRUST_200600_302600_NS6detail15normal_iteratorINS8_10device_ptrIbEEEENSA_INSB_IiEEEEjNS1_19radix_merge_compareILb0ELb1EbNS0_19identity_decomposerEEEEE10hipError_tT0_T1_T2_jT3_P12ihipStream_tbPNSt15iterator_traitsISK_E10value_typeEPNSQ_ISL_E10value_typeEPSM_NS1_7vsmem_tEENKUlT_SK_SL_SM_E_clISD_PbSF_PiEESJ_SZ_SK_SL_SM_EUlSZ_E1_NS1_11comp_targetILNS1_3genE9ELNS1_11target_archE1100ELNS1_3gpuE3ELNS1_3repE0EEENS1_36merge_oddeven_config_static_selectorELNS0_4arch9wavefront6targetE1EEEvSL_.private_seg_size, 0
	.set _ZN7rocprim17ROCPRIM_400000_NS6detail17trampoline_kernelINS0_14default_configENS1_38merge_sort_block_merge_config_selectorIbiEEZZNS1_27merge_sort_block_merge_implIS3_N6thrust23THRUST_200600_302600_NS6detail15normal_iteratorINS8_10device_ptrIbEEEENSA_INSB_IiEEEEjNS1_19radix_merge_compareILb0ELb1EbNS0_19identity_decomposerEEEEE10hipError_tT0_T1_T2_jT3_P12ihipStream_tbPNSt15iterator_traitsISK_E10value_typeEPNSQ_ISL_E10value_typeEPSM_NS1_7vsmem_tEENKUlT_SK_SL_SM_E_clISD_PbSF_PiEESJ_SZ_SK_SL_SM_EUlSZ_E1_NS1_11comp_targetILNS1_3genE9ELNS1_11target_archE1100ELNS1_3gpuE3ELNS1_3repE0EEENS1_36merge_oddeven_config_static_selectorELNS0_4arch9wavefront6targetE1EEEvSL_.uses_vcc, 0
	.set _ZN7rocprim17ROCPRIM_400000_NS6detail17trampoline_kernelINS0_14default_configENS1_38merge_sort_block_merge_config_selectorIbiEEZZNS1_27merge_sort_block_merge_implIS3_N6thrust23THRUST_200600_302600_NS6detail15normal_iteratorINS8_10device_ptrIbEEEENSA_INSB_IiEEEEjNS1_19radix_merge_compareILb0ELb1EbNS0_19identity_decomposerEEEEE10hipError_tT0_T1_T2_jT3_P12ihipStream_tbPNSt15iterator_traitsISK_E10value_typeEPNSQ_ISL_E10value_typeEPSM_NS1_7vsmem_tEENKUlT_SK_SL_SM_E_clISD_PbSF_PiEESJ_SZ_SK_SL_SM_EUlSZ_E1_NS1_11comp_targetILNS1_3genE9ELNS1_11target_archE1100ELNS1_3gpuE3ELNS1_3repE0EEENS1_36merge_oddeven_config_static_selectorELNS0_4arch9wavefront6targetE1EEEvSL_.uses_flat_scratch, 0
	.set _ZN7rocprim17ROCPRIM_400000_NS6detail17trampoline_kernelINS0_14default_configENS1_38merge_sort_block_merge_config_selectorIbiEEZZNS1_27merge_sort_block_merge_implIS3_N6thrust23THRUST_200600_302600_NS6detail15normal_iteratorINS8_10device_ptrIbEEEENSA_INSB_IiEEEEjNS1_19radix_merge_compareILb0ELb1EbNS0_19identity_decomposerEEEEE10hipError_tT0_T1_T2_jT3_P12ihipStream_tbPNSt15iterator_traitsISK_E10value_typeEPNSQ_ISL_E10value_typeEPSM_NS1_7vsmem_tEENKUlT_SK_SL_SM_E_clISD_PbSF_PiEESJ_SZ_SK_SL_SM_EUlSZ_E1_NS1_11comp_targetILNS1_3genE9ELNS1_11target_archE1100ELNS1_3gpuE3ELNS1_3repE0EEENS1_36merge_oddeven_config_static_selectorELNS0_4arch9wavefront6targetE1EEEvSL_.has_dyn_sized_stack, 0
	.set _ZN7rocprim17ROCPRIM_400000_NS6detail17trampoline_kernelINS0_14default_configENS1_38merge_sort_block_merge_config_selectorIbiEEZZNS1_27merge_sort_block_merge_implIS3_N6thrust23THRUST_200600_302600_NS6detail15normal_iteratorINS8_10device_ptrIbEEEENSA_INSB_IiEEEEjNS1_19radix_merge_compareILb0ELb1EbNS0_19identity_decomposerEEEEE10hipError_tT0_T1_T2_jT3_P12ihipStream_tbPNSt15iterator_traitsISK_E10value_typeEPNSQ_ISL_E10value_typeEPSM_NS1_7vsmem_tEENKUlT_SK_SL_SM_E_clISD_PbSF_PiEESJ_SZ_SK_SL_SM_EUlSZ_E1_NS1_11comp_targetILNS1_3genE9ELNS1_11target_archE1100ELNS1_3gpuE3ELNS1_3repE0EEENS1_36merge_oddeven_config_static_selectorELNS0_4arch9wavefront6targetE1EEEvSL_.has_recursion, 0
	.set _ZN7rocprim17ROCPRIM_400000_NS6detail17trampoline_kernelINS0_14default_configENS1_38merge_sort_block_merge_config_selectorIbiEEZZNS1_27merge_sort_block_merge_implIS3_N6thrust23THRUST_200600_302600_NS6detail15normal_iteratorINS8_10device_ptrIbEEEENSA_INSB_IiEEEEjNS1_19radix_merge_compareILb0ELb1EbNS0_19identity_decomposerEEEEE10hipError_tT0_T1_T2_jT3_P12ihipStream_tbPNSt15iterator_traitsISK_E10value_typeEPNSQ_ISL_E10value_typeEPSM_NS1_7vsmem_tEENKUlT_SK_SL_SM_E_clISD_PbSF_PiEESJ_SZ_SK_SL_SM_EUlSZ_E1_NS1_11comp_targetILNS1_3genE9ELNS1_11target_archE1100ELNS1_3gpuE3ELNS1_3repE0EEENS1_36merge_oddeven_config_static_selectorELNS0_4arch9wavefront6targetE1EEEvSL_.has_indirect_call, 0
	.section	.AMDGPU.csdata,"",@progbits
; Kernel info:
; codeLenInByte = 0
; TotalNumSgprs: 6
; NumVgprs: 0
; NumAgprs: 0
; TotalNumVgprs: 0
; ScratchSize: 0
; MemoryBound: 0
; FloatMode: 240
; IeeeMode: 1
; LDSByteSize: 0 bytes/workgroup (compile time only)
; SGPRBlocks: 0
; VGPRBlocks: 0
; NumSGPRsForWavesPerEU: 6
; NumVGPRsForWavesPerEU: 1
; AccumOffset: 4
; Occupancy: 8
; WaveLimiterHint : 0
; COMPUTE_PGM_RSRC2:SCRATCH_EN: 0
; COMPUTE_PGM_RSRC2:USER_SGPR: 2
; COMPUTE_PGM_RSRC2:TRAP_HANDLER: 0
; COMPUTE_PGM_RSRC2:TGID_X_EN: 1
; COMPUTE_PGM_RSRC2:TGID_Y_EN: 0
; COMPUTE_PGM_RSRC2:TGID_Z_EN: 0
; COMPUTE_PGM_RSRC2:TIDIG_COMP_CNT: 0
; COMPUTE_PGM_RSRC3_GFX90A:ACCUM_OFFSET: 0
; COMPUTE_PGM_RSRC3_GFX90A:TG_SPLIT: 0
	.section	.text._ZN7rocprim17ROCPRIM_400000_NS6detail17trampoline_kernelINS0_14default_configENS1_38merge_sort_block_merge_config_selectorIbiEEZZNS1_27merge_sort_block_merge_implIS3_N6thrust23THRUST_200600_302600_NS6detail15normal_iteratorINS8_10device_ptrIbEEEENSA_INSB_IiEEEEjNS1_19radix_merge_compareILb0ELb1EbNS0_19identity_decomposerEEEEE10hipError_tT0_T1_T2_jT3_P12ihipStream_tbPNSt15iterator_traitsISK_E10value_typeEPNSQ_ISL_E10value_typeEPSM_NS1_7vsmem_tEENKUlT_SK_SL_SM_E_clISD_PbSF_PiEESJ_SZ_SK_SL_SM_EUlSZ_E1_NS1_11comp_targetILNS1_3genE8ELNS1_11target_archE1030ELNS1_3gpuE2ELNS1_3repE0EEENS1_36merge_oddeven_config_static_selectorELNS0_4arch9wavefront6targetE1EEEvSL_,"axG",@progbits,_ZN7rocprim17ROCPRIM_400000_NS6detail17trampoline_kernelINS0_14default_configENS1_38merge_sort_block_merge_config_selectorIbiEEZZNS1_27merge_sort_block_merge_implIS3_N6thrust23THRUST_200600_302600_NS6detail15normal_iteratorINS8_10device_ptrIbEEEENSA_INSB_IiEEEEjNS1_19radix_merge_compareILb0ELb1EbNS0_19identity_decomposerEEEEE10hipError_tT0_T1_T2_jT3_P12ihipStream_tbPNSt15iterator_traitsISK_E10value_typeEPNSQ_ISL_E10value_typeEPSM_NS1_7vsmem_tEENKUlT_SK_SL_SM_E_clISD_PbSF_PiEESJ_SZ_SK_SL_SM_EUlSZ_E1_NS1_11comp_targetILNS1_3genE8ELNS1_11target_archE1030ELNS1_3gpuE2ELNS1_3repE0EEENS1_36merge_oddeven_config_static_selectorELNS0_4arch9wavefront6targetE1EEEvSL_,comdat
	.protected	_ZN7rocprim17ROCPRIM_400000_NS6detail17trampoline_kernelINS0_14default_configENS1_38merge_sort_block_merge_config_selectorIbiEEZZNS1_27merge_sort_block_merge_implIS3_N6thrust23THRUST_200600_302600_NS6detail15normal_iteratorINS8_10device_ptrIbEEEENSA_INSB_IiEEEEjNS1_19radix_merge_compareILb0ELb1EbNS0_19identity_decomposerEEEEE10hipError_tT0_T1_T2_jT3_P12ihipStream_tbPNSt15iterator_traitsISK_E10value_typeEPNSQ_ISL_E10value_typeEPSM_NS1_7vsmem_tEENKUlT_SK_SL_SM_E_clISD_PbSF_PiEESJ_SZ_SK_SL_SM_EUlSZ_E1_NS1_11comp_targetILNS1_3genE8ELNS1_11target_archE1030ELNS1_3gpuE2ELNS1_3repE0EEENS1_36merge_oddeven_config_static_selectorELNS0_4arch9wavefront6targetE1EEEvSL_ ; -- Begin function _ZN7rocprim17ROCPRIM_400000_NS6detail17trampoline_kernelINS0_14default_configENS1_38merge_sort_block_merge_config_selectorIbiEEZZNS1_27merge_sort_block_merge_implIS3_N6thrust23THRUST_200600_302600_NS6detail15normal_iteratorINS8_10device_ptrIbEEEENSA_INSB_IiEEEEjNS1_19radix_merge_compareILb0ELb1EbNS0_19identity_decomposerEEEEE10hipError_tT0_T1_T2_jT3_P12ihipStream_tbPNSt15iterator_traitsISK_E10value_typeEPNSQ_ISL_E10value_typeEPSM_NS1_7vsmem_tEENKUlT_SK_SL_SM_E_clISD_PbSF_PiEESJ_SZ_SK_SL_SM_EUlSZ_E1_NS1_11comp_targetILNS1_3genE8ELNS1_11target_archE1030ELNS1_3gpuE2ELNS1_3repE0EEENS1_36merge_oddeven_config_static_selectorELNS0_4arch9wavefront6targetE1EEEvSL_
	.globl	_ZN7rocprim17ROCPRIM_400000_NS6detail17trampoline_kernelINS0_14default_configENS1_38merge_sort_block_merge_config_selectorIbiEEZZNS1_27merge_sort_block_merge_implIS3_N6thrust23THRUST_200600_302600_NS6detail15normal_iteratorINS8_10device_ptrIbEEEENSA_INSB_IiEEEEjNS1_19radix_merge_compareILb0ELb1EbNS0_19identity_decomposerEEEEE10hipError_tT0_T1_T2_jT3_P12ihipStream_tbPNSt15iterator_traitsISK_E10value_typeEPNSQ_ISL_E10value_typeEPSM_NS1_7vsmem_tEENKUlT_SK_SL_SM_E_clISD_PbSF_PiEESJ_SZ_SK_SL_SM_EUlSZ_E1_NS1_11comp_targetILNS1_3genE8ELNS1_11target_archE1030ELNS1_3gpuE2ELNS1_3repE0EEENS1_36merge_oddeven_config_static_selectorELNS0_4arch9wavefront6targetE1EEEvSL_
	.p2align	8
	.type	_ZN7rocprim17ROCPRIM_400000_NS6detail17trampoline_kernelINS0_14default_configENS1_38merge_sort_block_merge_config_selectorIbiEEZZNS1_27merge_sort_block_merge_implIS3_N6thrust23THRUST_200600_302600_NS6detail15normal_iteratorINS8_10device_ptrIbEEEENSA_INSB_IiEEEEjNS1_19radix_merge_compareILb0ELb1EbNS0_19identity_decomposerEEEEE10hipError_tT0_T1_T2_jT3_P12ihipStream_tbPNSt15iterator_traitsISK_E10value_typeEPNSQ_ISL_E10value_typeEPSM_NS1_7vsmem_tEENKUlT_SK_SL_SM_E_clISD_PbSF_PiEESJ_SZ_SK_SL_SM_EUlSZ_E1_NS1_11comp_targetILNS1_3genE8ELNS1_11target_archE1030ELNS1_3gpuE2ELNS1_3repE0EEENS1_36merge_oddeven_config_static_selectorELNS0_4arch9wavefront6targetE1EEEvSL_,@function
_ZN7rocprim17ROCPRIM_400000_NS6detail17trampoline_kernelINS0_14default_configENS1_38merge_sort_block_merge_config_selectorIbiEEZZNS1_27merge_sort_block_merge_implIS3_N6thrust23THRUST_200600_302600_NS6detail15normal_iteratorINS8_10device_ptrIbEEEENSA_INSB_IiEEEEjNS1_19radix_merge_compareILb0ELb1EbNS0_19identity_decomposerEEEEE10hipError_tT0_T1_T2_jT3_P12ihipStream_tbPNSt15iterator_traitsISK_E10value_typeEPNSQ_ISL_E10value_typeEPSM_NS1_7vsmem_tEENKUlT_SK_SL_SM_E_clISD_PbSF_PiEESJ_SZ_SK_SL_SM_EUlSZ_E1_NS1_11comp_targetILNS1_3genE8ELNS1_11target_archE1030ELNS1_3gpuE2ELNS1_3repE0EEENS1_36merge_oddeven_config_static_selectorELNS0_4arch9wavefront6targetE1EEEvSL_: ; @_ZN7rocprim17ROCPRIM_400000_NS6detail17trampoline_kernelINS0_14default_configENS1_38merge_sort_block_merge_config_selectorIbiEEZZNS1_27merge_sort_block_merge_implIS3_N6thrust23THRUST_200600_302600_NS6detail15normal_iteratorINS8_10device_ptrIbEEEENSA_INSB_IiEEEEjNS1_19radix_merge_compareILb0ELb1EbNS0_19identity_decomposerEEEEE10hipError_tT0_T1_T2_jT3_P12ihipStream_tbPNSt15iterator_traitsISK_E10value_typeEPNSQ_ISL_E10value_typeEPSM_NS1_7vsmem_tEENKUlT_SK_SL_SM_E_clISD_PbSF_PiEESJ_SZ_SK_SL_SM_EUlSZ_E1_NS1_11comp_targetILNS1_3genE8ELNS1_11target_archE1030ELNS1_3gpuE2ELNS1_3repE0EEENS1_36merge_oddeven_config_static_selectorELNS0_4arch9wavefront6targetE1EEEvSL_
; %bb.0:
	.section	.rodata,"a",@progbits
	.p2align	6, 0x0
	.amdhsa_kernel _ZN7rocprim17ROCPRIM_400000_NS6detail17trampoline_kernelINS0_14default_configENS1_38merge_sort_block_merge_config_selectorIbiEEZZNS1_27merge_sort_block_merge_implIS3_N6thrust23THRUST_200600_302600_NS6detail15normal_iteratorINS8_10device_ptrIbEEEENSA_INSB_IiEEEEjNS1_19radix_merge_compareILb0ELb1EbNS0_19identity_decomposerEEEEE10hipError_tT0_T1_T2_jT3_P12ihipStream_tbPNSt15iterator_traitsISK_E10value_typeEPNSQ_ISL_E10value_typeEPSM_NS1_7vsmem_tEENKUlT_SK_SL_SM_E_clISD_PbSF_PiEESJ_SZ_SK_SL_SM_EUlSZ_E1_NS1_11comp_targetILNS1_3genE8ELNS1_11target_archE1030ELNS1_3gpuE2ELNS1_3repE0EEENS1_36merge_oddeven_config_static_selectorELNS0_4arch9wavefront6targetE1EEEvSL_
		.amdhsa_group_segment_fixed_size 0
		.amdhsa_private_segment_fixed_size 0
		.amdhsa_kernarg_size 48
		.amdhsa_user_sgpr_count 2
		.amdhsa_user_sgpr_dispatch_ptr 0
		.amdhsa_user_sgpr_queue_ptr 0
		.amdhsa_user_sgpr_kernarg_segment_ptr 1
		.amdhsa_user_sgpr_dispatch_id 0
		.amdhsa_user_sgpr_kernarg_preload_length 0
		.amdhsa_user_sgpr_kernarg_preload_offset 0
		.amdhsa_user_sgpr_private_segment_size 0
		.amdhsa_uses_dynamic_stack 0
		.amdhsa_enable_private_segment 0
		.amdhsa_system_sgpr_workgroup_id_x 1
		.amdhsa_system_sgpr_workgroup_id_y 0
		.amdhsa_system_sgpr_workgroup_id_z 0
		.amdhsa_system_sgpr_workgroup_info 0
		.amdhsa_system_vgpr_workitem_id 0
		.amdhsa_next_free_vgpr 1
		.amdhsa_next_free_sgpr 0
		.amdhsa_accum_offset 4
		.amdhsa_reserve_vcc 0
		.amdhsa_float_round_mode_32 0
		.amdhsa_float_round_mode_16_64 0
		.amdhsa_float_denorm_mode_32 3
		.amdhsa_float_denorm_mode_16_64 3
		.amdhsa_dx10_clamp 1
		.amdhsa_ieee_mode 1
		.amdhsa_fp16_overflow 0
		.amdhsa_tg_split 0
		.amdhsa_exception_fp_ieee_invalid_op 0
		.amdhsa_exception_fp_denorm_src 0
		.amdhsa_exception_fp_ieee_div_zero 0
		.amdhsa_exception_fp_ieee_overflow 0
		.amdhsa_exception_fp_ieee_underflow 0
		.amdhsa_exception_fp_ieee_inexact 0
		.amdhsa_exception_int_div_zero 0
	.end_amdhsa_kernel
	.section	.text._ZN7rocprim17ROCPRIM_400000_NS6detail17trampoline_kernelINS0_14default_configENS1_38merge_sort_block_merge_config_selectorIbiEEZZNS1_27merge_sort_block_merge_implIS3_N6thrust23THRUST_200600_302600_NS6detail15normal_iteratorINS8_10device_ptrIbEEEENSA_INSB_IiEEEEjNS1_19radix_merge_compareILb0ELb1EbNS0_19identity_decomposerEEEEE10hipError_tT0_T1_T2_jT3_P12ihipStream_tbPNSt15iterator_traitsISK_E10value_typeEPNSQ_ISL_E10value_typeEPSM_NS1_7vsmem_tEENKUlT_SK_SL_SM_E_clISD_PbSF_PiEESJ_SZ_SK_SL_SM_EUlSZ_E1_NS1_11comp_targetILNS1_3genE8ELNS1_11target_archE1030ELNS1_3gpuE2ELNS1_3repE0EEENS1_36merge_oddeven_config_static_selectorELNS0_4arch9wavefront6targetE1EEEvSL_,"axG",@progbits,_ZN7rocprim17ROCPRIM_400000_NS6detail17trampoline_kernelINS0_14default_configENS1_38merge_sort_block_merge_config_selectorIbiEEZZNS1_27merge_sort_block_merge_implIS3_N6thrust23THRUST_200600_302600_NS6detail15normal_iteratorINS8_10device_ptrIbEEEENSA_INSB_IiEEEEjNS1_19radix_merge_compareILb0ELb1EbNS0_19identity_decomposerEEEEE10hipError_tT0_T1_T2_jT3_P12ihipStream_tbPNSt15iterator_traitsISK_E10value_typeEPNSQ_ISL_E10value_typeEPSM_NS1_7vsmem_tEENKUlT_SK_SL_SM_E_clISD_PbSF_PiEESJ_SZ_SK_SL_SM_EUlSZ_E1_NS1_11comp_targetILNS1_3genE8ELNS1_11target_archE1030ELNS1_3gpuE2ELNS1_3repE0EEENS1_36merge_oddeven_config_static_selectorELNS0_4arch9wavefront6targetE1EEEvSL_,comdat
.Lfunc_end2013:
	.size	_ZN7rocprim17ROCPRIM_400000_NS6detail17trampoline_kernelINS0_14default_configENS1_38merge_sort_block_merge_config_selectorIbiEEZZNS1_27merge_sort_block_merge_implIS3_N6thrust23THRUST_200600_302600_NS6detail15normal_iteratorINS8_10device_ptrIbEEEENSA_INSB_IiEEEEjNS1_19radix_merge_compareILb0ELb1EbNS0_19identity_decomposerEEEEE10hipError_tT0_T1_T2_jT3_P12ihipStream_tbPNSt15iterator_traitsISK_E10value_typeEPNSQ_ISL_E10value_typeEPSM_NS1_7vsmem_tEENKUlT_SK_SL_SM_E_clISD_PbSF_PiEESJ_SZ_SK_SL_SM_EUlSZ_E1_NS1_11comp_targetILNS1_3genE8ELNS1_11target_archE1030ELNS1_3gpuE2ELNS1_3repE0EEENS1_36merge_oddeven_config_static_selectorELNS0_4arch9wavefront6targetE1EEEvSL_, .Lfunc_end2013-_ZN7rocprim17ROCPRIM_400000_NS6detail17trampoline_kernelINS0_14default_configENS1_38merge_sort_block_merge_config_selectorIbiEEZZNS1_27merge_sort_block_merge_implIS3_N6thrust23THRUST_200600_302600_NS6detail15normal_iteratorINS8_10device_ptrIbEEEENSA_INSB_IiEEEEjNS1_19radix_merge_compareILb0ELb1EbNS0_19identity_decomposerEEEEE10hipError_tT0_T1_T2_jT3_P12ihipStream_tbPNSt15iterator_traitsISK_E10value_typeEPNSQ_ISL_E10value_typeEPSM_NS1_7vsmem_tEENKUlT_SK_SL_SM_E_clISD_PbSF_PiEESJ_SZ_SK_SL_SM_EUlSZ_E1_NS1_11comp_targetILNS1_3genE8ELNS1_11target_archE1030ELNS1_3gpuE2ELNS1_3repE0EEENS1_36merge_oddeven_config_static_selectorELNS0_4arch9wavefront6targetE1EEEvSL_
                                        ; -- End function
	.set _ZN7rocprim17ROCPRIM_400000_NS6detail17trampoline_kernelINS0_14default_configENS1_38merge_sort_block_merge_config_selectorIbiEEZZNS1_27merge_sort_block_merge_implIS3_N6thrust23THRUST_200600_302600_NS6detail15normal_iteratorINS8_10device_ptrIbEEEENSA_INSB_IiEEEEjNS1_19radix_merge_compareILb0ELb1EbNS0_19identity_decomposerEEEEE10hipError_tT0_T1_T2_jT3_P12ihipStream_tbPNSt15iterator_traitsISK_E10value_typeEPNSQ_ISL_E10value_typeEPSM_NS1_7vsmem_tEENKUlT_SK_SL_SM_E_clISD_PbSF_PiEESJ_SZ_SK_SL_SM_EUlSZ_E1_NS1_11comp_targetILNS1_3genE8ELNS1_11target_archE1030ELNS1_3gpuE2ELNS1_3repE0EEENS1_36merge_oddeven_config_static_selectorELNS0_4arch9wavefront6targetE1EEEvSL_.num_vgpr, 0
	.set _ZN7rocprim17ROCPRIM_400000_NS6detail17trampoline_kernelINS0_14default_configENS1_38merge_sort_block_merge_config_selectorIbiEEZZNS1_27merge_sort_block_merge_implIS3_N6thrust23THRUST_200600_302600_NS6detail15normal_iteratorINS8_10device_ptrIbEEEENSA_INSB_IiEEEEjNS1_19radix_merge_compareILb0ELb1EbNS0_19identity_decomposerEEEEE10hipError_tT0_T1_T2_jT3_P12ihipStream_tbPNSt15iterator_traitsISK_E10value_typeEPNSQ_ISL_E10value_typeEPSM_NS1_7vsmem_tEENKUlT_SK_SL_SM_E_clISD_PbSF_PiEESJ_SZ_SK_SL_SM_EUlSZ_E1_NS1_11comp_targetILNS1_3genE8ELNS1_11target_archE1030ELNS1_3gpuE2ELNS1_3repE0EEENS1_36merge_oddeven_config_static_selectorELNS0_4arch9wavefront6targetE1EEEvSL_.num_agpr, 0
	.set _ZN7rocprim17ROCPRIM_400000_NS6detail17trampoline_kernelINS0_14default_configENS1_38merge_sort_block_merge_config_selectorIbiEEZZNS1_27merge_sort_block_merge_implIS3_N6thrust23THRUST_200600_302600_NS6detail15normal_iteratorINS8_10device_ptrIbEEEENSA_INSB_IiEEEEjNS1_19radix_merge_compareILb0ELb1EbNS0_19identity_decomposerEEEEE10hipError_tT0_T1_T2_jT3_P12ihipStream_tbPNSt15iterator_traitsISK_E10value_typeEPNSQ_ISL_E10value_typeEPSM_NS1_7vsmem_tEENKUlT_SK_SL_SM_E_clISD_PbSF_PiEESJ_SZ_SK_SL_SM_EUlSZ_E1_NS1_11comp_targetILNS1_3genE8ELNS1_11target_archE1030ELNS1_3gpuE2ELNS1_3repE0EEENS1_36merge_oddeven_config_static_selectorELNS0_4arch9wavefront6targetE1EEEvSL_.numbered_sgpr, 0
	.set _ZN7rocprim17ROCPRIM_400000_NS6detail17trampoline_kernelINS0_14default_configENS1_38merge_sort_block_merge_config_selectorIbiEEZZNS1_27merge_sort_block_merge_implIS3_N6thrust23THRUST_200600_302600_NS6detail15normal_iteratorINS8_10device_ptrIbEEEENSA_INSB_IiEEEEjNS1_19radix_merge_compareILb0ELb1EbNS0_19identity_decomposerEEEEE10hipError_tT0_T1_T2_jT3_P12ihipStream_tbPNSt15iterator_traitsISK_E10value_typeEPNSQ_ISL_E10value_typeEPSM_NS1_7vsmem_tEENKUlT_SK_SL_SM_E_clISD_PbSF_PiEESJ_SZ_SK_SL_SM_EUlSZ_E1_NS1_11comp_targetILNS1_3genE8ELNS1_11target_archE1030ELNS1_3gpuE2ELNS1_3repE0EEENS1_36merge_oddeven_config_static_selectorELNS0_4arch9wavefront6targetE1EEEvSL_.num_named_barrier, 0
	.set _ZN7rocprim17ROCPRIM_400000_NS6detail17trampoline_kernelINS0_14default_configENS1_38merge_sort_block_merge_config_selectorIbiEEZZNS1_27merge_sort_block_merge_implIS3_N6thrust23THRUST_200600_302600_NS6detail15normal_iteratorINS8_10device_ptrIbEEEENSA_INSB_IiEEEEjNS1_19radix_merge_compareILb0ELb1EbNS0_19identity_decomposerEEEEE10hipError_tT0_T1_T2_jT3_P12ihipStream_tbPNSt15iterator_traitsISK_E10value_typeEPNSQ_ISL_E10value_typeEPSM_NS1_7vsmem_tEENKUlT_SK_SL_SM_E_clISD_PbSF_PiEESJ_SZ_SK_SL_SM_EUlSZ_E1_NS1_11comp_targetILNS1_3genE8ELNS1_11target_archE1030ELNS1_3gpuE2ELNS1_3repE0EEENS1_36merge_oddeven_config_static_selectorELNS0_4arch9wavefront6targetE1EEEvSL_.private_seg_size, 0
	.set _ZN7rocprim17ROCPRIM_400000_NS6detail17trampoline_kernelINS0_14default_configENS1_38merge_sort_block_merge_config_selectorIbiEEZZNS1_27merge_sort_block_merge_implIS3_N6thrust23THRUST_200600_302600_NS6detail15normal_iteratorINS8_10device_ptrIbEEEENSA_INSB_IiEEEEjNS1_19radix_merge_compareILb0ELb1EbNS0_19identity_decomposerEEEEE10hipError_tT0_T1_T2_jT3_P12ihipStream_tbPNSt15iterator_traitsISK_E10value_typeEPNSQ_ISL_E10value_typeEPSM_NS1_7vsmem_tEENKUlT_SK_SL_SM_E_clISD_PbSF_PiEESJ_SZ_SK_SL_SM_EUlSZ_E1_NS1_11comp_targetILNS1_3genE8ELNS1_11target_archE1030ELNS1_3gpuE2ELNS1_3repE0EEENS1_36merge_oddeven_config_static_selectorELNS0_4arch9wavefront6targetE1EEEvSL_.uses_vcc, 0
	.set _ZN7rocprim17ROCPRIM_400000_NS6detail17trampoline_kernelINS0_14default_configENS1_38merge_sort_block_merge_config_selectorIbiEEZZNS1_27merge_sort_block_merge_implIS3_N6thrust23THRUST_200600_302600_NS6detail15normal_iteratorINS8_10device_ptrIbEEEENSA_INSB_IiEEEEjNS1_19radix_merge_compareILb0ELb1EbNS0_19identity_decomposerEEEEE10hipError_tT0_T1_T2_jT3_P12ihipStream_tbPNSt15iterator_traitsISK_E10value_typeEPNSQ_ISL_E10value_typeEPSM_NS1_7vsmem_tEENKUlT_SK_SL_SM_E_clISD_PbSF_PiEESJ_SZ_SK_SL_SM_EUlSZ_E1_NS1_11comp_targetILNS1_3genE8ELNS1_11target_archE1030ELNS1_3gpuE2ELNS1_3repE0EEENS1_36merge_oddeven_config_static_selectorELNS0_4arch9wavefront6targetE1EEEvSL_.uses_flat_scratch, 0
	.set _ZN7rocprim17ROCPRIM_400000_NS6detail17trampoline_kernelINS0_14default_configENS1_38merge_sort_block_merge_config_selectorIbiEEZZNS1_27merge_sort_block_merge_implIS3_N6thrust23THRUST_200600_302600_NS6detail15normal_iteratorINS8_10device_ptrIbEEEENSA_INSB_IiEEEEjNS1_19radix_merge_compareILb0ELb1EbNS0_19identity_decomposerEEEEE10hipError_tT0_T1_T2_jT3_P12ihipStream_tbPNSt15iterator_traitsISK_E10value_typeEPNSQ_ISL_E10value_typeEPSM_NS1_7vsmem_tEENKUlT_SK_SL_SM_E_clISD_PbSF_PiEESJ_SZ_SK_SL_SM_EUlSZ_E1_NS1_11comp_targetILNS1_3genE8ELNS1_11target_archE1030ELNS1_3gpuE2ELNS1_3repE0EEENS1_36merge_oddeven_config_static_selectorELNS0_4arch9wavefront6targetE1EEEvSL_.has_dyn_sized_stack, 0
	.set _ZN7rocprim17ROCPRIM_400000_NS6detail17trampoline_kernelINS0_14default_configENS1_38merge_sort_block_merge_config_selectorIbiEEZZNS1_27merge_sort_block_merge_implIS3_N6thrust23THRUST_200600_302600_NS6detail15normal_iteratorINS8_10device_ptrIbEEEENSA_INSB_IiEEEEjNS1_19radix_merge_compareILb0ELb1EbNS0_19identity_decomposerEEEEE10hipError_tT0_T1_T2_jT3_P12ihipStream_tbPNSt15iterator_traitsISK_E10value_typeEPNSQ_ISL_E10value_typeEPSM_NS1_7vsmem_tEENKUlT_SK_SL_SM_E_clISD_PbSF_PiEESJ_SZ_SK_SL_SM_EUlSZ_E1_NS1_11comp_targetILNS1_3genE8ELNS1_11target_archE1030ELNS1_3gpuE2ELNS1_3repE0EEENS1_36merge_oddeven_config_static_selectorELNS0_4arch9wavefront6targetE1EEEvSL_.has_recursion, 0
	.set _ZN7rocprim17ROCPRIM_400000_NS6detail17trampoline_kernelINS0_14default_configENS1_38merge_sort_block_merge_config_selectorIbiEEZZNS1_27merge_sort_block_merge_implIS3_N6thrust23THRUST_200600_302600_NS6detail15normal_iteratorINS8_10device_ptrIbEEEENSA_INSB_IiEEEEjNS1_19radix_merge_compareILb0ELb1EbNS0_19identity_decomposerEEEEE10hipError_tT0_T1_T2_jT3_P12ihipStream_tbPNSt15iterator_traitsISK_E10value_typeEPNSQ_ISL_E10value_typeEPSM_NS1_7vsmem_tEENKUlT_SK_SL_SM_E_clISD_PbSF_PiEESJ_SZ_SK_SL_SM_EUlSZ_E1_NS1_11comp_targetILNS1_3genE8ELNS1_11target_archE1030ELNS1_3gpuE2ELNS1_3repE0EEENS1_36merge_oddeven_config_static_selectorELNS0_4arch9wavefront6targetE1EEEvSL_.has_indirect_call, 0
	.section	.AMDGPU.csdata,"",@progbits
; Kernel info:
; codeLenInByte = 0
; TotalNumSgprs: 6
; NumVgprs: 0
; NumAgprs: 0
; TotalNumVgprs: 0
; ScratchSize: 0
; MemoryBound: 0
; FloatMode: 240
; IeeeMode: 1
; LDSByteSize: 0 bytes/workgroup (compile time only)
; SGPRBlocks: 0
; VGPRBlocks: 0
; NumSGPRsForWavesPerEU: 6
; NumVGPRsForWavesPerEU: 1
; AccumOffset: 4
; Occupancy: 8
; WaveLimiterHint : 0
; COMPUTE_PGM_RSRC2:SCRATCH_EN: 0
; COMPUTE_PGM_RSRC2:USER_SGPR: 2
; COMPUTE_PGM_RSRC2:TRAP_HANDLER: 0
; COMPUTE_PGM_RSRC2:TGID_X_EN: 1
; COMPUTE_PGM_RSRC2:TGID_Y_EN: 0
; COMPUTE_PGM_RSRC2:TGID_Z_EN: 0
; COMPUTE_PGM_RSRC2:TIDIG_COMP_CNT: 0
; COMPUTE_PGM_RSRC3_GFX90A:ACCUM_OFFSET: 0
; COMPUTE_PGM_RSRC3_GFX90A:TG_SPLIT: 0
	.section	.text._ZN7rocprim17ROCPRIM_400000_NS6detail17trampoline_kernelINS0_14default_configENS1_35radix_sort_onesweep_config_selectorIbiEEZNS1_34radix_sort_onesweep_global_offsetsIS3_Lb0EN6thrust23THRUST_200600_302600_NS6detail15normal_iteratorINS8_10device_ptrIbEEEENSA_INSB_IiEEEEjNS0_19identity_decomposerEEE10hipError_tT1_T2_PT3_SK_jT4_jjP12ihipStream_tbEUlT_E_NS1_11comp_targetILNS1_3genE0ELNS1_11target_archE4294967295ELNS1_3gpuE0ELNS1_3repE0EEENS1_52radix_sort_onesweep_histogram_config_static_selectorELNS0_4arch9wavefront6targetE1EEEvSI_,"axG",@progbits,_ZN7rocprim17ROCPRIM_400000_NS6detail17trampoline_kernelINS0_14default_configENS1_35radix_sort_onesweep_config_selectorIbiEEZNS1_34radix_sort_onesweep_global_offsetsIS3_Lb0EN6thrust23THRUST_200600_302600_NS6detail15normal_iteratorINS8_10device_ptrIbEEEENSA_INSB_IiEEEEjNS0_19identity_decomposerEEE10hipError_tT1_T2_PT3_SK_jT4_jjP12ihipStream_tbEUlT_E_NS1_11comp_targetILNS1_3genE0ELNS1_11target_archE4294967295ELNS1_3gpuE0ELNS1_3repE0EEENS1_52radix_sort_onesweep_histogram_config_static_selectorELNS0_4arch9wavefront6targetE1EEEvSI_,comdat
	.protected	_ZN7rocprim17ROCPRIM_400000_NS6detail17trampoline_kernelINS0_14default_configENS1_35radix_sort_onesweep_config_selectorIbiEEZNS1_34radix_sort_onesweep_global_offsetsIS3_Lb0EN6thrust23THRUST_200600_302600_NS6detail15normal_iteratorINS8_10device_ptrIbEEEENSA_INSB_IiEEEEjNS0_19identity_decomposerEEE10hipError_tT1_T2_PT3_SK_jT4_jjP12ihipStream_tbEUlT_E_NS1_11comp_targetILNS1_3genE0ELNS1_11target_archE4294967295ELNS1_3gpuE0ELNS1_3repE0EEENS1_52radix_sort_onesweep_histogram_config_static_selectorELNS0_4arch9wavefront6targetE1EEEvSI_ ; -- Begin function _ZN7rocprim17ROCPRIM_400000_NS6detail17trampoline_kernelINS0_14default_configENS1_35radix_sort_onesweep_config_selectorIbiEEZNS1_34radix_sort_onesweep_global_offsetsIS3_Lb0EN6thrust23THRUST_200600_302600_NS6detail15normal_iteratorINS8_10device_ptrIbEEEENSA_INSB_IiEEEEjNS0_19identity_decomposerEEE10hipError_tT1_T2_PT3_SK_jT4_jjP12ihipStream_tbEUlT_E_NS1_11comp_targetILNS1_3genE0ELNS1_11target_archE4294967295ELNS1_3gpuE0ELNS1_3repE0EEENS1_52radix_sort_onesweep_histogram_config_static_selectorELNS0_4arch9wavefront6targetE1EEEvSI_
	.globl	_ZN7rocprim17ROCPRIM_400000_NS6detail17trampoline_kernelINS0_14default_configENS1_35radix_sort_onesweep_config_selectorIbiEEZNS1_34radix_sort_onesweep_global_offsetsIS3_Lb0EN6thrust23THRUST_200600_302600_NS6detail15normal_iteratorINS8_10device_ptrIbEEEENSA_INSB_IiEEEEjNS0_19identity_decomposerEEE10hipError_tT1_T2_PT3_SK_jT4_jjP12ihipStream_tbEUlT_E_NS1_11comp_targetILNS1_3genE0ELNS1_11target_archE4294967295ELNS1_3gpuE0ELNS1_3repE0EEENS1_52radix_sort_onesweep_histogram_config_static_selectorELNS0_4arch9wavefront6targetE1EEEvSI_
	.p2align	8
	.type	_ZN7rocprim17ROCPRIM_400000_NS6detail17trampoline_kernelINS0_14default_configENS1_35radix_sort_onesweep_config_selectorIbiEEZNS1_34radix_sort_onesweep_global_offsetsIS3_Lb0EN6thrust23THRUST_200600_302600_NS6detail15normal_iteratorINS8_10device_ptrIbEEEENSA_INSB_IiEEEEjNS0_19identity_decomposerEEE10hipError_tT1_T2_PT3_SK_jT4_jjP12ihipStream_tbEUlT_E_NS1_11comp_targetILNS1_3genE0ELNS1_11target_archE4294967295ELNS1_3gpuE0ELNS1_3repE0EEENS1_52radix_sort_onesweep_histogram_config_static_selectorELNS0_4arch9wavefront6targetE1EEEvSI_,@function
_ZN7rocprim17ROCPRIM_400000_NS6detail17trampoline_kernelINS0_14default_configENS1_35radix_sort_onesweep_config_selectorIbiEEZNS1_34radix_sort_onesweep_global_offsetsIS3_Lb0EN6thrust23THRUST_200600_302600_NS6detail15normal_iteratorINS8_10device_ptrIbEEEENSA_INSB_IiEEEEjNS0_19identity_decomposerEEE10hipError_tT1_T2_PT3_SK_jT4_jjP12ihipStream_tbEUlT_E_NS1_11comp_targetILNS1_3genE0ELNS1_11target_archE4294967295ELNS1_3gpuE0ELNS1_3repE0EEENS1_52radix_sort_onesweep_histogram_config_static_selectorELNS0_4arch9wavefront6targetE1EEEvSI_: ; @_ZN7rocprim17ROCPRIM_400000_NS6detail17trampoline_kernelINS0_14default_configENS1_35radix_sort_onesweep_config_selectorIbiEEZNS1_34radix_sort_onesweep_global_offsetsIS3_Lb0EN6thrust23THRUST_200600_302600_NS6detail15normal_iteratorINS8_10device_ptrIbEEEENSA_INSB_IiEEEEjNS0_19identity_decomposerEEE10hipError_tT1_T2_PT3_SK_jT4_jjP12ihipStream_tbEUlT_E_NS1_11comp_targetILNS1_3genE0ELNS1_11target_archE4294967295ELNS1_3gpuE0ELNS1_3repE0EEENS1_52radix_sort_onesweep_histogram_config_static_selectorELNS0_4arch9wavefront6targetE1EEEvSI_
; %bb.0:
	.section	.rodata,"a",@progbits
	.p2align	6, 0x0
	.amdhsa_kernel _ZN7rocprim17ROCPRIM_400000_NS6detail17trampoline_kernelINS0_14default_configENS1_35radix_sort_onesweep_config_selectorIbiEEZNS1_34radix_sort_onesweep_global_offsetsIS3_Lb0EN6thrust23THRUST_200600_302600_NS6detail15normal_iteratorINS8_10device_ptrIbEEEENSA_INSB_IiEEEEjNS0_19identity_decomposerEEE10hipError_tT1_T2_PT3_SK_jT4_jjP12ihipStream_tbEUlT_E_NS1_11comp_targetILNS1_3genE0ELNS1_11target_archE4294967295ELNS1_3gpuE0ELNS1_3repE0EEENS1_52radix_sort_onesweep_histogram_config_static_selectorELNS0_4arch9wavefront6targetE1EEEvSI_
		.amdhsa_group_segment_fixed_size 0
		.amdhsa_private_segment_fixed_size 0
		.amdhsa_kernarg_size 40
		.amdhsa_user_sgpr_count 2
		.amdhsa_user_sgpr_dispatch_ptr 0
		.amdhsa_user_sgpr_queue_ptr 0
		.amdhsa_user_sgpr_kernarg_segment_ptr 1
		.amdhsa_user_sgpr_dispatch_id 0
		.amdhsa_user_sgpr_kernarg_preload_length 0
		.amdhsa_user_sgpr_kernarg_preload_offset 0
		.amdhsa_user_sgpr_private_segment_size 0
		.amdhsa_uses_dynamic_stack 0
		.amdhsa_enable_private_segment 0
		.amdhsa_system_sgpr_workgroup_id_x 1
		.amdhsa_system_sgpr_workgroup_id_y 0
		.amdhsa_system_sgpr_workgroup_id_z 0
		.amdhsa_system_sgpr_workgroup_info 0
		.amdhsa_system_vgpr_workitem_id 0
		.amdhsa_next_free_vgpr 1
		.amdhsa_next_free_sgpr 0
		.amdhsa_accum_offset 4
		.amdhsa_reserve_vcc 0
		.amdhsa_float_round_mode_32 0
		.amdhsa_float_round_mode_16_64 0
		.amdhsa_float_denorm_mode_32 3
		.amdhsa_float_denorm_mode_16_64 3
		.amdhsa_dx10_clamp 1
		.amdhsa_ieee_mode 1
		.amdhsa_fp16_overflow 0
		.amdhsa_tg_split 0
		.amdhsa_exception_fp_ieee_invalid_op 0
		.amdhsa_exception_fp_denorm_src 0
		.amdhsa_exception_fp_ieee_div_zero 0
		.amdhsa_exception_fp_ieee_overflow 0
		.amdhsa_exception_fp_ieee_underflow 0
		.amdhsa_exception_fp_ieee_inexact 0
		.amdhsa_exception_int_div_zero 0
	.end_amdhsa_kernel
	.section	.text._ZN7rocprim17ROCPRIM_400000_NS6detail17trampoline_kernelINS0_14default_configENS1_35radix_sort_onesweep_config_selectorIbiEEZNS1_34radix_sort_onesweep_global_offsetsIS3_Lb0EN6thrust23THRUST_200600_302600_NS6detail15normal_iteratorINS8_10device_ptrIbEEEENSA_INSB_IiEEEEjNS0_19identity_decomposerEEE10hipError_tT1_T2_PT3_SK_jT4_jjP12ihipStream_tbEUlT_E_NS1_11comp_targetILNS1_3genE0ELNS1_11target_archE4294967295ELNS1_3gpuE0ELNS1_3repE0EEENS1_52radix_sort_onesweep_histogram_config_static_selectorELNS0_4arch9wavefront6targetE1EEEvSI_,"axG",@progbits,_ZN7rocprim17ROCPRIM_400000_NS6detail17trampoline_kernelINS0_14default_configENS1_35radix_sort_onesweep_config_selectorIbiEEZNS1_34radix_sort_onesweep_global_offsetsIS3_Lb0EN6thrust23THRUST_200600_302600_NS6detail15normal_iteratorINS8_10device_ptrIbEEEENSA_INSB_IiEEEEjNS0_19identity_decomposerEEE10hipError_tT1_T2_PT3_SK_jT4_jjP12ihipStream_tbEUlT_E_NS1_11comp_targetILNS1_3genE0ELNS1_11target_archE4294967295ELNS1_3gpuE0ELNS1_3repE0EEENS1_52radix_sort_onesweep_histogram_config_static_selectorELNS0_4arch9wavefront6targetE1EEEvSI_,comdat
.Lfunc_end2014:
	.size	_ZN7rocprim17ROCPRIM_400000_NS6detail17trampoline_kernelINS0_14default_configENS1_35radix_sort_onesweep_config_selectorIbiEEZNS1_34radix_sort_onesweep_global_offsetsIS3_Lb0EN6thrust23THRUST_200600_302600_NS6detail15normal_iteratorINS8_10device_ptrIbEEEENSA_INSB_IiEEEEjNS0_19identity_decomposerEEE10hipError_tT1_T2_PT3_SK_jT4_jjP12ihipStream_tbEUlT_E_NS1_11comp_targetILNS1_3genE0ELNS1_11target_archE4294967295ELNS1_3gpuE0ELNS1_3repE0EEENS1_52radix_sort_onesweep_histogram_config_static_selectorELNS0_4arch9wavefront6targetE1EEEvSI_, .Lfunc_end2014-_ZN7rocprim17ROCPRIM_400000_NS6detail17trampoline_kernelINS0_14default_configENS1_35radix_sort_onesweep_config_selectorIbiEEZNS1_34radix_sort_onesweep_global_offsetsIS3_Lb0EN6thrust23THRUST_200600_302600_NS6detail15normal_iteratorINS8_10device_ptrIbEEEENSA_INSB_IiEEEEjNS0_19identity_decomposerEEE10hipError_tT1_T2_PT3_SK_jT4_jjP12ihipStream_tbEUlT_E_NS1_11comp_targetILNS1_3genE0ELNS1_11target_archE4294967295ELNS1_3gpuE0ELNS1_3repE0EEENS1_52radix_sort_onesweep_histogram_config_static_selectorELNS0_4arch9wavefront6targetE1EEEvSI_
                                        ; -- End function
	.set _ZN7rocprim17ROCPRIM_400000_NS6detail17trampoline_kernelINS0_14default_configENS1_35radix_sort_onesweep_config_selectorIbiEEZNS1_34radix_sort_onesweep_global_offsetsIS3_Lb0EN6thrust23THRUST_200600_302600_NS6detail15normal_iteratorINS8_10device_ptrIbEEEENSA_INSB_IiEEEEjNS0_19identity_decomposerEEE10hipError_tT1_T2_PT3_SK_jT4_jjP12ihipStream_tbEUlT_E_NS1_11comp_targetILNS1_3genE0ELNS1_11target_archE4294967295ELNS1_3gpuE0ELNS1_3repE0EEENS1_52radix_sort_onesweep_histogram_config_static_selectorELNS0_4arch9wavefront6targetE1EEEvSI_.num_vgpr, 0
	.set _ZN7rocprim17ROCPRIM_400000_NS6detail17trampoline_kernelINS0_14default_configENS1_35radix_sort_onesweep_config_selectorIbiEEZNS1_34radix_sort_onesweep_global_offsetsIS3_Lb0EN6thrust23THRUST_200600_302600_NS6detail15normal_iteratorINS8_10device_ptrIbEEEENSA_INSB_IiEEEEjNS0_19identity_decomposerEEE10hipError_tT1_T2_PT3_SK_jT4_jjP12ihipStream_tbEUlT_E_NS1_11comp_targetILNS1_3genE0ELNS1_11target_archE4294967295ELNS1_3gpuE0ELNS1_3repE0EEENS1_52radix_sort_onesweep_histogram_config_static_selectorELNS0_4arch9wavefront6targetE1EEEvSI_.num_agpr, 0
	.set _ZN7rocprim17ROCPRIM_400000_NS6detail17trampoline_kernelINS0_14default_configENS1_35radix_sort_onesweep_config_selectorIbiEEZNS1_34radix_sort_onesweep_global_offsetsIS3_Lb0EN6thrust23THRUST_200600_302600_NS6detail15normal_iteratorINS8_10device_ptrIbEEEENSA_INSB_IiEEEEjNS0_19identity_decomposerEEE10hipError_tT1_T2_PT3_SK_jT4_jjP12ihipStream_tbEUlT_E_NS1_11comp_targetILNS1_3genE0ELNS1_11target_archE4294967295ELNS1_3gpuE0ELNS1_3repE0EEENS1_52radix_sort_onesweep_histogram_config_static_selectorELNS0_4arch9wavefront6targetE1EEEvSI_.numbered_sgpr, 0
	.set _ZN7rocprim17ROCPRIM_400000_NS6detail17trampoline_kernelINS0_14default_configENS1_35radix_sort_onesweep_config_selectorIbiEEZNS1_34radix_sort_onesweep_global_offsetsIS3_Lb0EN6thrust23THRUST_200600_302600_NS6detail15normal_iteratorINS8_10device_ptrIbEEEENSA_INSB_IiEEEEjNS0_19identity_decomposerEEE10hipError_tT1_T2_PT3_SK_jT4_jjP12ihipStream_tbEUlT_E_NS1_11comp_targetILNS1_3genE0ELNS1_11target_archE4294967295ELNS1_3gpuE0ELNS1_3repE0EEENS1_52radix_sort_onesweep_histogram_config_static_selectorELNS0_4arch9wavefront6targetE1EEEvSI_.num_named_barrier, 0
	.set _ZN7rocprim17ROCPRIM_400000_NS6detail17trampoline_kernelINS0_14default_configENS1_35radix_sort_onesweep_config_selectorIbiEEZNS1_34radix_sort_onesweep_global_offsetsIS3_Lb0EN6thrust23THRUST_200600_302600_NS6detail15normal_iteratorINS8_10device_ptrIbEEEENSA_INSB_IiEEEEjNS0_19identity_decomposerEEE10hipError_tT1_T2_PT3_SK_jT4_jjP12ihipStream_tbEUlT_E_NS1_11comp_targetILNS1_3genE0ELNS1_11target_archE4294967295ELNS1_3gpuE0ELNS1_3repE0EEENS1_52radix_sort_onesweep_histogram_config_static_selectorELNS0_4arch9wavefront6targetE1EEEvSI_.private_seg_size, 0
	.set _ZN7rocprim17ROCPRIM_400000_NS6detail17trampoline_kernelINS0_14default_configENS1_35radix_sort_onesweep_config_selectorIbiEEZNS1_34radix_sort_onesweep_global_offsetsIS3_Lb0EN6thrust23THRUST_200600_302600_NS6detail15normal_iteratorINS8_10device_ptrIbEEEENSA_INSB_IiEEEEjNS0_19identity_decomposerEEE10hipError_tT1_T2_PT3_SK_jT4_jjP12ihipStream_tbEUlT_E_NS1_11comp_targetILNS1_3genE0ELNS1_11target_archE4294967295ELNS1_3gpuE0ELNS1_3repE0EEENS1_52radix_sort_onesweep_histogram_config_static_selectorELNS0_4arch9wavefront6targetE1EEEvSI_.uses_vcc, 0
	.set _ZN7rocprim17ROCPRIM_400000_NS6detail17trampoline_kernelINS0_14default_configENS1_35radix_sort_onesweep_config_selectorIbiEEZNS1_34radix_sort_onesweep_global_offsetsIS3_Lb0EN6thrust23THRUST_200600_302600_NS6detail15normal_iteratorINS8_10device_ptrIbEEEENSA_INSB_IiEEEEjNS0_19identity_decomposerEEE10hipError_tT1_T2_PT3_SK_jT4_jjP12ihipStream_tbEUlT_E_NS1_11comp_targetILNS1_3genE0ELNS1_11target_archE4294967295ELNS1_3gpuE0ELNS1_3repE0EEENS1_52radix_sort_onesweep_histogram_config_static_selectorELNS0_4arch9wavefront6targetE1EEEvSI_.uses_flat_scratch, 0
	.set _ZN7rocprim17ROCPRIM_400000_NS6detail17trampoline_kernelINS0_14default_configENS1_35radix_sort_onesweep_config_selectorIbiEEZNS1_34radix_sort_onesweep_global_offsetsIS3_Lb0EN6thrust23THRUST_200600_302600_NS6detail15normal_iteratorINS8_10device_ptrIbEEEENSA_INSB_IiEEEEjNS0_19identity_decomposerEEE10hipError_tT1_T2_PT3_SK_jT4_jjP12ihipStream_tbEUlT_E_NS1_11comp_targetILNS1_3genE0ELNS1_11target_archE4294967295ELNS1_3gpuE0ELNS1_3repE0EEENS1_52radix_sort_onesweep_histogram_config_static_selectorELNS0_4arch9wavefront6targetE1EEEvSI_.has_dyn_sized_stack, 0
	.set _ZN7rocprim17ROCPRIM_400000_NS6detail17trampoline_kernelINS0_14default_configENS1_35radix_sort_onesweep_config_selectorIbiEEZNS1_34radix_sort_onesweep_global_offsetsIS3_Lb0EN6thrust23THRUST_200600_302600_NS6detail15normal_iteratorINS8_10device_ptrIbEEEENSA_INSB_IiEEEEjNS0_19identity_decomposerEEE10hipError_tT1_T2_PT3_SK_jT4_jjP12ihipStream_tbEUlT_E_NS1_11comp_targetILNS1_3genE0ELNS1_11target_archE4294967295ELNS1_3gpuE0ELNS1_3repE0EEENS1_52radix_sort_onesweep_histogram_config_static_selectorELNS0_4arch9wavefront6targetE1EEEvSI_.has_recursion, 0
	.set _ZN7rocprim17ROCPRIM_400000_NS6detail17trampoline_kernelINS0_14default_configENS1_35radix_sort_onesweep_config_selectorIbiEEZNS1_34radix_sort_onesweep_global_offsetsIS3_Lb0EN6thrust23THRUST_200600_302600_NS6detail15normal_iteratorINS8_10device_ptrIbEEEENSA_INSB_IiEEEEjNS0_19identity_decomposerEEE10hipError_tT1_T2_PT3_SK_jT4_jjP12ihipStream_tbEUlT_E_NS1_11comp_targetILNS1_3genE0ELNS1_11target_archE4294967295ELNS1_3gpuE0ELNS1_3repE0EEENS1_52radix_sort_onesweep_histogram_config_static_selectorELNS0_4arch9wavefront6targetE1EEEvSI_.has_indirect_call, 0
	.section	.AMDGPU.csdata,"",@progbits
; Kernel info:
; codeLenInByte = 0
; TotalNumSgprs: 6
; NumVgprs: 0
; NumAgprs: 0
; TotalNumVgprs: 0
; ScratchSize: 0
; MemoryBound: 0
; FloatMode: 240
; IeeeMode: 1
; LDSByteSize: 0 bytes/workgroup (compile time only)
; SGPRBlocks: 0
; VGPRBlocks: 0
; NumSGPRsForWavesPerEU: 6
; NumVGPRsForWavesPerEU: 1
; AccumOffset: 4
; Occupancy: 8
; WaveLimiterHint : 0
; COMPUTE_PGM_RSRC2:SCRATCH_EN: 0
; COMPUTE_PGM_RSRC2:USER_SGPR: 2
; COMPUTE_PGM_RSRC2:TRAP_HANDLER: 0
; COMPUTE_PGM_RSRC2:TGID_X_EN: 1
; COMPUTE_PGM_RSRC2:TGID_Y_EN: 0
; COMPUTE_PGM_RSRC2:TGID_Z_EN: 0
; COMPUTE_PGM_RSRC2:TIDIG_COMP_CNT: 0
; COMPUTE_PGM_RSRC3_GFX90A:ACCUM_OFFSET: 0
; COMPUTE_PGM_RSRC3_GFX90A:TG_SPLIT: 0
	.section	.text._ZN7rocprim17ROCPRIM_400000_NS6detail17trampoline_kernelINS0_14default_configENS1_35radix_sort_onesweep_config_selectorIbiEEZNS1_34radix_sort_onesweep_global_offsetsIS3_Lb0EN6thrust23THRUST_200600_302600_NS6detail15normal_iteratorINS8_10device_ptrIbEEEENSA_INSB_IiEEEEjNS0_19identity_decomposerEEE10hipError_tT1_T2_PT3_SK_jT4_jjP12ihipStream_tbEUlT_E_NS1_11comp_targetILNS1_3genE6ELNS1_11target_archE950ELNS1_3gpuE13ELNS1_3repE0EEENS1_52radix_sort_onesweep_histogram_config_static_selectorELNS0_4arch9wavefront6targetE1EEEvSI_,"axG",@progbits,_ZN7rocprim17ROCPRIM_400000_NS6detail17trampoline_kernelINS0_14default_configENS1_35radix_sort_onesweep_config_selectorIbiEEZNS1_34radix_sort_onesweep_global_offsetsIS3_Lb0EN6thrust23THRUST_200600_302600_NS6detail15normal_iteratorINS8_10device_ptrIbEEEENSA_INSB_IiEEEEjNS0_19identity_decomposerEEE10hipError_tT1_T2_PT3_SK_jT4_jjP12ihipStream_tbEUlT_E_NS1_11comp_targetILNS1_3genE6ELNS1_11target_archE950ELNS1_3gpuE13ELNS1_3repE0EEENS1_52radix_sort_onesweep_histogram_config_static_selectorELNS0_4arch9wavefront6targetE1EEEvSI_,comdat
	.protected	_ZN7rocprim17ROCPRIM_400000_NS6detail17trampoline_kernelINS0_14default_configENS1_35radix_sort_onesweep_config_selectorIbiEEZNS1_34radix_sort_onesweep_global_offsetsIS3_Lb0EN6thrust23THRUST_200600_302600_NS6detail15normal_iteratorINS8_10device_ptrIbEEEENSA_INSB_IiEEEEjNS0_19identity_decomposerEEE10hipError_tT1_T2_PT3_SK_jT4_jjP12ihipStream_tbEUlT_E_NS1_11comp_targetILNS1_3genE6ELNS1_11target_archE950ELNS1_3gpuE13ELNS1_3repE0EEENS1_52radix_sort_onesweep_histogram_config_static_selectorELNS0_4arch9wavefront6targetE1EEEvSI_ ; -- Begin function _ZN7rocprim17ROCPRIM_400000_NS6detail17trampoline_kernelINS0_14default_configENS1_35radix_sort_onesweep_config_selectorIbiEEZNS1_34radix_sort_onesweep_global_offsetsIS3_Lb0EN6thrust23THRUST_200600_302600_NS6detail15normal_iteratorINS8_10device_ptrIbEEEENSA_INSB_IiEEEEjNS0_19identity_decomposerEEE10hipError_tT1_T2_PT3_SK_jT4_jjP12ihipStream_tbEUlT_E_NS1_11comp_targetILNS1_3genE6ELNS1_11target_archE950ELNS1_3gpuE13ELNS1_3repE0EEENS1_52radix_sort_onesweep_histogram_config_static_selectorELNS0_4arch9wavefront6targetE1EEEvSI_
	.globl	_ZN7rocprim17ROCPRIM_400000_NS6detail17trampoline_kernelINS0_14default_configENS1_35radix_sort_onesweep_config_selectorIbiEEZNS1_34radix_sort_onesweep_global_offsetsIS3_Lb0EN6thrust23THRUST_200600_302600_NS6detail15normal_iteratorINS8_10device_ptrIbEEEENSA_INSB_IiEEEEjNS0_19identity_decomposerEEE10hipError_tT1_T2_PT3_SK_jT4_jjP12ihipStream_tbEUlT_E_NS1_11comp_targetILNS1_3genE6ELNS1_11target_archE950ELNS1_3gpuE13ELNS1_3repE0EEENS1_52radix_sort_onesweep_histogram_config_static_selectorELNS0_4arch9wavefront6targetE1EEEvSI_
	.p2align	8
	.type	_ZN7rocprim17ROCPRIM_400000_NS6detail17trampoline_kernelINS0_14default_configENS1_35radix_sort_onesweep_config_selectorIbiEEZNS1_34radix_sort_onesweep_global_offsetsIS3_Lb0EN6thrust23THRUST_200600_302600_NS6detail15normal_iteratorINS8_10device_ptrIbEEEENSA_INSB_IiEEEEjNS0_19identity_decomposerEEE10hipError_tT1_T2_PT3_SK_jT4_jjP12ihipStream_tbEUlT_E_NS1_11comp_targetILNS1_3genE6ELNS1_11target_archE950ELNS1_3gpuE13ELNS1_3repE0EEENS1_52radix_sort_onesweep_histogram_config_static_selectorELNS0_4arch9wavefront6targetE1EEEvSI_,@function
_ZN7rocprim17ROCPRIM_400000_NS6detail17trampoline_kernelINS0_14default_configENS1_35radix_sort_onesweep_config_selectorIbiEEZNS1_34radix_sort_onesweep_global_offsetsIS3_Lb0EN6thrust23THRUST_200600_302600_NS6detail15normal_iteratorINS8_10device_ptrIbEEEENSA_INSB_IiEEEEjNS0_19identity_decomposerEEE10hipError_tT1_T2_PT3_SK_jT4_jjP12ihipStream_tbEUlT_E_NS1_11comp_targetILNS1_3genE6ELNS1_11target_archE950ELNS1_3gpuE13ELNS1_3repE0EEENS1_52radix_sort_onesweep_histogram_config_static_selectorELNS0_4arch9wavefront6targetE1EEEvSI_: ; @_ZN7rocprim17ROCPRIM_400000_NS6detail17trampoline_kernelINS0_14default_configENS1_35radix_sort_onesweep_config_selectorIbiEEZNS1_34radix_sort_onesweep_global_offsetsIS3_Lb0EN6thrust23THRUST_200600_302600_NS6detail15normal_iteratorINS8_10device_ptrIbEEEENSA_INSB_IiEEEEjNS0_19identity_decomposerEEE10hipError_tT1_T2_PT3_SK_jT4_jjP12ihipStream_tbEUlT_E_NS1_11comp_targetILNS1_3genE6ELNS1_11target_archE950ELNS1_3gpuE13ELNS1_3repE0EEENS1_52radix_sort_onesweep_histogram_config_static_selectorELNS0_4arch9wavefront6targetE1EEEvSI_
; %bb.0:
	s_load_dword s11, s[0:1], 0x14
	s_load_dwordx4 s[4:7], s[0:1], 0x0
	s_load_dwordx2 s[8:9], s[0:1], 0x1c
	s_lshl_b32 s10, s2, 14
	s_waitcnt lgkmcnt(0)
	s_cmp_ge_u32 s2, s11
	s_mov_b64 s[2:3], -1
	s_cbranch_scc0 .LBB2015_71
; %bb.1:
	s_load_dword s0, s[0:1], 0x10
	s_lshl_b32 s1, s11, 14
	v_mov_b32_e32 v3, 0
	v_mov_b32_e32 v25, 0
	s_waitcnt lgkmcnt(0)
	s_sub_i32 s11, s0, s1
	s_add_u32 s0, s4, s10
	v_cmp_gt_u32_e32 vcc, s11, v0
	s_addc_u32 s1, s5, 0
	s_and_saveexec_b64 s[2:3], vcc
	s_cbranch_execz .LBB2015_3
; %bb.2:
	global_load_ubyte v25, v0, s[0:1]
.LBB2015_3:
	s_or_b64 exec, exec, s[2:3]
	v_or_b32_e32 v32, 0x400, v0
	v_cmp_gt_u32_e32 vcc, s11, v32
	s_and_saveexec_b64 s[2:3], vcc
	s_cbranch_execz .LBB2015_5
; %bb.4:
	global_load_ubyte v3, v0, s[0:1] offset:1024
.LBB2015_5:
	s_or_b64 exec, exec, s[2:3]
	v_or_b32_e32 v30, 0x800, v0
	v_cmp_gt_u32_e32 vcc, s11, v30
	v_mov_b32_e32 v8, 0
	v_mov_b32_e32 v22, 0
	s_and_saveexec_b64 s[2:3], vcc
	s_cbranch_execz .LBB2015_7
; %bb.6:
	global_load_ubyte v22, v0, s[0:1] offset:2048
.LBB2015_7:
	s_or_b64 exec, exec, s[2:3]
	v_or_b32_e32 v31, 0xc00, v0
	v_cmp_gt_u32_e32 vcc, s11, v31
	s_and_saveexec_b64 s[2:3], vcc
	s_cbranch_execz .LBB2015_9
; %bb.8:
	global_load_ubyte v8, v0, s[0:1] offset:3072
.LBB2015_9:
	s_or_b64 exec, exec, s[2:3]
	v_or_b32_e32 v28, 0x1000, v0
	v_cmp_gt_u32_e32 vcc, s11, v28
	v_mov_b32_e32 v7, 0
	v_mov_b32_e32 v19, 0
	s_and_saveexec_b64 s[2:3], vcc
	s_cbranch_execz .LBB2015_11
; %bb.10:
	global_load_ubyte v19, v28, s[0:1]
.LBB2015_11:
	s_or_b64 exec, exec, s[2:3]
	v_or_b32_e32 v29, 0x1400, v0
	v_cmp_gt_u32_e32 vcc, s11, v29
	s_and_saveexec_b64 s[2:3], vcc
	s_cbranch_execz .LBB2015_13
; %bb.12:
	global_load_ubyte v7, v29, s[0:1]
.LBB2015_13:
	s_or_b64 exec, exec, s[2:3]
	v_or_b32_e32 v26, 0x1800, v0
	v_cmp_gt_u32_e32 vcc, s11, v26
	v_mov_b32_e32 v6, 0
	v_mov_b32_e32 v16, 0
	s_and_saveexec_b64 s[2:3], vcc
	s_cbranch_execz .LBB2015_15
; %bb.14:
	global_load_ubyte v16, v26, s[0:1]
.LBB2015_15:
	s_or_b64 exec, exec, s[2:3]
	v_or_b32_e32 v27, 0x1c00, v0
	v_cmp_gt_u32_e32 vcc, s11, v27
	s_and_saveexec_b64 s[2:3], vcc
	s_cbranch_execz .LBB2015_17
; %bb.16:
	global_load_ubyte v6, v27, s[0:1]
.LBB2015_17:
	;; [unrolled: 18-line block ×6, first 2 shown]
	s_or_b64 exec, exec, s[2:3]
	s_cmp_le_u32 s9, s8
	s_cselect_b64 s[0:1], -1, 0
	s_cmp_gt_u32 s9, s8
	s_cselect_b64 s[2:3], -1, 0
	s_sub_i32 s12, s9, s8
	s_min_u32 s12, s12, 8
	v_and_b32_e32 v33, 3, v0
	s_lshl_b32 s12, -1, s12
	v_cmp_gt_u32_e32 vcc, s11, v0
	v_lshlrev_b32_e32 v9, 2, v0
	v_mov_b32_e32 v34, 0
	v_lshlrev_b32_e32 v33, 2, v33
	s_not_b32 s12, s12
	s_and_b64 s[14:15], s[2:3], vcc
	ds_write_b32 v9, v34
	s_waitcnt lgkmcnt(0)
	s_barrier
	s_and_saveexec_b64 s[2:3], s[14:15]
	s_cbranch_execz .LBB2015_35
; %bb.34:
	s_waitcnt vmcnt(0)
	v_lshrrev_b32_e32 v25, s8, v25
	v_and_b32_e32 v25, s12, v25
	v_lshl_or_b32 v25, v25, 4, v33
	v_mov_b32_e32 v34, 1
	ds_add_u32 v25, v34
.LBB2015_35:
	s_or_b64 exec, exec, s[2:3]
	v_cmp_gt_u32_e32 vcc, s11, v32
	s_xor_b64 s[0:1], s[0:1], -1
	s_and_b64 s[14:15], s[0:1], vcc
	s_and_saveexec_b64 s[2:3], s[14:15]
	s_cbranch_execz .LBB2015_37
; %bb.36:
	s_waitcnt vmcnt(0)
	v_lshrrev_b32_e32 v3, s8, v3
	v_and_b32_e32 v3, s12, v3
	v_lshl_or_b32 v3, v3, 4, v33
	v_mov_b32_e32 v25, 1
	ds_add_u32 v3, v25
.LBB2015_37:
	s_or_b64 exec, exec, s[2:3]
	v_cmp_gt_u32_e32 vcc, s11, v30
	s_and_b64 s[14:15], s[0:1], vcc
	s_and_saveexec_b64 s[2:3], s[14:15]
	s_cbranch_execz .LBB2015_39
; %bb.38:
	s_waitcnt vmcnt(0)
	v_lshrrev_b32_e32 v3, s8, v22
	v_and_b32_e32 v3, s12, v3
	v_lshl_or_b32 v3, v3, 4, v33
	v_mov_b32_e32 v22, 1
	ds_add_u32 v3, v22
.LBB2015_39:
	s_or_b64 exec, exec, s[2:3]
	v_cmp_gt_u32_e32 vcc, s11, v31
	;; [unrolled: 13-line block ×14, first 2 shown]
	s_and_b64 s[2:3], s[0:1], vcc
	s_and_saveexec_b64 s[0:1], s[2:3]
	s_cbranch_execz .LBB2015_65
; %bb.64:
	s_waitcnt vmcnt(0)
	v_lshrrev_b32_e32 v1, s8, v1
	v_and_b32_e32 v1, s12, v1
	v_lshl_or_b32 v1, v1, 4, v33
	v_mov_b32_e32 v2, 1
	ds_add_u32 v1, v2
.LBB2015_65:
	s_or_b64 exec, exec, s[0:1]
	s_cmp_gt_u32 s9, s8
	s_waitcnt lgkmcnt(0)
	s_barrier
	s_cbranch_scc0 .LBB2015_70
; %bb.66:
	s_movk_i32 s0, 0x100
	v_cmp_gt_u32_e32 vcc, s0, v0
	s_waitcnt vmcnt(0)
	v_mad_u32_u24 v1, v0, 12, v9
	v_mov_b32_e32 v3, 0
	v_mov_b32_e32 v2, v0
	s_mov_b32 s2, s8
	s_branch .LBB2015_68
.LBB2015_67:                            ;   in Loop: Header=BB2015_68 Depth=1
	s_or_b64 exec, exec, s[0:1]
	s_add_i32 s2, s2, 8
	v_add_u32_e32 v2, 0x100, v2
	s_cmp_lt_u32 s2, s9
	v_add_u32_e32 v1, 0x1000, v1
	s_cbranch_scc0 .LBB2015_70
.LBB2015_68:                            ; =>This Inner Loop Header: Depth=1
	s_and_saveexec_b64 s[0:1], vcc
	s_cbranch_execz .LBB2015_67
; %bb.69:                               ;   in Loop: Header=BB2015_68 Depth=1
	ds_read2_b32 v[4:5], v1 offset1:1
	ds_read2_b32 v[6:7], v1 offset0:2 offset1:3
	s_waitcnt lgkmcnt(1)
	v_add_u32_e32 v4, v5, v4
	s_waitcnt lgkmcnt(0)
	v_add3_u32 v6, v4, v6, v7
	v_lshl_add_u64 v[4:5], v[2:3], 2, s[6:7]
	global_atomic_add v[4:5], v6, off
	s_branch .LBB2015_67
.LBB2015_70:
	s_mov_b64 s[2:3], 0
.LBB2015_71:
	s_and_b64 vcc, exec, s[2:3]
	s_cbranch_vccz .LBB2015_84
; %bb.72:
	s_cmp_lg_u32 s8, 0
	s_cselect_b64 s[0:1], -1, 0
	s_cmp_lg_u32 s9, 8
	s_cselect_b64 s[2:3], -1, 0
	s_or_b64 s[2:3], s[0:1], s[2:3]
	s_add_u32 s0, s4, s10
	s_addc_u32 s1, s5, 0
	s_waitcnt vmcnt(0)
	v_mov_b32_e32 v1, 0
	v_lshl_add_u64 v[2:3], s[0:1], 0, v[0:1]
	v_add_co_u32_e32 v4, vcc, 0x1000, v2
	s_nop 1
	v_addc_co_u32_e32 v5, vcc, 0, v3, vcc
	v_add_co_u32_e32 v18, vcc, 0x2000, v2
	s_nop 1
	v_addc_co_u32_e32 v19, vcc, 0, v3, vcc
	v_add_co_u32_e32 v2, vcc, 0x3000, v2
	global_load_ubyte v16, v[4:5], off
	global_load_ubyte v15, v[4:5], off offset:1024
	global_load_ubyte v14, v[4:5], off offset:2048
	;; [unrolled: 1-line block ×3, first 2 shown]
	global_load_ubyte v12, v[18:19], off
	global_load_ubyte v10, v[18:19], off offset:1024
	global_load_ubyte v8, v[18:19], off offset:2048
	;; [unrolled: 1-line block ×3, first 2 shown]
	v_addc_co_u32_e32 v3, vcc, 0, v3, vcc
	global_load_ubyte v20, v0, s[0:1]
	global_load_ubyte v19, v0, s[0:1] offset:1024
	global_load_ubyte v18, v0, s[0:1] offset:2048
	;; [unrolled: 1-line block ×3, first 2 shown]
	global_load_ubyte v11, v[2:3], off
	global_load_ubyte v9, v[2:3], off offset:1024
	global_load_ubyte v7, v[2:3], off offset:2048
	;; [unrolled: 1-line block ×3, first 2 shown]
	v_lshlrev_b32_e32 v4, 2, v0
	s_mov_b64 s[0:1], -1
	s_and_b64 vcc, exec, s[2:3]
	ds_write_b32 v4, v1
	s_waitcnt lgkmcnt(0)
	s_cbranch_vccz .LBB2015_81
; %bb.73:
	s_cmp_gt_u32 s9, s8
	s_cselect_b64 s[0:1], -1, 0
	s_cmp_le_u32 s9, s8
	s_barrier
	s_cbranch_scc1 .LBB2015_75
; %bb.74:
	s_sub_i32 s2, s9, s8
	s_min_u32 s2, s2, 8
	s_lshl_b32 s2, -1, s2
	v_and_b32_e32 v1, 3, v0
	s_waitcnt vmcnt(7)
	v_lshrrev_b32_sdwa v2, s8, v20 dst_sel:DWORD dst_unused:UNUSED_PAD src0_sel:DWORD src1_sel:BYTE_0
	v_lshlrev_b32_e32 v1, 2, v1
	v_bitop3_b32 v2, v2, s2, v2 bitop3:0x30
	v_lshl_or_b32 v2, v2, 4, v1
	v_mov_b32_e32 v3, 1
	ds_add_u32 v2, v3
	s_waitcnt vmcnt(6)
	v_lshrrev_b32_sdwa v2, s8, v19 dst_sel:DWORD dst_unused:UNUSED_PAD src0_sel:DWORD src1_sel:BYTE_0
	v_bitop3_b32 v2, v2, s2, v2 bitop3:0x30
	v_lshl_or_b32 v2, v2, 4, v1
	ds_add_u32 v2, v3
	s_waitcnt vmcnt(5)
	v_lshrrev_b32_sdwa v2, s8, v18 dst_sel:DWORD dst_unused:UNUSED_PAD src0_sel:DWORD src1_sel:BYTE_0
	v_bitop3_b32 v2, v2, s2, v2 bitop3:0x30
	v_lshl_or_b32 v2, v2, 4, v1
	;; [unrolled: 5-line block ×3, first 2 shown]
	ds_add_u32 v2, v3
	v_lshrrev_b32_sdwa v2, s8, v16 dst_sel:DWORD dst_unused:UNUSED_PAD src0_sel:DWORD src1_sel:BYTE_0
	v_bitop3_b32 v2, v2, s2, v2 bitop3:0x30
	v_lshl_or_b32 v2, v2, 4, v1
	ds_add_u32 v2, v3
	v_lshrrev_b32_sdwa v2, s8, v15 dst_sel:DWORD dst_unused:UNUSED_PAD src0_sel:DWORD src1_sel:BYTE_0
	v_bitop3_b32 v2, v2, s2, v2 bitop3:0x30
	v_lshl_or_b32 v2, v2, 4, v1
	;; [unrolled: 4-line block ×8, first 2 shown]
	ds_add_u32 v2, v3
	s_waitcnt vmcnt(3)
	v_lshrrev_b32_sdwa v2, s8, v11 dst_sel:DWORD dst_unused:UNUSED_PAD src0_sel:DWORD src1_sel:BYTE_0
	v_bitop3_b32 v2, v2, s2, v2 bitop3:0x30
	v_lshl_or_b32 v2, v2, 4, v1
	ds_add_u32 v2, v3
	s_waitcnt vmcnt(2)
	v_lshrrev_b32_sdwa v2, s8, v9 dst_sel:DWORD dst_unused:UNUSED_PAD src0_sel:DWORD src1_sel:BYTE_0
	v_bitop3_b32 v2, v2, s2, v2 bitop3:0x30
	v_lshl_or_b32 v2, v2, 4, v1
	;; [unrolled: 5-line block ×4, first 2 shown]
	ds_add_u32 v1, v3
.LBB2015_75:
	s_and_b64 vcc, exec, s[0:1]
	s_waitcnt lgkmcnt(0)
	s_barrier
	s_cbranch_vccz .LBB2015_80
; %bb.76:
	s_movk_i32 s0, 0x100
	v_cmp_gt_u32_e32 vcc, s0, v0
	v_lshlrev_b32_e32 v1, 4, v0
	v_mov_b32_e32 v3, 0
	v_mov_b32_e32 v2, v0
	s_branch .LBB2015_78
.LBB2015_77:                            ;   in Loop: Header=BB2015_78 Depth=1
	s_or_b64 exec, exec, s[0:1]
	s_add_i32 s8, s8, 8
	v_add_u32_e32 v2, 0x100, v2
	s_cmp_ge_u32 s8, s9
	v_add_u32_e32 v1, 0x1000, v1
	s_cbranch_scc1 .LBB2015_80
.LBB2015_78:                            ; =>This Inner Loop Header: Depth=1
	s_and_saveexec_b64 s[0:1], vcc
	s_cbranch_execz .LBB2015_77
; %bb.79:                               ;   in Loop: Header=BB2015_78 Depth=1
	ds_read2_b32 v[22:23], v1 offset1:1
	ds_read2_b32 v[24:25], v1 offset0:2 offset1:3
	s_waitcnt lgkmcnt(1)
	v_add_u32_e32 v21, v23, v22
	s_waitcnt lgkmcnt(0)
	v_add3_u32 v21, v21, v24, v25
	v_lshl_add_u64 v[22:23], v[2:3], 2, s[6:7]
	global_atomic_add v[22:23], v21, off
	s_branch .LBB2015_77
.LBB2015_80:
	s_mov_b64 s[0:1], 0
.LBB2015_81:
	s_and_b64 vcc, exec, s[0:1]
	s_cbranch_vccz .LBB2015_84
; %bb.82:
	v_and_b32_e32 v1, 3, v0
	s_waitcnt vmcnt(7)
	v_lshlrev_b16_e32 v2, 2, v20
	v_lshlrev_b32_e32 v1, 2, v1
	v_and_b32_e32 v2, 0xfc, v2
	v_lshl_or_b32 v2, v2, 2, v1
	v_mov_b32_e32 v3, 1
	s_barrier
	ds_add_u32 v2, v3
	s_waitcnt vmcnt(6)
	v_lshlrev_b16_e32 v2, 2, v19
	v_and_b32_e32 v2, 0xfc, v2
	v_lshl_or_b32 v2, v2, 2, v1
	ds_add_u32 v2, v3
	s_waitcnt vmcnt(5)
	v_lshlrev_b16_e32 v2, 2, v18
	v_and_b32_e32 v2, 0xfc, v2
	v_lshl_or_b32 v2, v2, 2, v1
	;; [unrolled: 5-line block ×3, first 2 shown]
	ds_add_u32 v2, v3
	v_lshlrev_b16_e32 v2, 2, v16
	v_and_b32_e32 v2, 0xfc, v2
	v_lshl_or_b32 v2, v2, 2, v1
	ds_add_u32 v2, v3
	v_lshlrev_b16_e32 v2, 2, v15
	v_and_b32_e32 v2, 0xfc, v2
	v_lshl_or_b32 v2, v2, 2, v1
	;; [unrolled: 4-line block ×8, first 2 shown]
	ds_add_u32 v2, v3
	s_waitcnt vmcnt(3)
	v_lshlrev_b16_e32 v2, 2, v11
	v_and_b32_e32 v2, 0xfc, v2
	v_lshl_or_b32 v2, v2, 2, v1
	ds_add_u32 v2, v3
	s_waitcnt vmcnt(2)
	v_lshlrev_b16_e32 v2, 2, v9
	v_and_b32_e32 v2, 0xfc, v2
	v_lshl_or_b32 v2, v2, 2, v1
	;; [unrolled: 5-line block ×4, first 2 shown]
	ds_add_u32 v1, v3
	s_movk_i32 s0, 0x100
	v_cmp_gt_u32_e32 vcc, s0, v0
	s_waitcnt lgkmcnt(0)
	s_barrier
	s_and_saveexec_b64 s[0:1], vcc
	s_cbranch_execz .LBB2015_84
; %bb.83:
	v_mad_u32_u24 v1, v0, 12, v4
	ds_read2_b32 v[2:3], v1 offset1:1
	ds_read2_b32 v[4:5], v1 offset0:2 offset1:3
	v_lshlrev_b32_e32 v0, 2, v0
	s_waitcnt lgkmcnt(1)
	v_add_u32_e32 v1, v3, v2
	s_waitcnt lgkmcnt(0)
	v_add3_u32 v1, v1, v4, v5
	global_atomic_add v0, v1, s[6:7]
.LBB2015_84:
	s_endpgm
	.section	.rodata,"a",@progbits
	.p2align	6, 0x0
	.amdhsa_kernel _ZN7rocprim17ROCPRIM_400000_NS6detail17trampoline_kernelINS0_14default_configENS1_35radix_sort_onesweep_config_selectorIbiEEZNS1_34radix_sort_onesweep_global_offsetsIS3_Lb0EN6thrust23THRUST_200600_302600_NS6detail15normal_iteratorINS8_10device_ptrIbEEEENSA_INSB_IiEEEEjNS0_19identity_decomposerEEE10hipError_tT1_T2_PT3_SK_jT4_jjP12ihipStream_tbEUlT_E_NS1_11comp_targetILNS1_3genE6ELNS1_11target_archE950ELNS1_3gpuE13ELNS1_3repE0EEENS1_52radix_sort_onesweep_histogram_config_static_selectorELNS0_4arch9wavefront6targetE1EEEvSI_
		.amdhsa_group_segment_fixed_size 4096
		.amdhsa_private_segment_fixed_size 0
		.amdhsa_kernarg_size 40
		.amdhsa_user_sgpr_count 2
		.amdhsa_user_sgpr_dispatch_ptr 0
		.amdhsa_user_sgpr_queue_ptr 0
		.amdhsa_user_sgpr_kernarg_segment_ptr 1
		.amdhsa_user_sgpr_dispatch_id 0
		.amdhsa_user_sgpr_kernarg_preload_length 0
		.amdhsa_user_sgpr_kernarg_preload_offset 0
		.amdhsa_user_sgpr_private_segment_size 0
		.amdhsa_uses_dynamic_stack 0
		.amdhsa_enable_private_segment 0
		.amdhsa_system_sgpr_workgroup_id_x 1
		.amdhsa_system_sgpr_workgroup_id_y 0
		.amdhsa_system_sgpr_workgroup_id_z 0
		.amdhsa_system_sgpr_workgroup_info 0
		.amdhsa_system_vgpr_workitem_id 0
		.amdhsa_next_free_vgpr 35
		.amdhsa_next_free_sgpr 16
		.amdhsa_accum_offset 36
		.amdhsa_reserve_vcc 1
		.amdhsa_float_round_mode_32 0
		.amdhsa_float_round_mode_16_64 0
		.amdhsa_float_denorm_mode_32 3
		.amdhsa_float_denorm_mode_16_64 3
		.amdhsa_dx10_clamp 1
		.amdhsa_ieee_mode 1
		.amdhsa_fp16_overflow 0
		.amdhsa_tg_split 0
		.amdhsa_exception_fp_ieee_invalid_op 0
		.amdhsa_exception_fp_denorm_src 0
		.amdhsa_exception_fp_ieee_div_zero 0
		.amdhsa_exception_fp_ieee_overflow 0
		.amdhsa_exception_fp_ieee_underflow 0
		.amdhsa_exception_fp_ieee_inexact 0
		.amdhsa_exception_int_div_zero 0
	.end_amdhsa_kernel
	.section	.text._ZN7rocprim17ROCPRIM_400000_NS6detail17trampoline_kernelINS0_14default_configENS1_35radix_sort_onesweep_config_selectorIbiEEZNS1_34radix_sort_onesweep_global_offsetsIS3_Lb0EN6thrust23THRUST_200600_302600_NS6detail15normal_iteratorINS8_10device_ptrIbEEEENSA_INSB_IiEEEEjNS0_19identity_decomposerEEE10hipError_tT1_T2_PT3_SK_jT4_jjP12ihipStream_tbEUlT_E_NS1_11comp_targetILNS1_3genE6ELNS1_11target_archE950ELNS1_3gpuE13ELNS1_3repE0EEENS1_52radix_sort_onesweep_histogram_config_static_selectorELNS0_4arch9wavefront6targetE1EEEvSI_,"axG",@progbits,_ZN7rocprim17ROCPRIM_400000_NS6detail17trampoline_kernelINS0_14default_configENS1_35radix_sort_onesweep_config_selectorIbiEEZNS1_34radix_sort_onesweep_global_offsetsIS3_Lb0EN6thrust23THRUST_200600_302600_NS6detail15normal_iteratorINS8_10device_ptrIbEEEENSA_INSB_IiEEEEjNS0_19identity_decomposerEEE10hipError_tT1_T2_PT3_SK_jT4_jjP12ihipStream_tbEUlT_E_NS1_11comp_targetILNS1_3genE6ELNS1_11target_archE950ELNS1_3gpuE13ELNS1_3repE0EEENS1_52radix_sort_onesweep_histogram_config_static_selectorELNS0_4arch9wavefront6targetE1EEEvSI_,comdat
.Lfunc_end2015:
	.size	_ZN7rocprim17ROCPRIM_400000_NS6detail17trampoline_kernelINS0_14default_configENS1_35radix_sort_onesweep_config_selectorIbiEEZNS1_34radix_sort_onesweep_global_offsetsIS3_Lb0EN6thrust23THRUST_200600_302600_NS6detail15normal_iteratorINS8_10device_ptrIbEEEENSA_INSB_IiEEEEjNS0_19identity_decomposerEEE10hipError_tT1_T2_PT3_SK_jT4_jjP12ihipStream_tbEUlT_E_NS1_11comp_targetILNS1_3genE6ELNS1_11target_archE950ELNS1_3gpuE13ELNS1_3repE0EEENS1_52radix_sort_onesweep_histogram_config_static_selectorELNS0_4arch9wavefront6targetE1EEEvSI_, .Lfunc_end2015-_ZN7rocprim17ROCPRIM_400000_NS6detail17trampoline_kernelINS0_14default_configENS1_35radix_sort_onesweep_config_selectorIbiEEZNS1_34radix_sort_onesweep_global_offsetsIS3_Lb0EN6thrust23THRUST_200600_302600_NS6detail15normal_iteratorINS8_10device_ptrIbEEEENSA_INSB_IiEEEEjNS0_19identity_decomposerEEE10hipError_tT1_T2_PT3_SK_jT4_jjP12ihipStream_tbEUlT_E_NS1_11comp_targetILNS1_3genE6ELNS1_11target_archE950ELNS1_3gpuE13ELNS1_3repE0EEENS1_52radix_sort_onesweep_histogram_config_static_selectorELNS0_4arch9wavefront6targetE1EEEvSI_
                                        ; -- End function
	.set _ZN7rocprim17ROCPRIM_400000_NS6detail17trampoline_kernelINS0_14default_configENS1_35radix_sort_onesweep_config_selectorIbiEEZNS1_34radix_sort_onesweep_global_offsetsIS3_Lb0EN6thrust23THRUST_200600_302600_NS6detail15normal_iteratorINS8_10device_ptrIbEEEENSA_INSB_IiEEEEjNS0_19identity_decomposerEEE10hipError_tT1_T2_PT3_SK_jT4_jjP12ihipStream_tbEUlT_E_NS1_11comp_targetILNS1_3genE6ELNS1_11target_archE950ELNS1_3gpuE13ELNS1_3repE0EEENS1_52radix_sort_onesweep_histogram_config_static_selectorELNS0_4arch9wavefront6targetE1EEEvSI_.num_vgpr, 35
	.set _ZN7rocprim17ROCPRIM_400000_NS6detail17trampoline_kernelINS0_14default_configENS1_35radix_sort_onesweep_config_selectorIbiEEZNS1_34radix_sort_onesweep_global_offsetsIS3_Lb0EN6thrust23THRUST_200600_302600_NS6detail15normal_iteratorINS8_10device_ptrIbEEEENSA_INSB_IiEEEEjNS0_19identity_decomposerEEE10hipError_tT1_T2_PT3_SK_jT4_jjP12ihipStream_tbEUlT_E_NS1_11comp_targetILNS1_3genE6ELNS1_11target_archE950ELNS1_3gpuE13ELNS1_3repE0EEENS1_52radix_sort_onesweep_histogram_config_static_selectorELNS0_4arch9wavefront6targetE1EEEvSI_.num_agpr, 0
	.set _ZN7rocprim17ROCPRIM_400000_NS6detail17trampoline_kernelINS0_14default_configENS1_35radix_sort_onesweep_config_selectorIbiEEZNS1_34radix_sort_onesweep_global_offsetsIS3_Lb0EN6thrust23THRUST_200600_302600_NS6detail15normal_iteratorINS8_10device_ptrIbEEEENSA_INSB_IiEEEEjNS0_19identity_decomposerEEE10hipError_tT1_T2_PT3_SK_jT4_jjP12ihipStream_tbEUlT_E_NS1_11comp_targetILNS1_3genE6ELNS1_11target_archE950ELNS1_3gpuE13ELNS1_3repE0EEENS1_52radix_sort_onesweep_histogram_config_static_selectorELNS0_4arch9wavefront6targetE1EEEvSI_.numbered_sgpr, 16
	.set _ZN7rocprim17ROCPRIM_400000_NS6detail17trampoline_kernelINS0_14default_configENS1_35radix_sort_onesweep_config_selectorIbiEEZNS1_34radix_sort_onesweep_global_offsetsIS3_Lb0EN6thrust23THRUST_200600_302600_NS6detail15normal_iteratorINS8_10device_ptrIbEEEENSA_INSB_IiEEEEjNS0_19identity_decomposerEEE10hipError_tT1_T2_PT3_SK_jT4_jjP12ihipStream_tbEUlT_E_NS1_11comp_targetILNS1_3genE6ELNS1_11target_archE950ELNS1_3gpuE13ELNS1_3repE0EEENS1_52radix_sort_onesweep_histogram_config_static_selectorELNS0_4arch9wavefront6targetE1EEEvSI_.num_named_barrier, 0
	.set _ZN7rocprim17ROCPRIM_400000_NS6detail17trampoline_kernelINS0_14default_configENS1_35radix_sort_onesweep_config_selectorIbiEEZNS1_34radix_sort_onesweep_global_offsetsIS3_Lb0EN6thrust23THRUST_200600_302600_NS6detail15normal_iteratorINS8_10device_ptrIbEEEENSA_INSB_IiEEEEjNS0_19identity_decomposerEEE10hipError_tT1_T2_PT3_SK_jT4_jjP12ihipStream_tbEUlT_E_NS1_11comp_targetILNS1_3genE6ELNS1_11target_archE950ELNS1_3gpuE13ELNS1_3repE0EEENS1_52radix_sort_onesweep_histogram_config_static_selectorELNS0_4arch9wavefront6targetE1EEEvSI_.private_seg_size, 0
	.set _ZN7rocprim17ROCPRIM_400000_NS6detail17trampoline_kernelINS0_14default_configENS1_35radix_sort_onesweep_config_selectorIbiEEZNS1_34radix_sort_onesweep_global_offsetsIS3_Lb0EN6thrust23THRUST_200600_302600_NS6detail15normal_iteratorINS8_10device_ptrIbEEEENSA_INSB_IiEEEEjNS0_19identity_decomposerEEE10hipError_tT1_T2_PT3_SK_jT4_jjP12ihipStream_tbEUlT_E_NS1_11comp_targetILNS1_3genE6ELNS1_11target_archE950ELNS1_3gpuE13ELNS1_3repE0EEENS1_52radix_sort_onesweep_histogram_config_static_selectorELNS0_4arch9wavefront6targetE1EEEvSI_.uses_vcc, 1
	.set _ZN7rocprim17ROCPRIM_400000_NS6detail17trampoline_kernelINS0_14default_configENS1_35radix_sort_onesweep_config_selectorIbiEEZNS1_34radix_sort_onesweep_global_offsetsIS3_Lb0EN6thrust23THRUST_200600_302600_NS6detail15normal_iteratorINS8_10device_ptrIbEEEENSA_INSB_IiEEEEjNS0_19identity_decomposerEEE10hipError_tT1_T2_PT3_SK_jT4_jjP12ihipStream_tbEUlT_E_NS1_11comp_targetILNS1_3genE6ELNS1_11target_archE950ELNS1_3gpuE13ELNS1_3repE0EEENS1_52radix_sort_onesweep_histogram_config_static_selectorELNS0_4arch9wavefront6targetE1EEEvSI_.uses_flat_scratch, 0
	.set _ZN7rocprim17ROCPRIM_400000_NS6detail17trampoline_kernelINS0_14default_configENS1_35radix_sort_onesweep_config_selectorIbiEEZNS1_34radix_sort_onesweep_global_offsetsIS3_Lb0EN6thrust23THRUST_200600_302600_NS6detail15normal_iteratorINS8_10device_ptrIbEEEENSA_INSB_IiEEEEjNS0_19identity_decomposerEEE10hipError_tT1_T2_PT3_SK_jT4_jjP12ihipStream_tbEUlT_E_NS1_11comp_targetILNS1_3genE6ELNS1_11target_archE950ELNS1_3gpuE13ELNS1_3repE0EEENS1_52radix_sort_onesweep_histogram_config_static_selectorELNS0_4arch9wavefront6targetE1EEEvSI_.has_dyn_sized_stack, 0
	.set _ZN7rocprim17ROCPRIM_400000_NS6detail17trampoline_kernelINS0_14default_configENS1_35radix_sort_onesweep_config_selectorIbiEEZNS1_34radix_sort_onesweep_global_offsetsIS3_Lb0EN6thrust23THRUST_200600_302600_NS6detail15normal_iteratorINS8_10device_ptrIbEEEENSA_INSB_IiEEEEjNS0_19identity_decomposerEEE10hipError_tT1_T2_PT3_SK_jT4_jjP12ihipStream_tbEUlT_E_NS1_11comp_targetILNS1_3genE6ELNS1_11target_archE950ELNS1_3gpuE13ELNS1_3repE0EEENS1_52radix_sort_onesweep_histogram_config_static_selectorELNS0_4arch9wavefront6targetE1EEEvSI_.has_recursion, 0
	.set _ZN7rocprim17ROCPRIM_400000_NS6detail17trampoline_kernelINS0_14default_configENS1_35radix_sort_onesweep_config_selectorIbiEEZNS1_34radix_sort_onesweep_global_offsetsIS3_Lb0EN6thrust23THRUST_200600_302600_NS6detail15normal_iteratorINS8_10device_ptrIbEEEENSA_INSB_IiEEEEjNS0_19identity_decomposerEEE10hipError_tT1_T2_PT3_SK_jT4_jjP12ihipStream_tbEUlT_E_NS1_11comp_targetILNS1_3genE6ELNS1_11target_archE950ELNS1_3gpuE13ELNS1_3repE0EEENS1_52radix_sort_onesweep_histogram_config_static_selectorELNS0_4arch9wavefront6targetE1EEEvSI_.has_indirect_call, 0
	.section	.AMDGPU.csdata,"",@progbits
; Kernel info:
; codeLenInByte = 3260
; TotalNumSgprs: 22
; NumVgprs: 35
; NumAgprs: 0
; TotalNumVgprs: 35
; ScratchSize: 0
; MemoryBound: 0
; FloatMode: 240
; IeeeMode: 1
; LDSByteSize: 4096 bytes/workgroup (compile time only)
; SGPRBlocks: 2
; VGPRBlocks: 4
; NumSGPRsForWavesPerEU: 22
; NumVGPRsForWavesPerEU: 35
; AccumOffset: 36
; Occupancy: 8
; WaveLimiterHint : 1
; COMPUTE_PGM_RSRC2:SCRATCH_EN: 0
; COMPUTE_PGM_RSRC2:USER_SGPR: 2
; COMPUTE_PGM_RSRC2:TRAP_HANDLER: 0
; COMPUTE_PGM_RSRC2:TGID_X_EN: 1
; COMPUTE_PGM_RSRC2:TGID_Y_EN: 0
; COMPUTE_PGM_RSRC2:TGID_Z_EN: 0
; COMPUTE_PGM_RSRC2:TIDIG_COMP_CNT: 0
; COMPUTE_PGM_RSRC3_GFX90A:ACCUM_OFFSET: 8
; COMPUTE_PGM_RSRC3_GFX90A:TG_SPLIT: 0
	.section	.text._ZN7rocprim17ROCPRIM_400000_NS6detail17trampoline_kernelINS0_14default_configENS1_35radix_sort_onesweep_config_selectorIbiEEZNS1_34radix_sort_onesweep_global_offsetsIS3_Lb0EN6thrust23THRUST_200600_302600_NS6detail15normal_iteratorINS8_10device_ptrIbEEEENSA_INSB_IiEEEEjNS0_19identity_decomposerEEE10hipError_tT1_T2_PT3_SK_jT4_jjP12ihipStream_tbEUlT_E_NS1_11comp_targetILNS1_3genE5ELNS1_11target_archE942ELNS1_3gpuE9ELNS1_3repE0EEENS1_52radix_sort_onesweep_histogram_config_static_selectorELNS0_4arch9wavefront6targetE1EEEvSI_,"axG",@progbits,_ZN7rocprim17ROCPRIM_400000_NS6detail17trampoline_kernelINS0_14default_configENS1_35radix_sort_onesweep_config_selectorIbiEEZNS1_34radix_sort_onesweep_global_offsetsIS3_Lb0EN6thrust23THRUST_200600_302600_NS6detail15normal_iteratorINS8_10device_ptrIbEEEENSA_INSB_IiEEEEjNS0_19identity_decomposerEEE10hipError_tT1_T2_PT3_SK_jT4_jjP12ihipStream_tbEUlT_E_NS1_11comp_targetILNS1_3genE5ELNS1_11target_archE942ELNS1_3gpuE9ELNS1_3repE0EEENS1_52radix_sort_onesweep_histogram_config_static_selectorELNS0_4arch9wavefront6targetE1EEEvSI_,comdat
	.protected	_ZN7rocprim17ROCPRIM_400000_NS6detail17trampoline_kernelINS0_14default_configENS1_35radix_sort_onesweep_config_selectorIbiEEZNS1_34radix_sort_onesweep_global_offsetsIS3_Lb0EN6thrust23THRUST_200600_302600_NS6detail15normal_iteratorINS8_10device_ptrIbEEEENSA_INSB_IiEEEEjNS0_19identity_decomposerEEE10hipError_tT1_T2_PT3_SK_jT4_jjP12ihipStream_tbEUlT_E_NS1_11comp_targetILNS1_3genE5ELNS1_11target_archE942ELNS1_3gpuE9ELNS1_3repE0EEENS1_52radix_sort_onesweep_histogram_config_static_selectorELNS0_4arch9wavefront6targetE1EEEvSI_ ; -- Begin function _ZN7rocprim17ROCPRIM_400000_NS6detail17trampoline_kernelINS0_14default_configENS1_35radix_sort_onesweep_config_selectorIbiEEZNS1_34radix_sort_onesweep_global_offsetsIS3_Lb0EN6thrust23THRUST_200600_302600_NS6detail15normal_iteratorINS8_10device_ptrIbEEEENSA_INSB_IiEEEEjNS0_19identity_decomposerEEE10hipError_tT1_T2_PT3_SK_jT4_jjP12ihipStream_tbEUlT_E_NS1_11comp_targetILNS1_3genE5ELNS1_11target_archE942ELNS1_3gpuE9ELNS1_3repE0EEENS1_52radix_sort_onesweep_histogram_config_static_selectorELNS0_4arch9wavefront6targetE1EEEvSI_
	.globl	_ZN7rocprim17ROCPRIM_400000_NS6detail17trampoline_kernelINS0_14default_configENS1_35radix_sort_onesweep_config_selectorIbiEEZNS1_34radix_sort_onesweep_global_offsetsIS3_Lb0EN6thrust23THRUST_200600_302600_NS6detail15normal_iteratorINS8_10device_ptrIbEEEENSA_INSB_IiEEEEjNS0_19identity_decomposerEEE10hipError_tT1_T2_PT3_SK_jT4_jjP12ihipStream_tbEUlT_E_NS1_11comp_targetILNS1_3genE5ELNS1_11target_archE942ELNS1_3gpuE9ELNS1_3repE0EEENS1_52radix_sort_onesweep_histogram_config_static_selectorELNS0_4arch9wavefront6targetE1EEEvSI_
	.p2align	8
	.type	_ZN7rocprim17ROCPRIM_400000_NS6detail17trampoline_kernelINS0_14default_configENS1_35radix_sort_onesweep_config_selectorIbiEEZNS1_34radix_sort_onesweep_global_offsetsIS3_Lb0EN6thrust23THRUST_200600_302600_NS6detail15normal_iteratorINS8_10device_ptrIbEEEENSA_INSB_IiEEEEjNS0_19identity_decomposerEEE10hipError_tT1_T2_PT3_SK_jT4_jjP12ihipStream_tbEUlT_E_NS1_11comp_targetILNS1_3genE5ELNS1_11target_archE942ELNS1_3gpuE9ELNS1_3repE0EEENS1_52radix_sort_onesweep_histogram_config_static_selectorELNS0_4arch9wavefront6targetE1EEEvSI_,@function
_ZN7rocprim17ROCPRIM_400000_NS6detail17trampoline_kernelINS0_14default_configENS1_35radix_sort_onesweep_config_selectorIbiEEZNS1_34radix_sort_onesweep_global_offsetsIS3_Lb0EN6thrust23THRUST_200600_302600_NS6detail15normal_iteratorINS8_10device_ptrIbEEEENSA_INSB_IiEEEEjNS0_19identity_decomposerEEE10hipError_tT1_T2_PT3_SK_jT4_jjP12ihipStream_tbEUlT_E_NS1_11comp_targetILNS1_3genE5ELNS1_11target_archE942ELNS1_3gpuE9ELNS1_3repE0EEENS1_52radix_sort_onesweep_histogram_config_static_selectorELNS0_4arch9wavefront6targetE1EEEvSI_: ; @_ZN7rocprim17ROCPRIM_400000_NS6detail17trampoline_kernelINS0_14default_configENS1_35radix_sort_onesweep_config_selectorIbiEEZNS1_34radix_sort_onesweep_global_offsetsIS3_Lb0EN6thrust23THRUST_200600_302600_NS6detail15normal_iteratorINS8_10device_ptrIbEEEENSA_INSB_IiEEEEjNS0_19identity_decomposerEEE10hipError_tT1_T2_PT3_SK_jT4_jjP12ihipStream_tbEUlT_E_NS1_11comp_targetILNS1_3genE5ELNS1_11target_archE942ELNS1_3gpuE9ELNS1_3repE0EEENS1_52radix_sort_onesweep_histogram_config_static_selectorELNS0_4arch9wavefront6targetE1EEEvSI_
; %bb.0:
	.section	.rodata,"a",@progbits
	.p2align	6, 0x0
	.amdhsa_kernel _ZN7rocprim17ROCPRIM_400000_NS6detail17trampoline_kernelINS0_14default_configENS1_35radix_sort_onesweep_config_selectorIbiEEZNS1_34radix_sort_onesweep_global_offsetsIS3_Lb0EN6thrust23THRUST_200600_302600_NS6detail15normal_iteratorINS8_10device_ptrIbEEEENSA_INSB_IiEEEEjNS0_19identity_decomposerEEE10hipError_tT1_T2_PT3_SK_jT4_jjP12ihipStream_tbEUlT_E_NS1_11comp_targetILNS1_3genE5ELNS1_11target_archE942ELNS1_3gpuE9ELNS1_3repE0EEENS1_52radix_sort_onesweep_histogram_config_static_selectorELNS0_4arch9wavefront6targetE1EEEvSI_
		.amdhsa_group_segment_fixed_size 0
		.amdhsa_private_segment_fixed_size 0
		.amdhsa_kernarg_size 40
		.amdhsa_user_sgpr_count 2
		.amdhsa_user_sgpr_dispatch_ptr 0
		.amdhsa_user_sgpr_queue_ptr 0
		.amdhsa_user_sgpr_kernarg_segment_ptr 1
		.amdhsa_user_sgpr_dispatch_id 0
		.amdhsa_user_sgpr_kernarg_preload_length 0
		.amdhsa_user_sgpr_kernarg_preload_offset 0
		.amdhsa_user_sgpr_private_segment_size 0
		.amdhsa_uses_dynamic_stack 0
		.amdhsa_enable_private_segment 0
		.amdhsa_system_sgpr_workgroup_id_x 1
		.amdhsa_system_sgpr_workgroup_id_y 0
		.amdhsa_system_sgpr_workgroup_id_z 0
		.amdhsa_system_sgpr_workgroup_info 0
		.amdhsa_system_vgpr_workitem_id 0
		.amdhsa_next_free_vgpr 1
		.amdhsa_next_free_sgpr 0
		.amdhsa_accum_offset 4
		.amdhsa_reserve_vcc 0
		.amdhsa_float_round_mode_32 0
		.amdhsa_float_round_mode_16_64 0
		.amdhsa_float_denorm_mode_32 3
		.amdhsa_float_denorm_mode_16_64 3
		.amdhsa_dx10_clamp 1
		.amdhsa_ieee_mode 1
		.amdhsa_fp16_overflow 0
		.amdhsa_tg_split 0
		.amdhsa_exception_fp_ieee_invalid_op 0
		.amdhsa_exception_fp_denorm_src 0
		.amdhsa_exception_fp_ieee_div_zero 0
		.amdhsa_exception_fp_ieee_overflow 0
		.amdhsa_exception_fp_ieee_underflow 0
		.amdhsa_exception_fp_ieee_inexact 0
		.amdhsa_exception_int_div_zero 0
	.end_amdhsa_kernel
	.section	.text._ZN7rocprim17ROCPRIM_400000_NS6detail17trampoline_kernelINS0_14default_configENS1_35radix_sort_onesweep_config_selectorIbiEEZNS1_34radix_sort_onesweep_global_offsetsIS3_Lb0EN6thrust23THRUST_200600_302600_NS6detail15normal_iteratorINS8_10device_ptrIbEEEENSA_INSB_IiEEEEjNS0_19identity_decomposerEEE10hipError_tT1_T2_PT3_SK_jT4_jjP12ihipStream_tbEUlT_E_NS1_11comp_targetILNS1_3genE5ELNS1_11target_archE942ELNS1_3gpuE9ELNS1_3repE0EEENS1_52radix_sort_onesweep_histogram_config_static_selectorELNS0_4arch9wavefront6targetE1EEEvSI_,"axG",@progbits,_ZN7rocprim17ROCPRIM_400000_NS6detail17trampoline_kernelINS0_14default_configENS1_35radix_sort_onesweep_config_selectorIbiEEZNS1_34radix_sort_onesweep_global_offsetsIS3_Lb0EN6thrust23THRUST_200600_302600_NS6detail15normal_iteratorINS8_10device_ptrIbEEEENSA_INSB_IiEEEEjNS0_19identity_decomposerEEE10hipError_tT1_T2_PT3_SK_jT4_jjP12ihipStream_tbEUlT_E_NS1_11comp_targetILNS1_3genE5ELNS1_11target_archE942ELNS1_3gpuE9ELNS1_3repE0EEENS1_52radix_sort_onesweep_histogram_config_static_selectorELNS0_4arch9wavefront6targetE1EEEvSI_,comdat
.Lfunc_end2016:
	.size	_ZN7rocprim17ROCPRIM_400000_NS6detail17trampoline_kernelINS0_14default_configENS1_35radix_sort_onesweep_config_selectorIbiEEZNS1_34radix_sort_onesweep_global_offsetsIS3_Lb0EN6thrust23THRUST_200600_302600_NS6detail15normal_iteratorINS8_10device_ptrIbEEEENSA_INSB_IiEEEEjNS0_19identity_decomposerEEE10hipError_tT1_T2_PT3_SK_jT4_jjP12ihipStream_tbEUlT_E_NS1_11comp_targetILNS1_3genE5ELNS1_11target_archE942ELNS1_3gpuE9ELNS1_3repE0EEENS1_52radix_sort_onesweep_histogram_config_static_selectorELNS0_4arch9wavefront6targetE1EEEvSI_, .Lfunc_end2016-_ZN7rocprim17ROCPRIM_400000_NS6detail17trampoline_kernelINS0_14default_configENS1_35radix_sort_onesweep_config_selectorIbiEEZNS1_34radix_sort_onesweep_global_offsetsIS3_Lb0EN6thrust23THRUST_200600_302600_NS6detail15normal_iteratorINS8_10device_ptrIbEEEENSA_INSB_IiEEEEjNS0_19identity_decomposerEEE10hipError_tT1_T2_PT3_SK_jT4_jjP12ihipStream_tbEUlT_E_NS1_11comp_targetILNS1_3genE5ELNS1_11target_archE942ELNS1_3gpuE9ELNS1_3repE0EEENS1_52radix_sort_onesweep_histogram_config_static_selectorELNS0_4arch9wavefront6targetE1EEEvSI_
                                        ; -- End function
	.set _ZN7rocprim17ROCPRIM_400000_NS6detail17trampoline_kernelINS0_14default_configENS1_35radix_sort_onesweep_config_selectorIbiEEZNS1_34radix_sort_onesweep_global_offsetsIS3_Lb0EN6thrust23THRUST_200600_302600_NS6detail15normal_iteratorINS8_10device_ptrIbEEEENSA_INSB_IiEEEEjNS0_19identity_decomposerEEE10hipError_tT1_T2_PT3_SK_jT4_jjP12ihipStream_tbEUlT_E_NS1_11comp_targetILNS1_3genE5ELNS1_11target_archE942ELNS1_3gpuE9ELNS1_3repE0EEENS1_52radix_sort_onesweep_histogram_config_static_selectorELNS0_4arch9wavefront6targetE1EEEvSI_.num_vgpr, 0
	.set _ZN7rocprim17ROCPRIM_400000_NS6detail17trampoline_kernelINS0_14default_configENS1_35radix_sort_onesweep_config_selectorIbiEEZNS1_34radix_sort_onesweep_global_offsetsIS3_Lb0EN6thrust23THRUST_200600_302600_NS6detail15normal_iteratorINS8_10device_ptrIbEEEENSA_INSB_IiEEEEjNS0_19identity_decomposerEEE10hipError_tT1_T2_PT3_SK_jT4_jjP12ihipStream_tbEUlT_E_NS1_11comp_targetILNS1_3genE5ELNS1_11target_archE942ELNS1_3gpuE9ELNS1_3repE0EEENS1_52radix_sort_onesweep_histogram_config_static_selectorELNS0_4arch9wavefront6targetE1EEEvSI_.num_agpr, 0
	.set _ZN7rocprim17ROCPRIM_400000_NS6detail17trampoline_kernelINS0_14default_configENS1_35radix_sort_onesweep_config_selectorIbiEEZNS1_34radix_sort_onesweep_global_offsetsIS3_Lb0EN6thrust23THRUST_200600_302600_NS6detail15normal_iteratorINS8_10device_ptrIbEEEENSA_INSB_IiEEEEjNS0_19identity_decomposerEEE10hipError_tT1_T2_PT3_SK_jT4_jjP12ihipStream_tbEUlT_E_NS1_11comp_targetILNS1_3genE5ELNS1_11target_archE942ELNS1_3gpuE9ELNS1_3repE0EEENS1_52radix_sort_onesweep_histogram_config_static_selectorELNS0_4arch9wavefront6targetE1EEEvSI_.numbered_sgpr, 0
	.set _ZN7rocprim17ROCPRIM_400000_NS6detail17trampoline_kernelINS0_14default_configENS1_35radix_sort_onesweep_config_selectorIbiEEZNS1_34radix_sort_onesweep_global_offsetsIS3_Lb0EN6thrust23THRUST_200600_302600_NS6detail15normal_iteratorINS8_10device_ptrIbEEEENSA_INSB_IiEEEEjNS0_19identity_decomposerEEE10hipError_tT1_T2_PT3_SK_jT4_jjP12ihipStream_tbEUlT_E_NS1_11comp_targetILNS1_3genE5ELNS1_11target_archE942ELNS1_3gpuE9ELNS1_3repE0EEENS1_52radix_sort_onesweep_histogram_config_static_selectorELNS0_4arch9wavefront6targetE1EEEvSI_.num_named_barrier, 0
	.set _ZN7rocprim17ROCPRIM_400000_NS6detail17trampoline_kernelINS0_14default_configENS1_35radix_sort_onesweep_config_selectorIbiEEZNS1_34radix_sort_onesweep_global_offsetsIS3_Lb0EN6thrust23THRUST_200600_302600_NS6detail15normal_iteratorINS8_10device_ptrIbEEEENSA_INSB_IiEEEEjNS0_19identity_decomposerEEE10hipError_tT1_T2_PT3_SK_jT4_jjP12ihipStream_tbEUlT_E_NS1_11comp_targetILNS1_3genE5ELNS1_11target_archE942ELNS1_3gpuE9ELNS1_3repE0EEENS1_52radix_sort_onesweep_histogram_config_static_selectorELNS0_4arch9wavefront6targetE1EEEvSI_.private_seg_size, 0
	.set _ZN7rocprim17ROCPRIM_400000_NS6detail17trampoline_kernelINS0_14default_configENS1_35radix_sort_onesweep_config_selectorIbiEEZNS1_34radix_sort_onesweep_global_offsetsIS3_Lb0EN6thrust23THRUST_200600_302600_NS6detail15normal_iteratorINS8_10device_ptrIbEEEENSA_INSB_IiEEEEjNS0_19identity_decomposerEEE10hipError_tT1_T2_PT3_SK_jT4_jjP12ihipStream_tbEUlT_E_NS1_11comp_targetILNS1_3genE5ELNS1_11target_archE942ELNS1_3gpuE9ELNS1_3repE0EEENS1_52radix_sort_onesweep_histogram_config_static_selectorELNS0_4arch9wavefront6targetE1EEEvSI_.uses_vcc, 0
	.set _ZN7rocprim17ROCPRIM_400000_NS6detail17trampoline_kernelINS0_14default_configENS1_35radix_sort_onesweep_config_selectorIbiEEZNS1_34radix_sort_onesweep_global_offsetsIS3_Lb0EN6thrust23THRUST_200600_302600_NS6detail15normal_iteratorINS8_10device_ptrIbEEEENSA_INSB_IiEEEEjNS0_19identity_decomposerEEE10hipError_tT1_T2_PT3_SK_jT4_jjP12ihipStream_tbEUlT_E_NS1_11comp_targetILNS1_3genE5ELNS1_11target_archE942ELNS1_3gpuE9ELNS1_3repE0EEENS1_52radix_sort_onesweep_histogram_config_static_selectorELNS0_4arch9wavefront6targetE1EEEvSI_.uses_flat_scratch, 0
	.set _ZN7rocprim17ROCPRIM_400000_NS6detail17trampoline_kernelINS0_14default_configENS1_35radix_sort_onesweep_config_selectorIbiEEZNS1_34radix_sort_onesweep_global_offsetsIS3_Lb0EN6thrust23THRUST_200600_302600_NS6detail15normal_iteratorINS8_10device_ptrIbEEEENSA_INSB_IiEEEEjNS0_19identity_decomposerEEE10hipError_tT1_T2_PT3_SK_jT4_jjP12ihipStream_tbEUlT_E_NS1_11comp_targetILNS1_3genE5ELNS1_11target_archE942ELNS1_3gpuE9ELNS1_3repE0EEENS1_52radix_sort_onesweep_histogram_config_static_selectorELNS0_4arch9wavefront6targetE1EEEvSI_.has_dyn_sized_stack, 0
	.set _ZN7rocprim17ROCPRIM_400000_NS6detail17trampoline_kernelINS0_14default_configENS1_35radix_sort_onesweep_config_selectorIbiEEZNS1_34radix_sort_onesweep_global_offsetsIS3_Lb0EN6thrust23THRUST_200600_302600_NS6detail15normal_iteratorINS8_10device_ptrIbEEEENSA_INSB_IiEEEEjNS0_19identity_decomposerEEE10hipError_tT1_T2_PT3_SK_jT4_jjP12ihipStream_tbEUlT_E_NS1_11comp_targetILNS1_3genE5ELNS1_11target_archE942ELNS1_3gpuE9ELNS1_3repE0EEENS1_52radix_sort_onesweep_histogram_config_static_selectorELNS0_4arch9wavefront6targetE1EEEvSI_.has_recursion, 0
	.set _ZN7rocprim17ROCPRIM_400000_NS6detail17trampoline_kernelINS0_14default_configENS1_35radix_sort_onesweep_config_selectorIbiEEZNS1_34radix_sort_onesweep_global_offsetsIS3_Lb0EN6thrust23THRUST_200600_302600_NS6detail15normal_iteratorINS8_10device_ptrIbEEEENSA_INSB_IiEEEEjNS0_19identity_decomposerEEE10hipError_tT1_T2_PT3_SK_jT4_jjP12ihipStream_tbEUlT_E_NS1_11comp_targetILNS1_3genE5ELNS1_11target_archE942ELNS1_3gpuE9ELNS1_3repE0EEENS1_52radix_sort_onesweep_histogram_config_static_selectorELNS0_4arch9wavefront6targetE1EEEvSI_.has_indirect_call, 0
	.section	.AMDGPU.csdata,"",@progbits
; Kernel info:
; codeLenInByte = 0
; TotalNumSgprs: 6
; NumVgprs: 0
; NumAgprs: 0
; TotalNumVgprs: 0
; ScratchSize: 0
; MemoryBound: 0
; FloatMode: 240
; IeeeMode: 1
; LDSByteSize: 0 bytes/workgroup (compile time only)
; SGPRBlocks: 0
; VGPRBlocks: 0
; NumSGPRsForWavesPerEU: 6
; NumVGPRsForWavesPerEU: 1
; AccumOffset: 4
; Occupancy: 8
; WaveLimiterHint : 0
; COMPUTE_PGM_RSRC2:SCRATCH_EN: 0
; COMPUTE_PGM_RSRC2:USER_SGPR: 2
; COMPUTE_PGM_RSRC2:TRAP_HANDLER: 0
; COMPUTE_PGM_RSRC2:TGID_X_EN: 1
; COMPUTE_PGM_RSRC2:TGID_Y_EN: 0
; COMPUTE_PGM_RSRC2:TGID_Z_EN: 0
; COMPUTE_PGM_RSRC2:TIDIG_COMP_CNT: 0
; COMPUTE_PGM_RSRC3_GFX90A:ACCUM_OFFSET: 0
; COMPUTE_PGM_RSRC3_GFX90A:TG_SPLIT: 0
	.section	.text._ZN7rocprim17ROCPRIM_400000_NS6detail17trampoline_kernelINS0_14default_configENS1_35radix_sort_onesweep_config_selectorIbiEEZNS1_34radix_sort_onesweep_global_offsetsIS3_Lb0EN6thrust23THRUST_200600_302600_NS6detail15normal_iteratorINS8_10device_ptrIbEEEENSA_INSB_IiEEEEjNS0_19identity_decomposerEEE10hipError_tT1_T2_PT3_SK_jT4_jjP12ihipStream_tbEUlT_E_NS1_11comp_targetILNS1_3genE2ELNS1_11target_archE906ELNS1_3gpuE6ELNS1_3repE0EEENS1_52radix_sort_onesweep_histogram_config_static_selectorELNS0_4arch9wavefront6targetE1EEEvSI_,"axG",@progbits,_ZN7rocprim17ROCPRIM_400000_NS6detail17trampoline_kernelINS0_14default_configENS1_35radix_sort_onesweep_config_selectorIbiEEZNS1_34radix_sort_onesweep_global_offsetsIS3_Lb0EN6thrust23THRUST_200600_302600_NS6detail15normal_iteratorINS8_10device_ptrIbEEEENSA_INSB_IiEEEEjNS0_19identity_decomposerEEE10hipError_tT1_T2_PT3_SK_jT4_jjP12ihipStream_tbEUlT_E_NS1_11comp_targetILNS1_3genE2ELNS1_11target_archE906ELNS1_3gpuE6ELNS1_3repE0EEENS1_52radix_sort_onesweep_histogram_config_static_selectorELNS0_4arch9wavefront6targetE1EEEvSI_,comdat
	.protected	_ZN7rocprim17ROCPRIM_400000_NS6detail17trampoline_kernelINS0_14default_configENS1_35radix_sort_onesweep_config_selectorIbiEEZNS1_34radix_sort_onesweep_global_offsetsIS3_Lb0EN6thrust23THRUST_200600_302600_NS6detail15normal_iteratorINS8_10device_ptrIbEEEENSA_INSB_IiEEEEjNS0_19identity_decomposerEEE10hipError_tT1_T2_PT3_SK_jT4_jjP12ihipStream_tbEUlT_E_NS1_11comp_targetILNS1_3genE2ELNS1_11target_archE906ELNS1_3gpuE6ELNS1_3repE0EEENS1_52radix_sort_onesweep_histogram_config_static_selectorELNS0_4arch9wavefront6targetE1EEEvSI_ ; -- Begin function _ZN7rocprim17ROCPRIM_400000_NS6detail17trampoline_kernelINS0_14default_configENS1_35radix_sort_onesweep_config_selectorIbiEEZNS1_34radix_sort_onesweep_global_offsetsIS3_Lb0EN6thrust23THRUST_200600_302600_NS6detail15normal_iteratorINS8_10device_ptrIbEEEENSA_INSB_IiEEEEjNS0_19identity_decomposerEEE10hipError_tT1_T2_PT3_SK_jT4_jjP12ihipStream_tbEUlT_E_NS1_11comp_targetILNS1_3genE2ELNS1_11target_archE906ELNS1_3gpuE6ELNS1_3repE0EEENS1_52radix_sort_onesweep_histogram_config_static_selectorELNS0_4arch9wavefront6targetE1EEEvSI_
	.globl	_ZN7rocprim17ROCPRIM_400000_NS6detail17trampoline_kernelINS0_14default_configENS1_35radix_sort_onesweep_config_selectorIbiEEZNS1_34radix_sort_onesweep_global_offsetsIS3_Lb0EN6thrust23THRUST_200600_302600_NS6detail15normal_iteratorINS8_10device_ptrIbEEEENSA_INSB_IiEEEEjNS0_19identity_decomposerEEE10hipError_tT1_T2_PT3_SK_jT4_jjP12ihipStream_tbEUlT_E_NS1_11comp_targetILNS1_3genE2ELNS1_11target_archE906ELNS1_3gpuE6ELNS1_3repE0EEENS1_52radix_sort_onesweep_histogram_config_static_selectorELNS0_4arch9wavefront6targetE1EEEvSI_
	.p2align	8
	.type	_ZN7rocprim17ROCPRIM_400000_NS6detail17trampoline_kernelINS0_14default_configENS1_35radix_sort_onesweep_config_selectorIbiEEZNS1_34radix_sort_onesweep_global_offsetsIS3_Lb0EN6thrust23THRUST_200600_302600_NS6detail15normal_iteratorINS8_10device_ptrIbEEEENSA_INSB_IiEEEEjNS0_19identity_decomposerEEE10hipError_tT1_T2_PT3_SK_jT4_jjP12ihipStream_tbEUlT_E_NS1_11comp_targetILNS1_3genE2ELNS1_11target_archE906ELNS1_3gpuE6ELNS1_3repE0EEENS1_52radix_sort_onesweep_histogram_config_static_selectorELNS0_4arch9wavefront6targetE1EEEvSI_,@function
_ZN7rocprim17ROCPRIM_400000_NS6detail17trampoline_kernelINS0_14default_configENS1_35radix_sort_onesweep_config_selectorIbiEEZNS1_34radix_sort_onesweep_global_offsetsIS3_Lb0EN6thrust23THRUST_200600_302600_NS6detail15normal_iteratorINS8_10device_ptrIbEEEENSA_INSB_IiEEEEjNS0_19identity_decomposerEEE10hipError_tT1_T2_PT3_SK_jT4_jjP12ihipStream_tbEUlT_E_NS1_11comp_targetILNS1_3genE2ELNS1_11target_archE906ELNS1_3gpuE6ELNS1_3repE0EEENS1_52radix_sort_onesweep_histogram_config_static_selectorELNS0_4arch9wavefront6targetE1EEEvSI_: ; @_ZN7rocprim17ROCPRIM_400000_NS6detail17trampoline_kernelINS0_14default_configENS1_35radix_sort_onesweep_config_selectorIbiEEZNS1_34radix_sort_onesweep_global_offsetsIS3_Lb0EN6thrust23THRUST_200600_302600_NS6detail15normal_iteratorINS8_10device_ptrIbEEEENSA_INSB_IiEEEEjNS0_19identity_decomposerEEE10hipError_tT1_T2_PT3_SK_jT4_jjP12ihipStream_tbEUlT_E_NS1_11comp_targetILNS1_3genE2ELNS1_11target_archE906ELNS1_3gpuE6ELNS1_3repE0EEENS1_52radix_sort_onesweep_histogram_config_static_selectorELNS0_4arch9wavefront6targetE1EEEvSI_
; %bb.0:
	.section	.rodata,"a",@progbits
	.p2align	6, 0x0
	.amdhsa_kernel _ZN7rocprim17ROCPRIM_400000_NS6detail17trampoline_kernelINS0_14default_configENS1_35radix_sort_onesweep_config_selectorIbiEEZNS1_34radix_sort_onesweep_global_offsetsIS3_Lb0EN6thrust23THRUST_200600_302600_NS6detail15normal_iteratorINS8_10device_ptrIbEEEENSA_INSB_IiEEEEjNS0_19identity_decomposerEEE10hipError_tT1_T2_PT3_SK_jT4_jjP12ihipStream_tbEUlT_E_NS1_11comp_targetILNS1_3genE2ELNS1_11target_archE906ELNS1_3gpuE6ELNS1_3repE0EEENS1_52radix_sort_onesweep_histogram_config_static_selectorELNS0_4arch9wavefront6targetE1EEEvSI_
		.amdhsa_group_segment_fixed_size 0
		.amdhsa_private_segment_fixed_size 0
		.amdhsa_kernarg_size 40
		.amdhsa_user_sgpr_count 2
		.amdhsa_user_sgpr_dispatch_ptr 0
		.amdhsa_user_sgpr_queue_ptr 0
		.amdhsa_user_sgpr_kernarg_segment_ptr 1
		.amdhsa_user_sgpr_dispatch_id 0
		.amdhsa_user_sgpr_kernarg_preload_length 0
		.amdhsa_user_sgpr_kernarg_preload_offset 0
		.amdhsa_user_sgpr_private_segment_size 0
		.amdhsa_uses_dynamic_stack 0
		.amdhsa_enable_private_segment 0
		.amdhsa_system_sgpr_workgroup_id_x 1
		.amdhsa_system_sgpr_workgroup_id_y 0
		.amdhsa_system_sgpr_workgroup_id_z 0
		.amdhsa_system_sgpr_workgroup_info 0
		.amdhsa_system_vgpr_workitem_id 0
		.amdhsa_next_free_vgpr 1
		.amdhsa_next_free_sgpr 0
		.amdhsa_accum_offset 4
		.amdhsa_reserve_vcc 0
		.amdhsa_float_round_mode_32 0
		.amdhsa_float_round_mode_16_64 0
		.amdhsa_float_denorm_mode_32 3
		.amdhsa_float_denorm_mode_16_64 3
		.amdhsa_dx10_clamp 1
		.amdhsa_ieee_mode 1
		.amdhsa_fp16_overflow 0
		.amdhsa_tg_split 0
		.amdhsa_exception_fp_ieee_invalid_op 0
		.amdhsa_exception_fp_denorm_src 0
		.amdhsa_exception_fp_ieee_div_zero 0
		.amdhsa_exception_fp_ieee_overflow 0
		.amdhsa_exception_fp_ieee_underflow 0
		.amdhsa_exception_fp_ieee_inexact 0
		.amdhsa_exception_int_div_zero 0
	.end_amdhsa_kernel
	.section	.text._ZN7rocprim17ROCPRIM_400000_NS6detail17trampoline_kernelINS0_14default_configENS1_35radix_sort_onesweep_config_selectorIbiEEZNS1_34radix_sort_onesweep_global_offsetsIS3_Lb0EN6thrust23THRUST_200600_302600_NS6detail15normal_iteratorINS8_10device_ptrIbEEEENSA_INSB_IiEEEEjNS0_19identity_decomposerEEE10hipError_tT1_T2_PT3_SK_jT4_jjP12ihipStream_tbEUlT_E_NS1_11comp_targetILNS1_3genE2ELNS1_11target_archE906ELNS1_3gpuE6ELNS1_3repE0EEENS1_52radix_sort_onesweep_histogram_config_static_selectorELNS0_4arch9wavefront6targetE1EEEvSI_,"axG",@progbits,_ZN7rocprim17ROCPRIM_400000_NS6detail17trampoline_kernelINS0_14default_configENS1_35radix_sort_onesweep_config_selectorIbiEEZNS1_34radix_sort_onesweep_global_offsetsIS3_Lb0EN6thrust23THRUST_200600_302600_NS6detail15normal_iteratorINS8_10device_ptrIbEEEENSA_INSB_IiEEEEjNS0_19identity_decomposerEEE10hipError_tT1_T2_PT3_SK_jT4_jjP12ihipStream_tbEUlT_E_NS1_11comp_targetILNS1_3genE2ELNS1_11target_archE906ELNS1_3gpuE6ELNS1_3repE0EEENS1_52radix_sort_onesweep_histogram_config_static_selectorELNS0_4arch9wavefront6targetE1EEEvSI_,comdat
.Lfunc_end2017:
	.size	_ZN7rocprim17ROCPRIM_400000_NS6detail17trampoline_kernelINS0_14default_configENS1_35radix_sort_onesweep_config_selectorIbiEEZNS1_34radix_sort_onesweep_global_offsetsIS3_Lb0EN6thrust23THRUST_200600_302600_NS6detail15normal_iteratorINS8_10device_ptrIbEEEENSA_INSB_IiEEEEjNS0_19identity_decomposerEEE10hipError_tT1_T2_PT3_SK_jT4_jjP12ihipStream_tbEUlT_E_NS1_11comp_targetILNS1_3genE2ELNS1_11target_archE906ELNS1_3gpuE6ELNS1_3repE0EEENS1_52radix_sort_onesweep_histogram_config_static_selectorELNS0_4arch9wavefront6targetE1EEEvSI_, .Lfunc_end2017-_ZN7rocprim17ROCPRIM_400000_NS6detail17trampoline_kernelINS0_14default_configENS1_35radix_sort_onesweep_config_selectorIbiEEZNS1_34radix_sort_onesweep_global_offsetsIS3_Lb0EN6thrust23THRUST_200600_302600_NS6detail15normal_iteratorINS8_10device_ptrIbEEEENSA_INSB_IiEEEEjNS0_19identity_decomposerEEE10hipError_tT1_T2_PT3_SK_jT4_jjP12ihipStream_tbEUlT_E_NS1_11comp_targetILNS1_3genE2ELNS1_11target_archE906ELNS1_3gpuE6ELNS1_3repE0EEENS1_52radix_sort_onesweep_histogram_config_static_selectorELNS0_4arch9wavefront6targetE1EEEvSI_
                                        ; -- End function
	.set _ZN7rocprim17ROCPRIM_400000_NS6detail17trampoline_kernelINS0_14default_configENS1_35radix_sort_onesweep_config_selectorIbiEEZNS1_34radix_sort_onesweep_global_offsetsIS3_Lb0EN6thrust23THRUST_200600_302600_NS6detail15normal_iteratorINS8_10device_ptrIbEEEENSA_INSB_IiEEEEjNS0_19identity_decomposerEEE10hipError_tT1_T2_PT3_SK_jT4_jjP12ihipStream_tbEUlT_E_NS1_11comp_targetILNS1_3genE2ELNS1_11target_archE906ELNS1_3gpuE6ELNS1_3repE0EEENS1_52radix_sort_onesweep_histogram_config_static_selectorELNS0_4arch9wavefront6targetE1EEEvSI_.num_vgpr, 0
	.set _ZN7rocprim17ROCPRIM_400000_NS6detail17trampoline_kernelINS0_14default_configENS1_35radix_sort_onesweep_config_selectorIbiEEZNS1_34radix_sort_onesweep_global_offsetsIS3_Lb0EN6thrust23THRUST_200600_302600_NS6detail15normal_iteratorINS8_10device_ptrIbEEEENSA_INSB_IiEEEEjNS0_19identity_decomposerEEE10hipError_tT1_T2_PT3_SK_jT4_jjP12ihipStream_tbEUlT_E_NS1_11comp_targetILNS1_3genE2ELNS1_11target_archE906ELNS1_3gpuE6ELNS1_3repE0EEENS1_52radix_sort_onesweep_histogram_config_static_selectorELNS0_4arch9wavefront6targetE1EEEvSI_.num_agpr, 0
	.set _ZN7rocprim17ROCPRIM_400000_NS6detail17trampoline_kernelINS0_14default_configENS1_35radix_sort_onesweep_config_selectorIbiEEZNS1_34radix_sort_onesweep_global_offsetsIS3_Lb0EN6thrust23THRUST_200600_302600_NS6detail15normal_iteratorINS8_10device_ptrIbEEEENSA_INSB_IiEEEEjNS0_19identity_decomposerEEE10hipError_tT1_T2_PT3_SK_jT4_jjP12ihipStream_tbEUlT_E_NS1_11comp_targetILNS1_3genE2ELNS1_11target_archE906ELNS1_3gpuE6ELNS1_3repE0EEENS1_52radix_sort_onesweep_histogram_config_static_selectorELNS0_4arch9wavefront6targetE1EEEvSI_.numbered_sgpr, 0
	.set _ZN7rocprim17ROCPRIM_400000_NS6detail17trampoline_kernelINS0_14default_configENS1_35radix_sort_onesweep_config_selectorIbiEEZNS1_34radix_sort_onesweep_global_offsetsIS3_Lb0EN6thrust23THRUST_200600_302600_NS6detail15normal_iteratorINS8_10device_ptrIbEEEENSA_INSB_IiEEEEjNS0_19identity_decomposerEEE10hipError_tT1_T2_PT3_SK_jT4_jjP12ihipStream_tbEUlT_E_NS1_11comp_targetILNS1_3genE2ELNS1_11target_archE906ELNS1_3gpuE6ELNS1_3repE0EEENS1_52radix_sort_onesweep_histogram_config_static_selectorELNS0_4arch9wavefront6targetE1EEEvSI_.num_named_barrier, 0
	.set _ZN7rocprim17ROCPRIM_400000_NS6detail17trampoline_kernelINS0_14default_configENS1_35radix_sort_onesweep_config_selectorIbiEEZNS1_34radix_sort_onesweep_global_offsetsIS3_Lb0EN6thrust23THRUST_200600_302600_NS6detail15normal_iteratorINS8_10device_ptrIbEEEENSA_INSB_IiEEEEjNS0_19identity_decomposerEEE10hipError_tT1_T2_PT3_SK_jT4_jjP12ihipStream_tbEUlT_E_NS1_11comp_targetILNS1_3genE2ELNS1_11target_archE906ELNS1_3gpuE6ELNS1_3repE0EEENS1_52radix_sort_onesweep_histogram_config_static_selectorELNS0_4arch9wavefront6targetE1EEEvSI_.private_seg_size, 0
	.set _ZN7rocprim17ROCPRIM_400000_NS6detail17trampoline_kernelINS0_14default_configENS1_35radix_sort_onesweep_config_selectorIbiEEZNS1_34radix_sort_onesweep_global_offsetsIS3_Lb0EN6thrust23THRUST_200600_302600_NS6detail15normal_iteratorINS8_10device_ptrIbEEEENSA_INSB_IiEEEEjNS0_19identity_decomposerEEE10hipError_tT1_T2_PT3_SK_jT4_jjP12ihipStream_tbEUlT_E_NS1_11comp_targetILNS1_3genE2ELNS1_11target_archE906ELNS1_3gpuE6ELNS1_3repE0EEENS1_52radix_sort_onesweep_histogram_config_static_selectorELNS0_4arch9wavefront6targetE1EEEvSI_.uses_vcc, 0
	.set _ZN7rocprim17ROCPRIM_400000_NS6detail17trampoline_kernelINS0_14default_configENS1_35radix_sort_onesweep_config_selectorIbiEEZNS1_34radix_sort_onesweep_global_offsetsIS3_Lb0EN6thrust23THRUST_200600_302600_NS6detail15normal_iteratorINS8_10device_ptrIbEEEENSA_INSB_IiEEEEjNS0_19identity_decomposerEEE10hipError_tT1_T2_PT3_SK_jT4_jjP12ihipStream_tbEUlT_E_NS1_11comp_targetILNS1_3genE2ELNS1_11target_archE906ELNS1_3gpuE6ELNS1_3repE0EEENS1_52radix_sort_onesweep_histogram_config_static_selectorELNS0_4arch9wavefront6targetE1EEEvSI_.uses_flat_scratch, 0
	.set _ZN7rocprim17ROCPRIM_400000_NS6detail17trampoline_kernelINS0_14default_configENS1_35radix_sort_onesweep_config_selectorIbiEEZNS1_34radix_sort_onesweep_global_offsetsIS3_Lb0EN6thrust23THRUST_200600_302600_NS6detail15normal_iteratorINS8_10device_ptrIbEEEENSA_INSB_IiEEEEjNS0_19identity_decomposerEEE10hipError_tT1_T2_PT3_SK_jT4_jjP12ihipStream_tbEUlT_E_NS1_11comp_targetILNS1_3genE2ELNS1_11target_archE906ELNS1_3gpuE6ELNS1_3repE0EEENS1_52radix_sort_onesweep_histogram_config_static_selectorELNS0_4arch9wavefront6targetE1EEEvSI_.has_dyn_sized_stack, 0
	.set _ZN7rocprim17ROCPRIM_400000_NS6detail17trampoline_kernelINS0_14default_configENS1_35radix_sort_onesweep_config_selectorIbiEEZNS1_34radix_sort_onesweep_global_offsetsIS3_Lb0EN6thrust23THRUST_200600_302600_NS6detail15normal_iteratorINS8_10device_ptrIbEEEENSA_INSB_IiEEEEjNS0_19identity_decomposerEEE10hipError_tT1_T2_PT3_SK_jT4_jjP12ihipStream_tbEUlT_E_NS1_11comp_targetILNS1_3genE2ELNS1_11target_archE906ELNS1_3gpuE6ELNS1_3repE0EEENS1_52radix_sort_onesweep_histogram_config_static_selectorELNS0_4arch9wavefront6targetE1EEEvSI_.has_recursion, 0
	.set _ZN7rocprim17ROCPRIM_400000_NS6detail17trampoline_kernelINS0_14default_configENS1_35radix_sort_onesweep_config_selectorIbiEEZNS1_34radix_sort_onesweep_global_offsetsIS3_Lb0EN6thrust23THRUST_200600_302600_NS6detail15normal_iteratorINS8_10device_ptrIbEEEENSA_INSB_IiEEEEjNS0_19identity_decomposerEEE10hipError_tT1_T2_PT3_SK_jT4_jjP12ihipStream_tbEUlT_E_NS1_11comp_targetILNS1_3genE2ELNS1_11target_archE906ELNS1_3gpuE6ELNS1_3repE0EEENS1_52radix_sort_onesweep_histogram_config_static_selectorELNS0_4arch9wavefront6targetE1EEEvSI_.has_indirect_call, 0
	.section	.AMDGPU.csdata,"",@progbits
; Kernel info:
; codeLenInByte = 0
; TotalNumSgprs: 6
; NumVgprs: 0
; NumAgprs: 0
; TotalNumVgprs: 0
; ScratchSize: 0
; MemoryBound: 0
; FloatMode: 240
; IeeeMode: 1
; LDSByteSize: 0 bytes/workgroup (compile time only)
; SGPRBlocks: 0
; VGPRBlocks: 0
; NumSGPRsForWavesPerEU: 6
; NumVGPRsForWavesPerEU: 1
; AccumOffset: 4
; Occupancy: 8
; WaveLimiterHint : 0
; COMPUTE_PGM_RSRC2:SCRATCH_EN: 0
; COMPUTE_PGM_RSRC2:USER_SGPR: 2
; COMPUTE_PGM_RSRC2:TRAP_HANDLER: 0
; COMPUTE_PGM_RSRC2:TGID_X_EN: 1
; COMPUTE_PGM_RSRC2:TGID_Y_EN: 0
; COMPUTE_PGM_RSRC2:TGID_Z_EN: 0
; COMPUTE_PGM_RSRC2:TIDIG_COMP_CNT: 0
; COMPUTE_PGM_RSRC3_GFX90A:ACCUM_OFFSET: 0
; COMPUTE_PGM_RSRC3_GFX90A:TG_SPLIT: 0
	.section	.text._ZN7rocprim17ROCPRIM_400000_NS6detail17trampoline_kernelINS0_14default_configENS1_35radix_sort_onesweep_config_selectorIbiEEZNS1_34radix_sort_onesweep_global_offsetsIS3_Lb0EN6thrust23THRUST_200600_302600_NS6detail15normal_iteratorINS8_10device_ptrIbEEEENSA_INSB_IiEEEEjNS0_19identity_decomposerEEE10hipError_tT1_T2_PT3_SK_jT4_jjP12ihipStream_tbEUlT_E_NS1_11comp_targetILNS1_3genE4ELNS1_11target_archE910ELNS1_3gpuE8ELNS1_3repE0EEENS1_52radix_sort_onesweep_histogram_config_static_selectorELNS0_4arch9wavefront6targetE1EEEvSI_,"axG",@progbits,_ZN7rocprim17ROCPRIM_400000_NS6detail17trampoline_kernelINS0_14default_configENS1_35radix_sort_onesweep_config_selectorIbiEEZNS1_34radix_sort_onesweep_global_offsetsIS3_Lb0EN6thrust23THRUST_200600_302600_NS6detail15normal_iteratorINS8_10device_ptrIbEEEENSA_INSB_IiEEEEjNS0_19identity_decomposerEEE10hipError_tT1_T2_PT3_SK_jT4_jjP12ihipStream_tbEUlT_E_NS1_11comp_targetILNS1_3genE4ELNS1_11target_archE910ELNS1_3gpuE8ELNS1_3repE0EEENS1_52radix_sort_onesweep_histogram_config_static_selectorELNS0_4arch9wavefront6targetE1EEEvSI_,comdat
	.protected	_ZN7rocprim17ROCPRIM_400000_NS6detail17trampoline_kernelINS0_14default_configENS1_35radix_sort_onesweep_config_selectorIbiEEZNS1_34radix_sort_onesweep_global_offsetsIS3_Lb0EN6thrust23THRUST_200600_302600_NS6detail15normal_iteratorINS8_10device_ptrIbEEEENSA_INSB_IiEEEEjNS0_19identity_decomposerEEE10hipError_tT1_T2_PT3_SK_jT4_jjP12ihipStream_tbEUlT_E_NS1_11comp_targetILNS1_3genE4ELNS1_11target_archE910ELNS1_3gpuE8ELNS1_3repE0EEENS1_52radix_sort_onesweep_histogram_config_static_selectorELNS0_4arch9wavefront6targetE1EEEvSI_ ; -- Begin function _ZN7rocprim17ROCPRIM_400000_NS6detail17trampoline_kernelINS0_14default_configENS1_35radix_sort_onesweep_config_selectorIbiEEZNS1_34radix_sort_onesweep_global_offsetsIS3_Lb0EN6thrust23THRUST_200600_302600_NS6detail15normal_iteratorINS8_10device_ptrIbEEEENSA_INSB_IiEEEEjNS0_19identity_decomposerEEE10hipError_tT1_T2_PT3_SK_jT4_jjP12ihipStream_tbEUlT_E_NS1_11comp_targetILNS1_3genE4ELNS1_11target_archE910ELNS1_3gpuE8ELNS1_3repE0EEENS1_52radix_sort_onesweep_histogram_config_static_selectorELNS0_4arch9wavefront6targetE1EEEvSI_
	.globl	_ZN7rocprim17ROCPRIM_400000_NS6detail17trampoline_kernelINS0_14default_configENS1_35radix_sort_onesweep_config_selectorIbiEEZNS1_34radix_sort_onesweep_global_offsetsIS3_Lb0EN6thrust23THRUST_200600_302600_NS6detail15normal_iteratorINS8_10device_ptrIbEEEENSA_INSB_IiEEEEjNS0_19identity_decomposerEEE10hipError_tT1_T2_PT3_SK_jT4_jjP12ihipStream_tbEUlT_E_NS1_11comp_targetILNS1_3genE4ELNS1_11target_archE910ELNS1_3gpuE8ELNS1_3repE0EEENS1_52radix_sort_onesweep_histogram_config_static_selectorELNS0_4arch9wavefront6targetE1EEEvSI_
	.p2align	8
	.type	_ZN7rocprim17ROCPRIM_400000_NS6detail17trampoline_kernelINS0_14default_configENS1_35radix_sort_onesweep_config_selectorIbiEEZNS1_34radix_sort_onesweep_global_offsetsIS3_Lb0EN6thrust23THRUST_200600_302600_NS6detail15normal_iteratorINS8_10device_ptrIbEEEENSA_INSB_IiEEEEjNS0_19identity_decomposerEEE10hipError_tT1_T2_PT3_SK_jT4_jjP12ihipStream_tbEUlT_E_NS1_11comp_targetILNS1_3genE4ELNS1_11target_archE910ELNS1_3gpuE8ELNS1_3repE0EEENS1_52radix_sort_onesweep_histogram_config_static_selectorELNS0_4arch9wavefront6targetE1EEEvSI_,@function
_ZN7rocprim17ROCPRIM_400000_NS6detail17trampoline_kernelINS0_14default_configENS1_35radix_sort_onesweep_config_selectorIbiEEZNS1_34radix_sort_onesweep_global_offsetsIS3_Lb0EN6thrust23THRUST_200600_302600_NS6detail15normal_iteratorINS8_10device_ptrIbEEEENSA_INSB_IiEEEEjNS0_19identity_decomposerEEE10hipError_tT1_T2_PT3_SK_jT4_jjP12ihipStream_tbEUlT_E_NS1_11comp_targetILNS1_3genE4ELNS1_11target_archE910ELNS1_3gpuE8ELNS1_3repE0EEENS1_52radix_sort_onesweep_histogram_config_static_selectorELNS0_4arch9wavefront6targetE1EEEvSI_: ; @_ZN7rocprim17ROCPRIM_400000_NS6detail17trampoline_kernelINS0_14default_configENS1_35radix_sort_onesweep_config_selectorIbiEEZNS1_34radix_sort_onesweep_global_offsetsIS3_Lb0EN6thrust23THRUST_200600_302600_NS6detail15normal_iteratorINS8_10device_ptrIbEEEENSA_INSB_IiEEEEjNS0_19identity_decomposerEEE10hipError_tT1_T2_PT3_SK_jT4_jjP12ihipStream_tbEUlT_E_NS1_11comp_targetILNS1_3genE4ELNS1_11target_archE910ELNS1_3gpuE8ELNS1_3repE0EEENS1_52radix_sort_onesweep_histogram_config_static_selectorELNS0_4arch9wavefront6targetE1EEEvSI_
; %bb.0:
	.section	.rodata,"a",@progbits
	.p2align	6, 0x0
	.amdhsa_kernel _ZN7rocprim17ROCPRIM_400000_NS6detail17trampoline_kernelINS0_14default_configENS1_35radix_sort_onesweep_config_selectorIbiEEZNS1_34radix_sort_onesweep_global_offsetsIS3_Lb0EN6thrust23THRUST_200600_302600_NS6detail15normal_iteratorINS8_10device_ptrIbEEEENSA_INSB_IiEEEEjNS0_19identity_decomposerEEE10hipError_tT1_T2_PT3_SK_jT4_jjP12ihipStream_tbEUlT_E_NS1_11comp_targetILNS1_3genE4ELNS1_11target_archE910ELNS1_3gpuE8ELNS1_3repE0EEENS1_52radix_sort_onesweep_histogram_config_static_selectorELNS0_4arch9wavefront6targetE1EEEvSI_
		.amdhsa_group_segment_fixed_size 0
		.amdhsa_private_segment_fixed_size 0
		.amdhsa_kernarg_size 40
		.amdhsa_user_sgpr_count 2
		.amdhsa_user_sgpr_dispatch_ptr 0
		.amdhsa_user_sgpr_queue_ptr 0
		.amdhsa_user_sgpr_kernarg_segment_ptr 1
		.amdhsa_user_sgpr_dispatch_id 0
		.amdhsa_user_sgpr_kernarg_preload_length 0
		.amdhsa_user_sgpr_kernarg_preload_offset 0
		.amdhsa_user_sgpr_private_segment_size 0
		.amdhsa_uses_dynamic_stack 0
		.amdhsa_enable_private_segment 0
		.amdhsa_system_sgpr_workgroup_id_x 1
		.amdhsa_system_sgpr_workgroup_id_y 0
		.amdhsa_system_sgpr_workgroup_id_z 0
		.amdhsa_system_sgpr_workgroup_info 0
		.amdhsa_system_vgpr_workitem_id 0
		.amdhsa_next_free_vgpr 1
		.amdhsa_next_free_sgpr 0
		.amdhsa_accum_offset 4
		.amdhsa_reserve_vcc 0
		.amdhsa_float_round_mode_32 0
		.amdhsa_float_round_mode_16_64 0
		.amdhsa_float_denorm_mode_32 3
		.amdhsa_float_denorm_mode_16_64 3
		.amdhsa_dx10_clamp 1
		.amdhsa_ieee_mode 1
		.amdhsa_fp16_overflow 0
		.amdhsa_tg_split 0
		.amdhsa_exception_fp_ieee_invalid_op 0
		.amdhsa_exception_fp_denorm_src 0
		.amdhsa_exception_fp_ieee_div_zero 0
		.amdhsa_exception_fp_ieee_overflow 0
		.amdhsa_exception_fp_ieee_underflow 0
		.amdhsa_exception_fp_ieee_inexact 0
		.amdhsa_exception_int_div_zero 0
	.end_amdhsa_kernel
	.section	.text._ZN7rocprim17ROCPRIM_400000_NS6detail17trampoline_kernelINS0_14default_configENS1_35radix_sort_onesweep_config_selectorIbiEEZNS1_34radix_sort_onesweep_global_offsetsIS3_Lb0EN6thrust23THRUST_200600_302600_NS6detail15normal_iteratorINS8_10device_ptrIbEEEENSA_INSB_IiEEEEjNS0_19identity_decomposerEEE10hipError_tT1_T2_PT3_SK_jT4_jjP12ihipStream_tbEUlT_E_NS1_11comp_targetILNS1_3genE4ELNS1_11target_archE910ELNS1_3gpuE8ELNS1_3repE0EEENS1_52radix_sort_onesweep_histogram_config_static_selectorELNS0_4arch9wavefront6targetE1EEEvSI_,"axG",@progbits,_ZN7rocprim17ROCPRIM_400000_NS6detail17trampoline_kernelINS0_14default_configENS1_35radix_sort_onesweep_config_selectorIbiEEZNS1_34radix_sort_onesweep_global_offsetsIS3_Lb0EN6thrust23THRUST_200600_302600_NS6detail15normal_iteratorINS8_10device_ptrIbEEEENSA_INSB_IiEEEEjNS0_19identity_decomposerEEE10hipError_tT1_T2_PT3_SK_jT4_jjP12ihipStream_tbEUlT_E_NS1_11comp_targetILNS1_3genE4ELNS1_11target_archE910ELNS1_3gpuE8ELNS1_3repE0EEENS1_52radix_sort_onesweep_histogram_config_static_selectorELNS0_4arch9wavefront6targetE1EEEvSI_,comdat
.Lfunc_end2018:
	.size	_ZN7rocprim17ROCPRIM_400000_NS6detail17trampoline_kernelINS0_14default_configENS1_35radix_sort_onesweep_config_selectorIbiEEZNS1_34radix_sort_onesweep_global_offsetsIS3_Lb0EN6thrust23THRUST_200600_302600_NS6detail15normal_iteratorINS8_10device_ptrIbEEEENSA_INSB_IiEEEEjNS0_19identity_decomposerEEE10hipError_tT1_T2_PT3_SK_jT4_jjP12ihipStream_tbEUlT_E_NS1_11comp_targetILNS1_3genE4ELNS1_11target_archE910ELNS1_3gpuE8ELNS1_3repE0EEENS1_52radix_sort_onesweep_histogram_config_static_selectorELNS0_4arch9wavefront6targetE1EEEvSI_, .Lfunc_end2018-_ZN7rocprim17ROCPRIM_400000_NS6detail17trampoline_kernelINS0_14default_configENS1_35radix_sort_onesweep_config_selectorIbiEEZNS1_34radix_sort_onesweep_global_offsetsIS3_Lb0EN6thrust23THRUST_200600_302600_NS6detail15normal_iteratorINS8_10device_ptrIbEEEENSA_INSB_IiEEEEjNS0_19identity_decomposerEEE10hipError_tT1_T2_PT3_SK_jT4_jjP12ihipStream_tbEUlT_E_NS1_11comp_targetILNS1_3genE4ELNS1_11target_archE910ELNS1_3gpuE8ELNS1_3repE0EEENS1_52radix_sort_onesweep_histogram_config_static_selectorELNS0_4arch9wavefront6targetE1EEEvSI_
                                        ; -- End function
	.set _ZN7rocprim17ROCPRIM_400000_NS6detail17trampoline_kernelINS0_14default_configENS1_35radix_sort_onesweep_config_selectorIbiEEZNS1_34radix_sort_onesweep_global_offsetsIS3_Lb0EN6thrust23THRUST_200600_302600_NS6detail15normal_iteratorINS8_10device_ptrIbEEEENSA_INSB_IiEEEEjNS0_19identity_decomposerEEE10hipError_tT1_T2_PT3_SK_jT4_jjP12ihipStream_tbEUlT_E_NS1_11comp_targetILNS1_3genE4ELNS1_11target_archE910ELNS1_3gpuE8ELNS1_3repE0EEENS1_52radix_sort_onesweep_histogram_config_static_selectorELNS0_4arch9wavefront6targetE1EEEvSI_.num_vgpr, 0
	.set _ZN7rocprim17ROCPRIM_400000_NS6detail17trampoline_kernelINS0_14default_configENS1_35radix_sort_onesweep_config_selectorIbiEEZNS1_34radix_sort_onesweep_global_offsetsIS3_Lb0EN6thrust23THRUST_200600_302600_NS6detail15normal_iteratorINS8_10device_ptrIbEEEENSA_INSB_IiEEEEjNS0_19identity_decomposerEEE10hipError_tT1_T2_PT3_SK_jT4_jjP12ihipStream_tbEUlT_E_NS1_11comp_targetILNS1_3genE4ELNS1_11target_archE910ELNS1_3gpuE8ELNS1_3repE0EEENS1_52radix_sort_onesweep_histogram_config_static_selectorELNS0_4arch9wavefront6targetE1EEEvSI_.num_agpr, 0
	.set _ZN7rocprim17ROCPRIM_400000_NS6detail17trampoline_kernelINS0_14default_configENS1_35radix_sort_onesweep_config_selectorIbiEEZNS1_34radix_sort_onesweep_global_offsetsIS3_Lb0EN6thrust23THRUST_200600_302600_NS6detail15normal_iteratorINS8_10device_ptrIbEEEENSA_INSB_IiEEEEjNS0_19identity_decomposerEEE10hipError_tT1_T2_PT3_SK_jT4_jjP12ihipStream_tbEUlT_E_NS1_11comp_targetILNS1_3genE4ELNS1_11target_archE910ELNS1_3gpuE8ELNS1_3repE0EEENS1_52radix_sort_onesweep_histogram_config_static_selectorELNS0_4arch9wavefront6targetE1EEEvSI_.numbered_sgpr, 0
	.set _ZN7rocprim17ROCPRIM_400000_NS6detail17trampoline_kernelINS0_14default_configENS1_35radix_sort_onesweep_config_selectorIbiEEZNS1_34radix_sort_onesweep_global_offsetsIS3_Lb0EN6thrust23THRUST_200600_302600_NS6detail15normal_iteratorINS8_10device_ptrIbEEEENSA_INSB_IiEEEEjNS0_19identity_decomposerEEE10hipError_tT1_T2_PT3_SK_jT4_jjP12ihipStream_tbEUlT_E_NS1_11comp_targetILNS1_3genE4ELNS1_11target_archE910ELNS1_3gpuE8ELNS1_3repE0EEENS1_52radix_sort_onesweep_histogram_config_static_selectorELNS0_4arch9wavefront6targetE1EEEvSI_.num_named_barrier, 0
	.set _ZN7rocprim17ROCPRIM_400000_NS6detail17trampoline_kernelINS0_14default_configENS1_35radix_sort_onesweep_config_selectorIbiEEZNS1_34radix_sort_onesweep_global_offsetsIS3_Lb0EN6thrust23THRUST_200600_302600_NS6detail15normal_iteratorINS8_10device_ptrIbEEEENSA_INSB_IiEEEEjNS0_19identity_decomposerEEE10hipError_tT1_T2_PT3_SK_jT4_jjP12ihipStream_tbEUlT_E_NS1_11comp_targetILNS1_3genE4ELNS1_11target_archE910ELNS1_3gpuE8ELNS1_3repE0EEENS1_52radix_sort_onesweep_histogram_config_static_selectorELNS0_4arch9wavefront6targetE1EEEvSI_.private_seg_size, 0
	.set _ZN7rocprim17ROCPRIM_400000_NS6detail17trampoline_kernelINS0_14default_configENS1_35radix_sort_onesweep_config_selectorIbiEEZNS1_34radix_sort_onesweep_global_offsetsIS3_Lb0EN6thrust23THRUST_200600_302600_NS6detail15normal_iteratorINS8_10device_ptrIbEEEENSA_INSB_IiEEEEjNS0_19identity_decomposerEEE10hipError_tT1_T2_PT3_SK_jT4_jjP12ihipStream_tbEUlT_E_NS1_11comp_targetILNS1_3genE4ELNS1_11target_archE910ELNS1_3gpuE8ELNS1_3repE0EEENS1_52radix_sort_onesweep_histogram_config_static_selectorELNS0_4arch9wavefront6targetE1EEEvSI_.uses_vcc, 0
	.set _ZN7rocprim17ROCPRIM_400000_NS6detail17trampoline_kernelINS0_14default_configENS1_35radix_sort_onesweep_config_selectorIbiEEZNS1_34radix_sort_onesweep_global_offsetsIS3_Lb0EN6thrust23THRUST_200600_302600_NS6detail15normal_iteratorINS8_10device_ptrIbEEEENSA_INSB_IiEEEEjNS0_19identity_decomposerEEE10hipError_tT1_T2_PT3_SK_jT4_jjP12ihipStream_tbEUlT_E_NS1_11comp_targetILNS1_3genE4ELNS1_11target_archE910ELNS1_3gpuE8ELNS1_3repE0EEENS1_52radix_sort_onesweep_histogram_config_static_selectorELNS0_4arch9wavefront6targetE1EEEvSI_.uses_flat_scratch, 0
	.set _ZN7rocprim17ROCPRIM_400000_NS6detail17trampoline_kernelINS0_14default_configENS1_35radix_sort_onesweep_config_selectorIbiEEZNS1_34radix_sort_onesweep_global_offsetsIS3_Lb0EN6thrust23THRUST_200600_302600_NS6detail15normal_iteratorINS8_10device_ptrIbEEEENSA_INSB_IiEEEEjNS0_19identity_decomposerEEE10hipError_tT1_T2_PT3_SK_jT4_jjP12ihipStream_tbEUlT_E_NS1_11comp_targetILNS1_3genE4ELNS1_11target_archE910ELNS1_3gpuE8ELNS1_3repE0EEENS1_52radix_sort_onesweep_histogram_config_static_selectorELNS0_4arch9wavefront6targetE1EEEvSI_.has_dyn_sized_stack, 0
	.set _ZN7rocprim17ROCPRIM_400000_NS6detail17trampoline_kernelINS0_14default_configENS1_35radix_sort_onesweep_config_selectorIbiEEZNS1_34radix_sort_onesweep_global_offsetsIS3_Lb0EN6thrust23THRUST_200600_302600_NS6detail15normal_iteratorINS8_10device_ptrIbEEEENSA_INSB_IiEEEEjNS0_19identity_decomposerEEE10hipError_tT1_T2_PT3_SK_jT4_jjP12ihipStream_tbEUlT_E_NS1_11comp_targetILNS1_3genE4ELNS1_11target_archE910ELNS1_3gpuE8ELNS1_3repE0EEENS1_52radix_sort_onesweep_histogram_config_static_selectorELNS0_4arch9wavefront6targetE1EEEvSI_.has_recursion, 0
	.set _ZN7rocprim17ROCPRIM_400000_NS6detail17trampoline_kernelINS0_14default_configENS1_35radix_sort_onesweep_config_selectorIbiEEZNS1_34radix_sort_onesweep_global_offsetsIS3_Lb0EN6thrust23THRUST_200600_302600_NS6detail15normal_iteratorINS8_10device_ptrIbEEEENSA_INSB_IiEEEEjNS0_19identity_decomposerEEE10hipError_tT1_T2_PT3_SK_jT4_jjP12ihipStream_tbEUlT_E_NS1_11comp_targetILNS1_3genE4ELNS1_11target_archE910ELNS1_3gpuE8ELNS1_3repE0EEENS1_52radix_sort_onesweep_histogram_config_static_selectorELNS0_4arch9wavefront6targetE1EEEvSI_.has_indirect_call, 0
	.section	.AMDGPU.csdata,"",@progbits
; Kernel info:
; codeLenInByte = 0
; TotalNumSgprs: 6
; NumVgprs: 0
; NumAgprs: 0
; TotalNumVgprs: 0
; ScratchSize: 0
; MemoryBound: 0
; FloatMode: 240
; IeeeMode: 1
; LDSByteSize: 0 bytes/workgroup (compile time only)
; SGPRBlocks: 0
; VGPRBlocks: 0
; NumSGPRsForWavesPerEU: 6
; NumVGPRsForWavesPerEU: 1
; AccumOffset: 4
; Occupancy: 8
; WaveLimiterHint : 0
; COMPUTE_PGM_RSRC2:SCRATCH_EN: 0
; COMPUTE_PGM_RSRC2:USER_SGPR: 2
; COMPUTE_PGM_RSRC2:TRAP_HANDLER: 0
; COMPUTE_PGM_RSRC2:TGID_X_EN: 1
; COMPUTE_PGM_RSRC2:TGID_Y_EN: 0
; COMPUTE_PGM_RSRC2:TGID_Z_EN: 0
; COMPUTE_PGM_RSRC2:TIDIG_COMP_CNT: 0
; COMPUTE_PGM_RSRC3_GFX90A:ACCUM_OFFSET: 0
; COMPUTE_PGM_RSRC3_GFX90A:TG_SPLIT: 0
	.section	.text._ZN7rocprim17ROCPRIM_400000_NS6detail17trampoline_kernelINS0_14default_configENS1_35radix_sort_onesweep_config_selectorIbiEEZNS1_34radix_sort_onesweep_global_offsetsIS3_Lb0EN6thrust23THRUST_200600_302600_NS6detail15normal_iteratorINS8_10device_ptrIbEEEENSA_INSB_IiEEEEjNS0_19identity_decomposerEEE10hipError_tT1_T2_PT3_SK_jT4_jjP12ihipStream_tbEUlT_E_NS1_11comp_targetILNS1_3genE3ELNS1_11target_archE908ELNS1_3gpuE7ELNS1_3repE0EEENS1_52radix_sort_onesweep_histogram_config_static_selectorELNS0_4arch9wavefront6targetE1EEEvSI_,"axG",@progbits,_ZN7rocprim17ROCPRIM_400000_NS6detail17trampoline_kernelINS0_14default_configENS1_35radix_sort_onesweep_config_selectorIbiEEZNS1_34radix_sort_onesweep_global_offsetsIS3_Lb0EN6thrust23THRUST_200600_302600_NS6detail15normal_iteratorINS8_10device_ptrIbEEEENSA_INSB_IiEEEEjNS0_19identity_decomposerEEE10hipError_tT1_T2_PT3_SK_jT4_jjP12ihipStream_tbEUlT_E_NS1_11comp_targetILNS1_3genE3ELNS1_11target_archE908ELNS1_3gpuE7ELNS1_3repE0EEENS1_52radix_sort_onesweep_histogram_config_static_selectorELNS0_4arch9wavefront6targetE1EEEvSI_,comdat
	.protected	_ZN7rocprim17ROCPRIM_400000_NS6detail17trampoline_kernelINS0_14default_configENS1_35radix_sort_onesweep_config_selectorIbiEEZNS1_34radix_sort_onesweep_global_offsetsIS3_Lb0EN6thrust23THRUST_200600_302600_NS6detail15normal_iteratorINS8_10device_ptrIbEEEENSA_INSB_IiEEEEjNS0_19identity_decomposerEEE10hipError_tT1_T2_PT3_SK_jT4_jjP12ihipStream_tbEUlT_E_NS1_11comp_targetILNS1_3genE3ELNS1_11target_archE908ELNS1_3gpuE7ELNS1_3repE0EEENS1_52radix_sort_onesweep_histogram_config_static_selectorELNS0_4arch9wavefront6targetE1EEEvSI_ ; -- Begin function _ZN7rocprim17ROCPRIM_400000_NS6detail17trampoline_kernelINS0_14default_configENS1_35radix_sort_onesweep_config_selectorIbiEEZNS1_34radix_sort_onesweep_global_offsetsIS3_Lb0EN6thrust23THRUST_200600_302600_NS6detail15normal_iteratorINS8_10device_ptrIbEEEENSA_INSB_IiEEEEjNS0_19identity_decomposerEEE10hipError_tT1_T2_PT3_SK_jT4_jjP12ihipStream_tbEUlT_E_NS1_11comp_targetILNS1_3genE3ELNS1_11target_archE908ELNS1_3gpuE7ELNS1_3repE0EEENS1_52radix_sort_onesweep_histogram_config_static_selectorELNS0_4arch9wavefront6targetE1EEEvSI_
	.globl	_ZN7rocprim17ROCPRIM_400000_NS6detail17trampoline_kernelINS0_14default_configENS1_35radix_sort_onesweep_config_selectorIbiEEZNS1_34radix_sort_onesweep_global_offsetsIS3_Lb0EN6thrust23THRUST_200600_302600_NS6detail15normal_iteratorINS8_10device_ptrIbEEEENSA_INSB_IiEEEEjNS0_19identity_decomposerEEE10hipError_tT1_T2_PT3_SK_jT4_jjP12ihipStream_tbEUlT_E_NS1_11comp_targetILNS1_3genE3ELNS1_11target_archE908ELNS1_3gpuE7ELNS1_3repE0EEENS1_52radix_sort_onesweep_histogram_config_static_selectorELNS0_4arch9wavefront6targetE1EEEvSI_
	.p2align	8
	.type	_ZN7rocprim17ROCPRIM_400000_NS6detail17trampoline_kernelINS0_14default_configENS1_35radix_sort_onesweep_config_selectorIbiEEZNS1_34radix_sort_onesweep_global_offsetsIS3_Lb0EN6thrust23THRUST_200600_302600_NS6detail15normal_iteratorINS8_10device_ptrIbEEEENSA_INSB_IiEEEEjNS0_19identity_decomposerEEE10hipError_tT1_T2_PT3_SK_jT4_jjP12ihipStream_tbEUlT_E_NS1_11comp_targetILNS1_3genE3ELNS1_11target_archE908ELNS1_3gpuE7ELNS1_3repE0EEENS1_52radix_sort_onesweep_histogram_config_static_selectorELNS0_4arch9wavefront6targetE1EEEvSI_,@function
_ZN7rocprim17ROCPRIM_400000_NS6detail17trampoline_kernelINS0_14default_configENS1_35radix_sort_onesweep_config_selectorIbiEEZNS1_34radix_sort_onesweep_global_offsetsIS3_Lb0EN6thrust23THRUST_200600_302600_NS6detail15normal_iteratorINS8_10device_ptrIbEEEENSA_INSB_IiEEEEjNS0_19identity_decomposerEEE10hipError_tT1_T2_PT3_SK_jT4_jjP12ihipStream_tbEUlT_E_NS1_11comp_targetILNS1_3genE3ELNS1_11target_archE908ELNS1_3gpuE7ELNS1_3repE0EEENS1_52radix_sort_onesweep_histogram_config_static_selectorELNS0_4arch9wavefront6targetE1EEEvSI_: ; @_ZN7rocprim17ROCPRIM_400000_NS6detail17trampoline_kernelINS0_14default_configENS1_35radix_sort_onesweep_config_selectorIbiEEZNS1_34radix_sort_onesweep_global_offsetsIS3_Lb0EN6thrust23THRUST_200600_302600_NS6detail15normal_iteratorINS8_10device_ptrIbEEEENSA_INSB_IiEEEEjNS0_19identity_decomposerEEE10hipError_tT1_T2_PT3_SK_jT4_jjP12ihipStream_tbEUlT_E_NS1_11comp_targetILNS1_3genE3ELNS1_11target_archE908ELNS1_3gpuE7ELNS1_3repE0EEENS1_52radix_sort_onesweep_histogram_config_static_selectorELNS0_4arch9wavefront6targetE1EEEvSI_
; %bb.0:
	.section	.rodata,"a",@progbits
	.p2align	6, 0x0
	.amdhsa_kernel _ZN7rocprim17ROCPRIM_400000_NS6detail17trampoline_kernelINS0_14default_configENS1_35radix_sort_onesweep_config_selectorIbiEEZNS1_34radix_sort_onesweep_global_offsetsIS3_Lb0EN6thrust23THRUST_200600_302600_NS6detail15normal_iteratorINS8_10device_ptrIbEEEENSA_INSB_IiEEEEjNS0_19identity_decomposerEEE10hipError_tT1_T2_PT3_SK_jT4_jjP12ihipStream_tbEUlT_E_NS1_11comp_targetILNS1_3genE3ELNS1_11target_archE908ELNS1_3gpuE7ELNS1_3repE0EEENS1_52radix_sort_onesweep_histogram_config_static_selectorELNS0_4arch9wavefront6targetE1EEEvSI_
		.amdhsa_group_segment_fixed_size 0
		.amdhsa_private_segment_fixed_size 0
		.amdhsa_kernarg_size 40
		.amdhsa_user_sgpr_count 2
		.amdhsa_user_sgpr_dispatch_ptr 0
		.amdhsa_user_sgpr_queue_ptr 0
		.amdhsa_user_sgpr_kernarg_segment_ptr 1
		.amdhsa_user_sgpr_dispatch_id 0
		.amdhsa_user_sgpr_kernarg_preload_length 0
		.amdhsa_user_sgpr_kernarg_preload_offset 0
		.amdhsa_user_sgpr_private_segment_size 0
		.amdhsa_uses_dynamic_stack 0
		.amdhsa_enable_private_segment 0
		.amdhsa_system_sgpr_workgroup_id_x 1
		.amdhsa_system_sgpr_workgroup_id_y 0
		.amdhsa_system_sgpr_workgroup_id_z 0
		.amdhsa_system_sgpr_workgroup_info 0
		.amdhsa_system_vgpr_workitem_id 0
		.amdhsa_next_free_vgpr 1
		.amdhsa_next_free_sgpr 0
		.amdhsa_accum_offset 4
		.amdhsa_reserve_vcc 0
		.amdhsa_float_round_mode_32 0
		.amdhsa_float_round_mode_16_64 0
		.amdhsa_float_denorm_mode_32 3
		.amdhsa_float_denorm_mode_16_64 3
		.amdhsa_dx10_clamp 1
		.amdhsa_ieee_mode 1
		.amdhsa_fp16_overflow 0
		.amdhsa_tg_split 0
		.amdhsa_exception_fp_ieee_invalid_op 0
		.amdhsa_exception_fp_denorm_src 0
		.amdhsa_exception_fp_ieee_div_zero 0
		.amdhsa_exception_fp_ieee_overflow 0
		.amdhsa_exception_fp_ieee_underflow 0
		.amdhsa_exception_fp_ieee_inexact 0
		.amdhsa_exception_int_div_zero 0
	.end_amdhsa_kernel
	.section	.text._ZN7rocprim17ROCPRIM_400000_NS6detail17trampoline_kernelINS0_14default_configENS1_35radix_sort_onesweep_config_selectorIbiEEZNS1_34radix_sort_onesweep_global_offsetsIS3_Lb0EN6thrust23THRUST_200600_302600_NS6detail15normal_iteratorINS8_10device_ptrIbEEEENSA_INSB_IiEEEEjNS0_19identity_decomposerEEE10hipError_tT1_T2_PT3_SK_jT4_jjP12ihipStream_tbEUlT_E_NS1_11comp_targetILNS1_3genE3ELNS1_11target_archE908ELNS1_3gpuE7ELNS1_3repE0EEENS1_52radix_sort_onesweep_histogram_config_static_selectorELNS0_4arch9wavefront6targetE1EEEvSI_,"axG",@progbits,_ZN7rocprim17ROCPRIM_400000_NS6detail17trampoline_kernelINS0_14default_configENS1_35radix_sort_onesweep_config_selectorIbiEEZNS1_34radix_sort_onesweep_global_offsetsIS3_Lb0EN6thrust23THRUST_200600_302600_NS6detail15normal_iteratorINS8_10device_ptrIbEEEENSA_INSB_IiEEEEjNS0_19identity_decomposerEEE10hipError_tT1_T2_PT3_SK_jT4_jjP12ihipStream_tbEUlT_E_NS1_11comp_targetILNS1_3genE3ELNS1_11target_archE908ELNS1_3gpuE7ELNS1_3repE0EEENS1_52radix_sort_onesweep_histogram_config_static_selectorELNS0_4arch9wavefront6targetE1EEEvSI_,comdat
.Lfunc_end2019:
	.size	_ZN7rocprim17ROCPRIM_400000_NS6detail17trampoline_kernelINS0_14default_configENS1_35radix_sort_onesweep_config_selectorIbiEEZNS1_34radix_sort_onesweep_global_offsetsIS3_Lb0EN6thrust23THRUST_200600_302600_NS6detail15normal_iteratorINS8_10device_ptrIbEEEENSA_INSB_IiEEEEjNS0_19identity_decomposerEEE10hipError_tT1_T2_PT3_SK_jT4_jjP12ihipStream_tbEUlT_E_NS1_11comp_targetILNS1_3genE3ELNS1_11target_archE908ELNS1_3gpuE7ELNS1_3repE0EEENS1_52radix_sort_onesweep_histogram_config_static_selectorELNS0_4arch9wavefront6targetE1EEEvSI_, .Lfunc_end2019-_ZN7rocprim17ROCPRIM_400000_NS6detail17trampoline_kernelINS0_14default_configENS1_35radix_sort_onesweep_config_selectorIbiEEZNS1_34radix_sort_onesweep_global_offsetsIS3_Lb0EN6thrust23THRUST_200600_302600_NS6detail15normal_iteratorINS8_10device_ptrIbEEEENSA_INSB_IiEEEEjNS0_19identity_decomposerEEE10hipError_tT1_T2_PT3_SK_jT4_jjP12ihipStream_tbEUlT_E_NS1_11comp_targetILNS1_3genE3ELNS1_11target_archE908ELNS1_3gpuE7ELNS1_3repE0EEENS1_52radix_sort_onesweep_histogram_config_static_selectorELNS0_4arch9wavefront6targetE1EEEvSI_
                                        ; -- End function
	.set _ZN7rocprim17ROCPRIM_400000_NS6detail17trampoline_kernelINS0_14default_configENS1_35radix_sort_onesweep_config_selectorIbiEEZNS1_34radix_sort_onesweep_global_offsetsIS3_Lb0EN6thrust23THRUST_200600_302600_NS6detail15normal_iteratorINS8_10device_ptrIbEEEENSA_INSB_IiEEEEjNS0_19identity_decomposerEEE10hipError_tT1_T2_PT3_SK_jT4_jjP12ihipStream_tbEUlT_E_NS1_11comp_targetILNS1_3genE3ELNS1_11target_archE908ELNS1_3gpuE7ELNS1_3repE0EEENS1_52radix_sort_onesweep_histogram_config_static_selectorELNS0_4arch9wavefront6targetE1EEEvSI_.num_vgpr, 0
	.set _ZN7rocprim17ROCPRIM_400000_NS6detail17trampoline_kernelINS0_14default_configENS1_35radix_sort_onesweep_config_selectorIbiEEZNS1_34radix_sort_onesweep_global_offsetsIS3_Lb0EN6thrust23THRUST_200600_302600_NS6detail15normal_iteratorINS8_10device_ptrIbEEEENSA_INSB_IiEEEEjNS0_19identity_decomposerEEE10hipError_tT1_T2_PT3_SK_jT4_jjP12ihipStream_tbEUlT_E_NS1_11comp_targetILNS1_3genE3ELNS1_11target_archE908ELNS1_3gpuE7ELNS1_3repE0EEENS1_52radix_sort_onesweep_histogram_config_static_selectorELNS0_4arch9wavefront6targetE1EEEvSI_.num_agpr, 0
	.set _ZN7rocprim17ROCPRIM_400000_NS6detail17trampoline_kernelINS0_14default_configENS1_35radix_sort_onesweep_config_selectorIbiEEZNS1_34radix_sort_onesweep_global_offsetsIS3_Lb0EN6thrust23THRUST_200600_302600_NS6detail15normal_iteratorINS8_10device_ptrIbEEEENSA_INSB_IiEEEEjNS0_19identity_decomposerEEE10hipError_tT1_T2_PT3_SK_jT4_jjP12ihipStream_tbEUlT_E_NS1_11comp_targetILNS1_3genE3ELNS1_11target_archE908ELNS1_3gpuE7ELNS1_3repE0EEENS1_52radix_sort_onesweep_histogram_config_static_selectorELNS0_4arch9wavefront6targetE1EEEvSI_.numbered_sgpr, 0
	.set _ZN7rocprim17ROCPRIM_400000_NS6detail17trampoline_kernelINS0_14default_configENS1_35radix_sort_onesweep_config_selectorIbiEEZNS1_34radix_sort_onesweep_global_offsetsIS3_Lb0EN6thrust23THRUST_200600_302600_NS6detail15normal_iteratorINS8_10device_ptrIbEEEENSA_INSB_IiEEEEjNS0_19identity_decomposerEEE10hipError_tT1_T2_PT3_SK_jT4_jjP12ihipStream_tbEUlT_E_NS1_11comp_targetILNS1_3genE3ELNS1_11target_archE908ELNS1_3gpuE7ELNS1_3repE0EEENS1_52radix_sort_onesweep_histogram_config_static_selectorELNS0_4arch9wavefront6targetE1EEEvSI_.num_named_barrier, 0
	.set _ZN7rocprim17ROCPRIM_400000_NS6detail17trampoline_kernelINS0_14default_configENS1_35radix_sort_onesweep_config_selectorIbiEEZNS1_34radix_sort_onesweep_global_offsetsIS3_Lb0EN6thrust23THRUST_200600_302600_NS6detail15normal_iteratorINS8_10device_ptrIbEEEENSA_INSB_IiEEEEjNS0_19identity_decomposerEEE10hipError_tT1_T2_PT3_SK_jT4_jjP12ihipStream_tbEUlT_E_NS1_11comp_targetILNS1_3genE3ELNS1_11target_archE908ELNS1_3gpuE7ELNS1_3repE0EEENS1_52radix_sort_onesweep_histogram_config_static_selectorELNS0_4arch9wavefront6targetE1EEEvSI_.private_seg_size, 0
	.set _ZN7rocprim17ROCPRIM_400000_NS6detail17trampoline_kernelINS0_14default_configENS1_35radix_sort_onesweep_config_selectorIbiEEZNS1_34radix_sort_onesweep_global_offsetsIS3_Lb0EN6thrust23THRUST_200600_302600_NS6detail15normal_iteratorINS8_10device_ptrIbEEEENSA_INSB_IiEEEEjNS0_19identity_decomposerEEE10hipError_tT1_T2_PT3_SK_jT4_jjP12ihipStream_tbEUlT_E_NS1_11comp_targetILNS1_3genE3ELNS1_11target_archE908ELNS1_3gpuE7ELNS1_3repE0EEENS1_52radix_sort_onesweep_histogram_config_static_selectorELNS0_4arch9wavefront6targetE1EEEvSI_.uses_vcc, 0
	.set _ZN7rocprim17ROCPRIM_400000_NS6detail17trampoline_kernelINS0_14default_configENS1_35radix_sort_onesweep_config_selectorIbiEEZNS1_34radix_sort_onesweep_global_offsetsIS3_Lb0EN6thrust23THRUST_200600_302600_NS6detail15normal_iteratorINS8_10device_ptrIbEEEENSA_INSB_IiEEEEjNS0_19identity_decomposerEEE10hipError_tT1_T2_PT3_SK_jT4_jjP12ihipStream_tbEUlT_E_NS1_11comp_targetILNS1_3genE3ELNS1_11target_archE908ELNS1_3gpuE7ELNS1_3repE0EEENS1_52radix_sort_onesweep_histogram_config_static_selectorELNS0_4arch9wavefront6targetE1EEEvSI_.uses_flat_scratch, 0
	.set _ZN7rocprim17ROCPRIM_400000_NS6detail17trampoline_kernelINS0_14default_configENS1_35radix_sort_onesweep_config_selectorIbiEEZNS1_34radix_sort_onesweep_global_offsetsIS3_Lb0EN6thrust23THRUST_200600_302600_NS6detail15normal_iteratorINS8_10device_ptrIbEEEENSA_INSB_IiEEEEjNS0_19identity_decomposerEEE10hipError_tT1_T2_PT3_SK_jT4_jjP12ihipStream_tbEUlT_E_NS1_11comp_targetILNS1_3genE3ELNS1_11target_archE908ELNS1_3gpuE7ELNS1_3repE0EEENS1_52radix_sort_onesweep_histogram_config_static_selectorELNS0_4arch9wavefront6targetE1EEEvSI_.has_dyn_sized_stack, 0
	.set _ZN7rocprim17ROCPRIM_400000_NS6detail17trampoline_kernelINS0_14default_configENS1_35radix_sort_onesweep_config_selectorIbiEEZNS1_34radix_sort_onesweep_global_offsetsIS3_Lb0EN6thrust23THRUST_200600_302600_NS6detail15normal_iteratorINS8_10device_ptrIbEEEENSA_INSB_IiEEEEjNS0_19identity_decomposerEEE10hipError_tT1_T2_PT3_SK_jT4_jjP12ihipStream_tbEUlT_E_NS1_11comp_targetILNS1_3genE3ELNS1_11target_archE908ELNS1_3gpuE7ELNS1_3repE0EEENS1_52radix_sort_onesweep_histogram_config_static_selectorELNS0_4arch9wavefront6targetE1EEEvSI_.has_recursion, 0
	.set _ZN7rocprim17ROCPRIM_400000_NS6detail17trampoline_kernelINS0_14default_configENS1_35radix_sort_onesweep_config_selectorIbiEEZNS1_34radix_sort_onesweep_global_offsetsIS3_Lb0EN6thrust23THRUST_200600_302600_NS6detail15normal_iteratorINS8_10device_ptrIbEEEENSA_INSB_IiEEEEjNS0_19identity_decomposerEEE10hipError_tT1_T2_PT3_SK_jT4_jjP12ihipStream_tbEUlT_E_NS1_11comp_targetILNS1_3genE3ELNS1_11target_archE908ELNS1_3gpuE7ELNS1_3repE0EEENS1_52radix_sort_onesweep_histogram_config_static_selectorELNS0_4arch9wavefront6targetE1EEEvSI_.has_indirect_call, 0
	.section	.AMDGPU.csdata,"",@progbits
; Kernel info:
; codeLenInByte = 0
; TotalNumSgprs: 6
; NumVgprs: 0
; NumAgprs: 0
; TotalNumVgprs: 0
; ScratchSize: 0
; MemoryBound: 0
; FloatMode: 240
; IeeeMode: 1
; LDSByteSize: 0 bytes/workgroup (compile time only)
; SGPRBlocks: 0
; VGPRBlocks: 0
; NumSGPRsForWavesPerEU: 6
; NumVGPRsForWavesPerEU: 1
; AccumOffset: 4
; Occupancy: 8
; WaveLimiterHint : 0
; COMPUTE_PGM_RSRC2:SCRATCH_EN: 0
; COMPUTE_PGM_RSRC2:USER_SGPR: 2
; COMPUTE_PGM_RSRC2:TRAP_HANDLER: 0
; COMPUTE_PGM_RSRC2:TGID_X_EN: 1
; COMPUTE_PGM_RSRC2:TGID_Y_EN: 0
; COMPUTE_PGM_RSRC2:TGID_Z_EN: 0
; COMPUTE_PGM_RSRC2:TIDIG_COMP_CNT: 0
; COMPUTE_PGM_RSRC3_GFX90A:ACCUM_OFFSET: 0
; COMPUTE_PGM_RSRC3_GFX90A:TG_SPLIT: 0
	.section	.text._ZN7rocprim17ROCPRIM_400000_NS6detail17trampoline_kernelINS0_14default_configENS1_35radix_sort_onesweep_config_selectorIbiEEZNS1_34radix_sort_onesweep_global_offsetsIS3_Lb0EN6thrust23THRUST_200600_302600_NS6detail15normal_iteratorINS8_10device_ptrIbEEEENSA_INSB_IiEEEEjNS0_19identity_decomposerEEE10hipError_tT1_T2_PT3_SK_jT4_jjP12ihipStream_tbEUlT_E_NS1_11comp_targetILNS1_3genE10ELNS1_11target_archE1201ELNS1_3gpuE5ELNS1_3repE0EEENS1_52radix_sort_onesweep_histogram_config_static_selectorELNS0_4arch9wavefront6targetE1EEEvSI_,"axG",@progbits,_ZN7rocprim17ROCPRIM_400000_NS6detail17trampoline_kernelINS0_14default_configENS1_35radix_sort_onesweep_config_selectorIbiEEZNS1_34radix_sort_onesweep_global_offsetsIS3_Lb0EN6thrust23THRUST_200600_302600_NS6detail15normal_iteratorINS8_10device_ptrIbEEEENSA_INSB_IiEEEEjNS0_19identity_decomposerEEE10hipError_tT1_T2_PT3_SK_jT4_jjP12ihipStream_tbEUlT_E_NS1_11comp_targetILNS1_3genE10ELNS1_11target_archE1201ELNS1_3gpuE5ELNS1_3repE0EEENS1_52radix_sort_onesweep_histogram_config_static_selectorELNS0_4arch9wavefront6targetE1EEEvSI_,comdat
	.protected	_ZN7rocprim17ROCPRIM_400000_NS6detail17trampoline_kernelINS0_14default_configENS1_35radix_sort_onesweep_config_selectorIbiEEZNS1_34radix_sort_onesweep_global_offsetsIS3_Lb0EN6thrust23THRUST_200600_302600_NS6detail15normal_iteratorINS8_10device_ptrIbEEEENSA_INSB_IiEEEEjNS0_19identity_decomposerEEE10hipError_tT1_T2_PT3_SK_jT4_jjP12ihipStream_tbEUlT_E_NS1_11comp_targetILNS1_3genE10ELNS1_11target_archE1201ELNS1_3gpuE5ELNS1_3repE0EEENS1_52radix_sort_onesweep_histogram_config_static_selectorELNS0_4arch9wavefront6targetE1EEEvSI_ ; -- Begin function _ZN7rocprim17ROCPRIM_400000_NS6detail17trampoline_kernelINS0_14default_configENS1_35radix_sort_onesweep_config_selectorIbiEEZNS1_34radix_sort_onesweep_global_offsetsIS3_Lb0EN6thrust23THRUST_200600_302600_NS6detail15normal_iteratorINS8_10device_ptrIbEEEENSA_INSB_IiEEEEjNS0_19identity_decomposerEEE10hipError_tT1_T2_PT3_SK_jT4_jjP12ihipStream_tbEUlT_E_NS1_11comp_targetILNS1_3genE10ELNS1_11target_archE1201ELNS1_3gpuE5ELNS1_3repE0EEENS1_52radix_sort_onesweep_histogram_config_static_selectorELNS0_4arch9wavefront6targetE1EEEvSI_
	.globl	_ZN7rocprim17ROCPRIM_400000_NS6detail17trampoline_kernelINS0_14default_configENS1_35radix_sort_onesweep_config_selectorIbiEEZNS1_34radix_sort_onesweep_global_offsetsIS3_Lb0EN6thrust23THRUST_200600_302600_NS6detail15normal_iteratorINS8_10device_ptrIbEEEENSA_INSB_IiEEEEjNS0_19identity_decomposerEEE10hipError_tT1_T2_PT3_SK_jT4_jjP12ihipStream_tbEUlT_E_NS1_11comp_targetILNS1_3genE10ELNS1_11target_archE1201ELNS1_3gpuE5ELNS1_3repE0EEENS1_52radix_sort_onesweep_histogram_config_static_selectorELNS0_4arch9wavefront6targetE1EEEvSI_
	.p2align	8
	.type	_ZN7rocprim17ROCPRIM_400000_NS6detail17trampoline_kernelINS0_14default_configENS1_35radix_sort_onesweep_config_selectorIbiEEZNS1_34radix_sort_onesweep_global_offsetsIS3_Lb0EN6thrust23THRUST_200600_302600_NS6detail15normal_iteratorINS8_10device_ptrIbEEEENSA_INSB_IiEEEEjNS0_19identity_decomposerEEE10hipError_tT1_T2_PT3_SK_jT4_jjP12ihipStream_tbEUlT_E_NS1_11comp_targetILNS1_3genE10ELNS1_11target_archE1201ELNS1_3gpuE5ELNS1_3repE0EEENS1_52radix_sort_onesweep_histogram_config_static_selectorELNS0_4arch9wavefront6targetE1EEEvSI_,@function
_ZN7rocprim17ROCPRIM_400000_NS6detail17trampoline_kernelINS0_14default_configENS1_35radix_sort_onesweep_config_selectorIbiEEZNS1_34radix_sort_onesweep_global_offsetsIS3_Lb0EN6thrust23THRUST_200600_302600_NS6detail15normal_iteratorINS8_10device_ptrIbEEEENSA_INSB_IiEEEEjNS0_19identity_decomposerEEE10hipError_tT1_T2_PT3_SK_jT4_jjP12ihipStream_tbEUlT_E_NS1_11comp_targetILNS1_3genE10ELNS1_11target_archE1201ELNS1_3gpuE5ELNS1_3repE0EEENS1_52radix_sort_onesweep_histogram_config_static_selectorELNS0_4arch9wavefront6targetE1EEEvSI_: ; @_ZN7rocprim17ROCPRIM_400000_NS6detail17trampoline_kernelINS0_14default_configENS1_35radix_sort_onesweep_config_selectorIbiEEZNS1_34radix_sort_onesweep_global_offsetsIS3_Lb0EN6thrust23THRUST_200600_302600_NS6detail15normal_iteratorINS8_10device_ptrIbEEEENSA_INSB_IiEEEEjNS0_19identity_decomposerEEE10hipError_tT1_T2_PT3_SK_jT4_jjP12ihipStream_tbEUlT_E_NS1_11comp_targetILNS1_3genE10ELNS1_11target_archE1201ELNS1_3gpuE5ELNS1_3repE0EEENS1_52radix_sort_onesweep_histogram_config_static_selectorELNS0_4arch9wavefront6targetE1EEEvSI_
; %bb.0:
	.section	.rodata,"a",@progbits
	.p2align	6, 0x0
	.amdhsa_kernel _ZN7rocprim17ROCPRIM_400000_NS6detail17trampoline_kernelINS0_14default_configENS1_35radix_sort_onesweep_config_selectorIbiEEZNS1_34radix_sort_onesweep_global_offsetsIS3_Lb0EN6thrust23THRUST_200600_302600_NS6detail15normal_iteratorINS8_10device_ptrIbEEEENSA_INSB_IiEEEEjNS0_19identity_decomposerEEE10hipError_tT1_T2_PT3_SK_jT4_jjP12ihipStream_tbEUlT_E_NS1_11comp_targetILNS1_3genE10ELNS1_11target_archE1201ELNS1_3gpuE5ELNS1_3repE0EEENS1_52radix_sort_onesweep_histogram_config_static_selectorELNS0_4arch9wavefront6targetE1EEEvSI_
		.amdhsa_group_segment_fixed_size 0
		.amdhsa_private_segment_fixed_size 0
		.amdhsa_kernarg_size 40
		.amdhsa_user_sgpr_count 2
		.amdhsa_user_sgpr_dispatch_ptr 0
		.amdhsa_user_sgpr_queue_ptr 0
		.amdhsa_user_sgpr_kernarg_segment_ptr 1
		.amdhsa_user_sgpr_dispatch_id 0
		.amdhsa_user_sgpr_kernarg_preload_length 0
		.amdhsa_user_sgpr_kernarg_preload_offset 0
		.amdhsa_user_sgpr_private_segment_size 0
		.amdhsa_uses_dynamic_stack 0
		.amdhsa_enable_private_segment 0
		.amdhsa_system_sgpr_workgroup_id_x 1
		.amdhsa_system_sgpr_workgroup_id_y 0
		.amdhsa_system_sgpr_workgroup_id_z 0
		.amdhsa_system_sgpr_workgroup_info 0
		.amdhsa_system_vgpr_workitem_id 0
		.amdhsa_next_free_vgpr 1
		.amdhsa_next_free_sgpr 0
		.amdhsa_accum_offset 4
		.amdhsa_reserve_vcc 0
		.amdhsa_float_round_mode_32 0
		.amdhsa_float_round_mode_16_64 0
		.amdhsa_float_denorm_mode_32 3
		.amdhsa_float_denorm_mode_16_64 3
		.amdhsa_dx10_clamp 1
		.amdhsa_ieee_mode 1
		.amdhsa_fp16_overflow 0
		.amdhsa_tg_split 0
		.amdhsa_exception_fp_ieee_invalid_op 0
		.amdhsa_exception_fp_denorm_src 0
		.amdhsa_exception_fp_ieee_div_zero 0
		.amdhsa_exception_fp_ieee_overflow 0
		.amdhsa_exception_fp_ieee_underflow 0
		.amdhsa_exception_fp_ieee_inexact 0
		.amdhsa_exception_int_div_zero 0
	.end_amdhsa_kernel
	.section	.text._ZN7rocprim17ROCPRIM_400000_NS6detail17trampoline_kernelINS0_14default_configENS1_35radix_sort_onesweep_config_selectorIbiEEZNS1_34radix_sort_onesweep_global_offsetsIS3_Lb0EN6thrust23THRUST_200600_302600_NS6detail15normal_iteratorINS8_10device_ptrIbEEEENSA_INSB_IiEEEEjNS0_19identity_decomposerEEE10hipError_tT1_T2_PT3_SK_jT4_jjP12ihipStream_tbEUlT_E_NS1_11comp_targetILNS1_3genE10ELNS1_11target_archE1201ELNS1_3gpuE5ELNS1_3repE0EEENS1_52radix_sort_onesweep_histogram_config_static_selectorELNS0_4arch9wavefront6targetE1EEEvSI_,"axG",@progbits,_ZN7rocprim17ROCPRIM_400000_NS6detail17trampoline_kernelINS0_14default_configENS1_35radix_sort_onesweep_config_selectorIbiEEZNS1_34radix_sort_onesweep_global_offsetsIS3_Lb0EN6thrust23THRUST_200600_302600_NS6detail15normal_iteratorINS8_10device_ptrIbEEEENSA_INSB_IiEEEEjNS0_19identity_decomposerEEE10hipError_tT1_T2_PT3_SK_jT4_jjP12ihipStream_tbEUlT_E_NS1_11comp_targetILNS1_3genE10ELNS1_11target_archE1201ELNS1_3gpuE5ELNS1_3repE0EEENS1_52radix_sort_onesweep_histogram_config_static_selectorELNS0_4arch9wavefront6targetE1EEEvSI_,comdat
.Lfunc_end2020:
	.size	_ZN7rocprim17ROCPRIM_400000_NS6detail17trampoline_kernelINS0_14default_configENS1_35radix_sort_onesweep_config_selectorIbiEEZNS1_34radix_sort_onesweep_global_offsetsIS3_Lb0EN6thrust23THRUST_200600_302600_NS6detail15normal_iteratorINS8_10device_ptrIbEEEENSA_INSB_IiEEEEjNS0_19identity_decomposerEEE10hipError_tT1_T2_PT3_SK_jT4_jjP12ihipStream_tbEUlT_E_NS1_11comp_targetILNS1_3genE10ELNS1_11target_archE1201ELNS1_3gpuE5ELNS1_3repE0EEENS1_52radix_sort_onesweep_histogram_config_static_selectorELNS0_4arch9wavefront6targetE1EEEvSI_, .Lfunc_end2020-_ZN7rocprim17ROCPRIM_400000_NS6detail17trampoline_kernelINS0_14default_configENS1_35radix_sort_onesweep_config_selectorIbiEEZNS1_34radix_sort_onesweep_global_offsetsIS3_Lb0EN6thrust23THRUST_200600_302600_NS6detail15normal_iteratorINS8_10device_ptrIbEEEENSA_INSB_IiEEEEjNS0_19identity_decomposerEEE10hipError_tT1_T2_PT3_SK_jT4_jjP12ihipStream_tbEUlT_E_NS1_11comp_targetILNS1_3genE10ELNS1_11target_archE1201ELNS1_3gpuE5ELNS1_3repE0EEENS1_52radix_sort_onesweep_histogram_config_static_selectorELNS0_4arch9wavefront6targetE1EEEvSI_
                                        ; -- End function
	.set _ZN7rocprim17ROCPRIM_400000_NS6detail17trampoline_kernelINS0_14default_configENS1_35radix_sort_onesweep_config_selectorIbiEEZNS1_34radix_sort_onesweep_global_offsetsIS3_Lb0EN6thrust23THRUST_200600_302600_NS6detail15normal_iteratorINS8_10device_ptrIbEEEENSA_INSB_IiEEEEjNS0_19identity_decomposerEEE10hipError_tT1_T2_PT3_SK_jT4_jjP12ihipStream_tbEUlT_E_NS1_11comp_targetILNS1_3genE10ELNS1_11target_archE1201ELNS1_3gpuE5ELNS1_3repE0EEENS1_52radix_sort_onesweep_histogram_config_static_selectorELNS0_4arch9wavefront6targetE1EEEvSI_.num_vgpr, 0
	.set _ZN7rocprim17ROCPRIM_400000_NS6detail17trampoline_kernelINS0_14default_configENS1_35radix_sort_onesweep_config_selectorIbiEEZNS1_34radix_sort_onesweep_global_offsetsIS3_Lb0EN6thrust23THRUST_200600_302600_NS6detail15normal_iteratorINS8_10device_ptrIbEEEENSA_INSB_IiEEEEjNS0_19identity_decomposerEEE10hipError_tT1_T2_PT3_SK_jT4_jjP12ihipStream_tbEUlT_E_NS1_11comp_targetILNS1_3genE10ELNS1_11target_archE1201ELNS1_3gpuE5ELNS1_3repE0EEENS1_52radix_sort_onesweep_histogram_config_static_selectorELNS0_4arch9wavefront6targetE1EEEvSI_.num_agpr, 0
	.set _ZN7rocprim17ROCPRIM_400000_NS6detail17trampoline_kernelINS0_14default_configENS1_35radix_sort_onesweep_config_selectorIbiEEZNS1_34radix_sort_onesweep_global_offsetsIS3_Lb0EN6thrust23THRUST_200600_302600_NS6detail15normal_iteratorINS8_10device_ptrIbEEEENSA_INSB_IiEEEEjNS0_19identity_decomposerEEE10hipError_tT1_T2_PT3_SK_jT4_jjP12ihipStream_tbEUlT_E_NS1_11comp_targetILNS1_3genE10ELNS1_11target_archE1201ELNS1_3gpuE5ELNS1_3repE0EEENS1_52radix_sort_onesweep_histogram_config_static_selectorELNS0_4arch9wavefront6targetE1EEEvSI_.numbered_sgpr, 0
	.set _ZN7rocprim17ROCPRIM_400000_NS6detail17trampoline_kernelINS0_14default_configENS1_35radix_sort_onesweep_config_selectorIbiEEZNS1_34radix_sort_onesweep_global_offsetsIS3_Lb0EN6thrust23THRUST_200600_302600_NS6detail15normal_iteratorINS8_10device_ptrIbEEEENSA_INSB_IiEEEEjNS0_19identity_decomposerEEE10hipError_tT1_T2_PT3_SK_jT4_jjP12ihipStream_tbEUlT_E_NS1_11comp_targetILNS1_3genE10ELNS1_11target_archE1201ELNS1_3gpuE5ELNS1_3repE0EEENS1_52radix_sort_onesweep_histogram_config_static_selectorELNS0_4arch9wavefront6targetE1EEEvSI_.num_named_barrier, 0
	.set _ZN7rocprim17ROCPRIM_400000_NS6detail17trampoline_kernelINS0_14default_configENS1_35radix_sort_onesweep_config_selectorIbiEEZNS1_34radix_sort_onesweep_global_offsetsIS3_Lb0EN6thrust23THRUST_200600_302600_NS6detail15normal_iteratorINS8_10device_ptrIbEEEENSA_INSB_IiEEEEjNS0_19identity_decomposerEEE10hipError_tT1_T2_PT3_SK_jT4_jjP12ihipStream_tbEUlT_E_NS1_11comp_targetILNS1_3genE10ELNS1_11target_archE1201ELNS1_3gpuE5ELNS1_3repE0EEENS1_52radix_sort_onesweep_histogram_config_static_selectorELNS0_4arch9wavefront6targetE1EEEvSI_.private_seg_size, 0
	.set _ZN7rocprim17ROCPRIM_400000_NS6detail17trampoline_kernelINS0_14default_configENS1_35radix_sort_onesweep_config_selectorIbiEEZNS1_34radix_sort_onesweep_global_offsetsIS3_Lb0EN6thrust23THRUST_200600_302600_NS6detail15normal_iteratorINS8_10device_ptrIbEEEENSA_INSB_IiEEEEjNS0_19identity_decomposerEEE10hipError_tT1_T2_PT3_SK_jT4_jjP12ihipStream_tbEUlT_E_NS1_11comp_targetILNS1_3genE10ELNS1_11target_archE1201ELNS1_3gpuE5ELNS1_3repE0EEENS1_52radix_sort_onesweep_histogram_config_static_selectorELNS0_4arch9wavefront6targetE1EEEvSI_.uses_vcc, 0
	.set _ZN7rocprim17ROCPRIM_400000_NS6detail17trampoline_kernelINS0_14default_configENS1_35radix_sort_onesweep_config_selectorIbiEEZNS1_34radix_sort_onesweep_global_offsetsIS3_Lb0EN6thrust23THRUST_200600_302600_NS6detail15normal_iteratorINS8_10device_ptrIbEEEENSA_INSB_IiEEEEjNS0_19identity_decomposerEEE10hipError_tT1_T2_PT3_SK_jT4_jjP12ihipStream_tbEUlT_E_NS1_11comp_targetILNS1_3genE10ELNS1_11target_archE1201ELNS1_3gpuE5ELNS1_3repE0EEENS1_52radix_sort_onesweep_histogram_config_static_selectorELNS0_4arch9wavefront6targetE1EEEvSI_.uses_flat_scratch, 0
	.set _ZN7rocprim17ROCPRIM_400000_NS6detail17trampoline_kernelINS0_14default_configENS1_35radix_sort_onesweep_config_selectorIbiEEZNS1_34radix_sort_onesweep_global_offsetsIS3_Lb0EN6thrust23THRUST_200600_302600_NS6detail15normal_iteratorINS8_10device_ptrIbEEEENSA_INSB_IiEEEEjNS0_19identity_decomposerEEE10hipError_tT1_T2_PT3_SK_jT4_jjP12ihipStream_tbEUlT_E_NS1_11comp_targetILNS1_3genE10ELNS1_11target_archE1201ELNS1_3gpuE5ELNS1_3repE0EEENS1_52radix_sort_onesweep_histogram_config_static_selectorELNS0_4arch9wavefront6targetE1EEEvSI_.has_dyn_sized_stack, 0
	.set _ZN7rocprim17ROCPRIM_400000_NS6detail17trampoline_kernelINS0_14default_configENS1_35radix_sort_onesweep_config_selectorIbiEEZNS1_34radix_sort_onesweep_global_offsetsIS3_Lb0EN6thrust23THRUST_200600_302600_NS6detail15normal_iteratorINS8_10device_ptrIbEEEENSA_INSB_IiEEEEjNS0_19identity_decomposerEEE10hipError_tT1_T2_PT3_SK_jT4_jjP12ihipStream_tbEUlT_E_NS1_11comp_targetILNS1_3genE10ELNS1_11target_archE1201ELNS1_3gpuE5ELNS1_3repE0EEENS1_52radix_sort_onesweep_histogram_config_static_selectorELNS0_4arch9wavefront6targetE1EEEvSI_.has_recursion, 0
	.set _ZN7rocprim17ROCPRIM_400000_NS6detail17trampoline_kernelINS0_14default_configENS1_35radix_sort_onesweep_config_selectorIbiEEZNS1_34radix_sort_onesweep_global_offsetsIS3_Lb0EN6thrust23THRUST_200600_302600_NS6detail15normal_iteratorINS8_10device_ptrIbEEEENSA_INSB_IiEEEEjNS0_19identity_decomposerEEE10hipError_tT1_T2_PT3_SK_jT4_jjP12ihipStream_tbEUlT_E_NS1_11comp_targetILNS1_3genE10ELNS1_11target_archE1201ELNS1_3gpuE5ELNS1_3repE0EEENS1_52radix_sort_onesweep_histogram_config_static_selectorELNS0_4arch9wavefront6targetE1EEEvSI_.has_indirect_call, 0
	.section	.AMDGPU.csdata,"",@progbits
; Kernel info:
; codeLenInByte = 0
; TotalNumSgprs: 6
; NumVgprs: 0
; NumAgprs: 0
; TotalNumVgprs: 0
; ScratchSize: 0
; MemoryBound: 0
; FloatMode: 240
; IeeeMode: 1
; LDSByteSize: 0 bytes/workgroup (compile time only)
; SGPRBlocks: 0
; VGPRBlocks: 0
; NumSGPRsForWavesPerEU: 6
; NumVGPRsForWavesPerEU: 1
; AccumOffset: 4
; Occupancy: 8
; WaveLimiterHint : 0
; COMPUTE_PGM_RSRC2:SCRATCH_EN: 0
; COMPUTE_PGM_RSRC2:USER_SGPR: 2
; COMPUTE_PGM_RSRC2:TRAP_HANDLER: 0
; COMPUTE_PGM_RSRC2:TGID_X_EN: 1
; COMPUTE_PGM_RSRC2:TGID_Y_EN: 0
; COMPUTE_PGM_RSRC2:TGID_Z_EN: 0
; COMPUTE_PGM_RSRC2:TIDIG_COMP_CNT: 0
; COMPUTE_PGM_RSRC3_GFX90A:ACCUM_OFFSET: 0
; COMPUTE_PGM_RSRC3_GFX90A:TG_SPLIT: 0
	.section	.text._ZN7rocprim17ROCPRIM_400000_NS6detail17trampoline_kernelINS0_14default_configENS1_35radix_sort_onesweep_config_selectorIbiEEZNS1_34radix_sort_onesweep_global_offsetsIS3_Lb0EN6thrust23THRUST_200600_302600_NS6detail15normal_iteratorINS8_10device_ptrIbEEEENSA_INSB_IiEEEEjNS0_19identity_decomposerEEE10hipError_tT1_T2_PT3_SK_jT4_jjP12ihipStream_tbEUlT_E_NS1_11comp_targetILNS1_3genE9ELNS1_11target_archE1100ELNS1_3gpuE3ELNS1_3repE0EEENS1_52radix_sort_onesweep_histogram_config_static_selectorELNS0_4arch9wavefront6targetE1EEEvSI_,"axG",@progbits,_ZN7rocprim17ROCPRIM_400000_NS6detail17trampoline_kernelINS0_14default_configENS1_35radix_sort_onesweep_config_selectorIbiEEZNS1_34radix_sort_onesweep_global_offsetsIS3_Lb0EN6thrust23THRUST_200600_302600_NS6detail15normal_iteratorINS8_10device_ptrIbEEEENSA_INSB_IiEEEEjNS0_19identity_decomposerEEE10hipError_tT1_T2_PT3_SK_jT4_jjP12ihipStream_tbEUlT_E_NS1_11comp_targetILNS1_3genE9ELNS1_11target_archE1100ELNS1_3gpuE3ELNS1_3repE0EEENS1_52radix_sort_onesweep_histogram_config_static_selectorELNS0_4arch9wavefront6targetE1EEEvSI_,comdat
	.protected	_ZN7rocprim17ROCPRIM_400000_NS6detail17trampoline_kernelINS0_14default_configENS1_35radix_sort_onesweep_config_selectorIbiEEZNS1_34radix_sort_onesweep_global_offsetsIS3_Lb0EN6thrust23THRUST_200600_302600_NS6detail15normal_iteratorINS8_10device_ptrIbEEEENSA_INSB_IiEEEEjNS0_19identity_decomposerEEE10hipError_tT1_T2_PT3_SK_jT4_jjP12ihipStream_tbEUlT_E_NS1_11comp_targetILNS1_3genE9ELNS1_11target_archE1100ELNS1_3gpuE3ELNS1_3repE0EEENS1_52radix_sort_onesweep_histogram_config_static_selectorELNS0_4arch9wavefront6targetE1EEEvSI_ ; -- Begin function _ZN7rocprim17ROCPRIM_400000_NS6detail17trampoline_kernelINS0_14default_configENS1_35radix_sort_onesweep_config_selectorIbiEEZNS1_34radix_sort_onesweep_global_offsetsIS3_Lb0EN6thrust23THRUST_200600_302600_NS6detail15normal_iteratorINS8_10device_ptrIbEEEENSA_INSB_IiEEEEjNS0_19identity_decomposerEEE10hipError_tT1_T2_PT3_SK_jT4_jjP12ihipStream_tbEUlT_E_NS1_11comp_targetILNS1_3genE9ELNS1_11target_archE1100ELNS1_3gpuE3ELNS1_3repE0EEENS1_52radix_sort_onesweep_histogram_config_static_selectorELNS0_4arch9wavefront6targetE1EEEvSI_
	.globl	_ZN7rocprim17ROCPRIM_400000_NS6detail17trampoline_kernelINS0_14default_configENS1_35radix_sort_onesweep_config_selectorIbiEEZNS1_34radix_sort_onesweep_global_offsetsIS3_Lb0EN6thrust23THRUST_200600_302600_NS6detail15normal_iteratorINS8_10device_ptrIbEEEENSA_INSB_IiEEEEjNS0_19identity_decomposerEEE10hipError_tT1_T2_PT3_SK_jT4_jjP12ihipStream_tbEUlT_E_NS1_11comp_targetILNS1_3genE9ELNS1_11target_archE1100ELNS1_3gpuE3ELNS1_3repE0EEENS1_52radix_sort_onesweep_histogram_config_static_selectorELNS0_4arch9wavefront6targetE1EEEvSI_
	.p2align	8
	.type	_ZN7rocprim17ROCPRIM_400000_NS6detail17trampoline_kernelINS0_14default_configENS1_35radix_sort_onesweep_config_selectorIbiEEZNS1_34radix_sort_onesweep_global_offsetsIS3_Lb0EN6thrust23THRUST_200600_302600_NS6detail15normal_iteratorINS8_10device_ptrIbEEEENSA_INSB_IiEEEEjNS0_19identity_decomposerEEE10hipError_tT1_T2_PT3_SK_jT4_jjP12ihipStream_tbEUlT_E_NS1_11comp_targetILNS1_3genE9ELNS1_11target_archE1100ELNS1_3gpuE3ELNS1_3repE0EEENS1_52radix_sort_onesweep_histogram_config_static_selectorELNS0_4arch9wavefront6targetE1EEEvSI_,@function
_ZN7rocprim17ROCPRIM_400000_NS6detail17trampoline_kernelINS0_14default_configENS1_35radix_sort_onesweep_config_selectorIbiEEZNS1_34radix_sort_onesweep_global_offsetsIS3_Lb0EN6thrust23THRUST_200600_302600_NS6detail15normal_iteratorINS8_10device_ptrIbEEEENSA_INSB_IiEEEEjNS0_19identity_decomposerEEE10hipError_tT1_T2_PT3_SK_jT4_jjP12ihipStream_tbEUlT_E_NS1_11comp_targetILNS1_3genE9ELNS1_11target_archE1100ELNS1_3gpuE3ELNS1_3repE0EEENS1_52radix_sort_onesweep_histogram_config_static_selectorELNS0_4arch9wavefront6targetE1EEEvSI_: ; @_ZN7rocprim17ROCPRIM_400000_NS6detail17trampoline_kernelINS0_14default_configENS1_35radix_sort_onesweep_config_selectorIbiEEZNS1_34radix_sort_onesweep_global_offsetsIS3_Lb0EN6thrust23THRUST_200600_302600_NS6detail15normal_iteratorINS8_10device_ptrIbEEEENSA_INSB_IiEEEEjNS0_19identity_decomposerEEE10hipError_tT1_T2_PT3_SK_jT4_jjP12ihipStream_tbEUlT_E_NS1_11comp_targetILNS1_3genE9ELNS1_11target_archE1100ELNS1_3gpuE3ELNS1_3repE0EEENS1_52radix_sort_onesweep_histogram_config_static_selectorELNS0_4arch9wavefront6targetE1EEEvSI_
; %bb.0:
	.section	.rodata,"a",@progbits
	.p2align	6, 0x0
	.amdhsa_kernel _ZN7rocprim17ROCPRIM_400000_NS6detail17trampoline_kernelINS0_14default_configENS1_35radix_sort_onesweep_config_selectorIbiEEZNS1_34radix_sort_onesweep_global_offsetsIS3_Lb0EN6thrust23THRUST_200600_302600_NS6detail15normal_iteratorINS8_10device_ptrIbEEEENSA_INSB_IiEEEEjNS0_19identity_decomposerEEE10hipError_tT1_T2_PT3_SK_jT4_jjP12ihipStream_tbEUlT_E_NS1_11comp_targetILNS1_3genE9ELNS1_11target_archE1100ELNS1_3gpuE3ELNS1_3repE0EEENS1_52radix_sort_onesweep_histogram_config_static_selectorELNS0_4arch9wavefront6targetE1EEEvSI_
		.amdhsa_group_segment_fixed_size 0
		.amdhsa_private_segment_fixed_size 0
		.amdhsa_kernarg_size 40
		.amdhsa_user_sgpr_count 2
		.amdhsa_user_sgpr_dispatch_ptr 0
		.amdhsa_user_sgpr_queue_ptr 0
		.amdhsa_user_sgpr_kernarg_segment_ptr 1
		.amdhsa_user_sgpr_dispatch_id 0
		.amdhsa_user_sgpr_kernarg_preload_length 0
		.amdhsa_user_sgpr_kernarg_preload_offset 0
		.amdhsa_user_sgpr_private_segment_size 0
		.amdhsa_uses_dynamic_stack 0
		.amdhsa_enable_private_segment 0
		.amdhsa_system_sgpr_workgroup_id_x 1
		.amdhsa_system_sgpr_workgroup_id_y 0
		.amdhsa_system_sgpr_workgroup_id_z 0
		.amdhsa_system_sgpr_workgroup_info 0
		.amdhsa_system_vgpr_workitem_id 0
		.amdhsa_next_free_vgpr 1
		.amdhsa_next_free_sgpr 0
		.amdhsa_accum_offset 4
		.amdhsa_reserve_vcc 0
		.amdhsa_float_round_mode_32 0
		.amdhsa_float_round_mode_16_64 0
		.amdhsa_float_denorm_mode_32 3
		.amdhsa_float_denorm_mode_16_64 3
		.amdhsa_dx10_clamp 1
		.amdhsa_ieee_mode 1
		.amdhsa_fp16_overflow 0
		.amdhsa_tg_split 0
		.amdhsa_exception_fp_ieee_invalid_op 0
		.amdhsa_exception_fp_denorm_src 0
		.amdhsa_exception_fp_ieee_div_zero 0
		.amdhsa_exception_fp_ieee_overflow 0
		.amdhsa_exception_fp_ieee_underflow 0
		.amdhsa_exception_fp_ieee_inexact 0
		.amdhsa_exception_int_div_zero 0
	.end_amdhsa_kernel
	.section	.text._ZN7rocprim17ROCPRIM_400000_NS6detail17trampoline_kernelINS0_14default_configENS1_35radix_sort_onesweep_config_selectorIbiEEZNS1_34radix_sort_onesweep_global_offsetsIS3_Lb0EN6thrust23THRUST_200600_302600_NS6detail15normal_iteratorINS8_10device_ptrIbEEEENSA_INSB_IiEEEEjNS0_19identity_decomposerEEE10hipError_tT1_T2_PT3_SK_jT4_jjP12ihipStream_tbEUlT_E_NS1_11comp_targetILNS1_3genE9ELNS1_11target_archE1100ELNS1_3gpuE3ELNS1_3repE0EEENS1_52radix_sort_onesweep_histogram_config_static_selectorELNS0_4arch9wavefront6targetE1EEEvSI_,"axG",@progbits,_ZN7rocprim17ROCPRIM_400000_NS6detail17trampoline_kernelINS0_14default_configENS1_35radix_sort_onesweep_config_selectorIbiEEZNS1_34radix_sort_onesweep_global_offsetsIS3_Lb0EN6thrust23THRUST_200600_302600_NS6detail15normal_iteratorINS8_10device_ptrIbEEEENSA_INSB_IiEEEEjNS0_19identity_decomposerEEE10hipError_tT1_T2_PT3_SK_jT4_jjP12ihipStream_tbEUlT_E_NS1_11comp_targetILNS1_3genE9ELNS1_11target_archE1100ELNS1_3gpuE3ELNS1_3repE0EEENS1_52radix_sort_onesweep_histogram_config_static_selectorELNS0_4arch9wavefront6targetE1EEEvSI_,comdat
.Lfunc_end2021:
	.size	_ZN7rocprim17ROCPRIM_400000_NS6detail17trampoline_kernelINS0_14default_configENS1_35radix_sort_onesweep_config_selectorIbiEEZNS1_34radix_sort_onesweep_global_offsetsIS3_Lb0EN6thrust23THRUST_200600_302600_NS6detail15normal_iteratorINS8_10device_ptrIbEEEENSA_INSB_IiEEEEjNS0_19identity_decomposerEEE10hipError_tT1_T2_PT3_SK_jT4_jjP12ihipStream_tbEUlT_E_NS1_11comp_targetILNS1_3genE9ELNS1_11target_archE1100ELNS1_3gpuE3ELNS1_3repE0EEENS1_52radix_sort_onesweep_histogram_config_static_selectorELNS0_4arch9wavefront6targetE1EEEvSI_, .Lfunc_end2021-_ZN7rocprim17ROCPRIM_400000_NS6detail17trampoline_kernelINS0_14default_configENS1_35radix_sort_onesweep_config_selectorIbiEEZNS1_34radix_sort_onesweep_global_offsetsIS3_Lb0EN6thrust23THRUST_200600_302600_NS6detail15normal_iteratorINS8_10device_ptrIbEEEENSA_INSB_IiEEEEjNS0_19identity_decomposerEEE10hipError_tT1_T2_PT3_SK_jT4_jjP12ihipStream_tbEUlT_E_NS1_11comp_targetILNS1_3genE9ELNS1_11target_archE1100ELNS1_3gpuE3ELNS1_3repE0EEENS1_52radix_sort_onesweep_histogram_config_static_selectorELNS0_4arch9wavefront6targetE1EEEvSI_
                                        ; -- End function
	.set _ZN7rocprim17ROCPRIM_400000_NS6detail17trampoline_kernelINS0_14default_configENS1_35radix_sort_onesweep_config_selectorIbiEEZNS1_34radix_sort_onesweep_global_offsetsIS3_Lb0EN6thrust23THRUST_200600_302600_NS6detail15normal_iteratorINS8_10device_ptrIbEEEENSA_INSB_IiEEEEjNS0_19identity_decomposerEEE10hipError_tT1_T2_PT3_SK_jT4_jjP12ihipStream_tbEUlT_E_NS1_11comp_targetILNS1_3genE9ELNS1_11target_archE1100ELNS1_3gpuE3ELNS1_3repE0EEENS1_52radix_sort_onesweep_histogram_config_static_selectorELNS0_4arch9wavefront6targetE1EEEvSI_.num_vgpr, 0
	.set _ZN7rocprim17ROCPRIM_400000_NS6detail17trampoline_kernelINS0_14default_configENS1_35radix_sort_onesweep_config_selectorIbiEEZNS1_34radix_sort_onesweep_global_offsetsIS3_Lb0EN6thrust23THRUST_200600_302600_NS6detail15normal_iteratorINS8_10device_ptrIbEEEENSA_INSB_IiEEEEjNS0_19identity_decomposerEEE10hipError_tT1_T2_PT3_SK_jT4_jjP12ihipStream_tbEUlT_E_NS1_11comp_targetILNS1_3genE9ELNS1_11target_archE1100ELNS1_3gpuE3ELNS1_3repE0EEENS1_52radix_sort_onesweep_histogram_config_static_selectorELNS0_4arch9wavefront6targetE1EEEvSI_.num_agpr, 0
	.set _ZN7rocprim17ROCPRIM_400000_NS6detail17trampoline_kernelINS0_14default_configENS1_35radix_sort_onesweep_config_selectorIbiEEZNS1_34radix_sort_onesweep_global_offsetsIS3_Lb0EN6thrust23THRUST_200600_302600_NS6detail15normal_iteratorINS8_10device_ptrIbEEEENSA_INSB_IiEEEEjNS0_19identity_decomposerEEE10hipError_tT1_T2_PT3_SK_jT4_jjP12ihipStream_tbEUlT_E_NS1_11comp_targetILNS1_3genE9ELNS1_11target_archE1100ELNS1_3gpuE3ELNS1_3repE0EEENS1_52radix_sort_onesweep_histogram_config_static_selectorELNS0_4arch9wavefront6targetE1EEEvSI_.numbered_sgpr, 0
	.set _ZN7rocprim17ROCPRIM_400000_NS6detail17trampoline_kernelINS0_14default_configENS1_35radix_sort_onesweep_config_selectorIbiEEZNS1_34radix_sort_onesweep_global_offsetsIS3_Lb0EN6thrust23THRUST_200600_302600_NS6detail15normal_iteratorINS8_10device_ptrIbEEEENSA_INSB_IiEEEEjNS0_19identity_decomposerEEE10hipError_tT1_T2_PT3_SK_jT4_jjP12ihipStream_tbEUlT_E_NS1_11comp_targetILNS1_3genE9ELNS1_11target_archE1100ELNS1_3gpuE3ELNS1_3repE0EEENS1_52radix_sort_onesweep_histogram_config_static_selectorELNS0_4arch9wavefront6targetE1EEEvSI_.num_named_barrier, 0
	.set _ZN7rocprim17ROCPRIM_400000_NS6detail17trampoline_kernelINS0_14default_configENS1_35radix_sort_onesweep_config_selectorIbiEEZNS1_34radix_sort_onesweep_global_offsetsIS3_Lb0EN6thrust23THRUST_200600_302600_NS6detail15normal_iteratorINS8_10device_ptrIbEEEENSA_INSB_IiEEEEjNS0_19identity_decomposerEEE10hipError_tT1_T2_PT3_SK_jT4_jjP12ihipStream_tbEUlT_E_NS1_11comp_targetILNS1_3genE9ELNS1_11target_archE1100ELNS1_3gpuE3ELNS1_3repE0EEENS1_52radix_sort_onesweep_histogram_config_static_selectorELNS0_4arch9wavefront6targetE1EEEvSI_.private_seg_size, 0
	.set _ZN7rocprim17ROCPRIM_400000_NS6detail17trampoline_kernelINS0_14default_configENS1_35radix_sort_onesweep_config_selectorIbiEEZNS1_34radix_sort_onesweep_global_offsetsIS3_Lb0EN6thrust23THRUST_200600_302600_NS6detail15normal_iteratorINS8_10device_ptrIbEEEENSA_INSB_IiEEEEjNS0_19identity_decomposerEEE10hipError_tT1_T2_PT3_SK_jT4_jjP12ihipStream_tbEUlT_E_NS1_11comp_targetILNS1_3genE9ELNS1_11target_archE1100ELNS1_3gpuE3ELNS1_3repE0EEENS1_52radix_sort_onesweep_histogram_config_static_selectorELNS0_4arch9wavefront6targetE1EEEvSI_.uses_vcc, 0
	.set _ZN7rocprim17ROCPRIM_400000_NS6detail17trampoline_kernelINS0_14default_configENS1_35radix_sort_onesweep_config_selectorIbiEEZNS1_34radix_sort_onesweep_global_offsetsIS3_Lb0EN6thrust23THRUST_200600_302600_NS6detail15normal_iteratorINS8_10device_ptrIbEEEENSA_INSB_IiEEEEjNS0_19identity_decomposerEEE10hipError_tT1_T2_PT3_SK_jT4_jjP12ihipStream_tbEUlT_E_NS1_11comp_targetILNS1_3genE9ELNS1_11target_archE1100ELNS1_3gpuE3ELNS1_3repE0EEENS1_52radix_sort_onesweep_histogram_config_static_selectorELNS0_4arch9wavefront6targetE1EEEvSI_.uses_flat_scratch, 0
	.set _ZN7rocprim17ROCPRIM_400000_NS6detail17trampoline_kernelINS0_14default_configENS1_35radix_sort_onesweep_config_selectorIbiEEZNS1_34radix_sort_onesweep_global_offsetsIS3_Lb0EN6thrust23THRUST_200600_302600_NS6detail15normal_iteratorINS8_10device_ptrIbEEEENSA_INSB_IiEEEEjNS0_19identity_decomposerEEE10hipError_tT1_T2_PT3_SK_jT4_jjP12ihipStream_tbEUlT_E_NS1_11comp_targetILNS1_3genE9ELNS1_11target_archE1100ELNS1_3gpuE3ELNS1_3repE0EEENS1_52radix_sort_onesweep_histogram_config_static_selectorELNS0_4arch9wavefront6targetE1EEEvSI_.has_dyn_sized_stack, 0
	.set _ZN7rocprim17ROCPRIM_400000_NS6detail17trampoline_kernelINS0_14default_configENS1_35radix_sort_onesweep_config_selectorIbiEEZNS1_34radix_sort_onesweep_global_offsetsIS3_Lb0EN6thrust23THRUST_200600_302600_NS6detail15normal_iteratorINS8_10device_ptrIbEEEENSA_INSB_IiEEEEjNS0_19identity_decomposerEEE10hipError_tT1_T2_PT3_SK_jT4_jjP12ihipStream_tbEUlT_E_NS1_11comp_targetILNS1_3genE9ELNS1_11target_archE1100ELNS1_3gpuE3ELNS1_3repE0EEENS1_52radix_sort_onesweep_histogram_config_static_selectorELNS0_4arch9wavefront6targetE1EEEvSI_.has_recursion, 0
	.set _ZN7rocprim17ROCPRIM_400000_NS6detail17trampoline_kernelINS0_14default_configENS1_35radix_sort_onesweep_config_selectorIbiEEZNS1_34radix_sort_onesweep_global_offsetsIS3_Lb0EN6thrust23THRUST_200600_302600_NS6detail15normal_iteratorINS8_10device_ptrIbEEEENSA_INSB_IiEEEEjNS0_19identity_decomposerEEE10hipError_tT1_T2_PT3_SK_jT4_jjP12ihipStream_tbEUlT_E_NS1_11comp_targetILNS1_3genE9ELNS1_11target_archE1100ELNS1_3gpuE3ELNS1_3repE0EEENS1_52radix_sort_onesweep_histogram_config_static_selectorELNS0_4arch9wavefront6targetE1EEEvSI_.has_indirect_call, 0
	.section	.AMDGPU.csdata,"",@progbits
; Kernel info:
; codeLenInByte = 0
; TotalNumSgprs: 6
; NumVgprs: 0
; NumAgprs: 0
; TotalNumVgprs: 0
; ScratchSize: 0
; MemoryBound: 0
; FloatMode: 240
; IeeeMode: 1
; LDSByteSize: 0 bytes/workgroup (compile time only)
; SGPRBlocks: 0
; VGPRBlocks: 0
; NumSGPRsForWavesPerEU: 6
; NumVGPRsForWavesPerEU: 1
; AccumOffset: 4
; Occupancy: 8
; WaveLimiterHint : 0
; COMPUTE_PGM_RSRC2:SCRATCH_EN: 0
; COMPUTE_PGM_RSRC2:USER_SGPR: 2
; COMPUTE_PGM_RSRC2:TRAP_HANDLER: 0
; COMPUTE_PGM_RSRC2:TGID_X_EN: 1
; COMPUTE_PGM_RSRC2:TGID_Y_EN: 0
; COMPUTE_PGM_RSRC2:TGID_Z_EN: 0
; COMPUTE_PGM_RSRC2:TIDIG_COMP_CNT: 0
; COMPUTE_PGM_RSRC3_GFX90A:ACCUM_OFFSET: 0
; COMPUTE_PGM_RSRC3_GFX90A:TG_SPLIT: 0
	.section	.text._ZN7rocprim17ROCPRIM_400000_NS6detail17trampoline_kernelINS0_14default_configENS1_35radix_sort_onesweep_config_selectorIbiEEZNS1_34radix_sort_onesweep_global_offsetsIS3_Lb0EN6thrust23THRUST_200600_302600_NS6detail15normal_iteratorINS8_10device_ptrIbEEEENSA_INSB_IiEEEEjNS0_19identity_decomposerEEE10hipError_tT1_T2_PT3_SK_jT4_jjP12ihipStream_tbEUlT_E_NS1_11comp_targetILNS1_3genE8ELNS1_11target_archE1030ELNS1_3gpuE2ELNS1_3repE0EEENS1_52radix_sort_onesweep_histogram_config_static_selectorELNS0_4arch9wavefront6targetE1EEEvSI_,"axG",@progbits,_ZN7rocprim17ROCPRIM_400000_NS6detail17trampoline_kernelINS0_14default_configENS1_35radix_sort_onesweep_config_selectorIbiEEZNS1_34radix_sort_onesweep_global_offsetsIS3_Lb0EN6thrust23THRUST_200600_302600_NS6detail15normal_iteratorINS8_10device_ptrIbEEEENSA_INSB_IiEEEEjNS0_19identity_decomposerEEE10hipError_tT1_T2_PT3_SK_jT4_jjP12ihipStream_tbEUlT_E_NS1_11comp_targetILNS1_3genE8ELNS1_11target_archE1030ELNS1_3gpuE2ELNS1_3repE0EEENS1_52radix_sort_onesweep_histogram_config_static_selectorELNS0_4arch9wavefront6targetE1EEEvSI_,comdat
	.protected	_ZN7rocprim17ROCPRIM_400000_NS6detail17trampoline_kernelINS0_14default_configENS1_35radix_sort_onesweep_config_selectorIbiEEZNS1_34radix_sort_onesweep_global_offsetsIS3_Lb0EN6thrust23THRUST_200600_302600_NS6detail15normal_iteratorINS8_10device_ptrIbEEEENSA_INSB_IiEEEEjNS0_19identity_decomposerEEE10hipError_tT1_T2_PT3_SK_jT4_jjP12ihipStream_tbEUlT_E_NS1_11comp_targetILNS1_3genE8ELNS1_11target_archE1030ELNS1_3gpuE2ELNS1_3repE0EEENS1_52radix_sort_onesweep_histogram_config_static_selectorELNS0_4arch9wavefront6targetE1EEEvSI_ ; -- Begin function _ZN7rocprim17ROCPRIM_400000_NS6detail17trampoline_kernelINS0_14default_configENS1_35radix_sort_onesweep_config_selectorIbiEEZNS1_34radix_sort_onesweep_global_offsetsIS3_Lb0EN6thrust23THRUST_200600_302600_NS6detail15normal_iteratorINS8_10device_ptrIbEEEENSA_INSB_IiEEEEjNS0_19identity_decomposerEEE10hipError_tT1_T2_PT3_SK_jT4_jjP12ihipStream_tbEUlT_E_NS1_11comp_targetILNS1_3genE8ELNS1_11target_archE1030ELNS1_3gpuE2ELNS1_3repE0EEENS1_52radix_sort_onesweep_histogram_config_static_selectorELNS0_4arch9wavefront6targetE1EEEvSI_
	.globl	_ZN7rocprim17ROCPRIM_400000_NS6detail17trampoline_kernelINS0_14default_configENS1_35radix_sort_onesweep_config_selectorIbiEEZNS1_34radix_sort_onesweep_global_offsetsIS3_Lb0EN6thrust23THRUST_200600_302600_NS6detail15normal_iteratorINS8_10device_ptrIbEEEENSA_INSB_IiEEEEjNS0_19identity_decomposerEEE10hipError_tT1_T2_PT3_SK_jT4_jjP12ihipStream_tbEUlT_E_NS1_11comp_targetILNS1_3genE8ELNS1_11target_archE1030ELNS1_3gpuE2ELNS1_3repE0EEENS1_52radix_sort_onesweep_histogram_config_static_selectorELNS0_4arch9wavefront6targetE1EEEvSI_
	.p2align	8
	.type	_ZN7rocprim17ROCPRIM_400000_NS6detail17trampoline_kernelINS0_14default_configENS1_35radix_sort_onesweep_config_selectorIbiEEZNS1_34radix_sort_onesweep_global_offsetsIS3_Lb0EN6thrust23THRUST_200600_302600_NS6detail15normal_iteratorINS8_10device_ptrIbEEEENSA_INSB_IiEEEEjNS0_19identity_decomposerEEE10hipError_tT1_T2_PT3_SK_jT4_jjP12ihipStream_tbEUlT_E_NS1_11comp_targetILNS1_3genE8ELNS1_11target_archE1030ELNS1_3gpuE2ELNS1_3repE0EEENS1_52radix_sort_onesweep_histogram_config_static_selectorELNS0_4arch9wavefront6targetE1EEEvSI_,@function
_ZN7rocprim17ROCPRIM_400000_NS6detail17trampoline_kernelINS0_14default_configENS1_35radix_sort_onesweep_config_selectorIbiEEZNS1_34radix_sort_onesweep_global_offsetsIS3_Lb0EN6thrust23THRUST_200600_302600_NS6detail15normal_iteratorINS8_10device_ptrIbEEEENSA_INSB_IiEEEEjNS0_19identity_decomposerEEE10hipError_tT1_T2_PT3_SK_jT4_jjP12ihipStream_tbEUlT_E_NS1_11comp_targetILNS1_3genE8ELNS1_11target_archE1030ELNS1_3gpuE2ELNS1_3repE0EEENS1_52radix_sort_onesweep_histogram_config_static_selectorELNS0_4arch9wavefront6targetE1EEEvSI_: ; @_ZN7rocprim17ROCPRIM_400000_NS6detail17trampoline_kernelINS0_14default_configENS1_35radix_sort_onesweep_config_selectorIbiEEZNS1_34radix_sort_onesweep_global_offsetsIS3_Lb0EN6thrust23THRUST_200600_302600_NS6detail15normal_iteratorINS8_10device_ptrIbEEEENSA_INSB_IiEEEEjNS0_19identity_decomposerEEE10hipError_tT1_T2_PT3_SK_jT4_jjP12ihipStream_tbEUlT_E_NS1_11comp_targetILNS1_3genE8ELNS1_11target_archE1030ELNS1_3gpuE2ELNS1_3repE0EEENS1_52radix_sort_onesweep_histogram_config_static_selectorELNS0_4arch9wavefront6targetE1EEEvSI_
; %bb.0:
	.section	.rodata,"a",@progbits
	.p2align	6, 0x0
	.amdhsa_kernel _ZN7rocprim17ROCPRIM_400000_NS6detail17trampoline_kernelINS0_14default_configENS1_35radix_sort_onesweep_config_selectorIbiEEZNS1_34radix_sort_onesweep_global_offsetsIS3_Lb0EN6thrust23THRUST_200600_302600_NS6detail15normal_iteratorINS8_10device_ptrIbEEEENSA_INSB_IiEEEEjNS0_19identity_decomposerEEE10hipError_tT1_T2_PT3_SK_jT4_jjP12ihipStream_tbEUlT_E_NS1_11comp_targetILNS1_3genE8ELNS1_11target_archE1030ELNS1_3gpuE2ELNS1_3repE0EEENS1_52radix_sort_onesweep_histogram_config_static_selectorELNS0_4arch9wavefront6targetE1EEEvSI_
		.amdhsa_group_segment_fixed_size 0
		.amdhsa_private_segment_fixed_size 0
		.amdhsa_kernarg_size 40
		.amdhsa_user_sgpr_count 2
		.amdhsa_user_sgpr_dispatch_ptr 0
		.amdhsa_user_sgpr_queue_ptr 0
		.amdhsa_user_sgpr_kernarg_segment_ptr 1
		.amdhsa_user_sgpr_dispatch_id 0
		.amdhsa_user_sgpr_kernarg_preload_length 0
		.amdhsa_user_sgpr_kernarg_preload_offset 0
		.amdhsa_user_sgpr_private_segment_size 0
		.amdhsa_uses_dynamic_stack 0
		.amdhsa_enable_private_segment 0
		.amdhsa_system_sgpr_workgroup_id_x 1
		.amdhsa_system_sgpr_workgroup_id_y 0
		.amdhsa_system_sgpr_workgroup_id_z 0
		.amdhsa_system_sgpr_workgroup_info 0
		.amdhsa_system_vgpr_workitem_id 0
		.amdhsa_next_free_vgpr 1
		.amdhsa_next_free_sgpr 0
		.amdhsa_accum_offset 4
		.amdhsa_reserve_vcc 0
		.amdhsa_float_round_mode_32 0
		.amdhsa_float_round_mode_16_64 0
		.amdhsa_float_denorm_mode_32 3
		.amdhsa_float_denorm_mode_16_64 3
		.amdhsa_dx10_clamp 1
		.amdhsa_ieee_mode 1
		.amdhsa_fp16_overflow 0
		.amdhsa_tg_split 0
		.amdhsa_exception_fp_ieee_invalid_op 0
		.amdhsa_exception_fp_denorm_src 0
		.amdhsa_exception_fp_ieee_div_zero 0
		.amdhsa_exception_fp_ieee_overflow 0
		.amdhsa_exception_fp_ieee_underflow 0
		.amdhsa_exception_fp_ieee_inexact 0
		.amdhsa_exception_int_div_zero 0
	.end_amdhsa_kernel
	.section	.text._ZN7rocprim17ROCPRIM_400000_NS6detail17trampoline_kernelINS0_14default_configENS1_35radix_sort_onesweep_config_selectorIbiEEZNS1_34radix_sort_onesweep_global_offsetsIS3_Lb0EN6thrust23THRUST_200600_302600_NS6detail15normal_iteratorINS8_10device_ptrIbEEEENSA_INSB_IiEEEEjNS0_19identity_decomposerEEE10hipError_tT1_T2_PT3_SK_jT4_jjP12ihipStream_tbEUlT_E_NS1_11comp_targetILNS1_3genE8ELNS1_11target_archE1030ELNS1_3gpuE2ELNS1_3repE0EEENS1_52radix_sort_onesweep_histogram_config_static_selectorELNS0_4arch9wavefront6targetE1EEEvSI_,"axG",@progbits,_ZN7rocprim17ROCPRIM_400000_NS6detail17trampoline_kernelINS0_14default_configENS1_35radix_sort_onesweep_config_selectorIbiEEZNS1_34radix_sort_onesweep_global_offsetsIS3_Lb0EN6thrust23THRUST_200600_302600_NS6detail15normal_iteratorINS8_10device_ptrIbEEEENSA_INSB_IiEEEEjNS0_19identity_decomposerEEE10hipError_tT1_T2_PT3_SK_jT4_jjP12ihipStream_tbEUlT_E_NS1_11comp_targetILNS1_3genE8ELNS1_11target_archE1030ELNS1_3gpuE2ELNS1_3repE0EEENS1_52radix_sort_onesweep_histogram_config_static_selectorELNS0_4arch9wavefront6targetE1EEEvSI_,comdat
.Lfunc_end2022:
	.size	_ZN7rocprim17ROCPRIM_400000_NS6detail17trampoline_kernelINS0_14default_configENS1_35radix_sort_onesweep_config_selectorIbiEEZNS1_34radix_sort_onesweep_global_offsetsIS3_Lb0EN6thrust23THRUST_200600_302600_NS6detail15normal_iteratorINS8_10device_ptrIbEEEENSA_INSB_IiEEEEjNS0_19identity_decomposerEEE10hipError_tT1_T2_PT3_SK_jT4_jjP12ihipStream_tbEUlT_E_NS1_11comp_targetILNS1_3genE8ELNS1_11target_archE1030ELNS1_3gpuE2ELNS1_3repE0EEENS1_52radix_sort_onesweep_histogram_config_static_selectorELNS0_4arch9wavefront6targetE1EEEvSI_, .Lfunc_end2022-_ZN7rocprim17ROCPRIM_400000_NS6detail17trampoline_kernelINS0_14default_configENS1_35radix_sort_onesweep_config_selectorIbiEEZNS1_34radix_sort_onesweep_global_offsetsIS3_Lb0EN6thrust23THRUST_200600_302600_NS6detail15normal_iteratorINS8_10device_ptrIbEEEENSA_INSB_IiEEEEjNS0_19identity_decomposerEEE10hipError_tT1_T2_PT3_SK_jT4_jjP12ihipStream_tbEUlT_E_NS1_11comp_targetILNS1_3genE8ELNS1_11target_archE1030ELNS1_3gpuE2ELNS1_3repE0EEENS1_52radix_sort_onesweep_histogram_config_static_selectorELNS0_4arch9wavefront6targetE1EEEvSI_
                                        ; -- End function
	.set _ZN7rocprim17ROCPRIM_400000_NS6detail17trampoline_kernelINS0_14default_configENS1_35radix_sort_onesweep_config_selectorIbiEEZNS1_34radix_sort_onesweep_global_offsetsIS3_Lb0EN6thrust23THRUST_200600_302600_NS6detail15normal_iteratorINS8_10device_ptrIbEEEENSA_INSB_IiEEEEjNS0_19identity_decomposerEEE10hipError_tT1_T2_PT3_SK_jT4_jjP12ihipStream_tbEUlT_E_NS1_11comp_targetILNS1_3genE8ELNS1_11target_archE1030ELNS1_3gpuE2ELNS1_3repE0EEENS1_52radix_sort_onesweep_histogram_config_static_selectorELNS0_4arch9wavefront6targetE1EEEvSI_.num_vgpr, 0
	.set _ZN7rocprim17ROCPRIM_400000_NS6detail17trampoline_kernelINS0_14default_configENS1_35radix_sort_onesweep_config_selectorIbiEEZNS1_34radix_sort_onesweep_global_offsetsIS3_Lb0EN6thrust23THRUST_200600_302600_NS6detail15normal_iteratorINS8_10device_ptrIbEEEENSA_INSB_IiEEEEjNS0_19identity_decomposerEEE10hipError_tT1_T2_PT3_SK_jT4_jjP12ihipStream_tbEUlT_E_NS1_11comp_targetILNS1_3genE8ELNS1_11target_archE1030ELNS1_3gpuE2ELNS1_3repE0EEENS1_52radix_sort_onesweep_histogram_config_static_selectorELNS0_4arch9wavefront6targetE1EEEvSI_.num_agpr, 0
	.set _ZN7rocprim17ROCPRIM_400000_NS6detail17trampoline_kernelINS0_14default_configENS1_35radix_sort_onesweep_config_selectorIbiEEZNS1_34radix_sort_onesweep_global_offsetsIS3_Lb0EN6thrust23THRUST_200600_302600_NS6detail15normal_iteratorINS8_10device_ptrIbEEEENSA_INSB_IiEEEEjNS0_19identity_decomposerEEE10hipError_tT1_T2_PT3_SK_jT4_jjP12ihipStream_tbEUlT_E_NS1_11comp_targetILNS1_3genE8ELNS1_11target_archE1030ELNS1_3gpuE2ELNS1_3repE0EEENS1_52radix_sort_onesweep_histogram_config_static_selectorELNS0_4arch9wavefront6targetE1EEEvSI_.numbered_sgpr, 0
	.set _ZN7rocprim17ROCPRIM_400000_NS6detail17trampoline_kernelINS0_14default_configENS1_35radix_sort_onesweep_config_selectorIbiEEZNS1_34radix_sort_onesweep_global_offsetsIS3_Lb0EN6thrust23THRUST_200600_302600_NS6detail15normal_iteratorINS8_10device_ptrIbEEEENSA_INSB_IiEEEEjNS0_19identity_decomposerEEE10hipError_tT1_T2_PT3_SK_jT4_jjP12ihipStream_tbEUlT_E_NS1_11comp_targetILNS1_3genE8ELNS1_11target_archE1030ELNS1_3gpuE2ELNS1_3repE0EEENS1_52radix_sort_onesweep_histogram_config_static_selectorELNS0_4arch9wavefront6targetE1EEEvSI_.num_named_barrier, 0
	.set _ZN7rocprim17ROCPRIM_400000_NS6detail17trampoline_kernelINS0_14default_configENS1_35radix_sort_onesweep_config_selectorIbiEEZNS1_34radix_sort_onesweep_global_offsetsIS3_Lb0EN6thrust23THRUST_200600_302600_NS6detail15normal_iteratorINS8_10device_ptrIbEEEENSA_INSB_IiEEEEjNS0_19identity_decomposerEEE10hipError_tT1_T2_PT3_SK_jT4_jjP12ihipStream_tbEUlT_E_NS1_11comp_targetILNS1_3genE8ELNS1_11target_archE1030ELNS1_3gpuE2ELNS1_3repE0EEENS1_52radix_sort_onesweep_histogram_config_static_selectorELNS0_4arch9wavefront6targetE1EEEvSI_.private_seg_size, 0
	.set _ZN7rocprim17ROCPRIM_400000_NS6detail17trampoline_kernelINS0_14default_configENS1_35radix_sort_onesweep_config_selectorIbiEEZNS1_34radix_sort_onesweep_global_offsetsIS3_Lb0EN6thrust23THRUST_200600_302600_NS6detail15normal_iteratorINS8_10device_ptrIbEEEENSA_INSB_IiEEEEjNS0_19identity_decomposerEEE10hipError_tT1_T2_PT3_SK_jT4_jjP12ihipStream_tbEUlT_E_NS1_11comp_targetILNS1_3genE8ELNS1_11target_archE1030ELNS1_3gpuE2ELNS1_3repE0EEENS1_52radix_sort_onesweep_histogram_config_static_selectorELNS0_4arch9wavefront6targetE1EEEvSI_.uses_vcc, 0
	.set _ZN7rocprim17ROCPRIM_400000_NS6detail17trampoline_kernelINS0_14default_configENS1_35radix_sort_onesweep_config_selectorIbiEEZNS1_34radix_sort_onesweep_global_offsetsIS3_Lb0EN6thrust23THRUST_200600_302600_NS6detail15normal_iteratorINS8_10device_ptrIbEEEENSA_INSB_IiEEEEjNS0_19identity_decomposerEEE10hipError_tT1_T2_PT3_SK_jT4_jjP12ihipStream_tbEUlT_E_NS1_11comp_targetILNS1_3genE8ELNS1_11target_archE1030ELNS1_3gpuE2ELNS1_3repE0EEENS1_52radix_sort_onesweep_histogram_config_static_selectorELNS0_4arch9wavefront6targetE1EEEvSI_.uses_flat_scratch, 0
	.set _ZN7rocprim17ROCPRIM_400000_NS6detail17trampoline_kernelINS0_14default_configENS1_35radix_sort_onesweep_config_selectorIbiEEZNS1_34radix_sort_onesweep_global_offsetsIS3_Lb0EN6thrust23THRUST_200600_302600_NS6detail15normal_iteratorINS8_10device_ptrIbEEEENSA_INSB_IiEEEEjNS0_19identity_decomposerEEE10hipError_tT1_T2_PT3_SK_jT4_jjP12ihipStream_tbEUlT_E_NS1_11comp_targetILNS1_3genE8ELNS1_11target_archE1030ELNS1_3gpuE2ELNS1_3repE0EEENS1_52radix_sort_onesweep_histogram_config_static_selectorELNS0_4arch9wavefront6targetE1EEEvSI_.has_dyn_sized_stack, 0
	.set _ZN7rocprim17ROCPRIM_400000_NS6detail17trampoline_kernelINS0_14default_configENS1_35radix_sort_onesweep_config_selectorIbiEEZNS1_34radix_sort_onesweep_global_offsetsIS3_Lb0EN6thrust23THRUST_200600_302600_NS6detail15normal_iteratorINS8_10device_ptrIbEEEENSA_INSB_IiEEEEjNS0_19identity_decomposerEEE10hipError_tT1_T2_PT3_SK_jT4_jjP12ihipStream_tbEUlT_E_NS1_11comp_targetILNS1_3genE8ELNS1_11target_archE1030ELNS1_3gpuE2ELNS1_3repE0EEENS1_52radix_sort_onesweep_histogram_config_static_selectorELNS0_4arch9wavefront6targetE1EEEvSI_.has_recursion, 0
	.set _ZN7rocprim17ROCPRIM_400000_NS6detail17trampoline_kernelINS0_14default_configENS1_35radix_sort_onesweep_config_selectorIbiEEZNS1_34radix_sort_onesweep_global_offsetsIS3_Lb0EN6thrust23THRUST_200600_302600_NS6detail15normal_iteratorINS8_10device_ptrIbEEEENSA_INSB_IiEEEEjNS0_19identity_decomposerEEE10hipError_tT1_T2_PT3_SK_jT4_jjP12ihipStream_tbEUlT_E_NS1_11comp_targetILNS1_3genE8ELNS1_11target_archE1030ELNS1_3gpuE2ELNS1_3repE0EEENS1_52radix_sort_onesweep_histogram_config_static_selectorELNS0_4arch9wavefront6targetE1EEEvSI_.has_indirect_call, 0
	.section	.AMDGPU.csdata,"",@progbits
; Kernel info:
; codeLenInByte = 0
; TotalNumSgprs: 6
; NumVgprs: 0
; NumAgprs: 0
; TotalNumVgprs: 0
; ScratchSize: 0
; MemoryBound: 0
; FloatMode: 240
; IeeeMode: 1
; LDSByteSize: 0 bytes/workgroup (compile time only)
; SGPRBlocks: 0
; VGPRBlocks: 0
; NumSGPRsForWavesPerEU: 6
; NumVGPRsForWavesPerEU: 1
; AccumOffset: 4
; Occupancy: 8
; WaveLimiterHint : 0
; COMPUTE_PGM_RSRC2:SCRATCH_EN: 0
; COMPUTE_PGM_RSRC2:USER_SGPR: 2
; COMPUTE_PGM_RSRC2:TRAP_HANDLER: 0
; COMPUTE_PGM_RSRC2:TGID_X_EN: 1
; COMPUTE_PGM_RSRC2:TGID_Y_EN: 0
; COMPUTE_PGM_RSRC2:TGID_Z_EN: 0
; COMPUTE_PGM_RSRC2:TIDIG_COMP_CNT: 0
; COMPUTE_PGM_RSRC3_GFX90A:ACCUM_OFFSET: 0
; COMPUTE_PGM_RSRC3_GFX90A:TG_SPLIT: 0
	.section	.text._ZN7rocprim17ROCPRIM_400000_NS6detail17trampoline_kernelINS0_14default_configENS1_35radix_sort_onesweep_config_selectorIbiEEZNS1_34radix_sort_onesweep_global_offsetsIS3_Lb0EN6thrust23THRUST_200600_302600_NS6detail15normal_iteratorINS8_10device_ptrIbEEEENSA_INSB_IiEEEEjNS0_19identity_decomposerEEE10hipError_tT1_T2_PT3_SK_jT4_jjP12ihipStream_tbEUlT_E0_NS1_11comp_targetILNS1_3genE0ELNS1_11target_archE4294967295ELNS1_3gpuE0ELNS1_3repE0EEENS1_52radix_sort_onesweep_histogram_config_static_selectorELNS0_4arch9wavefront6targetE1EEEvSI_,"axG",@progbits,_ZN7rocprim17ROCPRIM_400000_NS6detail17trampoline_kernelINS0_14default_configENS1_35radix_sort_onesweep_config_selectorIbiEEZNS1_34radix_sort_onesweep_global_offsetsIS3_Lb0EN6thrust23THRUST_200600_302600_NS6detail15normal_iteratorINS8_10device_ptrIbEEEENSA_INSB_IiEEEEjNS0_19identity_decomposerEEE10hipError_tT1_T2_PT3_SK_jT4_jjP12ihipStream_tbEUlT_E0_NS1_11comp_targetILNS1_3genE0ELNS1_11target_archE4294967295ELNS1_3gpuE0ELNS1_3repE0EEENS1_52radix_sort_onesweep_histogram_config_static_selectorELNS0_4arch9wavefront6targetE1EEEvSI_,comdat
	.protected	_ZN7rocprim17ROCPRIM_400000_NS6detail17trampoline_kernelINS0_14default_configENS1_35radix_sort_onesweep_config_selectorIbiEEZNS1_34radix_sort_onesweep_global_offsetsIS3_Lb0EN6thrust23THRUST_200600_302600_NS6detail15normal_iteratorINS8_10device_ptrIbEEEENSA_INSB_IiEEEEjNS0_19identity_decomposerEEE10hipError_tT1_T2_PT3_SK_jT4_jjP12ihipStream_tbEUlT_E0_NS1_11comp_targetILNS1_3genE0ELNS1_11target_archE4294967295ELNS1_3gpuE0ELNS1_3repE0EEENS1_52radix_sort_onesweep_histogram_config_static_selectorELNS0_4arch9wavefront6targetE1EEEvSI_ ; -- Begin function _ZN7rocprim17ROCPRIM_400000_NS6detail17trampoline_kernelINS0_14default_configENS1_35radix_sort_onesweep_config_selectorIbiEEZNS1_34radix_sort_onesweep_global_offsetsIS3_Lb0EN6thrust23THRUST_200600_302600_NS6detail15normal_iteratorINS8_10device_ptrIbEEEENSA_INSB_IiEEEEjNS0_19identity_decomposerEEE10hipError_tT1_T2_PT3_SK_jT4_jjP12ihipStream_tbEUlT_E0_NS1_11comp_targetILNS1_3genE0ELNS1_11target_archE4294967295ELNS1_3gpuE0ELNS1_3repE0EEENS1_52radix_sort_onesweep_histogram_config_static_selectorELNS0_4arch9wavefront6targetE1EEEvSI_
	.globl	_ZN7rocprim17ROCPRIM_400000_NS6detail17trampoline_kernelINS0_14default_configENS1_35radix_sort_onesweep_config_selectorIbiEEZNS1_34radix_sort_onesweep_global_offsetsIS3_Lb0EN6thrust23THRUST_200600_302600_NS6detail15normal_iteratorINS8_10device_ptrIbEEEENSA_INSB_IiEEEEjNS0_19identity_decomposerEEE10hipError_tT1_T2_PT3_SK_jT4_jjP12ihipStream_tbEUlT_E0_NS1_11comp_targetILNS1_3genE0ELNS1_11target_archE4294967295ELNS1_3gpuE0ELNS1_3repE0EEENS1_52radix_sort_onesweep_histogram_config_static_selectorELNS0_4arch9wavefront6targetE1EEEvSI_
	.p2align	8
	.type	_ZN7rocprim17ROCPRIM_400000_NS6detail17trampoline_kernelINS0_14default_configENS1_35radix_sort_onesweep_config_selectorIbiEEZNS1_34radix_sort_onesweep_global_offsetsIS3_Lb0EN6thrust23THRUST_200600_302600_NS6detail15normal_iteratorINS8_10device_ptrIbEEEENSA_INSB_IiEEEEjNS0_19identity_decomposerEEE10hipError_tT1_T2_PT3_SK_jT4_jjP12ihipStream_tbEUlT_E0_NS1_11comp_targetILNS1_3genE0ELNS1_11target_archE4294967295ELNS1_3gpuE0ELNS1_3repE0EEENS1_52radix_sort_onesweep_histogram_config_static_selectorELNS0_4arch9wavefront6targetE1EEEvSI_,@function
_ZN7rocprim17ROCPRIM_400000_NS6detail17trampoline_kernelINS0_14default_configENS1_35radix_sort_onesweep_config_selectorIbiEEZNS1_34radix_sort_onesweep_global_offsetsIS3_Lb0EN6thrust23THRUST_200600_302600_NS6detail15normal_iteratorINS8_10device_ptrIbEEEENSA_INSB_IiEEEEjNS0_19identity_decomposerEEE10hipError_tT1_T2_PT3_SK_jT4_jjP12ihipStream_tbEUlT_E0_NS1_11comp_targetILNS1_3genE0ELNS1_11target_archE4294967295ELNS1_3gpuE0ELNS1_3repE0EEENS1_52radix_sort_onesweep_histogram_config_static_selectorELNS0_4arch9wavefront6targetE1EEEvSI_: ; @_ZN7rocprim17ROCPRIM_400000_NS6detail17trampoline_kernelINS0_14default_configENS1_35radix_sort_onesweep_config_selectorIbiEEZNS1_34radix_sort_onesweep_global_offsetsIS3_Lb0EN6thrust23THRUST_200600_302600_NS6detail15normal_iteratorINS8_10device_ptrIbEEEENSA_INSB_IiEEEEjNS0_19identity_decomposerEEE10hipError_tT1_T2_PT3_SK_jT4_jjP12ihipStream_tbEUlT_E0_NS1_11comp_targetILNS1_3genE0ELNS1_11target_archE4294967295ELNS1_3gpuE0ELNS1_3repE0EEENS1_52radix_sort_onesweep_histogram_config_static_selectorELNS0_4arch9wavefront6targetE1EEEvSI_
; %bb.0:
	.section	.rodata,"a",@progbits
	.p2align	6, 0x0
	.amdhsa_kernel _ZN7rocprim17ROCPRIM_400000_NS6detail17trampoline_kernelINS0_14default_configENS1_35radix_sort_onesweep_config_selectorIbiEEZNS1_34radix_sort_onesweep_global_offsetsIS3_Lb0EN6thrust23THRUST_200600_302600_NS6detail15normal_iteratorINS8_10device_ptrIbEEEENSA_INSB_IiEEEEjNS0_19identity_decomposerEEE10hipError_tT1_T2_PT3_SK_jT4_jjP12ihipStream_tbEUlT_E0_NS1_11comp_targetILNS1_3genE0ELNS1_11target_archE4294967295ELNS1_3gpuE0ELNS1_3repE0EEENS1_52radix_sort_onesweep_histogram_config_static_selectorELNS0_4arch9wavefront6targetE1EEEvSI_
		.amdhsa_group_segment_fixed_size 0
		.amdhsa_private_segment_fixed_size 0
		.amdhsa_kernarg_size 8
		.amdhsa_user_sgpr_count 2
		.amdhsa_user_sgpr_dispatch_ptr 0
		.amdhsa_user_sgpr_queue_ptr 0
		.amdhsa_user_sgpr_kernarg_segment_ptr 1
		.amdhsa_user_sgpr_dispatch_id 0
		.amdhsa_user_sgpr_kernarg_preload_length 0
		.amdhsa_user_sgpr_kernarg_preload_offset 0
		.amdhsa_user_sgpr_private_segment_size 0
		.amdhsa_uses_dynamic_stack 0
		.amdhsa_enable_private_segment 0
		.amdhsa_system_sgpr_workgroup_id_x 1
		.amdhsa_system_sgpr_workgroup_id_y 0
		.amdhsa_system_sgpr_workgroup_id_z 0
		.amdhsa_system_sgpr_workgroup_info 0
		.amdhsa_system_vgpr_workitem_id 0
		.amdhsa_next_free_vgpr 1
		.amdhsa_next_free_sgpr 0
		.amdhsa_accum_offset 4
		.amdhsa_reserve_vcc 0
		.amdhsa_float_round_mode_32 0
		.amdhsa_float_round_mode_16_64 0
		.amdhsa_float_denorm_mode_32 3
		.amdhsa_float_denorm_mode_16_64 3
		.amdhsa_dx10_clamp 1
		.amdhsa_ieee_mode 1
		.amdhsa_fp16_overflow 0
		.amdhsa_tg_split 0
		.amdhsa_exception_fp_ieee_invalid_op 0
		.amdhsa_exception_fp_denorm_src 0
		.amdhsa_exception_fp_ieee_div_zero 0
		.amdhsa_exception_fp_ieee_overflow 0
		.amdhsa_exception_fp_ieee_underflow 0
		.amdhsa_exception_fp_ieee_inexact 0
		.amdhsa_exception_int_div_zero 0
	.end_amdhsa_kernel
	.section	.text._ZN7rocprim17ROCPRIM_400000_NS6detail17trampoline_kernelINS0_14default_configENS1_35radix_sort_onesweep_config_selectorIbiEEZNS1_34radix_sort_onesweep_global_offsetsIS3_Lb0EN6thrust23THRUST_200600_302600_NS6detail15normal_iteratorINS8_10device_ptrIbEEEENSA_INSB_IiEEEEjNS0_19identity_decomposerEEE10hipError_tT1_T2_PT3_SK_jT4_jjP12ihipStream_tbEUlT_E0_NS1_11comp_targetILNS1_3genE0ELNS1_11target_archE4294967295ELNS1_3gpuE0ELNS1_3repE0EEENS1_52radix_sort_onesweep_histogram_config_static_selectorELNS0_4arch9wavefront6targetE1EEEvSI_,"axG",@progbits,_ZN7rocprim17ROCPRIM_400000_NS6detail17trampoline_kernelINS0_14default_configENS1_35radix_sort_onesweep_config_selectorIbiEEZNS1_34radix_sort_onesweep_global_offsetsIS3_Lb0EN6thrust23THRUST_200600_302600_NS6detail15normal_iteratorINS8_10device_ptrIbEEEENSA_INSB_IiEEEEjNS0_19identity_decomposerEEE10hipError_tT1_T2_PT3_SK_jT4_jjP12ihipStream_tbEUlT_E0_NS1_11comp_targetILNS1_3genE0ELNS1_11target_archE4294967295ELNS1_3gpuE0ELNS1_3repE0EEENS1_52radix_sort_onesweep_histogram_config_static_selectorELNS0_4arch9wavefront6targetE1EEEvSI_,comdat
.Lfunc_end2023:
	.size	_ZN7rocprim17ROCPRIM_400000_NS6detail17trampoline_kernelINS0_14default_configENS1_35radix_sort_onesweep_config_selectorIbiEEZNS1_34radix_sort_onesweep_global_offsetsIS3_Lb0EN6thrust23THRUST_200600_302600_NS6detail15normal_iteratorINS8_10device_ptrIbEEEENSA_INSB_IiEEEEjNS0_19identity_decomposerEEE10hipError_tT1_T2_PT3_SK_jT4_jjP12ihipStream_tbEUlT_E0_NS1_11comp_targetILNS1_3genE0ELNS1_11target_archE4294967295ELNS1_3gpuE0ELNS1_3repE0EEENS1_52radix_sort_onesweep_histogram_config_static_selectorELNS0_4arch9wavefront6targetE1EEEvSI_, .Lfunc_end2023-_ZN7rocprim17ROCPRIM_400000_NS6detail17trampoline_kernelINS0_14default_configENS1_35radix_sort_onesweep_config_selectorIbiEEZNS1_34radix_sort_onesweep_global_offsetsIS3_Lb0EN6thrust23THRUST_200600_302600_NS6detail15normal_iteratorINS8_10device_ptrIbEEEENSA_INSB_IiEEEEjNS0_19identity_decomposerEEE10hipError_tT1_T2_PT3_SK_jT4_jjP12ihipStream_tbEUlT_E0_NS1_11comp_targetILNS1_3genE0ELNS1_11target_archE4294967295ELNS1_3gpuE0ELNS1_3repE0EEENS1_52radix_sort_onesweep_histogram_config_static_selectorELNS0_4arch9wavefront6targetE1EEEvSI_
                                        ; -- End function
	.set _ZN7rocprim17ROCPRIM_400000_NS6detail17trampoline_kernelINS0_14default_configENS1_35radix_sort_onesweep_config_selectorIbiEEZNS1_34radix_sort_onesweep_global_offsetsIS3_Lb0EN6thrust23THRUST_200600_302600_NS6detail15normal_iteratorINS8_10device_ptrIbEEEENSA_INSB_IiEEEEjNS0_19identity_decomposerEEE10hipError_tT1_T2_PT3_SK_jT4_jjP12ihipStream_tbEUlT_E0_NS1_11comp_targetILNS1_3genE0ELNS1_11target_archE4294967295ELNS1_3gpuE0ELNS1_3repE0EEENS1_52radix_sort_onesweep_histogram_config_static_selectorELNS0_4arch9wavefront6targetE1EEEvSI_.num_vgpr, 0
	.set _ZN7rocprim17ROCPRIM_400000_NS6detail17trampoline_kernelINS0_14default_configENS1_35radix_sort_onesweep_config_selectorIbiEEZNS1_34radix_sort_onesweep_global_offsetsIS3_Lb0EN6thrust23THRUST_200600_302600_NS6detail15normal_iteratorINS8_10device_ptrIbEEEENSA_INSB_IiEEEEjNS0_19identity_decomposerEEE10hipError_tT1_T2_PT3_SK_jT4_jjP12ihipStream_tbEUlT_E0_NS1_11comp_targetILNS1_3genE0ELNS1_11target_archE4294967295ELNS1_3gpuE0ELNS1_3repE0EEENS1_52radix_sort_onesweep_histogram_config_static_selectorELNS0_4arch9wavefront6targetE1EEEvSI_.num_agpr, 0
	.set _ZN7rocprim17ROCPRIM_400000_NS6detail17trampoline_kernelINS0_14default_configENS1_35radix_sort_onesweep_config_selectorIbiEEZNS1_34radix_sort_onesweep_global_offsetsIS3_Lb0EN6thrust23THRUST_200600_302600_NS6detail15normal_iteratorINS8_10device_ptrIbEEEENSA_INSB_IiEEEEjNS0_19identity_decomposerEEE10hipError_tT1_T2_PT3_SK_jT4_jjP12ihipStream_tbEUlT_E0_NS1_11comp_targetILNS1_3genE0ELNS1_11target_archE4294967295ELNS1_3gpuE0ELNS1_3repE0EEENS1_52radix_sort_onesweep_histogram_config_static_selectorELNS0_4arch9wavefront6targetE1EEEvSI_.numbered_sgpr, 0
	.set _ZN7rocprim17ROCPRIM_400000_NS6detail17trampoline_kernelINS0_14default_configENS1_35radix_sort_onesweep_config_selectorIbiEEZNS1_34radix_sort_onesweep_global_offsetsIS3_Lb0EN6thrust23THRUST_200600_302600_NS6detail15normal_iteratorINS8_10device_ptrIbEEEENSA_INSB_IiEEEEjNS0_19identity_decomposerEEE10hipError_tT1_T2_PT3_SK_jT4_jjP12ihipStream_tbEUlT_E0_NS1_11comp_targetILNS1_3genE0ELNS1_11target_archE4294967295ELNS1_3gpuE0ELNS1_3repE0EEENS1_52radix_sort_onesweep_histogram_config_static_selectorELNS0_4arch9wavefront6targetE1EEEvSI_.num_named_barrier, 0
	.set _ZN7rocprim17ROCPRIM_400000_NS6detail17trampoline_kernelINS0_14default_configENS1_35radix_sort_onesweep_config_selectorIbiEEZNS1_34radix_sort_onesweep_global_offsetsIS3_Lb0EN6thrust23THRUST_200600_302600_NS6detail15normal_iteratorINS8_10device_ptrIbEEEENSA_INSB_IiEEEEjNS0_19identity_decomposerEEE10hipError_tT1_T2_PT3_SK_jT4_jjP12ihipStream_tbEUlT_E0_NS1_11comp_targetILNS1_3genE0ELNS1_11target_archE4294967295ELNS1_3gpuE0ELNS1_3repE0EEENS1_52radix_sort_onesweep_histogram_config_static_selectorELNS0_4arch9wavefront6targetE1EEEvSI_.private_seg_size, 0
	.set _ZN7rocprim17ROCPRIM_400000_NS6detail17trampoline_kernelINS0_14default_configENS1_35radix_sort_onesweep_config_selectorIbiEEZNS1_34radix_sort_onesweep_global_offsetsIS3_Lb0EN6thrust23THRUST_200600_302600_NS6detail15normal_iteratorINS8_10device_ptrIbEEEENSA_INSB_IiEEEEjNS0_19identity_decomposerEEE10hipError_tT1_T2_PT3_SK_jT4_jjP12ihipStream_tbEUlT_E0_NS1_11comp_targetILNS1_3genE0ELNS1_11target_archE4294967295ELNS1_3gpuE0ELNS1_3repE0EEENS1_52radix_sort_onesweep_histogram_config_static_selectorELNS0_4arch9wavefront6targetE1EEEvSI_.uses_vcc, 0
	.set _ZN7rocprim17ROCPRIM_400000_NS6detail17trampoline_kernelINS0_14default_configENS1_35radix_sort_onesweep_config_selectorIbiEEZNS1_34radix_sort_onesweep_global_offsetsIS3_Lb0EN6thrust23THRUST_200600_302600_NS6detail15normal_iteratorINS8_10device_ptrIbEEEENSA_INSB_IiEEEEjNS0_19identity_decomposerEEE10hipError_tT1_T2_PT3_SK_jT4_jjP12ihipStream_tbEUlT_E0_NS1_11comp_targetILNS1_3genE0ELNS1_11target_archE4294967295ELNS1_3gpuE0ELNS1_3repE0EEENS1_52radix_sort_onesweep_histogram_config_static_selectorELNS0_4arch9wavefront6targetE1EEEvSI_.uses_flat_scratch, 0
	.set _ZN7rocprim17ROCPRIM_400000_NS6detail17trampoline_kernelINS0_14default_configENS1_35radix_sort_onesweep_config_selectorIbiEEZNS1_34radix_sort_onesweep_global_offsetsIS3_Lb0EN6thrust23THRUST_200600_302600_NS6detail15normal_iteratorINS8_10device_ptrIbEEEENSA_INSB_IiEEEEjNS0_19identity_decomposerEEE10hipError_tT1_T2_PT3_SK_jT4_jjP12ihipStream_tbEUlT_E0_NS1_11comp_targetILNS1_3genE0ELNS1_11target_archE4294967295ELNS1_3gpuE0ELNS1_3repE0EEENS1_52radix_sort_onesweep_histogram_config_static_selectorELNS0_4arch9wavefront6targetE1EEEvSI_.has_dyn_sized_stack, 0
	.set _ZN7rocprim17ROCPRIM_400000_NS6detail17trampoline_kernelINS0_14default_configENS1_35radix_sort_onesweep_config_selectorIbiEEZNS1_34radix_sort_onesweep_global_offsetsIS3_Lb0EN6thrust23THRUST_200600_302600_NS6detail15normal_iteratorINS8_10device_ptrIbEEEENSA_INSB_IiEEEEjNS0_19identity_decomposerEEE10hipError_tT1_T2_PT3_SK_jT4_jjP12ihipStream_tbEUlT_E0_NS1_11comp_targetILNS1_3genE0ELNS1_11target_archE4294967295ELNS1_3gpuE0ELNS1_3repE0EEENS1_52radix_sort_onesweep_histogram_config_static_selectorELNS0_4arch9wavefront6targetE1EEEvSI_.has_recursion, 0
	.set _ZN7rocprim17ROCPRIM_400000_NS6detail17trampoline_kernelINS0_14default_configENS1_35radix_sort_onesweep_config_selectorIbiEEZNS1_34radix_sort_onesweep_global_offsetsIS3_Lb0EN6thrust23THRUST_200600_302600_NS6detail15normal_iteratorINS8_10device_ptrIbEEEENSA_INSB_IiEEEEjNS0_19identity_decomposerEEE10hipError_tT1_T2_PT3_SK_jT4_jjP12ihipStream_tbEUlT_E0_NS1_11comp_targetILNS1_3genE0ELNS1_11target_archE4294967295ELNS1_3gpuE0ELNS1_3repE0EEENS1_52radix_sort_onesweep_histogram_config_static_selectorELNS0_4arch9wavefront6targetE1EEEvSI_.has_indirect_call, 0
	.section	.AMDGPU.csdata,"",@progbits
; Kernel info:
; codeLenInByte = 0
; TotalNumSgprs: 6
; NumVgprs: 0
; NumAgprs: 0
; TotalNumVgprs: 0
; ScratchSize: 0
; MemoryBound: 0
; FloatMode: 240
; IeeeMode: 1
; LDSByteSize: 0 bytes/workgroup (compile time only)
; SGPRBlocks: 0
; VGPRBlocks: 0
; NumSGPRsForWavesPerEU: 6
; NumVGPRsForWavesPerEU: 1
; AccumOffset: 4
; Occupancy: 8
; WaveLimiterHint : 0
; COMPUTE_PGM_RSRC2:SCRATCH_EN: 0
; COMPUTE_PGM_RSRC2:USER_SGPR: 2
; COMPUTE_PGM_RSRC2:TRAP_HANDLER: 0
; COMPUTE_PGM_RSRC2:TGID_X_EN: 1
; COMPUTE_PGM_RSRC2:TGID_Y_EN: 0
; COMPUTE_PGM_RSRC2:TGID_Z_EN: 0
; COMPUTE_PGM_RSRC2:TIDIG_COMP_CNT: 0
; COMPUTE_PGM_RSRC3_GFX90A:ACCUM_OFFSET: 0
; COMPUTE_PGM_RSRC3_GFX90A:TG_SPLIT: 0
	.section	.text._ZN7rocprim17ROCPRIM_400000_NS6detail17trampoline_kernelINS0_14default_configENS1_35radix_sort_onesweep_config_selectorIbiEEZNS1_34radix_sort_onesweep_global_offsetsIS3_Lb0EN6thrust23THRUST_200600_302600_NS6detail15normal_iteratorINS8_10device_ptrIbEEEENSA_INSB_IiEEEEjNS0_19identity_decomposerEEE10hipError_tT1_T2_PT3_SK_jT4_jjP12ihipStream_tbEUlT_E0_NS1_11comp_targetILNS1_3genE6ELNS1_11target_archE950ELNS1_3gpuE13ELNS1_3repE0EEENS1_52radix_sort_onesweep_histogram_config_static_selectorELNS0_4arch9wavefront6targetE1EEEvSI_,"axG",@progbits,_ZN7rocprim17ROCPRIM_400000_NS6detail17trampoline_kernelINS0_14default_configENS1_35radix_sort_onesweep_config_selectorIbiEEZNS1_34radix_sort_onesweep_global_offsetsIS3_Lb0EN6thrust23THRUST_200600_302600_NS6detail15normal_iteratorINS8_10device_ptrIbEEEENSA_INSB_IiEEEEjNS0_19identity_decomposerEEE10hipError_tT1_T2_PT3_SK_jT4_jjP12ihipStream_tbEUlT_E0_NS1_11comp_targetILNS1_3genE6ELNS1_11target_archE950ELNS1_3gpuE13ELNS1_3repE0EEENS1_52radix_sort_onesweep_histogram_config_static_selectorELNS0_4arch9wavefront6targetE1EEEvSI_,comdat
	.protected	_ZN7rocprim17ROCPRIM_400000_NS6detail17trampoline_kernelINS0_14default_configENS1_35radix_sort_onesweep_config_selectorIbiEEZNS1_34radix_sort_onesweep_global_offsetsIS3_Lb0EN6thrust23THRUST_200600_302600_NS6detail15normal_iteratorINS8_10device_ptrIbEEEENSA_INSB_IiEEEEjNS0_19identity_decomposerEEE10hipError_tT1_T2_PT3_SK_jT4_jjP12ihipStream_tbEUlT_E0_NS1_11comp_targetILNS1_3genE6ELNS1_11target_archE950ELNS1_3gpuE13ELNS1_3repE0EEENS1_52radix_sort_onesweep_histogram_config_static_selectorELNS0_4arch9wavefront6targetE1EEEvSI_ ; -- Begin function _ZN7rocprim17ROCPRIM_400000_NS6detail17trampoline_kernelINS0_14default_configENS1_35radix_sort_onesweep_config_selectorIbiEEZNS1_34radix_sort_onesweep_global_offsetsIS3_Lb0EN6thrust23THRUST_200600_302600_NS6detail15normal_iteratorINS8_10device_ptrIbEEEENSA_INSB_IiEEEEjNS0_19identity_decomposerEEE10hipError_tT1_T2_PT3_SK_jT4_jjP12ihipStream_tbEUlT_E0_NS1_11comp_targetILNS1_3genE6ELNS1_11target_archE950ELNS1_3gpuE13ELNS1_3repE0EEENS1_52radix_sort_onesweep_histogram_config_static_selectorELNS0_4arch9wavefront6targetE1EEEvSI_
	.globl	_ZN7rocprim17ROCPRIM_400000_NS6detail17trampoline_kernelINS0_14default_configENS1_35radix_sort_onesweep_config_selectorIbiEEZNS1_34radix_sort_onesweep_global_offsetsIS3_Lb0EN6thrust23THRUST_200600_302600_NS6detail15normal_iteratorINS8_10device_ptrIbEEEENSA_INSB_IiEEEEjNS0_19identity_decomposerEEE10hipError_tT1_T2_PT3_SK_jT4_jjP12ihipStream_tbEUlT_E0_NS1_11comp_targetILNS1_3genE6ELNS1_11target_archE950ELNS1_3gpuE13ELNS1_3repE0EEENS1_52radix_sort_onesweep_histogram_config_static_selectorELNS0_4arch9wavefront6targetE1EEEvSI_
	.p2align	8
	.type	_ZN7rocprim17ROCPRIM_400000_NS6detail17trampoline_kernelINS0_14default_configENS1_35radix_sort_onesweep_config_selectorIbiEEZNS1_34radix_sort_onesweep_global_offsetsIS3_Lb0EN6thrust23THRUST_200600_302600_NS6detail15normal_iteratorINS8_10device_ptrIbEEEENSA_INSB_IiEEEEjNS0_19identity_decomposerEEE10hipError_tT1_T2_PT3_SK_jT4_jjP12ihipStream_tbEUlT_E0_NS1_11comp_targetILNS1_3genE6ELNS1_11target_archE950ELNS1_3gpuE13ELNS1_3repE0EEENS1_52radix_sort_onesweep_histogram_config_static_selectorELNS0_4arch9wavefront6targetE1EEEvSI_,@function
_ZN7rocprim17ROCPRIM_400000_NS6detail17trampoline_kernelINS0_14default_configENS1_35radix_sort_onesweep_config_selectorIbiEEZNS1_34radix_sort_onesweep_global_offsetsIS3_Lb0EN6thrust23THRUST_200600_302600_NS6detail15normal_iteratorINS8_10device_ptrIbEEEENSA_INSB_IiEEEEjNS0_19identity_decomposerEEE10hipError_tT1_T2_PT3_SK_jT4_jjP12ihipStream_tbEUlT_E0_NS1_11comp_targetILNS1_3genE6ELNS1_11target_archE950ELNS1_3gpuE13ELNS1_3repE0EEENS1_52radix_sort_onesweep_histogram_config_static_selectorELNS0_4arch9wavefront6targetE1EEEvSI_: ; @_ZN7rocprim17ROCPRIM_400000_NS6detail17trampoline_kernelINS0_14default_configENS1_35radix_sort_onesweep_config_selectorIbiEEZNS1_34radix_sort_onesweep_global_offsetsIS3_Lb0EN6thrust23THRUST_200600_302600_NS6detail15normal_iteratorINS8_10device_ptrIbEEEENSA_INSB_IiEEEEjNS0_19identity_decomposerEEE10hipError_tT1_T2_PT3_SK_jT4_jjP12ihipStream_tbEUlT_E0_NS1_11comp_targetILNS1_3genE6ELNS1_11target_archE950ELNS1_3gpuE13ELNS1_3repE0EEENS1_52radix_sort_onesweep_histogram_config_static_selectorELNS0_4arch9wavefront6targetE1EEEvSI_
; %bb.0:
	s_load_dwordx2 s[0:1], s[0:1], 0x0
	s_lshl_b32 s2, s2, 8
	s_mov_b32 s3, 0
	s_lshl_b64 s[2:3], s[2:3], 2
	v_lshlrev_b32_e32 v1, 2, v0
	s_waitcnt lgkmcnt(0)
	s_add_u32 s10, s0, s2
	s_movk_i32 s0, 0x100
	s_addc_u32 s11, s1, s3
	v_cmp_gt_u32_e32 vcc, s0, v0
                                        ; implicit-def: $vgpr3
	s_and_saveexec_b64 s[0:1], vcc
	s_cbranch_execz .LBB2024_2
; %bb.1:
	global_load_dword v3, v1, s[10:11]
.LBB2024_2:
	s_or_b64 exec, exec, s[0:1]
	v_mbcnt_lo_u32_b32 v2, -1, 0
	v_mbcnt_hi_u32_b32 v2, -1, v2
	v_and_b32_e32 v4, 15, v2
	s_waitcnt vmcnt(0)
	v_mov_b32_dpp v5, v3 row_shr:1 row_mask:0xf bank_mask:0xf
	v_cmp_eq_u32_e64 s[0:1], 0, v4
	v_cmp_lt_u32_e64 s[2:3], 1, v4
	v_cmp_lt_u32_e64 s[4:5], 3, v4
	v_cndmask_b32_e64 v5, v5, 0, s[0:1]
	v_add_u32_e32 v3, v5, v3
	v_cmp_lt_u32_e64 s[6:7], 7, v4
	v_cmp_lt_u32_e64 s[8:9], 31, v2
	v_mov_b32_dpp v5, v3 row_shr:2 row_mask:0xf bank_mask:0xf
	v_cndmask_b32_e64 v5, 0, v5, s[2:3]
	v_add_u32_e32 v3, v3, v5
	s_nop 1
	v_mov_b32_dpp v5, v3 row_shr:4 row_mask:0xf bank_mask:0xf
	v_cndmask_b32_e64 v5, 0, v5, s[4:5]
	v_add_u32_e32 v3, v3, v5
	s_nop 1
	v_mov_b32_dpp v5, v3 row_shr:8 row_mask:0xf bank_mask:0xf
	v_cndmask_b32_e64 v4, 0, v5, s[6:7]
	v_add_u32_e32 v3, v3, v4
	v_bfe_i32 v5, v2, 4, 1
	s_nop 0
	v_mov_b32_dpp v4, v3 row_bcast:15 row_mask:0xf bank_mask:0xf
	v_and_b32_e32 v4, v5, v4
	v_add_u32_e32 v3, v3, v4
	v_and_b32_e32 v5, 63, v0
	s_nop 0
	v_mov_b32_dpp v4, v3 row_bcast:31 row_mask:0xf bank_mask:0xf
	v_cndmask_b32_e64 v4, 0, v4, s[8:9]
	v_add_u32_e32 v3, v3, v4
	v_lshrrev_b32_e32 v4, 6, v0
	v_cmp_eq_u32_e64 s[8:9], 63, v5
	s_and_saveexec_b64 s[12:13], s[8:9]
; %bb.3:
	v_lshlrev_b32_e32 v5, 2, v4
	ds_write_b32 v5, v3
; %bb.4:
	s_or_b64 exec, exec, s[12:13]
	v_cmp_gt_u32_e64 s[8:9], 16, v0
	s_waitcnt lgkmcnt(0)
	s_barrier
	s_and_saveexec_b64 s[12:13], s[8:9]
	s_cbranch_execz .LBB2024_6
; %bb.5:
	ds_read_b32 v5, v1
	s_waitcnt lgkmcnt(0)
	s_nop 0
	v_mov_b32_dpp v6, v5 row_shr:1 row_mask:0xf bank_mask:0xf
	v_cndmask_b32_e64 v6, v6, 0, s[0:1]
	v_add_u32_e32 v5, v6, v5
	s_nop 1
	v_mov_b32_dpp v6, v5 row_shr:2 row_mask:0xf bank_mask:0xf
	v_cndmask_b32_e64 v6, 0, v6, s[2:3]
	v_add_u32_e32 v5, v5, v6
	;; [unrolled: 4-line block ×4, first 2 shown]
	ds_write_b32 v1, v5
.LBB2024_6:
	s_or_b64 exec, exec, s[12:13]
	v_cmp_lt_u32_e64 s[0:1], 63, v0
	v_mov_b32_e32 v0, 0
	s_waitcnt lgkmcnt(0)
	s_barrier
	s_and_saveexec_b64 s[2:3], s[0:1]
; %bb.7:
	v_lshl_add_u32 v0, v4, 2, -4
	ds_read_b32 v0, v0
; %bb.8:
	s_or_b64 exec, exec, s[2:3]
	v_add_u32_e32 v4, -1, v2
	v_and_b32_e32 v5, 64, v2
	v_cmp_lt_i32_e64 s[0:1], v4, v5
	s_waitcnt lgkmcnt(0)
	v_add_u32_e32 v3, v0, v3
	v_cndmask_b32_e64 v4, v4, v2, s[0:1]
	v_lshlrev_b32_e32 v4, 2, v4
	ds_bpermute_b32 v3, v4, v3
	s_and_saveexec_b64 s[0:1], vcc
	s_cbranch_execz .LBB2024_10
; %bb.9:
	v_cmp_eq_u32_e32 vcc, 0, v2
	s_waitcnt lgkmcnt(0)
	s_nop 0
	v_cndmask_b32_e32 v0, v3, v0, vcc
	global_store_dword v1, v0, s[10:11]
.LBB2024_10:
	s_endpgm
	.section	.rodata,"a",@progbits
	.p2align	6, 0x0
	.amdhsa_kernel _ZN7rocprim17ROCPRIM_400000_NS6detail17trampoline_kernelINS0_14default_configENS1_35radix_sort_onesweep_config_selectorIbiEEZNS1_34radix_sort_onesweep_global_offsetsIS3_Lb0EN6thrust23THRUST_200600_302600_NS6detail15normal_iteratorINS8_10device_ptrIbEEEENSA_INSB_IiEEEEjNS0_19identity_decomposerEEE10hipError_tT1_T2_PT3_SK_jT4_jjP12ihipStream_tbEUlT_E0_NS1_11comp_targetILNS1_3genE6ELNS1_11target_archE950ELNS1_3gpuE13ELNS1_3repE0EEENS1_52radix_sort_onesweep_histogram_config_static_selectorELNS0_4arch9wavefront6targetE1EEEvSI_
		.amdhsa_group_segment_fixed_size 64
		.amdhsa_private_segment_fixed_size 0
		.amdhsa_kernarg_size 8
		.amdhsa_user_sgpr_count 2
		.amdhsa_user_sgpr_dispatch_ptr 0
		.amdhsa_user_sgpr_queue_ptr 0
		.amdhsa_user_sgpr_kernarg_segment_ptr 1
		.amdhsa_user_sgpr_dispatch_id 0
		.amdhsa_user_sgpr_kernarg_preload_length 0
		.amdhsa_user_sgpr_kernarg_preload_offset 0
		.amdhsa_user_sgpr_private_segment_size 0
		.amdhsa_uses_dynamic_stack 0
		.amdhsa_enable_private_segment 0
		.amdhsa_system_sgpr_workgroup_id_x 1
		.amdhsa_system_sgpr_workgroup_id_y 0
		.amdhsa_system_sgpr_workgroup_id_z 0
		.amdhsa_system_sgpr_workgroup_info 0
		.amdhsa_system_vgpr_workitem_id 0
		.amdhsa_next_free_vgpr 7
		.amdhsa_next_free_sgpr 14
		.amdhsa_accum_offset 8
		.amdhsa_reserve_vcc 1
		.amdhsa_float_round_mode_32 0
		.amdhsa_float_round_mode_16_64 0
		.amdhsa_float_denorm_mode_32 3
		.amdhsa_float_denorm_mode_16_64 3
		.amdhsa_dx10_clamp 1
		.amdhsa_ieee_mode 1
		.amdhsa_fp16_overflow 0
		.amdhsa_tg_split 0
		.amdhsa_exception_fp_ieee_invalid_op 0
		.amdhsa_exception_fp_denorm_src 0
		.amdhsa_exception_fp_ieee_div_zero 0
		.amdhsa_exception_fp_ieee_overflow 0
		.amdhsa_exception_fp_ieee_underflow 0
		.amdhsa_exception_fp_ieee_inexact 0
		.amdhsa_exception_int_div_zero 0
	.end_amdhsa_kernel
	.section	.text._ZN7rocprim17ROCPRIM_400000_NS6detail17trampoline_kernelINS0_14default_configENS1_35radix_sort_onesweep_config_selectorIbiEEZNS1_34radix_sort_onesweep_global_offsetsIS3_Lb0EN6thrust23THRUST_200600_302600_NS6detail15normal_iteratorINS8_10device_ptrIbEEEENSA_INSB_IiEEEEjNS0_19identity_decomposerEEE10hipError_tT1_T2_PT3_SK_jT4_jjP12ihipStream_tbEUlT_E0_NS1_11comp_targetILNS1_3genE6ELNS1_11target_archE950ELNS1_3gpuE13ELNS1_3repE0EEENS1_52radix_sort_onesweep_histogram_config_static_selectorELNS0_4arch9wavefront6targetE1EEEvSI_,"axG",@progbits,_ZN7rocprim17ROCPRIM_400000_NS6detail17trampoline_kernelINS0_14default_configENS1_35radix_sort_onesweep_config_selectorIbiEEZNS1_34radix_sort_onesweep_global_offsetsIS3_Lb0EN6thrust23THRUST_200600_302600_NS6detail15normal_iteratorINS8_10device_ptrIbEEEENSA_INSB_IiEEEEjNS0_19identity_decomposerEEE10hipError_tT1_T2_PT3_SK_jT4_jjP12ihipStream_tbEUlT_E0_NS1_11comp_targetILNS1_3genE6ELNS1_11target_archE950ELNS1_3gpuE13ELNS1_3repE0EEENS1_52radix_sort_onesweep_histogram_config_static_selectorELNS0_4arch9wavefront6targetE1EEEvSI_,comdat
.Lfunc_end2024:
	.size	_ZN7rocprim17ROCPRIM_400000_NS6detail17trampoline_kernelINS0_14default_configENS1_35radix_sort_onesweep_config_selectorIbiEEZNS1_34radix_sort_onesweep_global_offsetsIS3_Lb0EN6thrust23THRUST_200600_302600_NS6detail15normal_iteratorINS8_10device_ptrIbEEEENSA_INSB_IiEEEEjNS0_19identity_decomposerEEE10hipError_tT1_T2_PT3_SK_jT4_jjP12ihipStream_tbEUlT_E0_NS1_11comp_targetILNS1_3genE6ELNS1_11target_archE950ELNS1_3gpuE13ELNS1_3repE0EEENS1_52radix_sort_onesweep_histogram_config_static_selectorELNS0_4arch9wavefront6targetE1EEEvSI_, .Lfunc_end2024-_ZN7rocprim17ROCPRIM_400000_NS6detail17trampoline_kernelINS0_14default_configENS1_35radix_sort_onesweep_config_selectorIbiEEZNS1_34radix_sort_onesweep_global_offsetsIS3_Lb0EN6thrust23THRUST_200600_302600_NS6detail15normal_iteratorINS8_10device_ptrIbEEEENSA_INSB_IiEEEEjNS0_19identity_decomposerEEE10hipError_tT1_T2_PT3_SK_jT4_jjP12ihipStream_tbEUlT_E0_NS1_11comp_targetILNS1_3genE6ELNS1_11target_archE950ELNS1_3gpuE13ELNS1_3repE0EEENS1_52radix_sort_onesweep_histogram_config_static_selectorELNS0_4arch9wavefront6targetE1EEEvSI_
                                        ; -- End function
	.set _ZN7rocprim17ROCPRIM_400000_NS6detail17trampoline_kernelINS0_14default_configENS1_35radix_sort_onesweep_config_selectorIbiEEZNS1_34radix_sort_onesweep_global_offsetsIS3_Lb0EN6thrust23THRUST_200600_302600_NS6detail15normal_iteratorINS8_10device_ptrIbEEEENSA_INSB_IiEEEEjNS0_19identity_decomposerEEE10hipError_tT1_T2_PT3_SK_jT4_jjP12ihipStream_tbEUlT_E0_NS1_11comp_targetILNS1_3genE6ELNS1_11target_archE950ELNS1_3gpuE13ELNS1_3repE0EEENS1_52radix_sort_onesweep_histogram_config_static_selectorELNS0_4arch9wavefront6targetE1EEEvSI_.num_vgpr, 7
	.set _ZN7rocprim17ROCPRIM_400000_NS6detail17trampoline_kernelINS0_14default_configENS1_35radix_sort_onesweep_config_selectorIbiEEZNS1_34radix_sort_onesweep_global_offsetsIS3_Lb0EN6thrust23THRUST_200600_302600_NS6detail15normal_iteratorINS8_10device_ptrIbEEEENSA_INSB_IiEEEEjNS0_19identity_decomposerEEE10hipError_tT1_T2_PT3_SK_jT4_jjP12ihipStream_tbEUlT_E0_NS1_11comp_targetILNS1_3genE6ELNS1_11target_archE950ELNS1_3gpuE13ELNS1_3repE0EEENS1_52radix_sort_onesweep_histogram_config_static_selectorELNS0_4arch9wavefront6targetE1EEEvSI_.num_agpr, 0
	.set _ZN7rocprim17ROCPRIM_400000_NS6detail17trampoline_kernelINS0_14default_configENS1_35radix_sort_onesweep_config_selectorIbiEEZNS1_34radix_sort_onesweep_global_offsetsIS3_Lb0EN6thrust23THRUST_200600_302600_NS6detail15normal_iteratorINS8_10device_ptrIbEEEENSA_INSB_IiEEEEjNS0_19identity_decomposerEEE10hipError_tT1_T2_PT3_SK_jT4_jjP12ihipStream_tbEUlT_E0_NS1_11comp_targetILNS1_3genE6ELNS1_11target_archE950ELNS1_3gpuE13ELNS1_3repE0EEENS1_52radix_sort_onesweep_histogram_config_static_selectorELNS0_4arch9wavefront6targetE1EEEvSI_.numbered_sgpr, 14
	.set _ZN7rocprim17ROCPRIM_400000_NS6detail17trampoline_kernelINS0_14default_configENS1_35radix_sort_onesweep_config_selectorIbiEEZNS1_34radix_sort_onesweep_global_offsetsIS3_Lb0EN6thrust23THRUST_200600_302600_NS6detail15normal_iteratorINS8_10device_ptrIbEEEENSA_INSB_IiEEEEjNS0_19identity_decomposerEEE10hipError_tT1_T2_PT3_SK_jT4_jjP12ihipStream_tbEUlT_E0_NS1_11comp_targetILNS1_3genE6ELNS1_11target_archE950ELNS1_3gpuE13ELNS1_3repE0EEENS1_52radix_sort_onesweep_histogram_config_static_selectorELNS0_4arch9wavefront6targetE1EEEvSI_.num_named_barrier, 0
	.set _ZN7rocprim17ROCPRIM_400000_NS6detail17trampoline_kernelINS0_14default_configENS1_35radix_sort_onesweep_config_selectorIbiEEZNS1_34radix_sort_onesweep_global_offsetsIS3_Lb0EN6thrust23THRUST_200600_302600_NS6detail15normal_iteratorINS8_10device_ptrIbEEEENSA_INSB_IiEEEEjNS0_19identity_decomposerEEE10hipError_tT1_T2_PT3_SK_jT4_jjP12ihipStream_tbEUlT_E0_NS1_11comp_targetILNS1_3genE6ELNS1_11target_archE950ELNS1_3gpuE13ELNS1_3repE0EEENS1_52radix_sort_onesweep_histogram_config_static_selectorELNS0_4arch9wavefront6targetE1EEEvSI_.private_seg_size, 0
	.set _ZN7rocprim17ROCPRIM_400000_NS6detail17trampoline_kernelINS0_14default_configENS1_35radix_sort_onesweep_config_selectorIbiEEZNS1_34radix_sort_onesweep_global_offsetsIS3_Lb0EN6thrust23THRUST_200600_302600_NS6detail15normal_iteratorINS8_10device_ptrIbEEEENSA_INSB_IiEEEEjNS0_19identity_decomposerEEE10hipError_tT1_T2_PT3_SK_jT4_jjP12ihipStream_tbEUlT_E0_NS1_11comp_targetILNS1_3genE6ELNS1_11target_archE950ELNS1_3gpuE13ELNS1_3repE0EEENS1_52radix_sort_onesweep_histogram_config_static_selectorELNS0_4arch9wavefront6targetE1EEEvSI_.uses_vcc, 1
	.set _ZN7rocprim17ROCPRIM_400000_NS6detail17trampoline_kernelINS0_14default_configENS1_35radix_sort_onesweep_config_selectorIbiEEZNS1_34radix_sort_onesweep_global_offsetsIS3_Lb0EN6thrust23THRUST_200600_302600_NS6detail15normal_iteratorINS8_10device_ptrIbEEEENSA_INSB_IiEEEEjNS0_19identity_decomposerEEE10hipError_tT1_T2_PT3_SK_jT4_jjP12ihipStream_tbEUlT_E0_NS1_11comp_targetILNS1_3genE6ELNS1_11target_archE950ELNS1_3gpuE13ELNS1_3repE0EEENS1_52radix_sort_onesweep_histogram_config_static_selectorELNS0_4arch9wavefront6targetE1EEEvSI_.uses_flat_scratch, 0
	.set _ZN7rocprim17ROCPRIM_400000_NS6detail17trampoline_kernelINS0_14default_configENS1_35radix_sort_onesweep_config_selectorIbiEEZNS1_34radix_sort_onesweep_global_offsetsIS3_Lb0EN6thrust23THRUST_200600_302600_NS6detail15normal_iteratorINS8_10device_ptrIbEEEENSA_INSB_IiEEEEjNS0_19identity_decomposerEEE10hipError_tT1_T2_PT3_SK_jT4_jjP12ihipStream_tbEUlT_E0_NS1_11comp_targetILNS1_3genE6ELNS1_11target_archE950ELNS1_3gpuE13ELNS1_3repE0EEENS1_52radix_sort_onesweep_histogram_config_static_selectorELNS0_4arch9wavefront6targetE1EEEvSI_.has_dyn_sized_stack, 0
	.set _ZN7rocprim17ROCPRIM_400000_NS6detail17trampoline_kernelINS0_14default_configENS1_35radix_sort_onesweep_config_selectorIbiEEZNS1_34radix_sort_onesweep_global_offsetsIS3_Lb0EN6thrust23THRUST_200600_302600_NS6detail15normal_iteratorINS8_10device_ptrIbEEEENSA_INSB_IiEEEEjNS0_19identity_decomposerEEE10hipError_tT1_T2_PT3_SK_jT4_jjP12ihipStream_tbEUlT_E0_NS1_11comp_targetILNS1_3genE6ELNS1_11target_archE950ELNS1_3gpuE13ELNS1_3repE0EEENS1_52radix_sort_onesweep_histogram_config_static_selectorELNS0_4arch9wavefront6targetE1EEEvSI_.has_recursion, 0
	.set _ZN7rocprim17ROCPRIM_400000_NS6detail17trampoline_kernelINS0_14default_configENS1_35radix_sort_onesweep_config_selectorIbiEEZNS1_34radix_sort_onesweep_global_offsetsIS3_Lb0EN6thrust23THRUST_200600_302600_NS6detail15normal_iteratorINS8_10device_ptrIbEEEENSA_INSB_IiEEEEjNS0_19identity_decomposerEEE10hipError_tT1_T2_PT3_SK_jT4_jjP12ihipStream_tbEUlT_E0_NS1_11comp_targetILNS1_3genE6ELNS1_11target_archE950ELNS1_3gpuE13ELNS1_3repE0EEENS1_52radix_sort_onesweep_histogram_config_static_selectorELNS0_4arch9wavefront6targetE1EEEvSI_.has_indirect_call, 0
	.section	.AMDGPU.csdata,"",@progbits
; Kernel info:
; codeLenInByte = 572
; TotalNumSgprs: 20
; NumVgprs: 7
; NumAgprs: 0
; TotalNumVgprs: 7
; ScratchSize: 0
; MemoryBound: 0
; FloatMode: 240
; IeeeMode: 1
; LDSByteSize: 64 bytes/workgroup (compile time only)
; SGPRBlocks: 2
; VGPRBlocks: 0
; NumSGPRsForWavesPerEU: 20
; NumVGPRsForWavesPerEU: 7
; AccumOffset: 8
; Occupancy: 8
; WaveLimiterHint : 0
; COMPUTE_PGM_RSRC2:SCRATCH_EN: 0
; COMPUTE_PGM_RSRC2:USER_SGPR: 2
; COMPUTE_PGM_RSRC2:TRAP_HANDLER: 0
; COMPUTE_PGM_RSRC2:TGID_X_EN: 1
; COMPUTE_PGM_RSRC2:TGID_Y_EN: 0
; COMPUTE_PGM_RSRC2:TGID_Z_EN: 0
; COMPUTE_PGM_RSRC2:TIDIG_COMP_CNT: 0
; COMPUTE_PGM_RSRC3_GFX90A:ACCUM_OFFSET: 1
; COMPUTE_PGM_RSRC3_GFX90A:TG_SPLIT: 0
	.section	.text._ZN7rocprim17ROCPRIM_400000_NS6detail17trampoline_kernelINS0_14default_configENS1_35radix_sort_onesweep_config_selectorIbiEEZNS1_34radix_sort_onesweep_global_offsetsIS3_Lb0EN6thrust23THRUST_200600_302600_NS6detail15normal_iteratorINS8_10device_ptrIbEEEENSA_INSB_IiEEEEjNS0_19identity_decomposerEEE10hipError_tT1_T2_PT3_SK_jT4_jjP12ihipStream_tbEUlT_E0_NS1_11comp_targetILNS1_3genE5ELNS1_11target_archE942ELNS1_3gpuE9ELNS1_3repE0EEENS1_52radix_sort_onesweep_histogram_config_static_selectorELNS0_4arch9wavefront6targetE1EEEvSI_,"axG",@progbits,_ZN7rocprim17ROCPRIM_400000_NS6detail17trampoline_kernelINS0_14default_configENS1_35radix_sort_onesweep_config_selectorIbiEEZNS1_34radix_sort_onesweep_global_offsetsIS3_Lb0EN6thrust23THRUST_200600_302600_NS6detail15normal_iteratorINS8_10device_ptrIbEEEENSA_INSB_IiEEEEjNS0_19identity_decomposerEEE10hipError_tT1_T2_PT3_SK_jT4_jjP12ihipStream_tbEUlT_E0_NS1_11comp_targetILNS1_3genE5ELNS1_11target_archE942ELNS1_3gpuE9ELNS1_3repE0EEENS1_52radix_sort_onesweep_histogram_config_static_selectorELNS0_4arch9wavefront6targetE1EEEvSI_,comdat
	.protected	_ZN7rocprim17ROCPRIM_400000_NS6detail17trampoline_kernelINS0_14default_configENS1_35radix_sort_onesweep_config_selectorIbiEEZNS1_34radix_sort_onesweep_global_offsetsIS3_Lb0EN6thrust23THRUST_200600_302600_NS6detail15normal_iteratorINS8_10device_ptrIbEEEENSA_INSB_IiEEEEjNS0_19identity_decomposerEEE10hipError_tT1_T2_PT3_SK_jT4_jjP12ihipStream_tbEUlT_E0_NS1_11comp_targetILNS1_3genE5ELNS1_11target_archE942ELNS1_3gpuE9ELNS1_3repE0EEENS1_52radix_sort_onesweep_histogram_config_static_selectorELNS0_4arch9wavefront6targetE1EEEvSI_ ; -- Begin function _ZN7rocprim17ROCPRIM_400000_NS6detail17trampoline_kernelINS0_14default_configENS1_35radix_sort_onesweep_config_selectorIbiEEZNS1_34radix_sort_onesweep_global_offsetsIS3_Lb0EN6thrust23THRUST_200600_302600_NS6detail15normal_iteratorINS8_10device_ptrIbEEEENSA_INSB_IiEEEEjNS0_19identity_decomposerEEE10hipError_tT1_T2_PT3_SK_jT4_jjP12ihipStream_tbEUlT_E0_NS1_11comp_targetILNS1_3genE5ELNS1_11target_archE942ELNS1_3gpuE9ELNS1_3repE0EEENS1_52radix_sort_onesweep_histogram_config_static_selectorELNS0_4arch9wavefront6targetE1EEEvSI_
	.globl	_ZN7rocprim17ROCPRIM_400000_NS6detail17trampoline_kernelINS0_14default_configENS1_35radix_sort_onesweep_config_selectorIbiEEZNS1_34radix_sort_onesweep_global_offsetsIS3_Lb0EN6thrust23THRUST_200600_302600_NS6detail15normal_iteratorINS8_10device_ptrIbEEEENSA_INSB_IiEEEEjNS0_19identity_decomposerEEE10hipError_tT1_T2_PT3_SK_jT4_jjP12ihipStream_tbEUlT_E0_NS1_11comp_targetILNS1_3genE5ELNS1_11target_archE942ELNS1_3gpuE9ELNS1_3repE0EEENS1_52radix_sort_onesweep_histogram_config_static_selectorELNS0_4arch9wavefront6targetE1EEEvSI_
	.p2align	8
	.type	_ZN7rocprim17ROCPRIM_400000_NS6detail17trampoline_kernelINS0_14default_configENS1_35radix_sort_onesweep_config_selectorIbiEEZNS1_34radix_sort_onesweep_global_offsetsIS3_Lb0EN6thrust23THRUST_200600_302600_NS6detail15normal_iteratorINS8_10device_ptrIbEEEENSA_INSB_IiEEEEjNS0_19identity_decomposerEEE10hipError_tT1_T2_PT3_SK_jT4_jjP12ihipStream_tbEUlT_E0_NS1_11comp_targetILNS1_3genE5ELNS1_11target_archE942ELNS1_3gpuE9ELNS1_3repE0EEENS1_52radix_sort_onesweep_histogram_config_static_selectorELNS0_4arch9wavefront6targetE1EEEvSI_,@function
_ZN7rocprim17ROCPRIM_400000_NS6detail17trampoline_kernelINS0_14default_configENS1_35radix_sort_onesweep_config_selectorIbiEEZNS1_34radix_sort_onesweep_global_offsetsIS3_Lb0EN6thrust23THRUST_200600_302600_NS6detail15normal_iteratorINS8_10device_ptrIbEEEENSA_INSB_IiEEEEjNS0_19identity_decomposerEEE10hipError_tT1_T2_PT3_SK_jT4_jjP12ihipStream_tbEUlT_E0_NS1_11comp_targetILNS1_3genE5ELNS1_11target_archE942ELNS1_3gpuE9ELNS1_3repE0EEENS1_52radix_sort_onesweep_histogram_config_static_selectorELNS0_4arch9wavefront6targetE1EEEvSI_: ; @_ZN7rocprim17ROCPRIM_400000_NS6detail17trampoline_kernelINS0_14default_configENS1_35radix_sort_onesweep_config_selectorIbiEEZNS1_34radix_sort_onesweep_global_offsetsIS3_Lb0EN6thrust23THRUST_200600_302600_NS6detail15normal_iteratorINS8_10device_ptrIbEEEENSA_INSB_IiEEEEjNS0_19identity_decomposerEEE10hipError_tT1_T2_PT3_SK_jT4_jjP12ihipStream_tbEUlT_E0_NS1_11comp_targetILNS1_3genE5ELNS1_11target_archE942ELNS1_3gpuE9ELNS1_3repE0EEENS1_52radix_sort_onesweep_histogram_config_static_selectorELNS0_4arch9wavefront6targetE1EEEvSI_
; %bb.0:
	.section	.rodata,"a",@progbits
	.p2align	6, 0x0
	.amdhsa_kernel _ZN7rocprim17ROCPRIM_400000_NS6detail17trampoline_kernelINS0_14default_configENS1_35radix_sort_onesweep_config_selectorIbiEEZNS1_34radix_sort_onesweep_global_offsetsIS3_Lb0EN6thrust23THRUST_200600_302600_NS6detail15normal_iteratorINS8_10device_ptrIbEEEENSA_INSB_IiEEEEjNS0_19identity_decomposerEEE10hipError_tT1_T2_PT3_SK_jT4_jjP12ihipStream_tbEUlT_E0_NS1_11comp_targetILNS1_3genE5ELNS1_11target_archE942ELNS1_3gpuE9ELNS1_3repE0EEENS1_52radix_sort_onesweep_histogram_config_static_selectorELNS0_4arch9wavefront6targetE1EEEvSI_
		.amdhsa_group_segment_fixed_size 0
		.amdhsa_private_segment_fixed_size 0
		.amdhsa_kernarg_size 8
		.amdhsa_user_sgpr_count 2
		.amdhsa_user_sgpr_dispatch_ptr 0
		.amdhsa_user_sgpr_queue_ptr 0
		.amdhsa_user_sgpr_kernarg_segment_ptr 1
		.amdhsa_user_sgpr_dispatch_id 0
		.amdhsa_user_sgpr_kernarg_preload_length 0
		.amdhsa_user_sgpr_kernarg_preload_offset 0
		.amdhsa_user_sgpr_private_segment_size 0
		.amdhsa_uses_dynamic_stack 0
		.amdhsa_enable_private_segment 0
		.amdhsa_system_sgpr_workgroup_id_x 1
		.amdhsa_system_sgpr_workgroup_id_y 0
		.amdhsa_system_sgpr_workgroup_id_z 0
		.amdhsa_system_sgpr_workgroup_info 0
		.amdhsa_system_vgpr_workitem_id 0
		.amdhsa_next_free_vgpr 1
		.amdhsa_next_free_sgpr 0
		.amdhsa_accum_offset 4
		.amdhsa_reserve_vcc 0
		.amdhsa_float_round_mode_32 0
		.amdhsa_float_round_mode_16_64 0
		.amdhsa_float_denorm_mode_32 3
		.amdhsa_float_denorm_mode_16_64 3
		.amdhsa_dx10_clamp 1
		.amdhsa_ieee_mode 1
		.amdhsa_fp16_overflow 0
		.amdhsa_tg_split 0
		.amdhsa_exception_fp_ieee_invalid_op 0
		.amdhsa_exception_fp_denorm_src 0
		.amdhsa_exception_fp_ieee_div_zero 0
		.amdhsa_exception_fp_ieee_overflow 0
		.amdhsa_exception_fp_ieee_underflow 0
		.amdhsa_exception_fp_ieee_inexact 0
		.amdhsa_exception_int_div_zero 0
	.end_amdhsa_kernel
	.section	.text._ZN7rocprim17ROCPRIM_400000_NS6detail17trampoline_kernelINS0_14default_configENS1_35radix_sort_onesweep_config_selectorIbiEEZNS1_34radix_sort_onesweep_global_offsetsIS3_Lb0EN6thrust23THRUST_200600_302600_NS6detail15normal_iteratorINS8_10device_ptrIbEEEENSA_INSB_IiEEEEjNS0_19identity_decomposerEEE10hipError_tT1_T2_PT3_SK_jT4_jjP12ihipStream_tbEUlT_E0_NS1_11comp_targetILNS1_3genE5ELNS1_11target_archE942ELNS1_3gpuE9ELNS1_3repE0EEENS1_52radix_sort_onesweep_histogram_config_static_selectorELNS0_4arch9wavefront6targetE1EEEvSI_,"axG",@progbits,_ZN7rocprim17ROCPRIM_400000_NS6detail17trampoline_kernelINS0_14default_configENS1_35radix_sort_onesweep_config_selectorIbiEEZNS1_34radix_sort_onesweep_global_offsetsIS3_Lb0EN6thrust23THRUST_200600_302600_NS6detail15normal_iteratorINS8_10device_ptrIbEEEENSA_INSB_IiEEEEjNS0_19identity_decomposerEEE10hipError_tT1_T2_PT3_SK_jT4_jjP12ihipStream_tbEUlT_E0_NS1_11comp_targetILNS1_3genE5ELNS1_11target_archE942ELNS1_3gpuE9ELNS1_3repE0EEENS1_52radix_sort_onesweep_histogram_config_static_selectorELNS0_4arch9wavefront6targetE1EEEvSI_,comdat
.Lfunc_end2025:
	.size	_ZN7rocprim17ROCPRIM_400000_NS6detail17trampoline_kernelINS0_14default_configENS1_35radix_sort_onesweep_config_selectorIbiEEZNS1_34radix_sort_onesweep_global_offsetsIS3_Lb0EN6thrust23THRUST_200600_302600_NS6detail15normal_iteratorINS8_10device_ptrIbEEEENSA_INSB_IiEEEEjNS0_19identity_decomposerEEE10hipError_tT1_T2_PT3_SK_jT4_jjP12ihipStream_tbEUlT_E0_NS1_11comp_targetILNS1_3genE5ELNS1_11target_archE942ELNS1_3gpuE9ELNS1_3repE0EEENS1_52radix_sort_onesweep_histogram_config_static_selectorELNS0_4arch9wavefront6targetE1EEEvSI_, .Lfunc_end2025-_ZN7rocprim17ROCPRIM_400000_NS6detail17trampoline_kernelINS0_14default_configENS1_35radix_sort_onesweep_config_selectorIbiEEZNS1_34radix_sort_onesweep_global_offsetsIS3_Lb0EN6thrust23THRUST_200600_302600_NS6detail15normal_iteratorINS8_10device_ptrIbEEEENSA_INSB_IiEEEEjNS0_19identity_decomposerEEE10hipError_tT1_T2_PT3_SK_jT4_jjP12ihipStream_tbEUlT_E0_NS1_11comp_targetILNS1_3genE5ELNS1_11target_archE942ELNS1_3gpuE9ELNS1_3repE0EEENS1_52radix_sort_onesweep_histogram_config_static_selectorELNS0_4arch9wavefront6targetE1EEEvSI_
                                        ; -- End function
	.set _ZN7rocprim17ROCPRIM_400000_NS6detail17trampoline_kernelINS0_14default_configENS1_35radix_sort_onesweep_config_selectorIbiEEZNS1_34radix_sort_onesweep_global_offsetsIS3_Lb0EN6thrust23THRUST_200600_302600_NS6detail15normal_iteratorINS8_10device_ptrIbEEEENSA_INSB_IiEEEEjNS0_19identity_decomposerEEE10hipError_tT1_T2_PT3_SK_jT4_jjP12ihipStream_tbEUlT_E0_NS1_11comp_targetILNS1_3genE5ELNS1_11target_archE942ELNS1_3gpuE9ELNS1_3repE0EEENS1_52radix_sort_onesweep_histogram_config_static_selectorELNS0_4arch9wavefront6targetE1EEEvSI_.num_vgpr, 0
	.set _ZN7rocprim17ROCPRIM_400000_NS6detail17trampoline_kernelINS0_14default_configENS1_35radix_sort_onesweep_config_selectorIbiEEZNS1_34radix_sort_onesweep_global_offsetsIS3_Lb0EN6thrust23THRUST_200600_302600_NS6detail15normal_iteratorINS8_10device_ptrIbEEEENSA_INSB_IiEEEEjNS0_19identity_decomposerEEE10hipError_tT1_T2_PT3_SK_jT4_jjP12ihipStream_tbEUlT_E0_NS1_11comp_targetILNS1_3genE5ELNS1_11target_archE942ELNS1_3gpuE9ELNS1_3repE0EEENS1_52radix_sort_onesweep_histogram_config_static_selectorELNS0_4arch9wavefront6targetE1EEEvSI_.num_agpr, 0
	.set _ZN7rocprim17ROCPRIM_400000_NS6detail17trampoline_kernelINS0_14default_configENS1_35radix_sort_onesweep_config_selectorIbiEEZNS1_34radix_sort_onesweep_global_offsetsIS3_Lb0EN6thrust23THRUST_200600_302600_NS6detail15normal_iteratorINS8_10device_ptrIbEEEENSA_INSB_IiEEEEjNS0_19identity_decomposerEEE10hipError_tT1_T2_PT3_SK_jT4_jjP12ihipStream_tbEUlT_E0_NS1_11comp_targetILNS1_3genE5ELNS1_11target_archE942ELNS1_3gpuE9ELNS1_3repE0EEENS1_52radix_sort_onesweep_histogram_config_static_selectorELNS0_4arch9wavefront6targetE1EEEvSI_.numbered_sgpr, 0
	.set _ZN7rocprim17ROCPRIM_400000_NS6detail17trampoline_kernelINS0_14default_configENS1_35radix_sort_onesweep_config_selectorIbiEEZNS1_34radix_sort_onesweep_global_offsetsIS3_Lb0EN6thrust23THRUST_200600_302600_NS6detail15normal_iteratorINS8_10device_ptrIbEEEENSA_INSB_IiEEEEjNS0_19identity_decomposerEEE10hipError_tT1_T2_PT3_SK_jT4_jjP12ihipStream_tbEUlT_E0_NS1_11comp_targetILNS1_3genE5ELNS1_11target_archE942ELNS1_3gpuE9ELNS1_3repE0EEENS1_52radix_sort_onesweep_histogram_config_static_selectorELNS0_4arch9wavefront6targetE1EEEvSI_.num_named_barrier, 0
	.set _ZN7rocprim17ROCPRIM_400000_NS6detail17trampoline_kernelINS0_14default_configENS1_35radix_sort_onesweep_config_selectorIbiEEZNS1_34radix_sort_onesweep_global_offsetsIS3_Lb0EN6thrust23THRUST_200600_302600_NS6detail15normal_iteratorINS8_10device_ptrIbEEEENSA_INSB_IiEEEEjNS0_19identity_decomposerEEE10hipError_tT1_T2_PT3_SK_jT4_jjP12ihipStream_tbEUlT_E0_NS1_11comp_targetILNS1_3genE5ELNS1_11target_archE942ELNS1_3gpuE9ELNS1_3repE0EEENS1_52radix_sort_onesweep_histogram_config_static_selectorELNS0_4arch9wavefront6targetE1EEEvSI_.private_seg_size, 0
	.set _ZN7rocprim17ROCPRIM_400000_NS6detail17trampoline_kernelINS0_14default_configENS1_35radix_sort_onesweep_config_selectorIbiEEZNS1_34radix_sort_onesweep_global_offsetsIS3_Lb0EN6thrust23THRUST_200600_302600_NS6detail15normal_iteratorINS8_10device_ptrIbEEEENSA_INSB_IiEEEEjNS0_19identity_decomposerEEE10hipError_tT1_T2_PT3_SK_jT4_jjP12ihipStream_tbEUlT_E0_NS1_11comp_targetILNS1_3genE5ELNS1_11target_archE942ELNS1_3gpuE9ELNS1_3repE0EEENS1_52radix_sort_onesweep_histogram_config_static_selectorELNS0_4arch9wavefront6targetE1EEEvSI_.uses_vcc, 0
	.set _ZN7rocprim17ROCPRIM_400000_NS6detail17trampoline_kernelINS0_14default_configENS1_35radix_sort_onesweep_config_selectorIbiEEZNS1_34radix_sort_onesweep_global_offsetsIS3_Lb0EN6thrust23THRUST_200600_302600_NS6detail15normal_iteratorINS8_10device_ptrIbEEEENSA_INSB_IiEEEEjNS0_19identity_decomposerEEE10hipError_tT1_T2_PT3_SK_jT4_jjP12ihipStream_tbEUlT_E0_NS1_11comp_targetILNS1_3genE5ELNS1_11target_archE942ELNS1_3gpuE9ELNS1_3repE0EEENS1_52radix_sort_onesweep_histogram_config_static_selectorELNS0_4arch9wavefront6targetE1EEEvSI_.uses_flat_scratch, 0
	.set _ZN7rocprim17ROCPRIM_400000_NS6detail17trampoline_kernelINS0_14default_configENS1_35radix_sort_onesweep_config_selectorIbiEEZNS1_34radix_sort_onesweep_global_offsetsIS3_Lb0EN6thrust23THRUST_200600_302600_NS6detail15normal_iteratorINS8_10device_ptrIbEEEENSA_INSB_IiEEEEjNS0_19identity_decomposerEEE10hipError_tT1_T2_PT3_SK_jT4_jjP12ihipStream_tbEUlT_E0_NS1_11comp_targetILNS1_3genE5ELNS1_11target_archE942ELNS1_3gpuE9ELNS1_3repE0EEENS1_52radix_sort_onesweep_histogram_config_static_selectorELNS0_4arch9wavefront6targetE1EEEvSI_.has_dyn_sized_stack, 0
	.set _ZN7rocprim17ROCPRIM_400000_NS6detail17trampoline_kernelINS0_14default_configENS1_35radix_sort_onesweep_config_selectorIbiEEZNS1_34radix_sort_onesweep_global_offsetsIS3_Lb0EN6thrust23THRUST_200600_302600_NS6detail15normal_iteratorINS8_10device_ptrIbEEEENSA_INSB_IiEEEEjNS0_19identity_decomposerEEE10hipError_tT1_T2_PT3_SK_jT4_jjP12ihipStream_tbEUlT_E0_NS1_11comp_targetILNS1_3genE5ELNS1_11target_archE942ELNS1_3gpuE9ELNS1_3repE0EEENS1_52radix_sort_onesweep_histogram_config_static_selectorELNS0_4arch9wavefront6targetE1EEEvSI_.has_recursion, 0
	.set _ZN7rocprim17ROCPRIM_400000_NS6detail17trampoline_kernelINS0_14default_configENS1_35radix_sort_onesweep_config_selectorIbiEEZNS1_34radix_sort_onesweep_global_offsetsIS3_Lb0EN6thrust23THRUST_200600_302600_NS6detail15normal_iteratorINS8_10device_ptrIbEEEENSA_INSB_IiEEEEjNS0_19identity_decomposerEEE10hipError_tT1_T2_PT3_SK_jT4_jjP12ihipStream_tbEUlT_E0_NS1_11comp_targetILNS1_3genE5ELNS1_11target_archE942ELNS1_3gpuE9ELNS1_3repE0EEENS1_52radix_sort_onesweep_histogram_config_static_selectorELNS0_4arch9wavefront6targetE1EEEvSI_.has_indirect_call, 0
	.section	.AMDGPU.csdata,"",@progbits
; Kernel info:
; codeLenInByte = 0
; TotalNumSgprs: 6
; NumVgprs: 0
; NumAgprs: 0
; TotalNumVgprs: 0
; ScratchSize: 0
; MemoryBound: 0
; FloatMode: 240
; IeeeMode: 1
; LDSByteSize: 0 bytes/workgroup (compile time only)
; SGPRBlocks: 0
; VGPRBlocks: 0
; NumSGPRsForWavesPerEU: 6
; NumVGPRsForWavesPerEU: 1
; AccumOffset: 4
; Occupancy: 8
; WaveLimiterHint : 0
; COMPUTE_PGM_RSRC2:SCRATCH_EN: 0
; COMPUTE_PGM_RSRC2:USER_SGPR: 2
; COMPUTE_PGM_RSRC2:TRAP_HANDLER: 0
; COMPUTE_PGM_RSRC2:TGID_X_EN: 1
; COMPUTE_PGM_RSRC2:TGID_Y_EN: 0
; COMPUTE_PGM_RSRC2:TGID_Z_EN: 0
; COMPUTE_PGM_RSRC2:TIDIG_COMP_CNT: 0
; COMPUTE_PGM_RSRC3_GFX90A:ACCUM_OFFSET: 0
; COMPUTE_PGM_RSRC3_GFX90A:TG_SPLIT: 0
	.section	.text._ZN7rocprim17ROCPRIM_400000_NS6detail17trampoline_kernelINS0_14default_configENS1_35radix_sort_onesweep_config_selectorIbiEEZNS1_34radix_sort_onesweep_global_offsetsIS3_Lb0EN6thrust23THRUST_200600_302600_NS6detail15normal_iteratorINS8_10device_ptrIbEEEENSA_INSB_IiEEEEjNS0_19identity_decomposerEEE10hipError_tT1_T2_PT3_SK_jT4_jjP12ihipStream_tbEUlT_E0_NS1_11comp_targetILNS1_3genE2ELNS1_11target_archE906ELNS1_3gpuE6ELNS1_3repE0EEENS1_52radix_sort_onesweep_histogram_config_static_selectorELNS0_4arch9wavefront6targetE1EEEvSI_,"axG",@progbits,_ZN7rocprim17ROCPRIM_400000_NS6detail17trampoline_kernelINS0_14default_configENS1_35radix_sort_onesweep_config_selectorIbiEEZNS1_34radix_sort_onesweep_global_offsetsIS3_Lb0EN6thrust23THRUST_200600_302600_NS6detail15normal_iteratorINS8_10device_ptrIbEEEENSA_INSB_IiEEEEjNS0_19identity_decomposerEEE10hipError_tT1_T2_PT3_SK_jT4_jjP12ihipStream_tbEUlT_E0_NS1_11comp_targetILNS1_3genE2ELNS1_11target_archE906ELNS1_3gpuE6ELNS1_3repE0EEENS1_52radix_sort_onesweep_histogram_config_static_selectorELNS0_4arch9wavefront6targetE1EEEvSI_,comdat
	.protected	_ZN7rocprim17ROCPRIM_400000_NS6detail17trampoline_kernelINS0_14default_configENS1_35radix_sort_onesweep_config_selectorIbiEEZNS1_34radix_sort_onesweep_global_offsetsIS3_Lb0EN6thrust23THRUST_200600_302600_NS6detail15normal_iteratorINS8_10device_ptrIbEEEENSA_INSB_IiEEEEjNS0_19identity_decomposerEEE10hipError_tT1_T2_PT3_SK_jT4_jjP12ihipStream_tbEUlT_E0_NS1_11comp_targetILNS1_3genE2ELNS1_11target_archE906ELNS1_3gpuE6ELNS1_3repE0EEENS1_52radix_sort_onesweep_histogram_config_static_selectorELNS0_4arch9wavefront6targetE1EEEvSI_ ; -- Begin function _ZN7rocprim17ROCPRIM_400000_NS6detail17trampoline_kernelINS0_14default_configENS1_35radix_sort_onesweep_config_selectorIbiEEZNS1_34radix_sort_onesweep_global_offsetsIS3_Lb0EN6thrust23THRUST_200600_302600_NS6detail15normal_iteratorINS8_10device_ptrIbEEEENSA_INSB_IiEEEEjNS0_19identity_decomposerEEE10hipError_tT1_T2_PT3_SK_jT4_jjP12ihipStream_tbEUlT_E0_NS1_11comp_targetILNS1_3genE2ELNS1_11target_archE906ELNS1_3gpuE6ELNS1_3repE0EEENS1_52radix_sort_onesweep_histogram_config_static_selectorELNS0_4arch9wavefront6targetE1EEEvSI_
	.globl	_ZN7rocprim17ROCPRIM_400000_NS6detail17trampoline_kernelINS0_14default_configENS1_35radix_sort_onesweep_config_selectorIbiEEZNS1_34radix_sort_onesweep_global_offsetsIS3_Lb0EN6thrust23THRUST_200600_302600_NS6detail15normal_iteratorINS8_10device_ptrIbEEEENSA_INSB_IiEEEEjNS0_19identity_decomposerEEE10hipError_tT1_T2_PT3_SK_jT4_jjP12ihipStream_tbEUlT_E0_NS1_11comp_targetILNS1_3genE2ELNS1_11target_archE906ELNS1_3gpuE6ELNS1_3repE0EEENS1_52radix_sort_onesweep_histogram_config_static_selectorELNS0_4arch9wavefront6targetE1EEEvSI_
	.p2align	8
	.type	_ZN7rocprim17ROCPRIM_400000_NS6detail17trampoline_kernelINS0_14default_configENS1_35radix_sort_onesweep_config_selectorIbiEEZNS1_34radix_sort_onesweep_global_offsetsIS3_Lb0EN6thrust23THRUST_200600_302600_NS6detail15normal_iteratorINS8_10device_ptrIbEEEENSA_INSB_IiEEEEjNS0_19identity_decomposerEEE10hipError_tT1_T2_PT3_SK_jT4_jjP12ihipStream_tbEUlT_E0_NS1_11comp_targetILNS1_3genE2ELNS1_11target_archE906ELNS1_3gpuE6ELNS1_3repE0EEENS1_52radix_sort_onesweep_histogram_config_static_selectorELNS0_4arch9wavefront6targetE1EEEvSI_,@function
_ZN7rocprim17ROCPRIM_400000_NS6detail17trampoline_kernelINS0_14default_configENS1_35radix_sort_onesweep_config_selectorIbiEEZNS1_34radix_sort_onesweep_global_offsetsIS3_Lb0EN6thrust23THRUST_200600_302600_NS6detail15normal_iteratorINS8_10device_ptrIbEEEENSA_INSB_IiEEEEjNS0_19identity_decomposerEEE10hipError_tT1_T2_PT3_SK_jT4_jjP12ihipStream_tbEUlT_E0_NS1_11comp_targetILNS1_3genE2ELNS1_11target_archE906ELNS1_3gpuE6ELNS1_3repE0EEENS1_52radix_sort_onesweep_histogram_config_static_selectorELNS0_4arch9wavefront6targetE1EEEvSI_: ; @_ZN7rocprim17ROCPRIM_400000_NS6detail17trampoline_kernelINS0_14default_configENS1_35radix_sort_onesweep_config_selectorIbiEEZNS1_34radix_sort_onesweep_global_offsetsIS3_Lb0EN6thrust23THRUST_200600_302600_NS6detail15normal_iteratorINS8_10device_ptrIbEEEENSA_INSB_IiEEEEjNS0_19identity_decomposerEEE10hipError_tT1_T2_PT3_SK_jT4_jjP12ihipStream_tbEUlT_E0_NS1_11comp_targetILNS1_3genE2ELNS1_11target_archE906ELNS1_3gpuE6ELNS1_3repE0EEENS1_52radix_sort_onesweep_histogram_config_static_selectorELNS0_4arch9wavefront6targetE1EEEvSI_
; %bb.0:
	.section	.rodata,"a",@progbits
	.p2align	6, 0x0
	.amdhsa_kernel _ZN7rocprim17ROCPRIM_400000_NS6detail17trampoline_kernelINS0_14default_configENS1_35radix_sort_onesweep_config_selectorIbiEEZNS1_34radix_sort_onesweep_global_offsetsIS3_Lb0EN6thrust23THRUST_200600_302600_NS6detail15normal_iteratorINS8_10device_ptrIbEEEENSA_INSB_IiEEEEjNS0_19identity_decomposerEEE10hipError_tT1_T2_PT3_SK_jT4_jjP12ihipStream_tbEUlT_E0_NS1_11comp_targetILNS1_3genE2ELNS1_11target_archE906ELNS1_3gpuE6ELNS1_3repE0EEENS1_52radix_sort_onesweep_histogram_config_static_selectorELNS0_4arch9wavefront6targetE1EEEvSI_
		.amdhsa_group_segment_fixed_size 0
		.amdhsa_private_segment_fixed_size 0
		.amdhsa_kernarg_size 8
		.amdhsa_user_sgpr_count 2
		.amdhsa_user_sgpr_dispatch_ptr 0
		.amdhsa_user_sgpr_queue_ptr 0
		.amdhsa_user_sgpr_kernarg_segment_ptr 1
		.amdhsa_user_sgpr_dispatch_id 0
		.amdhsa_user_sgpr_kernarg_preload_length 0
		.amdhsa_user_sgpr_kernarg_preload_offset 0
		.amdhsa_user_sgpr_private_segment_size 0
		.amdhsa_uses_dynamic_stack 0
		.amdhsa_enable_private_segment 0
		.amdhsa_system_sgpr_workgroup_id_x 1
		.amdhsa_system_sgpr_workgroup_id_y 0
		.amdhsa_system_sgpr_workgroup_id_z 0
		.amdhsa_system_sgpr_workgroup_info 0
		.amdhsa_system_vgpr_workitem_id 0
		.amdhsa_next_free_vgpr 1
		.amdhsa_next_free_sgpr 0
		.amdhsa_accum_offset 4
		.amdhsa_reserve_vcc 0
		.amdhsa_float_round_mode_32 0
		.amdhsa_float_round_mode_16_64 0
		.amdhsa_float_denorm_mode_32 3
		.amdhsa_float_denorm_mode_16_64 3
		.amdhsa_dx10_clamp 1
		.amdhsa_ieee_mode 1
		.amdhsa_fp16_overflow 0
		.amdhsa_tg_split 0
		.amdhsa_exception_fp_ieee_invalid_op 0
		.amdhsa_exception_fp_denorm_src 0
		.amdhsa_exception_fp_ieee_div_zero 0
		.amdhsa_exception_fp_ieee_overflow 0
		.amdhsa_exception_fp_ieee_underflow 0
		.amdhsa_exception_fp_ieee_inexact 0
		.amdhsa_exception_int_div_zero 0
	.end_amdhsa_kernel
	.section	.text._ZN7rocprim17ROCPRIM_400000_NS6detail17trampoline_kernelINS0_14default_configENS1_35radix_sort_onesweep_config_selectorIbiEEZNS1_34radix_sort_onesweep_global_offsetsIS3_Lb0EN6thrust23THRUST_200600_302600_NS6detail15normal_iteratorINS8_10device_ptrIbEEEENSA_INSB_IiEEEEjNS0_19identity_decomposerEEE10hipError_tT1_T2_PT3_SK_jT4_jjP12ihipStream_tbEUlT_E0_NS1_11comp_targetILNS1_3genE2ELNS1_11target_archE906ELNS1_3gpuE6ELNS1_3repE0EEENS1_52radix_sort_onesweep_histogram_config_static_selectorELNS0_4arch9wavefront6targetE1EEEvSI_,"axG",@progbits,_ZN7rocprim17ROCPRIM_400000_NS6detail17trampoline_kernelINS0_14default_configENS1_35radix_sort_onesweep_config_selectorIbiEEZNS1_34radix_sort_onesweep_global_offsetsIS3_Lb0EN6thrust23THRUST_200600_302600_NS6detail15normal_iteratorINS8_10device_ptrIbEEEENSA_INSB_IiEEEEjNS0_19identity_decomposerEEE10hipError_tT1_T2_PT3_SK_jT4_jjP12ihipStream_tbEUlT_E0_NS1_11comp_targetILNS1_3genE2ELNS1_11target_archE906ELNS1_3gpuE6ELNS1_3repE0EEENS1_52radix_sort_onesweep_histogram_config_static_selectorELNS0_4arch9wavefront6targetE1EEEvSI_,comdat
.Lfunc_end2026:
	.size	_ZN7rocprim17ROCPRIM_400000_NS6detail17trampoline_kernelINS0_14default_configENS1_35radix_sort_onesweep_config_selectorIbiEEZNS1_34radix_sort_onesweep_global_offsetsIS3_Lb0EN6thrust23THRUST_200600_302600_NS6detail15normal_iteratorINS8_10device_ptrIbEEEENSA_INSB_IiEEEEjNS0_19identity_decomposerEEE10hipError_tT1_T2_PT3_SK_jT4_jjP12ihipStream_tbEUlT_E0_NS1_11comp_targetILNS1_3genE2ELNS1_11target_archE906ELNS1_3gpuE6ELNS1_3repE0EEENS1_52radix_sort_onesweep_histogram_config_static_selectorELNS0_4arch9wavefront6targetE1EEEvSI_, .Lfunc_end2026-_ZN7rocprim17ROCPRIM_400000_NS6detail17trampoline_kernelINS0_14default_configENS1_35radix_sort_onesweep_config_selectorIbiEEZNS1_34radix_sort_onesweep_global_offsetsIS3_Lb0EN6thrust23THRUST_200600_302600_NS6detail15normal_iteratorINS8_10device_ptrIbEEEENSA_INSB_IiEEEEjNS0_19identity_decomposerEEE10hipError_tT1_T2_PT3_SK_jT4_jjP12ihipStream_tbEUlT_E0_NS1_11comp_targetILNS1_3genE2ELNS1_11target_archE906ELNS1_3gpuE6ELNS1_3repE0EEENS1_52radix_sort_onesweep_histogram_config_static_selectorELNS0_4arch9wavefront6targetE1EEEvSI_
                                        ; -- End function
	.set _ZN7rocprim17ROCPRIM_400000_NS6detail17trampoline_kernelINS0_14default_configENS1_35radix_sort_onesweep_config_selectorIbiEEZNS1_34radix_sort_onesweep_global_offsetsIS3_Lb0EN6thrust23THRUST_200600_302600_NS6detail15normal_iteratorINS8_10device_ptrIbEEEENSA_INSB_IiEEEEjNS0_19identity_decomposerEEE10hipError_tT1_T2_PT3_SK_jT4_jjP12ihipStream_tbEUlT_E0_NS1_11comp_targetILNS1_3genE2ELNS1_11target_archE906ELNS1_3gpuE6ELNS1_3repE0EEENS1_52radix_sort_onesweep_histogram_config_static_selectorELNS0_4arch9wavefront6targetE1EEEvSI_.num_vgpr, 0
	.set _ZN7rocprim17ROCPRIM_400000_NS6detail17trampoline_kernelINS0_14default_configENS1_35radix_sort_onesweep_config_selectorIbiEEZNS1_34radix_sort_onesweep_global_offsetsIS3_Lb0EN6thrust23THRUST_200600_302600_NS6detail15normal_iteratorINS8_10device_ptrIbEEEENSA_INSB_IiEEEEjNS0_19identity_decomposerEEE10hipError_tT1_T2_PT3_SK_jT4_jjP12ihipStream_tbEUlT_E0_NS1_11comp_targetILNS1_3genE2ELNS1_11target_archE906ELNS1_3gpuE6ELNS1_3repE0EEENS1_52radix_sort_onesweep_histogram_config_static_selectorELNS0_4arch9wavefront6targetE1EEEvSI_.num_agpr, 0
	.set _ZN7rocprim17ROCPRIM_400000_NS6detail17trampoline_kernelINS0_14default_configENS1_35radix_sort_onesweep_config_selectorIbiEEZNS1_34radix_sort_onesweep_global_offsetsIS3_Lb0EN6thrust23THRUST_200600_302600_NS6detail15normal_iteratorINS8_10device_ptrIbEEEENSA_INSB_IiEEEEjNS0_19identity_decomposerEEE10hipError_tT1_T2_PT3_SK_jT4_jjP12ihipStream_tbEUlT_E0_NS1_11comp_targetILNS1_3genE2ELNS1_11target_archE906ELNS1_3gpuE6ELNS1_3repE0EEENS1_52radix_sort_onesweep_histogram_config_static_selectorELNS0_4arch9wavefront6targetE1EEEvSI_.numbered_sgpr, 0
	.set _ZN7rocprim17ROCPRIM_400000_NS6detail17trampoline_kernelINS0_14default_configENS1_35radix_sort_onesweep_config_selectorIbiEEZNS1_34radix_sort_onesweep_global_offsetsIS3_Lb0EN6thrust23THRUST_200600_302600_NS6detail15normal_iteratorINS8_10device_ptrIbEEEENSA_INSB_IiEEEEjNS0_19identity_decomposerEEE10hipError_tT1_T2_PT3_SK_jT4_jjP12ihipStream_tbEUlT_E0_NS1_11comp_targetILNS1_3genE2ELNS1_11target_archE906ELNS1_3gpuE6ELNS1_3repE0EEENS1_52radix_sort_onesweep_histogram_config_static_selectorELNS0_4arch9wavefront6targetE1EEEvSI_.num_named_barrier, 0
	.set _ZN7rocprim17ROCPRIM_400000_NS6detail17trampoline_kernelINS0_14default_configENS1_35radix_sort_onesweep_config_selectorIbiEEZNS1_34radix_sort_onesweep_global_offsetsIS3_Lb0EN6thrust23THRUST_200600_302600_NS6detail15normal_iteratorINS8_10device_ptrIbEEEENSA_INSB_IiEEEEjNS0_19identity_decomposerEEE10hipError_tT1_T2_PT3_SK_jT4_jjP12ihipStream_tbEUlT_E0_NS1_11comp_targetILNS1_3genE2ELNS1_11target_archE906ELNS1_3gpuE6ELNS1_3repE0EEENS1_52radix_sort_onesweep_histogram_config_static_selectorELNS0_4arch9wavefront6targetE1EEEvSI_.private_seg_size, 0
	.set _ZN7rocprim17ROCPRIM_400000_NS6detail17trampoline_kernelINS0_14default_configENS1_35radix_sort_onesweep_config_selectorIbiEEZNS1_34radix_sort_onesweep_global_offsetsIS3_Lb0EN6thrust23THRUST_200600_302600_NS6detail15normal_iteratorINS8_10device_ptrIbEEEENSA_INSB_IiEEEEjNS0_19identity_decomposerEEE10hipError_tT1_T2_PT3_SK_jT4_jjP12ihipStream_tbEUlT_E0_NS1_11comp_targetILNS1_3genE2ELNS1_11target_archE906ELNS1_3gpuE6ELNS1_3repE0EEENS1_52radix_sort_onesweep_histogram_config_static_selectorELNS0_4arch9wavefront6targetE1EEEvSI_.uses_vcc, 0
	.set _ZN7rocprim17ROCPRIM_400000_NS6detail17trampoline_kernelINS0_14default_configENS1_35radix_sort_onesweep_config_selectorIbiEEZNS1_34radix_sort_onesweep_global_offsetsIS3_Lb0EN6thrust23THRUST_200600_302600_NS6detail15normal_iteratorINS8_10device_ptrIbEEEENSA_INSB_IiEEEEjNS0_19identity_decomposerEEE10hipError_tT1_T2_PT3_SK_jT4_jjP12ihipStream_tbEUlT_E0_NS1_11comp_targetILNS1_3genE2ELNS1_11target_archE906ELNS1_3gpuE6ELNS1_3repE0EEENS1_52radix_sort_onesweep_histogram_config_static_selectorELNS0_4arch9wavefront6targetE1EEEvSI_.uses_flat_scratch, 0
	.set _ZN7rocprim17ROCPRIM_400000_NS6detail17trampoline_kernelINS0_14default_configENS1_35radix_sort_onesweep_config_selectorIbiEEZNS1_34radix_sort_onesweep_global_offsetsIS3_Lb0EN6thrust23THRUST_200600_302600_NS6detail15normal_iteratorINS8_10device_ptrIbEEEENSA_INSB_IiEEEEjNS0_19identity_decomposerEEE10hipError_tT1_T2_PT3_SK_jT4_jjP12ihipStream_tbEUlT_E0_NS1_11comp_targetILNS1_3genE2ELNS1_11target_archE906ELNS1_3gpuE6ELNS1_3repE0EEENS1_52radix_sort_onesweep_histogram_config_static_selectorELNS0_4arch9wavefront6targetE1EEEvSI_.has_dyn_sized_stack, 0
	.set _ZN7rocprim17ROCPRIM_400000_NS6detail17trampoline_kernelINS0_14default_configENS1_35radix_sort_onesweep_config_selectorIbiEEZNS1_34radix_sort_onesweep_global_offsetsIS3_Lb0EN6thrust23THRUST_200600_302600_NS6detail15normal_iteratorINS8_10device_ptrIbEEEENSA_INSB_IiEEEEjNS0_19identity_decomposerEEE10hipError_tT1_T2_PT3_SK_jT4_jjP12ihipStream_tbEUlT_E0_NS1_11comp_targetILNS1_3genE2ELNS1_11target_archE906ELNS1_3gpuE6ELNS1_3repE0EEENS1_52radix_sort_onesweep_histogram_config_static_selectorELNS0_4arch9wavefront6targetE1EEEvSI_.has_recursion, 0
	.set _ZN7rocprim17ROCPRIM_400000_NS6detail17trampoline_kernelINS0_14default_configENS1_35radix_sort_onesweep_config_selectorIbiEEZNS1_34radix_sort_onesweep_global_offsetsIS3_Lb0EN6thrust23THRUST_200600_302600_NS6detail15normal_iteratorINS8_10device_ptrIbEEEENSA_INSB_IiEEEEjNS0_19identity_decomposerEEE10hipError_tT1_T2_PT3_SK_jT4_jjP12ihipStream_tbEUlT_E0_NS1_11comp_targetILNS1_3genE2ELNS1_11target_archE906ELNS1_3gpuE6ELNS1_3repE0EEENS1_52radix_sort_onesweep_histogram_config_static_selectorELNS0_4arch9wavefront6targetE1EEEvSI_.has_indirect_call, 0
	.section	.AMDGPU.csdata,"",@progbits
; Kernel info:
; codeLenInByte = 0
; TotalNumSgprs: 6
; NumVgprs: 0
; NumAgprs: 0
; TotalNumVgprs: 0
; ScratchSize: 0
; MemoryBound: 0
; FloatMode: 240
; IeeeMode: 1
; LDSByteSize: 0 bytes/workgroup (compile time only)
; SGPRBlocks: 0
; VGPRBlocks: 0
; NumSGPRsForWavesPerEU: 6
; NumVGPRsForWavesPerEU: 1
; AccumOffset: 4
; Occupancy: 8
; WaveLimiterHint : 0
; COMPUTE_PGM_RSRC2:SCRATCH_EN: 0
; COMPUTE_PGM_RSRC2:USER_SGPR: 2
; COMPUTE_PGM_RSRC2:TRAP_HANDLER: 0
; COMPUTE_PGM_RSRC2:TGID_X_EN: 1
; COMPUTE_PGM_RSRC2:TGID_Y_EN: 0
; COMPUTE_PGM_RSRC2:TGID_Z_EN: 0
; COMPUTE_PGM_RSRC2:TIDIG_COMP_CNT: 0
; COMPUTE_PGM_RSRC3_GFX90A:ACCUM_OFFSET: 0
; COMPUTE_PGM_RSRC3_GFX90A:TG_SPLIT: 0
	.section	.text._ZN7rocprim17ROCPRIM_400000_NS6detail17trampoline_kernelINS0_14default_configENS1_35radix_sort_onesweep_config_selectorIbiEEZNS1_34radix_sort_onesweep_global_offsetsIS3_Lb0EN6thrust23THRUST_200600_302600_NS6detail15normal_iteratorINS8_10device_ptrIbEEEENSA_INSB_IiEEEEjNS0_19identity_decomposerEEE10hipError_tT1_T2_PT3_SK_jT4_jjP12ihipStream_tbEUlT_E0_NS1_11comp_targetILNS1_3genE4ELNS1_11target_archE910ELNS1_3gpuE8ELNS1_3repE0EEENS1_52radix_sort_onesweep_histogram_config_static_selectorELNS0_4arch9wavefront6targetE1EEEvSI_,"axG",@progbits,_ZN7rocprim17ROCPRIM_400000_NS6detail17trampoline_kernelINS0_14default_configENS1_35radix_sort_onesweep_config_selectorIbiEEZNS1_34radix_sort_onesweep_global_offsetsIS3_Lb0EN6thrust23THRUST_200600_302600_NS6detail15normal_iteratorINS8_10device_ptrIbEEEENSA_INSB_IiEEEEjNS0_19identity_decomposerEEE10hipError_tT1_T2_PT3_SK_jT4_jjP12ihipStream_tbEUlT_E0_NS1_11comp_targetILNS1_3genE4ELNS1_11target_archE910ELNS1_3gpuE8ELNS1_3repE0EEENS1_52radix_sort_onesweep_histogram_config_static_selectorELNS0_4arch9wavefront6targetE1EEEvSI_,comdat
	.protected	_ZN7rocprim17ROCPRIM_400000_NS6detail17trampoline_kernelINS0_14default_configENS1_35radix_sort_onesweep_config_selectorIbiEEZNS1_34radix_sort_onesweep_global_offsetsIS3_Lb0EN6thrust23THRUST_200600_302600_NS6detail15normal_iteratorINS8_10device_ptrIbEEEENSA_INSB_IiEEEEjNS0_19identity_decomposerEEE10hipError_tT1_T2_PT3_SK_jT4_jjP12ihipStream_tbEUlT_E0_NS1_11comp_targetILNS1_3genE4ELNS1_11target_archE910ELNS1_3gpuE8ELNS1_3repE0EEENS1_52radix_sort_onesweep_histogram_config_static_selectorELNS0_4arch9wavefront6targetE1EEEvSI_ ; -- Begin function _ZN7rocprim17ROCPRIM_400000_NS6detail17trampoline_kernelINS0_14default_configENS1_35radix_sort_onesweep_config_selectorIbiEEZNS1_34radix_sort_onesweep_global_offsetsIS3_Lb0EN6thrust23THRUST_200600_302600_NS6detail15normal_iteratorINS8_10device_ptrIbEEEENSA_INSB_IiEEEEjNS0_19identity_decomposerEEE10hipError_tT1_T2_PT3_SK_jT4_jjP12ihipStream_tbEUlT_E0_NS1_11comp_targetILNS1_3genE4ELNS1_11target_archE910ELNS1_3gpuE8ELNS1_3repE0EEENS1_52radix_sort_onesweep_histogram_config_static_selectorELNS0_4arch9wavefront6targetE1EEEvSI_
	.globl	_ZN7rocprim17ROCPRIM_400000_NS6detail17trampoline_kernelINS0_14default_configENS1_35radix_sort_onesweep_config_selectorIbiEEZNS1_34radix_sort_onesweep_global_offsetsIS3_Lb0EN6thrust23THRUST_200600_302600_NS6detail15normal_iteratorINS8_10device_ptrIbEEEENSA_INSB_IiEEEEjNS0_19identity_decomposerEEE10hipError_tT1_T2_PT3_SK_jT4_jjP12ihipStream_tbEUlT_E0_NS1_11comp_targetILNS1_3genE4ELNS1_11target_archE910ELNS1_3gpuE8ELNS1_3repE0EEENS1_52radix_sort_onesweep_histogram_config_static_selectorELNS0_4arch9wavefront6targetE1EEEvSI_
	.p2align	8
	.type	_ZN7rocprim17ROCPRIM_400000_NS6detail17trampoline_kernelINS0_14default_configENS1_35radix_sort_onesweep_config_selectorIbiEEZNS1_34radix_sort_onesweep_global_offsetsIS3_Lb0EN6thrust23THRUST_200600_302600_NS6detail15normal_iteratorINS8_10device_ptrIbEEEENSA_INSB_IiEEEEjNS0_19identity_decomposerEEE10hipError_tT1_T2_PT3_SK_jT4_jjP12ihipStream_tbEUlT_E0_NS1_11comp_targetILNS1_3genE4ELNS1_11target_archE910ELNS1_3gpuE8ELNS1_3repE0EEENS1_52radix_sort_onesweep_histogram_config_static_selectorELNS0_4arch9wavefront6targetE1EEEvSI_,@function
_ZN7rocprim17ROCPRIM_400000_NS6detail17trampoline_kernelINS0_14default_configENS1_35radix_sort_onesweep_config_selectorIbiEEZNS1_34radix_sort_onesweep_global_offsetsIS3_Lb0EN6thrust23THRUST_200600_302600_NS6detail15normal_iteratorINS8_10device_ptrIbEEEENSA_INSB_IiEEEEjNS0_19identity_decomposerEEE10hipError_tT1_T2_PT3_SK_jT4_jjP12ihipStream_tbEUlT_E0_NS1_11comp_targetILNS1_3genE4ELNS1_11target_archE910ELNS1_3gpuE8ELNS1_3repE0EEENS1_52radix_sort_onesweep_histogram_config_static_selectorELNS0_4arch9wavefront6targetE1EEEvSI_: ; @_ZN7rocprim17ROCPRIM_400000_NS6detail17trampoline_kernelINS0_14default_configENS1_35radix_sort_onesweep_config_selectorIbiEEZNS1_34radix_sort_onesweep_global_offsetsIS3_Lb0EN6thrust23THRUST_200600_302600_NS6detail15normal_iteratorINS8_10device_ptrIbEEEENSA_INSB_IiEEEEjNS0_19identity_decomposerEEE10hipError_tT1_T2_PT3_SK_jT4_jjP12ihipStream_tbEUlT_E0_NS1_11comp_targetILNS1_3genE4ELNS1_11target_archE910ELNS1_3gpuE8ELNS1_3repE0EEENS1_52radix_sort_onesweep_histogram_config_static_selectorELNS0_4arch9wavefront6targetE1EEEvSI_
; %bb.0:
	.section	.rodata,"a",@progbits
	.p2align	6, 0x0
	.amdhsa_kernel _ZN7rocprim17ROCPRIM_400000_NS6detail17trampoline_kernelINS0_14default_configENS1_35radix_sort_onesweep_config_selectorIbiEEZNS1_34radix_sort_onesweep_global_offsetsIS3_Lb0EN6thrust23THRUST_200600_302600_NS6detail15normal_iteratorINS8_10device_ptrIbEEEENSA_INSB_IiEEEEjNS0_19identity_decomposerEEE10hipError_tT1_T2_PT3_SK_jT4_jjP12ihipStream_tbEUlT_E0_NS1_11comp_targetILNS1_3genE4ELNS1_11target_archE910ELNS1_3gpuE8ELNS1_3repE0EEENS1_52radix_sort_onesweep_histogram_config_static_selectorELNS0_4arch9wavefront6targetE1EEEvSI_
		.amdhsa_group_segment_fixed_size 0
		.amdhsa_private_segment_fixed_size 0
		.amdhsa_kernarg_size 8
		.amdhsa_user_sgpr_count 2
		.amdhsa_user_sgpr_dispatch_ptr 0
		.amdhsa_user_sgpr_queue_ptr 0
		.amdhsa_user_sgpr_kernarg_segment_ptr 1
		.amdhsa_user_sgpr_dispatch_id 0
		.amdhsa_user_sgpr_kernarg_preload_length 0
		.amdhsa_user_sgpr_kernarg_preload_offset 0
		.amdhsa_user_sgpr_private_segment_size 0
		.amdhsa_uses_dynamic_stack 0
		.amdhsa_enable_private_segment 0
		.amdhsa_system_sgpr_workgroup_id_x 1
		.amdhsa_system_sgpr_workgroup_id_y 0
		.amdhsa_system_sgpr_workgroup_id_z 0
		.amdhsa_system_sgpr_workgroup_info 0
		.amdhsa_system_vgpr_workitem_id 0
		.amdhsa_next_free_vgpr 1
		.amdhsa_next_free_sgpr 0
		.amdhsa_accum_offset 4
		.amdhsa_reserve_vcc 0
		.amdhsa_float_round_mode_32 0
		.amdhsa_float_round_mode_16_64 0
		.amdhsa_float_denorm_mode_32 3
		.amdhsa_float_denorm_mode_16_64 3
		.amdhsa_dx10_clamp 1
		.amdhsa_ieee_mode 1
		.amdhsa_fp16_overflow 0
		.amdhsa_tg_split 0
		.amdhsa_exception_fp_ieee_invalid_op 0
		.amdhsa_exception_fp_denorm_src 0
		.amdhsa_exception_fp_ieee_div_zero 0
		.amdhsa_exception_fp_ieee_overflow 0
		.amdhsa_exception_fp_ieee_underflow 0
		.amdhsa_exception_fp_ieee_inexact 0
		.amdhsa_exception_int_div_zero 0
	.end_amdhsa_kernel
	.section	.text._ZN7rocprim17ROCPRIM_400000_NS6detail17trampoline_kernelINS0_14default_configENS1_35radix_sort_onesweep_config_selectorIbiEEZNS1_34radix_sort_onesweep_global_offsetsIS3_Lb0EN6thrust23THRUST_200600_302600_NS6detail15normal_iteratorINS8_10device_ptrIbEEEENSA_INSB_IiEEEEjNS0_19identity_decomposerEEE10hipError_tT1_T2_PT3_SK_jT4_jjP12ihipStream_tbEUlT_E0_NS1_11comp_targetILNS1_3genE4ELNS1_11target_archE910ELNS1_3gpuE8ELNS1_3repE0EEENS1_52radix_sort_onesweep_histogram_config_static_selectorELNS0_4arch9wavefront6targetE1EEEvSI_,"axG",@progbits,_ZN7rocprim17ROCPRIM_400000_NS6detail17trampoline_kernelINS0_14default_configENS1_35radix_sort_onesweep_config_selectorIbiEEZNS1_34radix_sort_onesweep_global_offsetsIS3_Lb0EN6thrust23THRUST_200600_302600_NS6detail15normal_iteratorINS8_10device_ptrIbEEEENSA_INSB_IiEEEEjNS0_19identity_decomposerEEE10hipError_tT1_T2_PT3_SK_jT4_jjP12ihipStream_tbEUlT_E0_NS1_11comp_targetILNS1_3genE4ELNS1_11target_archE910ELNS1_3gpuE8ELNS1_3repE0EEENS1_52radix_sort_onesweep_histogram_config_static_selectorELNS0_4arch9wavefront6targetE1EEEvSI_,comdat
.Lfunc_end2027:
	.size	_ZN7rocprim17ROCPRIM_400000_NS6detail17trampoline_kernelINS0_14default_configENS1_35radix_sort_onesweep_config_selectorIbiEEZNS1_34radix_sort_onesweep_global_offsetsIS3_Lb0EN6thrust23THRUST_200600_302600_NS6detail15normal_iteratorINS8_10device_ptrIbEEEENSA_INSB_IiEEEEjNS0_19identity_decomposerEEE10hipError_tT1_T2_PT3_SK_jT4_jjP12ihipStream_tbEUlT_E0_NS1_11comp_targetILNS1_3genE4ELNS1_11target_archE910ELNS1_3gpuE8ELNS1_3repE0EEENS1_52radix_sort_onesweep_histogram_config_static_selectorELNS0_4arch9wavefront6targetE1EEEvSI_, .Lfunc_end2027-_ZN7rocprim17ROCPRIM_400000_NS6detail17trampoline_kernelINS0_14default_configENS1_35radix_sort_onesweep_config_selectorIbiEEZNS1_34radix_sort_onesweep_global_offsetsIS3_Lb0EN6thrust23THRUST_200600_302600_NS6detail15normal_iteratorINS8_10device_ptrIbEEEENSA_INSB_IiEEEEjNS0_19identity_decomposerEEE10hipError_tT1_T2_PT3_SK_jT4_jjP12ihipStream_tbEUlT_E0_NS1_11comp_targetILNS1_3genE4ELNS1_11target_archE910ELNS1_3gpuE8ELNS1_3repE0EEENS1_52radix_sort_onesweep_histogram_config_static_selectorELNS0_4arch9wavefront6targetE1EEEvSI_
                                        ; -- End function
	.set _ZN7rocprim17ROCPRIM_400000_NS6detail17trampoline_kernelINS0_14default_configENS1_35radix_sort_onesweep_config_selectorIbiEEZNS1_34radix_sort_onesweep_global_offsetsIS3_Lb0EN6thrust23THRUST_200600_302600_NS6detail15normal_iteratorINS8_10device_ptrIbEEEENSA_INSB_IiEEEEjNS0_19identity_decomposerEEE10hipError_tT1_T2_PT3_SK_jT4_jjP12ihipStream_tbEUlT_E0_NS1_11comp_targetILNS1_3genE4ELNS1_11target_archE910ELNS1_3gpuE8ELNS1_3repE0EEENS1_52radix_sort_onesweep_histogram_config_static_selectorELNS0_4arch9wavefront6targetE1EEEvSI_.num_vgpr, 0
	.set _ZN7rocprim17ROCPRIM_400000_NS6detail17trampoline_kernelINS0_14default_configENS1_35radix_sort_onesweep_config_selectorIbiEEZNS1_34radix_sort_onesweep_global_offsetsIS3_Lb0EN6thrust23THRUST_200600_302600_NS6detail15normal_iteratorINS8_10device_ptrIbEEEENSA_INSB_IiEEEEjNS0_19identity_decomposerEEE10hipError_tT1_T2_PT3_SK_jT4_jjP12ihipStream_tbEUlT_E0_NS1_11comp_targetILNS1_3genE4ELNS1_11target_archE910ELNS1_3gpuE8ELNS1_3repE0EEENS1_52radix_sort_onesweep_histogram_config_static_selectorELNS0_4arch9wavefront6targetE1EEEvSI_.num_agpr, 0
	.set _ZN7rocprim17ROCPRIM_400000_NS6detail17trampoline_kernelINS0_14default_configENS1_35radix_sort_onesweep_config_selectorIbiEEZNS1_34radix_sort_onesweep_global_offsetsIS3_Lb0EN6thrust23THRUST_200600_302600_NS6detail15normal_iteratorINS8_10device_ptrIbEEEENSA_INSB_IiEEEEjNS0_19identity_decomposerEEE10hipError_tT1_T2_PT3_SK_jT4_jjP12ihipStream_tbEUlT_E0_NS1_11comp_targetILNS1_3genE4ELNS1_11target_archE910ELNS1_3gpuE8ELNS1_3repE0EEENS1_52radix_sort_onesweep_histogram_config_static_selectorELNS0_4arch9wavefront6targetE1EEEvSI_.numbered_sgpr, 0
	.set _ZN7rocprim17ROCPRIM_400000_NS6detail17trampoline_kernelINS0_14default_configENS1_35radix_sort_onesweep_config_selectorIbiEEZNS1_34radix_sort_onesweep_global_offsetsIS3_Lb0EN6thrust23THRUST_200600_302600_NS6detail15normal_iteratorINS8_10device_ptrIbEEEENSA_INSB_IiEEEEjNS0_19identity_decomposerEEE10hipError_tT1_T2_PT3_SK_jT4_jjP12ihipStream_tbEUlT_E0_NS1_11comp_targetILNS1_3genE4ELNS1_11target_archE910ELNS1_3gpuE8ELNS1_3repE0EEENS1_52radix_sort_onesweep_histogram_config_static_selectorELNS0_4arch9wavefront6targetE1EEEvSI_.num_named_barrier, 0
	.set _ZN7rocprim17ROCPRIM_400000_NS6detail17trampoline_kernelINS0_14default_configENS1_35radix_sort_onesweep_config_selectorIbiEEZNS1_34radix_sort_onesweep_global_offsetsIS3_Lb0EN6thrust23THRUST_200600_302600_NS6detail15normal_iteratorINS8_10device_ptrIbEEEENSA_INSB_IiEEEEjNS0_19identity_decomposerEEE10hipError_tT1_T2_PT3_SK_jT4_jjP12ihipStream_tbEUlT_E0_NS1_11comp_targetILNS1_3genE4ELNS1_11target_archE910ELNS1_3gpuE8ELNS1_3repE0EEENS1_52radix_sort_onesweep_histogram_config_static_selectorELNS0_4arch9wavefront6targetE1EEEvSI_.private_seg_size, 0
	.set _ZN7rocprim17ROCPRIM_400000_NS6detail17trampoline_kernelINS0_14default_configENS1_35radix_sort_onesweep_config_selectorIbiEEZNS1_34radix_sort_onesweep_global_offsetsIS3_Lb0EN6thrust23THRUST_200600_302600_NS6detail15normal_iteratorINS8_10device_ptrIbEEEENSA_INSB_IiEEEEjNS0_19identity_decomposerEEE10hipError_tT1_T2_PT3_SK_jT4_jjP12ihipStream_tbEUlT_E0_NS1_11comp_targetILNS1_3genE4ELNS1_11target_archE910ELNS1_3gpuE8ELNS1_3repE0EEENS1_52radix_sort_onesweep_histogram_config_static_selectorELNS0_4arch9wavefront6targetE1EEEvSI_.uses_vcc, 0
	.set _ZN7rocprim17ROCPRIM_400000_NS6detail17trampoline_kernelINS0_14default_configENS1_35radix_sort_onesweep_config_selectorIbiEEZNS1_34radix_sort_onesweep_global_offsetsIS3_Lb0EN6thrust23THRUST_200600_302600_NS6detail15normal_iteratorINS8_10device_ptrIbEEEENSA_INSB_IiEEEEjNS0_19identity_decomposerEEE10hipError_tT1_T2_PT3_SK_jT4_jjP12ihipStream_tbEUlT_E0_NS1_11comp_targetILNS1_3genE4ELNS1_11target_archE910ELNS1_3gpuE8ELNS1_3repE0EEENS1_52radix_sort_onesweep_histogram_config_static_selectorELNS0_4arch9wavefront6targetE1EEEvSI_.uses_flat_scratch, 0
	.set _ZN7rocprim17ROCPRIM_400000_NS6detail17trampoline_kernelINS0_14default_configENS1_35radix_sort_onesweep_config_selectorIbiEEZNS1_34radix_sort_onesweep_global_offsetsIS3_Lb0EN6thrust23THRUST_200600_302600_NS6detail15normal_iteratorINS8_10device_ptrIbEEEENSA_INSB_IiEEEEjNS0_19identity_decomposerEEE10hipError_tT1_T2_PT3_SK_jT4_jjP12ihipStream_tbEUlT_E0_NS1_11comp_targetILNS1_3genE4ELNS1_11target_archE910ELNS1_3gpuE8ELNS1_3repE0EEENS1_52radix_sort_onesweep_histogram_config_static_selectorELNS0_4arch9wavefront6targetE1EEEvSI_.has_dyn_sized_stack, 0
	.set _ZN7rocprim17ROCPRIM_400000_NS6detail17trampoline_kernelINS0_14default_configENS1_35radix_sort_onesweep_config_selectorIbiEEZNS1_34radix_sort_onesweep_global_offsetsIS3_Lb0EN6thrust23THRUST_200600_302600_NS6detail15normal_iteratorINS8_10device_ptrIbEEEENSA_INSB_IiEEEEjNS0_19identity_decomposerEEE10hipError_tT1_T2_PT3_SK_jT4_jjP12ihipStream_tbEUlT_E0_NS1_11comp_targetILNS1_3genE4ELNS1_11target_archE910ELNS1_3gpuE8ELNS1_3repE0EEENS1_52radix_sort_onesweep_histogram_config_static_selectorELNS0_4arch9wavefront6targetE1EEEvSI_.has_recursion, 0
	.set _ZN7rocprim17ROCPRIM_400000_NS6detail17trampoline_kernelINS0_14default_configENS1_35radix_sort_onesweep_config_selectorIbiEEZNS1_34radix_sort_onesweep_global_offsetsIS3_Lb0EN6thrust23THRUST_200600_302600_NS6detail15normal_iteratorINS8_10device_ptrIbEEEENSA_INSB_IiEEEEjNS0_19identity_decomposerEEE10hipError_tT1_T2_PT3_SK_jT4_jjP12ihipStream_tbEUlT_E0_NS1_11comp_targetILNS1_3genE4ELNS1_11target_archE910ELNS1_3gpuE8ELNS1_3repE0EEENS1_52radix_sort_onesweep_histogram_config_static_selectorELNS0_4arch9wavefront6targetE1EEEvSI_.has_indirect_call, 0
	.section	.AMDGPU.csdata,"",@progbits
; Kernel info:
; codeLenInByte = 0
; TotalNumSgprs: 6
; NumVgprs: 0
; NumAgprs: 0
; TotalNumVgprs: 0
; ScratchSize: 0
; MemoryBound: 0
; FloatMode: 240
; IeeeMode: 1
; LDSByteSize: 0 bytes/workgroup (compile time only)
; SGPRBlocks: 0
; VGPRBlocks: 0
; NumSGPRsForWavesPerEU: 6
; NumVGPRsForWavesPerEU: 1
; AccumOffset: 4
; Occupancy: 8
; WaveLimiterHint : 0
; COMPUTE_PGM_RSRC2:SCRATCH_EN: 0
; COMPUTE_PGM_RSRC2:USER_SGPR: 2
; COMPUTE_PGM_RSRC2:TRAP_HANDLER: 0
; COMPUTE_PGM_RSRC2:TGID_X_EN: 1
; COMPUTE_PGM_RSRC2:TGID_Y_EN: 0
; COMPUTE_PGM_RSRC2:TGID_Z_EN: 0
; COMPUTE_PGM_RSRC2:TIDIG_COMP_CNT: 0
; COMPUTE_PGM_RSRC3_GFX90A:ACCUM_OFFSET: 0
; COMPUTE_PGM_RSRC3_GFX90A:TG_SPLIT: 0
	.section	.text._ZN7rocprim17ROCPRIM_400000_NS6detail17trampoline_kernelINS0_14default_configENS1_35radix_sort_onesweep_config_selectorIbiEEZNS1_34radix_sort_onesweep_global_offsetsIS3_Lb0EN6thrust23THRUST_200600_302600_NS6detail15normal_iteratorINS8_10device_ptrIbEEEENSA_INSB_IiEEEEjNS0_19identity_decomposerEEE10hipError_tT1_T2_PT3_SK_jT4_jjP12ihipStream_tbEUlT_E0_NS1_11comp_targetILNS1_3genE3ELNS1_11target_archE908ELNS1_3gpuE7ELNS1_3repE0EEENS1_52radix_sort_onesweep_histogram_config_static_selectorELNS0_4arch9wavefront6targetE1EEEvSI_,"axG",@progbits,_ZN7rocprim17ROCPRIM_400000_NS6detail17trampoline_kernelINS0_14default_configENS1_35radix_sort_onesweep_config_selectorIbiEEZNS1_34radix_sort_onesweep_global_offsetsIS3_Lb0EN6thrust23THRUST_200600_302600_NS6detail15normal_iteratorINS8_10device_ptrIbEEEENSA_INSB_IiEEEEjNS0_19identity_decomposerEEE10hipError_tT1_T2_PT3_SK_jT4_jjP12ihipStream_tbEUlT_E0_NS1_11comp_targetILNS1_3genE3ELNS1_11target_archE908ELNS1_3gpuE7ELNS1_3repE0EEENS1_52radix_sort_onesweep_histogram_config_static_selectorELNS0_4arch9wavefront6targetE1EEEvSI_,comdat
	.protected	_ZN7rocprim17ROCPRIM_400000_NS6detail17trampoline_kernelINS0_14default_configENS1_35radix_sort_onesweep_config_selectorIbiEEZNS1_34radix_sort_onesweep_global_offsetsIS3_Lb0EN6thrust23THRUST_200600_302600_NS6detail15normal_iteratorINS8_10device_ptrIbEEEENSA_INSB_IiEEEEjNS0_19identity_decomposerEEE10hipError_tT1_T2_PT3_SK_jT4_jjP12ihipStream_tbEUlT_E0_NS1_11comp_targetILNS1_3genE3ELNS1_11target_archE908ELNS1_3gpuE7ELNS1_3repE0EEENS1_52radix_sort_onesweep_histogram_config_static_selectorELNS0_4arch9wavefront6targetE1EEEvSI_ ; -- Begin function _ZN7rocprim17ROCPRIM_400000_NS6detail17trampoline_kernelINS0_14default_configENS1_35radix_sort_onesweep_config_selectorIbiEEZNS1_34radix_sort_onesweep_global_offsetsIS3_Lb0EN6thrust23THRUST_200600_302600_NS6detail15normal_iteratorINS8_10device_ptrIbEEEENSA_INSB_IiEEEEjNS0_19identity_decomposerEEE10hipError_tT1_T2_PT3_SK_jT4_jjP12ihipStream_tbEUlT_E0_NS1_11comp_targetILNS1_3genE3ELNS1_11target_archE908ELNS1_3gpuE7ELNS1_3repE0EEENS1_52radix_sort_onesweep_histogram_config_static_selectorELNS0_4arch9wavefront6targetE1EEEvSI_
	.globl	_ZN7rocprim17ROCPRIM_400000_NS6detail17trampoline_kernelINS0_14default_configENS1_35radix_sort_onesweep_config_selectorIbiEEZNS1_34radix_sort_onesweep_global_offsetsIS3_Lb0EN6thrust23THRUST_200600_302600_NS6detail15normal_iteratorINS8_10device_ptrIbEEEENSA_INSB_IiEEEEjNS0_19identity_decomposerEEE10hipError_tT1_T2_PT3_SK_jT4_jjP12ihipStream_tbEUlT_E0_NS1_11comp_targetILNS1_3genE3ELNS1_11target_archE908ELNS1_3gpuE7ELNS1_3repE0EEENS1_52radix_sort_onesweep_histogram_config_static_selectorELNS0_4arch9wavefront6targetE1EEEvSI_
	.p2align	8
	.type	_ZN7rocprim17ROCPRIM_400000_NS6detail17trampoline_kernelINS0_14default_configENS1_35radix_sort_onesweep_config_selectorIbiEEZNS1_34radix_sort_onesweep_global_offsetsIS3_Lb0EN6thrust23THRUST_200600_302600_NS6detail15normal_iteratorINS8_10device_ptrIbEEEENSA_INSB_IiEEEEjNS0_19identity_decomposerEEE10hipError_tT1_T2_PT3_SK_jT4_jjP12ihipStream_tbEUlT_E0_NS1_11comp_targetILNS1_3genE3ELNS1_11target_archE908ELNS1_3gpuE7ELNS1_3repE0EEENS1_52radix_sort_onesweep_histogram_config_static_selectorELNS0_4arch9wavefront6targetE1EEEvSI_,@function
_ZN7rocprim17ROCPRIM_400000_NS6detail17trampoline_kernelINS0_14default_configENS1_35radix_sort_onesweep_config_selectorIbiEEZNS1_34radix_sort_onesweep_global_offsetsIS3_Lb0EN6thrust23THRUST_200600_302600_NS6detail15normal_iteratorINS8_10device_ptrIbEEEENSA_INSB_IiEEEEjNS0_19identity_decomposerEEE10hipError_tT1_T2_PT3_SK_jT4_jjP12ihipStream_tbEUlT_E0_NS1_11comp_targetILNS1_3genE3ELNS1_11target_archE908ELNS1_3gpuE7ELNS1_3repE0EEENS1_52radix_sort_onesweep_histogram_config_static_selectorELNS0_4arch9wavefront6targetE1EEEvSI_: ; @_ZN7rocprim17ROCPRIM_400000_NS6detail17trampoline_kernelINS0_14default_configENS1_35radix_sort_onesweep_config_selectorIbiEEZNS1_34radix_sort_onesweep_global_offsetsIS3_Lb0EN6thrust23THRUST_200600_302600_NS6detail15normal_iteratorINS8_10device_ptrIbEEEENSA_INSB_IiEEEEjNS0_19identity_decomposerEEE10hipError_tT1_T2_PT3_SK_jT4_jjP12ihipStream_tbEUlT_E0_NS1_11comp_targetILNS1_3genE3ELNS1_11target_archE908ELNS1_3gpuE7ELNS1_3repE0EEENS1_52radix_sort_onesweep_histogram_config_static_selectorELNS0_4arch9wavefront6targetE1EEEvSI_
; %bb.0:
	.section	.rodata,"a",@progbits
	.p2align	6, 0x0
	.amdhsa_kernel _ZN7rocprim17ROCPRIM_400000_NS6detail17trampoline_kernelINS0_14default_configENS1_35radix_sort_onesweep_config_selectorIbiEEZNS1_34radix_sort_onesweep_global_offsetsIS3_Lb0EN6thrust23THRUST_200600_302600_NS6detail15normal_iteratorINS8_10device_ptrIbEEEENSA_INSB_IiEEEEjNS0_19identity_decomposerEEE10hipError_tT1_T2_PT3_SK_jT4_jjP12ihipStream_tbEUlT_E0_NS1_11comp_targetILNS1_3genE3ELNS1_11target_archE908ELNS1_3gpuE7ELNS1_3repE0EEENS1_52radix_sort_onesweep_histogram_config_static_selectorELNS0_4arch9wavefront6targetE1EEEvSI_
		.amdhsa_group_segment_fixed_size 0
		.amdhsa_private_segment_fixed_size 0
		.amdhsa_kernarg_size 8
		.amdhsa_user_sgpr_count 2
		.amdhsa_user_sgpr_dispatch_ptr 0
		.amdhsa_user_sgpr_queue_ptr 0
		.amdhsa_user_sgpr_kernarg_segment_ptr 1
		.amdhsa_user_sgpr_dispatch_id 0
		.amdhsa_user_sgpr_kernarg_preload_length 0
		.amdhsa_user_sgpr_kernarg_preload_offset 0
		.amdhsa_user_sgpr_private_segment_size 0
		.amdhsa_uses_dynamic_stack 0
		.amdhsa_enable_private_segment 0
		.amdhsa_system_sgpr_workgroup_id_x 1
		.amdhsa_system_sgpr_workgroup_id_y 0
		.amdhsa_system_sgpr_workgroup_id_z 0
		.amdhsa_system_sgpr_workgroup_info 0
		.amdhsa_system_vgpr_workitem_id 0
		.amdhsa_next_free_vgpr 1
		.amdhsa_next_free_sgpr 0
		.amdhsa_accum_offset 4
		.amdhsa_reserve_vcc 0
		.amdhsa_float_round_mode_32 0
		.amdhsa_float_round_mode_16_64 0
		.amdhsa_float_denorm_mode_32 3
		.amdhsa_float_denorm_mode_16_64 3
		.amdhsa_dx10_clamp 1
		.amdhsa_ieee_mode 1
		.amdhsa_fp16_overflow 0
		.amdhsa_tg_split 0
		.amdhsa_exception_fp_ieee_invalid_op 0
		.amdhsa_exception_fp_denorm_src 0
		.amdhsa_exception_fp_ieee_div_zero 0
		.amdhsa_exception_fp_ieee_overflow 0
		.amdhsa_exception_fp_ieee_underflow 0
		.amdhsa_exception_fp_ieee_inexact 0
		.amdhsa_exception_int_div_zero 0
	.end_amdhsa_kernel
	.section	.text._ZN7rocprim17ROCPRIM_400000_NS6detail17trampoline_kernelINS0_14default_configENS1_35radix_sort_onesweep_config_selectorIbiEEZNS1_34radix_sort_onesweep_global_offsetsIS3_Lb0EN6thrust23THRUST_200600_302600_NS6detail15normal_iteratorINS8_10device_ptrIbEEEENSA_INSB_IiEEEEjNS0_19identity_decomposerEEE10hipError_tT1_T2_PT3_SK_jT4_jjP12ihipStream_tbEUlT_E0_NS1_11comp_targetILNS1_3genE3ELNS1_11target_archE908ELNS1_3gpuE7ELNS1_3repE0EEENS1_52radix_sort_onesweep_histogram_config_static_selectorELNS0_4arch9wavefront6targetE1EEEvSI_,"axG",@progbits,_ZN7rocprim17ROCPRIM_400000_NS6detail17trampoline_kernelINS0_14default_configENS1_35radix_sort_onesweep_config_selectorIbiEEZNS1_34radix_sort_onesweep_global_offsetsIS3_Lb0EN6thrust23THRUST_200600_302600_NS6detail15normal_iteratorINS8_10device_ptrIbEEEENSA_INSB_IiEEEEjNS0_19identity_decomposerEEE10hipError_tT1_T2_PT3_SK_jT4_jjP12ihipStream_tbEUlT_E0_NS1_11comp_targetILNS1_3genE3ELNS1_11target_archE908ELNS1_3gpuE7ELNS1_3repE0EEENS1_52radix_sort_onesweep_histogram_config_static_selectorELNS0_4arch9wavefront6targetE1EEEvSI_,comdat
.Lfunc_end2028:
	.size	_ZN7rocprim17ROCPRIM_400000_NS6detail17trampoline_kernelINS0_14default_configENS1_35radix_sort_onesweep_config_selectorIbiEEZNS1_34radix_sort_onesweep_global_offsetsIS3_Lb0EN6thrust23THRUST_200600_302600_NS6detail15normal_iteratorINS8_10device_ptrIbEEEENSA_INSB_IiEEEEjNS0_19identity_decomposerEEE10hipError_tT1_T2_PT3_SK_jT4_jjP12ihipStream_tbEUlT_E0_NS1_11comp_targetILNS1_3genE3ELNS1_11target_archE908ELNS1_3gpuE7ELNS1_3repE0EEENS1_52radix_sort_onesweep_histogram_config_static_selectorELNS0_4arch9wavefront6targetE1EEEvSI_, .Lfunc_end2028-_ZN7rocprim17ROCPRIM_400000_NS6detail17trampoline_kernelINS0_14default_configENS1_35radix_sort_onesweep_config_selectorIbiEEZNS1_34radix_sort_onesweep_global_offsetsIS3_Lb0EN6thrust23THRUST_200600_302600_NS6detail15normal_iteratorINS8_10device_ptrIbEEEENSA_INSB_IiEEEEjNS0_19identity_decomposerEEE10hipError_tT1_T2_PT3_SK_jT4_jjP12ihipStream_tbEUlT_E0_NS1_11comp_targetILNS1_3genE3ELNS1_11target_archE908ELNS1_3gpuE7ELNS1_3repE0EEENS1_52radix_sort_onesweep_histogram_config_static_selectorELNS0_4arch9wavefront6targetE1EEEvSI_
                                        ; -- End function
	.set _ZN7rocprim17ROCPRIM_400000_NS6detail17trampoline_kernelINS0_14default_configENS1_35radix_sort_onesweep_config_selectorIbiEEZNS1_34radix_sort_onesweep_global_offsetsIS3_Lb0EN6thrust23THRUST_200600_302600_NS6detail15normal_iteratorINS8_10device_ptrIbEEEENSA_INSB_IiEEEEjNS0_19identity_decomposerEEE10hipError_tT1_T2_PT3_SK_jT4_jjP12ihipStream_tbEUlT_E0_NS1_11comp_targetILNS1_3genE3ELNS1_11target_archE908ELNS1_3gpuE7ELNS1_3repE0EEENS1_52radix_sort_onesweep_histogram_config_static_selectorELNS0_4arch9wavefront6targetE1EEEvSI_.num_vgpr, 0
	.set _ZN7rocprim17ROCPRIM_400000_NS6detail17trampoline_kernelINS0_14default_configENS1_35radix_sort_onesweep_config_selectorIbiEEZNS1_34radix_sort_onesweep_global_offsetsIS3_Lb0EN6thrust23THRUST_200600_302600_NS6detail15normal_iteratorINS8_10device_ptrIbEEEENSA_INSB_IiEEEEjNS0_19identity_decomposerEEE10hipError_tT1_T2_PT3_SK_jT4_jjP12ihipStream_tbEUlT_E0_NS1_11comp_targetILNS1_3genE3ELNS1_11target_archE908ELNS1_3gpuE7ELNS1_3repE0EEENS1_52radix_sort_onesweep_histogram_config_static_selectorELNS0_4arch9wavefront6targetE1EEEvSI_.num_agpr, 0
	.set _ZN7rocprim17ROCPRIM_400000_NS6detail17trampoline_kernelINS0_14default_configENS1_35radix_sort_onesweep_config_selectorIbiEEZNS1_34radix_sort_onesweep_global_offsetsIS3_Lb0EN6thrust23THRUST_200600_302600_NS6detail15normal_iteratorINS8_10device_ptrIbEEEENSA_INSB_IiEEEEjNS0_19identity_decomposerEEE10hipError_tT1_T2_PT3_SK_jT4_jjP12ihipStream_tbEUlT_E0_NS1_11comp_targetILNS1_3genE3ELNS1_11target_archE908ELNS1_3gpuE7ELNS1_3repE0EEENS1_52radix_sort_onesweep_histogram_config_static_selectorELNS0_4arch9wavefront6targetE1EEEvSI_.numbered_sgpr, 0
	.set _ZN7rocprim17ROCPRIM_400000_NS6detail17trampoline_kernelINS0_14default_configENS1_35radix_sort_onesweep_config_selectorIbiEEZNS1_34radix_sort_onesweep_global_offsetsIS3_Lb0EN6thrust23THRUST_200600_302600_NS6detail15normal_iteratorINS8_10device_ptrIbEEEENSA_INSB_IiEEEEjNS0_19identity_decomposerEEE10hipError_tT1_T2_PT3_SK_jT4_jjP12ihipStream_tbEUlT_E0_NS1_11comp_targetILNS1_3genE3ELNS1_11target_archE908ELNS1_3gpuE7ELNS1_3repE0EEENS1_52radix_sort_onesweep_histogram_config_static_selectorELNS0_4arch9wavefront6targetE1EEEvSI_.num_named_barrier, 0
	.set _ZN7rocprim17ROCPRIM_400000_NS6detail17trampoline_kernelINS0_14default_configENS1_35radix_sort_onesweep_config_selectorIbiEEZNS1_34radix_sort_onesweep_global_offsetsIS3_Lb0EN6thrust23THRUST_200600_302600_NS6detail15normal_iteratorINS8_10device_ptrIbEEEENSA_INSB_IiEEEEjNS0_19identity_decomposerEEE10hipError_tT1_T2_PT3_SK_jT4_jjP12ihipStream_tbEUlT_E0_NS1_11comp_targetILNS1_3genE3ELNS1_11target_archE908ELNS1_3gpuE7ELNS1_3repE0EEENS1_52radix_sort_onesweep_histogram_config_static_selectorELNS0_4arch9wavefront6targetE1EEEvSI_.private_seg_size, 0
	.set _ZN7rocprim17ROCPRIM_400000_NS6detail17trampoline_kernelINS0_14default_configENS1_35radix_sort_onesweep_config_selectorIbiEEZNS1_34radix_sort_onesweep_global_offsetsIS3_Lb0EN6thrust23THRUST_200600_302600_NS6detail15normal_iteratorINS8_10device_ptrIbEEEENSA_INSB_IiEEEEjNS0_19identity_decomposerEEE10hipError_tT1_T2_PT3_SK_jT4_jjP12ihipStream_tbEUlT_E0_NS1_11comp_targetILNS1_3genE3ELNS1_11target_archE908ELNS1_3gpuE7ELNS1_3repE0EEENS1_52radix_sort_onesweep_histogram_config_static_selectorELNS0_4arch9wavefront6targetE1EEEvSI_.uses_vcc, 0
	.set _ZN7rocprim17ROCPRIM_400000_NS6detail17trampoline_kernelINS0_14default_configENS1_35radix_sort_onesweep_config_selectorIbiEEZNS1_34radix_sort_onesweep_global_offsetsIS3_Lb0EN6thrust23THRUST_200600_302600_NS6detail15normal_iteratorINS8_10device_ptrIbEEEENSA_INSB_IiEEEEjNS0_19identity_decomposerEEE10hipError_tT1_T2_PT3_SK_jT4_jjP12ihipStream_tbEUlT_E0_NS1_11comp_targetILNS1_3genE3ELNS1_11target_archE908ELNS1_3gpuE7ELNS1_3repE0EEENS1_52radix_sort_onesweep_histogram_config_static_selectorELNS0_4arch9wavefront6targetE1EEEvSI_.uses_flat_scratch, 0
	.set _ZN7rocprim17ROCPRIM_400000_NS6detail17trampoline_kernelINS0_14default_configENS1_35radix_sort_onesweep_config_selectorIbiEEZNS1_34radix_sort_onesweep_global_offsetsIS3_Lb0EN6thrust23THRUST_200600_302600_NS6detail15normal_iteratorINS8_10device_ptrIbEEEENSA_INSB_IiEEEEjNS0_19identity_decomposerEEE10hipError_tT1_T2_PT3_SK_jT4_jjP12ihipStream_tbEUlT_E0_NS1_11comp_targetILNS1_3genE3ELNS1_11target_archE908ELNS1_3gpuE7ELNS1_3repE0EEENS1_52radix_sort_onesweep_histogram_config_static_selectorELNS0_4arch9wavefront6targetE1EEEvSI_.has_dyn_sized_stack, 0
	.set _ZN7rocprim17ROCPRIM_400000_NS6detail17trampoline_kernelINS0_14default_configENS1_35radix_sort_onesweep_config_selectorIbiEEZNS1_34radix_sort_onesweep_global_offsetsIS3_Lb0EN6thrust23THRUST_200600_302600_NS6detail15normal_iteratorINS8_10device_ptrIbEEEENSA_INSB_IiEEEEjNS0_19identity_decomposerEEE10hipError_tT1_T2_PT3_SK_jT4_jjP12ihipStream_tbEUlT_E0_NS1_11comp_targetILNS1_3genE3ELNS1_11target_archE908ELNS1_3gpuE7ELNS1_3repE0EEENS1_52radix_sort_onesweep_histogram_config_static_selectorELNS0_4arch9wavefront6targetE1EEEvSI_.has_recursion, 0
	.set _ZN7rocprim17ROCPRIM_400000_NS6detail17trampoline_kernelINS0_14default_configENS1_35radix_sort_onesweep_config_selectorIbiEEZNS1_34radix_sort_onesweep_global_offsetsIS3_Lb0EN6thrust23THRUST_200600_302600_NS6detail15normal_iteratorINS8_10device_ptrIbEEEENSA_INSB_IiEEEEjNS0_19identity_decomposerEEE10hipError_tT1_T2_PT3_SK_jT4_jjP12ihipStream_tbEUlT_E0_NS1_11comp_targetILNS1_3genE3ELNS1_11target_archE908ELNS1_3gpuE7ELNS1_3repE0EEENS1_52radix_sort_onesweep_histogram_config_static_selectorELNS0_4arch9wavefront6targetE1EEEvSI_.has_indirect_call, 0
	.section	.AMDGPU.csdata,"",@progbits
; Kernel info:
; codeLenInByte = 0
; TotalNumSgprs: 6
; NumVgprs: 0
; NumAgprs: 0
; TotalNumVgprs: 0
; ScratchSize: 0
; MemoryBound: 0
; FloatMode: 240
; IeeeMode: 1
; LDSByteSize: 0 bytes/workgroup (compile time only)
; SGPRBlocks: 0
; VGPRBlocks: 0
; NumSGPRsForWavesPerEU: 6
; NumVGPRsForWavesPerEU: 1
; AccumOffset: 4
; Occupancy: 8
; WaveLimiterHint : 0
; COMPUTE_PGM_RSRC2:SCRATCH_EN: 0
; COMPUTE_PGM_RSRC2:USER_SGPR: 2
; COMPUTE_PGM_RSRC2:TRAP_HANDLER: 0
; COMPUTE_PGM_RSRC2:TGID_X_EN: 1
; COMPUTE_PGM_RSRC2:TGID_Y_EN: 0
; COMPUTE_PGM_RSRC2:TGID_Z_EN: 0
; COMPUTE_PGM_RSRC2:TIDIG_COMP_CNT: 0
; COMPUTE_PGM_RSRC3_GFX90A:ACCUM_OFFSET: 0
; COMPUTE_PGM_RSRC3_GFX90A:TG_SPLIT: 0
	.section	.text._ZN7rocprim17ROCPRIM_400000_NS6detail17trampoline_kernelINS0_14default_configENS1_35radix_sort_onesweep_config_selectorIbiEEZNS1_34radix_sort_onesweep_global_offsetsIS3_Lb0EN6thrust23THRUST_200600_302600_NS6detail15normal_iteratorINS8_10device_ptrIbEEEENSA_INSB_IiEEEEjNS0_19identity_decomposerEEE10hipError_tT1_T2_PT3_SK_jT4_jjP12ihipStream_tbEUlT_E0_NS1_11comp_targetILNS1_3genE10ELNS1_11target_archE1201ELNS1_3gpuE5ELNS1_3repE0EEENS1_52radix_sort_onesweep_histogram_config_static_selectorELNS0_4arch9wavefront6targetE1EEEvSI_,"axG",@progbits,_ZN7rocprim17ROCPRIM_400000_NS6detail17trampoline_kernelINS0_14default_configENS1_35radix_sort_onesweep_config_selectorIbiEEZNS1_34radix_sort_onesweep_global_offsetsIS3_Lb0EN6thrust23THRUST_200600_302600_NS6detail15normal_iteratorINS8_10device_ptrIbEEEENSA_INSB_IiEEEEjNS0_19identity_decomposerEEE10hipError_tT1_T2_PT3_SK_jT4_jjP12ihipStream_tbEUlT_E0_NS1_11comp_targetILNS1_3genE10ELNS1_11target_archE1201ELNS1_3gpuE5ELNS1_3repE0EEENS1_52radix_sort_onesweep_histogram_config_static_selectorELNS0_4arch9wavefront6targetE1EEEvSI_,comdat
	.protected	_ZN7rocprim17ROCPRIM_400000_NS6detail17trampoline_kernelINS0_14default_configENS1_35radix_sort_onesweep_config_selectorIbiEEZNS1_34radix_sort_onesweep_global_offsetsIS3_Lb0EN6thrust23THRUST_200600_302600_NS6detail15normal_iteratorINS8_10device_ptrIbEEEENSA_INSB_IiEEEEjNS0_19identity_decomposerEEE10hipError_tT1_T2_PT3_SK_jT4_jjP12ihipStream_tbEUlT_E0_NS1_11comp_targetILNS1_3genE10ELNS1_11target_archE1201ELNS1_3gpuE5ELNS1_3repE0EEENS1_52radix_sort_onesweep_histogram_config_static_selectorELNS0_4arch9wavefront6targetE1EEEvSI_ ; -- Begin function _ZN7rocprim17ROCPRIM_400000_NS6detail17trampoline_kernelINS0_14default_configENS1_35radix_sort_onesweep_config_selectorIbiEEZNS1_34radix_sort_onesweep_global_offsetsIS3_Lb0EN6thrust23THRUST_200600_302600_NS6detail15normal_iteratorINS8_10device_ptrIbEEEENSA_INSB_IiEEEEjNS0_19identity_decomposerEEE10hipError_tT1_T2_PT3_SK_jT4_jjP12ihipStream_tbEUlT_E0_NS1_11comp_targetILNS1_3genE10ELNS1_11target_archE1201ELNS1_3gpuE5ELNS1_3repE0EEENS1_52radix_sort_onesweep_histogram_config_static_selectorELNS0_4arch9wavefront6targetE1EEEvSI_
	.globl	_ZN7rocprim17ROCPRIM_400000_NS6detail17trampoline_kernelINS0_14default_configENS1_35radix_sort_onesweep_config_selectorIbiEEZNS1_34radix_sort_onesweep_global_offsetsIS3_Lb0EN6thrust23THRUST_200600_302600_NS6detail15normal_iteratorINS8_10device_ptrIbEEEENSA_INSB_IiEEEEjNS0_19identity_decomposerEEE10hipError_tT1_T2_PT3_SK_jT4_jjP12ihipStream_tbEUlT_E0_NS1_11comp_targetILNS1_3genE10ELNS1_11target_archE1201ELNS1_3gpuE5ELNS1_3repE0EEENS1_52radix_sort_onesweep_histogram_config_static_selectorELNS0_4arch9wavefront6targetE1EEEvSI_
	.p2align	8
	.type	_ZN7rocprim17ROCPRIM_400000_NS6detail17trampoline_kernelINS0_14default_configENS1_35radix_sort_onesweep_config_selectorIbiEEZNS1_34radix_sort_onesweep_global_offsetsIS3_Lb0EN6thrust23THRUST_200600_302600_NS6detail15normal_iteratorINS8_10device_ptrIbEEEENSA_INSB_IiEEEEjNS0_19identity_decomposerEEE10hipError_tT1_T2_PT3_SK_jT4_jjP12ihipStream_tbEUlT_E0_NS1_11comp_targetILNS1_3genE10ELNS1_11target_archE1201ELNS1_3gpuE5ELNS1_3repE0EEENS1_52radix_sort_onesweep_histogram_config_static_selectorELNS0_4arch9wavefront6targetE1EEEvSI_,@function
_ZN7rocprim17ROCPRIM_400000_NS6detail17trampoline_kernelINS0_14default_configENS1_35radix_sort_onesweep_config_selectorIbiEEZNS1_34radix_sort_onesweep_global_offsetsIS3_Lb0EN6thrust23THRUST_200600_302600_NS6detail15normal_iteratorINS8_10device_ptrIbEEEENSA_INSB_IiEEEEjNS0_19identity_decomposerEEE10hipError_tT1_T2_PT3_SK_jT4_jjP12ihipStream_tbEUlT_E0_NS1_11comp_targetILNS1_3genE10ELNS1_11target_archE1201ELNS1_3gpuE5ELNS1_3repE0EEENS1_52radix_sort_onesweep_histogram_config_static_selectorELNS0_4arch9wavefront6targetE1EEEvSI_: ; @_ZN7rocprim17ROCPRIM_400000_NS6detail17trampoline_kernelINS0_14default_configENS1_35radix_sort_onesweep_config_selectorIbiEEZNS1_34radix_sort_onesweep_global_offsetsIS3_Lb0EN6thrust23THRUST_200600_302600_NS6detail15normal_iteratorINS8_10device_ptrIbEEEENSA_INSB_IiEEEEjNS0_19identity_decomposerEEE10hipError_tT1_T2_PT3_SK_jT4_jjP12ihipStream_tbEUlT_E0_NS1_11comp_targetILNS1_3genE10ELNS1_11target_archE1201ELNS1_3gpuE5ELNS1_3repE0EEENS1_52radix_sort_onesweep_histogram_config_static_selectorELNS0_4arch9wavefront6targetE1EEEvSI_
; %bb.0:
	.section	.rodata,"a",@progbits
	.p2align	6, 0x0
	.amdhsa_kernel _ZN7rocprim17ROCPRIM_400000_NS6detail17trampoline_kernelINS0_14default_configENS1_35radix_sort_onesweep_config_selectorIbiEEZNS1_34radix_sort_onesweep_global_offsetsIS3_Lb0EN6thrust23THRUST_200600_302600_NS6detail15normal_iteratorINS8_10device_ptrIbEEEENSA_INSB_IiEEEEjNS0_19identity_decomposerEEE10hipError_tT1_T2_PT3_SK_jT4_jjP12ihipStream_tbEUlT_E0_NS1_11comp_targetILNS1_3genE10ELNS1_11target_archE1201ELNS1_3gpuE5ELNS1_3repE0EEENS1_52radix_sort_onesweep_histogram_config_static_selectorELNS0_4arch9wavefront6targetE1EEEvSI_
		.amdhsa_group_segment_fixed_size 0
		.amdhsa_private_segment_fixed_size 0
		.amdhsa_kernarg_size 8
		.amdhsa_user_sgpr_count 2
		.amdhsa_user_sgpr_dispatch_ptr 0
		.amdhsa_user_sgpr_queue_ptr 0
		.amdhsa_user_sgpr_kernarg_segment_ptr 1
		.amdhsa_user_sgpr_dispatch_id 0
		.amdhsa_user_sgpr_kernarg_preload_length 0
		.amdhsa_user_sgpr_kernarg_preload_offset 0
		.amdhsa_user_sgpr_private_segment_size 0
		.amdhsa_uses_dynamic_stack 0
		.amdhsa_enable_private_segment 0
		.amdhsa_system_sgpr_workgroup_id_x 1
		.amdhsa_system_sgpr_workgroup_id_y 0
		.amdhsa_system_sgpr_workgroup_id_z 0
		.amdhsa_system_sgpr_workgroup_info 0
		.amdhsa_system_vgpr_workitem_id 0
		.amdhsa_next_free_vgpr 1
		.amdhsa_next_free_sgpr 0
		.amdhsa_accum_offset 4
		.amdhsa_reserve_vcc 0
		.amdhsa_float_round_mode_32 0
		.amdhsa_float_round_mode_16_64 0
		.amdhsa_float_denorm_mode_32 3
		.amdhsa_float_denorm_mode_16_64 3
		.amdhsa_dx10_clamp 1
		.amdhsa_ieee_mode 1
		.amdhsa_fp16_overflow 0
		.amdhsa_tg_split 0
		.amdhsa_exception_fp_ieee_invalid_op 0
		.amdhsa_exception_fp_denorm_src 0
		.amdhsa_exception_fp_ieee_div_zero 0
		.amdhsa_exception_fp_ieee_overflow 0
		.amdhsa_exception_fp_ieee_underflow 0
		.amdhsa_exception_fp_ieee_inexact 0
		.amdhsa_exception_int_div_zero 0
	.end_amdhsa_kernel
	.section	.text._ZN7rocprim17ROCPRIM_400000_NS6detail17trampoline_kernelINS0_14default_configENS1_35radix_sort_onesweep_config_selectorIbiEEZNS1_34radix_sort_onesweep_global_offsetsIS3_Lb0EN6thrust23THRUST_200600_302600_NS6detail15normal_iteratorINS8_10device_ptrIbEEEENSA_INSB_IiEEEEjNS0_19identity_decomposerEEE10hipError_tT1_T2_PT3_SK_jT4_jjP12ihipStream_tbEUlT_E0_NS1_11comp_targetILNS1_3genE10ELNS1_11target_archE1201ELNS1_3gpuE5ELNS1_3repE0EEENS1_52radix_sort_onesweep_histogram_config_static_selectorELNS0_4arch9wavefront6targetE1EEEvSI_,"axG",@progbits,_ZN7rocprim17ROCPRIM_400000_NS6detail17trampoline_kernelINS0_14default_configENS1_35radix_sort_onesweep_config_selectorIbiEEZNS1_34radix_sort_onesweep_global_offsetsIS3_Lb0EN6thrust23THRUST_200600_302600_NS6detail15normal_iteratorINS8_10device_ptrIbEEEENSA_INSB_IiEEEEjNS0_19identity_decomposerEEE10hipError_tT1_T2_PT3_SK_jT4_jjP12ihipStream_tbEUlT_E0_NS1_11comp_targetILNS1_3genE10ELNS1_11target_archE1201ELNS1_3gpuE5ELNS1_3repE0EEENS1_52radix_sort_onesweep_histogram_config_static_selectorELNS0_4arch9wavefront6targetE1EEEvSI_,comdat
.Lfunc_end2029:
	.size	_ZN7rocprim17ROCPRIM_400000_NS6detail17trampoline_kernelINS0_14default_configENS1_35radix_sort_onesweep_config_selectorIbiEEZNS1_34radix_sort_onesweep_global_offsetsIS3_Lb0EN6thrust23THRUST_200600_302600_NS6detail15normal_iteratorINS8_10device_ptrIbEEEENSA_INSB_IiEEEEjNS0_19identity_decomposerEEE10hipError_tT1_T2_PT3_SK_jT4_jjP12ihipStream_tbEUlT_E0_NS1_11comp_targetILNS1_3genE10ELNS1_11target_archE1201ELNS1_3gpuE5ELNS1_3repE0EEENS1_52radix_sort_onesweep_histogram_config_static_selectorELNS0_4arch9wavefront6targetE1EEEvSI_, .Lfunc_end2029-_ZN7rocprim17ROCPRIM_400000_NS6detail17trampoline_kernelINS0_14default_configENS1_35radix_sort_onesweep_config_selectorIbiEEZNS1_34radix_sort_onesweep_global_offsetsIS3_Lb0EN6thrust23THRUST_200600_302600_NS6detail15normal_iteratorINS8_10device_ptrIbEEEENSA_INSB_IiEEEEjNS0_19identity_decomposerEEE10hipError_tT1_T2_PT3_SK_jT4_jjP12ihipStream_tbEUlT_E0_NS1_11comp_targetILNS1_3genE10ELNS1_11target_archE1201ELNS1_3gpuE5ELNS1_3repE0EEENS1_52radix_sort_onesweep_histogram_config_static_selectorELNS0_4arch9wavefront6targetE1EEEvSI_
                                        ; -- End function
	.set _ZN7rocprim17ROCPRIM_400000_NS6detail17trampoline_kernelINS0_14default_configENS1_35radix_sort_onesweep_config_selectorIbiEEZNS1_34radix_sort_onesweep_global_offsetsIS3_Lb0EN6thrust23THRUST_200600_302600_NS6detail15normal_iteratorINS8_10device_ptrIbEEEENSA_INSB_IiEEEEjNS0_19identity_decomposerEEE10hipError_tT1_T2_PT3_SK_jT4_jjP12ihipStream_tbEUlT_E0_NS1_11comp_targetILNS1_3genE10ELNS1_11target_archE1201ELNS1_3gpuE5ELNS1_3repE0EEENS1_52radix_sort_onesweep_histogram_config_static_selectorELNS0_4arch9wavefront6targetE1EEEvSI_.num_vgpr, 0
	.set _ZN7rocprim17ROCPRIM_400000_NS6detail17trampoline_kernelINS0_14default_configENS1_35radix_sort_onesweep_config_selectorIbiEEZNS1_34radix_sort_onesweep_global_offsetsIS3_Lb0EN6thrust23THRUST_200600_302600_NS6detail15normal_iteratorINS8_10device_ptrIbEEEENSA_INSB_IiEEEEjNS0_19identity_decomposerEEE10hipError_tT1_T2_PT3_SK_jT4_jjP12ihipStream_tbEUlT_E0_NS1_11comp_targetILNS1_3genE10ELNS1_11target_archE1201ELNS1_3gpuE5ELNS1_3repE0EEENS1_52radix_sort_onesweep_histogram_config_static_selectorELNS0_4arch9wavefront6targetE1EEEvSI_.num_agpr, 0
	.set _ZN7rocprim17ROCPRIM_400000_NS6detail17trampoline_kernelINS0_14default_configENS1_35radix_sort_onesweep_config_selectorIbiEEZNS1_34radix_sort_onesweep_global_offsetsIS3_Lb0EN6thrust23THRUST_200600_302600_NS6detail15normal_iteratorINS8_10device_ptrIbEEEENSA_INSB_IiEEEEjNS0_19identity_decomposerEEE10hipError_tT1_T2_PT3_SK_jT4_jjP12ihipStream_tbEUlT_E0_NS1_11comp_targetILNS1_3genE10ELNS1_11target_archE1201ELNS1_3gpuE5ELNS1_3repE0EEENS1_52radix_sort_onesweep_histogram_config_static_selectorELNS0_4arch9wavefront6targetE1EEEvSI_.numbered_sgpr, 0
	.set _ZN7rocprim17ROCPRIM_400000_NS6detail17trampoline_kernelINS0_14default_configENS1_35radix_sort_onesweep_config_selectorIbiEEZNS1_34radix_sort_onesweep_global_offsetsIS3_Lb0EN6thrust23THRUST_200600_302600_NS6detail15normal_iteratorINS8_10device_ptrIbEEEENSA_INSB_IiEEEEjNS0_19identity_decomposerEEE10hipError_tT1_T2_PT3_SK_jT4_jjP12ihipStream_tbEUlT_E0_NS1_11comp_targetILNS1_3genE10ELNS1_11target_archE1201ELNS1_3gpuE5ELNS1_3repE0EEENS1_52radix_sort_onesweep_histogram_config_static_selectorELNS0_4arch9wavefront6targetE1EEEvSI_.num_named_barrier, 0
	.set _ZN7rocprim17ROCPRIM_400000_NS6detail17trampoline_kernelINS0_14default_configENS1_35radix_sort_onesweep_config_selectorIbiEEZNS1_34radix_sort_onesweep_global_offsetsIS3_Lb0EN6thrust23THRUST_200600_302600_NS6detail15normal_iteratorINS8_10device_ptrIbEEEENSA_INSB_IiEEEEjNS0_19identity_decomposerEEE10hipError_tT1_T2_PT3_SK_jT4_jjP12ihipStream_tbEUlT_E0_NS1_11comp_targetILNS1_3genE10ELNS1_11target_archE1201ELNS1_3gpuE5ELNS1_3repE0EEENS1_52radix_sort_onesweep_histogram_config_static_selectorELNS0_4arch9wavefront6targetE1EEEvSI_.private_seg_size, 0
	.set _ZN7rocprim17ROCPRIM_400000_NS6detail17trampoline_kernelINS0_14default_configENS1_35radix_sort_onesweep_config_selectorIbiEEZNS1_34radix_sort_onesweep_global_offsetsIS3_Lb0EN6thrust23THRUST_200600_302600_NS6detail15normal_iteratorINS8_10device_ptrIbEEEENSA_INSB_IiEEEEjNS0_19identity_decomposerEEE10hipError_tT1_T2_PT3_SK_jT4_jjP12ihipStream_tbEUlT_E0_NS1_11comp_targetILNS1_3genE10ELNS1_11target_archE1201ELNS1_3gpuE5ELNS1_3repE0EEENS1_52radix_sort_onesweep_histogram_config_static_selectorELNS0_4arch9wavefront6targetE1EEEvSI_.uses_vcc, 0
	.set _ZN7rocprim17ROCPRIM_400000_NS6detail17trampoline_kernelINS0_14default_configENS1_35radix_sort_onesweep_config_selectorIbiEEZNS1_34radix_sort_onesweep_global_offsetsIS3_Lb0EN6thrust23THRUST_200600_302600_NS6detail15normal_iteratorINS8_10device_ptrIbEEEENSA_INSB_IiEEEEjNS0_19identity_decomposerEEE10hipError_tT1_T2_PT3_SK_jT4_jjP12ihipStream_tbEUlT_E0_NS1_11comp_targetILNS1_3genE10ELNS1_11target_archE1201ELNS1_3gpuE5ELNS1_3repE0EEENS1_52radix_sort_onesweep_histogram_config_static_selectorELNS0_4arch9wavefront6targetE1EEEvSI_.uses_flat_scratch, 0
	.set _ZN7rocprim17ROCPRIM_400000_NS6detail17trampoline_kernelINS0_14default_configENS1_35radix_sort_onesweep_config_selectorIbiEEZNS1_34radix_sort_onesweep_global_offsetsIS3_Lb0EN6thrust23THRUST_200600_302600_NS6detail15normal_iteratorINS8_10device_ptrIbEEEENSA_INSB_IiEEEEjNS0_19identity_decomposerEEE10hipError_tT1_T2_PT3_SK_jT4_jjP12ihipStream_tbEUlT_E0_NS1_11comp_targetILNS1_3genE10ELNS1_11target_archE1201ELNS1_3gpuE5ELNS1_3repE0EEENS1_52radix_sort_onesweep_histogram_config_static_selectorELNS0_4arch9wavefront6targetE1EEEvSI_.has_dyn_sized_stack, 0
	.set _ZN7rocprim17ROCPRIM_400000_NS6detail17trampoline_kernelINS0_14default_configENS1_35radix_sort_onesweep_config_selectorIbiEEZNS1_34radix_sort_onesweep_global_offsetsIS3_Lb0EN6thrust23THRUST_200600_302600_NS6detail15normal_iteratorINS8_10device_ptrIbEEEENSA_INSB_IiEEEEjNS0_19identity_decomposerEEE10hipError_tT1_T2_PT3_SK_jT4_jjP12ihipStream_tbEUlT_E0_NS1_11comp_targetILNS1_3genE10ELNS1_11target_archE1201ELNS1_3gpuE5ELNS1_3repE0EEENS1_52radix_sort_onesweep_histogram_config_static_selectorELNS0_4arch9wavefront6targetE1EEEvSI_.has_recursion, 0
	.set _ZN7rocprim17ROCPRIM_400000_NS6detail17trampoline_kernelINS0_14default_configENS1_35radix_sort_onesweep_config_selectorIbiEEZNS1_34radix_sort_onesweep_global_offsetsIS3_Lb0EN6thrust23THRUST_200600_302600_NS6detail15normal_iteratorINS8_10device_ptrIbEEEENSA_INSB_IiEEEEjNS0_19identity_decomposerEEE10hipError_tT1_T2_PT3_SK_jT4_jjP12ihipStream_tbEUlT_E0_NS1_11comp_targetILNS1_3genE10ELNS1_11target_archE1201ELNS1_3gpuE5ELNS1_3repE0EEENS1_52radix_sort_onesweep_histogram_config_static_selectorELNS0_4arch9wavefront6targetE1EEEvSI_.has_indirect_call, 0
	.section	.AMDGPU.csdata,"",@progbits
; Kernel info:
; codeLenInByte = 0
; TotalNumSgprs: 6
; NumVgprs: 0
; NumAgprs: 0
; TotalNumVgprs: 0
; ScratchSize: 0
; MemoryBound: 0
; FloatMode: 240
; IeeeMode: 1
; LDSByteSize: 0 bytes/workgroup (compile time only)
; SGPRBlocks: 0
; VGPRBlocks: 0
; NumSGPRsForWavesPerEU: 6
; NumVGPRsForWavesPerEU: 1
; AccumOffset: 4
; Occupancy: 8
; WaveLimiterHint : 0
; COMPUTE_PGM_RSRC2:SCRATCH_EN: 0
; COMPUTE_PGM_RSRC2:USER_SGPR: 2
; COMPUTE_PGM_RSRC2:TRAP_HANDLER: 0
; COMPUTE_PGM_RSRC2:TGID_X_EN: 1
; COMPUTE_PGM_RSRC2:TGID_Y_EN: 0
; COMPUTE_PGM_RSRC2:TGID_Z_EN: 0
; COMPUTE_PGM_RSRC2:TIDIG_COMP_CNT: 0
; COMPUTE_PGM_RSRC3_GFX90A:ACCUM_OFFSET: 0
; COMPUTE_PGM_RSRC3_GFX90A:TG_SPLIT: 0
	.section	.text._ZN7rocprim17ROCPRIM_400000_NS6detail17trampoline_kernelINS0_14default_configENS1_35radix_sort_onesweep_config_selectorIbiEEZNS1_34radix_sort_onesweep_global_offsetsIS3_Lb0EN6thrust23THRUST_200600_302600_NS6detail15normal_iteratorINS8_10device_ptrIbEEEENSA_INSB_IiEEEEjNS0_19identity_decomposerEEE10hipError_tT1_T2_PT3_SK_jT4_jjP12ihipStream_tbEUlT_E0_NS1_11comp_targetILNS1_3genE9ELNS1_11target_archE1100ELNS1_3gpuE3ELNS1_3repE0EEENS1_52radix_sort_onesweep_histogram_config_static_selectorELNS0_4arch9wavefront6targetE1EEEvSI_,"axG",@progbits,_ZN7rocprim17ROCPRIM_400000_NS6detail17trampoline_kernelINS0_14default_configENS1_35radix_sort_onesweep_config_selectorIbiEEZNS1_34radix_sort_onesweep_global_offsetsIS3_Lb0EN6thrust23THRUST_200600_302600_NS6detail15normal_iteratorINS8_10device_ptrIbEEEENSA_INSB_IiEEEEjNS0_19identity_decomposerEEE10hipError_tT1_T2_PT3_SK_jT4_jjP12ihipStream_tbEUlT_E0_NS1_11comp_targetILNS1_3genE9ELNS1_11target_archE1100ELNS1_3gpuE3ELNS1_3repE0EEENS1_52radix_sort_onesweep_histogram_config_static_selectorELNS0_4arch9wavefront6targetE1EEEvSI_,comdat
	.protected	_ZN7rocprim17ROCPRIM_400000_NS6detail17trampoline_kernelINS0_14default_configENS1_35radix_sort_onesweep_config_selectorIbiEEZNS1_34radix_sort_onesweep_global_offsetsIS3_Lb0EN6thrust23THRUST_200600_302600_NS6detail15normal_iteratorINS8_10device_ptrIbEEEENSA_INSB_IiEEEEjNS0_19identity_decomposerEEE10hipError_tT1_T2_PT3_SK_jT4_jjP12ihipStream_tbEUlT_E0_NS1_11comp_targetILNS1_3genE9ELNS1_11target_archE1100ELNS1_3gpuE3ELNS1_3repE0EEENS1_52radix_sort_onesweep_histogram_config_static_selectorELNS0_4arch9wavefront6targetE1EEEvSI_ ; -- Begin function _ZN7rocprim17ROCPRIM_400000_NS6detail17trampoline_kernelINS0_14default_configENS1_35radix_sort_onesweep_config_selectorIbiEEZNS1_34radix_sort_onesweep_global_offsetsIS3_Lb0EN6thrust23THRUST_200600_302600_NS6detail15normal_iteratorINS8_10device_ptrIbEEEENSA_INSB_IiEEEEjNS0_19identity_decomposerEEE10hipError_tT1_T2_PT3_SK_jT4_jjP12ihipStream_tbEUlT_E0_NS1_11comp_targetILNS1_3genE9ELNS1_11target_archE1100ELNS1_3gpuE3ELNS1_3repE0EEENS1_52radix_sort_onesweep_histogram_config_static_selectorELNS0_4arch9wavefront6targetE1EEEvSI_
	.globl	_ZN7rocprim17ROCPRIM_400000_NS6detail17trampoline_kernelINS0_14default_configENS1_35radix_sort_onesweep_config_selectorIbiEEZNS1_34radix_sort_onesweep_global_offsetsIS3_Lb0EN6thrust23THRUST_200600_302600_NS6detail15normal_iteratorINS8_10device_ptrIbEEEENSA_INSB_IiEEEEjNS0_19identity_decomposerEEE10hipError_tT1_T2_PT3_SK_jT4_jjP12ihipStream_tbEUlT_E0_NS1_11comp_targetILNS1_3genE9ELNS1_11target_archE1100ELNS1_3gpuE3ELNS1_3repE0EEENS1_52radix_sort_onesweep_histogram_config_static_selectorELNS0_4arch9wavefront6targetE1EEEvSI_
	.p2align	8
	.type	_ZN7rocprim17ROCPRIM_400000_NS6detail17trampoline_kernelINS0_14default_configENS1_35radix_sort_onesweep_config_selectorIbiEEZNS1_34radix_sort_onesweep_global_offsetsIS3_Lb0EN6thrust23THRUST_200600_302600_NS6detail15normal_iteratorINS8_10device_ptrIbEEEENSA_INSB_IiEEEEjNS0_19identity_decomposerEEE10hipError_tT1_T2_PT3_SK_jT4_jjP12ihipStream_tbEUlT_E0_NS1_11comp_targetILNS1_3genE9ELNS1_11target_archE1100ELNS1_3gpuE3ELNS1_3repE0EEENS1_52radix_sort_onesweep_histogram_config_static_selectorELNS0_4arch9wavefront6targetE1EEEvSI_,@function
_ZN7rocprim17ROCPRIM_400000_NS6detail17trampoline_kernelINS0_14default_configENS1_35radix_sort_onesweep_config_selectorIbiEEZNS1_34radix_sort_onesweep_global_offsetsIS3_Lb0EN6thrust23THRUST_200600_302600_NS6detail15normal_iteratorINS8_10device_ptrIbEEEENSA_INSB_IiEEEEjNS0_19identity_decomposerEEE10hipError_tT1_T2_PT3_SK_jT4_jjP12ihipStream_tbEUlT_E0_NS1_11comp_targetILNS1_3genE9ELNS1_11target_archE1100ELNS1_3gpuE3ELNS1_3repE0EEENS1_52radix_sort_onesweep_histogram_config_static_selectorELNS0_4arch9wavefront6targetE1EEEvSI_: ; @_ZN7rocprim17ROCPRIM_400000_NS6detail17trampoline_kernelINS0_14default_configENS1_35radix_sort_onesweep_config_selectorIbiEEZNS1_34radix_sort_onesweep_global_offsetsIS3_Lb0EN6thrust23THRUST_200600_302600_NS6detail15normal_iteratorINS8_10device_ptrIbEEEENSA_INSB_IiEEEEjNS0_19identity_decomposerEEE10hipError_tT1_T2_PT3_SK_jT4_jjP12ihipStream_tbEUlT_E0_NS1_11comp_targetILNS1_3genE9ELNS1_11target_archE1100ELNS1_3gpuE3ELNS1_3repE0EEENS1_52radix_sort_onesweep_histogram_config_static_selectorELNS0_4arch9wavefront6targetE1EEEvSI_
; %bb.0:
	.section	.rodata,"a",@progbits
	.p2align	6, 0x0
	.amdhsa_kernel _ZN7rocprim17ROCPRIM_400000_NS6detail17trampoline_kernelINS0_14default_configENS1_35radix_sort_onesweep_config_selectorIbiEEZNS1_34radix_sort_onesweep_global_offsetsIS3_Lb0EN6thrust23THRUST_200600_302600_NS6detail15normal_iteratorINS8_10device_ptrIbEEEENSA_INSB_IiEEEEjNS0_19identity_decomposerEEE10hipError_tT1_T2_PT3_SK_jT4_jjP12ihipStream_tbEUlT_E0_NS1_11comp_targetILNS1_3genE9ELNS1_11target_archE1100ELNS1_3gpuE3ELNS1_3repE0EEENS1_52radix_sort_onesweep_histogram_config_static_selectorELNS0_4arch9wavefront6targetE1EEEvSI_
		.amdhsa_group_segment_fixed_size 0
		.amdhsa_private_segment_fixed_size 0
		.amdhsa_kernarg_size 8
		.amdhsa_user_sgpr_count 2
		.amdhsa_user_sgpr_dispatch_ptr 0
		.amdhsa_user_sgpr_queue_ptr 0
		.amdhsa_user_sgpr_kernarg_segment_ptr 1
		.amdhsa_user_sgpr_dispatch_id 0
		.amdhsa_user_sgpr_kernarg_preload_length 0
		.amdhsa_user_sgpr_kernarg_preload_offset 0
		.amdhsa_user_sgpr_private_segment_size 0
		.amdhsa_uses_dynamic_stack 0
		.amdhsa_enable_private_segment 0
		.amdhsa_system_sgpr_workgroup_id_x 1
		.amdhsa_system_sgpr_workgroup_id_y 0
		.amdhsa_system_sgpr_workgroup_id_z 0
		.amdhsa_system_sgpr_workgroup_info 0
		.amdhsa_system_vgpr_workitem_id 0
		.amdhsa_next_free_vgpr 1
		.amdhsa_next_free_sgpr 0
		.amdhsa_accum_offset 4
		.amdhsa_reserve_vcc 0
		.amdhsa_float_round_mode_32 0
		.amdhsa_float_round_mode_16_64 0
		.amdhsa_float_denorm_mode_32 3
		.amdhsa_float_denorm_mode_16_64 3
		.amdhsa_dx10_clamp 1
		.amdhsa_ieee_mode 1
		.amdhsa_fp16_overflow 0
		.amdhsa_tg_split 0
		.amdhsa_exception_fp_ieee_invalid_op 0
		.amdhsa_exception_fp_denorm_src 0
		.amdhsa_exception_fp_ieee_div_zero 0
		.amdhsa_exception_fp_ieee_overflow 0
		.amdhsa_exception_fp_ieee_underflow 0
		.amdhsa_exception_fp_ieee_inexact 0
		.amdhsa_exception_int_div_zero 0
	.end_amdhsa_kernel
	.section	.text._ZN7rocprim17ROCPRIM_400000_NS6detail17trampoline_kernelINS0_14default_configENS1_35radix_sort_onesweep_config_selectorIbiEEZNS1_34radix_sort_onesweep_global_offsetsIS3_Lb0EN6thrust23THRUST_200600_302600_NS6detail15normal_iteratorINS8_10device_ptrIbEEEENSA_INSB_IiEEEEjNS0_19identity_decomposerEEE10hipError_tT1_T2_PT3_SK_jT4_jjP12ihipStream_tbEUlT_E0_NS1_11comp_targetILNS1_3genE9ELNS1_11target_archE1100ELNS1_3gpuE3ELNS1_3repE0EEENS1_52radix_sort_onesweep_histogram_config_static_selectorELNS0_4arch9wavefront6targetE1EEEvSI_,"axG",@progbits,_ZN7rocprim17ROCPRIM_400000_NS6detail17trampoline_kernelINS0_14default_configENS1_35radix_sort_onesweep_config_selectorIbiEEZNS1_34radix_sort_onesweep_global_offsetsIS3_Lb0EN6thrust23THRUST_200600_302600_NS6detail15normal_iteratorINS8_10device_ptrIbEEEENSA_INSB_IiEEEEjNS0_19identity_decomposerEEE10hipError_tT1_T2_PT3_SK_jT4_jjP12ihipStream_tbEUlT_E0_NS1_11comp_targetILNS1_3genE9ELNS1_11target_archE1100ELNS1_3gpuE3ELNS1_3repE0EEENS1_52radix_sort_onesweep_histogram_config_static_selectorELNS0_4arch9wavefront6targetE1EEEvSI_,comdat
.Lfunc_end2030:
	.size	_ZN7rocprim17ROCPRIM_400000_NS6detail17trampoline_kernelINS0_14default_configENS1_35radix_sort_onesweep_config_selectorIbiEEZNS1_34radix_sort_onesweep_global_offsetsIS3_Lb0EN6thrust23THRUST_200600_302600_NS6detail15normal_iteratorINS8_10device_ptrIbEEEENSA_INSB_IiEEEEjNS0_19identity_decomposerEEE10hipError_tT1_T2_PT3_SK_jT4_jjP12ihipStream_tbEUlT_E0_NS1_11comp_targetILNS1_3genE9ELNS1_11target_archE1100ELNS1_3gpuE3ELNS1_3repE0EEENS1_52radix_sort_onesweep_histogram_config_static_selectorELNS0_4arch9wavefront6targetE1EEEvSI_, .Lfunc_end2030-_ZN7rocprim17ROCPRIM_400000_NS6detail17trampoline_kernelINS0_14default_configENS1_35radix_sort_onesweep_config_selectorIbiEEZNS1_34radix_sort_onesweep_global_offsetsIS3_Lb0EN6thrust23THRUST_200600_302600_NS6detail15normal_iteratorINS8_10device_ptrIbEEEENSA_INSB_IiEEEEjNS0_19identity_decomposerEEE10hipError_tT1_T2_PT3_SK_jT4_jjP12ihipStream_tbEUlT_E0_NS1_11comp_targetILNS1_3genE9ELNS1_11target_archE1100ELNS1_3gpuE3ELNS1_3repE0EEENS1_52radix_sort_onesweep_histogram_config_static_selectorELNS0_4arch9wavefront6targetE1EEEvSI_
                                        ; -- End function
	.set _ZN7rocprim17ROCPRIM_400000_NS6detail17trampoline_kernelINS0_14default_configENS1_35radix_sort_onesweep_config_selectorIbiEEZNS1_34radix_sort_onesweep_global_offsetsIS3_Lb0EN6thrust23THRUST_200600_302600_NS6detail15normal_iteratorINS8_10device_ptrIbEEEENSA_INSB_IiEEEEjNS0_19identity_decomposerEEE10hipError_tT1_T2_PT3_SK_jT4_jjP12ihipStream_tbEUlT_E0_NS1_11comp_targetILNS1_3genE9ELNS1_11target_archE1100ELNS1_3gpuE3ELNS1_3repE0EEENS1_52radix_sort_onesweep_histogram_config_static_selectorELNS0_4arch9wavefront6targetE1EEEvSI_.num_vgpr, 0
	.set _ZN7rocprim17ROCPRIM_400000_NS6detail17trampoline_kernelINS0_14default_configENS1_35radix_sort_onesweep_config_selectorIbiEEZNS1_34radix_sort_onesweep_global_offsetsIS3_Lb0EN6thrust23THRUST_200600_302600_NS6detail15normal_iteratorINS8_10device_ptrIbEEEENSA_INSB_IiEEEEjNS0_19identity_decomposerEEE10hipError_tT1_T2_PT3_SK_jT4_jjP12ihipStream_tbEUlT_E0_NS1_11comp_targetILNS1_3genE9ELNS1_11target_archE1100ELNS1_3gpuE3ELNS1_3repE0EEENS1_52radix_sort_onesweep_histogram_config_static_selectorELNS0_4arch9wavefront6targetE1EEEvSI_.num_agpr, 0
	.set _ZN7rocprim17ROCPRIM_400000_NS6detail17trampoline_kernelINS0_14default_configENS1_35radix_sort_onesweep_config_selectorIbiEEZNS1_34radix_sort_onesweep_global_offsetsIS3_Lb0EN6thrust23THRUST_200600_302600_NS6detail15normal_iteratorINS8_10device_ptrIbEEEENSA_INSB_IiEEEEjNS0_19identity_decomposerEEE10hipError_tT1_T2_PT3_SK_jT4_jjP12ihipStream_tbEUlT_E0_NS1_11comp_targetILNS1_3genE9ELNS1_11target_archE1100ELNS1_3gpuE3ELNS1_3repE0EEENS1_52radix_sort_onesweep_histogram_config_static_selectorELNS0_4arch9wavefront6targetE1EEEvSI_.numbered_sgpr, 0
	.set _ZN7rocprim17ROCPRIM_400000_NS6detail17trampoline_kernelINS0_14default_configENS1_35radix_sort_onesweep_config_selectorIbiEEZNS1_34radix_sort_onesweep_global_offsetsIS3_Lb0EN6thrust23THRUST_200600_302600_NS6detail15normal_iteratorINS8_10device_ptrIbEEEENSA_INSB_IiEEEEjNS0_19identity_decomposerEEE10hipError_tT1_T2_PT3_SK_jT4_jjP12ihipStream_tbEUlT_E0_NS1_11comp_targetILNS1_3genE9ELNS1_11target_archE1100ELNS1_3gpuE3ELNS1_3repE0EEENS1_52radix_sort_onesweep_histogram_config_static_selectorELNS0_4arch9wavefront6targetE1EEEvSI_.num_named_barrier, 0
	.set _ZN7rocprim17ROCPRIM_400000_NS6detail17trampoline_kernelINS0_14default_configENS1_35radix_sort_onesweep_config_selectorIbiEEZNS1_34radix_sort_onesweep_global_offsetsIS3_Lb0EN6thrust23THRUST_200600_302600_NS6detail15normal_iteratorINS8_10device_ptrIbEEEENSA_INSB_IiEEEEjNS0_19identity_decomposerEEE10hipError_tT1_T2_PT3_SK_jT4_jjP12ihipStream_tbEUlT_E0_NS1_11comp_targetILNS1_3genE9ELNS1_11target_archE1100ELNS1_3gpuE3ELNS1_3repE0EEENS1_52radix_sort_onesweep_histogram_config_static_selectorELNS0_4arch9wavefront6targetE1EEEvSI_.private_seg_size, 0
	.set _ZN7rocprim17ROCPRIM_400000_NS6detail17trampoline_kernelINS0_14default_configENS1_35radix_sort_onesweep_config_selectorIbiEEZNS1_34radix_sort_onesweep_global_offsetsIS3_Lb0EN6thrust23THRUST_200600_302600_NS6detail15normal_iteratorINS8_10device_ptrIbEEEENSA_INSB_IiEEEEjNS0_19identity_decomposerEEE10hipError_tT1_T2_PT3_SK_jT4_jjP12ihipStream_tbEUlT_E0_NS1_11comp_targetILNS1_3genE9ELNS1_11target_archE1100ELNS1_3gpuE3ELNS1_3repE0EEENS1_52radix_sort_onesweep_histogram_config_static_selectorELNS0_4arch9wavefront6targetE1EEEvSI_.uses_vcc, 0
	.set _ZN7rocprim17ROCPRIM_400000_NS6detail17trampoline_kernelINS0_14default_configENS1_35radix_sort_onesweep_config_selectorIbiEEZNS1_34radix_sort_onesweep_global_offsetsIS3_Lb0EN6thrust23THRUST_200600_302600_NS6detail15normal_iteratorINS8_10device_ptrIbEEEENSA_INSB_IiEEEEjNS0_19identity_decomposerEEE10hipError_tT1_T2_PT3_SK_jT4_jjP12ihipStream_tbEUlT_E0_NS1_11comp_targetILNS1_3genE9ELNS1_11target_archE1100ELNS1_3gpuE3ELNS1_3repE0EEENS1_52radix_sort_onesweep_histogram_config_static_selectorELNS0_4arch9wavefront6targetE1EEEvSI_.uses_flat_scratch, 0
	.set _ZN7rocprim17ROCPRIM_400000_NS6detail17trampoline_kernelINS0_14default_configENS1_35radix_sort_onesweep_config_selectorIbiEEZNS1_34radix_sort_onesweep_global_offsetsIS3_Lb0EN6thrust23THRUST_200600_302600_NS6detail15normal_iteratorINS8_10device_ptrIbEEEENSA_INSB_IiEEEEjNS0_19identity_decomposerEEE10hipError_tT1_T2_PT3_SK_jT4_jjP12ihipStream_tbEUlT_E0_NS1_11comp_targetILNS1_3genE9ELNS1_11target_archE1100ELNS1_3gpuE3ELNS1_3repE0EEENS1_52radix_sort_onesweep_histogram_config_static_selectorELNS0_4arch9wavefront6targetE1EEEvSI_.has_dyn_sized_stack, 0
	.set _ZN7rocprim17ROCPRIM_400000_NS6detail17trampoline_kernelINS0_14default_configENS1_35radix_sort_onesweep_config_selectorIbiEEZNS1_34radix_sort_onesweep_global_offsetsIS3_Lb0EN6thrust23THRUST_200600_302600_NS6detail15normal_iteratorINS8_10device_ptrIbEEEENSA_INSB_IiEEEEjNS0_19identity_decomposerEEE10hipError_tT1_T2_PT3_SK_jT4_jjP12ihipStream_tbEUlT_E0_NS1_11comp_targetILNS1_3genE9ELNS1_11target_archE1100ELNS1_3gpuE3ELNS1_3repE0EEENS1_52radix_sort_onesweep_histogram_config_static_selectorELNS0_4arch9wavefront6targetE1EEEvSI_.has_recursion, 0
	.set _ZN7rocprim17ROCPRIM_400000_NS6detail17trampoline_kernelINS0_14default_configENS1_35radix_sort_onesweep_config_selectorIbiEEZNS1_34radix_sort_onesweep_global_offsetsIS3_Lb0EN6thrust23THRUST_200600_302600_NS6detail15normal_iteratorINS8_10device_ptrIbEEEENSA_INSB_IiEEEEjNS0_19identity_decomposerEEE10hipError_tT1_T2_PT3_SK_jT4_jjP12ihipStream_tbEUlT_E0_NS1_11comp_targetILNS1_3genE9ELNS1_11target_archE1100ELNS1_3gpuE3ELNS1_3repE0EEENS1_52radix_sort_onesweep_histogram_config_static_selectorELNS0_4arch9wavefront6targetE1EEEvSI_.has_indirect_call, 0
	.section	.AMDGPU.csdata,"",@progbits
; Kernel info:
; codeLenInByte = 0
; TotalNumSgprs: 6
; NumVgprs: 0
; NumAgprs: 0
; TotalNumVgprs: 0
; ScratchSize: 0
; MemoryBound: 0
; FloatMode: 240
; IeeeMode: 1
; LDSByteSize: 0 bytes/workgroup (compile time only)
; SGPRBlocks: 0
; VGPRBlocks: 0
; NumSGPRsForWavesPerEU: 6
; NumVGPRsForWavesPerEU: 1
; AccumOffset: 4
; Occupancy: 8
; WaveLimiterHint : 0
; COMPUTE_PGM_RSRC2:SCRATCH_EN: 0
; COMPUTE_PGM_RSRC2:USER_SGPR: 2
; COMPUTE_PGM_RSRC2:TRAP_HANDLER: 0
; COMPUTE_PGM_RSRC2:TGID_X_EN: 1
; COMPUTE_PGM_RSRC2:TGID_Y_EN: 0
; COMPUTE_PGM_RSRC2:TGID_Z_EN: 0
; COMPUTE_PGM_RSRC2:TIDIG_COMP_CNT: 0
; COMPUTE_PGM_RSRC3_GFX90A:ACCUM_OFFSET: 0
; COMPUTE_PGM_RSRC3_GFX90A:TG_SPLIT: 0
	.section	.text._ZN7rocprim17ROCPRIM_400000_NS6detail17trampoline_kernelINS0_14default_configENS1_35radix_sort_onesweep_config_selectorIbiEEZNS1_34radix_sort_onesweep_global_offsetsIS3_Lb0EN6thrust23THRUST_200600_302600_NS6detail15normal_iteratorINS8_10device_ptrIbEEEENSA_INSB_IiEEEEjNS0_19identity_decomposerEEE10hipError_tT1_T2_PT3_SK_jT4_jjP12ihipStream_tbEUlT_E0_NS1_11comp_targetILNS1_3genE8ELNS1_11target_archE1030ELNS1_3gpuE2ELNS1_3repE0EEENS1_52radix_sort_onesweep_histogram_config_static_selectorELNS0_4arch9wavefront6targetE1EEEvSI_,"axG",@progbits,_ZN7rocprim17ROCPRIM_400000_NS6detail17trampoline_kernelINS0_14default_configENS1_35radix_sort_onesweep_config_selectorIbiEEZNS1_34radix_sort_onesweep_global_offsetsIS3_Lb0EN6thrust23THRUST_200600_302600_NS6detail15normal_iteratorINS8_10device_ptrIbEEEENSA_INSB_IiEEEEjNS0_19identity_decomposerEEE10hipError_tT1_T2_PT3_SK_jT4_jjP12ihipStream_tbEUlT_E0_NS1_11comp_targetILNS1_3genE8ELNS1_11target_archE1030ELNS1_3gpuE2ELNS1_3repE0EEENS1_52radix_sort_onesweep_histogram_config_static_selectorELNS0_4arch9wavefront6targetE1EEEvSI_,comdat
	.protected	_ZN7rocprim17ROCPRIM_400000_NS6detail17trampoline_kernelINS0_14default_configENS1_35radix_sort_onesweep_config_selectorIbiEEZNS1_34radix_sort_onesweep_global_offsetsIS3_Lb0EN6thrust23THRUST_200600_302600_NS6detail15normal_iteratorINS8_10device_ptrIbEEEENSA_INSB_IiEEEEjNS0_19identity_decomposerEEE10hipError_tT1_T2_PT3_SK_jT4_jjP12ihipStream_tbEUlT_E0_NS1_11comp_targetILNS1_3genE8ELNS1_11target_archE1030ELNS1_3gpuE2ELNS1_3repE0EEENS1_52radix_sort_onesweep_histogram_config_static_selectorELNS0_4arch9wavefront6targetE1EEEvSI_ ; -- Begin function _ZN7rocprim17ROCPRIM_400000_NS6detail17trampoline_kernelINS0_14default_configENS1_35radix_sort_onesweep_config_selectorIbiEEZNS1_34radix_sort_onesweep_global_offsetsIS3_Lb0EN6thrust23THRUST_200600_302600_NS6detail15normal_iteratorINS8_10device_ptrIbEEEENSA_INSB_IiEEEEjNS0_19identity_decomposerEEE10hipError_tT1_T2_PT3_SK_jT4_jjP12ihipStream_tbEUlT_E0_NS1_11comp_targetILNS1_3genE8ELNS1_11target_archE1030ELNS1_3gpuE2ELNS1_3repE0EEENS1_52radix_sort_onesweep_histogram_config_static_selectorELNS0_4arch9wavefront6targetE1EEEvSI_
	.globl	_ZN7rocprim17ROCPRIM_400000_NS6detail17trampoline_kernelINS0_14default_configENS1_35radix_sort_onesweep_config_selectorIbiEEZNS1_34radix_sort_onesweep_global_offsetsIS3_Lb0EN6thrust23THRUST_200600_302600_NS6detail15normal_iteratorINS8_10device_ptrIbEEEENSA_INSB_IiEEEEjNS0_19identity_decomposerEEE10hipError_tT1_T2_PT3_SK_jT4_jjP12ihipStream_tbEUlT_E0_NS1_11comp_targetILNS1_3genE8ELNS1_11target_archE1030ELNS1_3gpuE2ELNS1_3repE0EEENS1_52radix_sort_onesweep_histogram_config_static_selectorELNS0_4arch9wavefront6targetE1EEEvSI_
	.p2align	8
	.type	_ZN7rocprim17ROCPRIM_400000_NS6detail17trampoline_kernelINS0_14default_configENS1_35radix_sort_onesweep_config_selectorIbiEEZNS1_34radix_sort_onesweep_global_offsetsIS3_Lb0EN6thrust23THRUST_200600_302600_NS6detail15normal_iteratorINS8_10device_ptrIbEEEENSA_INSB_IiEEEEjNS0_19identity_decomposerEEE10hipError_tT1_T2_PT3_SK_jT4_jjP12ihipStream_tbEUlT_E0_NS1_11comp_targetILNS1_3genE8ELNS1_11target_archE1030ELNS1_3gpuE2ELNS1_3repE0EEENS1_52radix_sort_onesweep_histogram_config_static_selectorELNS0_4arch9wavefront6targetE1EEEvSI_,@function
_ZN7rocprim17ROCPRIM_400000_NS6detail17trampoline_kernelINS0_14default_configENS1_35radix_sort_onesweep_config_selectorIbiEEZNS1_34radix_sort_onesweep_global_offsetsIS3_Lb0EN6thrust23THRUST_200600_302600_NS6detail15normal_iteratorINS8_10device_ptrIbEEEENSA_INSB_IiEEEEjNS0_19identity_decomposerEEE10hipError_tT1_T2_PT3_SK_jT4_jjP12ihipStream_tbEUlT_E0_NS1_11comp_targetILNS1_3genE8ELNS1_11target_archE1030ELNS1_3gpuE2ELNS1_3repE0EEENS1_52radix_sort_onesweep_histogram_config_static_selectorELNS0_4arch9wavefront6targetE1EEEvSI_: ; @_ZN7rocprim17ROCPRIM_400000_NS6detail17trampoline_kernelINS0_14default_configENS1_35radix_sort_onesweep_config_selectorIbiEEZNS1_34radix_sort_onesweep_global_offsetsIS3_Lb0EN6thrust23THRUST_200600_302600_NS6detail15normal_iteratorINS8_10device_ptrIbEEEENSA_INSB_IiEEEEjNS0_19identity_decomposerEEE10hipError_tT1_T2_PT3_SK_jT4_jjP12ihipStream_tbEUlT_E0_NS1_11comp_targetILNS1_3genE8ELNS1_11target_archE1030ELNS1_3gpuE2ELNS1_3repE0EEENS1_52radix_sort_onesweep_histogram_config_static_selectorELNS0_4arch9wavefront6targetE1EEEvSI_
; %bb.0:
	.section	.rodata,"a",@progbits
	.p2align	6, 0x0
	.amdhsa_kernel _ZN7rocprim17ROCPRIM_400000_NS6detail17trampoline_kernelINS0_14default_configENS1_35radix_sort_onesweep_config_selectorIbiEEZNS1_34radix_sort_onesweep_global_offsetsIS3_Lb0EN6thrust23THRUST_200600_302600_NS6detail15normal_iteratorINS8_10device_ptrIbEEEENSA_INSB_IiEEEEjNS0_19identity_decomposerEEE10hipError_tT1_T2_PT3_SK_jT4_jjP12ihipStream_tbEUlT_E0_NS1_11comp_targetILNS1_3genE8ELNS1_11target_archE1030ELNS1_3gpuE2ELNS1_3repE0EEENS1_52radix_sort_onesweep_histogram_config_static_selectorELNS0_4arch9wavefront6targetE1EEEvSI_
		.amdhsa_group_segment_fixed_size 0
		.amdhsa_private_segment_fixed_size 0
		.amdhsa_kernarg_size 8
		.amdhsa_user_sgpr_count 2
		.amdhsa_user_sgpr_dispatch_ptr 0
		.amdhsa_user_sgpr_queue_ptr 0
		.amdhsa_user_sgpr_kernarg_segment_ptr 1
		.amdhsa_user_sgpr_dispatch_id 0
		.amdhsa_user_sgpr_kernarg_preload_length 0
		.amdhsa_user_sgpr_kernarg_preload_offset 0
		.amdhsa_user_sgpr_private_segment_size 0
		.amdhsa_uses_dynamic_stack 0
		.amdhsa_enable_private_segment 0
		.amdhsa_system_sgpr_workgroup_id_x 1
		.amdhsa_system_sgpr_workgroup_id_y 0
		.amdhsa_system_sgpr_workgroup_id_z 0
		.amdhsa_system_sgpr_workgroup_info 0
		.amdhsa_system_vgpr_workitem_id 0
		.amdhsa_next_free_vgpr 1
		.amdhsa_next_free_sgpr 0
		.amdhsa_accum_offset 4
		.amdhsa_reserve_vcc 0
		.amdhsa_float_round_mode_32 0
		.amdhsa_float_round_mode_16_64 0
		.amdhsa_float_denorm_mode_32 3
		.amdhsa_float_denorm_mode_16_64 3
		.amdhsa_dx10_clamp 1
		.amdhsa_ieee_mode 1
		.amdhsa_fp16_overflow 0
		.amdhsa_tg_split 0
		.amdhsa_exception_fp_ieee_invalid_op 0
		.amdhsa_exception_fp_denorm_src 0
		.amdhsa_exception_fp_ieee_div_zero 0
		.amdhsa_exception_fp_ieee_overflow 0
		.amdhsa_exception_fp_ieee_underflow 0
		.amdhsa_exception_fp_ieee_inexact 0
		.amdhsa_exception_int_div_zero 0
	.end_amdhsa_kernel
	.section	.text._ZN7rocprim17ROCPRIM_400000_NS6detail17trampoline_kernelINS0_14default_configENS1_35radix_sort_onesweep_config_selectorIbiEEZNS1_34radix_sort_onesweep_global_offsetsIS3_Lb0EN6thrust23THRUST_200600_302600_NS6detail15normal_iteratorINS8_10device_ptrIbEEEENSA_INSB_IiEEEEjNS0_19identity_decomposerEEE10hipError_tT1_T2_PT3_SK_jT4_jjP12ihipStream_tbEUlT_E0_NS1_11comp_targetILNS1_3genE8ELNS1_11target_archE1030ELNS1_3gpuE2ELNS1_3repE0EEENS1_52radix_sort_onesweep_histogram_config_static_selectorELNS0_4arch9wavefront6targetE1EEEvSI_,"axG",@progbits,_ZN7rocprim17ROCPRIM_400000_NS6detail17trampoline_kernelINS0_14default_configENS1_35radix_sort_onesweep_config_selectorIbiEEZNS1_34radix_sort_onesweep_global_offsetsIS3_Lb0EN6thrust23THRUST_200600_302600_NS6detail15normal_iteratorINS8_10device_ptrIbEEEENSA_INSB_IiEEEEjNS0_19identity_decomposerEEE10hipError_tT1_T2_PT3_SK_jT4_jjP12ihipStream_tbEUlT_E0_NS1_11comp_targetILNS1_3genE8ELNS1_11target_archE1030ELNS1_3gpuE2ELNS1_3repE0EEENS1_52radix_sort_onesweep_histogram_config_static_selectorELNS0_4arch9wavefront6targetE1EEEvSI_,comdat
.Lfunc_end2031:
	.size	_ZN7rocprim17ROCPRIM_400000_NS6detail17trampoline_kernelINS0_14default_configENS1_35radix_sort_onesweep_config_selectorIbiEEZNS1_34radix_sort_onesweep_global_offsetsIS3_Lb0EN6thrust23THRUST_200600_302600_NS6detail15normal_iteratorINS8_10device_ptrIbEEEENSA_INSB_IiEEEEjNS0_19identity_decomposerEEE10hipError_tT1_T2_PT3_SK_jT4_jjP12ihipStream_tbEUlT_E0_NS1_11comp_targetILNS1_3genE8ELNS1_11target_archE1030ELNS1_3gpuE2ELNS1_3repE0EEENS1_52radix_sort_onesweep_histogram_config_static_selectorELNS0_4arch9wavefront6targetE1EEEvSI_, .Lfunc_end2031-_ZN7rocprim17ROCPRIM_400000_NS6detail17trampoline_kernelINS0_14default_configENS1_35radix_sort_onesweep_config_selectorIbiEEZNS1_34radix_sort_onesweep_global_offsetsIS3_Lb0EN6thrust23THRUST_200600_302600_NS6detail15normal_iteratorINS8_10device_ptrIbEEEENSA_INSB_IiEEEEjNS0_19identity_decomposerEEE10hipError_tT1_T2_PT3_SK_jT4_jjP12ihipStream_tbEUlT_E0_NS1_11comp_targetILNS1_3genE8ELNS1_11target_archE1030ELNS1_3gpuE2ELNS1_3repE0EEENS1_52radix_sort_onesweep_histogram_config_static_selectorELNS0_4arch9wavefront6targetE1EEEvSI_
                                        ; -- End function
	.set _ZN7rocprim17ROCPRIM_400000_NS6detail17trampoline_kernelINS0_14default_configENS1_35radix_sort_onesweep_config_selectorIbiEEZNS1_34radix_sort_onesweep_global_offsetsIS3_Lb0EN6thrust23THRUST_200600_302600_NS6detail15normal_iteratorINS8_10device_ptrIbEEEENSA_INSB_IiEEEEjNS0_19identity_decomposerEEE10hipError_tT1_T2_PT3_SK_jT4_jjP12ihipStream_tbEUlT_E0_NS1_11comp_targetILNS1_3genE8ELNS1_11target_archE1030ELNS1_3gpuE2ELNS1_3repE0EEENS1_52radix_sort_onesweep_histogram_config_static_selectorELNS0_4arch9wavefront6targetE1EEEvSI_.num_vgpr, 0
	.set _ZN7rocprim17ROCPRIM_400000_NS6detail17trampoline_kernelINS0_14default_configENS1_35radix_sort_onesweep_config_selectorIbiEEZNS1_34radix_sort_onesweep_global_offsetsIS3_Lb0EN6thrust23THRUST_200600_302600_NS6detail15normal_iteratorINS8_10device_ptrIbEEEENSA_INSB_IiEEEEjNS0_19identity_decomposerEEE10hipError_tT1_T2_PT3_SK_jT4_jjP12ihipStream_tbEUlT_E0_NS1_11comp_targetILNS1_3genE8ELNS1_11target_archE1030ELNS1_3gpuE2ELNS1_3repE0EEENS1_52radix_sort_onesweep_histogram_config_static_selectorELNS0_4arch9wavefront6targetE1EEEvSI_.num_agpr, 0
	.set _ZN7rocprim17ROCPRIM_400000_NS6detail17trampoline_kernelINS0_14default_configENS1_35radix_sort_onesweep_config_selectorIbiEEZNS1_34radix_sort_onesweep_global_offsetsIS3_Lb0EN6thrust23THRUST_200600_302600_NS6detail15normal_iteratorINS8_10device_ptrIbEEEENSA_INSB_IiEEEEjNS0_19identity_decomposerEEE10hipError_tT1_T2_PT3_SK_jT4_jjP12ihipStream_tbEUlT_E0_NS1_11comp_targetILNS1_3genE8ELNS1_11target_archE1030ELNS1_3gpuE2ELNS1_3repE0EEENS1_52radix_sort_onesweep_histogram_config_static_selectorELNS0_4arch9wavefront6targetE1EEEvSI_.numbered_sgpr, 0
	.set _ZN7rocprim17ROCPRIM_400000_NS6detail17trampoline_kernelINS0_14default_configENS1_35radix_sort_onesweep_config_selectorIbiEEZNS1_34radix_sort_onesweep_global_offsetsIS3_Lb0EN6thrust23THRUST_200600_302600_NS6detail15normal_iteratorINS8_10device_ptrIbEEEENSA_INSB_IiEEEEjNS0_19identity_decomposerEEE10hipError_tT1_T2_PT3_SK_jT4_jjP12ihipStream_tbEUlT_E0_NS1_11comp_targetILNS1_3genE8ELNS1_11target_archE1030ELNS1_3gpuE2ELNS1_3repE0EEENS1_52radix_sort_onesweep_histogram_config_static_selectorELNS0_4arch9wavefront6targetE1EEEvSI_.num_named_barrier, 0
	.set _ZN7rocprim17ROCPRIM_400000_NS6detail17trampoline_kernelINS0_14default_configENS1_35radix_sort_onesweep_config_selectorIbiEEZNS1_34radix_sort_onesweep_global_offsetsIS3_Lb0EN6thrust23THRUST_200600_302600_NS6detail15normal_iteratorINS8_10device_ptrIbEEEENSA_INSB_IiEEEEjNS0_19identity_decomposerEEE10hipError_tT1_T2_PT3_SK_jT4_jjP12ihipStream_tbEUlT_E0_NS1_11comp_targetILNS1_3genE8ELNS1_11target_archE1030ELNS1_3gpuE2ELNS1_3repE0EEENS1_52radix_sort_onesweep_histogram_config_static_selectorELNS0_4arch9wavefront6targetE1EEEvSI_.private_seg_size, 0
	.set _ZN7rocprim17ROCPRIM_400000_NS6detail17trampoline_kernelINS0_14default_configENS1_35radix_sort_onesweep_config_selectorIbiEEZNS1_34radix_sort_onesweep_global_offsetsIS3_Lb0EN6thrust23THRUST_200600_302600_NS6detail15normal_iteratorINS8_10device_ptrIbEEEENSA_INSB_IiEEEEjNS0_19identity_decomposerEEE10hipError_tT1_T2_PT3_SK_jT4_jjP12ihipStream_tbEUlT_E0_NS1_11comp_targetILNS1_3genE8ELNS1_11target_archE1030ELNS1_3gpuE2ELNS1_3repE0EEENS1_52radix_sort_onesweep_histogram_config_static_selectorELNS0_4arch9wavefront6targetE1EEEvSI_.uses_vcc, 0
	.set _ZN7rocprim17ROCPRIM_400000_NS6detail17trampoline_kernelINS0_14default_configENS1_35radix_sort_onesweep_config_selectorIbiEEZNS1_34radix_sort_onesweep_global_offsetsIS3_Lb0EN6thrust23THRUST_200600_302600_NS6detail15normal_iteratorINS8_10device_ptrIbEEEENSA_INSB_IiEEEEjNS0_19identity_decomposerEEE10hipError_tT1_T2_PT3_SK_jT4_jjP12ihipStream_tbEUlT_E0_NS1_11comp_targetILNS1_3genE8ELNS1_11target_archE1030ELNS1_3gpuE2ELNS1_3repE0EEENS1_52radix_sort_onesweep_histogram_config_static_selectorELNS0_4arch9wavefront6targetE1EEEvSI_.uses_flat_scratch, 0
	.set _ZN7rocprim17ROCPRIM_400000_NS6detail17trampoline_kernelINS0_14default_configENS1_35radix_sort_onesweep_config_selectorIbiEEZNS1_34radix_sort_onesweep_global_offsetsIS3_Lb0EN6thrust23THRUST_200600_302600_NS6detail15normal_iteratorINS8_10device_ptrIbEEEENSA_INSB_IiEEEEjNS0_19identity_decomposerEEE10hipError_tT1_T2_PT3_SK_jT4_jjP12ihipStream_tbEUlT_E0_NS1_11comp_targetILNS1_3genE8ELNS1_11target_archE1030ELNS1_3gpuE2ELNS1_3repE0EEENS1_52radix_sort_onesweep_histogram_config_static_selectorELNS0_4arch9wavefront6targetE1EEEvSI_.has_dyn_sized_stack, 0
	.set _ZN7rocprim17ROCPRIM_400000_NS6detail17trampoline_kernelINS0_14default_configENS1_35radix_sort_onesweep_config_selectorIbiEEZNS1_34radix_sort_onesweep_global_offsetsIS3_Lb0EN6thrust23THRUST_200600_302600_NS6detail15normal_iteratorINS8_10device_ptrIbEEEENSA_INSB_IiEEEEjNS0_19identity_decomposerEEE10hipError_tT1_T2_PT3_SK_jT4_jjP12ihipStream_tbEUlT_E0_NS1_11comp_targetILNS1_3genE8ELNS1_11target_archE1030ELNS1_3gpuE2ELNS1_3repE0EEENS1_52radix_sort_onesweep_histogram_config_static_selectorELNS0_4arch9wavefront6targetE1EEEvSI_.has_recursion, 0
	.set _ZN7rocprim17ROCPRIM_400000_NS6detail17trampoline_kernelINS0_14default_configENS1_35radix_sort_onesweep_config_selectorIbiEEZNS1_34radix_sort_onesweep_global_offsetsIS3_Lb0EN6thrust23THRUST_200600_302600_NS6detail15normal_iteratorINS8_10device_ptrIbEEEENSA_INSB_IiEEEEjNS0_19identity_decomposerEEE10hipError_tT1_T2_PT3_SK_jT4_jjP12ihipStream_tbEUlT_E0_NS1_11comp_targetILNS1_3genE8ELNS1_11target_archE1030ELNS1_3gpuE2ELNS1_3repE0EEENS1_52radix_sort_onesweep_histogram_config_static_selectorELNS0_4arch9wavefront6targetE1EEEvSI_.has_indirect_call, 0
	.section	.AMDGPU.csdata,"",@progbits
; Kernel info:
; codeLenInByte = 0
; TotalNumSgprs: 6
; NumVgprs: 0
; NumAgprs: 0
; TotalNumVgprs: 0
; ScratchSize: 0
; MemoryBound: 0
; FloatMode: 240
; IeeeMode: 1
; LDSByteSize: 0 bytes/workgroup (compile time only)
; SGPRBlocks: 0
; VGPRBlocks: 0
; NumSGPRsForWavesPerEU: 6
; NumVGPRsForWavesPerEU: 1
; AccumOffset: 4
; Occupancy: 8
; WaveLimiterHint : 0
; COMPUTE_PGM_RSRC2:SCRATCH_EN: 0
; COMPUTE_PGM_RSRC2:USER_SGPR: 2
; COMPUTE_PGM_RSRC2:TRAP_HANDLER: 0
; COMPUTE_PGM_RSRC2:TGID_X_EN: 1
; COMPUTE_PGM_RSRC2:TGID_Y_EN: 0
; COMPUTE_PGM_RSRC2:TGID_Z_EN: 0
; COMPUTE_PGM_RSRC2:TIDIG_COMP_CNT: 0
; COMPUTE_PGM_RSRC3_GFX90A:ACCUM_OFFSET: 0
; COMPUTE_PGM_RSRC3_GFX90A:TG_SPLIT: 0
	.section	.text._ZN7rocprim17ROCPRIM_400000_NS6detail17trampoline_kernelINS0_14default_configENS1_25transform_config_selectorIbLb0EEEZNS1_14transform_implILb0ES3_S5_N6thrust23THRUST_200600_302600_NS6detail15normal_iteratorINS8_10device_ptrIbEEEEPbNS0_8identityIbEEEE10hipError_tT2_T3_mT4_P12ihipStream_tbEUlT_E_NS1_11comp_targetILNS1_3genE0ELNS1_11target_archE4294967295ELNS1_3gpuE0ELNS1_3repE0EEENS1_30default_config_static_selectorELNS0_4arch9wavefront6targetE1EEEvT1_,"axG",@progbits,_ZN7rocprim17ROCPRIM_400000_NS6detail17trampoline_kernelINS0_14default_configENS1_25transform_config_selectorIbLb0EEEZNS1_14transform_implILb0ES3_S5_N6thrust23THRUST_200600_302600_NS6detail15normal_iteratorINS8_10device_ptrIbEEEEPbNS0_8identityIbEEEE10hipError_tT2_T3_mT4_P12ihipStream_tbEUlT_E_NS1_11comp_targetILNS1_3genE0ELNS1_11target_archE4294967295ELNS1_3gpuE0ELNS1_3repE0EEENS1_30default_config_static_selectorELNS0_4arch9wavefront6targetE1EEEvT1_,comdat
	.protected	_ZN7rocprim17ROCPRIM_400000_NS6detail17trampoline_kernelINS0_14default_configENS1_25transform_config_selectorIbLb0EEEZNS1_14transform_implILb0ES3_S5_N6thrust23THRUST_200600_302600_NS6detail15normal_iteratorINS8_10device_ptrIbEEEEPbNS0_8identityIbEEEE10hipError_tT2_T3_mT4_P12ihipStream_tbEUlT_E_NS1_11comp_targetILNS1_3genE0ELNS1_11target_archE4294967295ELNS1_3gpuE0ELNS1_3repE0EEENS1_30default_config_static_selectorELNS0_4arch9wavefront6targetE1EEEvT1_ ; -- Begin function _ZN7rocprim17ROCPRIM_400000_NS6detail17trampoline_kernelINS0_14default_configENS1_25transform_config_selectorIbLb0EEEZNS1_14transform_implILb0ES3_S5_N6thrust23THRUST_200600_302600_NS6detail15normal_iteratorINS8_10device_ptrIbEEEEPbNS0_8identityIbEEEE10hipError_tT2_T3_mT4_P12ihipStream_tbEUlT_E_NS1_11comp_targetILNS1_3genE0ELNS1_11target_archE4294967295ELNS1_3gpuE0ELNS1_3repE0EEENS1_30default_config_static_selectorELNS0_4arch9wavefront6targetE1EEEvT1_
	.globl	_ZN7rocprim17ROCPRIM_400000_NS6detail17trampoline_kernelINS0_14default_configENS1_25transform_config_selectorIbLb0EEEZNS1_14transform_implILb0ES3_S5_N6thrust23THRUST_200600_302600_NS6detail15normal_iteratorINS8_10device_ptrIbEEEEPbNS0_8identityIbEEEE10hipError_tT2_T3_mT4_P12ihipStream_tbEUlT_E_NS1_11comp_targetILNS1_3genE0ELNS1_11target_archE4294967295ELNS1_3gpuE0ELNS1_3repE0EEENS1_30default_config_static_selectorELNS0_4arch9wavefront6targetE1EEEvT1_
	.p2align	8
	.type	_ZN7rocprim17ROCPRIM_400000_NS6detail17trampoline_kernelINS0_14default_configENS1_25transform_config_selectorIbLb0EEEZNS1_14transform_implILb0ES3_S5_N6thrust23THRUST_200600_302600_NS6detail15normal_iteratorINS8_10device_ptrIbEEEEPbNS0_8identityIbEEEE10hipError_tT2_T3_mT4_P12ihipStream_tbEUlT_E_NS1_11comp_targetILNS1_3genE0ELNS1_11target_archE4294967295ELNS1_3gpuE0ELNS1_3repE0EEENS1_30default_config_static_selectorELNS0_4arch9wavefront6targetE1EEEvT1_,@function
_ZN7rocprim17ROCPRIM_400000_NS6detail17trampoline_kernelINS0_14default_configENS1_25transform_config_selectorIbLb0EEEZNS1_14transform_implILb0ES3_S5_N6thrust23THRUST_200600_302600_NS6detail15normal_iteratorINS8_10device_ptrIbEEEEPbNS0_8identityIbEEEE10hipError_tT2_T3_mT4_P12ihipStream_tbEUlT_E_NS1_11comp_targetILNS1_3genE0ELNS1_11target_archE4294967295ELNS1_3gpuE0ELNS1_3repE0EEENS1_30default_config_static_selectorELNS0_4arch9wavefront6targetE1EEEvT1_: ; @_ZN7rocprim17ROCPRIM_400000_NS6detail17trampoline_kernelINS0_14default_configENS1_25transform_config_selectorIbLb0EEEZNS1_14transform_implILb0ES3_S5_N6thrust23THRUST_200600_302600_NS6detail15normal_iteratorINS8_10device_ptrIbEEEEPbNS0_8identityIbEEEE10hipError_tT2_T3_mT4_P12ihipStream_tbEUlT_E_NS1_11comp_targetILNS1_3genE0ELNS1_11target_archE4294967295ELNS1_3gpuE0ELNS1_3repE0EEENS1_30default_config_static_selectorELNS0_4arch9wavefront6targetE1EEEvT1_
; %bb.0:
	s_load_dwordx8 s[4:11], s[0:1], 0x0
	s_load_dword s3, s[0:1], 0x28
	s_waitcnt lgkmcnt(0)
	s_add_u32 s0, s4, s6
	s_addc_u32 s1, s5, s7
	s_add_u32 s20, s10, s6
	s_addc_u32 s21, s11, s7
	s_lshl_b32 s22, s2, 10
	s_add_i32 s3, s3, -1
	s_add_u32 s18, s0, s22
	s_addc_u32 s19, s1, 0
	s_cmp_lg_u32 s2, s3
	s_cbranch_scc0 .LBB2032_2
; %bb.1:
	v_mov_b32_e32 v1, 0
	v_lshl_add_u64 v[2:3], s[18:19], 0, v[0:1]
	flat_load_ubyte v4, v[2:3]
	flat_load_ubyte v6, v[2:3] offset:128
	flat_load_ubyte v7, v[2:3] offset:256
	;; [unrolled: 1-line block ×7, first 2 shown]
	s_add_u32 s2, s20, s22
	s_addc_u32 s3, s21, 0
	v_lshl_add_u64 v[2:3], s[2:3], 0, v[0:1]
	s_mov_b64 s[16:17], -1
	s_waitcnt vmcnt(0) lgkmcnt(0)
	global_store_byte v0, v4, s[2:3]
	global_store_byte v0, v6, s[2:3] offset:128
	global_store_byte v0, v7, s[2:3] offset:256
	;; [unrolled: 1-line block ×6, first 2 shown]
	s_cbranch_execz .LBB2032_3
	s_branch .LBB2032_29
.LBB2032_2:
	s_mov_b64 s[16:17], 0
                                        ; implicit-def: $vgpr5
                                        ; implicit-def: $vgpr2_vgpr3
.LBB2032_3:
	s_sub_i32 s14, s8, s22
	v_cmp_gt_u32_e32 vcc, s14, v0
	v_mov_b32_e32 v7, 0
	v_mov_b32_e32 v9, 0
	;; [unrolled: 1-line block ×8, first 2 shown]
	s_and_saveexec_b64 s[0:1], vcc
	s_cbranch_execz .LBB2032_5
; %bb.4:
	v_mov_b32_e32 v1, 0
	v_lshl_add_u64 v[2:3], s[18:19], 0, v[0:1]
	flat_load_ubyte v7, v[2:3]
	v_mov_b32_e32 v9, v1
	v_mov_b32_e32 v8, v1
	;; [unrolled: 1-line block ×7, first 2 shown]
.LBB2032_5:
	s_or_b64 exec, exec, s[0:1]
	v_or_b32_e32 v1, 0x80, v0
	v_cmp_gt_u32_e64 s[0:1], s14, v1
	s_and_saveexec_b64 s[2:3], s[0:1]
	s_cbranch_execz .LBB2032_7
; %bb.6:
	v_mov_b32_e32 v1, 0
	v_lshl_add_u64 v[10:11], s[18:19], 0, v[0:1]
	flat_load_ubyte v9, v[10:11] offset:128
.LBB2032_7:
	s_or_b64 exec, exec, s[2:3]
	v_or_b32_e32 v1, 0x100, v0
	v_cmp_gt_u32_e64 s[2:3], s14, v1
	s_and_saveexec_b64 s[4:5], s[2:3]
	s_cbranch_execz .LBB2032_9
; %bb.8:
	v_mov_b32_e32 v1, 0
	v_lshl_add_u64 v[10:11], s[18:19], 0, v[0:1]
	flat_load_ubyte v8, v[10:11] offset:256
.LBB2032_9:
	;; [unrolled: 10-line block ×6, first 2 shown]
	s_or_b64 exec, exec, s[12:13]
	v_or_b32_e32 v1, 0x380, v0
	v_cmp_gt_u32_e64 s[12:13], s14, v1
	v_cmp_le_u32_e64 s[14:15], s14, v1
	v_mov_b32_e32 v1, 0
	s_and_saveexec_b64 s[24:25], s[14:15]
	s_xor_b64 s[14:15], exec, s[24:25]
	s_andn2_saveexec_b64 s[14:15], s[14:15]
	s_cbranch_execz .LBB2032_19
; %bb.18:
	v_lshl_add_u64 v[10:11], s[18:19], 0, v[0:1]
	flat_load_ubyte v2, v[10:11] offset:896
.LBB2032_19:
	s_or_b64 exec, exec, s[14:15]
	s_waitcnt vmcnt(0) lgkmcnt(0)
	v_and_b32_e32 v7, 1, v7
	v_and_b32_e32 v7, 0xffff, v7
	v_mov_b32_e32 v10, 1
	v_cndmask_b32_e32 v7, 0, v7, vcc
	v_and_b32_sdwa v9, v9, v10 dst_sel:BYTE_1 dst_unused:UNUSED_PAD src0_sel:DWORD src1_sel:DWORD
	v_and_b32_e32 v5, 1, v5
	v_or_b32_e32 v9, v7, v9
	v_and_b32_e32 v9, 0xffff, v9
	v_cndmask_b32_e64 v7, v7, v9, s[0:1]
	v_and_b32_sdwa v8, v8, v10 dst_sel:WORD_1 dst_unused:UNUSED_PAD src0_sel:DWORD src1_sel:DWORD
	s_movk_i32 s15, 0x1ff
	v_and_b32_e32 v5, 0xffff, v5
	v_and_or_b32 v8, v7, s15, v8
	s_movk_i32 s15, 0xff
	v_cndmask_b32_e64 v5, 0, v5, s[6:7]
	v_and_b32_sdwa v4, v4, v10 dst_sel:BYTE_1 dst_unused:UNUSED_PAD src0_sel:DWORD src1_sel:DWORD
	s_movk_i32 s18, 0xff00
	v_bitop3_b16 v4, v5, v4, s15 bitop3:0xec
	v_and_b32_e32 v4, 0xffff, v4
	v_cndmask_b32_e64 v4, v5, v4, s[8:9]
	v_and_b32_sdwa v5, v4, s18 dst_sel:DWORD dst_unused:UNUSED_PAD src0_sel:WORD_1 src1_sel:DWORD
	v_bitop3_b16 v3, v3, v5, 1 bitop3:0xec
	s_mov_b32 s14, 0xffff
	v_lshlrev_b32_e32 v3, 16, v3
	v_and_or_b32 v3, v4, s14, v3
	v_cndmask_b32_e64 v7, v7, v8, s[2:3]
	v_cndmask_b32_e64 v3, v4, v3, s[10:11]
	v_lshrrev_b32_e32 v8, 16, v7
	v_and_b32_sdwa v6, v6, v10 dst_sel:BYTE_1 dst_unused:UNUSED_PAD src0_sel:DWORD src1_sel:DWORD
	v_lshrrev_b32_e32 v4, 16, v3
	v_and_b32_sdwa v2, v2, v10 dst_sel:BYTE_1 dst_unused:UNUSED_PAD src0_sel:DWORD src1_sel:DWORD
	v_bitop3_b16 v6, v8, v6, s15 bitop3:0xec
	v_bitop3_b16 v2, v4, v2, s15 bitop3:0xec
	v_lshlrev_b32_e32 v6, 16, v6
	v_lshlrev_b32_e32 v2, 16, v2
	v_and_or_b32 v6, v7, s14, v6
	v_and_or_b32 v2, v3, s14, v2
	s_add_u32 s14, s20, s22
	s_addc_u32 s15, s21, 0
	v_cndmask_b32_e64 v6, v7, v6, s[4:5]
	v_cndmask_b32_e64 v4, v3, v2, s[12:13]
	v_lshl_add_u64 v[2:3], s[14:15], 0, v[0:1]
	s_and_saveexec_b64 s[14:15], vcc
	s_cbranch_execnz .LBB2032_32
; %bb.20:
	s_or_b64 exec, exec, s[14:15]
	s_and_saveexec_b64 s[14:15], s[0:1]
	s_cbranch_execnz .LBB2032_33
.LBB2032_21:
	s_or_b64 exec, exec, s[14:15]
	s_and_saveexec_b64 s[0:1], s[2:3]
	s_cbranch_execnz .LBB2032_34
.LBB2032_22:
	s_or_b64 exec, exec, s[0:1]
	s_and_saveexec_b64 s[0:1], s[4:5]
	s_cbranch_execnz .LBB2032_35
.LBB2032_23:
	s_or_b64 exec, exec, s[0:1]
	s_and_saveexec_b64 s[0:1], s[6:7]
	s_cbranch_execnz .LBB2032_36
.LBB2032_24:
	s_or_b64 exec, exec, s[0:1]
	s_and_saveexec_b64 s[0:1], s[8:9]
	s_cbranch_execnz .LBB2032_37
.LBB2032_25:
	s_or_b64 exec, exec, s[0:1]
	s_and_saveexec_b64 s[0:1], s[10:11]
	s_cbranch_execnz .LBB2032_38
.LBB2032_26:
	s_or_b64 exec, exec, s[0:1]
                                        ; implicit-def: $vgpr5
	s_and_saveexec_b64 s[0:1], s[12:13]
.LBB2032_27:
	v_lshrrev_b32_e32 v5, 24, v4
	s_or_b64 s[16:17], s[16:17], exec
.LBB2032_28:
	s_or_b64 exec, exec, s[0:1]
.LBB2032_29:
	s_and_saveexec_b64 s[0:1], s[16:17]
	s_cbranch_execnz .LBB2032_31
; %bb.30:
	s_endpgm
.LBB2032_31:
	global_store_byte v[2:3], v5, off offset:896
	s_endpgm
.LBB2032_32:
	global_store_byte v[2:3], v6, off
	s_or_b64 exec, exec, s[14:15]
	s_and_saveexec_b64 s[14:15], s[0:1]
	s_cbranch_execz .LBB2032_21
.LBB2032_33:
	v_lshrrev_b32_e32 v0, 8, v6
	global_store_byte v[2:3], v0, off offset:128
	s_or_b64 exec, exec, s[14:15]
	s_and_saveexec_b64 s[0:1], s[2:3]
	s_cbranch_execz .LBB2032_22
.LBB2032_34:
	global_store_byte_d16_hi v[2:3], v6, off offset:256
	s_or_b64 exec, exec, s[0:1]
	s_and_saveexec_b64 s[0:1], s[4:5]
	s_cbranch_execz .LBB2032_23
.LBB2032_35:
	v_lshrrev_b32_e32 v0, 24, v6
	global_store_byte v[2:3], v0, off offset:384
	s_or_b64 exec, exec, s[0:1]
	s_and_saveexec_b64 s[0:1], s[6:7]
	s_cbranch_execz .LBB2032_24
.LBB2032_36:
	global_store_byte v[2:3], v4, off offset:512
	s_or_b64 exec, exec, s[0:1]
	s_and_saveexec_b64 s[0:1], s[8:9]
	s_cbranch_execz .LBB2032_25
.LBB2032_37:
	v_lshrrev_b32_e32 v0, 8, v4
	global_store_byte v[2:3], v0, off offset:640
	s_or_b64 exec, exec, s[0:1]
	s_and_saveexec_b64 s[0:1], s[10:11]
	s_cbranch_execz .LBB2032_26
.LBB2032_38:
	global_store_byte_d16_hi v[2:3], v4, off offset:768
	s_or_b64 exec, exec, s[0:1]
                                        ; implicit-def: $vgpr5
	s_and_saveexec_b64 s[0:1], s[12:13]
	s_cbranch_execnz .LBB2032_27
	s_branch .LBB2032_28
	.section	.rodata,"a",@progbits
	.p2align	6, 0x0
	.amdhsa_kernel _ZN7rocprim17ROCPRIM_400000_NS6detail17trampoline_kernelINS0_14default_configENS1_25transform_config_selectorIbLb0EEEZNS1_14transform_implILb0ES3_S5_N6thrust23THRUST_200600_302600_NS6detail15normal_iteratorINS8_10device_ptrIbEEEEPbNS0_8identityIbEEEE10hipError_tT2_T3_mT4_P12ihipStream_tbEUlT_E_NS1_11comp_targetILNS1_3genE0ELNS1_11target_archE4294967295ELNS1_3gpuE0ELNS1_3repE0EEENS1_30default_config_static_selectorELNS0_4arch9wavefront6targetE1EEEvT1_
		.amdhsa_group_segment_fixed_size 0
		.amdhsa_private_segment_fixed_size 0
		.amdhsa_kernarg_size 296
		.amdhsa_user_sgpr_count 2
		.amdhsa_user_sgpr_dispatch_ptr 0
		.amdhsa_user_sgpr_queue_ptr 0
		.amdhsa_user_sgpr_kernarg_segment_ptr 1
		.amdhsa_user_sgpr_dispatch_id 0
		.amdhsa_user_sgpr_kernarg_preload_length 0
		.amdhsa_user_sgpr_kernarg_preload_offset 0
		.amdhsa_user_sgpr_private_segment_size 0
		.amdhsa_uses_dynamic_stack 0
		.amdhsa_enable_private_segment 0
		.amdhsa_system_sgpr_workgroup_id_x 1
		.amdhsa_system_sgpr_workgroup_id_y 0
		.amdhsa_system_sgpr_workgroup_id_z 0
		.amdhsa_system_sgpr_workgroup_info 0
		.amdhsa_system_vgpr_workitem_id 0
		.amdhsa_next_free_vgpr 12
		.amdhsa_next_free_sgpr 26
		.amdhsa_accum_offset 12
		.amdhsa_reserve_vcc 1
		.amdhsa_float_round_mode_32 0
		.amdhsa_float_round_mode_16_64 0
		.amdhsa_float_denorm_mode_32 3
		.amdhsa_float_denorm_mode_16_64 3
		.amdhsa_dx10_clamp 1
		.amdhsa_ieee_mode 1
		.amdhsa_fp16_overflow 0
		.amdhsa_tg_split 0
		.amdhsa_exception_fp_ieee_invalid_op 0
		.amdhsa_exception_fp_denorm_src 0
		.amdhsa_exception_fp_ieee_div_zero 0
		.amdhsa_exception_fp_ieee_overflow 0
		.amdhsa_exception_fp_ieee_underflow 0
		.amdhsa_exception_fp_ieee_inexact 0
		.amdhsa_exception_int_div_zero 0
	.end_amdhsa_kernel
	.section	.text._ZN7rocprim17ROCPRIM_400000_NS6detail17trampoline_kernelINS0_14default_configENS1_25transform_config_selectorIbLb0EEEZNS1_14transform_implILb0ES3_S5_N6thrust23THRUST_200600_302600_NS6detail15normal_iteratorINS8_10device_ptrIbEEEEPbNS0_8identityIbEEEE10hipError_tT2_T3_mT4_P12ihipStream_tbEUlT_E_NS1_11comp_targetILNS1_3genE0ELNS1_11target_archE4294967295ELNS1_3gpuE0ELNS1_3repE0EEENS1_30default_config_static_selectorELNS0_4arch9wavefront6targetE1EEEvT1_,"axG",@progbits,_ZN7rocprim17ROCPRIM_400000_NS6detail17trampoline_kernelINS0_14default_configENS1_25transform_config_selectorIbLb0EEEZNS1_14transform_implILb0ES3_S5_N6thrust23THRUST_200600_302600_NS6detail15normal_iteratorINS8_10device_ptrIbEEEEPbNS0_8identityIbEEEE10hipError_tT2_T3_mT4_P12ihipStream_tbEUlT_E_NS1_11comp_targetILNS1_3genE0ELNS1_11target_archE4294967295ELNS1_3gpuE0ELNS1_3repE0EEENS1_30default_config_static_selectorELNS0_4arch9wavefront6targetE1EEEvT1_,comdat
.Lfunc_end2032:
	.size	_ZN7rocprim17ROCPRIM_400000_NS6detail17trampoline_kernelINS0_14default_configENS1_25transform_config_selectorIbLb0EEEZNS1_14transform_implILb0ES3_S5_N6thrust23THRUST_200600_302600_NS6detail15normal_iteratorINS8_10device_ptrIbEEEEPbNS0_8identityIbEEEE10hipError_tT2_T3_mT4_P12ihipStream_tbEUlT_E_NS1_11comp_targetILNS1_3genE0ELNS1_11target_archE4294967295ELNS1_3gpuE0ELNS1_3repE0EEENS1_30default_config_static_selectorELNS0_4arch9wavefront6targetE1EEEvT1_, .Lfunc_end2032-_ZN7rocprim17ROCPRIM_400000_NS6detail17trampoline_kernelINS0_14default_configENS1_25transform_config_selectorIbLb0EEEZNS1_14transform_implILb0ES3_S5_N6thrust23THRUST_200600_302600_NS6detail15normal_iteratorINS8_10device_ptrIbEEEEPbNS0_8identityIbEEEE10hipError_tT2_T3_mT4_P12ihipStream_tbEUlT_E_NS1_11comp_targetILNS1_3genE0ELNS1_11target_archE4294967295ELNS1_3gpuE0ELNS1_3repE0EEENS1_30default_config_static_selectorELNS0_4arch9wavefront6targetE1EEEvT1_
                                        ; -- End function
	.set _ZN7rocprim17ROCPRIM_400000_NS6detail17trampoline_kernelINS0_14default_configENS1_25transform_config_selectorIbLb0EEEZNS1_14transform_implILb0ES3_S5_N6thrust23THRUST_200600_302600_NS6detail15normal_iteratorINS8_10device_ptrIbEEEEPbNS0_8identityIbEEEE10hipError_tT2_T3_mT4_P12ihipStream_tbEUlT_E_NS1_11comp_targetILNS1_3genE0ELNS1_11target_archE4294967295ELNS1_3gpuE0ELNS1_3repE0EEENS1_30default_config_static_selectorELNS0_4arch9wavefront6targetE1EEEvT1_.num_vgpr, 12
	.set _ZN7rocprim17ROCPRIM_400000_NS6detail17trampoline_kernelINS0_14default_configENS1_25transform_config_selectorIbLb0EEEZNS1_14transform_implILb0ES3_S5_N6thrust23THRUST_200600_302600_NS6detail15normal_iteratorINS8_10device_ptrIbEEEEPbNS0_8identityIbEEEE10hipError_tT2_T3_mT4_P12ihipStream_tbEUlT_E_NS1_11comp_targetILNS1_3genE0ELNS1_11target_archE4294967295ELNS1_3gpuE0ELNS1_3repE0EEENS1_30default_config_static_selectorELNS0_4arch9wavefront6targetE1EEEvT1_.num_agpr, 0
	.set _ZN7rocprim17ROCPRIM_400000_NS6detail17trampoline_kernelINS0_14default_configENS1_25transform_config_selectorIbLb0EEEZNS1_14transform_implILb0ES3_S5_N6thrust23THRUST_200600_302600_NS6detail15normal_iteratorINS8_10device_ptrIbEEEEPbNS0_8identityIbEEEE10hipError_tT2_T3_mT4_P12ihipStream_tbEUlT_E_NS1_11comp_targetILNS1_3genE0ELNS1_11target_archE4294967295ELNS1_3gpuE0ELNS1_3repE0EEENS1_30default_config_static_selectorELNS0_4arch9wavefront6targetE1EEEvT1_.numbered_sgpr, 26
	.set _ZN7rocprim17ROCPRIM_400000_NS6detail17trampoline_kernelINS0_14default_configENS1_25transform_config_selectorIbLb0EEEZNS1_14transform_implILb0ES3_S5_N6thrust23THRUST_200600_302600_NS6detail15normal_iteratorINS8_10device_ptrIbEEEEPbNS0_8identityIbEEEE10hipError_tT2_T3_mT4_P12ihipStream_tbEUlT_E_NS1_11comp_targetILNS1_3genE0ELNS1_11target_archE4294967295ELNS1_3gpuE0ELNS1_3repE0EEENS1_30default_config_static_selectorELNS0_4arch9wavefront6targetE1EEEvT1_.num_named_barrier, 0
	.set _ZN7rocprim17ROCPRIM_400000_NS6detail17trampoline_kernelINS0_14default_configENS1_25transform_config_selectorIbLb0EEEZNS1_14transform_implILb0ES3_S5_N6thrust23THRUST_200600_302600_NS6detail15normal_iteratorINS8_10device_ptrIbEEEEPbNS0_8identityIbEEEE10hipError_tT2_T3_mT4_P12ihipStream_tbEUlT_E_NS1_11comp_targetILNS1_3genE0ELNS1_11target_archE4294967295ELNS1_3gpuE0ELNS1_3repE0EEENS1_30default_config_static_selectorELNS0_4arch9wavefront6targetE1EEEvT1_.private_seg_size, 0
	.set _ZN7rocprim17ROCPRIM_400000_NS6detail17trampoline_kernelINS0_14default_configENS1_25transform_config_selectorIbLb0EEEZNS1_14transform_implILb0ES3_S5_N6thrust23THRUST_200600_302600_NS6detail15normal_iteratorINS8_10device_ptrIbEEEEPbNS0_8identityIbEEEE10hipError_tT2_T3_mT4_P12ihipStream_tbEUlT_E_NS1_11comp_targetILNS1_3genE0ELNS1_11target_archE4294967295ELNS1_3gpuE0ELNS1_3repE0EEENS1_30default_config_static_selectorELNS0_4arch9wavefront6targetE1EEEvT1_.uses_vcc, 1
	.set _ZN7rocprim17ROCPRIM_400000_NS6detail17trampoline_kernelINS0_14default_configENS1_25transform_config_selectorIbLb0EEEZNS1_14transform_implILb0ES3_S5_N6thrust23THRUST_200600_302600_NS6detail15normal_iteratorINS8_10device_ptrIbEEEEPbNS0_8identityIbEEEE10hipError_tT2_T3_mT4_P12ihipStream_tbEUlT_E_NS1_11comp_targetILNS1_3genE0ELNS1_11target_archE4294967295ELNS1_3gpuE0ELNS1_3repE0EEENS1_30default_config_static_selectorELNS0_4arch9wavefront6targetE1EEEvT1_.uses_flat_scratch, 0
	.set _ZN7rocprim17ROCPRIM_400000_NS6detail17trampoline_kernelINS0_14default_configENS1_25transform_config_selectorIbLb0EEEZNS1_14transform_implILb0ES3_S5_N6thrust23THRUST_200600_302600_NS6detail15normal_iteratorINS8_10device_ptrIbEEEEPbNS0_8identityIbEEEE10hipError_tT2_T3_mT4_P12ihipStream_tbEUlT_E_NS1_11comp_targetILNS1_3genE0ELNS1_11target_archE4294967295ELNS1_3gpuE0ELNS1_3repE0EEENS1_30default_config_static_selectorELNS0_4arch9wavefront6targetE1EEEvT1_.has_dyn_sized_stack, 0
	.set _ZN7rocprim17ROCPRIM_400000_NS6detail17trampoline_kernelINS0_14default_configENS1_25transform_config_selectorIbLb0EEEZNS1_14transform_implILb0ES3_S5_N6thrust23THRUST_200600_302600_NS6detail15normal_iteratorINS8_10device_ptrIbEEEEPbNS0_8identityIbEEEE10hipError_tT2_T3_mT4_P12ihipStream_tbEUlT_E_NS1_11comp_targetILNS1_3genE0ELNS1_11target_archE4294967295ELNS1_3gpuE0ELNS1_3repE0EEENS1_30default_config_static_selectorELNS0_4arch9wavefront6targetE1EEEvT1_.has_recursion, 0
	.set _ZN7rocprim17ROCPRIM_400000_NS6detail17trampoline_kernelINS0_14default_configENS1_25transform_config_selectorIbLb0EEEZNS1_14transform_implILb0ES3_S5_N6thrust23THRUST_200600_302600_NS6detail15normal_iteratorINS8_10device_ptrIbEEEEPbNS0_8identityIbEEEE10hipError_tT2_T3_mT4_P12ihipStream_tbEUlT_E_NS1_11comp_targetILNS1_3genE0ELNS1_11target_archE4294967295ELNS1_3gpuE0ELNS1_3repE0EEENS1_30default_config_static_selectorELNS0_4arch9wavefront6targetE1EEEvT1_.has_indirect_call, 0
	.section	.AMDGPU.csdata,"",@progbits
; Kernel info:
; codeLenInByte = 1240
; TotalNumSgprs: 32
; NumVgprs: 12
; NumAgprs: 0
; TotalNumVgprs: 12
; ScratchSize: 0
; MemoryBound: 0
; FloatMode: 240
; IeeeMode: 1
; LDSByteSize: 0 bytes/workgroup (compile time only)
; SGPRBlocks: 3
; VGPRBlocks: 1
; NumSGPRsForWavesPerEU: 32
; NumVGPRsForWavesPerEU: 12
; AccumOffset: 12
; Occupancy: 8
; WaveLimiterHint : 1
; COMPUTE_PGM_RSRC2:SCRATCH_EN: 0
; COMPUTE_PGM_RSRC2:USER_SGPR: 2
; COMPUTE_PGM_RSRC2:TRAP_HANDLER: 0
; COMPUTE_PGM_RSRC2:TGID_X_EN: 1
; COMPUTE_PGM_RSRC2:TGID_Y_EN: 0
; COMPUTE_PGM_RSRC2:TGID_Z_EN: 0
; COMPUTE_PGM_RSRC2:TIDIG_COMP_CNT: 0
; COMPUTE_PGM_RSRC3_GFX90A:ACCUM_OFFSET: 2
; COMPUTE_PGM_RSRC3_GFX90A:TG_SPLIT: 0
	.section	.text._ZN7rocprim17ROCPRIM_400000_NS6detail17trampoline_kernelINS0_14default_configENS1_25transform_config_selectorIbLb0EEEZNS1_14transform_implILb0ES3_S5_N6thrust23THRUST_200600_302600_NS6detail15normal_iteratorINS8_10device_ptrIbEEEEPbNS0_8identityIbEEEE10hipError_tT2_T3_mT4_P12ihipStream_tbEUlT_E_NS1_11comp_targetILNS1_3genE5ELNS1_11target_archE942ELNS1_3gpuE9ELNS1_3repE0EEENS1_30default_config_static_selectorELNS0_4arch9wavefront6targetE1EEEvT1_,"axG",@progbits,_ZN7rocprim17ROCPRIM_400000_NS6detail17trampoline_kernelINS0_14default_configENS1_25transform_config_selectorIbLb0EEEZNS1_14transform_implILb0ES3_S5_N6thrust23THRUST_200600_302600_NS6detail15normal_iteratorINS8_10device_ptrIbEEEEPbNS0_8identityIbEEEE10hipError_tT2_T3_mT4_P12ihipStream_tbEUlT_E_NS1_11comp_targetILNS1_3genE5ELNS1_11target_archE942ELNS1_3gpuE9ELNS1_3repE0EEENS1_30default_config_static_selectorELNS0_4arch9wavefront6targetE1EEEvT1_,comdat
	.protected	_ZN7rocprim17ROCPRIM_400000_NS6detail17trampoline_kernelINS0_14default_configENS1_25transform_config_selectorIbLb0EEEZNS1_14transform_implILb0ES3_S5_N6thrust23THRUST_200600_302600_NS6detail15normal_iteratorINS8_10device_ptrIbEEEEPbNS0_8identityIbEEEE10hipError_tT2_T3_mT4_P12ihipStream_tbEUlT_E_NS1_11comp_targetILNS1_3genE5ELNS1_11target_archE942ELNS1_3gpuE9ELNS1_3repE0EEENS1_30default_config_static_selectorELNS0_4arch9wavefront6targetE1EEEvT1_ ; -- Begin function _ZN7rocprim17ROCPRIM_400000_NS6detail17trampoline_kernelINS0_14default_configENS1_25transform_config_selectorIbLb0EEEZNS1_14transform_implILb0ES3_S5_N6thrust23THRUST_200600_302600_NS6detail15normal_iteratorINS8_10device_ptrIbEEEEPbNS0_8identityIbEEEE10hipError_tT2_T3_mT4_P12ihipStream_tbEUlT_E_NS1_11comp_targetILNS1_3genE5ELNS1_11target_archE942ELNS1_3gpuE9ELNS1_3repE0EEENS1_30default_config_static_selectorELNS0_4arch9wavefront6targetE1EEEvT1_
	.globl	_ZN7rocprim17ROCPRIM_400000_NS6detail17trampoline_kernelINS0_14default_configENS1_25transform_config_selectorIbLb0EEEZNS1_14transform_implILb0ES3_S5_N6thrust23THRUST_200600_302600_NS6detail15normal_iteratorINS8_10device_ptrIbEEEEPbNS0_8identityIbEEEE10hipError_tT2_T3_mT4_P12ihipStream_tbEUlT_E_NS1_11comp_targetILNS1_3genE5ELNS1_11target_archE942ELNS1_3gpuE9ELNS1_3repE0EEENS1_30default_config_static_selectorELNS0_4arch9wavefront6targetE1EEEvT1_
	.p2align	8
	.type	_ZN7rocprim17ROCPRIM_400000_NS6detail17trampoline_kernelINS0_14default_configENS1_25transform_config_selectorIbLb0EEEZNS1_14transform_implILb0ES3_S5_N6thrust23THRUST_200600_302600_NS6detail15normal_iteratorINS8_10device_ptrIbEEEEPbNS0_8identityIbEEEE10hipError_tT2_T3_mT4_P12ihipStream_tbEUlT_E_NS1_11comp_targetILNS1_3genE5ELNS1_11target_archE942ELNS1_3gpuE9ELNS1_3repE0EEENS1_30default_config_static_selectorELNS0_4arch9wavefront6targetE1EEEvT1_,@function
_ZN7rocprim17ROCPRIM_400000_NS6detail17trampoline_kernelINS0_14default_configENS1_25transform_config_selectorIbLb0EEEZNS1_14transform_implILb0ES3_S5_N6thrust23THRUST_200600_302600_NS6detail15normal_iteratorINS8_10device_ptrIbEEEEPbNS0_8identityIbEEEE10hipError_tT2_T3_mT4_P12ihipStream_tbEUlT_E_NS1_11comp_targetILNS1_3genE5ELNS1_11target_archE942ELNS1_3gpuE9ELNS1_3repE0EEENS1_30default_config_static_selectorELNS0_4arch9wavefront6targetE1EEEvT1_: ; @_ZN7rocprim17ROCPRIM_400000_NS6detail17trampoline_kernelINS0_14default_configENS1_25transform_config_selectorIbLb0EEEZNS1_14transform_implILb0ES3_S5_N6thrust23THRUST_200600_302600_NS6detail15normal_iteratorINS8_10device_ptrIbEEEEPbNS0_8identityIbEEEE10hipError_tT2_T3_mT4_P12ihipStream_tbEUlT_E_NS1_11comp_targetILNS1_3genE5ELNS1_11target_archE942ELNS1_3gpuE9ELNS1_3repE0EEENS1_30default_config_static_selectorELNS0_4arch9wavefront6targetE1EEEvT1_
; %bb.0:
	.section	.rodata,"a",@progbits
	.p2align	6, 0x0
	.amdhsa_kernel _ZN7rocprim17ROCPRIM_400000_NS6detail17trampoline_kernelINS0_14default_configENS1_25transform_config_selectorIbLb0EEEZNS1_14transform_implILb0ES3_S5_N6thrust23THRUST_200600_302600_NS6detail15normal_iteratorINS8_10device_ptrIbEEEEPbNS0_8identityIbEEEE10hipError_tT2_T3_mT4_P12ihipStream_tbEUlT_E_NS1_11comp_targetILNS1_3genE5ELNS1_11target_archE942ELNS1_3gpuE9ELNS1_3repE0EEENS1_30default_config_static_selectorELNS0_4arch9wavefront6targetE1EEEvT1_
		.amdhsa_group_segment_fixed_size 0
		.amdhsa_private_segment_fixed_size 0
		.amdhsa_kernarg_size 40
		.amdhsa_user_sgpr_count 2
		.amdhsa_user_sgpr_dispatch_ptr 0
		.amdhsa_user_sgpr_queue_ptr 0
		.amdhsa_user_sgpr_kernarg_segment_ptr 1
		.amdhsa_user_sgpr_dispatch_id 0
		.amdhsa_user_sgpr_kernarg_preload_length 0
		.amdhsa_user_sgpr_kernarg_preload_offset 0
		.amdhsa_user_sgpr_private_segment_size 0
		.amdhsa_uses_dynamic_stack 0
		.amdhsa_enable_private_segment 0
		.amdhsa_system_sgpr_workgroup_id_x 1
		.amdhsa_system_sgpr_workgroup_id_y 0
		.amdhsa_system_sgpr_workgroup_id_z 0
		.amdhsa_system_sgpr_workgroup_info 0
		.amdhsa_system_vgpr_workitem_id 0
		.amdhsa_next_free_vgpr 1
		.amdhsa_next_free_sgpr 0
		.amdhsa_accum_offset 4
		.amdhsa_reserve_vcc 0
		.amdhsa_float_round_mode_32 0
		.amdhsa_float_round_mode_16_64 0
		.amdhsa_float_denorm_mode_32 3
		.amdhsa_float_denorm_mode_16_64 3
		.amdhsa_dx10_clamp 1
		.amdhsa_ieee_mode 1
		.amdhsa_fp16_overflow 0
		.amdhsa_tg_split 0
		.amdhsa_exception_fp_ieee_invalid_op 0
		.amdhsa_exception_fp_denorm_src 0
		.amdhsa_exception_fp_ieee_div_zero 0
		.amdhsa_exception_fp_ieee_overflow 0
		.amdhsa_exception_fp_ieee_underflow 0
		.amdhsa_exception_fp_ieee_inexact 0
		.amdhsa_exception_int_div_zero 0
	.end_amdhsa_kernel
	.section	.text._ZN7rocprim17ROCPRIM_400000_NS6detail17trampoline_kernelINS0_14default_configENS1_25transform_config_selectorIbLb0EEEZNS1_14transform_implILb0ES3_S5_N6thrust23THRUST_200600_302600_NS6detail15normal_iteratorINS8_10device_ptrIbEEEEPbNS0_8identityIbEEEE10hipError_tT2_T3_mT4_P12ihipStream_tbEUlT_E_NS1_11comp_targetILNS1_3genE5ELNS1_11target_archE942ELNS1_3gpuE9ELNS1_3repE0EEENS1_30default_config_static_selectorELNS0_4arch9wavefront6targetE1EEEvT1_,"axG",@progbits,_ZN7rocprim17ROCPRIM_400000_NS6detail17trampoline_kernelINS0_14default_configENS1_25transform_config_selectorIbLb0EEEZNS1_14transform_implILb0ES3_S5_N6thrust23THRUST_200600_302600_NS6detail15normal_iteratorINS8_10device_ptrIbEEEEPbNS0_8identityIbEEEE10hipError_tT2_T3_mT4_P12ihipStream_tbEUlT_E_NS1_11comp_targetILNS1_3genE5ELNS1_11target_archE942ELNS1_3gpuE9ELNS1_3repE0EEENS1_30default_config_static_selectorELNS0_4arch9wavefront6targetE1EEEvT1_,comdat
.Lfunc_end2033:
	.size	_ZN7rocprim17ROCPRIM_400000_NS6detail17trampoline_kernelINS0_14default_configENS1_25transform_config_selectorIbLb0EEEZNS1_14transform_implILb0ES3_S5_N6thrust23THRUST_200600_302600_NS6detail15normal_iteratorINS8_10device_ptrIbEEEEPbNS0_8identityIbEEEE10hipError_tT2_T3_mT4_P12ihipStream_tbEUlT_E_NS1_11comp_targetILNS1_3genE5ELNS1_11target_archE942ELNS1_3gpuE9ELNS1_3repE0EEENS1_30default_config_static_selectorELNS0_4arch9wavefront6targetE1EEEvT1_, .Lfunc_end2033-_ZN7rocprim17ROCPRIM_400000_NS6detail17trampoline_kernelINS0_14default_configENS1_25transform_config_selectorIbLb0EEEZNS1_14transform_implILb0ES3_S5_N6thrust23THRUST_200600_302600_NS6detail15normal_iteratorINS8_10device_ptrIbEEEEPbNS0_8identityIbEEEE10hipError_tT2_T3_mT4_P12ihipStream_tbEUlT_E_NS1_11comp_targetILNS1_3genE5ELNS1_11target_archE942ELNS1_3gpuE9ELNS1_3repE0EEENS1_30default_config_static_selectorELNS0_4arch9wavefront6targetE1EEEvT1_
                                        ; -- End function
	.set _ZN7rocprim17ROCPRIM_400000_NS6detail17trampoline_kernelINS0_14default_configENS1_25transform_config_selectorIbLb0EEEZNS1_14transform_implILb0ES3_S5_N6thrust23THRUST_200600_302600_NS6detail15normal_iteratorINS8_10device_ptrIbEEEEPbNS0_8identityIbEEEE10hipError_tT2_T3_mT4_P12ihipStream_tbEUlT_E_NS1_11comp_targetILNS1_3genE5ELNS1_11target_archE942ELNS1_3gpuE9ELNS1_3repE0EEENS1_30default_config_static_selectorELNS0_4arch9wavefront6targetE1EEEvT1_.num_vgpr, 0
	.set _ZN7rocprim17ROCPRIM_400000_NS6detail17trampoline_kernelINS0_14default_configENS1_25transform_config_selectorIbLb0EEEZNS1_14transform_implILb0ES3_S5_N6thrust23THRUST_200600_302600_NS6detail15normal_iteratorINS8_10device_ptrIbEEEEPbNS0_8identityIbEEEE10hipError_tT2_T3_mT4_P12ihipStream_tbEUlT_E_NS1_11comp_targetILNS1_3genE5ELNS1_11target_archE942ELNS1_3gpuE9ELNS1_3repE0EEENS1_30default_config_static_selectorELNS0_4arch9wavefront6targetE1EEEvT1_.num_agpr, 0
	.set _ZN7rocprim17ROCPRIM_400000_NS6detail17trampoline_kernelINS0_14default_configENS1_25transform_config_selectorIbLb0EEEZNS1_14transform_implILb0ES3_S5_N6thrust23THRUST_200600_302600_NS6detail15normal_iteratorINS8_10device_ptrIbEEEEPbNS0_8identityIbEEEE10hipError_tT2_T3_mT4_P12ihipStream_tbEUlT_E_NS1_11comp_targetILNS1_3genE5ELNS1_11target_archE942ELNS1_3gpuE9ELNS1_3repE0EEENS1_30default_config_static_selectorELNS0_4arch9wavefront6targetE1EEEvT1_.numbered_sgpr, 0
	.set _ZN7rocprim17ROCPRIM_400000_NS6detail17trampoline_kernelINS0_14default_configENS1_25transform_config_selectorIbLb0EEEZNS1_14transform_implILb0ES3_S5_N6thrust23THRUST_200600_302600_NS6detail15normal_iteratorINS8_10device_ptrIbEEEEPbNS0_8identityIbEEEE10hipError_tT2_T3_mT4_P12ihipStream_tbEUlT_E_NS1_11comp_targetILNS1_3genE5ELNS1_11target_archE942ELNS1_3gpuE9ELNS1_3repE0EEENS1_30default_config_static_selectorELNS0_4arch9wavefront6targetE1EEEvT1_.num_named_barrier, 0
	.set _ZN7rocprim17ROCPRIM_400000_NS6detail17trampoline_kernelINS0_14default_configENS1_25transform_config_selectorIbLb0EEEZNS1_14transform_implILb0ES3_S5_N6thrust23THRUST_200600_302600_NS6detail15normal_iteratorINS8_10device_ptrIbEEEEPbNS0_8identityIbEEEE10hipError_tT2_T3_mT4_P12ihipStream_tbEUlT_E_NS1_11comp_targetILNS1_3genE5ELNS1_11target_archE942ELNS1_3gpuE9ELNS1_3repE0EEENS1_30default_config_static_selectorELNS0_4arch9wavefront6targetE1EEEvT1_.private_seg_size, 0
	.set _ZN7rocprim17ROCPRIM_400000_NS6detail17trampoline_kernelINS0_14default_configENS1_25transform_config_selectorIbLb0EEEZNS1_14transform_implILb0ES3_S5_N6thrust23THRUST_200600_302600_NS6detail15normal_iteratorINS8_10device_ptrIbEEEEPbNS0_8identityIbEEEE10hipError_tT2_T3_mT4_P12ihipStream_tbEUlT_E_NS1_11comp_targetILNS1_3genE5ELNS1_11target_archE942ELNS1_3gpuE9ELNS1_3repE0EEENS1_30default_config_static_selectorELNS0_4arch9wavefront6targetE1EEEvT1_.uses_vcc, 0
	.set _ZN7rocprim17ROCPRIM_400000_NS6detail17trampoline_kernelINS0_14default_configENS1_25transform_config_selectorIbLb0EEEZNS1_14transform_implILb0ES3_S5_N6thrust23THRUST_200600_302600_NS6detail15normal_iteratorINS8_10device_ptrIbEEEEPbNS0_8identityIbEEEE10hipError_tT2_T3_mT4_P12ihipStream_tbEUlT_E_NS1_11comp_targetILNS1_3genE5ELNS1_11target_archE942ELNS1_3gpuE9ELNS1_3repE0EEENS1_30default_config_static_selectorELNS0_4arch9wavefront6targetE1EEEvT1_.uses_flat_scratch, 0
	.set _ZN7rocprim17ROCPRIM_400000_NS6detail17trampoline_kernelINS0_14default_configENS1_25transform_config_selectorIbLb0EEEZNS1_14transform_implILb0ES3_S5_N6thrust23THRUST_200600_302600_NS6detail15normal_iteratorINS8_10device_ptrIbEEEEPbNS0_8identityIbEEEE10hipError_tT2_T3_mT4_P12ihipStream_tbEUlT_E_NS1_11comp_targetILNS1_3genE5ELNS1_11target_archE942ELNS1_3gpuE9ELNS1_3repE0EEENS1_30default_config_static_selectorELNS0_4arch9wavefront6targetE1EEEvT1_.has_dyn_sized_stack, 0
	.set _ZN7rocprim17ROCPRIM_400000_NS6detail17trampoline_kernelINS0_14default_configENS1_25transform_config_selectorIbLb0EEEZNS1_14transform_implILb0ES3_S5_N6thrust23THRUST_200600_302600_NS6detail15normal_iteratorINS8_10device_ptrIbEEEEPbNS0_8identityIbEEEE10hipError_tT2_T3_mT4_P12ihipStream_tbEUlT_E_NS1_11comp_targetILNS1_3genE5ELNS1_11target_archE942ELNS1_3gpuE9ELNS1_3repE0EEENS1_30default_config_static_selectorELNS0_4arch9wavefront6targetE1EEEvT1_.has_recursion, 0
	.set _ZN7rocprim17ROCPRIM_400000_NS6detail17trampoline_kernelINS0_14default_configENS1_25transform_config_selectorIbLb0EEEZNS1_14transform_implILb0ES3_S5_N6thrust23THRUST_200600_302600_NS6detail15normal_iteratorINS8_10device_ptrIbEEEEPbNS0_8identityIbEEEE10hipError_tT2_T3_mT4_P12ihipStream_tbEUlT_E_NS1_11comp_targetILNS1_3genE5ELNS1_11target_archE942ELNS1_3gpuE9ELNS1_3repE0EEENS1_30default_config_static_selectorELNS0_4arch9wavefront6targetE1EEEvT1_.has_indirect_call, 0
	.section	.AMDGPU.csdata,"",@progbits
; Kernel info:
; codeLenInByte = 0
; TotalNumSgprs: 6
; NumVgprs: 0
; NumAgprs: 0
; TotalNumVgprs: 0
; ScratchSize: 0
; MemoryBound: 0
; FloatMode: 240
; IeeeMode: 1
; LDSByteSize: 0 bytes/workgroup (compile time only)
; SGPRBlocks: 0
; VGPRBlocks: 0
; NumSGPRsForWavesPerEU: 6
; NumVGPRsForWavesPerEU: 1
; AccumOffset: 4
; Occupancy: 8
; WaveLimiterHint : 0
; COMPUTE_PGM_RSRC2:SCRATCH_EN: 0
; COMPUTE_PGM_RSRC2:USER_SGPR: 2
; COMPUTE_PGM_RSRC2:TRAP_HANDLER: 0
; COMPUTE_PGM_RSRC2:TGID_X_EN: 1
; COMPUTE_PGM_RSRC2:TGID_Y_EN: 0
; COMPUTE_PGM_RSRC2:TGID_Z_EN: 0
; COMPUTE_PGM_RSRC2:TIDIG_COMP_CNT: 0
; COMPUTE_PGM_RSRC3_GFX90A:ACCUM_OFFSET: 0
; COMPUTE_PGM_RSRC3_GFX90A:TG_SPLIT: 0
	.section	.text._ZN7rocprim17ROCPRIM_400000_NS6detail17trampoline_kernelINS0_14default_configENS1_25transform_config_selectorIbLb0EEEZNS1_14transform_implILb0ES3_S5_N6thrust23THRUST_200600_302600_NS6detail15normal_iteratorINS8_10device_ptrIbEEEEPbNS0_8identityIbEEEE10hipError_tT2_T3_mT4_P12ihipStream_tbEUlT_E_NS1_11comp_targetILNS1_3genE4ELNS1_11target_archE910ELNS1_3gpuE8ELNS1_3repE0EEENS1_30default_config_static_selectorELNS0_4arch9wavefront6targetE1EEEvT1_,"axG",@progbits,_ZN7rocprim17ROCPRIM_400000_NS6detail17trampoline_kernelINS0_14default_configENS1_25transform_config_selectorIbLb0EEEZNS1_14transform_implILb0ES3_S5_N6thrust23THRUST_200600_302600_NS6detail15normal_iteratorINS8_10device_ptrIbEEEEPbNS0_8identityIbEEEE10hipError_tT2_T3_mT4_P12ihipStream_tbEUlT_E_NS1_11comp_targetILNS1_3genE4ELNS1_11target_archE910ELNS1_3gpuE8ELNS1_3repE0EEENS1_30default_config_static_selectorELNS0_4arch9wavefront6targetE1EEEvT1_,comdat
	.protected	_ZN7rocprim17ROCPRIM_400000_NS6detail17trampoline_kernelINS0_14default_configENS1_25transform_config_selectorIbLb0EEEZNS1_14transform_implILb0ES3_S5_N6thrust23THRUST_200600_302600_NS6detail15normal_iteratorINS8_10device_ptrIbEEEEPbNS0_8identityIbEEEE10hipError_tT2_T3_mT4_P12ihipStream_tbEUlT_E_NS1_11comp_targetILNS1_3genE4ELNS1_11target_archE910ELNS1_3gpuE8ELNS1_3repE0EEENS1_30default_config_static_selectorELNS0_4arch9wavefront6targetE1EEEvT1_ ; -- Begin function _ZN7rocprim17ROCPRIM_400000_NS6detail17trampoline_kernelINS0_14default_configENS1_25transform_config_selectorIbLb0EEEZNS1_14transform_implILb0ES3_S5_N6thrust23THRUST_200600_302600_NS6detail15normal_iteratorINS8_10device_ptrIbEEEEPbNS0_8identityIbEEEE10hipError_tT2_T3_mT4_P12ihipStream_tbEUlT_E_NS1_11comp_targetILNS1_3genE4ELNS1_11target_archE910ELNS1_3gpuE8ELNS1_3repE0EEENS1_30default_config_static_selectorELNS0_4arch9wavefront6targetE1EEEvT1_
	.globl	_ZN7rocprim17ROCPRIM_400000_NS6detail17trampoline_kernelINS0_14default_configENS1_25transform_config_selectorIbLb0EEEZNS1_14transform_implILb0ES3_S5_N6thrust23THRUST_200600_302600_NS6detail15normal_iteratorINS8_10device_ptrIbEEEEPbNS0_8identityIbEEEE10hipError_tT2_T3_mT4_P12ihipStream_tbEUlT_E_NS1_11comp_targetILNS1_3genE4ELNS1_11target_archE910ELNS1_3gpuE8ELNS1_3repE0EEENS1_30default_config_static_selectorELNS0_4arch9wavefront6targetE1EEEvT1_
	.p2align	8
	.type	_ZN7rocprim17ROCPRIM_400000_NS6detail17trampoline_kernelINS0_14default_configENS1_25transform_config_selectorIbLb0EEEZNS1_14transform_implILb0ES3_S5_N6thrust23THRUST_200600_302600_NS6detail15normal_iteratorINS8_10device_ptrIbEEEEPbNS0_8identityIbEEEE10hipError_tT2_T3_mT4_P12ihipStream_tbEUlT_E_NS1_11comp_targetILNS1_3genE4ELNS1_11target_archE910ELNS1_3gpuE8ELNS1_3repE0EEENS1_30default_config_static_selectorELNS0_4arch9wavefront6targetE1EEEvT1_,@function
_ZN7rocprim17ROCPRIM_400000_NS6detail17trampoline_kernelINS0_14default_configENS1_25transform_config_selectorIbLb0EEEZNS1_14transform_implILb0ES3_S5_N6thrust23THRUST_200600_302600_NS6detail15normal_iteratorINS8_10device_ptrIbEEEEPbNS0_8identityIbEEEE10hipError_tT2_T3_mT4_P12ihipStream_tbEUlT_E_NS1_11comp_targetILNS1_3genE4ELNS1_11target_archE910ELNS1_3gpuE8ELNS1_3repE0EEENS1_30default_config_static_selectorELNS0_4arch9wavefront6targetE1EEEvT1_: ; @_ZN7rocprim17ROCPRIM_400000_NS6detail17trampoline_kernelINS0_14default_configENS1_25transform_config_selectorIbLb0EEEZNS1_14transform_implILb0ES3_S5_N6thrust23THRUST_200600_302600_NS6detail15normal_iteratorINS8_10device_ptrIbEEEEPbNS0_8identityIbEEEE10hipError_tT2_T3_mT4_P12ihipStream_tbEUlT_E_NS1_11comp_targetILNS1_3genE4ELNS1_11target_archE910ELNS1_3gpuE8ELNS1_3repE0EEENS1_30default_config_static_selectorELNS0_4arch9wavefront6targetE1EEEvT1_
; %bb.0:
	.section	.rodata,"a",@progbits
	.p2align	6, 0x0
	.amdhsa_kernel _ZN7rocprim17ROCPRIM_400000_NS6detail17trampoline_kernelINS0_14default_configENS1_25transform_config_selectorIbLb0EEEZNS1_14transform_implILb0ES3_S5_N6thrust23THRUST_200600_302600_NS6detail15normal_iteratorINS8_10device_ptrIbEEEEPbNS0_8identityIbEEEE10hipError_tT2_T3_mT4_P12ihipStream_tbEUlT_E_NS1_11comp_targetILNS1_3genE4ELNS1_11target_archE910ELNS1_3gpuE8ELNS1_3repE0EEENS1_30default_config_static_selectorELNS0_4arch9wavefront6targetE1EEEvT1_
		.amdhsa_group_segment_fixed_size 0
		.amdhsa_private_segment_fixed_size 0
		.amdhsa_kernarg_size 40
		.amdhsa_user_sgpr_count 2
		.amdhsa_user_sgpr_dispatch_ptr 0
		.amdhsa_user_sgpr_queue_ptr 0
		.amdhsa_user_sgpr_kernarg_segment_ptr 1
		.amdhsa_user_sgpr_dispatch_id 0
		.amdhsa_user_sgpr_kernarg_preload_length 0
		.amdhsa_user_sgpr_kernarg_preload_offset 0
		.amdhsa_user_sgpr_private_segment_size 0
		.amdhsa_uses_dynamic_stack 0
		.amdhsa_enable_private_segment 0
		.amdhsa_system_sgpr_workgroup_id_x 1
		.amdhsa_system_sgpr_workgroup_id_y 0
		.amdhsa_system_sgpr_workgroup_id_z 0
		.amdhsa_system_sgpr_workgroup_info 0
		.amdhsa_system_vgpr_workitem_id 0
		.amdhsa_next_free_vgpr 1
		.amdhsa_next_free_sgpr 0
		.amdhsa_accum_offset 4
		.amdhsa_reserve_vcc 0
		.amdhsa_float_round_mode_32 0
		.amdhsa_float_round_mode_16_64 0
		.amdhsa_float_denorm_mode_32 3
		.amdhsa_float_denorm_mode_16_64 3
		.amdhsa_dx10_clamp 1
		.amdhsa_ieee_mode 1
		.amdhsa_fp16_overflow 0
		.amdhsa_tg_split 0
		.amdhsa_exception_fp_ieee_invalid_op 0
		.amdhsa_exception_fp_denorm_src 0
		.amdhsa_exception_fp_ieee_div_zero 0
		.amdhsa_exception_fp_ieee_overflow 0
		.amdhsa_exception_fp_ieee_underflow 0
		.amdhsa_exception_fp_ieee_inexact 0
		.amdhsa_exception_int_div_zero 0
	.end_amdhsa_kernel
	.section	.text._ZN7rocprim17ROCPRIM_400000_NS6detail17trampoline_kernelINS0_14default_configENS1_25transform_config_selectorIbLb0EEEZNS1_14transform_implILb0ES3_S5_N6thrust23THRUST_200600_302600_NS6detail15normal_iteratorINS8_10device_ptrIbEEEEPbNS0_8identityIbEEEE10hipError_tT2_T3_mT4_P12ihipStream_tbEUlT_E_NS1_11comp_targetILNS1_3genE4ELNS1_11target_archE910ELNS1_3gpuE8ELNS1_3repE0EEENS1_30default_config_static_selectorELNS0_4arch9wavefront6targetE1EEEvT1_,"axG",@progbits,_ZN7rocprim17ROCPRIM_400000_NS6detail17trampoline_kernelINS0_14default_configENS1_25transform_config_selectorIbLb0EEEZNS1_14transform_implILb0ES3_S5_N6thrust23THRUST_200600_302600_NS6detail15normal_iteratorINS8_10device_ptrIbEEEEPbNS0_8identityIbEEEE10hipError_tT2_T3_mT4_P12ihipStream_tbEUlT_E_NS1_11comp_targetILNS1_3genE4ELNS1_11target_archE910ELNS1_3gpuE8ELNS1_3repE0EEENS1_30default_config_static_selectorELNS0_4arch9wavefront6targetE1EEEvT1_,comdat
.Lfunc_end2034:
	.size	_ZN7rocprim17ROCPRIM_400000_NS6detail17trampoline_kernelINS0_14default_configENS1_25transform_config_selectorIbLb0EEEZNS1_14transform_implILb0ES3_S5_N6thrust23THRUST_200600_302600_NS6detail15normal_iteratorINS8_10device_ptrIbEEEEPbNS0_8identityIbEEEE10hipError_tT2_T3_mT4_P12ihipStream_tbEUlT_E_NS1_11comp_targetILNS1_3genE4ELNS1_11target_archE910ELNS1_3gpuE8ELNS1_3repE0EEENS1_30default_config_static_selectorELNS0_4arch9wavefront6targetE1EEEvT1_, .Lfunc_end2034-_ZN7rocprim17ROCPRIM_400000_NS6detail17trampoline_kernelINS0_14default_configENS1_25transform_config_selectorIbLb0EEEZNS1_14transform_implILb0ES3_S5_N6thrust23THRUST_200600_302600_NS6detail15normal_iteratorINS8_10device_ptrIbEEEEPbNS0_8identityIbEEEE10hipError_tT2_T3_mT4_P12ihipStream_tbEUlT_E_NS1_11comp_targetILNS1_3genE4ELNS1_11target_archE910ELNS1_3gpuE8ELNS1_3repE0EEENS1_30default_config_static_selectorELNS0_4arch9wavefront6targetE1EEEvT1_
                                        ; -- End function
	.set _ZN7rocprim17ROCPRIM_400000_NS6detail17trampoline_kernelINS0_14default_configENS1_25transform_config_selectorIbLb0EEEZNS1_14transform_implILb0ES3_S5_N6thrust23THRUST_200600_302600_NS6detail15normal_iteratorINS8_10device_ptrIbEEEEPbNS0_8identityIbEEEE10hipError_tT2_T3_mT4_P12ihipStream_tbEUlT_E_NS1_11comp_targetILNS1_3genE4ELNS1_11target_archE910ELNS1_3gpuE8ELNS1_3repE0EEENS1_30default_config_static_selectorELNS0_4arch9wavefront6targetE1EEEvT1_.num_vgpr, 0
	.set _ZN7rocprim17ROCPRIM_400000_NS6detail17trampoline_kernelINS0_14default_configENS1_25transform_config_selectorIbLb0EEEZNS1_14transform_implILb0ES3_S5_N6thrust23THRUST_200600_302600_NS6detail15normal_iteratorINS8_10device_ptrIbEEEEPbNS0_8identityIbEEEE10hipError_tT2_T3_mT4_P12ihipStream_tbEUlT_E_NS1_11comp_targetILNS1_3genE4ELNS1_11target_archE910ELNS1_3gpuE8ELNS1_3repE0EEENS1_30default_config_static_selectorELNS0_4arch9wavefront6targetE1EEEvT1_.num_agpr, 0
	.set _ZN7rocprim17ROCPRIM_400000_NS6detail17trampoline_kernelINS0_14default_configENS1_25transform_config_selectorIbLb0EEEZNS1_14transform_implILb0ES3_S5_N6thrust23THRUST_200600_302600_NS6detail15normal_iteratorINS8_10device_ptrIbEEEEPbNS0_8identityIbEEEE10hipError_tT2_T3_mT4_P12ihipStream_tbEUlT_E_NS1_11comp_targetILNS1_3genE4ELNS1_11target_archE910ELNS1_3gpuE8ELNS1_3repE0EEENS1_30default_config_static_selectorELNS0_4arch9wavefront6targetE1EEEvT1_.numbered_sgpr, 0
	.set _ZN7rocprim17ROCPRIM_400000_NS6detail17trampoline_kernelINS0_14default_configENS1_25transform_config_selectorIbLb0EEEZNS1_14transform_implILb0ES3_S5_N6thrust23THRUST_200600_302600_NS6detail15normal_iteratorINS8_10device_ptrIbEEEEPbNS0_8identityIbEEEE10hipError_tT2_T3_mT4_P12ihipStream_tbEUlT_E_NS1_11comp_targetILNS1_3genE4ELNS1_11target_archE910ELNS1_3gpuE8ELNS1_3repE0EEENS1_30default_config_static_selectorELNS0_4arch9wavefront6targetE1EEEvT1_.num_named_barrier, 0
	.set _ZN7rocprim17ROCPRIM_400000_NS6detail17trampoline_kernelINS0_14default_configENS1_25transform_config_selectorIbLb0EEEZNS1_14transform_implILb0ES3_S5_N6thrust23THRUST_200600_302600_NS6detail15normal_iteratorINS8_10device_ptrIbEEEEPbNS0_8identityIbEEEE10hipError_tT2_T3_mT4_P12ihipStream_tbEUlT_E_NS1_11comp_targetILNS1_3genE4ELNS1_11target_archE910ELNS1_3gpuE8ELNS1_3repE0EEENS1_30default_config_static_selectorELNS0_4arch9wavefront6targetE1EEEvT1_.private_seg_size, 0
	.set _ZN7rocprim17ROCPRIM_400000_NS6detail17trampoline_kernelINS0_14default_configENS1_25transform_config_selectorIbLb0EEEZNS1_14transform_implILb0ES3_S5_N6thrust23THRUST_200600_302600_NS6detail15normal_iteratorINS8_10device_ptrIbEEEEPbNS0_8identityIbEEEE10hipError_tT2_T3_mT4_P12ihipStream_tbEUlT_E_NS1_11comp_targetILNS1_3genE4ELNS1_11target_archE910ELNS1_3gpuE8ELNS1_3repE0EEENS1_30default_config_static_selectorELNS0_4arch9wavefront6targetE1EEEvT1_.uses_vcc, 0
	.set _ZN7rocprim17ROCPRIM_400000_NS6detail17trampoline_kernelINS0_14default_configENS1_25transform_config_selectorIbLb0EEEZNS1_14transform_implILb0ES3_S5_N6thrust23THRUST_200600_302600_NS6detail15normal_iteratorINS8_10device_ptrIbEEEEPbNS0_8identityIbEEEE10hipError_tT2_T3_mT4_P12ihipStream_tbEUlT_E_NS1_11comp_targetILNS1_3genE4ELNS1_11target_archE910ELNS1_3gpuE8ELNS1_3repE0EEENS1_30default_config_static_selectorELNS0_4arch9wavefront6targetE1EEEvT1_.uses_flat_scratch, 0
	.set _ZN7rocprim17ROCPRIM_400000_NS6detail17trampoline_kernelINS0_14default_configENS1_25transform_config_selectorIbLb0EEEZNS1_14transform_implILb0ES3_S5_N6thrust23THRUST_200600_302600_NS6detail15normal_iteratorINS8_10device_ptrIbEEEEPbNS0_8identityIbEEEE10hipError_tT2_T3_mT4_P12ihipStream_tbEUlT_E_NS1_11comp_targetILNS1_3genE4ELNS1_11target_archE910ELNS1_3gpuE8ELNS1_3repE0EEENS1_30default_config_static_selectorELNS0_4arch9wavefront6targetE1EEEvT1_.has_dyn_sized_stack, 0
	.set _ZN7rocprim17ROCPRIM_400000_NS6detail17trampoline_kernelINS0_14default_configENS1_25transform_config_selectorIbLb0EEEZNS1_14transform_implILb0ES3_S5_N6thrust23THRUST_200600_302600_NS6detail15normal_iteratorINS8_10device_ptrIbEEEEPbNS0_8identityIbEEEE10hipError_tT2_T3_mT4_P12ihipStream_tbEUlT_E_NS1_11comp_targetILNS1_3genE4ELNS1_11target_archE910ELNS1_3gpuE8ELNS1_3repE0EEENS1_30default_config_static_selectorELNS0_4arch9wavefront6targetE1EEEvT1_.has_recursion, 0
	.set _ZN7rocprim17ROCPRIM_400000_NS6detail17trampoline_kernelINS0_14default_configENS1_25transform_config_selectorIbLb0EEEZNS1_14transform_implILb0ES3_S5_N6thrust23THRUST_200600_302600_NS6detail15normal_iteratorINS8_10device_ptrIbEEEEPbNS0_8identityIbEEEE10hipError_tT2_T3_mT4_P12ihipStream_tbEUlT_E_NS1_11comp_targetILNS1_3genE4ELNS1_11target_archE910ELNS1_3gpuE8ELNS1_3repE0EEENS1_30default_config_static_selectorELNS0_4arch9wavefront6targetE1EEEvT1_.has_indirect_call, 0
	.section	.AMDGPU.csdata,"",@progbits
; Kernel info:
; codeLenInByte = 0
; TotalNumSgprs: 6
; NumVgprs: 0
; NumAgprs: 0
; TotalNumVgprs: 0
; ScratchSize: 0
; MemoryBound: 0
; FloatMode: 240
; IeeeMode: 1
; LDSByteSize: 0 bytes/workgroup (compile time only)
; SGPRBlocks: 0
; VGPRBlocks: 0
; NumSGPRsForWavesPerEU: 6
; NumVGPRsForWavesPerEU: 1
; AccumOffset: 4
; Occupancy: 8
; WaveLimiterHint : 0
; COMPUTE_PGM_RSRC2:SCRATCH_EN: 0
; COMPUTE_PGM_RSRC2:USER_SGPR: 2
; COMPUTE_PGM_RSRC2:TRAP_HANDLER: 0
; COMPUTE_PGM_RSRC2:TGID_X_EN: 1
; COMPUTE_PGM_RSRC2:TGID_Y_EN: 0
; COMPUTE_PGM_RSRC2:TGID_Z_EN: 0
; COMPUTE_PGM_RSRC2:TIDIG_COMP_CNT: 0
; COMPUTE_PGM_RSRC3_GFX90A:ACCUM_OFFSET: 0
; COMPUTE_PGM_RSRC3_GFX90A:TG_SPLIT: 0
	.section	.text._ZN7rocprim17ROCPRIM_400000_NS6detail17trampoline_kernelINS0_14default_configENS1_25transform_config_selectorIbLb0EEEZNS1_14transform_implILb0ES3_S5_N6thrust23THRUST_200600_302600_NS6detail15normal_iteratorINS8_10device_ptrIbEEEEPbNS0_8identityIbEEEE10hipError_tT2_T3_mT4_P12ihipStream_tbEUlT_E_NS1_11comp_targetILNS1_3genE3ELNS1_11target_archE908ELNS1_3gpuE7ELNS1_3repE0EEENS1_30default_config_static_selectorELNS0_4arch9wavefront6targetE1EEEvT1_,"axG",@progbits,_ZN7rocprim17ROCPRIM_400000_NS6detail17trampoline_kernelINS0_14default_configENS1_25transform_config_selectorIbLb0EEEZNS1_14transform_implILb0ES3_S5_N6thrust23THRUST_200600_302600_NS6detail15normal_iteratorINS8_10device_ptrIbEEEEPbNS0_8identityIbEEEE10hipError_tT2_T3_mT4_P12ihipStream_tbEUlT_E_NS1_11comp_targetILNS1_3genE3ELNS1_11target_archE908ELNS1_3gpuE7ELNS1_3repE0EEENS1_30default_config_static_selectorELNS0_4arch9wavefront6targetE1EEEvT1_,comdat
	.protected	_ZN7rocprim17ROCPRIM_400000_NS6detail17trampoline_kernelINS0_14default_configENS1_25transform_config_selectorIbLb0EEEZNS1_14transform_implILb0ES3_S5_N6thrust23THRUST_200600_302600_NS6detail15normal_iteratorINS8_10device_ptrIbEEEEPbNS0_8identityIbEEEE10hipError_tT2_T3_mT4_P12ihipStream_tbEUlT_E_NS1_11comp_targetILNS1_3genE3ELNS1_11target_archE908ELNS1_3gpuE7ELNS1_3repE0EEENS1_30default_config_static_selectorELNS0_4arch9wavefront6targetE1EEEvT1_ ; -- Begin function _ZN7rocprim17ROCPRIM_400000_NS6detail17trampoline_kernelINS0_14default_configENS1_25transform_config_selectorIbLb0EEEZNS1_14transform_implILb0ES3_S5_N6thrust23THRUST_200600_302600_NS6detail15normal_iteratorINS8_10device_ptrIbEEEEPbNS0_8identityIbEEEE10hipError_tT2_T3_mT4_P12ihipStream_tbEUlT_E_NS1_11comp_targetILNS1_3genE3ELNS1_11target_archE908ELNS1_3gpuE7ELNS1_3repE0EEENS1_30default_config_static_selectorELNS0_4arch9wavefront6targetE1EEEvT1_
	.globl	_ZN7rocprim17ROCPRIM_400000_NS6detail17trampoline_kernelINS0_14default_configENS1_25transform_config_selectorIbLb0EEEZNS1_14transform_implILb0ES3_S5_N6thrust23THRUST_200600_302600_NS6detail15normal_iteratorINS8_10device_ptrIbEEEEPbNS0_8identityIbEEEE10hipError_tT2_T3_mT4_P12ihipStream_tbEUlT_E_NS1_11comp_targetILNS1_3genE3ELNS1_11target_archE908ELNS1_3gpuE7ELNS1_3repE0EEENS1_30default_config_static_selectorELNS0_4arch9wavefront6targetE1EEEvT1_
	.p2align	8
	.type	_ZN7rocprim17ROCPRIM_400000_NS6detail17trampoline_kernelINS0_14default_configENS1_25transform_config_selectorIbLb0EEEZNS1_14transform_implILb0ES3_S5_N6thrust23THRUST_200600_302600_NS6detail15normal_iteratorINS8_10device_ptrIbEEEEPbNS0_8identityIbEEEE10hipError_tT2_T3_mT4_P12ihipStream_tbEUlT_E_NS1_11comp_targetILNS1_3genE3ELNS1_11target_archE908ELNS1_3gpuE7ELNS1_3repE0EEENS1_30default_config_static_selectorELNS0_4arch9wavefront6targetE1EEEvT1_,@function
_ZN7rocprim17ROCPRIM_400000_NS6detail17trampoline_kernelINS0_14default_configENS1_25transform_config_selectorIbLb0EEEZNS1_14transform_implILb0ES3_S5_N6thrust23THRUST_200600_302600_NS6detail15normal_iteratorINS8_10device_ptrIbEEEEPbNS0_8identityIbEEEE10hipError_tT2_T3_mT4_P12ihipStream_tbEUlT_E_NS1_11comp_targetILNS1_3genE3ELNS1_11target_archE908ELNS1_3gpuE7ELNS1_3repE0EEENS1_30default_config_static_selectorELNS0_4arch9wavefront6targetE1EEEvT1_: ; @_ZN7rocprim17ROCPRIM_400000_NS6detail17trampoline_kernelINS0_14default_configENS1_25transform_config_selectorIbLb0EEEZNS1_14transform_implILb0ES3_S5_N6thrust23THRUST_200600_302600_NS6detail15normal_iteratorINS8_10device_ptrIbEEEEPbNS0_8identityIbEEEE10hipError_tT2_T3_mT4_P12ihipStream_tbEUlT_E_NS1_11comp_targetILNS1_3genE3ELNS1_11target_archE908ELNS1_3gpuE7ELNS1_3repE0EEENS1_30default_config_static_selectorELNS0_4arch9wavefront6targetE1EEEvT1_
; %bb.0:
	.section	.rodata,"a",@progbits
	.p2align	6, 0x0
	.amdhsa_kernel _ZN7rocprim17ROCPRIM_400000_NS6detail17trampoline_kernelINS0_14default_configENS1_25transform_config_selectorIbLb0EEEZNS1_14transform_implILb0ES3_S5_N6thrust23THRUST_200600_302600_NS6detail15normal_iteratorINS8_10device_ptrIbEEEEPbNS0_8identityIbEEEE10hipError_tT2_T3_mT4_P12ihipStream_tbEUlT_E_NS1_11comp_targetILNS1_3genE3ELNS1_11target_archE908ELNS1_3gpuE7ELNS1_3repE0EEENS1_30default_config_static_selectorELNS0_4arch9wavefront6targetE1EEEvT1_
		.amdhsa_group_segment_fixed_size 0
		.amdhsa_private_segment_fixed_size 0
		.amdhsa_kernarg_size 40
		.amdhsa_user_sgpr_count 2
		.amdhsa_user_sgpr_dispatch_ptr 0
		.amdhsa_user_sgpr_queue_ptr 0
		.amdhsa_user_sgpr_kernarg_segment_ptr 1
		.amdhsa_user_sgpr_dispatch_id 0
		.amdhsa_user_sgpr_kernarg_preload_length 0
		.amdhsa_user_sgpr_kernarg_preload_offset 0
		.amdhsa_user_sgpr_private_segment_size 0
		.amdhsa_uses_dynamic_stack 0
		.amdhsa_enable_private_segment 0
		.amdhsa_system_sgpr_workgroup_id_x 1
		.amdhsa_system_sgpr_workgroup_id_y 0
		.amdhsa_system_sgpr_workgroup_id_z 0
		.amdhsa_system_sgpr_workgroup_info 0
		.amdhsa_system_vgpr_workitem_id 0
		.amdhsa_next_free_vgpr 1
		.amdhsa_next_free_sgpr 0
		.amdhsa_accum_offset 4
		.amdhsa_reserve_vcc 0
		.amdhsa_float_round_mode_32 0
		.amdhsa_float_round_mode_16_64 0
		.amdhsa_float_denorm_mode_32 3
		.amdhsa_float_denorm_mode_16_64 3
		.amdhsa_dx10_clamp 1
		.amdhsa_ieee_mode 1
		.amdhsa_fp16_overflow 0
		.amdhsa_tg_split 0
		.amdhsa_exception_fp_ieee_invalid_op 0
		.amdhsa_exception_fp_denorm_src 0
		.amdhsa_exception_fp_ieee_div_zero 0
		.amdhsa_exception_fp_ieee_overflow 0
		.amdhsa_exception_fp_ieee_underflow 0
		.amdhsa_exception_fp_ieee_inexact 0
		.amdhsa_exception_int_div_zero 0
	.end_amdhsa_kernel
	.section	.text._ZN7rocprim17ROCPRIM_400000_NS6detail17trampoline_kernelINS0_14default_configENS1_25transform_config_selectorIbLb0EEEZNS1_14transform_implILb0ES3_S5_N6thrust23THRUST_200600_302600_NS6detail15normal_iteratorINS8_10device_ptrIbEEEEPbNS0_8identityIbEEEE10hipError_tT2_T3_mT4_P12ihipStream_tbEUlT_E_NS1_11comp_targetILNS1_3genE3ELNS1_11target_archE908ELNS1_3gpuE7ELNS1_3repE0EEENS1_30default_config_static_selectorELNS0_4arch9wavefront6targetE1EEEvT1_,"axG",@progbits,_ZN7rocprim17ROCPRIM_400000_NS6detail17trampoline_kernelINS0_14default_configENS1_25transform_config_selectorIbLb0EEEZNS1_14transform_implILb0ES3_S5_N6thrust23THRUST_200600_302600_NS6detail15normal_iteratorINS8_10device_ptrIbEEEEPbNS0_8identityIbEEEE10hipError_tT2_T3_mT4_P12ihipStream_tbEUlT_E_NS1_11comp_targetILNS1_3genE3ELNS1_11target_archE908ELNS1_3gpuE7ELNS1_3repE0EEENS1_30default_config_static_selectorELNS0_4arch9wavefront6targetE1EEEvT1_,comdat
.Lfunc_end2035:
	.size	_ZN7rocprim17ROCPRIM_400000_NS6detail17trampoline_kernelINS0_14default_configENS1_25transform_config_selectorIbLb0EEEZNS1_14transform_implILb0ES3_S5_N6thrust23THRUST_200600_302600_NS6detail15normal_iteratorINS8_10device_ptrIbEEEEPbNS0_8identityIbEEEE10hipError_tT2_T3_mT4_P12ihipStream_tbEUlT_E_NS1_11comp_targetILNS1_3genE3ELNS1_11target_archE908ELNS1_3gpuE7ELNS1_3repE0EEENS1_30default_config_static_selectorELNS0_4arch9wavefront6targetE1EEEvT1_, .Lfunc_end2035-_ZN7rocprim17ROCPRIM_400000_NS6detail17trampoline_kernelINS0_14default_configENS1_25transform_config_selectorIbLb0EEEZNS1_14transform_implILb0ES3_S5_N6thrust23THRUST_200600_302600_NS6detail15normal_iteratorINS8_10device_ptrIbEEEEPbNS0_8identityIbEEEE10hipError_tT2_T3_mT4_P12ihipStream_tbEUlT_E_NS1_11comp_targetILNS1_3genE3ELNS1_11target_archE908ELNS1_3gpuE7ELNS1_3repE0EEENS1_30default_config_static_selectorELNS0_4arch9wavefront6targetE1EEEvT1_
                                        ; -- End function
	.set _ZN7rocprim17ROCPRIM_400000_NS6detail17trampoline_kernelINS0_14default_configENS1_25transform_config_selectorIbLb0EEEZNS1_14transform_implILb0ES3_S5_N6thrust23THRUST_200600_302600_NS6detail15normal_iteratorINS8_10device_ptrIbEEEEPbNS0_8identityIbEEEE10hipError_tT2_T3_mT4_P12ihipStream_tbEUlT_E_NS1_11comp_targetILNS1_3genE3ELNS1_11target_archE908ELNS1_3gpuE7ELNS1_3repE0EEENS1_30default_config_static_selectorELNS0_4arch9wavefront6targetE1EEEvT1_.num_vgpr, 0
	.set _ZN7rocprim17ROCPRIM_400000_NS6detail17trampoline_kernelINS0_14default_configENS1_25transform_config_selectorIbLb0EEEZNS1_14transform_implILb0ES3_S5_N6thrust23THRUST_200600_302600_NS6detail15normal_iteratorINS8_10device_ptrIbEEEEPbNS0_8identityIbEEEE10hipError_tT2_T3_mT4_P12ihipStream_tbEUlT_E_NS1_11comp_targetILNS1_3genE3ELNS1_11target_archE908ELNS1_3gpuE7ELNS1_3repE0EEENS1_30default_config_static_selectorELNS0_4arch9wavefront6targetE1EEEvT1_.num_agpr, 0
	.set _ZN7rocprim17ROCPRIM_400000_NS6detail17trampoline_kernelINS0_14default_configENS1_25transform_config_selectorIbLb0EEEZNS1_14transform_implILb0ES3_S5_N6thrust23THRUST_200600_302600_NS6detail15normal_iteratorINS8_10device_ptrIbEEEEPbNS0_8identityIbEEEE10hipError_tT2_T3_mT4_P12ihipStream_tbEUlT_E_NS1_11comp_targetILNS1_3genE3ELNS1_11target_archE908ELNS1_3gpuE7ELNS1_3repE0EEENS1_30default_config_static_selectorELNS0_4arch9wavefront6targetE1EEEvT1_.numbered_sgpr, 0
	.set _ZN7rocprim17ROCPRIM_400000_NS6detail17trampoline_kernelINS0_14default_configENS1_25transform_config_selectorIbLb0EEEZNS1_14transform_implILb0ES3_S5_N6thrust23THRUST_200600_302600_NS6detail15normal_iteratorINS8_10device_ptrIbEEEEPbNS0_8identityIbEEEE10hipError_tT2_T3_mT4_P12ihipStream_tbEUlT_E_NS1_11comp_targetILNS1_3genE3ELNS1_11target_archE908ELNS1_3gpuE7ELNS1_3repE0EEENS1_30default_config_static_selectorELNS0_4arch9wavefront6targetE1EEEvT1_.num_named_barrier, 0
	.set _ZN7rocprim17ROCPRIM_400000_NS6detail17trampoline_kernelINS0_14default_configENS1_25transform_config_selectorIbLb0EEEZNS1_14transform_implILb0ES3_S5_N6thrust23THRUST_200600_302600_NS6detail15normal_iteratorINS8_10device_ptrIbEEEEPbNS0_8identityIbEEEE10hipError_tT2_T3_mT4_P12ihipStream_tbEUlT_E_NS1_11comp_targetILNS1_3genE3ELNS1_11target_archE908ELNS1_3gpuE7ELNS1_3repE0EEENS1_30default_config_static_selectorELNS0_4arch9wavefront6targetE1EEEvT1_.private_seg_size, 0
	.set _ZN7rocprim17ROCPRIM_400000_NS6detail17trampoline_kernelINS0_14default_configENS1_25transform_config_selectorIbLb0EEEZNS1_14transform_implILb0ES3_S5_N6thrust23THRUST_200600_302600_NS6detail15normal_iteratorINS8_10device_ptrIbEEEEPbNS0_8identityIbEEEE10hipError_tT2_T3_mT4_P12ihipStream_tbEUlT_E_NS1_11comp_targetILNS1_3genE3ELNS1_11target_archE908ELNS1_3gpuE7ELNS1_3repE0EEENS1_30default_config_static_selectorELNS0_4arch9wavefront6targetE1EEEvT1_.uses_vcc, 0
	.set _ZN7rocprim17ROCPRIM_400000_NS6detail17trampoline_kernelINS0_14default_configENS1_25transform_config_selectorIbLb0EEEZNS1_14transform_implILb0ES3_S5_N6thrust23THRUST_200600_302600_NS6detail15normal_iteratorINS8_10device_ptrIbEEEEPbNS0_8identityIbEEEE10hipError_tT2_T3_mT4_P12ihipStream_tbEUlT_E_NS1_11comp_targetILNS1_3genE3ELNS1_11target_archE908ELNS1_3gpuE7ELNS1_3repE0EEENS1_30default_config_static_selectorELNS0_4arch9wavefront6targetE1EEEvT1_.uses_flat_scratch, 0
	.set _ZN7rocprim17ROCPRIM_400000_NS6detail17trampoline_kernelINS0_14default_configENS1_25transform_config_selectorIbLb0EEEZNS1_14transform_implILb0ES3_S5_N6thrust23THRUST_200600_302600_NS6detail15normal_iteratorINS8_10device_ptrIbEEEEPbNS0_8identityIbEEEE10hipError_tT2_T3_mT4_P12ihipStream_tbEUlT_E_NS1_11comp_targetILNS1_3genE3ELNS1_11target_archE908ELNS1_3gpuE7ELNS1_3repE0EEENS1_30default_config_static_selectorELNS0_4arch9wavefront6targetE1EEEvT1_.has_dyn_sized_stack, 0
	.set _ZN7rocprim17ROCPRIM_400000_NS6detail17trampoline_kernelINS0_14default_configENS1_25transform_config_selectorIbLb0EEEZNS1_14transform_implILb0ES3_S5_N6thrust23THRUST_200600_302600_NS6detail15normal_iteratorINS8_10device_ptrIbEEEEPbNS0_8identityIbEEEE10hipError_tT2_T3_mT4_P12ihipStream_tbEUlT_E_NS1_11comp_targetILNS1_3genE3ELNS1_11target_archE908ELNS1_3gpuE7ELNS1_3repE0EEENS1_30default_config_static_selectorELNS0_4arch9wavefront6targetE1EEEvT1_.has_recursion, 0
	.set _ZN7rocprim17ROCPRIM_400000_NS6detail17trampoline_kernelINS0_14default_configENS1_25transform_config_selectorIbLb0EEEZNS1_14transform_implILb0ES3_S5_N6thrust23THRUST_200600_302600_NS6detail15normal_iteratorINS8_10device_ptrIbEEEEPbNS0_8identityIbEEEE10hipError_tT2_T3_mT4_P12ihipStream_tbEUlT_E_NS1_11comp_targetILNS1_3genE3ELNS1_11target_archE908ELNS1_3gpuE7ELNS1_3repE0EEENS1_30default_config_static_selectorELNS0_4arch9wavefront6targetE1EEEvT1_.has_indirect_call, 0
	.section	.AMDGPU.csdata,"",@progbits
; Kernel info:
; codeLenInByte = 0
; TotalNumSgprs: 6
; NumVgprs: 0
; NumAgprs: 0
; TotalNumVgprs: 0
; ScratchSize: 0
; MemoryBound: 0
; FloatMode: 240
; IeeeMode: 1
; LDSByteSize: 0 bytes/workgroup (compile time only)
; SGPRBlocks: 0
; VGPRBlocks: 0
; NumSGPRsForWavesPerEU: 6
; NumVGPRsForWavesPerEU: 1
; AccumOffset: 4
; Occupancy: 8
; WaveLimiterHint : 0
; COMPUTE_PGM_RSRC2:SCRATCH_EN: 0
; COMPUTE_PGM_RSRC2:USER_SGPR: 2
; COMPUTE_PGM_RSRC2:TRAP_HANDLER: 0
; COMPUTE_PGM_RSRC2:TGID_X_EN: 1
; COMPUTE_PGM_RSRC2:TGID_Y_EN: 0
; COMPUTE_PGM_RSRC2:TGID_Z_EN: 0
; COMPUTE_PGM_RSRC2:TIDIG_COMP_CNT: 0
; COMPUTE_PGM_RSRC3_GFX90A:ACCUM_OFFSET: 0
; COMPUTE_PGM_RSRC3_GFX90A:TG_SPLIT: 0
	.section	.text._ZN7rocprim17ROCPRIM_400000_NS6detail17trampoline_kernelINS0_14default_configENS1_25transform_config_selectorIbLb0EEEZNS1_14transform_implILb0ES3_S5_N6thrust23THRUST_200600_302600_NS6detail15normal_iteratorINS8_10device_ptrIbEEEEPbNS0_8identityIbEEEE10hipError_tT2_T3_mT4_P12ihipStream_tbEUlT_E_NS1_11comp_targetILNS1_3genE2ELNS1_11target_archE906ELNS1_3gpuE6ELNS1_3repE0EEENS1_30default_config_static_selectorELNS0_4arch9wavefront6targetE1EEEvT1_,"axG",@progbits,_ZN7rocprim17ROCPRIM_400000_NS6detail17trampoline_kernelINS0_14default_configENS1_25transform_config_selectorIbLb0EEEZNS1_14transform_implILb0ES3_S5_N6thrust23THRUST_200600_302600_NS6detail15normal_iteratorINS8_10device_ptrIbEEEEPbNS0_8identityIbEEEE10hipError_tT2_T3_mT4_P12ihipStream_tbEUlT_E_NS1_11comp_targetILNS1_3genE2ELNS1_11target_archE906ELNS1_3gpuE6ELNS1_3repE0EEENS1_30default_config_static_selectorELNS0_4arch9wavefront6targetE1EEEvT1_,comdat
	.protected	_ZN7rocprim17ROCPRIM_400000_NS6detail17trampoline_kernelINS0_14default_configENS1_25transform_config_selectorIbLb0EEEZNS1_14transform_implILb0ES3_S5_N6thrust23THRUST_200600_302600_NS6detail15normal_iteratorINS8_10device_ptrIbEEEEPbNS0_8identityIbEEEE10hipError_tT2_T3_mT4_P12ihipStream_tbEUlT_E_NS1_11comp_targetILNS1_3genE2ELNS1_11target_archE906ELNS1_3gpuE6ELNS1_3repE0EEENS1_30default_config_static_selectorELNS0_4arch9wavefront6targetE1EEEvT1_ ; -- Begin function _ZN7rocprim17ROCPRIM_400000_NS6detail17trampoline_kernelINS0_14default_configENS1_25transform_config_selectorIbLb0EEEZNS1_14transform_implILb0ES3_S5_N6thrust23THRUST_200600_302600_NS6detail15normal_iteratorINS8_10device_ptrIbEEEEPbNS0_8identityIbEEEE10hipError_tT2_T3_mT4_P12ihipStream_tbEUlT_E_NS1_11comp_targetILNS1_3genE2ELNS1_11target_archE906ELNS1_3gpuE6ELNS1_3repE0EEENS1_30default_config_static_selectorELNS0_4arch9wavefront6targetE1EEEvT1_
	.globl	_ZN7rocprim17ROCPRIM_400000_NS6detail17trampoline_kernelINS0_14default_configENS1_25transform_config_selectorIbLb0EEEZNS1_14transform_implILb0ES3_S5_N6thrust23THRUST_200600_302600_NS6detail15normal_iteratorINS8_10device_ptrIbEEEEPbNS0_8identityIbEEEE10hipError_tT2_T3_mT4_P12ihipStream_tbEUlT_E_NS1_11comp_targetILNS1_3genE2ELNS1_11target_archE906ELNS1_3gpuE6ELNS1_3repE0EEENS1_30default_config_static_selectorELNS0_4arch9wavefront6targetE1EEEvT1_
	.p2align	8
	.type	_ZN7rocprim17ROCPRIM_400000_NS6detail17trampoline_kernelINS0_14default_configENS1_25transform_config_selectorIbLb0EEEZNS1_14transform_implILb0ES3_S5_N6thrust23THRUST_200600_302600_NS6detail15normal_iteratorINS8_10device_ptrIbEEEEPbNS0_8identityIbEEEE10hipError_tT2_T3_mT4_P12ihipStream_tbEUlT_E_NS1_11comp_targetILNS1_3genE2ELNS1_11target_archE906ELNS1_3gpuE6ELNS1_3repE0EEENS1_30default_config_static_selectorELNS0_4arch9wavefront6targetE1EEEvT1_,@function
_ZN7rocprim17ROCPRIM_400000_NS6detail17trampoline_kernelINS0_14default_configENS1_25transform_config_selectorIbLb0EEEZNS1_14transform_implILb0ES3_S5_N6thrust23THRUST_200600_302600_NS6detail15normal_iteratorINS8_10device_ptrIbEEEEPbNS0_8identityIbEEEE10hipError_tT2_T3_mT4_P12ihipStream_tbEUlT_E_NS1_11comp_targetILNS1_3genE2ELNS1_11target_archE906ELNS1_3gpuE6ELNS1_3repE0EEENS1_30default_config_static_selectorELNS0_4arch9wavefront6targetE1EEEvT1_: ; @_ZN7rocprim17ROCPRIM_400000_NS6detail17trampoline_kernelINS0_14default_configENS1_25transform_config_selectorIbLb0EEEZNS1_14transform_implILb0ES3_S5_N6thrust23THRUST_200600_302600_NS6detail15normal_iteratorINS8_10device_ptrIbEEEEPbNS0_8identityIbEEEE10hipError_tT2_T3_mT4_P12ihipStream_tbEUlT_E_NS1_11comp_targetILNS1_3genE2ELNS1_11target_archE906ELNS1_3gpuE6ELNS1_3repE0EEENS1_30default_config_static_selectorELNS0_4arch9wavefront6targetE1EEEvT1_
; %bb.0:
	.section	.rodata,"a",@progbits
	.p2align	6, 0x0
	.amdhsa_kernel _ZN7rocprim17ROCPRIM_400000_NS6detail17trampoline_kernelINS0_14default_configENS1_25transform_config_selectorIbLb0EEEZNS1_14transform_implILb0ES3_S5_N6thrust23THRUST_200600_302600_NS6detail15normal_iteratorINS8_10device_ptrIbEEEEPbNS0_8identityIbEEEE10hipError_tT2_T3_mT4_P12ihipStream_tbEUlT_E_NS1_11comp_targetILNS1_3genE2ELNS1_11target_archE906ELNS1_3gpuE6ELNS1_3repE0EEENS1_30default_config_static_selectorELNS0_4arch9wavefront6targetE1EEEvT1_
		.amdhsa_group_segment_fixed_size 0
		.amdhsa_private_segment_fixed_size 0
		.amdhsa_kernarg_size 40
		.amdhsa_user_sgpr_count 2
		.amdhsa_user_sgpr_dispatch_ptr 0
		.amdhsa_user_sgpr_queue_ptr 0
		.amdhsa_user_sgpr_kernarg_segment_ptr 1
		.amdhsa_user_sgpr_dispatch_id 0
		.amdhsa_user_sgpr_kernarg_preload_length 0
		.amdhsa_user_sgpr_kernarg_preload_offset 0
		.amdhsa_user_sgpr_private_segment_size 0
		.amdhsa_uses_dynamic_stack 0
		.amdhsa_enable_private_segment 0
		.amdhsa_system_sgpr_workgroup_id_x 1
		.amdhsa_system_sgpr_workgroup_id_y 0
		.amdhsa_system_sgpr_workgroup_id_z 0
		.amdhsa_system_sgpr_workgroup_info 0
		.amdhsa_system_vgpr_workitem_id 0
		.amdhsa_next_free_vgpr 1
		.amdhsa_next_free_sgpr 0
		.amdhsa_accum_offset 4
		.amdhsa_reserve_vcc 0
		.amdhsa_float_round_mode_32 0
		.amdhsa_float_round_mode_16_64 0
		.amdhsa_float_denorm_mode_32 3
		.amdhsa_float_denorm_mode_16_64 3
		.amdhsa_dx10_clamp 1
		.amdhsa_ieee_mode 1
		.amdhsa_fp16_overflow 0
		.amdhsa_tg_split 0
		.amdhsa_exception_fp_ieee_invalid_op 0
		.amdhsa_exception_fp_denorm_src 0
		.amdhsa_exception_fp_ieee_div_zero 0
		.amdhsa_exception_fp_ieee_overflow 0
		.amdhsa_exception_fp_ieee_underflow 0
		.amdhsa_exception_fp_ieee_inexact 0
		.amdhsa_exception_int_div_zero 0
	.end_amdhsa_kernel
	.section	.text._ZN7rocprim17ROCPRIM_400000_NS6detail17trampoline_kernelINS0_14default_configENS1_25transform_config_selectorIbLb0EEEZNS1_14transform_implILb0ES3_S5_N6thrust23THRUST_200600_302600_NS6detail15normal_iteratorINS8_10device_ptrIbEEEEPbNS0_8identityIbEEEE10hipError_tT2_T3_mT4_P12ihipStream_tbEUlT_E_NS1_11comp_targetILNS1_3genE2ELNS1_11target_archE906ELNS1_3gpuE6ELNS1_3repE0EEENS1_30default_config_static_selectorELNS0_4arch9wavefront6targetE1EEEvT1_,"axG",@progbits,_ZN7rocprim17ROCPRIM_400000_NS6detail17trampoline_kernelINS0_14default_configENS1_25transform_config_selectorIbLb0EEEZNS1_14transform_implILb0ES3_S5_N6thrust23THRUST_200600_302600_NS6detail15normal_iteratorINS8_10device_ptrIbEEEEPbNS0_8identityIbEEEE10hipError_tT2_T3_mT4_P12ihipStream_tbEUlT_E_NS1_11comp_targetILNS1_3genE2ELNS1_11target_archE906ELNS1_3gpuE6ELNS1_3repE0EEENS1_30default_config_static_selectorELNS0_4arch9wavefront6targetE1EEEvT1_,comdat
.Lfunc_end2036:
	.size	_ZN7rocprim17ROCPRIM_400000_NS6detail17trampoline_kernelINS0_14default_configENS1_25transform_config_selectorIbLb0EEEZNS1_14transform_implILb0ES3_S5_N6thrust23THRUST_200600_302600_NS6detail15normal_iteratorINS8_10device_ptrIbEEEEPbNS0_8identityIbEEEE10hipError_tT2_T3_mT4_P12ihipStream_tbEUlT_E_NS1_11comp_targetILNS1_3genE2ELNS1_11target_archE906ELNS1_3gpuE6ELNS1_3repE0EEENS1_30default_config_static_selectorELNS0_4arch9wavefront6targetE1EEEvT1_, .Lfunc_end2036-_ZN7rocprim17ROCPRIM_400000_NS6detail17trampoline_kernelINS0_14default_configENS1_25transform_config_selectorIbLb0EEEZNS1_14transform_implILb0ES3_S5_N6thrust23THRUST_200600_302600_NS6detail15normal_iteratorINS8_10device_ptrIbEEEEPbNS0_8identityIbEEEE10hipError_tT2_T3_mT4_P12ihipStream_tbEUlT_E_NS1_11comp_targetILNS1_3genE2ELNS1_11target_archE906ELNS1_3gpuE6ELNS1_3repE0EEENS1_30default_config_static_selectorELNS0_4arch9wavefront6targetE1EEEvT1_
                                        ; -- End function
	.set _ZN7rocprim17ROCPRIM_400000_NS6detail17trampoline_kernelINS0_14default_configENS1_25transform_config_selectorIbLb0EEEZNS1_14transform_implILb0ES3_S5_N6thrust23THRUST_200600_302600_NS6detail15normal_iteratorINS8_10device_ptrIbEEEEPbNS0_8identityIbEEEE10hipError_tT2_T3_mT4_P12ihipStream_tbEUlT_E_NS1_11comp_targetILNS1_3genE2ELNS1_11target_archE906ELNS1_3gpuE6ELNS1_3repE0EEENS1_30default_config_static_selectorELNS0_4arch9wavefront6targetE1EEEvT1_.num_vgpr, 0
	.set _ZN7rocprim17ROCPRIM_400000_NS6detail17trampoline_kernelINS0_14default_configENS1_25transform_config_selectorIbLb0EEEZNS1_14transform_implILb0ES3_S5_N6thrust23THRUST_200600_302600_NS6detail15normal_iteratorINS8_10device_ptrIbEEEEPbNS0_8identityIbEEEE10hipError_tT2_T3_mT4_P12ihipStream_tbEUlT_E_NS1_11comp_targetILNS1_3genE2ELNS1_11target_archE906ELNS1_3gpuE6ELNS1_3repE0EEENS1_30default_config_static_selectorELNS0_4arch9wavefront6targetE1EEEvT1_.num_agpr, 0
	.set _ZN7rocprim17ROCPRIM_400000_NS6detail17trampoline_kernelINS0_14default_configENS1_25transform_config_selectorIbLb0EEEZNS1_14transform_implILb0ES3_S5_N6thrust23THRUST_200600_302600_NS6detail15normal_iteratorINS8_10device_ptrIbEEEEPbNS0_8identityIbEEEE10hipError_tT2_T3_mT4_P12ihipStream_tbEUlT_E_NS1_11comp_targetILNS1_3genE2ELNS1_11target_archE906ELNS1_3gpuE6ELNS1_3repE0EEENS1_30default_config_static_selectorELNS0_4arch9wavefront6targetE1EEEvT1_.numbered_sgpr, 0
	.set _ZN7rocprim17ROCPRIM_400000_NS6detail17trampoline_kernelINS0_14default_configENS1_25transform_config_selectorIbLb0EEEZNS1_14transform_implILb0ES3_S5_N6thrust23THRUST_200600_302600_NS6detail15normal_iteratorINS8_10device_ptrIbEEEEPbNS0_8identityIbEEEE10hipError_tT2_T3_mT4_P12ihipStream_tbEUlT_E_NS1_11comp_targetILNS1_3genE2ELNS1_11target_archE906ELNS1_3gpuE6ELNS1_3repE0EEENS1_30default_config_static_selectorELNS0_4arch9wavefront6targetE1EEEvT1_.num_named_barrier, 0
	.set _ZN7rocprim17ROCPRIM_400000_NS6detail17trampoline_kernelINS0_14default_configENS1_25transform_config_selectorIbLb0EEEZNS1_14transform_implILb0ES3_S5_N6thrust23THRUST_200600_302600_NS6detail15normal_iteratorINS8_10device_ptrIbEEEEPbNS0_8identityIbEEEE10hipError_tT2_T3_mT4_P12ihipStream_tbEUlT_E_NS1_11comp_targetILNS1_3genE2ELNS1_11target_archE906ELNS1_3gpuE6ELNS1_3repE0EEENS1_30default_config_static_selectorELNS0_4arch9wavefront6targetE1EEEvT1_.private_seg_size, 0
	.set _ZN7rocprim17ROCPRIM_400000_NS6detail17trampoline_kernelINS0_14default_configENS1_25transform_config_selectorIbLb0EEEZNS1_14transform_implILb0ES3_S5_N6thrust23THRUST_200600_302600_NS6detail15normal_iteratorINS8_10device_ptrIbEEEEPbNS0_8identityIbEEEE10hipError_tT2_T3_mT4_P12ihipStream_tbEUlT_E_NS1_11comp_targetILNS1_3genE2ELNS1_11target_archE906ELNS1_3gpuE6ELNS1_3repE0EEENS1_30default_config_static_selectorELNS0_4arch9wavefront6targetE1EEEvT1_.uses_vcc, 0
	.set _ZN7rocprim17ROCPRIM_400000_NS6detail17trampoline_kernelINS0_14default_configENS1_25transform_config_selectorIbLb0EEEZNS1_14transform_implILb0ES3_S5_N6thrust23THRUST_200600_302600_NS6detail15normal_iteratorINS8_10device_ptrIbEEEEPbNS0_8identityIbEEEE10hipError_tT2_T3_mT4_P12ihipStream_tbEUlT_E_NS1_11comp_targetILNS1_3genE2ELNS1_11target_archE906ELNS1_3gpuE6ELNS1_3repE0EEENS1_30default_config_static_selectorELNS0_4arch9wavefront6targetE1EEEvT1_.uses_flat_scratch, 0
	.set _ZN7rocprim17ROCPRIM_400000_NS6detail17trampoline_kernelINS0_14default_configENS1_25transform_config_selectorIbLb0EEEZNS1_14transform_implILb0ES3_S5_N6thrust23THRUST_200600_302600_NS6detail15normal_iteratorINS8_10device_ptrIbEEEEPbNS0_8identityIbEEEE10hipError_tT2_T3_mT4_P12ihipStream_tbEUlT_E_NS1_11comp_targetILNS1_3genE2ELNS1_11target_archE906ELNS1_3gpuE6ELNS1_3repE0EEENS1_30default_config_static_selectorELNS0_4arch9wavefront6targetE1EEEvT1_.has_dyn_sized_stack, 0
	.set _ZN7rocprim17ROCPRIM_400000_NS6detail17trampoline_kernelINS0_14default_configENS1_25transform_config_selectorIbLb0EEEZNS1_14transform_implILb0ES3_S5_N6thrust23THRUST_200600_302600_NS6detail15normal_iteratorINS8_10device_ptrIbEEEEPbNS0_8identityIbEEEE10hipError_tT2_T3_mT4_P12ihipStream_tbEUlT_E_NS1_11comp_targetILNS1_3genE2ELNS1_11target_archE906ELNS1_3gpuE6ELNS1_3repE0EEENS1_30default_config_static_selectorELNS0_4arch9wavefront6targetE1EEEvT1_.has_recursion, 0
	.set _ZN7rocprim17ROCPRIM_400000_NS6detail17trampoline_kernelINS0_14default_configENS1_25transform_config_selectorIbLb0EEEZNS1_14transform_implILb0ES3_S5_N6thrust23THRUST_200600_302600_NS6detail15normal_iteratorINS8_10device_ptrIbEEEEPbNS0_8identityIbEEEE10hipError_tT2_T3_mT4_P12ihipStream_tbEUlT_E_NS1_11comp_targetILNS1_3genE2ELNS1_11target_archE906ELNS1_3gpuE6ELNS1_3repE0EEENS1_30default_config_static_selectorELNS0_4arch9wavefront6targetE1EEEvT1_.has_indirect_call, 0
	.section	.AMDGPU.csdata,"",@progbits
; Kernel info:
; codeLenInByte = 0
; TotalNumSgprs: 6
; NumVgprs: 0
; NumAgprs: 0
; TotalNumVgprs: 0
; ScratchSize: 0
; MemoryBound: 0
; FloatMode: 240
; IeeeMode: 1
; LDSByteSize: 0 bytes/workgroup (compile time only)
; SGPRBlocks: 0
; VGPRBlocks: 0
; NumSGPRsForWavesPerEU: 6
; NumVGPRsForWavesPerEU: 1
; AccumOffset: 4
; Occupancy: 8
; WaveLimiterHint : 0
; COMPUTE_PGM_RSRC2:SCRATCH_EN: 0
; COMPUTE_PGM_RSRC2:USER_SGPR: 2
; COMPUTE_PGM_RSRC2:TRAP_HANDLER: 0
; COMPUTE_PGM_RSRC2:TGID_X_EN: 1
; COMPUTE_PGM_RSRC2:TGID_Y_EN: 0
; COMPUTE_PGM_RSRC2:TGID_Z_EN: 0
; COMPUTE_PGM_RSRC2:TIDIG_COMP_CNT: 0
; COMPUTE_PGM_RSRC3_GFX90A:ACCUM_OFFSET: 0
; COMPUTE_PGM_RSRC3_GFX90A:TG_SPLIT: 0
	.section	.text._ZN7rocprim17ROCPRIM_400000_NS6detail17trampoline_kernelINS0_14default_configENS1_25transform_config_selectorIbLb0EEEZNS1_14transform_implILb0ES3_S5_N6thrust23THRUST_200600_302600_NS6detail15normal_iteratorINS8_10device_ptrIbEEEEPbNS0_8identityIbEEEE10hipError_tT2_T3_mT4_P12ihipStream_tbEUlT_E_NS1_11comp_targetILNS1_3genE10ELNS1_11target_archE1201ELNS1_3gpuE5ELNS1_3repE0EEENS1_30default_config_static_selectorELNS0_4arch9wavefront6targetE1EEEvT1_,"axG",@progbits,_ZN7rocprim17ROCPRIM_400000_NS6detail17trampoline_kernelINS0_14default_configENS1_25transform_config_selectorIbLb0EEEZNS1_14transform_implILb0ES3_S5_N6thrust23THRUST_200600_302600_NS6detail15normal_iteratorINS8_10device_ptrIbEEEEPbNS0_8identityIbEEEE10hipError_tT2_T3_mT4_P12ihipStream_tbEUlT_E_NS1_11comp_targetILNS1_3genE10ELNS1_11target_archE1201ELNS1_3gpuE5ELNS1_3repE0EEENS1_30default_config_static_selectorELNS0_4arch9wavefront6targetE1EEEvT1_,comdat
	.protected	_ZN7rocprim17ROCPRIM_400000_NS6detail17trampoline_kernelINS0_14default_configENS1_25transform_config_selectorIbLb0EEEZNS1_14transform_implILb0ES3_S5_N6thrust23THRUST_200600_302600_NS6detail15normal_iteratorINS8_10device_ptrIbEEEEPbNS0_8identityIbEEEE10hipError_tT2_T3_mT4_P12ihipStream_tbEUlT_E_NS1_11comp_targetILNS1_3genE10ELNS1_11target_archE1201ELNS1_3gpuE5ELNS1_3repE0EEENS1_30default_config_static_selectorELNS0_4arch9wavefront6targetE1EEEvT1_ ; -- Begin function _ZN7rocprim17ROCPRIM_400000_NS6detail17trampoline_kernelINS0_14default_configENS1_25transform_config_selectorIbLb0EEEZNS1_14transform_implILb0ES3_S5_N6thrust23THRUST_200600_302600_NS6detail15normal_iteratorINS8_10device_ptrIbEEEEPbNS0_8identityIbEEEE10hipError_tT2_T3_mT4_P12ihipStream_tbEUlT_E_NS1_11comp_targetILNS1_3genE10ELNS1_11target_archE1201ELNS1_3gpuE5ELNS1_3repE0EEENS1_30default_config_static_selectorELNS0_4arch9wavefront6targetE1EEEvT1_
	.globl	_ZN7rocprim17ROCPRIM_400000_NS6detail17trampoline_kernelINS0_14default_configENS1_25transform_config_selectorIbLb0EEEZNS1_14transform_implILb0ES3_S5_N6thrust23THRUST_200600_302600_NS6detail15normal_iteratorINS8_10device_ptrIbEEEEPbNS0_8identityIbEEEE10hipError_tT2_T3_mT4_P12ihipStream_tbEUlT_E_NS1_11comp_targetILNS1_3genE10ELNS1_11target_archE1201ELNS1_3gpuE5ELNS1_3repE0EEENS1_30default_config_static_selectorELNS0_4arch9wavefront6targetE1EEEvT1_
	.p2align	8
	.type	_ZN7rocprim17ROCPRIM_400000_NS6detail17trampoline_kernelINS0_14default_configENS1_25transform_config_selectorIbLb0EEEZNS1_14transform_implILb0ES3_S5_N6thrust23THRUST_200600_302600_NS6detail15normal_iteratorINS8_10device_ptrIbEEEEPbNS0_8identityIbEEEE10hipError_tT2_T3_mT4_P12ihipStream_tbEUlT_E_NS1_11comp_targetILNS1_3genE10ELNS1_11target_archE1201ELNS1_3gpuE5ELNS1_3repE0EEENS1_30default_config_static_selectorELNS0_4arch9wavefront6targetE1EEEvT1_,@function
_ZN7rocprim17ROCPRIM_400000_NS6detail17trampoline_kernelINS0_14default_configENS1_25transform_config_selectorIbLb0EEEZNS1_14transform_implILb0ES3_S5_N6thrust23THRUST_200600_302600_NS6detail15normal_iteratorINS8_10device_ptrIbEEEEPbNS0_8identityIbEEEE10hipError_tT2_T3_mT4_P12ihipStream_tbEUlT_E_NS1_11comp_targetILNS1_3genE10ELNS1_11target_archE1201ELNS1_3gpuE5ELNS1_3repE0EEENS1_30default_config_static_selectorELNS0_4arch9wavefront6targetE1EEEvT1_: ; @_ZN7rocprim17ROCPRIM_400000_NS6detail17trampoline_kernelINS0_14default_configENS1_25transform_config_selectorIbLb0EEEZNS1_14transform_implILb0ES3_S5_N6thrust23THRUST_200600_302600_NS6detail15normal_iteratorINS8_10device_ptrIbEEEEPbNS0_8identityIbEEEE10hipError_tT2_T3_mT4_P12ihipStream_tbEUlT_E_NS1_11comp_targetILNS1_3genE10ELNS1_11target_archE1201ELNS1_3gpuE5ELNS1_3repE0EEENS1_30default_config_static_selectorELNS0_4arch9wavefront6targetE1EEEvT1_
; %bb.0:
	.section	.rodata,"a",@progbits
	.p2align	6, 0x0
	.amdhsa_kernel _ZN7rocprim17ROCPRIM_400000_NS6detail17trampoline_kernelINS0_14default_configENS1_25transform_config_selectorIbLb0EEEZNS1_14transform_implILb0ES3_S5_N6thrust23THRUST_200600_302600_NS6detail15normal_iteratorINS8_10device_ptrIbEEEEPbNS0_8identityIbEEEE10hipError_tT2_T3_mT4_P12ihipStream_tbEUlT_E_NS1_11comp_targetILNS1_3genE10ELNS1_11target_archE1201ELNS1_3gpuE5ELNS1_3repE0EEENS1_30default_config_static_selectorELNS0_4arch9wavefront6targetE1EEEvT1_
		.amdhsa_group_segment_fixed_size 0
		.amdhsa_private_segment_fixed_size 0
		.amdhsa_kernarg_size 40
		.amdhsa_user_sgpr_count 2
		.amdhsa_user_sgpr_dispatch_ptr 0
		.amdhsa_user_sgpr_queue_ptr 0
		.amdhsa_user_sgpr_kernarg_segment_ptr 1
		.amdhsa_user_sgpr_dispatch_id 0
		.amdhsa_user_sgpr_kernarg_preload_length 0
		.amdhsa_user_sgpr_kernarg_preload_offset 0
		.amdhsa_user_sgpr_private_segment_size 0
		.amdhsa_uses_dynamic_stack 0
		.amdhsa_enable_private_segment 0
		.amdhsa_system_sgpr_workgroup_id_x 1
		.amdhsa_system_sgpr_workgroup_id_y 0
		.amdhsa_system_sgpr_workgroup_id_z 0
		.amdhsa_system_sgpr_workgroup_info 0
		.amdhsa_system_vgpr_workitem_id 0
		.amdhsa_next_free_vgpr 1
		.amdhsa_next_free_sgpr 0
		.amdhsa_accum_offset 4
		.amdhsa_reserve_vcc 0
		.amdhsa_float_round_mode_32 0
		.amdhsa_float_round_mode_16_64 0
		.amdhsa_float_denorm_mode_32 3
		.amdhsa_float_denorm_mode_16_64 3
		.amdhsa_dx10_clamp 1
		.amdhsa_ieee_mode 1
		.amdhsa_fp16_overflow 0
		.amdhsa_tg_split 0
		.amdhsa_exception_fp_ieee_invalid_op 0
		.amdhsa_exception_fp_denorm_src 0
		.amdhsa_exception_fp_ieee_div_zero 0
		.amdhsa_exception_fp_ieee_overflow 0
		.amdhsa_exception_fp_ieee_underflow 0
		.amdhsa_exception_fp_ieee_inexact 0
		.amdhsa_exception_int_div_zero 0
	.end_amdhsa_kernel
	.section	.text._ZN7rocprim17ROCPRIM_400000_NS6detail17trampoline_kernelINS0_14default_configENS1_25transform_config_selectorIbLb0EEEZNS1_14transform_implILb0ES3_S5_N6thrust23THRUST_200600_302600_NS6detail15normal_iteratorINS8_10device_ptrIbEEEEPbNS0_8identityIbEEEE10hipError_tT2_T3_mT4_P12ihipStream_tbEUlT_E_NS1_11comp_targetILNS1_3genE10ELNS1_11target_archE1201ELNS1_3gpuE5ELNS1_3repE0EEENS1_30default_config_static_selectorELNS0_4arch9wavefront6targetE1EEEvT1_,"axG",@progbits,_ZN7rocprim17ROCPRIM_400000_NS6detail17trampoline_kernelINS0_14default_configENS1_25transform_config_selectorIbLb0EEEZNS1_14transform_implILb0ES3_S5_N6thrust23THRUST_200600_302600_NS6detail15normal_iteratorINS8_10device_ptrIbEEEEPbNS0_8identityIbEEEE10hipError_tT2_T3_mT4_P12ihipStream_tbEUlT_E_NS1_11comp_targetILNS1_3genE10ELNS1_11target_archE1201ELNS1_3gpuE5ELNS1_3repE0EEENS1_30default_config_static_selectorELNS0_4arch9wavefront6targetE1EEEvT1_,comdat
.Lfunc_end2037:
	.size	_ZN7rocprim17ROCPRIM_400000_NS6detail17trampoline_kernelINS0_14default_configENS1_25transform_config_selectorIbLb0EEEZNS1_14transform_implILb0ES3_S5_N6thrust23THRUST_200600_302600_NS6detail15normal_iteratorINS8_10device_ptrIbEEEEPbNS0_8identityIbEEEE10hipError_tT2_T3_mT4_P12ihipStream_tbEUlT_E_NS1_11comp_targetILNS1_3genE10ELNS1_11target_archE1201ELNS1_3gpuE5ELNS1_3repE0EEENS1_30default_config_static_selectorELNS0_4arch9wavefront6targetE1EEEvT1_, .Lfunc_end2037-_ZN7rocprim17ROCPRIM_400000_NS6detail17trampoline_kernelINS0_14default_configENS1_25transform_config_selectorIbLb0EEEZNS1_14transform_implILb0ES3_S5_N6thrust23THRUST_200600_302600_NS6detail15normal_iteratorINS8_10device_ptrIbEEEEPbNS0_8identityIbEEEE10hipError_tT2_T3_mT4_P12ihipStream_tbEUlT_E_NS1_11comp_targetILNS1_3genE10ELNS1_11target_archE1201ELNS1_3gpuE5ELNS1_3repE0EEENS1_30default_config_static_selectorELNS0_4arch9wavefront6targetE1EEEvT1_
                                        ; -- End function
	.set _ZN7rocprim17ROCPRIM_400000_NS6detail17trampoline_kernelINS0_14default_configENS1_25transform_config_selectorIbLb0EEEZNS1_14transform_implILb0ES3_S5_N6thrust23THRUST_200600_302600_NS6detail15normal_iteratorINS8_10device_ptrIbEEEEPbNS0_8identityIbEEEE10hipError_tT2_T3_mT4_P12ihipStream_tbEUlT_E_NS1_11comp_targetILNS1_3genE10ELNS1_11target_archE1201ELNS1_3gpuE5ELNS1_3repE0EEENS1_30default_config_static_selectorELNS0_4arch9wavefront6targetE1EEEvT1_.num_vgpr, 0
	.set _ZN7rocprim17ROCPRIM_400000_NS6detail17trampoline_kernelINS0_14default_configENS1_25transform_config_selectorIbLb0EEEZNS1_14transform_implILb0ES3_S5_N6thrust23THRUST_200600_302600_NS6detail15normal_iteratorINS8_10device_ptrIbEEEEPbNS0_8identityIbEEEE10hipError_tT2_T3_mT4_P12ihipStream_tbEUlT_E_NS1_11comp_targetILNS1_3genE10ELNS1_11target_archE1201ELNS1_3gpuE5ELNS1_3repE0EEENS1_30default_config_static_selectorELNS0_4arch9wavefront6targetE1EEEvT1_.num_agpr, 0
	.set _ZN7rocprim17ROCPRIM_400000_NS6detail17trampoline_kernelINS0_14default_configENS1_25transform_config_selectorIbLb0EEEZNS1_14transform_implILb0ES3_S5_N6thrust23THRUST_200600_302600_NS6detail15normal_iteratorINS8_10device_ptrIbEEEEPbNS0_8identityIbEEEE10hipError_tT2_T3_mT4_P12ihipStream_tbEUlT_E_NS1_11comp_targetILNS1_3genE10ELNS1_11target_archE1201ELNS1_3gpuE5ELNS1_3repE0EEENS1_30default_config_static_selectorELNS0_4arch9wavefront6targetE1EEEvT1_.numbered_sgpr, 0
	.set _ZN7rocprim17ROCPRIM_400000_NS6detail17trampoline_kernelINS0_14default_configENS1_25transform_config_selectorIbLb0EEEZNS1_14transform_implILb0ES3_S5_N6thrust23THRUST_200600_302600_NS6detail15normal_iteratorINS8_10device_ptrIbEEEEPbNS0_8identityIbEEEE10hipError_tT2_T3_mT4_P12ihipStream_tbEUlT_E_NS1_11comp_targetILNS1_3genE10ELNS1_11target_archE1201ELNS1_3gpuE5ELNS1_3repE0EEENS1_30default_config_static_selectorELNS0_4arch9wavefront6targetE1EEEvT1_.num_named_barrier, 0
	.set _ZN7rocprim17ROCPRIM_400000_NS6detail17trampoline_kernelINS0_14default_configENS1_25transform_config_selectorIbLb0EEEZNS1_14transform_implILb0ES3_S5_N6thrust23THRUST_200600_302600_NS6detail15normal_iteratorINS8_10device_ptrIbEEEEPbNS0_8identityIbEEEE10hipError_tT2_T3_mT4_P12ihipStream_tbEUlT_E_NS1_11comp_targetILNS1_3genE10ELNS1_11target_archE1201ELNS1_3gpuE5ELNS1_3repE0EEENS1_30default_config_static_selectorELNS0_4arch9wavefront6targetE1EEEvT1_.private_seg_size, 0
	.set _ZN7rocprim17ROCPRIM_400000_NS6detail17trampoline_kernelINS0_14default_configENS1_25transform_config_selectorIbLb0EEEZNS1_14transform_implILb0ES3_S5_N6thrust23THRUST_200600_302600_NS6detail15normal_iteratorINS8_10device_ptrIbEEEEPbNS0_8identityIbEEEE10hipError_tT2_T3_mT4_P12ihipStream_tbEUlT_E_NS1_11comp_targetILNS1_3genE10ELNS1_11target_archE1201ELNS1_3gpuE5ELNS1_3repE0EEENS1_30default_config_static_selectorELNS0_4arch9wavefront6targetE1EEEvT1_.uses_vcc, 0
	.set _ZN7rocprim17ROCPRIM_400000_NS6detail17trampoline_kernelINS0_14default_configENS1_25transform_config_selectorIbLb0EEEZNS1_14transform_implILb0ES3_S5_N6thrust23THRUST_200600_302600_NS6detail15normal_iteratorINS8_10device_ptrIbEEEEPbNS0_8identityIbEEEE10hipError_tT2_T3_mT4_P12ihipStream_tbEUlT_E_NS1_11comp_targetILNS1_3genE10ELNS1_11target_archE1201ELNS1_3gpuE5ELNS1_3repE0EEENS1_30default_config_static_selectorELNS0_4arch9wavefront6targetE1EEEvT1_.uses_flat_scratch, 0
	.set _ZN7rocprim17ROCPRIM_400000_NS6detail17trampoline_kernelINS0_14default_configENS1_25transform_config_selectorIbLb0EEEZNS1_14transform_implILb0ES3_S5_N6thrust23THRUST_200600_302600_NS6detail15normal_iteratorINS8_10device_ptrIbEEEEPbNS0_8identityIbEEEE10hipError_tT2_T3_mT4_P12ihipStream_tbEUlT_E_NS1_11comp_targetILNS1_3genE10ELNS1_11target_archE1201ELNS1_3gpuE5ELNS1_3repE0EEENS1_30default_config_static_selectorELNS0_4arch9wavefront6targetE1EEEvT1_.has_dyn_sized_stack, 0
	.set _ZN7rocprim17ROCPRIM_400000_NS6detail17trampoline_kernelINS0_14default_configENS1_25transform_config_selectorIbLb0EEEZNS1_14transform_implILb0ES3_S5_N6thrust23THRUST_200600_302600_NS6detail15normal_iteratorINS8_10device_ptrIbEEEEPbNS0_8identityIbEEEE10hipError_tT2_T3_mT4_P12ihipStream_tbEUlT_E_NS1_11comp_targetILNS1_3genE10ELNS1_11target_archE1201ELNS1_3gpuE5ELNS1_3repE0EEENS1_30default_config_static_selectorELNS0_4arch9wavefront6targetE1EEEvT1_.has_recursion, 0
	.set _ZN7rocprim17ROCPRIM_400000_NS6detail17trampoline_kernelINS0_14default_configENS1_25transform_config_selectorIbLb0EEEZNS1_14transform_implILb0ES3_S5_N6thrust23THRUST_200600_302600_NS6detail15normal_iteratorINS8_10device_ptrIbEEEEPbNS0_8identityIbEEEE10hipError_tT2_T3_mT4_P12ihipStream_tbEUlT_E_NS1_11comp_targetILNS1_3genE10ELNS1_11target_archE1201ELNS1_3gpuE5ELNS1_3repE0EEENS1_30default_config_static_selectorELNS0_4arch9wavefront6targetE1EEEvT1_.has_indirect_call, 0
	.section	.AMDGPU.csdata,"",@progbits
; Kernel info:
; codeLenInByte = 0
; TotalNumSgprs: 6
; NumVgprs: 0
; NumAgprs: 0
; TotalNumVgprs: 0
; ScratchSize: 0
; MemoryBound: 0
; FloatMode: 240
; IeeeMode: 1
; LDSByteSize: 0 bytes/workgroup (compile time only)
; SGPRBlocks: 0
; VGPRBlocks: 0
; NumSGPRsForWavesPerEU: 6
; NumVGPRsForWavesPerEU: 1
; AccumOffset: 4
; Occupancy: 8
; WaveLimiterHint : 0
; COMPUTE_PGM_RSRC2:SCRATCH_EN: 0
; COMPUTE_PGM_RSRC2:USER_SGPR: 2
; COMPUTE_PGM_RSRC2:TRAP_HANDLER: 0
; COMPUTE_PGM_RSRC2:TGID_X_EN: 1
; COMPUTE_PGM_RSRC2:TGID_Y_EN: 0
; COMPUTE_PGM_RSRC2:TGID_Z_EN: 0
; COMPUTE_PGM_RSRC2:TIDIG_COMP_CNT: 0
; COMPUTE_PGM_RSRC3_GFX90A:ACCUM_OFFSET: 0
; COMPUTE_PGM_RSRC3_GFX90A:TG_SPLIT: 0
	.section	.text._ZN7rocprim17ROCPRIM_400000_NS6detail17trampoline_kernelINS0_14default_configENS1_25transform_config_selectorIbLb0EEEZNS1_14transform_implILb0ES3_S5_N6thrust23THRUST_200600_302600_NS6detail15normal_iteratorINS8_10device_ptrIbEEEEPbNS0_8identityIbEEEE10hipError_tT2_T3_mT4_P12ihipStream_tbEUlT_E_NS1_11comp_targetILNS1_3genE10ELNS1_11target_archE1200ELNS1_3gpuE4ELNS1_3repE0EEENS1_30default_config_static_selectorELNS0_4arch9wavefront6targetE1EEEvT1_,"axG",@progbits,_ZN7rocprim17ROCPRIM_400000_NS6detail17trampoline_kernelINS0_14default_configENS1_25transform_config_selectorIbLb0EEEZNS1_14transform_implILb0ES3_S5_N6thrust23THRUST_200600_302600_NS6detail15normal_iteratorINS8_10device_ptrIbEEEEPbNS0_8identityIbEEEE10hipError_tT2_T3_mT4_P12ihipStream_tbEUlT_E_NS1_11comp_targetILNS1_3genE10ELNS1_11target_archE1200ELNS1_3gpuE4ELNS1_3repE0EEENS1_30default_config_static_selectorELNS0_4arch9wavefront6targetE1EEEvT1_,comdat
	.protected	_ZN7rocprim17ROCPRIM_400000_NS6detail17trampoline_kernelINS0_14default_configENS1_25transform_config_selectorIbLb0EEEZNS1_14transform_implILb0ES3_S5_N6thrust23THRUST_200600_302600_NS6detail15normal_iteratorINS8_10device_ptrIbEEEEPbNS0_8identityIbEEEE10hipError_tT2_T3_mT4_P12ihipStream_tbEUlT_E_NS1_11comp_targetILNS1_3genE10ELNS1_11target_archE1200ELNS1_3gpuE4ELNS1_3repE0EEENS1_30default_config_static_selectorELNS0_4arch9wavefront6targetE1EEEvT1_ ; -- Begin function _ZN7rocprim17ROCPRIM_400000_NS6detail17trampoline_kernelINS0_14default_configENS1_25transform_config_selectorIbLb0EEEZNS1_14transform_implILb0ES3_S5_N6thrust23THRUST_200600_302600_NS6detail15normal_iteratorINS8_10device_ptrIbEEEEPbNS0_8identityIbEEEE10hipError_tT2_T3_mT4_P12ihipStream_tbEUlT_E_NS1_11comp_targetILNS1_3genE10ELNS1_11target_archE1200ELNS1_3gpuE4ELNS1_3repE0EEENS1_30default_config_static_selectorELNS0_4arch9wavefront6targetE1EEEvT1_
	.globl	_ZN7rocprim17ROCPRIM_400000_NS6detail17trampoline_kernelINS0_14default_configENS1_25transform_config_selectorIbLb0EEEZNS1_14transform_implILb0ES3_S5_N6thrust23THRUST_200600_302600_NS6detail15normal_iteratorINS8_10device_ptrIbEEEEPbNS0_8identityIbEEEE10hipError_tT2_T3_mT4_P12ihipStream_tbEUlT_E_NS1_11comp_targetILNS1_3genE10ELNS1_11target_archE1200ELNS1_3gpuE4ELNS1_3repE0EEENS1_30default_config_static_selectorELNS0_4arch9wavefront6targetE1EEEvT1_
	.p2align	8
	.type	_ZN7rocprim17ROCPRIM_400000_NS6detail17trampoline_kernelINS0_14default_configENS1_25transform_config_selectorIbLb0EEEZNS1_14transform_implILb0ES3_S5_N6thrust23THRUST_200600_302600_NS6detail15normal_iteratorINS8_10device_ptrIbEEEEPbNS0_8identityIbEEEE10hipError_tT2_T3_mT4_P12ihipStream_tbEUlT_E_NS1_11comp_targetILNS1_3genE10ELNS1_11target_archE1200ELNS1_3gpuE4ELNS1_3repE0EEENS1_30default_config_static_selectorELNS0_4arch9wavefront6targetE1EEEvT1_,@function
_ZN7rocprim17ROCPRIM_400000_NS6detail17trampoline_kernelINS0_14default_configENS1_25transform_config_selectorIbLb0EEEZNS1_14transform_implILb0ES3_S5_N6thrust23THRUST_200600_302600_NS6detail15normal_iteratorINS8_10device_ptrIbEEEEPbNS0_8identityIbEEEE10hipError_tT2_T3_mT4_P12ihipStream_tbEUlT_E_NS1_11comp_targetILNS1_3genE10ELNS1_11target_archE1200ELNS1_3gpuE4ELNS1_3repE0EEENS1_30default_config_static_selectorELNS0_4arch9wavefront6targetE1EEEvT1_: ; @_ZN7rocprim17ROCPRIM_400000_NS6detail17trampoline_kernelINS0_14default_configENS1_25transform_config_selectorIbLb0EEEZNS1_14transform_implILb0ES3_S5_N6thrust23THRUST_200600_302600_NS6detail15normal_iteratorINS8_10device_ptrIbEEEEPbNS0_8identityIbEEEE10hipError_tT2_T3_mT4_P12ihipStream_tbEUlT_E_NS1_11comp_targetILNS1_3genE10ELNS1_11target_archE1200ELNS1_3gpuE4ELNS1_3repE0EEENS1_30default_config_static_selectorELNS0_4arch9wavefront6targetE1EEEvT1_
; %bb.0:
	.section	.rodata,"a",@progbits
	.p2align	6, 0x0
	.amdhsa_kernel _ZN7rocprim17ROCPRIM_400000_NS6detail17trampoline_kernelINS0_14default_configENS1_25transform_config_selectorIbLb0EEEZNS1_14transform_implILb0ES3_S5_N6thrust23THRUST_200600_302600_NS6detail15normal_iteratorINS8_10device_ptrIbEEEEPbNS0_8identityIbEEEE10hipError_tT2_T3_mT4_P12ihipStream_tbEUlT_E_NS1_11comp_targetILNS1_3genE10ELNS1_11target_archE1200ELNS1_3gpuE4ELNS1_3repE0EEENS1_30default_config_static_selectorELNS0_4arch9wavefront6targetE1EEEvT1_
		.amdhsa_group_segment_fixed_size 0
		.amdhsa_private_segment_fixed_size 0
		.amdhsa_kernarg_size 40
		.amdhsa_user_sgpr_count 2
		.amdhsa_user_sgpr_dispatch_ptr 0
		.amdhsa_user_sgpr_queue_ptr 0
		.amdhsa_user_sgpr_kernarg_segment_ptr 1
		.amdhsa_user_sgpr_dispatch_id 0
		.amdhsa_user_sgpr_kernarg_preload_length 0
		.amdhsa_user_sgpr_kernarg_preload_offset 0
		.amdhsa_user_sgpr_private_segment_size 0
		.amdhsa_uses_dynamic_stack 0
		.amdhsa_enable_private_segment 0
		.amdhsa_system_sgpr_workgroup_id_x 1
		.amdhsa_system_sgpr_workgroup_id_y 0
		.amdhsa_system_sgpr_workgroup_id_z 0
		.amdhsa_system_sgpr_workgroup_info 0
		.amdhsa_system_vgpr_workitem_id 0
		.amdhsa_next_free_vgpr 1
		.amdhsa_next_free_sgpr 0
		.amdhsa_accum_offset 4
		.amdhsa_reserve_vcc 0
		.amdhsa_float_round_mode_32 0
		.amdhsa_float_round_mode_16_64 0
		.amdhsa_float_denorm_mode_32 3
		.amdhsa_float_denorm_mode_16_64 3
		.amdhsa_dx10_clamp 1
		.amdhsa_ieee_mode 1
		.amdhsa_fp16_overflow 0
		.amdhsa_tg_split 0
		.amdhsa_exception_fp_ieee_invalid_op 0
		.amdhsa_exception_fp_denorm_src 0
		.amdhsa_exception_fp_ieee_div_zero 0
		.amdhsa_exception_fp_ieee_overflow 0
		.amdhsa_exception_fp_ieee_underflow 0
		.amdhsa_exception_fp_ieee_inexact 0
		.amdhsa_exception_int_div_zero 0
	.end_amdhsa_kernel
	.section	.text._ZN7rocprim17ROCPRIM_400000_NS6detail17trampoline_kernelINS0_14default_configENS1_25transform_config_selectorIbLb0EEEZNS1_14transform_implILb0ES3_S5_N6thrust23THRUST_200600_302600_NS6detail15normal_iteratorINS8_10device_ptrIbEEEEPbNS0_8identityIbEEEE10hipError_tT2_T3_mT4_P12ihipStream_tbEUlT_E_NS1_11comp_targetILNS1_3genE10ELNS1_11target_archE1200ELNS1_3gpuE4ELNS1_3repE0EEENS1_30default_config_static_selectorELNS0_4arch9wavefront6targetE1EEEvT1_,"axG",@progbits,_ZN7rocprim17ROCPRIM_400000_NS6detail17trampoline_kernelINS0_14default_configENS1_25transform_config_selectorIbLb0EEEZNS1_14transform_implILb0ES3_S5_N6thrust23THRUST_200600_302600_NS6detail15normal_iteratorINS8_10device_ptrIbEEEEPbNS0_8identityIbEEEE10hipError_tT2_T3_mT4_P12ihipStream_tbEUlT_E_NS1_11comp_targetILNS1_3genE10ELNS1_11target_archE1200ELNS1_3gpuE4ELNS1_3repE0EEENS1_30default_config_static_selectorELNS0_4arch9wavefront6targetE1EEEvT1_,comdat
.Lfunc_end2038:
	.size	_ZN7rocprim17ROCPRIM_400000_NS6detail17trampoline_kernelINS0_14default_configENS1_25transform_config_selectorIbLb0EEEZNS1_14transform_implILb0ES3_S5_N6thrust23THRUST_200600_302600_NS6detail15normal_iteratorINS8_10device_ptrIbEEEEPbNS0_8identityIbEEEE10hipError_tT2_T3_mT4_P12ihipStream_tbEUlT_E_NS1_11comp_targetILNS1_3genE10ELNS1_11target_archE1200ELNS1_3gpuE4ELNS1_3repE0EEENS1_30default_config_static_selectorELNS0_4arch9wavefront6targetE1EEEvT1_, .Lfunc_end2038-_ZN7rocprim17ROCPRIM_400000_NS6detail17trampoline_kernelINS0_14default_configENS1_25transform_config_selectorIbLb0EEEZNS1_14transform_implILb0ES3_S5_N6thrust23THRUST_200600_302600_NS6detail15normal_iteratorINS8_10device_ptrIbEEEEPbNS0_8identityIbEEEE10hipError_tT2_T3_mT4_P12ihipStream_tbEUlT_E_NS1_11comp_targetILNS1_3genE10ELNS1_11target_archE1200ELNS1_3gpuE4ELNS1_3repE0EEENS1_30default_config_static_selectorELNS0_4arch9wavefront6targetE1EEEvT1_
                                        ; -- End function
	.set _ZN7rocprim17ROCPRIM_400000_NS6detail17trampoline_kernelINS0_14default_configENS1_25transform_config_selectorIbLb0EEEZNS1_14transform_implILb0ES3_S5_N6thrust23THRUST_200600_302600_NS6detail15normal_iteratorINS8_10device_ptrIbEEEEPbNS0_8identityIbEEEE10hipError_tT2_T3_mT4_P12ihipStream_tbEUlT_E_NS1_11comp_targetILNS1_3genE10ELNS1_11target_archE1200ELNS1_3gpuE4ELNS1_3repE0EEENS1_30default_config_static_selectorELNS0_4arch9wavefront6targetE1EEEvT1_.num_vgpr, 0
	.set _ZN7rocprim17ROCPRIM_400000_NS6detail17trampoline_kernelINS0_14default_configENS1_25transform_config_selectorIbLb0EEEZNS1_14transform_implILb0ES3_S5_N6thrust23THRUST_200600_302600_NS6detail15normal_iteratorINS8_10device_ptrIbEEEEPbNS0_8identityIbEEEE10hipError_tT2_T3_mT4_P12ihipStream_tbEUlT_E_NS1_11comp_targetILNS1_3genE10ELNS1_11target_archE1200ELNS1_3gpuE4ELNS1_3repE0EEENS1_30default_config_static_selectorELNS0_4arch9wavefront6targetE1EEEvT1_.num_agpr, 0
	.set _ZN7rocprim17ROCPRIM_400000_NS6detail17trampoline_kernelINS0_14default_configENS1_25transform_config_selectorIbLb0EEEZNS1_14transform_implILb0ES3_S5_N6thrust23THRUST_200600_302600_NS6detail15normal_iteratorINS8_10device_ptrIbEEEEPbNS0_8identityIbEEEE10hipError_tT2_T3_mT4_P12ihipStream_tbEUlT_E_NS1_11comp_targetILNS1_3genE10ELNS1_11target_archE1200ELNS1_3gpuE4ELNS1_3repE0EEENS1_30default_config_static_selectorELNS0_4arch9wavefront6targetE1EEEvT1_.numbered_sgpr, 0
	.set _ZN7rocprim17ROCPRIM_400000_NS6detail17trampoline_kernelINS0_14default_configENS1_25transform_config_selectorIbLb0EEEZNS1_14transform_implILb0ES3_S5_N6thrust23THRUST_200600_302600_NS6detail15normal_iteratorINS8_10device_ptrIbEEEEPbNS0_8identityIbEEEE10hipError_tT2_T3_mT4_P12ihipStream_tbEUlT_E_NS1_11comp_targetILNS1_3genE10ELNS1_11target_archE1200ELNS1_3gpuE4ELNS1_3repE0EEENS1_30default_config_static_selectorELNS0_4arch9wavefront6targetE1EEEvT1_.num_named_barrier, 0
	.set _ZN7rocprim17ROCPRIM_400000_NS6detail17trampoline_kernelINS0_14default_configENS1_25transform_config_selectorIbLb0EEEZNS1_14transform_implILb0ES3_S5_N6thrust23THRUST_200600_302600_NS6detail15normal_iteratorINS8_10device_ptrIbEEEEPbNS0_8identityIbEEEE10hipError_tT2_T3_mT4_P12ihipStream_tbEUlT_E_NS1_11comp_targetILNS1_3genE10ELNS1_11target_archE1200ELNS1_3gpuE4ELNS1_3repE0EEENS1_30default_config_static_selectorELNS0_4arch9wavefront6targetE1EEEvT1_.private_seg_size, 0
	.set _ZN7rocprim17ROCPRIM_400000_NS6detail17trampoline_kernelINS0_14default_configENS1_25transform_config_selectorIbLb0EEEZNS1_14transform_implILb0ES3_S5_N6thrust23THRUST_200600_302600_NS6detail15normal_iteratorINS8_10device_ptrIbEEEEPbNS0_8identityIbEEEE10hipError_tT2_T3_mT4_P12ihipStream_tbEUlT_E_NS1_11comp_targetILNS1_3genE10ELNS1_11target_archE1200ELNS1_3gpuE4ELNS1_3repE0EEENS1_30default_config_static_selectorELNS0_4arch9wavefront6targetE1EEEvT1_.uses_vcc, 0
	.set _ZN7rocprim17ROCPRIM_400000_NS6detail17trampoline_kernelINS0_14default_configENS1_25transform_config_selectorIbLb0EEEZNS1_14transform_implILb0ES3_S5_N6thrust23THRUST_200600_302600_NS6detail15normal_iteratorINS8_10device_ptrIbEEEEPbNS0_8identityIbEEEE10hipError_tT2_T3_mT4_P12ihipStream_tbEUlT_E_NS1_11comp_targetILNS1_3genE10ELNS1_11target_archE1200ELNS1_3gpuE4ELNS1_3repE0EEENS1_30default_config_static_selectorELNS0_4arch9wavefront6targetE1EEEvT1_.uses_flat_scratch, 0
	.set _ZN7rocprim17ROCPRIM_400000_NS6detail17trampoline_kernelINS0_14default_configENS1_25transform_config_selectorIbLb0EEEZNS1_14transform_implILb0ES3_S5_N6thrust23THRUST_200600_302600_NS6detail15normal_iteratorINS8_10device_ptrIbEEEEPbNS0_8identityIbEEEE10hipError_tT2_T3_mT4_P12ihipStream_tbEUlT_E_NS1_11comp_targetILNS1_3genE10ELNS1_11target_archE1200ELNS1_3gpuE4ELNS1_3repE0EEENS1_30default_config_static_selectorELNS0_4arch9wavefront6targetE1EEEvT1_.has_dyn_sized_stack, 0
	.set _ZN7rocprim17ROCPRIM_400000_NS6detail17trampoline_kernelINS0_14default_configENS1_25transform_config_selectorIbLb0EEEZNS1_14transform_implILb0ES3_S5_N6thrust23THRUST_200600_302600_NS6detail15normal_iteratorINS8_10device_ptrIbEEEEPbNS0_8identityIbEEEE10hipError_tT2_T3_mT4_P12ihipStream_tbEUlT_E_NS1_11comp_targetILNS1_3genE10ELNS1_11target_archE1200ELNS1_3gpuE4ELNS1_3repE0EEENS1_30default_config_static_selectorELNS0_4arch9wavefront6targetE1EEEvT1_.has_recursion, 0
	.set _ZN7rocprim17ROCPRIM_400000_NS6detail17trampoline_kernelINS0_14default_configENS1_25transform_config_selectorIbLb0EEEZNS1_14transform_implILb0ES3_S5_N6thrust23THRUST_200600_302600_NS6detail15normal_iteratorINS8_10device_ptrIbEEEEPbNS0_8identityIbEEEE10hipError_tT2_T3_mT4_P12ihipStream_tbEUlT_E_NS1_11comp_targetILNS1_3genE10ELNS1_11target_archE1200ELNS1_3gpuE4ELNS1_3repE0EEENS1_30default_config_static_selectorELNS0_4arch9wavefront6targetE1EEEvT1_.has_indirect_call, 0
	.section	.AMDGPU.csdata,"",@progbits
; Kernel info:
; codeLenInByte = 0
; TotalNumSgprs: 6
; NumVgprs: 0
; NumAgprs: 0
; TotalNumVgprs: 0
; ScratchSize: 0
; MemoryBound: 0
; FloatMode: 240
; IeeeMode: 1
; LDSByteSize: 0 bytes/workgroup (compile time only)
; SGPRBlocks: 0
; VGPRBlocks: 0
; NumSGPRsForWavesPerEU: 6
; NumVGPRsForWavesPerEU: 1
; AccumOffset: 4
; Occupancy: 8
; WaveLimiterHint : 0
; COMPUTE_PGM_RSRC2:SCRATCH_EN: 0
; COMPUTE_PGM_RSRC2:USER_SGPR: 2
; COMPUTE_PGM_RSRC2:TRAP_HANDLER: 0
; COMPUTE_PGM_RSRC2:TGID_X_EN: 1
; COMPUTE_PGM_RSRC2:TGID_Y_EN: 0
; COMPUTE_PGM_RSRC2:TGID_Z_EN: 0
; COMPUTE_PGM_RSRC2:TIDIG_COMP_CNT: 0
; COMPUTE_PGM_RSRC3_GFX90A:ACCUM_OFFSET: 0
; COMPUTE_PGM_RSRC3_GFX90A:TG_SPLIT: 0
	.section	.text._ZN7rocprim17ROCPRIM_400000_NS6detail17trampoline_kernelINS0_14default_configENS1_25transform_config_selectorIbLb0EEEZNS1_14transform_implILb0ES3_S5_N6thrust23THRUST_200600_302600_NS6detail15normal_iteratorINS8_10device_ptrIbEEEEPbNS0_8identityIbEEEE10hipError_tT2_T3_mT4_P12ihipStream_tbEUlT_E_NS1_11comp_targetILNS1_3genE9ELNS1_11target_archE1100ELNS1_3gpuE3ELNS1_3repE0EEENS1_30default_config_static_selectorELNS0_4arch9wavefront6targetE1EEEvT1_,"axG",@progbits,_ZN7rocprim17ROCPRIM_400000_NS6detail17trampoline_kernelINS0_14default_configENS1_25transform_config_selectorIbLb0EEEZNS1_14transform_implILb0ES3_S5_N6thrust23THRUST_200600_302600_NS6detail15normal_iteratorINS8_10device_ptrIbEEEEPbNS0_8identityIbEEEE10hipError_tT2_T3_mT4_P12ihipStream_tbEUlT_E_NS1_11comp_targetILNS1_3genE9ELNS1_11target_archE1100ELNS1_3gpuE3ELNS1_3repE0EEENS1_30default_config_static_selectorELNS0_4arch9wavefront6targetE1EEEvT1_,comdat
	.protected	_ZN7rocprim17ROCPRIM_400000_NS6detail17trampoline_kernelINS0_14default_configENS1_25transform_config_selectorIbLb0EEEZNS1_14transform_implILb0ES3_S5_N6thrust23THRUST_200600_302600_NS6detail15normal_iteratorINS8_10device_ptrIbEEEEPbNS0_8identityIbEEEE10hipError_tT2_T3_mT4_P12ihipStream_tbEUlT_E_NS1_11comp_targetILNS1_3genE9ELNS1_11target_archE1100ELNS1_3gpuE3ELNS1_3repE0EEENS1_30default_config_static_selectorELNS0_4arch9wavefront6targetE1EEEvT1_ ; -- Begin function _ZN7rocprim17ROCPRIM_400000_NS6detail17trampoline_kernelINS0_14default_configENS1_25transform_config_selectorIbLb0EEEZNS1_14transform_implILb0ES3_S5_N6thrust23THRUST_200600_302600_NS6detail15normal_iteratorINS8_10device_ptrIbEEEEPbNS0_8identityIbEEEE10hipError_tT2_T3_mT4_P12ihipStream_tbEUlT_E_NS1_11comp_targetILNS1_3genE9ELNS1_11target_archE1100ELNS1_3gpuE3ELNS1_3repE0EEENS1_30default_config_static_selectorELNS0_4arch9wavefront6targetE1EEEvT1_
	.globl	_ZN7rocprim17ROCPRIM_400000_NS6detail17trampoline_kernelINS0_14default_configENS1_25transform_config_selectorIbLb0EEEZNS1_14transform_implILb0ES3_S5_N6thrust23THRUST_200600_302600_NS6detail15normal_iteratorINS8_10device_ptrIbEEEEPbNS0_8identityIbEEEE10hipError_tT2_T3_mT4_P12ihipStream_tbEUlT_E_NS1_11comp_targetILNS1_3genE9ELNS1_11target_archE1100ELNS1_3gpuE3ELNS1_3repE0EEENS1_30default_config_static_selectorELNS0_4arch9wavefront6targetE1EEEvT1_
	.p2align	8
	.type	_ZN7rocprim17ROCPRIM_400000_NS6detail17trampoline_kernelINS0_14default_configENS1_25transform_config_selectorIbLb0EEEZNS1_14transform_implILb0ES3_S5_N6thrust23THRUST_200600_302600_NS6detail15normal_iteratorINS8_10device_ptrIbEEEEPbNS0_8identityIbEEEE10hipError_tT2_T3_mT4_P12ihipStream_tbEUlT_E_NS1_11comp_targetILNS1_3genE9ELNS1_11target_archE1100ELNS1_3gpuE3ELNS1_3repE0EEENS1_30default_config_static_selectorELNS0_4arch9wavefront6targetE1EEEvT1_,@function
_ZN7rocprim17ROCPRIM_400000_NS6detail17trampoline_kernelINS0_14default_configENS1_25transform_config_selectorIbLb0EEEZNS1_14transform_implILb0ES3_S5_N6thrust23THRUST_200600_302600_NS6detail15normal_iteratorINS8_10device_ptrIbEEEEPbNS0_8identityIbEEEE10hipError_tT2_T3_mT4_P12ihipStream_tbEUlT_E_NS1_11comp_targetILNS1_3genE9ELNS1_11target_archE1100ELNS1_3gpuE3ELNS1_3repE0EEENS1_30default_config_static_selectorELNS0_4arch9wavefront6targetE1EEEvT1_: ; @_ZN7rocprim17ROCPRIM_400000_NS6detail17trampoline_kernelINS0_14default_configENS1_25transform_config_selectorIbLb0EEEZNS1_14transform_implILb0ES3_S5_N6thrust23THRUST_200600_302600_NS6detail15normal_iteratorINS8_10device_ptrIbEEEEPbNS0_8identityIbEEEE10hipError_tT2_T3_mT4_P12ihipStream_tbEUlT_E_NS1_11comp_targetILNS1_3genE9ELNS1_11target_archE1100ELNS1_3gpuE3ELNS1_3repE0EEENS1_30default_config_static_selectorELNS0_4arch9wavefront6targetE1EEEvT1_
; %bb.0:
	.section	.rodata,"a",@progbits
	.p2align	6, 0x0
	.amdhsa_kernel _ZN7rocprim17ROCPRIM_400000_NS6detail17trampoline_kernelINS0_14default_configENS1_25transform_config_selectorIbLb0EEEZNS1_14transform_implILb0ES3_S5_N6thrust23THRUST_200600_302600_NS6detail15normal_iteratorINS8_10device_ptrIbEEEEPbNS0_8identityIbEEEE10hipError_tT2_T3_mT4_P12ihipStream_tbEUlT_E_NS1_11comp_targetILNS1_3genE9ELNS1_11target_archE1100ELNS1_3gpuE3ELNS1_3repE0EEENS1_30default_config_static_selectorELNS0_4arch9wavefront6targetE1EEEvT1_
		.amdhsa_group_segment_fixed_size 0
		.amdhsa_private_segment_fixed_size 0
		.amdhsa_kernarg_size 40
		.amdhsa_user_sgpr_count 2
		.amdhsa_user_sgpr_dispatch_ptr 0
		.amdhsa_user_sgpr_queue_ptr 0
		.amdhsa_user_sgpr_kernarg_segment_ptr 1
		.amdhsa_user_sgpr_dispatch_id 0
		.amdhsa_user_sgpr_kernarg_preload_length 0
		.amdhsa_user_sgpr_kernarg_preload_offset 0
		.amdhsa_user_sgpr_private_segment_size 0
		.amdhsa_uses_dynamic_stack 0
		.amdhsa_enable_private_segment 0
		.amdhsa_system_sgpr_workgroup_id_x 1
		.amdhsa_system_sgpr_workgroup_id_y 0
		.amdhsa_system_sgpr_workgroup_id_z 0
		.amdhsa_system_sgpr_workgroup_info 0
		.amdhsa_system_vgpr_workitem_id 0
		.amdhsa_next_free_vgpr 1
		.amdhsa_next_free_sgpr 0
		.amdhsa_accum_offset 4
		.amdhsa_reserve_vcc 0
		.amdhsa_float_round_mode_32 0
		.amdhsa_float_round_mode_16_64 0
		.amdhsa_float_denorm_mode_32 3
		.amdhsa_float_denorm_mode_16_64 3
		.amdhsa_dx10_clamp 1
		.amdhsa_ieee_mode 1
		.amdhsa_fp16_overflow 0
		.amdhsa_tg_split 0
		.amdhsa_exception_fp_ieee_invalid_op 0
		.amdhsa_exception_fp_denorm_src 0
		.amdhsa_exception_fp_ieee_div_zero 0
		.amdhsa_exception_fp_ieee_overflow 0
		.amdhsa_exception_fp_ieee_underflow 0
		.amdhsa_exception_fp_ieee_inexact 0
		.amdhsa_exception_int_div_zero 0
	.end_amdhsa_kernel
	.section	.text._ZN7rocprim17ROCPRIM_400000_NS6detail17trampoline_kernelINS0_14default_configENS1_25transform_config_selectorIbLb0EEEZNS1_14transform_implILb0ES3_S5_N6thrust23THRUST_200600_302600_NS6detail15normal_iteratorINS8_10device_ptrIbEEEEPbNS0_8identityIbEEEE10hipError_tT2_T3_mT4_P12ihipStream_tbEUlT_E_NS1_11comp_targetILNS1_3genE9ELNS1_11target_archE1100ELNS1_3gpuE3ELNS1_3repE0EEENS1_30default_config_static_selectorELNS0_4arch9wavefront6targetE1EEEvT1_,"axG",@progbits,_ZN7rocprim17ROCPRIM_400000_NS6detail17trampoline_kernelINS0_14default_configENS1_25transform_config_selectorIbLb0EEEZNS1_14transform_implILb0ES3_S5_N6thrust23THRUST_200600_302600_NS6detail15normal_iteratorINS8_10device_ptrIbEEEEPbNS0_8identityIbEEEE10hipError_tT2_T3_mT4_P12ihipStream_tbEUlT_E_NS1_11comp_targetILNS1_3genE9ELNS1_11target_archE1100ELNS1_3gpuE3ELNS1_3repE0EEENS1_30default_config_static_selectorELNS0_4arch9wavefront6targetE1EEEvT1_,comdat
.Lfunc_end2039:
	.size	_ZN7rocprim17ROCPRIM_400000_NS6detail17trampoline_kernelINS0_14default_configENS1_25transform_config_selectorIbLb0EEEZNS1_14transform_implILb0ES3_S5_N6thrust23THRUST_200600_302600_NS6detail15normal_iteratorINS8_10device_ptrIbEEEEPbNS0_8identityIbEEEE10hipError_tT2_T3_mT4_P12ihipStream_tbEUlT_E_NS1_11comp_targetILNS1_3genE9ELNS1_11target_archE1100ELNS1_3gpuE3ELNS1_3repE0EEENS1_30default_config_static_selectorELNS0_4arch9wavefront6targetE1EEEvT1_, .Lfunc_end2039-_ZN7rocprim17ROCPRIM_400000_NS6detail17trampoline_kernelINS0_14default_configENS1_25transform_config_selectorIbLb0EEEZNS1_14transform_implILb0ES3_S5_N6thrust23THRUST_200600_302600_NS6detail15normal_iteratorINS8_10device_ptrIbEEEEPbNS0_8identityIbEEEE10hipError_tT2_T3_mT4_P12ihipStream_tbEUlT_E_NS1_11comp_targetILNS1_3genE9ELNS1_11target_archE1100ELNS1_3gpuE3ELNS1_3repE0EEENS1_30default_config_static_selectorELNS0_4arch9wavefront6targetE1EEEvT1_
                                        ; -- End function
	.set _ZN7rocprim17ROCPRIM_400000_NS6detail17trampoline_kernelINS0_14default_configENS1_25transform_config_selectorIbLb0EEEZNS1_14transform_implILb0ES3_S5_N6thrust23THRUST_200600_302600_NS6detail15normal_iteratorINS8_10device_ptrIbEEEEPbNS0_8identityIbEEEE10hipError_tT2_T3_mT4_P12ihipStream_tbEUlT_E_NS1_11comp_targetILNS1_3genE9ELNS1_11target_archE1100ELNS1_3gpuE3ELNS1_3repE0EEENS1_30default_config_static_selectorELNS0_4arch9wavefront6targetE1EEEvT1_.num_vgpr, 0
	.set _ZN7rocprim17ROCPRIM_400000_NS6detail17trampoline_kernelINS0_14default_configENS1_25transform_config_selectorIbLb0EEEZNS1_14transform_implILb0ES3_S5_N6thrust23THRUST_200600_302600_NS6detail15normal_iteratorINS8_10device_ptrIbEEEEPbNS0_8identityIbEEEE10hipError_tT2_T3_mT4_P12ihipStream_tbEUlT_E_NS1_11comp_targetILNS1_3genE9ELNS1_11target_archE1100ELNS1_3gpuE3ELNS1_3repE0EEENS1_30default_config_static_selectorELNS0_4arch9wavefront6targetE1EEEvT1_.num_agpr, 0
	.set _ZN7rocprim17ROCPRIM_400000_NS6detail17trampoline_kernelINS0_14default_configENS1_25transform_config_selectorIbLb0EEEZNS1_14transform_implILb0ES3_S5_N6thrust23THRUST_200600_302600_NS6detail15normal_iteratorINS8_10device_ptrIbEEEEPbNS0_8identityIbEEEE10hipError_tT2_T3_mT4_P12ihipStream_tbEUlT_E_NS1_11comp_targetILNS1_3genE9ELNS1_11target_archE1100ELNS1_3gpuE3ELNS1_3repE0EEENS1_30default_config_static_selectorELNS0_4arch9wavefront6targetE1EEEvT1_.numbered_sgpr, 0
	.set _ZN7rocprim17ROCPRIM_400000_NS6detail17trampoline_kernelINS0_14default_configENS1_25transform_config_selectorIbLb0EEEZNS1_14transform_implILb0ES3_S5_N6thrust23THRUST_200600_302600_NS6detail15normal_iteratorINS8_10device_ptrIbEEEEPbNS0_8identityIbEEEE10hipError_tT2_T3_mT4_P12ihipStream_tbEUlT_E_NS1_11comp_targetILNS1_3genE9ELNS1_11target_archE1100ELNS1_3gpuE3ELNS1_3repE0EEENS1_30default_config_static_selectorELNS0_4arch9wavefront6targetE1EEEvT1_.num_named_barrier, 0
	.set _ZN7rocprim17ROCPRIM_400000_NS6detail17trampoline_kernelINS0_14default_configENS1_25transform_config_selectorIbLb0EEEZNS1_14transform_implILb0ES3_S5_N6thrust23THRUST_200600_302600_NS6detail15normal_iteratorINS8_10device_ptrIbEEEEPbNS0_8identityIbEEEE10hipError_tT2_T3_mT4_P12ihipStream_tbEUlT_E_NS1_11comp_targetILNS1_3genE9ELNS1_11target_archE1100ELNS1_3gpuE3ELNS1_3repE0EEENS1_30default_config_static_selectorELNS0_4arch9wavefront6targetE1EEEvT1_.private_seg_size, 0
	.set _ZN7rocprim17ROCPRIM_400000_NS6detail17trampoline_kernelINS0_14default_configENS1_25transform_config_selectorIbLb0EEEZNS1_14transform_implILb0ES3_S5_N6thrust23THRUST_200600_302600_NS6detail15normal_iteratorINS8_10device_ptrIbEEEEPbNS0_8identityIbEEEE10hipError_tT2_T3_mT4_P12ihipStream_tbEUlT_E_NS1_11comp_targetILNS1_3genE9ELNS1_11target_archE1100ELNS1_3gpuE3ELNS1_3repE0EEENS1_30default_config_static_selectorELNS0_4arch9wavefront6targetE1EEEvT1_.uses_vcc, 0
	.set _ZN7rocprim17ROCPRIM_400000_NS6detail17trampoline_kernelINS0_14default_configENS1_25transform_config_selectorIbLb0EEEZNS1_14transform_implILb0ES3_S5_N6thrust23THRUST_200600_302600_NS6detail15normal_iteratorINS8_10device_ptrIbEEEEPbNS0_8identityIbEEEE10hipError_tT2_T3_mT4_P12ihipStream_tbEUlT_E_NS1_11comp_targetILNS1_3genE9ELNS1_11target_archE1100ELNS1_3gpuE3ELNS1_3repE0EEENS1_30default_config_static_selectorELNS0_4arch9wavefront6targetE1EEEvT1_.uses_flat_scratch, 0
	.set _ZN7rocprim17ROCPRIM_400000_NS6detail17trampoline_kernelINS0_14default_configENS1_25transform_config_selectorIbLb0EEEZNS1_14transform_implILb0ES3_S5_N6thrust23THRUST_200600_302600_NS6detail15normal_iteratorINS8_10device_ptrIbEEEEPbNS0_8identityIbEEEE10hipError_tT2_T3_mT4_P12ihipStream_tbEUlT_E_NS1_11comp_targetILNS1_3genE9ELNS1_11target_archE1100ELNS1_3gpuE3ELNS1_3repE0EEENS1_30default_config_static_selectorELNS0_4arch9wavefront6targetE1EEEvT1_.has_dyn_sized_stack, 0
	.set _ZN7rocprim17ROCPRIM_400000_NS6detail17trampoline_kernelINS0_14default_configENS1_25transform_config_selectorIbLb0EEEZNS1_14transform_implILb0ES3_S5_N6thrust23THRUST_200600_302600_NS6detail15normal_iteratorINS8_10device_ptrIbEEEEPbNS0_8identityIbEEEE10hipError_tT2_T3_mT4_P12ihipStream_tbEUlT_E_NS1_11comp_targetILNS1_3genE9ELNS1_11target_archE1100ELNS1_3gpuE3ELNS1_3repE0EEENS1_30default_config_static_selectorELNS0_4arch9wavefront6targetE1EEEvT1_.has_recursion, 0
	.set _ZN7rocprim17ROCPRIM_400000_NS6detail17trampoline_kernelINS0_14default_configENS1_25transform_config_selectorIbLb0EEEZNS1_14transform_implILb0ES3_S5_N6thrust23THRUST_200600_302600_NS6detail15normal_iteratorINS8_10device_ptrIbEEEEPbNS0_8identityIbEEEE10hipError_tT2_T3_mT4_P12ihipStream_tbEUlT_E_NS1_11comp_targetILNS1_3genE9ELNS1_11target_archE1100ELNS1_3gpuE3ELNS1_3repE0EEENS1_30default_config_static_selectorELNS0_4arch9wavefront6targetE1EEEvT1_.has_indirect_call, 0
	.section	.AMDGPU.csdata,"",@progbits
; Kernel info:
; codeLenInByte = 0
; TotalNumSgprs: 6
; NumVgprs: 0
; NumAgprs: 0
; TotalNumVgprs: 0
; ScratchSize: 0
; MemoryBound: 0
; FloatMode: 240
; IeeeMode: 1
; LDSByteSize: 0 bytes/workgroup (compile time only)
; SGPRBlocks: 0
; VGPRBlocks: 0
; NumSGPRsForWavesPerEU: 6
; NumVGPRsForWavesPerEU: 1
; AccumOffset: 4
; Occupancy: 8
; WaveLimiterHint : 0
; COMPUTE_PGM_RSRC2:SCRATCH_EN: 0
; COMPUTE_PGM_RSRC2:USER_SGPR: 2
; COMPUTE_PGM_RSRC2:TRAP_HANDLER: 0
; COMPUTE_PGM_RSRC2:TGID_X_EN: 1
; COMPUTE_PGM_RSRC2:TGID_Y_EN: 0
; COMPUTE_PGM_RSRC2:TGID_Z_EN: 0
; COMPUTE_PGM_RSRC2:TIDIG_COMP_CNT: 0
; COMPUTE_PGM_RSRC3_GFX90A:ACCUM_OFFSET: 0
; COMPUTE_PGM_RSRC3_GFX90A:TG_SPLIT: 0
	.section	.text._ZN7rocprim17ROCPRIM_400000_NS6detail17trampoline_kernelINS0_14default_configENS1_25transform_config_selectorIbLb0EEEZNS1_14transform_implILb0ES3_S5_N6thrust23THRUST_200600_302600_NS6detail15normal_iteratorINS8_10device_ptrIbEEEEPbNS0_8identityIbEEEE10hipError_tT2_T3_mT4_P12ihipStream_tbEUlT_E_NS1_11comp_targetILNS1_3genE8ELNS1_11target_archE1030ELNS1_3gpuE2ELNS1_3repE0EEENS1_30default_config_static_selectorELNS0_4arch9wavefront6targetE1EEEvT1_,"axG",@progbits,_ZN7rocprim17ROCPRIM_400000_NS6detail17trampoline_kernelINS0_14default_configENS1_25transform_config_selectorIbLb0EEEZNS1_14transform_implILb0ES3_S5_N6thrust23THRUST_200600_302600_NS6detail15normal_iteratorINS8_10device_ptrIbEEEEPbNS0_8identityIbEEEE10hipError_tT2_T3_mT4_P12ihipStream_tbEUlT_E_NS1_11comp_targetILNS1_3genE8ELNS1_11target_archE1030ELNS1_3gpuE2ELNS1_3repE0EEENS1_30default_config_static_selectorELNS0_4arch9wavefront6targetE1EEEvT1_,comdat
	.protected	_ZN7rocprim17ROCPRIM_400000_NS6detail17trampoline_kernelINS0_14default_configENS1_25transform_config_selectorIbLb0EEEZNS1_14transform_implILb0ES3_S5_N6thrust23THRUST_200600_302600_NS6detail15normal_iteratorINS8_10device_ptrIbEEEEPbNS0_8identityIbEEEE10hipError_tT2_T3_mT4_P12ihipStream_tbEUlT_E_NS1_11comp_targetILNS1_3genE8ELNS1_11target_archE1030ELNS1_3gpuE2ELNS1_3repE0EEENS1_30default_config_static_selectorELNS0_4arch9wavefront6targetE1EEEvT1_ ; -- Begin function _ZN7rocprim17ROCPRIM_400000_NS6detail17trampoline_kernelINS0_14default_configENS1_25transform_config_selectorIbLb0EEEZNS1_14transform_implILb0ES3_S5_N6thrust23THRUST_200600_302600_NS6detail15normal_iteratorINS8_10device_ptrIbEEEEPbNS0_8identityIbEEEE10hipError_tT2_T3_mT4_P12ihipStream_tbEUlT_E_NS1_11comp_targetILNS1_3genE8ELNS1_11target_archE1030ELNS1_3gpuE2ELNS1_3repE0EEENS1_30default_config_static_selectorELNS0_4arch9wavefront6targetE1EEEvT1_
	.globl	_ZN7rocprim17ROCPRIM_400000_NS6detail17trampoline_kernelINS0_14default_configENS1_25transform_config_selectorIbLb0EEEZNS1_14transform_implILb0ES3_S5_N6thrust23THRUST_200600_302600_NS6detail15normal_iteratorINS8_10device_ptrIbEEEEPbNS0_8identityIbEEEE10hipError_tT2_T3_mT4_P12ihipStream_tbEUlT_E_NS1_11comp_targetILNS1_3genE8ELNS1_11target_archE1030ELNS1_3gpuE2ELNS1_3repE0EEENS1_30default_config_static_selectorELNS0_4arch9wavefront6targetE1EEEvT1_
	.p2align	8
	.type	_ZN7rocprim17ROCPRIM_400000_NS6detail17trampoline_kernelINS0_14default_configENS1_25transform_config_selectorIbLb0EEEZNS1_14transform_implILb0ES3_S5_N6thrust23THRUST_200600_302600_NS6detail15normal_iteratorINS8_10device_ptrIbEEEEPbNS0_8identityIbEEEE10hipError_tT2_T3_mT4_P12ihipStream_tbEUlT_E_NS1_11comp_targetILNS1_3genE8ELNS1_11target_archE1030ELNS1_3gpuE2ELNS1_3repE0EEENS1_30default_config_static_selectorELNS0_4arch9wavefront6targetE1EEEvT1_,@function
_ZN7rocprim17ROCPRIM_400000_NS6detail17trampoline_kernelINS0_14default_configENS1_25transform_config_selectorIbLb0EEEZNS1_14transform_implILb0ES3_S5_N6thrust23THRUST_200600_302600_NS6detail15normal_iteratorINS8_10device_ptrIbEEEEPbNS0_8identityIbEEEE10hipError_tT2_T3_mT4_P12ihipStream_tbEUlT_E_NS1_11comp_targetILNS1_3genE8ELNS1_11target_archE1030ELNS1_3gpuE2ELNS1_3repE0EEENS1_30default_config_static_selectorELNS0_4arch9wavefront6targetE1EEEvT1_: ; @_ZN7rocprim17ROCPRIM_400000_NS6detail17trampoline_kernelINS0_14default_configENS1_25transform_config_selectorIbLb0EEEZNS1_14transform_implILb0ES3_S5_N6thrust23THRUST_200600_302600_NS6detail15normal_iteratorINS8_10device_ptrIbEEEEPbNS0_8identityIbEEEE10hipError_tT2_T3_mT4_P12ihipStream_tbEUlT_E_NS1_11comp_targetILNS1_3genE8ELNS1_11target_archE1030ELNS1_3gpuE2ELNS1_3repE0EEENS1_30default_config_static_selectorELNS0_4arch9wavefront6targetE1EEEvT1_
; %bb.0:
	.section	.rodata,"a",@progbits
	.p2align	6, 0x0
	.amdhsa_kernel _ZN7rocprim17ROCPRIM_400000_NS6detail17trampoline_kernelINS0_14default_configENS1_25transform_config_selectorIbLb0EEEZNS1_14transform_implILb0ES3_S5_N6thrust23THRUST_200600_302600_NS6detail15normal_iteratorINS8_10device_ptrIbEEEEPbNS0_8identityIbEEEE10hipError_tT2_T3_mT4_P12ihipStream_tbEUlT_E_NS1_11comp_targetILNS1_3genE8ELNS1_11target_archE1030ELNS1_3gpuE2ELNS1_3repE0EEENS1_30default_config_static_selectorELNS0_4arch9wavefront6targetE1EEEvT1_
		.amdhsa_group_segment_fixed_size 0
		.amdhsa_private_segment_fixed_size 0
		.amdhsa_kernarg_size 40
		.amdhsa_user_sgpr_count 2
		.amdhsa_user_sgpr_dispatch_ptr 0
		.amdhsa_user_sgpr_queue_ptr 0
		.amdhsa_user_sgpr_kernarg_segment_ptr 1
		.amdhsa_user_sgpr_dispatch_id 0
		.amdhsa_user_sgpr_kernarg_preload_length 0
		.amdhsa_user_sgpr_kernarg_preload_offset 0
		.amdhsa_user_sgpr_private_segment_size 0
		.amdhsa_uses_dynamic_stack 0
		.amdhsa_enable_private_segment 0
		.amdhsa_system_sgpr_workgroup_id_x 1
		.amdhsa_system_sgpr_workgroup_id_y 0
		.amdhsa_system_sgpr_workgroup_id_z 0
		.amdhsa_system_sgpr_workgroup_info 0
		.amdhsa_system_vgpr_workitem_id 0
		.amdhsa_next_free_vgpr 1
		.amdhsa_next_free_sgpr 0
		.amdhsa_accum_offset 4
		.amdhsa_reserve_vcc 0
		.amdhsa_float_round_mode_32 0
		.amdhsa_float_round_mode_16_64 0
		.amdhsa_float_denorm_mode_32 3
		.amdhsa_float_denorm_mode_16_64 3
		.amdhsa_dx10_clamp 1
		.amdhsa_ieee_mode 1
		.amdhsa_fp16_overflow 0
		.amdhsa_tg_split 0
		.amdhsa_exception_fp_ieee_invalid_op 0
		.amdhsa_exception_fp_denorm_src 0
		.amdhsa_exception_fp_ieee_div_zero 0
		.amdhsa_exception_fp_ieee_overflow 0
		.amdhsa_exception_fp_ieee_underflow 0
		.amdhsa_exception_fp_ieee_inexact 0
		.amdhsa_exception_int_div_zero 0
	.end_amdhsa_kernel
	.section	.text._ZN7rocprim17ROCPRIM_400000_NS6detail17trampoline_kernelINS0_14default_configENS1_25transform_config_selectorIbLb0EEEZNS1_14transform_implILb0ES3_S5_N6thrust23THRUST_200600_302600_NS6detail15normal_iteratorINS8_10device_ptrIbEEEEPbNS0_8identityIbEEEE10hipError_tT2_T3_mT4_P12ihipStream_tbEUlT_E_NS1_11comp_targetILNS1_3genE8ELNS1_11target_archE1030ELNS1_3gpuE2ELNS1_3repE0EEENS1_30default_config_static_selectorELNS0_4arch9wavefront6targetE1EEEvT1_,"axG",@progbits,_ZN7rocprim17ROCPRIM_400000_NS6detail17trampoline_kernelINS0_14default_configENS1_25transform_config_selectorIbLb0EEEZNS1_14transform_implILb0ES3_S5_N6thrust23THRUST_200600_302600_NS6detail15normal_iteratorINS8_10device_ptrIbEEEEPbNS0_8identityIbEEEE10hipError_tT2_T3_mT4_P12ihipStream_tbEUlT_E_NS1_11comp_targetILNS1_3genE8ELNS1_11target_archE1030ELNS1_3gpuE2ELNS1_3repE0EEENS1_30default_config_static_selectorELNS0_4arch9wavefront6targetE1EEEvT1_,comdat
.Lfunc_end2040:
	.size	_ZN7rocprim17ROCPRIM_400000_NS6detail17trampoline_kernelINS0_14default_configENS1_25transform_config_selectorIbLb0EEEZNS1_14transform_implILb0ES3_S5_N6thrust23THRUST_200600_302600_NS6detail15normal_iteratorINS8_10device_ptrIbEEEEPbNS0_8identityIbEEEE10hipError_tT2_T3_mT4_P12ihipStream_tbEUlT_E_NS1_11comp_targetILNS1_3genE8ELNS1_11target_archE1030ELNS1_3gpuE2ELNS1_3repE0EEENS1_30default_config_static_selectorELNS0_4arch9wavefront6targetE1EEEvT1_, .Lfunc_end2040-_ZN7rocprim17ROCPRIM_400000_NS6detail17trampoline_kernelINS0_14default_configENS1_25transform_config_selectorIbLb0EEEZNS1_14transform_implILb0ES3_S5_N6thrust23THRUST_200600_302600_NS6detail15normal_iteratorINS8_10device_ptrIbEEEEPbNS0_8identityIbEEEE10hipError_tT2_T3_mT4_P12ihipStream_tbEUlT_E_NS1_11comp_targetILNS1_3genE8ELNS1_11target_archE1030ELNS1_3gpuE2ELNS1_3repE0EEENS1_30default_config_static_selectorELNS0_4arch9wavefront6targetE1EEEvT1_
                                        ; -- End function
	.set _ZN7rocprim17ROCPRIM_400000_NS6detail17trampoline_kernelINS0_14default_configENS1_25transform_config_selectorIbLb0EEEZNS1_14transform_implILb0ES3_S5_N6thrust23THRUST_200600_302600_NS6detail15normal_iteratorINS8_10device_ptrIbEEEEPbNS0_8identityIbEEEE10hipError_tT2_T3_mT4_P12ihipStream_tbEUlT_E_NS1_11comp_targetILNS1_3genE8ELNS1_11target_archE1030ELNS1_3gpuE2ELNS1_3repE0EEENS1_30default_config_static_selectorELNS0_4arch9wavefront6targetE1EEEvT1_.num_vgpr, 0
	.set _ZN7rocprim17ROCPRIM_400000_NS6detail17trampoline_kernelINS0_14default_configENS1_25transform_config_selectorIbLb0EEEZNS1_14transform_implILb0ES3_S5_N6thrust23THRUST_200600_302600_NS6detail15normal_iteratorINS8_10device_ptrIbEEEEPbNS0_8identityIbEEEE10hipError_tT2_T3_mT4_P12ihipStream_tbEUlT_E_NS1_11comp_targetILNS1_3genE8ELNS1_11target_archE1030ELNS1_3gpuE2ELNS1_3repE0EEENS1_30default_config_static_selectorELNS0_4arch9wavefront6targetE1EEEvT1_.num_agpr, 0
	.set _ZN7rocprim17ROCPRIM_400000_NS6detail17trampoline_kernelINS0_14default_configENS1_25transform_config_selectorIbLb0EEEZNS1_14transform_implILb0ES3_S5_N6thrust23THRUST_200600_302600_NS6detail15normal_iteratorINS8_10device_ptrIbEEEEPbNS0_8identityIbEEEE10hipError_tT2_T3_mT4_P12ihipStream_tbEUlT_E_NS1_11comp_targetILNS1_3genE8ELNS1_11target_archE1030ELNS1_3gpuE2ELNS1_3repE0EEENS1_30default_config_static_selectorELNS0_4arch9wavefront6targetE1EEEvT1_.numbered_sgpr, 0
	.set _ZN7rocprim17ROCPRIM_400000_NS6detail17trampoline_kernelINS0_14default_configENS1_25transform_config_selectorIbLb0EEEZNS1_14transform_implILb0ES3_S5_N6thrust23THRUST_200600_302600_NS6detail15normal_iteratorINS8_10device_ptrIbEEEEPbNS0_8identityIbEEEE10hipError_tT2_T3_mT4_P12ihipStream_tbEUlT_E_NS1_11comp_targetILNS1_3genE8ELNS1_11target_archE1030ELNS1_3gpuE2ELNS1_3repE0EEENS1_30default_config_static_selectorELNS0_4arch9wavefront6targetE1EEEvT1_.num_named_barrier, 0
	.set _ZN7rocprim17ROCPRIM_400000_NS6detail17trampoline_kernelINS0_14default_configENS1_25transform_config_selectorIbLb0EEEZNS1_14transform_implILb0ES3_S5_N6thrust23THRUST_200600_302600_NS6detail15normal_iteratorINS8_10device_ptrIbEEEEPbNS0_8identityIbEEEE10hipError_tT2_T3_mT4_P12ihipStream_tbEUlT_E_NS1_11comp_targetILNS1_3genE8ELNS1_11target_archE1030ELNS1_3gpuE2ELNS1_3repE0EEENS1_30default_config_static_selectorELNS0_4arch9wavefront6targetE1EEEvT1_.private_seg_size, 0
	.set _ZN7rocprim17ROCPRIM_400000_NS6detail17trampoline_kernelINS0_14default_configENS1_25transform_config_selectorIbLb0EEEZNS1_14transform_implILb0ES3_S5_N6thrust23THRUST_200600_302600_NS6detail15normal_iteratorINS8_10device_ptrIbEEEEPbNS0_8identityIbEEEE10hipError_tT2_T3_mT4_P12ihipStream_tbEUlT_E_NS1_11comp_targetILNS1_3genE8ELNS1_11target_archE1030ELNS1_3gpuE2ELNS1_3repE0EEENS1_30default_config_static_selectorELNS0_4arch9wavefront6targetE1EEEvT1_.uses_vcc, 0
	.set _ZN7rocprim17ROCPRIM_400000_NS6detail17trampoline_kernelINS0_14default_configENS1_25transform_config_selectorIbLb0EEEZNS1_14transform_implILb0ES3_S5_N6thrust23THRUST_200600_302600_NS6detail15normal_iteratorINS8_10device_ptrIbEEEEPbNS0_8identityIbEEEE10hipError_tT2_T3_mT4_P12ihipStream_tbEUlT_E_NS1_11comp_targetILNS1_3genE8ELNS1_11target_archE1030ELNS1_3gpuE2ELNS1_3repE0EEENS1_30default_config_static_selectorELNS0_4arch9wavefront6targetE1EEEvT1_.uses_flat_scratch, 0
	.set _ZN7rocprim17ROCPRIM_400000_NS6detail17trampoline_kernelINS0_14default_configENS1_25transform_config_selectorIbLb0EEEZNS1_14transform_implILb0ES3_S5_N6thrust23THRUST_200600_302600_NS6detail15normal_iteratorINS8_10device_ptrIbEEEEPbNS0_8identityIbEEEE10hipError_tT2_T3_mT4_P12ihipStream_tbEUlT_E_NS1_11comp_targetILNS1_3genE8ELNS1_11target_archE1030ELNS1_3gpuE2ELNS1_3repE0EEENS1_30default_config_static_selectorELNS0_4arch9wavefront6targetE1EEEvT1_.has_dyn_sized_stack, 0
	.set _ZN7rocprim17ROCPRIM_400000_NS6detail17trampoline_kernelINS0_14default_configENS1_25transform_config_selectorIbLb0EEEZNS1_14transform_implILb0ES3_S5_N6thrust23THRUST_200600_302600_NS6detail15normal_iteratorINS8_10device_ptrIbEEEEPbNS0_8identityIbEEEE10hipError_tT2_T3_mT4_P12ihipStream_tbEUlT_E_NS1_11comp_targetILNS1_3genE8ELNS1_11target_archE1030ELNS1_3gpuE2ELNS1_3repE0EEENS1_30default_config_static_selectorELNS0_4arch9wavefront6targetE1EEEvT1_.has_recursion, 0
	.set _ZN7rocprim17ROCPRIM_400000_NS6detail17trampoline_kernelINS0_14default_configENS1_25transform_config_selectorIbLb0EEEZNS1_14transform_implILb0ES3_S5_N6thrust23THRUST_200600_302600_NS6detail15normal_iteratorINS8_10device_ptrIbEEEEPbNS0_8identityIbEEEE10hipError_tT2_T3_mT4_P12ihipStream_tbEUlT_E_NS1_11comp_targetILNS1_3genE8ELNS1_11target_archE1030ELNS1_3gpuE2ELNS1_3repE0EEENS1_30default_config_static_selectorELNS0_4arch9wavefront6targetE1EEEvT1_.has_indirect_call, 0
	.section	.AMDGPU.csdata,"",@progbits
; Kernel info:
; codeLenInByte = 0
; TotalNumSgprs: 6
; NumVgprs: 0
; NumAgprs: 0
; TotalNumVgprs: 0
; ScratchSize: 0
; MemoryBound: 0
; FloatMode: 240
; IeeeMode: 1
; LDSByteSize: 0 bytes/workgroup (compile time only)
; SGPRBlocks: 0
; VGPRBlocks: 0
; NumSGPRsForWavesPerEU: 6
; NumVGPRsForWavesPerEU: 1
; AccumOffset: 4
; Occupancy: 8
; WaveLimiterHint : 0
; COMPUTE_PGM_RSRC2:SCRATCH_EN: 0
; COMPUTE_PGM_RSRC2:USER_SGPR: 2
; COMPUTE_PGM_RSRC2:TRAP_HANDLER: 0
; COMPUTE_PGM_RSRC2:TGID_X_EN: 1
; COMPUTE_PGM_RSRC2:TGID_Y_EN: 0
; COMPUTE_PGM_RSRC2:TGID_Z_EN: 0
; COMPUTE_PGM_RSRC2:TIDIG_COMP_CNT: 0
; COMPUTE_PGM_RSRC3_GFX90A:ACCUM_OFFSET: 0
; COMPUTE_PGM_RSRC3_GFX90A:TG_SPLIT: 0
	.section	.text._ZN7rocprim17ROCPRIM_400000_NS6detail17trampoline_kernelINS0_14default_configENS1_35radix_sort_onesweep_config_selectorIbiEEZZNS1_29radix_sort_onesweep_iterationIS3_Lb0EN6thrust23THRUST_200600_302600_NS6detail15normal_iteratorINS8_10device_ptrIbEEEESD_NSA_INSB_IiEEEESF_jNS0_19identity_decomposerENS1_16block_id_wrapperIjLb1EEEEE10hipError_tT1_PNSt15iterator_traitsISK_E10value_typeET2_T3_PNSL_ISQ_E10value_typeET4_T5_PSV_SW_PNS1_23onesweep_lookback_stateEbbT6_jjT7_P12ihipStream_tbENKUlT_T0_SK_SP_E_clISD_SD_SF_SF_EEDaS13_S14_SK_SP_EUlS13_E_NS1_11comp_targetILNS1_3genE0ELNS1_11target_archE4294967295ELNS1_3gpuE0ELNS1_3repE0EEENS1_47radix_sort_onesweep_sort_config_static_selectorELNS0_4arch9wavefront6targetE1EEEvSK_,"axG",@progbits,_ZN7rocprim17ROCPRIM_400000_NS6detail17trampoline_kernelINS0_14default_configENS1_35radix_sort_onesweep_config_selectorIbiEEZZNS1_29radix_sort_onesweep_iterationIS3_Lb0EN6thrust23THRUST_200600_302600_NS6detail15normal_iteratorINS8_10device_ptrIbEEEESD_NSA_INSB_IiEEEESF_jNS0_19identity_decomposerENS1_16block_id_wrapperIjLb1EEEEE10hipError_tT1_PNSt15iterator_traitsISK_E10value_typeET2_T3_PNSL_ISQ_E10value_typeET4_T5_PSV_SW_PNS1_23onesweep_lookback_stateEbbT6_jjT7_P12ihipStream_tbENKUlT_T0_SK_SP_E_clISD_SD_SF_SF_EEDaS13_S14_SK_SP_EUlS13_E_NS1_11comp_targetILNS1_3genE0ELNS1_11target_archE4294967295ELNS1_3gpuE0ELNS1_3repE0EEENS1_47radix_sort_onesweep_sort_config_static_selectorELNS0_4arch9wavefront6targetE1EEEvSK_,comdat
	.protected	_ZN7rocprim17ROCPRIM_400000_NS6detail17trampoline_kernelINS0_14default_configENS1_35radix_sort_onesweep_config_selectorIbiEEZZNS1_29radix_sort_onesweep_iterationIS3_Lb0EN6thrust23THRUST_200600_302600_NS6detail15normal_iteratorINS8_10device_ptrIbEEEESD_NSA_INSB_IiEEEESF_jNS0_19identity_decomposerENS1_16block_id_wrapperIjLb1EEEEE10hipError_tT1_PNSt15iterator_traitsISK_E10value_typeET2_T3_PNSL_ISQ_E10value_typeET4_T5_PSV_SW_PNS1_23onesweep_lookback_stateEbbT6_jjT7_P12ihipStream_tbENKUlT_T0_SK_SP_E_clISD_SD_SF_SF_EEDaS13_S14_SK_SP_EUlS13_E_NS1_11comp_targetILNS1_3genE0ELNS1_11target_archE4294967295ELNS1_3gpuE0ELNS1_3repE0EEENS1_47radix_sort_onesweep_sort_config_static_selectorELNS0_4arch9wavefront6targetE1EEEvSK_ ; -- Begin function _ZN7rocprim17ROCPRIM_400000_NS6detail17trampoline_kernelINS0_14default_configENS1_35radix_sort_onesweep_config_selectorIbiEEZZNS1_29radix_sort_onesweep_iterationIS3_Lb0EN6thrust23THRUST_200600_302600_NS6detail15normal_iteratorINS8_10device_ptrIbEEEESD_NSA_INSB_IiEEEESF_jNS0_19identity_decomposerENS1_16block_id_wrapperIjLb1EEEEE10hipError_tT1_PNSt15iterator_traitsISK_E10value_typeET2_T3_PNSL_ISQ_E10value_typeET4_T5_PSV_SW_PNS1_23onesweep_lookback_stateEbbT6_jjT7_P12ihipStream_tbENKUlT_T0_SK_SP_E_clISD_SD_SF_SF_EEDaS13_S14_SK_SP_EUlS13_E_NS1_11comp_targetILNS1_3genE0ELNS1_11target_archE4294967295ELNS1_3gpuE0ELNS1_3repE0EEENS1_47radix_sort_onesweep_sort_config_static_selectorELNS0_4arch9wavefront6targetE1EEEvSK_
	.globl	_ZN7rocprim17ROCPRIM_400000_NS6detail17trampoline_kernelINS0_14default_configENS1_35radix_sort_onesweep_config_selectorIbiEEZZNS1_29radix_sort_onesweep_iterationIS3_Lb0EN6thrust23THRUST_200600_302600_NS6detail15normal_iteratorINS8_10device_ptrIbEEEESD_NSA_INSB_IiEEEESF_jNS0_19identity_decomposerENS1_16block_id_wrapperIjLb1EEEEE10hipError_tT1_PNSt15iterator_traitsISK_E10value_typeET2_T3_PNSL_ISQ_E10value_typeET4_T5_PSV_SW_PNS1_23onesweep_lookback_stateEbbT6_jjT7_P12ihipStream_tbENKUlT_T0_SK_SP_E_clISD_SD_SF_SF_EEDaS13_S14_SK_SP_EUlS13_E_NS1_11comp_targetILNS1_3genE0ELNS1_11target_archE4294967295ELNS1_3gpuE0ELNS1_3repE0EEENS1_47radix_sort_onesweep_sort_config_static_selectorELNS0_4arch9wavefront6targetE1EEEvSK_
	.p2align	8
	.type	_ZN7rocprim17ROCPRIM_400000_NS6detail17trampoline_kernelINS0_14default_configENS1_35radix_sort_onesweep_config_selectorIbiEEZZNS1_29radix_sort_onesweep_iterationIS3_Lb0EN6thrust23THRUST_200600_302600_NS6detail15normal_iteratorINS8_10device_ptrIbEEEESD_NSA_INSB_IiEEEESF_jNS0_19identity_decomposerENS1_16block_id_wrapperIjLb1EEEEE10hipError_tT1_PNSt15iterator_traitsISK_E10value_typeET2_T3_PNSL_ISQ_E10value_typeET4_T5_PSV_SW_PNS1_23onesweep_lookback_stateEbbT6_jjT7_P12ihipStream_tbENKUlT_T0_SK_SP_E_clISD_SD_SF_SF_EEDaS13_S14_SK_SP_EUlS13_E_NS1_11comp_targetILNS1_3genE0ELNS1_11target_archE4294967295ELNS1_3gpuE0ELNS1_3repE0EEENS1_47radix_sort_onesweep_sort_config_static_selectorELNS0_4arch9wavefront6targetE1EEEvSK_,@function
_ZN7rocprim17ROCPRIM_400000_NS6detail17trampoline_kernelINS0_14default_configENS1_35radix_sort_onesweep_config_selectorIbiEEZZNS1_29radix_sort_onesweep_iterationIS3_Lb0EN6thrust23THRUST_200600_302600_NS6detail15normal_iteratorINS8_10device_ptrIbEEEESD_NSA_INSB_IiEEEESF_jNS0_19identity_decomposerENS1_16block_id_wrapperIjLb1EEEEE10hipError_tT1_PNSt15iterator_traitsISK_E10value_typeET2_T3_PNSL_ISQ_E10value_typeET4_T5_PSV_SW_PNS1_23onesweep_lookback_stateEbbT6_jjT7_P12ihipStream_tbENKUlT_T0_SK_SP_E_clISD_SD_SF_SF_EEDaS13_S14_SK_SP_EUlS13_E_NS1_11comp_targetILNS1_3genE0ELNS1_11target_archE4294967295ELNS1_3gpuE0ELNS1_3repE0EEENS1_47radix_sort_onesweep_sort_config_static_selectorELNS0_4arch9wavefront6targetE1EEEvSK_: ; @_ZN7rocprim17ROCPRIM_400000_NS6detail17trampoline_kernelINS0_14default_configENS1_35radix_sort_onesweep_config_selectorIbiEEZZNS1_29radix_sort_onesweep_iterationIS3_Lb0EN6thrust23THRUST_200600_302600_NS6detail15normal_iteratorINS8_10device_ptrIbEEEESD_NSA_INSB_IiEEEESF_jNS0_19identity_decomposerENS1_16block_id_wrapperIjLb1EEEEE10hipError_tT1_PNSt15iterator_traitsISK_E10value_typeET2_T3_PNSL_ISQ_E10value_typeET4_T5_PSV_SW_PNS1_23onesweep_lookback_stateEbbT6_jjT7_P12ihipStream_tbENKUlT_T0_SK_SP_E_clISD_SD_SF_SF_EEDaS13_S14_SK_SP_EUlS13_E_NS1_11comp_targetILNS1_3genE0ELNS1_11target_archE4294967295ELNS1_3gpuE0ELNS1_3repE0EEENS1_47radix_sort_onesweep_sort_config_static_selectorELNS0_4arch9wavefront6targetE1EEEvSK_
; %bb.0:
	.section	.rodata,"a",@progbits
	.p2align	6, 0x0
	.amdhsa_kernel _ZN7rocprim17ROCPRIM_400000_NS6detail17trampoline_kernelINS0_14default_configENS1_35radix_sort_onesweep_config_selectorIbiEEZZNS1_29radix_sort_onesweep_iterationIS3_Lb0EN6thrust23THRUST_200600_302600_NS6detail15normal_iteratorINS8_10device_ptrIbEEEESD_NSA_INSB_IiEEEESF_jNS0_19identity_decomposerENS1_16block_id_wrapperIjLb1EEEEE10hipError_tT1_PNSt15iterator_traitsISK_E10value_typeET2_T3_PNSL_ISQ_E10value_typeET4_T5_PSV_SW_PNS1_23onesweep_lookback_stateEbbT6_jjT7_P12ihipStream_tbENKUlT_T0_SK_SP_E_clISD_SD_SF_SF_EEDaS13_S14_SK_SP_EUlS13_E_NS1_11comp_targetILNS1_3genE0ELNS1_11target_archE4294967295ELNS1_3gpuE0ELNS1_3repE0EEENS1_47radix_sort_onesweep_sort_config_static_selectorELNS0_4arch9wavefront6targetE1EEEvSK_
		.amdhsa_group_segment_fixed_size 0
		.amdhsa_private_segment_fixed_size 0
		.amdhsa_kernarg_size 88
		.amdhsa_user_sgpr_count 2
		.amdhsa_user_sgpr_dispatch_ptr 0
		.amdhsa_user_sgpr_queue_ptr 0
		.amdhsa_user_sgpr_kernarg_segment_ptr 1
		.amdhsa_user_sgpr_dispatch_id 0
		.amdhsa_user_sgpr_kernarg_preload_length 0
		.amdhsa_user_sgpr_kernarg_preload_offset 0
		.amdhsa_user_sgpr_private_segment_size 0
		.amdhsa_uses_dynamic_stack 0
		.amdhsa_enable_private_segment 0
		.amdhsa_system_sgpr_workgroup_id_x 1
		.amdhsa_system_sgpr_workgroup_id_y 0
		.amdhsa_system_sgpr_workgroup_id_z 0
		.amdhsa_system_sgpr_workgroup_info 0
		.amdhsa_system_vgpr_workitem_id 0
		.amdhsa_next_free_vgpr 1
		.amdhsa_next_free_sgpr 0
		.amdhsa_accum_offset 4
		.amdhsa_reserve_vcc 0
		.amdhsa_float_round_mode_32 0
		.amdhsa_float_round_mode_16_64 0
		.amdhsa_float_denorm_mode_32 3
		.amdhsa_float_denorm_mode_16_64 3
		.amdhsa_dx10_clamp 1
		.amdhsa_ieee_mode 1
		.amdhsa_fp16_overflow 0
		.amdhsa_tg_split 0
		.amdhsa_exception_fp_ieee_invalid_op 0
		.amdhsa_exception_fp_denorm_src 0
		.amdhsa_exception_fp_ieee_div_zero 0
		.amdhsa_exception_fp_ieee_overflow 0
		.amdhsa_exception_fp_ieee_underflow 0
		.amdhsa_exception_fp_ieee_inexact 0
		.amdhsa_exception_int_div_zero 0
	.end_amdhsa_kernel
	.section	.text._ZN7rocprim17ROCPRIM_400000_NS6detail17trampoline_kernelINS0_14default_configENS1_35radix_sort_onesweep_config_selectorIbiEEZZNS1_29radix_sort_onesweep_iterationIS3_Lb0EN6thrust23THRUST_200600_302600_NS6detail15normal_iteratorINS8_10device_ptrIbEEEESD_NSA_INSB_IiEEEESF_jNS0_19identity_decomposerENS1_16block_id_wrapperIjLb1EEEEE10hipError_tT1_PNSt15iterator_traitsISK_E10value_typeET2_T3_PNSL_ISQ_E10value_typeET4_T5_PSV_SW_PNS1_23onesweep_lookback_stateEbbT6_jjT7_P12ihipStream_tbENKUlT_T0_SK_SP_E_clISD_SD_SF_SF_EEDaS13_S14_SK_SP_EUlS13_E_NS1_11comp_targetILNS1_3genE0ELNS1_11target_archE4294967295ELNS1_3gpuE0ELNS1_3repE0EEENS1_47radix_sort_onesweep_sort_config_static_selectorELNS0_4arch9wavefront6targetE1EEEvSK_,"axG",@progbits,_ZN7rocprim17ROCPRIM_400000_NS6detail17trampoline_kernelINS0_14default_configENS1_35radix_sort_onesweep_config_selectorIbiEEZZNS1_29radix_sort_onesweep_iterationIS3_Lb0EN6thrust23THRUST_200600_302600_NS6detail15normal_iteratorINS8_10device_ptrIbEEEESD_NSA_INSB_IiEEEESF_jNS0_19identity_decomposerENS1_16block_id_wrapperIjLb1EEEEE10hipError_tT1_PNSt15iterator_traitsISK_E10value_typeET2_T3_PNSL_ISQ_E10value_typeET4_T5_PSV_SW_PNS1_23onesweep_lookback_stateEbbT6_jjT7_P12ihipStream_tbENKUlT_T0_SK_SP_E_clISD_SD_SF_SF_EEDaS13_S14_SK_SP_EUlS13_E_NS1_11comp_targetILNS1_3genE0ELNS1_11target_archE4294967295ELNS1_3gpuE0ELNS1_3repE0EEENS1_47radix_sort_onesweep_sort_config_static_selectorELNS0_4arch9wavefront6targetE1EEEvSK_,comdat
.Lfunc_end2041:
	.size	_ZN7rocprim17ROCPRIM_400000_NS6detail17trampoline_kernelINS0_14default_configENS1_35radix_sort_onesweep_config_selectorIbiEEZZNS1_29radix_sort_onesweep_iterationIS3_Lb0EN6thrust23THRUST_200600_302600_NS6detail15normal_iteratorINS8_10device_ptrIbEEEESD_NSA_INSB_IiEEEESF_jNS0_19identity_decomposerENS1_16block_id_wrapperIjLb1EEEEE10hipError_tT1_PNSt15iterator_traitsISK_E10value_typeET2_T3_PNSL_ISQ_E10value_typeET4_T5_PSV_SW_PNS1_23onesweep_lookback_stateEbbT6_jjT7_P12ihipStream_tbENKUlT_T0_SK_SP_E_clISD_SD_SF_SF_EEDaS13_S14_SK_SP_EUlS13_E_NS1_11comp_targetILNS1_3genE0ELNS1_11target_archE4294967295ELNS1_3gpuE0ELNS1_3repE0EEENS1_47radix_sort_onesweep_sort_config_static_selectorELNS0_4arch9wavefront6targetE1EEEvSK_, .Lfunc_end2041-_ZN7rocprim17ROCPRIM_400000_NS6detail17trampoline_kernelINS0_14default_configENS1_35radix_sort_onesweep_config_selectorIbiEEZZNS1_29radix_sort_onesweep_iterationIS3_Lb0EN6thrust23THRUST_200600_302600_NS6detail15normal_iteratorINS8_10device_ptrIbEEEESD_NSA_INSB_IiEEEESF_jNS0_19identity_decomposerENS1_16block_id_wrapperIjLb1EEEEE10hipError_tT1_PNSt15iterator_traitsISK_E10value_typeET2_T3_PNSL_ISQ_E10value_typeET4_T5_PSV_SW_PNS1_23onesweep_lookback_stateEbbT6_jjT7_P12ihipStream_tbENKUlT_T0_SK_SP_E_clISD_SD_SF_SF_EEDaS13_S14_SK_SP_EUlS13_E_NS1_11comp_targetILNS1_3genE0ELNS1_11target_archE4294967295ELNS1_3gpuE0ELNS1_3repE0EEENS1_47radix_sort_onesweep_sort_config_static_selectorELNS0_4arch9wavefront6targetE1EEEvSK_
                                        ; -- End function
	.set _ZN7rocprim17ROCPRIM_400000_NS6detail17trampoline_kernelINS0_14default_configENS1_35radix_sort_onesweep_config_selectorIbiEEZZNS1_29radix_sort_onesweep_iterationIS3_Lb0EN6thrust23THRUST_200600_302600_NS6detail15normal_iteratorINS8_10device_ptrIbEEEESD_NSA_INSB_IiEEEESF_jNS0_19identity_decomposerENS1_16block_id_wrapperIjLb1EEEEE10hipError_tT1_PNSt15iterator_traitsISK_E10value_typeET2_T3_PNSL_ISQ_E10value_typeET4_T5_PSV_SW_PNS1_23onesweep_lookback_stateEbbT6_jjT7_P12ihipStream_tbENKUlT_T0_SK_SP_E_clISD_SD_SF_SF_EEDaS13_S14_SK_SP_EUlS13_E_NS1_11comp_targetILNS1_3genE0ELNS1_11target_archE4294967295ELNS1_3gpuE0ELNS1_3repE0EEENS1_47radix_sort_onesweep_sort_config_static_selectorELNS0_4arch9wavefront6targetE1EEEvSK_.num_vgpr, 0
	.set _ZN7rocprim17ROCPRIM_400000_NS6detail17trampoline_kernelINS0_14default_configENS1_35radix_sort_onesweep_config_selectorIbiEEZZNS1_29radix_sort_onesweep_iterationIS3_Lb0EN6thrust23THRUST_200600_302600_NS6detail15normal_iteratorINS8_10device_ptrIbEEEESD_NSA_INSB_IiEEEESF_jNS0_19identity_decomposerENS1_16block_id_wrapperIjLb1EEEEE10hipError_tT1_PNSt15iterator_traitsISK_E10value_typeET2_T3_PNSL_ISQ_E10value_typeET4_T5_PSV_SW_PNS1_23onesweep_lookback_stateEbbT6_jjT7_P12ihipStream_tbENKUlT_T0_SK_SP_E_clISD_SD_SF_SF_EEDaS13_S14_SK_SP_EUlS13_E_NS1_11comp_targetILNS1_3genE0ELNS1_11target_archE4294967295ELNS1_3gpuE0ELNS1_3repE0EEENS1_47radix_sort_onesweep_sort_config_static_selectorELNS0_4arch9wavefront6targetE1EEEvSK_.num_agpr, 0
	.set _ZN7rocprim17ROCPRIM_400000_NS6detail17trampoline_kernelINS0_14default_configENS1_35radix_sort_onesweep_config_selectorIbiEEZZNS1_29radix_sort_onesweep_iterationIS3_Lb0EN6thrust23THRUST_200600_302600_NS6detail15normal_iteratorINS8_10device_ptrIbEEEESD_NSA_INSB_IiEEEESF_jNS0_19identity_decomposerENS1_16block_id_wrapperIjLb1EEEEE10hipError_tT1_PNSt15iterator_traitsISK_E10value_typeET2_T3_PNSL_ISQ_E10value_typeET4_T5_PSV_SW_PNS1_23onesweep_lookback_stateEbbT6_jjT7_P12ihipStream_tbENKUlT_T0_SK_SP_E_clISD_SD_SF_SF_EEDaS13_S14_SK_SP_EUlS13_E_NS1_11comp_targetILNS1_3genE0ELNS1_11target_archE4294967295ELNS1_3gpuE0ELNS1_3repE0EEENS1_47radix_sort_onesweep_sort_config_static_selectorELNS0_4arch9wavefront6targetE1EEEvSK_.numbered_sgpr, 0
	.set _ZN7rocprim17ROCPRIM_400000_NS6detail17trampoline_kernelINS0_14default_configENS1_35radix_sort_onesweep_config_selectorIbiEEZZNS1_29radix_sort_onesweep_iterationIS3_Lb0EN6thrust23THRUST_200600_302600_NS6detail15normal_iteratorINS8_10device_ptrIbEEEESD_NSA_INSB_IiEEEESF_jNS0_19identity_decomposerENS1_16block_id_wrapperIjLb1EEEEE10hipError_tT1_PNSt15iterator_traitsISK_E10value_typeET2_T3_PNSL_ISQ_E10value_typeET4_T5_PSV_SW_PNS1_23onesweep_lookback_stateEbbT6_jjT7_P12ihipStream_tbENKUlT_T0_SK_SP_E_clISD_SD_SF_SF_EEDaS13_S14_SK_SP_EUlS13_E_NS1_11comp_targetILNS1_3genE0ELNS1_11target_archE4294967295ELNS1_3gpuE0ELNS1_3repE0EEENS1_47radix_sort_onesweep_sort_config_static_selectorELNS0_4arch9wavefront6targetE1EEEvSK_.num_named_barrier, 0
	.set _ZN7rocprim17ROCPRIM_400000_NS6detail17trampoline_kernelINS0_14default_configENS1_35radix_sort_onesweep_config_selectorIbiEEZZNS1_29radix_sort_onesweep_iterationIS3_Lb0EN6thrust23THRUST_200600_302600_NS6detail15normal_iteratorINS8_10device_ptrIbEEEESD_NSA_INSB_IiEEEESF_jNS0_19identity_decomposerENS1_16block_id_wrapperIjLb1EEEEE10hipError_tT1_PNSt15iterator_traitsISK_E10value_typeET2_T3_PNSL_ISQ_E10value_typeET4_T5_PSV_SW_PNS1_23onesweep_lookback_stateEbbT6_jjT7_P12ihipStream_tbENKUlT_T0_SK_SP_E_clISD_SD_SF_SF_EEDaS13_S14_SK_SP_EUlS13_E_NS1_11comp_targetILNS1_3genE0ELNS1_11target_archE4294967295ELNS1_3gpuE0ELNS1_3repE0EEENS1_47radix_sort_onesweep_sort_config_static_selectorELNS0_4arch9wavefront6targetE1EEEvSK_.private_seg_size, 0
	.set _ZN7rocprim17ROCPRIM_400000_NS6detail17trampoline_kernelINS0_14default_configENS1_35radix_sort_onesweep_config_selectorIbiEEZZNS1_29radix_sort_onesweep_iterationIS3_Lb0EN6thrust23THRUST_200600_302600_NS6detail15normal_iteratorINS8_10device_ptrIbEEEESD_NSA_INSB_IiEEEESF_jNS0_19identity_decomposerENS1_16block_id_wrapperIjLb1EEEEE10hipError_tT1_PNSt15iterator_traitsISK_E10value_typeET2_T3_PNSL_ISQ_E10value_typeET4_T5_PSV_SW_PNS1_23onesweep_lookback_stateEbbT6_jjT7_P12ihipStream_tbENKUlT_T0_SK_SP_E_clISD_SD_SF_SF_EEDaS13_S14_SK_SP_EUlS13_E_NS1_11comp_targetILNS1_3genE0ELNS1_11target_archE4294967295ELNS1_3gpuE0ELNS1_3repE0EEENS1_47radix_sort_onesweep_sort_config_static_selectorELNS0_4arch9wavefront6targetE1EEEvSK_.uses_vcc, 0
	.set _ZN7rocprim17ROCPRIM_400000_NS6detail17trampoline_kernelINS0_14default_configENS1_35radix_sort_onesweep_config_selectorIbiEEZZNS1_29radix_sort_onesweep_iterationIS3_Lb0EN6thrust23THRUST_200600_302600_NS6detail15normal_iteratorINS8_10device_ptrIbEEEESD_NSA_INSB_IiEEEESF_jNS0_19identity_decomposerENS1_16block_id_wrapperIjLb1EEEEE10hipError_tT1_PNSt15iterator_traitsISK_E10value_typeET2_T3_PNSL_ISQ_E10value_typeET4_T5_PSV_SW_PNS1_23onesweep_lookback_stateEbbT6_jjT7_P12ihipStream_tbENKUlT_T0_SK_SP_E_clISD_SD_SF_SF_EEDaS13_S14_SK_SP_EUlS13_E_NS1_11comp_targetILNS1_3genE0ELNS1_11target_archE4294967295ELNS1_3gpuE0ELNS1_3repE0EEENS1_47radix_sort_onesweep_sort_config_static_selectorELNS0_4arch9wavefront6targetE1EEEvSK_.uses_flat_scratch, 0
	.set _ZN7rocprim17ROCPRIM_400000_NS6detail17trampoline_kernelINS0_14default_configENS1_35radix_sort_onesweep_config_selectorIbiEEZZNS1_29radix_sort_onesweep_iterationIS3_Lb0EN6thrust23THRUST_200600_302600_NS6detail15normal_iteratorINS8_10device_ptrIbEEEESD_NSA_INSB_IiEEEESF_jNS0_19identity_decomposerENS1_16block_id_wrapperIjLb1EEEEE10hipError_tT1_PNSt15iterator_traitsISK_E10value_typeET2_T3_PNSL_ISQ_E10value_typeET4_T5_PSV_SW_PNS1_23onesweep_lookback_stateEbbT6_jjT7_P12ihipStream_tbENKUlT_T0_SK_SP_E_clISD_SD_SF_SF_EEDaS13_S14_SK_SP_EUlS13_E_NS1_11comp_targetILNS1_3genE0ELNS1_11target_archE4294967295ELNS1_3gpuE0ELNS1_3repE0EEENS1_47radix_sort_onesweep_sort_config_static_selectorELNS0_4arch9wavefront6targetE1EEEvSK_.has_dyn_sized_stack, 0
	.set _ZN7rocprim17ROCPRIM_400000_NS6detail17trampoline_kernelINS0_14default_configENS1_35radix_sort_onesweep_config_selectorIbiEEZZNS1_29radix_sort_onesweep_iterationIS3_Lb0EN6thrust23THRUST_200600_302600_NS6detail15normal_iteratorINS8_10device_ptrIbEEEESD_NSA_INSB_IiEEEESF_jNS0_19identity_decomposerENS1_16block_id_wrapperIjLb1EEEEE10hipError_tT1_PNSt15iterator_traitsISK_E10value_typeET2_T3_PNSL_ISQ_E10value_typeET4_T5_PSV_SW_PNS1_23onesweep_lookback_stateEbbT6_jjT7_P12ihipStream_tbENKUlT_T0_SK_SP_E_clISD_SD_SF_SF_EEDaS13_S14_SK_SP_EUlS13_E_NS1_11comp_targetILNS1_3genE0ELNS1_11target_archE4294967295ELNS1_3gpuE0ELNS1_3repE0EEENS1_47radix_sort_onesweep_sort_config_static_selectorELNS0_4arch9wavefront6targetE1EEEvSK_.has_recursion, 0
	.set _ZN7rocprim17ROCPRIM_400000_NS6detail17trampoline_kernelINS0_14default_configENS1_35radix_sort_onesweep_config_selectorIbiEEZZNS1_29radix_sort_onesweep_iterationIS3_Lb0EN6thrust23THRUST_200600_302600_NS6detail15normal_iteratorINS8_10device_ptrIbEEEESD_NSA_INSB_IiEEEESF_jNS0_19identity_decomposerENS1_16block_id_wrapperIjLb1EEEEE10hipError_tT1_PNSt15iterator_traitsISK_E10value_typeET2_T3_PNSL_ISQ_E10value_typeET4_T5_PSV_SW_PNS1_23onesweep_lookback_stateEbbT6_jjT7_P12ihipStream_tbENKUlT_T0_SK_SP_E_clISD_SD_SF_SF_EEDaS13_S14_SK_SP_EUlS13_E_NS1_11comp_targetILNS1_3genE0ELNS1_11target_archE4294967295ELNS1_3gpuE0ELNS1_3repE0EEENS1_47radix_sort_onesweep_sort_config_static_selectorELNS0_4arch9wavefront6targetE1EEEvSK_.has_indirect_call, 0
	.section	.AMDGPU.csdata,"",@progbits
; Kernel info:
; codeLenInByte = 0
; TotalNumSgprs: 6
; NumVgprs: 0
; NumAgprs: 0
; TotalNumVgprs: 0
; ScratchSize: 0
; MemoryBound: 0
; FloatMode: 240
; IeeeMode: 1
; LDSByteSize: 0 bytes/workgroup (compile time only)
; SGPRBlocks: 0
; VGPRBlocks: 0
; NumSGPRsForWavesPerEU: 6
; NumVGPRsForWavesPerEU: 1
; AccumOffset: 4
; Occupancy: 8
; WaveLimiterHint : 0
; COMPUTE_PGM_RSRC2:SCRATCH_EN: 0
; COMPUTE_PGM_RSRC2:USER_SGPR: 2
; COMPUTE_PGM_RSRC2:TRAP_HANDLER: 0
; COMPUTE_PGM_RSRC2:TGID_X_EN: 1
; COMPUTE_PGM_RSRC2:TGID_Y_EN: 0
; COMPUTE_PGM_RSRC2:TGID_Z_EN: 0
; COMPUTE_PGM_RSRC2:TIDIG_COMP_CNT: 0
; COMPUTE_PGM_RSRC3_GFX90A:ACCUM_OFFSET: 0
; COMPUTE_PGM_RSRC3_GFX90A:TG_SPLIT: 0
	.section	.text._ZN7rocprim17ROCPRIM_400000_NS6detail17trampoline_kernelINS0_14default_configENS1_35radix_sort_onesweep_config_selectorIbiEEZZNS1_29radix_sort_onesweep_iterationIS3_Lb0EN6thrust23THRUST_200600_302600_NS6detail15normal_iteratorINS8_10device_ptrIbEEEESD_NSA_INSB_IiEEEESF_jNS0_19identity_decomposerENS1_16block_id_wrapperIjLb1EEEEE10hipError_tT1_PNSt15iterator_traitsISK_E10value_typeET2_T3_PNSL_ISQ_E10value_typeET4_T5_PSV_SW_PNS1_23onesweep_lookback_stateEbbT6_jjT7_P12ihipStream_tbENKUlT_T0_SK_SP_E_clISD_SD_SF_SF_EEDaS13_S14_SK_SP_EUlS13_E_NS1_11comp_targetILNS1_3genE6ELNS1_11target_archE950ELNS1_3gpuE13ELNS1_3repE0EEENS1_47radix_sort_onesweep_sort_config_static_selectorELNS0_4arch9wavefront6targetE1EEEvSK_,"axG",@progbits,_ZN7rocprim17ROCPRIM_400000_NS6detail17trampoline_kernelINS0_14default_configENS1_35radix_sort_onesweep_config_selectorIbiEEZZNS1_29radix_sort_onesweep_iterationIS3_Lb0EN6thrust23THRUST_200600_302600_NS6detail15normal_iteratorINS8_10device_ptrIbEEEESD_NSA_INSB_IiEEEESF_jNS0_19identity_decomposerENS1_16block_id_wrapperIjLb1EEEEE10hipError_tT1_PNSt15iterator_traitsISK_E10value_typeET2_T3_PNSL_ISQ_E10value_typeET4_T5_PSV_SW_PNS1_23onesweep_lookback_stateEbbT6_jjT7_P12ihipStream_tbENKUlT_T0_SK_SP_E_clISD_SD_SF_SF_EEDaS13_S14_SK_SP_EUlS13_E_NS1_11comp_targetILNS1_3genE6ELNS1_11target_archE950ELNS1_3gpuE13ELNS1_3repE0EEENS1_47radix_sort_onesweep_sort_config_static_selectorELNS0_4arch9wavefront6targetE1EEEvSK_,comdat
	.protected	_ZN7rocprim17ROCPRIM_400000_NS6detail17trampoline_kernelINS0_14default_configENS1_35radix_sort_onesweep_config_selectorIbiEEZZNS1_29radix_sort_onesweep_iterationIS3_Lb0EN6thrust23THRUST_200600_302600_NS6detail15normal_iteratorINS8_10device_ptrIbEEEESD_NSA_INSB_IiEEEESF_jNS0_19identity_decomposerENS1_16block_id_wrapperIjLb1EEEEE10hipError_tT1_PNSt15iterator_traitsISK_E10value_typeET2_T3_PNSL_ISQ_E10value_typeET4_T5_PSV_SW_PNS1_23onesweep_lookback_stateEbbT6_jjT7_P12ihipStream_tbENKUlT_T0_SK_SP_E_clISD_SD_SF_SF_EEDaS13_S14_SK_SP_EUlS13_E_NS1_11comp_targetILNS1_3genE6ELNS1_11target_archE950ELNS1_3gpuE13ELNS1_3repE0EEENS1_47radix_sort_onesweep_sort_config_static_selectorELNS0_4arch9wavefront6targetE1EEEvSK_ ; -- Begin function _ZN7rocprim17ROCPRIM_400000_NS6detail17trampoline_kernelINS0_14default_configENS1_35radix_sort_onesweep_config_selectorIbiEEZZNS1_29radix_sort_onesweep_iterationIS3_Lb0EN6thrust23THRUST_200600_302600_NS6detail15normal_iteratorINS8_10device_ptrIbEEEESD_NSA_INSB_IiEEEESF_jNS0_19identity_decomposerENS1_16block_id_wrapperIjLb1EEEEE10hipError_tT1_PNSt15iterator_traitsISK_E10value_typeET2_T3_PNSL_ISQ_E10value_typeET4_T5_PSV_SW_PNS1_23onesweep_lookback_stateEbbT6_jjT7_P12ihipStream_tbENKUlT_T0_SK_SP_E_clISD_SD_SF_SF_EEDaS13_S14_SK_SP_EUlS13_E_NS1_11comp_targetILNS1_3genE6ELNS1_11target_archE950ELNS1_3gpuE13ELNS1_3repE0EEENS1_47radix_sort_onesweep_sort_config_static_selectorELNS0_4arch9wavefront6targetE1EEEvSK_
	.globl	_ZN7rocprim17ROCPRIM_400000_NS6detail17trampoline_kernelINS0_14default_configENS1_35radix_sort_onesweep_config_selectorIbiEEZZNS1_29radix_sort_onesweep_iterationIS3_Lb0EN6thrust23THRUST_200600_302600_NS6detail15normal_iteratorINS8_10device_ptrIbEEEESD_NSA_INSB_IiEEEESF_jNS0_19identity_decomposerENS1_16block_id_wrapperIjLb1EEEEE10hipError_tT1_PNSt15iterator_traitsISK_E10value_typeET2_T3_PNSL_ISQ_E10value_typeET4_T5_PSV_SW_PNS1_23onesweep_lookback_stateEbbT6_jjT7_P12ihipStream_tbENKUlT_T0_SK_SP_E_clISD_SD_SF_SF_EEDaS13_S14_SK_SP_EUlS13_E_NS1_11comp_targetILNS1_3genE6ELNS1_11target_archE950ELNS1_3gpuE13ELNS1_3repE0EEENS1_47radix_sort_onesweep_sort_config_static_selectorELNS0_4arch9wavefront6targetE1EEEvSK_
	.p2align	8
	.type	_ZN7rocprim17ROCPRIM_400000_NS6detail17trampoline_kernelINS0_14default_configENS1_35radix_sort_onesweep_config_selectorIbiEEZZNS1_29radix_sort_onesweep_iterationIS3_Lb0EN6thrust23THRUST_200600_302600_NS6detail15normal_iteratorINS8_10device_ptrIbEEEESD_NSA_INSB_IiEEEESF_jNS0_19identity_decomposerENS1_16block_id_wrapperIjLb1EEEEE10hipError_tT1_PNSt15iterator_traitsISK_E10value_typeET2_T3_PNSL_ISQ_E10value_typeET4_T5_PSV_SW_PNS1_23onesweep_lookback_stateEbbT6_jjT7_P12ihipStream_tbENKUlT_T0_SK_SP_E_clISD_SD_SF_SF_EEDaS13_S14_SK_SP_EUlS13_E_NS1_11comp_targetILNS1_3genE6ELNS1_11target_archE950ELNS1_3gpuE13ELNS1_3repE0EEENS1_47radix_sort_onesweep_sort_config_static_selectorELNS0_4arch9wavefront6targetE1EEEvSK_,@function
_ZN7rocprim17ROCPRIM_400000_NS6detail17trampoline_kernelINS0_14default_configENS1_35radix_sort_onesweep_config_selectorIbiEEZZNS1_29radix_sort_onesweep_iterationIS3_Lb0EN6thrust23THRUST_200600_302600_NS6detail15normal_iteratorINS8_10device_ptrIbEEEESD_NSA_INSB_IiEEEESF_jNS0_19identity_decomposerENS1_16block_id_wrapperIjLb1EEEEE10hipError_tT1_PNSt15iterator_traitsISK_E10value_typeET2_T3_PNSL_ISQ_E10value_typeET4_T5_PSV_SW_PNS1_23onesweep_lookback_stateEbbT6_jjT7_P12ihipStream_tbENKUlT_T0_SK_SP_E_clISD_SD_SF_SF_EEDaS13_S14_SK_SP_EUlS13_E_NS1_11comp_targetILNS1_3genE6ELNS1_11target_archE950ELNS1_3gpuE13ELNS1_3repE0EEENS1_47radix_sort_onesweep_sort_config_static_selectorELNS0_4arch9wavefront6targetE1EEEvSK_: ; @_ZN7rocprim17ROCPRIM_400000_NS6detail17trampoline_kernelINS0_14default_configENS1_35radix_sort_onesweep_config_selectorIbiEEZZNS1_29radix_sort_onesweep_iterationIS3_Lb0EN6thrust23THRUST_200600_302600_NS6detail15normal_iteratorINS8_10device_ptrIbEEEESD_NSA_INSB_IiEEEESF_jNS0_19identity_decomposerENS1_16block_id_wrapperIjLb1EEEEE10hipError_tT1_PNSt15iterator_traitsISK_E10value_typeET2_T3_PNSL_ISQ_E10value_typeET4_T5_PSV_SW_PNS1_23onesweep_lookback_stateEbbT6_jjT7_P12ihipStream_tbENKUlT_T0_SK_SP_E_clISD_SD_SF_SF_EEDaS13_S14_SK_SP_EUlS13_E_NS1_11comp_targetILNS1_3genE6ELNS1_11target_archE950ELNS1_3gpuE13ELNS1_3repE0EEENS1_47radix_sort_onesweep_sort_config_static_selectorELNS0_4arch9wavefront6targetE1EEEvSK_
; %bb.0:
	s_load_dwordx4 s[56:59], s[0:1], 0x28
	s_load_dwordx2 s[64:65], s[0:1], 0x38
	s_load_dwordx4 s[60:63], s[0:1], 0x44
	v_and_b32_e32 v16, 0x3ff, v0
	v_cmp_eq_u32_e64 s[44:45], 0, v16
	s_and_saveexec_b64 s[4:5], s[44:45]
	s_cbranch_execz .LBB2042_4
; %bb.1:
	s_mov_b64 s[8:9], exec
	v_mbcnt_lo_u32_b32 v1, s8, 0
	v_mbcnt_hi_u32_b32 v1, s9, v1
	v_cmp_eq_u32_e32 vcc, 0, v1
                                        ; implicit-def: $vgpr2
	s_and_saveexec_b64 s[6:7], vcc
	s_cbranch_execz .LBB2042_3
; %bb.2:
	s_load_dwordx2 s[10:11], s[0:1], 0x50
	s_bcnt1_i32_b64 s3, s[8:9]
	v_mov_b32_e32 v2, 0
	v_mov_b32_e32 v3, s3
	s_waitcnt lgkmcnt(0)
	global_atomic_add v2, v2, v3, s[10:11] sc0
.LBB2042_3:
	s_or_b64 exec, exec, s[6:7]
	s_waitcnt vmcnt(0)
	v_readfirstlane_b32 s3, v2
	v_mov_b32_e32 v2, 0
	s_nop 0
	v_add_u32_e32 v1, s3, v1
	ds_write_b32 v2, v1 offset:20544
.LBB2042_4:
	s_or_b64 exec, exec, s[4:5]
	v_mov_b32_e32 v3, 0
	s_load_dwordx8 s[48:55], s[0:1], 0x0
	s_load_dword s3, s[0:1], 0x20
	s_waitcnt lgkmcnt(0)
	s_barrier
	ds_read_b32 v1, v3 offset:20544
	s_mov_b64 s[4:5], -1
	v_mbcnt_lo_u32_b32 v12, -1, 0
	s_waitcnt lgkmcnt(0)
	s_barrier
	v_cmp_le_u32_e32 vcc, s62, v1
	v_readfirstlane_b32 s33, v1
	v_lshlrev_b32_e32 v1, 4, v16
	s_cbranch_vccz .LBB2042_198
; %bb.5:
	s_lshl_b32 s4, s62, 14
	s_sub_i32 s3, s3, s4
	s_lshl_b32 s62, s33, 14
	s_add_u32 s4, s48, s62
	v_mbcnt_hi_u32_b32 v33, -1, v12
	s_addc_u32 s5, s49, 0
	v_and_b32_e32 v2, 63, v33
	v_and_b32_e32 v4, 0x3c00, v1
	v_lshl_add_u64 v[6:7], s[4:5], 0, v[2:3]
	v_mov_b32_e32 v5, v3
	v_or_b32_e32 v9, v2, v4
	s_mov_b32 s63, 0
	v_lshl_add_u64 v[6:7], v[6:7], 0, v[4:5]
	v_cmp_gt_u32_e32 vcc, s3, v9
	v_mov_b32_e32 v8, 1
	v_mov_b32_e32 v3, 1
	;; [unrolled: 1-line block ×3, first 2 shown]
	s_and_saveexec_b64 s[4:5], vcc
	s_cbranch_execz .LBB2042_7
; %bb.6:
	global_load_ubyte v10, v[6:7], off
	s_waitcnt vmcnt(0)
	v_and_b32_e32 v8, 1, v10
.LBB2042_7:
	s_or_b64 exec, exec, s[4:5]
	v_or_b32_e32 v5, 64, v9
	v_cmp_gt_u32_e64 s[4:5], s3, v5
	v_mov_b32_e32 v5, 1
	s_and_saveexec_b64 s[6:7], s[4:5]
	s_cbranch_execz .LBB2042_9
; %bb.8:
	global_load_ubyte v3, v[6:7], off offset:64
	s_waitcnt vmcnt(0)
	v_and_b32_e32 v5, 1, v3
.LBB2042_9:
	s_or_b64 exec, exec, s[6:7]
	v_or_b32_e32 v11, 0x80, v9
	v_cmp_gt_u32_e64 s[6:7], s3, v11
	v_mov_b32_e32 v14, 1
	v_mov_b32_e32 v11, 1
	v_mov_b32_e32 v28, 1
	s_and_saveexec_b64 s[8:9], s[6:7]
	s_cbranch_execz .LBB2042_11
; %bb.10:
	global_load_ubyte v28, v[6:7], off offset:128
	s_waitcnt vmcnt(0)
	v_and_b32_e32 v14, 1, v28
.LBB2042_11:
	s_or_b64 exec, exec, s[8:9]
	v_or_b32_e32 v13, 0xc0, v9
	v_cmp_gt_u32_e64 s[8:9], s3, v13
	v_mov_b32_e32 v17, 1
	s_and_saveexec_b64 s[10:11], s[8:9]
	s_cbranch_execz .LBB2042_13
; %bb.12:
	global_load_ubyte v11, v[6:7], off offset:192
	s_waitcnt vmcnt(0)
	v_and_b32_e32 v17, 1, v11
.LBB2042_13:
	s_or_b64 exec, exec, s[10:11]
	v_or_b32_e32 v13, 0x100, v9
	v_cmp_gt_u32_e64 s[10:11], s3, v13
	v_mov_b32_e32 v19, 1
	v_mov_b32_e32 v30, 1
	v_mov_b32_e32 v31, 1
	s_and_saveexec_b64 s[12:13], s[10:11]
	s_cbranch_execz .LBB2042_15
; %bb.14:
	global_load_ubyte v31, v[6:7], off offset:256
	s_waitcnt vmcnt(0)
	v_and_b32_e32 v19, 1, v31
.LBB2042_15:
	;; [unrolled: 24-line block ×7, first 2 shown]
	s_or_b64 exec, exec, s[34:35]
	v_or_b32_e32 v9, 0x3c0, v9
	v_cmp_gt_u32_e64 s[34:35], s3, v9
	v_mov_b32_e32 v57, 1
	s_and_saveexec_b64 s[36:37], s[34:35]
	s_cbranch_execz .LBB2042_37
; %bb.36:
	global_load_ubyte v52, v[6:7], off offset:960
	s_waitcnt vmcnt(0)
	v_and_b32_e32 v57, 1, v52
.LBB2042_37:
	s_or_b64 exec, exec, s[36:37]
	s_load_dword s36, s[0:1], 0x64
	s_load_dword s68, s[0:1], 0x58
	s_add_u32 s37, s0, 0x58
	s_addc_u32 s38, s1, 0
	v_mov_b32_e32 v7, 0
	s_waitcnt lgkmcnt(0)
	s_lshr_b32 s39, s36, 16
	s_cmp_lt_u32 s2, s68
	s_cselect_b32 s36, 12, 18
	s_add_u32 s36, s37, s36
	s_addc_u32 s37, s38, 0
	global_load_ushort v13, v7, s[36:37]
	v_bfe_u32 v6, v0, 10, 10
	v_bfe_u32 v9, v0, 20, 10
	v_lshrrev_b32_e32 v8, s60, v8
	s_lshl_b32 s36, -1, s61
	v_mad_u32_u24 v15, v9, s39, v6
	v_bitop3_b32 v6, v8, s36, v8 bitop3:0x30
	s_not_b32 s69, s36
	v_cmp_ne_u32_e64 s[36:37], 0, v6
	v_lshl_add_u64 v[8:9], v[6:7], 0, -1
	v_mul_u32_u24_e32 v18, 0x44, v6
	v_xor_b32_e32 v8, s36, v8
	v_xor_b32_e32 v6, s37, v9
	v_and_b32_e32 v8, exec_lo, v8
	v_and_b32_e32 v9, exec_hi, v6
	v_mbcnt_lo_u32_b32 v6, v8, 0
	v_mbcnt_hi_u32_b32 v46, v9, v6
	v_cmp_ne_u64_e64 s[36:37], 0, v[8:9]
	v_cmp_eq_u32_e64 s[38:39], 0, v46
	v_mul_u32_u24_e32 v42, 20, v16
	s_movk_i32 s40, 0x44
	s_and_b64 s[38:39], s[36:37], s[38:39]
	ds_write2_b32 v42, v7, v7 offset0:16 offset1:17
	ds_write2_b32 v42, v7, v7 offset0:18 offset1:19
	ds_write_b32 v42, v7 offset:80
	s_waitcnt lgkmcnt(0)
	s_barrier
	s_waitcnt vmcnt(0)
	; wave barrier
	v_mad_u64_u32 v[58:59], s[42:43], v15, v13, v[16:17]
	v_lshrrev_b32_e32 v6, 4, v58
	v_and_b32_e32 v63, 0xffffffc, v6
	v_add_u32_e32 v59, v63, v18
	s_and_saveexec_b64 s[36:37], s[38:39]
; %bb.38:
	v_bcnt_u32_b32 v6, v8, 0
	v_bcnt_u32_b32 v6, v9, v6
	ds_write_b32 v59, v6 offset:64
; %bb.39:
	s_or_b64 exec, exec, s[36:37]
	v_lshrrev_b32_e32 v5, s60, v5
	v_and_b32_e32 v6, s69, v5
	v_mul_u32_u24_e32 v8, 0x44, v6
	v_mad_u32_u24 v5, v6, s40, v63
	v_cmp_ne_u32_e64 s[36:37], 0, v6
	v_lshl_add_u64 v[6:7], v[6:7], 0, -1
	s_nop 0
	v_xor_b32_e32 v6, s36, v6
	; wave barrier
	ds_read_b32 v5, v5 offset:64
	v_xor_b32_e32 v7, s37, v7
	v_and_b32_e32 v6, exec_lo, v6
	v_and_b32_e32 v7, exec_hi, v7
	v_mbcnt_lo_u32_b32 v9, v6, 0
	v_mbcnt_hi_u32_b32 v13, v7, v9
	v_cmp_eq_u32_e64 s[36:37], 0, v13
	v_cmp_ne_u64_e64 s[38:39], 0, v[6:7]
	s_and_b64 s[38:39], s[38:39], s[36:37]
	v_add_u32_e32 v60, v63, v8
	; wave barrier
	s_and_saveexec_b64 s[36:37], s[38:39]
	s_cbranch_execz .LBB2042_41
; %bb.40:
	v_bcnt_u32_b32 v6, v6, 0
	v_bcnt_u32_b32 v6, v7, v6
	s_waitcnt lgkmcnt(0)
	v_add_u32_e32 v6, v5, v6
	ds_write_b32 v60, v6 offset:64
.LBB2042_41:
	s_or_b64 exec, exec, s[36:37]
	v_lshrrev_b32_e32 v6, s60, v14
	v_and_b32_e32 v6, s69, v6
	v_mad_u32_u24 v7, v6, s40, v63
	; wave barrier
	ds_read_b32 v14, v7 offset:64
	v_mov_b32_e32 v7, 0
	v_cmp_ne_u32_e64 s[36:37], 0, v6
	v_lshl_add_u64 v[8:9], v[6:7], 0, -1
	v_mul_u32_u24_e32 v18, 0x44, v6
	v_xor_b32_e32 v8, s36, v8
	v_xor_b32_e32 v6, s37, v9
	v_and_b32_e32 v8, exec_lo, v8
	v_and_b32_e32 v9, exec_hi, v6
	v_mbcnt_lo_u32_b32 v6, v8, 0
	v_mbcnt_hi_u32_b32 v15, v9, v6
	v_cmp_eq_u32_e64 s[36:37], 0, v15
	v_cmp_ne_u64_e64 s[38:39], 0, v[8:9]
	s_and_b64 s[38:39], s[38:39], s[36:37]
	v_add_u32_e32 v61, v63, v18
	; wave barrier
	s_and_saveexec_b64 s[36:37], s[38:39]
	s_cbranch_execz .LBB2042_43
; %bb.42:
	v_bcnt_u32_b32 v6, v8, 0
	v_bcnt_u32_b32 v6, v9, v6
	s_waitcnt lgkmcnt(0)
	v_add_u32_e32 v6, v14, v6
	ds_write_b32 v61, v6 offset:64
.LBB2042_43:
	s_or_b64 exec, exec, s[36:37]
	v_lshrrev_b32_e32 v6, s60, v17
	v_and_b32_e32 v6, s69, v6
	v_mul_u32_u24_e32 v8, 0x44, v6
	v_mad_u32_u24 v9, v6, s40, v63
	v_cmp_ne_u32_e64 s[36:37], 0, v6
	v_lshl_add_u64 v[6:7], v[6:7], 0, -1
	s_nop 0
	v_xor_b32_e32 v6, s36, v6
	; wave barrier
	ds_read_b32 v17, v9 offset:64
	v_xor_b32_e32 v7, s37, v7
	v_and_b32_e32 v6, exec_lo, v6
	v_and_b32_e32 v7, exec_hi, v7
	v_mbcnt_lo_u32_b32 v9, v6, 0
	v_mbcnt_hi_u32_b32 v18, v7, v9
	v_cmp_eq_u32_e64 s[36:37], 0, v18
	v_cmp_ne_u64_e64 s[38:39], 0, v[6:7]
	s_and_b64 s[38:39], s[38:39], s[36:37]
	v_add_u32_e32 v62, v63, v8
	; wave barrier
	s_and_saveexec_b64 s[36:37], s[38:39]
	s_cbranch_execz .LBB2042_45
; %bb.44:
	v_bcnt_u32_b32 v6, v6, 0
	v_bcnt_u32_b32 v6, v7, v6
	s_waitcnt lgkmcnt(0)
	v_add_u32_e32 v6, v17, v6
	ds_write_b32 v62, v6 offset:64
.LBB2042_45:
	s_or_b64 exec, exec, s[36:37]
	v_lshrrev_b32_e32 v6, s60, v19
	v_and_b32_e32 v6, s69, v6
	v_mad_u32_u24 v7, v6, s40, v63
	; wave barrier
	ds_read_b32 v19, v7 offset:64
	v_mov_b32_e32 v7, 0
	v_cmp_ne_u32_e64 s[36:37], 0, v6
	v_lshl_add_u64 v[8:9], v[6:7], 0, -1
	v_mul_u32_u24_e32 v22, 0x44, v6
	v_xor_b32_e32 v8, s36, v8
	v_xor_b32_e32 v6, s37, v9
	v_and_b32_e32 v8, exec_lo, v8
	v_and_b32_e32 v9, exec_hi, v6
	v_mbcnt_lo_u32_b32 v6, v8, 0
	v_mbcnt_hi_u32_b32 v20, v9, v6
	v_cmp_eq_u32_e64 s[36:37], 0, v20
	v_cmp_ne_u64_e64 s[38:39], 0, v[8:9]
	s_and_b64 s[38:39], s[38:39], s[36:37]
	v_add_u32_e32 v64, v63, v22
	; wave barrier
	s_and_saveexec_b64 s[36:37], s[38:39]
	s_cbranch_execz .LBB2042_47
; %bb.46:
	v_bcnt_u32_b32 v6, v8, 0
	v_bcnt_u32_b32 v6, v9, v6
	s_waitcnt lgkmcnt(0)
	v_add_u32_e32 v6, v19, v6
	ds_write_b32 v64, v6 offset:64
.LBB2042_47:
	;; [unrolled: 60-line block ×7, first 2 shown]
	s_or_b64 exec, exec, s[36:37]
	v_lshrrev_b32_e32 v6, s60, v57
	v_and_b32_e32 v6, s69, v6
	v_mul_u32_u24_e32 v8, 0x44, v6
	v_mad_u32_u24 v9, v6, s40, v63
	v_cmp_ne_u32_e64 s[36:37], 0, v6
	v_lshl_add_u64 v[6:7], v[6:7], 0, -1
	s_nop 0
	v_xor_b32_e32 v6, s36, v6
	; wave barrier
	ds_read_b32 v57, v9 offset:64
	v_xor_b32_e32 v7, s37, v7
	v_and_b32_e32 v6, exec_lo, v6
	v_and_b32_e32 v7, exec_hi, v7
	v_mbcnt_lo_u32_b32 v9, v6, 0
	v_mbcnt_hi_u32_b32 v58, v7, v9
	v_cmp_eq_u32_e64 s[36:37], 0, v58
	v_cmp_ne_u64_e64 s[38:39], 0, v[6:7]
	s_and_b64 s[38:39], s[38:39], s[36:37]
	v_add_u32_e32 v75, v63, v8
	; wave barrier
	s_and_saveexec_b64 s[36:37], s[38:39]
	s_cbranch_execz .LBB2042_69
; %bb.68:
	v_bcnt_u32_b32 v6, v6, 0
	v_bcnt_u32_b32 v6, v7, v6
	s_waitcnt lgkmcnt(0)
	v_add_u32_e32 v6, v57, v6
	ds_write_b32 v75, v6 offset:64
.LBB2042_69:
	s_or_b64 exec, exec, s[36:37]
	; wave barrier
	s_waitcnt lgkmcnt(0)
	s_barrier
	ds_read2_b32 v[8:9], v42 offset0:16 offset1:17
	ds_read2_b32 v[6:7], v42 offset0:18 offset1:19
	ds_read_b32 v63, v42 offset:80
	v_cmp_lt_u32_e64 s[46:47], 31, v33
	s_waitcnt lgkmcnt(1)
	v_add3_u32 v76, v9, v8, v6
	s_waitcnt lgkmcnt(0)
	v_add3_u32 v63, v76, v7, v63
	v_and_b32_e32 v76, 15, v33
	v_cmp_eq_u32_e64 s[36:37], 0, v76
	v_mov_b32_dpp v77, v63 row_shr:1 row_mask:0xf bank_mask:0xf
	v_cmp_lt_u32_e64 s[38:39], 1, v76
	v_cndmask_b32_e64 v77, v77, 0, s[36:37]
	v_add_u32_e32 v63, v77, v63
	v_cmp_lt_u32_e64 s[40:41], 3, v76
	v_cmp_lt_u32_e64 s[42:43], 7, v76
	v_mov_b32_dpp v77, v63 row_shr:2 row_mask:0xf bank_mask:0xf
	v_cndmask_b32_e64 v77, 0, v77, s[38:39]
	v_add_u32_e32 v63, v63, v77
	s_nop 1
	v_mov_b32_dpp v77, v63 row_shr:4 row_mask:0xf bank_mask:0xf
	v_cndmask_b32_e64 v77, 0, v77, s[40:41]
	v_add_u32_e32 v63, v63, v77
	s_nop 1
	v_mov_b32_dpp v77, v63 row_shr:8 row_mask:0xf bank_mask:0xf
	v_cndmask_b32_e64 v76, 0, v77, s[42:43]
	v_add_u32_e32 v63, v63, v76
	v_bfe_i32 v77, v33, 4, 1
	s_nop 0
	v_mov_b32_dpp v76, v63 row_bcast:15 row_mask:0xf bank_mask:0xf
	v_and_b32_e32 v76, v77, v76
	v_add_u32_e32 v63, v63, v76
	v_and_b32_e32 v77, 63, v16
	s_nop 0
	v_mov_b32_dpp v76, v63 row_bcast:31 row_mask:0xf bank_mask:0xf
	v_cndmask_b32_e64 v76, 0, v76, s[46:47]
	v_add_u32_e32 v63, v63, v76
	v_lshrrev_b32_e32 v76, 6, v16
	v_cmp_eq_u32_e64 s[46:47], 63, v77
	s_and_saveexec_b64 s[66:67], s[46:47]
; %bb.70:
	v_lshlrev_b32_e32 v77, 2, v76
	ds_write_b32 v77, v63
; %bb.71:
	s_or_b64 exec, exec, s[66:67]
	v_cmp_gt_u32_e64 s[46:47], 16, v16
	s_waitcnt lgkmcnt(0)
	s_barrier
	s_and_saveexec_b64 s[66:67], s[46:47]
	s_cbranch_execz .LBB2042_73
; %bb.72:
	v_lshlrev_b32_e32 v77, 2, v16
	ds_read_b32 v78, v77
	s_waitcnt lgkmcnt(0)
	s_nop 0
	v_mov_b32_dpp v79, v78 row_shr:1 row_mask:0xf bank_mask:0xf
	v_cndmask_b32_e64 v79, v79, 0, s[36:37]
	v_add_u32_e32 v78, v79, v78
	s_nop 1
	v_mov_b32_dpp v79, v78 row_shr:2 row_mask:0xf bank_mask:0xf
	v_cndmask_b32_e64 v79, 0, v79, s[38:39]
	v_add_u32_e32 v78, v78, v79
	;; [unrolled: 4-line block ×4, first 2 shown]
	ds_write_b32 v77, v78
.LBB2042_73:
	s_or_b64 exec, exec, s[66:67]
	v_cmp_lt_u32_e64 s[36:37], 63, v16
	v_mov_b32_e32 v77, 0
	s_waitcnt lgkmcnt(0)
	s_barrier
	s_and_saveexec_b64 s[38:39], s[36:37]
; %bb.74:
	v_lshl_add_u32 v76, v76, 2, -4
	ds_read_b32 v77, v76
; %bb.75:
	s_or_b64 exec, exec, s[38:39]
	v_subrev_co_u32_e64 v76, s[36:37], 1, v33
	v_and_b32_e32 v78, 64, v33
	v_cmp_lt_i32_e64 s[38:39], v76, v78
	s_waitcnt lgkmcnt(0)
	v_add_u32_e32 v63, v77, v63
	s_movk_i32 s40, 0x100
	v_cndmask_b32_e64 v33, v76, v33, s[38:39]
	v_lshlrev_b32_e32 v33, 2, v33
	ds_bpermute_b32 v33, v33, v63
	v_cmp_gt_u32_e64 s[38:39], s40, v16
	s_waitcnt lgkmcnt(0)
	v_cndmask_b32_e64 v33, v33, v77, s[36:37]
	v_cndmask_b32_e64 v33, v33, 0, s[44:45]
	v_add_u32_e32 v8, v33, v8
	v_add_u32_e32 v9, v8, v9
	;; [unrolled: 1-line block ×4, first 2 shown]
	ds_write2_b32 v42, v33, v8 offset0:16 offset1:17
	ds_write2_b32 v42, v9, v6 offset0:18 offset1:19
	ds_write_b32 v42, v7 offset:80
	s_waitcnt lgkmcnt(0)
	s_barrier
	ds_read_b32 v6, v59 offset:64
	ds_read_b32 v59, v60 offset:64
	;; [unrolled: 1-line block ×16, first 2 shown]
	s_movk_i32 s36, 0xff
	v_cmp_lt_u32_e64 s[36:37], s36, v16
                                        ; implicit-def: $vgpr33
                                        ; implicit-def: $vgpr42
	s_and_saveexec_b64 s[42:43], s[38:39]
	s_cbranch_execz .LBB2042_79
; %bb.76:
	v_mul_u32_u24_e32 v7, 0x44, v16
	ds_read_b32 v33, v7 offset:64
	v_add_u32_e32 v8, 1, v16
	v_cmp_ne_u32_e64 s[40:41], s40, v8
	v_mov_b32_e32 v7, 0x4000
	s_and_saveexec_b64 s[46:47], s[40:41]
; %bb.77:
	v_mul_u32_u24_e32 v7, 0x44, v8
	ds_read_b32 v7, v7 offset:64
; %bb.78:
	s_or_b64 exec, exec, s[46:47]
	s_waitcnt lgkmcnt(0)
	v_sub_u32_e32 v42, v7, v33
.LBB2042_79:
	s_or_b64 exec, exec, s[42:43]
	s_waitcnt lgkmcnt(14)
	v_add_u32_e32 v46, v6, v46
	v_add3_u32 v74, v13, v5, v59
	s_waitcnt lgkmcnt(13)
	v_add3_u32 v75, v15, v14, v60
	s_waitcnt lgkmcnt(12)
	;; [unrolled: 2-line block ×14, first 2 shown]
	v_add3_u32 v88, v58, v57, v73
	s_barrier
	ds_write_b8 v46, v10 offset:1024
	ds_write_b8 v74, v3 offset:1024
	;; [unrolled: 1-line block ×16, first 2 shown]
	v_mov_b32_e32 v7, 0
	v_lshlrev_b32_e32 v28, 2, v16
	s_and_saveexec_b64 s[40:41], s[38:39]
	s_cbranch_execz .LBB2042_89
; %bb.80:
	v_lshl_add_u32 v6, s33, 8, v16
	v_lshl_add_u64 v[8:9], v[6:7], 2, s[64:65]
	v_or_b32_e32 v3, 2.0, v42
	global_store_dword v[8:9], v3, off sc1
	s_mov_b64 s[42:43], 0
	s_brev_b32 s70, -4
	s_mov_b32 s71, s33
	v_mov_b32_e32 v3, 0
                                        ; implicit-def: $sgpr38_sgpr39
	s_branch .LBB2042_83
.LBB2042_81:                            ;   in Loop: Header=BB2042_83 Depth=1
	s_or_b64 exec, exec, s[66:67]
.LBB2042_82:                            ;   in Loop: Header=BB2042_83 Depth=1
	s_or_b64 exec, exec, s[46:47]
	v_and_b32_e32 v10, 0x3fffffff, v6
	v_add_u32_e32 v3, v10, v3
	v_cmp_gt_i32_e64 s[38:39], -2.0, v6
	s_and_b64 s[46:47], exec, s[38:39]
	s_or_b64 s[42:43], s[46:47], s[42:43]
	s_andn2_b64 exec, exec, s[42:43]
	s_cbranch_execz .LBB2042_88
.LBB2042_83:                            ; =>This Loop Header: Depth=1
                                        ;     Child Loop BB2042_86 Depth 2
	s_or_b64 s[38:39], s[38:39], exec
	s_cmp_eq_u32 s71, 0
	s_cbranch_scc1 .LBB2042_87
; %bb.84:                               ;   in Loop: Header=BB2042_83 Depth=1
	s_add_i32 s71, s71, -1
	v_lshl_or_b32 v6, s71, 8, v16
	v_lshl_add_u64 v[10:11], v[6:7], 2, s[64:65]
	global_load_dword v6, v[10:11], off sc1
	s_waitcnt vmcnt(0)
	v_cmp_gt_u32_e64 s[38:39], 2.0, v6
	s_and_saveexec_b64 s[46:47], s[38:39]
	s_cbranch_execz .LBB2042_82
; %bb.85:                               ;   in Loop: Header=BB2042_83 Depth=1
	s_mov_b64 s[66:67], 0
.LBB2042_86:                            ;   Parent Loop BB2042_83 Depth=1
                                        ; =>  This Inner Loop Header: Depth=2
	global_load_dword v6, v[10:11], off sc1
	s_waitcnt vmcnt(0)
	v_cmp_lt_u32_e64 s[38:39], s70, v6
	s_or_b64 s[66:67], s[38:39], s[66:67]
	s_andn2_b64 exec, exec, s[66:67]
	s_cbranch_execnz .LBB2042_86
	s_branch .LBB2042_81
.LBB2042_87:                            ;   in Loop: Header=BB2042_83 Depth=1
                                        ; implicit-def: $sgpr71
	s_and_b64 s[46:47], exec, s[38:39]
	s_or_b64 s[42:43], s[46:47], s[42:43]
	s_andn2_b64 exec, exec, s[42:43]
	s_cbranch_execnz .LBB2042_83
.LBB2042_88:
	s_or_b64 exec, exec, s[42:43]
	v_add_u32_e32 v6, v3, v42
	v_or_b32_e32 v6, 0x80000000, v6
	global_store_dword v[8:9], v6, off sc1
	global_load_dword v6, v28, s[56:57]
	v_sub_u32_e32 v3, v3, v33
	s_waitcnt vmcnt(0)
	v_add_u32_e32 v3, v3, v6
	ds_write_b32 v28, v3
.LBB2042_89:
	s_or_b64 exec, exec, s[40:41]
	v_cmp_gt_u32_e64 s[38:39], s3, v16
	s_waitcnt lgkmcnt(0)
	s_barrier
	s_and_saveexec_b64 s[40:41], s[38:39]
	s_cbranch_execz .LBB2042_91
; %bb.90:
	ds_read_u8 v3, v16 offset:1024
	s_waitcnt lgkmcnt(0)
	v_and_b32_e32 v6, 1, v3
	v_lshrrev_b32_e32 v6, s60, v6
	v_and_b32_e32 v6, s69, v6
	v_lshlrev_b32_e32 v7, 2, v6
	ds_read_b32 v7, v7
	s_waitcnt lgkmcnt(0)
	v_add_u32_e32 v7, v7, v16
	global_store_byte v7, v3, s[50:51]
	scratch_store_dword off, v6, off
.LBB2042_91:
	s_or_b64 exec, exec, s[40:41]
	v_or_b32_e32 v3, 0x400, v16
	v_cmp_gt_u32_e64 s[38:39], s3, v3
	s_and_saveexec_b64 s[40:41], s[38:39]
	s_cbranch_execz .LBB2042_93
; %bb.92:
	ds_read_u8 v6, v16 offset:2048
	s_waitcnt lgkmcnt(0)
	v_and_b32_e32 v7, 1, v6
	v_lshrrev_b32_e32 v7, s60, v7
	v_and_b32_e32 v7, s69, v7
	v_lshlrev_b32_e32 v8, 2, v7
	ds_read_b32 v8, v8
	s_waitcnt lgkmcnt(0)
	v_add_u32_e32 v3, v8, v3
	global_store_byte v3, v6, s[50:51]
	scratch_store_dword off, v7, off offset:4
.LBB2042_93:
	s_or_b64 exec, exec, s[40:41]
	v_or_b32_e32 v3, 0x800, v16
	v_cmp_gt_u32_e64 s[38:39], s3, v3
	s_and_saveexec_b64 s[40:41], s[38:39]
	s_cbranch_execz .LBB2042_95
; %bb.94:
	ds_read_u8 v6, v16 offset:3072
	s_waitcnt lgkmcnt(0)
	v_and_b32_e32 v7, 1, v6
	v_lshrrev_b32_e32 v7, s60, v7
	v_and_b32_e32 v7, s69, v7
	v_lshlrev_b32_e32 v8, 2, v7
	ds_read_b32 v8, v8
	s_waitcnt lgkmcnt(0)
	v_add_u32_e32 v3, v8, v3
	global_store_byte v3, v6, s[50:51]
	scratch_store_dword off, v7, off offset:8
.LBB2042_95:
	s_or_b64 exec, exec, s[40:41]
	v_or_b32_e32 v3, 0xc00, v16
	v_cmp_gt_u32_e64 s[38:39], s3, v3
	s_and_saveexec_b64 s[40:41], s[38:39]
	s_cbranch_execz .LBB2042_97
; %bb.96:
	ds_read_u8 v6, v16 offset:4096
	s_waitcnt lgkmcnt(0)
	v_and_b32_e32 v7, 1, v6
	v_lshrrev_b32_e32 v7, s60, v7
	v_and_b32_e32 v7, s69, v7
	v_lshlrev_b32_e32 v8, 2, v7
	ds_read_b32 v8, v8
	s_waitcnt lgkmcnt(0)
	v_add_u32_e32 v3, v8, v3
	global_store_byte v3, v6, s[50:51]
	scratch_store_dword off, v7, off offset:12
.LBB2042_97:
	s_or_b64 exec, exec, s[40:41]
	v_or_b32_e32 v3, 0x1000, v16
	v_cmp_gt_u32_e64 s[38:39], s3, v3
	s_and_saveexec_b64 s[40:41], s[38:39]
	s_cbranch_execz .LBB2042_99
; %bb.98:
	ds_read_u8 v6, v16 offset:5120
	s_waitcnt lgkmcnt(0)
	v_and_b32_e32 v7, 1, v6
	v_lshrrev_b32_e32 v7, s60, v7
	v_and_b32_e32 v7, s69, v7
	v_lshlrev_b32_e32 v8, 2, v7
	ds_read_b32 v8, v8
	s_waitcnt lgkmcnt(0)
	v_add_u32_e32 v3, v8, v3
	global_store_byte v3, v6, s[50:51]
	scratch_store_dword off, v7, off offset:16
.LBB2042_99:
	s_or_b64 exec, exec, s[40:41]
	v_or_b32_e32 v3, 0x1400, v16
	v_cmp_gt_u32_e64 s[38:39], s3, v3
	s_and_saveexec_b64 s[40:41], s[38:39]
	s_cbranch_execz .LBB2042_101
; %bb.100:
	ds_read_u8 v6, v16 offset:6144
	s_waitcnt lgkmcnt(0)
	v_and_b32_e32 v7, 1, v6
	v_lshrrev_b32_e32 v7, s60, v7
	v_and_b32_e32 v7, s69, v7
	v_lshlrev_b32_e32 v8, 2, v7
	ds_read_b32 v8, v8
	s_waitcnt lgkmcnt(0)
	v_add_u32_e32 v3, v8, v3
	global_store_byte v3, v6, s[50:51]
	scratch_store_dword off, v7, off offset:20
.LBB2042_101:
	s_or_b64 exec, exec, s[40:41]
	v_or_b32_e32 v3, 0x1800, v16
	v_cmp_gt_u32_e64 s[38:39], s3, v3
	s_and_saveexec_b64 s[40:41], s[38:39]
	s_cbranch_execz .LBB2042_103
; %bb.102:
	ds_read_u8 v6, v16 offset:7168
	s_waitcnt lgkmcnt(0)
	v_and_b32_e32 v7, 1, v6
	v_lshrrev_b32_e32 v7, s60, v7
	v_and_b32_e32 v7, s69, v7
	v_lshlrev_b32_e32 v8, 2, v7
	ds_read_b32 v8, v8
	s_waitcnt lgkmcnt(0)
	v_add_u32_e32 v3, v8, v3
	global_store_byte v3, v6, s[50:51]
	scratch_store_dword off, v7, off offset:24
.LBB2042_103:
	s_or_b64 exec, exec, s[40:41]
	v_or_b32_e32 v3, 0x1c00, v16
	v_cmp_gt_u32_e64 s[38:39], s3, v3
	s_and_saveexec_b64 s[40:41], s[38:39]
	s_cbranch_execz .LBB2042_105
; %bb.104:
	ds_read_u8 v6, v16 offset:8192
	s_waitcnt lgkmcnt(0)
	v_and_b32_e32 v7, 1, v6
	v_lshrrev_b32_e32 v7, s60, v7
	v_and_b32_e32 v7, s69, v7
	v_lshlrev_b32_e32 v8, 2, v7
	ds_read_b32 v8, v8
	s_waitcnt lgkmcnt(0)
	v_add_u32_e32 v3, v8, v3
	global_store_byte v3, v6, s[50:51]
	scratch_store_dword off, v7, off offset:28
.LBB2042_105:
	s_or_b64 exec, exec, s[40:41]
	v_or_b32_e32 v3, 0x2000, v16
	v_cmp_gt_u32_e64 s[38:39], s3, v3
	s_and_saveexec_b64 s[40:41], s[38:39]
	s_cbranch_execz .LBB2042_107
; %bb.106:
	ds_read_u8 v6, v16 offset:9216
	s_waitcnt lgkmcnt(0)
	v_and_b32_e32 v7, 1, v6
	v_lshrrev_b32_e32 v7, s60, v7
	v_and_b32_e32 v7, s69, v7
	v_lshlrev_b32_e32 v8, 2, v7
	ds_read_b32 v8, v8
	s_waitcnt lgkmcnt(0)
	v_add_u32_e32 v3, v8, v3
	global_store_byte v3, v6, s[50:51]
	scratch_store_dword off, v7, off offset:32
.LBB2042_107:
	s_or_b64 exec, exec, s[40:41]
	v_or_b32_e32 v3, 0x2400, v16
	v_cmp_gt_u32_e64 s[38:39], s3, v3
	s_and_saveexec_b64 s[40:41], s[38:39]
	s_cbranch_execz .LBB2042_109
; %bb.108:
	ds_read_u8 v6, v16 offset:10240
	s_waitcnt lgkmcnt(0)
	v_and_b32_e32 v7, 1, v6
	v_lshrrev_b32_e32 v7, s60, v7
	v_and_b32_e32 v7, s69, v7
	v_lshlrev_b32_e32 v8, 2, v7
	ds_read_b32 v8, v8
	s_waitcnt lgkmcnt(0)
	v_add_u32_e32 v3, v8, v3
	global_store_byte v3, v6, s[50:51]
	scratch_store_dword off, v7, off offset:36
.LBB2042_109:
	s_or_b64 exec, exec, s[40:41]
	v_or_b32_e32 v3, 0x2800, v16
	v_cmp_gt_u32_e64 s[38:39], s3, v3
	s_and_saveexec_b64 s[40:41], s[38:39]
	s_cbranch_execz .LBB2042_111
; %bb.110:
	ds_read_u8 v6, v16 offset:11264
	s_waitcnt lgkmcnt(0)
	v_and_b32_e32 v7, 1, v6
	v_lshrrev_b32_e32 v7, s60, v7
	v_and_b32_e32 v7, s69, v7
	v_lshlrev_b32_e32 v8, 2, v7
	ds_read_b32 v8, v8
	s_waitcnt lgkmcnt(0)
	v_add_u32_e32 v3, v8, v3
	global_store_byte v3, v6, s[50:51]
	scratch_store_dword off, v7, off offset:40
.LBB2042_111:
	s_or_b64 exec, exec, s[40:41]
	v_or_b32_e32 v3, 0x2c00, v16
	v_cmp_gt_u32_e64 s[38:39], s3, v3
	s_and_saveexec_b64 s[40:41], s[38:39]
	s_cbranch_execz .LBB2042_113
; %bb.112:
	ds_read_u8 v6, v16 offset:12288
	s_waitcnt lgkmcnt(0)
	v_and_b32_e32 v7, 1, v6
	v_lshrrev_b32_e32 v7, s60, v7
	v_and_b32_e32 v7, s69, v7
	v_lshlrev_b32_e32 v8, 2, v7
	ds_read_b32 v8, v8
	s_waitcnt lgkmcnt(0)
	v_add_u32_e32 v3, v8, v3
	global_store_byte v3, v6, s[50:51]
	scratch_store_dword off, v7, off offset:44
.LBB2042_113:
	s_or_b64 exec, exec, s[40:41]
	v_or_b32_e32 v3, 0x3000, v16
	v_cmp_gt_u32_e64 s[38:39], s3, v3
	s_and_saveexec_b64 s[40:41], s[38:39]
	s_cbranch_execz .LBB2042_115
; %bb.114:
	ds_read_u8 v6, v16 offset:13312
	s_waitcnt lgkmcnt(0)
	v_and_b32_e32 v7, 1, v6
	v_lshrrev_b32_e32 v7, s60, v7
	v_and_b32_e32 v7, s69, v7
	v_lshlrev_b32_e32 v8, 2, v7
	ds_read_b32 v8, v8
	s_waitcnt lgkmcnt(0)
	v_add_u32_e32 v3, v8, v3
	global_store_byte v3, v6, s[50:51]
	scratch_store_dword off, v7, off offset:48
.LBB2042_115:
	s_or_b64 exec, exec, s[40:41]
	v_or_b32_e32 v3, 0x3400, v16
	v_cmp_gt_u32_e64 s[38:39], s3, v3
	s_and_saveexec_b64 s[40:41], s[38:39]
	s_cbranch_execz .LBB2042_117
; %bb.116:
	ds_read_u8 v6, v16 offset:14336
	s_waitcnt lgkmcnt(0)
	v_and_b32_e32 v7, 1, v6
	v_lshrrev_b32_e32 v7, s60, v7
	v_and_b32_e32 v7, s69, v7
	v_lshlrev_b32_e32 v8, 2, v7
	ds_read_b32 v8, v8
	s_waitcnt lgkmcnt(0)
	v_add_u32_e32 v3, v8, v3
	global_store_byte v3, v6, s[50:51]
	scratch_store_dword off, v7, off offset:52
.LBB2042_117:
	s_or_b64 exec, exec, s[40:41]
	v_or_b32_e32 v3, 0x3800, v16
	v_cmp_gt_u32_e64 s[38:39], s3, v3
	s_and_saveexec_b64 s[40:41], s[38:39]
	s_cbranch_execz .LBB2042_119
; %bb.118:
	ds_read_u8 v6, v16 offset:15360
	s_waitcnt lgkmcnt(0)
	v_and_b32_e32 v7, 1, v6
	v_lshrrev_b32_e32 v7, s60, v7
	v_and_b32_e32 v7, s69, v7
	v_lshlrev_b32_e32 v8, 2, v7
	ds_read_b32 v8, v8
	s_waitcnt lgkmcnt(0)
	v_add_u32_e32 v3, v8, v3
	global_store_byte v3, v6, s[50:51]
	scratch_store_dword off, v7, off offset:56
.LBB2042_119:
	s_or_b64 exec, exec, s[40:41]
	v_or_b32_e32 v3, 0x3c00, v16
	v_cmp_gt_u32_e64 s[38:39], s3, v3
	s_and_saveexec_b64 s[40:41], s[38:39]
	s_cbranch_execz .LBB2042_121
; %bb.120:
	ds_read_u8 v6, v16 offset:16384
	s_waitcnt lgkmcnt(0)
	v_and_b32_e32 v7, 1, v6
	v_lshrrev_b32_e32 v7, s60, v7
	v_and_b32_e32 v7, s69, v7
	v_lshlrev_b32_e32 v8, 2, v7
	ds_read_b32 v8, v8
	s_waitcnt lgkmcnt(0)
	v_add_u32_e32 v3, v8, v3
	global_store_byte v3, v6, s[50:51]
	scratch_store_dword off, v7, off offset:60
.LBB2042_121:
	s_or_b64 exec, exec, s[40:41]
	s_lshl_b64 s[38:39], s[62:63], 2
	s_add_u32 s38, s52, s38
	s_addc_u32 s39, s53, s39
	v_lshlrev_b32_e32 v2, 2, v2
	v_mov_b32_e32 v3, 0
	v_lshl_add_u64 v[6:7], s[38:39], 0, v[2:3]
	v_lshlrev_b32_e32 v2, 2, v4
	v_lshl_add_u64 v[2:3], v[6:7], 0, v[2:3]
                                        ; implicit-def: $vgpr4
	s_and_saveexec_b64 s[38:39], vcc
	s_xor_b64 s[38:39], exec, s[38:39]
	s_cbranch_execz .LBB2042_137
; %bb.122:
	global_load_dword v4, v[2:3], off
	s_or_b64 exec, exec, s[38:39]
                                        ; implicit-def: $vgpr6
	s_and_saveexec_b64 s[38:39], s[4:5]
	s_cbranch_execnz .LBB2042_138
.LBB2042_123:
	s_or_b64 exec, exec, s[38:39]
                                        ; implicit-def: $vgpr7
	s_and_saveexec_b64 s[4:5], s[6:7]
	s_cbranch_execz .LBB2042_139
.LBB2042_124:
	global_load_dword v7, v[2:3], off offset:512
	s_or_b64 exec, exec, s[4:5]
                                        ; implicit-def: $vgpr8
	s_and_saveexec_b64 s[4:5], s[8:9]
	s_cbranch_execnz .LBB2042_140
.LBB2042_125:
	s_or_b64 exec, exec, s[4:5]
                                        ; implicit-def: $vgpr9
	s_and_saveexec_b64 s[4:5], s[10:11]
	s_cbranch_execz .LBB2042_141
.LBB2042_126:
	global_load_dword v9, v[2:3], off offset:1024
	s_or_b64 exec, exec, s[4:5]
                                        ; implicit-def: $vgpr10
	s_and_saveexec_b64 s[4:5], s[12:13]
	s_cbranch_execnz .LBB2042_142
.LBB2042_127:
	s_or_b64 exec, exec, s[4:5]
                                        ; implicit-def: $vgpr11
	s_and_saveexec_b64 s[4:5], s[14:15]
	s_cbranch_execz .LBB2042_143
.LBB2042_128:
	global_load_dword v11, v[2:3], off offset:1536
	s_or_b64 exec, exec, s[4:5]
                                        ; implicit-def: $vgpr30
	s_and_saveexec_b64 s[4:5], s[16:17]
	s_cbranch_execnz .LBB2042_144
.LBB2042_129:
	s_or_b64 exec, exec, s[4:5]
                                        ; implicit-def: $vgpr31
	s_and_saveexec_b64 s[4:5], s[18:19]
	s_cbranch_execz .LBB2042_145
.LBB2042_130:
	global_load_dword v31, v[2:3], off offset:2048
	s_or_b64 exec, exec, s[4:5]
                                        ; implicit-def: $vgpr35
	s_and_saveexec_b64 s[4:5], s[20:21]
	s_cbranch_execnz .LBB2042_146
.LBB2042_131:
	s_or_b64 exec, exec, s[4:5]
                                        ; implicit-def: $vgpr36
	s_and_saveexec_b64 s[4:5], s[22:23]
	s_cbranch_execz .LBB2042_147
.LBB2042_132:
	global_load_dword v36, v[2:3], off offset:2560
	s_or_b64 exec, exec, s[4:5]
                                        ; implicit-def: $vgpr39
	s_and_saveexec_b64 s[4:5], s[24:25]
	s_cbranch_execnz .LBB2042_148
.LBB2042_133:
	s_or_b64 exec, exec, s[4:5]
                                        ; implicit-def: $vgpr40
	s_and_saveexec_b64 s[4:5], s[26:27]
	s_cbranch_execz .LBB2042_149
.LBB2042_134:
	global_load_dword v40, v[2:3], off offset:3072
	s_or_b64 exec, exec, s[4:5]
                                        ; implicit-def: $vgpr43
	s_and_saveexec_b64 s[4:5], s[28:29]
	s_cbranch_execnz .LBB2042_150
.LBB2042_135:
	s_or_b64 exec, exec, s[4:5]
                                        ; implicit-def: $vgpr45
	s_and_saveexec_b64 s[4:5], s[30:31]
	s_cbranch_execz .LBB2042_151
.LBB2042_136:
	global_load_dword v45, v[2:3], off offset:3584
	s_or_b64 exec, exec, s[4:5]
                                        ; implicit-def: $vgpr48
	s_and_saveexec_b64 s[4:5], s[34:35]
	s_cbranch_execnz .LBB2042_152
	s_branch .LBB2042_153
.LBB2042_137:
	s_or_b64 exec, exec, s[38:39]
                                        ; implicit-def: $vgpr6
	s_and_saveexec_b64 s[38:39], s[4:5]
	s_cbranch_execz .LBB2042_123
.LBB2042_138:
	global_load_dword v6, v[2:3], off offset:256
	s_or_b64 exec, exec, s[38:39]
                                        ; implicit-def: $vgpr7
	s_and_saveexec_b64 s[4:5], s[6:7]
	s_cbranch_execnz .LBB2042_124
.LBB2042_139:
	s_or_b64 exec, exec, s[4:5]
                                        ; implicit-def: $vgpr8
	s_and_saveexec_b64 s[4:5], s[8:9]
	s_cbranch_execz .LBB2042_125
.LBB2042_140:
	global_load_dword v8, v[2:3], off offset:768
	s_or_b64 exec, exec, s[4:5]
                                        ; implicit-def: $vgpr9
	s_and_saveexec_b64 s[4:5], s[10:11]
	s_cbranch_execnz .LBB2042_126
.LBB2042_141:
	s_or_b64 exec, exec, s[4:5]
                                        ; implicit-def: $vgpr10
	s_and_saveexec_b64 s[4:5], s[12:13]
	s_cbranch_execz .LBB2042_127
.LBB2042_142:
	global_load_dword v10, v[2:3], off offset:1280
	s_or_b64 exec, exec, s[4:5]
                                        ; implicit-def: $vgpr11
	s_and_saveexec_b64 s[4:5], s[14:15]
	s_cbranch_execnz .LBB2042_128
.LBB2042_143:
	s_or_b64 exec, exec, s[4:5]
                                        ; implicit-def: $vgpr30
	s_and_saveexec_b64 s[4:5], s[16:17]
	s_cbranch_execz .LBB2042_129
.LBB2042_144:
	global_load_dword v30, v[2:3], off offset:1792
	s_or_b64 exec, exec, s[4:5]
                                        ; implicit-def: $vgpr31
	s_and_saveexec_b64 s[4:5], s[18:19]
	s_cbranch_execnz .LBB2042_130
.LBB2042_145:
	s_or_b64 exec, exec, s[4:5]
                                        ; implicit-def: $vgpr35
	s_and_saveexec_b64 s[4:5], s[20:21]
	s_cbranch_execz .LBB2042_131
.LBB2042_146:
	global_load_dword v35, v[2:3], off offset:2304
	s_or_b64 exec, exec, s[4:5]
                                        ; implicit-def: $vgpr36
	s_and_saveexec_b64 s[4:5], s[22:23]
	s_cbranch_execnz .LBB2042_132
.LBB2042_147:
	s_or_b64 exec, exec, s[4:5]
                                        ; implicit-def: $vgpr39
	s_and_saveexec_b64 s[4:5], s[24:25]
	s_cbranch_execz .LBB2042_133
.LBB2042_148:
	global_load_dword v39, v[2:3], off offset:2816
	s_or_b64 exec, exec, s[4:5]
                                        ; implicit-def: $vgpr40
	s_and_saveexec_b64 s[4:5], s[26:27]
	s_cbranch_execnz .LBB2042_134
.LBB2042_149:
	s_or_b64 exec, exec, s[4:5]
                                        ; implicit-def: $vgpr43
	s_and_saveexec_b64 s[4:5], s[28:29]
	s_cbranch_execz .LBB2042_135
.LBB2042_150:
	global_load_dword v43, v[2:3], off offset:3328
	s_or_b64 exec, exec, s[4:5]
                                        ; implicit-def: $vgpr45
	s_and_saveexec_b64 s[4:5], s[30:31]
	s_cbranch_execnz .LBB2042_136
.LBB2042_151:
	s_or_b64 exec, exec, s[4:5]
                                        ; implicit-def: $vgpr48
	s_and_saveexec_b64 s[4:5], s[34:35]
	s_cbranch_execz .LBB2042_153
.LBB2042_152:
	global_load_dword v48, v[2:3], off offset:3840
.LBB2042_153:
	s_or_b64 exec, exec, s[4:5]
	v_mov_b32_e32 v2, 0x400
	s_movk_i32 s6, 0x400
	v_lshl_add_u32 v49, v88, 2, v2
	v_add3_u32 v52, v58, v73, v57
	v_lshl_add_u32 v53, v87, 2, v2
	v_add3_u32 v55, v56, v72, v55
	;; [unrolled: 2-line block ×15, first 2 shown]
	v_lshl_add_u32 v13, v46, 2, v2
	s_mov_b32 s7, 0
	s_mov_b32 s8, 0
	s_movk_i32 s9, 0x1000
	v_mov_b32_e32 v3, 0
	s_movk_i32 s10, 0x800
	s_movk_i32 s11, 0xc00
	s_mov_b32 s12, 0
	v_mov_b32_e32 v57, v16
	s_barrier
	s_branch .LBB2042_155
.LBB2042_154:                           ;   in Loop: Header=BB2042_155 Depth=1
	s_or_b64 exec, exec, s[4:5]
	s_addk_i32 s12, 0xc000
	s_addk_i32 s8, 0xf000
	s_add_i32 s7, s7, 16
	s_cmp_eq_u32 s12, 0xffff0000
	v_add_u32_e32 v57, 0x1000, v57
	s_barrier
	s_cbranch_scc1 .LBB2042_195
.LBB2042_155:                           ; =>This Inner Loop Header: Depth=1
	v_add_u32_e32 v2, s8, v46
	v_cmp_gt_u32_e32 vcc, s9, v2
	s_and_saveexec_b64 s[4:5], vcc
	s_cbranch_execz .LBB2042_157
; %bb.156:                              ;   in Loop: Header=BB2042_155 Depth=1
	v_add_u32_e32 v2, s12, v13
	s_waitcnt vmcnt(0)
	ds_write_b32 v2, v4
.LBB2042_157:                           ;   in Loop: Header=BB2042_155 Depth=1
	s_or_b64 exec, exec, s[4:5]
	v_add_u32_e32 v2, s8, v5
	v_cmp_gt_u32_e32 vcc, s9, v2
	s_and_saveexec_b64 s[4:5], vcc
	s_cbranch_execz .LBB2042_159
; %bb.158:                              ;   in Loop: Header=BB2042_155 Depth=1
	v_add_u32_e32 v2, s12, v15
	s_waitcnt vmcnt(0)
	ds_write_b32 v2, v6
.LBB2042_159:                           ;   in Loop: Header=BB2042_155 Depth=1
	s_or_b64 exec, exec, s[4:5]
	;; [unrolled: 10-line block ×16, first 2 shown]
	v_cmp_gt_u32_e32 vcc, s3, v57
	s_waitcnt lgkmcnt(0)
	s_barrier
	s_and_saveexec_b64 s[4:5], vcc
	s_cbranch_execz .LBB2042_189
; %bb.188:                              ;   in Loop: Header=BB2042_155 Depth=1
	scratch_load_dword v2, off, s7
	s_waitcnt vmcnt(0)
	v_lshlrev_b32_e32 v2, 2, v2
	ds_read_b32 v2, v2
	ds_read_b32 v60, v28 offset:1024
	s_waitcnt lgkmcnt(1)
	v_add_u32_e32 v2, v57, v2
	v_lshl_add_u64 v[58:59], v[2:3], 2, s[54:55]
	s_waitcnt lgkmcnt(0)
	global_store_dword v[58:59], v60, off
.LBB2042_189:                           ;   in Loop: Header=BB2042_155 Depth=1
	s_or_b64 exec, exec, s[4:5]
	v_add_u32_e32 v2, 0x400, v57
	v_cmp_gt_u32_e32 vcc, s3, v2
	s_and_saveexec_b64 s[4:5], vcc
	s_cbranch_execz .LBB2042_191
; %bb.190:                              ;   in Loop: Header=BB2042_155 Depth=1
	s_add_i32 s13, s7, 4
	scratch_load_dword v2, off, s13
	s_waitcnt vmcnt(0)
	v_lshlrev_b32_e32 v2, 2, v2
	ds_read_b32 v2, v2
	ds_read_b32 v60, v28 offset:5120
	s_waitcnt lgkmcnt(1)
	v_add3_u32 v2, v57, v2, s6
	v_lshl_add_u64 v[58:59], v[2:3], 2, s[54:55]
	s_waitcnt lgkmcnt(0)
	global_store_dword v[58:59], v60, off
.LBB2042_191:                           ;   in Loop: Header=BB2042_155 Depth=1
	s_or_b64 exec, exec, s[4:5]
	v_add_u32_e32 v2, 0x800, v57
	v_cmp_gt_u32_e32 vcc, s3, v2
	s_and_saveexec_b64 s[4:5], vcc
	s_cbranch_execz .LBB2042_193
; %bb.192:                              ;   in Loop: Header=BB2042_155 Depth=1
	s_add_i32 s13, s7, 8
	scratch_load_dword v2, off, s13
	s_waitcnt vmcnt(0)
	v_lshlrev_b32_e32 v2, 2, v2
	ds_read_b32 v2, v2
	ds_read_b32 v60, v28 offset:9216
	s_waitcnt lgkmcnt(1)
	v_add3_u32 v2, v57, v2, s10
	v_lshl_add_u64 v[58:59], v[2:3], 2, s[54:55]
	s_waitcnt lgkmcnt(0)
	global_store_dword v[58:59], v60, off
.LBB2042_193:                           ;   in Loop: Header=BB2042_155 Depth=1
	s_or_b64 exec, exec, s[4:5]
	v_add_u32_e32 v2, 0xc00, v57
	v_cmp_gt_u32_e32 vcc, s3, v2
	s_and_saveexec_b64 s[4:5], vcc
	s_cbranch_execz .LBB2042_154
; %bb.194:                              ;   in Loop: Header=BB2042_155 Depth=1
	s_add_i32 s13, s7, 12
	scratch_load_dword v2, off, s13
	s_waitcnt vmcnt(0)
	v_lshlrev_b32_e32 v2, 2, v2
	ds_read_b32 v2, v2
	ds_read_b32 v60, v28 offset:13312
	s_waitcnt lgkmcnt(1)
	v_add3_u32 v2, v57, v2, s11
	v_lshl_add_u64 v[58:59], v[2:3], 2, s[54:55]
	s_waitcnt lgkmcnt(0)
	global_store_dword v[58:59], v60, off
	s_branch .LBB2042_154
.LBB2042_195:
	s_add_i32 s68, s68, -1
	s_cmp_eq_u32 s33, s68
	s_cselect_b64 s[4:5], -1, 0
	s_xor_b64 s[6:7], s[36:37], -1
	s_and_b64 s[6:7], s[6:7], s[4:5]
	s_and_saveexec_b64 s[4:5], s[6:7]
	s_cbranch_execz .LBB2042_197
; %bb.196:
	ds_read_b32 v2, v28
	s_waitcnt lgkmcnt(0)
	v_add3_u32 v2, v33, v42, v2
	global_store_dword v28, v2, s[58:59]
.LBB2042_197:
	s_or_b64 exec, exec, s[4:5]
	s_mov_b64 s[4:5], 0
.LBB2042_198:
	s_and_b64 vcc, exec, s[4:5]
	s_cbranch_vccz .LBB2042_287
; %bb.199:
	s_lshl_b32 s8, s33, 14
	s_add_u32 s4, s48, s8
	v_mbcnt_hi_u32_b32 v42, -1, v12
	s_addc_u32 s5, s49, 0
	v_and_b32_e32 v20, 63, v42
	v_mov_b32_e32 v21, 0
	v_and_b32_e32 v18, 0x3c00, v1
	v_lshl_add_u64 v[2:3], s[4:5], 0, v[20:21]
	v_mov_b32_e32 v19, v21
	v_lshl_add_u64 v[2:3], v[2:3], 0, v[18:19]
	s_load_dword s12, s[0:1], 0x58
	s_load_dword s3, s[0:1], 0x64
	global_load_ubyte v4, v[2:3], off
	s_add_u32 s0, s0, 0x58
	s_addc_u32 s1, s1, 0
	v_mov_b32_e32 v1, v21
	s_waitcnt lgkmcnt(0)
	s_lshr_b32 s3, s3, 16
	s_cmp_lt_u32 s2, s12
	s_cselect_b32 s2, 12, 18
	s_add_u32 s0, s0, s2
	s_addc_u32 s1, s1, 0
	global_load_ushort v17, v21, s[0:1]
	global_load_ubyte v57, v[2:3], off offset:64
	global_load_ubyte v56, v[2:3], off offset:128
	global_load_ubyte v55, v[2:3], off offset:192
	global_load_ubyte v54, v[2:3], off offset:256
	global_load_ubyte v15, v[2:3], off offset:320
	global_load_ubyte v14, v[2:3], off offset:384
	global_load_ubyte v12, v[2:3], off offset:448
	global_load_ubyte v5, v[2:3], off offset:512
	global_load_ubyte v6, v[2:3], off offset:576
	global_load_ubyte v7, v[2:3], off offset:640
	global_load_ubyte v8, v[2:3], off offset:704
	global_load_ubyte v9, v[2:3], off offset:768
	global_load_ubyte v10, v[2:3], off offset:832
	global_load_ubyte v11, v[2:3], off offset:896
                                        ; kill: killed $sgpr0 killed $sgpr1
	global_load_ubyte v13, v[2:3], off offset:960
	v_bfe_u32 v2, v0, 10, 10
	v_bfe_u32 v0, v0, 20, 10
	v_mad_u32_u24 v2, v0, s3, v2
	s_lshl_b32 s0, -1, s61
	s_not_b32 s13, s0
	s_mov_b32 s9, 0
	v_mul_u32_u24_e32 v44, 20, v16
	s_movk_i32 s2, 0x44
	ds_write2_b32 v44, v21, v21 offset0:16 offset1:17
	ds_write2_b32 v44, v21, v21 offset0:18 offset1:19
	ds_write_b32 v44, v21 offset:80
	s_waitcnt lgkmcnt(0)
	s_barrier
	s_waitcnt vmcnt(16)
	; wave barrier
	v_and_b32_e32 v0, 1, v4
	v_lshrrev_b32_e32 v0, s60, v0
	v_bitop3_b32 v0, v0, s0, v0 bitop3:0x30
	v_mul_u32_u24_e32 v19, 0x44, v0
	v_cmp_ne_u32_e32 vcc, 0, v0
	v_lshl_add_u64 v[0:1], v[0:1], 0, -1
	s_waitcnt vmcnt(15)
	v_mad_u64_u32 v[2:3], s[0:1], v2, v17, v[16:17]
	v_xor_b32_e32 v0, vcc_lo, v0
	v_xor_b32_e32 v1, vcc_hi, v1
	v_and_b32_e32 v0, exec_lo, v0
	v_and_b32_e32 v1, exec_hi, v1
	v_mbcnt_lo_u32_b32 v3, v0, 0
	v_lshrrev_b32_e32 v2, 4, v2
	v_mbcnt_hi_u32_b32 v46, v1, v3
	v_cmp_ne_u64_e32 vcc, 0, v[0:1]
	v_and_b32_e32 v37, 0xffffffc, v2
	v_cmp_eq_u32_e64 s[0:1], 0, v46
	s_and_b64 s[4:5], vcc, s[0:1]
	v_add_u32_e32 v58, v37, v19
	s_and_saveexec_b64 s[0:1], s[4:5]
; %bb.200:
	v_bcnt_u32_b32 v0, v0, 0
	v_bcnt_u32_b32 v0, v1, v0
	ds_write_b32 v58, v0 offset:64
; %bb.201:
	s_or_b64 exec, exec, s[0:1]
	s_waitcnt vmcnt(14)
	v_lshrrev_b32_sdwa v0, s60, v57 dst_sel:DWORD dst_unused:UNUSED_PAD src0_sel:DWORD src1_sel:BYTE_0
	v_and_b32_e32 v0, s13, v0
	v_mad_u32_u24 v1, v0, s2, v37
	; wave barrier
	ds_read_b32 v17, v1 offset:64
	v_mov_b32_e32 v1, v21
	v_mul_u32_u24_e32 v2, 0x44, v0
	v_cmp_ne_u32_e32 vcc, 0, v0
	v_lshl_add_u64 v[0:1], v[0:1], 0, -1
	v_add_u32_e32 v21, v37, v2
	v_xor_b32_e32 v0, vcc_lo, v0
	v_xor_b32_e32 v1, vcc_hi, v1
	v_and_b32_e32 v0, exec_lo, v0
	v_and_b32_e32 v1, exec_hi, v1
	v_mbcnt_lo_u32_b32 v3, v0, 0
	v_mbcnt_hi_u32_b32 v19, v1, v3
	v_cmp_eq_u32_e32 vcc, 0, v19
	v_cmp_ne_u64_e64 s[0:1], 0, v[0:1]
	s_and_b64 s[2:3], s[0:1], vcc
	; wave barrier
	s_and_saveexec_b64 s[0:1], s[2:3]
	s_cbranch_execz .LBB2042_203
; %bb.202:
	v_bcnt_u32_b32 v0, v0, 0
	v_bcnt_u32_b32 v0, v1, v0
	s_waitcnt lgkmcnt(0)
	v_add_u32_e32 v0, v17, v0
	ds_write_b32 v21, v0 offset:64
.LBB2042_203:
	s_or_b64 exec, exec, s[0:1]
	s_waitcnt vmcnt(13)
	v_lshrrev_b32_sdwa v0, s60, v56 dst_sel:DWORD dst_unused:UNUSED_PAD src0_sel:DWORD src1_sel:BYTE_0
	v_and_b32_e32 v0, s13, v0
	s_movk_i32 s2, 0x44
	v_mad_u32_u24 v1, v0, s2, v37
	; wave barrier
	ds_read_b32 v22, v1 offset:64
	v_mov_b32_e32 v1, 0
	v_cmp_ne_u32_e32 vcc, 0, v0
	v_lshl_add_u64 v[2:3], v[0:1], 0, -1
	v_mul_u32_u24_e32 v24, 0x44, v0
	v_xor_b32_e32 v2, vcc_lo, v2
	v_xor_b32_e32 v0, vcc_hi, v3
	v_and_b32_e32 v2, exec_lo, v2
	v_and_b32_e32 v3, exec_hi, v0
	v_mbcnt_lo_u32_b32 v0, v2, 0
	v_mbcnt_hi_u32_b32 v23, v3, v0
	v_cmp_eq_u32_e32 vcc, 0, v23
	v_cmp_ne_u64_e64 s[0:1], 0, v[2:3]
	s_and_b64 s[4:5], s[0:1], vcc
	v_add_u32_e32 v59, v37, v24
	; wave barrier
	s_and_saveexec_b64 s[0:1], s[4:5]
	s_cbranch_execz .LBB2042_205
; %bb.204:
	v_bcnt_u32_b32 v0, v2, 0
	v_bcnt_u32_b32 v0, v3, v0
	s_waitcnt lgkmcnt(0)
	v_add_u32_e32 v0, v22, v0
	ds_write_b32 v59, v0 offset:64
.LBB2042_205:
	s_or_b64 exec, exec, s[0:1]
	s_waitcnt vmcnt(12)
	v_lshrrev_b32_sdwa v0, s60, v55 dst_sel:DWORD dst_unused:UNUSED_PAD src0_sel:DWORD src1_sel:BYTE_0
	v_and_b32_e32 v0, s13, v0
	v_mul_u32_u24_e32 v2, 0x44, v0
	v_mad_u32_u24 v3, v0, s2, v37
	v_cmp_ne_u32_e32 vcc, 0, v0
	v_lshl_add_u64 v[0:1], v[0:1], 0, -1
	s_nop 0
	v_xor_b32_e32 v0, vcc_lo, v0
	; wave barrier
	ds_read_b32 v24, v3 offset:64
	v_xor_b32_e32 v1, vcc_hi, v1
	v_and_b32_e32 v0, exec_lo, v0
	v_and_b32_e32 v1, exec_hi, v1
	v_mbcnt_lo_u32_b32 v3, v0, 0
	v_mbcnt_hi_u32_b32 v25, v1, v3
	v_cmp_eq_u32_e32 vcc, 0, v25
	v_cmp_ne_u64_e64 s[0:1], 0, v[0:1]
	s_and_b64 s[2:3], s[0:1], vcc
	v_add_u32_e32 v60, v37, v2
	; wave barrier
	s_and_saveexec_b64 s[0:1], s[2:3]
	s_cbranch_execz .LBB2042_207
; %bb.206:
	v_bcnt_u32_b32 v0, v0, 0
	v_bcnt_u32_b32 v0, v1, v0
	s_waitcnt lgkmcnt(0)
	v_add_u32_e32 v0, v24, v0
	ds_write_b32 v60, v0 offset:64
.LBB2042_207:
	s_or_b64 exec, exec, s[0:1]
	s_waitcnt vmcnt(11)
	v_lshrrev_b32_sdwa v0, s60, v54 dst_sel:DWORD dst_unused:UNUSED_PAD src0_sel:DWORD src1_sel:BYTE_0
	v_and_b32_e32 v0, s13, v0
	s_movk_i32 s2, 0x44
	v_mad_u32_u24 v1, v0, s2, v37
	; wave barrier
	ds_read_b32 v26, v1 offset:64
	v_mov_b32_e32 v1, 0
	v_cmp_ne_u32_e32 vcc, 0, v0
	v_lshl_add_u64 v[2:3], v[0:1], 0, -1
	v_mul_u32_u24_e32 v28, 0x44, v0
	v_xor_b32_e32 v2, vcc_lo, v2
	v_xor_b32_e32 v0, vcc_hi, v3
	v_and_b32_e32 v2, exec_lo, v2
	v_and_b32_e32 v3, exec_hi, v0
	v_mbcnt_lo_u32_b32 v0, v2, 0
	v_mbcnt_hi_u32_b32 v27, v3, v0
	v_cmp_eq_u32_e32 vcc, 0, v27
	v_cmp_ne_u64_e64 s[0:1], 0, v[2:3]
	s_and_b64 s[4:5], s[0:1], vcc
	v_add_u32_e32 v61, v37, v28
	; wave barrier
	s_and_saveexec_b64 s[0:1], s[4:5]
	s_cbranch_execz .LBB2042_209
; %bb.208:
	v_bcnt_u32_b32 v0, v2, 0
	v_bcnt_u32_b32 v0, v3, v0
	s_waitcnt lgkmcnt(0)
	v_add_u32_e32 v0, v26, v0
	ds_write_b32 v61, v0 offset:64
.LBB2042_209:
	s_or_b64 exec, exec, s[0:1]
	s_waitcnt vmcnt(10)
	v_lshrrev_b32_sdwa v0, s60, v15 dst_sel:DWORD dst_unused:UNUSED_PAD src0_sel:DWORD src1_sel:BYTE_0
	v_and_b32_e32 v0, s13, v0
	v_mul_u32_u24_e32 v2, 0x44, v0
	v_mad_u32_u24 v3, v0, s2, v37
	v_cmp_ne_u32_e32 vcc, 0, v0
	v_lshl_add_u64 v[0:1], v[0:1], 0, -1
	s_nop 0
	v_xor_b32_e32 v0, vcc_lo, v0
	; wave barrier
	ds_read_b32 v28, v3 offset:64
	v_xor_b32_e32 v1, vcc_hi, v1
	v_and_b32_e32 v0, exec_lo, v0
	v_and_b32_e32 v1, exec_hi, v1
	v_mbcnt_lo_u32_b32 v3, v0, 0
	v_mbcnt_hi_u32_b32 v29, v1, v3
	v_cmp_eq_u32_e32 vcc, 0, v29
	v_cmp_ne_u64_e64 s[0:1], 0, v[0:1]
	s_and_b64 s[2:3], s[0:1], vcc
	v_add_u32_e32 v62, v37, v2
	;; [unrolled: 63-line block ×7, first 2 shown]
	; wave barrier
	s_and_saveexec_b64 s[0:1], s[2:3]
	s_cbranch_execz .LBB2042_231
; %bb.230:
	v_bcnt_u32_b32 v0, v0, 0
	v_bcnt_u32_b32 v0, v1, v0
	s_waitcnt lgkmcnt(0)
	v_add_u32_e32 v0, v52, v0
	ds_write_b32 v73, v0 offset:64
.LBB2042_231:
	s_or_b64 exec, exec, s[0:1]
	; wave barrier
	s_waitcnt lgkmcnt(0)
	s_barrier
	ds_read2_b32 v[2:3], v44 offset0:16 offset1:17
	ds_read2_b32 v[0:1], v44 offset0:18 offset1:19
	ds_read_b32 v37, v44 offset:80
	v_cmp_lt_u32_e64 s[2:3], 31, v42
	s_waitcnt lgkmcnt(1)
	v_add3_u32 v71, v3, v2, v0
	s_waitcnt lgkmcnt(0)
	v_add3_u32 v37, v71, v1, v37
	v_and_b32_e32 v71, 15, v42
	v_cmp_eq_u32_e32 vcc, 0, v71
	v_mov_b32_dpp v74, v37 row_shr:1 row_mask:0xf bank_mask:0xf
	v_cmp_lt_u32_e64 s[0:1], 1, v71
	v_cndmask_b32_e64 v74, v74, 0, vcc
	v_add_u32_e32 v37, v74, v37
	v_cmp_lt_u32_e64 s[4:5], 3, v71
	v_cmp_lt_u32_e64 s[6:7], 7, v71
	v_mov_b32_dpp v74, v37 row_shr:2 row_mask:0xf bank_mask:0xf
	v_cndmask_b32_e64 v74, 0, v74, s[0:1]
	v_add_u32_e32 v37, v37, v74
	s_nop 1
	v_mov_b32_dpp v74, v37 row_shr:4 row_mask:0xf bank_mask:0xf
	v_cndmask_b32_e64 v74, 0, v74, s[4:5]
	v_add_u32_e32 v37, v37, v74
	s_nop 1
	v_mov_b32_dpp v74, v37 row_shr:8 row_mask:0xf bank_mask:0xf
	v_cndmask_b32_e64 v71, 0, v74, s[6:7]
	v_add_u32_e32 v37, v37, v71
	v_bfe_i32 v74, v42, 4, 1
	s_nop 0
	v_mov_b32_dpp v71, v37 row_bcast:15 row_mask:0xf bank_mask:0xf
	v_and_b32_e32 v71, v74, v71
	v_add_u32_e32 v37, v37, v71
	v_lshrrev_b32_e32 v74, 6, v16
	s_nop 0
	v_mov_b32_dpp v71, v37 row_bcast:31 row_mask:0xf bank_mask:0xf
	v_cndmask_b32_e64 v71, 0, v71, s[2:3]
	v_add_u32_e32 v71, v37, v71
	v_and_b32_e32 v37, 63, v16
	v_cmp_eq_u32_e64 s[2:3], 63, v37
	s_and_saveexec_b64 s[10:11], s[2:3]
; %bb.232:
	v_lshlrev_b32_e32 v37, 2, v74
	ds_write_b32 v37, v71
; %bb.233:
	s_or_b64 exec, exec, s[10:11]
	v_cmp_gt_u32_e64 s[2:3], 16, v16
	v_lshlrev_b32_e32 v37, 2, v16
	s_waitcnt lgkmcnt(0)
	s_barrier
	s_and_saveexec_b64 s[10:11], s[2:3]
	s_cbranch_execz .LBB2042_235
; %bb.234:
	ds_read_b32 v75, v37
	s_waitcnt lgkmcnt(0)
	s_nop 0
	v_mov_b32_dpp v76, v75 row_shr:1 row_mask:0xf bank_mask:0xf
	v_cndmask_b32_e64 v76, v76, 0, vcc
	v_add_u32_e32 v75, v76, v75
	s_nop 1
	v_mov_b32_dpp v76, v75 row_shr:2 row_mask:0xf bank_mask:0xf
	v_cndmask_b32_e64 v76, 0, v76, s[0:1]
	v_add_u32_e32 v75, v75, v76
	s_nop 1
	v_mov_b32_dpp v76, v75 row_shr:4 row_mask:0xf bank_mask:0xf
	v_cndmask_b32_e64 v76, 0, v76, s[4:5]
	;; [unrolled: 4-line block ×3, first 2 shown]
	v_add_u32_e32 v75, v75, v76
	ds_write_b32 v37, v75
.LBB2042_235:
	s_or_b64 exec, exec, s[10:11]
	v_cmp_lt_u32_e32 vcc, 63, v16
	v_mov_b32_e32 v75, 0
	s_waitcnt lgkmcnt(0)
	s_barrier
	s_and_saveexec_b64 s[0:1], vcc
; %bb.236:
	v_lshl_add_u32 v74, v74, 2, -4
	ds_read_b32 v75, v74
; %bb.237:
	s_or_b64 exec, exec, s[0:1]
	v_subrev_co_u32_e32 v74, vcc, 1, v42
	v_and_b32_e32 v76, 64, v42
	v_cmp_lt_i32_e64 s[0:1], v74, v76
	s_waitcnt lgkmcnt(0)
	v_add_u32_e32 v71, v75, v71
	s_movk_i32 s2, 0x100
	v_cndmask_b32_e64 v42, v74, v42, s[0:1]
	v_lshlrev_b32_e32 v42, 2, v42
	ds_bpermute_b32 v42, v42, v71
	s_movk_i32 s0, 0xff
	s_waitcnt lgkmcnt(0)
	v_cndmask_b32_e32 v42, v42, v75, vcc
	v_cndmask_b32_e64 v42, v42, 0, s[44:45]
	v_add_u32_e32 v2, v42, v2
	v_add_u32_e32 v3, v2, v3
	;; [unrolled: 1-line block ×4, first 2 shown]
	ds_write2_b32 v44, v42, v2 offset0:16 offset1:17
	ds_write2_b32 v44, v3, v0 offset0:18 offset1:19
	ds_write_b32 v44, v1 offset:80
	s_waitcnt lgkmcnt(0)
	s_barrier
	ds_read_b32 v0, v58 offset:64
	ds_read_b32 v58, v21 offset:64
	;; [unrolled: 1-line block ×16, first 2 shown]
	v_cmp_lt_u32_e32 vcc, s0, v16
	v_cmp_gt_u32_e64 s[0:1], s2, v16
                                        ; implicit-def: $vgpr42
                                        ; implicit-def: $vgpr44
	s_and_saveexec_b64 s[4:5], s[0:1]
	s_cbranch_execz .LBB2042_241
; %bb.238:
	v_mul_u32_u24_e32 v1, 0x44, v16
	ds_read_b32 v42, v1 offset:64
	v_add_u32_e32 v2, 1, v16
	v_cmp_ne_u32_e64 s[2:3], s2, v2
	v_mov_b32_e32 v1, 0x4000
	s_and_saveexec_b64 s[6:7], s[2:3]
; %bb.239:
	v_mul_u32_u24_e32 v1, 0x44, v2
	ds_read_b32 v1, v1 offset:64
; %bb.240:
	s_or_b64 exec, exec, s[6:7]
	s_waitcnt lgkmcnt(0)
	v_sub_u32_e32 v44, v1, v42
.LBB2042_241:
	s_or_b64 exec, exec, s[4:5]
	s_waitcnt lgkmcnt(14)
	v_add_u32_e32 v46, v0, v46
	v_add3_u32 v70, v19, v17, v58
	s_waitcnt lgkmcnt(13)
	v_add3_u32 v72, v23, v22, v59
	s_waitcnt lgkmcnt(12)
	;; [unrolled: 2-line block ×7, first 2 shown]
	s_barrier
	ds_write_b8 v46, v4 offset:1024
	v_add3_u32 v80, v35, v34, v65
	ds_write_b8 v70, v57 offset:1024
	v_add3_u32 v57, v38, v36, v66
	;; [unrolled: 2-line block ×5, first 2 shown]
	v_add3_u32 v81, v49, v48, v71
	v_add3_u32 v82, v51, v50, v74
	;; [unrolled: 1-line block ×3, first 2 shown]
	v_mov_b32_e32 v1, 0
	ds_write_b8 v76, v15 offset:1024
	ds_write_b8 v78, v14 offset:1024
	;; [unrolled: 1-line block ×11, first 2 shown]
	s_and_saveexec_b64 s[2:3], s[0:1]
	s_cbranch_execz .LBB2042_251
; %bb.242:
	v_lshl_add_u32 v0, s33, 8, v16
	v_lshl_add_u64 v[2:3], v[0:1], 2, s[64:65]
	v_or_b32_e32 v0, 2.0, v44
	s_mov_b64 s[4:5], 0
	s_brev_b32 s14, -4
	s_mov_b32 s15, s33
	v_mov_b32_e32 v6, 0
	global_store_dword v[2:3], v0, off sc1
                                        ; implicit-def: $sgpr0_sgpr1
	s_branch .LBB2042_245
.LBB2042_243:                           ;   in Loop: Header=BB2042_245 Depth=1
	s_or_b64 exec, exec, s[10:11]
.LBB2042_244:                           ;   in Loop: Header=BB2042_245 Depth=1
	s_or_b64 exec, exec, s[6:7]
	v_and_b32_e32 v4, 0x3fffffff, v0
	v_add_u32_e32 v6, v4, v6
	v_cmp_gt_i32_e64 s[0:1], -2.0, v0
	s_and_b64 s[6:7], exec, s[0:1]
	s_or_b64 s[4:5], s[6:7], s[4:5]
	s_andn2_b64 exec, exec, s[4:5]
	s_cbranch_execz .LBB2042_250
.LBB2042_245:                           ; =>This Loop Header: Depth=1
                                        ;     Child Loop BB2042_248 Depth 2
	s_or_b64 s[0:1], s[0:1], exec
	s_cmp_eq_u32 s15, 0
	s_cbranch_scc1 .LBB2042_249
; %bb.246:                              ;   in Loop: Header=BB2042_245 Depth=1
	s_add_i32 s15, s15, -1
	v_lshl_or_b32 v0, s15, 8, v16
	v_lshl_add_u64 v[4:5], v[0:1], 2, s[64:65]
	global_load_dword v0, v[4:5], off sc1
	s_waitcnt vmcnt(0)
	v_cmp_gt_u32_e64 s[0:1], 2.0, v0
	s_and_saveexec_b64 s[6:7], s[0:1]
	s_cbranch_execz .LBB2042_244
; %bb.247:                              ;   in Loop: Header=BB2042_245 Depth=1
	s_mov_b64 s[10:11], 0
.LBB2042_248:                           ;   Parent Loop BB2042_245 Depth=1
                                        ; =>  This Inner Loop Header: Depth=2
	global_load_dword v0, v[4:5], off sc1
	s_waitcnt vmcnt(0)
	v_cmp_lt_u32_e64 s[0:1], s14, v0
	s_or_b64 s[10:11], s[0:1], s[10:11]
	s_andn2_b64 exec, exec, s[10:11]
	s_cbranch_execnz .LBB2042_248
	s_branch .LBB2042_243
.LBB2042_249:                           ;   in Loop: Header=BB2042_245 Depth=1
                                        ; implicit-def: $sgpr15
	s_and_b64 s[6:7], exec, s[0:1]
	s_or_b64 s[4:5], s[6:7], s[4:5]
	s_andn2_b64 exec, exec, s[4:5]
	s_cbranch_execnz .LBB2042_245
.LBB2042_250:
	s_or_b64 exec, exec, s[4:5]
	v_add_u32_e32 v0, v6, v44
	v_or_b32_e32 v0, 0x80000000, v0
	global_store_dword v[2:3], v0, off sc1
	global_load_dword v0, v37, s[56:57]
	v_sub_u32_e32 v1, v6, v42
	s_waitcnt vmcnt(0)
	v_add_u32_e32 v0, v1, v0
	ds_write_b32 v37, v0
.LBB2042_251:
	s_or_b64 exec, exec, s[2:3]
	s_waitcnt lgkmcnt(0)
	s_barrier
	ds_read_u8 v8, v16 offset:1024
	ds_read_u8 v9, v16 offset:2048
	;; [unrolled: 1-line block ×8, first 2 shown]
	s_waitcnt lgkmcnt(7)
	v_and_b32_e32 v0, 1, v8
	s_waitcnt lgkmcnt(6)
	v_and_b32_e32 v1, 1, v9
	;; [unrolled: 2-line block ×8, first 2 shown]
	v_lshrrev_b32_e32 v0, s60, v0
	v_lshrrev_b32_e32 v1, s60, v1
	;; [unrolled: 1-line block ×8, first 2 shown]
	v_and_b32_e32 v0, s13, v0
	v_and_b32_e32 v1, s13, v1
	;; [unrolled: 1-line block ×8, first 2 shown]
	v_lshlrev_b32_e32 v21, 2, v0
	v_lshlrev_b32_e32 v84, 2, v1
	;; [unrolled: 1-line block ×8, first 2 shown]
	ds_read_b32 v21, v21
	ds_read_b32 v84, v84
	;; [unrolled: 1-line block ×8, first 2 shown]
	s_waitcnt lgkmcnt(7)
	v_add_u32_e32 v21, v21, v16
	s_movk_i32 s4, 0x400
	global_store_byte v21, v8, s[50:51]
	s_waitcnt lgkmcnt(6)
	v_add3_u32 v8, v84, v16, s4
	s_movk_i32 s5, 0x800
	global_store_byte v8, v9, s[50:51]
	s_waitcnt lgkmcnt(5)
	v_add3_u32 v8, v85, v16, s5
	;; [unrolled: 4-line block ×7, first 2 shown]
	global_store_byte v8, v15, s[50:51]
	ds_read_u8 v21, v16 offset:9216
	ds_read_u8 v84, v16 offset:10240
	ds_read_u8 v85, v16 offset:11264
	ds_read_u8 v86, v16 offset:12288
	ds_read_u8 v87, v16 offset:13312
	ds_read_u8 v88, v16 offset:14336
	ds_read_u8 v89, v16 offset:15360
	ds_read_u8 v90, v16 offset:16384
	s_waitcnt lgkmcnt(7)
	v_and_b32_e32 v8, 1, v21
	s_waitcnt lgkmcnt(6)
	v_and_b32_e32 v9, 1, v84
	;; [unrolled: 2-line block ×8, first 2 shown]
	v_lshrrev_b32_e32 v8, s60, v8
	v_lshrrev_b32_e32 v9, s60, v9
	;; [unrolled: 1-line block ×8, first 2 shown]
	v_and_b32_e32 v8, s13, v8
	v_and_b32_e32 v9, s13, v9
	;; [unrolled: 1-line block ×8, first 2 shown]
	v_lshlrev_b32_e32 v91, 2, v8
	v_lshlrev_b32_e32 v92, 2, v9
	;; [unrolled: 1-line block ×8, first 2 shown]
	s_movk_i32 s0, 0x2000
	ds_read_b32 v91, v91
	ds_read_b32 v92, v92
	;; [unrolled: 1-line block ×8, first 2 shown]
	s_waitcnt lgkmcnt(7)
	v_add3_u32 v91, v91, v16, s0
	s_movk_i32 s0, 0x2400
	global_store_byte v91, v21, s[50:51]
	s_waitcnt lgkmcnt(6)
	v_add3_u32 v21, v92, v16, s0
	s_movk_i32 s0, 0x2800
	global_store_byte v21, v84, s[50:51]
	;; [unrolled: 4-line block ×7, first 2 shown]
	s_waitcnt lgkmcnt(0)
	v_add3_u32 v21, v98, v16, s0
	s_lshl_b64 s[0:1], s[8:9], 2
	s_add_u32 s0, s52, s0
	global_store_byte v21, v90, s[50:51]
	s_addc_u32 s1, s53, s1
	v_lshlrev_b32_e32 v20, 2, v20
	v_mov_b32_e32 v21, 0
	v_lshl_add_u64 v[84:85], s[0:1], 0, v[20:21]
	v_lshlrev_b32_e32 v20, 2, v18
	v_lshl_add_u64 v[98:99], v[84:85], 0, v[20:21]
	global_load_dword v18, v[98:99], off
	global_load_dword v84, v[98:99], off offset:256
	global_load_dword v85, v[98:99], off offset:512
	;; [unrolled: 1-line block ×14, first 2 shown]
	s_nop 0
	global_load_dword v98, v[98:99], off offset:3840
	v_mul_u32_u24_e32 v20, 3, v16
	v_mov_b32_e32 v99, 0x400
	scratch_store_dwordx4 off, v[0:3], off
	scratch_store_dwordx4 off, v[4:7], off offset:16
	scratch_store_dwordx4 off, v[8:11], off offset:32
	;; [unrolled: 1-line block ×3, first 2 shown]
	v_lshl_add_u32 v0, v83, 2, v99
	v_add3_u32 v1, v53, v77, v52
	v_lshl_add_u32 v2, v82, 2, v99
	v_add3_u32 v3, v51, v74, v50
	;; [unrolled: 2-line block ×15, first 2 shown]
	v_lshl_add_u32 v19, v46, 2, v99
	s_mov_b32 s8, 0
	s_mov_b32 s9, 0
	v_add_u32_e32 v35, v16, v20
	s_mov_b32 s10, 0
	s_barrier
	s_branch .LBB2042_253
.LBB2042_252:                           ;   in Loop: Header=BB2042_253 Depth=1
	s_or_b64 exec, exec, s[2:3]
	s_waitcnt lgkmcnt(0)
	s_barrier
	scratch_load_dwordx4 v[38:41], off, s8
	ds_read2st64_b32 v[48:49], v35 offset0:4 offset1:20
	ds_read2st64_b32 v[50:51], v35 offset0:36 offset1:52
	s_addk_i32 s10, 0xc000
	s_addk_i32 s9, 0xf000
	s_add_i32 s8, s8, 16
	s_cmp_eq_u32 s10, 0xffff0000
	s_waitcnt vmcnt(0)
	v_lshlrev_b32_e32 v20, 2, v38
	ds_read_b32 v20, v20
	v_lshlrev_b32_e32 v36, 2, v39
	v_lshlrev_b32_e32 v38, 2, v40
	;; [unrolled: 1-line block ×3, first 2 shown]
	ds_read_b32 v36, v36
	ds_read_b32 v40, v38
	;; [unrolled: 1-line block ×3, first 2 shown]
	s_waitcnt lgkmcnt(3)
	v_add_u32_e32 v20, v16, v20
	v_lshl_add_u64 v[38:39], v[20:21], 2, s[54:55]
	s_waitcnt lgkmcnt(2)
	v_add3_u32 v20, v16, v36, s4
	global_store_dword v[38:39], v48, off
	v_lshl_add_u64 v[38:39], v[20:21], 2, s[54:55]
	s_waitcnt lgkmcnt(1)
	v_add3_u32 v20, v16, v40, s5
	global_store_dword v[38:39], v49, off
	;; [unrolled: 4-line block ×3, first 2 shown]
	v_lshl_add_u64 v[38:39], v[20:21], 2, s[54:55]
	v_add_u32_e32 v16, 0x1000, v16
	global_store_dword v[38:39], v51, off
	s_barrier
	s_cbranch_scc1 .LBB2042_285
.LBB2042_253:                           ; =>This Inner Loop Header: Depth=1
	v_add_u32_e32 v20, s9, v46
	v_cmp_gt_u32_e64 s[0:1], s7, v20
	s_and_saveexec_b64 s[2:3], s[0:1]
	s_cbranch_execz .LBB2042_255
; %bb.254:                              ;   in Loop: Header=BB2042_253 Depth=1
	v_add_u32_e32 v20, s10, v19
	s_waitcnt vmcnt(19)
	ds_write_b32 v20, v18
.LBB2042_255:                           ;   in Loop: Header=BB2042_253 Depth=1
	s_or_b64 exec, exec, s[2:3]
	v_add_u32_e32 v20, s9, v17
	v_cmp_gt_u32_e64 s[0:1], s7, v20
	s_and_saveexec_b64 s[2:3], s[0:1]
	s_cbranch_execz .LBB2042_257
; %bb.256:                              ;   in Loop: Header=BB2042_253 Depth=1
	v_add_u32_e32 v20, s10, v23
	s_waitcnt vmcnt(18)
	ds_write_b32 v20, v84
.LBB2042_257:                           ;   in Loop: Header=BB2042_253 Depth=1
	s_or_b64 exec, exec, s[2:3]
	;; [unrolled: 10-line block ×15, first 2 shown]
	v_add_u32_e32 v20, s9, v1
	v_cmp_gt_u32_e64 s[0:1], s7, v20
	s_and_saveexec_b64 s[2:3], s[0:1]
	s_cbranch_execz .LBB2042_252
; %bb.284:                              ;   in Loop: Header=BB2042_253 Depth=1
	v_add_u32_e32 v20, s10, v0
	s_waitcnt vmcnt(4)
	ds_write_b32 v20, v98
	s_branch .LBB2042_252
.LBB2042_285:
	s_add_i32 s12, s12, -1
	s_cmp_eq_u32 s33, s12
	s_cselect_b64 s[0:1], -1, 0
	s_xor_b64 s[2:3], vcc, -1
	s_and_b64 s[0:1], s[2:3], s[0:1]
	s_and_saveexec_b64 s[2:3], s[0:1]
	s_cbranch_execz .LBB2042_287
; %bb.286:
	ds_read_b32 v0, v37
	s_waitcnt lgkmcnt(0)
	v_add3_u32 v0, v42, v44, v0
	global_store_dword v37, v0, s[58:59]
.LBB2042_287:
	s_endpgm
	.section	.rodata,"a",@progbits
	.p2align	6, 0x0
	.amdhsa_kernel _ZN7rocprim17ROCPRIM_400000_NS6detail17trampoline_kernelINS0_14default_configENS1_35radix_sort_onesweep_config_selectorIbiEEZZNS1_29radix_sort_onesweep_iterationIS3_Lb0EN6thrust23THRUST_200600_302600_NS6detail15normal_iteratorINS8_10device_ptrIbEEEESD_NSA_INSB_IiEEEESF_jNS0_19identity_decomposerENS1_16block_id_wrapperIjLb1EEEEE10hipError_tT1_PNSt15iterator_traitsISK_E10value_typeET2_T3_PNSL_ISQ_E10value_typeET4_T5_PSV_SW_PNS1_23onesweep_lookback_stateEbbT6_jjT7_P12ihipStream_tbENKUlT_T0_SK_SP_E_clISD_SD_SF_SF_EEDaS13_S14_SK_SP_EUlS13_E_NS1_11comp_targetILNS1_3genE6ELNS1_11target_archE950ELNS1_3gpuE13ELNS1_3repE0EEENS1_47radix_sort_onesweep_sort_config_static_selectorELNS0_4arch9wavefront6targetE1EEEvSK_
		.amdhsa_group_segment_fixed_size 20552
		.amdhsa_private_segment_fixed_size 80
		.amdhsa_kernarg_size 344
		.amdhsa_user_sgpr_count 2
		.amdhsa_user_sgpr_dispatch_ptr 0
		.amdhsa_user_sgpr_queue_ptr 0
		.amdhsa_user_sgpr_kernarg_segment_ptr 1
		.amdhsa_user_sgpr_dispatch_id 0
		.amdhsa_user_sgpr_kernarg_preload_length 0
		.amdhsa_user_sgpr_kernarg_preload_offset 0
		.amdhsa_user_sgpr_private_segment_size 0
		.amdhsa_uses_dynamic_stack 0
		.amdhsa_enable_private_segment 1
		.amdhsa_system_sgpr_workgroup_id_x 1
		.amdhsa_system_sgpr_workgroup_id_y 0
		.amdhsa_system_sgpr_workgroup_id_z 0
		.amdhsa_system_sgpr_workgroup_info 0
		.amdhsa_system_vgpr_workitem_id 2
		.amdhsa_next_free_vgpr 100
		.amdhsa_next_free_sgpr 72
		.amdhsa_accum_offset 100
		.amdhsa_reserve_vcc 1
		.amdhsa_float_round_mode_32 0
		.amdhsa_float_round_mode_16_64 0
		.amdhsa_float_denorm_mode_32 3
		.amdhsa_float_denorm_mode_16_64 3
		.amdhsa_dx10_clamp 1
		.amdhsa_ieee_mode 1
		.amdhsa_fp16_overflow 0
		.amdhsa_tg_split 0
		.amdhsa_exception_fp_ieee_invalid_op 0
		.amdhsa_exception_fp_denorm_src 0
		.amdhsa_exception_fp_ieee_div_zero 0
		.amdhsa_exception_fp_ieee_overflow 0
		.amdhsa_exception_fp_ieee_underflow 0
		.amdhsa_exception_fp_ieee_inexact 0
		.amdhsa_exception_int_div_zero 0
	.end_amdhsa_kernel
	.section	.text._ZN7rocprim17ROCPRIM_400000_NS6detail17trampoline_kernelINS0_14default_configENS1_35radix_sort_onesweep_config_selectorIbiEEZZNS1_29radix_sort_onesweep_iterationIS3_Lb0EN6thrust23THRUST_200600_302600_NS6detail15normal_iteratorINS8_10device_ptrIbEEEESD_NSA_INSB_IiEEEESF_jNS0_19identity_decomposerENS1_16block_id_wrapperIjLb1EEEEE10hipError_tT1_PNSt15iterator_traitsISK_E10value_typeET2_T3_PNSL_ISQ_E10value_typeET4_T5_PSV_SW_PNS1_23onesweep_lookback_stateEbbT6_jjT7_P12ihipStream_tbENKUlT_T0_SK_SP_E_clISD_SD_SF_SF_EEDaS13_S14_SK_SP_EUlS13_E_NS1_11comp_targetILNS1_3genE6ELNS1_11target_archE950ELNS1_3gpuE13ELNS1_3repE0EEENS1_47radix_sort_onesweep_sort_config_static_selectorELNS0_4arch9wavefront6targetE1EEEvSK_,"axG",@progbits,_ZN7rocprim17ROCPRIM_400000_NS6detail17trampoline_kernelINS0_14default_configENS1_35radix_sort_onesweep_config_selectorIbiEEZZNS1_29radix_sort_onesweep_iterationIS3_Lb0EN6thrust23THRUST_200600_302600_NS6detail15normal_iteratorINS8_10device_ptrIbEEEESD_NSA_INSB_IiEEEESF_jNS0_19identity_decomposerENS1_16block_id_wrapperIjLb1EEEEE10hipError_tT1_PNSt15iterator_traitsISK_E10value_typeET2_T3_PNSL_ISQ_E10value_typeET4_T5_PSV_SW_PNS1_23onesweep_lookback_stateEbbT6_jjT7_P12ihipStream_tbENKUlT_T0_SK_SP_E_clISD_SD_SF_SF_EEDaS13_S14_SK_SP_EUlS13_E_NS1_11comp_targetILNS1_3genE6ELNS1_11target_archE950ELNS1_3gpuE13ELNS1_3repE0EEENS1_47radix_sort_onesweep_sort_config_static_selectorELNS0_4arch9wavefront6targetE1EEEvSK_,comdat
.Lfunc_end2042:
	.size	_ZN7rocprim17ROCPRIM_400000_NS6detail17trampoline_kernelINS0_14default_configENS1_35radix_sort_onesweep_config_selectorIbiEEZZNS1_29radix_sort_onesweep_iterationIS3_Lb0EN6thrust23THRUST_200600_302600_NS6detail15normal_iteratorINS8_10device_ptrIbEEEESD_NSA_INSB_IiEEEESF_jNS0_19identity_decomposerENS1_16block_id_wrapperIjLb1EEEEE10hipError_tT1_PNSt15iterator_traitsISK_E10value_typeET2_T3_PNSL_ISQ_E10value_typeET4_T5_PSV_SW_PNS1_23onesweep_lookback_stateEbbT6_jjT7_P12ihipStream_tbENKUlT_T0_SK_SP_E_clISD_SD_SF_SF_EEDaS13_S14_SK_SP_EUlS13_E_NS1_11comp_targetILNS1_3genE6ELNS1_11target_archE950ELNS1_3gpuE13ELNS1_3repE0EEENS1_47radix_sort_onesweep_sort_config_static_selectorELNS0_4arch9wavefront6targetE1EEEvSK_, .Lfunc_end2042-_ZN7rocprim17ROCPRIM_400000_NS6detail17trampoline_kernelINS0_14default_configENS1_35radix_sort_onesweep_config_selectorIbiEEZZNS1_29radix_sort_onesweep_iterationIS3_Lb0EN6thrust23THRUST_200600_302600_NS6detail15normal_iteratorINS8_10device_ptrIbEEEESD_NSA_INSB_IiEEEESF_jNS0_19identity_decomposerENS1_16block_id_wrapperIjLb1EEEEE10hipError_tT1_PNSt15iterator_traitsISK_E10value_typeET2_T3_PNSL_ISQ_E10value_typeET4_T5_PSV_SW_PNS1_23onesweep_lookback_stateEbbT6_jjT7_P12ihipStream_tbENKUlT_T0_SK_SP_E_clISD_SD_SF_SF_EEDaS13_S14_SK_SP_EUlS13_E_NS1_11comp_targetILNS1_3genE6ELNS1_11target_archE950ELNS1_3gpuE13ELNS1_3repE0EEENS1_47radix_sort_onesweep_sort_config_static_selectorELNS0_4arch9wavefront6targetE1EEEvSK_
                                        ; -- End function
	.set _ZN7rocprim17ROCPRIM_400000_NS6detail17trampoline_kernelINS0_14default_configENS1_35radix_sort_onesweep_config_selectorIbiEEZZNS1_29radix_sort_onesweep_iterationIS3_Lb0EN6thrust23THRUST_200600_302600_NS6detail15normal_iteratorINS8_10device_ptrIbEEEESD_NSA_INSB_IiEEEESF_jNS0_19identity_decomposerENS1_16block_id_wrapperIjLb1EEEEE10hipError_tT1_PNSt15iterator_traitsISK_E10value_typeET2_T3_PNSL_ISQ_E10value_typeET4_T5_PSV_SW_PNS1_23onesweep_lookback_stateEbbT6_jjT7_P12ihipStream_tbENKUlT_T0_SK_SP_E_clISD_SD_SF_SF_EEDaS13_S14_SK_SP_EUlS13_E_NS1_11comp_targetILNS1_3genE6ELNS1_11target_archE950ELNS1_3gpuE13ELNS1_3repE0EEENS1_47radix_sort_onesweep_sort_config_static_selectorELNS0_4arch9wavefront6targetE1EEEvSK_.num_vgpr, 100
	.set _ZN7rocprim17ROCPRIM_400000_NS6detail17trampoline_kernelINS0_14default_configENS1_35radix_sort_onesweep_config_selectorIbiEEZZNS1_29radix_sort_onesweep_iterationIS3_Lb0EN6thrust23THRUST_200600_302600_NS6detail15normal_iteratorINS8_10device_ptrIbEEEESD_NSA_INSB_IiEEEESF_jNS0_19identity_decomposerENS1_16block_id_wrapperIjLb1EEEEE10hipError_tT1_PNSt15iterator_traitsISK_E10value_typeET2_T3_PNSL_ISQ_E10value_typeET4_T5_PSV_SW_PNS1_23onesweep_lookback_stateEbbT6_jjT7_P12ihipStream_tbENKUlT_T0_SK_SP_E_clISD_SD_SF_SF_EEDaS13_S14_SK_SP_EUlS13_E_NS1_11comp_targetILNS1_3genE6ELNS1_11target_archE950ELNS1_3gpuE13ELNS1_3repE0EEENS1_47radix_sort_onesweep_sort_config_static_selectorELNS0_4arch9wavefront6targetE1EEEvSK_.num_agpr, 0
	.set _ZN7rocprim17ROCPRIM_400000_NS6detail17trampoline_kernelINS0_14default_configENS1_35radix_sort_onesweep_config_selectorIbiEEZZNS1_29radix_sort_onesweep_iterationIS3_Lb0EN6thrust23THRUST_200600_302600_NS6detail15normal_iteratorINS8_10device_ptrIbEEEESD_NSA_INSB_IiEEEESF_jNS0_19identity_decomposerENS1_16block_id_wrapperIjLb1EEEEE10hipError_tT1_PNSt15iterator_traitsISK_E10value_typeET2_T3_PNSL_ISQ_E10value_typeET4_T5_PSV_SW_PNS1_23onesweep_lookback_stateEbbT6_jjT7_P12ihipStream_tbENKUlT_T0_SK_SP_E_clISD_SD_SF_SF_EEDaS13_S14_SK_SP_EUlS13_E_NS1_11comp_targetILNS1_3genE6ELNS1_11target_archE950ELNS1_3gpuE13ELNS1_3repE0EEENS1_47radix_sort_onesweep_sort_config_static_selectorELNS0_4arch9wavefront6targetE1EEEvSK_.numbered_sgpr, 72
	.set _ZN7rocprim17ROCPRIM_400000_NS6detail17trampoline_kernelINS0_14default_configENS1_35radix_sort_onesweep_config_selectorIbiEEZZNS1_29radix_sort_onesweep_iterationIS3_Lb0EN6thrust23THRUST_200600_302600_NS6detail15normal_iteratorINS8_10device_ptrIbEEEESD_NSA_INSB_IiEEEESF_jNS0_19identity_decomposerENS1_16block_id_wrapperIjLb1EEEEE10hipError_tT1_PNSt15iterator_traitsISK_E10value_typeET2_T3_PNSL_ISQ_E10value_typeET4_T5_PSV_SW_PNS1_23onesweep_lookback_stateEbbT6_jjT7_P12ihipStream_tbENKUlT_T0_SK_SP_E_clISD_SD_SF_SF_EEDaS13_S14_SK_SP_EUlS13_E_NS1_11comp_targetILNS1_3genE6ELNS1_11target_archE950ELNS1_3gpuE13ELNS1_3repE0EEENS1_47radix_sort_onesweep_sort_config_static_selectorELNS0_4arch9wavefront6targetE1EEEvSK_.num_named_barrier, 0
	.set _ZN7rocprim17ROCPRIM_400000_NS6detail17trampoline_kernelINS0_14default_configENS1_35radix_sort_onesweep_config_selectorIbiEEZZNS1_29radix_sort_onesweep_iterationIS3_Lb0EN6thrust23THRUST_200600_302600_NS6detail15normal_iteratorINS8_10device_ptrIbEEEESD_NSA_INSB_IiEEEESF_jNS0_19identity_decomposerENS1_16block_id_wrapperIjLb1EEEEE10hipError_tT1_PNSt15iterator_traitsISK_E10value_typeET2_T3_PNSL_ISQ_E10value_typeET4_T5_PSV_SW_PNS1_23onesweep_lookback_stateEbbT6_jjT7_P12ihipStream_tbENKUlT_T0_SK_SP_E_clISD_SD_SF_SF_EEDaS13_S14_SK_SP_EUlS13_E_NS1_11comp_targetILNS1_3genE6ELNS1_11target_archE950ELNS1_3gpuE13ELNS1_3repE0EEENS1_47radix_sort_onesweep_sort_config_static_selectorELNS0_4arch9wavefront6targetE1EEEvSK_.private_seg_size, 80
	.set _ZN7rocprim17ROCPRIM_400000_NS6detail17trampoline_kernelINS0_14default_configENS1_35radix_sort_onesweep_config_selectorIbiEEZZNS1_29radix_sort_onesweep_iterationIS3_Lb0EN6thrust23THRUST_200600_302600_NS6detail15normal_iteratorINS8_10device_ptrIbEEEESD_NSA_INSB_IiEEEESF_jNS0_19identity_decomposerENS1_16block_id_wrapperIjLb1EEEEE10hipError_tT1_PNSt15iterator_traitsISK_E10value_typeET2_T3_PNSL_ISQ_E10value_typeET4_T5_PSV_SW_PNS1_23onesweep_lookback_stateEbbT6_jjT7_P12ihipStream_tbENKUlT_T0_SK_SP_E_clISD_SD_SF_SF_EEDaS13_S14_SK_SP_EUlS13_E_NS1_11comp_targetILNS1_3genE6ELNS1_11target_archE950ELNS1_3gpuE13ELNS1_3repE0EEENS1_47radix_sort_onesweep_sort_config_static_selectorELNS0_4arch9wavefront6targetE1EEEvSK_.uses_vcc, 1
	.set _ZN7rocprim17ROCPRIM_400000_NS6detail17trampoline_kernelINS0_14default_configENS1_35radix_sort_onesweep_config_selectorIbiEEZZNS1_29radix_sort_onesweep_iterationIS3_Lb0EN6thrust23THRUST_200600_302600_NS6detail15normal_iteratorINS8_10device_ptrIbEEEESD_NSA_INSB_IiEEEESF_jNS0_19identity_decomposerENS1_16block_id_wrapperIjLb1EEEEE10hipError_tT1_PNSt15iterator_traitsISK_E10value_typeET2_T3_PNSL_ISQ_E10value_typeET4_T5_PSV_SW_PNS1_23onesweep_lookback_stateEbbT6_jjT7_P12ihipStream_tbENKUlT_T0_SK_SP_E_clISD_SD_SF_SF_EEDaS13_S14_SK_SP_EUlS13_E_NS1_11comp_targetILNS1_3genE6ELNS1_11target_archE950ELNS1_3gpuE13ELNS1_3repE0EEENS1_47radix_sort_onesweep_sort_config_static_selectorELNS0_4arch9wavefront6targetE1EEEvSK_.uses_flat_scratch, 0
	.set _ZN7rocprim17ROCPRIM_400000_NS6detail17trampoline_kernelINS0_14default_configENS1_35radix_sort_onesweep_config_selectorIbiEEZZNS1_29radix_sort_onesweep_iterationIS3_Lb0EN6thrust23THRUST_200600_302600_NS6detail15normal_iteratorINS8_10device_ptrIbEEEESD_NSA_INSB_IiEEEESF_jNS0_19identity_decomposerENS1_16block_id_wrapperIjLb1EEEEE10hipError_tT1_PNSt15iterator_traitsISK_E10value_typeET2_T3_PNSL_ISQ_E10value_typeET4_T5_PSV_SW_PNS1_23onesweep_lookback_stateEbbT6_jjT7_P12ihipStream_tbENKUlT_T0_SK_SP_E_clISD_SD_SF_SF_EEDaS13_S14_SK_SP_EUlS13_E_NS1_11comp_targetILNS1_3genE6ELNS1_11target_archE950ELNS1_3gpuE13ELNS1_3repE0EEENS1_47radix_sort_onesweep_sort_config_static_selectorELNS0_4arch9wavefront6targetE1EEEvSK_.has_dyn_sized_stack, 0
	.set _ZN7rocprim17ROCPRIM_400000_NS6detail17trampoline_kernelINS0_14default_configENS1_35radix_sort_onesweep_config_selectorIbiEEZZNS1_29radix_sort_onesweep_iterationIS3_Lb0EN6thrust23THRUST_200600_302600_NS6detail15normal_iteratorINS8_10device_ptrIbEEEESD_NSA_INSB_IiEEEESF_jNS0_19identity_decomposerENS1_16block_id_wrapperIjLb1EEEEE10hipError_tT1_PNSt15iterator_traitsISK_E10value_typeET2_T3_PNSL_ISQ_E10value_typeET4_T5_PSV_SW_PNS1_23onesweep_lookback_stateEbbT6_jjT7_P12ihipStream_tbENKUlT_T0_SK_SP_E_clISD_SD_SF_SF_EEDaS13_S14_SK_SP_EUlS13_E_NS1_11comp_targetILNS1_3genE6ELNS1_11target_archE950ELNS1_3gpuE13ELNS1_3repE0EEENS1_47radix_sort_onesweep_sort_config_static_selectorELNS0_4arch9wavefront6targetE1EEEvSK_.has_recursion, 0
	.set _ZN7rocprim17ROCPRIM_400000_NS6detail17trampoline_kernelINS0_14default_configENS1_35radix_sort_onesweep_config_selectorIbiEEZZNS1_29radix_sort_onesweep_iterationIS3_Lb0EN6thrust23THRUST_200600_302600_NS6detail15normal_iteratorINS8_10device_ptrIbEEEESD_NSA_INSB_IiEEEESF_jNS0_19identity_decomposerENS1_16block_id_wrapperIjLb1EEEEE10hipError_tT1_PNSt15iterator_traitsISK_E10value_typeET2_T3_PNSL_ISQ_E10value_typeET4_T5_PSV_SW_PNS1_23onesweep_lookback_stateEbbT6_jjT7_P12ihipStream_tbENKUlT_T0_SK_SP_E_clISD_SD_SF_SF_EEDaS13_S14_SK_SP_EUlS13_E_NS1_11comp_targetILNS1_3genE6ELNS1_11target_archE950ELNS1_3gpuE13ELNS1_3repE0EEENS1_47radix_sort_onesweep_sort_config_static_selectorELNS0_4arch9wavefront6targetE1EEEvSK_.has_indirect_call, 0
	.section	.AMDGPU.csdata,"",@progbits
; Kernel info:
; codeLenInByte = 14904
; TotalNumSgprs: 78
; NumVgprs: 100
; NumAgprs: 0
; TotalNumVgprs: 100
; ScratchSize: 80
; MemoryBound: 0
; FloatMode: 240
; IeeeMode: 1
; LDSByteSize: 20552 bytes/workgroup (compile time only)
; SGPRBlocks: 9
; VGPRBlocks: 12
; NumSGPRsForWavesPerEU: 78
; NumVGPRsForWavesPerEU: 100
; AccumOffset: 100
; Occupancy: 4
; WaveLimiterHint : 1
; COMPUTE_PGM_RSRC2:SCRATCH_EN: 1
; COMPUTE_PGM_RSRC2:USER_SGPR: 2
; COMPUTE_PGM_RSRC2:TRAP_HANDLER: 0
; COMPUTE_PGM_RSRC2:TGID_X_EN: 1
; COMPUTE_PGM_RSRC2:TGID_Y_EN: 0
; COMPUTE_PGM_RSRC2:TGID_Z_EN: 0
; COMPUTE_PGM_RSRC2:TIDIG_COMP_CNT: 2
; COMPUTE_PGM_RSRC3_GFX90A:ACCUM_OFFSET: 24
; COMPUTE_PGM_RSRC3_GFX90A:TG_SPLIT: 0
	.section	.text._ZN7rocprim17ROCPRIM_400000_NS6detail17trampoline_kernelINS0_14default_configENS1_35radix_sort_onesweep_config_selectorIbiEEZZNS1_29radix_sort_onesweep_iterationIS3_Lb0EN6thrust23THRUST_200600_302600_NS6detail15normal_iteratorINS8_10device_ptrIbEEEESD_NSA_INSB_IiEEEESF_jNS0_19identity_decomposerENS1_16block_id_wrapperIjLb1EEEEE10hipError_tT1_PNSt15iterator_traitsISK_E10value_typeET2_T3_PNSL_ISQ_E10value_typeET4_T5_PSV_SW_PNS1_23onesweep_lookback_stateEbbT6_jjT7_P12ihipStream_tbENKUlT_T0_SK_SP_E_clISD_SD_SF_SF_EEDaS13_S14_SK_SP_EUlS13_E_NS1_11comp_targetILNS1_3genE5ELNS1_11target_archE942ELNS1_3gpuE9ELNS1_3repE0EEENS1_47radix_sort_onesweep_sort_config_static_selectorELNS0_4arch9wavefront6targetE1EEEvSK_,"axG",@progbits,_ZN7rocprim17ROCPRIM_400000_NS6detail17trampoline_kernelINS0_14default_configENS1_35radix_sort_onesweep_config_selectorIbiEEZZNS1_29radix_sort_onesweep_iterationIS3_Lb0EN6thrust23THRUST_200600_302600_NS6detail15normal_iteratorINS8_10device_ptrIbEEEESD_NSA_INSB_IiEEEESF_jNS0_19identity_decomposerENS1_16block_id_wrapperIjLb1EEEEE10hipError_tT1_PNSt15iterator_traitsISK_E10value_typeET2_T3_PNSL_ISQ_E10value_typeET4_T5_PSV_SW_PNS1_23onesweep_lookback_stateEbbT6_jjT7_P12ihipStream_tbENKUlT_T0_SK_SP_E_clISD_SD_SF_SF_EEDaS13_S14_SK_SP_EUlS13_E_NS1_11comp_targetILNS1_3genE5ELNS1_11target_archE942ELNS1_3gpuE9ELNS1_3repE0EEENS1_47radix_sort_onesweep_sort_config_static_selectorELNS0_4arch9wavefront6targetE1EEEvSK_,comdat
	.protected	_ZN7rocprim17ROCPRIM_400000_NS6detail17trampoline_kernelINS0_14default_configENS1_35radix_sort_onesweep_config_selectorIbiEEZZNS1_29radix_sort_onesweep_iterationIS3_Lb0EN6thrust23THRUST_200600_302600_NS6detail15normal_iteratorINS8_10device_ptrIbEEEESD_NSA_INSB_IiEEEESF_jNS0_19identity_decomposerENS1_16block_id_wrapperIjLb1EEEEE10hipError_tT1_PNSt15iterator_traitsISK_E10value_typeET2_T3_PNSL_ISQ_E10value_typeET4_T5_PSV_SW_PNS1_23onesweep_lookback_stateEbbT6_jjT7_P12ihipStream_tbENKUlT_T0_SK_SP_E_clISD_SD_SF_SF_EEDaS13_S14_SK_SP_EUlS13_E_NS1_11comp_targetILNS1_3genE5ELNS1_11target_archE942ELNS1_3gpuE9ELNS1_3repE0EEENS1_47radix_sort_onesweep_sort_config_static_selectorELNS0_4arch9wavefront6targetE1EEEvSK_ ; -- Begin function _ZN7rocprim17ROCPRIM_400000_NS6detail17trampoline_kernelINS0_14default_configENS1_35radix_sort_onesweep_config_selectorIbiEEZZNS1_29radix_sort_onesweep_iterationIS3_Lb0EN6thrust23THRUST_200600_302600_NS6detail15normal_iteratorINS8_10device_ptrIbEEEESD_NSA_INSB_IiEEEESF_jNS0_19identity_decomposerENS1_16block_id_wrapperIjLb1EEEEE10hipError_tT1_PNSt15iterator_traitsISK_E10value_typeET2_T3_PNSL_ISQ_E10value_typeET4_T5_PSV_SW_PNS1_23onesweep_lookback_stateEbbT6_jjT7_P12ihipStream_tbENKUlT_T0_SK_SP_E_clISD_SD_SF_SF_EEDaS13_S14_SK_SP_EUlS13_E_NS1_11comp_targetILNS1_3genE5ELNS1_11target_archE942ELNS1_3gpuE9ELNS1_3repE0EEENS1_47radix_sort_onesweep_sort_config_static_selectorELNS0_4arch9wavefront6targetE1EEEvSK_
	.globl	_ZN7rocprim17ROCPRIM_400000_NS6detail17trampoline_kernelINS0_14default_configENS1_35radix_sort_onesweep_config_selectorIbiEEZZNS1_29radix_sort_onesweep_iterationIS3_Lb0EN6thrust23THRUST_200600_302600_NS6detail15normal_iteratorINS8_10device_ptrIbEEEESD_NSA_INSB_IiEEEESF_jNS0_19identity_decomposerENS1_16block_id_wrapperIjLb1EEEEE10hipError_tT1_PNSt15iterator_traitsISK_E10value_typeET2_T3_PNSL_ISQ_E10value_typeET4_T5_PSV_SW_PNS1_23onesweep_lookback_stateEbbT6_jjT7_P12ihipStream_tbENKUlT_T0_SK_SP_E_clISD_SD_SF_SF_EEDaS13_S14_SK_SP_EUlS13_E_NS1_11comp_targetILNS1_3genE5ELNS1_11target_archE942ELNS1_3gpuE9ELNS1_3repE0EEENS1_47radix_sort_onesweep_sort_config_static_selectorELNS0_4arch9wavefront6targetE1EEEvSK_
	.p2align	8
	.type	_ZN7rocprim17ROCPRIM_400000_NS6detail17trampoline_kernelINS0_14default_configENS1_35radix_sort_onesweep_config_selectorIbiEEZZNS1_29radix_sort_onesweep_iterationIS3_Lb0EN6thrust23THRUST_200600_302600_NS6detail15normal_iteratorINS8_10device_ptrIbEEEESD_NSA_INSB_IiEEEESF_jNS0_19identity_decomposerENS1_16block_id_wrapperIjLb1EEEEE10hipError_tT1_PNSt15iterator_traitsISK_E10value_typeET2_T3_PNSL_ISQ_E10value_typeET4_T5_PSV_SW_PNS1_23onesweep_lookback_stateEbbT6_jjT7_P12ihipStream_tbENKUlT_T0_SK_SP_E_clISD_SD_SF_SF_EEDaS13_S14_SK_SP_EUlS13_E_NS1_11comp_targetILNS1_3genE5ELNS1_11target_archE942ELNS1_3gpuE9ELNS1_3repE0EEENS1_47radix_sort_onesweep_sort_config_static_selectorELNS0_4arch9wavefront6targetE1EEEvSK_,@function
_ZN7rocprim17ROCPRIM_400000_NS6detail17trampoline_kernelINS0_14default_configENS1_35radix_sort_onesweep_config_selectorIbiEEZZNS1_29radix_sort_onesweep_iterationIS3_Lb0EN6thrust23THRUST_200600_302600_NS6detail15normal_iteratorINS8_10device_ptrIbEEEESD_NSA_INSB_IiEEEESF_jNS0_19identity_decomposerENS1_16block_id_wrapperIjLb1EEEEE10hipError_tT1_PNSt15iterator_traitsISK_E10value_typeET2_T3_PNSL_ISQ_E10value_typeET4_T5_PSV_SW_PNS1_23onesweep_lookback_stateEbbT6_jjT7_P12ihipStream_tbENKUlT_T0_SK_SP_E_clISD_SD_SF_SF_EEDaS13_S14_SK_SP_EUlS13_E_NS1_11comp_targetILNS1_3genE5ELNS1_11target_archE942ELNS1_3gpuE9ELNS1_3repE0EEENS1_47radix_sort_onesweep_sort_config_static_selectorELNS0_4arch9wavefront6targetE1EEEvSK_: ; @_ZN7rocprim17ROCPRIM_400000_NS6detail17trampoline_kernelINS0_14default_configENS1_35radix_sort_onesweep_config_selectorIbiEEZZNS1_29radix_sort_onesweep_iterationIS3_Lb0EN6thrust23THRUST_200600_302600_NS6detail15normal_iteratorINS8_10device_ptrIbEEEESD_NSA_INSB_IiEEEESF_jNS0_19identity_decomposerENS1_16block_id_wrapperIjLb1EEEEE10hipError_tT1_PNSt15iterator_traitsISK_E10value_typeET2_T3_PNSL_ISQ_E10value_typeET4_T5_PSV_SW_PNS1_23onesweep_lookback_stateEbbT6_jjT7_P12ihipStream_tbENKUlT_T0_SK_SP_E_clISD_SD_SF_SF_EEDaS13_S14_SK_SP_EUlS13_E_NS1_11comp_targetILNS1_3genE5ELNS1_11target_archE942ELNS1_3gpuE9ELNS1_3repE0EEENS1_47radix_sort_onesweep_sort_config_static_selectorELNS0_4arch9wavefront6targetE1EEEvSK_
; %bb.0:
	.section	.rodata,"a",@progbits
	.p2align	6, 0x0
	.amdhsa_kernel _ZN7rocprim17ROCPRIM_400000_NS6detail17trampoline_kernelINS0_14default_configENS1_35radix_sort_onesweep_config_selectorIbiEEZZNS1_29radix_sort_onesweep_iterationIS3_Lb0EN6thrust23THRUST_200600_302600_NS6detail15normal_iteratorINS8_10device_ptrIbEEEESD_NSA_INSB_IiEEEESF_jNS0_19identity_decomposerENS1_16block_id_wrapperIjLb1EEEEE10hipError_tT1_PNSt15iterator_traitsISK_E10value_typeET2_T3_PNSL_ISQ_E10value_typeET4_T5_PSV_SW_PNS1_23onesweep_lookback_stateEbbT6_jjT7_P12ihipStream_tbENKUlT_T0_SK_SP_E_clISD_SD_SF_SF_EEDaS13_S14_SK_SP_EUlS13_E_NS1_11comp_targetILNS1_3genE5ELNS1_11target_archE942ELNS1_3gpuE9ELNS1_3repE0EEENS1_47radix_sort_onesweep_sort_config_static_selectorELNS0_4arch9wavefront6targetE1EEEvSK_
		.amdhsa_group_segment_fixed_size 0
		.amdhsa_private_segment_fixed_size 0
		.amdhsa_kernarg_size 88
		.amdhsa_user_sgpr_count 2
		.amdhsa_user_sgpr_dispatch_ptr 0
		.amdhsa_user_sgpr_queue_ptr 0
		.amdhsa_user_sgpr_kernarg_segment_ptr 1
		.amdhsa_user_sgpr_dispatch_id 0
		.amdhsa_user_sgpr_kernarg_preload_length 0
		.amdhsa_user_sgpr_kernarg_preload_offset 0
		.amdhsa_user_sgpr_private_segment_size 0
		.amdhsa_uses_dynamic_stack 0
		.amdhsa_enable_private_segment 0
		.amdhsa_system_sgpr_workgroup_id_x 1
		.amdhsa_system_sgpr_workgroup_id_y 0
		.amdhsa_system_sgpr_workgroup_id_z 0
		.amdhsa_system_sgpr_workgroup_info 0
		.amdhsa_system_vgpr_workitem_id 0
		.amdhsa_next_free_vgpr 1
		.amdhsa_next_free_sgpr 0
		.amdhsa_accum_offset 4
		.amdhsa_reserve_vcc 0
		.amdhsa_float_round_mode_32 0
		.amdhsa_float_round_mode_16_64 0
		.amdhsa_float_denorm_mode_32 3
		.amdhsa_float_denorm_mode_16_64 3
		.amdhsa_dx10_clamp 1
		.amdhsa_ieee_mode 1
		.amdhsa_fp16_overflow 0
		.amdhsa_tg_split 0
		.amdhsa_exception_fp_ieee_invalid_op 0
		.amdhsa_exception_fp_denorm_src 0
		.amdhsa_exception_fp_ieee_div_zero 0
		.amdhsa_exception_fp_ieee_overflow 0
		.amdhsa_exception_fp_ieee_underflow 0
		.amdhsa_exception_fp_ieee_inexact 0
		.amdhsa_exception_int_div_zero 0
	.end_amdhsa_kernel
	.section	.text._ZN7rocprim17ROCPRIM_400000_NS6detail17trampoline_kernelINS0_14default_configENS1_35radix_sort_onesweep_config_selectorIbiEEZZNS1_29radix_sort_onesweep_iterationIS3_Lb0EN6thrust23THRUST_200600_302600_NS6detail15normal_iteratorINS8_10device_ptrIbEEEESD_NSA_INSB_IiEEEESF_jNS0_19identity_decomposerENS1_16block_id_wrapperIjLb1EEEEE10hipError_tT1_PNSt15iterator_traitsISK_E10value_typeET2_T3_PNSL_ISQ_E10value_typeET4_T5_PSV_SW_PNS1_23onesweep_lookback_stateEbbT6_jjT7_P12ihipStream_tbENKUlT_T0_SK_SP_E_clISD_SD_SF_SF_EEDaS13_S14_SK_SP_EUlS13_E_NS1_11comp_targetILNS1_3genE5ELNS1_11target_archE942ELNS1_3gpuE9ELNS1_3repE0EEENS1_47radix_sort_onesweep_sort_config_static_selectorELNS0_4arch9wavefront6targetE1EEEvSK_,"axG",@progbits,_ZN7rocprim17ROCPRIM_400000_NS6detail17trampoline_kernelINS0_14default_configENS1_35radix_sort_onesweep_config_selectorIbiEEZZNS1_29radix_sort_onesweep_iterationIS3_Lb0EN6thrust23THRUST_200600_302600_NS6detail15normal_iteratorINS8_10device_ptrIbEEEESD_NSA_INSB_IiEEEESF_jNS0_19identity_decomposerENS1_16block_id_wrapperIjLb1EEEEE10hipError_tT1_PNSt15iterator_traitsISK_E10value_typeET2_T3_PNSL_ISQ_E10value_typeET4_T5_PSV_SW_PNS1_23onesweep_lookback_stateEbbT6_jjT7_P12ihipStream_tbENKUlT_T0_SK_SP_E_clISD_SD_SF_SF_EEDaS13_S14_SK_SP_EUlS13_E_NS1_11comp_targetILNS1_3genE5ELNS1_11target_archE942ELNS1_3gpuE9ELNS1_3repE0EEENS1_47radix_sort_onesweep_sort_config_static_selectorELNS0_4arch9wavefront6targetE1EEEvSK_,comdat
.Lfunc_end2043:
	.size	_ZN7rocprim17ROCPRIM_400000_NS6detail17trampoline_kernelINS0_14default_configENS1_35radix_sort_onesweep_config_selectorIbiEEZZNS1_29radix_sort_onesweep_iterationIS3_Lb0EN6thrust23THRUST_200600_302600_NS6detail15normal_iteratorINS8_10device_ptrIbEEEESD_NSA_INSB_IiEEEESF_jNS0_19identity_decomposerENS1_16block_id_wrapperIjLb1EEEEE10hipError_tT1_PNSt15iterator_traitsISK_E10value_typeET2_T3_PNSL_ISQ_E10value_typeET4_T5_PSV_SW_PNS1_23onesweep_lookback_stateEbbT6_jjT7_P12ihipStream_tbENKUlT_T0_SK_SP_E_clISD_SD_SF_SF_EEDaS13_S14_SK_SP_EUlS13_E_NS1_11comp_targetILNS1_3genE5ELNS1_11target_archE942ELNS1_3gpuE9ELNS1_3repE0EEENS1_47radix_sort_onesweep_sort_config_static_selectorELNS0_4arch9wavefront6targetE1EEEvSK_, .Lfunc_end2043-_ZN7rocprim17ROCPRIM_400000_NS6detail17trampoline_kernelINS0_14default_configENS1_35radix_sort_onesweep_config_selectorIbiEEZZNS1_29radix_sort_onesweep_iterationIS3_Lb0EN6thrust23THRUST_200600_302600_NS6detail15normal_iteratorINS8_10device_ptrIbEEEESD_NSA_INSB_IiEEEESF_jNS0_19identity_decomposerENS1_16block_id_wrapperIjLb1EEEEE10hipError_tT1_PNSt15iterator_traitsISK_E10value_typeET2_T3_PNSL_ISQ_E10value_typeET4_T5_PSV_SW_PNS1_23onesweep_lookback_stateEbbT6_jjT7_P12ihipStream_tbENKUlT_T0_SK_SP_E_clISD_SD_SF_SF_EEDaS13_S14_SK_SP_EUlS13_E_NS1_11comp_targetILNS1_3genE5ELNS1_11target_archE942ELNS1_3gpuE9ELNS1_3repE0EEENS1_47radix_sort_onesweep_sort_config_static_selectorELNS0_4arch9wavefront6targetE1EEEvSK_
                                        ; -- End function
	.set _ZN7rocprim17ROCPRIM_400000_NS6detail17trampoline_kernelINS0_14default_configENS1_35radix_sort_onesweep_config_selectorIbiEEZZNS1_29radix_sort_onesweep_iterationIS3_Lb0EN6thrust23THRUST_200600_302600_NS6detail15normal_iteratorINS8_10device_ptrIbEEEESD_NSA_INSB_IiEEEESF_jNS0_19identity_decomposerENS1_16block_id_wrapperIjLb1EEEEE10hipError_tT1_PNSt15iterator_traitsISK_E10value_typeET2_T3_PNSL_ISQ_E10value_typeET4_T5_PSV_SW_PNS1_23onesweep_lookback_stateEbbT6_jjT7_P12ihipStream_tbENKUlT_T0_SK_SP_E_clISD_SD_SF_SF_EEDaS13_S14_SK_SP_EUlS13_E_NS1_11comp_targetILNS1_3genE5ELNS1_11target_archE942ELNS1_3gpuE9ELNS1_3repE0EEENS1_47radix_sort_onesweep_sort_config_static_selectorELNS0_4arch9wavefront6targetE1EEEvSK_.num_vgpr, 0
	.set _ZN7rocprim17ROCPRIM_400000_NS6detail17trampoline_kernelINS0_14default_configENS1_35radix_sort_onesweep_config_selectorIbiEEZZNS1_29radix_sort_onesweep_iterationIS3_Lb0EN6thrust23THRUST_200600_302600_NS6detail15normal_iteratorINS8_10device_ptrIbEEEESD_NSA_INSB_IiEEEESF_jNS0_19identity_decomposerENS1_16block_id_wrapperIjLb1EEEEE10hipError_tT1_PNSt15iterator_traitsISK_E10value_typeET2_T3_PNSL_ISQ_E10value_typeET4_T5_PSV_SW_PNS1_23onesweep_lookback_stateEbbT6_jjT7_P12ihipStream_tbENKUlT_T0_SK_SP_E_clISD_SD_SF_SF_EEDaS13_S14_SK_SP_EUlS13_E_NS1_11comp_targetILNS1_3genE5ELNS1_11target_archE942ELNS1_3gpuE9ELNS1_3repE0EEENS1_47radix_sort_onesweep_sort_config_static_selectorELNS0_4arch9wavefront6targetE1EEEvSK_.num_agpr, 0
	.set _ZN7rocprim17ROCPRIM_400000_NS6detail17trampoline_kernelINS0_14default_configENS1_35radix_sort_onesweep_config_selectorIbiEEZZNS1_29radix_sort_onesweep_iterationIS3_Lb0EN6thrust23THRUST_200600_302600_NS6detail15normal_iteratorINS8_10device_ptrIbEEEESD_NSA_INSB_IiEEEESF_jNS0_19identity_decomposerENS1_16block_id_wrapperIjLb1EEEEE10hipError_tT1_PNSt15iterator_traitsISK_E10value_typeET2_T3_PNSL_ISQ_E10value_typeET4_T5_PSV_SW_PNS1_23onesweep_lookback_stateEbbT6_jjT7_P12ihipStream_tbENKUlT_T0_SK_SP_E_clISD_SD_SF_SF_EEDaS13_S14_SK_SP_EUlS13_E_NS1_11comp_targetILNS1_3genE5ELNS1_11target_archE942ELNS1_3gpuE9ELNS1_3repE0EEENS1_47radix_sort_onesweep_sort_config_static_selectorELNS0_4arch9wavefront6targetE1EEEvSK_.numbered_sgpr, 0
	.set _ZN7rocprim17ROCPRIM_400000_NS6detail17trampoline_kernelINS0_14default_configENS1_35radix_sort_onesweep_config_selectorIbiEEZZNS1_29radix_sort_onesweep_iterationIS3_Lb0EN6thrust23THRUST_200600_302600_NS6detail15normal_iteratorINS8_10device_ptrIbEEEESD_NSA_INSB_IiEEEESF_jNS0_19identity_decomposerENS1_16block_id_wrapperIjLb1EEEEE10hipError_tT1_PNSt15iterator_traitsISK_E10value_typeET2_T3_PNSL_ISQ_E10value_typeET4_T5_PSV_SW_PNS1_23onesweep_lookback_stateEbbT6_jjT7_P12ihipStream_tbENKUlT_T0_SK_SP_E_clISD_SD_SF_SF_EEDaS13_S14_SK_SP_EUlS13_E_NS1_11comp_targetILNS1_3genE5ELNS1_11target_archE942ELNS1_3gpuE9ELNS1_3repE0EEENS1_47radix_sort_onesweep_sort_config_static_selectorELNS0_4arch9wavefront6targetE1EEEvSK_.num_named_barrier, 0
	.set _ZN7rocprim17ROCPRIM_400000_NS6detail17trampoline_kernelINS0_14default_configENS1_35radix_sort_onesweep_config_selectorIbiEEZZNS1_29radix_sort_onesweep_iterationIS3_Lb0EN6thrust23THRUST_200600_302600_NS6detail15normal_iteratorINS8_10device_ptrIbEEEESD_NSA_INSB_IiEEEESF_jNS0_19identity_decomposerENS1_16block_id_wrapperIjLb1EEEEE10hipError_tT1_PNSt15iterator_traitsISK_E10value_typeET2_T3_PNSL_ISQ_E10value_typeET4_T5_PSV_SW_PNS1_23onesweep_lookback_stateEbbT6_jjT7_P12ihipStream_tbENKUlT_T0_SK_SP_E_clISD_SD_SF_SF_EEDaS13_S14_SK_SP_EUlS13_E_NS1_11comp_targetILNS1_3genE5ELNS1_11target_archE942ELNS1_3gpuE9ELNS1_3repE0EEENS1_47radix_sort_onesweep_sort_config_static_selectorELNS0_4arch9wavefront6targetE1EEEvSK_.private_seg_size, 0
	.set _ZN7rocprim17ROCPRIM_400000_NS6detail17trampoline_kernelINS0_14default_configENS1_35radix_sort_onesweep_config_selectorIbiEEZZNS1_29radix_sort_onesweep_iterationIS3_Lb0EN6thrust23THRUST_200600_302600_NS6detail15normal_iteratorINS8_10device_ptrIbEEEESD_NSA_INSB_IiEEEESF_jNS0_19identity_decomposerENS1_16block_id_wrapperIjLb1EEEEE10hipError_tT1_PNSt15iterator_traitsISK_E10value_typeET2_T3_PNSL_ISQ_E10value_typeET4_T5_PSV_SW_PNS1_23onesweep_lookback_stateEbbT6_jjT7_P12ihipStream_tbENKUlT_T0_SK_SP_E_clISD_SD_SF_SF_EEDaS13_S14_SK_SP_EUlS13_E_NS1_11comp_targetILNS1_3genE5ELNS1_11target_archE942ELNS1_3gpuE9ELNS1_3repE0EEENS1_47radix_sort_onesweep_sort_config_static_selectorELNS0_4arch9wavefront6targetE1EEEvSK_.uses_vcc, 0
	.set _ZN7rocprim17ROCPRIM_400000_NS6detail17trampoline_kernelINS0_14default_configENS1_35radix_sort_onesweep_config_selectorIbiEEZZNS1_29radix_sort_onesweep_iterationIS3_Lb0EN6thrust23THRUST_200600_302600_NS6detail15normal_iteratorINS8_10device_ptrIbEEEESD_NSA_INSB_IiEEEESF_jNS0_19identity_decomposerENS1_16block_id_wrapperIjLb1EEEEE10hipError_tT1_PNSt15iterator_traitsISK_E10value_typeET2_T3_PNSL_ISQ_E10value_typeET4_T5_PSV_SW_PNS1_23onesweep_lookback_stateEbbT6_jjT7_P12ihipStream_tbENKUlT_T0_SK_SP_E_clISD_SD_SF_SF_EEDaS13_S14_SK_SP_EUlS13_E_NS1_11comp_targetILNS1_3genE5ELNS1_11target_archE942ELNS1_3gpuE9ELNS1_3repE0EEENS1_47radix_sort_onesweep_sort_config_static_selectorELNS0_4arch9wavefront6targetE1EEEvSK_.uses_flat_scratch, 0
	.set _ZN7rocprim17ROCPRIM_400000_NS6detail17trampoline_kernelINS0_14default_configENS1_35radix_sort_onesweep_config_selectorIbiEEZZNS1_29radix_sort_onesweep_iterationIS3_Lb0EN6thrust23THRUST_200600_302600_NS6detail15normal_iteratorINS8_10device_ptrIbEEEESD_NSA_INSB_IiEEEESF_jNS0_19identity_decomposerENS1_16block_id_wrapperIjLb1EEEEE10hipError_tT1_PNSt15iterator_traitsISK_E10value_typeET2_T3_PNSL_ISQ_E10value_typeET4_T5_PSV_SW_PNS1_23onesweep_lookback_stateEbbT6_jjT7_P12ihipStream_tbENKUlT_T0_SK_SP_E_clISD_SD_SF_SF_EEDaS13_S14_SK_SP_EUlS13_E_NS1_11comp_targetILNS1_3genE5ELNS1_11target_archE942ELNS1_3gpuE9ELNS1_3repE0EEENS1_47radix_sort_onesweep_sort_config_static_selectorELNS0_4arch9wavefront6targetE1EEEvSK_.has_dyn_sized_stack, 0
	.set _ZN7rocprim17ROCPRIM_400000_NS6detail17trampoline_kernelINS0_14default_configENS1_35radix_sort_onesweep_config_selectorIbiEEZZNS1_29radix_sort_onesweep_iterationIS3_Lb0EN6thrust23THRUST_200600_302600_NS6detail15normal_iteratorINS8_10device_ptrIbEEEESD_NSA_INSB_IiEEEESF_jNS0_19identity_decomposerENS1_16block_id_wrapperIjLb1EEEEE10hipError_tT1_PNSt15iterator_traitsISK_E10value_typeET2_T3_PNSL_ISQ_E10value_typeET4_T5_PSV_SW_PNS1_23onesweep_lookback_stateEbbT6_jjT7_P12ihipStream_tbENKUlT_T0_SK_SP_E_clISD_SD_SF_SF_EEDaS13_S14_SK_SP_EUlS13_E_NS1_11comp_targetILNS1_3genE5ELNS1_11target_archE942ELNS1_3gpuE9ELNS1_3repE0EEENS1_47radix_sort_onesweep_sort_config_static_selectorELNS0_4arch9wavefront6targetE1EEEvSK_.has_recursion, 0
	.set _ZN7rocprim17ROCPRIM_400000_NS6detail17trampoline_kernelINS0_14default_configENS1_35radix_sort_onesweep_config_selectorIbiEEZZNS1_29radix_sort_onesweep_iterationIS3_Lb0EN6thrust23THRUST_200600_302600_NS6detail15normal_iteratorINS8_10device_ptrIbEEEESD_NSA_INSB_IiEEEESF_jNS0_19identity_decomposerENS1_16block_id_wrapperIjLb1EEEEE10hipError_tT1_PNSt15iterator_traitsISK_E10value_typeET2_T3_PNSL_ISQ_E10value_typeET4_T5_PSV_SW_PNS1_23onesweep_lookback_stateEbbT6_jjT7_P12ihipStream_tbENKUlT_T0_SK_SP_E_clISD_SD_SF_SF_EEDaS13_S14_SK_SP_EUlS13_E_NS1_11comp_targetILNS1_3genE5ELNS1_11target_archE942ELNS1_3gpuE9ELNS1_3repE0EEENS1_47radix_sort_onesweep_sort_config_static_selectorELNS0_4arch9wavefront6targetE1EEEvSK_.has_indirect_call, 0
	.section	.AMDGPU.csdata,"",@progbits
; Kernel info:
; codeLenInByte = 0
; TotalNumSgprs: 6
; NumVgprs: 0
; NumAgprs: 0
; TotalNumVgprs: 0
; ScratchSize: 0
; MemoryBound: 0
; FloatMode: 240
; IeeeMode: 1
; LDSByteSize: 0 bytes/workgroup (compile time only)
; SGPRBlocks: 0
; VGPRBlocks: 0
; NumSGPRsForWavesPerEU: 6
; NumVGPRsForWavesPerEU: 1
; AccumOffset: 4
; Occupancy: 8
; WaveLimiterHint : 0
; COMPUTE_PGM_RSRC2:SCRATCH_EN: 0
; COMPUTE_PGM_RSRC2:USER_SGPR: 2
; COMPUTE_PGM_RSRC2:TRAP_HANDLER: 0
; COMPUTE_PGM_RSRC2:TGID_X_EN: 1
; COMPUTE_PGM_RSRC2:TGID_Y_EN: 0
; COMPUTE_PGM_RSRC2:TGID_Z_EN: 0
; COMPUTE_PGM_RSRC2:TIDIG_COMP_CNT: 0
; COMPUTE_PGM_RSRC3_GFX90A:ACCUM_OFFSET: 0
; COMPUTE_PGM_RSRC3_GFX90A:TG_SPLIT: 0
	.section	.text._ZN7rocprim17ROCPRIM_400000_NS6detail17trampoline_kernelINS0_14default_configENS1_35radix_sort_onesweep_config_selectorIbiEEZZNS1_29radix_sort_onesweep_iterationIS3_Lb0EN6thrust23THRUST_200600_302600_NS6detail15normal_iteratorINS8_10device_ptrIbEEEESD_NSA_INSB_IiEEEESF_jNS0_19identity_decomposerENS1_16block_id_wrapperIjLb1EEEEE10hipError_tT1_PNSt15iterator_traitsISK_E10value_typeET2_T3_PNSL_ISQ_E10value_typeET4_T5_PSV_SW_PNS1_23onesweep_lookback_stateEbbT6_jjT7_P12ihipStream_tbENKUlT_T0_SK_SP_E_clISD_SD_SF_SF_EEDaS13_S14_SK_SP_EUlS13_E_NS1_11comp_targetILNS1_3genE2ELNS1_11target_archE906ELNS1_3gpuE6ELNS1_3repE0EEENS1_47radix_sort_onesweep_sort_config_static_selectorELNS0_4arch9wavefront6targetE1EEEvSK_,"axG",@progbits,_ZN7rocprim17ROCPRIM_400000_NS6detail17trampoline_kernelINS0_14default_configENS1_35radix_sort_onesweep_config_selectorIbiEEZZNS1_29radix_sort_onesweep_iterationIS3_Lb0EN6thrust23THRUST_200600_302600_NS6detail15normal_iteratorINS8_10device_ptrIbEEEESD_NSA_INSB_IiEEEESF_jNS0_19identity_decomposerENS1_16block_id_wrapperIjLb1EEEEE10hipError_tT1_PNSt15iterator_traitsISK_E10value_typeET2_T3_PNSL_ISQ_E10value_typeET4_T5_PSV_SW_PNS1_23onesweep_lookback_stateEbbT6_jjT7_P12ihipStream_tbENKUlT_T0_SK_SP_E_clISD_SD_SF_SF_EEDaS13_S14_SK_SP_EUlS13_E_NS1_11comp_targetILNS1_3genE2ELNS1_11target_archE906ELNS1_3gpuE6ELNS1_3repE0EEENS1_47radix_sort_onesweep_sort_config_static_selectorELNS0_4arch9wavefront6targetE1EEEvSK_,comdat
	.protected	_ZN7rocprim17ROCPRIM_400000_NS6detail17trampoline_kernelINS0_14default_configENS1_35radix_sort_onesweep_config_selectorIbiEEZZNS1_29radix_sort_onesweep_iterationIS3_Lb0EN6thrust23THRUST_200600_302600_NS6detail15normal_iteratorINS8_10device_ptrIbEEEESD_NSA_INSB_IiEEEESF_jNS0_19identity_decomposerENS1_16block_id_wrapperIjLb1EEEEE10hipError_tT1_PNSt15iterator_traitsISK_E10value_typeET2_T3_PNSL_ISQ_E10value_typeET4_T5_PSV_SW_PNS1_23onesweep_lookback_stateEbbT6_jjT7_P12ihipStream_tbENKUlT_T0_SK_SP_E_clISD_SD_SF_SF_EEDaS13_S14_SK_SP_EUlS13_E_NS1_11comp_targetILNS1_3genE2ELNS1_11target_archE906ELNS1_3gpuE6ELNS1_3repE0EEENS1_47radix_sort_onesweep_sort_config_static_selectorELNS0_4arch9wavefront6targetE1EEEvSK_ ; -- Begin function _ZN7rocprim17ROCPRIM_400000_NS6detail17trampoline_kernelINS0_14default_configENS1_35radix_sort_onesweep_config_selectorIbiEEZZNS1_29radix_sort_onesweep_iterationIS3_Lb0EN6thrust23THRUST_200600_302600_NS6detail15normal_iteratorINS8_10device_ptrIbEEEESD_NSA_INSB_IiEEEESF_jNS0_19identity_decomposerENS1_16block_id_wrapperIjLb1EEEEE10hipError_tT1_PNSt15iterator_traitsISK_E10value_typeET2_T3_PNSL_ISQ_E10value_typeET4_T5_PSV_SW_PNS1_23onesweep_lookback_stateEbbT6_jjT7_P12ihipStream_tbENKUlT_T0_SK_SP_E_clISD_SD_SF_SF_EEDaS13_S14_SK_SP_EUlS13_E_NS1_11comp_targetILNS1_3genE2ELNS1_11target_archE906ELNS1_3gpuE6ELNS1_3repE0EEENS1_47radix_sort_onesweep_sort_config_static_selectorELNS0_4arch9wavefront6targetE1EEEvSK_
	.globl	_ZN7rocprim17ROCPRIM_400000_NS6detail17trampoline_kernelINS0_14default_configENS1_35radix_sort_onesweep_config_selectorIbiEEZZNS1_29radix_sort_onesweep_iterationIS3_Lb0EN6thrust23THRUST_200600_302600_NS6detail15normal_iteratorINS8_10device_ptrIbEEEESD_NSA_INSB_IiEEEESF_jNS0_19identity_decomposerENS1_16block_id_wrapperIjLb1EEEEE10hipError_tT1_PNSt15iterator_traitsISK_E10value_typeET2_T3_PNSL_ISQ_E10value_typeET4_T5_PSV_SW_PNS1_23onesweep_lookback_stateEbbT6_jjT7_P12ihipStream_tbENKUlT_T0_SK_SP_E_clISD_SD_SF_SF_EEDaS13_S14_SK_SP_EUlS13_E_NS1_11comp_targetILNS1_3genE2ELNS1_11target_archE906ELNS1_3gpuE6ELNS1_3repE0EEENS1_47radix_sort_onesweep_sort_config_static_selectorELNS0_4arch9wavefront6targetE1EEEvSK_
	.p2align	8
	.type	_ZN7rocprim17ROCPRIM_400000_NS6detail17trampoline_kernelINS0_14default_configENS1_35radix_sort_onesweep_config_selectorIbiEEZZNS1_29radix_sort_onesweep_iterationIS3_Lb0EN6thrust23THRUST_200600_302600_NS6detail15normal_iteratorINS8_10device_ptrIbEEEESD_NSA_INSB_IiEEEESF_jNS0_19identity_decomposerENS1_16block_id_wrapperIjLb1EEEEE10hipError_tT1_PNSt15iterator_traitsISK_E10value_typeET2_T3_PNSL_ISQ_E10value_typeET4_T5_PSV_SW_PNS1_23onesweep_lookback_stateEbbT6_jjT7_P12ihipStream_tbENKUlT_T0_SK_SP_E_clISD_SD_SF_SF_EEDaS13_S14_SK_SP_EUlS13_E_NS1_11comp_targetILNS1_3genE2ELNS1_11target_archE906ELNS1_3gpuE6ELNS1_3repE0EEENS1_47radix_sort_onesweep_sort_config_static_selectorELNS0_4arch9wavefront6targetE1EEEvSK_,@function
_ZN7rocprim17ROCPRIM_400000_NS6detail17trampoline_kernelINS0_14default_configENS1_35radix_sort_onesweep_config_selectorIbiEEZZNS1_29radix_sort_onesweep_iterationIS3_Lb0EN6thrust23THRUST_200600_302600_NS6detail15normal_iteratorINS8_10device_ptrIbEEEESD_NSA_INSB_IiEEEESF_jNS0_19identity_decomposerENS1_16block_id_wrapperIjLb1EEEEE10hipError_tT1_PNSt15iterator_traitsISK_E10value_typeET2_T3_PNSL_ISQ_E10value_typeET4_T5_PSV_SW_PNS1_23onesweep_lookback_stateEbbT6_jjT7_P12ihipStream_tbENKUlT_T0_SK_SP_E_clISD_SD_SF_SF_EEDaS13_S14_SK_SP_EUlS13_E_NS1_11comp_targetILNS1_3genE2ELNS1_11target_archE906ELNS1_3gpuE6ELNS1_3repE0EEENS1_47radix_sort_onesweep_sort_config_static_selectorELNS0_4arch9wavefront6targetE1EEEvSK_: ; @_ZN7rocprim17ROCPRIM_400000_NS6detail17trampoline_kernelINS0_14default_configENS1_35radix_sort_onesweep_config_selectorIbiEEZZNS1_29radix_sort_onesweep_iterationIS3_Lb0EN6thrust23THRUST_200600_302600_NS6detail15normal_iteratorINS8_10device_ptrIbEEEESD_NSA_INSB_IiEEEESF_jNS0_19identity_decomposerENS1_16block_id_wrapperIjLb1EEEEE10hipError_tT1_PNSt15iterator_traitsISK_E10value_typeET2_T3_PNSL_ISQ_E10value_typeET4_T5_PSV_SW_PNS1_23onesweep_lookback_stateEbbT6_jjT7_P12ihipStream_tbENKUlT_T0_SK_SP_E_clISD_SD_SF_SF_EEDaS13_S14_SK_SP_EUlS13_E_NS1_11comp_targetILNS1_3genE2ELNS1_11target_archE906ELNS1_3gpuE6ELNS1_3repE0EEENS1_47radix_sort_onesweep_sort_config_static_selectorELNS0_4arch9wavefront6targetE1EEEvSK_
; %bb.0:
	.section	.rodata,"a",@progbits
	.p2align	6, 0x0
	.amdhsa_kernel _ZN7rocprim17ROCPRIM_400000_NS6detail17trampoline_kernelINS0_14default_configENS1_35radix_sort_onesweep_config_selectorIbiEEZZNS1_29radix_sort_onesweep_iterationIS3_Lb0EN6thrust23THRUST_200600_302600_NS6detail15normal_iteratorINS8_10device_ptrIbEEEESD_NSA_INSB_IiEEEESF_jNS0_19identity_decomposerENS1_16block_id_wrapperIjLb1EEEEE10hipError_tT1_PNSt15iterator_traitsISK_E10value_typeET2_T3_PNSL_ISQ_E10value_typeET4_T5_PSV_SW_PNS1_23onesweep_lookback_stateEbbT6_jjT7_P12ihipStream_tbENKUlT_T0_SK_SP_E_clISD_SD_SF_SF_EEDaS13_S14_SK_SP_EUlS13_E_NS1_11comp_targetILNS1_3genE2ELNS1_11target_archE906ELNS1_3gpuE6ELNS1_3repE0EEENS1_47radix_sort_onesweep_sort_config_static_selectorELNS0_4arch9wavefront6targetE1EEEvSK_
		.amdhsa_group_segment_fixed_size 0
		.amdhsa_private_segment_fixed_size 0
		.amdhsa_kernarg_size 88
		.amdhsa_user_sgpr_count 2
		.amdhsa_user_sgpr_dispatch_ptr 0
		.amdhsa_user_sgpr_queue_ptr 0
		.amdhsa_user_sgpr_kernarg_segment_ptr 1
		.amdhsa_user_sgpr_dispatch_id 0
		.amdhsa_user_sgpr_kernarg_preload_length 0
		.amdhsa_user_sgpr_kernarg_preload_offset 0
		.amdhsa_user_sgpr_private_segment_size 0
		.amdhsa_uses_dynamic_stack 0
		.amdhsa_enable_private_segment 0
		.amdhsa_system_sgpr_workgroup_id_x 1
		.amdhsa_system_sgpr_workgroup_id_y 0
		.amdhsa_system_sgpr_workgroup_id_z 0
		.amdhsa_system_sgpr_workgroup_info 0
		.amdhsa_system_vgpr_workitem_id 0
		.amdhsa_next_free_vgpr 1
		.amdhsa_next_free_sgpr 0
		.amdhsa_accum_offset 4
		.amdhsa_reserve_vcc 0
		.amdhsa_float_round_mode_32 0
		.amdhsa_float_round_mode_16_64 0
		.amdhsa_float_denorm_mode_32 3
		.amdhsa_float_denorm_mode_16_64 3
		.amdhsa_dx10_clamp 1
		.amdhsa_ieee_mode 1
		.amdhsa_fp16_overflow 0
		.amdhsa_tg_split 0
		.amdhsa_exception_fp_ieee_invalid_op 0
		.amdhsa_exception_fp_denorm_src 0
		.amdhsa_exception_fp_ieee_div_zero 0
		.amdhsa_exception_fp_ieee_overflow 0
		.amdhsa_exception_fp_ieee_underflow 0
		.amdhsa_exception_fp_ieee_inexact 0
		.amdhsa_exception_int_div_zero 0
	.end_amdhsa_kernel
	.section	.text._ZN7rocprim17ROCPRIM_400000_NS6detail17trampoline_kernelINS0_14default_configENS1_35radix_sort_onesweep_config_selectorIbiEEZZNS1_29radix_sort_onesweep_iterationIS3_Lb0EN6thrust23THRUST_200600_302600_NS6detail15normal_iteratorINS8_10device_ptrIbEEEESD_NSA_INSB_IiEEEESF_jNS0_19identity_decomposerENS1_16block_id_wrapperIjLb1EEEEE10hipError_tT1_PNSt15iterator_traitsISK_E10value_typeET2_T3_PNSL_ISQ_E10value_typeET4_T5_PSV_SW_PNS1_23onesweep_lookback_stateEbbT6_jjT7_P12ihipStream_tbENKUlT_T0_SK_SP_E_clISD_SD_SF_SF_EEDaS13_S14_SK_SP_EUlS13_E_NS1_11comp_targetILNS1_3genE2ELNS1_11target_archE906ELNS1_3gpuE6ELNS1_3repE0EEENS1_47radix_sort_onesweep_sort_config_static_selectorELNS0_4arch9wavefront6targetE1EEEvSK_,"axG",@progbits,_ZN7rocprim17ROCPRIM_400000_NS6detail17trampoline_kernelINS0_14default_configENS1_35radix_sort_onesweep_config_selectorIbiEEZZNS1_29radix_sort_onesweep_iterationIS3_Lb0EN6thrust23THRUST_200600_302600_NS6detail15normal_iteratorINS8_10device_ptrIbEEEESD_NSA_INSB_IiEEEESF_jNS0_19identity_decomposerENS1_16block_id_wrapperIjLb1EEEEE10hipError_tT1_PNSt15iterator_traitsISK_E10value_typeET2_T3_PNSL_ISQ_E10value_typeET4_T5_PSV_SW_PNS1_23onesweep_lookback_stateEbbT6_jjT7_P12ihipStream_tbENKUlT_T0_SK_SP_E_clISD_SD_SF_SF_EEDaS13_S14_SK_SP_EUlS13_E_NS1_11comp_targetILNS1_3genE2ELNS1_11target_archE906ELNS1_3gpuE6ELNS1_3repE0EEENS1_47radix_sort_onesweep_sort_config_static_selectorELNS0_4arch9wavefront6targetE1EEEvSK_,comdat
.Lfunc_end2044:
	.size	_ZN7rocprim17ROCPRIM_400000_NS6detail17trampoline_kernelINS0_14default_configENS1_35radix_sort_onesweep_config_selectorIbiEEZZNS1_29radix_sort_onesweep_iterationIS3_Lb0EN6thrust23THRUST_200600_302600_NS6detail15normal_iteratorINS8_10device_ptrIbEEEESD_NSA_INSB_IiEEEESF_jNS0_19identity_decomposerENS1_16block_id_wrapperIjLb1EEEEE10hipError_tT1_PNSt15iterator_traitsISK_E10value_typeET2_T3_PNSL_ISQ_E10value_typeET4_T5_PSV_SW_PNS1_23onesweep_lookback_stateEbbT6_jjT7_P12ihipStream_tbENKUlT_T0_SK_SP_E_clISD_SD_SF_SF_EEDaS13_S14_SK_SP_EUlS13_E_NS1_11comp_targetILNS1_3genE2ELNS1_11target_archE906ELNS1_3gpuE6ELNS1_3repE0EEENS1_47radix_sort_onesweep_sort_config_static_selectorELNS0_4arch9wavefront6targetE1EEEvSK_, .Lfunc_end2044-_ZN7rocprim17ROCPRIM_400000_NS6detail17trampoline_kernelINS0_14default_configENS1_35radix_sort_onesweep_config_selectorIbiEEZZNS1_29radix_sort_onesweep_iterationIS3_Lb0EN6thrust23THRUST_200600_302600_NS6detail15normal_iteratorINS8_10device_ptrIbEEEESD_NSA_INSB_IiEEEESF_jNS0_19identity_decomposerENS1_16block_id_wrapperIjLb1EEEEE10hipError_tT1_PNSt15iterator_traitsISK_E10value_typeET2_T3_PNSL_ISQ_E10value_typeET4_T5_PSV_SW_PNS1_23onesweep_lookback_stateEbbT6_jjT7_P12ihipStream_tbENKUlT_T0_SK_SP_E_clISD_SD_SF_SF_EEDaS13_S14_SK_SP_EUlS13_E_NS1_11comp_targetILNS1_3genE2ELNS1_11target_archE906ELNS1_3gpuE6ELNS1_3repE0EEENS1_47radix_sort_onesweep_sort_config_static_selectorELNS0_4arch9wavefront6targetE1EEEvSK_
                                        ; -- End function
	.set _ZN7rocprim17ROCPRIM_400000_NS6detail17trampoline_kernelINS0_14default_configENS1_35radix_sort_onesweep_config_selectorIbiEEZZNS1_29radix_sort_onesweep_iterationIS3_Lb0EN6thrust23THRUST_200600_302600_NS6detail15normal_iteratorINS8_10device_ptrIbEEEESD_NSA_INSB_IiEEEESF_jNS0_19identity_decomposerENS1_16block_id_wrapperIjLb1EEEEE10hipError_tT1_PNSt15iterator_traitsISK_E10value_typeET2_T3_PNSL_ISQ_E10value_typeET4_T5_PSV_SW_PNS1_23onesweep_lookback_stateEbbT6_jjT7_P12ihipStream_tbENKUlT_T0_SK_SP_E_clISD_SD_SF_SF_EEDaS13_S14_SK_SP_EUlS13_E_NS1_11comp_targetILNS1_3genE2ELNS1_11target_archE906ELNS1_3gpuE6ELNS1_3repE0EEENS1_47radix_sort_onesweep_sort_config_static_selectorELNS0_4arch9wavefront6targetE1EEEvSK_.num_vgpr, 0
	.set _ZN7rocprim17ROCPRIM_400000_NS6detail17trampoline_kernelINS0_14default_configENS1_35radix_sort_onesweep_config_selectorIbiEEZZNS1_29radix_sort_onesweep_iterationIS3_Lb0EN6thrust23THRUST_200600_302600_NS6detail15normal_iteratorINS8_10device_ptrIbEEEESD_NSA_INSB_IiEEEESF_jNS0_19identity_decomposerENS1_16block_id_wrapperIjLb1EEEEE10hipError_tT1_PNSt15iterator_traitsISK_E10value_typeET2_T3_PNSL_ISQ_E10value_typeET4_T5_PSV_SW_PNS1_23onesweep_lookback_stateEbbT6_jjT7_P12ihipStream_tbENKUlT_T0_SK_SP_E_clISD_SD_SF_SF_EEDaS13_S14_SK_SP_EUlS13_E_NS1_11comp_targetILNS1_3genE2ELNS1_11target_archE906ELNS1_3gpuE6ELNS1_3repE0EEENS1_47radix_sort_onesweep_sort_config_static_selectorELNS0_4arch9wavefront6targetE1EEEvSK_.num_agpr, 0
	.set _ZN7rocprim17ROCPRIM_400000_NS6detail17trampoline_kernelINS0_14default_configENS1_35radix_sort_onesweep_config_selectorIbiEEZZNS1_29radix_sort_onesweep_iterationIS3_Lb0EN6thrust23THRUST_200600_302600_NS6detail15normal_iteratorINS8_10device_ptrIbEEEESD_NSA_INSB_IiEEEESF_jNS0_19identity_decomposerENS1_16block_id_wrapperIjLb1EEEEE10hipError_tT1_PNSt15iterator_traitsISK_E10value_typeET2_T3_PNSL_ISQ_E10value_typeET4_T5_PSV_SW_PNS1_23onesweep_lookback_stateEbbT6_jjT7_P12ihipStream_tbENKUlT_T0_SK_SP_E_clISD_SD_SF_SF_EEDaS13_S14_SK_SP_EUlS13_E_NS1_11comp_targetILNS1_3genE2ELNS1_11target_archE906ELNS1_3gpuE6ELNS1_3repE0EEENS1_47radix_sort_onesweep_sort_config_static_selectorELNS0_4arch9wavefront6targetE1EEEvSK_.numbered_sgpr, 0
	.set _ZN7rocprim17ROCPRIM_400000_NS6detail17trampoline_kernelINS0_14default_configENS1_35radix_sort_onesweep_config_selectorIbiEEZZNS1_29radix_sort_onesweep_iterationIS3_Lb0EN6thrust23THRUST_200600_302600_NS6detail15normal_iteratorINS8_10device_ptrIbEEEESD_NSA_INSB_IiEEEESF_jNS0_19identity_decomposerENS1_16block_id_wrapperIjLb1EEEEE10hipError_tT1_PNSt15iterator_traitsISK_E10value_typeET2_T3_PNSL_ISQ_E10value_typeET4_T5_PSV_SW_PNS1_23onesweep_lookback_stateEbbT6_jjT7_P12ihipStream_tbENKUlT_T0_SK_SP_E_clISD_SD_SF_SF_EEDaS13_S14_SK_SP_EUlS13_E_NS1_11comp_targetILNS1_3genE2ELNS1_11target_archE906ELNS1_3gpuE6ELNS1_3repE0EEENS1_47radix_sort_onesweep_sort_config_static_selectorELNS0_4arch9wavefront6targetE1EEEvSK_.num_named_barrier, 0
	.set _ZN7rocprim17ROCPRIM_400000_NS6detail17trampoline_kernelINS0_14default_configENS1_35radix_sort_onesweep_config_selectorIbiEEZZNS1_29radix_sort_onesweep_iterationIS3_Lb0EN6thrust23THRUST_200600_302600_NS6detail15normal_iteratorINS8_10device_ptrIbEEEESD_NSA_INSB_IiEEEESF_jNS0_19identity_decomposerENS1_16block_id_wrapperIjLb1EEEEE10hipError_tT1_PNSt15iterator_traitsISK_E10value_typeET2_T3_PNSL_ISQ_E10value_typeET4_T5_PSV_SW_PNS1_23onesweep_lookback_stateEbbT6_jjT7_P12ihipStream_tbENKUlT_T0_SK_SP_E_clISD_SD_SF_SF_EEDaS13_S14_SK_SP_EUlS13_E_NS1_11comp_targetILNS1_3genE2ELNS1_11target_archE906ELNS1_3gpuE6ELNS1_3repE0EEENS1_47radix_sort_onesweep_sort_config_static_selectorELNS0_4arch9wavefront6targetE1EEEvSK_.private_seg_size, 0
	.set _ZN7rocprim17ROCPRIM_400000_NS6detail17trampoline_kernelINS0_14default_configENS1_35radix_sort_onesweep_config_selectorIbiEEZZNS1_29radix_sort_onesweep_iterationIS3_Lb0EN6thrust23THRUST_200600_302600_NS6detail15normal_iteratorINS8_10device_ptrIbEEEESD_NSA_INSB_IiEEEESF_jNS0_19identity_decomposerENS1_16block_id_wrapperIjLb1EEEEE10hipError_tT1_PNSt15iterator_traitsISK_E10value_typeET2_T3_PNSL_ISQ_E10value_typeET4_T5_PSV_SW_PNS1_23onesweep_lookback_stateEbbT6_jjT7_P12ihipStream_tbENKUlT_T0_SK_SP_E_clISD_SD_SF_SF_EEDaS13_S14_SK_SP_EUlS13_E_NS1_11comp_targetILNS1_3genE2ELNS1_11target_archE906ELNS1_3gpuE6ELNS1_3repE0EEENS1_47radix_sort_onesweep_sort_config_static_selectorELNS0_4arch9wavefront6targetE1EEEvSK_.uses_vcc, 0
	.set _ZN7rocprim17ROCPRIM_400000_NS6detail17trampoline_kernelINS0_14default_configENS1_35radix_sort_onesweep_config_selectorIbiEEZZNS1_29radix_sort_onesweep_iterationIS3_Lb0EN6thrust23THRUST_200600_302600_NS6detail15normal_iteratorINS8_10device_ptrIbEEEESD_NSA_INSB_IiEEEESF_jNS0_19identity_decomposerENS1_16block_id_wrapperIjLb1EEEEE10hipError_tT1_PNSt15iterator_traitsISK_E10value_typeET2_T3_PNSL_ISQ_E10value_typeET4_T5_PSV_SW_PNS1_23onesweep_lookback_stateEbbT6_jjT7_P12ihipStream_tbENKUlT_T0_SK_SP_E_clISD_SD_SF_SF_EEDaS13_S14_SK_SP_EUlS13_E_NS1_11comp_targetILNS1_3genE2ELNS1_11target_archE906ELNS1_3gpuE6ELNS1_3repE0EEENS1_47radix_sort_onesweep_sort_config_static_selectorELNS0_4arch9wavefront6targetE1EEEvSK_.uses_flat_scratch, 0
	.set _ZN7rocprim17ROCPRIM_400000_NS6detail17trampoline_kernelINS0_14default_configENS1_35radix_sort_onesweep_config_selectorIbiEEZZNS1_29radix_sort_onesweep_iterationIS3_Lb0EN6thrust23THRUST_200600_302600_NS6detail15normal_iteratorINS8_10device_ptrIbEEEESD_NSA_INSB_IiEEEESF_jNS0_19identity_decomposerENS1_16block_id_wrapperIjLb1EEEEE10hipError_tT1_PNSt15iterator_traitsISK_E10value_typeET2_T3_PNSL_ISQ_E10value_typeET4_T5_PSV_SW_PNS1_23onesweep_lookback_stateEbbT6_jjT7_P12ihipStream_tbENKUlT_T0_SK_SP_E_clISD_SD_SF_SF_EEDaS13_S14_SK_SP_EUlS13_E_NS1_11comp_targetILNS1_3genE2ELNS1_11target_archE906ELNS1_3gpuE6ELNS1_3repE0EEENS1_47radix_sort_onesweep_sort_config_static_selectorELNS0_4arch9wavefront6targetE1EEEvSK_.has_dyn_sized_stack, 0
	.set _ZN7rocprim17ROCPRIM_400000_NS6detail17trampoline_kernelINS0_14default_configENS1_35radix_sort_onesweep_config_selectorIbiEEZZNS1_29radix_sort_onesweep_iterationIS3_Lb0EN6thrust23THRUST_200600_302600_NS6detail15normal_iteratorINS8_10device_ptrIbEEEESD_NSA_INSB_IiEEEESF_jNS0_19identity_decomposerENS1_16block_id_wrapperIjLb1EEEEE10hipError_tT1_PNSt15iterator_traitsISK_E10value_typeET2_T3_PNSL_ISQ_E10value_typeET4_T5_PSV_SW_PNS1_23onesweep_lookback_stateEbbT6_jjT7_P12ihipStream_tbENKUlT_T0_SK_SP_E_clISD_SD_SF_SF_EEDaS13_S14_SK_SP_EUlS13_E_NS1_11comp_targetILNS1_3genE2ELNS1_11target_archE906ELNS1_3gpuE6ELNS1_3repE0EEENS1_47radix_sort_onesweep_sort_config_static_selectorELNS0_4arch9wavefront6targetE1EEEvSK_.has_recursion, 0
	.set _ZN7rocprim17ROCPRIM_400000_NS6detail17trampoline_kernelINS0_14default_configENS1_35radix_sort_onesweep_config_selectorIbiEEZZNS1_29radix_sort_onesweep_iterationIS3_Lb0EN6thrust23THRUST_200600_302600_NS6detail15normal_iteratorINS8_10device_ptrIbEEEESD_NSA_INSB_IiEEEESF_jNS0_19identity_decomposerENS1_16block_id_wrapperIjLb1EEEEE10hipError_tT1_PNSt15iterator_traitsISK_E10value_typeET2_T3_PNSL_ISQ_E10value_typeET4_T5_PSV_SW_PNS1_23onesweep_lookback_stateEbbT6_jjT7_P12ihipStream_tbENKUlT_T0_SK_SP_E_clISD_SD_SF_SF_EEDaS13_S14_SK_SP_EUlS13_E_NS1_11comp_targetILNS1_3genE2ELNS1_11target_archE906ELNS1_3gpuE6ELNS1_3repE0EEENS1_47radix_sort_onesweep_sort_config_static_selectorELNS0_4arch9wavefront6targetE1EEEvSK_.has_indirect_call, 0
	.section	.AMDGPU.csdata,"",@progbits
; Kernel info:
; codeLenInByte = 0
; TotalNumSgprs: 6
; NumVgprs: 0
; NumAgprs: 0
; TotalNumVgprs: 0
; ScratchSize: 0
; MemoryBound: 0
; FloatMode: 240
; IeeeMode: 1
; LDSByteSize: 0 bytes/workgroup (compile time only)
; SGPRBlocks: 0
; VGPRBlocks: 0
; NumSGPRsForWavesPerEU: 6
; NumVGPRsForWavesPerEU: 1
; AccumOffset: 4
; Occupancy: 8
; WaveLimiterHint : 0
; COMPUTE_PGM_RSRC2:SCRATCH_EN: 0
; COMPUTE_PGM_RSRC2:USER_SGPR: 2
; COMPUTE_PGM_RSRC2:TRAP_HANDLER: 0
; COMPUTE_PGM_RSRC2:TGID_X_EN: 1
; COMPUTE_PGM_RSRC2:TGID_Y_EN: 0
; COMPUTE_PGM_RSRC2:TGID_Z_EN: 0
; COMPUTE_PGM_RSRC2:TIDIG_COMP_CNT: 0
; COMPUTE_PGM_RSRC3_GFX90A:ACCUM_OFFSET: 0
; COMPUTE_PGM_RSRC3_GFX90A:TG_SPLIT: 0
	.section	.text._ZN7rocprim17ROCPRIM_400000_NS6detail17trampoline_kernelINS0_14default_configENS1_35radix_sort_onesweep_config_selectorIbiEEZZNS1_29radix_sort_onesweep_iterationIS3_Lb0EN6thrust23THRUST_200600_302600_NS6detail15normal_iteratorINS8_10device_ptrIbEEEESD_NSA_INSB_IiEEEESF_jNS0_19identity_decomposerENS1_16block_id_wrapperIjLb1EEEEE10hipError_tT1_PNSt15iterator_traitsISK_E10value_typeET2_T3_PNSL_ISQ_E10value_typeET4_T5_PSV_SW_PNS1_23onesweep_lookback_stateEbbT6_jjT7_P12ihipStream_tbENKUlT_T0_SK_SP_E_clISD_SD_SF_SF_EEDaS13_S14_SK_SP_EUlS13_E_NS1_11comp_targetILNS1_3genE4ELNS1_11target_archE910ELNS1_3gpuE8ELNS1_3repE0EEENS1_47radix_sort_onesweep_sort_config_static_selectorELNS0_4arch9wavefront6targetE1EEEvSK_,"axG",@progbits,_ZN7rocprim17ROCPRIM_400000_NS6detail17trampoline_kernelINS0_14default_configENS1_35radix_sort_onesweep_config_selectorIbiEEZZNS1_29radix_sort_onesweep_iterationIS3_Lb0EN6thrust23THRUST_200600_302600_NS6detail15normal_iteratorINS8_10device_ptrIbEEEESD_NSA_INSB_IiEEEESF_jNS0_19identity_decomposerENS1_16block_id_wrapperIjLb1EEEEE10hipError_tT1_PNSt15iterator_traitsISK_E10value_typeET2_T3_PNSL_ISQ_E10value_typeET4_T5_PSV_SW_PNS1_23onesweep_lookback_stateEbbT6_jjT7_P12ihipStream_tbENKUlT_T0_SK_SP_E_clISD_SD_SF_SF_EEDaS13_S14_SK_SP_EUlS13_E_NS1_11comp_targetILNS1_3genE4ELNS1_11target_archE910ELNS1_3gpuE8ELNS1_3repE0EEENS1_47radix_sort_onesweep_sort_config_static_selectorELNS0_4arch9wavefront6targetE1EEEvSK_,comdat
	.protected	_ZN7rocprim17ROCPRIM_400000_NS6detail17trampoline_kernelINS0_14default_configENS1_35radix_sort_onesweep_config_selectorIbiEEZZNS1_29radix_sort_onesweep_iterationIS3_Lb0EN6thrust23THRUST_200600_302600_NS6detail15normal_iteratorINS8_10device_ptrIbEEEESD_NSA_INSB_IiEEEESF_jNS0_19identity_decomposerENS1_16block_id_wrapperIjLb1EEEEE10hipError_tT1_PNSt15iterator_traitsISK_E10value_typeET2_T3_PNSL_ISQ_E10value_typeET4_T5_PSV_SW_PNS1_23onesweep_lookback_stateEbbT6_jjT7_P12ihipStream_tbENKUlT_T0_SK_SP_E_clISD_SD_SF_SF_EEDaS13_S14_SK_SP_EUlS13_E_NS1_11comp_targetILNS1_3genE4ELNS1_11target_archE910ELNS1_3gpuE8ELNS1_3repE0EEENS1_47radix_sort_onesweep_sort_config_static_selectorELNS0_4arch9wavefront6targetE1EEEvSK_ ; -- Begin function _ZN7rocprim17ROCPRIM_400000_NS6detail17trampoline_kernelINS0_14default_configENS1_35radix_sort_onesweep_config_selectorIbiEEZZNS1_29radix_sort_onesweep_iterationIS3_Lb0EN6thrust23THRUST_200600_302600_NS6detail15normal_iteratorINS8_10device_ptrIbEEEESD_NSA_INSB_IiEEEESF_jNS0_19identity_decomposerENS1_16block_id_wrapperIjLb1EEEEE10hipError_tT1_PNSt15iterator_traitsISK_E10value_typeET2_T3_PNSL_ISQ_E10value_typeET4_T5_PSV_SW_PNS1_23onesweep_lookback_stateEbbT6_jjT7_P12ihipStream_tbENKUlT_T0_SK_SP_E_clISD_SD_SF_SF_EEDaS13_S14_SK_SP_EUlS13_E_NS1_11comp_targetILNS1_3genE4ELNS1_11target_archE910ELNS1_3gpuE8ELNS1_3repE0EEENS1_47radix_sort_onesweep_sort_config_static_selectorELNS0_4arch9wavefront6targetE1EEEvSK_
	.globl	_ZN7rocprim17ROCPRIM_400000_NS6detail17trampoline_kernelINS0_14default_configENS1_35radix_sort_onesweep_config_selectorIbiEEZZNS1_29radix_sort_onesweep_iterationIS3_Lb0EN6thrust23THRUST_200600_302600_NS6detail15normal_iteratorINS8_10device_ptrIbEEEESD_NSA_INSB_IiEEEESF_jNS0_19identity_decomposerENS1_16block_id_wrapperIjLb1EEEEE10hipError_tT1_PNSt15iterator_traitsISK_E10value_typeET2_T3_PNSL_ISQ_E10value_typeET4_T5_PSV_SW_PNS1_23onesweep_lookback_stateEbbT6_jjT7_P12ihipStream_tbENKUlT_T0_SK_SP_E_clISD_SD_SF_SF_EEDaS13_S14_SK_SP_EUlS13_E_NS1_11comp_targetILNS1_3genE4ELNS1_11target_archE910ELNS1_3gpuE8ELNS1_3repE0EEENS1_47radix_sort_onesweep_sort_config_static_selectorELNS0_4arch9wavefront6targetE1EEEvSK_
	.p2align	8
	.type	_ZN7rocprim17ROCPRIM_400000_NS6detail17trampoline_kernelINS0_14default_configENS1_35radix_sort_onesweep_config_selectorIbiEEZZNS1_29radix_sort_onesweep_iterationIS3_Lb0EN6thrust23THRUST_200600_302600_NS6detail15normal_iteratorINS8_10device_ptrIbEEEESD_NSA_INSB_IiEEEESF_jNS0_19identity_decomposerENS1_16block_id_wrapperIjLb1EEEEE10hipError_tT1_PNSt15iterator_traitsISK_E10value_typeET2_T3_PNSL_ISQ_E10value_typeET4_T5_PSV_SW_PNS1_23onesweep_lookback_stateEbbT6_jjT7_P12ihipStream_tbENKUlT_T0_SK_SP_E_clISD_SD_SF_SF_EEDaS13_S14_SK_SP_EUlS13_E_NS1_11comp_targetILNS1_3genE4ELNS1_11target_archE910ELNS1_3gpuE8ELNS1_3repE0EEENS1_47radix_sort_onesweep_sort_config_static_selectorELNS0_4arch9wavefront6targetE1EEEvSK_,@function
_ZN7rocprim17ROCPRIM_400000_NS6detail17trampoline_kernelINS0_14default_configENS1_35radix_sort_onesweep_config_selectorIbiEEZZNS1_29radix_sort_onesweep_iterationIS3_Lb0EN6thrust23THRUST_200600_302600_NS6detail15normal_iteratorINS8_10device_ptrIbEEEESD_NSA_INSB_IiEEEESF_jNS0_19identity_decomposerENS1_16block_id_wrapperIjLb1EEEEE10hipError_tT1_PNSt15iterator_traitsISK_E10value_typeET2_T3_PNSL_ISQ_E10value_typeET4_T5_PSV_SW_PNS1_23onesweep_lookback_stateEbbT6_jjT7_P12ihipStream_tbENKUlT_T0_SK_SP_E_clISD_SD_SF_SF_EEDaS13_S14_SK_SP_EUlS13_E_NS1_11comp_targetILNS1_3genE4ELNS1_11target_archE910ELNS1_3gpuE8ELNS1_3repE0EEENS1_47radix_sort_onesweep_sort_config_static_selectorELNS0_4arch9wavefront6targetE1EEEvSK_: ; @_ZN7rocprim17ROCPRIM_400000_NS6detail17trampoline_kernelINS0_14default_configENS1_35radix_sort_onesweep_config_selectorIbiEEZZNS1_29radix_sort_onesweep_iterationIS3_Lb0EN6thrust23THRUST_200600_302600_NS6detail15normal_iteratorINS8_10device_ptrIbEEEESD_NSA_INSB_IiEEEESF_jNS0_19identity_decomposerENS1_16block_id_wrapperIjLb1EEEEE10hipError_tT1_PNSt15iterator_traitsISK_E10value_typeET2_T3_PNSL_ISQ_E10value_typeET4_T5_PSV_SW_PNS1_23onesweep_lookback_stateEbbT6_jjT7_P12ihipStream_tbENKUlT_T0_SK_SP_E_clISD_SD_SF_SF_EEDaS13_S14_SK_SP_EUlS13_E_NS1_11comp_targetILNS1_3genE4ELNS1_11target_archE910ELNS1_3gpuE8ELNS1_3repE0EEENS1_47radix_sort_onesweep_sort_config_static_selectorELNS0_4arch9wavefront6targetE1EEEvSK_
; %bb.0:
	.section	.rodata,"a",@progbits
	.p2align	6, 0x0
	.amdhsa_kernel _ZN7rocprim17ROCPRIM_400000_NS6detail17trampoline_kernelINS0_14default_configENS1_35radix_sort_onesweep_config_selectorIbiEEZZNS1_29radix_sort_onesweep_iterationIS3_Lb0EN6thrust23THRUST_200600_302600_NS6detail15normal_iteratorINS8_10device_ptrIbEEEESD_NSA_INSB_IiEEEESF_jNS0_19identity_decomposerENS1_16block_id_wrapperIjLb1EEEEE10hipError_tT1_PNSt15iterator_traitsISK_E10value_typeET2_T3_PNSL_ISQ_E10value_typeET4_T5_PSV_SW_PNS1_23onesweep_lookback_stateEbbT6_jjT7_P12ihipStream_tbENKUlT_T0_SK_SP_E_clISD_SD_SF_SF_EEDaS13_S14_SK_SP_EUlS13_E_NS1_11comp_targetILNS1_3genE4ELNS1_11target_archE910ELNS1_3gpuE8ELNS1_3repE0EEENS1_47radix_sort_onesweep_sort_config_static_selectorELNS0_4arch9wavefront6targetE1EEEvSK_
		.amdhsa_group_segment_fixed_size 0
		.amdhsa_private_segment_fixed_size 0
		.amdhsa_kernarg_size 88
		.amdhsa_user_sgpr_count 2
		.amdhsa_user_sgpr_dispatch_ptr 0
		.amdhsa_user_sgpr_queue_ptr 0
		.amdhsa_user_sgpr_kernarg_segment_ptr 1
		.amdhsa_user_sgpr_dispatch_id 0
		.amdhsa_user_sgpr_kernarg_preload_length 0
		.amdhsa_user_sgpr_kernarg_preload_offset 0
		.amdhsa_user_sgpr_private_segment_size 0
		.amdhsa_uses_dynamic_stack 0
		.amdhsa_enable_private_segment 0
		.amdhsa_system_sgpr_workgroup_id_x 1
		.amdhsa_system_sgpr_workgroup_id_y 0
		.amdhsa_system_sgpr_workgroup_id_z 0
		.amdhsa_system_sgpr_workgroup_info 0
		.amdhsa_system_vgpr_workitem_id 0
		.amdhsa_next_free_vgpr 1
		.amdhsa_next_free_sgpr 0
		.amdhsa_accum_offset 4
		.amdhsa_reserve_vcc 0
		.amdhsa_float_round_mode_32 0
		.amdhsa_float_round_mode_16_64 0
		.amdhsa_float_denorm_mode_32 3
		.amdhsa_float_denorm_mode_16_64 3
		.amdhsa_dx10_clamp 1
		.amdhsa_ieee_mode 1
		.amdhsa_fp16_overflow 0
		.amdhsa_tg_split 0
		.amdhsa_exception_fp_ieee_invalid_op 0
		.amdhsa_exception_fp_denorm_src 0
		.amdhsa_exception_fp_ieee_div_zero 0
		.amdhsa_exception_fp_ieee_overflow 0
		.amdhsa_exception_fp_ieee_underflow 0
		.amdhsa_exception_fp_ieee_inexact 0
		.amdhsa_exception_int_div_zero 0
	.end_amdhsa_kernel
	.section	.text._ZN7rocprim17ROCPRIM_400000_NS6detail17trampoline_kernelINS0_14default_configENS1_35radix_sort_onesweep_config_selectorIbiEEZZNS1_29radix_sort_onesweep_iterationIS3_Lb0EN6thrust23THRUST_200600_302600_NS6detail15normal_iteratorINS8_10device_ptrIbEEEESD_NSA_INSB_IiEEEESF_jNS0_19identity_decomposerENS1_16block_id_wrapperIjLb1EEEEE10hipError_tT1_PNSt15iterator_traitsISK_E10value_typeET2_T3_PNSL_ISQ_E10value_typeET4_T5_PSV_SW_PNS1_23onesweep_lookback_stateEbbT6_jjT7_P12ihipStream_tbENKUlT_T0_SK_SP_E_clISD_SD_SF_SF_EEDaS13_S14_SK_SP_EUlS13_E_NS1_11comp_targetILNS1_3genE4ELNS1_11target_archE910ELNS1_3gpuE8ELNS1_3repE0EEENS1_47radix_sort_onesweep_sort_config_static_selectorELNS0_4arch9wavefront6targetE1EEEvSK_,"axG",@progbits,_ZN7rocprim17ROCPRIM_400000_NS6detail17trampoline_kernelINS0_14default_configENS1_35radix_sort_onesweep_config_selectorIbiEEZZNS1_29radix_sort_onesweep_iterationIS3_Lb0EN6thrust23THRUST_200600_302600_NS6detail15normal_iteratorINS8_10device_ptrIbEEEESD_NSA_INSB_IiEEEESF_jNS0_19identity_decomposerENS1_16block_id_wrapperIjLb1EEEEE10hipError_tT1_PNSt15iterator_traitsISK_E10value_typeET2_T3_PNSL_ISQ_E10value_typeET4_T5_PSV_SW_PNS1_23onesweep_lookback_stateEbbT6_jjT7_P12ihipStream_tbENKUlT_T0_SK_SP_E_clISD_SD_SF_SF_EEDaS13_S14_SK_SP_EUlS13_E_NS1_11comp_targetILNS1_3genE4ELNS1_11target_archE910ELNS1_3gpuE8ELNS1_3repE0EEENS1_47radix_sort_onesweep_sort_config_static_selectorELNS0_4arch9wavefront6targetE1EEEvSK_,comdat
.Lfunc_end2045:
	.size	_ZN7rocprim17ROCPRIM_400000_NS6detail17trampoline_kernelINS0_14default_configENS1_35radix_sort_onesweep_config_selectorIbiEEZZNS1_29radix_sort_onesweep_iterationIS3_Lb0EN6thrust23THRUST_200600_302600_NS6detail15normal_iteratorINS8_10device_ptrIbEEEESD_NSA_INSB_IiEEEESF_jNS0_19identity_decomposerENS1_16block_id_wrapperIjLb1EEEEE10hipError_tT1_PNSt15iterator_traitsISK_E10value_typeET2_T3_PNSL_ISQ_E10value_typeET4_T5_PSV_SW_PNS1_23onesweep_lookback_stateEbbT6_jjT7_P12ihipStream_tbENKUlT_T0_SK_SP_E_clISD_SD_SF_SF_EEDaS13_S14_SK_SP_EUlS13_E_NS1_11comp_targetILNS1_3genE4ELNS1_11target_archE910ELNS1_3gpuE8ELNS1_3repE0EEENS1_47radix_sort_onesweep_sort_config_static_selectorELNS0_4arch9wavefront6targetE1EEEvSK_, .Lfunc_end2045-_ZN7rocprim17ROCPRIM_400000_NS6detail17trampoline_kernelINS0_14default_configENS1_35radix_sort_onesweep_config_selectorIbiEEZZNS1_29radix_sort_onesweep_iterationIS3_Lb0EN6thrust23THRUST_200600_302600_NS6detail15normal_iteratorINS8_10device_ptrIbEEEESD_NSA_INSB_IiEEEESF_jNS0_19identity_decomposerENS1_16block_id_wrapperIjLb1EEEEE10hipError_tT1_PNSt15iterator_traitsISK_E10value_typeET2_T3_PNSL_ISQ_E10value_typeET4_T5_PSV_SW_PNS1_23onesweep_lookback_stateEbbT6_jjT7_P12ihipStream_tbENKUlT_T0_SK_SP_E_clISD_SD_SF_SF_EEDaS13_S14_SK_SP_EUlS13_E_NS1_11comp_targetILNS1_3genE4ELNS1_11target_archE910ELNS1_3gpuE8ELNS1_3repE0EEENS1_47radix_sort_onesweep_sort_config_static_selectorELNS0_4arch9wavefront6targetE1EEEvSK_
                                        ; -- End function
	.set _ZN7rocprim17ROCPRIM_400000_NS6detail17trampoline_kernelINS0_14default_configENS1_35radix_sort_onesweep_config_selectorIbiEEZZNS1_29radix_sort_onesweep_iterationIS3_Lb0EN6thrust23THRUST_200600_302600_NS6detail15normal_iteratorINS8_10device_ptrIbEEEESD_NSA_INSB_IiEEEESF_jNS0_19identity_decomposerENS1_16block_id_wrapperIjLb1EEEEE10hipError_tT1_PNSt15iterator_traitsISK_E10value_typeET2_T3_PNSL_ISQ_E10value_typeET4_T5_PSV_SW_PNS1_23onesweep_lookback_stateEbbT6_jjT7_P12ihipStream_tbENKUlT_T0_SK_SP_E_clISD_SD_SF_SF_EEDaS13_S14_SK_SP_EUlS13_E_NS1_11comp_targetILNS1_3genE4ELNS1_11target_archE910ELNS1_3gpuE8ELNS1_3repE0EEENS1_47radix_sort_onesweep_sort_config_static_selectorELNS0_4arch9wavefront6targetE1EEEvSK_.num_vgpr, 0
	.set _ZN7rocprim17ROCPRIM_400000_NS6detail17trampoline_kernelINS0_14default_configENS1_35radix_sort_onesweep_config_selectorIbiEEZZNS1_29radix_sort_onesweep_iterationIS3_Lb0EN6thrust23THRUST_200600_302600_NS6detail15normal_iteratorINS8_10device_ptrIbEEEESD_NSA_INSB_IiEEEESF_jNS0_19identity_decomposerENS1_16block_id_wrapperIjLb1EEEEE10hipError_tT1_PNSt15iterator_traitsISK_E10value_typeET2_T3_PNSL_ISQ_E10value_typeET4_T5_PSV_SW_PNS1_23onesweep_lookback_stateEbbT6_jjT7_P12ihipStream_tbENKUlT_T0_SK_SP_E_clISD_SD_SF_SF_EEDaS13_S14_SK_SP_EUlS13_E_NS1_11comp_targetILNS1_3genE4ELNS1_11target_archE910ELNS1_3gpuE8ELNS1_3repE0EEENS1_47radix_sort_onesweep_sort_config_static_selectorELNS0_4arch9wavefront6targetE1EEEvSK_.num_agpr, 0
	.set _ZN7rocprim17ROCPRIM_400000_NS6detail17trampoline_kernelINS0_14default_configENS1_35radix_sort_onesweep_config_selectorIbiEEZZNS1_29radix_sort_onesweep_iterationIS3_Lb0EN6thrust23THRUST_200600_302600_NS6detail15normal_iteratorINS8_10device_ptrIbEEEESD_NSA_INSB_IiEEEESF_jNS0_19identity_decomposerENS1_16block_id_wrapperIjLb1EEEEE10hipError_tT1_PNSt15iterator_traitsISK_E10value_typeET2_T3_PNSL_ISQ_E10value_typeET4_T5_PSV_SW_PNS1_23onesweep_lookback_stateEbbT6_jjT7_P12ihipStream_tbENKUlT_T0_SK_SP_E_clISD_SD_SF_SF_EEDaS13_S14_SK_SP_EUlS13_E_NS1_11comp_targetILNS1_3genE4ELNS1_11target_archE910ELNS1_3gpuE8ELNS1_3repE0EEENS1_47radix_sort_onesweep_sort_config_static_selectorELNS0_4arch9wavefront6targetE1EEEvSK_.numbered_sgpr, 0
	.set _ZN7rocprim17ROCPRIM_400000_NS6detail17trampoline_kernelINS0_14default_configENS1_35radix_sort_onesweep_config_selectorIbiEEZZNS1_29radix_sort_onesweep_iterationIS3_Lb0EN6thrust23THRUST_200600_302600_NS6detail15normal_iteratorINS8_10device_ptrIbEEEESD_NSA_INSB_IiEEEESF_jNS0_19identity_decomposerENS1_16block_id_wrapperIjLb1EEEEE10hipError_tT1_PNSt15iterator_traitsISK_E10value_typeET2_T3_PNSL_ISQ_E10value_typeET4_T5_PSV_SW_PNS1_23onesweep_lookback_stateEbbT6_jjT7_P12ihipStream_tbENKUlT_T0_SK_SP_E_clISD_SD_SF_SF_EEDaS13_S14_SK_SP_EUlS13_E_NS1_11comp_targetILNS1_3genE4ELNS1_11target_archE910ELNS1_3gpuE8ELNS1_3repE0EEENS1_47radix_sort_onesweep_sort_config_static_selectorELNS0_4arch9wavefront6targetE1EEEvSK_.num_named_barrier, 0
	.set _ZN7rocprim17ROCPRIM_400000_NS6detail17trampoline_kernelINS0_14default_configENS1_35radix_sort_onesweep_config_selectorIbiEEZZNS1_29radix_sort_onesweep_iterationIS3_Lb0EN6thrust23THRUST_200600_302600_NS6detail15normal_iteratorINS8_10device_ptrIbEEEESD_NSA_INSB_IiEEEESF_jNS0_19identity_decomposerENS1_16block_id_wrapperIjLb1EEEEE10hipError_tT1_PNSt15iterator_traitsISK_E10value_typeET2_T3_PNSL_ISQ_E10value_typeET4_T5_PSV_SW_PNS1_23onesweep_lookback_stateEbbT6_jjT7_P12ihipStream_tbENKUlT_T0_SK_SP_E_clISD_SD_SF_SF_EEDaS13_S14_SK_SP_EUlS13_E_NS1_11comp_targetILNS1_3genE4ELNS1_11target_archE910ELNS1_3gpuE8ELNS1_3repE0EEENS1_47radix_sort_onesweep_sort_config_static_selectorELNS0_4arch9wavefront6targetE1EEEvSK_.private_seg_size, 0
	.set _ZN7rocprim17ROCPRIM_400000_NS6detail17trampoline_kernelINS0_14default_configENS1_35radix_sort_onesweep_config_selectorIbiEEZZNS1_29radix_sort_onesweep_iterationIS3_Lb0EN6thrust23THRUST_200600_302600_NS6detail15normal_iteratorINS8_10device_ptrIbEEEESD_NSA_INSB_IiEEEESF_jNS0_19identity_decomposerENS1_16block_id_wrapperIjLb1EEEEE10hipError_tT1_PNSt15iterator_traitsISK_E10value_typeET2_T3_PNSL_ISQ_E10value_typeET4_T5_PSV_SW_PNS1_23onesweep_lookback_stateEbbT6_jjT7_P12ihipStream_tbENKUlT_T0_SK_SP_E_clISD_SD_SF_SF_EEDaS13_S14_SK_SP_EUlS13_E_NS1_11comp_targetILNS1_3genE4ELNS1_11target_archE910ELNS1_3gpuE8ELNS1_3repE0EEENS1_47radix_sort_onesweep_sort_config_static_selectorELNS0_4arch9wavefront6targetE1EEEvSK_.uses_vcc, 0
	.set _ZN7rocprim17ROCPRIM_400000_NS6detail17trampoline_kernelINS0_14default_configENS1_35radix_sort_onesweep_config_selectorIbiEEZZNS1_29radix_sort_onesweep_iterationIS3_Lb0EN6thrust23THRUST_200600_302600_NS6detail15normal_iteratorINS8_10device_ptrIbEEEESD_NSA_INSB_IiEEEESF_jNS0_19identity_decomposerENS1_16block_id_wrapperIjLb1EEEEE10hipError_tT1_PNSt15iterator_traitsISK_E10value_typeET2_T3_PNSL_ISQ_E10value_typeET4_T5_PSV_SW_PNS1_23onesweep_lookback_stateEbbT6_jjT7_P12ihipStream_tbENKUlT_T0_SK_SP_E_clISD_SD_SF_SF_EEDaS13_S14_SK_SP_EUlS13_E_NS1_11comp_targetILNS1_3genE4ELNS1_11target_archE910ELNS1_3gpuE8ELNS1_3repE0EEENS1_47radix_sort_onesweep_sort_config_static_selectorELNS0_4arch9wavefront6targetE1EEEvSK_.uses_flat_scratch, 0
	.set _ZN7rocprim17ROCPRIM_400000_NS6detail17trampoline_kernelINS0_14default_configENS1_35radix_sort_onesweep_config_selectorIbiEEZZNS1_29radix_sort_onesweep_iterationIS3_Lb0EN6thrust23THRUST_200600_302600_NS6detail15normal_iteratorINS8_10device_ptrIbEEEESD_NSA_INSB_IiEEEESF_jNS0_19identity_decomposerENS1_16block_id_wrapperIjLb1EEEEE10hipError_tT1_PNSt15iterator_traitsISK_E10value_typeET2_T3_PNSL_ISQ_E10value_typeET4_T5_PSV_SW_PNS1_23onesweep_lookback_stateEbbT6_jjT7_P12ihipStream_tbENKUlT_T0_SK_SP_E_clISD_SD_SF_SF_EEDaS13_S14_SK_SP_EUlS13_E_NS1_11comp_targetILNS1_3genE4ELNS1_11target_archE910ELNS1_3gpuE8ELNS1_3repE0EEENS1_47radix_sort_onesweep_sort_config_static_selectorELNS0_4arch9wavefront6targetE1EEEvSK_.has_dyn_sized_stack, 0
	.set _ZN7rocprim17ROCPRIM_400000_NS6detail17trampoline_kernelINS0_14default_configENS1_35radix_sort_onesweep_config_selectorIbiEEZZNS1_29radix_sort_onesweep_iterationIS3_Lb0EN6thrust23THRUST_200600_302600_NS6detail15normal_iteratorINS8_10device_ptrIbEEEESD_NSA_INSB_IiEEEESF_jNS0_19identity_decomposerENS1_16block_id_wrapperIjLb1EEEEE10hipError_tT1_PNSt15iterator_traitsISK_E10value_typeET2_T3_PNSL_ISQ_E10value_typeET4_T5_PSV_SW_PNS1_23onesweep_lookback_stateEbbT6_jjT7_P12ihipStream_tbENKUlT_T0_SK_SP_E_clISD_SD_SF_SF_EEDaS13_S14_SK_SP_EUlS13_E_NS1_11comp_targetILNS1_3genE4ELNS1_11target_archE910ELNS1_3gpuE8ELNS1_3repE0EEENS1_47radix_sort_onesweep_sort_config_static_selectorELNS0_4arch9wavefront6targetE1EEEvSK_.has_recursion, 0
	.set _ZN7rocprim17ROCPRIM_400000_NS6detail17trampoline_kernelINS0_14default_configENS1_35radix_sort_onesweep_config_selectorIbiEEZZNS1_29radix_sort_onesweep_iterationIS3_Lb0EN6thrust23THRUST_200600_302600_NS6detail15normal_iteratorINS8_10device_ptrIbEEEESD_NSA_INSB_IiEEEESF_jNS0_19identity_decomposerENS1_16block_id_wrapperIjLb1EEEEE10hipError_tT1_PNSt15iterator_traitsISK_E10value_typeET2_T3_PNSL_ISQ_E10value_typeET4_T5_PSV_SW_PNS1_23onesweep_lookback_stateEbbT6_jjT7_P12ihipStream_tbENKUlT_T0_SK_SP_E_clISD_SD_SF_SF_EEDaS13_S14_SK_SP_EUlS13_E_NS1_11comp_targetILNS1_3genE4ELNS1_11target_archE910ELNS1_3gpuE8ELNS1_3repE0EEENS1_47radix_sort_onesweep_sort_config_static_selectorELNS0_4arch9wavefront6targetE1EEEvSK_.has_indirect_call, 0
	.section	.AMDGPU.csdata,"",@progbits
; Kernel info:
; codeLenInByte = 0
; TotalNumSgprs: 6
; NumVgprs: 0
; NumAgprs: 0
; TotalNumVgprs: 0
; ScratchSize: 0
; MemoryBound: 0
; FloatMode: 240
; IeeeMode: 1
; LDSByteSize: 0 bytes/workgroup (compile time only)
; SGPRBlocks: 0
; VGPRBlocks: 0
; NumSGPRsForWavesPerEU: 6
; NumVGPRsForWavesPerEU: 1
; AccumOffset: 4
; Occupancy: 8
; WaveLimiterHint : 0
; COMPUTE_PGM_RSRC2:SCRATCH_EN: 0
; COMPUTE_PGM_RSRC2:USER_SGPR: 2
; COMPUTE_PGM_RSRC2:TRAP_HANDLER: 0
; COMPUTE_PGM_RSRC2:TGID_X_EN: 1
; COMPUTE_PGM_RSRC2:TGID_Y_EN: 0
; COMPUTE_PGM_RSRC2:TGID_Z_EN: 0
; COMPUTE_PGM_RSRC2:TIDIG_COMP_CNT: 0
; COMPUTE_PGM_RSRC3_GFX90A:ACCUM_OFFSET: 0
; COMPUTE_PGM_RSRC3_GFX90A:TG_SPLIT: 0
	.section	.text._ZN7rocprim17ROCPRIM_400000_NS6detail17trampoline_kernelINS0_14default_configENS1_35radix_sort_onesweep_config_selectorIbiEEZZNS1_29radix_sort_onesweep_iterationIS3_Lb0EN6thrust23THRUST_200600_302600_NS6detail15normal_iteratorINS8_10device_ptrIbEEEESD_NSA_INSB_IiEEEESF_jNS0_19identity_decomposerENS1_16block_id_wrapperIjLb1EEEEE10hipError_tT1_PNSt15iterator_traitsISK_E10value_typeET2_T3_PNSL_ISQ_E10value_typeET4_T5_PSV_SW_PNS1_23onesweep_lookback_stateEbbT6_jjT7_P12ihipStream_tbENKUlT_T0_SK_SP_E_clISD_SD_SF_SF_EEDaS13_S14_SK_SP_EUlS13_E_NS1_11comp_targetILNS1_3genE3ELNS1_11target_archE908ELNS1_3gpuE7ELNS1_3repE0EEENS1_47radix_sort_onesweep_sort_config_static_selectorELNS0_4arch9wavefront6targetE1EEEvSK_,"axG",@progbits,_ZN7rocprim17ROCPRIM_400000_NS6detail17trampoline_kernelINS0_14default_configENS1_35radix_sort_onesweep_config_selectorIbiEEZZNS1_29radix_sort_onesweep_iterationIS3_Lb0EN6thrust23THRUST_200600_302600_NS6detail15normal_iteratorINS8_10device_ptrIbEEEESD_NSA_INSB_IiEEEESF_jNS0_19identity_decomposerENS1_16block_id_wrapperIjLb1EEEEE10hipError_tT1_PNSt15iterator_traitsISK_E10value_typeET2_T3_PNSL_ISQ_E10value_typeET4_T5_PSV_SW_PNS1_23onesweep_lookback_stateEbbT6_jjT7_P12ihipStream_tbENKUlT_T0_SK_SP_E_clISD_SD_SF_SF_EEDaS13_S14_SK_SP_EUlS13_E_NS1_11comp_targetILNS1_3genE3ELNS1_11target_archE908ELNS1_3gpuE7ELNS1_3repE0EEENS1_47radix_sort_onesweep_sort_config_static_selectorELNS0_4arch9wavefront6targetE1EEEvSK_,comdat
	.protected	_ZN7rocprim17ROCPRIM_400000_NS6detail17trampoline_kernelINS0_14default_configENS1_35radix_sort_onesweep_config_selectorIbiEEZZNS1_29radix_sort_onesweep_iterationIS3_Lb0EN6thrust23THRUST_200600_302600_NS6detail15normal_iteratorINS8_10device_ptrIbEEEESD_NSA_INSB_IiEEEESF_jNS0_19identity_decomposerENS1_16block_id_wrapperIjLb1EEEEE10hipError_tT1_PNSt15iterator_traitsISK_E10value_typeET2_T3_PNSL_ISQ_E10value_typeET4_T5_PSV_SW_PNS1_23onesweep_lookback_stateEbbT6_jjT7_P12ihipStream_tbENKUlT_T0_SK_SP_E_clISD_SD_SF_SF_EEDaS13_S14_SK_SP_EUlS13_E_NS1_11comp_targetILNS1_3genE3ELNS1_11target_archE908ELNS1_3gpuE7ELNS1_3repE0EEENS1_47radix_sort_onesweep_sort_config_static_selectorELNS0_4arch9wavefront6targetE1EEEvSK_ ; -- Begin function _ZN7rocprim17ROCPRIM_400000_NS6detail17trampoline_kernelINS0_14default_configENS1_35radix_sort_onesweep_config_selectorIbiEEZZNS1_29radix_sort_onesweep_iterationIS3_Lb0EN6thrust23THRUST_200600_302600_NS6detail15normal_iteratorINS8_10device_ptrIbEEEESD_NSA_INSB_IiEEEESF_jNS0_19identity_decomposerENS1_16block_id_wrapperIjLb1EEEEE10hipError_tT1_PNSt15iterator_traitsISK_E10value_typeET2_T3_PNSL_ISQ_E10value_typeET4_T5_PSV_SW_PNS1_23onesweep_lookback_stateEbbT6_jjT7_P12ihipStream_tbENKUlT_T0_SK_SP_E_clISD_SD_SF_SF_EEDaS13_S14_SK_SP_EUlS13_E_NS1_11comp_targetILNS1_3genE3ELNS1_11target_archE908ELNS1_3gpuE7ELNS1_3repE0EEENS1_47radix_sort_onesweep_sort_config_static_selectorELNS0_4arch9wavefront6targetE1EEEvSK_
	.globl	_ZN7rocprim17ROCPRIM_400000_NS6detail17trampoline_kernelINS0_14default_configENS1_35radix_sort_onesweep_config_selectorIbiEEZZNS1_29radix_sort_onesweep_iterationIS3_Lb0EN6thrust23THRUST_200600_302600_NS6detail15normal_iteratorINS8_10device_ptrIbEEEESD_NSA_INSB_IiEEEESF_jNS0_19identity_decomposerENS1_16block_id_wrapperIjLb1EEEEE10hipError_tT1_PNSt15iterator_traitsISK_E10value_typeET2_T3_PNSL_ISQ_E10value_typeET4_T5_PSV_SW_PNS1_23onesweep_lookback_stateEbbT6_jjT7_P12ihipStream_tbENKUlT_T0_SK_SP_E_clISD_SD_SF_SF_EEDaS13_S14_SK_SP_EUlS13_E_NS1_11comp_targetILNS1_3genE3ELNS1_11target_archE908ELNS1_3gpuE7ELNS1_3repE0EEENS1_47radix_sort_onesweep_sort_config_static_selectorELNS0_4arch9wavefront6targetE1EEEvSK_
	.p2align	8
	.type	_ZN7rocprim17ROCPRIM_400000_NS6detail17trampoline_kernelINS0_14default_configENS1_35radix_sort_onesweep_config_selectorIbiEEZZNS1_29radix_sort_onesweep_iterationIS3_Lb0EN6thrust23THRUST_200600_302600_NS6detail15normal_iteratorINS8_10device_ptrIbEEEESD_NSA_INSB_IiEEEESF_jNS0_19identity_decomposerENS1_16block_id_wrapperIjLb1EEEEE10hipError_tT1_PNSt15iterator_traitsISK_E10value_typeET2_T3_PNSL_ISQ_E10value_typeET4_T5_PSV_SW_PNS1_23onesweep_lookback_stateEbbT6_jjT7_P12ihipStream_tbENKUlT_T0_SK_SP_E_clISD_SD_SF_SF_EEDaS13_S14_SK_SP_EUlS13_E_NS1_11comp_targetILNS1_3genE3ELNS1_11target_archE908ELNS1_3gpuE7ELNS1_3repE0EEENS1_47radix_sort_onesweep_sort_config_static_selectorELNS0_4arch9wavefront6targetE1EEEvSK_,@function
_ZN7rocprim17ROCPRIM_400000_NS6detail17trampoline_kernelINS0_14default_configENS1_35radix_sort_onesweep_config_selectorIbiEEZZNS1_29radix_sort_onesweep_iterationIS3_Lb0EN6thrust23THRUST_200600_302600_NS6detail15normal_iteratorINS8_10device_ptrIbEEEESD_NSA_INSB_IiEEEESF_jNS0_19identity_decomposerENS1_16block_id_wrapperIjLb1EEEEE10hipError_tT1_PNSt15iterator_traitsISK_E10value_typeET2_T3_PNSL_ISQ_E10value_typeET4_T5_PSV_SW_PNS1_23onesweep_lookback_stateEbbT6_jjT7_P12ihipStream_tbENKUlT_T0_SK_SP_E_clISD_SD_SF_SF_EEDaS13_S14_SK_SP_EUlS13_E_NS1_11comp_targetILNS1_3genE3ELNS1_11target_archE908ELNS1_3gpuE7ELNS1_3repE0EEENS1_47radix_sort_onesweep_sort_config_static_selectorELNS0_4arch9wavefront6targetE1EEEvSK_: ; @_ZN7rocprim17ROCPRIM_400000_NS6detail17trampoline_kernelINS0_14default_configENS1_35radix_sort_onesweep_config_selectorIbiEEZZNS1_29radix_sort_onesweep_iterationIS3_Lb0EN6thrust23THRUST_200600_302600_NS6detail15normal_iteratorINS8_10device_ptrIbEEEESD_NSA_INSB_IiEEEESF_jNS0_19identity_decomposerENS1_16block_id_wrapperIjLb1EEEEE10hipError_tT1_PNSt15iterator_traitsISK_E10value_typeET2_T3_PNSL_ISQ_E10value_typeET4_T5_PSV_SW_PNS1_23onesweep_lookback_stateEbbT6_jjT7_P12ihipStream_tbENKUlT_T0_SK_SP_E_clISD_SD_SF_SF_EEDaS13_S14_SK_SP_EUlS13_E_NS1_11comp_targetILNS1_3genE3ELNS1_11target_archE908ELNS1_3gpuE7ELNS1_3repE0EEENS1_47radix_sort_onesweep_sort_config_static_selectorELNS0_4arch9wavefront6targetE1EEEvSK_
; %bb.0:
	.section	.rodata,"a",@progbits
	.p2align	6, 0x0
	.amdhsa_kernel _ZN7rocprim17ROCPRIM_400000_NS6detail17trampoline_kernelINS0_14default_configENS1_35radix_sort_onesweep_config_selectorIbiEEZZNS1_29radix_sort_onesweep_iterationIS3_Lb0EN6thrust23THRUST_200600_302600_NS6detail15normal_iteratorINS8_10device_ptrIbEEEESD_NSA_INSB_IiEEEESF_jNS0_19identity_decomposerENS1_16block_id_wrapperIjLb1EEEEE10hipError_tT1_PNSt15iterator_traitsISK_E10value_typeET2_T3_PNSL_ISQ_E10value_typeET4_T5_PSV_SW_PNS1_23onesweep_lookback_stateEbbT6_jjT7_P12ihipStream_tbENKUlT_T0_SK_SP_E_clISD_SD_SF_SF_EEDaS13_S14_SK_SP_EUlS13_E_NS1_11comp_targetILNS1_3genE3ELNS1_11target_archE908ELNS1_3gpuE7ELNS1_3repE0EEENS1_47radix_sort_onesweep_sort_config_static_selectorELNS0_4arch9wavefront6targetE1EEEvSK_
		.amdhsa_group_segment_fixed_size 0
		.amdhsa_private_segment_fixed_size 0
		.amdhsa_kernarg_size 88
		.amdhsa_user_sgpr_count 2
		.amdhsa_user_sgpr_dispatch_ptr 0
		.amdhsa_user_sgpr_queue_ptr 0
		.amdhsa_user_sgpr_kernarg_segment_ptr 1
		.amdhsa_user_sgpr_dispatch_id 0
		.amdhsa_user_sgpr_kernarg_preload_length 0
		.amdhsa_user_sgpr_kernarg_preload_offset 0
		.amdhsa_user_sgpr_private_segment_size 0
		.amdhsa_uses_dynamic_stack 0
		.amdhsa_enable_private_segment 0
		.amdhsa_system_sgpr_workgroup_id_x 1
		.amdhsa_system_sgpr_workgroup_id_y 0
		.amdhsa_system_sgpr_workgroup_id_z 0
		.amdhsa_system_sgpr_workgroup_info 0
		.amdhsa_system_vgpr_workitem_id 0
		.amdhsa_next_free_vgpr 1
		.amdhsa_next_free_sgpr 0
		.amdhsa_accum_offset 4
		.amdhsa_reserve_vcc 0
		.amdhsa_float_round_mode_32 0
		.amdhsa_float_round_mode_16_64 0
		.amdhsa_float_denorm_mode_32 3
		.amdhsa_float_denorm_mode_16_64 3
		.amdhsa_dx10_clamp 1
		.amdhsa_ieee_mode 1
		.amdhsa_fp16_overflow 0
		.amdhsa_tg_split 0
		.amdhsa_exception_fp_ieee_invalid_op 0
		.amdhsa_exception_fp_denorm_src 0
		.amdhsa_exception_fp_ieee_div_zero 0
		.amdhsa_exception_fp_ieee_overflow 0
		.amdhsa_exception_fp_ieee_underflow 0
		.amdhsa_exception_fp_ieee_inexact 0
		.amdhsa_exception_int_div_zero 0
	.end_amdhsa_kernel
	.section	.text._ZN7rocprim17ROCPRIM_400000_NS6detail17trampoline_kernelINS0_14default_configENS1_35radix_sort_onesweep_config_selectorIbiEEZZNS1_29radix_sort_onesweep_iterationIS3_Lb0EN6thrust23THRUST_200600_302600_NS6detail15normal_iteratorINS8_10device_ptrIbEEEESD_NSA_INSB_IiEEEESF_jNS0_19identity_decomposerENS1_16block_id_wrapperIjLb1EEEEE10hipError_tT1_PNSt15iterator_traitsISK_E10value_typeET2_T3_PNSL_ISQ_E10value_typeET4_T5_PSV_SW_PNS1_23onesweep_lookback_stateEbbT6_jjT7_P12ihipStream_tbENKUlT_T0_SK_SP_E_clISD_SD_SF_SF_EEDaS13_S14_SK_SP_EUlS13_E_NS1_11comp_targetILNS1_3genE3ELNS1_11target_archE908ELNS1_3gpuE7ELNS1_3repE0EEENS1_47radix_sort_onesweep_sort_config_static_selectorELNS0_4arch9wavefront6targetE1EEEvSK_,"axG",@progbits,_ZN7rocprim17ROCPRIM_400000_NS6detail17trampoline_kernelINS0_14default_configENS1_35radix_sort_onesweep_config_selectorIbiEEZZNS1_29radix_sort_onesweep_iterationIS3_Lb0EN6thrust23THRUST_200600_302600_NS6detail15normal_iteratorINS8_10device_ptrIbEEEESD_NSA_INSB_IiEEEESF_jNS0_19identity_decomposerENS1_16block_id_wrapperIjLb1EEEEE10hipError_tT1_PNSt15iterator_traitsISK_E10value_typeET2_T3_PNSL_ISQ_E10value_typeET4_T5_PSV_SW_PNS1_23onesweep_lookback_stateEbbT6_jjT7_P12ihipStream_tbENKUlT_T0_SK_SP_E_clISD_SD_SF_SF_EEDaS13_S14_SK_SP_EUlS13_E_NS1_11comp_targetILNS1_3genE3ELNS1_11target_archE908ELNS1_3gpuE7ELNS1_3repE0EEENS1_47radix_sort_onesweep_sort_config_static_selectorELNS0_4arch9wavefront6targetE1EEEvSK_,comdat
.Lfunc_end2046:
	.size	_ZN7rocprim17ROCPRIM_400000_NS6detail17trampoline_kernelINS0_14default_configENS1_35radix_sort_onesweep_config_selectorIbiEEZZNS1_29radix_sort_onesweep_iterationIS3_Lb0EN6thrust23THRUST_200600_302600_NS6detail15normal_iteratorINS8_10device_ptrIbEEEESD_NSA_INSB_IiEEEESF_jNS0_19identity_decomposerENS1_16block_id_wrapperIjLb1EEEEE10hipError_tT1_PNSt15iterator_traitsISK_E10value_typeET2_T3_PNSL_ISQ_E10value_typeET4_T5_PSV_SW_PNS1_23onesweep_lookback_stateEbbT6_jjT7_P12ihipStream_tbENKUlT_T0_SK_SP_E_clISD_SD_SF_SF_EEDaS13_S14_SK_SP_EUlS13_E_NS1_11comp_targetILNS1_3genE3ELNS1_11target_archE908ELNS1_3gpuE7ELNS1_3repE0EEENS1_47radix_sort_onesweep_sort_config_static_selectorELNS0_4arch9wavefront6targetE1EEEvSK_, .Lfunc_end2046-_ZN7rocprim17ROCPRIM_400000_NS6detail17trampoline_kernelINS0_14default_configENS1_35radix_sort_onesweep_config_selectorIbiEEZZNS1_29radix_sort_onesweep_iterationIS3_Lb0EN6thrust23THRUST_200600_302600_NS6detail15normal_iteratorINS8_10device_ptrIbEEEESD_NSA_INSB_IiEEEESF_jNS0_19identity_decomposerENS1_16block_id_wrapperIjLb1EEEEE10hipError_tT1_PNSt15iterator_traitsISK_E10value_typeET2_T3_PNSL_ISQ_E10value_typeET4_T5_PSV_SW_PNS1_23onesweep_lookback_stateEbbT6_jjT7_P12ihipStream_tbENKUlT_T0_SK_SP_E_clISD_SD_SF_SF_EEDaS13_S14_SK_SP_EUlS13_E_NS1_11comp_targetILNS1_3genE3ELNS1_11target_archE908ELNS1_3gpuE7ELNS1_3repE0EEENS1_47radix_sort_onesweep_sort_config_static_selectorELNS0_4arch9wavefront6targetE1EEEvSK_
                                        ; -- End function
	.set _ZN7rocprim17ROCPRIM_400000_NS6detail17trampoline_kernelINS0_14default_configENS1_35radix_sort_onesweep_config_selectorIbiEEZZNS1_29radix_sort_onesweep_iterationIS3_Lb0EN6thrust23THRUST_200600_302600_NS6detail15normal_iteratorINS8_10device_ptrIbEEEESD_NSA_INSB_IiEEEESF_jNS0_19identity_decomposerENS1_16block_id_wrapperIjLb1EEEEE10hipError_tT1_PNSt15iterator_traitsISK_E10value_typeET2_T3_PNSL_ISQ_E10value_typeET4_T5_PSV_SW_PNS1_23onesweep_lookback_stateEbbT6_jjT7_P12ihipStream_tbENKUlT_T0_SK_SP_E_clISD_SD_SF_SF_EEDaS13_S14_SK_SP_EUlS13_E_NS1_11comp_targetILNS1_3genE3ELNS1_11target_archE908ELNS1_3gpuE7ELNS1_3repE0EEENS1_47radix_sort_onesweep_sort_config_static_selectorELNS0_4arch9wavefront6targetE1EEEvSK_.num_vgpr, 0
	.set _ZN7rocprim17ROCPRIM_400000_NS6detail17trampoline_kernelINS0_14default_configENS1_35radix_sort_onesweep_config_selectorIbiEEZZNS1_29radix_sort_onesweep_iterationIS3_Lb0EN6thrust23THRUST_200600_302600_NS6detail15normal_iteratorINS8_10device_ptrIbEEEESD_NSA_INSB_IiEEEESF_jNS0_19identity_decomposerENS1_16block_id_wrapperIjLb1EEEEE10hipError_tT1_PNSt15iterator_traitsISK_E10value_typeET2_T3_PNSL_ISQ_E10value_typeET4_T5_PSV_SW_PNS1_23onesweep_lookback_stateEbbT6_jjT7_P12ihipStream_tbENKUlT_T0_SK_SP_E_clISD_SD_SF_SF_EEDaS13_S14_SK_SP_EUlS13_E_NS1_11comp_targetILNS1_3genE3ELNS1_11target_archE908ELNS1_3gpuE7ELNS1_3repE0EEENS1_47radix_sort_onesweep_sort_config_static_selectorELNS0_4arch9wavefront6targetE1EEEvSK_.num_agpr, 0
	.set _ZN7rocprim17ROCPRIM_400000_NS6detail17trampoline_kernelINS0_14default_configENS1_35radix_sort_onesweep_config_selectorIbiEEZZNS1_29radix_sort_onesweep_iterationIS3_Lb0EN6thrust23THRUST_200600_302600_NS6detail15normal_iteratorINS8_10device_ptrIbEEEESD_NSA_INSB_IiEEEESF_jNS0_19identity_decomposerENS1_16block_id_wrapperIjLb1EEEEE10hipError_tT1_PNSt15iterator_traitsISK_E10value_typeET2_T3_PNSL_ISQ_E10value_typeET4_T5_PSV_SW_PNS1_23onesweep_lookback_stateEbbT6_jjT7_P12ihipStream_tbENKUlT_T0_SK_SP_E_clISD_SD_SF_SF_EEDaS13_S14_SK_SP_EUlS13_E_NS1_11comp_targetILNS1_3genE3ELNS1_11target_archE908ELNS1_3gpuE7ELNS1_3repE0EEENS1_47radix_sort_onesweep_sort_config_static_selectorELNS0_4arch9wavefront6targetE1EEEvSK_.numbered_sgpr, 0
	.set _ZN7rocprim17ROCPRIM_400000_NS6detail17trampoline_kernelINS0_14default_configENS1_35radix_sort_onesweep_config_selectorIbiEEZZNS1_29radix_sort_onesweep_iterationIS3_Lb0EN6thrust23THRUST_200600_302600_NS6detail15normal_iteratorINS8_10device_ptrIbEEEESD_NSA_INSB_IiEEEESF_jNS0_19identity_decomposerENS1_16block_id_wrapperIjLb1EEEEE10hipError_tT1_PNSt15iterator_traitsISK_E10value_typeET2_T3_PNSL_ISQ_E10value_typeET4_T5_PSV_SW_PNS1_23onesweep_lookback_stateEbbT6_jjT7_P12ihipStream_tbENKUlT_T0_SK_SP_E_clISD_SD_SF_SF_EEDaS13_S14_SK_SP_EUlS13_E_NS1_11comp_targetILNS1_3genE3ELNS1_11target_archE908ELNS1_3gpuE7ELNS1_3repE0EEENS1_47radix_sort_onesweep_sort_config_static_selectorELNS0_4arch9wavefront6targetE1EEEvSK_.num_named_barrier, 0
	.set _ZN7rocprim17ROCPRIM_400000_NS6detail17trampoline_kernelINS0_14default_configENS1_35radix_sort_onesweep_config_selectorIbiEEZZNS1_29radix_sort_onesweep_iterationIS3_Lb0EN6thrust23THRUST_200600_302600_NS6detail15normal_iteratorINS8_10device_ptrIbEEEESD_NSA_INSB_IiEEEESF_jNS0_19identity_decomposerENS1_16block_id_wrapperIjLb1EEEEE10hipError_tT1_PNSt15iterator_traitsISK_E10value_typeET2_T3_PNSL_ISQ_E10value_typeET4_T5_PSV_SW_PNS1_23onesweep_lookback_stateEbbT6_jjT7_P12ihipStream_tbENKUlT_T0_SK_SP_E_clISD_SD_SF_SF_EEDaS13_S14_SK_SP_EUlS13_E_NS1_11comp_targetILNS1_3genE3ELNS1_11target_archE908ELNS1_3gpuE7ELNS1_3repE0EEENS1_47radix_sort_onesweep_sort_config_static_selectorELNS0_4arch9wavefront6targetE1EEEvSK_.private_seg_size, 0
	.set _ZN7rocprim17ROCPRIM_400000_NS6detail17trampoline_kernelINS0_14default_configENS1_35radix_sort_onesweep_config_selectorIbiEEZZNS1_29radix_sort_onesweep_iterationIS3_Lb0EN6thrust23THRUST_200600_302600_NS6detail15normal_iteratorINS8_10device_ptrIbEEEESD_NSA_INSB_IiEEEESF_jNS0_19identity_decomposerENS1_16block_id_wrapperIjLb1EEEEE10hipError_tT1_PNSt15iterator_traitsISK_E10value_typeET2_T3_PNSL_ISQ_E10value_typeET4_T5_PSV_SW_PNS1_23onesweep_lookback_stateEbbT6_jjT7_P12ihipStream_tbENKUlT_T0_SK_SP_E_clISD_SD_SF_SF_EEDaS13_S14_SK_SP_EUlS13_E_NS1_11comp_targetILNS1_3genE3ELNS1_11target_archE908ELNS1_3gpuE7ELNS1_3repE0EEENS1_47radix_sort_onesweep_sort_config_static_selectorELNS0_4arch9wavefront6targetE1EEEvSK_.uses_vcc, 0
	.set _ZN7rocprim17ROCPRIM_400000_NS6detail17trampoline_kernelINS0_14default_configENS1_35radix_sort_onesweep_config_selectorIbiEEZZNS1_29radix_sort_onesweep_iterationIS3_Lb0EN6thrust23THRUST_200600_302600_NS6detail15normal_iteratorINS8_10device_ptrIbEEEESD_NSA_INSB_IiEEEESF_jNS0_19identity_decomposerENS1_16block_id_wrapperIjLb1EEEEE10hipError_tT1_PNSt15iterator_traitsISK_E10value_typeET2_T3_PNSL_ISQ_E10value_typeET4_T5_PSV_SW_PNS1_23onesweep_lookback_stateEbbT6_jjT7_P12ihipStream_tbENKUlT_T0_SK_SP_E_clISD_SD_SF_SF_EEDaS13_S14_SK_SP_EUlS13_E_NS1_11comp_targetILNS1_3genE3ELNS1_11target_archE908ELNS1_3gpuE7ELNS1_3repE0EEENS1_47radix_sort_onesweep_sort_config_static_selectorELNS0_4arch9wavefront6targetE1EEEvSK_.uses_flat_scratch, 0
	.set _ZN7rocprim17ROCPRIM_400000_NS6detail17trampoline_kernelINS0_14default_configENS1_35radix_sort_onesweep_config_selectorIbiEEZZNS1_29radix_sort_onesweep_iterationIS3_Lb0EN6thrust23THRUST_200600_302600_NS6detail15normal_iteratorINS8_10device_ptrIbEEEESD_NSA_INSB_IiEEEESF_jNS0_19identity_decomposerENS1_16block_id_wrapperIjLb1EEEEE10hipError_tT1_PNSt15iterator_traitsISK_E10value_typeET2_T3_PNSL_ISQ_E10value_typeET4_T5_PSV_SW_PNS1_23onesweep_lookback_stateEbbT6_jjT7_P12ihipStream_tbENKUlT_T0_SK_SP_E_clISD_SD_SF_SF_EEDaS13_S14_SK_SP_EUlS13_E_NS1_11comp_targetILNS1_3genE3ELNS1_11target_archE908ELNS1_3gpuE7ELNS1_3repE0EEENS1_47radix_sort_onesweep_sort_config_static_selectorELNS0_4arch9wavefront6targetE1EEEvSK_.has_dyn_sized_stack, 0
	.set _ZN7rocprim17ROCPRIM_400000_NS6detail17trampoline_kernelINS0_14default_configENS1_35radix_sort_onesweep_config_selectorIbiEEZZNS1_29radix_sort_onesweep_iterationIS3_Lb0EN6thrust23THRUST_200600_302600_NS6detail15normal_iteratorINS8_10device_ptrIbEEEESD_NSA_INSB_IiEEEESF_jNS0_19identity_decomposerENS1_16block_id_wrapperIjLb1EEEEE10hipError_tT1_PNSt15iterator_traitsISK_E10value_typeET2_T3_PNSL_ISQ_E10value_typeET4_T5_PSV_SW_PNS1_23onesweep_lookback_stateEbbT6_jjT7_P12ihipStream_tbENKUlT_T0_SK_SP_E_clISD_SD_SF_SF_EEDaS13_S14_SK_SP_EUlS13_E_NS1_11comp_targetILNS1_3genE3ELNS1_11target_archE908ELNS1_3gpuE7ELNS1_3repE0EEENS1_47radix_sort_onesweep_sort_config_static_selectorELNS0_4arch9wavefront6targetE1EEEvSK_.has_recursion, 0
	.set _ZN7rocprim17ROCPRIM_400000_NS6detail17trampoline_kernelINS0_14default_configENS1_35radix_sort_onesweep_config_selectorIbiEEZZNS1_29radix_sort_onesweep_iterationIS3_Lb0EN6thrust23THRUST_200600_302600_NS6detail15normal_iteratorINS8_10device_ptrIbEEEESD_NSA_INSB_IiEEEESF_jNS0_19identity_decomposerENS1_16block_id_wrapperIjLb1EEEEE10hipError_tT1_PNSt15iterator_traitsISK_E10value_typeET2_T3_PNSL_ISQ_E10value_typeET4_T5_PSV_SW_PNS1_23onesweep_lookback_stateEbbT6_jjT7_P12ihipStream_tbENKUlT_T0_SK_SP_E_clISD_SD_SF_SF_EEDaS13_S14_SK_SP_EUlS13_E_NS1_11comp_targetILNS1_3genE3ELNS1_11target_archE908ELNS1_3gpuE7ELNS1_3repE0EEENS1_47radix_sort_onesweep_sort_config_static_selectorELNS0_4arch9wavefront6targetE1EEEvSK_.has_indirect_call, 0
	.section	.AMDGPU.csdata,"",@progbits
; Kernel info:
; codeLenInByte = 0
; TotalNumSgprs: 6
; NumVgprs: 0
; NumAgprs: 0
; TotalNumVgprs: 0
; ScratchSize: 0
; MemoryBound: 0
; FloatMode: 240
; IeeeMode: 1
; LDSByteSize: 0 bytes/workgroup (compile time only)
; SGPRBlocks: 0
; VGPRBlocks: 0
; NumSGPRsForWavesPerEU: 6
; NumVGPRsForWavesPerEU: 1
; AccumOffset: 4
; Occupancy: 8
; WaveLimiterHint : 0
; COMPUTE_PGM_RSRC2:SCRATCH_EN: 0
; COMPUTE_PGM_RSRC2:USER_SGPR: 2
; COMPUTE_PGM_RSRC2:TRAP_HANDLER: 0
; COMPUTE_PGM_RSRC2:TGID_X_EN: 1
; COMPUTE_PGM_RSRC2:TGID_Y_EN: 0
; COMPUTE_PGM_RSRC2:TGID_Z_EN: 0
; COMPUTE_PGM_RSRC2:TIDIG_COMP_CNT: 0
; COMPUTE_PGM_RSRC3_GFX90A:ACCUM_OFFSET: 0
; COMPUTE_PGM_RSRC3_GFX90A:TG_SPLIT: 0
	.section	.text._ZN7rocprim17ROCPRIM_400000_NS6detail17trampoline_kernelINS0_14default_configENS1_35radix_sort_onesweep_config_selectorIbiEEZZNS1_29radix_sort_onesweep_iterationIS3_Lb0EN6thrust23THRUST_200600_302600_NS6detail15normal_iteratorINS8_10device_ptrIbEEEESD_NSA_INSB_IiEEEESF_jNS0_19identity_decomposerENS1_16block_id_wrapperIjLb1EEEEE10hipError_tT1_PNSt15iterator_traitsISK_E10value_typeET2_T3_PNSL_ISQ_E10value_typeET4_T5_PSV_SW_PNS1_23onesweep_lookback_stateEbbT6_jjT7_P12ihipStream_tbENKUlT_T0_SK_SP_E_clISD_SD_SF_SF_EEDaS13_S14_SK_SP_EUlS13_E_NS1_11comp_targetILNS1_3genE10ELNS1_11target_archE1201ELNS1_3gpuE5ELNS1_3repE0EEENS1_47radix_sort_onesweep_sort_config_static_selectorELNS0_4arch9wavefront6targetE1EEEvSK_,"axG",@progbits,_ZN7rocprim17ROCPRIM_400000_NS6detail17trampoline_kernelINS0_14default_configENS1_35radix_sort_onesweep_config_selectorIbiEEZZNS1_29radix_sort_onesweep_iterationIS3_Lb0EN6thrust23THRUST_200600_302600_NS6detail15normal_iteratorINS8_10device_ptrIbEEEESD_NSA_INSB_IiEEEESF_jNS0_19identity_decomposerENS1_16block_id_wrapperIjLb1EEEEE10hipError_tT1_PNSt15iterator_traitsISK_E10value_typeET2_T3_PNSL_ISQ_E10value_typeET4_T5_PSV_SW_PNS1_23onesweep_lookback_stateEbbT6_jjT7_P12ihipStream_tbENKUlT_T0_SK_SP_E_clISD_SD_SF_SF_EEDaS13_S14_SK_SP_EUlS13_E_NS1_11comp_targetILNS1_3genE10ELNS1_11target_archE1201ELNS1_3gpuE5ELNS1_3repE0EEENS1_47radix_sort_onesweep_sort_config_static_selectorELNS0_4arch9wavefront6targetE1EEEvSK_,comdat
	.protected	_ZN7rocprim17ROCPRIM_400000_NS6detail17trampoline_kernelINS0_14default_configENS1_35radix_sort_onesweep_config_selectorIbiEEZZNS1_29radix_sort_onesweep_iterationIS3_Lb0EN6thrust23THRUST_200600_302600_NS6detail15normal_iteratorINS8_10device_ptrIbEEEESD_NSA_INSB_IiEEEESF_jNS0_19identity_decomposerENS1_16block_id_wrapperIjLb1EEEEE10hipError_tT1_PNSt15iterator_traitsISK_E10value_typeET2_T3_PNSL_ISQ_E10value_typeET4_T5_PSV_SW_PNS1_23onesweep_lookback_stateEbbT6_jjT7_P12ihipStream_tbENKUlT_T0_SK_SP_E_clISD_SD_SF_SF_EEDaS13_S14_SK_SP_EUlS13_E_NS1_11comp_targetILNS1_3genE10ELNS1_11target_archE1201ELNS1_3gpuE5ELNS1_3repE0EEENS1_47radix_sort_onesweep_sort_config_static_selectorELNS0_4arch9wavefront6targetE1EEEvSK_ ; -- Begin function _ZN7rocprim17ROCPRIM_400000_NS6detail17trampoline_kernelINS0_14default_configENS1_35radix_sort_onesweep_config_selectorIbiEEZZNS1_29radix_sort_onesweep_iterationIS3_Lb0EN6thrust23THRUST_200600_302600_NS6detail15normal_iteratorINS8_10device_ptrIbEEEESD_NSA_INSB_IiEEEESF_jNS0_19identity_decomposerENS1_16block_id_wrapperIjLb1EEEEE10hipError_tT1_PNSt15iterator_traitsISK_E10value_typeET2_T3_PNSL_ISQ_E10value_typeET4_T5_PSV_SW_PNS1_23onesweep_lookback_stateEbbT6_jjT7_P12ihipStream_tbENKUlT_T0_SK_SP_E_clISD_SD_SF_SF_EEDaS13_S14_SK_SP_EUlS13_E_NS1_11comp_targetILNS1_3genE10ELNS1_11target_archE1201ELNS1_3gpuE5ELNS1_3repE0EEENS1_47radix_sort_onesweep_sort_config_static_selectorELNS0_4arch9wavefront6targetE1EEEvSK_
	.globl	_ZN7rocprim17ROCPRIM_400000_NS6detail17trampoline_kernelINS0_14default_configENS1_35radix_sort_onesweep_config_selectorIbiEEZZNS1_29radix_sort_onesweep_iterationIS3_Lb0EN6thrust23THRUST_200600_302600_NS6detail15normal_iteratorINS8_10device_ptrIbEEEESD_NSA_INSB_IiEEEESF_jNS0_19identity_decomposerENS1_16block_id_wrapperIjLb1EEEEE10hipError_tT1_PNSt15iterator_traitsISK_E10value_typeET2_T3_PNSL_ISQ_E10value_typeET4_T5_PSV_SW_PNS1_23onesweep_lookback_stateEbbT6_jjT7_P12ihipStream_tbENKUlT_T0_SK_SP_E_clISD_SD_SF_SF_EEDaS13_S14_SK_SP_EUlS13_E_NS1_11comp_targetILNS1_3genE10ELNS1_11target_archE1201ELNS1_3gpuE5ELNS1_3repE0EEENS1_47radix_sort_onesweep_sort_config_static_selectorELNS0_4arch9wavefront6targetE1EEEvSK_
	.p2align	8
	.type	_ZN7rocprim17ROCPRIM_400000_NS6detail17trampoline_kernelINS0_14default_configENS1_35radix_sort_onesweep_config_selectorIbiEEZZNS1_29radix_sort_onesweep_iterationIS3_Lb0EN6thrust23THRUST_200600_302600_NS6detail15normal_iteratorINS8_10device_ptrIbEEEESD_NSA_INSB_IiEEEESF_jNS0_19identity_decomposerENS1_16block_id_wrapperIjLb1EEEEE10hipError_tT1_PNSt15iterator_traitsISK_E10value_typeET2_T3_PNSL_ISQ_E10value_typeET4_T5_PSV_SW_PNS1_23onesweep_lookback_stateEbbT6_jjT7_P12ihipStream_tbENKUlT_T0_SK_SP_E_clISD_SD_SF_SF_EEDaS13_S14_SK_SP_EUlS13_E_NS1_11comp_targetILNS1_3genE10ELNS1_11target_archE1201ELNS1_3gpuE5ELNS1_3repE0EEENS1_47radix_sort_onesweep_sort_config_static_selectorELNS0_4arch9wavefront6targetE1EEEvSK_,@function
_ZN7rocprim17ROCPRIM_400000_NS6detail17trampoline_kernelINS0_14default_configENS1_35radix_sort_onesweep_config_selectorIbiEEZZNS1_29radix_sort_onesweep_iterationIS3_Lb0EN6thrust23THRUST_200600_302600_NS6detail15normal_iteratorINS8_10device_ptrIbEEEESD_NSA_INSB_IiEEEESF_jNS0_19identity_decomposerENS1_16block_id_wrapperIjLb1EEEEE10hipError_tT1_PNSt15iterator_traitsISK_E10value_typeET2_T3_PNSL_ISQ_E10value_typeET4_T5_PSV_SW_PNS1_23onesweep_lookback_stateEbbT6_jjT7_P12ihipStream_tbENKUlT_T0_SK_SP_E_clISD_SD_SF_SF_EEDaS13_S14_SK_SP_EUlS13_E_NS1_11comp_targetILNS1_3genE10ELNS1_11target_archE1201ELNS1_3gpuE5ELNS1_3repE0EEENS1_47radix_sort_onesweep_sort_config_static_selectorELNS0_4arch9wavefront6targetE1EEEvSK_: ; @_ZN7rocprim17ROCPRIM_400000_NS6detail17trampoline_kernelINS0_14default_configENS1_35radix_sort_onesweep_config_selectorIbiEEZZNS1_29radix_sort_onesweep_iterationIS3_Lb0EN6thrust23THRUST_200600_302600_NS6detail15normal_iteratorINS8_10device_ptrIbEEEESD_NSA_INSB_IiEEEESF_jNS0_19identity_decomposerENS1_16block_id_wrapperIjLb1EEEEE10hipError_tT1_PNSt15iterator_traitsISK_E10value_typeET2_T3_PNSL_ISQ_E10value_typeET4_T5_PSV_SW_PNS1_23onesweep_lookback_stateEbbT6_jjT7_P12ihipStream_tbENKUlT_T0_SK_SP_E_clISD_SD_SF_SF_EEDaS13_S14_SK_SP_EUlS13_E_NS1_11comp_targetILNS1_3genE10ELNS1_11target_archE1201ELNS1_3gpuE5ELNS1_3repE0EEENS1_47radix_sort_onesweep_sort_config_static_selectorELNS0_4arch9wavefront6targetE1EEEvSK_
; %bb.0:
	.section	.rodata,"a",@progbits
	.p2align	6, 0x0
	.amdhsa_kernel _ZN7rocprim17ROCPRIM_400000_NS6detail17trampoline_kernelINS0_14default_configENS1_35radix_sort_onesweep_config_selectorIbiEEZZNS1_29radix_sort_onesweep_iterationIS3_Lb0EN6thrust23THRUST_200600_302600_NS6detail15normal_iteratorINS8_10device_ptrIbEEEESD_NSA_INSB_IiEEEESF_jNS0_19identity_decomposerENS1_16block_id_wrapperIjLb1EEEEE10hipError_tT1_PNSt15iterator_traitsISK_E10value_typeET2_T3_PNSL_ISQ_E10value_typeET4_T5_PSV_SW_PNS1_23onesweep_lookback_stateEbbT6_jjT7_P12ihipStream_tbENKUlT_T0_SK_SP_E_clISD_SD_SF_SF_EEDaS13_S14_SK_SP_EUlS13_E_NS1_11comp_targetILNS1_3genE10ELNS1_11target_archE1201ELNS1_3gpuE5ELNS1_3repE0EEENS1_47radix_sort_onesweep_sort_config_static_selectorELNS0_4arch9wavefront6targetE1EEEvSK_
		.amdhsa_group_segment_fixed_size 0
		.amdhsa_private_segment_fixed_size 0
		.amdhsa_kernarg_size 88
		.amdhsa_user_sgpr_count 2
		.amdhsa_user_sgpr_dispatch_ptr 0
		.amdhsa_user_sgpr_queue_ptr 0
		.amdhsa_user_sgpr_kernarg_segment_ptr 1
		.amdhsa_user_sgpr_dispatch_id 0
		.amdhsa_user_sgpr_kernarg_preload_length 0
		.amdhsa_user_sgpr_kernarg_preload_offset 0
		.amdhsa_user_sgpr_private_segment_size 0
		.amdhsa_uses_dynamic_stack 0
		.amdhsa_enable_private_segment 0
		.amdhsa_system_sgpr_workgroup_id_x 1
		.amdhsa_system_sgpr_workgroup_id_y 0
		.amdhsa_system_sgpr_workgroup_id_z 0
		.amdhsa_system_sgpr_workgroup_info 0
		.amdhsa_system_vgpr_workitem_id 0
		.amdhsa_next_free_vgpr 1
		.amdhsa_next_free_sgpr 0
		.amdhsa_accum_offset 4
		.amdhsa_reserve_vcc 0
		.amdhsa_float_round_mode_32 0
		.amdhsa_float_round_mode_16_64 0
		.amdhsa_float_denorm_mode_32 3
		.amdhsa_float_denorm_mode_16_64 3
		.amdhsa_dx10_clamp 1
		.amdhsa_ieee_mode 1
		.amdhsa_fp16_overflow 0
		.amdhsa_tg_split 0
		.amdhsa_exception_fp_ieee_invalid_op 0
		.amdhsa_exception_fp_denorm_src 0
		.amdhsa_exception_fp_ieee_div_zero 0
		.amdhsa_exception_fp_ieee_overflow 0
		.amdhsa_exception_fp_ieee_underflow 0
		.amdhsa_exception_fp_ieee_inexact 0
		.amdhsa_exception_int_div_zero 0
	.end_amdhsa_kernel
	.section	.text._ZN7rocprim17ROCPRIM_400000_NS6detail17trampoline_kernelINS0_14default_configENS1_35radix_sort_onesweep_config_selectorIbiEEZZNS1_29radix_sort_onesweep_iterationIS3_Lb0EN6thrust23THRUST_200600_302600_NS6detail15normal_iteratorINS8_10device_ptrIbEEEESD_NSA_INSB_IiEEEESF_jNS0_19identity_decomposerENS1_16block_id_wrapperIjLb1EEEEE10hipError_tT1_PNSt15iterator_traitsISK_E10value_typeET2_T3_PNSL_ISQ_E10value_typeET4_T5_PSV_SW_PNS1_23onesweep_lookback_stateEbbT6_jjT7_P12ihipStream_tbENKUlT_T0_SK_SP_E_clISD_SD_SF_SF_EEDaS13_S14_SK_SP_EUlS13_E_NS1_11comp_targetILNS1_3genE10ELNS1_11target_archE1201ELNS1_3gpuE5ELNS1_3repE0EEENS1_47radix_sort_onesweep_sort_config_static_selectorELNS0_4arch9wavefront6targetE1EEEvSK_,"axG",@progbits,_ZN7rocprim17ROCPRIM_400000_NS6detail17trampoline_kernelINS0_14default_configENS1_35radix_sort_onesweep_config_selectorIbiEEZZNS1_29radix_sort_onesweep_iterationIS3_Lb0EN6thrust23THRUST_200600_302600_NS6detail15normal_iteratorINS8_10device_ptrIbEEEESD_NSA_INSB_IiEEEESF_jNS0_19identity_decomposerENS1_16block_id_wrapperIjLb1EEEEE10hipError_tT1_PNSt15iterator_traitsISK_E10value_typeET2_T3_PNSL_ISQ_E10value_typeET4_T5_PSV_SW_PNS1_23onesweep_lookback_stateEbbT6_jjT7_P12ihipStream_tbENKUlT_T0_SK_SP_E_clISD_SD_SF_SF_EEDaS13_S14_SK_SP_EUlS13_E_NS1_11comp_targetILNS1_3genE10ELNS1_11target_archE1201ELNS1_3gpuE5ELNS1_3repE0EEENS1_47radix_sort_onesweep_sort_config_static_selectorELNS0_4arch9wavefront6targetE1EEEvSK_,comdat
.Lfunc_end2047:
	.size	_ZN7rocprim17ROCPRIM_400000_NS6detail17trampoline_kernelINS0_14default_configENS1_35radix_sort_onesweep_config_selectorIbiEEZZNS1_29radix_sort_onesweep_iterationIS3_Lb0EN6thrust23THRUST_200600_302600_NS6detail15normal_iteratorINS8_10device_ptrIbEEEESD_NSA_INSB_IiEEEESF_jNS0_19identity_decomposerENS1_16block_id_wrapperIjLb1EEEEE10hipError_tT1_PNSt15iterator_traitsISK_E10value_typeET2_T3_PNSL_ISQ_E10value_typeET4_T5_PSV_SW_PNS1_23onesweep_lookback_stateEbbT6_jjT7_P12ihipStream_tbENKUlT_T0_SK_SP_E_clISD_SD_SF_SF_EEDaS13_S14_SK_SP_EUlS13_E_NS1_11comp_targetILNS1_3genE10ELNS1_11target_archE1201ELNS1_3gpuE5ELNS1_3repE0EEENS1_47radix_sort_onesweep_sort_config_static_selectorELNS0_4arch9wavefront6targetE1EEEvSK_, .Lfunc_end2047-_ZN7rocprim17ROCPRIM_400000_NS6detail17trampoline_kernelINS0_14default_configENS1_35radix_sort_onesweep_config_selectorIbiEEZZNS1_29radix_sort_onesweep_iterationIS3_Lb0EN6thrust23THRUST_200600_302600_NS6detail15normal_iteratorINS8_10device_ptrIbEEEESD_NSA_INSB_IiEEEESF_jNS0_19identity_decomposerENS1_16block_id_wrapperIjLb1EEEEE10hipError_tT1_PNSt15iterator_traitsISK_E10value_typeET2_T3_PNSL_ISQ_E10value_typeET4_T5_PSV_SW_PNS1_23onesweep_lookback_stateEbbT6_jjT7_P12ihipStream_tbENKUlT_T0_SK_SP_E_clISD_SD_SF_SF_EEDaS13_S14_SK_SP_EUlS13_E_NS1_11comp_targetILNS1_3genE10ELNS1_11target_archE1201ELNS1_3gpuE5ELNS1_3repE0EEENS1_47radix_sort_onesweep_sort_config_static_selectorELNS0_4arch9wavefront6targetE1EEEvSK_
                                        ; -- End function
	.set _ZN7rocprim17ROCPRIM_400000_NS6detail17trampoline_kernelINS0_14default_configENS1_35radix_sort_onesweep_config_selectorIbiEEZZNS1_29radix_sort_onesweep_iterationIS3_Lb0EN6thrust23THRUST_200600_302600_NS6detail15normal_iteratorINS8_10device_ptrIbEEEESD_NSA_INSB_IiEEEESF_jNS0_19identity_decomposerENS1_16block_id_wrapperIjLb1EEEEE10hipError_tT1_PNSt15iterator_traitsISK_E10value_typeET2_T3_PNSL_ISQ_E10value_typeET4_T5_PSV_SW_PNS1_23onesweep_lookback_stateEbbT6_jjT7_P12ihipStream_tbENKUlT_T0_SK_SP_E_clISD_SD_SF_SF_EEDaS13_S14_SK_SP_EUlS13_E_NS1_11comp_targetILNS1_3genE10ELNS1_11target_archE1201ELNS1_3gpuE5ELNS1_3repE0EEENS1_47radix_sort_onesweep_sort_config_static_selectorELNS0_4arch9wavefront6targetE1EEEvSK_.num_vgpr, 0
	.set _ZN7rocprim17ROCPRIM_400000_NS6detail17trampoline_kernelINS0_14default_configENS1_35radix_sort_onesweep_config_selectorIbiEEZZNS1_29radix_sort_onesweep_iterationIS3_Lb0EN6thrust23THRUST_200600_302600_NS6detail15normal_iteratorINS8_10device_ptrIbEEEESD_NSA_INSB_IiEEEESF_jNS0_19identity_decomposerENS1_16block_id_wrapperIjLb1EEEEE10hipError_tT1_PNSt15iterator_traitsISK_E10value_typeET2_T3_PNSL_ISQ_E10value_typeET4_T5_PSV_SW_PNS1_23onesweep_lookback_stateEbbT6_jjT7_P12ihipStream_tbENKUlT_T0_SK_SP_E_clISD_SD_SF_SF_EEDaS13_S14_SK_SP_EUlS13_E_NS1_11comp_targetILNS1_3genE10ELNS1_11target_archE1201ELNS1_3gpuE5ELNS1_3repE0EEENS1_47radix_sort_onesweep_sort_config_static_selectorELNS0_4arch9wavefront6targetE1EEEvSK_.num_agpr, 0
	.set _ZN7rocprim17ROCPRIM_400000_NS6detail17trampoline_kernelINS0_14default_configENS1_35radix_sort_onesweep_config_selectorIbiEEZZNS1_29radix_sort_onesweep_iterationIS3_Lb0EN6thrust23THRUST_200600_302600_NS6detail15normal_iteratorINS8_10device_ptrIbEEEESD_NSA_INSB_IiEEEESF_jNS0_19identity_decomposerENS1_16block_id_wrapperIjLb1EEEEE10hipError_tT1_PNSt15iterator_traitsISK_E10value_typeET2_T3_PNSL_ISQ_E10value_typeET4_T5_PSV_SW_PNS1_23onesweep_lookback_stateEbbT6_jjT7_P12ihipStream_tbENKUlT_T0_SK_SP_E_clISD_SD_SF_SF_EEDaS13_S14_SK_SP_EUlS13_E_NS1_11comp_targetILNS1_3genE10ELNS1_11target_archE1201ELNS1_3gpuE5ELNS1_3repE0EEENS1_47radix_sort_onesweep_sort_config_static_selectorELNS0_4arch9wavefront6targetE1EEEvSK_.numbered_sgpr, 0
	.set _ZN7rocprim17ROCPRIM_400000_NS6detail17trampoline_kernelINS0_14default_configENS1_35radix_sort_onesweep_config_selectorIbiEEZZNS1_29radix_sort_onesweep_iterationIS3_Lb0EN6thrust23THRUST_200600_302600_NS6detail15normal_iteratorINS8_10device_ptrIbEEEESD_NSA_INSB_IiEEEESF_jNS0_19identity_decomposerENS1_16block_id_wrapperIjLb1EEEEE10hipError_tT1_PNSt15iterator_traitsISK_E10value_typeET2_T3_PNSL_ISQ_E10value_typeET4_T5_PSV_SW_PNS1_23onesweep_lookback_stateEbbT6_jjT7_P12ihipStream_tbENKUlT_T0_SK_SP_E_clISD_SD_SF_SF_EEDaS13_S14_SK_SP_EUlS13_E_NS1_11comp_targetILNS1_3genE10ELNS1_11target_archE1201ELNS1_3gpuE5ELNS1_3repE0EEENS1_47radix_sort_onesweep_sort_config_static_selectorELNS0_4arch9wavefront6targetE1EEEvSK_.num_named_barrier, 0
	.set _ZN7rocprim17ROCPRIM_400000_NS6detail17trampoline_kernelINS0_14default_configENS1_35radix_sort_onesweep_config_selectorIbiEEZZNS1_29radix_sort_onesweep_iterationIS3_Lb0EN6thrust23THRUST_200600_302600_NS6detail15normal_iteratorINS8_10device_ptrIbEEEESD_NSA_INSB_IiEEEESF_jNS0_19identity_decomposerENS1_16block_id_wrapperIjLb1EEEEE10hipError_tT1_PNSt15iterator_traitsISK_E10value_typeET2_T3_PNSL_ISQ_E10value_typeET4_T5_PSV_SW_PNS1_23onesweep_lookback_stateEbbT6_jjT7_P12ihipStream_tbENKUlT_T0_SK_SP_E_clISD_SD_SF_SF_EEDaS13_S14_SK_SP_EUlS13_E_NS1_11comp_targetILNS1_3genE10ELNS1_11target_archE1201ELNS1_3gpuE5ELNS1_3repE0EEENS1_47radix_sort_onesweep_sort_config_static_selectorELNS0_4arch9wavefront6targetE1EEEvSK_.private_seg_size, 0
	.set _ZN7rocprim17ROCPRIM_400000_NS6detail17trampoline_kernelINS0_14default_configENS1_35radix_sort_onesweep_config_selectorIbiEEZZNS1_29radix_sort_onesweep_iterationIS3_Lb0EN6thrust23THRUST_200600_302600_NS6detail15normal_iteratorINS8_10device_ptrIbEEEESD_NSA_INSB_IiEEEESF_jNS0_19identity_decomposerENS1_16block_id_wrapperIjLb1EEEEE10hipError_tT1_PNSt15iterator_traitsISK_E10value_typeET2_T3_PNSL_ISQ_E10value_typeET4_T5_PSV_SW_PNS1_23onesweep_lookback_stateEbbT6_jjT7_P12ihipStream_tbENKUlT_T0_SK_SP_E_clISD_SD_SF_SF_EEDaS13_S14_SK_SP_EUlS13_E_NS1_11comp_targetILNS1_3genE10ELNS1_11target_archE1201ELNS1_3gpuE5ELNS1_3repE0EEENS1_47radix_sort_onesweep_sort_config_static_selectorELNS0_4arch9wavefront6targetE1EEEvSK_.uses_vcc, 0
	.set _ZN7rocprim17ROCPRIM_400000_NS6detail17trampoline_kernelINS0_14default_configENS1_35radix_sort_onesweep_config_selectorIbiEEZZNS1_29radix_sort_onesweep_iterationIS3_Lb0EN6thrust23THRUST_200600_302600_NS6detail15normal_iteratorINS8_10device_ptrIbEEEESD_NSA_INSB_IiEEEESF_jNS0_19identity_decomposerENS1_16block_id_wrapperIjLb1EEEEE10hipError_tT1_PNSt15iterator_traitsISK_E10value_typeET2_T3_PNSL_ISQ_E10value_typeET4_T5_PSV_SW_PNS1_23onesweep_lookback_stateEbbT6_jjT7_P12ihipStream_tbENKUlT_T0_SK_SP_E_clISD_SD_SF_SF_EEDaS13_S14_SK_SP_EUlS13_E_NS1_11comp_targetILNS1_3genE10ELNS1_11target_archE1201ELNS1_3gpuE5ELNS1_3repE0EEENS1_47radix_sort_onesweep_sort_config_static_selectorELNS0_4arch9wavefront6targetE1EEEvSK_.uses_flat_scratch, 0
	.set _ZN7rocprim17ROCPRIM_400000_NS6detail17trampoline_kernelINS0_14default_configENS1_35radix_sort_onesweep_config_selectorIbiEEZZNS1_29radix_sort_onesweep_iterationIS3_Lb0EN6thrust23THRUST_200600_302600_NS6detail15normal_iteratorINS8_10device_ptrIbEEEESD_NSA_INSB_IiEEEESF_jNS0_19identity_decomposerENS1_16block_id_wrapperIjLb1EEEEE10hipError_tT1_PNSt15iterator_traitsISK_E10value_typeET2_T3_PNSL_ISQ_E10value_typeET4_T5_PSV_SW_PNS1_23onesweep_lookback_stateEbbT6_jjT7_P12ihipStream_tbENKUlT_T0_SK_SP_E_clISD_SD_SF_SF_EEDaS13_S14_SK_SP_EUlS13_E_NS1_11comp_targetILNS1_3genE10ELNS1_11target_archE1201ELNS1_3gpuE5ELNS1_3repE0EEENS1_47radix_sort_onesweep_sort_config_static_selectorELNS0_4arch9wavefront6targetE1EEEvSK_.has_dyn_sized_stack, 0
	.set _ZN7rocprim17ROCPRIM_400000_NS6detail17trampoline_kernelINS0_14default_configENS1_35radix_sort_onesweep_config_selectorIbiEEZZNS1_29radix_sort_onesweep_iterationIS3_Lb0EN6thrust23THRUST_200600_302600_NS6detail15normal_iteratorINS8_10device_ptrIbEEEESD_NSA_INSB_IiEEEESF_jNS0_19identity_decomposerENS1_16block_id_wrapperIjLb1EEEEE10hipError_tT1_PNSt15iterator_traitsISK_E10value_typeET2_T3_PNSL_ISQ_E10value_typeET4_T5_PSV_SW_PNS1_23onesweep_lookback_stateEbbT6_jjT7_P12ihipStream_tbENKUlT_T0_SK_SP_E_clISD_SD_SF_SF_EEDaS13_S14_SK_SP_EUlS13_E_NS1_11comp_targetILNS1_3genE10ELNS1_11target_archE1201ELNS1_3gpuE5ELNS1_3repE0EEENS1_47radix_sort_onesweep_sort_config_static_selectorELNS0_4arch9wavefront6targetE1EEEvSK_.has_recursion, 0
	.set _ZN7rocprim17ROCPRIM_400000_NS6detail17trampoline_kernelINS0_14default_configENS1_35radix_sort_onesweep_config_selectorIbiEEZZNS1_29radix_sort_onesweep_iterationIS3_Lb0EN6thrust23THRUST_200600_302600_NS6detail15normal_iteratorINS8_10device_ptrIbEEEESD_NSA_INSB_IiEEEESF_jNS0_19identity_decomposerENS1_16block_id_wrapperIjLb1EEEEE10hipError_tT1_PNSt15iterator_traitsISK_E10value_typeET2_T3_PNSL_ISQ_E10value_typeET4_T5_PSV_SW_PNS1_23onesweep_lookback_stateEbbT6_jjT7_P12ihipStream_tbENKUlT_T0_SK_SP_E_clISD_SD_SF_SF_EEDaS13_S14_SK_SP_EUlS13_E_NS1_11comp_targetILNS1_3genE10ELNS1_11target_archE1201ELNS1_3gpuE5ELNS1_3repE0EEENS1_47radix_sort_onesweep_sort_config_static_selectorELNS0_4arch9wavefront6targetE1EEEvSK_.has_indirect_call, 0
	.section	.AMDGPU.csdata,"",@progbits
; Kernel info:
; codeLenInByte = 0
; TotalNumSgprs: 6
; NumVgprs: 0
; NumAgprs: 0
; TotalNumVgprs: 0
; ScratchSize: 0
; MemoryBound: 0
; FloatMode: 240
; IeeeMode: 1
; LDSByteSize: 0 bytes/workgroup (compile time only)
; SGPRBlocks: 0
; VGPRBlocks: 0
; NumSGPRsForWavesPerEU: 6
; NumVGPRsForWavesPerEU: 1
; AccumOffset: 4
; Occupancy: 8
; WaveLimiterHint : 0
; COMPUTE_PGM_RSRC2:SCRATCH_EN: 0
; COMPUTE_PGM_RSRC2:USER_SGPR: 2
; COMPUTE_PGM_RSRC2:TRAP_HANDLER: 0
; COMPUTE_PGM_RSRC2:TGID_X_EN: 1
; COMPUTE_PGM_RSRC2:TGID_Y_EN: 0
; COMPUTE_PGM_RSRC2:TGID_Z_EN: 0
; COMPUTE_PGM_RSRC2:TIDIG_COMP_CNT: 0
; COMPUTE_PGM_RSRC3_GFX90A:ACCUM_OFFSET: 0
; COMPUTE_PGM_RSRC3_GFX90A:TG_SPLIT: 0
	.section	.text._ZN7rocprim17ROCPRIM_400000_NS6detail17trampoline_kernelINS0_14default_configENS1_35radix_sort_onesweep_config_selectorIbiEEZZNS1_29radix_sort_onesweep_iterationIS3_Lb0EN6thrust23THRUST_200600_302600_NS6detail15normal_iteratorINS8_10device_ptrIbEEEESD_NSA_INSB_IiEEEESF_jNS0_19identity_decomposerENS1_16block_id_wrapperIjLb1EEEEE10hipError_tT1_PNSt15iterator_traitsISK_E10value_typeET2_T3_PNSL_ISQ_E10value_typeET4_T5_PSV_SW_PNS1_23onesweep_lookback_stateEbbT6_jjT7_P12ihipStream_tbENKUlT_T0_SK_SP_E_clISD_SD_SF_SF_EEDaS13_S14_SK_SP_EUlS13_E_NS1_11comp_targetILNS1_3genE9ELNS1_11target_archE1100ELNS1_3gpuE3ELNS1_3repE0EEENS1_47radix_sort_onesweep_sort_config_static_selectorELNS0_4arch9wavefront6targetE1EEEvSK_,"axG",@progbits,_ZN7rocprim17ROCPRIM_400000_NS6detail17trampoline_kernelINS0_14default_configENS1_35radix_sort_onesweep_config_selectorIbiEEZZNS1_29radix_sort_onesweep_iterationIS3_Lb0EN6thrust23THRUST_200600_302600_NS6detail15normal_iteratorINS8_10device_ptrIbEEEESD_NSA_INSB_IiEEEESF_jNS0_19identity_decomposerENS1_16block_id_wrapperIjLb1EEEEE10hipError_tT1_PNSt15iterator_traitsISK_E10value_typeET2_T3_PNSL_ISQ_E10value_typeET4_T5_PSV_SW_PNS1_23onesweep_lookback_stateEbbT6_jjT7_P12ihipStream_tbENKUlT_T0_SK_SP_E_clISD_SD_SF_SF_EEDaS13_S14_SK_SP_EUlS13_E_NS1_11comp_targetILNS1_3genE9ELNS1_11target_archE1100ELNS1_3gpuE3ELNS1_3repE0EEENS1_47radix_sort_onesweep_sort_config_static_selectorELNS0_4arch9wavefront6targetE1EEEvSK_,comdat
	.protected	_ZN7rocprim17ROCPRIM_400000_NS6detail17trampoline_kernelINS0_14default_configENS1_35radix_sort_onesweep_config_selectorIbiEEZZNS1_29radix_sort_onesweep_iterationIS3_Lb0EN6thrust23THRUST_200600_302600_NS6detail15normal_iteratorINS8_10device_ptrIbEEEESD_NSA_INSB_IiEEEESF_jNS0_19identity_decomposerENS1_16block_id_wrapperIjLb1EEEEE10hipError_tT1_PNSt15iterator_traitsISK_E10value_typeET2_T3_PNSL_ISQ_E10value_typeET4_T5_PSV_SW_PNS1_23onesweep_lookback_stateEbbT6_jjT7_P12ihipStream_tbENKUlT_T0_SK_SP_E_clISD_SD_SF_SF_EEDaS13_S14_SK_SP_EUlS13_E_NS1_11comp_targetILNS1_3genE9ELNS1_11target_archE1100ELNS1_3gpuE3ELNS1_3repE0EEENS1_47radix_sort_onesweep_sort_config_static_selectorELNS0_4arch9wavefront6targetE1EEEvSK_ ; -- Begin function _ZN7rocprim17ROCPRIM_400000_NS6detail17trampoline_kernelINS0_14default_configENS1_35radix_sort_onesweep_config_selectorIbiEEZZNS1_29radix_sort_onesweep_iterationIS3_Lb0EN6thrust23THRUST_200600_302600_NS6detail15normal_iteratorINS8_10device_ptrIbEEEESD_NSA_INSB_IiEEEESF_jNS0_19identity_decomposerENS1_16block_id_wrapperIjLb1EEEEE10hipError_tT1_PNSt15iterator_traitsISK_E10value_typeET2_T3_PNSL_ISQ_E10value_typeET4_T5_PSV_SW_PNS1_23onesweep_lookback_stateEbbT6_jjT7_P12ihipStream_tbENKUlT_T0_SK_SP_E_clISD_SD_SF_SF_EEDaS13_S14_SK_SP_EUlS13_E_NS1_11comp_targetILNS1_3genE9ELNS1_11target_archE1100ELNS1_3gpuE3ELNS1_3repE0EEENS1_47radix_sort_onesweep_sort_config_static_selectorELNS0_4arch9wavefront6targetE1EEEvSK_
	.globl	_ZN7rocprim17ROCPRIM_400000_NS6detail17trampoline_kernelINS0_14default_configENS1_35radix_sort_onesweep_config_selectorIbiEEZZNS1_29radix_sort_onesweep_iterationIS3_Lb0EN6thrust23THRUST_200600_302600_NS6detail15normal_iteratorINS8_10device_ptrIbEEEESD_NSA_INSB_IiEEEESF_jNS0_19identity_decomposerENS1_16block_id_wrapperIjLb1EEEEE10hipError_tT1_PNSt15iterator_traitsISK_E10value_typeET2_T3_PNSL_ISQ_E10value_typeET4_T5_PSV_SW_PNS1_23onesweep_lookback_stateEbbT6_jjT7_P12ihipStream_tbENKUlT_T0_SK_SP_E_clISD_SD_SF_SF_EEDaS13_S14_SK_SP_EUlS13_E_NS1_11comp_targetILNS1_3genE9ELNS1_11target_archE1100ELNS1_3gpuE3ELNS1_3repE0EEENS1_47radix_sort_onesweep_sort_config_static_selectorELNS0_4arch9wavefront6targetE1EEEvSK_
	.p2align	8
	.type	_ZN7rocprim17ROCPRIM_400000_NS6detail17trampoline_kernelINS0_14default_configENS1_35radix_sort_onesweep_config_selectorIbiEEZZNS1_29radix_sort_onesweep_iterationIS3_Lb0EN6thrust23THRUST_200600_302600_NS6detail15normal_iteratorINS8_10device_ptrIbEEEESD_NSA_INSB_IiEEEESF_jNS0_19identity_decomposerENS1_16block_id_wrapperIjLb1EEEEE10hipError_tT1_PNSt15iterator_traitsISK_E10value_typeET2_T3_PNSL_ISQ_E10value_typeET4_T5_PSV_SW_PNS1_23onesweep_lookback_stateEbbT6_jjT7_P12ihipStream_tbENKUlT_T0_SK_SP_E_clISD_SD_SF_SF_EEDaS13_S14_SK_SP_EUlS13_E_NS1_11comp_targetILNS1_3genE9ELNS1_11target_archE1100ELNS1_3gpuE3ELNS1_3repE0EEENS1_47radix_sort_onesweep_sort_config_static_selectorELNS0_4arch9wavefront6targetE1EEEvSK_,@function
_ZN7rocprim17ROCPRIM_400000_NS6detail17trampoline_kernelINS0_14default_configENS1_35radix_sort_onesweep_config_selectorIbiEEZZNS1_29radix_sort_onesweep_iterationIS3_Lb0EN6thrust23THRUST_200600_302600_NS6detail15normal_iteratorINS8_10device_ptrIbEEEESD_NSA_INSB_IiEEEESF_jNS0_19identity_decomposerENS1_16block_id_wrapperIjLb1EEEEE10hipError_tT1_PNSt15iterator_traitsISK_E10value_typeET2_T3_PNSL_ISQ_E10value_typeET4_T5_PSV_SW_PNS1_23onesweep_lookback_stateEbbT6_jjT7_P12ihipStream_tbENKUlT_T0_SK_SP_E_clISD_SD_SF_SF_EEDaS13_S14_SK_SP_EUlS13_E_NS1_11comp_targetILNS1_3genE9ELNS1_11target_archE1100ELNS1_3gpuE3ELNS1_3repE0EEENS1_47radix_sort_onesweep_sort_config_static_selectorELNS0_4arch9wavefront6targetE1EEEvSK_: ; @_ZN7rocprim17ROCPRIM_400000_NS6detail17trampoline_kernelINS0_14default_configENS1_35radix_sort_onesweep_config_selectorIbiEEZZNS1_29radix_sort_onesweep_iterationIS3_Lb0EN6thrust23THRUST_200600_302600_NS6detail15normal_iteratorINS8_10device_ptrIbEEEESD_NSA_INSB_IiEEEESF_jNS0_19identity_decomposerENS1_16block_id_wrapperIjLb1EEEEE10hipError_tT1_PNSt15iterator_traitsISK_E10value_typeET2_T3_PNSL_ISQ_E10value_typeET4_T5_PSV_SW_PNS1_23onesweep_lookback_stateEbbT6_jjT7_P12ihipStream_tbENKUlT_T0_SK_SP_E_clISD_SD_SF_SF_EEDaS13_S14_SK_SP_EUlS13_E_NS1_11comp_targetILNS1_3genE9ELNS1_11target_archE1100ELNS1_3gpuE3ELNS1_3repE0EEENS1_47radix_sort_onesweep_sort_config_static_selectorELNS0_4arch9wavefront6targetE1EEEvSK_
; %bb.0:
	.section	.rodata,"a",@progbits
	.p2align	6, 0x0
	.amdhsa_kernel _ZN7rocprim17ROCPRIM_400000_NS6detail17trampoline_kernelINS0_14default_configENS1_35radix_sort_onesweep_config_selectorIbiEEZZNS1_29radix_sort_onesweep_iterationIS3_Lb0EN6thrust23THRUST_200600_302600_NS6detail15normal_iteratorINS8_10device_ptrIbEEEESD_NSA_INSB_IiEEEESF_jNS0_19identity_decomposerENS1_16block_id_wrapperIjLb1EEEEE10hipError_tT1_PNSt15iterator_traitsISK_E10value_typeET2_T3_PNSL_ISQ_E10value_typeET4_T5_PSV_SW_PNS1_23onesweep_lookback_stateEbbT6_jjT7_P12ihipStream_tbENKUlT_T0_SK_SP_E_clISD_SD_SF_SF_EEDaS13_S14_SK_SP_EUlS13_E_NS1_11comp_targetILNS1_3genE9ELNS1_11target_archE1100ELNS1_3gpuE3ELNS1_3repE0EEENS1_47radix_sort_onesweep_sort_config_static_selectorELNS0_4arch9wavefront6targetE1EEEvSK_
		.amdhsa_group_segment_fixed_size 0
		.amdhsa_private_segment_fixed_size 0
		.amdhsa_kernarg_size 88
		.amdhsa_user_sgpr_count 2
		.amdhsa_user_sgpr_dispatch_ptr 0
		.amdhsa_user_sgpr_queue_ptr 0
		.amdhsa_user_sgpr_kernarg_segment_ptr 1
		.amdhsa_user_sgpr_dispatch_id 0
		.amdhsa_user_sgpr_kernarg_preload_length 0
		.amdhsa_user_sgpr_kernarg_preload_offset 0
		.amdhsa_user_sgpr_private_segment_size 0
		.amdhsa_uses_dynamic_stack 0
		.amdhsa_enable_private_segment 0
		.amdhsa_system_sgpr_workgroup_id_x 1
		.amdhsa_system_sgpr_workgroup_id_y 0
		.amdhsa_system_sgpr_workgroup_id_z 0
		.amdhsa_system_sgpr_workgroup_info 0
		.amdhsa_system_vgpr_workitem_id 0
		.amdhsa_next_free_vgpr 1
		.amdhsa_next_free_sgpr 0
		.amdhsa_accum_offset 4
		.amdhsa_reserve_vcc 0
		.amdhsa_float_round_mode_32 0
		.amdhsa_float_round_mode_16_64 0
		.amdhsa_float_denorm_mode_32 3
		.amdhsa_float_denorm_mode_16_64 3
		.amdhsa_dx10_clamp 1
		.amdhsa_ieee_mode 1
		.amdhsa_fp16_overflow 0
		.amdhsa_tg_split 0
		.amdhsa_exception_fp_ieee_invalid_op 0
		.amdhsa_exception_fp_denorm_src 0
		.amdhsa_exception_fp_ieee_div_zero 0
		.amdhsa_exception_fp_ieee_overflow 0
		.amdhsa_exception_fp_ieee_underflow 0
		.amdhsa_exception_fp_ieee_inexact 0
		.amdhsa_exception_int_div_zero 0
	.end_amdhsa_kernel
	.section	.text._ZN7rocprim17ROCPRIM_400000_NS6detail17trampoline_kernelINS0_14default_configENS1_35radix_sort_onesweep_config_selectorIbiEEZZNS1_29radix_sort_onesweep_iterationIS3_Lb0EN6thrust23THRUST_200600_302600_NS6detail15normal_iteratorINS8_10device_ptrIbEEEESD_NSA_INSB_IiEEEESF_jNS0_19identity_decomposerENS1_16block_id_wrapperIjLb1EEEEE10hipError_tT1_PNSt15iterator_traitsISK_E10value_typeET2_T3_PNSL_ISQ_E10value_typeET4_T5_PSV_SW_PNS1_23onesweep_lookback_stateEbbT6_jjT7_P12ihipStream_tbENKUlT_T0_SK_SP_E_clISD_SD_SF_SF_EEDaS13_S14_SK_SP_EUlS13_E_NS1_11comp_targetILNS1_3genE9ELNS1_11target_archE1100ELNS1_3gpuE3ELNS1_3repE0EEENS1_47radix_sort_onesweep_sort_config_static_selectorELNS0_4arch9wavefront6targetE1EEEvSK_,"axG",@progbits,_ZN7rocprim17ROCPRIM_400000_NS6detail17trampoline_kernelINS0_14default_configENS1_35radix_sort_onesweep_config_selectorIbiEEZZNS1_29radix_sort_onesweep_iterationIS3_Lb0EN6thrust23THRUST_200600_302600_NS6detail15normal_iteratorINS8_10device_ptrIbEEEESD_NSA_INSB_IiEEEESF_jNS0_19identity_decomposerENS1_16block_id_wrapperIjLb1EEEEE10hipError_tT1_PNSt15iterator_traitsISK_E10value_typeET2_T3_PNSL_ISQ_E10value_typeET4_T5_PSV_SW_PNS1_23onesweep_lookback_stateEbbT6_jjT7_P12ihipStream_tbENKUlT_T0_SK_SP_E_clISD_SD_SF_SF_EEDaS13_S14_SK_SP_EUlS13_E_NS1_11comp_targetILNS1_3genE9ELNS1_11target_archE1100ELNS1_3gpuE3ELNS1_3repE0EEENS1_47radix_sort_onesweep_sort_config_static_selectorELNS0_4arch9wavefront6targetE1EEEvSK_,comdat
.Lfunc_end2048:
	.size	_ZN7rocprim17ROCPRIM_400000_NS6detail17trampoline_kernelINS0_14default_configENS1_35radix_sort_onesweep_config_selectorIbiEEZZNS1_29radix_sort_onesweep_iterationIS3_Lb0EN6thrust23THRUST_200600_302600_NS6detail15normal_iteratorINS8_10device_ptrIbEEEESD_NSA_INSB_IiEEEESF_jNS0_19identity_decomposerENS1_16block_id_wrapperIjLb1EEEEE10hipError_tT1_PNSt15iterator_traitsISK_E10value_typeET2_T3_PNSL_ISQ_E10value_typeET4_T5_PSV_SW_PNS1_23onesweep_lookback_stateEbbT6_jjT7_P12ihipStream_tbENKUlT_T0_SK_SP_E_clISD_SD_SF_SF_EEDaS13_S14_SK_SP_EUlS13_E_NS1_11comp_targetILNS1_3genE9ELNS1_11target_archE1100ELNS1_3gpuE3ELNS1_3repE0EEENS1_47radix_sort_onesweep_sort_config_static_selectorELNS0_4arch9wavefront6targetE1EEEvSK_, .Lfunc_end2048-_ZN7rocprim17ROCPRIM_400000_NS6detail17trampoline_kernelINS0_14default_configENS1_35radix_sort_onesweep_config_selectorIbiEEZZNS1_29radix_sort_onesweep_iterationIS3_Lb0EN6thrust23THRUST_200600_302600_NS6detail15normal_iteratorINS8_10device_ptrIbEEEESD_NSA_INSB_IiEEEESF_jNS0_19identity_decomposerENS1_16block_id_wrapperIjLb1EEEEE10hipError_tT1_PNSt15iterator_traitsISK_E10value_typeET2_T3_PNSL_ISQ_E10value_typeET4_T5_PSV_SW_PNS1_23onesweep_lookback_stateEbbT6_jjT7_P12ihipStream_tbENKUlT_T0_SK_SP_E_clISD_SD_SF_SF_EEDaS13_S14_SK_SP_EUlS13_E_NS1_11comp_targetILNS1_3genE9ELNS1_11target_archE1100ELNS1_3gpuE3ELNS1_3repE0EEENS1_47radix_sort_onesweep_sort_config_static_selectorELNS0_4arch9wavefront6targetE1EEEvSK_
                                        ; -- End function
	.set _ZN7rocprim17ROCPRIM_400000_NS6detail17trampoline_kernelINS0_14default_configENS1_35radix_sort_onesweep_config_selectorIbiEEZZNS1_29radix_sort_onesweep_iterationIS3_Lb0EN6thrust23THRUST_200600_302600_NS6detail15normal_iteratorINS8_10device_ptrIbEEEESD_NSA_INSB_IiEEEESF_jNS0_19identity_decomposerENS1_16block_id_wrapperIjLb1EEEEE10hipError_tT1_PNSt15iterator_traitsISK_E10value_typeET2_T3_PNSL_ISQ_E10value_typeET4_T5_PSV_SW_PNS1_23onesweep_lookback_stateEbbT6_jjT7_P12ihipStream_tbENKUlT_T0_SK_SP_E_clISD_SD_SF_SF_EEDaS13_S14_SK_SP_EUlS13_E_NS1_11comp_targetILNS1_3genE9ELNS1_11target_archE1100ELNS1_3gpuE3ELNS1_3repE0EEENS1_47radix_sort_onesweep_sort_config_static_selectorELNS0_4arch9wavefront6targetE1EEEvSK_.num_vgpr, 0
	.set _ZN7rocprim17ROCPRIM_400000_NS6detail17trampoline_kernelINS0_14default_configENS1_35radix_sort_onesweep_config_selectorIbiEEZZNS1_29radix_sort_onesweep_iterationIS3_Lb0EN6thrust23THRUST_200600_302600_NS6detail15normal_iteratorINS8_10device_ptrIbEEEESD_NSA_INSB_IiEEEESF_jNS0_19identity_decomposerENS1_16block_id_wrapperIjLb1EEEEE10hipError_tT1_PNSt15iterator_traitsISK_E10value_typeET2_T3_PNSL_ISQ_E10value_typeET4_T5_PSV_SW_PNS1_23onesweep_lookback_stateEbbT6_jjT7_P12ihipStream_tbENKUlT_T0_SK_SP_E_clISD_SD_SF_SF_EEDaS13_S14_SK_SP_EUlS13_E_NS1_11comp_targetILNS1_3genE9ELNS1_11target_archE1100ELNS1_3gpuE3ELNS1_3repE0EEENS1_47radix_sort_onesweep_sort_config_static_selectorELNS0_4arch9wavefront6targetE1EEEvSK_.num_agpr, 0
	.set _ZN7rocprim17ROCPRIM_400000_NS6detail17trampoline_kernelINS0_14default_configENS1_35radix_sort_onesweep_config_selectorIbiEEZZNS1_29radix_sort_onesweep_iterationIS3_Lb0EN6thrust23THRUST_200600_302600_NS6detail15normal_iteratorINS8_10device_ptrIbEEEESD_NSA_INSB_IiEEEESF_jNS0_19identity_decomposerENS1_16block_id_wrapperIjLb1EEEEE10hipError_tT1_PNSt15iterator_traitsISK_E10value_typeET2_T3_PNSL_ISQ_E10value_typeET4_T5_PSV_SW_PNS1_23onesweep_lookback_stateEbbT6_jjT7_P12ihipStream_tbENKUlT_T0_SK_SP_E_clISD_SD_SF_SF_EEDaS13_S14_SK_SP_EUlS13_E_NS1_11comp_targetILNS1_3genE9ELNS1_11target_archE1100ELNS1_3gpuE3ELNS1_3repE0EEENS1_47radix_sort_onesweep_sort_config_static_selectorELNS0_4arch9wavefront6targetE1EEEvSK_.numbered_sgpr, 0
	.set _ZN7rocprim17ROCPRIM_400000_NS6detail17trampoline_kernelINS0_14default_configENS1_35radix_sort_onesweep_config_selectorIbiEEZZNS1_29radix_sort_onesweep_iterationIS3_Lb0EN6thrust23THRUST_200600_302600_NS6detail15normal_iteratorINS8_10device_ptrIbEEEESD_NSA_INSB_IiEEEESF_jNS0_19identity_decomposerENS1_16block_id_wrapperIjLb1EEEEE10hipError_tT1_PNSt15iterator_traitsISK_E10value_typeET2_T3_PNSL_ISQ_E10value_typeET4_T5_PSV_SW_PNS1_23onesweep_lookback_stateEbbT6_jjT7_P12ihipStream_tbENKUlT_T0_SK_SP_E_clISD_SD_SF_SF_EEDaS13_S14_SK_SP_EUlS13_E_NS1_11comp_targetILNS1_3genE9ELNS1_11target_archE1100ELNS1_3gpuE3ELNS1_3repE0EEENS1_47radix_sort_onesweep_sort_config_static_selectorELNS0_4arch9wavefront6targetE1EEEvSK_.num_named_barrier, 0
	.set _ZN7rocprim17ROCPRIM_400000_NS6detail17trampoline_kernelINS0_14default_configENS1_35radix_sort_onesweep_config_selectorIbiEEZZNS1_29radix_sort_onesweep_iterationIS3_Lb0EN6thrust23THRUST_200600_302600_NS6detail15normal_iteratorINS8_10device_ptrIbEEEESD_NSA_INSB_IiEEEESF_jNS0_19identity_decomposerENS1_16block_id_wrapperIjLb1EEEEE10hipError_tT1_PNSt15iterator_traitsISK_E10value_typeET2_T3_PNSL_ISQ_E10value_typeET4_T5_PSV_SW_PNS1_23onesweep_lookback_stateEbbT6_jjT7_P12ihipStream_tbENKUlT_T0_SK_SP_E_clISD_SD_SF_SF_EEDaS13_S14_SK_SP_EUlS13_E_NS1_11comp_targetILNS1_3genE9ELNS1_11target_archE1100ELNS1_3gpuE3ELNS1_3repE0EEENS1_47radix_sort_onesweep_sort_config_static_selectorELNS0_4arch9wavefront6targetE1EEEvSK_.private_seg_size, 0
	.set _ZN7rocprim17ROCPRIM_400000_NS6detail17trampoline_kernelINS0_14default_configENS1_35radix_sort_onesweep_config_selectorIbiEEZZNS1_29radix_sort_onesweep_iterationIS3_Lb0EN6thrust23THRUST_200600_302600_NS6detail15normal_iteratorINS8_10device_ptrIbEEEESD_NSA_INSB_IiEEEESF_jNS0_19identity_decomposerENS1_16block_id_wrapperIjLb1EEEEE10hipError_tT1_PNSt15iterator_traitsISK_E10value_typeET2_T3_PNSL_ISQ_E10value_typeET4_T5_PSV_SW_PNS1_23onesweep_lookback_stateEbbT6_jjT7_P12ihipStream_tbENKUlT_T0_SK_SP_E_clISD_SD_SF_SF_EEDaS13_S14_SK_SP_EUlS13_E_NS1_11comp_targetILNS1_3genE9ELNS1_11target_archE1100ELNS1_3gpuE3ELNS1_3repE0EEENS1_47radix_sort_onesweep_sort_config_static_selectorELNS0_4arch9wavefront6targetE1EEEvSK_.uses_vcc, 0
	.set _ZN7rocprim17ROCPRIM_400000_NS6detail17trampoline_kernelINS0_14default_configENS1_35radix_sort_onesweep_config_selectorIbiEEZZNS1_29radix_sort_onesweep_iterationIS3_Lb0EN6thrust23THRUST_200600_302600_NS6detail15normal_iteratorINS8_10device_ptrIbEEEESD_NSA_INSB_IiEEEESF_jNS0_19identity_decomposerENS1_16block_id_wrapperIjLb1EEEEE10hipError_tT1_PNSt15iterator_traitsISK_E10value_typeET2_T3_PNSL_ISQ_E10value_typeET4_T5_PSV_SW_PNS1_23onesweep_lookback_stateEbbT6_jjT7_P12ihipStream_tbENKUlT_T0_SK_SP_E_clISD_SD_SF_SF_EEDaS13_S14_SK_SP_EUlS13_E_NS1_11comp_targetILNS1_3genE9ELNS1_11target_archE1100ELNS1_3gpuE3ELNS1_3repE0EEENS1_47radix_sort_onesweep_sort_config_static_selectorELNS0_4arch9wavefront6targetE1EEEvSK_.uses_flat_scratch, 0
	.set _ZN7rocprim17ROCPRIM_400000_NS6detail17trampoline_kernelINS0_14default_configENS1_35radix_sort_onesweep_config_selectorIbiEEZZNS1_29radix_sort_onesweep_iterationIS3_Lb0EN6thrust23THRUST_200600_302600_NS6detail15normal_iteratorINS8_10device_ptrIbEEEESD_NSA_INSB_IiEEEESF_jNS0_19identity_decomposerENS1_16block_id_wrapperIjLb1EEEEE10hipError_tT1_PNSt15iterator_traitsISK_E10value_typeET2_T3_PNSL_ISQ_E10value_typeET4_T5_PSV_SW_PNS1_23onesweep_lookback_stateEbbT6_jjT7_P12ihipStream_tbENKUlT_T0_SK_SP_E_clISD_SD_SF_SF_EEDaS13_S14_SK_SP_EUlS13_E_NS1_11comp_targetILNS1_3genE9ELNS1_11target_archE1100ELNS1_3gpuE3ELNS1_3repE0EEENS1_47radix_sort_onesweep_sort_config_static_selectorELNS0_4arch9wavefront6targetE1EEEvSK_.has_dyn_sized_stack, 0
	.set _ZN7rocprim17ROCPRIM_400000_NS6detail17trampoline_kernelINS0_14default_configENS1_35radix_sort_onesweep_config_selectorIbiEEZZNS1_29radix_sort_onesweep_iterationIS3_Lb0EN6thrust23THRUST_200600_302600_NS6detail15normal_iteratorINS8_10device_ptrIbEEEESD_NSA_INSB_IiEEEESF_jNS0_19identity_decomposerENS1_16block_id_wrapperIjLb1EEEEE10hipError_tT1_PNSt15iterator_traitsISK_E10value_typeET2_T3_PNSL_ISQ_E10value_typeET4_T5_PSV_SW_PNS1_23onesweep_lookback_stateEbbT6_jjT7_P12ihipStream_tbENKUlT_T0_SK_SP_E_clISD_SD_SF_SF_EEDaS13_S14_SK_SP_EUlS13_E_NS1_11comp_targetILNS1_3genE9ELNS1_11target_archE1100ELNS1_3gpuE3ELNS1_3repE0EEENS1_47radix_sort_onesweep_sort_config_static_selectorELNS0_4arch9wavefront6targetE1EEEvSK_.has_recursion, 0
	.set _ZN7rocprim17ROCPRIM_400000_NS6detail17trampoline_kernelINS0_14default_configENS1_35radix_sort_onesweep_config_selectorIbiEEZZNS1_29radix_sort_onesweep_iterationIS3_Lb0EN6thrust23THRUST_200600_302600_NS6detail15normal_iteratorINS8_10device_ptrIbEEEESD_NSA_INSB_IiEEEESF_jNS0_19identity_decomposerENS1_16block_id_wrapperIjLb1EEEEE10hipError_tT1_PNSt15iterator_traitsISK_E10value_typeET2_T3_PNSL_ISQ_E10value_typeET4_T5_PSV_SW_PNS1_23onesweep_lookback_stateEbbT6_jjT7_P12ihipStream_tbENKUlT_T0_SK_SP_E_clISD_SD_SF_SF_EEDaS13_S14_SK_SP_EUlS13_E_NS1_11comp_targetILNS1_3genE9ELNS1_11target_archE1100ELNS1_3gpuE3ELNS1_3repE0EEENS1_47radix_sort_onesweep_sort_config_static_selectorELNS0_4arch9wavefront6targetE1EEEvSK_.has_indirect_call, 0
	.section	.AMDGPU.csdata,"",@progbits
; Kernel info:
; codeLenInByte = 0
; TotalNumSgprs: 6
; NumVgprs: 0
; NumAgprs: 0
; TotalNumVgprs: 0
; ScratchSize: 0
; MemoryBound: 0
; FloatMode: 240
; IeeeMode: 1
; LDSByteSize: 0 bytes/workgroup (compile time only)
; SGPRBlocks: 0
; VGPRBlocks: 0
; NumSGPRsForWavesPerEU: 6
; NumVGPRsForWavesPerEU: 1
; AccumOffset: 4
; Occupancy: 8
; WaveLimiterHint : 0
; COMPUTE_PGM_RSRC2:SCRATCH_EN: 0
; COMPUTE_PGM_RSRC2:USER_SGPR: 2
; COMPUTE_PGM_RSRC2:TRAP_HANDLER: 0
; COMPUTE_PGM_RSRC2:TGID_X_EN: 1
; COMPUTE_PGM_RSRC2:TGID_Y_EN: 0
; COMPUTE_PGM_RSRC2:TGID_Z_EN: 0
; COMPUTE_PGM_RSRC2:TIDIG_COMP_CNT: 0
; COMPUTE_PGM_RSRC3_GFX90A:ACCUM_OFFSET: 0
; COMPUTE_PGM_RSRC3_GFX90A:TG_SPLIT: 0
	.section	.text._ZN7rocprim17ROCPRIM_400000_NS6detail17trampoline_kernelINS0_14default_configENS1_35radix_sort_onesweep_config_selectorIbiEEZZNS1_29radix_sort_onesweep_iterationIS3_Lb0EN6thrust23THRUST_200600_302600_NS6detail15normal_iteratorINS8_10device_ptrIbEEEESD_NSA_INSB_IiEEEESF_jNS0_19identity_decomposerENS1_16block_id_wrapperIjLb1EEEEE10hipError_tT1_PNSt15iterator_traitsISK_E10value_typeET2_T3_PNSL_ISQ_E10value_typeET4_T5_PSV_SW_PNS1_23onesweep_lookback_stateEbbT6_jjT7_P12ihipStream_tbENKUlT_T0_SK_SP_E_clISD_SD_SF_SF_EEDaS13_S14_SK_SP_EUlS13_E_NS1_11comp_targetILNS1_3genE8ELNS1_11target_archE1030ELNS1_3gpuE2ELNS1_3repE0EEENS1_47radix_sort_onesweep_sort_config_static_selectorELNS0_4arch9wavefront6targetE1EEEvSK_,"axG",@progbits,_ZN7rocprim17ROCPRIM_400000_NS6detail17trampoline_kernelINS0_14default_configENS1_35radix_sort_onesweep_config_selectorIbiEEZZNS1_29radix_sort_onesweep_iterationIS3_Lb0EN6thrust23THRUST_200600_302600_NS6detail15normal_iteratorINS8_10device_ptrIbEEEESD_NSA_INSB_IiEEEESF_jNS0_19identity_decomposerENS1_16block_id_wrapperIjLb1EEEEE10hipError_tT1_PNSt15iterator_traitsISK_E10value_typeET2_T3_PNSL_ISQ_E10value_typeET4_T5_PSV_SW_PNS1_23onesweep_lookback_stateEbbT6_jjT7_P12ihipStream_tbENKUlT_T0_SK_SP_E_clISD_SD_SF_SF_EEDaS13_S14_SK_SP_EUlS13_E_NS1_11comp_targetILNS1_3genE8ELNS1_11target_archE1030ELNS1_3gpuE2ELNS1_3repE0EEENS1_47radix_sort_onesweep_sort_config_static_selectorELNS0_4arch9wavefront6targetE1EEEvSK_,comdat
	.protected	_ZN7rocprim17ROCPRIM_400000_NS6detail17trampoline_kernelINS0_14default_configENS1_35radix_sort_onesweep_config_selectorIbiEEZZNS1_29radix_sort_onesweep_iterationIS3_Lb0EN6thrust23THRUST_200600_302600_NS6detail15normal_iteratorINS8_10device_ptrIbEEEESD_NSA_INSB_IiEEEESF_jNS0_19identity_decomposerENS1_16block_id_wrapperIjLb1EEEEE10hipError_tT1_PNSt15iterator_traitsISK_E10value_typeET2_T3_PNSL_ISQ_E10value_typeET4_T5_PSV_SW_PNS1_23onesweep_lookback_stateEbbT6_jjT7_P12ihipStream_tbENKUlT_T0_SK_SP_E_clISD_SD_SF_SF_EEDaS13_S14_SK_SP_EUlS13_E_NS1_11comp_targetILNS1_3genE8ELNS1_11target_archE1030ELNS1_3gpuE2ELNS1_3repE0EEENS1_47radix_sort_onesweep_sort_config_static_selectorELNS0_4arch9wavefront6targetE1EEEvSK_ ; -- Begin function _ZN7rocprim17ROCPRIM_400000_NS6detail17trampoline_kernelINS0_14default_configENS1_35radix_sort_onesweep_config_selectorIbiEEZZNS1_29radix_sort_onesweep_iterationIS3_Lb0EN6thrust23THRUST_200600_302600_NS6detail15normal_iteratorINS8_10device_ptrIbEEEESD_NSA_INSB_IiEEEESF_jNS0_19identity_decomposerENS1_16block_id_wrapperIjLb1EEEEE10hipError_tT1_PNSt15iterator_traitsISK_E10value_typeET2_T3_PNSL_ISQ_E10value_typeET4_T5_PSV_SW_PNS1_23onesweep_lookback_stateEbbT6_jjT7_P12ihipStream_tbENKUlT_T0_SK_SP_E_clISD_SD_SF_SF_EEDaS13_S14_SK_SP_EUlS13_E_NS1_11comp_targetILNS1_3genE8ELNS1_11target_archE1030ELNS1_3gpuE2ELNS1_3repE0EEENS1_47radix_sort_onesweep_sort_config_static_selectorELNS0_4arch9wavefront6targetE1EEEvSK_
	.globl	_ZN7rocprim17ROCPRIM_400000_NS6detail17trampoline_kernelINS0_14default_configENS1_35radix_sort_onesweep_config_selectorIbiEEZZNS1_29radix_sort_onesweep_iterationIS3_Lb0EN6thrust23THRUST_200600_302600_NS6detail15normal_iteratorINS8_10device_ptrIbEEEESD_NSA_INSB_IiEEEESF_jNS0_19identity_decomposerENS1_16block_id_wrapperIjLb1EEEEE10hipError_tT1_PNSt15iterator_traitsISK_E10value_typeET2_T3_PNSL_ISQ_E10value_typeET4_T5_PSV_SW_PNS1_23onesweep_lookback_stateEbbT6_jjT7_P12ihipStream_tbENKUlT_T0_SK_SP_E_clISD_SD_SF_SF_EEDaS13_S14_SK_SP_EUlS13_E_NS1_11comp_targetILNS1_3genE8ELNS1_11target_archE1030ELNS1_3gpuE2ELNS1_3repE0EEENS1_47radix_sort_onesweep_sort_config_static_selectorELNS0_4arch9wavefront6targetE1EEEvSK_
	.p2align	8
	.type	_ZN7rocprim17ROCPRIM_400000_NS6detail17trampoline_kernelINS0_14default_configENS1_35radix_sort_onesweep_config_selectorIbiEEZZNS1_29radix_sort_onesweep_iterationIS3_Lb0EN6thrust23THRUST_200600_302600_NS6detail15normal_iteratorINS8_10device_ptrIbEEEESD_NSA_INSB_IiEEEESF_jNS0_19identity_decomposerENS1_16block_id_wrapperIjLb1EEEEE10hipError_tT1_PNSt15iterator_traitsISK_E10value_typeET2_T3_PNSL_ISQ_E10value_typeET4_T5_PSV_SW_PNS1_23onesweep_lookback_stateEbbT6_jjT7_P12ihipStream_tbENKUlT_T0_SK_SP_E_clISD_SD_SF_SF_EEDaS13_S14_SK_SP_EUlS13_E_NS1_11comp_targetILNS1_3genE8ELNS1_11target_archE1030ELNS1_3gpuE2ELNS1_3repE0EEENS1_47radix_sort_onesweep_sort_config_static_selectorELNS0_4arch9wavefront6targetE1EEEvSK_,@function
_ZN7rocprim17ROCPRIM_400000_NS6detail17trampoline_kernelINS0_14default_configENS1_35radix_sort_onesweep_config_selectorIbiEEZZNS1_29radix_sort_onesweep_iterationIS3_Lb0EN6thrust23THRUST_200600_302600_NS6detail15normal_iteratorINS8_10device_ptrIbEEEESD_NSA_INSB_IiEEEESF_jNS0_19identity_decomposerENS1_16block_id_wrapperIjLb1EEEEE10hipError_tT1_PNSt15iterator_traitsISK_E10value_typeET2_T3_PNSL_ISQ_E10value_typeET4_T5_PSV_SW_PNS1_23onesweep_lookback_stateEbbT6_jjT7_P12ihipStream_tbENKUlT_T0_SK_SP_E_clISD_SD_SF_SF_EEDaS13_S14_SK_SP_EUlS13_E_NS1_11comp_targetILNS1_3genE8ELNS1_11target_archE1030ELNS1_3gpuE2ELNS1_3repE0EEENS1_47radix_sort_onesweep_sort_config_static_selectorELNS0_4arch9wavefront6targetE1EEEvSK_: ; @_ZN7rocprim17ROCPRIM_400000_NS6detail17trampoline_kernelINS0_14default_configENS1_35radix_sort_onesweep_config_selectorIbiEEZZNS1_29radix_sort_onesweep_iterationIS3_Lb0EN6thrust23THRUST_200600_302600_NS6detail15normal_iteratorINS8_10device_ptrIbEEEESD_NSA_INSB_IiEEEESF_jNS0_19identity_decomposerENS1_16block_id_wrapperIjLb1EEEEE10hipError_tT1_PNSt15iterator_traitsISK_E10value_typeET2_T3_PNSL_ISQ_E10value_typeET4_T5_PSV_SW_PNS1_23onesweep_lookback_stateEbbT6_jjT7_P12ihipStream_tbENKUlT_T0_SK_SP_E_clISD_SD_SF_SF_EEDaS13_S14_SK_SP_EUlS13_E_NS1_11comp_targetILNS1_3genE8ELNS1_11target_archE1030ELNS1_3gpuE2ELNS1_3repE0EEENS1_47radix_sort_onesweep_sort_config_static_selectorELNS0_4arch9wavefront6targetE1EEEvSK_
; %bb.0:
	.section	.rodata,"a",@progbits
	.p2align	6, 0x0
	.amdhsa_kernel _ZN7rocprim17ROCPRIM_400000_NS6detail17trampoline_kernelINS0_14default_configENS1_35radix_sort_onesweep_config_selectorIbiEEZZNS1_29radix_sort_onesweep_iterationIS3_Lb0EN6thrust23THRUST_200600_302600_NS6detail15normal_iteratorINS8_10device_ptrIbEEEESD_NSA_INSB_IiEEEESF_jNS0_19identity_decomposerENS1_16block_id_wrapperIjLb1EEEEE10hipError_tT1_PNSt15iterator_traitsISK_E10value_typeET2_T3_PNSL_ISQ_E10value_typeET4_T5_PSV_SW_PNS1_23onesweep_lookback_stateEbbT6_jjT7_P12ihipStream_tbENKUlT_T0_SK_SP_E_clISD_SD_SF_SF_EEDaS13_S14_SK_SP_EUlS13_E_NS1_11comp_targetILNS1_3genE8ELNS1_11target_archE1030ELNS1_3gpuE2ELNS1_3repE0EEENS1_47radix_sort_onesweep_sort_config_static_selectorELNS0_4arch9wavefront6targetE1EEEvSK_
		.amdhsa_group_segment_fixed_size 0
		.amdhsa_private_segment_fixed_size 0
		.amdhsa_kernarg_size 88
		.amdhsa_user_sgpr_count 2
		.amdhsa_user_sgpr_dispatch_ptr 0
		.amdhsa_user_sgpr_queue_ptr 0
		.amdhsa_user_sgpr_kernarg_segment_ptr 1
		.amdhsa_user_sgpr_dispatch_id 0
		.amdhsa_user_sgpr_kernarg_preload_length 0
		.amdhsa_user_sgpr_kernarg_preload_offset 0
		.amdhsa_user_sgpr_private_segment_size 0
		.amdhsa_uses_dynamic_stack 0
		.amdhsa_enable_private_segment 0
		.amdhsa_system_sgpr_workgroup_id_x 1
		.amdhsa_system_sgpr_workgroup_id_y 0
		.amdhsa_system_sgpr_workgroup_id_z 0
		.amdhsa_system_sgpr_workgroup_info 0
		.amdhsa_system_vgpr_workitem_id 0
		.amdhsa_next_free_vgpr 1
		.amdhsa_next_free_sgpr 0
		.amdhsa_accum_offset 4
		.amdhsa_reserve_vcc 0
		.amdhsa_float_round_mode_32 0
		.amdhsa_float_round_mode_16_64 0
		.amdhsa_float_denorm_mode_32 3
		.amdhsa_float_denorm_mode_16_64 3
		.amdhsa_dx10_clamp 1
		.amdhsa_ieee_mode 1
		.amdhsa_fp16_overflow 0
		.amdhsa_tg_split 0
		.amdhsa_exception_fp_ieee_invalid_op 0
		.amdhsa_exception_fp_denorm_src 0
		.amdhsa_exception_fp_ieee_div_zero 0
		.amdhsa_exception_fp_ieee_overflow 0
		.amdhsa_exception_fp_ieee_underflow 0
		.amdhsa_exception_fp_ieee_inexact 0
		.amdhsa_exception_int_div_zero 0
	.end_amdhsa_kernel
	.section	.text._ZN7rocprim17ROCPRIM_400000_NS6detail17trampoline_kernelINS0_14default_configENS1_35radix_sort_onesweep_config_selectorIbiEEZZNS1_29radix_sort_onesweep_iterationIS3_Lb0EN6thrust23THRUST_200600_302600_NS6detail15normal_iteratorINS8_10device_ptrIbEEEESD_NSA_INSB_IiEEEESF_jNS0_19identity_decomposerENS1_16block_id_wrapperIjLb1EEEEE10hipError_tT1_PNSt15iterator_traitsISK_E10value_typeET2_T3_PNSL_ISQ_E10value_typeET4_T5_PSV_SW_PNS1_23onesweep_lookback_stateEbbT6_jjT7_P12ihipStream_tbENKUlT_T0_SK_SP_E_clISD_SD_SF_SF_EEDaS13_S14_SK_SP_EUlS13_E_NS1_11comp_targetILNS1_3genE8ELNS1_11target_archE1030ELNS1_3gpuE2ELNS1_3repE0EEENS1_47radix_sort_onesweep_sort_config_static_selectorELNS0_4arch9wavefront6targetE1EEEvSK_,"axG",@progbits,_ZN7rocprim17ROCPRIM_400000_NS6detail17trampoline_kernelINS0_14default_configENS1_35radix_sort_onesweep_config_selectorIbiEEZZNS1_29radix_sort_onesweep_iterationIS3_Lb0EN6thrust23THRUST_200600_302600_NS6detail15normal_iteratorINS8_10device_ptrIbEEEESD_NSA_INSB_IiEEEESF_jNS0_19identity_decomposerENS1_16block_id_wrapperIjLb1EEEEE10hipError_tT1_PNSt15iterator_traitsISK_E10value_typeET2_T3_PNSL_ISQ_E10value_typeET4_T5_PSV_SW_PNS1_23onesweep_lookback_stateEbbT6_jjT7_P12ihipStream_tbENKUlT_T0_SK_SP_E_clISD_SD_SF_SF_EEDaS13_S14_SK_SP_EUlS13_E_NS1_11comp_targetILNS1_3genE8ELNS1_11target_archE1030ELNS1_3gpuE2ELNS1_3repE0EEENS1_47radix_sort_onesweep_sort_config_static_selectorELNS0_4arch9wavefront6targetE1EEEvSK_,comdat
.Lfunc_end2049:
	.size	_ZN7rocprim17ROCPRIM_400000_NS6detail17trampoline_kernelINS0_14default_configENS1_35radix_sort_onesweep_config_selectorIbiEEZZNS1_29radix_sort_onesweep_iterationIS3_Lb0EN6thrust23THRUST_200600_302600_NS6detail15normal_iteratorINS8_10device_ptrIbEEEESD_NSA_INSB_IiEEEESF_jNS0_19identity_decomposerENS1_16block_id_wrapperIjLb1EEEEE10hipError_tT1_PNSt15iterator_traitsISK_E10value_typeET2_T3_PNSL_ISQ_E10value_typeET4_T5_PSV_SW_PNS1_23onesweep_lookback_stateEbbT6_jjT7_P12ihipStream_tbENKUlT_T0_SK_SP_E_clISD_SD_SF_SF_EEDaS13_S14_SK_SP_EUlS13_E_NS1_11comp_targetILNS1_3genE8ELNS1_11target_archE1030ELNS1_3gpuE2ELNS1_3repE0EEENS1_47radix_sort_onesweep_sort_config_static_selectorELNS0_4arch9wavefront6targetE1EEEvSK_, .Lfunc_end2049-_ZN7rocprim17ROCPRIM_400000_NS6detail17trampoline_kernelINS0_14default_configENS1_35radix_sort_onesweep_config_selectorIbiEEZZNS1_29radix_sort_onesweep_iterationIS3_Lb0EN6thrust23THRUST_200600_302600_NS6detail15normal_iteratorINS8_10device_ptrIbEEEESD_NSA_INSB_IiEEEESF_jNS0_19identity_decomposerENS1_16block_id_wrapperIjLb1EEEEE10hipError_tT1_PNSt15iterator_traitsISK_E10value_typeET2_T3_PNSL_ISQ_E10value_typeET4_T5_PSV_SW_PNS1_23onesweep_lookback_stateEbbT6_jjT7_P12ihipStream_tbENKUlT_T0_SK_SP_E_clISD_SD_SF_SF_EEDaS13_S14_SK_SP_EUlS13_E_NS1_11comp_targetILNS1_3genE8ELNS1_11target_archE1030ELNS1_3gpuE2ELNS1_3repE0EEENS1_47radix_sort_onesweep_sort_config_static_selectorELNS0_4arch9wavefront6targetE1EEEvSK_
                                        ; -- End function
	.set _ZN7rocprim17ROCPRIM_400000_NS6detail17trampoline_kernelINS0_14default_configENS1_35radix_sort_onesweep_config_selectorIbiEEZZNS1_29radix_sort_onesweep_iterationIS3_Lb0EN6thrust23THRUST_200600_302600_NS6detail15normal_iteratorINS8_10device_ptrIbEEEESD_NSA_INSB_IiEEEESF_jNS0_19identity_decomposerENS1_16block_id_wrapperIjLb1EEEEE10hipError_tT1_PNSt15iterator_traitsISK_E10value_typeET2_T3_PNSL_ISQ_E10value_typeET4_T5_PSV_SW_PNS1_23onesweep_lookback_stateEbbT6_jjT7_P12ihipStream_tbENKUlT_T0_SK_SP_E_clISD_SD_SF_SF_EEDaS13_S14_SK_SP_EUlS13_E_NS1_11comp_targetILNS1_3genE8ELNS1_11target_archE1030ELNS1_3gpuE2ELNS1_3repE0EEENS1_47radix_sort_onesweep_sort_config_static_selectorELNS0_4arch9wavefront6targetE1EEEvSK_.num_vgpr, 0
	.set _ZN7rocprim17ROCPRIM_400000_NS6detail17trampoline_kernelINS0_14default_configENS1_35radix_sort_onesweep_config_selectorIbiEEZZNS1_29radix_sort_onesweep_iterationIS3_Lb0EN6thrust23THRUST_200600_302600_NS6detail15normal_iteratorINS8_10device_ptrIbEEEESD_NSA_INSB_IiEEEESF_jNS0_19identity_decomposerENS1_16block_id_wrapperIjLb1EEEEE10hipError_tT1_PNSt15iterator_traitsISK_E10value_typeET2_T3_PNSL_ISQ_E10value_typeET4_T5_PSV_SW_PNS1_23onesweep_lookback_stateEbbT6_jjT7_P12ihipStream_tbENKUlT_T0_SK_SP_E_clISD_SD_SF_SF_EEDaS13_S14_SK_SP_EUlS13_E_NS1_11comp_targetILNS1_3genE8ELNS1_11target_archE1030ELNS1_3gpuE2ELNS1_3repE0EEENS1_47radix_sort_onesweep_sort_config_static_selectorELNS0_4arch9wavefront6targetE1EEEvSK_.num_agpr, 0
	.set _ZN7rocprim17ROCPRIM_400000_NS6detail17trampoline_kernelINS0_14default_configENS1_35radix_sort_onesweep_config_selectorIbiEEZZNS1_29radix_sort_onesweep_iterationIS3_Lb0EN6thrust23THRUST_200600_302600_NS6detail15normal_iteratorINS8_10device_ptrIbEEEESD_NSA_INSB_IiEEEESF_jNS0_19identity_decomposerENS1_16block_id_wrapperIjLb1EEEEE10hipError_tT1_PNSt15iterator_traitsISK_E10value_typeET2_T3_PNSL_ISQ_E10value_typeET4_T5_PSV_SW_PNS1_23onesweep_lookback_stateEbbT6_jjT7_P12ihipStream_tbENKUlT_T0_SK_SP_E_clISD_SD_SF_SF_EEDaS13_S14_SK_SP_EUlS13_E_NS1_11comp_targetILNS1_3genE8ELNS1_11target_archE1030ELNS1_3gpuE2ELNS1_3repE0EEENS1_47radix_sort_onesweep_sort_config_static_selectorELNS0_4arch9wavefront6targetE1EEEvSK_.numbered_sgpr, 0
	.set _ZN7rocprim17ROCPRIM_400000_NS6detail17trampoline_kernelINS0_14default_configENS1_35radix_sort_onesweep_config_selectorIbiEEZZNS1_29radix_sort_onesweep_iterationIS3_Lb0EN6thrust23THRUST_200600_302600_NS6detail15normal_iteratorINS8_10device_ptrIbEEEESD_NSA_INSB_IiEEEESF_jNS0_19identity_decomposerENS1_16block_id_wrapperIjLb1EEEEE10hipError_tT1_PNSt15iterator_traitsISK_E10value_typeET2_T3_PNSL_ISQ_E10value_typeET4_T5_PSV_SW_PNS1_23onesweep_lookback_stateEbbT6_jjT7_P12ihipStream_tbENKUlT_T0_SK_SP_E_clISD_SD_SF_SF_EEDaS13_S14_SK_SP_EUlS13_E_NS1_11comp_targetILNS1_3genE8ELNS1_11target_archE1030ELNS1_3gpuE2ELNS1_3repE0EEENS1_47radix_sort_onesweep_sort_config_static_selectorELNS0_4arch9wavefront6targetE1EEEvSK_.num_named_barrier, 0
	.set _ZN7rocprim17ROCPRIM_400000_NS6detail17trampoline_kernelINS0_14default_configENS1_35radix_sort_onesweep_config_selectorIbiEEZZNS1_29radix_sort_onesweep_iterationIS3_Lb0EN6thrust23THRUST_200600_302600_NS6detail15normal_iteratorINS8_10device_ptrIbEEEESD_NSA_INSB_IiEEEESF_jNS0_19identity_decomposerENS1_16block_id_wrapperIjLb1EEEEE10hipError_tT1_PNSt15iterator_traitsISK_E10value_typeET2_T3_PNSL_ISQ_E10value_typeET4_T5_PSV_SW_PNS1_23onesweep_lookback_stateEbbT6_jjT7_P12ihipStream_tbENKUlT_T0_SK_SP_E_clISD_SD_SF_SF_EEDaS13_S14_SK_SP_EUlS13_E_NS1_11comp_targetILNS1_3genE8ELNS1_11target_archE1030ELNS1_3gpuE2ELNS1_3repE0EEENS1_47radix_sort_onesweep_sort_config_static_selectorELNS0_4arch9wavefront6targetE1EEEvSK_.private_seg_size, 0
	.set _ZN7rocprim17ROCPRIM_400000_NS6detail17trampoline_kernelINS0_14default_configENS1_35radix_sort_onesweep_config_selectorIbiEEZZNS1_29radix_sort_onesweep_iterationIS3_Lb0EN6thrust23THRUST_200600_302600_NS6detail15normal_iteratorINS8_10device_ptrIbEEEESD_NSA_INSB_IiEEEESF_jNS0_19identity_decomposerENS1_16block_id_wrapperIjLb1EEEEE10hipError_tT1_PNSt15iterator_traitsISK_E10value_typeET2_T3_PNSL_ISQ_E10value_typeET4_T5_PSV_SW_PNS1_23onesweep_lookback_stateEbbT6_jjT7_P12ihipStream_tbENKUlT_T0_SK_SP_E_clISD_SD_SF_SF_EEDaS13_S14_SK_SP_EUlS13_E_NS1_11comp_targetILNS1_3genE8ELNS1_11target_archE1030ELNS1_3gpuE2ELNS1_3repE0EEENS1_47radix_sort_onesweep_sort_config_static_selectorELNS0_4arch9wavefront6targetE1EEEvSK_.uses_vcc, 0
	.set _ZN7rocprim17ROCPRIM_400000_NS6detail17trampoline_kernelINS0_14default_configENS1_35radix_sort_onesweep_config_selectorIbiEEZZNS1_29radix_sort_onesweep_iterationIS3_Lb0EN6thrust23THRUST_200600_302600_NS6detail15normal_iteratorINS8_10device_ptrIbEEEESD_NSA_INSB_IiEEEESF_jNS0_19identity_decomposerENS1_16block_id_wrapperIjLb1EEEEE10hipError_tT1_PNSt15iterator_traitsISK_E10value_typeET2_T3_PNSL_ISQ_E10value_typeET4_T5_PSV_SW_PNS1_23onesweep_lookback_stateEbbT6_jjT7_P12ihipStream_tbENKUlT_T0_SK_SP_E_clISD_SD_SF_SF_EEDaS13_S14_SK_SP_EUlS13_E_NS1_11comp_targetILNS1_3genE8ELNS1_11target_archE1030ELNS1_3gpuE2ELNS1_3repE0EEENS1_47radix_sort_onesweep_sort_config_static_selectorELNS0_4arch9wavefront6targetE1EEEvSK_.uses_flat_scratch, 0
	.set _ZN7rocprim17ROCPRIM_400000_NS6detail17trampoline_kernelINS0_14default_configENS1_35radix_sort_onesweep_config_selectorIbiEEZZNS1_29radix_sort_onesweep_iterationIS3_Lb0EN6thrust23THRUST_200600_302600_NS6detail15normal_iteratorINS8_10device_ptrIbEEEESD_NSA_INSB_IiEEEESF_jNS0_19identity_decomposerENS1_16block_id_wrapperIjLb1EEEEE10hipError_tT1_PNSt15iterator_traitsISK_E10value_typeET2_T3_PNSL_ISQ_E10value_typeET4_T5_PSV_SW_PNS1_23onesweep_lookback_stateEbbT6_jjT7_P12ihipStream_tbENKUlT_T0_SK_SP_E_clISD_SD_SF_SF_EEDaS13_S14_SK_SP_EUlS13_E_NS1_11comp_targetILNS1_3genE8ELNS1_11target_archE1030ELNS1_3gpuE2ELNS1_3repE0EEENS1_47radix_sort_onesweep_sort_config_static_selectorELNS0_4arch9wavefront6targetE1EEEvSK_.has_dyn_sized_stack, 0
	.set _ZN7rocprim17ROCPRIM_400000_NS6detail17trampoline_kernelINS0_14default_configENS1_35radix_sort_onesweep_config_selectorIbiEEZZNS1_29radix_sort_onesweep_iterationIS3_Lb0EN6thrust23THRUST_200600_302600_NS6detail15normal_iteratorINS8_10device_ptrIbEEEESD_NSA_INSB_IiEEEESF_jNS0_19identity_decomposerENS1_16block_id_wrapperIjLb1EEEEE10hipError_tT1_PNSt15iterator_traitsISK_E10value_typeET2_T3_PNSL_ISQ_E10value_typeET4_T5_PSV_SW_PNS1_23onesweep_lookback_stateEbbT6_jjT7_P12ihipStream_tbENKUlT_T0_SK_SP_E_clISD_SD_SF_SF_EEDaS13_S14_SK_SP_EUlS13_E_NS1_11comp_targetILNS1_3genE8ELNS1_11target_archE1030ELNS1_3gpuE2ELNS1_3repE0EEENS1_47radix_sort_onesweep_sort_config_static_selectorELNS0_4arch9wavefront6targetE1EEEvSK_.has_recursion, 0
	.set _ZN7rocprim17ROCPRIM_400000_NS6detail17trampoline_kernelINS0_14default_configENS1_35radix_sort_onesweep_config_selectorIbiEEZZNS1_29radix_sort_onesweep_iterationIS3_Lb0EN6thrust23THRUST_200600_302600_NS6detail15normal_iteratorINS8_10device_ptrIbEEEESD_NSA_INSB_IiEEEESF_jNS0_19identity_decomposerENS1_16block_id_wrapperIjLb1EEEEE10hipError_tT1_PNSt15iterator_traitsISK_E10value_typeET2_T3_PNSL_ISQ_E10value_typeET4_T5_PSV_SW_PNS1_23onesweep_lookback_stateEbbT6_jjT7_P12ihipStream_tbENKUlT_T0_SK_SP_E_clISD_SD_SF_SF_EEDaS13_S14_SK_SP_EUlS13_E_NS1_11comp_targetILNS1_3genE8ELNS1_11target_archE1030ELNS1_3gpuE2ELNS1_3repE0EEENS1_47radix_sort_onesweep_sort_config_static_selectorELNS0_4arch9wavefront6targetE1EEEvSK_.has_indirect_call, 0
	.section	.AMDGPU.csdata,"",@progbits
; Kernel info:
; codeLenInByte = 0
; TotalNumSgprs: 6
; NumVgprs: 0
; NumAgprs: 0
; TotalNumVgprs: 0
; ScratchSize: 0
; MemoryBound: 0
; FloatMode: 240
; IeeeMode: 1
; LDSByteSize: 0 bytes/workgroup (compile time only)
; SGPRBlocks: 0
; VGPRBlocks: 0
; NumSGPRsForWavesPerEU: 6
; NumVGPRsForWavesPerEU: 1
; AccumOffset: 4
; Occupancy: 8
; WaveLimiterHint : 0
; COMPUTE_PGM_RSRC2:SCRATCH_EN: 0
; COMPUTE_PGM_RSRC2:USER_SGPR: 2
; COMPUTE_PGM_RSRC2:TRAP_HANDLER: 0
; COMPUTE_PGM_RSRC2:TGID_X_EN: 1
; COMPUTE_PGM_RSRC2:TGID_Y_EN: 0
; COMPUTE_PGM_RSRC2:TGID_Z_EN: 0
; COMPUTE_PGM_RSRC2:TIDIG_COMP_CNT: 0
; COMPUTE_PGM_RSRC3_GFX90A:ACCUM_OFFSET: 0
; COMPUTE_PGM_RSRC3_GFX90A:TG_SPLIT: 0
	.section	.text._ZN7rocprim17ROCPRIM_400000_NS6detail17trampoline_kernelINS0_14default_configENS1_35radix_sort_onesweep_config_selectorIbiEEZZNS1_29radix_sort_onesweep_iterationIS3_Lb0EN6thrust23THRUST_200600_302600_NS6detail15normal_iteratorINS8_10device_ptrIbEEEESD_NSA_INSB_IiEEEESF_jNS0_19identity_decomposerENS1_16block_id_wrapperIjLb1EEEEE10hipError_tT1_PNSt15iterator_traitsISK_E10value_typeET2_T3_PNSL_ISQ_E10value_typeET4_T5_PSV_SW_PNS1_23onesweep_lookback_stateEbbT6_jjT7_P12ihipStream_tbENKUlT_T0_SK_SP_E_clISD_PbSF_PiEEDaS13_S14_SK_SP_EUlS13_E_NS1_11comp_targetILNS1_3genE0ELNS1_11target_archE4294967295ELNS1_3gpuE0ELNS1_3repE0EEENS1_47radix_sort_onesweep_sort_config_static_selectorELNS0_4arch9wavefront6targetE1EEEvSK_,"axG",@progbits,_ZN7rocprim17ROCPRIM_400000_NS6detail17trampoline_kernelINS0_14default_configENS1_35radix_sort_onesweep_config_selectorIbiEEZZNS1_29radix_sort_onesweep_iterationIS3_Lb0EN6thrust23THRUST_200600_302600_NS6detail15normal_iteratorINS8_10device_ptrIbEEEESD_NSA_INSB_IiEEEESF_jNS0_19identity_decomposerENS1_16block_id_wrapperIjLb1EEEEE10hipError_tT1_PNSt15iterator_traitsISK_E10value_typeET2_T3_PNSL_ISQ_E10value_typeET4_T5_PSV_SW_PNS1_23onesweep_lookback_stateEbbT6_jjT7_P12ihipStream_tbENKUlT_T0_SK_SP_E_clISD_PbSF_PiEEDaS13_S14_SK_SP_EUlS13_E_NS1_11comp_targetILNS1_3genE0ELNS1_11target_archE4294967295ELNS1_3gpuE0ELNS1_3repE0EEENS1_47radix_sort_onesweep_sort_config_static_selectorELNS0_4arch9wavefront6targetE1EEEvSK_,comdat
	.protected	_ZN7rocprim17ROCPRIM_400000_NS6detail17trampoline_kernelINS0_14default_configENS1_35radix_sort_onesweep_config_selectorIbiEEZZNS1_29radix_sort_onesweep_iterationIS3_Lb0EN6thrust23THRUST_200600_302600_NS6detail15normal_iteratorINS8_10device_ptrIbEEEESD_NSA_INSB_IiEEEESF_jNS0_19identity_decomposerENS1_16block_id_wrapperIjLb1EEEEE10hipError_tT1_PNSt15iterator_traitsISK_E10value_typeET2_T3_PNSL_ISQ_E10value_typeET4_T5_PSV_SW_PNS1_23onesweep_lookback_stateEbbT6_jjT7_P12ihipStream_tbENKUlT_T0_SK_SP_E_clISD_PbSF_PiEEDaS13_S14_SK_SP_EUlS13_E_NS1_11comp_targetILNS1_3genE0ELNS1_11target_archE4294967295ELNS1_3gpuE0ELNS1_3repE0EEENS1_47radix_sort_onesweep_sort_config_static_selectorELNS0_4arch9wavefront6targetE1EEEvSK_ ; -- Begin function _ZN7rocprim17ROCPRIM_400000_NS6detail17trampoline_kernelINS0_14default_configENS1_35radix_sort_onesweep_config_selectorIbiEEZZNS1_29radix_sort_onesweep_iterationIS3_Lb0EN6thrust23THRUST_200600_302600_NS6detail15normal_iteratorINS8_10device_ptrIbEEEESD_NSA_INSB_IiEEEESF_jNS0_19identity_decomposerENS1_16block_id_wrapperIjLb1EEEEE10hipError_tT1_PNSt15iterator_traitsISK_E10value_typeET2_T3_PNSL_ISQ_E10value_typeET4_T5_PSV_SW_PNS1_23onesweep_lookback_stateEbbT6_jjT7_P12ihipStream_tbENKUlT_T0_SK_SP_E_clISD_PbSF_PiEEDaS13_S14_SK_SP_EUlS13_E_NS1_11comp_targetILNS1_3genE0ELNS1_11target_archE4294967295ELNS1_3gpuE0ELNS1_3repE0EEENS1_47radix_sort_onesweep_sort_config_static_selectorELNS0_4arch9wavefront6targetE1EEEvSK_
	.globl	_ZN7rocprim17ROCPRIM_400000_NS6detail17trampoline_kernelINS0_14default_configENS1_35radix_sort_onesweep_config_selectorIbiEEZZNS1_29radix_sort_onesweep_iterationIS3_Lb0EN6thrust23THRUST_200600_302600_NS6detail15normal_iteratorINS8_10device_ptrIbEEEESD_NSA_INSB_IiEEEESF_jNS0_19identity_decomposerENS1_16block_id_wrapperIjLb1EEEEE10hipError_tT1_PNSt15iterator_traitsISK_E10value_typeET2_T3_PNSL_ISQ_E10value_typeET4_T5_PSV_SW_PNS1_23onesweep_lookback_stateEbbT6_jjT7_P12ihipStream_tbENKUlT_T0_SK_SP_E_clISD_PbSF_PiEEDaS13_S14_SK_SP_EUlS13_E_NS1_11comp_targetILNS1_3genE0ELNS1_11target_archE4294967295ELNS1_3gpuE0ELNS1_3repE0EEENS1_47radix_sort_onesweep_sort_config_static_selectorELNS0_4arch9wavefront6targetE1EEEvSK_
	.p2align	8
	.type	_ZN7rocprim17ROCPRIM_400000_NS6detail17trampoline_kernelINS0_14default_configENS1_35radix_sort_onesweep_config_selectorIbiEEZZNS1_29radix_sort_onesweep_iterationIS3_Lb0EN6thrust23THRUST_200600_302600_NS6detail15normal_iteratorINS8_10device_ptrIbEEEESD_NSA_INSB_IiEEEESF_jNS0_19identity_decomposerENS1_16block_id_wrapperIjLb1EEEEE10hipError_tT1_PNSt15iterator_traitsISK_E10value_typeET2_T3_PNSL_ISQ_E10value_typeET4_T5_PSV_SW_PNS1_23onesweep_lookback_stateEbbT6_jjT7_P12ihipStream_tbENKUlT_T0_SK_SP_E_clISD_PbSF_PiEEDaS13_S14_SK_SP_EUlS13_E_NS1_11comp_targetILNS1_3genE0ELNS1_11target_archE4294967295ELNS1_3gpuE0ELNS1_3repE0EEENS1_47radix_sort_onesweep_sort_config_static_selectorELNS0_4arch9wavefront6targetE1EEEvSK_,@function
_ZN7rocprim17ROCPRIM_400000_NS6detail17trampoline_kernelINS0_14default_configENS1_35radix_sort_onesweep_config_selectorIbiEEZZNS1_29radix_sort_onesweep_iterationIS3_Lb0EN6thrust23THRUST_200600_302600_NS6detail15normal_iteratorINS8_10device_ptrIbEEEESD_NSA_INSB_IiEEEESF_jNS0_19identity_decomposerENS1_16block_id_wrapperIjLb1EEEEE10hipError_tT1_PNSt15iterator_traitsISK_E10value_typeET2_T3_PNSL_ISQ_E10value_typeET4_T5_PSV_SW_PNS1_23onesweep_lookback_stateEbbT6_jjT7_P12ihipStream_tbENKUlT_T0_SK_SP_E_clISD_PbSF_PiEEDaS13_S14_SK_SP_EUlS13_E_NS1_11comp_targetILNS1_3genE0ELNS1_11target_archE4294967295ELNS1_3gpuE0ELNS1_3repE0EEENS1_47radix_sort_onesweep_sort_config_static_selectorELNS0_4arch9wavefront6targetE1EEEvSK_: ; @_ZN7rocprim17ROCPRIM_400000_NS6detail17trampoline_kernelINS0_14default_configENS1_35radix_sort_onesweep_config_selectorIbiEEZZNS1_29radix_sort_onesweep_iterationIS3_Lb0EN6thrust23THRUST_200600_302600_NS6detail15normal_iteratorINS8_10device_ptrIbEEEESD_NSA_INSB_IiEEEESF_jNS0_19identity_decomposerENS1_16block_id_wrapperIjLb1EEEEE10hipError_tT1_PNSt15iterator_traitsISK_E10value_typeET2_T3_PNSL_ISQ_E10value_typeET4_T5_PSV_SW_PNS1_23onesweep_lookback_stateEbbT6_jjT7_P12ihipStream_tbENKUlT_T0_SK_SP_E_clISD_PbSF_PiEEDaS13_S14_SK_SP_EUlS13_E_NS1_11comp_targetILNS1_3genE0ELNS1_11target_archE4294967295ELNS1_3gpuE0ELNS1_3repE0EEENS1_47radix_sort_onesweep_sort_config_static_selectorELNS0_4arch9wavefront6targetE1EEEvSK_
; %bb.0:
	.section	.rodata,"a",@progbits
	.p2align	6, 0x0
	.amdhsa_kernel _ZN7rocprim17ROCPRIM_400000_NS6detail17trampoline_kernelINS0_14default_configENS1_35radix_sort_onesweep_config_selectorIbiEEZZNS1_29radix_sort_onesweep_iterationIS3_Lb0EN6thrust23THRUST_200600_302600_NS6detail15normal_iteratorINS8_10device_ptrIbEEEESD_NSA_INSB_IiEEEESF_jNS0_19identity_decomposerENS1_16block_id_wrapperIjLb1EEEEE10hipError_tT1_PNSt15iterator_traitsISK_E10value_typeET2_T3_PNSL_ISQ_E10value_typeET4_T5_PSV_SW_PNS1_23onesweep_lookback_stateEbbT6_jjT7_P12ihipStream_tbENKUlT_T0_SK_SP_E_clISD_PbSF_PiEEDaS13_S14_SK_SP_EUlS13_E_NS1_11comp_targetILNS1_3genE0ELNS1_11target_archE4294967295ELNS1_3gpuE0ELNS1_3repE0EEENS1_47radix_sort_onesweep_sort_config_static_selectorELNS0_4arch9wavefront6targetE1EEEvSK_
		.amdhsa_group_segment_fixed_size 0
		.amdhsa_private_segment_fixed_size 0
		.amdhsa_kernarg_size 88
		.amdhsa_user_sgpr_count 2
		.amdhsa_user_sgpr_dispatch_ptr 0
		.amdhsa_user_sgpr_queue_ptr 0
		.amdhsa_user_sgpr_kernarg_segment_ptr 1
		.amdhsa_user_sgpr_dispatch_id 0
		.amdhsa_user_sgpr_kernarg_preload_length 0
		.amdhsa_user_sgpr_kernarg_preload_offset 0
		.amdhsa_user_sgpr_private_segment_size 0
		.amdhsa_uses_dynamic_stack 0
		.amdhsa_enable_private_segment 0
		.amdhsa_system_sgpr_workgroup_id_x 1
		.amdhsa_system_sgpr_workgroup_id_y 0
		.amdhsa_system_sgpr_workgroup_id_z 0
		.amdhsa_system_sgpr_workgroup_info 0
		.amdhsa_system_vgpr_workitem_id 0
		.amdhsa_next_free_vgpr 1
		.amdhsa_next_free_sgpr 0
		.amdhsa_accum_offset 4
		.amdhsa_reserve_vcc 0
		.amdhsa_float_round_mode_32 0
		.amdhsa_float_round_mode_16_64 0
		.amdhsa_float_denorm_mode_32 3
		.amdhsa_float_denorm_mode_16_64 3
		.amdhsa_dx10_clamp 1
		.amdhsa_ieee_mode 1
		.amdhsa_fp16_overflow 0
		.amdhsa_tg_split 0
		.amdhsa_exception_fp_ieee_invalid_op 0
		.amdhsa_exception_fp_denorm_src 0
		.amdhsa_exception_fp_ieee_div_zero 0
		.amdhsa_exception_fp_ieee_overflow 0
		.amdhsa_exception_fp_ieee_underflow 0
		.amdhsa_exception_fp_ieee_inexact 0
		.amdhsa_exception_int_div_zero 0
	.end_amdhsa_kernel
	.section	.text._ZN7rocprim17ROCPRIM_400000_NS6detail17trampoline_kernelINS0_14default_configENS1_35radix_sort_onesweep_config_selectorIbiEEZZNS1_29radix_sort_onesweep_iterationIS3_Lb0EN6thrust23THRUST_200600_302600_NS6detail15normal_iteratorINS8_10device_ptrIbEEEESD_NSA_INSB_IiEEEESF_jNS0_19identity_decomposerENS1_16block_id_wrapperIjLb1EEEEE10hipError_tT1_PNSt15iterator_traitsISK_E10value_typeET2_T3_PNSL_ISQ_E10value_typeET4_T5_PSV_SW_PNS1_23onesweep_lookback_stateEbbT6_jjT7_P12ihipStream_tbENKUlT_T0_SK_SP_E_clISD_PbSF_PiEEDaS13_S14_SK_SP_EUlS13_E_NS1_11comp_targetILNS1_3genE0ELNS1_11target_archE4294967295ELNS1_3gpuE0ELNS1_3repE0EEENS1_47radix_sort_onesweep_sort_config_static_selectorELNS0_4arch9wavefront6targetE1EEEvSK_,"axG",@progbits,_ZN7rocprim17ROCPRIM_400000_NS6detail17trampoline_kernelINS0_14default_configENS1_35radix_sort_onesweep_config_selectorIbiEEZZNS1_29radix_sort_onesweep_iterationIS3_Lb0EN6thrust23THRUST_200600_302600_NS6detail15normal_iteratorINS8_10device_ptrIbEEEESD_NSA_INSB_IiEEEESF_jNS0_19identity_decomposerENS1_16block_id_wrapperIjLb1EEEEE10hipError_tT1_PNSt15iterator_traitsISK_E10value_typeET2_T3_PNSL_ISQ_E10value_typeET4_T5_PSV_SW_PNS1_23onesweep_lookback_stateEbbT6_jjT7_P12ihipStream_tbENKUlT_T0_SK_SP_E_clISD_PbSF_PiEEDaS13_S14_SK_SP_EUlS13_E_NS1_11comp_targetILNS1_3genE0ELNS1_11target_archE4294967295ELNS1_3gpuE0ELNS1_3repE0EEENS1_47radix_sort_onesweep_sort_config_static_selectorELNS0_4arch9wavefront6targetE1EEEvSK_,comdat
.Lfunc_end2050:
	.size	_ZN7rocprim17ROCPRIM_400000_NS6detail17trampoline_kernelINS0_14default_configENS1_35radix_sort_onesweep_config_selectorIbiEEZZNS1_29radix_sort_onesweep_iterationIS3_Lb0EN6thrust23THRUST_200600_302600_NS6detail15normal_iteratorINS8_10device_ptrIbEEEESD_NSA_INSB_IiEEEESF_jNS0_19identity_decomposerENS1_16block_id_wrapperIjLb1EEEEE10hipError_tT1_PNSt15iterator_traitsISK_E10value_typeET2_T3_PNSL_ISQ_E10value_typeET4_T5_PSV_SW_PNS1_23onesweep_lookback_stateEbbT6_jjT7_P12ihipStream_tbENKUlT_T0_SK_SP_E_clISD_PbSF_PiEEDaS13_S14_SK_SP_EUlS13_E_NS1_11comp_targetILNS1_3genE0ELNS1_11target_archE4294967295ELNS1_3gpuE0ELNS1_3repE0EEENS1_47radix_sort_onesweep_sort_config_static_selectorELNS0_4arch9wavefront6targetE1EEEvSK_, .Lfunc_end2050-_ZN7rocprim17ROCPRIM_400000_NS6detail17trampoline_kernelINS0_14default_configENS1_35radix_sort_onesweep_config_selectorIbiEEZZNS1_29radix_sort_onesweep_iterationIS3_Lb0EN6thrust23THRUST_200600_302600_NS6detail15normal_iteratorINS8_10device_ptrIbEEEESD_NSA_INSB_IiEEEESF_jNS0_19identity_decomposerENS1_16block_id_wrapperIjLb1EEEEE10hipError_tT1_PNSt15iterator_traitsISK_E10value_typeET2_T3_PNSL_ISQ_E10value_typeET4_T5_PSV_SW_PNS1_23onesweep_lookback_stateEbbT6_jjT7_P12ihipStream_tbENKUlT_T0_SK_SP_E_clISD_PbSF_PiEEDaS13_S14_SK_SP_EUlS13_E_NS1_11comp_targetILNS1_3genE0ELNS1_11target_archE4294967295ELNS1_3gpuE0ELNS1_3repE0EEENS1_47radix_sort_onesweep_sort_config_static_selectorELNS0_4arch9wavefront6targetE1EEEvSK_
                                        ; -- End function
	.set _ZN7rocprim17ROCPRIM_400000_NS6detail17trampoline_kernelINS0_14default_configENS1_35radix_sort_onesweep_config_selectorIbiEEZZNS1_29radix_sort_onesweep_iterationIS3_Lb0EN6thrust23THRUST_200600_302600_NS6detail15normal_iteratorINS8_10device_ptrIbEEEESD_NSA_INSB_IiEEEESF_jNS0_19identity_decomposerENS1_16block_id_wrapperIjLb1EEEEE10hipError_tT1_PNSt15iterator_traitsISK_E10value_typeET2_T3_PNSL_ISQ_E10value_typeET4_T5_PSV_SW_PNS1_23onesweep_lookback_stateEbbT6_jjT7_P12ihipStream_tbENKUlT_T0_SK_SP_E_clISD_PbSF_PiEEDaS13_S14_SK_SP_EUlS13_E_NS1_11comp_targetILNS1_3genE0ELNS1_11target_archE4294967295ELNS1_3gpuE0ELNS1_3repE0EEENS1_47radix_sort_onesweep_sort_config_static_selectorELNS0_4arch9wavefront6targetE1EEEvSK_.num_vgpr, 0
	.set _ZN7rocprim17ROCPRIM_400000_NS6detail17trampoline_kernelINS0_14default_configENS1_35radix_sort_onesweep_config_selectorIbiEEZZNS1_29radix_sort_onesweep_iterationIS3_Lb0EN6thrust23THRUST_200600_302600_NS6detail15normal_iteratorINS8_10device_ptrIbEEEESD_NSA_INSB_IiEEEESF_jNS0_19identity_decomposerENS1_16block_id_wrapperIjLb1EEEEE10hipError_tT1_PNSt15iterator_traitsISK_E10value_typeET2_T3_PNSL_ISQ_E10value_typeET4_T5_PSV_SW_PNS1_23onesweep_lookback_stateEbbT6_jjT7_P12ihipStream_tbENKUlT_T0_SK_SP_E_clISD_PbSF_PiEEDaS13_S14_SK_SP_EUlS13_E_NS1_11comp_targetILNS1_3genE0ELNS1_11target_archE4294967295ELNS1_3gpuE0ELNS1_3repE0EEENS1_47radix_sort_onesweep_sort_config_static_selectorELNS0_4arch9wavefront6targetE1EEEvSK_.num_agpr, 0
	.set _ZN7rocprim17ROCPRIM_400000_NS6detail17trampoline_kernelINS0_14default_configENS1_35radix_sort_onesweep_config_selectorIbiEEZZNS1_29radix_sort_onesweep_iterationIS3_Lb0EN6thrust23THRUST_200600_302600_NS6detail15normal_iteratorINS8_10device_ptrIbEEEESD_NSA_INSB_IiEEEESF_jNS0_19identity_decomposerENS1_16block_id_wrapperIjLb1EEEEE10hipError_tT1_PNSt15iterator_traitsISK_E10value_typeET2_T3_PNSL_ISQ_E10value_typeET4_T5_PSV_SW_PNS1_23onesweep_lookback_stateEbbT6_jjT7_P12ihipStream_tbENKUlT_T0_SK_SP_E_clISD_PbSF_PiEEDaS13_S14_SK_SP_EUlS13_E_NS1_11comp_targetILNS1_3genE0ELNS1_11target_archE4294967295ELNS1_3gpuE0ELNS1_3repE0EEENS1_47radix_sort_onesweep_sort_config_static_selectorELNS0_4arch9wavefront6targetE1EEEvSK_.numbered_sgpr, 0
	.set _ZN7rocprim17ROCPRIM_400000_NS6detail17trampoline_kernelINS0_14default_configENS1_35radix_sort_onesweep_config_selectorIbiEEZZNS1_29radix_sort_onesweep_iterationIS3_Lb0EN6thrust23THRUST_200600_302600_NS6detail15normal_iteratorINS8_10device_ptrIbEEEESD_NSA_INSB_IiEEEESF_jNS0_19identity_decomposerENS1_16block_id_wrapperIjLb1EEEEE10hipError_tT1_PNSt15iterator_traitsISK_E10value_typeET2_T3_PNSL_ISQ_E10value_typeET4_T5_PSV_SW_PNS1_23onesweep_lookback_stateEbbT6_jjT7_P12ihipStream_tbENKUlT_T0_SK_SP_E_clISD_PbSF_PiEEDaS13_S14_SK_SP_EUlS13_E_NS1_11comp_targetILNS1_3genE0ELNS1_11target_archE4294967295ELNS1_3gpuE0ELNS1_3repE0EEENS1_47radix_sort_onesweep_sort_config_static_selectorELNS0_4arch9wavefront6targetE1EEEvSK_.num_named_barrier, 0
	.set _ZN7rocprim17ROCPRIM_400000_NS6detail17trampoline_kernelINS0_14default_configENS1_35radix_sort_onesweep_config_selectorIbiEEZZNS1_29radix_sort_onesweep_iterationIS3_Lb0EN6thrust23THRUST_200600_302600_NS6detail15normal_iteratorINS8_10device_ptrIbEEEESD_NSA_INSB_IiEEEESF_jNS0_19identity_decomposerENS1_16block_id_wrapperIjLb1EEEEE10hipError_tT1_PNSt15iterator_traitsISK_E10value_typeET2_T3_PNSL_ISQ_E10value_typeET4_T5_PSV_SW_PNS1_23onesweep_lookback_stateEbbT6_jjT7_P12ihipStream_tbENKUlT_T0_SK_SP_E_clISD_PbSF_PiEEDaS13_S14_SK_SP_EUlS13_E_NS1_11comp_targetILNS1_3genE0ELNS1_11target_archE4294967295ELNS1_3gpuE0ELNS1_3repE0EEENS1_47radix_sort_onesweep_sort_config_static_selectorELNS0_4arch9wavefront6targetE1EEEvSK_.private_seg_size, 0
	.set _ZN7rocprim17ROCPRIM_400000_NS6detail17trampoline_kernelINS0_14default_configENS1_35radix_sort_onesweep_config_selectorIbiEEZZNS1_29radix_sort_onesweep_iterationIS3_Lb0EN6thrust23THRUST_200600_302600_NS6detail15normal_iteratorINS8_10device_ptrIbEEEESD_NSA_INSB_IiEEEESF_jNS0_19identity_decomposerENS1_16block_id_wrapperIjLb1EEEEE10hipError_tT1_PNSt15iterator_traitsISK_E10value_typeET2_T3_PNSL_ISQ_E10value_typeET4_T5_PSV_SW_PNS1_23onesweep_lookback_stateEbbT6_jjT7_P12ihipStream_tbENKUlT_T0_SK_SP_E_clISD_PbSF_PiEEDaS13_S14_SK_SP_EUlS13_E_NS1_11comp_targetILNS1_3genE0ELNS1_11target_archE4294967295ELNS1_3gpuE0ELNS1_3repE0EEENS1_47radix_sort_onesweep_sort_config_static_selectorELNS0_4arch9wavefront6targetE1EEEvSK_.uses_vcc, 0
	.set _ZN7rocprim17ROCPRIM_400000_NS6detail17trampoline_kernelINS0_14default_configENS1_35radix_sort_onesweep_config_selectorIbiEEZZNS1_29radix_sort_onesweep_iterationIS3_Lb0EN6thrust23THRUST_200600_302600_NS6detail15normal_iteratorINS8_10device_ptrIbEEEESD_NSA_INSB_IiEEEESF_jNS0_19identity_decomposerENS1_16block_id_wrapperIjLb1EEEEE10hipError_tT1_PNSt15iterator_traitsISK_E10value_typeET2_T3_PNSL_ISQ_E10value_typeET4_T5_PSV_SW_PNS1_23onesweep_lookback_stateEbbT6_jjT7_P12ihipStream_tbENKUlT_T0_SK_SP_E_clISD_PbSF_PiEEDaS13_S14_SK_SP_EUlS13_E_NS1_11comp_targetILNS1_3genE0ELNS1_11target_archE4294967295ELNS1_3gpuE0ELNS1_3repE0EEENS1_47radix_sort_onesweep_sort_config_static_selectorELNS0_4arch9wavefront6targetE1EEEvSK_.uses_flat_scratch, 0
	.set _ZN7rocprim17ROCPRIM_400000_NS6detail17trampoline_kernelINS0_14default_configENS1_35radix_sort_onesweep_config_selectorIbiEEZZNS1_29radix_sort_onesweep_iterationIS3_Lb0EN6thrust23THRUST_200600_302600_NS6detail15normal_iteratorINS8_10device_ptrIbEEEESD_NSA_INSB_IiEEEESF_jNS0_19identity_decomposerENS1_16block_id_wrapperIjLb1EEEEE10hipError_tT1_PNSt15iterator_traitsISK_E10value_typeET2_T3_PNSL_ISQ_E10value_typeET4_T5_PSV_SW_PNS1_23onesweep_lookback_stateEbbT6_jjT7_P12ihipStream_tbENKUlT_T0_SK_SP_E_clISD_PbSF_PiEEDaS13_S14_SK_SP_EUlS13_E_NS1_11comp_targetILNS1_3genE0ELNS1_11target_archE4294967295ELNS1_3gpuE0ELNS1_3repE0EEENS1_47radix_sort_onesweep_sort_config_static_selectorELNS0_4arch9wavefront6targetE1EEEvSK_.has_dyn_sized_stack, 0
	.set _ZN7rocprim17ROCPRIM_400000_NS6detail17trampoline_kernelINS0_14default_configENS1_35radix_sort_onesweep_config_selectorIbiEEZZNS1_29radix_sort_onesweep_iterationIS3_Lb0EN6thrust23THRUST_200600_302600_NS6detail15normal_iteratorINS8_10device_ptrIbEEEESD_NSA_INSB_IiEEEESF_jNS0_19identity_decomposerENS1_16block_id_wrapperIjLb1EEEEE10hipError_tT1_PNSt15iterator_traitsISK_E10value_typeET2_T3_PNSL_ISQ_E10value_typeET4_T5_PSV_SW_PNS1_23onesweep_lookback_stateEbbT6_jjT7_P12ihipStream_tbENKUlT_T0_SK_SP_E_clISD_PbSF_PiEEDaS13_S14_SK_SP_EUlS13_E_NS1_11comp_targetILNS1_3genE0ELNS1_11target_archE4294967295ELNS1_3gpuE0ELNS1_3repE0EEENS1_47radix_sort_onesweep_sort_config_static_selectorELNS0_4arch9wavefront6targetE1EEEvSK_.has_recursion, 0
	.set _ZN7rocprim17ROCPRIM_400000_NS6detail17trampoline_kernelINS0_14default_configENS1_35radix_sort_onesweep_config_selectorIbiEEZZNS1_29radix_sort_onesweep_iterationIS3_Lb0EN6thrust23THRUST_200600_302600_NS6detail15normal_iteratorINS8_10device_ptrIbEEEESD_NSA_INSB_IiEEEESF_jNS0_19identity_decomposerENS1_16block_id_wrapperIjLb1EEEEE10hipError_tT1_PNSt15iterator_traitsISK_E10value_typeET2_T3_PNSL_ISQ_E10value_typeET4_T5_PSV_SW_PNS1_23onesweep_lookback_stateEbbT6_jjT7_P12ihipStream_tbENKUlT_T0_SK_SP_E_clISD_PbSF_PiEEDaS13_S14_SK_SP_EUlS13_E_NS1_11comp_targetILNS1_3genE0ELNS1_11target_archE4294967295ELNS1_3gpuE0ELNS1_3repE0EEENS1_47radix_sort_onesweep_sort_config_static_selectorELNS0_4arch9wavefront6targetE1EEEvSK_.has_indirect_call, 0
	.section	.AMDGPU.csdata,"",@progbits
; Kernel info:
; codeLenInByte = 0
; TotalNumSgprs: 6
; NumVgprs: 0
; NumAgprs: 0
; TotalNumVgprs: 0
; ScratchSize: 0
; MemoryBound: 0
; FloatMode: 240
; IeeeMode: 1
; LDSByteSize: 0 bytes/workgroup (compile time only)
; SGPRBlocks: 0
; VGPRBlocks: 0
; NumSGPRsForWavesPerEU: 6
; NumVGPRsForWavesPerEU: 1
; AccumOffset: 4
; Occupancy: 8
; WaveLimiterHint : 0
; COMPUTE_PGM_RSRC2:SCRATCH_EN: 0
; COMPUTE_PGM_RSRC2:USER_SGPR: 2
; COMPUTE_PGM_RSRC2:TRAP_HANDLER: 0
; COMPUTE_PGM_RSRC2:TGID_X_EN: 1
; COMPUTE_PGM_RSRC2:TGID_Y_EN: 0
; COMPUTE_PGM_RSRC2:TGID_Z_EN: 0
; COMPUTE_PGM_RSRC2:TIDIG_COMP_CNT: 0
; COMPUTE_PGM_RSRC3_GFX90A:ACCUM_OFFSET: 0
; COMPUTE_PGM_RSRC3_GFX90A:TG_SPLIT: 0
	.section	.text._ZN7rocprim17ROCPRIM_400000_NS6detail17trampoline_kernelINS0_14default_configENS1_35radix_sort_onesweep_config_selectorIbiEEZZNS1_29radix_sort_onesweep_iterationIS3_Lb0EN6thrust23THRUST_200600_302600_NS6detail15normal_iteratorINS8_10device_ptrIbEEEESD_NSA_INSB_IiEEEESF_jNS0_19identity_decomposerENS1_16block_id_wrapperIjLb1EEEEE10hipError_tT1_PNSt15iterator_traitsISK_E10value_typeET2_T3_PNSL_ISQ_E10value_typeET4_T5_PSV_SW_PNS1_23onesweep_lookback_stateEbbT6_jjT7_P12ihipStream_tbENKUlT_T0_SK_SP_E_clISD_PbSF_PiEEDaS13_S14_SK_SP_EUlS13_E_NS1_11comp_targetILNS1_3genE6ELNS1_11target_archE950ELNS1_3gpuE13ELNS1_3repE0EEENS1_47radix_sort_onesweep_sort_config_static_selectorELNS0_4arch9wavefront6targetE1EEEvSK_,"axG",@progbits,_ZN7rocprim17ROCPRIM_400000_NS6detail17trampoline_kernelINS0_14default_configENS1_35radix_sort_onesweep_config_selectorIbiEEZZNS1_29radix_sort_onesweep_iterationIS3_Lb0EN6thrust23THRUST_200600_302600_NS6detail15normal_iteratorINS8_10device_ptrIbEEEESD_NSA_INSB_IiEEEESF_jNS0_19identity_decomposerENS1_16block_id_wrapperIjLb1EEEEE10hipError_tT1_PNSt15iterator_traitsISK_E10value_typeET2_T3_PNSL_ISQ_E10value_typeET4_T5_PSV_SW_PNS1_23onesweep_lookback_stateEbbT6_jjT7_P12ihipStream_tbENKUlT_T0_SK_SP_E_clISD_PbSF_PiEEDaS13_S14_SK_SP_EUlS13_E_NS1_11comp_targetILNS1_3genE6ELNS1_11target_archE950ELNS1_3gpuE13ELNS1_3repE0EEENS1_47radix_sort_onesweep_sort_config_static_selectorELNS0_4arch9wavefront6targetE1EEEvSK_,comdat
	.protected	_ZN7rocprim17ROCPRIM_400000_NS6detail17trampoline_kernelINS0_14default_configENS1_35radix_sort_onesweep_config_selectorIbiEEZZNS1_29radix_sort_onesweep_iterationIS3_Lb0EN6thrust23THRUST_200600_302600_NS6detail15normal_iteratorINS8_10device_ptrIbEEEESD_NSA_INSB_IiEEEESF_jNS0_19identity_decomposerENS1_16block_id_wrapperIjLb1EEEEE10hipError_tT1_PNSt15iterator_traitsISK_E10value_typeET2_T3_PNSL_ISQ_E10value_typeET4_T5_PSV_SW_PNS1_23onesweep_lookback_stateEbbT6_jjT7_P12ihipStream_tbENKUlT_T0_SK_SP_E_clISD_PbSF_PiEEDaS13_S14_SK_SP_EUlS13_E_NS1_11comp_targetILNS1_3genE6ELNS1_11target_archE950ELNS1_3gpuE13ELNS1_3repE0EEENS1_47radix_sort_onesweep_sort_config_static_selectorELNS0_4arch9wavefront6targetE1EEEvSK_ ; -- Begin function _ZN7rocprim17ROCPRIM_400000_NS6detail17trampoline_kernelINS0_14default_configENS1_35radix_sort_onesweep_config_selectorIbiEEZZNS1_29radix_sort_onesweep_iterationIS3_Lb0EN6thrust23THRUST_200600_302600_NS6detail15normal_iteratorINS8_10device_ptrIbEEEESD_NSA_INSB_IiEEEESF_jNS0_19identity_decomposerENS1_16block_id_wrapperIjLb1EEEEE10hipError_tT1_PNSt15iterator_traitsISK_E10value_typeET2_T3_PNSL_ISQ_E10value_typeET4_T5_PSV_SW_PNS1_23onesweep_lookback_stateEbbT6_jjT7_P12ihipStream_tbENKUlT_T0_SK_SP_E_clISD_PbSF_PiEEDaS13_S14_SK_SP_EUlS13_E_NS1_11comp_targetILNS1_3genE6ELNS1_11target_archE950ELNS1_3gpuE13ELNS1_3repE0EEENS1_47radix_sort_onesweep_sort_config_static_selectorELNS0_4arch9wavefront6targetE1EEEvSK_
	.globl	_ZN7rocprim17ROCPRIM_400000_NS6detail17trampoline_kernelINS0_14default_configENS1_35radix_sort_onesweep_config_selectorIbiEEZZNS1_29radix_sort_onesweep_iterationIS3_Lb0EN6thrust23THRUST_200600_302600_NS6detail15normal_iteratorINS8_10device_ptrIbEEEESD_NSA_INSB_IiEEEESF_jNS0_19identity_decomposerENS1_16block_id_wrapperIjLb1EEEEE10hipError_tT1_PNSt15iterator_traitsISK_E10value_typeET2_T3_PNSL_ISQ_E10value_typeET4_T5_PSV_SW_PNS1_23onesweep_lookback_stateEbbT6_jjT7_P12ihipStream_tbENKUlT_T0_SK_SP_E_clISD_PbSF_PiEEDaS13_S14_SK_SP_EUlS13_E_NS1_11comp_targetILNS1_3genE6ELNS1_11target_archE950ELNS1_3gpuE13ELNS1_3repE0EEENS1_47radix_sort_onesweep_sort_config_static_selectorELNS0_4arch9wavefront6targetE1EEEvSK_
	.p2align	8
	.type	_ZN7rocprim17ROCPRIM_400000_NS6detail17trampoline_kernelINS0_14default_configENS1_35radix_sort_onesweep_config_selectorIbiEEZZNS1_29radix_sort_onesweep_iterationIS3_Lb0EN6thrust23THRUST_200600_302600_NS6detail15normal_iteratorINS8_10device_ptrIbEEEESD_NSA_INSB_IiEEEESF_jNS0_19identity_decomposerENS1_16block_id_wrapperIjLb1EEEEE10hipError_tT1_PNSt15iterator_traitsISK_E10value_typeET2_T3_PNSL_ISQ_E10value_typeET4_T5_PSV_SW_PNS1_23onesweep_lookback_stateEbbT6_jjT7_P12ihipStream_tbENKUlT_T0_SK_SP_E_clISD_PbSF_PiEEDaS13_S14_SK_SP_EUlS13_E_NS1_11comp_targetILNS1_3genE6ELNS1_11target_archE950ELNS1_3gpuE13ELNS1_3repE0EEENS1_47radix_sort_onesweep_sort_config_static_selectorELNS0_4arch9wavefront6targetE1EEEvSK_,@function
_ZN7rocprim17ROCPRIM_400000_NS6detail17trampoline_kernelINS0_14default_configENS1_35radix_sort_onesweep_config_selectorIbiEEZZNS1_29radix_sort_onesweep_iterationIS3_Lb0EN6thrust23THRUST_200600_302600_NS6detail15normal_iteratorINS8_10device_ptrIbEEEESD_NSA_INSB_IiEEEESF_jNS0_19identity_decomposerENS1_16block_id_wrapperIjLb1EEEEE10hipError_tT1_PNSt15iterator_traitsISK_E10value_typeET2_T3_PNSL_ISQ_E10value_typeET4_T5_PSV_SW_PNS1_23onesweep_lookback_stateEbbT6_jjT7_P12ihipStream_tbENKUlT_T0_SK_SP_E_clISD_PbSF_PiEEDaS13_S14_SK_SP_EUlS13_E_NS1_11comp_targetILNS1_3genE6ELNS1_11target_archE950ELNS1_3gpuE13ELNS1_3repE0EEENS1_47radix_sort_onesweep_sort_config_static_selectorELNS0_4arch9wavefront6targetE1EEEvSK_: ; @_ZN7rocprim17ROCPRIM_400000_NS6detail17trampoline_kernelINS0_14default_configENS1_35radix_sort_onesweep_config_selectorIbiEEZZNS1_29radix_sort_onesweep_iterationIS3_Lb0EN6thrust23THRUST_200600_302600_NS6detail15normal_iteratorINS8_10device_ptrIbEEEESD_NSA_INSB_IiEEEESF_jNS0_19identity_decomposerENS1_16block_id_wrapperIjLb1EEEEE10hipError_tT1_PNSt15iterator_traitsISK_E10value_typeET2_T3_PNSL_ISQ_E10value_typeET4_T5_PSV_SW_PNS1_23onesweep_lookback_stateEbbT6_jjT7_P12ihipStream_tbENKUlT_T0_SK_SP_E_clISD_PbSF_PiEEDaS13_S14_SK_SP_EUlS13_E_NS1_11comp_targetILNS1_3genE6ELNS1_11target_archE950ELNS1_3gpuE13ELNS1_3repE0EEENS1_47radix_sort_onesweep_sort_config_static_selectorELNS0_4arch9wavefront6targetE1EEEvSK_
; %bb.0:
	s_load_dwordx4 s[56:59], s[0:1], 0x28
	s_load_dwordx2 s[64:65], s[0:1], 0x38
	s_load_dwordx4 s[60:63], s[0:1], 0x44
	v_and_b32_e32 v16, 0x3ff, v0
	v_cmp_eq_u32_e64 s[44:45], 0, v16
	s_and_saveexec_b64 s[4:5], s[44:45]
	s_cbranch_execz .LBB2051_4
; %bb.1:
	s_mov_b64 s[8:9], exec
	v_mbcnt_lo_u32_b32 v1, s8, 0
	v_mbcnt_hi_u32_b32 v1, s9, v1
	v_cmp_eq_u32_e32 vcc, 0, v1
                                        ; implicit-def: $vgpr2
	s_and_saveexec_b64 s[6:7], vcc
	s_cbranch_execz .LBB2051_3
; %bb.2:
	s_load_dwordx2 s[10:11], s[0:1], 0x50
	s_bcnt1_i32_b64 s3, s[8:9]
	v_mov_b32_e32 v2, 0
	v_mov_b32_e32 v3, s3
	s_waitcnt lgkmcnt(0)
	global_atomic_add v2, v2, v3, s[10:11] sc0
.LBB2051_3:
	s_or_b64 exec, exec, s[6:7]
	s_waitcnt vmcnt(0)
	v_readfirstlane_b32 s3, v2
	v_mov_b32_e32 v2, 0
	s_nop 0
	v_add_u32_e32 v1, s3, v1
	ds_write_b32 v2, v1 offset:20544
.LBB2051_4:
	s_or_b64 exec, exec, s[4:5]
	v_mov_b32_e32 v3, 0
	s_load_dwordx8 s[48:55], s[0:1], 0x0
	s_load_dword s3, s[0:1], 0x20
	s_waitcnt lgkmcnt(0)
	s_barrier
	ds_read_b32 v1, v3 offset:20544
	s_mov_b64 s[4:5], -1
	v_mbcnt_lo_u32_b32 v12, -1, 0
	s_waitcnt lgkmcnt(0)
	s_barrier
	v_cmp_le_u32_e32 vcc, s62, v1
	v_readfirstlane_b32 s33, v1
	v_lshlrev_b32_e32 v1, 4, v16
	s_cbranch_vccz .LBB2051_198
; %bb.5:
	s_lshl_b32 s4, s62, 14
	s_sub_i32 s3, s3, s4
	s_lshl_b32 s62, s33, 14
	s_add_u32 s4, s48, s62
	v_mbcnt_hi_u32_b32 v33, -1, v12
	s_addc_u32 s5, s49, 0
	v_and_b32_e32 v2, 63, v33
	v_and_b32_e32 v4, 0x3c00, v1
	v_lshl_add_u64 v[6:7], s[4:5], 0, v[2:3]
	v_mov_b32_e32 v5, v3
	v_or_b32_e32 v9, v2, v4
	s_mov_b32 s63, 0
	v_lshl_add_u64 v[6:7], v[6:7], 0, v[4:5]
	v_cmp_gt_u32_e32 vcc, s3, v9
	v_mov_b32_e32 v8, 1
	v_mov_b32_e32 v3, 1
	;; [unrolled: 1-line block ×3, first 2 shown]
	s_and_saveexec_b64 s[4:5], vcc
	s_cbranch_execz .LBB2051_7
; %bb.6:
	global_load_ubyte v10, v[6:7], off
	s_waitcnt vmcnt(0)
	v_and_b32_e32 v8, 1, v10
.LBB2051_7:
	s_or_b64 exec, exec, s[4:5]
	v_or_b32_e32 v5, 64, v9
	v_cmp_gt_u32_e64 s[4:5], s3, v5
	v_mov_b32_e32 v5, 1
	s_and_saveexec_b64 s[6:7], s[4:5]
	s_cbranch_execz .LBB2051_9
; %bb.8:
	global_load_ubyte v3, v[6:7], off offset:64
	s_waitcnt vmcnt(0)
	v_and_b32_e32 v5, 1, v3
.LBB2051_9:
	s_or_b64 exec, exec, s[6:7]
	v_or_b32_e32 v11, 0x80, v9
	v_cmp_gt_u32_e64 s[6:7], s3, v11
	v_mov_b32_e32 v14, 1
	v_mov_b32_e32 v11, 1
	v_mov_b32_e32 v28, 1
	s_and_saveexec_b64 s[8:9], s[6:7]
	s_cbranch_execz .LBB2051_11
; %bb.10:
	global_load_ubyte v28, v[6:7], off offset:128
	s_waitcnt vmcnt(0)
	v_and_b32_e32 v14, 1, v28
.LBB2051_11:
	s_or_b64 exec, exec, s[8:9]
	v_or_b32_e32 v13, 0xc0, v9
	v_cmp_gt_u32_e64 s[8:9], s3, v13
	v_mov_b32_e32 v17, 1
	s_and_saveexec_b64 s[10:11], s[8:9]
	s_cbranch_execz .LBB2051_13
; %bb.12:
	global_load_ubyte v11, v[6:7], off offset:192
	s_waitcnt vmcnt(0)
	v_and_b32_e32 v17, 1, v11
.LBB2051_13:
	s_or_b64 exec, exec, s[10:11]
	v_or_b32_e32 v13, 0x100, v9
	v_cmp_gt_u32_e64 s[10:11], s3, v13
	v_mov_b32_e32 v19, 1
	v_mov_b32_e32 v30, 1
	v_mov_b32_e32 v31, 1
	s_and_saveexec_b64 s[12:13], s[10:11]
	s_cbranch_execz .LBB2051_15
; %bb.14:
	global_load_ubyte v31, v[6:7], off offset:256
	s_waitcnt vmcnt(0)
	v_and_b32_e32 v19, 1, v31
.LBB2051_15:
	;; [unrolled: 24-line block ×7, first 2 shown]
	s_or_b64 exec, exec, s[34:35]
	v_or_b32_e32 v9, 0x3c0, v9
	v_cmp_gt_u32_e64 s[34:35], s3, v9
	v_mov_b32_e32 v57, 1
	s_and_saveexec_b64 s[36:37], s[34:35]
	s_cbranch_execz .LBB2051_37
; %bb.36:
	global_load_ubyte v52, v[6:7], off offset:960
	s_waitcnt vmcnt(0)
	v_and_b32_e32 v57, 1, v52
.LBB2051_37:
	s_or_b64 exec, exec, s[36:37]
	s_load_dword s36, s[0:1], 0x64
	s_load_dword s68, s[0:1], 0x58
	s_add_u32 s37, s0, 0x58
	s_addc_u32 s38, s1, 0
	v_mov_b32_e32 v7, 0
	s_waitcnt lgkmcnt(0)
	s_lshr_b32 s39, s36, 16
	s_cmp_lt_u32 s2, s68
	s_cselect_b32 s36, 12, 18
	s_add_u32 s36, s37, s36
	s_addc_u32 s37, s38, 0
	global_load_ushort v13, v7, s[36:37]
	v_bfe_u32 v6, v0, 10, 10
	v_bfe_u32 v9, v0, 20, 10
	v_lshrrev_b32_e32 v8, s60, v8
	s_lshl_b32 s36, -1, s61
	v_mad_u32_u24 v15, v9, s39, v6
	v_bitop3_b32 v6, v8, s36, v8 bitop3:0x30
	s_not_b32 s69, s36
	v_cmp_ne_u32_e64 s[36:37], 0, v6
	v_lshl_add_u64 v[8:9], v[6:7], 0, -1
	v_mul_u32_u24_e32 v18, 0x44, v6
	v_xor_b32_e32 v8, s36, v8
	v_xor_b32_e32 v6, s37, v9
	v_and_b32_e32 v8, exec_lo, v8
	v_and_b32_e32 v9, exec_hi, v6
	v_mbcnt_lo_u32_b32 v6, v8, 0
	v_mbcnt_hi_u32_b32 v46, v9, v6
	v_cmp_ne_u64_e64 s[36:37], 0, v[8:9]
	v_cmp_eq_u32_e64 s[38:39], 0, v46
	v_mul_u32_u24_e32 v42, 20, v16
	s_movk_i32 s40, 0x44
	s_and_b64 s[38:39], s[36:37], s[38:39]
	ds_write2_b32 v42, v7, v7 offset0:16 offset1:17
	ds_write2_b32 v42, v7, v7 offset0:18 offset1:19
	ds_write_b32 v42, v7 offset:80
	s_waitcnt lgkmcnt(0)
	s_barrier
	s_waitcnt vmcnt(0)
	; wave barrier
	v_mad_u64_u32 v[58:59], s[42:43], v15, v13, v[16:17]
	v_lshrrev_b32_e32 v6, 4, v58
	v_and_b32_e32 v63, 0xffffffc, v6
	v_add_u32_e32 v59, v63, v18
	s_and_saveexec_b64 s[36:37], s[38:39]
; %bb.38:
	v_bcnt_u32_b32 v6, v8, 0
	v_bcnt_u32_b32 v6, v9, v6
	ds_write_b32 v59, v6 offset:64
; %bb.39:
	s_or_b64 exec, exec, s[36:37]
	v_lshrrev_b32_e32 v5, s60, v5
	v_and_b32_e32 v6, s69, v5
	v_mul_u32_u24_e32 v8, 0x44, v6
	v_mad_u32_u24 v5, v6, s40, v63
	v_cmp_ne_u32_e64 s[36:37], 0, v6
	v_lshl_add_u64 v[6:7], v[6:7], 0, -1
	s_nop 0
	v_xor_b32_e32 v6, s36, v6
	; wave barrier
	ds_read_b32 v5, v5 offset:64
	v_xor_b32_e32 v7, s37, v7
	v_and_b32_e32 v6, exec_lo, v6
	v_and_b32_e32 v7, exec_hi, v7
	v_mbcnt_lo_u32_b32 v9, v6, 0
	v_mbcnt_hi_u32_b32 v13, v7, v9
	v_cmp_eq_u32_e64 s[36:37], 0, v13
	v_cmp_ne_u64_e64 s[38:39], 0, v[6:7]
	s_and_b64 s[38:39], s[38:39], s[36:37]
	v_add_u32_e32 v60, v63, v8
	; wave barrier
	s_and_saveexec_b64 s[36:37], s[38:39]
	s_cbranch_execz .LBB2051_41
; %bb.40:
	v_bcnt_u32_b32 v6, v6, 0
	v_bcnt_u32_b32 v6, v7, v6
	s_waitcnt lgkmcnt(0)
	v_add_u32_e32 v6, v5, v6
	ds_write_b32 v60, v6 offset:64
.LBB2051_41:
	s_or_b64 exec, exec, s[36:37]
	v_lshrrev_b32_e32 v6, s60, v14
	v_and_b32_e32 v6, s69, v6
	v_mad_u32_u24 v7, v6, s40, v63
	; wave barrier
	ds_read_b32 v14, v7 offset:64
	v_mov_b32_e32 v7, 0
	v_cmp_ne_u32_e64 s[36:37], 0, v6
	v_lshl_add_u64 v[8:9], v[6:7], 0, -1
	v_mul_u32_u24_e32 v18, 0x44, v6
	v_xor_b32_e32 v8, s36, v8
	v_xor_b32_e32 v6, s37, v9
	v_and_b32_e32 v8, exec_lo, v8
	v_and_b32_e32 v9, exec_hi, v6
	v_mbcnt_lo_u32_b32 v6, v8, 0
	v_mbcnt_hi_u32_b32 v15, v9, v6
	v_cmp_eq_u32_e64 s[36:37], 0, v15
	v_cmp_ne_u64_e64 s[38:39], 0, v[8:9]
	s_and_b64 s[38:39], s[38:39], s[36:37]
	v_add_u32_e32 v61, v63, v18
	; wave barrier
	s_and_saveexec_b64 s[36:37], s[38:39]
	s_cbranch_execz .LBB2051_43
; %bb.42:
	v_bcnt_u32_b32 v6, v8, 0
	v_bcnt_u32_b32 v6, v9, v6
	s_waitcnt lgkmcnt(0)
	v_add_u32_e32 v6, v14, v6
	ds_write_b32 v61, v6 offset:64
.LBB2051_43:
	s_or_b64 exec, exec, s[36:37]
	v_lshrrev_b32_e32 v6, s60, v17
	v_and_b32_e32 v6, s69, v6
	v_mul_u32_u24_e32 v8, 0x44, v6
	v_mad_u32_u24 v9, v6, s40, v63
	v_cmp_ne_u32_e64 s[36:37], 0, v6
	v_lshl_add_u64 v[6:7], v[6:7], 0, -1
	s_nop 0
	v_xor_b32_e32 v6, s36, v6
	; wave barrier
	ds_read_b32 v17, v9 offset:64
	v_xor_b32_e32 v7, s37, v7
	v_and_b32_e32 v6, exec_lo, v6
	v_and_b32_e32 v7, exec_hi, v7
	v_mbcnt_lo_u32_b32 v9, v6, 0
	v_mbcnt_hi_u32_b32 v18, v7, v9
	v_cmp_eq_u32_e64 s[36:37], 0, v18
	v_cmp_ne_u64_e64 s[38:39], 0, v[6:7]
	s_and_b64 s[38:39], s[38:39], s[36:37]
	v_add_u32_e32 v62, v63, v8
	; wave barrier
	s_and_saveexec_b64 s[36:37], s[38:39]
	s_cbranch_execz .LBB2051_45
; %bb.44:
	v_bcnt_u32_b32 v6, v6, 0
	v_bcnt_u32_b32 v6, v7, v6
	s_waitcnt lgkmcnt(0)
	v_add_u32_e32 v6, v17, v6
	ds_write_b32 v62, v6 offset:64
.LBB2051_45:
	s_or_b64 exec, exec, s[36:37]
	v_lshrrev_b32_e32 v6, s60, v19
	v_and_b32_e32 v6, s69, v6
	v_mad_u32_u24 v7, v6, s40, v63
	; wave barrier
	ds_read_b32 v19, v7 offset:64
	v_mov_b32_e32 v7, 0
	v_cmp_ne_u32_e64 s[36:37], 0, v6
	v_lshl_add_u64 v[8:9], v[6:7], 0, -1
	v_mul_u32_u24_e32 v22, 0x44, v6
	v_xor_b32_e32 v8, s36, v8
	v_xor_b32_e32 v6, s37, v9
	v_and_b32_e32 v8, exec_lo, v8
	v_and_b32_e32 v9, exec_hi, v6
	v_mbcnt_lo_u32_b32 v6, v8, 0
	v_mbcnt_hi_u32_b32 v20, v9, v6
	v_cmp_eq_u32_e64 s[36:37], 0, v20
	v_cmp_ne_u64_e64 s[38:39], 0, v[8:9]
	s_and_b64 s[38:39], s[38:39], s[36:37]
	v_add_u32_e32 v64, v63, v22
	; wave barrier
	s_and_saveexec_b64 s[36:37], s[38:39]
	s_cbranch_execz .LBB2051_47
; %bb.46:
	v_bcnt_u32_b32 v6, v8, 0
	v_bcnt_u32_b32 v6, v9, v6
	s_waitcnt lgkmcnt(0)
	v_add_u32_e32 v6, v19, v6
	ds_write_b32 v64, v6 offset:64
.LBB2051_47:
	;; [unrolled: 60-line block ×7, first 2 shown]
	s_or_b64 exec, exec, s[36:37]
	v_lshrrev_b32_e32 v6, s60, v57
	v_and_b32_e32 v6, s69, v6
	v_mul_u32_u24_e32 v8, 0x44, v6
	v_mad_u32_u24 v9, v6, s40, v63
	v_cmp_ne_u32_e64 s[36:37], 0, v6
	v_lshl_add_u64 v[6:7], v[6:7], 0, -1
	s_nop 0
	v_xor_b32_e32 v6, s36, v6
	; wave barrier
	ds_read_b32 v57, v9 offset:64
	v_xor_b32_e32 v7, s37, v7
	v_and_b32_e32 v6, exec_lo, v6
	v_and_b32_e32 v7, exec_hi, v7
	v_mbcnt_lo_u32_b32 v9, v6, 0
	v_mbcnt_hi_u32_b32 v58, v7, v9
	v_cmp_eq_u32_e64 s[36:37], 0, v58
	v_cmp_ne_u64_e64 s[38:39], 0, v[6:7]
	s_and_b64 s[38:39], s[38:39], s[36:37]
	v_add_u32_e32 v75, v63, v8
	; wave barrier
	s_and_saveexec_b64 s[36:37], s[38:39]
	s_cbranch_execz .LBB2051_69
; %bb.68:
	v_bcnt_u32_b32 v6, v6, 0
	v_bcnt_u32_b32 v6, v7, v6
	s_waitcnt lgkmcnt(0)
	v_add_u32_e32 v6, v57, v6
	ds_write_b32 v75, v6 offset:64
.LBB2051_69:
	s_or_b64 exec, exec, s[36:37]
	; wave barrier
	s_waitcnt lgkmcnt(0)
	s_barrier
	ds_read2_b32 v[8:9], v42 offset0:16 offset1:17
	ds_read2_b32 v[6:7], v42 offset0:18 offset1:19
	ds_read_b32 v63, v42 offset:80
	v_cmp_lt_u32_e64 s[46:47], 31, v33
	s_waitcnt lgkmcnt(1)
	v_add3_u32 v76, v9, v8, v6
	s_waitcnt lgkmcnt(0)
	v_add3_u32 v63, v76, v7, v63
	v_and_b32_e32 v76, 15, v33
	v_cmp_eq_u32_e64 s[36:37], 0, v76
	v_mov_b32_dpp v77, v63 row_shr:1 row_mask:0xf bank_mask:0xf
	v_cmp_lt_u32_e64 s[38:39], 1, v76
	v_cndmask_b32_e64 v77, v77, 0, s[36:37]
	v_add_u32_e32 v63, v77, v63
	v_cmp_lt_u32_e64 s[40:41], 3, v76
	v_cmp_lt_u32_e64 s[42:43], 7, v76
	v_mov_b32_dpp v77, v63 row_shr:2 row_mask:0xf bank_mask:0xf
	v_cndmask_b32_e64 v77, 0, v77, s[38:39]
	v_add_u32_e32 v63, v63, v77
	s_nop 1
	v_mov_b32_dpp v77, v63 row_shr:4 row_mask:0xf bank_mask:0xf
	v_cndmask_b32_e64 v77, 0, v77, s[40:41]
	v_add_u32_e32 v63, v63, v77
	s_nop 1
	v_mov_b32_dpp v77, v63 row_shr:8 row_mask:0xf bank_mask:0xf
	v_cndmask_b32_e64 v76, 0, v77, s[42:43]
	v_add_u32_e32 v63, v63, v76
	v_bfe_i32 v77, v33, 4, 1
	s_nop 0
	v_mov_b32_dpp v76, v63 row_bcast:15 row_mask:0xf bank_mask:0xf
	v_and_b32_e32 v76, v77, v76
	v_add_u32_e32 v63, v63, v76
	v_and_b32_e32 v77, 63, v16
	s_nop 0
	v_mov_b32_dpp v76, v63 row_bcast:31 row_mask:0xf bank_mask:0xf
	v_cndmask_b32_e64 v76, 0, v76, s[46:47]
	v_add_u32_e32 v63, v63, v76
	v_lshrrev_b32_e32 v76, 6, v16
	v_cmp_eq_u32_e64 s[46:47], 63, v77
	s_and_saveexec_b64 s[66:67], s[46:47]
; %bb.70:
	v_lshlrev_b32_e32 v77, 2, v76
	ds_write_b32 v77, v63
; %bb.71:
	s_or_b64 exec, exec, s[66:67]
	v_cmp_gt_u32_e64 s[46:47], 16, v16
	s_waitcnt lgkmcnt(0)
	s_barrier
	s_and_saveexec_b64 s[66:67], s[46:47]
	s_cbranch_execz .LBB2051_73
; %bb.72:
	v_lshlrev_b32_e32 v77, 2, v16
	ds_read_b32 v78, v77
	s_waitcnt lgkmcnt(0)
	s_nop 0
	v_mov_b32_dpp v79, v78 row_shr:1 row_mask:0xf bank_mask:0xf
	v_cndmask_b32_e64 v79, v79, 0, s[36:37]
	v_add_u32_e32 v78, v79, v78
	s_nop 1
	v_mov_b32_dpp v79, v78 row_shr:2 row_mask:0xf bank_mask:0xf
	v_cndmask_b32_e64 v79, 0, v79, s[38:39]
	v_add_u32_e32 v78, v78, v79
	;; [unrolled: 4-line block ×4, first 2 shown]
	ds_write_b32 v77, v78
.LBB2051_73:
	s_or_b64 exec, exec, s[66:67]
	v_cmp_lt_u32_e64 s[36:37], 63, v16
	v_mov_b32_e32 v77, 0
	s_waitcnt lgkmcnt(0)
	s_barrier
	s_and_saveexec_b64 s[38:39], s[36:37]
; %bb.74:
	v_lshl_add_u32 v76, v76, 2, -4
	ds_read_b32 v77, v76
; %bb.75:
	s_or_b64 exec, exec, s[38:39]
	v_subrev_co_u32_e64 v76, s[36:37], 1, v33
	v_and_b32_e32 v78, 64, v33
	v_cmp_lt_i32_e64 s[38:39], v76, v78
	s_waitcnt lgkmcnt(0)
	v_add_u32_e32 v63, v77, v63
	s_movk_i32 s40, 0x100
	v_cndmask_b32_e64 v33, v76, v33, s[38:39]
	v_lshlrev_b32_e32 v33, 2, v33
	ds_bpermute_b32 v33, v33, v63
	v_cmp_gt_u32_e64 s[38:39], s40, v16
	s_waitcnt lgkmcnt(0)
	v_cndmask_b32_e64 v33, v33, v77, s[36:37]
	v_cndmask_b32_e64 v33, v33, 0, s[44:45]
	v_add_u32_e32 v8, v33, v8
	v_add_u32_e32 v9, v8, v9
	;; [unrolled: 1-line block ×4, first 2 shown]
	ds_write2_b32 v42, v33, v8 offset0:16 offset1:17
	ds_write2_b32 v42, v9, v6 offset0:18 offset1:19
	ds_write_b32 v42, v7 offset:80
	s_waitcnt lgkmcnt(0)
	s_barrier
	ds_read_b32 v6, v59 offset:64
	ds_read_b32 v59, v60 offset:64
	;; [unrolled: 1-line block ×16, first 2 shown]
	s_movk_i32 s36, 0xff
	v_cmp_lt_u32_e64 s[36:37], s36, v16
                                        ; implicit-def: $vgpr33
                                        ; implicit-def: $vgpr42
	s_and_saveexec_b64 s[42:43], s[38:39]
	s_cbranch_execz .LBB2051_79
; %bb.76:
	v_mul_u32_u24_e32 v7, 0x44, v16
	ds_read_b32 v33, v7 offset:64
	v_add_u32_e32 v8, 1, v16
	v_cmp_ne_u32_e64 s[40:41], s40, v8
	v_mov_b32_e32 v7, 0x4000
	s_and_saveexec_b64 s[46:47], s[40:41]
; %bb.77:
	v_mul_u32_u24_e32 v7, 0x44, v8
	ds_read_b32 v7, v7 offset:64
; %bb.78:
	s_or_b64 exec, exec, s[46:47]
	s_waitcnt lgkmcnt(0)
	v_sub_u32_e32 v42, v7, v33
.LBB2051_79:
	s_or_b64 exec, exec, s[42:43]
	s_waitcnt lgkmcnt(14)
	v_add_u32_e32 v46, v6, v46
	v_add3_u32 v74, v13, v5, v59
	s_waitcnt lgkmcnt(13)
	v_add3_u32 v75, v15, v14, v60
	s_waitcnt lgkmcnt(12)
	;; [unrolled: 2-line block ×14, first 2 shown]
	v_add3_u32 v88, v58, v57, v73
	s_barrier
	ds_write_b8 v46, v10 offset:1024
	ds_write_b8 v74, v3 offset:1024
	;; [unrolled: 1-line block ×16, first 2 shown]
	v_mov_b32_e32 v7, 0
	v_lshlrev_b32_e32 v28, 2, v16
	s_and_saveexec_b64 s[40:41], s[38:39]
	s_cbranch_execz .LBB2051_89
; %bb.80:
	v_lshl_add_u32 v6, s33, 8, v16
	v_lshl_add_u64 v[8:9], v[6:7], 2, s[64:65]
	v_or_b32_e32 v3, 2.0, v42
	global_store_dword v[8:9], v3, off sc1
	s_mov_b64 s[42:43], 0
	s_brev_b32 s70, -4
	s_mov_b32 s71, s33
	v_mov_b32_e32 v3, 0
                                        ; implicit-def: $sgpr38_sgpr39
	s_branch .LBB2051_83
.LBB2051_81:                            ;   in Loop: Header=BB2051_83 Depth=1
	s_or_b64 exec, exec, s[66:67]
.LBB2051_82:                            ;   in Loop: Header=BB2051_83 Depth=1
	s_or_b64 exec, exec, s[46:47]
	v_and_b32_e32 v10, 0x3fffffff, v6
	v_add_u32_e32 v3, v10, v3
	v_cmp_gt_i32_e64 s[38:39], -2.0, v6
	s_and_b64 s[46:47], exec, s[38:39]
	s_or_b64 s[42:43], s[46:47], s[42:43]
	s_andn2_b64 exec, exec, s[42:43]
	s_cbranch_execz .LBB2051_88
.LBB2051_83:                            ; =>This Loop Header: Depth=1
                                        ;     Child Loop BB2051_86 Depth 2
	s_or_b64 s[38:39], s[38:39], exec
	s_cmp_eq_u32 s71, 0
	s_cbranch_scc1 .LBB2051_87
; %bb.84:                               ;   in Loop: Header=BB2051_83 Depth=1
	s_add_i32 s71, s71, -1
	v_lshl_or_b32 v6, s71, 8, v16
	v_lshl_add_u64 v[10:11], v[6:7], 2, s[64:65]
	global_load_dword v6, v[10:11], off sc1
	s_waitcnt vmcnt(0)
	v_cmp_gt_u32_e64 s[38:39], 2.0, v6
	s_and_saveexec_b64 s[46:47], s[38:39]
	s_cbranch_execz .LBB2051_82
; %bb.85:                               ;   in Loop: Header=BB2051_83 Depth=1
	s_mov_b64 s[66:67], 0
.LBB2051_86:                            ;   Parent Loop BB2051_83 Depth=1
                                        ; =>  This Inner Loop Header: Depth=2
	global_load_dword v6, v[10:11], off sc1
	s_waitcnt vmcnt(0)
	v_cmp_lt_u32_e64 s[38:39], s70, v6
	s_or_b64 s[66:67], s[38:39], s[66:67]
	s_andn2_b64 exec, exec, s[66:67]
	s_cbranch_execnz .LBB2051_86
	s_branch .LBB2051_81
.LBB2051_87:                            ;   in Loop: Header=BB2051_83 Depth=1
                                        ; implicit-def: $sgpr71
	s_and_b64 s[46:47], exec, s[38:39]
	s_or_b64 s[42:43], s[46:47], s[42:43]
	s_andn2_b64 exec, exec, s[42:43]
	s_cbranch_execnz .LBB2051_83
.LBB2051_88:
	s_or_b64 exec, exec, s[42:43]
	v_add_u32_e32 v6, v3, v42
	v_or_b32_e32 v6, 0x80000000, v6
	global_store_dword v[8:9], v6, off sc1
	global_load_dword v6, v28, s[56:57]
	v_sub_u32_e32 v3, v3, v33
	s_waitcnt vmcnt(0)
	v_add_u32_e32 v3, v3, v6
	ds_write_b32 v28, v3
.LBB2051_89:
	s_or_b64 exec, exec, s[40:41]
	v_cmp_gt_u32_e64 s[38:39], s3, v16
	s_waitcnt lgkmcnt(0)
	s_barrier
	s_and_saveexec_b64 s[40:41], s[38:39]
	s_cbranch_execz .LBB2051_91
; %bb.90:
	ds_read_u8 v3, v16 offset:1024
	s_waitcnt lgkmcnt(0)
	v_and_b32_e32 v6, 1, v3
	v_lshrrev_b32_e32 v6, s60, v6
	v_and_b32_e32 v6, s69, v6
	v_lshlrev_b32_e32 v7, 2, v6
	ds_read_b32 v7, v7
	s_waitcnt lgkmcnt(0)
	v_add_u32_e32 v7, v7, v16
	global_store_byte v7, v3, s[50:51]
	scratch_store_dword off, v6, off
.LBB2051_91:
	s_or_b64 exec, exec, s[40:41]
	v_or_b32_e32 v3, 0x400, v16
	v_cmp_gt_u32_e64 s[38:39], s3, v3
	s_and_saveexec_b64 s[40:41], s[38:39]
	s_cbranch_execz .LBB2051_93
; %bb.92:
	ds_read_u8 v6, v16 offset:2048
	s_waitcnt lgkmcnt(0)
	v_and_b32_e32 v7, 1, v6
	v_lshrrev_b32_e32 v7, s60, v7
	v_and_b32_e32 v7, s69, v7
	v_lshlrev_b32_e32 v8, 2, v7
	ds_read_b32 v8, v8
	s_waitcnt lgkmcnt(0)
	v_add_u32_e32 v3, v8, v3
	global_store_byte v3, v6, s[50:51]
	scratch_store_dword off, v7, off offset:4
.LBB2051_93:
	s_or_b64 exec, exec, s[40:41]
	v_or_b32_e32 v3, 0x800, v16
	v_cmp_gt_u32_e64 s[38:39], s3, v3
	s_and_saveexec_b64 s[40:41], s[38:39]
	s_cbranch_execz .LBB2051_95
; %bb.94:
	ds_read_u8 v6, v16 offset:3072
	s_waitcnt lgkmcnt(0)
	v_and_b32_e32 v7, 1, v6
	v_lshrrev_b32_e32 v7, s60, v7
	v_and_b32_e32 v7, s69, v7
	v_lshlrev_b32_e32 v8, 2, v7
	ds_read_b32 v8, v8
	s_waitcnt lgkmcnt(0)
	v_add_u32_e32 v3, v8, v3
	global_store_byte v3, v6, s[50:51]
	scratch_store_dword off, v7, off offset:8
.LBB2051_95:
	;; [unrolled: 18-line block ×15, first 2 shown]
	s_or_b64 exec, exec, s[40:41]
	s_lshl_b64 s[38:39], s[62:63], 2
	s_add_u32 s38, s52, s38
	s_addc_u32 s39, s53, s39
	v_lshlrev_b32_e32 v2, 2, v2
	v_mov_b32_e32 v3, 0
	v_lshl_add_u64 v[6:7], s[38:39], 0, v[2:3]
	v_lshlrev_b32_e32 v2, 2, v4
	v_lshl_add_u64 v[2:3], v[6:7], 0, v[2:3]
                                        ; implicit-def: $vgpr4
	s_and_saveexec_b64 s[38:39], vcc
	s_xor_b64 s[38:39], exec, s[38:39]
	s_cbranch_execz .LBB2051_137
; %bb.122:
	global_load_dword v4, v[2:3], off
	s_or_b64 exec, exec, s[38:39]
                                        ; implicit-def: $vgpr6
	s_and_saveexec_b64 s[38:39], s[4:5]
	s_cbranch_execnz .LBB2051_138
.LBB2051_123:
	s_or_b64 exec, exec, s[38:39]
                                        ; implicit-def: $vgpr7
	s_and_saveexec_b64 s[4:5], s[6:7]
	s_cbranch_execz .LBB2051_139
.LBB2051_124:
	global_load_dword v7, v[2:3], off offset:512
	s_or_b64 exec, exec, s[4:5]
                                        ; implicit-def: $vgpr8
	s_and_saveexec_b64 s[4:5], s[8:9]
	s_cbranch_execnz .LBB2051_140
.LBB2051_125:
	s_or_b64 exec, exec, s[4:5]
                                        ; implicit-def: $vgpr9
	s_and_saveexec_b64 s[4:5], s[10:11]
	s_cbranch_execz .LBB2051_141
.LBB2051_126:
	global_load_dword v9, v[2:3], off offset:1024
	s_or_b64 exec, exec, s[4:5]
                                        ; implicit-def: $vgpr10
	s_and_saveexec_b64 s[4:5], s[12:13]
	s_cbranch_execnz .LBB2051_142
.LBB2051_127:
	s_or_b64 exec, exec, s[4:5]
                                        ; implicit-def: $vgpr11
	s_and_saveexec_b64 s[4:5], s[14:15]
	s_cbranch_execz .LBB2051_143
.LBB2051_128:
	global_load_dword v11, v[2:3], off offset:1536
	s_or_b64 exec, exec, s[4:5]
                                        ; implicit-def: $vgpr30
	s_and_saveexec_b64 s[4:5], s[16:17]
	s_cbranch_execnz .LBB2051_144
.LBB2051_129:
	s_or_b64 exec, exec, s[4:5]
                                        ; implicit-def: $vgpr31
	s_and_saveexec_b64 s[4:5], s[18:19]
	s_cbranch_execz .LBB2051_145
.LBB2051_130:
	global_load_dword v31, v[2:3], off offset:2048
	s_or_b64 exec, exec, s[4:5]
                                        ; implicit-def: $vgpr35
	s_and_saveexec_b64 s[4:5], s[20:21]
	s_cbranch_execnz .LBB2051_146
.LBB2051_131:
	s_or_b64 exec, exec, s[4:5]
                                        ; implicit-def: $vgpr36
	s_and_saveexec_b64 s[4:5], s[22:23]
	s_cbranch_execz .LBB2051_147
.LBB2051_132:
	global_load_dword v36, v[2:3], off offset:2560
	s_or_b64 exec, exec, s[4:5]
                                        ; implicit-def: $vgpr39
	s_and_saveexec_b64 s[4:5], s[24:25]
	s_cbranch_execnz .LBB2051_148
.LBB2051_133:
	s_or_b64 exec, exec, s[4:5]
                                        ; implicit-def: $vgpr40
	s_and_saveexec_b64 s[4:5], s[26:27]
	s_cbranch_execz .LBB2051_149
.LBB2051_134:
	global_load_dword v40, v[2:3], off offset:3072
	s_or_b64 exec, exec, s[4:5]
                                        ; implicit-def: $vgpr43
	s_and_saveexec_b64 s[4:5], s[28:29]
	s_cbranch_execnz .LBB2051_150
.LBB2051_135:
	s_or_b64 exec, exec, s[4:5]
                                        ; implicit-def: $vgpr45
	s_and_saveexec_b64 s[4:5], s[30:31]
	s_cbranch_execz .LBB2051_151
.LBB2051_136:
	global_load_dword v45, v[2:3], off offset:3584
	s_or_b64 exec, exec, s[4:5]
                                        ; implicit-def: $vgpr48
	s_and_saveexec_b64 s[4:5], s[34:35]
	s_cbranch_execnz .LBB2051_152
	s_branch .LBB2051_153
.LBB2051_137:
	s_or_b64 exec, exec, s[38:39]
                                        ; implicit-def: $vgpr6
	s_and_saveexec_b64 s[38:39], s[4:5]
	s_cbranch_execz .LBB2051_123
.LBB2051_138:
	global_load_dword v6, v[2:3], off offset:256
	s_or_b64 exec, exec, s[38:39]
                                        ; implicit-def: $vgpr7
	s_and_saveexec_b64 s[4:5], s[6:7]
	s_cbranch_execnz .LBB2051_124
.LBB2051_139:
	s_or_b64 exec, exec, s[4:5]
                                        ; implicit-def: $vgpr8
	s_and_saveexec_b64 s[4:5], s[8:9]
	s_cbranch_execz .LBB2051_125
.LBB2051_140:
	global_load_dword v8, v[2:3], off offset:768
	s_or_b64 exec, exec, s[4:5]
                                        ; implicit-def: $vgpr9
	s_and_saveexec_b64 s[4:5], s[10:11]
	s_cbranch_execnz .LBB2051_126
.LBB2051_141:
	s_or_b64 exec, exec, s[4:5]
                                        ; implicit-def: $vgpr10
	s_and_saveexec_b64 s[4:5], s[12:13]
	s_cbranch_execz .LBB2051_127
.LBB2051_142:
	global_load_dword v10, v[2:3], off offset:1280
	s_or_b64 exec, exec, s[4:5]
                                        ; implicit-def: $vgpr11
	s_and_saveexec_b64 s[4:5], s[14:15]
	s_cbranch_execnz .LBB2051_128
.LBB2051_143:
	s_or_b64 exec, exec, s[4:5]
                                        ; implicit-def: $vgpr30
	s_and_saveexec_b64 s[4:5], s[16:17]
	s_cbranch_execz .LBB2051_129
.LBB2051_144:
	global_load_dword v30, v[2:3], off offset:1792
	s_or_b64 exec, exec, s[4:5]
                                        ; implicit-def: $vgpr31
	s_and_saveexec_b64 s[4:5], s[18:19]
	s_cbranch_execnz .LBB2051_130
.LBB2051_145:
	s_or_b64 exec, exec, s[4:5]
                                        ; implicit-def: $vgpr35
	s_and_saveexec_b64 s[4:5], s[20:21]
	s_cbranch_execz .LBB2051_131
.LBB2051_146:
	global_load_dword v35, v[2:3], off offset:2304
	s_or_b64 exec, exec, s[4:5]
                                        ; implicit-def: $vgpr36
	s_and_saveexec_b64 s[4:5], s[22:23]
	s_cbranch_execnz .LBB2051_132
.LBB2051_147:
	s_or_b64 exec, exec, s[4:5]
                                        ; implicit-def: $vgpr39
	s_and_saveexec_b64 s[4:5], s[24:25]
	s_cbranch_execz .LBB2051_133
.LBB2051_148:
	global_load_dword v39, v[2:3], off offset:2816
	s_or_b64 exec, exec, s[4:5]
                                        ; implicit-def: $vgpr40
	s_and_saveexec_b64 s[4:5], s[26:27]
	s_cbranch_execnz .LBB2051_134
.LBB2051_149:
	s_or_b64 exec, exec, s[4:5]
                                        ; implicit-def: $vgpr43
	s_and_saveexec_b64 s[4:5], s[28:29]
	s_cbranch_execz .LBB2051_135
.LBB2051_150:
	global_load_dword v43, v[2:3], off offset:3328
	s_or_b64 exec, exec, s[4:5]
                                        ; implicit-def: $vgpr45
	s_and_saveexec_b64 s[4:5], s[30:31]
	s_cbranch_execnz .LBB2051_136
.LBB2051_151:
	s_or_b64 exec, exec, s[4:5]
                                        ; implicit-def: $vgpr48
	s_and_saveexec_b64 s[4:5], s[34:35]
	s_cbranch_execz .LBB2051_153
.LBB2051_152:
	global_load_dword v48, v[2:3], off offset:3840
.LBB2051_153:
	s_or_b64 exec, exec, s[4:5]
	v_mov_b32_e32 v2, 0x400
	s_movk_i32 s6, 0x400
	v_lshl_add_u32 v49, v88, 2, v2
	v_add3_u32 v52, v58, v73, v57
	v_lshl_add_u32 v53, v87, 2, v2
	v_add3_u32 v55, v56, v72, v55
	;; [unrolled: 2-line block ×15, first 2 shown]
	v_lshl_add_u32 v13, v46, 2, v2
	s_mov_b32 s7, 0
	s_mov_b32 s8, 0
	s_movk_i32 s9, 0x1000
	v_mov_b32_e32 v3, 0
	s_movk_i32 s10, 0x800
	s_movk_i32 s11, 0xc00
	s_mov_b32 s12, 0
	v_mov_b32_e32 v57, v16
	s_barrier
	s_branch .LBB2051_155
.LBB2051_154:                           ;   in Loop: Header=BB2051_155 Depth=1
	s_or_b64 exec, exec, s[4:5]
	s_addk_i32 s12, 0xc000
	s_addk_i32 s8, 0xf000
	s_add_i32 s7, s7, 16
	s_cmp_eq_u32 s12, 0xffff0000
	v_add_u32_e32 v57, 0x1000, v57
	s_barrier
	s_cbranch_scc1 .LBB2051_195
.LBB2051_155:                           ; =>This Inner Loop Header: Depth=1
	v_add_u32_e32 v2, s8, v46
	v_cmp_gt_u32_e32 vcc, s9, v2
	s_and_saveexec_b64 s[4:5], vcc
	s_cbranch_execz .LBB2051_157
; %bb.156:                              ;   in Loop: Header=BB2051_155 Depth=1
	v_add_u32_e32 v2, s12, v13
	s_waitcnt vmcnt(0)
	ds_write_b32 v2, v4
.LBB2051_157:                           ;   in Loop: Header=BB2051_155 Depth=1
	s_or_b64 exec, exec, s[4:5]
	v_add_u32_e32 v2, s8, v5
	v_cmp_gt_u32_e32 vcc, s9, v2
	s_and_saveexec_b64 s[4:5], vcc
	s_cbranch_execz .LBB2051_159
; %bb.158:                              ;   in Loop: Header=BB2051_155 Depth=1
	v_add_u32_e32 v2, s12, v15
	s_waitcnt vmcnt(0)
	ds_write_b32 v2, v6
.LBB2051_159:                           ;   in Loop: Header=BB2051_155 Depth=1
	s_or_b64 exec, exec, s[4:5]
	;; [unrolled: 10-line block ×16, first 2 shown]
	v_cmp_gt_u32_e32 vcc, s3, v57
	s_waitcnt lgkmcnt(0)
	s_barrier
	s_and_saveexec_b64 s[4:5], vcc
	s_cbranch_execz .LBB2051_189
; %bb.188:                              ;   in Loop: Header=BB2051_155 Depth=1
	scratch_load_dword v2, off, s7
	s_waitcnt vmcnt(0)
	v_lshlrev_b32_e32 v2, 2, v2
	ds_read_b32 v2, v2
	ds_read_b32 v60, v28 offset:1024
	s_waitcnt lgkmcnt(1)
	v_add_u32_e32 v2, v57, v2
	v_lshl_add_u64 v[58:59], v[2:3], 2, s[54:55]
	s_waitcnt lgkmcnt(0)
	global_store_dword v[58:59], v60, off
.LBB2051_189:                           ;   in Loop: Header=BB2051_155 Depth=1
	s_or_b64 exec, exec, s[4:5]
	v_add_u32_e32 v2, 0x400, v57
	v_cmp_gt_u32_e32 vcc, s3, v2
	s_and_saveexec_b64 s[4:5], vcc
	s_cbranch_execz .LBB2051_191
; %bb.190:                              ;   in Loop: Header=BB2051_155 Depth=1
	s_add_i32 s13, s7, 4
	scratch_load_dword v2, off, s13
	s_waitcnt vmcnt(0)
	v_lshlrev_b32_e32 v2, 2, v2
	ds_read_b32 v2, v2
	ds_read_b32 v60, v28 offset:5120
	s_waitcnt lgkmcnt(1)
	v_add3_u32 v2, v57, v2, s6
	v_lshl_add_u64 v[58:59], v[2:3], 2, s[54:55]
	s_waitcnt lgkmcnt(0)
	global_store_dword v[58:59], v60, off
.LBB2051_191:                           ;   in Loop: Header=BB2051_155 Depth=1
	s_or_b64 exec, exec, s[4:5]
	v_add_u32_e32 v2, 0x800, v57
	v_cmp_gt_u32_e32 vcc, s3, v2
	s_and_saveexec_b64 s[4:5], vcc
	s_cbranch_execz .LBB2051_193
; %bb.192:                              ;   in Loop: Header=BB2051_155 Depth=1
	s_add_i32 s13, s7, 8
	scratch_load_dword v2, off, s13
	s_waitcnt vmcnt(0)
	v_lshlrev_b32_e32 v2, 2, v2
	ds_read_b32 v2, v2
	ds_read_b32 v60, v28 offset:9216
	s_waitcnt lgkmcnt(1)
	v_add3_u32 v2, v57, v2, s10
	v_lshl_add_u64 v[58:59], v[2:3], 2, s[54:55]
	s_waitcnt lgkmcnt(0)
	global_store_dword v[58:59], v60, off
.LBB2051_193:                           ;   in Loop: Header=BB2051_155 Depth=1
	s_or_b64 exec, exec, s[4:5]
	v_add_u32_e32 v2, 0xc00, v57
	v_cmp_gt_u32_e32 vcc, s3, v2
	s_and_saveexec_b64 s[4:5], vcc
	s_cbranch_execz .LBB2051_154
; %bb.194:                              ;   in Loop: Header=BB2051_155 Depth=1
	s_add_i32 s13, s7, 12
	scratch_load_dword v2, off, s13
	s_waitcnt vmcnt(0)
	v_lshlrev_b32_e32 v2, 2, v2
	ds_read_b32 v2, v2
	ds_read_b32 v60, v28 offset:13312
	s_waitcnt lgkmcnt(1)
	v_add3_u32 v2, v57, v2, s11
	v_lshl_add_u64 v[58:59], v[2:3], 2, s[54:55]
	s_waitcnt lgkmcnt(0)
	global_store_dword v[58:59], v60, off
	s_branch .LBB2051_154
.LBB2051_195:
	s_add_i32 s68, s68, -1
	s_cmp_eq_u32 s33, s68
	s_cselect_b64 s[4:5], -1, 0
	s_xor_b64 s[6:7], s[36:37], -1
	s_and_b64 s[6:7], s[6:7], s[4:5]
	s_and_saveexec_b64 s[4:5], s[6:7]
	s_cbranch_execz .LBB2051_197
; %bb.196:
	ds_read_b32 v2, v28
	s_waitcnt lgkmcnt(0)
	v_add3_u32 v2, v33, v42, v2
	global_store_dword v28, v2, s[58:59]
.LBB2051_197:
	s_or_b64 exec, exec, s[4:5]
	s_mov_b64 s[4:5], 0
.LBB2051_198:
	s_and_b64 vcc, exec, s[4:5]
	s_cbranch_vccz .LBB2051_287
; %bb.199:
	s_lshl_b32 s8, s33, 14
	s_add_u32 s4, s48, s8
	v_mbcnt_hi_u32_b32 v42, -1, v12
	s_addc_u32 s5, s49, 0
	v_and_b32_e32 v20, 63, v42
	v_mov_b32_e32 v21, 0
	v_and_b32_e32 v18, 0x3c00, v1
	v_lshl_add_u64 v[2:3], s[4:5], 0, v[20:21]
	v_mov_b32_e32 v19, v21
	v_lshl_add_u64 v[2:3], v[2:3], 0, v[18:19]
	s_load_dword s12, s[0:1], 0x58
	s_load_dword s3, s[0:1], 0x64
	global_load_ubyte v4, v[2:3], off
	s_add_u32 s0, s0, 0x58
	s_addc_u32 s1, s1, 0
	v_mov_b32_e32 v1, v21
	s_waitcnt lgkmcnt(0)
	s_lshr_b32 s3, s3, 16
	s_cmp_lt_u32 s2, s12
	s_cselect_b32 s2, 12, 18
	s_add_u32 s0, s0, s2
	s_addc_u32 s1, s1, 0
	global_load_ushort v17, v21, s[0:1]
	global_load_ubyte v57, v[2:3], off offset:64
	global_load_ubyte v56, v[2:3], off offset:128
	;; [unrolled: 1-line block ×14, first 2 shown]
                                        ; kill: killed $sgpr0 killed $sgpr1
	global_load_ubyte v13, v[2:3], off offset:960
	v_bfe_u32 v2, v0, 10, 10
	v_bfe_u32 v0, v0, 20, 10
	v_mad_u32_u24 v2, v0, s3, v2
	s_lshl_b32 s0, -1, s61
	s_not_b32 s13, s0
	s_mov_b32 s9, 0
	v_mul_u32_u24_e32 v44, 20, v16
	s_movk_i32 s2, 0x44
	ds_write2_b32 v44, v21, v21 offset0:16 offset1:17
	ds_write2_b32 v44, v21, v21 offset0:18 offset1:19
	ds_write_b32 v44, v21 offset:80
	s_waitcnt lgkmcnt(0)
	s_barrier
	s_waitcnt vmcnt(16)
	; wave barrier
	v_and_b32_e32 v0, 1, v4
	v_lshrrev_b32_e32 v0, s60, v0
	v_bitop3_b32 v0, v0, s0, v0 bitop3:0x30
	v_mul_u32_u24_e32 v19, 0x44, v0
	v_cmp_ne_u32_e32 vcc, 0, v0
	v_lshl_add_u64 v[0:1], v[0:1], 0, -1
	s_waitcnt vmcnt(15)
	v_mad_u64_u32 v[2:3], s[0:1], v2, v17, v[16:17]
	v_xor_b32_e32 v0, vcc_lo, v0
	v_xor_b32_e32 v1, vcc_hi, v1
	v_and_b32_e32 v0, exec_lo, v0
	v_and_b32_e32 v1, exec_hi, v1
	v_mbcnt_lo_u32_b32 v3, v0, 0
	v_lshrrev_b32_e32 v2, 4, v2
	v_mbcnt_hi_u32_b32 v46, v1, v3
	v_cmp_ne_u64_e32 vcc, 0, v[0:1]
	v_and_b32_e32 v37, 0xffffffc, v2
	v_cmp_eq_u32_e64 s[0:1], 0, v46
	s_and_b64 s[4:5], vcc, s[0:1]
	v_add_u32_e32 v58, v37, v19
	s_and_saveexec_b64 s[0:1], s[4:5]
; %bb.200:
	v_bcnt_u32_b32 v0, v0, 0
	v_bcnt_u32_b32 v0, v1, v0
	ds_write_b32 v58, v0 offset:64
; %bb.201:
	s_or_b64 exec, exec, s[0:1]
	s_waitcnt vmcnt(14)
	v_lshrrev_b32_sdwa v0, s60, v57 dst_sel:DWORD dst_unused:UNUSED_PAD src0_sel:DWORD src1_sel:BYTE_0
	v_and_b32_e32 v0, s13, v0
	v_mad_u32_u24 v1, v0, s2, v37
	; wave barrier
	ds_read_b32 v17, v1 offset:64
	v_mov_b32_e32 v1, v21
	v_mul_u32_u24_e32 v2, 0x44, v0
	v_cmp_ne_u32_e32 vcc, 0, v0
	v_lshl_add_u64 v[0:1], v[0:1], 0, -1
	v_add_u32_e32 v21, v37, v2
	v_xor_b32_e32 v0, vcc_lo, v0
	v_xor_b32_e32 v1, vcc_hi, v1
	v_and_b32_e32 v0, exec_lo, v0
	v_and_b32_e32 v1, exec_hi, v1
	v_mbcnt_lo_u32_b32 v3, v0, 0
	v_mbcnt_hi_u32_b32 v19, v1, v3
	v_cmp_eq_u32_e32 vcc, 0, v19
	v_cmp_ne_u64_e64 s[0:1], 0, v[0:1]
	s_and_b64 s[2:3], s[0:1], vcc
	; wave barrier
	s_and_saveexec_b64 s[0:1], s[2:3]
	s_cbranch_execz .LBB2051_203
; %bb.202:
	v_bcnt_u32_b32 v0, v0, 0
	v_bcnt_u32_b32 v0, v1, v0
	s_waitcnt lgkmcnt(0)
	v_add_u32_e32 v0, v17, v0
	ds_write_b32 v21, v0 offset:64
.LBB2051_203:
	s_or_b64 exec, exec, s[0:1]
	s_waitcnt vmcnt(13)
	v_lshrrev_b32_sdwa v0, s60, v56 dst_sel:DWORD dst_unused:UNUSED_PAD src0_sel:DWORD src1_sel:BYTE_0
	v_and_b32_e32 v0, s13, v0
	s_movk_i32 s2, 0x44
	v_mad_u32_u24 v1, v0, s2, v37
	; wave barrier
	ds_read_b32 v22, v1 offset:64
	v_mov_b32_e32 v1, 0
	v_cmp_ne_u32_e32 vcc, 0, v0
	v_lshl_add_u64 v[2:3], v[0:1], 0, -1
	v_mul_u32_u24_e32 v24, 0x44, v0
	v_xor_b32_e32 v2, vcc_lo, v2
	v_xor_b32_e32 v0, vcc_hi, v3
	v_and_b32_e32 v2, exec_lo, v2
	v_and_b32_e32 v3, exec_hi, v0
	v_mbcnt_lo_u32_b32 v0, v2, 0
	v_mbcnt_hi_u32_b32 v23, v3, v0
	v_cmp_eq_u32_e32 vcc, 0, v23
	v_cmp_ne_u64_e64 s[0:1], 0, v[2:3]
	s_and_b64 s[4:5], s[0:1], vcc
	v_add_u32_e32 v59, v37, v24
	; wave barrier
	s_and_saveexec_b64 s[0:1], s[4:5]
	s_cbranch_execz .LBB2051_205
; %bb.204:
	v_bcnt_u32_b32 v0, v2, 0
	v_bcnt_u32_b32 v0, v3, v0
	s_waitcnt lgkmcnt(0)
	v_add_u32_e32 v0, v22, v0
	ds_write_b32 v59, v0 offset:64
.LBB2051_205:
	s_or_b64 exec, exec, s[0:1]
	s_waitcnt vmcnt(12)
	v_lshrrev_b32_sdwa v0, s60, v55 dst_sel:DWORD dst_unused:UNUSED_PAD src0_sel:DWORD src1_sel:BYTE_0
	v_and_b32_e32 v0, s13, v0
	v_mul_u32_u24_e32 v2, 0x44, v0
	v_mad_u32_u24 v3, v0, s2, v37
	v_cmp_ne_u32_e32 vcc, 0, v0
	v_lshl_add_u64 v[0:1], v[0:1], 0, -1
	s_nop 0
	v_xor_b32_e32 v0, vcc_lo, v0
	; wave barrier
	ds_read_b32 v24, v3 offset:64
	v_xor_b32_e32 v1, vcc_hi, v1
	v_and_b32_e32 v0, exec_lo, v0
	v_and_b32_e32 v1, exec_hi, v1
	v_mbcnt_lo_u32_b32 v3, v0, 0
	v_mbcnt_hi_u32_b32 v25, v1, v3
	v_cmp_eq_u32_e32 vcc, 0, v25
	v_cmp_ne_u64_e64 s[0:1], 0, v[0:1]
	s_and_b64 s[2:3], s[0:1], vcc
	v_add_u32_e32 v60, v37, v2
	; wave barrier
	s_and_saveexec_b64 s[0:1], s[2:3]
	s_cbranch_execz .LBB2051_207
; %bb.206:
	v_bcnt_u32_b32 v0, v0, 0
	v_bcnt_u32_b32 v0, v1, v0
	s_waitcnt lgkmcnt(0)
	v_add_u32_e32 v0, v24, v0
	ds_write_b32 v60, v0 offset:64
.LBB2051_207:
	s_or_b64 exec, exec, s[0:1]
	s_waitcnt vmcnt(11)
	v_lshrrev_b32_sdwa v0, s60, v54 dst_sel:DWORD dst_unused:UNUSED_PAD src0_sel:DWORD src1_sel:BYTE_0
	v_and_b32_e32 v0, s13, v0
	s_movk_i32 s2, 0x44
	v_mad_u32_u24 v1, v0, s2, v37
	; wave barrier
	ds_read_b32 v26, v1 offset:64
	v_mov_b32_e32 v1, 0
	v_cmp_ne_u32_e32 vcc, 0, v0
	v_lshl_add_u64 v[2:3], v[0:1], 0, -1
	v_mul_u32_u24_e32 v28, 0x44, v0
	v_xor_b32_e32 v2, vcc_lo, v2
	v_xor_b32_e32 v0, vcc_hi, v3
	v_and_b32_e32 v2, exec_lo, v2
	v_and_b32_e32 v3, exec_hi, v0
	v_mbcnt_lo_u32_b32 v0, v2, 0
	v_mbcnt_hi_u32_b32 v27, v3, v0
	v_cmp_eq_u32_e32 vcc, 0, v27
	v_cmp_ne_u64_e64 s[0:1], 0, v[2:3]
	s_and_b64 s[4:5], s[0:1], vcc
	v_add_u32_e32 v61, v37, v28
	; wave barrier
	s_and_saveexec_b64 s[0:1], s[4:5]
	s_cbranch_execz .LBB2051_209
; %bb.208:
	v_bcnt_u32_b32 v0, v2, 0
	v_bcnt_u32_b32 v0, v3, v0
	s_waitcnt lgkmcnt(0)
	v_add_u32_e32 v0, v26, v0
	ds_write_b32 v61, v0 offset:64
.LBB2051_209:
	s_or_b64 exec, exec, s[0:1]
	s_waitcnt vmcnt(10)
	v_lshrrev_b32_sdwa v0, s60, v15 dst_sel:DWORD dst_unused:UNUSED_PAD src0_sel:DWORD src1_sel:BYTE_0
	v_and_b32_e32 v0, s13, v0
	v_mul_u32_u24_e32 v2, 0x44, v0
	v_mad_u32_u24 v3, v0, s2, v37
	v_cmp_ne_u32_e32 vcc, 0, v0
	v_lshl_add_u64 v[0:1], v[0:1], 0, -1
	s_nop 0
	v_xor_b32_e32 v0, vcc_lo, v0
	; wave barrier
	ds_read_b32 v28, v3 offset:64
	v_xor_b32_e32 v1, vcc_hi, v1
	v_and_b32_e32 v0, exec_lo, v0
	v_and_b32_e32 v1, exec_hi, v1
	v_mbcnt_lo_u32_b32 v3, v0, 0
	v_mbcnt_hi_u32_b32 v29, v1, v3
	v_cmp_eq_u32_e32 vcc, 0, v29
	v_cmp_ne_u64_e64 s[0:1], 0, v[0:1]
	s_and_b64 s[2:3], s[0:1], vcc
	v_add_u32_e32 v62, v37, v2
	;; [unrolled: 63-line block ×7, first 2 shown]
	; wave barrier
	s_and_saveexec_b64 s[0:1], s[2:3]
	s_cbranch_execz .LBB2051_231
; %bb.230:
	v_bcnt_u32_b32 v0, v0, 0
	v_bcnt_u32_b32 v0, v1, v0
	s_waitcnt lgkmcnt(0)
	v_add_u32_e32 v0, v52, v0
	ds_write_b32 v73, v0 offset:64
.LBB2051_231:
	s_or_b64 exec, exec, s[0:1]
	; wave barrier
	s_waitcnt lgkmcnt(0)
	s_barrier
	ds_read2_b32 v[2:3], v44 offset0:16 offset1:17
	ds_read2_b32 v[0:1], v44 offset0:18 offset1:19
	ds_read_b32 v37, v44 offset:80
	v_cmp_lt_u32_e64 s[2:3], 31, v42
	s_waitcnt lgkmcnt(1)
	v_add3_u32 v71, v3, v2, v0
	s_waitcnt lgkmcnt(0)
	v_add3_u32 v37, v71, v1, v37
	v_and_b32_e32 v71, 15, v42
	v_cmp_eq_u32_e32 vcc, 0, v71
	v_mov_b32_dpp v74, v37 row_shr:1 row_mask:0xf bank_mask:0xf
	v_cmp_lt_u32_e64 s[0:1], 1, v71
	v_cndmask_b32_e64 v74, v74, 0, vcc
	v_add_u32_e32 v37, v74, v37
	v_cmp_lt_u32_e64 s[4:5], 3, v71
	v_cmp_lt_u32_e64 s[6:7], 7, v71
	v_mov_b32_dpp v74, v37 row_shr:2 row_mask:0xf bank_mask:0xf
	v_cndmask_b32_e64 v74, 0, v74, s[0:1]
	v_add_u32_e32 v37, v37, v74
	s_nop 1
	v_mov_b32_dpp v74, v37 row_shr:4 row_mask:0xf bank_mask:0xf
	v_cndmask_b32_e64 v74, 0, v74, s[4:5]
	v_add_u32_e32 v37, v37, v74
	s_nop 1
	v_mov_b32_dpp v74, v37 row_shr:8 row_mask:0xf bank_mask:0xf
	v_cndmask_b32_e64 v71, 0, v74, s[6:7]
	v_add_u32_e32 v37, v37, v71
	v_bfe_i32 v74, v42, 4, 1
	s_nop 0
	v_mov_b32_dpp v71, v37 row_bcast:15 row_mask:0xf bank_mask:0xf
	v_and_b32_e32 v71, v74, v71
	v_add_u32_e32 v37, v37, v71
	v_lshrrev_b32_e32 v74, 6, v16
	s_nop 0
	v_mov_b32_dpp v71, v37 row_bcast:31 row_mask:0xf bank_mask:0xf
	v_cndmask_b32_e64 v71, 0, v71, s[2:3]
	v_add_u32_e32 v71, v37, v71
	v_and_b32_e32 v37, 63, v16
	v_cmp_eq_u32_e64 s[2:3], 63, v37
	s_and_saveexec_b64 s[10:11], s[2:3]
; %bb.232:
	v_lshlrev_b32_e32 v37, 2, v74
	ds_write_b32 v37, v71
; %bb.233:
	s_or_b64 exec, exec, s[10:11]
	v_cmp_gt_u32_e64 s[2:3], 16, v16
	v_lshlrev_b32_e32 v37, 2, v16
	s_waitcnt lgkmcnt(0)
	s_barrier
	s_and_saveexec_b64 s[10:11], s[2:3]
	s_cbranch_execz .LBB2051_235
; %bb.234:
	ds_read_b32 v75, v37
	s_waitcnt lgkmcnt(0)
	s_nop 0
	v_mov_b32_dpp v76, v75 row_shr:1 row_mask:0xf bank_mask:0xf
	v_cndmask_b32_e64 v76, v76, 0, vcc
	v_add_u32_e32 v75, v76, v75
	s_nop 1
	v_mov_b32_dpp v76, v75 row_shr:2 row_mask:0xf bank_mask:0xf
	v_cndmask_b32_e64 v76, 0, v76, s[0:1]
	v_add_u32_e32 v75, v75, v76
	s_nop 1
	v_mov_b32_dpp v76, v75 row_shr:4 row_mask:0xf bank_mask:0xf
	v_cndmask_b32_e64 v76, 0, v76, s[4:5]
	;; [unrolled: 4-line block ×3, first 2 shown]
	v_add_u32_e32 v75, v75, v76
	ds_write_b32 v37, v75
.LBB2051_235:
	s_or_b64 exec, exec, s[10:11]
	v_cmp_lt_u32_e32 vcc, 63, v16
	v_mov_b32_e32 v75, 0
	s_waitcnt lgkmcnt(0)
	s_barrier
	s_and_saveexec_b64 s[0:1], vcc
; %bb.236:
	v_lshl_add_u32 v74, v74, 2, -4
	ds_read_b32 v75, v74
; %bb.237:
	s_or_b64 exec, exec, s[0:1]
	v_subrev_co_u32_e32 v74, vcc, 1, v42
	v_and_b32_e32 v76, 64, v42
	v_cmp_lt_i32_e64 s[0:1], v74, v76
	s_waitcnt lgkmcnt(0)
	v_add_u32_e32 v71, v75, v71
	s_movk_i32 s2, 0x100
	v_cndmask_b32_e64 v42, v74, v42, s[0:1]
	v_lshlrev_b32_e32 v42, 2, v42
	ds_bpermute_b32 v42, v42, v71
	s_movk_i32 s0, 0xff
	s_waitcnt lgkmcnt(0)
	v_cndmask_b32_e32 v42, v42, v75, vcc
	v_cndmask_b32_e64 v42, v42, 0, s[44:45]
	v_add_u32_e32 v2, v42, v2
	v_add_u32_e32 v3, v2, v3
	;; [unrolled: 1-line block ×4, first 2 shown]
	ds_write2_b32 v44, v42, v2 offset0:16 offset1:17
	ds_write2_b32 v44, v3, v0 offset0:18 offset1:19
	ds_write_b32 v44, v1 offset:80
	s_waitcnt lgkmcnt(0)
	s_barrier
	ds_read_b32 v0, v58 offset:64
	ds_read_b32 v58, v21 offset:64
	;; [unrolled: 1-line block ×16, first 2 shown]
	v_cmp_lt_u32_e32 vcc, s0, v16
	v_cmp_gt_u32_e64 s[0:1], s2, v16
                                        ; implicit-def: $vgpr42
                                        ; implicit-def: $vgpr44
	s_and_saveexec_b64 s[4:5], s[0:1]
	s_cbranch_execz .LBB2051_241
; %bb.238:
	v_mul_u32_u24_e32 v1, 0x44, v16
	ds_read_b32 v42, v1 offset:64
	v_add_u32_e32 v2, 1, v16
	v_cmp_ne_u32_e64 s[2:3], s2, v2
	v_mov_b32_e32 v1, 0x4000
	s_and_saveexec_b64 s[6:7], s[2:3]
; %bb.239:
	v_mul_u32_u24_e32 v1, 0x44, v2
	ds_read_b32 v1, v1 offset:64
; %bb.240:
	s_or_b64 exec, exec, s[6:7]
	s_waitcnt lgkmcnt(0)
	v_sub_u32_e32 v44, v1, v42
.LBB2051_241:
	s_or_b64 exec, exec, s[4:5]
	s_waitcnt lgkmcnt(14)
	v_add_u32_e32 v46, v0, v46
	v_add3_u32 v70, v19, v17, v58
	s_waitcnt lgkmcnt(13)
	v_add3_u32 v72, v23, v22, v59
	s_waitcnt lgkmcnt(12)
	;; [unrolled: 2-line block ×7, first 2 shown]
	s_barrier
	ds_write_b8 v46, v4 offset:1024
	v_add3_u32 v80, v35, v34, v65
	ds_write_b8 v70, v57 offset:1024
	v_add3_u32 v57, v38, v36, v66
	;; [unrolled: 2-line block ×5, first 2 shown]
	v_add3_u32 v81, v49, v48, v71
	v_add3_u32 v82, v51, v50, v74
	v_add3_u32 v83, v53, v52, v77
	v_mov_b32_e32 v1, 0
	ds_write_b8 v76, v15 offset:1024
	ds_write_b8 v78, v14 offset:1024
	;; [unrolled: 1-line block ×11, first 2 shown]
	s_and_saveexec_b64 s[2:3], s[0:1]
	s_cbranch_execz .LBB2051_251
; %bb.242:
	v_lshl_add_u32 v0, s33, 8, v16
	v_lshl_add_u64 v[2:3], v[0:1], 2, s[64:65]
	v_or_b32_e32 v0, 2.0, v44
	s_mov_b64 s[4:5], 0
	s_brev_b32 s14, -4
	s_mov_b32 s15, s33
	v_mov_b32_e32 v6, 0
	global_store_dword v[2:3], v0, off sc1
                                        ; implicit-def: $sgpr0_sgpr1
	s_branch .LBB2051_245
.LBB2051_243:                           ;   in Loop: Header=BB2051_245 Depth=1
	s_or_b64 exec, exec, s[10:11]
.LBB2051_244:                           ;   in Loop: Header=BB2051_245 Depth=1
	s_or_b64 exec, exec, s[6:7]
	v_and_b32_e32 v4, 0x3fffffff, v0
	v_add_u32_e32 v6, v4, v6
	v_cmp_gt_i32_e64 s[0:1], -2.0, v0
	s_and_b64 s[6:7], exec, s[0:1]
	s_or_b64 s[4:5], s[6:7], s[4:5]
	s_andn2_b64 exec, exec, s[4:5]
	s_cbranch_execz .LBB2051_250
.LBB2051_245:                           ; =>This Loop Header: Depth=1
                                        ;     Child Loop BB2051_248 Depth 2
	s_or_b64 s[0:1], s[0:1], exec
	s_cmp_eq_u32 s15, 0
	s_cbranch_scc1 .LBB2051_249
; %bb.246:                              ;   in Loop: Header=BB2051_245 Depth=1
	s_add_i32 s15, s15, -1
	v_lshl_or_b32 v0, s15, 8, v16
	v_lshl_add_u64 v[4:5], v[0:1], 2, s[64:65]
	global_load_dword v0, v[4:5], off sc1
	s_waitcnt vmcnt(0)
	v_cmp_gt_u32_e64 s[0:1], 2.0, v0
	s_and_saveexec_b64 s[6:7], s[0:1]
	s_cbranch_execz .LBB2051_244
; %bb.247:                              ;   in Loop: Header=BB2051_245 Depth=1
	s_mov_b64 s[10:11], 0
.LBB2051_248:                           ;   Parent Loop BB2051_245 Depth=1
                                        ; =>  This Inner Loop Header: Depth=2
	global_load_dword v0, v[4:5], off sc1
	s_waitcnt vmcnt(0)
	v_cmp_lt_u32_e64 s[0:1], s14, v0
	s_or_b64 s[10:11], s[0:1], s[10:11]
	s_andn2_b64 exec, exec, s[10:11]
	s_cbranch_execnz .LBB2051_248
	s_branch .LBB2051_243
.LBB2051_249:                           ;   in Loop: Header=BB2051_245 Depth=1
                                        ; implicit-def: $sgpr15
	s_and_b64 s[6:7], exec, s[0:1]
	s_or_b64 s[4:5], s[6:7], s[4:5]
	s_andn2_b64 exec, exec, s[4:5]
	s_cbranch_execnz .LBB2051_245
.LBB2051_250:
	s_or_b64 exec, exec, s[4:5]
	v_add_u32_e32 v0, v6, v44
	v_or_b32_e32 v0, 0x80000000, v0
	global_store_dword v[2:3], v0, off sc1
	global_load_dword v0, v37, s[56:57]
	v_sub_u32_e32 v1, v6, v42
	s_waitcnt vmcnt(0)
	v_add_u32_e32 v0, v1, v0
	ds_write_b32 v37, v0
.LBB2051_251:
	s_or_b64 exec, exec, s[2:3]
	s_waitcnt lgkmcnt(0)
	s_barrier
	ds_read_u8 v8, v16 offset:1024
	ds_read_u8 v9, v16 offset:2048
	;; [unrolled: 1-line block ×8, first 2 shown]
	s_waitcnt lgkmcnt(7)
	v_and_b32_e32 v0, 1, v8
	s_waitcnt lgkmcnt(6)
	v_and_b32_e32 v1, 1, v9
	;; [unrolled: 2-line block ×8, first 2 shown]
	v_lshrrev_b32_e32 v0, s60, v0
	v_lshrrev_b32_e32 v1, s60, v1
	;; [unrolled: 1-line block ×8, first 2 shown]
	v_and_b32_e32 v0, s13, v0
	v_and_b32_e32 v1, s13, v1
	;; [unrolled: 1-line block ×8, first 2 shown]
	v_lshlrev_b32_e32 v21, 2, v0
	v_lshlrev_b32_e32 v84, 2, v1
	;; [unrolled: 1-line block ×8, first 2 shown]
	ds_read_b32 v21, v21
	ds_read_b32 v84, v84
	;; [unrolled: 1-line block ×8, first 2 shown]
	s_waitcnt lgkmcnt(7)
	v_add_u32_e32 v21, v21, v16
	s_movk_i32 s4, 0x400
	global_store_byte v21, v8, s[50:51]
	s_waitcnt lgkmcnt(6)
	v_add3_u32 v8, v84, v16, s4
	s_movk_i32 s5, 0x800
	global_store_byte v8, v9, s[50:51]
	s_waitcnt lgkmcnt(5)
	v_add3_u32 v8, v85, v16, s5
	;; [unrolled: 4-line block ×7, first 2 shown]
	global_store_byte v8, v15, s[50:51]
	ds_read_u8 v21, v16 offset:9216
	ds_read_u8 v84, v16 offset:10240
	;; [unrolled: 1-line block ×8, first 2 shown]
	s_waitcnt lgkmcnt(7)
	v_and_b32_e32 v8, 1, v21
	s_waitcnt lgkmcnt(6)
	v_and_b32_e32 v9, 1, v84
	s_waitcnt lgkmcnt(5)
	v_and_b32_e32 v10, 1, v85
	s_waitcnt lgkmcnt(4)
	v_and_b32_e32 v11, 1, v86
	s_waitcnt lgkmcnt(3)
	v_and_b32_e32 v12, 1, v87
	s_waitcnt lgkmcnt(2)
	v_and_b32_e32 v13, 1, v88
	s_waitcnt lgkmcnt(1)
	v_and_b32_e32 v14, 1, v89
	s_waitcnt lgkmcnt(0)
	v_and_b32_e32 v15, 1, v90
	v_lshrrev_b32_e32 v8, s60, v8
	v_lshrrev_b32_e32 v9, s60, v9
	v_lshrrev_b32_e32 v10, s60, v10
	v_lshrrev_b32_e32 v11, s60, v11
	v_lshrrev_b32_e32 v12, s60, v12
	v_lshrrev_b32_e32 v13, s60, v13
	v_lshrrev_b32_e32 v14, s60, v14
	v_lshrrev_b32_e32 v15, s60, v15
	v_and_b32_e32 v8, s13, v8
	v_and_b32_e32 v9, s13, v9
	;; [unrolled: 1-line block ×8, first 2 shown]
	v_lshlrev_b32_e32 v91, 2, v8
	v_lshlrev_b32_e32 v92, 2, v9
	;; [unrolled: 1-line block ×8, first 2 shown]
	s_movk_i32 s0, 0x2000
	ds_read_b32 v91, v91
	ds_read_b32 v92, v92
	;; [unrolled: 1-line block ×8, first 2 shown]
	s_waitcnt lgkmcnt(7)
	v_add3_u32 v91, v91, v16, s0
	s_movk_i32 s0, 0x2400
	global_store_byte v91, v21, s[50:51]
	s_waitcnt lgkmcnt(6)
	v_add3_u32 v21, v92, v16, s0
	s_movk_i32 s0, 0x2800
	global_store_byte v21, v84, s[50:51]
	;; [unrolled: 4-line block ×7, first 2 shown]
	s_waitcnt lgkmcnt(0)
	v_add3_u32 v21, v98, v16, s0
	s_lshl_b64 s[0:1], s[8:9], 2
	s_add_u32 s0, s52, s0
	global_store_byte v21, v90, s[50:51]
	s_addc_u32 s1, s53, s1
	v_lshlrev_b32_e32 v20, 2, v20
	v_mov_b32_e32 v21, 0
	v_lshl_add_u64 v[84:85], s[0:1], 0, v[20:21]
	v_lshlrev_b32_e32 v20, 2, v18
	v_lshl_add_u64 v[98:99], v[84:85], 0, v[20:21]
	global_load_dword v18, v[98:99], off
	global_load_dword v84, v[98:99], off offset:256
	global_load_dword v85, v[98:99], off offset:512
	;; [unrolled: 1-line block ×14, first 2 shown]
	s_nop 0
	global_load_dword v98, v[98:99], off offset:3840
	v_mul_u32_u24_e32 v20, 3, v16
	v_mov_b32_e32 v99, 0x400
	scratch_store_dwordx4 off, v[0:3], off
	scratch_store_dwordx4 off, v[4:7], off offset:16
	scratch_store_dwordx4 off, v[8:11], off offset:32
	;; [unrolled: 1-line block ×3, first 2 shown]
	v_lshl_add_u32 v0, v83, 2, v99
	v_add3_u32 v1, v53, v77, v52
	v_lshl_add_u32 v2, v82, 2, v99
	v_add3_u32 v3, v51, v74, v50
	;; [unrolled: 2-line block ×15, first 2 shown]
	v_lshl_add_u32 v19, v46, 2, v99
	s_mov_b32 s8, 0
	s_mov_b32 s9, 0
	v_add_u32_e32 v35, v16, v20
	s_mov_b32 s10, 0
	s_barrier
	s_branch .LBB2051_253
.LBB2051_252:                           ;   in Loop: Header=BB2051_253 Depth=1
	s_or_b64 exec, exec, s[2:3]
	s_waitcnt lgkmcnt(0)
	s_barrier
	scratch_load_dwordx4 v[38:41], off, s8
	ds_read2st64_b32 v[48:49], v35 offset0:4 offset1:20
	ds_read2st64_b32 v[50:51], v35 offset0:36 offset1:52
	s_addk_i32 s10, 0xc000
	s_addk_i32 s9, 0xf000
	s_add_i32 s8, s8, 16
	s_cmp_eq_u32 s10, 0xffff0000
	s_waitcnt vmcnt(0)
	v_lshlrev_b32_e32 v20, 2, v38
	ds_read_b32 v20, v20
	v_lshlrev_b32_e32 v36, 2, v39
	v_lshlrev_b32_e32 v38, 2, v40
	;; [unrolled: 1-line block ×3, first 2 shown]
	ds_read_b32 v36, v36
	ds_read_b32 v40, v38
	;; [unrolled: 1-line block ×3, first 2 shown]
	s_waitcnt lgkmcnt(3)
	v_add_u32_e32 v20, v16, v20
	v_lshl_add_u64 v[38:39], v[20:21], 2, s[54:55]
	s_waitcnt lgkmcnt(2)
	v_add3_u32 v20, v16, v36, s4
	global_store_dword v[38:39], v48, off
	v_lshl_add_u64 v[38:39], v[20:21], 2, s[54:55]
	s_waitcnt lgkmcnt(1)
	v_add3_u32 v20, v16, v40, s5
	global_store_dword v[38:39], v49, off
	v_lshl_add_u64 v[38:39], v[20:21], 2, s[54:55]
	s_waitcnt lgkmcnt(0)
	v_add3_u32 v20, v16, v41, s6
	global_store_dword v[38:39], v50, off
	v_lshl_add_u64 v[38:39], v[20:21], 2, s[54:55]
	v_add_u32_e32 v16, 0x1000, v16
	global_store_dword v[38:39], v51, off
	s_barrier
	s_cbranch_scc1 .LBB2051_285
.LBB2051_253:                           ; =>This Inner Loop Header: Depth=1
	v_add_u32_e32 v20, s9, v46
	v_cmp_gt_u32_e64 s[0:1], s7, v20
	s_and_saveexec_b64 s[2:3], s[0:1]
	s_cbranch_execz .LBB2051_255
; %bb.254:                              ;   in Loop: Header=BB2051_253 Depth=1
	v_add_u32_e32 v20, s10, v19
	s_waitcnt vmcnt(19)
	ds_write_b32 v20, v18
.LBB2051_255:                           ;   in Loop: Header=BB2051_253 Depth=1
	s_or_b64 exec, exec, s[2:3]
	v_add_u32_e32 v20, s9, v17
	v_cmp_gt_u32_e64 s[0:1], s7, v20
	s_and_saveexec_b64 s[2:3], s[0:1]
	s_cbranch_execz .LBB2051_257
; %bb.256:                              ;   in Loop: Header=BB2051_253 Depth=1
	v_add_u32_e32 v20, s10, v23
	s_waitcnt vmcnt(18)
	ds_write_b32 v20, v84
.LBB2051_257:                           ;   in Loop: Header=BB2051_253 Depth=1
	s_or_b64 exec, exec, s[2:3]
	;; [unrolled: 10-line block ×15, first 2 shown]
	v_add_u32_e32 v20, s9, v1
	v_cmp_gt_u32_e64 s[0:1], s7, v20
	s_and_saveexec_b64 s[2:3], s[0:1]
	s_cbranch_execz .LBB2051_252
; %bb.284:                              ;   in Loop: Header=BB2051_253 Depth=1
	v_add_u32_e32 v20, s10, v0
	s_waitcnt vmcnt(4)
	ds_write_b32 v20, v98
	s_branch .LBB2051_252
.LBB2051_285:
	s_add_i32 s12, s12, -1
	s_cmp_eq_u32 s33, s12
	s_cselect_b64 s[0:1], -1, 0
	s_xor_b64 s[2:3], vcc, -1
	s_and_b64 s[0:1], s[2:3], s[0:1]
	s_and_saveexec_b64 s[2:3], s[0:1]
	s_cbranch_execz .LBB2051_287
; %bb.286:
	ds_read_b32 v0, v37
	s_waitcnt lgkmcnt(0)
	v_add3_u32 v0, v42, v44, v0
	global_store_dword v37, v0, s[58:59]
.LBB2051_287:
	s_endpgm
	.section	.rodata,"a",@progbits
	.p2align	6, 0x0
	.amdhsa_kernel _ZN7rocprim17ROCPRIM_400000_NS6detail17trampoline_kernelINS0_14default_configENS1_35radix_sort_onesweep_config_selectorIbiEEZZNS1_29radix_sort_onesweep_iterationIS3_Lb0EN6thrust23THRUST_200600_302600_NS6detail15normal_iteratorINS8_10device_ptrIbEEEESD_NSA_INSB_IiEEEESF_jNS0_19identity_decomposerENS1_16block_id_wrapperIjLb1EEEEE10hipError_tT1_PNSt15iterator_traitsISK_E10value_typeET2_T3_PNSL_ISQ_E10value_typeET4_T5_PSV_SW_PNS1_23onesweep_lookback_stateEbbT6_jjT7_P12ihipStream_tbENKUlT_T0_SK_SP_E_clISD_PbSF_PiEEDaS13_S14_SK_SP_EUlS13_E_NS1_11comp_targetILNS1_3genE6ELNS1_11target_archE950ELNS1_3gpuE13ELNS1_3repE0EEENS1_47radix_sort_onesweep_sort_config_static_selectorELNS0_4arch9wavefront6targetE1EEEvSK_
		.amdhsa_group_segment_fixed_size 20552
		.amdhsa_private_segment_fixed_size 80
		.amdhsa_kernarg_size 344
		.amdhsa_user_sgpr_count 2
		.amdhsa_user_sgpr_dispatch_ptr 0
		.amdhsa_user_sgpr_queue_ptr 0
		.amdhsa_user_sgpr_kernarg_segment_ptr 1
		.amdhsa_user_sgpr_dispatch_id 0
		.amdhsa_user_sgpr_kernarg_preload_length 0
		.amdhsa_user_sgpr_kernarg_preload_offset 0
		.amdhsa_user_sgpr_private_segment_size 0
		.amdhsa_uses_dynamic_stack 0
		.amdhsa_enable_private_segment 1
		.amdhsa_system_sgpr_workgroup_id_x 1
		.amdhsa_system_sgpr_workgroup_id_y 0
		.amdhsa_system_sgpr_workgroup_id_z 0
		.amdhsa_system_sgpr_workgroup_info 0
		.amdhsa_system_vgpr_workitem_id 2
		.amdhsa_next_free_vgpr 100
		.amdhsa_next_free_sgpr 72
		.amdhsa_accum_offset 100
		.amdhsa_reserve_vcc 1
		.amdhsa_float_round_mode_32 0
		.amdhsa_float_round_mode_16_64 0
		.amdhsa_float_denorm_mode_32 3
		.amdhsa_float_denorm_mode_16_64 3
		.amdhsa_dx10_clamp 1
		.amdhsa_ieee_mode 1
		.amdhsa_fp16_overflow 0
		.amdhsa_tg_split 0
		.amdhsa_exception_fp_ieee_invalid_op 0
		.amdhsa_exception_fp_denorm_src 0
		.amdhsa_exception_fp_ieee_div_zero 0
		.amdhsa_exception_fp_ieee_overflow 0
		.amdhsa_exception_fp_ieee_underflow 0
		.amdhsa_exception_fp_ieee_inexact 0
		.amdhsa_exception_int_div_zero 0
	.end_amdhsa_kernel
	.section	.text._ZN7rocprim17ROCPRIM_400000_NS6detail17trampoline_kernelINS0_14default_configENS1_35radix_sort_onesweep_config_selectorIbiEEZZNS1_29radix_sort_onesweep_iterationIS3_Lb0EN6thrust23THRUST_200600_302600_NS6detail15normal_iteratorINS8_10device_ptrIbEEEESD_NSA_INSB_IiEEEESF_jNS0_19identity_decomposerENS1_16block_id_wrapperIjLb1EEEEE10hipError_tT1_PNSt15iterator_traitsISK_E10value_typeET2_T3_PNSL_ISQ_E10value_typeET4_T5_PSV_SW_PNS1_23onesweep_lookback_stateEbbT6_jjT7_P12ihipStream_tbENKUlT_T0_SK_SP_E_clISD_PbSF_PiEEDaS13_S14_SK_SP_EUlS13_E_NS1_11comp_targetILNS1_3genE6ELNS1_11target_archE950ELNS1_3gpuE13ELNS1_3repE0EEENS1_47radix_sort_onesweep_sort_config_static_selectorELNS0_4arch9wavefront6targetE1EEEvSK_,"axG",@progbits,_ZN7rocprim17ROCPRIM_400000_NS6detail17trampoline_kernelINS0_14default_configENS1_35radix_sort_onesweep_config_selectorIbiEEZZNS1_29radix_sort_onesweep_iterationIS3_Lb0EN6thrust23THRUST_200600_302600_NS6detail15normal_iteratorINS8_10device_ptrIbEEEESD_NSA_INSB_IiEEEESF_jNS0_19identity_decomposerENS1_16block_id_wrapperIjLb1EEEEE10hipError_tT1_PNSt15iterator_traitsISK_E10value_typeET2_T3_PNSL_ISQ_E10value_typeET4_T5_PSV_SW_PNS1_23onesweep_lookback_stateEbbT6_jjT7_P12ihipStream_tbENKUlT_T0_SK_SP_E_clISD_PbSF_PiEEDaS13_S14_SK_SP_EUlS13_E_NS1_11comp_targetILNS1_3genE6ELNS1_11target_archE950ELNS1_3gpuE13ELNS1_3repE0EEENS1_47radix_sort_onesweep_sort_config_static_selectorELNS0_4arch9wavefront6targetE1EEEvSK_,comdat
.Lfunc_end2051:
	.size	_ZN7rocprim17ROCPRIM_400000_NS6detail17trampoline_kernelINS0_14default_configENS1_35radix_sort_onesweep_config_selectorIbiEEZZNS1_29radix_sort_onesweep_iterationIS3_Lb0EN6thrust23THRUST_200600_302600_NS6detail15normal_iteratorINS8_10device_ptrIbEEEESD_NSA_INSB_IiEEEESF_jNS0_19identity_decomposerENS1_16block_id_wrapperIjLb1EEEEE10hipError_tT1_PNSt15iterator_traitsISK_E10value_typeET2_T3_PNSL_ISQ_E10value_typeET4_T5_PSV_SW_PNS1_23onesweep_lookback_stateEbbT6_jjT7_P12ihipStream_tbENKUlT_T0_SK_SP_E_clISD_PbSF_PiEEDaS13_S14_SK_SP_EUlS13_E_NS1_11comp_targetILNS1_3genE6ELNS1_11target_archE950ELNS1_3gpuE13ELNS1_3repE0EEENS1_47radix_sort_onesweep_sort_config_static_selectorELNS0_4arch9wavefront6targetE1EEEvSK_, .Lfunc_end2051-_ZN7rocprim17ROCPRIM_400000_NS6detail17trampoline_kernelINS0_14default_configENS1_35radix_sort_onesweep_config_selectorIbiEEZZNS1_29radix_sort_onesweep_iterationIS3_Lb0EN6thrust23THRUST_200600_302600_NS6detail15normal_iteratorINS8_10device_ptrIbEEEESD_NSA_INSB_IiEEEESF_jNS0_19identity_decomposerENS1_16block_id_wrapperIjLb1EEEEE10hipError_tT1_PNSt15iterator_traitsISK_E10value_typeET2_T3_PNSL_ISQ_E10value_typeET4_T5_PSV_SW_PNS1_23onesweep_lookback_stateEbbT6_jjT7_P12ihipStream_tbENKUlT_T0_SK_SP_E_clISD_PbSF_PiEEDaS13_S14_SK_SP_EUlS13_E_NS1_11comp_targetILNS1_3genE6ELNS1_11target_archE950ELNS1_3gpuE13ELNS1_3repE0EEENS1_47radix_sort_onesweep_sort_config_static_selectorELNS0_4arch9wavefront6targetE1EEEvSK_
                                        ; -- End function
	.set _ZN7rocprim17ROCPRIM_400000_NS6detail17trampoline_kernelINS0_14default_configENS1_35radix_sort_onesweep_config_selectorIbiEEZZNS1_29radix_sort_onesweep_iterationIS3_Lb0EN6thrust23THRUST_200600_302600_NS6detail15normal_iteratorINS8_10device_ptrIbEEEESD_NSA_INSB_IiEEEESF_jNS0_19identity_decomposerENS1_16block_id_wrapperIjLb1EEEEE10hipError_tT1_PNSt15iterator_traitsISK_E10value_typeET2_T3_PNSL_ISQ_E10value_typeET4_T5_PSV_SW_PNS1_23onesweep_lookback_stateEbbT6_jjT7_P12ihipStream_tbENKUlT_T0_SK_SP_E_clISD_PbSF_PiEEDaS13_S14_SK_SP_EUlS13_E_NS1_11comp_targetILNS1_3genE6ELNS1_11target_archE950ELNS1_3gpuE13ELNS1_3repE0EEENS1_47radix_sort_onesweep_sort_config_static_selectorELNS0_4arch9wavefront6targetE1EEEvSK_.num_vgpr, 100
	.set _ZN7rocprim17ROCPRIM_400000_NS6detail17trampoline_kernelINS0_14default_configENS1_35radix_sort_onesweep_config_selectorIbiEEZZNS1_29radix_sort_onesweep_iterationIS3_Lb0EN6thrust23THRUST_200600_302600_NS6detail15normal_iteratorINS8_10device_ptrIbEEEESD_NSA_INSB_IiEEEESF_jNS0_19identity_decomposerENS1_16block_id_wrapperIjLb1EEEEE10hipError_tT1_PNSt15iterator_traitsISK_E10value_typeET2_T3_PNSL_ISQ_E10value_typeET4_T5_PSV_SW_PNS1_23onesweep_lookback_stateEbbT6_jjT7_P12ihipStream_tbENKUlT_T0_SK_SP_E_clISD_PbSF_PiEEDaS13_S14_SK_SP_EUlS13_E_NS1_11comp_targetILNS1_3genE6ELNS1_11target_archE950ELNS1_3gpuE13ELNS1_3repE0EEENS1_47radix_sort_onesweep_sort_config_static_selectorELNS0_4arch9wavefront6targetE1EEEvSK_.num_agpr, 0
	.set _ZN7rocprim17ROCPRIM_400000_NS6detail17trampoline_kernelINS0_14default_configENS1_35radix_sort_onesweep_config_selectorIbiEEZZNS1_29radix_sort_onesweep_iterationIS3_Lb0EN6thrust23THRUST_200600_302600_NS6detail15normal_iteratorINS8_10device_ptrIbEEEESD_NSA_INSB_IiEEEESF_jNS0_19identity_decomposerENS1_16block_id_wrapperIjLb1EEEEE10hipError_tT1_PNSt15iterator_traitsISK_E10value_typeET2_T3_PNSL_ISQ_E10value_typeET4_T5_PSV_SW_PNS1_23onesweep_lookback_stateEbbT6_jjT7_P12ihipStream_tbENKUlT_T0_SK_SP_E_clISD_PbSF_PiEEDaS13_S14_SK_SP_EUlS13_E_NS1_11comp_targetILNS1_3genE6ELNS1_11target_archE950ELNS1_3gpuE13ELNS1_3repE0EEENS1_47radix_sort_onesweep_sort_config_static_selectorELNS0_4arch9wavefront6targetE1EEEvSK_.numbered_sgpr, 72
	.set _ZN7rocprim17ROCPRIM_400000_NS6detail17trampoline_kernelINS0_14default_configENS1_35radix_sort_onesweep_config_selectorIbiEEZZNS1_29radix_sort_onesweep_iterationIS3_Lb0EN6thrust23THRUST_200600_302600_NS6detail15normal_iteratorINS8_10device_ptrIbEEEESD_NSA_INSB_IiEEEESF_jNS0_19identity_decomposerENS1_16block_id_wrapperIjLb1EEEEE10hipError_tT1_PNSt15iterator_traitsISK_E10value_typeET2_T3_PNSL_ISQ_E10value_typeET4_T5_PSV_SW_PNS1_23onesweep_lookback_stateEbbT6_jjT7_P12ihipStream_tbENKUlT_T0_SK_SP_E_clISD_PbSF_PiEEDaS13_S14_SK_SP_EUlS13_E_NS1_11comp_targetILNS1_3genE6ELNS1_11target_archE950ELNS1_3gpuE13ELNS1_3repE0EEENS1_47radix_sort_onesweep_sort_config_static_selectorELNS0_4arch9wavefront6targetE1EEEvSK_.num_named_barrier, 0
	.set _ZN7rocprim17ROCPRIM_400000_NS6detail17trampoline_kernelINS0_14default_configENS1_35radix_sort_onesweep_config_selectorIbiEEZZNS1_29radix_sort_onesweep_iterationIS3_Lb0EN6thrust23THRUST_200600_302600_NS6detail15normal_iteratorINS8_10device_ptrIbEEEESD_NSA_INSB_IiEEEESF_jNS0_19identity_decomposerENS1_16block_id_wrapperIjLb1EEEEE10hipError_tT1_PNSt15iterator_traitsISK_E10value_typeET2_T3_PNSL_ISQ_E10value_typeET4_T5_PSV_SW_PNS1_23onesweep_lookback_stateEbbT6_jjT7_P12ihipStream_tbENKUlT_T0_SK_SP_E_clISD_PbSF_PiEEDaS13_S14_SK_SP_EUlS13_E_NS1_11comp_targetILNS1_3genE6ELNS1_11target_archE950ELNS1_3gpuE13ELNS1_3repE0EEENS1_47radix_sort_onesweep_sort_config_static_selectorELNS0_4arch9wavefront6targetE1EEEvSK_.private_seg_size, 80
	.set _ZN7rocprim17ROCPRIM_400000_NS6detail17trampoline_kernelINS0_14default_configENS1_35radix_sort_onesweep_config_selectorIbiEEZZNS1_29radix_sort_onesweep_iterationIS3_Lb0EN6thrust23THRUST_200600_302600_NS6detail15normal_iteratorINS8_10device_ptrIbEEEESD_NSA_INSB_IiEEEESF_jNS0_19identity_decomposerENS1_16block_id_wrapperIjLb1EEEEE10hipError_tT1_PNSt15iterator_traitsISK_E10value_typeET2_T3_PNSL_ISQ_E10value_typeET4_T5_PSV_SW_PNS1_23onesweep_lookback_stateEbbT6_jjT7_P12ihipStream_tbENKUlT_T0_SK_SP_E_clISD_PbSF_PiEEDaS13_S14_SK_SP_EUlS13_E_NS1_11comp_targetILNS1_3genE6ELNS1_11target_archE950ELNS1_3gpuE13ELNS1_3repE0EEENS1_47radix_sort_onesweep_sort_config_static_selectorELNS0_4arch9wavefront6targetE1EEEvSK_.uses_vcc, 1
	.set _ZN7rocprim17ROCPRIM_400000_NS6detail17trampoline_kernelINS0_14default_configENS1_35radix_sort_onesweep_config_selectorIbiEEZZNS1_29radix_sort_onesweep_iterationIS3_Lb0EN6thrust23THRUST_200600_302600_NS6detail15normal_iteratorINS8_10device_ptrIbEEEESD_NSA_INSB_IiEEEESF_jNS0_19identity_decomposerENS1_16block_id_wrapperIjLb1EEEEE10hipError_tT1_PNSt15iterator_traitsISK_E10value_typeET2_T3_PNSL_ISQ_E10value_typeET4_T5_PSV_SW_PNS1_23onesweep_lookback_stateEbbT6_jjT7_P12ihipStream_tbENKUlT_T0_SK_SP_E_clISD_PbSF_PiEEDaS13_S14_SK_SP_EUlS13_E_NS1_11comp_targetILNS1_3genE6ELNS1_11target_archE950ELNS1_3gpuE13ELNS1_3repE0EEENS1_47radix_sort_onesweep_sort_config_static_selectorELNS0_4arch9wavefront6targetE1EEEvSK_.uses_flat_scratch, 0
	.set _ZN7rocprim17ROCPRIM_400000_NS6detail17trampoline_kernelINS0_14default_configENS1_35radix_sort_onesweep_config_selectorIbiEEZZNS1_29radix_sort_onesweep_iterationIS3_Lb0EN6thrust23THRUST_200600_302600_NS6detail15normal_iteratorINS8_10device_ptrIbEEEESD_NSA_INSB_IiEEEESF_jNS0_19identity_decomposerENS1_16block_id_wrapperIjLb1EEEEE10hipError_tT1_PNSt15iterator_traitsISK_E10value_typeET2_T3_PNSL_ISQ_E10value_typeET4_T5_PSV_SW_PNS1_23onesweep_lookback_stateEbbT6_jjT7_P12ihipStream_tbENKUlT_T0_SK_SP_E_clISD_PbSF_PiEEDaS13_S14_SK_SP_EUlS13_E_NS1_11comp_targetILNS1_3genE6ELNS1_11target_archE950ELNS1_3gpuE13ELNS1_3repE0EEENS1_47radix_sort_onesweep_sort_config_static_selectorELNS0_4arch9wavefront6targetE1EEEvSK_.has_dyn_sized_stack, 0
	.set _ZN7rocprim17ROCPRIM_400000_NS6detail17trampoline_kernelINS0_14default_configENS1_35radix_sort_onesweep_config_selectorIbiEEZZNS1_29radix_sort_onesweep_iterationIS3_Lb0EN6thrust23THRUST_200600_302600_NS6detail15normal_iteratorINS8_10device_ptrIbEEEESD_NSA_INSB_IiEEEESF_jNS0_19identity_decomposerENS1_16block_id_wrapperIjLb1EEEEE10hipError_tT1_PNSt15iterator_traitsISK_E10value_typeET2_T3_PNSL_ISQ_E10value_typeET4_T5_PSV_SW_PNS1_23onesweep_lookback_stateEbbT6_jjT7_P12ihipStream_tbENKUlT_T0_SK_SP_E_clISD_PbSF_PiEEDaS13_S14_SK_SP_EUlS13_E_NS1_11comp_targetILNS1_3genE6ELNS1_11target_archE950ELNS1_3gpuE13ELNS1_3repE0EEENS1_47radix_sort_onesweep_sort_config_static_selectorELNS0_4arch9wavefront6targetE1EEEvSK_.has_recursion, 0
	.set _ZN7rocprim17ROCPRIM_400000_NS6detail17trampoline_kernelINS0_14default_configENS1_35radix_sort_onesweep_config_selectorIbiEEZZNS1_29radix_sort_onesweep_iterationIS3_Lb0EN6thrust23THRUST_200600_302600_NS6detail15normal_iteratorINS8_10device_ptrIbEEEESD_NSA_INSB_IiEEEESF_jNS0_19identity_decomposerENS1_16block_id_wrapperIjLb1EEEEE10hipError_tT1_PNSt15iterator_traitsISK_E10value_typeET2_T3_PNSL_ISQ_E10value_typeET4_T5_PSV_SW_PNS1_23onesweep_lookback_stateEbbT6_jjT7_P12ihipStream_tbENKUlT_T0_SK_SP_E_clISD_PbSF_PiEEDaS13_S14_SK_SP_EUlS13_E_NS1_11comp_targetILNS1_3genE6ELNS1_11target_archE950ELNS1_3gpuE13ELNS1_3repE0EEENS1_47radix_sort_onesweep_sort_config_static_selectorELNS0_4arch9wavefront6targetE1EEEvSK_.has_indirect_call, 0
	.section	.AMDGPU.csdata,"",@progbits
; Kernel info:
; codeLenInByte = 14904
; TotalNumSgprs: 78
; NumVgprs: 100
; NumAgprs: 0
; TotalNumVgprs: 100
; ScratchSize: 80
; MemoryBound: 0
; FloatMode: 240
; IeeeMode: 1
; LDSByteSize: 20552 bytes/workgroup (compile time only)
; SGPRBlocks: 9
; VGPRBlocks: 12
; NumSGPRsForWavesPerEU: 78
; NumVGPRsForWavesPerEU: 100
; AccumOffset: 100
; Occupancy: 4
; WaveLimiterHint : 1
; COMPUTE_PGM_RSRC2:SCRATCH_EN: 1
; COMPUTE_PGM_RSRC2:USER_SGPR: 2
; COMPUTE_PGM_RSRC2:TRAP_HANDLER: 0
; COMPUTE_PGM_RSRC2:TGID_X_EN: 1
; COMPUTE_PGM_RSRC2:TGID_Y_EN: 0
; COMPUTE_PGM_RSRC2:TGID_Z_EN: 0
; COMPUTE_PGM_RSRC2:TIDIG_COMP_CNT: 2
; COMPUTE_PGM_RSRC3_GFX90A:ACCUM_OFFSET: 24
; COMPUTE_PGM_RSRC3_GFX90A:TG_SPLIT: 0
	.section	.text._ZN7rocprim17ROCPRIM_400000_NS6detail17trampoline_kernelINS0_14default_configENS1_35radix_sort_onesweep_config_selectorIbiEEZZNS1_29radix_sort_onesweep_iterationIS3_Lb0EN6thrust23THRUST_200600_302600_NS6detail15normal_iteratorINS8_10device_ptrIbEEEESD_NSA_INSB_IiEEEESF_jNS0_19identity_decomposerENS1_16block_id_wrapperIjLb1EEEEE10hipError_tT1_PNSt15iterator_traitsISK_E10value_typeET2_T3_PNSL_ISQ_E10value_typeET4_T5_PSV_SW_PNS1_23onesweep_lookback_stateEbbT6_jjT7_P12ihipStream_tbENKUlT_T0_SK_SP_E_clISD_PbSF_PiEEDaS13_S14_SK_SP_EUlS13_E_NS1_11comp_targetILNS1_3genE5ELNS1_11target_archE942ELNS1_3gpuE9ELNS1_3repE0EEENS1_47radix_sort_onesweep_sort_config_static_selectorELNS0_4arch9wavefront6targetE1EEEvSK_,"axG",@progbits,_ZN7rocprim17ROCPRIM_400000_NS6detail17trampoline_kernelINS0_14default_configENS1_35radix_sort_onesweep_config_selectorIbiEEZZNS1_29radix_sort_onesweep_iterationIS3_Lb0EN6thrust23THRUST_200600_302600_NS6detail15normal_iteratorINS8_10device_ptrIbEEEESD_NSA_INSB_IiEEEESF_jNS0_19identity_decomposerENS1_16block_id_wrapperIjLb1EEEEE10hipError_tT1_PNSt15iterator_traitsISK_E10value_typeET2_T3_PNSL_ISQ_E10value_typeET4_T5_PSV_SW_PNS1_23onesweep_lookback_stateEbbT6_jjT7_P12ihipStream_tbENKUlT_T0_SK_SP_E_clISD_PbSF_PiEEDaS13_S14_SK_SP_EUlS13_E_NS1_11comp_targetILNS1_3genE5ELNS1_11target_archE942ELNS1_3gpuE9ELNS1_3repE0EEENS1_47radix_sort_onesweep_sort_config_static_selectorELNS0_4arch9wavefront6targetE1EEEvSK_,comdat
	.protected	_ZN7rocprim17ROCPRIM_400000_NS6detail17trampoline_kernelINS0_14default_configENS1_35radix_sort_onesweep_config_selectorIbiEEZZNS1_29radix_sort_onesweep_iterationIS3_Lb0EN6thrust23THRUST_200600_302600_NS6detail15normal_iteratorINS8_10device_ptrIbEEEESD_NSA_INSB_IiEEEESF_jNS0_19identity_decomposerENS1_16block_id_wrapperIjLb1EEEEE10hipError_tT1_PNSt15iterator_traitsISK_E10value_typeET2_T3_PNSL_ISQ_E10value_typeET4_T5_PSV_SW_PNS1_23onesweep_lookback_stateEbbT6_jjT7_P12ihipStream_tbENKUlT_T0_SK_SP_E_clISD_PbSF_PiEEDaS13_S14_SK_SP_EUlS13_E_NS1_11comp_targetILNS1_3genE5ELNS1_11target_archE942ELNS1_3gpuE9ELNS1_3repE0EEENS1_47radix_sort_onesweep_sort_config_static_selectorELNS0_4arch9wavefront6targetE1EEEvSK_ ; -- Begin function _ZN7rocprim17ROCPRIM_400000_NS6detail17trampoline_kernelINS0_14default_configENS1_35radix_sort_onesweep_config_selectorIbiEEZZNS1_29radix_sort_onesweep_iterationIS3_Lb0EN6thrust23THRUST_200600_302600_NS6detail15normal_iteratorINS8_10device_ptrIbEEEESD_NSA_INSB_IiEEEESF_jNS0_19identity_decomposerENS1_16block_id_wrapperIjLb1EEEEE10hipError_tT1_PNSt15iterator_traitsISK_E10value_typeET2_T3_PNSL_ISQ_E10value_typeET4_T5_PSV_SW_PNS1_23onesweep_lookback_stateEbbT6_jjT7_P12ihipStream_tbENKUlT_T0_SK_SP_E_clISD_PbSF_PiEEDaS13_S14_SK_SP_EUlS13_E_NS1_11comp_targetILNS1_3genE5ELNS1_11target_archE942ELNS1_3gpuE9ELNS1_3repE0EEENS1_47radix_sort_onesweep_sort_config_static_selectorELNS0_4arch9wavefront6targetE1EEEvSK_
	.globl	_ZN7rocprim17ROCPRIM_400000_NS6detail17trampoline_kernelINS0_14default_configENS1_35radix_sort_onesweep_config_selectorIbiEEZZNS1_29radix_sort_onesweep_iterationIS3_Lb0EN6thrust23THRUST_200600_302600_NS6detail15normal_iteratorINS8_10device_ptrIbEEEESD_NSA_INSB_IiEEEESF_jNS0_19identity_decomposerENS1_16block_id_wrapperIjLb1EEEEE10hipError_tT1_PNSt15iterator_traitsISK_E10value_typeET2_T3_PNSL_ISQ_E10value_typeET4_T5_PSV_SW_PNS1_23onesweep_lookback_stateEbbT6_jjT7_P12ihipStream_tbENKUlT_T0_SK_SP_E_clISD_PbSF_PiEEDaS13_S14_SK_SP_EUlS13_E_NS1_11comp_targetILNS1_3genE5ELNS1_11target_archE942ELNS1_3gpuE9ELNS1_3repE0EEENS1_47radix_sort_onesweep_sort_config_static_selectorELNS0_4arch9wavefront6targetE1EEEvSK_
	.p2align	8
	.type	_ZN7rocprim17ROCPRIM_400000_NS6detail17trampoline_kernelINS0_14default_configENS1_35radix_sort_onesweep_config_selectorIbiEEZZNS1_29radix_sort_onesweep_iterationIS3_Lb0EN6thrust23THRUST_200600_302600_NS6detail15normal_iteratorINS8_10device_ptrIbEEEESD_NSA_INSB_IiEEEESF_jNS0_19identity_decomposerENS1_16block_id_wrapperIjLb1EEEEE10hipError_tT1_PNSt15iterator_traitsISK_E10value_typeET2_T3_PNSL_ISQ_E10value_typeET4_T5_PSV_SW_PNS1_23onesweep_lookback_stateEbbT6_jjT7_P12ihipStream_tbENKUlT_T0_SK_SP_E_clISD_PbSF_PiEEDaS13_S14_SK_SP_EUlS13_E_NS1_11comp_targetILNS1_3genE5ELNS1_11target_archE942ELNS1_3gpuE9ELNS1_3repE0EEENS1_47radix_sort_onesweep_sort_config_static_selectorELNS0_4arch9wavefront6targetE1EEEvSK_,@function
_ZN7rocprim17ROCPRIM_400000_NS6detail17trampoline_kernelINS0_14default_configENS1_35radix_sort_onesweep_config_selectorIbiEEZZNS1_29radix_sort_onesweep_iterationIS3_Lb0EN6thrust23THRUST_200600_302600_NS6detail15normal_iteratorINS8_10device_ptrIbEEEESD_NSA_INSB_IiEEEESF_jNS0_19identity_decomposerENS1_16block_id_wrapperIjLb1EEEEE10hipError_tT1_PNSt15iterator_traitsISK_E10value_typeET2_T3_PNSL_ISQ_E10value_typeET4_T5_PSV_SW_PNS1_23onesweep_lookback_stateEbbT6_jjT7_P12ihipStream_tbENKUlT_T0_SK_SP_E_clISD_PbSF_PiEEDaS13_S14_SK_SP_EUlS13_E_NS1_11comp_targetILNS1_3genE5ELNS1_11target_archE942ELNS1_3gpuE9ELNS1_3repE0EEENS1_47radix_sort_onesweep_sort_config_static_selectorELNS0_4arch9wavefront6targetE1EEEvSK_: ; @_ZN7rocprim17ROCPRIM_400000_NS6detail17trampoline_kernelINS0_14default_configENS1_35radix_sort_onesweep_config_selectorIbiEEZZNS1_29radix_sort_onesweep_iterationIS3_Lb0EN6thrust23THRUST_200600_302600_NS6detail15normal_iteratorINS8_10device_ptrIbEEEESD_NSA_INSB_IiEEEESF_jNS0_19identity_decomposerENS1_16block_id_wrapperIjLb1EEEEE10hipError_tT1_PNSt15iterator_traitsISK_E10value_typeET2_T3_PNSL_ISQ_E10value_typeET4_T5_PSV_SW_PNS1_23onesweep_lookback_stateEbbT6_jjT7_P12ihipStream_tbENKUlT_T0_SK_SP_E_clISD_PbSF_PiEEDaS13_S14_SK_SP_EUlS13_E_NS1_11comp_targetILNS1_3genE5ELNS1_11target_archE942ELNS1_3gpuE9ELNS1_3repE0EEENS1_47radix_sort_onesweep_sort_config_static_selectorELNS0_4arch9wavefront6targetE1EEEvSK_
; %bb.0:
	.section	.rodata,"a",@progbits
	.p2align	6, 0x0
	.amdhsa_kernel _ZN7rocprim17ROCPRIM_400000_NS6detail17trampoline_kernelINS0_14default_configENS1_35radix_sort_onesweep_config_selectorIbiEEZZNS1_29radix_sort_onesweep_iterationIS3_Lb0EN6thrust23THRUST_200600_302600_NS6detail15normal_iteratorINS8_10device_ptrIbEEEESD_NSA_INSB_IiEEEESF_jNS0_19identity_decomposerENS1_16block_id_wrapperIjLb1EEEEE10hipError_tT1_PNSt15iterator_traitsISK_E10value_typeET2_T3_PNSL_ISQ_E10value_typeET4_T5_PSV_SW_PNS1_23onesweep_lookback_stateEbbT6_jjT7_P12ihipStream_tbENKUlT_T0_SK_SP_E_clISD_PbSF_PiEEDaS13_S14_SK_SP_EUlS13_E_NS1_11comp_targetILNS1_3genE5ELNS1_11target_archE942ELNS1_3gpuE9ELNS1_3repE0EEENS1_47radix_sort_onesweep_sort_config_static_selectorELNS0_4arch9wavefront6targetE1EEEvSK_
		.amdhsa_group_segment_fixed_size 0
		.amdhsa_private_segment_fixed_size 0
		.amdhsa_kernarg_size 88
		.amdhsa_user_sgpr_count 2
		.amdhsa_user_sgpr_dispatch_ptr 0
		.amdhsa_user_sgpr_queue_ptr 0
		.amdhsa_user_sgpr_kernarg_segment_ptr 1
		.amdhsa_user_sgpr_dispatch_id 0
		.amdhsa_user_sgpr_kernarg_preload_length 0
		.amdhsa_user_sgpr_kernarg_preload_offset 0
		.amdhsa_user_sgpr_private_segment_size 0
		.amdhsa_uses_dynamic_stack 0
		.amdhsa_enable_private_segment 0
		.amdhsa_system_sgpr_workgroup_id_x 1
		.amdhsa_system_sgpr_workgroup_id_y 0
		.amdhsa_system_sgpr_workgroup_id_z 0
		.amdhsa_system_sgpr_workgroup_info 0
		.amdhsa_system_vgpr_workitem_id 0
		.amdhsa_next_free_vgpr 1
		.amdhsa_next_free_sgpr 0
		.amdhsa_accum_offset 4
		.amdhsa_reserve_vcc 0
		.amdhsa_float_round_mode_32 0
		.amdhsa_float_round_mode_16_64 0
		.amdhsa_float_denorm_mode_32 3
		.amdhsa_float_denorm_mode_16_64 3
		.amdhsa_dx10_clamp 1
		.amdhsa_ieee_mode 1
		.amdhsa_fp16_overflow 0
		.amdhsa_tg_split 0
		.amdhsa_exception_fp_ieee_invalid_op 0
		.amdhsa_exception_fp_denorm_src 0
		.amdhsa_exception_fp_ieee_div_zero 0
		.amdhsa_exception_fp_ieee_overflow 0
		.amdhsa_exception_fp_ieee_underflow 0
		.amdhsa_exception_fp_ieee_inexact 0
		.amdhsa_exception_int_div_zero 0
	.end_amdhsa_kernel
	.section	.text._ZN7rocprim17ROCPRIM_400000_NS6detail17trampoline_kernelINS0_14default_configENS1_35radix_sort_onesweep_config_selectorIbiEEZZNS1_29radix_sort_onesweep_iterationIS3_Lb0EN6thrust23THRUST_200600_302600_NS6detail15normal_iteratorINS8_10device_ptrIbEEEESD_NSA_INSB_IiEEEESF_jNS0_19identity_decomposerENS1_16block_id_wrapperIjLb1EEEEE10hipError_tT1_PNSt15iterator_traitsISK_E10value_typeET2_T3_PNSL_ISQ_E10value_typeET4_T5_PSV_SW_PNS1_23onesweep_lookback_stateEbbT6_jjT7_P12ihipStream_tbENKUlT_T0_SK_SP_E_clISD_PbSF_PiEEDaS13_S14_SK_SP_EUlS13_E_NS1_11comp_targetILNS1_3genE5ELNS1_11target_archE942ELNS1_3gpuE9ELNS1_3repE0EEENS1_47radix_sort_onesweep_sort_config_static_selectorELNS0_4arch9wavefront6targetE1EEEvSK_,"axG",@progbits,_ZN7rocprim17ROCPRIM_400000_NS6detail17trampoline_kernelINS0_14default_configENS1_35radix_sort_onesweep_config_selectorIbiEEZZNS1_29radix_sort_onesweep_iterationIS3_Lb0EN6thrust23THRUST_200600_302600_NS6detail15normal_iteratorINS8_10device_ptrIbEEEESD_NSA_INSB_IiEEEESF_jNS0_19identity_decomposerENS1_16block_id_wrapperIjLb1EEEEE10hipError_tT1_PNSt15iterator_traitsISK_E10value_typeET2_T3_PNSL_ISQ_E10value_typeET4_T5_PSV_SW_PNS1_23onesweep_lookback_stateEbbT6_jjT7_P12ihipStream_tbENKUlT_T0_SK_SP_E_clISD_PbSF_PiEEDaS13_S14_SK_SP_EUlS13_E_NS1_11comp_targetILNS1_3genE5ELNS1_11target_archE942ELNS1_3gpuE9ELNS1_3repE0EEENS1_47radix_sort_onesweep_sort_config_static_selectorELNS0_4arch9wavefront6targetE1EEEvSK_,comdat
.Lfunc_end2052:
	.size	_ZN7rocprim17ROCPRIM_400000_NS6detail17trampoline_kernelINS0_14default_configENS1_35radix_sort_onesweep_config_selectorIbiEEZZNS1_29radix_sort_onesweep_iterationIS3_Lb0EN6thrust23THRUST_200600_302600_NS6detail15normal_iteratorINS8_10device_ptrIbEEEESD_NSA_INSB_IiEEEESF_jNS0_19identity_decomposerENS1_16block_id_wrapperIjLb1EEEEE10hipError_tT1_PNSt15iterator_traitsISK_E10value_typeET2_T3_PNSL_ISQ_E10value_typeET4_T5_PSV_SW_PNS1_23onesweep_lookback_stateEbbT6_jjT7_P12ihipStream_tbENKUlT_T0_SK_SP_E_clISD_PbSF_PiEEDaS13_S14_SK_SP_EUlS13_E_NS1_11comp_targetILNS1_3genE5ELNS1_11target_archE942ELNS1_3gpuE9ELNS1_3repE0EEENS1_47radix_sort_onesweep_sort_config_static_selectorELNS0_4arch9wavefront6targetE1EEEvSK_, .Lfunc_end2052-_ZN7rocprim17ROCPRIM_400000_NS6detail17trampoline_kernelINS0_14default_configENS1_35radix_sort_onesweep_config_selectorIbiEEZZNS1_29radix_sort_onesweep_iterationIS3_Lb0EN6thrust23THRUST_200600_302600_NS6detail15normal_iteratorINS8_10device_ptrIbEEEESD_NSA_INSB_IiEEEESF_jNS0_19identity_decomposerENS1_16block_id_wrapperIjLb1EEEEE10hipError_tT1_PNSt15iterator_traitsISK_E10value_typeET2_T3_PNSL_ISQ_E10value_typeET4_T5_PSV_SW_PNS1_23onesweep_lookback_stateEbbT6_jjT7_P12ihipStream_tbENKUlT_T0_SK_SP_E_clISD_PbSF_PiEEDaS13_S14_SK_SP_EUlS13_E_NS1_11comp_targetILNS1_3genE5ELNS1_11target_archE942ELNS1_3gpuE9ELNS1_3repE0EEENS1_47radix_sort_onesweep_sort_config_static_selectorELNS0_4arch9wavefront6targetE1EEEvSK_
                                        ; -- End function
	.set _ZN7rocprim17ROCPRIM_400000_NS6detail17trampoline_kernelINS0_14default_configENS1_35radix_sort_onesweep_config_selectorIbiEEZZNS1_29radix_sort_onesweep_iterationIS3_Lb0EN6thrust23THRUST_200600_302600_NS6detail15normal_iteratorINS8_10device_ptrIbEEEESD_NSA_INSB_IiEEEESF_jNS0_19identity_decomposerENS1_16block_id_wrapperIjLb1EEEEE10hipError_tT1_PNSt15iterator_traitsISK_E10value_typeET2_T3_PNSL_ISQ_E10value_typeET4_T5_PSV_SW_PNS1_23onesweep_lookback_stateEbbT6_jjT7_P12ihipStream_tbENKUlT_T0_SK_SP_E_clISD_PbSF_PiEEDaS13_S14_SK_SP_EUlS13_E_NS1_11comp_targetILNS1_3genE5ELNS1_11target_archE942ELNS1_3gpuE9ELNS1_3repE0EEENS1_47radix_sort_onesweep_sort_config_static_selectorELNS0_4arch9wavefront6targetE1EEEvSK_.num_vgpr, 0
	.set _ZN7rocprim17ROCPRIM_400000_NS6detail17trampoline_kernelINS0_14default_configENS1_35radix_sort_onesweep_config_selectorIbiEEZZNS1_29radix_sort_onesweep_iterationIS3_Lb0EN6thrust23THRUST_200600_302600_NS6detail15normal_iteratorINS8_10device_ptrIbEEEESD_NSA_INSB_IiEEEESF_jNS0_19identity_decomposerENS1_16block_id_wrapperIjLb1EEEEE10hipError_tT1_PNSt15iterator_traitsISK_E10value_typeET2_T3_PNSL_ISQ_E10value_typeET4_T5_PSV_SW_PNS1_23onesweep_lookback_stateEbbT6_jjT7_P12ihipStream_tbENKUlT_T0_SK_SP_E_clISD_PbSF_PiEEDaS13_S14_SK_SP_EUlS13_E_NS1_11comp_targetILNS1_3genE5ELNS1_11target_archE942ELNS1_3gpuE9ELNS1_3repE0EEENS1_47radix_sort_onesweep_sort_config_static_selectorELNS0_4arch9wavefront6targetE1EEEvSK_.num_agpr, 0
	.set _ZN7rocprim17ROCPRIM_400000_NS6detail17trampoline_kernelINS0_14default_configENS1_35radix_sort_onesweep_config_selectorIbiEEZZNS1_29radix_sort_onesweep_iterationIS3_Lb0EN6thrust23THRUST_200600_302600_NS6detail15normal_iteratorINS8_10device_ptrIbEEEESD_NSA_INSB_IiEEEESF_jNS0_19identity_decomposerENS1_16block_id_wrapperIjLb1EEEEE10hipError_tT1_PNSt15iterator_traitsISK_E10value_typeET2_T3_PNSL_ISQ_E10value_typeET4_T5_PSV_SW_PNS1_23onesweep_lookback_stateEbbT6_jjT7_P12ihipStream_tbENKUlT_T0_SK_SP_E_clISD_PbSF_PiEEDaS13_S14_SK_SP_EUlS13_E_NS1_11comp_targetILNS1_3genE5ELNS1_11target_archE942ELNS1_3gpuE9ELNS1_3repE0EEENS1_47radix_sort_onesweep_sort_config_static_selectorELNS0_4arch9wavefront6targetE1EEEvSK_.numbered_sgpr, 0
	.set _ZN7rocprim17ROCPRIM_400000_NS6detail17trampoline_kernelINS0_14default_configENS1_35radix_sort_onesweep_config_selectorIbiEEZZNS1_29radix_sort_onesweep_iterationIS3_Lb0EN6thrust23THRUST_200600_302600_NS6detail15normal_iteratorINS8_10device_ptrIbEEEESD_NSA_INSB_IiEEEESF_jNS0_19identity_decomposerENS1_16block_id_wrapperIjLb1EEEEE10hipError_tT1_PNSt15iterator_traitsISK_E10value_typeET2_T3_PNSL_ISQ_E10value_typeET4_T5_PSV_SW_PNS1_23onesweep_lookback_stateEbbT6_jjT7_P12ihipStream_tbENKUlT_T0_SK_SP_E_clISD_PbSF_PiEEDaS13_S14_SK_SP_EUlS13_E_NS1_11comp_targetILNS1_3genE5ELNS1_11target_archE942ELNS1_3gpuE9ELNS1_3repE0EEENS1_47radix_sort_onesweep_sort_config_static_selectorELNS0_4arch9wavefront6targetE1EEEvSK_.num_named_barrier, 0
	.set _ZN7rocprim17ROCPRIM_400000_NS6detail17trampoline_kernelINS0_14default_configENS1_35radix_sort_onesweep_config_selectorIbiEEZZNS1_29radix_sort_onesweep_iterationIS3_Lb0EN6thrust23THRUST_200600_302600_NS6detail15normal_iteratorINS8_10device_ptrIbEEEESD_NSA_INSB_IiEEEESF_jNS0_19identity_decomposerENS1_16block_id_wrapperIjLb1EEEEE10hipError_tT1_PNSt15iterator_traitsISK_E10value_typeET2_T3_PNSL_ISQ_E10value_typeET4_T5_PSV_SW_PNS1_23onesweep_lookback_stateEbbT6_jjT7_P12ihipStream_tbENKUlT_T0_SK_SP_E_clISD_PbSF_PiEEDaS13_S14_SK_SP_EUlS13_E_NS1_11comp_targetILNS1_3genE5ELNS1_11target_archE942ELNS1_3gpuE9ELNS1_3repE0EEENS1_47radix_sort_onesweep_sort_config_static_selectorELNS0_4arch9wavefront6targetE1EEEvSK_.private_seg_size, 0
	.set _ZN7rocprim17ROCPRIM_400000_NS6detail17trampoline_kernelINS0_14default_configENS1_35radix_sort_onesweep_config_selectorIbiEEZZNS1_29radix_sort_onesweep_iterationIS3_Lb0EN6thrust23THRUST_200600_302600_NS6detail15normal_iteratorINS8_10device_ptrIbEEEESD_NSA_INSB_IiEEEESF_jNS0_19identity_decomposerENS1_16block_id_wrapperIjLb1EEEEE10hipError_tT1_PNSt15iterator_traitsISK_E10value_typeET2_T3_PNSL_ISQ_E10value_typeET4_T5_PSV_SW_PNS1_23onesweep_lookback_stateEbbT6_jjT7_P12ihipStream_tbENKUlT_T0_SK_SP_E_clISD_PbSF_PiEEDaS13_S14_SK_SP_EUlS13_E_NS1_11comp_targetILNS1_3genE5ELNS1_11target_archE942ELNS1_3gpuE9ELNS1_3repE0EEENS1_47radix_sort_onesweep_sort_config_static_selectorELNS0_4arch9wavefront6targetE1EEEvSK_.uses_vcc, 0
	.set _ZN7rocprim17ROCPRIM_400000_NS6detail17trampoline_kernelINS0_14default_configENS1_35radix_sort_onesweep_config_selectorIbiEEZZNS1_29radix_sort_onesweep_iterationIS3_Lb0EN6thrust23THRUST_200600_302600_NS6detail15normal_iteratorINS8_10device_ptrIbEEEESD_NSA_INSB_IiEEEESF_jNS0_19identity_decomposerENS1_16block_id_wrapperIjLb1EEEEE10hipError_tT1_PNSt15iterator_traitsISK_E10value_typeET2_T3_PNSL_ISQ_E10value_typeET4_T5_PSV_SW_PNS1_23onesweep_lookback_stateEbbT6_jjT7_P12ihipStream_tbENKUlT_T0_SK_SP_E_clISD_PbSF_PiEEDaS13_S14_SK_SP_EUlS13_E_NS1_11comp_targetILNS1_3genE5ELNS1_11target_archE942ELNS1_3gpuE9ELNS1_3repE0EEENS1_47radix_sort_onesweep_sort_config_static_selectorELNS0_4arch9wavefront6targetE1EEEvSK_.uses_flat_scratch, 0
	.set _ZN7rocprim17ROCPRIM_400000_NS6detail17trampoline_kernelINS0_14default_configENS1_35radix_sort_onesweep_config_selectorIbiEEZZNS1_29radix_sort_onesweep_iterationIS3_Lb0EN6thrust23THRUST_200600_302600_NS6detail15normal_iteratorINS8_10device_ptrIbEEEESD_NSA_INSB_IiEEEESF_jNS0_19identity_decomposerENS1_16block_id_wrapperIjLb1EEEEE10hipError_tT1_PNSt15iterator_traitsISK_E10value_typeET2_T3_PNSL_ISQ_E10value_typeET4_T5_PSV_SW_PNS1_23onesweep_lookback_stateEbbT6_jjT7_P12ihipStream_tbENKUlT_T0_SK_SP_E_clISD_PbSF_PiEEDaS13_S14_SK_SP_EUlS13_E_NS1_11comp_targetILNS1_3genE5ELNS1_11target_archE942ELNS1_3gpuE9ELNS1_3repE0EEENS1_47radix_sort_onesweep_sort_config_static_selectorELNS0_4arch9wavefront6targetE1EEEvSK_.has_dyn_sized_stack, 0
	.set _ZN7rocprim17ROCPRIM_400000_NS6detail17trampoline_kernelINS0_14default_configENS1_35radix_sort_onesweep_config_selectorIbiEEZZNS1_29radix_sort_onesweep_iterationIS3_Lb0EN6thrust23THRUST_200600_302600_NS6detail15normal_iteratorINS8_10device_ptrIbEEEESD_NSA_INSB_IiEEEESF_jNS0_19identity_decomposerENS1_16block_id_wrapperIjLb1EEEEE10hipError_tT1_PNSt15iterator_traitsISK_E10value_typeET2_T3_PNSL_ISQ_E10value_typeET4_T5_PSV_SW_PNS1_23onesweep_lookback_stateEbbT6_jjT7_P12ihipStream_tbENKUlT_T0_SK_SP_E_clISD_PbSF_PiEEDaS13_S14_SK_SP_EUlS13_E_NS1_11comp_targetILNS1_3genE5ELNS1_11target_archE942ELNS1_3gpuE9ELNS1_3repE0EEENS1_47radix_sort_onesweep_sort_config_static_selectorELNS0_4arch9wavefront6targetE1EEEvSK_.has_recursion, 0
	.set _ZN7rocprim17ROCPRIM_400000_NS6detail17trampoline_kernelINS0_14default_configENS1_35radix_sort_onesweep_config_selectorIbiEEZZNS1_29radix_sort_onesweep_iterationIS3_Lb0EN6thrust23THRUST_200600_302600_NS6detail15normal_iteratorINS8_10device_ptrIbEEEESD_NSA_INSB_IiEEEESF_jNS0_19identity_decomposerENS1_16block_id_wrapperIjLb1EEEEE10hipError_tT1_PNSt15iterator_traitsISK_E10value_typeET2_T3_PNSL_ISQ_E10value_typeET4_T5_PSV_SW_PNS1_23onesweep_lookback_stateEbbT6_jjT7_P12ihipStream_tbENKUlT_T0_SK_SP_E_clISD_PbSF_PiEEDaS13_S14_SK_SP_EUlS13_E_NS1_11comp_targetILNS1_3genE5ELNS1_11target_archE942ELNS1_3gpuE9ELNS1_3repE0EEENS1_47radix_sort_onesweep_sort_config_static_selectorELNS0_4arch9wavefront6targetE1EEEvSK_.has_indirect_call, 0
	.section	.AMDGPU.csdata,"",@progbits
; Kernel info:
; codeLenInByte = 0
; TotalNumSgprs: 6
; NumVgprs: 0
; NumAgprs: 0
; TotalNumVgprs: 0
; ScratchSize: 0
; MemoryBound: 0
; FloatMode: 240
; IeeeMode: 1
; LDSByteSize: 0 bytes/workgroup (compile time only)
; SGPRBlocks: 0
; VGPRBlocks: 0
; NumSGPRsForWavesPerEU: 6
; NumVGPRsForWavesPerEU: 1
; AccumOffset: 4
; Occupancy: 8
; WaveLimiterHint : 0
; COMPUTE_PGM_RSRC2:SCRATCH_EN: 0
; COMPUTE_PGM_RSRC2:USER_SGPR: 2
; COMPUTE_PGM_RSRC2:TRAP_HANDLER: 0
; COMPUTE_PGM_RSRC2:TGID_X_EN: 1
; COMPUTE_PGM_RSRC2:TGID_Y_EN: 0
; COMPUTE_PGM_RSRC2:TGID_Z_EN: 0
; COMPUTE_PGM_RSRC2:TIDIG_COMP_CNT: 0
; COMPUTE_PGM_RSRC3_GFX90A:ACCUM_OFFSET: 0
; COMPUTE_PGM_RSRC3_GFX90A:TG_SPLIT: 0
	.section	.text._ZN7rocprim17ROCPRIM_400000_NS6detail17trampoline_kernelINS0_14default_configENS1_35radix_sort_onesweep_config_selectorIbiEEZZNS1_29radix_sort_onesweep_iterationIS3_Lb0EN6thrust23THRUST_200600_302600_NS6detail15normal_iteratorINS8_10device_ptrIbEEEESD_NSA_INSB_IiEEEESF_jNS0_19identity_decomposerENS1_16block_id_wrapperIjLb1EEEEE10hipError_tT1_PNSt15iterator_traitsISK_E10value_typeET2_T3_PNSL_ISQ_E10value_typeET4_T5_PSV_SW_PNS1_23onesweep_lookback_stateEbbT6_jjT7_P12ihipStream_tbENKUlT_T0_SK_SP_E_clISD_PbSF_PiEEDaS13_S14_SK_SP_EUlS13_E_NS1_11comp_targetILNS1_3genE2ELNS1_11target_archE906ELNS1_3gpuE6ELNS1_3repE0EEENS1_47radix_sort_onesweep_sort_config_static_selectorELNS0_4arch9wavefront6targetE1EEEvSK_,"axG",@progbits,_ZN7rocprim17ROCPRIM_400000_NS6detail17trampoline_kernelINS0_14default_configENS1_35radix_sort_onesweep_config_selectorIbiEEZZNS1_29radix_sort_onesweep_iterationIS3_Lb0EN6thrust23THRUST_200600_302600_NS6detail15normal_iteratorINS8_10device_ptrIbEEEESD_NSA_INSB_IiEEEESF_jNS0_19identity_decomposerENS1_16block_id_wrapperIjLb1EEEEE10hipError_tT1_PNSt15iterator_traitsISK_E10value_typeET2_T3_PNSL_ISQ_E10value_typeET4_T5_PSV_SW_PNS1_23onesweep_lookback_stateEbbT6_jjT7_P12ihipStream_tbENKUlT_T0_SK_SP_E_clISD_PbSF_PiEEDaS13_S14_SK_SP_EUlS13_E_NS1_11comp_targetILNS1_3genE2ELNS1_11target_archE906ELNS1_3gpuE6ELNS1_3repE0EEENS1_47radix_sort_onesweep_sort_config_static_selectorELNS0_4arch9wavefront6targetE1EEEvSK_,comdat
	.protected	_ZN7rocprim17ROCPRIM_400000_NS6detail17trampoline_kernelINS0_14default_configENS1_35radix_sort_onesweep_config_selectorIbiEEZZNS1_29radix_sort_onesweep_iterationIS3_Lb0EN6thrust23THRUST_200600_302600_NS6detail15normal_iteratorINS8_10device_ptrIbEEEESD_NSA_INSB_IiEEEESF_jNS0_19identity_decomposerENS1_16block_id_wrapperIjLb1EEEEE10hipError_tT1_PNSt15iterator_traitsISK_E10value_typeET2_T3_PNSL_ISQ_E10value_typeET4_T5_PSV_SW_PNS1_23onesweep_lookback_stateEbbT6_jjT7_P12ihipStream_tbENKUlT_T0_SK_SP_E_clISD_PbSF_PiEEDaS13_S14_SK_SP_EUlS13_E_NS1_11comp_targetILNS1_3genE2ELNS1_11target_archE906ELNS1_3gpuE6ELNS1_3repE0EEENS1_47radix_sort_onesweep_sort_config_static_selectorELNS0_4arch9wavefront6targetE1EEEvSK_ ; -- Begin function _ZN7rocprim17ROCPRIM_400000_NS6detail17trampoline_kernelINS0_14default_configENS1_35radix_sort_onesweep_config_selectorIbiEEZZNS1_29radix_sort_onesweep_iterationIS3_Lb0EN6thrust23THRUST_200600_302600_NS6detail15normal_iteratorINS8_10device_ptrIbEEEESD_NSA_INSB_IiEEEESF_jNS0_19identity_decomposerENS1_16block_id_wrapperIjLb1EEEEE10hipError_tT1_PNSt15iterator_traitsISK_E10value_typeET2_T3_PNSL_ISQ_E10value_typeET4_T5_PSV_SW_PNS1_23onesweep_lookback_stateEbbT6_jjT7_P12ihipStream_tbENKUlT_T0_SK_SP_E_clISD_PbSF_PiEEDaS13_S14_SK_SP_EUlS13_E_NS1_11comp_targetILNS1_3genE2ELNS1_11target_archE906ELNS1_3gpuE6ELNS1_3repE0EEENS1_47radix_sort_onesweep_sort_config_static_selectorELNS0_4arch9wavefront6targetE1EEEvSK_
	.globl	_ZN7rocprim17ROCPRIM_400000_NS6detail17trampoline_kernelINS0_14default_configENS1_35radix_sort_onesweep_config_selectorIbiEEZZNS1_29radix_sort_onesweep_iterationIS3_Lb0EN6thrust23THRUST_200600_302600_NS6detail15normal_iteratorINS8_10device_ptrIbEEEESD_NSA_INSB_IiEEEESF_jNS0_19identity_decomposerENS1_16block_id_wrapperIjLb1EEEEE10hipError_tT1_PNSt15iterator_traitsISK_E10value_typeET2_T3_PNSL_ISQ_E10value_typeET4_T5_PSV_SW_PNS1_23onesweep_lookback_stateEbbT6_jjT7_P12ihipStream_tbENKUlT_T0_SK_SP_E_clISD_PbSF_PiEEDaS13_S14_SK_SP_EUlS13_E_NS1_11comp_targetILNS1_3genE2ELNS1_11target_archE906ELNS1_3gpuE6ELNS1_3repE0EEENS1_47radix_sort_onesweep_sort_config_static_selectorELNS0_4arch9wavefront6targetE1EEEvSK_
	.p2align	8
	.type	_ZN7rocprim17ROCPRIM_400000_NS6detail17trampoline_kernelINS0_14default_configENS1_35radix_sort_onesweep_config_selectorIbiEEZZNS1_29radix_sort_onesweep_iterationIS3_Lb0EN6thrust23THRUST_200600_302600_NS6detail15normal_iteratorINS8_10device_ptrIbEEEESD_NSA_INSB_IiEEEESF_jNS0_19identity_decomposerENS1_16block_id_wrapperIjLb1EEEEE10hipError_tT1_PNSt15iterator_traitsISK_E10value_typeET2_T3_PNSL_ISQ_E10value_typeET4_T5_PSV_SW_PNS1_23onesweep_lookback_stateEbbT6_jjT7_P12ihipStream_tbENKUlT_T0_SK_SP_E_clISD_PbSF_PiEEDaS13_S14_SK_SP_EUlS13_E_NS1_11comp_targetILNS1_3genE2ELNS1_11target_archE906ELNS1_3gpuE6ELNS1_3repE0EEENS1_47radix_sort_onesweep_sort_config_static_selectorELNS0_4arch9wavefront6targetE1EEEvSK_,@function
_ZN7rocprim17ROCPRIM_400000_NS6detail17trampoline_kernelINS0_14default_configENS1_35radix_sort_onesweep_config_selectorIbiEEZZNS1_29radix_sort_onesweep_iterationIS3_Lb0EN6thrust23THRUST_200600_302600_NS6detail15normal_iteratorINS8_10device_ptrIbEEEESD_NSA_INSB_IiEEEESF_jNS0_19identity_decomposerENS1_16block_id_wrapperIjLb1EEEEE10hipError_tT1_PNSt15iterator_traitsISK_E10value_typeET2_T3_PNSL_ISQ_E10value_typeET4_T5_PSV_SW_PNS1_23onesweep_lookback_stateEbbT6_jjT7_P12ihipStream_tbENKUlT_T0_SK_SP_E_clISD_PbSF_PiEEDaS13_S14_SK_SP_EUlS13_E_NS1_11comp_targetILNS1_3genE2ELNS1_11target_archE906ELNS1_3gpuE6ELNS1_3repE0EEENS1_47radix_sort_onesweep_sort_config_static_selectorELNS0_4arch9wavefront6targetE1EEEvSK_: ; @_ZN7rocprim17ROCPRIM_400000_NS6detail17trampoline_kernelINS0_14default_configENS1_35radix_sort_onesweep_config_selectorIbiEEZZNS1_29radix_sort_onesweep_iterationIS3_Lb0EN6thrust23THRUST_200600_302600_NS6detail15normal_iteratorINS8_10device_ptrIbEEEESD_NSA_INSB_IiEEEESF_jNS0_19identity_decomposerENS1_16block_id_wrapperIjLb1EEEEE10hipError_tT1_PNSt15iterator_traitsISK_E10value_typeET2_T3_PNSL_ISQ_E10value_typeET4_T5_PSV_SW_PNS1_23onesweep_lookback_stateEbbT6_jjT7_P12ihipStream_tbENKUlT_T0_SK_SP_E_clISD_PbSF_PiEEDaS13_S14_SK_SP_EUlS13_E_NS1_11comp_targetILNS1_3genE2ELNS1_11target_archE906ELNS1_3gpuE6ELNS1_3repE0EEENS1_47radix_sort_onesweep_sort_config_static_selectorELNS0_4arch9wavefront6targetE1EEEvSK_
; %bb.0:
	.section	.rodata,"a",@progbits
	.p2align	6, 0x0
	.amdhsa_kernel _ZN7rocprim17ROCPRIM_400000_NS6detail17trampoline_kernelINS0_14default_configENS1_35radix_sort_onesweep_config_selectorIbiEEZZNS1_29radix_sort_onesweep_iterationIS3_Lb0EN6thrust23THRUST_200600_302600_NS6detail15normal_iteratorINS8_10device_ptrIbEEEESD_NSA_INSB_IiEEEESF_jNS0_19identity_decomposerENS1_16block_id_wrapperIjLb1EEEEE10hipError_tT1_PNSt15iterator_traitsISK_E10value_typeET2_T3_PNSL_ISQ_E10value_typeET4_T5_PSV_SW_PNS1_23onesweep_lookback_stateEbbT6_jjT7_P12ihipStream_tbENKUlT_T0_SK_SP_E_clISD_PbSF_PiEEDaS13_S14_SK_SP_EUlS13_E_NS1_11comp_targetILNS1_3genE2ELNS1_11target_archE906ELNS1_3gpuE6ELNS1_3repE0EEENS1_47radix_sort_onesweep_sort_config_static_selectorELNS0_4arch9wavefront6targetE1EEEvSK_
		.amdhsa_group_segment_fixed_size 0
		.amdhsa_private_segment_fixed_size 0
		.amdhsa_kernarg_size 88
		.amdhsa_user_sgpr_count 2
		.amdhsa_user_sgpr_dispatch_ptr 0
		.amdhsa_user_sgpr_queue_ptr 0
		.amdhsa_user_sgpr_kernarg_segment_ptr 1
		.amdhsa_user_sgpr_dispatch_id 0
		.amdhsa_user_sgpr_kernarg_preload_length 0
		.amdhsa_user_sgpr_kernarg_preload_offset 0
		.amdhsa_user_sgpr_private_segment_size 0
		.amdhsa_uses_dynamic_stack 0
		.amdhsa_enable_private_segment 0
		.amdhsa_system_sgpr_workgroup_id_x 1
		.amdhsa_system_sgpr_workgroup_id_y 0
		.amdhsa_system_sgpr_workgroup_id_z 0
		.amdhsa_system_sgpr_workgroup_info 0
		.amdhsa_system_vgpr_workitem_id 0
		.amdhsa_next_free_vgpr 1
		.amdhsa_next_free_sgpr 0
		.amdhsa_accum_offset 4
		.amdhsa_reserve_vcc 0
		.amdhsa_float_round_mode_32 0
		.amdhsa_float_round_mode_16_64 0
		.amdhsa_float_denorm_mode_32 3
		.amdhsa_float_denorm_mode_16_64 3
		.amdhsa_dx10_clamp 1
		.amdhsa_ieee_mode 1
		.amdhsa_fp16_overflow 0
		.amdhsa_tg_split 0
		.amdhsa_exception_fp_ieee_invalid_op 0
		.amdhsa_exception_fp_denorm_src 0
		.amdhsa_exception_fp_ieee_div_zero 0
		.amdhsa_exception_fp_ieee_overflow 0
		.amdhsa_exception_fp_ieee_underflow 0
		.amdhsa_exception_fp_ieee_inexact 0
		.amdhsa_exception_int_div_zero 0
	.end_amdhsa_kernel
	.section	.text._ZN7rocprim17ROCPRIM_400000_NS6detail17trampoline_kernelINS0_14default_configENS1_35radix_sort_onesweep_config_selectorIbiEEZZNS1_29radix_sort_onesweep_iterationIS3_Lb0EN6thrust23THRUST_200600_302600_NS6detail15normal_iteratorINS8_10device_ptrIbEEEESD_NSA_INSB_IiEEEESF_jNS0_19identity_decomposerENS1_16block_id_wrapperIjLb1EEEEE10hipError_tT1_PNSt15iterator_traitsISK_E10value_typeET2_T3_PNSL_ISQ_E10value_typeET4_T5_PSV_SW_PNS1_23onesweep_lookback_stateEbbT6_jjT7_P12ihipStream_tbENKUlT_T0_SK_SP_E_clISD_PbSF_PiEEDaS13_S14_SK_SP_EUlS13_E_NS1_11comp_targetILNS1_3genE2ELNS1_11target_archE906ELNS1_3gpuE6ELNS1_3repE0EEENS1_47radix_sort_onesweep_sort_config_static_selectorELNS0_4arch9wavefront6targetE1EEEvSK_,"axG",@progbits,_ZN7rocprim17ROCPRIM_400000_NS6detail17trampoline_kernelINS0_14default_configENS1_35radix_sort_onesweep_config_selectorIbiEEZZNS1_29radix_sort_onesweep_iterationIS3_Lb0EN6thrust23THRUST_200600_302600_NS6detail15normal_iteratorINS8_10device_ptrIbEEEESD_NSA_INSB_IiEEEESF_jNS0_19identity_decomposerENS1_16block_id_wrapperIjLb1EEEEE10hipError_tT1_PNSt15iterator_traitsISK_E10value_typeET2_T3_PNSL_ISQ_E10value_typeET4_T5_PSV_SW_PNS1_23onesweep_lookback_stateEbbT6_jjT7_P12ihipStream_tbENKUlT_T0_SK_SP_E_clISD_PbSF_PiEEDaS13_S14_SK_SP_EUlS13_E_NS1_11comp_targetILNS1_3genE2ELNS1_11target_archE906ELNS1_3gpuE6ELNS1_3repE0EEENS1_47radix_sort_onesweep_sort_config_static_selectorELNS0_4arch9wavefront6targetE1EEEvSK_,comdat
.Lfunc_end2053:
	.size	_ZN7rocprim17ROCPRIM_400000_NS6detail17trampoline_kernelINS0_14default_configENS1_35radix_sort_onesweep_config_selectorIbiEEZZNS1_29radix_sort_onesweep_iterationIS3_Lb0EN6thrust23THRUST_200600_302600_NS6detail15normal_iteratorINS8_10device_ptrIbEEEESD_NSA_INSB_IiEEEESF_jNS0_19identity_decomposerENS1_16block_id_wrapperIjLb1EEEEE10hipError_tT1_PNSt15iterator_traitsISK_E10value_typeET2_T3_PNSL_ISQ_E10value_typeET4_T5_PSV_SW_PNS1_23onesweep_lookback_stateEbbT6_jjT7_P12ihipStream_tbENKUlT_T0_SK_SP_E_clISD_PbSF_PiEEDaS13_S14_SK_SP_EUlS13_E_NS1_11comp_targetILNS1_3genE2ELNS1_11target_archE906ELNS1_3gpuE6ELNS1_3repE0EEENS1_47radix_sort_onesweep_sort_config_static_selectorELNS0_4arch9wavefront6targetE1EEEvSK_, .Lfunc_end2053-_ZN7rocprim17ROCPRIM_400000_NS6detail17trampoline_kernelINS0_14default_configENS1_35radix_sort_onesweep_config_selectorIbiEEZZNS1_29radix_sort_onesweep_iterationIS3_Lb0EN6thrust23THRUST_200600_302600_NS6detail15normal_iteratorINS8_10device_ptrIbEEEESD_NSA_INSB_IiEEEESF_jNS0_19identity_decomposerENS1_16block_id_wrapperIjLb1EEEEE10hipError_tT1_PNSt15iterator_traitsISK_E10value_typeET2_T3_PNSL_ISQ_E10value_typeET4_T5_PSV_SW_PNS1_23onesweep_lookback_stateEbbT6_jjT7_P12ihipStream_tbENKUlT_T0_SK_SP_E_clISD_PbSF_PiEEDaS13_S14_SK_SP_EUlS13_E_NS1_11comp_targetILNS1_3genE2ELNS1_11target_archE906ELNS1_3gpuE6ELNS1_3repE0EEENS1_47radix_sort_onesweep_sort_config_static_selectorELNS0_4arch9wavefront6targetE1EEEvSK_
                                        ; -- End function
	.set _ZN7rocprim17ROCPRIM_400000_NS6detail17trampoline_kernelINS0_14default_configENS1_35radix_sort_onesweep_config_selectorIbiEEZZNS1_29radix_sort_onesweep_iterationIS3_Lb0EN6thrust23THRUST_200600_302600_NS6detail15normal_iteratorINS8_10device_ptrIbEEEESD_NSA_INSB_IiEEEESF_jNS0_19identity_decomposerENS1_16block_id_wrapperIjLb1EEEEE10hipError_tT1_PNSt15iterator_traitsISK_E10value_typeET2_T3_PNSL_ISQ_E10value_typeET4_T5_PSV_SW_PNS1_23onesweep_lookback_stateEbbT6_jjT7_P12ihipStream_tbENKUlT_T0_SK_SP_E_clISD_PbSF_PiEEDaS13_S14_SK_SP_EUlS13_E_NS1_11comp_targetILNS1_3genE2ELNS1_11target_archE906ELNS1_3gpuE6ELNS1_3repE0EEENS1_47radix_sort_onesweep_sort_config_static_selectorELNS0_4arch9wavefront6targetE1EEEvSK_.num_vgpr, 0
	.set _ZN7rocprim17ROCPRIM_400000_NS6detail17trampoline_kernelINS0_14default_configENS1_35radix_sort_onesweep_config_selectorIbiEEZZNS1_29radix_sort_onesweep_iterationIS3_Lb0EN6thrust23THRUST_200600_302600_NS6detail15normal_iteratorINS8_10device_ptrIbEEEESD_NSA_INSB_IiEEEESF_jNS0_19identity_decomposerENS1_16block_id_wrapperIjLb1EEEEE10hipError_tT1_PNSt15iterator_traitsISK_E10value_typeET2_T3_PNSL_ISQ_E10value_typeET4_T5_PSV_SW_PNS1_23onesweep_lookback_stateEbbT6_jjT7_P12ihipStream_tbENKUlT_T0_SK_SP_E_clISD_PbSF_PiEEDaS13_S14_SK_SP_EUlS13_E_NS1_11comp_targetILNS1_3genE2ELNS1_11target_archE906ELNS1_3gpuE6ELNS1_3repE0EEENS1_47radix_sort_onesweep_sort_config_static_selectorELNS0_4arch9wavefront6targetE1EEEvSK_.num_agpr, 0
	.set _ZN7rocprim17ROCPRIM_400000_NS6detail17trampoline_kernelINS0_14default_configENS1_35radix_sort_onesweep_config_selectorIbiEEZZNS1_29radix_sort_onesweep_iterationIS3_Lb0EN6thrust23THRUST_200600_302600_NS6detail15normal_iteratorINS8_10device_ptrIbEEEESD_NSA_INSB_IiEEEESF_jNS0_19identity_decomposerENS1_16block_id_wrapperIjLb1EEEEE10hipError_tT1_PNSt15iterator_traitsISK_E10value_typeET2_T3_PNSL_ISQ_E10value_typeET4_T5_PSV_SW_PNS1_23onesweep_lookback_stateEbbT6_jjT7_P12ihipStream_tbENKUlT_T0_SK_SP_E_clISD_PbSF_PiEEDaS13_S14_SK_SP_EUlS13_E_NS1_11comp_targetILNS1_3genE2ELNS1_11target_archE906ELNS1_3gpuE6ELNS1_3repE0EEENS1_47radix_sort_onesweep_sort_config_static_selectorELNS0_4arch9wavefront6targetE1EEEvSK_.numbered_sgpr, 0
	.set _ZN7rocprim17ROCPRIM_400000_NS6detail17trampoline_kernelINS0_14default_configENS1_35radix_sort_onesweep_config_selectorIbiEEZZNS1_29radix_sort_onesweep_iterationIS3_Lb0EN6thrust23THRUST_200600_302600_NS6detail15normal_iteratorINS8_10device_ptrIbEEEESD_NSA_INSB_IiEEEESF_jNS0_19identity_decomposerENS1_16block_id_wrapperIjLb1EEEEE10hipError_tT1_PNSt15iterator_traitsISK_E10value_typeET2_T3_PNSL_ISQ_E10value_typeET4_T5_PSV_SW_PNS1_23onesweep_lookback_stateEbbT6_jjT7_P12ihipStream_tbENKUlT_T0_SK_SP_E_clISD_PbSF_PiEEDaS13_S14_SK_SP_EUlS13_E_NS1_11comp_targetILNS1_3genE2ELNS1_11target_archE906ELNS1_3gpuE6ELNS1_3repE0EEENS1_47radix_sort_onesweep_sort_config_static_selectorELNS0_4arch9wavefront6targetE1EEEvSK_.num_named_barrier, 0
	.set _ZN7rocprim17ROCPRIM_400000_NS6detail17trampoline_kernelINS0_14default_configENS1_35radix_sort_onesweep_config_selectorIbiEEZZNS1_29radix_sort_onesweep_iterationIS3_Lb0EN6thrust23THRUST_200600_302600_NS6detail15normal_iteratorINS8_10device_ptrIbEEEESD_NSA_INSB_IiEEEESF_jNS0_19identity_decomposerENS1_16block_id_wrapperIjLb1EEEEE10hipError_tT1_PNSt15iterator_traitsISK_E10value_typeET2_T3_PNSL_ISQ_E10value_typeET4_T5_PSV_SW_PNS1_23onesweep_lookback_stateEbbT6_jjT7_P12ihipStream_tbENKUlT_T0_SK_SP_E_clISD_PbSF_PiEEDaS13_S14_SK_SP_EUlS13_E_NS1_11comp_targetILNS1_3genE2ELNS1_11target_archE906ELNS1_3gpuE6ELNS1_3repE0EEENS1_47radix_sort_onesweep_sort_config_static_selectorELNS0_4arch9wavefront6targetE1EEEvSK_.private_seg_size, 0
	.set _ZN7rocprim17ROCPRIM_400000_NS6detail17trampoline_kernelINS0_14default_configENS1_35radix_sort_onesweep_config_selectorIbiEEZZNS1_29radix_sort_onesweep_iterationIS3_Lb0EN6thrust23THRUST_200600_302600_NS6detail15normal_iteratorINS8_10device_ptrIbEEEESD_NSA_INSB_IiEEEESF_jNS0_19identity_decomposerENS1_16block_id_wrapperIjLb1EEEEE10hipError_tT1_PNSt15iterator_traitsISK_E10value_typeET2_T3_PNSL_ISQ_E10value_typeET4_T5_PSV_SW_PNS1_23onesweep_lookback_stateEbbT6_jjT7_P12ihipStream_tbENKUlT_T0_SK_SP_E_clISD_PbSF_PiEEDaS13_S14_SK_SP_EUlS13_E_NS1_11comp_targetILNS1_3genE2ELNS1_11target_archE906ELNS1_3gpuE6ELNS1_3repE0EEENS1_47radix_sort_onesweep_sort_config_static_selectorELNS0_4arch9wavefront6targetE1EEEvSK_.uses_vcc, 0
	.set _ZN7rocprim17ROCPRIM_400000_NS6detail17trampoline_kernelINS0_14default_configENS1_35radix_sort_onesweep_config_selectorIbiEEZZNS1_29radix_sort_onesweep_iterationIS3_Lb0EN6thrust23THRUST_200600_302600_NS6detail15normal_iteratorINS8_10device_ptrIbEEEESD_NSA_INSB_IiEEEESF_jNS0_19identity_decomposerENS1_16block_id_wrapperIjLb1EEEEE10hipError_tT1_PNSt15iterator_traitsISK_E10value_typeET2_T3_PNSL_ISQ_E10value_typeET4_T5_PSV_SW_PNS1_23onesweep_lookback_stateEbbT6_jjT7_P12ihipStream_tbENKUlT_T0_SK_SP_E_clISD_PbSF_PiEEDaS13_S14_SK_SP_EUlS13_E_NS1_11comp_targetILNS1_3genE2ELNS1_11target_archE906ELNS1_3gpuE6ELNS1_3repE0EEENS1_47radix_sort_onesweep_sort_config_static_selectorELNS0_4arch9wavefront6targetE1EEEvSK_.uses_flat_scratch, 0
	.set _ZN7rocprim17ROCPRIM_400000_NS6detail17trampoline_kernelINS0_14default_configENS1_35radix_sort_onesweep_config_selectorIbiEEZZNS1_29radix_sort_onesweep_iterationIS3_Lb0EN6thrust23THRUST_200600_302600_NS6detail15normal_iteratorINS8_10device_ptrIbEEEESD_NSA_INSB_IiEEEESF_jNS0_19identity_decomposerENS1_16block_id_wrapperIjLb1EEEEE10hipError_tT1_PNSt15iterator_traitsISK_E10value_typeET2_T3_PNSL_ISQ_E10value_typeET4_T5_PSV_SW_PNS1_23onesweep_lookback_stateEbbT6_jjT7_P12ihipStream_tbENKUlT_T0_SK_SP_E_clISD_PbSF_PiEEDaS13_S14_SK_SP_EUlS13_E_NS1_11comp_targetILNS1_3genE2ELNS1_11target_archE906ELNS1_3gpuE6ELNS1_3repE0EEENS1_47radix_sort_onesweep_sort_config_static_selectorELNS0_4arch9wavefront6targetE1EEEvSK_.has_dyn_sized_stack, 0
	.set _ZN7rocprim17ROCPRIM_400000_NS6detail17trampoline_kernelINS0_14default_configENS1_35radix_sort_onesweep_config_selectorIbiEEZZNS1_29radix_sort_onesweep_iterationIS3_Lb0EN6thrust23THRUST_200600_302600_NS6detail15normal_iteratorINS8_10device_ptrIbEEEESD_NSA_INSB_IiEEEESF_jNS0_19identity_decomposerENS1_16block_id_wrapperIjLb1EEEEE10hipError_tT1_PNSt15iterator_traitsISK_E10value_typeET2_T3_PNSL_ISQ_E10value_typeET4_T5_PSV_SW_PNS1_23onesweep_lookback_stateEbbT6_jjT7_P12ihipStream_tbENKUlT_T0_SK_SP_E_clISD_PbSF_PiEEDaS13_S14_SK_SP_EUlS13_E_NS1_11comp_targetILNS1_3genE2ELNS1_11target_archE906ELNS1_3gpuE6ELNS1_3repE0EEENS1_47radix_sort_onesweep_sort_config_static_selectorELNS0_4arch9wavefront6targetE1EEEvSK_.has_recursion, 0
	.set _ZN7rocprim17ROCPRIM_400000_NS6detail17trampoline_kernelINS0_14default_configENS1_35radix_sort_onesweep_config_selectorIbiEEZZNS1_29radix_sort_onesweep_iterationIS3_Lb0EN6thrust23THRUST_200600_302600_NS6detail15normal_iteratorINS8_10device_ptrIbEEEESD_NSA_INSB_IiEEEESF_jNS0_19identity_decomposerENS1_16block_id_wrapperIjLb1EEEEE10hipError_tT1_PNSt15iterator_traitsISK_E10value_typeET2_T3_PNSL_ISQ_E10value_typeET4_T5_PSV_SW_PNS1_23onesweep_lookback_stateEbbT6_jjT7_P12ihipStream_tbENKUlT_T0_SK_SP_E_clISD_PbSF_PiEEDaS13_S14_SK_SP_EUlS13_E_NS1_11comp_targetILNS1_3genE2ELNS1_11target_archE906ELNS1_3gpuE6ELNS1_3repE0EEENS1_47radix_sort_onesweep_sort_config_static_selectorELNS0_4arch9wavefront6targetE1EEEvSK_.has_indirect_call, 0
	.section	.AMDGPU.csdata,"",@progbits
; Kernel info:
; codeLenInByte = 0
; TotalNumSgprs: 6
; NumVgprs: 0
; NumAgprs: 0
; TotalNumVgprs: 0
; ScratchSize: 0
; MemoryBound: 0
; FloatMode: 240
; IeeeMode: 1
; LDSByteSize: 0 bytes/workgroup (compile time only)
; SGPRBlocks: 0
; VGPRBlocks: 0
; NumSGPRsForWavesPerEU: 6
; NumVGPRsForWavesPerEU: 1
; AccumOffset: 4
; Occupancy: 8
; WaveLimiterHint : 0
; COMPUTE_PGM_RSRC2:SCRATCH_EN: 0
; COMPUTE_PGM_RSRC2:USER_SGPR: 2
; COMPUTE_PGM_RSRC2:TRAP_HANDLER: 0
; COMPUTE_PGM_RSRC2:TGID_X_EN: 1
; COMPUTE_PGM_RSRC2:TGID_Y_EN: 0
; COMPUTE_PGM_RSRC2:TGID_Z_EN: 0
; COMPUTE_PGM_RSRC2:TIDIG_COMP_CNT: 0
; COMPUTE_PGM_RSRC3_GFX90A:ACCUM_OFFSET: 0
; COMPUTE_PGM_RSRC3_GFX90A:TG_SPLIT: 0
	.section	.text._ZN7rocprim17ROCPRIM_400000_NS6detail17trampoline_kernelINS0_14default_configENS1_35radix_sort_onesweep_config_selectorIbiEEZZNS1_29radix_sort_onesweep_iterationIS3_Lb0EN6thrust23THRUST_200600_302600_NS6detail15normal_iteratorINS8_10device_ptrIbEEEESD_NSA_INSB_IiEEEESF_jNS0_19identity_decomposerENS1_16block_id_wrapperIjLb1EEEEE10hipError_tT1_PNSt15iterator_traitsISK_E10value_typeET2_T3_PNSL_ISQ_E10value_typeET4_T5_PSV_SW_PNS1_23onesweep_lookback_stateEbbT6_jjT7_P12ihipStream_tbENKUlT_T0_SK_SP_E_clISD_PbSF_PiEEDaS13_S14_SK_SP_EUlS13_E_NS1_11comp_targetILNS1_3genE4ELNS1_11target_archE910ELNS1_3gpuE8ELNS1_3repE0EEENS1_47radix_sort_onesweep_sort_config_static_selectorELNS0_4arch9wavefront6targetE1EEEvSK_,"axG",@progbits,_ZN7rocprim17ROCPRIM_400000_NS6detail17trampoline_kernelINS0_14default_configENS1_35radix_sort_onesweep_config_selectorIbiEEZZNS1_29radix_sort_onesweep_iterationIS3_Lb0EN6thrust23THRUST_200600_302600_NS6detail15normal_iteratorINS8_10device_ptrIbEEEESD_NSA_INSB_IiEEEESF_jNS0_19identity_decomposerENS1_16block_id_wrapperIjLb1EEEEE10hipError_tT1_PNSt15iterator_traitsISK_E10value_typeET2_T3_PNSL_ISQ_E10value_typeET4_T5_PSV_SW_PNS1_23onesweep_lookback_stateEbbT6_jjT7_P12ihipStream_tbENKUlT_T0_SK_SP_E_clISD_PbSF_PiEEDaS13_S14_SK_SP_EUlS13_E_NS1_11comp_targetILNS1_3genE4ELNS1_11target_archE910ELNS1_3gpuE8ELNS1_3repE0EEENS1_47radix_sort_onesweep_sort_config_static_selectorELNS0_4arch9wavefront6targetE1EEEvSK_,comdat
	.protected	_ZN7rocprim17ROCPRIM_400000_NS6detail17trampoline_kernelINS0_14default_configENS1_35radix_sort_onesweep_config_selectorIbiEEZZNS1_29radix_sort_onesweep_iterationIS3_Lb0EN6thrust23THRUST_200600_302600_NS6detail15normal_iteratorINS8_10device_ptrIbEEEESD_NSA_INSB_IiEEEESF_jNS0_19identity_decomposerENS1_16block_id_wrapperIjLb1EEEEE10hipError_tT1_PNSt15iterator_traitsISK_E10value_typeET2_T3_PNSL_ISQ_E10value_typeET4_T5_PSV_SW_PNS1_23onesweep_lookback_stateEbbT6_jjT7_P12ihipStream_tbENKUlT_T0_SK_SP_E_clISD_PbSF_PiEEDaS13_S14_SK_SP_EUlS13_E_NS1_11comp_targetILNS1_3genE4ELNS1_11target_archE910ELNS1_3gpuE8ELNS1_3repE0EEENS1_47radix_sort_onesweep_sort_config_static_selectorELNS0_4arch9wavefront6targetE1EEEvSK_ ; -- Begin function _ZN7rocprim17ROCPRIM_400000_NS6detail17trampoline_kernelINS0_14default_configENS1_35radix_sort_onesweep_config_selectorIbiEEZZNS1_29radix_sort_onesweep_iterationIS3_Lb0EN6thrust23THRUST_200600_302600_NS6detail15normal_iteratorINS8_10device_ptrIbEEEESD_NSA_INSB_IiEEEESF_jNS0_19identity_decomposerENS1_16block_id_wrapperIjLb1EEEEE10hipError_tT1_PNSt15iterator_traitsISK_E10value_typeET2_T3_PNSL_ISQ_E10value_typeET4_T5_PSV_SW_PNS1_23onesweep_lookback_stateEbbT6_jjT7_P12ihipStream_tbENKUlT_T0_SK_SP_E_clISD_PbSF_PiEEDaS13_S14_SK_SP_EUlS13_E_NS1_11comp_targetILNS1_3genE4ELNS1_11target_archE910ELNS1_3gpuE8ELNS1_3repE0EEENS1_47radix_sort_onesweep_sort_config_static_selectorELNS0_4arch9wavefront6targetE1EEEvSK_
	.globl	_ZN7rocprim17ROCPRIM_400000_NS6detail17trampoline_kernelINS0_14default_configENS1_35radix_sort_onesweep_config_selectorIbiEEZZNS1_29radix_sort_onesweep_iterationIS3_Lb0EN6thrust23THRUST_200600_302600_NS6detail15normal_iteratorINS8_10device_ptrIbEEEESD_NSA_INSB_IiEEEESF_jNS0_19identity_decomposerENS1_16block_id_wrapperIjLb1EEEEE10hipError_tT1_PNSt15iterator_traitsISK_E10value_typeET2_T3_PNSL_ISQ_E10value_typeET4_T5_PSV_SW_PNS1_23onesweep_lookback_stateEbbT6_jjT7_P12ihipStream_tbENKUlT_T0_SK_SP_E_clISD_PbSF_PiEEDaS13_S14_SK_SP_EUlS13_E_NS1_11comp_targetILNS1_3genE4ELNS1_11target_archE910ELNS1_3gpuE8ELNS1_3repE0EEENS1_47radix_sort_onesweep_sort_config_static_selectorELNS0_4arch9wavefront6targetE1EEEvSK_
	.p2align	8
	.type	_ZN7rocprim17ROCPRIM_400000_NS6detail17trampoline_kernelINS0_14default_configENS1_35radix_sort_onesweep_config_selectorIbiEEZZNS1_29radix_sort_onesweep_iterationIS3_Lb0EN6thrust23THRUST_200600_302600_NS6detail15normal_iteratorINS8_10device_ptrIbEEEESD_NSA_INSB_IiEEEESF_jNS0_19identity_decomposerENS1_16block_id_wrapperIjLb1EEEEE10hipError_tT1_PNSt15iterator_traitsISK_E10value_typeET2_T3_PNSL_ISQ_E10value_typeET4_T5_PSV_SW_PNS1_23onesweep_lookback_stateEbbT6_jjT7_P12ihipStream_tbENKUlT_T0_SK_SP_E_clISD_PbSF_PiEEDaS13_S14_SK_SP_EUlS13_E_NS1_11comp_targetILNS1_3genE4ELNS1_11target_archE910ELNS1_3gpuE8ELNS1_3repE0EEENS1_47radix_sort_onesweep_sort_config_static_selectorELNS0_4arch9wavefront6targetE1EEEvSK_,@function
_ZN7rocprim17ROCPRIM_400000_NS6detail17trampoline_kernelINS0_14default_configENS1_35radix_sort_onesweep_config_selectorIbiEEZZNS1_29radix_sort_onesweep_iterationIS3_Lb0EN6thrust23THRUST_200600_302600_NS6detail15normal_iteratorINS8_10device_ptrIbEEEESD_NSA_INSB_IiEEEESF_jNS0_19identity_decomposerENS1_16block_id_wrapperIjLb1EEEEE10hipError_tT1_PNSt15iterator_traitsISK_E10value_typeET2_T3_PNSL_ISQ_E10value_typeET4_T5_PSV_SW_PNS1_23onesweep_lookback_stateEbbT6_jjT7_P12ihipStream_tbENKUlT_T0_SK_SP_E_clISD_PbSF_PiEEDaS13_S14_SK_SP_EUlS13_E_NS1_11comp_targetILNS1_3genE4ELNS1_11target_archE910ELNS1_3gpuE8ELNS1_3repE0EEENS1_47radix_sort_onesweep_sort_config_static_selectorELNS0_4arch9wavefront6targetE1EEEvSK_: ; @_ZN7rocprim17ROCPRIM_400000_NS6detail17trampoline_kernelINS0_14default_configENS1_35radix_sort_onesweep_config_selectorIbiEEZZNS1_29radix_sort_onesweep_iterationIS3_Lb0EN6thrust23THRUST_200600_302600_NS6detail15normal_iteratorINS8_10device_ptrIbEEEESD_NSA_INSB_IiEEEESF_jNS0_19identity_decomposerENS1_16block_id_wrapperIjLb1EEEEE10hipError_tT1_PNSt15iterator_traitsISK_E10value_typeET2_T3_PNSL_ISQ_E10value_typeET4_T5_PSV_SW_PNS1_23onesweep_lookback_stateEbbT6_jjT7_P12ihipStream_tbENKUlT_T0_SK_SP_E_clISD_PbSF_PiEEDaS13_S14_SK_SP_EUlS13_E_NS1_11comp_targetILNS1_3genE4ELNS1_11target_archE910ELNS1_3gpuE8ELNS1_3repE0EEENS1_47radix_sort_onesweep_sort_config_static_selectorELNS0_4arch9wavefront6targetE1EEEvSK_
; %bb.0:
	.section	.rodata,"a",@progbits
	.p2align	6, 0x0
	.amdhsa_kernel _ZN7rocprim17ROCPRIM_400000_NS6detail17trampoline_kernelINS0_14default_configENS1_35radix_sort_onesweep_config_selectorIbiEEZZNS1_29radix_sort_onesweep_iterationIS3_Lb0EN6thrust23THRUST_200600_302600_NS6detail15normal_iteratorINS8_10device_ptrIbEEEESD_NSA_INSB_IiEEEESF_jNS0_19identity_decomposerENS1_16block_id_wrapperIjLb1EEEEE10hipError_tT1_PNSt15iterator_traitsISK_E10value_typeET2_T3_PNSL_ISQ_E10value_typeET4_T5_PSV_SW_PNS1_23onesweep_lookback_stateEbbT6_jjT7_P12ihipStream_tbENKUlT_T0_SK_SP_E_clISD_PbSF_PiEEDaS13_S14_SK_SP_EUlS13_E_NS1_11comp_targetILNS1_3genE4ELNS1_11target_archE910ELNS1_3gpuE8ELNS1_3repE0EEENS1_47radix_sort_onesweep_sort_config_static_selectorELNS0_4arch9wavefront6targetE1EEEvSK_
		.amdhsa_group_segment_fixed_size 0
		.amdhsa_private_segment_fixed_size 0
		.amdhsa_kernarg_size 88
		.amdhsa_user_sgpr_count 2
		.amdhsa_user_sgpr_dispatch_ptr 0
		.amdhsa_user_sgpr_queue_ptr 0
		.amdhsa_user_sgpr_kernarg_segment_ptr 1
		.amdhsa_user_sgpr_dispatch_id 0
		.amdhsa_user_sgpr_kernarg_preload_length 0
		.amdhsa_user_sgpr_kernarg_preload_offset 0
		.amdhsa_user_sgpr_private_segment_size 0
		.amdhsa_uses_dynamic_stack 0
		.amdhsa_enable_private_segment 0
		.amdhsa_system_sgpr_workgroup_id_x 1
		.amdhsa_system_sgpr_workgroup_id_y 0
		.amdhsa_system_sgpr_workgroup_id_z 0
		.amdhsa_system_sgpr_workgroup_info 0
		.amdhsa_system_vgpr_workitem_id 0
		.amdhsa_next_free_vgpr 1
		.amdhsa_next_free_sgpr 0
		.amdhsa_accum_offset 4
		.amdhsa_reserve_vcc 0
		.amdhsa_float_round_mode_32 0
		.amdhsa_float_round_mode_16_64 0
		.amdhsa_float_denorm_mode_32 3
		.amdhsa_float_denorm_mode_16_64 3
		.amdhsa_dx10_clamp 1
		.amdhsa_ieee_mode 1
		.amdhsa_fp16_overflow 0
		.amdhsa_tg_split 0
		.amdhsa_exception_fp_ieee_invalid_op 0
		.amdhsa_exception_fp_denorm_src 0
		.amdhsa_exception_fp_ieee_div_zero 0
		.amdhsa_exception_fp_ieee_overflow 0
		.amdhsa_exception_fp_ieee_underflow 0
		.amdhsa_exception_fp_ieee_inexact 0
		.amdhsa_exception_int_div_zero 0
	.end_amdhsa_kernel
	.section	.text._ZN7rocprim17ROCPRIM_400000_NS6detail17trampoline_kernelINS0_14default_configENS1_35radix_sort_onesweep_config_selectorIbiEEZZNS1_29radix_sort_onesweep_iterationIS3_Lb0EN6thrust23THRUST_200600_302600_NS6detail15normal_iteratorINS8_10device_ptrIbEEEESD_NSA_INSB_IiEEEESF_jNS0_19identity_decomposerENS1_16block_id_wrapperIjLb1EEEEE10hipError_tT1_PNSt15iterator_traitsISK_E10value_typeET2_T3_PNSL_ISQ_E10value_typeET4_T5_PSV_SW_PNS1_23onesweep_lookback_stateEbbT6_jjT7_P12ihipStream_tbENKUlT_T0_SK_SP_E_clISD_PbSF_PiEEDaS13_S14_SK_SP_EUlS13_E_NS1_11comp_targetILNS1_3genE4ELNS1_11target_archE910ELNS1_3gpuE8ELNS1_3repE0EEENS1_47radix_sort_onesweep_sort_config_static_selectorELNS0_4arch9wavefront6targetE1EEEvSK_,"axG",@progbits,_ZN7rocprim17ROCPRIM_400000_NS6detail17trampoline_kernelINS0_14default_configENS1_35radix_sort_onesweep_config_selectorIbiEEZZNS1_29radix_sort_onesweep_iterationIS3_Lb0EN6thrust23THRUST_200600_302600_NS6detail15normal_iteratorINS8_10device_ptrIbEEEESD_NSA_INSB_IiEEEESF_jNS0_19identity_decomposerENS1_16block_id_wrapperIjLb1EEEEE10hipError_tT1_PNSt15iterator_traitsISK_E10value_typeET2_T3_PNSL_ISQ_E10value_typeET4_T5_PSV_SW_PNS1_23onesweep_lookback_stateEbbT6_jjT7_P12ihipStream_tbENKUlT_T0_SK_SP_E_clISD_PbSF_PiEEDaS13_S14_SK_SP_EUlS13_E_NS1_11comp_targetILNS1_3genE4ELNS1_11target_archE910ELNS1_3gpuE8ELNS1_3repE0EEENS1_47radix_sort_onesweep_sort_config_static_selectorELNS0_4arch9wavefront6targetE1EEEvSK_,comdat
.Lfunc_end2054:
	.size	_ZN7rocprim17ROCPRIM_400000_NS6detail17trampoline_kernelINS0_14default_configENS1_35radix_sort_onesweep_config_selectorIbiEEZZNS1_29radix_sort_onesweep_iterationIS3_Lb0EN6thrust23THRUST_200600_302600_NS6detail15normal_iteratorINS8_10device_ptrIbEEEESD_NSA_INSB_IiEEEESF_jNS0_19identity_decomposerENS1_16block_id_wrapperIjLb1EEEEE10hipError_tT1_PNSt15iterator_traitsISK_E10value_typeET2_T3_PNSL_ISQ_E10value_typeET4_T5_PSV_SW_PNS1_23onesweep_lookback_stateEbbT6_jjT7_P12ihipStream_tbENKUlT_T0_SK_SP_E_clISD_PbSF_PiEEDaS13_S14_SK_SP_EUlS13_E_NS1_11comp_targetILNS1_3genE4ELNS1_11target_archE910ELNS1_3gpuE8ELNS1_3repE0EEENS1_47radix_sort_onesweep_sort_config_static_selectorELNS0_4arch9wavefront6targetE1EEEvSK_, .Lfunc_end2054-_ZN7rocprim17ROCPRIM_400000_NS6detail17trampoline_kernelINS0_14default_configENS1_35radix_sort_onesweep_config_selectorIbiEEZZNS1_29radix_sort_onesweep_iterationIS3_Lb0EN6thrust23THRUST_200600_302600_NS6detail15normal_iteratorINS8_10device_ptrIbEEEESD_NSA_INSB_IiEEEESF_jNS0_19identity_decomposerENS1_16block_id_wrapperIjLb1EEEEE10hipError_tT1_PNSt15iterator_traitsISK_E10value_typeET2_T3_PNSL_ISQ_E10value_typeET4_T5_PSV_SW_PNS1_23onesweep_lookback_stateEbbT6_jjT7_P12ihipStream_tbENKUlT_T0_SK_SP_E_clISD_PbSF_PiEEDaS13_S14_SK_SP_EUlS13_E_NS1_11comp_targetILNS1_3genE4ELNS1_11target_archE910ELNS1_3gpuE8ELNS1_3repE0EEENS1_47radix_sort_onesweep_sort_config_static_selectorELNS0_4arch9wavefront6targetE1EEEvSK_
                                        ; -- End function
	.set _ZN7rocprim17ROCPRIM_400000_NS6detail17trampoline_kernelINS0_14default_configENS1_35radix_sort_onesweep_config_selectorIbiEEZZNS1_29radix_sort_onesweep_iterationIS3_Lb0EN6thrust23THRUST_200600_302600_NS6detail15normal_iteratorINS8_10device_ptrIbEEEESD_NSA_INSB_IiEEEESF_jNS0_19identity_decomposerENS1_16block_id_wrapperIjLb1EEEEE10hipError_tT1_PNSt15iterator_traitsISK_E10value_typeET2_T3_PNSL_ISQ_E10value_typeET4_T5_PSV_SW_PNS1_23onesweep_lookback_stateEbbT6_jjT7_P12ihipStream_tbENKUlT_T0_SK_SP_E_clISD_PbSF_PiEEDaS13_S14_SK_SP_EUlS13_E_NS1_11comp_targetILNS1_3genE4ELNS1_11target_archE910ELNS1_3gpuE8ELNS1_3repE0EEENS1_47radix_sort_onesweep_sort_config_static_selectorELNS0_4arch9wavefront6targetE1EEEvSK_.num_vgpr, 0
	.set _ZN7rocprim17ROCPRIM_400000_NS6detail17trampoline_kernelINS0_14default_configENS1_35radix_sort_onesweep_config_selectorIbiEEZZNS1_29radix_sort_onesweep_iterationIS3_Lb0EN6thrust23THRUST_200600_302600_NS6detail15normal_iteratorINS8_10device_ptrIbEEEESD_NSA_INSB_IiEEEESF_jNS0_19identity_decomposerENS1_16block_id_wrapperIjLb1EEEEE10hipError_tT1_PNSt15iterator_traitsISK_E10value_typeET2_T3_PNSL_ISQ_E10value_typeET4_T5_PSV_SW_PNS1_23onesweep_lookback_stateEbbT6_jjT7_P12ihipStream_tbENKUlT_T0_SK_SP_E_clISD_PbSF_PiEEDaS13_S14_SK_SP_EUlS13_E_NS1_11comp_targetILNS1_3genE4ELNS1_11target_archE910ELNS1_3gpuE8ELNS1_3repE0EEENS1_47radix_sort_onesweep_sort_config_static_selectorELNS0_4arch9wavefront6targetE1EEEvSK_.num_agpr, 0
	.set _ZN7rocprim17ROCPRIM_400000_NS6detail17trampoline_kernelINS0_14default_configENS1_35radix_sort_onesweep_config_selectorIbiEEZZNS1_29radix_sort_onesweep_iterationIS3_Lb0EN6thrust23THRUST_200600_302600_NS6detail15normal_iteratorINS8_10device_ptrIbEEEESD_NSA_INSB_IiEEEESF_jNS0_19identity_decomposerENS1_16block_id_wrapperIjLb1EEEEE10hipError_tT1_PNSt15iterator_traitsISK_E10value_typeET2_T3_PNSL_ISQ_E10value_typeET4_T5_PSV_SW_PNS1_23onesweep_lookback_stateEbbT6_jjT7_P12ihipStream_tbENKUlT_T0_SK_SP_E_clISD_PbSF_PiEEDaS13_S14_SK_SP_EUlS13_E_NS1_11comp_targetILNS1_3genE4ELNS1_11target_archE910ELNS1_3gpuE8ELNS1_3repE0EEENS1_47radix_sort_onesweep_sort_config_static_selectorELNS0_4arch9wavefront6targetE1EEEvSK_.numbered_sgpr, 0
	.set _ZN7rocprim17ROCPRIM_400000_NS6detail17trampoline_kernelINS0_14default_configENS1_35radix_sort_onesweep_config_selectorIbiEEZZNS1_29radix_sort_onesweep_iterationIS3_Lb0EN6thrust23THRUST_200600_302600_NS6detail15normal_iteratorINS8_10device_ptrIbEEEESD_NSA_INSB_IiEEEESF_jNS0_19identity_decomposerENS1_16block_id_wrapperIjLb1EEEEE10hipError_tT1_PNSt15iterator_traitsISK_E10value_typeET2_T3_PNSL_ISQ_E10value_typeET4_T5_PSV_SW_PNS1_23onesweep_lookback_stateEbbT6_jjT7_P12ihipStream_tbENKUlT_T0_SK_SP_E_clISD_PbSF_PiEEDaS13_S14_SK_SP_EUlS13_E_NS1_11comp_targetILNS1_3genE4ELNS1_11target_archE910ELNS1_3gpuE8ELNS1_3repE0EEENS1_47radix_sort_onesweep_sort_config_static_selectorELNS0_4arch9wavefront6targetE1EEEvSK_.num_named_barrier, 0
	.set _ZN7rocprim17ROCPRIM_400000_NS6detail17trampoline_kernelINS0_14default_configENS1_35radix_sort_onesweep_config_selectorIbiEEZZNS1_29radix_sort_onesweep_iterationIS3_Lb0EN6thrust23THRUST_200600_302600_NS6detail15normal_iteratorINS8_10device_ptrIbEEEESD_NSA_INSB_IiEEEESF_jNS0_19identity_decomposerENS1_16block_id_wrapperIjLb1EEEEE10hipError_tT1_PNSt15iterator_traitsISK_E10value_typeET2_T3_PNSL_ISQ_E10value_typeET4_T5_PSV_SW_PNS1_23onesweep_lookback_stateEbbT6_jjT7_P12ihipStream_tbENKUlT_T0_SK_SP_E_clISD_PbSF_PiEEDaS13_S14_SK_SP_EUlS13_E_NS1_11comp_targetILNS1_3genE4ELNS1_11target_archE910ELNS1_3gpuE8ELNS1_3repE0EEENS1_47radix_sort_onesweep_sort_config_static_selectorELNS0_4arch9wavefront6targetE1EEEvSK_.private_seg_size, 0
	.set _ZN7rocprim17ROCPRIM_400000_NS6detail17trampoline_kernelINS0_14default_configENS1_35radix_sort_onesweep_config_selectorIbiEEZZNS1_29radix_sort_onesweep_iterationIS3_Lb0EN6thrust23THRUST_200600_302600_NS6detail15normal_iteratorINS8_10device_ptrIbEEEESD_NSA_INSB_IiEEEESF_jNS0_19identity_decomposerENS1_16block_id_wrapperIjLb1EEEEE10hipError_tT1_PNSt15iterator_traitsISK_E10value_typeET2_T3_PNSL_ISQ_E10value_typeET4_T5_PSV_SW_PNS1_23onesweep_lookback_stateEbbT6_jjT7_P12ihipStream_tbENKUlT_T0_SK_SP_E_clISD_PbSF_PiEEDaS13_S14_SK_SP_EUlS13_E_NS1_11comp_targetILNS1_3genE4ELNS1_11target_archE910ELNS1_3gpuE8ELNS1_3repE0EEENS1_47radix_sort_onesweep_sort_config_static_selectorELNS0_4arch9wavefront6targetE1EEEvSK_.uses_vcc, 0
	.set _ZN7rocprim17ROCPRIM_400000_NS6detail17trampoline_kernelINS0_14default_configENS1_35radix_sort_onesweep_config_selectorIbiEEZZNS1_29radix_sort_onesweep_iterationIS3_Lb0EN6thrust23THRUST_200600_302600_NS6detail15normal_iteratorINS8_10device_ptrIbEEEESD_NSA_INSB_IiEEEESF_jNS0_19identity_decomposerENS1_16block_id_wrapperIjLb1EEEEE10hipError_tT1_PNSt15iterator_traitsISK_E10value_typeET2_T3_PNSL_ISQ_E10value_typeET4_T5_PSV_SW_PNS1_23onesweep_lookback_stateEbbT6_jjT7_P12ihipStream_tbENKUlT_T0_SK_SP_E_clISD_PbSF_PiEEDaS13_S14_SK_SP_EUlS13_E_NS1_11comp_targetILNS1_3genE4ELNS1_11target_archE910ELNS1_3gpuE8ELNS1_3repE0EEENS1_47radix_sort_onesweep_sort_config_static_selectorELNS0_4arch9wavefront6targetE1EEEvSK_.uses_flat_scratch, 0
	.set _ZN7rocprim17ROCPRIM_400000_NS6detail17trampoline_kernelINS0_14default_configENS1_35radix_sort_onesweep_config_selectorIbiEEZZNS1_29radix_sort_onesweep_iterationIS3_Lb0EN6thrust23THRUST_200600_302600_NS6detail15normal_iteratorINS8_10device_ptrIbEEEESD_NSA_INSB_IiEEEESF_jNS0_19identity_decomposerENS1_16block_id_wrapperIjLb1EEEEE10hipError_tT1_PNSt15iterator_traitsISK_E10value_typeET2_T3_PNSL_ISQ_E10value_typeET4_T5_PSV_SW_PNS1_23onesweep_lookback_stateEbbT6_jjT7_P12ihipStream_tbENKUlT_T0_SK_SP_E_clISD_PbSF_PiEEDaS13_S14_SK_SP_EUlS13_E_NS1_11comp_targetILNS1_3genE4ELNS1_11target_archE910ELNS1_3gpuE8ELNS1_3repE0EEENS1_47radix_sort_onesweep_sort_config_static_selectorELNS0_4arch9wavefront6targetE1EEEvSK_.has_dyn_sized_stack, 0
	.set _ZN7rocprim17ROCPRIM_400000_NS6detail17trampoline_kernelINS0_14default_configENS1_35radix_sort_onesweep_config_selectorIbiEEZZNS1_29radix_sort_onesweep_iterationIS3_Lb0EN6thrust23THRUST_200600_302600_NS6detail15normal_iteratorINS8_10device_ptrIbEEEESD_NSA_INSB_IiEEEESF_jNS0_19identity_decomposerENS1_16block_id_wrapperIjLb1EEEEE10hipError_tT1_PNSt15iterator_traitsISK_E10value_typeET2_T3_PNSL_ISQ_E10value_typeET4_T5_PSV_SW_PNS1_23onesweep_lookback_stateEbbT6_jjT7_P12ihipStream_tbENKUlT_T0_SK_SP_E_clISD_PbSF_PiEEDaS13_S14_SK_SP_EUlS13_E_NS1_11comp_targetILNS1_3genE4ELNS1_11target_archE910ELNS1_3gpuE8ELNS1_3repE0EEENS1_47radix_sort_onesweep_sort_config_static_selectorELNS0_4arch9wavefront6targetE1EEEvSK_.has_recursion, 0
	.set _ZN7rocprim17ROCPRIM_400000_NS6detail17trampoline_kernelINS0_14default_configENS1_35radix_sort_onesweep_config_selectorIbiEEZZNS1_29radix_sort_onesweep_iterationIS3_Lb0EN6thrust23THRUST_200600_302600_NS6detail15normal_iteratorINS8_10device_ptrIbEEEESD_NSA_INSB_IiEEEESF_jNS0_19identity_decomposerENS1_16block_id_wrapperIjLb1EEEEE10hipError_tT1_PNSt15iterator_traitsISK_E10value_typeET2_T3_PNSL_ISQ_E10value_typeET4_T5_PSV_SW_PNS1_23onesweep_lookback_stateEbbT6_jjT7_P12ihipStream_tbENKUlT_T0_SK_SP_E_clISD_PbSF_PiEEDaS13_S14_SK_SP_EUlS13_E_NS1_11comp_targetILNS1_3genE4ELNS1_11target_archE910ELNS1_3gpuE8ELNS1_3repE0EEENS1_47radix_sort_onesweep_sort_config_static_selectorELNS0_4arch9wavefront6targetE1EEEvSK_.has_indirect_call, 0
	.section	.AMDGPU.csdata,"",@progbits
; Kernel info:
; codeLenInByte = 0
; TotalNumSgprs: 6
; NumVgprs: 0
; NumAgprs: 0
; TotalNumVgprs: 0
; ScratchSize: 0
; MemoryBound: 0
; FloatMode: 240
; IeeeMode: 1
; LDSByteSize: 0 bytes/workgroup (compile time only)
; SGPRBlocks: 0
; VGPRBlocks: 0
; NumSGPRsForWavesPerEU: 6
; NumVGPRsForWavesPerEU: 1
; AccumOffset: 4
; Occupancy: 8
; WaveLimiterHint : 0
; COMPUTE_PGM_RSRC2:SCRATCH_EN: 0
; COMPUTE_PGM_RSRC2:USER_SGPR: 2
; COMPUTE_PGM_RSRC2:TRAP_HANDLER: 0
; COMPUTE_PGM_RSRC2:TGID_X_EN: 1
; COMPUTE_PGM_RSRC2:TGID_Y_EN: 0
; COMPUTE_PGM_RSRC2:TGID_Z_EN: 0
; COMPUTE_PGM_RSRC2:TIDIG_COMP_CNT: 0
; COMPUTE_PGM_RSRC3_GFX90A:ACCUM_OFFSET: 0
; COMPUTE_PGM_RSRC3_GFX90A:TG_SPLIT: 0
	.section	.text._ZN7rocprim17ROCPRIM_400000_NS6detail17trampoline_kernelINS0_14default_configENS1_35radix_sort_onesweep_config_selectorIbiEEZZNS1_29radix_sort_onesweep_iterationIS3_Lb0EN6thrust23THRUST_200600_302600_NS6detail15normal_iteratorINS8_10device_ptrIbEEEESD_NSA_INSB_IiEEEESF_jNS0_19identity_decomposerENS1_16block_id_wrapperIjLb1EEEEE10hipError_tT1_PNSt15iterator_traitsISK_E10value_typeET2_T3_PNSL_ISQ_E10value_typeET4_T5_PSV_SW_PNS1_23onesweep_lookback_stateEbbT6_jjT7_P12ihipStream_tbENKUlT_T0_SK_SP_E_clISD_PbSF_PiEEDaS13_S14_SK_SP_EUlS13_E_NS1_11comp_targetILNS1_3genE3ELNS1_11target_archE908ELNS1_3gpuE7ELNS1_3repE0EEENS1_47radix_sort_onesweep_sort_config_static_selectorELNS0_4arch9wavefront6targetE1EEEvSK_,"axG",@progbits,_ZN7rocprim17ROCPRIM_400000_NS6detail17trampoline_kernelINS0_14default_configENS1_35radix_sort_onesweep_config_selectorIbiEEZZNS1_29radix_sort_onesweep_iterationIS3_Lb0EN6thrust23THRUST_200600_302600_NS6detail15normal_iteratorINS8_10device_ptrIbEEEESD_NSA_INSB_IiEEEESF_jNS0_19identity_decomposerENS1_16block_id_wrapperIjLb1EEEEE10hipError_tT1_PNSt15iterator_traitsISK_E10value_typeET2_T3_PNSL_ISQ_E10value_typeET4_T5_PSV_SW_PNS1_23onesweep_lookback_stateEbbT6_jjT7_P12ihipStream_tbENKUlT_T0_SK_SP_E_clISD_PbSF_PiEEDaS13_S14_SK_SP_EUlS13_E_NS1_11comp_targetILNS1_3genE3ELNS1_11target_archE908ELNS1_3gpuE7ELNS1_3repE0EEENS1_47radix_sort_onesweep_sort_config_static_selectorELNS0_4arch9wavefront6targetE1EEEvSK_,comdat
	.protected	_ZN7rocprim17ROCPRIM_400000_NS6detail17trampoline_kernelINS0_14default_configENS1_35radix_sort_onesweep_config_selectorIbiEEZZNS1_29radix_sort_onesweep_iterationIS3_Lb0EN6thrust23THRUST_200600_302600_NS6detail15normal_iteratorINS8_10device_ptrIbEEEESD_NSA_INSB_IiEEEESF_jNS0_19identity_decomposerENS1_16block_id_wrapperIjLb1EEEEE10hipError_tT1_PNSt15iterator_traitsISK_E10value_typeET2_T3_PNSL_ISQ_E10value_typeET4_T5_PSV_SW_PNS1_23onesweep_lookback_stateEbbT6_jjT7_P12ihipStream_tbENKUlT_T0_SK_SP_E_clISD_PbSF_PiEEDaS13_S14_SK_SP_EUlS13_E_NS1_11comp_targetILNS1_3genE3ELNS1_11target_archE908ELNS1_3gpuE7ELNS1_3repE0EEENS1_47radix_sort_onesweep_sort_config_static_selectorELNS0_4arch9wavefront6targetE1EEEvSK_ ; -- Begin function _ZN7rocprim17ROCPRIM_400000_NS6detail17trampoline_kernelINS0_14default_configENS1_35radix_sort_onesweep_config_selectorIbiEEZZNS1_29radix_sort_onesweep_iterationIS3_Lb0EN6thrust23THRUST_200600_302600_NS6detail15normal_iteratorINS8_10device_ptrIbEEEESD_NSA_INSB_IiEEEESF_jNS0_19identity_decomposerENS1_16block_id_wrapperIjLb1EEEEE10hipError_tT1_PNSt15iterator_traitsISK_E10value_typeET2_T3_PNSL_ISQ_E10value_typeET4_T5_PSV_SW_PNS1_23onesweep_lookback_stateEbbT6_jjT7_P12ihipStream_tbENKUlT_T0_SK_SP_E_clISD_PbSF_PiEEDaS13_S14_SK_SP_EUlS13_E_NS1_11comp_targetILNS1_3genE3ELNS1_11target_archE908ELNS1_3gpuE7ELNS1_3repE0EEENS1_47radix_sort_onesweep_sort_config_static_selectorELNS0_4arch9wavefront6targetE1EEEvSK_
	.globl	_ZN7rocprim17ROCPRIM_400000_NS6detail17trampoline_kernelINS0_14default_configENS1_35radix_sort_onesweep_config_selectorIbiEEZZNS1_29radix_sort_onesweep_iterationIS3_Lb0EN6thrust23THRUST_200600_302600_NS6detail15normal_iteratorINS8_10device_ptrIbEEEESD_NSA_INSB_IiEEEESF_jNS0_19identity_decomposerENS1_16block_id_wrapperIjLb1EEEEE10hipError_tT1_PNSt15iterator_traitsISK_E10value_typeET2_T3_PNSL_ISQ_E10value_typeET4_T5_PSV_SW_PNS1_23onesweep_lookback_stateEbbT6_jjT7_P12ihipStream_tbENKUlT_T0_SK_SP_E_clISD_PbSF_PiEEDaS13_S14_SK_SP_EUlS13_E_NS1_11comp_targetILNS1_3genE3ELNS1_11target_archE908ELNS1_3gpuE7ELNS1_3repE0EEENS1_47radix_sort_onesweep_sort_config_static_selectorELNS0_4arch9wavefront6targetE1EEEvSK_
	.p2align	8
	.type	_ZN7rocprim17ROCPRIM_400000_NS6detail17trampoline_kernelINS0_14default_configENS1_35radix_sort_onesweep_config_selectorIbiEEZZNS1_29radix_sort_onesweep_iterationIS3_Lb0EN6thrust23THRUST_200600_302600_NS6detail15normal_iteratorINS8_10device_ptrIbEEEESD_NSA_INSB_IiEEEESF_jNS0_19identity_decomposerENS1_16block_id_wrapperIjLb1EEEEE10hipError_tT1_PNSt15iterator_traitsISK_E10value_typeET2_T3_PNSL_ISQ_E10value_typeET4_T5_PSV_SW_PNS1_23onesweep_lookback_stateEbbT6_jjT7_P12ihipStream_tbENKUlT_T0_SK_SP_E_clISD_PbSF_PiEEDaS13_S14_SK_SP_EUlS13_E_NS1_11comp_targetILNS1_3genE3ELNS1_11target_archE908ELNS1_3gpuE7ELNS1_3repE0EEENS1_47radix_sort_onesweep_sort_config_static_selectorELNS0_4arch9wavefront6targetE1EEEvSK_,@function
_ZN7rocprim17ROCPRIM_400000_NS6detail17trampoline_kernelINS0_14default_configENS1_35radix_sort_onesweep_config_selectorIbiEEZZNS1_29radix_sort_onesweep_iterationIS3_Lb0EN6thrust23THRUST_200600_302600_NS6detail15normal_iteratorINS8_10device_ptrIbEEEESD_NSA_INSB_IiEEEESF_jNS0_19identity_decomposerENS1_16block_id_wrapperIjLb1EEEEE10hipError_tT1_PNSt15iterator_traitsISK_E10value_typeET2_T3_PNSL_ISQ_E10value_typeET4_T5_PSV_SW_PNS1_23onesweep_lookback_stateEbbT6_jjT7_P12ihipStream_tbENKUlT_T0_SK_SP_E_clISD_PbSF_PiEEDaS13_S14_SK_SP_EUlS13_E_NS1_11comp_targetILNS1_3genE3ELNS1_11target_archE908ELNS1_3gpuE7ELNS1_3repE0EEENS1_47radix_sort_onesweep_sort_config_static_selectorELNS0_4arch9wavefront6targetE1EEEvSK_: ; @_ZN7rocprim17ROCPRIM_400000_NS6detail17trampoline_kernelINS0_14default_configENS1_35radix_sort_onesweep_config_selectorIbiEEZZNS1_29radix_sort_onesweep_iterationIS3_Lb0EN6thrust23THRUST_200600_302600_NS6detail15normal_iteratorINS8_10device_ptrIbEEEESD_NSA_INSB_IiEEEESF_jNS0_19identity_decomposerENS1_16block_id_wrapperIjLb1EEEEE10hipError_tT1_PNSt15iterator_traitsISK_E10value_typeET2_T3_PNSL_ISQ_E10value_typeET4_T5_PSV_SW_PNS1_23onesweep_lookback_stateEbbT6_jjT7_P12ihipStream_tbENKUlT_T0_SK_SP_E_clISD_PbSF_PiEEDaS13_S14_SK_SP_EUlS13_E_NS1_11comp_targetILNS1_3genE3ELNS1_11target_archE908ELNS1_3gpuE7ELNS1_3repE0EEENS1_47radix_sort_onesweep_sort_config_static_selectorELNS0_4arch9wavefront6targetE1EEEvSK_
; %bb.0:
	.section	.rodata,"a",@progbits
	.p2align	6, 0x0
	.amdhsa_kernel _ZN7rocprim17ROCPRIM_400000_NS6detail17trampoline_kernelINS0_14default_configENS1_35radix_sort_onesweep_config_selectorIbiEEZZNS1_29radix_sort_onesweep_iterationIS3_Lb0EN6thrust23THRUST_200600_302600_NS6detail15normal_iteratorINS8_10device_ptrIbEEEESD_NSA_INSB_IiEEEESF_jNS0_19identity_decomposerENS1_16block_id_wrapperIjLb1EEEEE10hipError_tT1_PNSt15iterator_traitsISK_E10value_typeET2_T3_PNSL_ISQ_E10value_typeET4_T5_PSV_SW_PNS1_23onesweep_lookback_stateEbbT6_jjT7_P12ihipStream_tbENKUlT_T0_SK_SP_E_clISD_PbSF_PiEEDaS13_S14_SK_SP_EUlS13_E_NS1_11comp_targetILNS1_3genE3ELNS1_11target_archE908ELNS1_3gpuE7ELNS1_3repE0EEENS1_47radix_sort_onesweep_sort_config_static_selectorELNS0_4arch9wavefront6targetE1EEEvSK_
		.amdhsa_group_segment_fixed_size 0
		.amdhsa_private_segment_fixed_size 0
		.amdhsa_kernarg_size 88
		.amdhsa_user_sgpr_count 2
		.amdhsa_user_sgpr_dispatch_ptr 0
		.amdhsa_user_sgpr_queue_ptr 0
		.amdhsa_user_sgpr_kernarg_segment_ptr 1
		.amdhsa_user_sgpr_dispatch_id 0
		.amdhsa_user_sgpr_kernarg_preload_length 0
		.amdhsa_user_sgpr_kernarg_preload_offset 0
		.amdhsa_user_sgpr_private_segment_size 0
		.amdhsa_uses_dynamic_stack 0
		.amdhsa_enable_private_segment 0
		.amdhsa_system_sgpr_workgroup_id_x 1
		.amdhsa_system_sgpr_workgroup_id_y 0
		.amdhsa_system_sgpr_workgroup_id_z 0
		.amdhsa_system_sgpr_workgroup_info 0
		.amdhsa_system_vgpr_workitem_id 0
		.amdhsa_next_free_vgpr 1
		.amdhsa_next_free_sgpr 0
		.amdhsa_accum_offset 4
		.amdhsa_reserve_vcc 0
		.amdhsa_float_round_mode_32 0
		.amdhsa_float_round_mode_16_64 0
		.amdhsa_float_denorm_mode_32 3
		.amdhsa_float_denorm_mode_16_64 3
		.amdhsa_dx10_clamp 1
		.amdhsa_ieee_mode 1
		.amdhsa_fp16_overflow 0
		.amdhsa_tg_split 0
		.amdhsa_exception_fp_ieee_invalid_op 0
		.amdhsa_exception_fp_denorm_src 0
		.amdhsa_exception_fp_ieee_div_zero 0
		.amdhsa_exception_fp_ieee_overflow 0
		.amdhsa_exception_fp_ieee_underflow 0
		.amdhsa_exception_fp_ieee_inexact 0
		.amdhsa_exception_int_div_zero 0
	.end_amdhsa_kernel
	.section	.text._ZN7rocprim17ROCPRIM_400000_NS6detail17trampoline_kernelINS0_14default_configENS1_35radix_sort_onesweep_config_selectorIbiEEZZNS1_29radix_sort_onesweep_iterationIS3_Lb0EN6thrust23THRUST_200600_302600_NS6detail15normal_iteratorINS8_10device_ptrIbEEEESD_NSA_INSB_IiEEEESF_jNS0_19identity_decomposerENS1_16block_id_wrapperIjLb1EEEEE10hipError_tT1_PNSt15iterator_traitsISK_E10value_typeET2_T3_PNSL_ISQ_E10value_typeET4_T5_PSV_SW_PNS1_23onesweep_lookback_stateEbbT6_jjT7_P12ihipStream_tbENKUlT_T0_SK_SP_E_clISD_PbSF_PiEEDaS13_S14_SK_SP_EUlS13_E_NS1_11comp_targetILNS1_3genE3ELNS1_11target_archE908ELNS1_3gpuE7ELNS1_3repE0EEENS1_47radix_sort_onesweep_sort_config_static_selectorELNS0_4arch9wavefront6targetE1EEEvSK_,"axG",@progbits,_ZN7rocprim17ROCPRIM_400000_NS6detail17trampoline_kernelINS0_14default_configENS1_35radix_sort_onesweep_config_selectorIbiEEZZNS1_29radix_sort_onesweep_iterationIS3_Lb0EN6thrust23THRUST_200600_302600_NS6detail15normal_iteratorINS8_10device_ptrIbEEEESD_NSA_INSB_IiEEEESF_jNS0_19identity_decomposerENS1_16block_id_wrapperIjLb1EEEEE10hipError_tT1_PNSt15iterator_traitsISK_E10value_typeET2_T3_PNSL_ISQ_E10value_typeET4_T5_PSV_SW_PNS1_23onesweep_lookback_stateEbbT6_jjT7_P12ihipStream_tbENKUlT_T0_SK_SP_E_clISD_PbSF_PiEEDaS13_S14_SK_SP_EUlS13_E_NS1_11comp_targetILNS1_3genE3ELNS1_11target_archE908ELNS1_3gpuE7ELNS1_3repE0EEENS1_47radix_sort_onesweep_sort_config_static_selectorELNS0_4arch9wavefront6targetE1EEEvSK_,comdat
.Lfunc_end2055:
	.size	_ZN7rocprim17ROCPRIM_400000_NS6detail17trampoline_kernelINS0_14default_configENS1_35radix_sort_onesweep_config_selectorIbiEEZZNS1_29radix_sort_onesweep_iterationIS3_Lb0EN6thrust23THRUST_200600_302600_NS6detail15normal_iteratorINS8_10device_ptrIbEEEESD_NSA_INSB_IiEEEESF_jNS0_19identity_decomposerENS1_16block_id_wrapperIjLb1EEEEE10hipError_tT1_PNSt15iterator_traitsISK_E10value_typeET2_T3_PNSL_ISQ_E10value_typeET4_T5_PSV_SW_PNS1_23onesweep_lookback_stateEbbT6_jjT7_P12ihipStream_tbENKUlT_T0_SK_SP_E_clISD_PbSF_PiEEDaS13_S14_SK_SP_EUlS13_E_NS1_11comp_targetILNS1_3genE3ELNS1_11target_archE908ELNS1_3gpuE7ELNS1_3repE0EEENS1_47radix_sort_onesweep_sort_config_static_selectorELNS0_4arch9wavefront6targetE1EEEvSK_, .Lfunc_end2055-_ZN7rocprim17ROCPRIM_400000_NS6detail17trampoline_kernelINS0_14default_configENS1_35radix_sort_onesweep_config_selectorIbiEEZZNS1_29radix_sort_onesweep_iterationIS3_Lb0EN6thrust23THRUST_200600_302600_NS6detail15normal_iteratorINS8_10device_ptrIbEEEESD_NSA_INSB_IiEEEESF_jNS0_19identity_decomposerENS1_16block_id_wrapperIjLb1EEEEE10hipError_tT1_PNSt15iterator_traitsISK_E10value_typeET2_T3_PNSL_ISQ_E10value_typeET4_T5_PSV_SW_PNS1_23onesweep_lookback_stateEbbT6_jjT7_P12ihipStream_tbENKUlT_T0_SK_SP_E_clISD_PbSF_PiEEDaS13_S14_SK_SP_EUlS13_E_NS1_11comp_targetILNS1_3genE3ELNS1_11target_archE908ELNS1_3gpuE7ELNS1_3repE0EEENS1_47radix_sort_onesweep_sort_config_static_selectorELNS0_4arch9wavefront6targetE1EEEvSK_
                                        ; -- End function
	.set _ZN7rocprim17ROCPRIM_400000_NS6detail17trampoline_kernelINS0_14default_configENS1_35radix_sort_onesweep_config_selectorIbiEEZZNS1_29radix_sort_onesweep_iterationIS3_Lb0EN6thrust23THRUST_200600_302600_NS6detail15normal_iteratorINS8_10device_ptrIbEEEESD_NSA_INSB_IiEEEESF_jNS0_19identity_decomposerENS1_16block_id_wrapperIjLb1EEEEE10hipError_tT1_PNSt15iterator_traitsISK_E10value_typeET2_T3_PNSL_ISQ_E10value_typeET4_T5_PSV_SW_PNS1_23onesweep_lookback_stateEbbT6_jjT7_P12ihipStream_tbENKUlT_T0_SK_SP_E_clISD_PbSF_PiEEDaS13_S14_SK_SP_EUlS13_E_NS1_11comp_targetILNS1_3genE3ELNS1_11target_archE908ELNS1_3gpuE7ELNS1_3repE0EEENS1_47radix_sort_onesweep_sort_config_static_selectorELNS0_4arch9wavefront6targetE1EEEvSK_.num_vgpr, 0
	.set _ZN7rocprim17ROCPRIM_400000_NS6detail17trampoline_kernelINS0_14default_configENS1_35radix_sort_onesweep_config_selectorIbiEEZZNS1_29radix_sort_onesweep_iterationIS3_Lb0EN6thrust23THRUST_200600_302600_NS6detail15normal_iteratorINS8_10device_ptrIbEEEESD_NSA_INSB_IiEEEESF_jNS0_19identity_decomposerENS1_16block_id_wrapperIjLb1EEEEE10hipError_tT1_PNSt15iterator_traitsISK_E10value_typeET2_T3_PNSL_ISQ_E10value_typeET4_T5_PSV_SW_PNS1_23onesweep_lookback_stateEbbT6_jjT7_P12ihipStream_tbENKUlT_T0_SK_SP_E_clISD_PbSF_PiEEDaS13_S14_SK_SP_EUlS13_E_NS1_11comp_targetILNS1_3genE3ELNS1_11target_archE908ELNS1_3gpuE7ELNS1_3repE0EEENS1_47radix_sort_onesweep_sort_config_static_selectorELNS0_4arch9wavefront6targetE1EEEvSK_.num_agpr, 0
	.set _ZN7rocprim17ROCPRIM_400000_NS6detail17trampoline_kernelINS0_14default_configENS1_35radix_sort_onesweep_config_selectorIbiEEZZNS1_29radix_sort_onesweep_iterationIS3_Lb0EN6thrust23THRUST_200600_302600_NS6detail15normal_iteratorINS8_10device_ptrIbEEEESD_NSA_INSB_IiEEEESF_jNS0_19identity_decomposerENS1_16block_id_wrapperIjLb1EEEEE10hipError_tT1_PNSt15iterator_traitsISK_E10value_typeET2_T3_PNSL_ISQ_E10value_typeET4_T5_PSV_SW_PNS1_23onesweep_lookback_stateEbbT6_jjT7_P12ihipStream_tbENKUlT_T0_SK_SP_E_clISD_PbSF_PiEEDaS13_S14_SK_SP_EUlS13_E_NS1_11comp_targetILNS1_3genE3ELNS1_11target_archE908ELNS1_3gpuE7ELNS1_3repE0EEENS1_47radix_sort_onesweep_sort_config_static_selectorELNS0_4arch9wavefront6targetE1EEEvSK_.numbered_sgpr, 0
	.set _ZN7rocprim17ROCPRIM_400000_NS6detail17trampoline_kernelINS0_14default_configENS1_35radix_sort_onesweep_config_selectorIbiEEZZNS1_29radix_sort_onesweep_iterationIS3_Lb0EN6thrust23THRUST_200600_302600_NS6detail15normal_iteratorINS8_10device_ptrIbEEEESD_NSA_INSB_IiEEEESF_jNS0_19identity_decomposerENS1_16block_id_wrapperIjLb1EEEEE10hipError_tT1_PNSt15iterator_traitsISK_E10value_typeET2_T3_PNSL_ISQ_E10value_typeET4_T5_PSV_SW_PNS1_23onesweep_lookback_stateEbbT6_jjT7_P12ihipStream_tbENKUlT_T0_SK_SP_E_clISD_PbSF_PiEEDaS13_S14_SK_SP_EUlS13_E_NS1_11comp_targetILNS1_3genE3ELNS1_11target_archE908ELNS1_3gpuE7ELNS1_3repE0EEENS1_47radix_sort_onesweep_sort_config_static_selectorELNS0_4arch9wavefront6targetE1EEEvSK_.num_named_barrier, 0
	.set _ZN7rocprim17ROCPRIM_400000_NS6detail17trampoline_kernelINS0_14default_configENS1_35radix_sort_onesweep_config_selectorIbiEEZZNS1_29radix_sort_onesweep_iterationIS3_Lb0EN6thrust23THRUST_200600_302600_NS6detail15normal_iteratorINS8_10device_ptrIbEEEESD_NSA_INSB_IiEEEESF_jNS0_19identity_decomposerENS1_16block_id_wrapperIjLb1EEEEE10hipError_tT1_PNSt15iterator_traitsISK_E10value_typeET2_T3_PNSL_ISQ_E10value_typeET4_T5_PSV_SW_PNS1_23onesweep_lookback_stateEbbT6_jjT7_P12ihipStream_tbENKUlT_T0_SK_SP_E_clISD_PbSF_PiEEDaS13_S14_SK_SP_EUlS13_E_NS1_11comp_targetILNS1_3genE3ELNS1_11target_archE908ELNS1_3gpuE7ELNS1_3repE0EEENS1_47radix_sort_onesweep_sort_config_static_selectorELNS0_4arch9wavefront6targetE1EEEvSK_.private_seg_size, 0
	.set _ZN7rocprim17ROCPRIM_400000_NS6detail17trampoline_kernelINS0_14default_configENS1_35radix_sort_onesweep_config_selectorIbiEEZZNS1_29radix_sort_onesweep_iterationIS3_Lb0EN6thrust23THRUST_200600_302600_NS6detail15normal_iteratorINS8_10device_ptrIbEEEESD_NSA_INSB_IiEEEESF_jNS0_19identity_decomposerENS1_16block_id_wrapperIjLb1EEEEE10hipError_tT1_PNSt15iterator_traitsISK_E10value_typeET2_T3_PNSL_ISQ_E10value_typeET4_T5_PSV_SW_PNS1_23onesweep_lookback_stateEbbT6_jjT7_P12ihipStream_tbENKUlT_T0_SK_SP_E_clISD_PbSF_PiEEDaS13_S14_SK_SP_EUlS13_E_NS1_11comp_targetILNS1_3genE3ELNS1_11target_archE908ELNS1_3gpuE7ELNS1_3repE0EEENS1_47radix_sort_onesweep_sort_config_static_selectorELNS0_4arch9wavefront6targetE1EEEvSK_.uses_vcc, 0
	.set _ZN7rocprim17ROCPRIM_400000_NS6detail17trampoline_kernelINS0_14default_configENS1_35radix_sort_onesweep_config_selectorIbiEEZZNS1_29radix_sort_onesweep_iterationIS3_Lb0EN6thrust23THRUST_200600_302600_NS6detail15normal_iteratorINS8_10device_ptrIbEEEESD_NSA_INSB_IiEEEESF_jNS0_19identity_decomposerENS1_16block_id_wrapperIjLb1EEEEE10hipError_tT1_PNSt15iterator_traitsISK_E10value_typeET2_T3_PNSL_ISQ_E10value_typeET4_T5_PSV_SW_PNS1_23onesweep_lookback_stateEbbT6_jjT7_P12ihipStream_tbENKUlT_T0_SK_SP_E_clISD_PbSF_PiEEDaS13_S14_SK_SP_EUlS13_E_NS1_11comp_targetILNS1_3genE3ELNS1_11target_archE908ELNS1_3gpuE7ELNS1_3repE0EEENS1_47radix_sort_onesweep_sort_config_static_selectorELNS0_4arch9wavefront6targetE1EEEvSK_.uses_flat_scratch, 0
	.set _ZN7rocprim17ROCPRIM_400000_NS6detail17trampoline_kernelINS0_14default_configENS1_35radix_sort_onesweep_config_selectorIbiEEZZNS1_29radix_sort_onesweep_iterationIS3_Lb0EN6thrust23THRUST_200600_302600_NS6detail15normal_iteratorINS8_10device_ptrIbEEEESD_NSA_INSB_IiEEEESF_jNS0_19identity_decomposerENS1_16block_id_wrapperIjLb1EEEEE10hipError_tT1_PNSt15iterator_traitsISK_E10value_typeET2_T3_PNSL_ISQ_E10value_typeET4_T5_PSV_SW_PNS1_23onesweep_lookback_stateEbbT6_jjT7_P12ihipStream_tbENKUlT_T0_SK_SP_E_clISD_PbSF_PiEEDaS13_S14_SK_SP_EUlS13_E_NS1_11comp_targetILNS1_3genE3ELNS1_11target_archE908ELNS1_3gpuE7ELNS1_3repE0EEENS1_47radix_sort_onesweep_sort_config_static_selectorELNS0_4arch9wavefront6targetE1EEEvSK_.has_dyn_sized_stack, 0
	.set _ZN7rocprim17ROCPRIM_400000_NS6detail17trampoline_kernelINS0_14default_configENS1_35radix_sort_onesweep_config_selectorIbiEEZZNS1_29radix_sort_onesweep_iterationIS3_Lb0EN6thrust23THRUST_200600_302600_NS6detail15normal_iteratorINS8_10device_ptrIbEEEESD_NSA_INSB_IiEEEESF_jNS0_19identity_decomposerENS1_16block_id_wrapperIjLb1EEEEE10hipError_tT1_PNSt15iterator_traitsISK_E10value_typeET2_T3_PNSL_ISQ_E10value_typeET4_T5_PSV_SW_PNS1_23onesweep_lookback_stateEbbT6_jjT7_P12ihipStream_tbENKUlT_T0_SK_SP_E_clISD_PbSF_PiEEDaS13_S14_SK_SP_EUlS13_E_NS1_11comp_targetILNS1_3genE3ELNS1_11target_archE908ELNS1_3gpuE7ELNS1_3repE0EEENS1_47radix_sort_onesweep_sort_config_static_selectorELNS0_4arch9wavefront6targetE1EEEvSK_.has_recursion, 0
	.set _ZN7rocprim17ROCPRIM_400000_NS6detail17trampoline_kernelINS0_14default_configENS1_35radix_sort_onesweep_config_selectorIbiEEZZNS1_29radix_sort_onesweep_iterationIS3_Lb0EN6thrust23THRUST_200600_302600_NS6detail15normal_iteratorINS8_10device_ptrIbEEEESD_NSA_INSB_IiEEEESF_jNS0_19identity_decomposerENS1_16block_id_wrapperIjLb1EEEEE10hipError_tT1_PNSt15iterator_traitsISK_E10value_typeET2_T3_PNSL_ISQ_E10value_typeET4_T5_PSV_SW_PNS1_23onesweep_lookback_stateEbbT6_jjT7_P12ihipStream_tbENKUlT_T0_SK_SP_E_clISD_PbSF_PiEEDaS13_S14_SK_SP_EUlS13_E_NS1_11comp_targetILNS1_3genE3ELNS1_11target_archE908ELNS1_3gpuE7ELNS1_3repE0EEENS1_47radix_sort_onesweep_sort_config_static_selectorELNS0_4arch9wavefront6targetE1EEEvSK_.has_indirect_call, 0
	.section	.AMDGPU.csdata,"",@progbits
; Kernel info:
; codeLenInByte = 0
; TotalNumSgprs: 6
; NumVgprs: 0
; NumAgprs: 0
; TotalNumVgprs: 0
; ScratchSize: 0
; MemoryBound: 0
; FloatMode: 240
; IeeeMode: 1
; LDSByteSize: 0 bytes/workgroup (compile time only)
; SGPRBlocks: 0
; VGPRBlocks: 0
; NumSGPRsForWavesPerEU: 6
; NumVGPRsForWavesPerEU: 1
; AccumOffset: 4
; Occupancy: 8
; WaveLimiterHint : 0
; COMPUTE_PGM_RSRC2:SCRATCH_EN: 0
; COMPUTE_PGM_RSRC2:USER_SGPR: 2
; COMPUTE_PGM_RSRC2:TRAP_HANDLER: 0
; COMPUTE_PGM_RSRC2:TGID_X_EN: 1
; COMPUTE_PGM_RSRC2:TGID_Y_EN: 0
; COMPUTE_PGM_RSRC2:TGID_Z_EN: 0
; COMPUTE_PGM_RSRC2:TIDIG_COMP_CNT: 0
; COMPUTE_PGM_RSRC3_GFX90A:ACCUM_OFFSET: 0
; COMPUTE_PGM_RSRC3_GFX90A:TG_SPLIT: 0
	.section	.text._ZN7rocprim17ROCPRIM_400000_NS6detail17trampoline_kernelINS0_14default_configENS1_35radix_sort_onesweep_config_selectorIbiEEZZNS1_29radix_sort_onesweep_iterationIS3_Lb0EN6thrust23THRUST_200600_302600_NS6detail15normal_iteratorINS8_10device_ptrIbEEEESD_NSA_INSB_IiEEEESF_jNS0_19identity_decomposerENS1_16block_id_wrapperIjLb1EEEEE10hipError_tT1_PNSt15iterator_traitsISK_E10value_typeET2_T3_PNSL_ISQ_E10value_typeET4_T5_PSV_SW_PNS1_23onesweep_lookback_stateEbbT6_jjT7_P12ihipStream_tbENKUlT_T0_SK_SP_E_clISD_PbSF_PiEEDaS13_S14_SK_SP_EUlS13_E_NS1_11comp_targetILNS1_3genE10ELNS1_11target_archE1201ELNS1_3gpuE5ELNS1_3repE0EEENS1_47radix_sort_onesweep_sort_config_static_selectorELNS0_4arch9wavefront6targetE1EEEvSK_,"axG",@progbits,_ZN7rocprim17ROCPRIM_400000_NS6detail17trampoline_kernelINS0_14default_configENS1_35radix_sort_onesweep_config_selectorIbiEEZZNS1_29radix_sort_onesweep_iterationIS3_Lb0EN6thrust23THRUST_200600_302600_NS6detail15normal_iteratorINS8_10device_ptrIbEEEESD_NSA_INSB_IiEEEESF_jNS0_19identity_decomposerENS1_16block_id_wrapperIjLb1EEEEE10hipError_tT1_PNSt15iterator_traitsISK_E10value_typeET2_T3_PNSL_ISQ_E10value_typeET4_T5_PSV_SW_PNS1_23onesweep_lookback_stateEbbT6_jjT7_P12ihipStream_tbENKUlT_T0_SK_SP_E_clISD_PbSF_PiEEDaS13_S14_SK_SP_EUlS13_E_NS1_11comp_targetILNS1_3genE10ELNS1_11target_archE1201ELNS1_3gpuE5ELNS1_3repE0EEENS1_47radix_sort_onesweep_sort_config_static_selectorELNS0_4arch9wavefront6targetE1EEEvSK_,comdat
	.protected	_ZN7rocprim17ROCPRIM_400000_NS6detail17trampoline_kernelINS0_14default_configENS1_35radix_sort_onesweep_config_selectorIbiEEZZNS1_29radix_sort_onesweep_iterationIS3_Lb0EN6thrust23THRUST_200600_302600_NS6detail15normal_iteratorINS8_10device_ptrIbEEEESD_NSA_INSB_IiEEEESF_jNS0_19identity_decomposerENS1_16block_id_wrapperIjLb1EEEEE10hipError_tT1_PNSt15iterator_traitsISK_E10value_typeET2_T3_PNSL_ISQ_E10value_typeET4_T5_PSV_SW_PNS1_23onesweep_lookback_stateEbbT6_jjT7_P12ihipStream_tbENKUlT_T0_SK_SP_E_clISD_PbSF_PiEEDaS13_S14_SK_SP_EUlS13_E_NS1_11comp_targetILNS1_3genE10ELNS1_11target_archE1201ELNS1_3gpuE5ELNS1_3repE0EEENS1_47radix_sort_onesweep_sort_config_static_selectorELNS0_4arch9wavefront6targetE1EEEvSK_ ; -- Begin function _ZN7rocprim17ROCPRIM_400000_NS6detail17trampoline_kernelINS0_14default_configENS1_35radix_sort_onesweep_config_selectorIbiEEZZNS1_29radix_sort_onesweep_iterationIS3_Lb0EN6thrust23THRUST_200600_302600_NS6detail15normal_iteratorINS8_10device_ptrIbEEEESD_NSA_INSB_IiEEEESF_jNS0_19identity_decomposerENS1_16block_id_wrapperIjLb1EEEEE10hipError_tT1_PNSt15iterator_traitsISK_E10value_typeET2_T3_PNSL_ISQ_E10value_typeET4_T5_PSV_SW_PNS1_23onesweep_lookback_stateEbbT6_jjT7_P12ihipStream_tbENKUlT_T0_SK_SP_E_clISD_PbSF_PiEEDaS13_S14_SK_SP_EUlS13_E_NS1_11comp_targetILNS1_3genE10ELNS1_11target_archE1201ELNS1_3gpuE5ELNS1_3repE0EEENS1_47radix_sort_onesweep_sort_config_static_selectorELNS0_4arch9wavefront6targetE1EEEvSK_
	.globl	_ZN7rocprim17ROCPRIM_400000_NS6detail17trampoline_kernelINS0_14default_configENS1_35radix_sort_onesweep_config_selectorIbiEEZZNS1_29radix_sort_onesweep_iterationIS3_Lb0EN6thrust23THRUST_200600_302600_NS6detail15normal_iteratorINS8_10device_ptrIbEEEESD_NSA_INSB_IiEEEESF_jNS0_19identity_decomposerENS1_16block_id_wrapperIjLb1EEEEE10hipError_tT1_PNSt15iterator_traitsISK_E10value_typeET2_T3_PNSL_ISQ_E10value_typeET4_T5_PSV_SW_PNS1_23onesweep_lookback_stateEbbT6_jjT7_P12ihipStream_tbENKUlT_T0_SK_SP_E_clISD_PbSF_PiEEDaS13_S14_SK_SP_EUlS13_E_NS1_11comp_targetILNS1_3genE10ELNS1_11target_archE1201ELNS1_3gpuE5ELNS1_3repE0EEENS1_47radix_sort_onesweep_sort_config_static_selectorELNS0_4arch9wavefront6targetE1EEEvSK_
	.p2align	8
	.type	_ZN7rocprim17ROCPRIM_400000_NS6detail17trampoline_kernelINS0_14default_configENS1_35radix_sort_onesweep_config_selectorIbiEEZZNS1_29radix_sort_onesweep_iterationIS3_Lb0EN6thrust23THRUST_200600_302600_NS6detail15normal_iteratorINS8_10device_ptrIbEEEESD_NSA_INSB_IiEEEESF_jNS0_19identity_decomposerENS1_16block_id_wrapperIjLb1EEEEE10hipError_tT1_PNSt15iterator_traitsISK_E10value_typeET2_T3_PNSL_ISQ_E10value_typeET4_T5_PSV_SW_PNS1_23onesweep_lookback_stateEbbT6_jjT7_P12ihipStream_tbENKUlT_T0_SK_SP_E_clISD_PbSF_PiEEDaS13_S14_SK_SP_EUlS13_E_NS1_11comp_targetILNS1_3genE10ELNS1_11target_archE1201ELNS1_3gpuE5ELNS1_3repE0EEENS1_47radix_sort_onesweep_sort_config_static_selectorELNS0_4arch9wavefront6targetE1EEEvSK_,@function
_ZN7rocprim17ROCPRIM_400000_NS6detail17trampoline_kernelINS0_14default_configENS1_35radix_sort_onesweep_config_selectorIbiEEZZNS1_29radix_sort_onesweep_iterationIS3_Lb0EN6thrust23THRUST_200600_302600_NS6detail15normal_iteratorINS8_10device_ptrIbEEEESD_NSA_INSB_IiEEEESF_jNS0_19identity_decomposerENS1_16block_id_wrapperIjLb1EEEEE10hipError_tT1_PNSt15iterator_traitsISK_E10value_typeET2_T3_PNSL_ISQ_E10value_typeET4_T5_PSV_SW_PNS1_23onesweep_lookback_stateEbbT6_jjT7_P12ihipStream_tbENKUlT_T0_SK_SP_E_clISD_PbSF_PiEEDaS13_S14_SK_SP_EUlS13_E_NS1_11comp_targetILNS1_3genE10ELNS1_11target_archE1201ELNS1_3gpuE5ELNS1_3repE0EEENS1_47radix_sort_onesweep_sort_config_static_selectorELNS0_4arch9wavefront6targetE1EEEvSK_: ; @_ZN7rocprim17ROCPRIM_400000_NS6detail17trampoline_kernelINS0_14default_configENS1_35radix_sort_onesweep_config_selectorIbiEEZZNS1_29radix_sort_onesweep_iterationIS3_Lb0EN6thrust23THRUST_200600_302600_NS6detail15normal_iteratorINS8_10device_ptrIbEEEESD_NSA_INSB_IiEEEESF_jNS0_19identity_decomposerENS1_16block_id_wrapperIjLb1EEEEE10hipError_tT1_PNSt15iterator_traitsISK_E10value_typeET2_T3_PNSL_ISQ_E10value_typeET4_T5_PSV_SW_PNS1_23onesweep_lookback_stateEbbT6_jjT7_P12ihipStream_tbENKUlT_T0_SK_SP_E_clISD_PbSF_PiEEDaS13_S14_SK_SP_EUlS13_E_NS1_11comp_targetILNS1_3genE10ELNS1_11target_archE1201ELNS1_3gpuE5ELNS1_3repE0EEENS1_47radix_sort_onesweep_sort_config_static_selectorELNS0_4arch9wavefront6targetE1EEEvSK_
; %bb.0:
	.section	.rodata,"a",@progbits
	.p2align	6, 0x0
	.amdhsa_kernel _ZN7rocprim17ROCPRIM_400000_NS6detail17trampoline_kernelINS0_14default_configENS1_35radix_sort_onesweep_config_selectorIbiEEZZNS1_29radix_sort_onesweep_iterationIS3_Lb0EN6thrust23THRUST_200600_302600_NS6detail15normal_iteratorINS8_10device_ptrIbEEEESD_NSA_INSB_IiEEEESF_jNS0_19identity_decomposerENS1_16block_id_wrapperIjLb1EEEEE10hipError_tT1_PNSt15iterator_traitsISK_E10value_typeET2_T3_PNSL_ISQ_E10value_typeET4_T5_PSV_SW_PNS1_23onesweep_lookback_stateEbbT6_jjT7_P12ihipStream_tbENKUlT_T0_SK_SP_E_clISD_PbSF_PiEEDaS13_S14_SK_SP_EUlS13_E_NS1_11comp_targetILNS1_3genE10ELNS1_11target_archE1201ELNS1_3gpuE5ELNS1_3repE0EEENS1_47radix_sort_onesweep_sort_config_static_selectorELNS0_4arch9wavefront6targetE1EEEvSK_
		.amdhsa_group_segment_fixed_size 0
		.amdhsa_private_segment_fixed_size 0
		.amdhsa_kernarg_size 88
		.amdhsa_user_sgpr_count 2
		.amdhsa_user_sgpr_dispatch_ptr 0
		.amdhsa_user_sgpr_queue_ptr 0
		.amdhsa_user_sgpr_kernarg_segment_ptr 1
		.amdhsa_user_sgpr_dispatch_id 0
		.amdhsa_user_sgpr_kernarg_preload_length 0
		.amdhsa_user_sgpr_kernarg_preload_offset 0
		.amdhsa_user_sgpr_private_segment_size 0
		.amdhsa_uses_dynamic_stack 0
		.amdhsa_enable_private_segment 0
		.amdhsa_system_sgpr_workgroup_id_x 1
		.amdhsa_system_sgpr_workgroup_id_y 0
		.amdhsa_system_sgpr_workgroup_id_z 0
		.amdhsa_system_sgpr_workgroup_info 0
		.amdhsa_system_vgpr_workitem_id 0
		.amdhsa_next_free_vgpr 1
		.amdhsa_next_free_sgpr 0
		.amdhsa_accum_offset 4
		.amdhsa_reserve_vcc 0
		.amdhsa_float_round_mode_32 0
		.amdhsa_float_round_mode_16_64 0
		.amdhsa_float_denorm_mode_32 3
		.amdhsa_float_denorm_mode_16_64 3
		.amdhsa_dx10_clamp 1
		.amdhsa_ieee_mode 1
		.amdhsa_fp16_overflow 0
		.amdhsa_tg_split 0
		.amdhsa_exception_fp_ieee_invalid_op 0
		.amdhsa_exception_fp_denorm_src 0
		.amdhsa_exception_fp_ieee_div_zero 0
		.amdhsa_exception_fp_ieee_overflow 0
		.amdhsa_exception_fp_ieee_underflow 0
		.amdhsa_exception_fp_ieee_inexact 0
		.amdhsa_exception_int_div_zero 0
	.end_amdhsa_kernel
	.section	.text._ZN7rocprim17ROCPRIM_400000_NS6detail17trampoline_kernelINS0_14default_configENS1_35radix_sort_onesweep_config_selectorIbiEEZZNS1_29radix_sort_onesweep_iterationIS3_Lb0EN6thrust23THRUST_200600_302600_NS6detail15normal_iteratorINS8_10device_ptrIbEEEESD_NSA_INSB_IiEEEESF_jNS0_19identity_decomposerENS1_16block_id_wrapperIjLb1EEEEE10hipError_tT1_PNSt15iterator_traitsISK_E10value_typeET2_T3_PNSL_ISQ_E10value_typeET4_T5_PSV_SW_PNS1_23onesweep_lookback_stateEbbT6_jjT7_P12ihipStream_tbENKUlT_T0_SK_SP_E_clISD_PbSF_PiEEDaS13_S14_SK_SP_EUlS13_E_NS1_11comp_targetILNS1_3genE10ELNS1_11target_archE1201ELNS1_3gpuE5ELNS1_3repE0EEENS1_47radix_sort_onesweep_sort_config_static_selectorELNS0_4arch9wavefront6targetE1EEEvSK_,"axG",@progbits,_ZN7rocprim17ROCPRIM_400000_NS6detail17trampoline_kernelINS0_14default_configENS1_35radix_sort_onesweep_config_selectorIbiEEZZNS1_29radix_sort_onesweep_iterationIS3_Lb0EN6thrust23THRUST_200600_302600_NS6detail15normal_iteratorINS8_10device_ptrIbEEEESD_NSA_INSB_IiEEEESF_jNS0_19identity_decomposerENS1_16block_id_wrapperIjLb1EEEEE10hipError_tT1_PNSt15iterator_traitsISK_E10value_typeET2_T3_PNSL_ISQ_E10value_typeET4_T5_PSV_SW_PNS1_23onesweep_lookback_stateEbbT6_jjT7_P12ihipStream_tbENKUlT_T0_SK_SP_E_clISD_PbSF_PiEEDaS13_S14_SK_SP_EUlS13_E_NS1_11comp_targetILNS1_3genE10ELNS1_11target_archE1201ELNS1_3gpuE5ELNS1_3repE0EEENS1_47radix_sort_onesweep_sort_config_static_selectorELNS0_4arch9wavefront6targetE1EEEvSK_,comdat
.Lfunc_end2056:
	.size	_ZN7rocprim17ROCPRIM_400000_NS6detail17trampoline_kernelINS0_14default_configENS1_35radix_sort_onesweep_config_selectorIbiEEZZNS1_29radix_sort_onesweep_iterationIS3_Lb0EN6thrust23THRUST_200600_302600_NS6detail15normal_iteratorINS8_10device_ptrIbEEEESD_NSA_INSB_IiEEEESF_jNS0_19identity_decomposerENS1_16block_id_wrapperIjLb1EEEEE10hipError_tT1_PNSt15iterator_traitsISK_E10value_typeET2_T3_PNSL_ISQ_E10value_typeET4_T5_PSV_SW_PNS1_23onesweep_lookback_stateEbbT6_jjT7_P12ihipStream_tbENKUlT_T0_SK_SP_E_clISD_PbSF_PiEEDaS13_S14_SK_SP_EUlS13_E_NS1_11comp_targetILNS1_3genE10ELNS1_11target_archE1201ELNS1_3gpuE5ELNS1_3repE0EEENS1_47radix_sort_onesweep_sort_config_static_selectorELNS0_4arch9wavefront6targetE1EEEvSK_, .Lfunc_end2056-_ZN7rocprim17ROCPRIM_400000_NS6detail17trampoline_kernelINS0_14default_configENS1_35radix_sort_onesweep_config_selectorIbiEEZZNS1_29radix_sort_onesweep_iterationIS3_Lb0EN6thrust23THRUST_200600_302600_NS6detail15normal_iteratorINS8_10device_ptrIbEEEESD_NSA_INSB_IiEEEESF_jNS0_19identity_decomposerENS1_16block_id_wrapperIjLb1EEEEE10hipError_tT1_PNSt15iterator_traitsISK_E10value_typeET2_T3_PNSL_ISQ_E10value_typeET4_T5_PSV_SW_PNS1_23onesweep_lookback_stateEbbT6_jjT7_P12ihipStream_tbENKUlT_T0_SK_SP_E_clISD_PbSF_PiEEDaS13_S14_SK_SP_EUlS13_E_NS1_11comp_targetILNS1_3genE10ELNS1_11target_archE1201ELNS1_3gpuE5ELNS1_3repE0EEENS1_47radix_sort_onesweep_sort_config_static_selectorELNS0_4arch9wavefront6targetE1EEEvSK_
                                        ; -- End function
	.set _ZN7rocprim17ROCPRIM_400000_NS6detail17trampoline_kernelINS0_14default_configENS1_35radix_sort_onesweep_config_selectorIbiEEZZNS1_29radix_sort_onesweep_iterationIS3_Lb0EN6thrust23THRUST_200600_302600_NS6detail15normal_iteratorINS8_10device_ptrIbEEEESD_NSA_INSB_IiEEEESF_jNS0_19identity_decomposerENS1_16block_id_wrapperIjLb1EEEEE10hipError_tT1_PNSt15iterator_traitsISK_E10value_typeET2_T3_PNSL_ISQ_E10value_typeET4_T5_PSV_SW_PNS1_23onesweep_lookback_stateEbbT6_jjT7_P12ihipStream_tbENKUlT_T0_SK_SP_E_clISD_PbSF_PiEEDaS13_S14_SK_SP_EUlS13_E_NS1_11comp_targetILNS1_3genE10ELNS1_11target_archE1201ELNS1_3gpuE5ELNS1_3repE0EEENS1_47radix_sort_onesweep_sort_config_static_selectorELNS0_4arch9wavefront6targetE1EEEvSK_.num_vgpr, 0
	.set _ZN7rocprim17ROCPRIM_400000_NS6detail17trampoline_kernelINS0_14default_configENS1_35radix_sort_onesweep_config_selectorIbiEEZZNS1_29radix_sort_onesweep_iterationIS3_Lb0EN6thrust23THRUST_200600_302600_NS6detail15normal_iteratorINS8_10device_ptrIbEEEESD_NSA_INSB_IiEEEESF_jNS0_19identity_decomposerENS1_16block_id_wrapperIjLb1EEEEE10hipError_tT1_PNSt15iterator_traitsISK_E10value_typeET2_T3_PNSL_ISQ_E10value_typeET4_T5_PSV_SW_PNS1_23onesweep_lookback_stateEbbT6_jjT7_P12ihipStream_tbENKUlT_T0_SK_SP_E_clISD_PbSF_PiEEDaS13_S14_SK_SP_EUlS13_E_NS1_11comp_targetILNS1_3genE10ELNS1_11target_archE1201ELNS1_3gpuE5ELNS1_3repE0EEENS1_47radix_sort_onesweep_sort_config_static_selectorELNS0_4arch9wavefront6targetE1EEEvSK_.num_agpr, 0
	.set _ZN7rocprim17ROCPRIM_400000_NS6detail17trampoline_kernelINS0_14default_configENS1_35radix_sort_onesweep_config_selectorIbiEEZZNS1_29radix_sort_onesweep_iterationIS3_Lb0EN6thrust23THRUST_200600_302600_NS6detail15normal_iteratorINS8_10device_ptrIbEEEESD_NSA_INSB_IiEEEESF_jNS0_19identity_decomposerENS1_16block_id_wrapperIjLb1EEEEE10hipError_tT1_PNSt15iterator_traitsISK_E10value_typeET2_T3_PNSL_ISQ_E10value_typeET4_T5_PSV_SW_PNS1_23onesweep_lookback_stateEbbT6_jjT7_P12ihipStream_tbENKUlT_T0_SK_SP_E_clISD_PbSF_PiEEDaS13_S14_SK_SP_EUlS13_E_NS1_11comp_targetILNS1_3genE10ELNS1_11target_archE1201ELNS1_3gpuE5ELNS1_3repE0EEENS1_47radix_sort_onesweep_sort_config_static_selectorELNS0_4arch9wavefront6targetE1EEEvSK_.numbered_sgpr, 0
	.set _ZN7rocprim17ROCPRIM_400000_NS6detail17trampoline_kernelINS0_14default_configENS1_35radix_sort_onesweep_config_selectorIbiEEZZNS1_29radix_sort_onesweep_iterationIS3_Lb0EN6thrust23THRUST_200600_302600_NS6detail15normal_iteratorINS8_10device_ptrIbEEEESD_NSA_INSB_IiEEEESF_jNS0_19identity_decomposerENS1_16block_id_wrapperIjLb1EEEEE10hipError_tT1_PNSt15iterator_traitsISK_E10value_typeET2_T3_PNSL_ISQ_E10value_typeET4_T5_PSV_SW_PNS1_23onesweep_lookback_stateEbbT6_jjT7_P12ihipStream_tbENKUlT_T0_SK_SP_E_clISD_PbSF_PiEEDaS13_S14_SK_SP_EUlS13_E_NS1_11comp_targetILNS1_3genE10ELNS1_11target_archE1201ELNS1_3gpuE5ELNS1_3repE0EEENS1_47radix_sort_onesweep_sort_config_static_selectorELNS0_4arch9wavefront6targetE1EEEvSK_.num_named_barrier, 0
	.set _ZN7rocprim17ROCPRIM_400000_NS6detail17trampoline_kernelINS0_14default_configENS1_35radix_sort_onesweep_config_selectorIbiEEZZNS1_29radix_sort_onesweep_iterationIS3_Lb0EN6thrust23THRUST_200600_302600_NS6detail15normal_iteratorINS8_10device_ptrIbEEEESD_NSA_INSB_IiEEEESF_jNS0_19identity_decomposerENS1_16block_id_wrapperIjLb1EEEEE10hipError_tT1_PNSt15iterator_traitsISK_E10value_typeET2_T3_PNSL_ISQ_E10value_typeET4_T5_PSV_SW_PNS1_23onesweep_lookback_stateEbbT6_jjT7_P12ihipStream_tbENKUlT_T0_SK_SP_E_clISD_PbSF_PiEEDaS13_S14_SK_SP_EUlS13_E_NS1_11comp_targetILNS1_3genE10ELNS1_11target_archE1201ELNS1_3gpuE5ELNS1_3repE0EEENS1_47radix_sort_onesweep_sort_config_static_selectorELNS0_4arch9wavefront6targetE1EEEvSK_.private_seg_size, 0
	.set _ZN7rocprim17ROCPRIM_400000_NS6detail17trampoline_kernelINS0_14default_configENS1_35radix_sort_onesweep_config_selectorIbiEEZZNS1_29radix_sort_onesweep_iterationIS3_Lb0EN6thrust23THRUST_200600_302600_NS6detail15normal_iteratorINS8_10device_ptrIbEEEESD_NSA_INSB_IiEEEESF_jNS0_19identity_decomposerENS1_16block_id_wrapperIjLb1EEEEE10hipError_tT1_PNSt15iterator_traitsISK_E10value_typeET2_T3_PNSL_ISQ_E10value_typeET4_T5_PSV_SW_PNS1_23onesweep_lookback_stateEbbT6_jjT7_P12ihipStream_tbENKUlT_T0_SK_SP_E_clISD_PbSF_PiEEDaS13_S14_SK_SP_EUlS13_E_NS1_11comp_targetILNS1_3genE10ELNS1_11target_archE1201ELNS1_3gpuE5ELNS1_3repE0EEENS1_47radix_sort_onesweep_sort_config_static_selectorELNS0_4arch9wavefront6targetE1EEEvSK_.uses_vcc, 0
	.set _ZN7rocprim17ROCPRIM_400000_NS6detail17trampoline_kernelINS0_14default_configENS1_35radix_sort_onesweep_config_selectorIbiEEZZNS1_29radix_sort_onesweep_iterationIS3_Lb0EN6thrust23THRUST_200600_302600_NS6detail15normal_iteratorINS8_10device_ptrIbEEEESD_NSA_INSB_IiEEEESF_jNS0_19identity_decomposerENS1_16block_id_wrapperIjLb1EEEEE10hipError_tT1_PNSt15iterator_traitsISK_E10value_typeET2_T3_PNSL_ISQ_E10value_typeET4_T5_PSV_SW_PNS1_23onesweep_lookback_stateEbbT6_jjT7_P12ihipStream_tbENKUlT_T0_SK_SP_E_clISD_PbSF_PiEEDaS13_S14_SK_SP_EUlS13_E_NS1_11comp_targetILNS1_3genE10ELNS1_11target_archE1201ELNS1_3gpuE5ELNS1_3repE0EEENS1_47radix_sort_onesweep_sort_config_static_selectorELNS0_4arch9wavefront6targetE1EEEvSK_.uses_flat_scratch, 0
	.set _ZN7rocprim17ROCPRIM_400000_NS6detail17trampoline_kernelINS0_14default_configENS1_35radix_sort_onesweep_config_selectorIbiEEZZNS1_29radix_sort_onesweep_iterationIS3_Lb0EN6thrust23THRUST_200600_302600_NS6detail15normal_iteratorINS8_10device_ptrIbEEEESD_NSA_INSB_IiEEEESF_jNS0_19identity_decomposerENS1_16block_id_wrapperIjLb1EEEEE10hipError_tT1_PNSt15iterator_traitsISK_E10value_typeET2_T3_PNSL_ISQ_E10value_typeET4_T5_PSV_SW_PNS1_23onesweep_lookback_stateEbbT6_jjT7_P12ihipStream_tbENKUlT_T0_SK_SP_E_clISD_PbSF_PiEEDaS13_S14_SK_SP_EUlS13_E_NS1_11comp_targetILNS1_3genE10ELNS1_11target_archE1201ELNS1_3gpuE5ELNS1_3repE0EEENS1_47radix_sort_onesweep_sort_config_static_selectorELNS0_4arch9wavefront6targetE1EEEvSK_.has_dyn_sized_stack, 0
	.set _ZN7rocprim17ROCPRIM_400000_NS6detail17trampoline_kernelINS0_14default_configENS1_35radix_sort_onesweep_config_selectorIbiEEZZNS1_29radix_sort_onesweep_iterationIS3_Lb0EN6thrust23THRUST_200600_302600_NS6detail15normal_iteratorINS8_10device_ptrIbEEEESD_NSA_INSB_IiEEEESF_jNS0_19identity_decomposerENS1_16block_id_wrapperIjLb1EEEEE10hipError_tT1_PNSt15iterator_traitsISK_E10value_typeET2_T3_PNSL_ISQ_E10value_typeET4_T5_PSV_SW_PNS1_23onesweep_lookback_stateEbbT6_jjT7_P12ihipStream_tbENKUlT_T0_SK_SP_E_clISD_PbSF_PiEEDaS13_S14_SK_SP_EUlS13_E_NS1_11comp_targetILNS1_3genE10ELNS1_11target_archE1201ELNS1_3gpuE5ELNS1_3repE0EEENS1_47radix_sort_onesweep_sort_config_static_selectorELNS0_4arch9wavefront6targetE1EEEvSK_.has_recursion, 0
	.set _ZN7rocprim17ROCPRIM_400000_NS6detail17trampoline_kernelINS0_14default_configENS1_35radix_sort_onesweep_config_selectorIbiEEZZNS1_29radix_sort_onesweep_iterationIS3_Lb0EN6thrust23THRUST_200600_302600_NS6detail15normal_iteratorINS8_10device_ptrIbEEEESD_NSA_INSB_IiEEEESF_jNS0_19identity_decomposerENS1_16block_id_wrapperIjLb1EEEEE10hipError_tT1_PNSt15iterator_traitsISK_E10value_typeET2_T3_PNSL_ISQ_E10value_typeET4_T5_PSV_SW_PNS1_23onesweep_lookback_stateEbbT6_jjT7_P12ihipStream_tbENKUlT_T0_SK_SP_E_clISD_PbSF_PiEEDaS13_S14_SK_SP_EUlS13_E_NS1_11comp_targetILNS1_3genE10ELNS1_11target_archE1201ELNS1_3gpuE5ELNS1_3repE0EEENS1_47radix_sort_onesweep_sort_config_static_selectorELNS0_4arch9wavefront6targetE1EEEvSK_.has_indirect_call, 0
	.section	.AMDGPU.csdata,"",@progbits
; Kernel info:
; codeLenInByte = 0
; TotalNumSgprs: 6
; NumVgprs: 0
; NumAgprs: 0
; TotalNumVgprs: 0
; ScratchSize: 0
; MemoryBound: 0
; FloatMode: 240
; IeeeMode: 1
; LDSByteSize: 0 bytes/workgroup (compile time only)
; SGPRBlocks: 0
; VGPRBlocks: 0
; NumSGPRsForWavesPerEU: 6
; NumVGPRsForWavesPerEU: 1
; AccumOffset: 4
; Occupancy: 8
; WaveLimiterHint : 0
; COMPUTE_PGM_RSRC2:SCRATCH_EN: 0
; COMPUTE_PGM_RSRC2:USER_SGPR: 2
; COMPUTE_PGM_RSRC2:TRAP_HANDLER: 0
; COMPUTE_PGM_RSRC2:TGID_X_EN: 1
; COMPUTE_PGM_RSRC2:TGID_Y_EN: 0
; COMPUTE_PGM_RSRC2:TGID_Z_EN: 0
; COMPUTE_PGM_RSRC2:TIDIG_COMP_CNT: 0
; COMPUTE_PGM_RSRC3_GFX90A:ACCUM_OFFSET: 0
; COMPUTE_PGM_RSRC3_GFX90A:TG_SPLIT: 0
	.section	.text._ZN7rocprim17ROCPRIM_400000_NS6detail17trampoline_kernelINS0_14default_configENS1_35radix_sort_onesweep_config_selectorIbiEEZZNS1_29radix_sort_onesweep_iterationIS3_Lb0EN6thrust23THRUST_200600_302600_NS6detail15normal_iteratorINS8_10device_ptrIbEEEESD_NSA_INSB_IiEEEESF_jNS0_19identity_decomposerENS1_16block_id_wrapperIjLb1EEEEE10hipError_tT1_PNSt15iterator_traitsISK_E10value_typeET2_T3_PNSL_ISQ_E10value_typeET4_T5_PSV_SW_PNS1_23onesweep_lookback_stateEbbT6_jjT7_P12ihipStream_tbENKUlT_T0_SK_SP_E_clISD_PbSF_PiEEDaS13_S14_SK_SP_EUlS13_E_NS1_11comp_targetILNS1_3genE9ELNS1_11target_archE1100ELNS1_3gpuE3ELNS1_3repE0EEENS1_47radix_sort_onesweep_sort_config_static_selectorELNS0_4arch9wavefront6targetE1EEEvSK_,"axG",@progbits,_ZN7rocprim17ROCPRIM_400000_NS6detail17trampoline_kernelINS0_14default_configENS1_35radix_sort_onesweep_config_selectorIbiEEZZNS1_29radix_sort_onesweep_iterationIS3_Lb0EN6thrust23THRUST_200600_302600_NS6detail15normal_iteratorINS8_10device_ptrIbEEEESD_NSA_INSB_IiEEEESF_jNS0_19identity_decomposerENS1_16block_id_wrapperIjLb1EEEEE10hipError_tT1_PNSt15iterator_traitsISK_E10value_typeET2_T3_PNSL_ISQ_E10value_typeET4_T5_PSV_SW_PNS1_23onesweep_lookback_stateEbbT6_jjT7_P12ihipStream_tbENKUlT_T0_SK_SP_E_clISD_PbSF_PiEEDaS13_S14_SK_SP_EUlS13_E_NS1_11comp_targetILNS1_3genE9ELNS1_11target_archE1100ELNS1_3gpuE3ELNS1_3repE0EEENS1_47radix_sort_onesweep_sort_config_static_selectorELNS0_4arch9wavefront6targetE1EEEvSK_,comdat
	.protected	_ZN7rocprim17ROCPRIM_400000_NS6detail17trampoline_kernelINS0_14default_configENS1_35radix_sort_onesweep_config_selectorIbiEEZZNS1_29radix_sort_onesweep_iterationIS3_Lb0EN6thrust23THRUST_200600_302600_NS6detail15normal_iteratorINS8_10device_ptrIbEEEESD_NSA_INSB_IiEEEESF_jNS0_19identity_decomposerENS1_16block_id_wrapperIjLb1EEEEE10hipError_tT1_PNSt15iterator_traitsISK_E10value_typeET2_T3_PNSL_ISQ_E10value_typeET4_T5_PSV_SW_PNS1_23onesweep_lookback_stateEbbT6_jjT7_P12ihipStream_tbENKUlT_T0_SK_SP_E_clISD_PbSF_PiEEDaS13_S14_SK_SP_EUlS13_E_NS1_11comp_targetILNS1_3genE9ELNS1_11target_archE1100ELNS1_3gpuE3ELNS1_3repE0EEENS1_47radix_sort_onesweep_sort_config_static_selectorELNS0_4arch9wavefront6targetE1EEEvSK_ ; -- Begin function _ZN7rocprim17ROCPRIM_400000_NS6detail17trampoline_kernelINS0_14default_configENS1_35radix_sort_onesweep_config_selectorIbiEEZZNS1_29radix_sort_onesweep_iterationIS3_Lb0EN6thrust23THRUST_200600_302600_NS6detail15normal_iteratorINS8_10device_ptrIbEEEESD_NSA_INSB_IiEEEESF_jNS0_19identity_decomposerENS1_16block_id_wrapperIjLb1EEEEE10hipError_tT1_PNSt15iterator_traitsISK_E10value_typeET2_T3_PNSL_ISQ_E10value_typeET4_T5_PSV_SW_PNS1_23onesweep_lookback_stateEbbT6_jjT7_P12ihipStream_tbENKUlT_T0_SK_SP_E_clISD_PbSF_PiEEDaS13_S14_SK_SP_EUlS13_E_NS1_11comp_targetILNS1_3genE9ELNS1_11target_archE1100ELNS1_3gpuE3ELNS1_3repE0EEENS1_47radix_sort_onesweep_sort_config_static_selectorELNS0_4arch9wavefront6targetE1EEEvSK_
	.globl	_ZN7rocprim17ROCPRIM_400000_NS6detail17trampoline_kernelINS0_14default_configENS1_35radix_sort_onesweep_config_selectorIbiEEZZNS1_29radix_sort_onesweep_iterationIS3_Lb0EN6thrust23THRUST_200600_302600_NS6detail15normal_iteratorINS8_10device_ptrIbEEEESD_NSA_INSB_IiEEEESF_jNS0_19identity_decomposerENS1_16block_id_wrapperIjLb1EEEEE10hipError_tT1_PNSt15iterator_traitsISK_E10value_typeET2_T3_PNSL_ISQ_E10value_typeET4_T5_PSV_SW_PNS1_23onesweep_lookback_stateEbbT6_jjT7_P12ihipStream_tbENKUlT_T0_SK_SP_E_clISD_PbSF_PiEEDaS13_S14_SK_SP_EUlS13_E_NS1_11comp_targetILNS1_3genE9ELNS1_11target_archE1100ELNS1_3gpuE3ELNS1_3repE0EEENS1_47radix_sort_onesweep_sort_config_static_selectorELNS0_4arch9wavefront6targetE1EEEvSK_
	.p2align	8
	.type	_ZN7rocprim17ROCPRIM_400000_NS6detail17trampoline_kernelINS0_14default_configENS1_35radix_sort_onesweep_config_selectorIbiEEZZNS1_29radix_sort_onesweep_iterationIS3_Lb0EN6thrust23THRUST_200600_302600_NS6detail15normal_iteratorINS8_10device_ptrIbEEEESD_NSA_INSB_IiEEEESF_jNS0_19identity_decomposerENS1_16block_id_wrapperIjLb1EEEEE10hipError_tT1_PNSt15iterator_traitsISK_E10value_typeET2_T3_PNSL_ISQ_E10value_typeET4_T5_PSV_SW_PNS1_23onesweep_lookback_stateEbbT6_jjT7_P12ihipStream_tbENKUlT_T0_SK_SP_E_clISD_PbSF_PiEEDaS13_S14_SK_SP_EUlS13_E_NS1_11comp_targetILNS1_3genE9ELNS1_11target_archE1100ELNS1_3gpuE3ELNS1_3repE0EEENS1_47radix_sort_onesweep_sort_config_static_selectorELNS0_4arch9wavefront6targetE1EEEvSK_,@function
_ZN7rocprim17ROCPRIM_400000_NS6detail17trampoline_kernelINS0_14default_configENS1_35radix_sort_onesweep_config_selectorIbiEEZZNS1_29radix_sort_onesweep_iterationIS3_Lb0EN6thrust23THRUST_200600_302600_NS6detail15normal_iteratorINS8_10device_ptrIbEEEESD_NSA_INSB_IiEEEESF_jNS0_19identity_decomposerENS1_16block_id_wrapperIjLb1EEEEE10hipError_tT1_PNSt15iterator_traitsISK_E10value_typeET2_T3_PNSL_ISQ_E10value_typeET4_T5_PSV_SW_PNS1_23onesweep_lookback_stateEbbT6_jjT7_P12ihipStream_tbENKUlT_T0_SK_SP_E_clISD_PbSF_PiEEDaS13_S14_SK_SP_EUlS13_E_NS1_11comp_targetILNS1_3genE9ELNS1_11target_archE1100ELNS1_3gpuE3ELNS1_3repE0EEENS1_47radix_sort_onesweep_sort_config_static_selectorELNS0_4arch9wavefront6targetE1EEEvSK_: ; @_ZN7rocprim17ROCPRIM_400000_NS6detail17trampoline_kernelINS0_14default_configENS1_35radix_sort_onesweep_config_selectorIbiEEZZNS1_29radix_sort_onesweep_iterationIS3_Lb0EN6thrust23THRUST_200600_302600_NS6detail15normal_iteratorINS8_10device_ptrIbEEEESD_NSA_INSB_IiEEEESF_jNS0_19identity_decomposerENS1_16block_id_wrapperIjLb1EEEEE10hipError_tT1_PNSt15iterator_traitsISK_E10value_typeET2_T3_PNSL_ISQ_E10value_typeET4_T5_PSV_SW_PNS1_23onesweep_lookback_stateEbbT6_jjT7_P12ihipStream_tbENKUlT_T0_SK_SP_E_clISD_PbSF_PiEEDaS13_S14_SK_SP_EUlS13_E_NS1_11comp_targetILNS1_3genE9ELNS1_11target_archE1100ELNS1_3gpuE3ELNS1_3repE0EEENS1_47radix_sort_onesweep_sort_config_static_selectorELNS0_4arch9wavefront6targetE1EEEvSK_
; %bb.0:
	.section	.rodata,"a",@progbits
	.p2align	6, 0x0
	.amdhsa_kernel _ZN7rocprim17ROCPRIM_400000_NS6detail17trampoline_kernelINS0_14default_configENS1_35radix_sort_onesweep_config_selectorIbiEEZZNS1_29radix_sort_onesweep_iterationIS3_Lb0EN6thrust23THRUST_200600_302600_NS6detail15normal_iteratorINS8_10device_ptrIbEEEESD_NSA_INSB_IiEEEESF_jNS0_19identity_decomposerENS1_16block_id_wrapperIjLb1EEEEE10hipError_tT1_PNSt15iterator_traitsISK_E10value_typeET2_T3_PNSL_ISQ_E10value_typeET4_T5_PSV_SW_PNS1_23onesweep_lookback_stateEbbT6_jjT7_P12ihipStream_tbENKUlT_T0_SK_SP_E_clISD_PbSF_PiEEDaS13_S14_SK_SP_EUlS13_E_NS1_11comp_targetILNS1_3genE9ELNS1_11target_archE1100ELNS1_3gpuE3ELNS1_3repE0EEENS1_47radix_sort_onesweep_sort_config_static_selectorELNS0_4arch9wavefront6targetE1EEEvSK_
		.amdhsa_group_segment_fixed_size 0
		.amdhsa_private_segment_fixed_size 0
		.amdhsa_kernarg_size 88
		.amdhsa_user_sgpr_count 2
		.amdhsa_user_sgpr_dispatch_ptr 0
		.amdhsa_user_sgpr_queue_ptr 0
		.amdhsa_user_sgpr_kernarg_segment_ptr 1
		.amdhsa_user_sgpr_dispatch_id 0
		.amdhsa_user_sgpr_kernarg_preload_length 0
		.amdhsa_user_sgpr_kernarg_preload_offset 0
		.amdhsa_user_sgpr_private_segment_size 0
		.amdhsa_uses_dynamic_stack 0
		.amdhsa_enable_private_segment 0
		.amdhsa_system_sgpr_workgroup_id_x 1
		.amdhsa_system_sgpr_workgroup_id_y 0
		.amdhsa_system_sgpr_workgroup_id_z 0
		.amdhsa_system_sgpr_workgroup_info 0
		.amdhsa_system_vgpr_workitem_id 0
		.amdhsa_next_free_vgpr 1
		.amdhsa_next_free_sgpr 0
		.amdhsa_accum_offset 4
		.amdhsa_reserve_vcc 0
		.amdhsa_float_round_mode_32 0
		.amdhsa_float_round_mode_16_64 0
		.amdhsa_float_denorm_mode_32 3
		.amdhsa_float_denorm_mode_16_64 3
		.amdhsa_dx10_clamp 1
		.amdhsa_ieee_mode 1
		.amdhsa_fp16_overflow 0
		.amdhsa_tg_split 0
		.amdhsa_exception_fp_ieee_invalid_op 0
		.amdhsa_exception_fp_denorm_src 0
		.amdhsa_exception_fp_ieee_div_zero 0
		.amdhsa_exception_fp_ieee_overflow 0
		.amdhsa_exception_fp_ieee_underflow 0
		.amdhsa_exception_fp_ieee_inexact 0
		.amdhsa_exception_int_div_zero 0
	.end_amdhsa_kernel
	.section	.text._ZN7rocprim17ROCPRIM_400000_NS6detail17trampoline_kernelINS0_14default_configENS1_35radix_sort_onesweep_config_selectorIbiEEZZNS1_29radix_sort_onesweep_iterationIS3_Lb0EN6thrust23THRUST_200600_302600_NS6detail15normal_iteratorINS8_10device_ptrIbEEEESD_NSA_INSB_IiEEEESF_jNS0_19identity_decomposerENS1_16block_id_wrapperIjLb1EEEEE10hipError_tT1_PNSt15iterator_traitsISK_E10value_typeET2_T3_PNSL_ISQ_E10value_typeET4_T5_PSV_SW_PNS1_23onesweep_lookback_stateEbbT6_jjT7_P12ihipStream_tbENKUlT_T0_SK_SP_E_clISD_PbSF_PiEEDaS13_S14_SK_SP_EUlS13_E_NS1_11comp_targetILNS1_3genE9ELNS1_11target_archE1100ELNS1_3gpuE3ELNS1_3repE0EEENS1_47radix_sort_onesweep_sort_config_static_selectorELNS0_4arch9wavefront6targetE1EEEvSK_,"axG",@progbits,_ZN7rocprim17ROCPRIM_400000_NS6detail17trampoline_kernelINS0_14default_configENS1_35radix_sort_onesweep_config_selectorIbiEEZZNS1_29radix_sort_onesweep_iterationIS3_Lb0EN6thrust23THRUST_200600_302600_NS6detail15normal_iteratorINS8_10device_ptrIbEEEESD_NSA_INSB_IiEEEESF_jNS0_19identity_decomposerENS1_16block_id_wrapperIjLb1EEEEE10hipError_tT1_PNSt15iterator_traitsISK_E10value_typeET2_T3_PNSL_ISQ_E10value_typeET4_T5_PSV_SW_PNS1_23onesweep_lookback_stateEbbT6_jjT7_P12ihipStream_tbENKUlT_T0_SK_SP_E_clISD_PbSF_PiEEDaS13_S14_SK_SP_EUlS13_E_NS1_11comp_targetILNS1_3genE9ELNS1_11target_archE1100ELNS1_3gpuE3ELNS1_3repE0EEENS1_47radix_sort_onesweep_sort_config_static_selectorELNS0_4arch9wavefront6targetE1EEEvSK_,comdat
.Lfunc_end2057:
	.size	_ZN7rocprim17ROCPRIM_400000_NS6detail17trampoline_kernelINS0_14default_configENS1_35radix_sort_onesweep_config_selectorIbiEEZZNS1_29radix_sort_onesweep_iterationIS3_Lb0EN6thrust23THRUST_200600_302600_NS6detail15normal_iteratorINS8_10device_ptrIbEEEESD_NSA_INSB_IiEEEESF_jNS0_19identity_decomposerENS1_16block_id_wrapperIjLb1EEEEE10hipError_tT1_PNSt15iterator_traitsISK_E10value_typeET2_T3_PNSL_ISQ_E10value_typeET4_T5_PSV_SW_PNS1_23onesweep_lookback_stateEbbT6_jjT7_P12ihipStream_tbENKUlT_T0_SK_SP_E_clISD_PbSF_PiEEDaS13_S14_SK_SP_EUlS13_E_NS1_11comp_targetILNS1_3genE9ELNS1_11target_archE1100ELNS1_3gpuE3ELNS1_3repE0EEENS1_47radix_sort_onesweep_sort_config_static_selectorELNS0_4arch9wavefront6targetE1EEEvSK_, .Lfunc_end2057-_ZN7rocprim17ROCPRIM_400000_NS6detail17trampoline_kernelINS0_14default_configENS1_35radix_sort_onesweep_config_selectorIbiEEZZNS1_29radix_sort_onesweep_iterationIS3_Lb0EN6thrust23THRUST_200600_302600_NS6detail15normal_iteratorINS8_10device_ptrIbEEEESD_NSA_INSB_IiEEEESF_jNS0_19identity_decomposerENS1_16block_id_wrapperIjLb1EEEEE10hipError_tT1_PNSt15iterator_traitsISK_E10value_typeET2_T3_PNSL_ISQ_E10value_typeET4_T5_PSV_SW_PNS1_23onesweep_lookback_stateEbbT6_jjT7_P12ihipStream_tbENKUlT_T0_SK_SP_E_clISD_PbSF_PiEEDaS13_S14_SK_SP_EUlS13_E_NS1_11comp_targetILNS1_3genE9ELNS1_11target_archE1100ELNS1_3gpuE3ELNS1_3repE0EEENS1_47radix_sort_onesweep_sort_config_static_selectorELNS0_4arch9wavefront6targetE1EEEvSK_
                                        ; -- End function
	.set _ZN7rocprim17ROCPRIM_400000_NS6detail17trampoline_kernelINS0_14default_configENS1_35radix_sort_onesweep_config_selectorIbiEEZZNS1_29radix_sort_onesweep_iterationIS3_Lb0EN6thrust23THRUST_200600_302600_NS6detail15normal_iteratorINS8_10device_ptrIbEEEESD_NSA_INSB_IiEEEESF_jNS0_19identity_decomposerENS1_16block_id_wrapperIjLb1EEEEE10hipError_tT1_PNSt15iterator_traitsISK_E10value_typeET2_T3_PNSL_ISQ_E10value_typeET4_T5_PSV_SW_PNS1_23onesweep_lookback_stateEbbT6_jjT7_P12ihipStream_tbENKUlT_T0_SK_SP_E_clISD_PbSF_PiEEDaS13_S14_SK_SP_EUlS13_E_NS1_11comp_targetILNS1_3genE9ELNS1_11target_archE1100ELNS1_3gpuE3ELNS1_3repE0EEENS1_47radix_sort_onesweep_sort_config_static_selectorELNS0_4arch9wavefront6targetE1EEEvSK_.num_vgpr, 0
	.set _ZN7rocprim17ROCPRIM_400000_NS6detail17trampoline_kernelINS0_14default_configENS1_35radix_sort_onesweep_config_selectorIbiEEZZNS1_29radix_sort_onesweep_iterationIS3_Lb0EN6thrust23THRUST_200600_302600_NS6detail15normal_iteratorINS8_10device_ptrIbEEEESD_NSA_INSB_IiEEEESF_jNS0_19identity_decomposerENS1_16block_id_wrapperIjLb1EEEEE10hipError_tT1_PNSt15iterator_traitsISK_E10value_typeET2_T3_PNSL_ISQ_E10value_typeET4_T5_PSV_SW_PNS1_23onesweep_lookback_stateEbbT6_jjT7_P12ihipStream_tbENKUlT_T0_SK_SP_E_clISD_PbSF_PiEEDaS13_S14_SK_SP_EUlS13_E_NS1_11comp_targetILNS1_3genE9ELNS1_11target_archE1100ELNS1_3gpuE3ELNS1_3repE0EEENS1_47radix_sort_onesweep_sort_config_static_selectorELNS0_4arch9wavefront6targetE1EEEvSK_.num_agpr, 0
	.set _ZN7rocprim17ROCPRIM_400000_NS6detail17trampoline_kernelINS0_14default_configENS1_35radix_sort_onesweep_config_selectorIbiEEZZNS1_29radix_sort_onesweep_iterationIS3_Lb0EN6thrust23THRUST_200600_302600_NS6detail15normal_iteratorINS8_10device_ptrIbEEEESD_NSA_INSB_IiEEEESF_jNS0_19identity_decomposerENS1_16block_id_wrapperIjLb1EEEEE10hipError_tT1_PNSt15iterator_traitsISK_E10value_typeET2_T3_PNSL_ISQ_E10value_typeET4_T5_PSV_SW_PNS1_23onesweep_lookback_stateEbbT6_jjT7_P12ihipStream_tbENKUlT_T0_SK_SP_E_clISD_PbSF_PiEEDaS13_S14_SK_SP_EUlS13_E_NS1_11comp_targetILNS1_3genE9ELNS1_11target_archE1100ELNS1_3gpuE3ELNS1_3repE0EEENS1_47radix_sort_onesweep_sort_config_static_selectorELNS0_4arch9wavefront6targetE1EEEvSK_.numbered_sgpr, 0
	.set _ZN7rocprim17ROCPRIM_400000_NS6detail17trampoline_kernelINS0_14default_configENS1_35radix_sort_onesweep_config_selectorIbiEEZZNS1_29radix_sort_onesweep_iterationIS3_Lb0EN6thrust23THRUST_200600_302600_NS6detail15normal_iteratorINS8_10device_ptrIbEEEESD_NSA_INSB_IiEEEESF_jNS0_19identity_decomposerENS1_16block_id_wrapperIjLb1EEEEE10hipError_tT1_PNSt15iterator_traitsISK_E10value_typeET2_T3_PNSL_ISQ_E10value_typeET4_T5_PSV_SW_PNS1_23onesweep_lookback_stateEbbT6_jjT7_P12ihipStream_tbENKUlT_T0_SK_SP_E_clISD_PbSF_PiEEDaS13_S14_SK_SP_EUlS13_E_NS1_11comp_targetILNS1_3genE9ELNS1_11target_archE1100ELNS1_3gpuE3ELNS1_3repE0EEENS1_47radix_sort_onesweep_sort_config_static_selectorELNS0_4arch9wavefront6targetE1EEEvSK_.num_named_barrier, 0
	.set _ZN7rocprim17ROCPRIM_400000_NS6detail17trampoline_kernelINS0_14default_configENS1_35radix_sort_onesweep_config_selectorIbiEEZZNS1_29radix_sort_onesweep_iterationIS3_Lb0EN6thrust23THRUST_200600_302600_NS6detail15normal_iteratorINS8_10device_ptrIbEEEESD_NSA_INSB_IiEEEESF_jNS0_19identity_decomposerENS1_16block_id_wrapperIjLb1EEEEE10hipError_tT1_PNSt15iterator_traitsISK_E10value_typeET2_T3_PNSL_ISQ_E10value_typeET4_T5_PSV_SW_PNS1_23onesweep_lookback_stateEbbT6_jjT7_P12ihipStream_tbENKUlT_T0_SK_SP_E_clISD_PbSF_PiEEDaS13_S14_SK_SP_EUlS13_E_NS1_11comp_targetILNS1_3genE9ELNS1_11target_archE1100ELNS1_3gpuE3ELNS1_3repE0EEENS1_47radix_sort_onesweep_sort_config_static_selectorELNS0_4arch9wavefront6targetE1EEEvSK_.private_seg_size, 0
	.set _ZN7rocprim17ROCPRIM_400000_NS6detail17trampoline_kernelINS0_14default_configENS1_35radix_sort_onesweep_config_selectorIbiEEZZNS1_29radix_sort_onesweep_iterationIS3_Lb0EN6thrust23THRUST_200600_302600_NS6detail15normal_iteratorINS8_10device_ptrIbEEEESD_NSA_INSB_IiEEEESF_jNS0_19identity_decomposerENS1_16block_id_wrapperIjLb1EEEEE10hipError_tT1_PNSt15iterator_traitsISK_E10value_typeET2_T3_PNSL_ISQ_E10value_typeET4_T5_PSV_SW_PNS1_23onesweep_lookback_stateEbbT6_jjT7_P12ihipStream_tbENKUlT_T0_SK_SP_E_clISD_PbSF_PiEEDaS13_S14_SK_SP_EUlS13_E_NS1_11comp_targetILNS1_3genE9ELNS1_11target_archE1100ELNS1_3gpuE3ELNS1_3repE0EEENS1_47radix_sort_onesweep_sort_config_static_selectorELNS0_4arch9wavefront6targetE1EEEvSK_.uses_vcc, 0
	.set _ZN7rocprim17ROCPRIM_400000_NS6detail17trampoline_kernelINS0_14default_configENS1_35radix_sort_onesweep_config_selectorIbiEEZZNS1_29radix_sort_onesweep_iterationIS3_Lb0EN6thrust23THRUST_200600_302600_NS6detail15normal_iteratorINS8_10device_ptrIbEEEESD_NSA_INSB_IiEEEESF_jNS0_19identity_decomposerENS1_16block_id_wrapperIjLb1EEEEE10hipError_tT1_PNSt15iterator_traitsISK_E10value_typeET2_T3_PNSL_ISQ_E10value_typeET4_T5_PSV_SW_PNS1_23onesweep_lookback_stateEbbT6_jjT7_P12ihipStream_tbENKUlT_T0_SK_SP_E_clISD_PbSF_PiEEDaS13_S14_SK_SP_EUlS13_E_NS1_11comp_targetILNS1_3genE9ELNS1_11target_archE1100ELNS1_3gpuE3ELNS1_3repE0EEENS1_47radix_sort_onesweep_sort_config_static_selectorELNS0_4arch9wavefront6targetE1EEEvSK_.uses_flat_scratch, 0
	.set _ZN7rocprim17ROCPRIM_400000_NS6detail17trampoline_kernelINS0_14default_configENS1_35radix_sort_onesweep_config_selectorIbiEEZZNS1_29radix_sort_onesweep_iterationIS3_Lb0EN6thrust23THRUST_200600_302600_NS6detail15normal_iteratorINS8_10device_ptrIbEEEESD_NSA_INSB_IiEEEESF_jNS0_19identity_decomposerENS1_16block_id_wrapperIjLb1EEEEE10hipError_tT1_PNSt15iterator_traitsISK_E10value_typeET2_T3_PNSL_ISQ_E10value_typeET4_T5_PSV_SW_PNS1_23onesweep_lookback_stateEbbT6_jjT7_P12ihipStream_tbENKUlT_T0_SK_SP_E_clISD_PbSF_PiEEDaS13_S14_SK_SP_EUlS13_E_NS1_11comp_targetILNS1_3genE9ELNS1_11target_archE1100ELNS1_3gpuE3ELNS1_3repE0EEENS1_47radix_sort_onesweep_sort_config_static_selectorELNS0_4arch9wavefront6targetE1EEEvSK_.has_dyn_sized_stack, 0
	.set _ZN7rocprim17ROCPRIM_400000_NS6detail17trampoline_kernelINS0_14default_configENS1_35radix_sort_onesweep_config_selectorIbiEEZZNS1_29radix_sort_onesweep_iterationIS3_Lb0EN6thrust23THRUST_200600_302600_NS6detail15normal_iteratorINS8_10device_ptrIbEEEESD_NSA_INSB_IiEEEESF_jNS0_19identity_decomposerENS1_16block_id_wrapperIjLb1EEEEE10hipError_tT1_PNSt15iterator_traitsISK_E10value_typeET2_T3_PNSL_ISQ_E10value_typeET4_T5_PSV_SW_PNS1_23onesweep_lookback_stateEbbT6_jjT7_P12ihipStream_tbENKUlT_T0_SK_SP_E_clISD_PbSF_PiEEDaS13_S14_SK_SP_EUlS13_E_NS1_11comp_targetILNS1_3genE9ELNS1_11target_archE1100ELNS1_3gpuE3ELNS1_3repE0EEENS1_47radix_sort_onesweep_sort_config_static_selectorELNS0_4arch9wavefront6targetE1EEEvSK_.has_recursion, 0
	.set _ZN7rocprim17ROCPRIM_400000_NS6detail17trampoline_kernelINS0_14default_configENS1_35radix_sort_onesweep_config_selectorIbiEEZZNS1_29radix_sort_onesweep_iterationIS3_Lb0EN6thrust23THRUST_200600_302600_NS6detail15normal_iteratorINS8_10device_ptrIbEEEESD_NSA_INSB_IiEEEESF_jNS0_19identity_decomposerENS1_16block_id_wrapperIjLb1EEEEE10hipError_tT1_PNSt15iterator_traitsISK_E10value_typeET2_T3_PNSL_ISQ_E10value_typeET4_T5_PSV_SW_PNS1_23onesweep_lookback_stateEbbT6_jjT7_P12ihipStream_tbENKUlT_T0_SK_SP_E_clISD_PbSF_PiEEDaS13_S14_SK_SP_EUlS13_E_NS1_11comp_targetILNS1_3genE9ELNS1_11target_archE1100ELNS1_3gpuE3ELNS1_3repE0EEENS1_47radix_sort_onesweep_sort_config_static_selectorELNS0_4arch9wavefront6targetE1EEEvSK_.has_indirect_call, 0
	.section	.AMDGPU.csdata,"",@progbits
; Kernel info:
; codeLenInByte = 0
; TotalNumSgprs: 6
; NumVgprs: 0
; NumAgprs: 0
; TotalNumVgprs: 0
; ScratchSize: 0
; MemoryBound: 0
; FloatMode: 240
; IeeeMode: 1
; LDSByteSize: 0 bytes/workgroup (compile time only)
; SGPRBlocks: 0
; VGPRBlocks: 0
; NumSGPRsForWavesPerEU: 6
; NumVGPRsForWavesPerEU: 1
; AccumOffset: 4
; Occupancy: 8
; WaveLimiterHint : 0
; COMPUTE_PGM_RSRC2:SCRATCH_EN: 0
; COMPUTE_PGM_RSRC2:USER_SGPR: 2
; COMPUTE_PGM_RSRC2:TRAP_HANDLER: 0
; COMPUTE_PGM_RSRC2:TGID_X_EN: 1
; COMPUTE_PGM_RSRC2:TGID_Y_EN: 0
; COMPUTE_PGM_RSRC2:TGID_Z_EN: 0
; COMPUTE_PGM_RSRC2:TIDIG_COMP_CNT: 0
; COMPUTE_PGM_RSRC3_GFX90A:ACCUM_OFFSET: 0
; COMPUTE_PGM_RSRC3_GFX90A:TG_SPLIT: 0
	.section	.text._ZN7rocprim17ROCPRIM_400000_NS6detail17trampoline_kernelINS0_14default_configENS1_35radix_sort_onesweep_config_selectorIbiEEZZNS1_29radix_sort_onesweep_iterationIS3_Lb0EN6thrust23THRUST_200600_302600_NS6detail15normal_iteratorINS8_10device_ptrIbEEEESD_NSA_INSB_IiEEEESF_jNS0_19identity_decomposerENS1_16block_id_wrapperIjLb1EEEEE10hipError_tT1_PNSt15iterator_traitsISK_E10value_typeET2_T3_PNSL_ISQ_E10value_typeET4_T5_PSV_SW_PNS1_23onesweep_lookback_stateEbbT6_jjT7_P12ihipStream_tbENKUlT_T0_SK_SP_E_clISD_PbSF_PiEEDaS13_S14_SK_SP_EUlS13_E_NS1_11comp_targetILNS1_3genE8ELNS1_11target_archE1030ELNS1_3gpuE2ELNS1_3repE0EEENS1_47radix_sort_onesweep_sort_config_static_selectorELNS0_4arch9wavefront6targetE1EEEvSK_,"axG",@progbits,_ZN7rocprim17ROCPRIM_400000_NS6detail17trampoline_kernelINS0_14default_configENS1_35radix_sort_onesweep_config_selectorIbiEEZZNS1_29radix_sort_onesweep_iterationIS3_Lb0EN6thrust23THRUST_200600_302600_NS6detail15normal_iteratorINS8_10device_ptrIbEEEESD_NSA_INSB_IiEEEESF_jNS0_19identity_decomposerENS1_16block_id_wrapperIjLb1EEEEE10hipError_tT1_PNSt15iterator_traitsISK_E10value_typeET2_T3_PNSL_ISQ_E10value_typeET4_T5_PSV_SW_PNS1_23onesweep_lookback_stateEbbT6_jjT7_P12ihipStream_tbENKUlT_T0_SK_SP_E_clISD_PbSF_PiEEDaS13_S14_SK_SP_EUlS13_E_NS1_11comp_targetILNS1_3genE8ELNS1_11target_archE1030ELNS1_3gpuE2ELNS1_3repE0EEENS1_47radix_sort_onesweep_sort_config_static_selectorELNS0_4arch9wavefront6targetE1EEEvSK_,comdat
	.protected	_ZN7rocprim17ROCPRIM_400000_NS6detail17trampoline_kernelINS0_14default_configENS1_35radix_sort_onesweep_config_selectorIbiEEZZNS1_29radix_sort_onesweep_iterationIS3_Lb0EN6thrust23THRUST_200600_302600_NS6detail15normal_iteratorINS8_10device_ptrIbEEEESD_NSA_INSB_IiEEEESF_jNS0_19identity_decomposerENS1_16block_id_wrapperIjLb1EEEEE10hipError_tT1_PNSt15iterator_traitsISK_E10value_typeET2_T3_PNSL_ISQ_E10value_typeET4_T5_PSV_SW_PNS1_23onesweep_lookback_stateEbbT6_jjT7_P12ihipStream_tbENKUlT_T0_SK_SP_E_clISD_PbSF_PiEEDaS13_S14_SK_SP_EUlS13_E_NS1_11comp_targetILNS1_3genE8ELNS1_11target_archE1030ELNS1_3gpuE2ELNS1_3repE0EEENS1_47radix_sort_onesweep_sort_config_static_selectorELNS0_4arch9wavefront6targetE1EEEvSK_ ; -- Begin function _ZN7rocprim17ROCPRIM_400000_NS6detail17trampoline_kernelINS0_14default_configENS1_35radix_sort_onesweep_config_selectorIbiEEZZNS1_29radix_sort_onesweep_iterationIS3_Lb0EN6thrust23THRUST_200600_302600_NS6detail15normal_iteratorINS8_10device_ptrIbEEEESD_NSA_INSB_IiEEEESF_jNS0_19identity_decomposerENS1_16block_id_wrapperIjLb1EEEEE10hipError_tT1_PNSt15iterator_traitsISK_E10value_typeET2_T3_PNSL_ISQ_E10value_typeET4_T5_PSV_SW_PNS1_23onesweep_lookback_stateEbbT6_jjT7_P12ihipStream_tbENKUlT_T0_SK_SP_E_clISD_PbSF_PiEEDaS13_S14_SK_SP_EUlS13_E_NS1_11comp_targetILNS1_3genE8ELNS1_11target_archE1030ELNS1_3gpuE2ELNS1_3repE0EEENS1_47radix_sort_onesweep_sort_config_static_selectorELNS0_4arch9wavefront6targetE1EEEvSK_
	.globl	_ZN7rocprim17ROCPRIM_400000_NS6detail17trampoline_kernelINS0_14default_configENS1_35radix_sort_onesweep_config_selectorIbiEEZZNS1_29radix_sort_onesweep_iterationIS3_Lb0EN6thrust23THRUST_200600_302600_NS6detail15normal_iteratorINS8_10device_ptrIbEEEESD_NSA_INSB_IiEEEESF_jNS0_19identity_decomposerENS1_16block_id_wrapperIjLb1EEEEE10hipError_tT1_PNSt15iterator_traitsISK_E10value_typeET2_T3_PNSL_ISQ_E10value_typeET4_T5_PSV_SW_PNS1_23onesweep_lookback_stateEbbT6_jjT7_P12ihipStream_tbENKUlT_T0_SK_SP_E_clISD_PbSF_PiEEDaS13_S14_SK_SP_EUlS13_E_NS1_11comp_targetILNS1_3genE8ELNS1_11target_archE1030ELNS1_3gpuE2ELNS1_3repE0EEENS1_47radix_sort_onesweep_sort_config_static_selectorELNS0_4arch9wavefront6targetE1EEEvSK_
	.p2align	8
	.type	_ZN7rocprim17ROCPRIM_400000_NS6detail17trampoline_kernelINS0_14default_configENS1_35radix_sort_onesweep_config_selectorIbiEEZZNS1_29radix_sort_onesweep_iterationIS3_Lb0EN6thrust23THRUST_200600_302600_NS6detail15normal_iteratorINS8_10device_ptrIbEEEESD_NSA_INSB_IiEEEESF_jNS0_19identity_decomposerENS1_16block_id_wrapperIjLb1EEEEE10hipError_tT1_PNSt15iterator_traitsISK_E10value_typeET2_T3_PNSL_ISQ_E10value_typeET4_T5_PSV_SW_PNS1_23onesweep_lookback_stateEbbT6_jjT7_P12ihipStream_tbENKUlT_T0_SK_SP_E_clISD_PbSF_PiEEDaS13_S14_SK_SP_EUlS13_E_NS1_11comp_targetILNS1_3genE8ELNS1_11target_archE1030ELNS1_3gpuE2ELNS1_3repE0EEENS1_47radix_sort_onesweep_sort_config_static_selectorELNS0_4arch9wavefront6targetE1EEEvSK_,@function
_ZN7rocprim17ROCPRIM_400000_NS6detail17trampoline_kernelINS0_14default_configENS1_35radix_sort_onesweep_config_selectorIbiEEZZNS1_29radix_sort_onesweep_iterationIS3_Lb0EN6thrust23THRUST_200600_302600_NS6detail15normal_iteratorINS8_10device_ptrIbEEEESD_NSA_INSB_IiEEEESF_jNS0_19identity_decomposerENS1_16block_id_wrapperIjLb1EEEEE10hipError_tT1_PNSt15iterator_traitsISK_E10value_typeET2_T3_PNSL_ISQ_E10value_typeET4_T5_PSV_SW_PNS1_23onesweep_lookback_stateEbbT6_jjT7_P12ihipStream_tbENKUlT_T0_SK_SP_E_clISD_PbSF_PiEEDaS13_S14_SK_SP_EUlS13_E_NS1_11comp_targetILNS1_3genE8ELNS1_11target_archE1030ELNS1_3gpuE2ELNS1_3repE0EEENS1_47radix_sort_onesweep_sort_config_static_selectorELNS0_4arch9wavefront6targetE1EEEvSK_: ; @_ZN7rocprim17ROCPRIM_400000_NS6detail17trampoline_kernelINS0_14default_configENS1_35radix_sort_onesweep_config_selectorIbiEEZZNS1_29radix_sort_onesweep_iterationIS3_Lb0EN6thrust23THRUST_200600_302600_NS6detail15normal_iteratorINS8_10device_ptrIbEEEESD_NSA_INSB_IiEEEESF_jNS0_19identity_decomposerENS1_16block_id_wrapperIjLb1EEEEE10hipError_tT1_PNSt15iterator_traitsISK_E10value_typeET2_T3_PNSL_ISQ_E10value_typeET4_T5_PSV_SW_PNS1_23onesweep_lookback_stateEbbT6_jjT7_P12ihipStream_tbENKUlT_T0_SK_SP_E_clISD_PbSF_PiEEDaS13_S14_SK_SP_EUlS13_E_NS1_11comp_targetILNS1_3genE8ELNS1_11target_archE1030ELNS1_3gpuE2ELNS1_3repE0EEENS1_47radix_sort_onesweep_sort_config_static_selectorELNS0_4arch9wavefront6targetE1EEEvSK_
; %bb.0:
	.section	.rodata,"a",@progbits
	.p2align	6, 0x0
	.amdhsa_kernel _ZN7rocprim17ROCPRIM_400000_NS6detail17trampoline_kernelINS0_14default_configENS1_35radix_sort_onesweep_config_selectorIbiEEZZNS1_29radix_sort_onesweep_iterationIS3_Lb0EN6thrust23THRUST_200600_302600_NS6detail15normal_iteratorINS8_10device_ptrIbEEEESD_NSA_INSB_IiEEEESF_jNS0_19identity_decomposerENS1_16block_id_wrapperIjLb1EEEEE10hipError_tT1_PNSt15iterator_traitsISK_E10value_typeET2_T3_PNSL_ISQ_E10value_typeET4_T5_PSV_SW_PNS1_23onesweep_lookback_stateEbbT6_jjT7_P12ihipStream_tbENKUlT_T0_SK_SP_E_clISD_PbSF_PiEEDaS13_S14_SK_SP_EUlS13_E_NS1_11comp_targetILNS1_3genE8ELNS1_11target_archE1030ELNS1_3gpuE2ELNS1_3repE0EEENS1_47radix_sort_onesweep_sort_config_static_selectorELNS0_4arch9wavefront6targetE1EEEvSK_
		.amdhsa_group_segment_fixed_size 0
		.amdhsa_private_segment_fixed_size 0
		.amdhsa_kernarg_size 88
		.amdhsa_user_sgpr_count 2
		.amdhsa_user_sgpr_dispatch_ptr 0
		.amdhsa_user_sgpr_queue_ptr 0
		.amdhsa_user_sgpr_kernarg_segment_ptr 1
		.amdhsa_user_sgpr_dispatch_id 0
		.amdhsa_user_sgpr_kernarg_preload_length 0
		.amdhsa_user_sgpr_kernarg_preload_offset 0
		.amdhsa_user_sgpr_private_segment_size 0
		.amdhsa_uses_dynamic_stack 0
		.amdhsa_enable_private_segment 0
		.amdhsa_system_sgpr_workgroup_id_x 1
		.amdhsa_system_sgpr_workgroup_id_y 0
		.amdhsa_system_sgpr_workgroup_id_z 0
		.amdhsa_system_sgpr_workgroup_info 0
		.amdhsa_system_vgpr_workitem_id 0
		.amdhsa_next_free_vgpr 1
		.amdhsa_next_free_sgpr 0
		.amdhsa_accum_offset 4
		.amdhsa_reserve_vcc 0
		.amdhsa_float_round_mode_32 0
		.amdhsa_float_round_mode_16_64 0
		.amdhsa_float_denorm_mode_32 3
		.amdhsa_float_denorm_mode_16_64 3
		.amdhsa_dx10_clamp 1
		.amdhsa_ieee_mode 1
		.amdhsa_fp16_overflow 0
		.amdhsa_tg_split 0
		.amdhsa_exception_fp_ieee_invalid_op 0
		.amdhsa_exception_fp_denorm_src 0
		.amdhsa_exception_fp_ieee_div_zero 0
		.amdhsa_exception_fp_ieee_overflow 0
		.amdhsa_exception_fp_ieee_underflow 0
		.amdhsa_exception_fp_ieee_inexact 0
		.amdhsa_exception_int_div_zero 0
	.end_amdhsa_kernel
	.section	.text._ZN7rocprim17ROCPRIM_400000_NS6detail17trampoline_kernelINS0_14default_configENS1_35radix_sort_onesweep_config_selectorIbiEEZZNS1_29radix_sort_onesweep_iterationIS3_Lb0EN6thrust23THRUST_200600_302600_NS6detail15normal_iteratorINS8_10device_ptrIbEEEESD_NSA_INSB_IiEEEESF_jNS0_19identity_decomposerENS1_16block_id_wrapperIjLb1EEEEE10hipError_tT1_PNSt15iterator_traitsISK_E10value_typeET2_T3_PNSL_ISQ_E10value_typeET4_T5_PSV_SW_PNS1_23onesweep_lookback_stateEbbT6_jjT7_P12ihipStream_tbENKUlT_T0_SK_SP_E_clISD_PbSF_PiEEDaS13_S14_SK_SP_EUlS13_E_NS1_11comp_targetILNS1_3genE8ELNS1_11target_archE1030ELNS1_3gpuE2ELNS1_3repE0EEENS1_47radix_sort_onesweep_sort_config_static_selectorELNS0_4arch9wavefront6targetE1EEEvSK_,"axG",@progbits,_ZN7rocprim17ROCPRIM_400000_NS6detail17trampoline_kernelINS0_14default_configENS1_35radix_sort_onesweep_config_selectorIbiEEZZNS1_29radix_sort_onesweep_iterationIS3_Lb0EN6thrust23THRUST_200600_302600_NS6detail15normal_iteratorINS8_10device_ptrIbEEEESD_NSA_INSB_IiEEEESF_jNS0_19identity_decomposerENS1_16block_id_wrapperIjLb1EEEEE10hipError_tT1_PNSt15iterator_traitsISK_E10value_typeET2_T3_PNSL_ISQ_E10value_typeET4_T5_PSV_SW_PNS1_23onesweep_lookback_stateEbbT6_jjT7_P12ihipStream_tbENKUlT_T0_SK_SP_E_clISD_PbSF_PiEEDaS13_S14_SK_SP_EUlS13_E_NS1_11comp_targetILNS1_3genE8ELNS1_11target_archE1030ELNS1_3gpuE2ELNS1_3repE0EEENS1_47radix_sort_onesweep_sort_config_static_selectorELNS0_4arch9wavefront6targetE1EEEvSK_,comdat
.Lfunc_end2058:
	.size	_ZN7rocprim17ROCPRIM_400000_NS6detail17trampoline_kernelINS0_14default_configENS1_35radix_sort_onesweep_config_selectorIbiEEZZNS1_29radix_sort_onesweep_iterationIS3_Lb0EN6thrust23THRUST_200600_302600_NS6detail15normal_iteratorINS8_10device_ptrIbEEEESD_NSA_INSB_IiEEEESF_jNS0_19identity_decomposerENS1_16block_id_wrapperIjLb1EEEEE10hipError_tT1_PNSt15iterator_traitsISK_E10value_typeET2_T3_PNSL_ISQ_E10value_typeET4_T5_PSV_SW_PNS1_23onesweep_lookback_stateEbbT6_jjT7_P12ihipStream_tbENKUlT_T0_SK_SP_E_clISD_PbSF_PiEEDaS13_S14_SK_SP_EUlS13_E_NS1_11comp_targetILNS1_3genE8ELNS1_11target_archE1030ELNS1_3gpuE2ELNS1_3repE0EEENS1_47radix_sort_onesweep_sort_config_static_selectorELNS0_4arch9wavefront6targetE1EEEvSK_, .Lfunc_end2058-_ZN7rocprim17ROCPRIM_400000_NS6detail17trampoline_kernelINS0_14default_configENS1_35radix_sort_onesweep_config_selectorIbiEEZZNS1_29radix_sort_onesweep_iterationIS3_Lb0EN6thrust23THRUST_200600_302600_NS6detail15normal_iteratorINS8_10device_ptrIbEEEESD_NSA_INSB_IiEEEESF_jNS0_19identity_decomposerENS1_16block_id_wrapperIjLb1EEEEE10hipError_tT1_PNSt15iterator_traitsISK_E10value_typeET2_T3_PNSL_ISQ_E10value_typeET4_T5_PSV_SW_PNS1_23onesweep_lookback_stateEbbT6_jjT7_P12ihipStream_tbENKUlT_T0_SK_SP_E_clISD_PbSF_PiEEDaS13_S14_SK_SP_EUlS13_E_NS1_11comp_targetILNS1_3genE8ELNS1_11target_archE1030ELNS1_3gpuE2ELNS1_3repE0EEENS1_47radix_sort_onesweep_sort_config_static_selectorELNS0_4arch9wavefront6targetE1EEEvSK_
                                        ; -- End function
	.set _ZN7rocprim17ROCPRIM_400000_NS6detail17trampoline_kernelINS0_14default_configENS1_35radix_sort_onesweep_config_selectorIbiEEZZNS1_29radix_sort_onesweep_iterationIS3_Lb0EN6thrust23THRUST_200600_302600_NS6detail15normal_iteratorINS8_10device_ptrIbEEEESD_NSA_INSB_IiEEEESF_jNS0_19identity_decomposerENS1_16block_id_wrapperIjLb1EEEEE10hipError_tT1_PNSt15iterator_traitsISK_E10value_typeET2_T3_PNSL_ISQ_E10value_typeET4_T5_PSV_SW_PNS1_23onesweep_lookback_stateEbbT6_jjT7_P12ihipStream_tbENKUlT_T0_SK_SP_E_clISD_PbSF_PiEEDaS13_S14_SK_SP_EUlS13_E_NS1_11comp_targetILNS1_3genE8ELNS1_11target_archE1030ELNS1_3gpuE2ELNS1_3repE0EEENS1_47radix_sort_onesweep_sort_config_static_selectorELNS0_4arch9wavefront6targetE1EEEvSK_.num_vgpr, 0
	.set _ZN7rocprim17ROCPRIM_400000_NS6detail17trampoline_kernelINS0_14default_configENS1_35radix_sort_onesweep_config_selectorIbiEEZZNS1_29radix_sort_onesweep_iterationIS3_Lb0EN6thrust23THRUST_200600_302600_NS6detail15normal_iteratorINS8_10device_ptrIbEEEESD_NSA_INSB_IiEEEESF_jNS0_19identity_decomposerENS1_16block_id_wrapperIjLb1EEEEE10hipError_tT1_PNSt15iterator_traitsISK_E10value_typeET2_T3_PNSL_ISQ_E10value_typeET4_T5_PSV_SW_PNS1_23onesweep_lookback_stateEbbT6_jjT7_P12ihipStream_tbENKUlT_T0_SK_SP_E_clISD_PbSF_PiEEDaS13_S14_SK_SP_EUlS13_E_NS1_11comp_targetILNS1_3genE8ELNS1_11target_archE1030ELNS1_3gpuE2ELNS1_3repE0EEENS1_47radix_sort_onesweep_sort_config_static_selectorELNS0_4arch9wavefront6targetE1EEEvSK_.num_agpr, 0
	.set _ZN7rocprim17ROCPRIM_400000_NS6detail17trampoline_kernelINS0_14default_configENS1_35radix_sort_onesweep_config_selectorIbiEEZZNS1_29radix_sort_onesweep_iterationIS3_Lb0EN6thrust23THRUST_200600_302600_NS6detail15normal_iteratorINS8_10device_ptrIbEEEESD_NSA_INSB_IiEEEESF_jNS0_19identity_decomposerENS1_16block_id_wrapperIjLb1EEEEE10hipError_tT1_PNSt15iterator_traitsISK_E10value_typeET2_T3_PNSL_ISQ_E10value_typeET4_T5_PSV_SW_PNS1_23onesweep_lookback_stateEbbT6_jjT7_P12ihipStream_tbENKUlT_T0_SK_SP_E_clISD_PbSF_PiEEDaS13_S14_SK_SP_EUlS13_E_NS1_11comp_targetILNS1_3genE8ELNS1_11target_archE1030ELNS1_3gpuE2ELNS1_3repE0EEENS1_47radix_sort_onesweep_sort_config_static_selectorELNS0_4arch9wavefront6targetE1EEEvSK_.numbered_sgpr, 0
	.set _ZN7rocprim17ROCPRIM_400000_NS6detail17trampoline_kernelINS0_14default_configENS1_35radix_sort_onesweep_config_selectorIbiEEZZNS1_29radix_sort_onesweep_iterationIS3_Lb0EN6thrust23THRUST_200600_302600_NS6detail15normal_iteratorINS8_10device_ptrIbEEEESD_NSA_INSB_IiEEEESF_jNS0_19identity_decomposerENS1_16block_id_wrapperIjLb1EEEEE10hipError_tT1_PNSt15iterator_traitsISK_E10value_typeET2_T3_PNSL_ISQ_E10value_typeET4_T5_PSV_SW_PNS1_23onesweep_lookback_stateEbbT6_jjT7_P12ihipStream_tbENKUlT_T0_SK_SP_E_clISD_PbSF_PiEEDaS13_S14_SK_SP_EUlS13_E_NS1_11comp_targetILNS1_3genE8ELNS1_11target_archE1030ELNS1_3gpuE2ELNS1_3repE0EEENS1_47radix_sort_onesweep_sort_config_static_selectorELNS0_4arch9wavefront6targetE1EEEvSK_.num_named_barrier, 0
	.set _ZN7rocprim17ROCPRIM_400000_NS6detail17trampoline_kernelINS0_14default_configENS1_35radix_sort_onesweep_config_selectorIbiEEZZNS1_29radix_sort_onesweep_iterationIS3_Lb0EN6thrust23THRUST_200600_302600_NS6detail15normal_iteratorINS8_10device_ptrIbEEEESD_NSA_INSB_IiEEEESF_jNS0_19identity_decomposerENS1_16block_id_wrapperIjLb1EEEEE10hipError_tT1_PNSt15iterator_traitsISK_E10value_typeET2_T3_PNSL_ISQ_E10value_typeET4_T5_PSV_SW_PNS1_23onesweep_lookback_stateEbbT6_jjT7_P12ihipStream_tbENKUlT_T0_SK_SP_E_clISD_PbSF_PiEEDaS13_S14_SK_SP_EUlS13_E_NS1_11comp_targetILNS1_3genE8ELNS1_11target_archE1030ELNS1_3gpuE2ELNS1_3repE0EEENS1_47radix_sort_onesweep_sort_config_static_selectorELNS0_4arch9wavefront6targetE1EEEvSK_.private_seg_size, 0
	.set _ZN7rocprim17ROCPRIM_400000_NS6detail17trampoline_kernelINS0_14default_configENS1_35radix_sort_onesweep_config_selectorIbiEEZZNS1_29radix_sort_onesweep_iterationIS3_Lb0EN6thrust23THRUST_200600_302600_NS6detail15normal_iteratorINS8_10device_ptrIbEEEESD_NSA_INSB_IiEEEESF_jNS0_19identity_decomposerENS1_16block_id_wrapperIjLb1EEEEE10hipError_tT1_PNSt15iterator_traitsISK_E10value_typeET2_T3_PNSL_ISQ_E10value_typeET4_T5_PSV_SW_PNS1_23onesweep_lookback_stateEbbT6_jjT7_P12ihipStream_tbENKUlT_T0_SK_SP_E_clISD_PbSF_PiEEDaS13_S14_SK_SP_EUlS13_E_NS1_11comp_targetILNS1_3genE8ELNS1_11target_archE1030ELNS1_3gpuE2ELNS1_3repE0EEENS1_47radix_sort_onesweep_sort_config_static_selectorELNS0_4arch9wavefront6targetE1EEEvSK_.uses_vcc, 0
	.set _ZN7rocprim17ROCPRIM_400000_NS6detail17trampoline_kernelINS0_14default_configENS1_35radix_sort_onesweep_config_selectorIbiEEZZNS1_29radix_sort_onesweep_iterationIS3_Lb0EN6thrust23THRUST_200600_302600_NS6detail15normal_iteratorINS8_10device_ptrIbEEEESD_NSA_INSB_IiEEEESF_jNS0_19identity_decomposerENS1_16block_id_wrapperIjLb1EEEEE10hipError_tT1_PNSt15iterator_traitsISK_E10value_typeET2_T3_PNSL_ISQ_E10value_typeET4_T5_PSV_SW_PNS1_23onesweep_lookback_stateEbbT6_jjT7_P12ihipStream_tbENKUlT_T0_SK_SP_E_clISD_PbSF_PiEEDaS13_S14_SK_SP_EUlS13_E_NS1_11comp_targetILNS1_3genE8ELNS1_11target_archE1030ELNS1_3gpuE2ELNS1_3repE0EEENS1_47radix_sort_onesweep_sort_config_static_selectorELNS0_4arch9wavefront6targetE1EEEvSK_.uses_flat_scratch, 0
	.set _ZN7rocprim17ROCPRIM_400000_NS6detail17trampoline_kernelINS0_14default_configENS1_35radix_sort_onesweep_config_selectorIbiEEZZNS1_29radix_sort_onesweep_iterationIS3_Lb0EN6thrust23THRUST_200600_302600_NS6detail15normal_iteratorINS8_10device_ptrIbEEEESD_NSA_INSB_IiEEEESF_jNS0_19identity_decomposerENS1_16block_id_wrapperIjLb1EEEEE10hipError_tT1_PNSt15iterator_traitsISK_E10value_typeET2_T3_PNSL_ISQ_E10value_typeET4_T5_PSV_SW_PNS1_23onesweep_lookback_stateEbbT6_jjT7_P12ihipStream_tbENKUlT_T0_SK_SP_E_clISD_PbSF_PiEEDaS13_S14_SK_SP_EUlS13_E_NS1_11comp_targetILNS1_3genE8ELNS1_11target_archE1030ELNS1_3gpuE2ELNS1_3repE0EEENS1_47radix_sort_onesweep_sort_config_static_selectorELNS0_4arch9wavefront6targetE1EEEvSK_.has_dyn_sized_stack, 0
	.set _ZN7rocprim17ROCPRIM_400000_NS6detail17trampoline_kernelINS0_14default_configENS1_35radix_sort_onesweep_config_selectorIbiEEZZNS1_29radix_sort_onesweep_iterationIS3_Lb0EN6thrust23THRUST_200600_302600_NS6detail15normal_iteratorINS8_10device_ptrIbEEEESD_NSA_INSB_IiEEEESF_jNS0_19identity_decomposerENS1_16block_id_wrapperIjLb1EEEEE10hipError_tT1_PNSt15iterator_traitsISK_E10value_typeET2_T3_PNSL_ISQ_E10value_typeET4_T5_PSV_SW_PNS1_23onesweep_lookback_stateEbbT6_jjT7_P12ihipStream_tbENKUlT_T0_SK_SP_E_clISD_PbSF_PiEEDaS13_S14_SK_SP_EUlS13_E_NS1_11comp_targetILNS1_3genE8ELNS1_11target_archE1030ELNS1_3gpuE2ELNS1_3repE0EEENS1_47radix_sort_onesweep_sort_config_static_selectorELNS0_4arch9wavefront6targetE1EEEvSK_.has_recursion, 0
	.set _ZN7rocprim17ROCPRIM_400000_NS6detail17trampoline_kernelINS0_14default_configENS1_35radix_sort_onesweep_config_selectorIbiEEZZNS1_29radix_sort_onesweep_iterationIS3_Lb0EN6thrust23THRUST_200600_302600_NS6detail15normal_iteratorINS8_10device_ptrIbEEEESD_NSA_INSB_IiEEEESF_jNS0_19identity_decomposerENS1_16block_id_wrapperIjLb1EEEEE10hipError_tT1_PNSt15iterator_traitsISK_E10value_typeET2_T3_PNSL_ISQ_E10value_typeET4_T5_PSV_SW_PNS1_23onesweep_lookback_stateEbbT6_jjT7_P12ihipStream_tbENKUlT_T0_SK_SP_E_clISD_PbSF_PiEEDaS13_S14_SK_SP_EUlS13_E_NS1_11comp_targetILNS1_3genE8ELNS1_11target_archE1030ELNS1_3gpuE2ELNS1_3repE0EEENS1_47radix_sort_onesweep_sort_config_static_selectorELNS0_4arch9wavefront6targetE1EEEvSK_.has_indirect_call, 0
	.section	.AMDGPU.csdata,"",@progbits
; Kernel info:
; codeLenInByte = 0
; TotalNumSgprs: 6
; NumVgprs: 0
; NumAgprs: 0
; TotalNumVgprs: 0
; ScratchSize: 0
; MemoryBound: 0
; FloatMode: 240
; IeeeMode: 1
; LDSByteSize: 0 bytes/workgroup (compile time only)
; SGPRBlocks: 0
; VGPRBlocks: 0
; NumSGPRsForWavesPerEU: 6
; NumVGPRsForWavesPerEU: 1
; AccumOffset: 4
; Occupancy: 8
; WaveLimiterHint : 0
; COMPUTE_PGM_RSRC2:SCRATCH_EN: 0
; COMPUTE_PGM_RSRC2:USER_SGPR: 2
; COMPUTE_PGM_RSRC2:TRAP_HANDLER: 0
; COMPUTE_PGM_RSRC2:TGID_X_EN: 1
; COMPUTE_PGM_RSRC2:TGID_Y_EN: 0
; COMPUTE_PGM_RSRC2:TGID_Z_EN: 0
; COMPUTE_PGM_RSRC2:TIDIG_COMP_CNT: 0
; COMPUTE_PGM_RSRC3_GFX90A:ACCUM_OFFSET: 0
; COMPUTE_PGM_RSRC3_GFX90A:TG_SPLIT: 0
	.section	.text._ZN7rocprim17ROCPRIM_400000_NS6detail17trampoline_kernelINS0_14default_configENS1_35radix_sort_onesweep_config_selectorIbiEEZZNS1_29radix_sort_onesweep_iterationIS3_Lb0EN6thrust23THRUST_200600_302600_NS6detail15normal_iteratorINS8_10device_ptrIbEEEESD_NSA_INSB_IiEEEESF_jNS0_19identity_decomposerENS1_16block_id_wrapperIjLb1EEEEE10hipError_tT1_PNSt15iterator_traitsISK_E10value_typeET2_T3_PNSL_ISQ_E10value_typeET4_T5_PSV_SW_PNS1_23onesweep_lookback_stateEbbT6_jjT7_P12ihipStream_tbENKUlT_T0_SK_SP_E_clIPbSD_PiSF_EEDaS13_S14_SK_SP_EUlS13_E_NS1_11comp_targetILNS1_3genE0ELNS1_11target_archE4294967295ELNS1_3gpuE0ELNS1_3repE0EEENS1_47radix_sort_onesweep_sort_config_static_selectorELNS0_4arch9wavefront6targetE1EEEvSK_,"axG",@progbits,_ZN7rocprim17ROCPRIM_400000_NS6detail17trampoline_kernelINS0_14default_configENS1_35radix_sort_onesweep_config_selectorIbiEEZZNS1_29radix_sort_onesweep_iterationIS3_Lb0EN6thrust23THRUST_200600_302600_NS6detail15normal_iteratorINS8_10device_ptrIbEEEESD_NSA_INSB_IiEEEESF_jNS0_19identity_decomposerENS1_16block_id_wrapperIjLb1EEEEE10hipError_tT1_PNSt15iterator_traitsISK_E10value_typeET2_T3_PNSL_ISQ_E10value_typeET4_T5_PSV_SW_PNS1_23onesweep_lookback_stateEbbT6_jjT7_P12ihipStream_tbENKUlT_T0_SK_SP_E_clIPbSD_PiSF_EEDaS13_S14_SK_SP_EUlS13_E_NS1_11comp_targetILNS1_3genE0ELNS1_11target_archE4294967295ELNS1_3gpuE0ELNS1_3repE0EEENS1_47radix_sort_onesweep_sort_config_static_selectorELNS0_4arch9wavefront6targetE1EEEvSK_,comdat
	.protected	_ZN7rocprim17ROCPRIM_400000_NS6detail17trampoline_kernelINS0_14default_configENS1_35radix_sort_onesweep_config_selectorIbiEEZZNS1_29radix_sort_onesweep_iterationIS3_Lb0EN6thrust23THRUST_200600_302600_NS6detail15normal_iteratorINS8_10device_ptrIbEEEESD_NSA_INSB_IiEEEESF_jNS0_19identity_decomposerENS1_16block_id_wrapperIjLb1EEEEE10hipError_tT1_PNSt15iterator_traitsISK_E10value_typeET2_T3_PNSL_ISQ_E10value_typeET4_T5_PSV_SW_PNS1_23onesweep_lookback_stateEbbT6_jjT7_P12ihipStream_tbENKUlT_T0_SK_SP_E_clIPbSD_PiSF_EEDaS13_S14_SK_SP_EUlS13_E_NS1_11comp_targetILNS1_3genE0ELNS1_11target_archE4294967295ELNS1_3gpuE0ELNS1_3repE0EEENS1_47radix_sort_onesweep_sort_config_static_selectorELNS0_4arch9wavefront6targetE1EEEvSK_ ; -- Begin function _ZN7rocprim17ROCPRIM_400000_NS6detail17trampoline_kernelINS0_14default_configENS1_35radix_sort_onesweep_config_selectorIbiEEZZNS1_29radix_sort_onesweep_iterationIS3_Lb0EN6thrust23THRUST_200600_302600_NS6detail15normal_iteratorINS8_10device_ptrIbEEEESD_NSA_INSB_IiEEEESF_jNS0_19identity_decomposerENS1_16block_id_wrapperIjLb1EEEEE10hipError_tT1_PNSt15iterator_traitsISK_E10value_typeET2_T3_PNSL_ISQ_E10value_typeET4_T5_PSV_SW_PNS1_23onesweep_lookback_stateEbbT6_jjT7_P12ihipStream_tbENKUlT_T0_SK_SP_E_clIPbSD_PiSF_EEDaS13_S14_SK_SP_EUlS13_E_NS1_11comp_targetILNS1_3genE0ELNS1_11target_archE4294967295ELNS1_3gpuE0ELNS1_3repE0EEENS1_47radix_sort_onesweep_sort_config_static_selectorELNS0_4arch9wavefront6targetE1EEEvSK_
	.globl	_ZN7rocprim17ROCPRIM_400000_NS6detail17trampoline_kernelINS0_14default_configENS1_35radix_sort_onesweep_config_selectorIbiEEZZNS1_29radix_sort_onesweep_iterationIS3_Lb0EN6thrust23THRUST_200600_302600_NS6detail15normal_iteratorINS8_10device_ptrIbEEEESD_NSA_INSB_IiEEEESF_jNS0_19identity_decomposerENS1_16block_id_wrapperIjLb1EEEEE10hipError_tT1_PNSt15iterator_traitsISK_E10value_typeET2_T3_PNSL_ISQ_E10value_typeET4_T5_PSV_SW_PNS1_23onesweep_lookback_stateEbbT6_jjT7_P12ihipStream_tbENKUlT_T0_SK_SP_E_clIPbSD_PiSF_EEDaS13_S14_SK_SP_EUlS13_E_NS1_11comp_targetILNS1_3genE0ELNS1_11target_archE4294967295ELNS1_3gpuE0ELNS1_3repE0EEENS1_47radix_sort_onesweep_sort_config_static_selectorELNS0_4arch9wavefront6targetE1EEEvSK_
	.p2align	8
	.type	_ZN7rocprim17ROCPRIM_400000_NS6detail17trampoline_kernelINS0_14default_configENS1_35radix_sort_onesweep_config_selectorIbiEEZZNS1_29radix_sort_onesweep_iterationIS3_Lb0EN6thrust23THRUST_200600_302600_NS6detail15normal_iteratorINS8_10device_ptrIbEEEESD_NSA_INSB_IiEEEESF_jNS0_19identity_decomposerENS1_16block_id_wrapperIjLb1EEEEE10hipError_tT1_PNSt15iterator_traitsISK_E10value_typeET2_T3_PNSL_ISQ_E10value_typeET4_T5_PSV_SW_PNS1_23onesweep_lookback_stateEbbT6_jjT7_P12ihipStream_tbENKUlT_T0_SK_SP_E_clIPbSD_PiSF_EEDaS13_S14_SK_SP_EUlS13_E_NS1_11comp_targetILNS1_3genE0ELNS1_11target_archE4294967295ELNS1_3gpuE0ELNS1_3repE0EEENS1_47radix_sort_onesweep_sort_config_static_selectorELNS0_4arch9wavefront6targetE1EEEvSK_,@function
_ZN7rocprim17ROCPRIM_400000_NS6detail17trampoline_kernelINS0_14default_configENS1_35radix_sort_onesweep_config_selectorIbiEEZZNS1_29radix_sort_onesweep_iterationIS3_Lb0EN6thrust23THRUST_200600_302600_NS6detail15normal_iteratorINS8_10device_ptrIbEEEESD_NSA_INSB_IiEEEESF_jNS0_19identity_decomposerENS1_16block_id_wrapperIjLb1EEEEE10hipError_tT1_PNSt15iterator_traitsISK_E10value_typeET2_T3_PNSL_ISQ_E10value_typeET4_T5_PSV_SW_PNS1_23onesweep_lookback_stateEbbT6_jjT7_P12ihipStream_tbENKUlT_T0_SK_SP_E_clIPbSD_PiSF_EEDaS13_S14_SK_SP_EUlS13_E_NS1_11comp_targetILNS1_3genE0ELNS1_11target_archE4294967295ELNS1_3gpuE0ELNS1_3repE0EEENS1_47radix_sort_onesweep_sort_config_static_selectorELNS0_4arch9wavefront6targetE1EEEvSK_: ; @_ZN7rocprim17ROCPRIM_400000_NS6detail17trampoline_kernelINS0_14default_configENS1_35radix_sort_onesweep_config_selectorIbiEEZZNS1_29radix_sort_onesweep_iterationIS3_Lb0EN6thrust23THRUST_200600_302600_NS6detail15normal_iteratorINS8_10device_ptrIbEEEESD_NSA_INSB_IiEEEESF_jNS0_19identity_decomposerENS1_16block_id_wrapperIjLb1EEEEE10hipError_tT1_PNSt15iterator_traitsISK_E10value_typeET2_T3_PNSL_ISQ_E10value_typeET4_T5_PSV_SW_PNS1_23onesweep_lookback_stateEbbT6_jjT7_P12ihipStream_tbENKUlT_T0_SK_SP_E_clIPbSD_PiSF_EEDaS13_S14_SK_SP_EUlS13_E_NS1_11comp_targetILNS1_3genE0ELNS1_11target_archE4294967295ELNS1_3gpuE0ELNS1_3repE0EEENS1_47radix_sort_onesweep_sort_config_static_selectorELNS0_4arch9wavefront6targetE1EEEvSK_
; %bb.0:
	.section	.rodata,"a",@progbits
	.p2align	6, 0x0
	.amdhsa_kernel _ZN7rocprim17ROCPRIM_400000_NS6detail17trampoline_kernelINS0_14default_configENS1_35radix_sort_onesweep_config_selectorIbiEEZZNS1_29radix_sort_onesweep_iterationIS3_Lb0EN6thrust23THRUST_200600_302600_NS6detail15normal_iteratorINS8_10device_ptrIbEEEESD_NSA_INSB_IiEEEESF_jNS0_19identity_decomposerENS1_16block_id_wrapperIjLb1EEEEE10hipError_tT1_PNSt15iterator_traitsISK_E10value_typeET2_T3_PNSL_ISQ_E10value_typeET4_T5_PSV_SW_PNS1_23onesweep_lookback_stateEbbT6_jjT7_P12ihipStream_tbENKUlT_T0_SK_SP_E_clIPbSD_PiSF_EEDaS13_S14_SK_SP_EUlS13_E_NS1_11comp_targetILNS1_3genE0ELNS1_11target_archE4294967295ELNS1_3gpuE0ELNS1_3repE0EEENS1_47radix_sort_onesweep_sort_config_static_selectorELNS0_4arch9wavefront6targetE1EEEvSK_
		.amdhsa_group_segment_fixed_size 0
		.amdhsa_private_segment_fixed_size 0
		.amdhsa_kernarg_size 88
		.amdhsa_user_sgpr_count 2
		.amdhsa_user_sgpr_dispatch_ptr 0
		.amdhsa_user_sgpr_queue_ptr 0
		.amdhsa_user_sgpr_kernarg_segment_ptr 1
		.amdhsa_user_sgpr_dispatch_id 0
		.amdhsa_user_sgpr_kernarg_preload_length 0
		.amdhsa_user_sgpr_kernarg_preload_offset 0
		.amdhsa_user_sgpr_private_segment_size 0
		.amdhsa_uses_dynamic_stack 0
		.amdhsa_enable_private_segment 0
		.amdhsa_system_sgpr_workgroup_id_x 1
		.amdhsa_system_sgpr_workgroup_id_y 0
		.amdhsa_system_sgpr_workgroup_id_z 0
		.amdhsa_system_sgpr_workgroup_info 0
		.amdhsa_system_vgpr_workitem_id 0
		.amdhsa_next_free_vgpr 1
		.amdhsa_next_free_sgpr 0
		.amdhsa_accum_offset 4
		.amdhsa_reserve_vcc 0
		.amdhsa_float_round_mode_32 0
		.amdhsa_float_round_mode_16_64 0
		.amdhsa_float_denorm_mode_32 3
		.amdhsa_float_denorm_mode_16_64 3
		.amdhsa_dx10_clamp 1
		.amdhsa_ieee_mode 1
		.amdhsa_fp16_overflow 0
		.amdhsa_tg_split 0
		.amdhsa_exception_fp_ieee_invalid_op 0
		.amdhsa_exception_fp_denorm_src 0
		.amdhsa_exception_fp_ieee_div_zero 0
		.amdhsa_exception_fp_ieee_overflow 0
		.amdhsa_exception_fp_ieee_underflow 0
		.amdhsa_exception_fp_ieee_inexact 0
		.amdhsa_exception_int_div_zero 0
	.end_amdhsa_kernel
	.section	.text._ZN7rocprim17ROCPRIM_400000_NS6detail17trampoline_kernelINS0_14default_configENS1_35radix_sort_onesweep_config_selectorIbiEEZZNS1_29radix_sort_onesweep_iterationIS3_Lb0EN6thrust23THRUST_200600_302600_NS6detail15normal_iteratorINS8_10device_ptrIbEEEESD_NSA_INSB_IiEEEESF_jNS0_19identity_decomposerENS1_16block_id_wrapperIjLb1EEEEE10hipError_tT1_PNSt15iterator_traitsISK_E10value_typeET2_T3_PNSL_ISQ_E10value_typeET4_T5_PSV_SW_PNS1_23onesweep_lookback_stateEbbT6_jjT7_P12ihipStream_tbENKUlT_T0_SK_SP_E_clIPbSD_PiSF_EEDaS13_S14_SK_SP_EUlS13_E_NS1_11comp_targetILNS1_3genE0ELNS1_11target_archE4294967295ELNS1_3gpuE0ELNS1_3repE0EEENS1_47radix_sort_onesweep_sort_config_static_selectorELNS0_4arch9wavefront6targetE1EEEvSK_,"axG",@progbits,_ZN7rocprim17ROCPRIM_400000_NS6detail17trampoline_kernelINS0_14default_configENS1_35radix_sort_onesweep_config_selectorIbiEEZZNS1_29radix_sort_onesweep_iterationIS3_Lb0EN6thrust23THRUST_200600_302600_NS6detail15normal_iteratorINS8_10device_ptrIbEEEESD_NSA_INSB_IiEEEESF_jNS0_19identity_decomposerENS1_16block_id_wrapperIjLb1EEEEE10hipError_tT1_PNSt15iterator_traitsISK_E10value_typeET2_T3_PNSL_ISQ_E10value_typeET4_T5_PSV_SW_PNS1_23onesweep_lookback_stateEbbT6_jjT7_P12ihipStream_tbENKUlT_T0_SK_SP_E_clIPbSD_PiSF_EEDaS13_S14_SK_SP_EUlS13_E_NS1_11comp_targetILNS1_3genE0ELNS1_11target_archE4294967295ELNS1_3gpuE0ELNS1_3repE0EEENS1_47radix_sort_onesweep_sort_config_static_selectorELNS0_4arch9wavefront6targetE1EEEvSK_,comdat
.Lfunc_end2059:
	.size	_ZN7rocprim17ROCPRIM_400000_NS6detail17trampoline_kernelINS0_14default_configENS1_35radix_sort_onesweep_config_selectorIbiEEZZNS1_29radix_sort_onesweep_iterationIS3_Lb0EN6thrust23THRUST_200600_302600_NS6detail15normal_iteratorINS8_10device_ptrIbEEEESD_NSA_INSB_IiEEEESF_jNS0_19identity_decomposerENS1_16block_id_wrapperIjLb1EEEEE10hipError_tT1_PNSt15iterator_traitsISK_E10value_typeET2_T3_PNSL_ISQ_E10value_typeET4_T5_PSV_SW_PNS1_23onesweep_lookback_stateEbbT6_jjT7_P12ihipStream_tbENKUlT_T0_SK_SP_E_clIPbSD_PiSF_EEDaS13_S14_SK_SP_EUlS13_E_NS1_11comp_targetILNS1_3genE0ELNS1_11target_archE4294967295ELNS1_3gpuE0ELNS1_3repE0EEENS1_47radix_sort_onesweep_sort_config_static_selectorELNS0_4arch9wavefront6targetE1EEEvSK_, .Lfunc_end2059-_ZN7rocprim17ROCPRIM_400000_NS6detail17trampoline_kernelINS0_14default_configENS1_35radix_sort_onesweep_config_selectorIbiEEZZNS1_29radix_sort_onesweep_iterationIS3_Lb0EN6thrust23THRUST_200600_302600_NS6detail15normal_iteratorINS8_10device_ptrIbEEEESD_NSA_INSB_IiEEEESF_jNS0_19identity_decomposerENS1_16block_id_wrapperIjLb1EEEEE10hipError_tT1_PNSt15iterator_traitsISK_E10value_typeET2_T3_PNSL_ISQ_E10value_typeET4_T5_PSV_SW_PNS1_23onesweep_lookback_stateEbbT6_jjT7_P12ihipStream_tbENKUlT_T0_SK_SP_E_clIPbSD_PiSF_EEDaS13_S14_SK_SP_EUlS13_E_NS1_11comp_targetILNS1_3genE0ELNS1_11target_archE4294967295ELNS1_3gpuE0ELNS1_3repE0EEENS1_47radix_sort_onesweep_sort_config_static_selectorELNS0_4arch9wavefront6targetE1EEEvSK_
                                        ; -- End function
	.set _ZN7rocprim17ROCPRIM_400000_NS6detail17trampoline_kernelINS0_14default_configENS1_35radix_sort_onesweep_config_selectorIbiEEZZNS1_29radix_sort_onesweep_iterationIS3_Lb0EN6thrust23THRUST_200600_302600_NS6detail15normal_iteratorINS8_10device_ptrIbEEEESD_NSA_INSB_IiEEEESF_jNS0_19identity_decomposerENS1_16block_id_wrapperIjLb1EEEEE10hipError_tT1_PNSt15iterator_traitsISK_E10value_typeET2_T3_PNSL_ISQ_E10value_typeET4_T5_PSV_SW_PNS1_23onesweep_lookback_stateEbbT6_jjT7_P12ihipStream_tbENKUlT_T0_SK_SP_E_clIPbSD_PiSF_EEDaS13_S14_SK_SP_EUlS13_E_NS1_11comp_targetILNS1_3genE0ELNS1_11target_archE4294967295ELNS1_3gpuE0ELNS1_3repE0EEENS1_47radix_sort_onesweep_sort_config_static_selectorELNS0_4arch9wavefront6targetE1EEEvSK_.num_vgpr, 0
	.set _ZN7rocprim17ROCPRIM_400000_NS6detail17trampoline_kernelINS0_14default_configENS1_35radix_sort_onesweep_config_selectorIbiEEZZNS1_29radix_sort_onesweep_iterationIS3_Lb0EN6thrust23THRUST_200600_302600_NS6detail15normal_iteratorINS8_10device_ptrIbEEEESD_NSA_INSB_IiEEEESF_jNS0_19identity_decomposerENS1_16block_id_wrapperIjLb1EEEEE10hipError_tT1_PNSt15iterator_traitsISK_E10value_typeET2_T3_PNSL_ISQ_E10value_typeET4_T5_PSV_SW_PNS1_23onesweep_lookback_stateEbbT6_jjT7_P12ihipStream_tbENKUlT_T0_SK_SP_E_clIPbSD_PiSF_EEDaS13_S14_SK_SP_EUlS13_E_NS1_11comp_targetILNS1_3genE0ELNS1_11target_archE4294967295ELNS1_3gpuE0ELNS1_3repE0EEENS1_47radix_sort_onesweep_sort_config_static_selectorELNS0_4arch9wavefront6targetE1EEEvSK_.num_agpr, 0
	.set _ZN7rocprim17ROCPRIM_400000_NS6detail17trampoline_kernelINS0_14default_configENS1_35radix_sort_onesweep_config_selectorIbiEEZZNS1_29radix_sort_onesweep_iterationIS3_Lb0EN6thrust23THRUST_200600_302600_NS6detail15normal_iteratorINS8_10device_ptrIbEEEESD_NSA_INSB_IiEEEESF_jNS0_19identity_decomposerENS1_16block_id_wrapperIjLb1EEEEE10hipError_tT1_PNSt15iterator_traitsISK_E10value_typeET2_T3_PNSL_ISQ_E10value_typeET4_T5_PSV_SW_PNS1_23onesweep_lookback_stateEbbT6_jjT7_P12ihipStream_tbENKUlT_T0_SK_SP_E_clIPbSD_PiSF_EEDaS13_S14_SK_SP_EUlS13_E_NS1_11comp_targetILNS1_3genE0ELNS1_11target_archE4294967295ELNS1_3gpuE0ELNS1_3repE0EEENS1_47radix_sort_onesweep_sort_config_static_selectorELNS0_4arch9wavefront6targetE1EEEvSK_.numbered_sgpr, 0
	.set _ZN7rocprim17ROCPRIM_400000_NS6detail17trampoline_kernelINS0_14default_configENS1_35radix_sort_onesweep_config_selectorIbiEEZZNS1_29radix_sort_onesweep_iterationIS3_Lb0EN6thrust23THRUST_200600_302600_NS6detail15normal_iteratorINS8_10device_ptrIbEEEESD_NSA_INSB_IiEEEESF_jNS0_19identity_decomposerENS1_16block_id_wrapperIjLb1EEEEE10hipError_tT1_PNSt15iterator_traitsISK_E10value_typeET2_T3_PNSL_ISQ_E10value_typeET4_T5_PSV_SW_PNS1_23onesweep_lookback_stateEbbT6_jjT7_P12ihipStream_tbENKUlT_T0_SK_SP_E_clIPbSD_PiSF_EEDaS13_S14_SK_SP_EUlS13_E_NS1_11comp_targetILNS1_3genE0ELNS1_11target_archE4294967295ELNS1_3gpuE0ELNS1_3repE0EEENS1_47radix_sort_onesweep_sort_config_static_selectorELNS0_4arch9wavefront6targetE1EEEvSK_.num_named_barrier, 0
	.set _ZN7rocprim17ROCPRIM_400000_NS6detail17trampoline_kernelINS0_14default_configENS1_35radix_sort_onesweep_config_selectorIbiEEZZNS1_29radix_sort_onesweep_iterationIS3_Lb0EN6thrust23THRUST_200600_302600_NS6detail15normal_iteratorINS8_10device_ptrIbEEEESD_NSA_INSB_IiEEEESF_jNS0_19identity_decomposerENS1_16block_id_wrapperIjLb1EEEEE10hipError_tT1_PNSt15iterator_traitsISK_E10value_typeET2_T3_PNSL_ISQ_E10value_typeET4_T5_PSV_SW_PNS1_23onesweep_lookback_stateEbbT6_jjT7_P12ihipStream_tbENKUlT_T0_SK_SP_E_clIPbSD_PiSF_EEDaS13_S14_SK_SP_EUlS13_E_NS1_11comp_targetILNS1_3genE0ELNS1_11target_archE4294967295ELNS1_3gpuE0ELNS1_3repE0EEENS1_47radix_sort_onesweep_sort_config_static_selectorELNS0_4arch9wavefront6targetE1EEEvSK_.private_seg_size, 0
	.set _ZN7rocprim17ROCPRIM_400000_NS6detail17trampoline_kernelINS0_14default_configENS1_35radix_sort_onesweep_config_selectorIbiEEZZNS1_29radix_sort_onesweep_iterationIS3_Lb0EN6thrust23THRUST_200600_302600_NS6detail15normal_iteratorINS8_10device_ptrIbEEEESD_NSA_INSB_IiEEEESF_jNS0_19identity_decomposerENS1_16block_id_wrapperIjLb1EEEEE10hipError_tT1_PNSt15iterator_traitsISK_E10value_typeET2_T3_PNSL_ISQ_E10value_typeET4_T5_PSV_SW_PNS1_23onesweep_lookback_stateEbbT6_jjT7_P12ihipStream_tbENKUlT_T0_SK_SP_E_clIPbSD_PiSF_EEDaS13_S14_SK_SP_EUlS13_E_NS1_11comp_targetILNS1_3genE0ELNS1_11target_archE4294967295ELNS1_3gpuE0ELNS1_3repE0EEENS1_47radix_sort_onesweep_sort_config_static_selectorELNS0_4arch9wavefront6targetE1EEEvSK_.uses_vcc, 0
	.set _ZN7rocprim17ROCPRIM_400000_NS6detail17trampoline_kernelINS0_14default_configENS1_35radix_sort_onesweep_config_selectorIbiEEZZNS1_29radix_sort_onesweep_iterationIS3_Lb0EN6thrust23THRUST_200600_302600_NS6detail15normal_iteratorINS8_10device_ptrIbEEEESD_NSA_INSB_IiEEEESF_jNS0_19identity_decomposerENS1_16block_id_wrapperIjLb1EEEEE10hipError_tT1_PNSt15iterator_traitsISK_E10value_typeET2_T3_PNSL_ISQ_E10value_typeET4_T5_PSV_SW_PNS1_23onesweep_lookback_stateEbbT6_jjT7_P12ihipStream_tbENKUlT_T0_SK_SP_E_clIPbSD_PiSF_EEDaS13_S14_SK_SP_EUlS13_E_NS1_11comp_targetILNS1_3genE0ELNS1_11target_archE4294967295ELNS1_3gpuE0ELNS1_3repE0EEENS1_47radix_sort_onesweep_sort_config_static_selectorELNS0_4arch9wavefront6targetE1EEEvSK_.uses_flat_scratch, 0
	.set _ZN7rocprim17ROCPRIM_400000_NS6detail17trampoline_kernelINS0_14default_configENS1_35radix_sort_onesweep_config_selectorIbiEEZZNS1_29radix_sort_onesweep_iterationIS3_Lb0EN6thrust23THRUST_200600_302600_NS6detail15normal_iteratorINS8_10device_ptrIbEEEESD_NSA_INSB_IiEEEESF_jNS0_19identity_decomposerENS1_16block_id_wrapperIjLb1EEEEE10hipError_tT1_PNSt15iterator_traitsISK_E10value_typeET2_T3_PNSL_ISQ_E10value_typeET4_T5_PSV_SW_PNS1_23onesweep_lookback_stateEbbT6_jjT7_P12ihipStream_tbENKUlT_T0_SK_SP_E_clIPbSD_PiSF_EEDaS13_S14_SK_SP_EUlS13_E_NS1_11comp_targetILNS1_3genE0ELNS1_11target_archE4294967295ELNS1_3gpuE0ELNS1_3repE0EEENS1_47radix_sort_onesweep_sort_config_static_selectorELNS0_4arch9wavefront6targetE1EEEvSK_.has_dyn_sized_stack, 0
	.set _ZN7rocprim17ROCPRIM_400000_NS6detail17trampoline_kernelINS0_14default_configENS1_35radix_sort_onesweep_config_selectorIbiEEZZNS1_29radix_sort_onesweep_iterationIS3_Lb0EN6thrust23THRUST_200600_302600_NS6detail15normal_iteratorINS8_10device_ptrIbEEEESD_NSA_INSB_IiEEEESF_jNS0_19identity_decomposerENS1_16block_id_wrapperIjLb1EEEEE10hipError_tT1_PNSt15iterator_traitsISK_E10value_typeET2_T3_PNSL_ISQ_E10value_typeET4_T5_PSV_SW_PNS1_23onesweep_lookback_stateEbbT6_jjT7_P12ihipStream_tbENKUlT_T0_SK_SP_E_clIPbSD_PiSF_EEDaS13_S14_SK_SP_EUlS13_E_NS1_11comp_targetILNS1_3genE0ELNS1_11target_archE4294967295ELNS1_3gpuE0ELNS1_3repE0EEENS1_47radix_sort_onesweep_sort_config_static_selectorELNS0_4arch9wavefront6targetE1EEEvSK_.has_recursion, 0
	.set _ZN7rocprim17ROCPRIM_400000_NS6detail17trampoline_kernelINS0_14default_configENS1_35radix_sort_onesweep_config_selectorIbiEEZZNS1_29radix_sort_onesweep_iterationIS3_Lb0EN6thrust23THRUST_200600_302600_NS6detail15normal_iteratorINS8_10device_ptrIbEEEESD_NSA_INSB_IiEEEESF_jNS0_19identity_decomposerENS1_16block_id_wrapperIjLb1EEEEE10hipError_tT1_PNSt15iterator_traitsISK_E10value_typeET2_T3_PNSL_ISQ_E10value_typeET4_T5_PSV_SW_PNS1_23onesweep_lookback_stateEbbT6_jjT7_P12ihipStream_tbENKUlT_T0_SK_SP_E_clIPbSD_PiSF_EEDaS13_S14_SK_SP_EUlS13_E_NS1_11comp_targetILNS1_3genE0ELNS1_11target_archE4294967295ELNS1_3gpuE0ELNS1_3repE0EEENS1_47radix_sort_onesweep_sort_config_static_selectorELNS0_4arch9wavefront6targetE1EEEvSK_.has_indirect_call, 0
	.section	.AMDGPU.csdata,"",@progbits
; Kernel info:
; codeLenInByte = 0
; TotalNumSgprs: 6
; NumVgprs: 0
; NumAgprs: 0
; TotalNumVgprs: 0
; ScratchSize: 0
; MemoryBound: 0
; FloatMode: 240
; IeeeMode: 1
; LDSByteSize: 0 bytes/workgroup (compile time only)
; SGPRBlocks: 0
; VGPRBlocks: 0
; NumSGPRsForWavesPerEU: 6
; NumVGPRsForWavesPerEU: 1
; AccumOffset: 4
; Occupancy: 8
; WaveLimiterHint : 0
; COMPUTE_PGM_RSRC2:SCRATCH_EN: 0
; COMPUTE_PGM_RSRC2:USER_SGPR: 2
; COMPUTE_PGM_RSRC2:TRAP_HANDLER: 0
; COMPUTE_PGM_RSRC2:TGID_X_EN: 1
; COMPUTE_PGM_RSRC2:TGID_Y_EN: 0
; COMPUTE_PGM_RSRC2:TGID_Z_EN: 0
; COMPUTE_PGM_RSRC2:TIDIG_COMP_CNT: 0
; COMPUTE_PGM_RSRC3_GFX90A:ACCUM_OFFSET: 0
; COMPUTE_PGM_RSRC3_GFX90A:TG_SPLIT: 0
	.section	.text._ZN7rocprim17ROCPRIM_400000_NS6detail17trampoline_kernelINS0_14default_configENS1_35radix_sort_onesweep_config_selectorIbiEEZZNS1_29radix_sort_onesweep_iterationIS3_Lb0EN6thrust23THRUST_200600_302600_NS6detail15normal_iteratorINS8_10device_ptrIbEEEESD_NSA_INSB_IiEEEESF_jNS0_19identity_decomposerENS1_16block_id_wrapperIjLb1EEEEE10hipError_tT1_PNSt15iterator_traitsISK_E10value_typeET2_T3_PNSL_ISQ_E10value_typeET4_T5_PSV_SW_PNS1_23onesweep_lookback_stateEbbT6_jjT7_P12ihipStream_tbENKUlT_T0_SK_SP_E_clIPbSD_PiSF_EEDaS13_S14_SK_SP_EUlS13_E_NS1_11comp_targetILNS1_3genE6ELNS1_11target_archE950ELNS1_3gpuE13ELNS1_3repE0EEENS1_47radix_sort_onesweep_sort_config_static_selectorELNS0_4arch9wavefront6targetE1EEEvSK_,"axG",@progbits,_ZN7rocprim17ROCPRIM_400000_NS6detail17trampoline_kernelINS0_14default_configENS1_35radix_sort_onesweep_config_selectorIbiEEZZNS1_29radix_sort_onesweep_iterationIS3_Lb0EN6thrust23THRUST_200600_302600_NS6detail15normal_iteratorINS8_10device_ptrIbEEEESD_NSA_INSB_IiEEEESF_jNS0_19identity_decomposerENS1_16block_id_wrapperIjLb1EEEEE10hipError_tT1_PNSt15iterator_traitsISK_E10value_typeET2_T3_PNSL_ISQ_E10value_typeET4_T5_PSV_SW_PNS1_23onesweep_lookback_stateEbbT6_jjT7_P12ihipStream_tbENKUlT_T0_SK_SP_E_clIPbSD_PiSF_EEDaS13_S14_SK_SP_EUlS13_E_NS1_11comp_targetILNS1_3genE6ELNS1_11target_archE950ELNS1_3gpuE13ELNS1_3repE0EEENS1_47radix_sort_onesweep_sort_config_static_selectorELNS0_4arch9wavefront6targetE1EEEvSK_,comdat
	.protected	_ZN7rocprim17ROCPRIM_400000_NS6detail17trampoline_kernelINS0_14default_configENS1_35radix_sort_onesweep_config_selectorIbiEEZZNS1_29radix_sort_onesweep_iterationIS3_Lb0EN6thrust23THRUST_200600_302600_NS6detail15normal_iteratorINS8_10device_ptrIbEEEESD_NSA_INSB_IiEEEESF_jNS0_19identity_decomposerENS1_16block_id_wrapperIjLb1EEEEE10hipError_tT1_PNSt15iterator_traitsISK_E10value_typeET2_T3_PNSL_ISQ_E10value_typeET4_T5_PSV_SW_PNS1_23onesweep_lookback_stateEbbT6_jjT7_P12ihipStream_tbENKUlT_T0_SK_SP_E_clIPbSD_PiSF_EEDaS13_S14_SK_SP_EUlS13_E_NS1_11comp_targetILNS1_3genE6ELNS1_11target_archE950ELNS1_3gpuE13ELNS1_3repE0EEENS1_47radix_sort_onesweep_sort_config_static_selectorELNS0_4arch9wavefront6targetE1EEEvSK_ ; -- Begin function _ZN7rocprim17ROCPRIM_400000_NS6detail17trampoline_kernelINS0_14default_configENS1_35radix_sort_onesweep_config_selectorIbiEEZZNS1_29radix_sort_onesweep_iterationIS3_Lb0EN6thrust23THRUST_200600_302600_NS6detail15normal_iteratorINS8_10device_ptrIbEEEESD_NSA_INSB_IiEEEESF_jNS0_19identity_decomposerENS1_16block_id_wrapperIjLb1EEEEE10hipError_tT1_PNSt15iterator_traitsISK_E10value_typeET2_T3_PNSL_ISQ_E10value_typeET4_T5_PSV_SW_PNS1_23onesweep_lookback_stateEbbT6_jjT7_P12ihipStream_tbENKUlT_T0_SK_SP_E_clIPbSD_PiSF_EEDaS13_S14_SK_SP_EUlS13_E_NS1_11comp_targetILNS1_3genE6ELNS1_11target_archE950ELNS1_3gpuE13ELNS1_3repE0EEENS1_47radix_sort_onesweep_sort_config_static_selectorELNS0_4arch9wavefront6targetE1EEEvSK_
	.globl	_ZN7rocprim17ROCPRIM_400000_NS6detail17trampoline_kernelINS0_14default_configENS1_35radix_sort_onesweep_config_selectorIbiEEZZNS1_29radix_sort_onesweep_iterationIS3_Lb0EN6thrust23THRUST_200600_302600_NS6detail15normal_iteratorINS8_10device_ptrIbEEEESD_NSA_INSB_IiEEEESF_jNS0_19identity_decomposerENS1_16block_id_wrapperIjLb1EEEEE10hipError_tT1_PNSt15iterator_traitsISK_E10value_typeET2_T3_PNSL_ISQ_E10value_typeET4_T5_PSV_SW_PNS1_23onesweep_lookback_stateEbbT6_jjT7_P12ihipStream_tbENKUlT_T0_SK_SP_E_clIPbSD_PiSF_EEDaS13_S14_SK_SP_EUlS13_E_NS1_11comp_targetILNS1_3genE6ELNS1_11target_archE950ELNS1_3gpuE13ELNS1_3repE0EEENS1_47radix_sort_onesweep_sort_config_static_selectorELNS0_4arch9wavefront6targetE1EEEvSK_
	.p2align	8
	.type	_ZN7rocprim17ROCPRIM_400000_NS6detail17trampoline_kernelINS0_14default_configENS1_35radix_sort_onesweep_config_selectorIbiEEZZNS1_29radix_sort_onesweep_iterationIS3_Lb0EN6thrust23THRUST_200600_302600_NS6detail15normal_iteratorINS8_10device_ptrIbEEEESD_NSA_INSB_IiEEEESF_jNS0_19identity_decomposerENS1_16block_id_wrapperIjLb1EEEEE10hipError_tT1_PNSt15iterator_traitsISK_E10value_typeET2_T3_PNSL_ISQ_E10value_typeET4_T5_PSV_SW_PNS1_23onesweep_lookback_stateEbbT6_jjT7_P12ihipStream_tbENKUlT_T0_SK_SP_E_clIPbSD_PiSF_EEDaS13_S14_SK_SP_EUlS13_E_NS1_11comp_targetILNS1_3genE6ELNS1_11target_archE950ELNS1_3gpuE13ELNS1_3repE0EEENS1_47radix_sort_onesweep_sort_config_static_selectorELNS0_4arch9wavefront6targetE1EEEvSK_,@function
_ZN7rocprim17ROCPRIM_400000_NS6detail17trampoline_kernelINS0_14default_configENS1_35radix_sort_onesweep_config_selectorIbiEEZZNS1_29radix_sort_onesweep_iterationIS3_Lb0EN6thrust23THRUST_200600_302600_NS6detail15normal_iteratorINS8_10device_ptrIbEEEESD_NSA_INSB_IiEEEESF_jNS0_19identity_decomposerENS1_16block_id_wrapperIjLb1EEEEE10hipError_tT1_PNSt15iterator_traitsISK_E10value_typeET2_T3_PNSL_ISQ_E10value_typeET4_T5_PSV_SW_PNS1_23onesweep_lookback_stateEbbT6_jjT7_P12ihipStream_tbENKUlT_T0_SK_SP_E_clIPbSD_PiSF_EEDaS13_S14_SK_SP_EUlS13_E_NS1_11comp_targetILNS1_3genE6ELNS1_11target_archE950ELNS1_3gpuE13ELNS1_3repE0EEENS1_47radix_sort_onesweep_sort_config_static_selectorELNS0_4arch9wavefront6targetE1EEEvSK_: ; @_ZN7rocprim17ROCPRIM_400000_NS6detail17trampoline_kernelINS0_14default_configENS1_35radix_sort_onesweep_config_selectorIbiEEZZNS1_29radix_sort_onesweep_iterationIS3_Lb0EN6thrust23THRUST_200600_302600_NS6detail15normal_iteratorINS8_10device_ptrIbEEEESD_NSA_INSB_IiEEEESF_jNS0_19identity_decomposerENS1_16block_id_wrapperIjLb1EEEEE10hipError_tT1_PNSt15iterator_traitsISK_E10value_typeET2_T3_PNSL_ISQ_E10value_typeET4_T5_PSV_SW_PNS1_23onesweep_lookback_stateEbbT6_jjT7_P12ihipStream_tbENKUlT_T0_SK_SP_E_clIPbSD_PiSF_EEDaS13_S14_SK_SP_EUlS13_E_NS1_11comp_targetILNS1_3genE6ELNS1_11target_archE950ELNS1_3gpuE13ELNS1_3repE0EEENS1_47radix_sort_onesweep_sort_config_static_selectorELNS0_4arch9wavefront6targetE1EEEvSK_
; %bb.0:
	s_load_dwordx4 s[56:59], s[0:1], 0x28
	s_load_dwordx2 s[64:65], s[0:1], 0x38
	s_load_dwordx4 s[60:63], s[0:1], 0x44
	v_and_b32_e32 v16, 0x3ff, v0
	v_cmp_eq_u32_e64 s[44:45], 0, v16
	s_and_saveexec_b64 s[4:5], s[44:45]
	s_cbranch_execz .LBB2060_4
; %bb.1:
	s_mov_b64 s[8:9], exec
	v_mbcnt_lo_u32_b32 v1, s8, 0
	v_mbcnt_hi_u32_b32 v1, s9, v1
	v_cmp_eq_u32_e32 vcc, 0, v1
                                        ; implicit-def: $vgpr2
	s_and_saveexec_b64 s[6:7], vcc
	s_cbranch_execz .LBB2060_3
; %bb.2:
	s_load_dwordx2 s[10:11], s[0:1], 0x50
	s_bcnt1_i32_b64 s3, s[8:9]
	v_mov_b32_e32 v2, 0
	v_mov_b32_e32 v3, s3
	s_waitcnt lgkmcnt(0)
	global_atomic_add v2, v2, v3, s[10:11] sc0
.LBB2060_3:
	s_or_b64 exec, exec, s[6:7]
	s_waitcnt vmcnt(0)
	v_readfirstlane_b32 s3, v2
	v_mov_b32_e32 v2, 0
	s_nop 0
	v_add_u32_e32 v1, s3, v1
	ds_write_b32 v2, v1 offset:20544
.LBB2060_4:
	s_or_b64 exec, exec, s[4:5]
	v_mov_b32_e32 v3, 0
	s_load_dwordx8 s[48:55], s[0:1], 0x0
	s_load_dword s3, s[0:1], 0x20
	s_waitcnt lgkmcnt(0)
	s_barrier
	ds_read_b32 v1, v3 offset:20544
	s_mov_b64 s[4:5], -1
	v_mbcnt_lo_u32_b32 v12, -1, 0
	s_waitcnt lgkmcnt(0)
	s_barrier
	v_cmp_le_u32_e32 vcc, s62, v1
	v_readfirstlane_b32 s33, v1
	v_lshlrev_b32_e32 v1, 4, v16
	s_cbranch_vccz .LBB2060_198
; %bb.5:
	s_lshl_b32 s4, s62, 14
	s_sub_i32 s3, s3, s4
	s_lshl_b32 s62, s33, 14
	s_add_u32 s4, s48, s62
	v_mbcnt_hi_u32_b32 v33, -1, v12
	s_addc_u32 s5, s49, 0
	v_and_b32_e32 v2, 63, v33
	v_and_b32_e32 v4, 0x3c00, v1
	v_lshl_add_u64 v[6:7], s[4:5], 0, v[2:3]
	v_mov_b32_e32 v5, v3
	v_or_b32_e32 v9, v2, v4
	s_mov_b32 s63, 0
	v_lshl_add_u64 v[6:7], v[6:7], 0, v[4:5]
	v_cmp_gt_u32_e32 vcc, s3, v9
	v_mov_b32_e32 v8, 1
	v_mov_b32_e32 v3, 1
	;; [unrolled: 1-line block ×3, first 2 shown]
	s_and_saveexec_b64 s[4:5], vcc
	s_cbranch_execz .LBB2060_7
; %bb.6:
	global_load_ubyte v10, v[6:7], off
	s_waitcnt vmcnt(0)
	v_and_b32_e32 v8, 1, v10
.LBB2060_7:
	s_or_b64 exec, exec, s[4:5]
	v_or_b32_e32 v5, 64, v9
	v_cmp_gt_u32_e64 s[4:5], s3, v5
	v_mov_b32_e32 v5, 1
	s_and_saveexec_b64 s[6:7], s[4:5]
	s_cbranch_execz .LBB2060_9
; %bb.8:
	global_load_ubyte v3, v[6:7], off offset:64
	s_waitcnt vmcnt(0)
	v_and_b32_e32 v5, 1, v3
.LBB2060_9:
	s_or_b64 exec, exec, s[6:7]
	v_or_b32_e32 v11, 0x80, v9
	v_cmp_gt_u32_e64 s[6:7], s3, v11
	v_mov_b32_e32 v14, 1
	v_mov_b32_e32 v11, 1
	v_mov_b32_e32 v28, 1
	s_and_saveexec_b64 s[8:9], s[6:7]
	s_cbranch_execz .LBB2060_11
; %bb.10:
	global_load_ubyte v28, v[6:7], off offset:128
	s_waitcnt vmcnt(0)
	v_and_b32_e32 v14, 1, v28
.LBB2060_11:
	s_or_b64 exec, exec, s[8:9]
	v_or_b32_e32 v13, 0xc0, v9
	v_cmp_gt_u32_e64 s[8:9], s3, v13
	v_mov_b32_e32 v17, 1
	s_and_saveexec_b64 s[10:11], s[8:9]
	s_cbranch_execz .LBB2060_13
; %bb.12:
	global_load_ubyte v11, v[6:7], off offset:192
	s_waitcnt vmcnt(0)
	v_and_b32_e32 v17, 1, v11
.LBB2060_13:
	s_or_b64 exec, exec, s[10:11]
	v_or_b32_e32 v13, 0x100, v9
	v_cmp_gt_u32_e64 s[10:11], s3, v13
	v_mov_b32_e32 v19, 1
	v_mov_b32_e32 v30, 1
	v_mov_b32_e32 v31, 1
	s_and_saveexec_b64 s[12:13], s[10:11]
	s_cbranch_execz .LBB2060_15
; %bb.14:
	global_load_ubyte v31, v[6:7], off offset:256
	s_waitcnt vmcnt(0)
	v_and_b32_e32 v19, 1, v31
.LBB2060_15:
	;; [unrolled: 24-line block ×7, first 2 shown]
	s_or_b64 exec, exec, s[34:35]
	v_or_b32_e32 v9, 0x3c0, v9
	v_cmp_gt_u32_e64 s[34:35], s3, v9
	v_mov_b32_e32 v57, 1
	s_and_saveexec_b64 s[36:37], s[34:35]
	s_cbranch_execz .LBB2060_37
; %bb.36:
	global_load_ubyte v52, v[6:7], off offset:960
	s_waitcnt vmcnt(0)
	v_and_b32_e32 v57, 1, v52
.LBB2060_37:
	s_or_b64 exec, exec, s[36:37]
	s_load_dword s36, s[0:1], 0x64
	s_load_dword s68, s[0:1], 0x58
	s_add_u32 s37, s0, 0x58
	s_addc_u32 s38, s1, 0
	v_mov_b32_e32 v7, 0
	s_waitcnt lgkmcnt(0)
	s_lshr_b32 s39, s36, 16
	s_cmp_lt_u32 s2, s68
	s_cselect_b32 s36, 12, 18
	s_add_u32 s36, s37, s36
	s_addc_u32 s37, s38, 0
	global_load_ushort v13, v7, s[36:37]
	v_bfe_u32 v6, v0, 10, 10
	v_bfe_u32 v9, v0, 20, 10
	v_lshrrev_b32_e32 v8, s60, v8
	s_lshl_b32 s36, -1, s61
	v_mad_u32_u24 v15, v9, s39, v6
	v_bitop3_b32 v6, v8, s36, v8 bitop3:0x30
	s_not_b32 s69, s36
	v_cmp_ne_u32_e64 s[36:37], 0, v6
	v_lshl_add_u64 v[8:9], v[6:7], 0, -1
	v_mul_u32_u24_e32 v18, 0x44, v6
	v_xor_b32_e32 v8, s36, v8
	v_xor_b32_e32 v6, s37, v9
	v_and_b32_e32 v8, exec_lo, v8
	v_and_b32_e32 v9, exec_hi, v6
	v_mbcnt_lo_u32_b32 v6, v8, 0
	v_mbcnt_hi_u32_b32 v46, v9, v6
	v_cmp_ne_u64_e64 s[36:37], 0, v[8:9]
	v_cmp_eq_u32_e64 s[38:39], 0, v46
	v_mul_u32_u24_e32 v42, 20, v16
	s_movk_i32 s40, 0x44
	s_and_b64 s[38:39], s[36:37], s[38:39]
	ds_write2_b32 v42, v7, v7 offset0:16 offset1:17
	ds_write2_b32 v42, v7, v7 offset0:18 offset1:19
	ds_write_b32 v42, v7 offset:80
	s_waitcnt lgkmcnt(0)
	s_barrier
	s_waitcnt vmcnt(0)
	; wave barrier
	v_mad_u64_u32 v[58:59], s[42:43], v15, v13, v[16:17]
	v_lshrrev_b32_e32 v6, 4, v58
	v_and_b32_e32 v63, 0xffffffc, v6
	v_add_u32_e32 v59, v63, v18
	s_and_saveexec_b64 s[36:37], s[38:39]
; %bb.38:
	v_bcnt_u32_b32 v6, v8, 0
	v_bcnt_u32_b32 v6, v9, v6
	ds_write_b32 v59, v6 offset:64
; %bb.39:
	s_or_b64 exec, exec, s[36:37]
	v_lshrrev_b32_e32 v5, s60, v5
	v_and_b32_e32 v6, s69, v5
	v_mul_u32_u24_e32 v8, 0x44, v6
	v_mad_u32_u24 v5, v6, s40, v63
	v_cmp_ne_u32_e64 s[36:37], 0, v6
	v_lshl_add_u64 v[6:7], v[6:7], 0, -1
	s_nop 0
	v_xor_b32_e32 v6, s36, v6
	; wave barrier
	ds_read_b32 v5, v5 offset:64
	v_xor_b32_e32 v7, s37, v7
	v_and_b32_e32 v6, exec_lo, v6
	v_and_b32_e32 v7, exec_hi, v7
	v_mbcnt_lo_u32_b32 v9, v6, 0
	v_mbcnt_hi_u32_b32 v13, v7, v9
	v_cmp_eq_u32_e64 s[36:37], 0, v13
	v_cmp_ne_u64_e64 s[38:39], 0, v[6:7]
	s_and_b64 s[38:39], s[38:39], s[36:37]
	v_add_u32_e32 v60, v63, v8
	; wave barrier
	s_and_saveexec_b64 s[36:37], s[38:39]
	s_cbranch_execz .LBB2060_41
; %bb.40:
	v_bcnt_u32_b32 v6, v6, 0
	v_bcnt_u32_b32 v6, v7, v6
	s_waitcnt lgkmcnt(0)
	v_add_u32_e32 v6, v5, v6
	ds_write_b32 v60, v6 offset:64
.LBB2060_41:
	s_or_b64 exec, exec, s[36:37]
	v_lshrrev_b32_e32 v6, s60, v14
	v_and_b32_e32 v6, s69, v6
	v_mad_u32_u24 v7, v6, s40, v63
	; wave barrier
	ds_read_b32 v14, v7 offset:64
	v_mov_b32_e32 v7, 0
	v_cmp_ne_u32_e64 s[36:37], 0, v6
	v_lshl_add_u64 v[8:9], v[6:7], 0, -1
	v_mul_u32_u24_e32 v18, 0x44, v6
	v_xor_b32_e32 v8, s36, v8
	v_xor_b32_e32 v6, s37, v9
	v_and_b32_e32 v8, exec_lo, v8
	v_and_b32_e32 v9, exec_hi, v6
	v_mbcnt_lo_u32_b32 v6, v8, 0
	v_mbcnt_hi_u32_b32 v15, v9, v6
	v_cmp_eq_u32_e64 s[36:37], 0, v15
	v_cmp_ne_u64_e64 s[38:39], 0, v[8:9]
	s_and_b64 s[38:39], s[38:39], s[36:37]
	v_add_u32_e32 v61, v63, v18
	; wave barrier
	s_and_saveexec_b64 s[36:37], s[38:39]
	s_cbranch_execz .LBB2060_43
; %bb.42:
	v_bcnt_u32_b32 v6, v8, 0
	v_bcnt_u32_b32 v6, v9, v6
	s_waitcnt lgkmcnt(0)
	v_add_u32_e32 v6, v14, v6
	ds_write_b32 v61, v6 offset:64
.LBB2060_43:
	s_or_b64 exec, exec, s[36:37]
	v_lshrrev_b32_e32 v6, s60, v17
	v_and_b32_e32 v6, s69, v6
	v_mul_u32_u24_e32 v8, 0x44, v6
	v_mad_u32_u24 v9, v6, s40, v63
	v_cmp_ne_u32_e64 s[36:37], 0, v6
	v_lshl_add_u64 v[6:7], v[6:7], 0, -1
	s_nop 0
	v_xor_b32_e32 v6, s36, v6
	; wave barrier
	ds_read_b32 v17, v9 offset:64
	v_xor_b32_e32 v7, s37, v7
	v_and_b32_e32 v6, exec_lo, v6
	v_and_b32_e32 v7, exec_hi, v7
	v_mbcnt_lo_u32_b32 v9, v6, 0
	v_mbcnt_hi_u32_b32 v18, v7, v9
	v_cmp_eq_u32_e64 s[36:37], 0, v18
	v_cmp_ne_u64_e64 s[38:39], 0, v[6:7]
	s_and_b64 s[38:39], s[38:39], s[36:37]
	v_add_u32_e32 v62, v63, v8
	; wave barrier
	s_and_saveexec_b64 s[36:37], s[38:39]
	s_cbranch_execz .LBB2060_45
; %bb.44:
	v_bcnt_u32_b32 v6, v6, 0
	v_bcnt_u32_b32 v6, v7, v6
	s_waitcnt lgkmcnt(0)
	v_add_u32_e32 v6, v17, v6
	ds_write_b32 v62, v6 offset:64
.LBB2060_45:
	s_or_b64 exec, exec, s[36:37]
	v_lshrrev_b32_e32 v6, s60, v19
	v_and_b32_e32 v6, s69, v6
	v_mad_u32_u24 v7, v6, s40, v63
	; wave barrier
	ds_read_b32 v19, v7 offset:64
	v_mov_b32_e32 v7, 0
	v_cmp_ne_u32_e64 s[36:37], 0, v6
	v_lshl_add_u64 v[8:9], v[6:7], 0, -1
	v_mul_u32_u24_e32 v22, 0x44, v6
	v_xor_b32_e32 v8, s36, v8
	v_xor_b32_e32 v6, s37, v9
	v_and_b32_e32 v8, exec_lo, v8
	v_and_b32_e32 v9, exec_hi, v6
	v_mbcnt_lo_u32_b32 v6, v8, 0
	v_mbcnt_hi_u32_b32 v20, v9, v6
	v_cmp_eq_u32_e64 s[36:37], 0, v20
	v_cmp_ne_u64_e64 s[38:39], 0, v[8:9]
	s_and_b64 s[38:39], s[38:39], s[36:37]
	v_add_u32_e32 v64, v63, v22
	; wave barrier
	s_and_saveexec_b64 s[36:37], s[38:39]
	s_cbranch_execz .LBB2060_47
; %bb.46:
	v_bcnt_u32_b32 v6, v8, 0
	v_bcnt_u32_b32 v6, v9, v6
	s_waitcnt lgkmcnt(0)
	v_add_u32_e32 v6, v19, v6
	ds_write_b32 v64, v6 offset:64
.LBB2060_47:
	;; [unrolled: 60-line block ×7, first 2 shown]
	s_or_b64 exec, exec, s[36:37]
	v_lshrrev_b32_e32 v6, s60, v57
	v_and_b32_e32 v6, s69, v6
	v_mul_u32_u24_e32 v8, 0x44, v6
	v_mad_u32_u24 v9, v6, s40, v63
	v_cmp_ne_u32_e64 s[36:37], 0, v6
	v_lshl_add_u64 v[6:7], v[6:7], 0, -1
	s_nop 0
	v_xor_b32_e32 v6, s36, v6
	; wave barrier
	ds_read_b32 v57, v9 offset:64
	v_xor_b32_e32 v7, s37, v7
	v_and_b32_e32 v6, exec_lo, v6
	v_and_b32_e32 v7, exec_hi, v7
	v_mbcnt_lo_u32_b32 v9, v6, 0
	v_mbcnt_hi_u32_b32 v58, v7, v9
	v_cmp_eq_u32_e64 s[36:37], 0, v58
	v_cmp_ne_u64_e64 s[38:39], 0, v[6:7]
	s_and_b64 s[38:39], s[38:39], s[36:37]
	v_add_u32_e32 v75, v63, v8
	; wave barrier
	s_and_saveexec_b64 s[36:37], s[38:39]
	s_cbranch_execz .LBB2060_69
; %bb.68:
	v_bcnt_u32_b32 v6, v6, 0
	v_bcnt_u32_b32 v6, v7, v6
	s_waitcnt lgkmcnt(0)
	v_add_u32_e32 v6, v57, v6
	ds_write_b32 v75, v6 offset:64
.LBB2060_69:
	s_or_b64 exec, exec, s[36:37]
	; wave barrier
	s_waitcnt lgkmcnt(0)
	s_barrier
	ds_read2_b32 v[8:9], v42 offset0:16 offset1:17
	ds_read2_b32 v[6:7], v42 offset0:18 offset1:19
	ds_read_b32 v63, v42 offset:80
	v_cmp_lt_u32_e64 s[46:47], 31, v33
	s_waitcnt lgkmcnt(1)
	v_add3_u32 v76, v9, v8, v6
	s_waitcnt lgkmcnt(0)
	v_add3_u32 v63, v76, v7, v63
	v_and_b32_e32 v76, 15, v33
	v_cmp_eq_u32_e64 s[36:37], 0, v76
	v_mov_b32_dpp v77, v63 row_shr:1 row_mask:0xf bank_mask:0xf
	v_cmp_lt_u32_e64 s[38:39], 1, v76
	v_cndmask_b32_e64 v77, v77, 0, s[36:37]
	v_add_u32_e32 v63, v77, v63
	v_cmp_lt_u32_e64 s[40:41], 3, v76
	v_cmp_lt_u32_e64 s[42:43], 7, v76
	v_mov_b32_dpp v77, v63 row_shr:2 row_mask:0xf bank_mask:0xf
	v_cndmask_b32_e64 v77, 0, v77, s[38:39]
	v_add_u32_e32 v63, v63, v77
	s_nop 1
	v_mov_b32_dpp v77, v63 row_shr:4 row_mask:0xf bank_mask:0xf
	v_cndmask_b32_e64 v77, 0, v77, s[40:41]
	v_add_u32_e32 v63, v63, v77
	s_nop 1
	v_mov_b32_dpp v77, v63 row_shr:8 row_mask:0xf bank_mask:0xf
	v_cndmask_b32_e64 v76, 0, v77, s[42:43]
	v_add_u32_e32 v63, v63, v76
	v_bfe_i32 v77, v33, 4, 1
	s_nop 0
	v_mov_b32_dpp v76, v63 row_bcast:15 row_mask:0xf bank_mask:0xf
	v_and_b32_e32 v76, v77, v76
	v_add_u32_e32 v63, v63, v76
	v_and_b32_e32 v77, 63, v16
	s_nop 0
	v_mov_b32_dpp v76, v63 row_bcast:31 row_mask:0xf bank_mask:0xf
	v_cndmask_b32_e64 v76, 0, v76, s[46:47]
	v_add_u32_e32 v63, v63, v76
	v_lshrrev_b32_e32 v76, 6, v16
	v_cmp_eq_u32_e64 s[46:47], 63, v77
	s_and_saveexec_b64 s[66:67], s[46:47]
; %bb.70:
	v_lshlrev_b32_e32 v77, 2, v76
	ds_write_b32 v77, v63
; %bb.71:
	s_or_b64 exec, exec, s[66:67]
	v_cmp_gt_u32_e64 s[46:47], 16, v16
	s_waitcnt lgkmcnt(0)
	s_barrier
	s_and_saveexec_b64 s[66:67], s[46:47]
	s_cbranch_execz .LBB2060_73
; %bb.72:
	v_lshlrev_b32_e32 v77, 2, v16
	ds_read_b32 v78, v77
	s_waitcnt lgkmcnt(0)
	s_nop 0
	v_mov_b32_dpp v79, v78 row_shr:1 row_mask:0xf bank_mask:0xf
	v_cndmask_b32_e64 v79, v79, 0, s[36:37]
	v_add_u32_e32 v78, v79, v78
	s_nop 1
	v_mov_b32_dpp v79, v78 row_shr:2 row_mask:0xf bank_mask:0xf
	v_cndmask_b32_e64 v79, 0, v79, s[38:39]
	v_add_u32_e32 v78, v78, v79
	;; [unrolled: 4-line block ×4, first 2 shown]
	ds_write_b32 v77, v78
.LBB2060_73:
	s_or_b64 exec, exec, s[66:67]
	v_cmp_lt_u32_e64 s[36:37], 63, v16
	v_mov_b32_e32 v77, 0
	s_waitcnt lgkmcnt(0)
	s_barrier
	s_and_saveexec_b64 s[38:39], s[36:37]
; %bb.74:
	v_lshl_add_u32 v76, v76, 2, -4
	ds_read_b32 v77, v76
; %bb.75:
	s_or_b64 exec, exec, s[38:39]
	v_subrev_co_u32_e64 v76, s[36:37], 1, v33
	v_and_b32_e32 v78, 64, v33
	v_cmp_lt_i32_e64 s[38:39], v76, v78
	s_waitcnt lgkmcnt(0)
	v_add_u32_e32 v63, v77, v63
	s_movk_i32 s40, 0x100
	v_cndmask_b32_e64 v33, v76, v33, s[38:39]
	v_lshlrev_b32_e32 v33, 2, v33
	ds_bpermute_b32 v33, v33, v63
	v_cmp_gt_u32_e64 s[38:39], s40, v16
	s_waitcnt lgkmcnt(0)
	v_cndmask_b32_e64 v33, v33, v77, s[36:37]
	v_cndmask_b32_e64 v33, v33, 0, s[44:45]
	v_add_u32_e32 v8, v33, v8
	v_add_u32_e32 v9, v8, v9
	;; [unrolled: 1-line block ×4, first 2 shown]
	ds_write2_b32 v42, v33, v8 offset0:16 offset1:17
	ds_write2_b32 v42, v9, v6 offset0:18 offset1:19
	ds_write_b32 v42, v7 offset:80
	s_waitcnt lgkmcnt(0)
	s_barrier
	ds_read_b32 v6, v59 offset:64
	ds_read_b32 v59, v60 offset:64
	;; [unrolled: 1-line block ×16, first 2 shown]
	s_movk_i32 s36, 0xff
	v_cmp_lt_u32_e64 s[36:37], s36, v16
                                        ; implicit-def: $vgpr33
                                        ; implicit-def: $vgpr42
	s_and_saveexec_b64 s[42:43], s[38:39]
	s_cbranch_execz .LBB2060_79
; %bb.76:
	v_mul_u32_u24_e32 v7, 0x44, v16
	ds_read_b32 v33, v7 offset:64
	v_add_u32_e32 v8, 1, v16
	v_cmp_ne_u32_e64 s[40:41], s40, v8
	v_mov_b32_e32 v7, 0x4000
	s_and_saveexec_b64 s[46:47], s[40:41]
; %bb.77:
	v_mul_u32_u24_e32 v7, 0x44, v8
	ds_read_b32 v7, v7 offset:64
; %bb.78:
	s_or_b64 exec, exec, s[46:47]
	s_waitcnt lgkmcnt(0)
	v_sub_u32_e32 v42, v7, v33
.LBB2060_79:
	s_or_b64 exec, exec, s[42:43]
	s_waitcnt lgkmcnt(14)
	v_add_u32_e32 v46, v6, v46
	v_add3_u32 v74, v13, v5, v59
	s_waitcnt lgkmcnt(13)
	v_add3_u32 v75, v15, v14, v60
	s_waitcnt lgkmcnt(12)
	;; [unrolled: 2-line block ×14, first 2 shown]
	v_add3_u32 v88, v58, v57, v73
	s_barrier
	ds_write_b8 v46, v10 offset:1024
	ds_write_b8 v74, v3 offset:1024
	;; [unrolled: 1-line block ×16, first 2 shown]
	v_mov_b32_e32 v7, 0
	v_lshlrev_b32_e32 v28, 2, v16
	s_and_saveexec_b64 s[40:41], s[38:39]
	s_cbranch_execz .LBB2060_89
; %bb.80:
	v_lshl_add_u32 v6, s33, 8, v16
	v_lshl_add_u64 v[8:9], v[6:7], 2, s[64:65]
	v_or_b32_e32 v3, 2.0, v42
	global_store_dword v[8:9], v3, off sc1
	s_mov_b64 s[42:43], 0
	s_brev_b32 s70, -4
	s_mov_b32 s71, s33
	v_mov_b32_e32 v3, 0
                                        ; implicit-def: $sgpr38_sgpr39
	s_branch .LBB2060_83
.LBB2060_81:                            ;   in Loop: Header=BB2060_83 Depth=1
	s_or_b64 exec, exec, s[66:67]
.LBB2060_82:                            ;   in Loop: Header=BB2060_83 Depth=1
	s_or_b64 exec, exec, s[46:47]
	v_and_b32_e32 v10, 0x3fffffff, v6
	v_add_u32_e32 v3, v10, v3
	v_cmp_gt_i32_e64 s[38:39], -2.0, v6
	s_and_b64 s[46:47], exec, s[38:39]
	s_or_b64 s[42:43], s[46:47], s[42:43]
	s_andn2_b64 exec, exec, s[42:43]
	s_cbranch_execz .LBB2060_88
.LBB2060_83:                            ; =>This Loop Header: Depth=1
                                        ;     Child Loop BB2060_86 Depth 2
	s_or_b64 s[38:39], s[38:39], exec
	s_cmp_eq_u32 s71, 0
	s_cbranch_scc1 .LBB2060_87
; %bb.84:                               ;   in Loop: Header=BB2060_83 Depth=1
	s_add_i32 s71, s71, -1
	v_lshl_or_b32 v6, s71, 8, v16
	v_lshl_add_u64 v[10:11], v[6:7], 2, s[64:65]
	global_load_dword v6, v[10:11], off sc1
	s_waitcnt vmcnt(0)
	v_cmp_gt_u32_e64 s[38:39], 2.0, v6
	s_and_saveexec_b64 s[46:47], s[38:39]
	s_cbranch_execz .LBB2060_82
; %bb.85:                               ;   in Loop: Header=BB2060_83 Depth=1
	s_mov_b64 s[66:67], 0
.LBB2060_86:                            ;   Parent Loop BB2060_83 Depth=1
                                        ; =>  This Inner Loop Header: Depth=2
	global_load_dword v6, v[10:11], off sc1
	s_waitcnt vmcnt(0)
	v_cmp_lt_u32_e64 s[38:39], s70, v6
	s_or_b64 s[66:67], s[38:39], s[66:67]
	s_andn2_b64 exec, exec, s[66:67]
	s_cbranch_execnz .LBB2060_86
	s_branch .LBB2060_81
.LBB2060_87:                            ;   in Loop: Header=BB2060_83 Depth=1
                                        ; implicit-def: $sgpr71
	s_and_b64 s[46:47], exec, s[38:39]
	s_or_b64 s[42:43], s[46:47], s[42:43]
	s_andn2_b64 exec, exec, s[42:43]
	s_cbranch_execnz .LBB2060_83
.LBB2060_88:
	s_or_b64 exec, exec, s[42:43]
	v_add_u32_e32 v6, v3, v42
	v_or_b32_e32 v6, 0x80000000, v6
	global_store_dword v[8:9], v6, off sc1
	global_load_dword v6, v28, s[56:57]
	v_sub_u32_e32 v3, v3, v33
	s_waitcnt vmcnt(0)
	v_add_u32_e32 v3, v3, v6
	ds_write_b32 v28, v3
.LBB2060_89:
	s_or_b64 exec, exec, s[40:41]
	v_cmp_gt_u32_e64 s[38:39], s3, v16
	s_waitcnt lgkmcnt(0)
	s_barrier
	s_and_saveexec_b64 s[40:41], s[38:39]
	s_cbranch_execz .LBB2060_91
; %bb.90:
	ds_read_u8 v3, v16 offset:1024
	s_waitcnt lgkmcnt(0)
	v_and_b32_e32 v6, 1, v3
	v_lshrrev_b32_e32 v6, s60, v6
	v_and_b32_e32 v6, s69, v6
	v_lshlrev_b32_e32 v7, 2, v6
	ds_read_b32 v7, v7
	s_waitcnt lgkmcnt(0)
	v_add_u32_e32 v7, v7, v16
	global_store_byte v7, v3, s[50:51]
	scratch_store_dword off, v6, off
.LBB2060_91:
	s_or_b64 exec, exec, s[40:41]
	v_or_b32_e32 v3, 0x400, v16
	v_cmp_gt_u32_e64 s[38:39], s3, v3
	s_and_saveexec_b64 s[40:41], s[38:39]
	s_cbranch_execz .LBB2060_93
; %bb.92:
	ds_read_u8 v6, v16 offset:2048
	s_waitcnt lgkmcnt(0)
	v_and_b32_e32 v7, 1, v6
	v_lshrrev_b32_e32 v7, s60, v7
	v_and_b32_e32 v7, s69, v7
	v_lshlrev_b32_e32 v8, 2, v7
	ds_read_b32 v8, v8
	s_waitcnt lgkmcnt(0)
	v_add_u32_e32 v3, v8, v3
	global_store_byte v3, v6, s[50:51]
	scratch_store_dword off, v7, off offset:4
.LBB2060_93:
	s_or_b64 exec, exec, s[40:41]
	v_or_b32_e32 v3, 0x800, v16
	v_cmp_gt_u32_e64 s[38:39], s3, v3
	s_and_saveexec_b64 s[40:41], s[38:39]
	s_cbranch_execz .LBB2060_95
; %bb.94:
	ds_read_u8 v6, v16 offset:3072
	s_waitcnt lgkmcnt(0)
	v_and_b32_e32 v7, 1, v6
	v_lshrrev_b32_e32 v7, s60, v7
	v_and_b32_e32 v7, s69, v7
	v_lshlrev_b32_e32 v8, 2, v7
	ds_read_b32 v8, v8
	s_waitcnt lgkmcnt(0)
	v_add_u32_e32 v3, v8, v3
	global_store_byte v3, v6, s[50:51]
	scratch_store_dword off, v7, off offset:8
.LBB2060_95:
	;; [unrolled: 18-line block ×15, first 2 shown]
	s_or_b64 exec, exec, s[40:41]
	s_lshl_b64 s[38:39], s[62:63], 2
	s_add_u32 s38, s52, s38
	s_addc_u32 s39, s53, s39
	v_lshlrev_b32_e32 v2, 2, v2
	v_mov_b32_e32 v3, 0
	v_lshl_add_u64 v[6:7], s[38:39], 0, v[2:3]
	v_lshlrev_b32_e32 v2, 2, v4
	v_lshl_add_u64 v[2:3], v[6:7], 0, v[2:3]
                                        ; implicit-def: $vgpr4
	s_and_saveexec_b64 s[38:39], vcc
	s_xor_b64 s[38:39], exec, s[38:39]
	s_cbranch_execz .LBB2060_137
; %bb.122:
	global_load_dword v4, v[2:3], off
	s_or_b64 exec, exec, s[38:39]
                                        ; implicit-def: $vgpr6
	s_and_saveexec_b64 s[38:39], s[4:5]
	s_cbranch_execnz .LBB2060_138
.LBB2060_123:
	s_or_b64 exec, exec, s[38:39]
                                        ; implicit-def: $vgpr7
	s_and_saveexec_b64 s[4:5], s[6:7]
	s_cbranch_execz .LBB2060_139
.LBB2060_124:
	global_load_dword v7, v[2:3], off offset:512
	s_or_b64 exec, exec, s[4:5]
                                        ; implicit-def: $vgpr8
	s_and_saveexec_b64 s[4:5], s[8:9]
	s_cbranch_execnz .LBB2060_140
.LBB2060_125:
	s_or_b64 exec, exec, s[4:5]
                                        ; implicit-def: $vgpr9
	s_and_saveexec_b64 s[4:5], s[10:11]
	s_cbranch_execz .LBB2060_141
.LBB2060_126:
	global_load_dword v9, v[2:3], off offset:1024
	s_or_b64 exec, exec, s[4:5]
                                        ; implicit-def: $vgpr10
	s_and_saveexec_b64 s[4:5], s[12:13]
	s_cbranch_execnz .LBB2060_142
.LBB2060_127:
	s_or_b64 exec, exec, s[4:5]
                                        ; implicit-def: $vgpr11
	s_and_saveexec_b64 s[4:5], s[14:15]
	s_cbranch_execz .LBB2060_143
.LBB2060_128:
	global_load_dword v11, v[2:3], off offset:1536
	s_or_b64 exec, exec, s[4:5]
                                        ; implicit-def: $vgpr30
	s_and_saveexec_b64 s[4:5], s[16:17]
	s_cbranch_execnz .LBB2060_144
.LBB2060_129:
	s_or_b64 exec, exec, s[4:5]
                                        ; implicit-def: $vgpr31
	s_and_saveexec_b64 s[4:5], s[18:19]
	s_cbranch_execz .LBB2060_145
.LBB2060_130:
	global_load_dword v31, v[2:3], off offset:2048
	s_or_b64 exec, exec, s[4:5]
                                        ; implicit-def: $vgpr35
	s_and_saveexec_b64 s[4:5], s[20:21]
	s_cbranch_execnz .LBB2060_146
.LBB2060_131:
	s_or_b64 exec, exec, s[4:5]
                                        ; implicit-def: $vgpr36
	s_and_saveexec_b64 s[4:5], s[22:23]
	s_cbranch_execz .LBB2060_147
.LBB2060_132:
	global_load_dword v36, v[2:3], off offset:2560
	s_or_b64 exec, exec, s[4:5]
                                        ; implicit-def: $vgpr39
	s_and_saveexec_b64 s[4:5], s[24:25]
	s_cbranch_execnz .LBB2060_148
.LBB2060_133:
	s_or_b64 exec, exec, s[4:5]
                                        ; implicit-def: $vgpr40
	s_and_saveexec_b64 s[4:5], s[26:27]
	s_cbranch_execz .LBB2060_149
.LBB2060_134:
	global_load_dword v40, v[2:3], off offset:3072
	s_or_b64 exec, exec, s[4:5]
                                        ; implicit-def: $vgpr43
	s_and_saveexec_b64 s[4:5], s[28:29]
	s_cbranch_execnz .LBB2060_150
.LBB2060_135:
	s_or_b64 exec, exec, s[4:5]
                                        ; implicit-def: $vgpr45
	s_and_saveexec_b64 s[4:5], s[30:31]
	s_cbranch_execz .LBB2060_151
.LBB2060_136:
	global_load_dword v45, v[2:3], off offset:3584
	s_or_b64 exec, exec, s[4:5]
                                        ; implicit-def: $vgpr48
	s_and_saveexec_b64 s[4:5], s[34:35]
	s_cbranch_execnz .LBB2060_152
	s_branch .LBB2060_153
.LBB2060_137:
	s_or_b64 exec, exec, s[38:39]
                                        ; implicit-def: $vgpr6
	s_and_saveexec_b64 s[38:39], s[4:5]
	s_cbranch_execz .LBB2060_123
.LBB2060_138:
	global_load_dword v6, v[2:3], off offset:256
	s_or_b64 exec, exec, s[38:39]
                                        ; implicit-def: $vgpr7
	s_and_saveexec_b64 s[4:5], s[6:7]
	s_cbranch_execnz .LBB2060_124
.LBB2060_139:
	s_or_b64 exec, exec, s[4:5]
                                        ; implicit-def: $vgpr8
	s_and_saveexec_b64 s[4:5], s[8:9]
	s_cbranch_execz .LBB2060_125
.LBB2060_140:
	global_load_dword v8, v[2:3], off offset:768
	s_or_b64 exec, exec, s[4:5]
                                        ; implicit-def: $vgpr9
	s_and_saveexec_b64 s[4:5], s[10:11]
	s_cbranch_execnz .LBB2060_126
.LBB2060_141:
	s_or_b64 exec, exec, s[4:5]
                                        ; implicit-def: $vgpr10
	s_and_saveexec_b64 s[4:5], s[12:13]
	s_cbranch_execz .LBB2060_127
.LBB2060_142:
	global_load_dword v10, v[2:3], off offset:1280
	s_or_b64 exec, exec, s[4:5]
                                        ; implicit-def: $vgpr11
	s_and_saveexec_b64 s[4:5], s[14:15]
	s_cbranch_execnz .LBB2060_128
.LBB2060_143:
	s_or_b64 exec, exec, s[4:5]
                                        ; implicit-def: $vgpr30
	s_and_saveexec_b64 s[4:5], s[16:17]
	s_cbranch_execz .LBB2060_129
.LBB2060_144:
	global_load_dword v30, v[2:3], off offset:1792
	s_or_b64 exec, exec, s[4:5]
                                        ; implicit-def: $vgpr31
	s_and_saveexec_b64 s[4:5], s[18:19]
	s_cbranch_execnz .LBB2060_130
.LBB2060_145:
	s_or_b64 exec, exec, s[4:5]
                                        ; implicit-def: $vgpr35
	s_and_saveexec_b64 s[4:5], s[20:21]
	s_cbranch_execz .LBB2060_131
.LBB2060_146:
	global_load_dword v35, v[2:3], off offset:2304
	s_or_b64 exec, exec, s[4:5]
                                        ; implicit-def: $vgpr36
	s_and_saveexec_b64 s[4:5], s[22:23]
	s_cbranch_execnz .LBB2060_132
.LBB2060_147:
	s_or_b64 exec, exec, s[4:5]
                                        ; implicit-def: $vgpr39
	s_and_saveexec_b64 s[4:5], s[24:25]
	s_cbranch_execz .LBB2060_133
.LBB2060_148:
	global_load_dword v39, v[2:3], off offset:2816
	s_or_b64 exec, exec, s[4:5]
                                        ; implicit-def: $vgpr40
	s_and_saveexec_b64 s[4:5], s[26:27]
	s_cbranch_execnz .LBB2060_134
.LBB2060_149:
	s_or_b64 exec, exec, s[4:5]
                                        ; implicit-def: $vgpr43
	s_and_saveexec_b64 s[4:5], s[28:29]
	s_cbranch_execz .LBB2060_135
.LBB2060_150:
	global_load_dword v43, v[2:3], off offset:3328
	s_or_b64 exec, exec, s[4:5]
                                        ; implicit-def: $vgpr45
	s_and_saveexec_b64 s[4:5], s[30:31]
	s_cbranch_execnz .LBB2060_136
.LBB2060_151:
	s_or_b64 exec, exec, s[4:5]
                                        ; implicit-def: $vgpr48
	s_and_saveexec_b64 s[4:5], s[34:35]
	s_cbranch_execz .LBB2060_153
.LBB2060_152:
	global_load_dword v48, v[2:3], off offset:3840
.LBB2060_153:
	s_or_b64 exec, exec, s[4:5]
	v_mov_b32_e32 v2, 0x400
	s_movk_i32 s6, 0x400
	v_lshl_add_u32 v49, v88, 2, v2
	v_add3_u32 v52, v58, v73, v57
	v_lshl_add_u32 v53, v87, 2, v2
	v_add3_u32 v55, v56, v72, v55
	;; [unrolled: 2-line block ×15, first 2 shown]
	v_lshl_add_u32 v13, v46, 2, v2
	s_mov_b32 s7, 0
	s_mov_b32 s8, 0
	s_movk_i32 s9, 0x1000
	v_mov_b32_e32 v3, 0
	s_movk_i32 s10, 0x800
	s_movk_i32 s11, 0xc00
	s_mov_b32 s12, 0
	v_mov_b32_e32 v57, v16
	s_barrier
	s_branch .LBB2060_155
.LBB2060_154:                           ;   in Loop: Header=BB2060_155 Depth=1
	s_or_b64 exec, exec, s[4:5]
	s_addk_i32 s12, 0xc000
	s_addk_i32 s8, 0xf000
	s_add_i32 s7, s7, 16
	s_cmp_eq_u32 s12, 0xffff0000
	v_add_u32_e32 v57, 0x1000, v57
	s_barrier
	s_cbranch_scc1 .LBB2060_195
.LBB2060_155:                           ; =>This Inner Loop Header: Depth=1
	v_add_u32_e32 v2, s8, v46
	v_cmp_gt_u32_e32 vcc, s9, v2
	s_and_saveexec_b64 s[4:5], vcc
	s_cbranch_execz .LBB2060_157
; %bb.156:                              ;   in Loop: Header=BB2060_155 Depth=1
	v_add_u32_e32 v2, s12, v13
	s_waitcnt vmcnt(0)
	ds_write_b32 v2, v4
.LBB2060_157:                           ;   in Loop: Header=BB2060_155 Depth=1
	s_or_b64 exec, exec, s[4:5]
	v_add_u32_e32 v2, s8, v5
	v_cmp_gt_u32_e32 vcc, s9, v2
	s_and_saveexec_b64 s[4:5], vcc
	s_cbranch_execz .LBB2060_159
; %bb.158:                              ;   in Loop: Header=BB2060_155 Depth=1
	v_add_u32_e32 v2, s12, v15
	s_waitcnt vmcnt(0)
	ds_write_b32 v2, v6
.LBB2060_159:                           ;   in Loop: Header=BB2060_155 Depth=1
	s_or_b64 exec, exec, s[4:5]
	;; [unrolled: 10-line block ×16, first 2 shown]
	v_cmp_gt_u32_e32 vcc, s3, v57
	s_waitcnt lgkmcnt(0)
	s_barrier
	s_and_saveexec_b64 s[4:5], vcc
	s_cbranch_execz .LBB2060_189
; %bb.188:                              ;   in Loop: Header=BB2060_155 Depth=1
	scratch_load_dword v2, off, s7
	s_waitcnt vmcnt(0)
	v_lshlrev_b32_e32 v2, 2, v2
	ds_read_b32 v2, v2
	ds_read_b32 v60, v28 offset:1024
	s_waitcnt lgkmcnt(1)
	v_add_u32_e32 v2, v57, v2
	v_lshl_add_u64 v[58:59], v[2:3], 2, s[54:55]
	s_waitcnt lgkmcnt(0)
	global_store_dword v[58:59], v60, off
.LBB2060_189:                           ;   in Loop: Header=BB2060_155 Depth=1
	s_or_b64 exec, exec, s[4:5]
	v_add_u32_e32 v2, 0x400, v57
	v_cmp_gt_u32_e32 vcc, s3, v2
	s_and_saveexec_b64 s[4:5], vcc
	s_cbranch_execz .LBB2060_191
; %bb.190:                              ;   in Loop: Header=BB2060_155 Depth=1
	s_add_i32 s13, s7, 4
	scratch_load_dword v2, off, s13
	s_waitcnt vmcnt(0)
	v_lshlrev_b32_e32 v2, 2, v2
	ds_read_b32 v2, v2
	ds_read_b32 v60, v28 offset:5120
	s_waitcnt lgkmcnt(1)
	v_add3_u32 v2, v57, v2, s6
	v_lshl_add_u64 v[58:59], v[2:3], 2, s[54:55]
	s_waitcnt lgkmcnt(0)
	global_store_dword v[58:59], v60, off
.LBB2060_191:                           ;   in Loop: Header=BB2060_155 Depth=1
	s_or_b64 exec, exec, s[4:5]
	v_add_u32_e32 v2, 0x800, v57
	v_cmp_gt_u32_e32 vcc, s3, v2
	s_and_saveexec_b64 s[4:5], vcc
	s_cbranch_execz .LBB2060_193
; %bb.192:                              ;   in Loop: Header=BB2060_155 Depth=1
	s_add_i32 s13, s7, 8
	scratch_load_dword v2, off, s13
	s_waitcnt vmcnt(0)
	v_lshlrev_b32_e32 v2, 2, v2
	ds_read_b32 v2, v2
	ds_read_b32 v60, v28 offset:9216
	s_waitcnt lgkmcnt(1)
	v_add3_u32 v2, v57, v2, s10
	v_lshl_add_u64 v[58:59], v[2:3], 2, s[54:55]
	s_waitcnt lgkmcnt(0)
	global_store_dword v[58:59], v60, off
.LBB2060_193:                           ;   in Loop: Header=BB2060_155 Depth=1
	s_or_b64 exec, exec, s[4:5]
	v_add_u32_e32 v2, 0xc00, v57
	v_cmp_gt_u32_e32 vcc, s3, v2
	s_and_saveexec_b64 s[4:5], vcc
	s_cbranch_execz .LBB2060_154
; %bb.194:                              ;   in Loop: Header=BB2060_155 Depth=1
	s_add_i32 s13, s7, 12
	scratch_load_dword v2, off, s13
	s_waitcnt vmcnt(0)
	v_lshlrev_b32_e32 v2, 2, v2
	ds_read_b32 v2, v2
	ds_read_b32 v60, v28 offset:13312
	s_waitcnt lgkmcnt(1)
	v_add3_u32 v2, v57, v2, s11
	v_lshl_add_u64 v[58:59], v[2:3], 2, s[54:55]
	s_waitcnt lgkmcnt(0)
	global_store_dword v[58:59], v60, off
	s_branch .LBB2060_154
.LBB2060_195:
	s_add_i32 s68, s68, -1
	s_cmp_eq_u32 s33, s68
	s_cselect_b64 s[4:5], -1, 0
	s_xor_b64 s[6:7], s[36:37], -1
	s_and_b64 s[6:7], s[6:7], s[4:5]
	s_and_saveexec_b64 s[4:5], s[6:7]
	s_cbranch_execz .LBB2060_197
; %bb.196:
	ds_read_b32 v2, v28
	s_waitcnt lgkmcnt(0)
	v_add3_u32 v2, v33, v42, v2
	global_store_dword v28, v2, s[58:59]
.LBB2060_197:
	s_or_b64 exec, exec, s[4:5]
	s_mov_b64 s[4:5], 0
.LBB2060_198:
	s_and_b64 vcc, exec, s[4:5]
	s_cbranch_vccz .LBB2060_287
; %bb.199:
	s_lshl_b32 s8, s33, 14
	s_add_u32 s4, s48, s8
	v_mbcnt_hi_u32_b32 v42, -1, v12
	s_addc_u32 s5, s49, 0
	v_and_b32_e32 v20, 63, v42
	v_mov_b32_e32 v21, 0
	v_and_b32_e32 v18, 0x3c00, v1
	v_lshl_add_u64 v[2:3], s[4:5], 0, v[20:21]
	v_mov_b32_e32 v19, v21
	v_lshl_add_u64 v[2:3], v[2:3], 0, v[18:19]
	s_load_dword s12, s[0:1], 0x58
	s_load_dword s3, s[0:1], 0x64
	global_load_ubyte v4, v[2:3], off
	s_add_u32 s0, s0, 0x58
	s_addc_u32 s1, s1, 0
	v_mov_b32_e32 v1, v21
	s_waitcnt lgkmcnt(0)
	s_lshr_b32 s3, s3, 16
	s_cmp_lt_u32 s2, s12
	s_cselect_b32 s2, 12, 18
	s_add_u32 s0, s0, s2
	s_addc_u32 s1, s1, 0
	global_load_ushort v17, v21, s[0:1]
	global_load_ubyte v57, v[2:3], off offset:64
	global_load_ubyte v56, v[2:3], off offset:128
	;; [unrolled: 1-line block ×14, first 2 shown]
                                        ; kill: killed $sgpr0 killed $sgpr1
	global_load_ubyte v13, v[2:3], off offset:960
	v_bfe_u32 v2, v0, 10, 10
	v_bfe_u32 v0, v0, 20, 10
	v_mad_u32_u24 v2, v0, s3, v2
	s_lshl_b32 s0, -1, s61
	s_not_b32 s13, s0
	s_mov_b32 s9, 0
	v_mul_u32_u24_e32 v44, 20, v16
	s_movk_i32 s2, 0x44
	ds_write2_b32 v44, v21, v21 offset0:16 offset1:17
	ds_write2_b32 v44, v21, v21 offset0:18 offset1:19
	ds_write_b32 v44, v21 offset:80
	s_waitcnt lgkmcnt(0)
	s_barrier
	s_waitcnt vmcnt(16)
	; wave barrier
	v_and_b32_e32 v0, 1, v4
	v_lshrrev_b32_e32 v0, s60, v0
	v_bitop3_b32 v0, v0, s0, v0 bitop3:0x30
	v_mul_u32_u24_e32 v19, 0x44, v0
	v_cmp_ne_u32_e32 vcc, 0, v0
	v_lshl_add_u64 v[0:1], v[0:1], 0, -1
	s_waitcnt vmcnt(15)
	v_mad_u64_u32 v[2:3], s[0:1], v2, v17, v[16:17]
	v_xor_b32_e32 v0, vcc_lo, v0
	v_xor_b32_e32 v1, vcc_hi, v1
	v_and_b32_e32 v0, exec_lo, v0
	v_and_b32_e32 v1, exec_hi, v1
	v_mbcnt_lo_u32_b32 v3, v0, 0
	v_lshrrev_b32_e32 v2, 4, v2
	v_mbcnt_hi_u32_b32 v46, v1, v3
	v_cmp_ne_u64_e32 vcc, 0, v[0:1]
	v_and_b32_e32 v37, 0xffffffc, v2
	v_cmp_eq_u32_e64 s[0:1], 0, v46
	s_and_b64 s[4:5], vcc, s[0:1]
	v_add_u32_e32 v58, v37, v19
	s_and_saveexec_b64 s[0:1], s[4:5]
; %bb.200:
	v_bcnt_u32_b32 v0, v0, 0
	v_bcnt_u32_b32 v0, v1, v0
	ds_write_b32 v58, v0 offset:64
; %bb.201:
	s_or_b64 exec, exec, s[0:1]
	s_waitcnt vmcnt(14)
	v_lshrrev_b32_sdwa v0, s60, v57 dst_sel:DWORD dst_unused:UNUSED_PAD src0_sel:DWORD src1_sel:BYTE_0
	v_and_b32_e32 v0, s13, v0
	v_mad_u32_u24 v1, v0, s2, v37
	; wave barrier
	ds_read_b32 v17, v1 offset:64
	v_mov_b32_e32 v1, v21
	v_mul_u32_u24_e32 v2, 0x44, v0
	v_cmp_ne_u32_e32 vcc, 0, v0
	v_lshl_add_u64 v[0:1], v[0:1], 0, -1
	v_add_u32_e32 v21, v37, v2
	v_xor_b32_e32 v0, vcc_lo, v0
	v_xor_b32_e32 v1, vcc_hi, v1
	v_and_b32_e32 v0, exec_lo, v0
	v_and_b32_e32 v1, exec_hi, v1
	v_mbcnt_lo_u32_b32 v3, v0, 0
	v_mbcnt_hi_u32_b32 v19, v1, v3
	v_cmp_eq_u32_e32 vcc, 0, v19
	v_cmp_ne_u64_e64 s[0:1], 0, v[0:1]
	s_and_b64 s[2:3], s[0:1], vcc
	; wave barrier
	s_and_saveexec_b64 s[0:1], s[2:3]
	s_cbranch_execz .LBB2060_203
; %bb.202:
	v_bcnt_u32_b32 v0, v0, 0
	v_bcnt_u32_b32 v0, v1, v0
	s_waitcnt lgkmcnt(0)
	v_add_u32_e32 v0, v17, v0
	ds_write_b32 v21, v0 offset:64
.LBB2060_203:
	s_or_b64 exec, exec, s[0:1]
	s_waitcnt vmcnt(13)
	v_lshrrev_b32_sdwa v0, s60, v56 dst_sel:DWORD dst_unused:UNUSED_PAD src0_sel:DWORD src1_sel:BYTE_0
	v_and_b32_e32 v0, s13, v0
	s_movk_i32 s2, 0x44
	v_mad_u32_u24 v1, v0, s2, v37
	; wave barrier
	ds_read_b32 v22, v1 offset:64
	v_mov_b32_e32 v1, 0
	v_cmp_ne_u32_e32 vcc, 0, v0
	v_lshl_add_u64 v[2:3], v[0:1], 0, -1
	v_mul_u32_u24_e32 v24, 0x44, v0
	v_xor_b32_e32 v2, vcc_lo, v2
	v_xor_b32_e32 v0, vcc_hi, v3
	v_and_b32_e32 v2, exec_lo, v2
	v_and_b32_e32 v3, exec_hi, v0
	v_mbcnt_lo_u32_b32 v0, v2, 0
	v_mbcnt_hi_u32_b32 v23, v3, v0
	v_cmp_eq_u32_e32 vcc, 0, v23
	v_cmp_ne_u64_e64 s[0:1], 0, v[2:3]
	s_and_b64 s[4:5], s[0:1], vcc
	v_add_u32_e32 v59, v37, v24
	; wave barrier
	s_and_saveexec_b64 s[0:1], s[4:5]
	s_cbranch_execz .LBB2060_205
; %bb.204:
	v_bcnt_u32_b32 v0, v2, 0
	v_bcnt_u32_b32 v0, v3, v0
	s_waitcnt lgkmcnt(0)
	v_add_u32_e32 v0, v22, v0
	ds_write_b32 v59, v0 offset:64
.LBB2060_205:
	s_or_b64 exec, exec, s[0:1]
	s_waitcnt vmcnt(12)
	v_lshrrev_b32_sdwa v0, s60, v55 dst_sel:DWORD dst_unused:UNUSED_PAD src0_sel:DWORD src1_sel:BYTE_0
	v_and_b32_e32 v0, s13, v0
	v_mul_u32_u24_e32 v2, 0x44, v0
	v_mad_u32_u24 v3, v0, s2, v37
	v_cmp_ne_u32_e32 vcc, 0, v0
	v_lshl_add_u64 v[0:1], v[0:1], 0, -1
	s_nop 0
	v_xor_b32_e32 v0, vcc_lo, v0
	; wave barrier
	ds_read_b32 v24, v3 offset:64
	v_xor_b32_e32 v1, vcc_hi, v1
	v_and_b32_e32 v0, exec_lo, v0
	v_and_b32_e32 v1, exec_hi, v1
	v_mbcnt_lo_u32_b32 v3, v0, 0
	v_mbcnt_hi_u32_b32 v25, v1, v3
	v_cmp_eq_u32_e32 vcc, 0, v25
	v_cmp_ne_u64_e64 s[0:1], 0, v[0:1]
	s_and_b64 s[2:3], s[0:1], vcc
	v_add_u32_e32 v60, v37, v2
	; wave barrier
	s_and_saveexec_b64 s[0:1], s[2:3]
	s_cbranch_execz .LBB2060_207
; %bb.206:
	v_bcnt_u32_b32 v0, v0, 0
	v_bcnt_u32_b32 v0, v1, v0
	s_waitcnt lgkmcnt(0)
	v_add_u32_e32 v0, v24, v0
	ds_write_b32 v60, v0 offset:64
.LBB2060_207:
	s_or_b64 exec, exec, s[0:1]
	s_waitcnt vmcnt(11)
	v_lshrrev_b32_sdwa v0, s60, v54 dst_sel:DWORD dst_unused:UNUSED_PAD src0_sel:DWORD src1_sel:BYTE_0
	v_and_b32_e32 v0, s13, v0
	s_movk_i32 s2, 0x44
	v_mad_u32_u24 v1, v0, s2, v37
	; wave barrier
	ds_read_b32 v26, v1 offset:64
	v_mov_b32_e32 v1, 0
	v_cmp_ne_u32_e32 vcc, 0, v0
	v_lshl_add_u64 v[2:3], v[0:1], 0, -1
	v_mul_u32_u24_e32 v28, 0x44, v0
	v_xor_b32_e32 v2, vcc_lo, v2
	v_xor_b32_e32 v0, vcc_hi, v3
	v_and_b32_e32 v2, exec_lo, v2
	v_and_b32_e32 v3, exec_hi, v0
	v_mbcnt_lo_u32_b32 v0, v2, 0
	v_mbcnt_hi_u32_b32 v27, v3, v0
	v_cmp_eq_u32_e32 vcc, 0, v27
	v_cmp_ne_u64_e64 s[0:1], 0, v[2:3]
	s_and_b64 s[4:5], s[0:1], vcc
	v_add_u32_e32 v61, v37, v28
	; wave barrier
	s_and_saveexec_b64 s[0:1], s[4:5]
	s_cbranch_execz .LBB2060_209
; %bb.208:
	v_bcnt_u32_b32 v0, v2, 0
	v_bcnt_u32_b32 v0, v3, v0
	s_waitcnt lgkmcnt(0)
	v_add_u32_e32 v0, v26, v0
	ds_write_b32 v61, v0 offset:64
.LBB2060_209:
	s_or_b64 exec, exec, s[0:1]
	s_waitcnt vmcnt(10)
	v_lshrrev_b32_sdwa v0, s60, v15 dst_sel:DWORD dst_unused:UNUSED_PAD src0_sel:DWORD src1_sel:BYTE_0
	v_and_b32_e32 v0, s13, v0
	v_mul_u32_u24_e32 v2, 0x44, v0
	v_mad_u32_u24 v3, v0, s2, v37
	v_cmp_ne_u32_e32 vcc, 0, v0
	v_lshl_add_u64 v[0:1], v[0:1], 0, -1
	s_nop 0
	v_xor_b32_e32 v0, vcc_lo, v0
	; wave barrier
	ds_read_b32 v28, v3 offset:64
	v_xor_b32_e32 v1, vcc_hi, v1
	v_and_b32_e32 v0, exec_lo, v0
	v_and_b32_e32 v1, exec_hi, v1
	v_mbcnt_lo_u32_b32 v3, v0, 0
	v_mbcnt_hi_u32_b32 v29, v1, v3
	v_cmp_eq_u32_e32 vcc, 0, v29
	v_cmp_ne_u64_e64 s[0:1], 0, v[0:1]
	s_and_b64 s[2:3], s[0:1], vcc
	v_add_u32_e32 v62, v37, v2
	;; [unrolled: 63-line block ×7, first 2 shown]
	; wave barrier
	s_and_saveexec_b64 s[0:1], s[2:3]
	s_cbranch_execz .LBB2060_231
; %bb.230:
	v_bcnt_u32_b32 v0, v0, 0
	v_bcnt_u32_b32 v0, v1, v0
	s_waitcnt lgkmcnt(0)
	v_add_u32_e32 v0, v52, v0
	ds_write_b32 v73, v0 offset:64
.LBB2060_231:
	s_or_b64 exec, exec, s[0:1]
	; wave barrier
	s_waitcnt lgkmcnt(0)
	s_barrier
	ds_read2_b32 v[2:3], v44 offset0:16 offset1:17
	ds_read2_b32 v[0:1], v44 offset0:18 offset1:19
	ds_read_b32 v37, v44 offset:80
	v_cmp_lt_u32_e64 s[2:3], 31, v42
	s_waitcnt lgkmcnt(1)
	v_add3_u32 v71, v3, v2, v0
	s_waitcnt lgkmcnt(0)
	v_add3_u32 v37, v71, v1, v37
	v_and_b32_e32 v71, 15, v42
	v_cmp_eq_u32_e32 vcc, 0, v71
	v_mov_b32_dpp v74, v37 row_shr:1 row_mask:0xf bank_mask:0xf
	v_cmp_lt_u32_e64 s[0:1], 1, v71
	v_cndmask_b32_e64 v74, v74, 0, vcc
	v_add_u32_e32 v37, v74, v37
	v_cmp_lt_u32_e64 s[4:5], 3, v71
	v_cmp_lt_u32_e64 s[6:7], 7, v71
	v_mov_b32_dpp v74, v37 row_shr:2 row_mask:0xf bank_mask:0xf
	v_cndmask_b32_e64 v74, 0, v74, s[0:1]
	v_add_u32_e32 v37, v37, v74
	s_nop 1
	v_mov_b32_dpp v74, v37 row_shr:4 row_mask:0xf bank_mask:0xf
	v_cndmask_b32_e64 v74, 0, v74, s[4:5]
	v_add_u32_e32 v37, v37, v74
	s_nop 1
	v_mov_b32_dpp v74, v37 row_shr:8 row_mask:0xf bank_mask:0xf
	v_cndmask_b32_e64 v71, 0, v74, s[6:7]
	v_add_u32_e32 v37, v37, v71
	v_bfe_i32 v74, v42, 4, 1
	s_nop 0
	v_mov_b32_dpp v71, v37 row_bcast:15 row_mask:0xf bank_mask:0xf
	v_and_b32_e32 v71, v74, v71
	v_add_u32_e32 v37, v37, v71
	v_lshrrev_b32_e32 v74, 6, v16
	s_nop 0
	v_mov_b32_dpp v71, v37 row_bcast:31 row_mask:0xf bank_mask:0xf
	v_cndmask_b32_e64 v71, 0, v71, s[2:3]
	v_add_u32_e32 v71, v37, v71
	v_and_b32_e32 v37, 63, v16
	v_cmp_eq_u32_e64 s[2:3], 63, v37
	s_and_saveexec_b64 s[10:11], s[2:3]
; %bb.232:
	v_lshlrev_b32_e32 v37, 2, v74
	ds_write_b32 v37, v71
; %bb.233:
	s_or_b64 exec, exec, s[10:11]
	v_cmp_gt_u32_e64 s[2:3], 16, v16
	v_lshlrev_b32_e32 v37, 2, v16
	s_waitcnt lgkmcnt(0)
	s_barrier
	s_and_saveexec_b64 s[10:11], s[2:3]
	s_cbranch_execz .LBB2060_235
; %bb.234:
	ds_read_b32 v75, v37
	s_waitcnt lgkmcnt(0)
	s_nop 0
	v_mov_b32_dpp v76, v75 row_shr:1 row_mask:0xf bank_mask:0xf
	v_cndmask_b32_e64 v76, v76, 0, vcc
	v_add_u32_e32 v75, v76, v75
	s_nop 1
	v_mov_b32_dpp v76, v75 row_shr:2 row_mask:0xf bank_mask:0xf
	v_cndmask_b32_e64 v76, 0, v76, s[0:1]
	v_add_u32_e32 v75, v75, v76
	s_nop 1
	v_mov_b32_dpp v76, v75 row_shr:4 row_mask:0xf bank_mask:0xf
	v_cndmask_b32_e64 v76, 0, v76, s[4:5]
	v_add_u32_e32 v75, v75, v76
	s_nop 1
	v_mov_b32_dpp v76, v75 row_shr:8 row_mask:0xf bank_mask:0xf
	v_cndmask_b32_e64 v76, 0, v76, s[6:7]
	v_add_u32_e32 v75, v75, v76
	ds_write_b32 v37, v75
.LBB2060_235:
	s_or_b64 exec, exec, s[10:11]
	v_cmp_lt_u32_e32 vcc, 63, v16
	v_mov_b32_e32 v75, 0
	s_waitcnt lgkmcnt(0)
	s_barrier
	s_and_saveexec_b64 s[0:1], vcc
; %bb.236:
	v_lshl_add_u32 v74, v74, 2, -4
	ds_read_b32 v75, v74
; %bb.237:
	s_or_b64 exec, exec, s[0:1]
	v_subrev_co_u32_e32 v74, vcc, 1, v42
	v_and_b32_e32 v76, 64, v42
	v_cmp_lt_i32_e64 s[0:1], v74, v76
	s_waitcnt lgkmcnt(0)
	v_add_u32_e32 v71, v75, v71
	s_movk_i32 s2, 0x100
	v_cndmask_b32_e64 v42, v74, v42, s[0:1]
	v_lshlrev_b32_e32 v42, 2, v42
	ds_bpermute_b32 v42, v42, v71
	s_movk_i32 s0, 0xff
	s_waitcnt lgkmcnt(0)
	v_cndmask_b32_e32 v42, v42, v75, vcc
	v_cndmask_b32_e64 v42, v42, 0, s[44:45]
	v_add_u32_e32 v2, v42, v2
	v_add_u32_e32 v3, v2, v3
	;; [unrolled: 1-line block ×4, first 2 shown]
	ds_write2_b32 v44, v42, v2 offset0:16 offset1:17
	ds_write2_b32 v44, v3, v0 offset0:18 offset1:19
	ds_write_b32 v44, v1 offset:80
	s_waitcnt lgkmcnt(0)
	s_barrier
	ds_read_b32 v0, v58 offset:64
	ds_read_b32 v58, v21 offset:64
	;; [unrolled: 1-line block ×16, first 2 shown]
	v_cmp_lt_u32_e32 vcc, s0, v16
	v_cmp_gt_u32_e64 s[0:1], s2, v16
                                        ; implicit-def: $vgpr42
                                        ; implicit-def: $vgpr44
	s_and_saveexec_b64 s[4:5], s[0:1]
	s_cbranch_execz .LBB2060_241
; %bb.238:
	v_mul_u32_u24_e32 v1, 0x44, v16
	ds_read_b32 v42, v1 offset:64
	v_add_u32_e32 v2, 1, v16
	v_cmp_ne_u32_e64 s[2:3], s2, v2
	v_mov_b32_e32 v1, 0x4000
	s_and_saveexec_b64 s[6:7], s[2:3]
; %bb.239:
	v_mul_u32_u24_e32 v1, 0x44, v2
	ds_read_b32 v1, v1 offset:64
; %bb.240:
	s_or_b64 exec, exec, s[6:7]
	s_waitcnt lgkmcnt(0)
	v_sub_u32_e32 v44, v1, v42
.LBB2060_241:
	s_or_b64 exec, exec, s[4:5]
	s_waitcnt lgkmcnt(14)
	v_add_u32_e32 v46, v0, v46
	v_add3_u32 v70, v19, v17, v58
	s_waitcnt lgkmcnt(13)
	v_add3_u32 v72, v23, v22, v59
	s_waitcnt lgkmcnt(12)
	;; [unrolled: 2-line block ×7, first 2 shown]
	s_barrier
	ds_write_b8 v46, v4 offset:1024
	v_add3_u32 v80, v35, v34, v65
	ds_write_b8 v70, v57 offset:1024
	v_add3_u32 v57, v38, v36, v66
	;; [unrolled: 2-line block ×5, first 2 shown]
	v_add3_u32 v81, v49, v48, v71
	v_add3_u32 v82, v51, v50, v74
	;; [unrolled: 1-line block ×3, first 2 shown]
	v_mov_b32_e32 v1, 0
	ds_write_b8 v76, v15 offset:1024
	ds_write_b8 v78, v14 offset:1024
	;; [unrolled: 1-line block ×11, first 2 shown]
	s_and_saveexec_b64 s[2:3], s[0:1]
	s_cbranch_execz .LBB2060_251
; %bb.242:
	v_lshl_add_u32 v0, s33, 8, v16
	v_lshl_add_u64 v[2:3], v[0:1], 2, s[64:65]
	v_or_b32_e32 v0, 2.0, v44
	s_mov_b64 s[4:5], 0
	s_brev_b32 s14, -4
	s_mov_b32 s15, s33
	v_mov_b32_e32 v6, 0
	global_store_dword v[2:3], v0, off sc1
                                        ; implicit-def: $sgpr0_sgpr1
	s_branch .LBB2060_245
.LBB2060_243:                           ;   in Loop: Header=BB2060_245 Depth=1
	s_or_b64 exec, exec, s[10:11]
.LBB2060_244:                           ;   in Loop: Header=BB2060_245 Depth=1
	s_or_b64 exec, exec, s[6:7]
	v_and_b32_e32 v4, 0x3fffffff, v0
	v_add_u32_e32 v6, v4, v6
	v_cmp_gt_i32_e64 s[0:1], -2.0, v0
	s_and_b64 s[6:7], exec, s[0:1]
	s_or_b64 s[4:5], s[6:7], s[4:5]
	s_andn2_b64 exec, exec, s[4:5]
	s_cbranch_execz .LBB2060_250
.LBB2060_245:                           ; =>This Loop Header: Depth=1
                                        ;     Child Loop BB2060_248 Depth 2
	s_or_b64 s[0:1], s[0:1], exec
	s_cmp_eq_u32 s15, 0
	s_cbranch_scc1 .LBB2060_249
; %bb.246:                              ;   in Loop: Header=BB2060_245 Depth=1
	s_add_i32 s15, s15, -1
	v_lshl_or_b32 v0, s15, 8, v16
	v_lshl_add_u64 v[4:5], v[0:1], 2, s[64:65]
	global_load_dword v0, v[4:5], off sc1
	s_waitcnt vmcnt(0)
	v_cmp_gt_u32_e64 s[0:1], 2.0, v0
	s_and_saveexec_b64 s[6:7], s[0:1]
	s_cbranch_execz .LBB2060_244
; %bb.247:                              ;   in Loop: Header=BB2060_245 Depth=1
	s_mov_b64 s[10:11], 0
.LBB2060_248:                           ;   Parent Loop BB2060_245 Depth=1
                                        ; =>  This Inner Loop Header: Depth=2
	global_load_dword v0, v[4:5], off sc1
	s_waitcnt vmcnt(0)
	v_cmp_lt_u32_e64 s[0:1], s14, v0
	s_or_b64 s[10:11], s[0:1], s[10:11]
	s_andn2_b64 exec, exec, s[10:11]
	s_cbranch_execnz .LBB2060_248
	s_branch .LBB2060_243
.LBB2060_249:                           ;   in Loop: Header=BB2060_245 Depth=1
                                        ; implicit-def: $sgpr15
	s_and_b64 s[6:7], exec, s[0:1]
	s_or_b64 s[4:5], s[6:7], s[4:5]
	s_andn2_b64 exec, exec, s[4:5]
	s_cbranch_execnz .LBB2060_245
.LBB2060_250:
	s_or_b64 exec, exec, s[4:5]
	v_add_u32_e32 v0, v6, v44
	v_or_b32_e32 v0, 0x80000000, v0
	global_store_dword v[2:3], v0, off sc1
	global_load_dword v0, v37, s[56:57]
	v_sub_u32_e32 v1, v6, v42
	s_waitcnt vmcnt(0)
	v_add_u32_e32 v0, v1, v0
	ds_write_b32 v37, v0
.LBB2060_251:
	s_or_b64 exec, exec, s[2:3]
	s_waitcnt lgkmcnt(0)
	s_barrier
	ds_read_u8 v8, v16 offset:1024
	ds_read_u8 v9, v16 offset:2048
	;; [unrolled: 1-line block ×8, first 2 shown]
	s_waitcnt lgkmcnt(7)
	v_and_b32_e32 v0, 1, v8
	s_waitcnt lgkmcnt(6)
	v_and_b32_e32 v1, 1, v9
	;; [unrolled: 2-line block ×8, first 2 shown]
	v_lshrrev_b32_e32 v0, s60, v0
	v_lshrrev_b32_e32 v1, s60, v1
	;; [unrolled: 1-line block ×8, first 2 shown]
	v_and_b32_e32 v0, s13, v0
	v_and_b32_e32 v1, s13, v1
	;; [unrolled: 1-line block ×8, first 2 shown]
	v_lshlrev_b32_e32 v21, 2, v0
	v_lshlrev_b32_e32 v84, 2, v1
	;; [unrolled: 1-line block ×8, first 2 shown]
	ds_read_b32 v21, v21
	ds_read_b32 v84, v84
	;; [unrolled: 1-line block ×8, first 2 shown]
	s_waitcnt lgkmcnt(7)
	v_add_u32_e32 v21, v21, v16
	s_movk_i32 s4, 0x400
	global_store_byte v21, v8, s[50:51]
	s_waitcnt lgkmcnt(6)
	v_add3_u32 v8, v84, v16, s4
	s_movk_i32 s5, 0x800
	global_store_byte v8, v9, s[50:51]
	s_waitcnt lgkmcnt(5)
	v_add3_u32 v8, v85, v16, s5
	;; [unrolled: 4-line block ×7, first 2 shown]
	global_store_byte v8, v15, s[50:51]
	ds_read_u8 v21, v16 offset:9216
	ds_read_u8 v84, v16 offset:10240
	;; [unrolled: 1-line block ×8, first 2 shown]
	s_waitcnt lgkmcnt(7)
	v_and_b32_e32 v8, 1, v21
	s_waitcnt lgkmcnt(6)
	v_and_b32_e32 v9, 1, v84
	;; [unrolled: 2-line block ×8, first 2 shown]
	v_lshrrev_b32_e32 v8, s60, v8
	v_lshrrev_b32_e32 v9, s60, v9
	;; [unrolled: 1-line block ×8, first 2 shown]
	v_and_b32_e32 v8, s13, v8
	v_and_b32_e32 v9, s13, v9
	;; [unrolled: 1-line block ×8, first 2 shown]
	v_lshlrev_b32_e32 v91, 2, v8
	v_lshlrev_b32_e32 v92, 2, v9
	;; [unrolled: 1-line block ×8, first 2 shown]
	s_movk_i32 s0, 0x2000
	ds_read_b32 v91, v91
	ds_read_b32 v92, v92
	;; [unrolled: 1-line block ×8, first 2 shown]
	s_waitcnt lgkmcnt(7)
	v_add3_u32 v91, v91, v16, s0
	s_movk_i32 s0, 0x2400
	global_store_byte v91, v21, s[50:51]
	s_waitcnt lgkmcnt(6)
	v_add3_u32 v21, v92, v16, s0
	s_movk_i32 s0, 0x2800
	global_store_byte v21, v84, s[50:51]
	s_waitcnt lgkmcnt(5)
	v_add3_u32 v21, v93, v16, s0
	s_movk_i32 s0, 0x2c00
	global_store_byte v21, v85, s[50:51]
	s_waitcnt lgkmcnt(4)
	v_add3_u32 v21, v94, v16, s0
	s_movk_i32 s0, 0x3000
	global_store_byte v21, v86, s[50:51]
	s_waitcnt lgkmcnt(3)
	v_add3_u32 v21, v95, v16, s0
	s_movk_i32 s0, 0x3400
	global_store_byte v21, v87, s[50:51]
	s_waitcnt lgkmcnt(2)
	v_add3_u32 v21, v96, v16, s0
	s_movk_i32 s0, 0x3800
	global_store_byte v21, v88, s[50:51]
	s_waitcnt lgkmcnt(1)
	v_add3_u32 v21, v97, v16, s0
	s_movk_i32 s0, 0x3c00
	global_store_byte v21, v89, s[50:51]
	s_waitcnt lgkmcnt(0)
	v_add3_u32 v21, v98, v16, s0
	s_lshl_b64 s[0:1], s[8:9], 2
	s_add_u32 s0, s52, s0
	global_store_byte v21, v90, s[50:51]
	s_addc_u32 s1, s53, s1
	v_lshlrev_b32_e32 v20, 2, v20
	v_mov_b32_e32 v21, 0
	v_lshl_add_u64 v[84:85], s[0:1], 0, v[20:21]
	v_lshlrev_b32_e32 v20, 2, v18
	v_lshl_add_u64 v[98:99], v[84:85], 0, v[20:21]
	global_load_dword v18, v[98:99], off
	global_load_dword v84, v[98:99], off offset:256
	global_load_dword v85, v[98:99], off offset:512
	;; [unrolled: 1-line block ×14, first 2 shown]
	s_nop 0
	global_load_dword v98, v[98:99], off offset:3840
	v_mul_u32_u24_e32 v20, 3, v16
	v_mov_b32_e32 v99, 0x400
	scratch_store_dwordx4 off, v[0:3], off
	scratch_store_dwordx4 off, v[4:7], off offset:16
	scratch_store_dwordx4 off, v[8:11], off offset:32
	;; [unrolled: 1-line block ×3, first 2 shown]
	v_lshl_add_u32 v0, v83, 2, v99
	v_add3_u32 v1, v53, v77, v52
	v_lshl_add_u32 v2, v82, 2, v99
	v_add3_u32 v3, v51, v74, v50
	;; [unrolled: 2-line block ×15, first 2 shown]
	v_lshl_add_u32 v19, v46, 2, v99
	s_mov_b32 s8, 0
	s_mov_b32 s9, 0
	v_add_u32_e32 v35, v16, v20
	s_mov_b32 s10, 0
	s_barrier
	s_branch .LBB2060_253
.LBB2060_252:                           ;   in Loop: Header=BB2060_253 Depth=1
	s_or_b64 exec, exec, s[2:3]
	s_waitcnt lgkmcnt(0)
	s_barrier
	scratch_load_dwordx4 v[38:41], off, s8
	ds_read2st64_b32 v[48:49], v35 offset0:4 offset1:20
	ds_read2st64_b32 v[50:51], v35 offset0:36 offset1:52
	s_addk_i32 s10, 0xc000
	s_addk_i32 s9, 0xf000
	s_add_i32 s8, s8, 16
	s_cmp_eq_u32 s10, 0xffff0000
	s_waitcnt vmcnt(0)
	v_lshlrev_b32_e32 v20, 2, v38
	ds_read_b32 v20, v20
	v_lshlrev_b32_e32 v36, 2, v39
	v_lshlrev_b32_e32 v38, 2, v40
	;; [unrolled: 1-line block ×3, first 2 shown]
	ds_read_b32 v36, v36
	ds_read_b32 v40, v38
	;; [unrolled: 1-line block ×3, first 2 shown]
	s_waitcnt lgkmcnt(3)
	v_add_u32_e32 v20, v16, v20
	v_lshl_add_u64 v[38:39], v[20:21], 2, s[54:55]
	s_waitcnt lgkmcnt(2)
	v_add3_u32 v20, v16, v36, s4
	global_store_dword v[38:39], v48, off
	v_lshl_add_u64 v[38:39], v[20:21], 2, s[54:55]
	s_waitcnt lgkmcnt(1)
	v_add3_u32 v20, v16, v40, s5
	global_store_dword v[38:39], v49, off
	;; [unrolled: 4-line block ×3, first 2 shown]
	v_lshl_add_u64 v[38:39], v[20:21], 2, s[54:55]
	v_add_u32_e32 v16, 0x1000, v16
	global_store_dword v[38:39], v51, off
	s_barrier
	s_cbranch_scc1 .LBB2060_285
.LBB2060_253:                           ; =>This Inner Loop Header: Depth=1
	v_add_u32_e32 v20, s9, v46
	v_cmp_gt_u32_e64 s[0:1], s7, v20
	s_and_saveexec_b64 s[2:3], s[0:1]
	s_cbranch_execz .LBB2060_255
; %bb.254:                              ;   in Loop: Header=BB2060_253 Depth=1
	v_add_u32_e32 v20, s10, v19
	s_waitcnt vmcnt(19)
	ds_write_b32 v20, v18
.LBB2060_255:                           ;   in Loop: Header=BB2060_253 Depth=1
	s_or_b64 exec, exec, s[2:3]
	v_add_u32_e32 v20, s9, v17
	v_cmp_gt_u32_e64 s[0:1], s7, v20
	s_and_saveexec_b64 s[2:3], s[0:1]
	s_cbranch_execz .LBB2060_257
; %bb.256:                              ;   in Loop: Header=BB2060_253 Depth=1
	v_add_u32_e32 v20, s10, v23
	s_waitcnt vmcnt(18)
	ds_write_b32 v20, v84
.LBB2060_257:                           ;   in Loop: Header=BB2060_253 Depth=1
	s_or_b64 exec, exec, s[2:3]
	;; [unrolled: 10-line block ×15, first 2 shown]
	v_add_u32_e32 v20, s9, v1
	v_cmp_gt_u32_e64 s[0:1], s7, v20
	s_and_saveexec_b64 s[2:3], s[0:1]
	s_cbranch_execz .LBB2060_252
; %bb.284:                              ;   in Loop: Header=BB2060_253 Depth=1
	v_add_u32_e32 v20, s10, v0
	s_waitcnt vmcnt(4)
	ds_write_b32 v20, v98
	s_branch .LBB2060_252
.LBB2060_285:
	s_add_i32 s12, s12, -1
	s_cmp_eq_u32 s33, s12
	s_cselect_b64 s[0:1], -1, 0
	s_xor_b64 s[2:3], vcc, -1
	s_and_b64 s[0:1], s[2:3], s[0:1]
	s_and_saveexec_b64 s[2:3], s[0:1]
	s_cbranch_execz .LBB2060_287
; %bb.286:
	ds_read_b32 v0, v37
	s_waitcnt lgkmcnt(0)
	v_add3_u32 v0, v42, v44, v0
	global_store_dword v37, v0, s[58:59]
.LBB2060_287:
	s_endpgm
	.section	.rodata,"a",@progbits
	.p2align	6, 0x0
	.amdhsa_kernel _ZN7rocprim17ROCPRIM_400000_NS6detail17trampoline_kernelINS0_14default_configENS1_35radix_sort_onesweep_config_selectorIbiEEZZNS1_29radix_sort_onesweep_iterationIS3_Lb0EN6thrust23THRUST_200600_302600_NS6detail15normal_iteratorINS8_10device_ptrIbEEEESD_NSA_INSB_IiEEEESF_jNS0_19identity_decomposerENS1_16block_id_wrapperIjLb1EEEEE10hipError_tT1_PNSt15iterator_traitsISK_E10value_typeET2_T3_PNSL_ISQ_E10value_typeET4_T5_PSV_SW_PNS1_23onesweep_lookback_stateEbbT6_jjT7_P12ihipStream_tbENKUlT_T0_SK_SP_E_clIPbSD_PiSF_EEDaS13_S14_SK_SP_EUlS13_E_NS1_11comp_targetILNS1_3genE6ELNS1_11target_archE950ELNS1_3gpuE13ELNS1_3repE0EEENS1_47radix_sort_onesweep_sort_config_static_selectorELNS0_4arch9wavefront6targetE1EEEvSK_
		.amdhsa_group_segment_fixed_size 20552
		.amdhsa_private_segment_fixed_size 80
		.amdhsa_kernarg_size 344
		.amdhsa_user_sgpr_count 2
		.amdhsa_user_sgpr_dispatch_ptr 0
		.amdhsa_user_sgpr_queue_ptr 0
		.amdhsa_user_sgpr_kernarg_segment_ptr 1
		.amdhsa_user_sgpr_dispatch_id 0
		.amdhsa_user_sgpr_kernarg_preload_length 0
		.amdhsa_user_sgpr_kernarg_preload_offset 0
		.amdhsa_user_sgpr_private_segment_size 0
		.amdhsa_uses_dynamic_stack 0
		.amdhsa_enable_private_segment 1
		.amdhsa_system_sgpr_workgroup_id_x 1
		.amdhsa_system_sgpr_workgroup_id_y 0
		.amdhsa_system_sgpr_workgroup_id_z 0
		.amdhsa_system_sgpr_workgroup_info 0
		.amdhsa_system_vgpr_workitem_id 2
		.amdhsa_next_free_vgpr 100
		.amdhsa_next_free_sgpr 72
		.amdhsa_accum_offset 100
		.amdhsa_reserve_vcc 1
		.amdhsa_float_round_mode_32 0
		.amdhsa_float_round_mode_16_64 0
		.amdhsa_float_denorm_mode_32 3
		.amdhsa_float_denorm_mode_16_64 3
		.amdhsa_dx10_clamp 1
		.amdhsa_ieee_mode 1
		.amdhsa_fp16_overflow 0
		.amdhsa_tg_split 0
		.amdhsa_exception_fp_ieee_invalid_op 0
		.amdhsa_exception_fp_denorm_src 0
		.amdhsa_exception_fp_ieee_div_zero 0
		.amdhsa_exception_fp_ieee_overflow 0
		.amdhsa_exception_fp_ieee_underflow 0
		.amdhsa_exception_fp_ieee_inexact 0
		.amdhsa_exception_int_div_zero 0
	.end_amdhsa_kernel
	.section	.text._ZN7rocprim17ROCPRIM_400000_NS6detail17trampoline_kernelINS0_14default_configENS1_35radix_sort_onesweep_config_selectorIbiEEZZNS1_29radix_sort_onesweep_iterationIS3_Lb0EN6thrust23THRUST_200600_302600_NS6detail15normal_iteratorINS8_10device_ptrIbEEEESD_NSA_INSB_IiEEEESF_jNS0_19identity_decomposerENS1_16block_id_wrapperIjLb1EEEEE10hipError_tT1_PNSt15iterator_traitsISK_E10value_typeET2_T3_PNSL_ISQ_E10value_typeET4_T5_PSV_SW_PNS1_23onesweep_lookback_stateEbbT6_jjT7_P12ihipStream_tbENKUlT_T0_SK_SP_E_clIPbSD_PiSF_EEDaS13_S14_SK_SP_EUlS13_E_NS1_11comp_targetILNS1_3genE6ELNS1_11target_archE950ELNS1_3gpuE13ELNS1_3repE0EEENS1_47radix_sort_onesweep_sort_config_static_selectorELNS0_4arch9wavefront6targetE1EEEvSK_,"axG",@progbits,_ZN7rocprim17ROCPRIM_400000_NS6detail17trampoline_kernelINS0_14default_configENS1_35radix_sort_onesweep_config_selectorIbiEEZZNS1_29radix_sort_onesweep_iterationIS3_Lb0EN6thrust23THRUST_200600_302600_NS6detail15normal_iteratorINS8_10device_ptrIbEEEESD_NSA_INSB_IiEEEESF_jNS0_19identity_decomposerENS1_16block_id_wrapperIjLb1EEEEE10hipError_tT1_PNSt15iterator_traitsISK_E10value_typeET2_T3_PNSL_ISQ_E10value_typeET4_T5_PSV_SW_PNS1_23onesweep_lookback_stateEbbT6_jjT7_P12ihipStream_tbENKUlT_T0_SK_SP_E_clIPbSD_PiSF_EEDaS13_S14_SK_SP_EUlS13_E_NS1_11comp_targetILNS1_3genE6ELNS1_11target_archE950ELNS1_3gpuE13ELNS1_3repE0EEENS1_47radix_sort_onesweep_sort_config_static_selectorELNS0_4arch9wavefront6targetE1EEEvSK_,comdat
.Lfunc_end2060:
	.size	_ZN7rocprim17ROCPRIM_400000_NS6detail17trampoline_kernelINS0_14default_configENS1_35radix_sort_onesweep_config_selectorIbiEEZZNS1_29radix_sort_onesweep_iterationIS3_Lb0EN6thrust23THRUST_200600_302600_NS6detail15normal_iteratorINS8_10device_ptrIbEEEESD_NSA_INSB_IiEEEESF_jNS0_19identity_decomposerENS1_16block_id_wrapperIjLb1EEEEE10hipError_tT1_PNSt15iterator_traitsISK_E10value_typeET2_T3_PNSL_ISQ_E10value_typeET4_T5_PSV_SW_PNS1_23onesweep_lookback_stateEbbT6_jjT7_P12ihipStream_tbENKUlT_T0_SK_SP_E_clIPbSD_PiSF_EEDaS13_S14_SK_SP_EUlS13_E_NS1_11comp_targetILNS1_3genE6ELNS1_11target_archE950ELNS1_3gpuE13ELNS1_3repE0EEENS1_47radix_sort_onesweep_sort_config_static_selectorELNS0_4arch9wavefront6targetE1EEEvSK_, .Lfunc_end2060-_ZN7rocprim17ROCPRIM_400000_NS6detail17trampoline_kernelINS0_14default_configENS1_35radix_sort_onesweep_config_selectorIbiEEZZNS1_29radix_sort_onesweep_iterationIS3_Lb0EN6thrust23THRUST_200600_302600_NS6detail15normal_iteratorINS8_10device_ptrIbEEEESD_NSA_INSB_IiEEEESF_jNS0_19identity_decomposerENS1_16block_id_wrapperIjLb1EEEEE10hipError_tT1_PNSt15iterator_traitsISK_E10value_typeET2_T3_PNSL_ISQ_E10value_typeET4_T5_PSV_SW_PNS1_23onesweep_lookback_stateEbbT6_jjT7_P12ihipStream_tbENKUlT_T0_SK_SP_E_clIPbSD_PiSF_EEDaS13_S14_SK_SP_EUlS13_E_NS1_11comp_targetILNS1_3genE6ELNS1_11target_archE950ELNS1_3gpuE13ELNS1_3repE0EEENS1_47radix_sort_onesweep_sort_config_static_selectorELNS0_4arch9wavefront6targetE1EEEvSK_
                                        ; -- End function
	.set _ZN7rocprim17ROCPRIM_400000_NS6detail17trampoline_kernelINS0_14default_configENS1_35radix_sort_onesweep_config_selectorIbiEEZZNS1_29radix_sort_onesweep_iterationIS3_Lb0EN6thrust23THRUST_200600_302600_NS6detail15normal_iteratorINS8_10device_ptrIbEEEESD_NSA_INSB_IiEEEESF_jNS0_19identity_decomposerENS1_16block_id_wrapperIjLb1EEEEE10hipError_tT1_PNSt15iterator_traitsISK_E10value_typeET2_T3_PNSL_ISQ_E10value_typeET4_T5_PSV_SW_PNS1_23onesweep_lookback_stateEbbT6_jjT7_P12ihipStream_tbENKUlT_T0_SK_SP_E_clIPbSD_PiSF_EEDaS13_S14_SK_SP_EUlS13_E_NS1_11comp_targetILNS1_3genE6ELNS1_11target_archE950ELNS1_3gpuE13ELNS1_3repE0EEENS1_47radix_sort_onesweep_sort_config_static_selectorELNS0_4arch9wavefront6targetE1EEEvSK_.num_vgpr, 100
	.set _ZN7rocprim17ROCPRIM_400000_NS6detail17trampoline_kernelINS0_14default_configENS1_35radix_sort_onesweep_config_selectorIbiEEZZNS1_29radix_sort_onesweep_iterationIS3_Lb0EN6thrust23THRUST_200600_302600_NS6detail15normal_iteratorINS8_10device_ptrIbEEEESD_NSA_INSB_IiEEEESF_jNS0_19identity_decomposerENS1_16block_id_wrapperIjLb1EEEEE10hipError_tT1_PNSt15iterator_traitsISK_E10value_typeET2_T3_PNSL_ISQ_E10value_typeET4_T5_PSV_SW_PNS1_23onesweep_lookback_stateEbbT6_jjT7_P12ihipStream_tbENKUlT_T0_SK_SP_E_clIPbSD_PiSF_EEDaS13_S14_SK_SP_EUlS13_E_NS1_11comp_targetILNS1_3genE6ELNS1_11target_archE950ELNS1_3gpuE13ELNS1_3repE0EEENS1_47radix_sort_onesweep_sort_config_static_selectorELNS0_4arch9wavefront6targetE1EEEvSK_.num_agpr, 0
	.set _ZN7rocprim17ROCPRIM_400000_NS6detail17trampoline_kernelINS0_14default_configENS1_35radix_sort_onesweep_config_selectorIbiEEZZNS1_29radix_sort_onesweep_iterationIS3_Lb0EN6thrust23THRUST_200600_302600_NS6detail15normal_iteratorINS8_10device_ptrIbEEEESD_NSA_INSB_IiEEEESF_jNS0_19identity_decomposerENS1_16block_id_wrapperIjLb1EEEEE10hipError_tT1_PNSt15iterator_traitsISK_E10value_typeET2_T3_PNSL_ISQ_E10value_typeET4_T5_PSV_SW_PNS1_23onesweep_lookback_stateEbbT6_jjT7_P12ihipStream_tbENKUlT_T0_SK_SP_E_clIPbSD_PiSF_EEDaS13_S14_SK_SP_EUlS13_E_NS1_11comp_targetILNS1_3genE6ELNS1_11target_archE950ELNS1_3gpuE13ELNS1_3repE0EEENS1_47radix_sort_onesweep_sort_config_static_selectorELNS0_4arch9wavefront6targetE1EEEvSK_.numbered_sgpr, 72
	.set _ZN7rocprim17ROCPRIM_400000_NS6detail17trampoline_kernelINS0_14default_configENS1_35radix_sort_onesweep_config_selectorIbiEEZZNS1_29radix_sort_onesweep_iterationIS3_Lb0EN6thrust23THRUST_200600_302600_NS6detail15normal_iteratorINS8_10device_ptrIbEEEESD_NSA_INSB_IiEEEESF_jNS0_19identity_decomposerENS1_16block_id_wrapperIjLb1EEEEE10hipError_tT1_PNSt15iterator_traitsISK_E10value_typeET2_T3_PNSL_ISQ_E10value_typeET4_T5_PSV_SW_PNS1_23onesweep_lookback_stateEbbT6_jjT7_P12ihipStream_tbENKUlT_T0_SK_SP_E_clIPbSD_PiSF_EEDaS13_S14_SK_SP_EUlS13_E_NS1_11comp_targetILNS1_3genE6ELNS1_11target_archE950ELNS1_3gpuE13ELNS1_3repE0EEENS1_47radix_sort_onesweep_sort_config_static_selectorELNS0_4arch9wavefront6targetE1EEEvSK_.num_named_barrier, 0
	.set _ZN7rocprim17ROCPRIM_400000_NS6detail17trampoline_kernelINS0_14default_configENS1_35radix_sort_onesweep_config_selectorIbiEEZZNS1_29radix_sort_onesweep_iterationIS3_Lb0EN6thrust23THRUST_200600_302600_NS6detail15normal_iteratorINS8_10device_ptrIbEEEESD_NSA_INSB_IiEEEESF_jNS0_19identity_decomposerENS1_16block_id_wrapperIjLb1EEEEE10hipError_tT1_PNSt15iterator_traitsISK_E10value_typeET2_T3_PNSL_ISQ_E10value_typeET4_T5_PSV_SW_PNS1_23onesweep_lookback_stateEbbT6_jjT7_P12ihipStream_tbENKUlT_T0_SK_SP_E_clIPbSD_PiSF_EEDaS13_S14_SK_SP_EUlS13_E_NS1_11comp_targetILNS1_3genE6ELNS1_11target_archE950ELNS1_3gpuE13ELNS1_3repE0EEENS1_47radix_sort_onesweep_sort_config_static_selectorELNS0_4arch9wavefront6targetE1EEEvSK_.private_seg_size, 80
	.set _ZN7rocprim17ROCPRIM_400000_NS6detail17trampoline_kernelINS0_14default_configENS1_35radix_sort_onesweep_config_selectorIbiEEZZNS1_29radix_sort_onesweep_iterationIS3_Lb0EN6thrust23THRUST_200600_302600_NS6detail15normal_iteratorINS8_10device_ptrIbEEEESD_NSA_INSB_IiEEEESF_jNS0_19identity_decomposerENS1_16block_id_wrapperIjLb1EEEEE10hipError_tT1_PNSt15iterator_traitsISK_E10value_typeET2_T3_PNSL_ISQ_E10value_typeET4_T5_PSV_SW_PNS1_23onesweep_lookback_stateEbbT6_jjT7_P12ihipStream_tbENKUlT_T0_SK_SP_E_clIPbSD_PiSF_EEDaS13_S14_SK_SP_EUlS13_E_NS1_11comp_targetILNS1_3genE6ELNS1_11target_archE950ELNS1_3gpuE13ELNS1_3repE0EEENS1_47radix_sort_onesweep_sort_config_static_selectorELNS0_4arch9wavefront6targetE1EEEvSK_.uses_vcc, 1
	.set _ZN7rocprim17ROCPRIM_400000_NS6detail17trampoline_kernelINS0_14default_configENS1_35radix_sort_onesweep_config_selectorIbiEEZZNS1_29radix_sort_onesweep_iterationIS3_Lb0EN6thrust23THRUST_200600_302600_NS6detail15normal_iteratorINS8_10device_ptrIbEEEESD_NSA_INSB_IiEEEESF_jNS0_19identity_decomposerENS1_16block_id_wrapperIjLb1EEEEE10hipError_tT1_PNSt15iterator_traitsISK_E10value_typeET2_T3_PNSL_ISQ_E10value_typeET4_T5_PSV_SW_PNS1_23onesweep_lookback_stateEbbT6_jjT7_P12ihipStream_tbENKUlT_T0_SK_SP_E_clIPbSD_PiSF_EEDaS13_S14_SK_SP_EUlS13_E_NS1_11comp_targetILNS1_3genE6ELNS1_11target_archE950ELNS1_3gpuE13ELNS1_3repE0EEENS1_47radix_sort_onesweep_sort_config_static_selectorELNS0_4arch9wavefront6targetE1EEEvSK_.uses_flat_scratch, 0
	.set _ZN7rocprim17ROCPRIM_400000_NS6detail17trampoline_kernelINS0_14default_configENS1_35radix_sort_onesweep_config_selectorIbiEEZZNS1_29radix_sort_onesweep_iterationIS3_Lb0EN6thrust23THRUST_200600_302600_NS6detail15normal_iteratorINS8_10device_ptrIbEEEESD_NSA_INSB_IiEEEESF_jNS0_19identity_decomposerENS1_16block_id_wrapperIjLb1EEEEE10hipError_tT1_PNSt15iterator_traitsISK_E10value_typeET2_T3_PNSL_ISQ_E10value_typeET4_T5_PSV_SW_PNS1_23onesweep_lookback_stateEbbT6_jjT7_P12ihipStream_tbENKUlT_T0_SK_SP_E_clIPbSD_PiSF_EEDaS13_S14_SK_SP_EUlS13_E_NS1_11comp_targetILNS1_3genE6ELNS1_11target_archE950ELNS1_3gpuE13ELNS1_3repE0EEENS1_47radix_sort_onesweep_sort_config_static_selectorELNS0_4arch9wavefront6targetE1EEEvSK_.has_dyn_sized_stack, 0
	.set _ZN7rocprim17ROCPRIM_400000_NS6detail17trampoline_kernelINS0_14default_configENS1_35radix_sort_onesweep_config_selectorIbiEEZZNS1_29radix_sort_onesweep_iterationIS3_Lb0EN6thrust23THRUST_200600_302600_NS6detail15normal_iteratorINS8_10device_ptrIbEEEESD_NSA_INSB_IiEEEESF_jNS0_19identity_decomposerENS1_16block_id_wrapperIjLb1EEEEE10hipError_tT1_PNSt15iterator_traitsISK_E10value_typeET2_T3_PNSL_ISQ_E10value_typeET4_T5_PSV_SW_PNS1_23onesweep_lookback_stateEbbT6_jjT7_P12ihipStream_tbENKUlT_T0_SK_SP_E_clIPbSD_PiSF_EEDaS13_S14_SK_SP_EUlS13_E_NS1_11comp_targetILNS1_3genE6ELNS1_11target_archE950ELNS1_3gpuE13ELNS1_3repE0EEENS1_47radix_sort_onesweep_sort_config_static_selectorELNS0_4arch9wavefront6targetE1EEEvSK_.has_recursion, 0
	.set _ZN7rocprim17ROCPRIM_400000_NS6detail17trampoline_kernelINS0_14default_configENS1_35radix_sort_onesweep_config_selectorIbiEEZZNS1_29radix_sort_onesweep_iterationIS3_Lb0EN6thrust23THRUST_200600_302600_NS6detail15normal_iteratorINS8_10device_ptrIbEEEESD_NSA_INSB_IiEEEESF_jNS0_19identity_decomposerENS1_16block_id_wrapperIjLb1EEEEE10hipError_tT1_PNSt15iterator_traitsISK_E10value_typeET2_T3_PNSL_ISQ_E10value_typeET4_T5_PSV_SW_PNS1_23onesweep_lookback_stateEbbT6_jjT7_P12ihipStream_tbENKUlT_T0_SK_SP_E_clIPbSD_PiSF_EEDaS13_S14_SK_SP_EUlS13_E_NS1_11comp_targetILNS1_3genE6ELNS1_11target_archE950ELNS1_3gpuE13ELNS1_3repE0EEENS1_47radix_sort_onesweep_sort_config_static_selectorELNS0_4arch9wavefront6targetE1EEEvSK_.has_indirect_call, 0
	.section	.AMDGPU.csdata,"",@progbits
; Kernel info:
; codeLenInByte = 14904
; TotalNumSgprs: 78
; NumVgprs: 100
; NumAgprs: 0
; TotalNumVgprs: 100
; ScratchSize: 80
; MemoryBound: 0
; FloatMode: 240
; IeeeMode: 1
; LDSByteSize: 20552 bytes/workgroup (compile time only)
; SGPRBlocks: 9
; VGPRBlocks: 12
; NumSGPRsForWavesPerEU: 78
; NumVGPRsForWavesPerEU: 100
; AccumOffset: 100
; Occupancy: 4
; WaveLimiterHint : 1
; COMPUTE_PGM_RSRC2:SCRATCH_EN: 1
; COMPUTE_PGM_RSRC2:USER_SGPR: 2
; COMPUTE_PGM_RSRC2:TRAP_HANDLER: 0
; COMPUTE_PGM_RSRC2:TGID_X_EN: 1
; COMPUTE_PGM_RSRC2:TGID_Y_EN: 0
; COMPUTE_PGM_RSRC2:TGID_Z_EN: 0
; COMPUTE_PGM_RSRC2:TIDIG_COMP_CNT: 2
; COMPUTE_PGM_RSRC3_GFX90A:ACCUM_OFFSET: 24
; COMPUTE_PGM_RSRC3_GFX90A:TG_SPLIT: 0
	.section	.text._ZN7rocprim17ROCPRIM_400000_NS6detail17trampoline_kernelINS0_14default_configENS1_35radix_sort_onesweep_config_selectorIbiEEZZNS1_29radix_sort_onesweep_iterationIS3_Lb0EN6thrust23THRUST_200600_302600_NS6detail15normal_iteratorINS8_10device_ptrIbEEEESD_NSA_INSB_IiEEEESF_jNS0_19identity_decomposerENS1_16block_id_wrapperIjLb1EEEEE10hipError_tT1_PNSt15iterator_traitsISK_E10value_typeET2_T3_PNSL_ISQ_E10value_typeET4_T5_PSV_SW_PNS1_23onesweep_lookback_stateEbbT6_jjT7_P12ihipStream_tbENKUlT_T0_SK_SP_E_clIPbSD_PiSF_EEDaS13_S14_SK_SP_EUlS13_E_NS1_11comp_targetILNS1_3genE5ELNS1_11target_archE942ELNS1_3gpuE9ELNS1_3repE0EEENS1_47radix_sort_onesweep_sort_config_static_selectorELNS0_4arch9wavefront6targetE1EEEvSK_,"axG",@progbits,_ZN7rocprim17ROCPRIM_400000_NS6detail17trampoline_kernelINS0_14default_configENS1_35radix_sort_onesweep_config_selectorIbiEEZZNS1_29radix_sort_onesweep_iterationIS3_Lb0EN6thrust23THRUST_200600_302600_NS6detail15normal_iteratorINS8_10device_ptrIbEEEESD_NSA_INSB_IiEEEESF_jNS0_19identity_decomposerENS1_16block_id_wrapperIjLb1EEEEE10hipError_tT1_PNSt15iterator_traitsISK_E10value_typeET2_T3_PNSL_ISQ_E10value_typeET4_T5_PSV_SW_PNS1_23onesweep_lookback_stateEbbT6_jjT7_P12ihipStream_tbENKUlT_T0_SK_SP_E_clIPbSD_PiSF_EEDaS13_S14_SK_SP_EUlS13_E_NS1_11comp_targetILNS1_3genE5ELNS1_11target_archE942ELNS1_3gpuE9ELNS1_3repE0EEENS1_47radix_sort_onesweep_sort_config_static_selectorELNS0_4arch9wavefront6targetE1EEEvSK_,comdat
	.protected	_ZN7rocprim17ROCPRIM_400000_NS6detail17trampoline_kernelINS0_14default_configENS1_35radix_sort_onesweep_config_selectorIbiEEZZNS1_29radix_sort_onesweep_iterationIS3_Lb0EN6thrust23THRUST_200600_302600_NS6detail15normal_iteratorINS8_10device_ptrIbEEEESD_NSA_INSB_IiEEEESF_jNS0_19identity_decomposerENS1_16block_id_wrapperIjLb1EEEEE10hipError_tT1_PNSt15iterator_traitsISK_E10value_typeET2_T3_PNSL_ISQ_E10value_typeET4_T5_PSV_SW_PNS1_23onesweep_lookback_stateEbbT6_jjT7_P12ihipStream_tbENKUlT_T0_SK_SP_E_clIPbSD_PiSF_EEDaS13_S14_SK_SP_EUlS13_E_NS1_11comp_targetILNS1_3genE5ELNS1_11target_archE942ELNS1_3gpuE9ELNS1_3repE0EEENS1_47radix_sort_onesweep_sort_config_static_selectorELNS0_4arch9wavefront6targetE1EEEvSK_ ; -- Begin function _ZN7rocprim17ROCPRIM_400000_NS6detail17trampoline_kernelINS0_14default_configENS1_35radix_sort_onesweep_config_selectorIbiEEZZNS1_29radix_sort_onesweep_iterationIS3_Lb0EN6thrust23THRUST_200600_302600_NS6detail15normal_iteratorINS8_10device_ptrIbEEEESD_NSA_INSB_IiEEEESF_jNS0_19identity_decomposerENS1_16block_id_wrapperIjLb1EEEEE10hipError_tT1_PNSt15iterator_traitsISK_E10value_typeET2_T3_PNSL_ISQ_E10value_typeET4_T5_PSV_SW_PNS1_23onesweep_lookback_stateEbbT6_jjT7_P12ihipStream_tbENKUlT_T0_SK_SP_E_clIPbSD_PiSF_EEDaS13_S14_SK_SP_EUlS13_E_NS1_11comp_targetILNS1_3genE5ELNS1_11target_archE942ELNS1_3gpuE9ELNS1_3repE0EEENS1_47radix_sort_onesweep_sort_config_static_selectorELNS0_4arch9wavefront6targetE1EEEvSK_
	.globl	_ZN7rocprim17ROCPRIM_400000_NS6detail17trampoline_kernelINS0_14default_configENS1_35radix_sort_onesweep_config_selectorIbiEEZZNS1_29radix_sort_onesweep_iterationIS3_Lb0EN6thrust23THRUST_200600_302600_NS6detail15normal_iteratorINS8_10device_ptrIbEEEESD_NSA_INSB_IiEEEESF_jNS0_19identity_decomposerENS1_16block_id_wrapperIjLb1EEEEE10hipError_tT1_PNSt15iterator_traitsISK_E10value_typeET2_T3_PNSL_ISQ_E10value_typeET4_T5_PSV_SW_PNS1_23onesweep_lookback_stateEbbT6_jjT7_P12ihipStream_tbENKUlT_T0_SK_SP_E_clIPbSD_PiSF_EEDaS13_S14_SK_SP_EUlS13_E_NS1_11comp_targetILNS1_3genE5ELNS1_11target_archE942ELNS1_3gpuE9ELNS1_3repE0EEENS1_47radix_sort_onesweep_sort_config_static_selectorELNS0_4arch9wavefront6targetE1EEEvSK_
	.p2align	8
	.type	_ZN7rocprim17ROCPRIM_400000_NS6detail17trampoline_kernelINS0_14default_configENS1_35radix_sort_onesweep_config_selectorIbiEEZZNS1_29radix_sort_onesweep_iterationIS3_Lb0EN6thrust23THRUST_200600_302600_NS6detail15normal_iteratorINS8_10device_ptrIbEEEESD_NSA_INSB_IiEEEESF_jNS0_19identity_decomposerENS1_16block_id_wrapperIjLb1EEEEE10hipError_tT1_PNSt15iterator_traitsISK_E10value_typeET2_T3_PNSL_ISQ_E10value_typeET4_T5_PSV_SW_PNS1_23onesweep_lookback_stateEbbT6_jjT7_P12ihipStream_tbENKUlT_T0_SK_SP_E_clIPbSD_PiSF_EEDaS13_S14_SK_SP_EUlS13_E_NS1_11comp_targetILNS1_3genE5ELNS1_11target_archE942ELNS1_3gpuE9ELNS1_3repE0EEENS1_47radix_sort_onesweep_sort_config_static_selectorELNS0_4arch9wavefront6targetE1EEEvSK_,@function
_ZN7rocprim17ROCPRIM_400000_NS6detail17trampoline_kernelINS0_14default_configENS1_35radix_sort_onesweep_config_selectorIbiEEZZNS1_29radix_sort_onesweep_iterationIS3_Lb0EN6thrust23THRUST_200600_302600_NS6detail15normal_iteratorINS8_10device_ptrIbEEEESD_NSA_INSB_IiEEEESF_jNS0_19identity_decomposerENS1_16block_id_wrapperIjLb1EEEEE10hipError_tT1_PNSt15iterator_traitsISK_E10value_typeET2_T3_PNSL_ISQ_E10value_typeET4_T5_PSV_SW_PNS1_23onesweep_lookback_stateEbbT6_jjT7_P12ihipStream_tbENKUlT_T0_SK_SP_E_clIPbSD_PiSF_EEDaS13_S14_SK_SP_EUlS13_E_NS1_11comp_targetILNS1_3genE5ELNS1_11target_archE942ELNS1_3gpuE9ELNS1_3repE0EEENS1_47radix_sort_onesweep_sort_config_static_selectorELNS0_4arch9wavefront6targetE1EEEvSK_: ; @_ZN7rocprim17ROCPRIM_400000_NS6detail17trampoline_kernelINS0_14default_configENS1_35radix_sort_onesweep_config_selectorIbiEEZZNS1_29radix_sort_onesweep_iterationIS3_Lb0EN6thrust23THRUST_200600_302600_NS6detail15normal_iteratorINS8_10device_ptrIbEEEESD_NSA_INSB_IiEEEESF_jNS0_19identity_decomposerENS1_16block_id_wrapperIjLb1EEEEE10hipError_tT1_PNSt15iterator_traitsISK_E10value_typeET2_T3_PNSL_ISQ_E10value_typeET4_T5_PSV_SW_PNS1_23onesweep_lookback_stateEbbT6_jjT7_P12ihipStream_tbENKUlT_T0_SK_SP_E_clIPbSD_PiSF_EEDaS13_S14_SK_SP_EUlS13_E_NS1_11comp_targetILNS1_3genE5ELNS1_11target_archE942ELNS1_3gpuE9ELNS1_3repE0EEENS1_47radix_sort_onesweep_sort_config_static_selectorELNS0_4arch9wavefront6targetE1EEEvSK_
; %bb.0:
	.section	.rodata,"a",@progbits
	.p2align	6, 0x0
	.amdhsa_kernel _ZN7rocprim17ROCPRIM_400000_NS6detail17trampoline_kernelINS0_14default_configENS1_35radix_sort_onesweep_config_selectorIbiEEZZNS1_29radix_sort_onesweep_iterationIS3_Lb0EN6thrust23THRUST_200600_302600_NS6detail15normal_iteratorINS8_10device_ptrIbEEEESD_NSA_INSB_IiEEEESF_jNS0_19identity_decomposerENS1_16block_id_wrapperIjLb1EEEEE10hipError_tT1_PNSt15iterator_traitsISK_E10value_typeET2_T3_PNSL_ISQ_E10value_typeET4_T5_PSV_SW_PNS1_23onesweep_lookback_stateEbbT6_jjT7_P12ihipStream_tbENKUlT_T0_SK_SP_E_clIPbSD_PiSF_EEDaS13_S14_SK_SP_EUlS13_E_NS1_11comp_targetILNS1_3genE5ELNS1_11target_archE942ELNS1_3gpuE9ELNS1_3repE0EEENS1_47radix_sort_onesweep_sort_config_static_selectorELNS0_4arch9wavefront6targetE1EEEvSK_
		.amdhsa_group_segment_fixed_size 0
		.amdhsa_private_segment_fixed_size 0
		.amdhsa_kernarg_size 88
		.amdhsa_user_sgpr_count 2
		.amdhsa_user_sgpr_dispatch_ptr 0
		.amdhsa_user_sgpr_queue_ptr 0
		.amdhsa_user_sgpr_kernarg_segment_ptr 1
		.amdhsa_user_sgpr_dispatch_id 0
		.amdhsa_user_sgpr_kernarg_preload_length 0
		.amdhsa_user_sgpr_kernarg_preload_offset 0
		.amdhsa_user_sgpr_private_segment_size 0
		.amdhsa_uses_dynamic_stack 0
		.amdhsa_enable_private_segment 0
		.amdhsa_system_sgpr_workgroup_id_x 1
		.amdhsa_system_sgpr_workgroup_id_y 0
		.amdhsa_system_sgpr_workgroup_id_z 0
		.amdhsa_system_sgpr_workgroup_info 0
		.amdhsa_system_vgpr_workitem_id 0
		.amdhsa_next_free_vgpr 1
		.amdhsa_next_free_sgpr 0
		.amdhsa_accum_offset 4
		.amdhsa_reserve_vcc 0
		.amdhsa_float_round_mode_32 0
		.amdhsa_float_round_mode_16_64 0
		.amdhsa_float_denorm_mode_32 3
		.amdhsa_float_denorm_mode_16_64 3
		.amdhsa_dx10_clamp 1
		.amdhsa_ieee_mode 1
		.amdhsa_fp16_overflow 0
		.amdhsa_tg_split 0
		.amdhsa_exception_fp_ieee_invalid_op 0
		.amdhsa_exception_fp_denorm_src 0
		.amdhsa_exception_fp_ieee_div_zero 0
		.amdhsa_exception_fp_ieee_overflow 0
		.amdhsa_exception_fp_ieee_underflow 0
		.amdhsa_exception_fp_ieee_inexact 0
		.amdhsa_exception_int_div_zero 0
	.end_amdhsa_kernel
	.section	.text._ZN7rocprim17ROCPRIM_400000_NS6detail17trampoline_kernelINS0_14default_configENS1_35radix_sort_onesweep_config_selectorIbiEEZZNS1_29radix_sort_onesweep_iterationIS3_Lb0EN6thrust23THRUST_200600_302600_NS6detail15normal_iteratorINS8_10device_ptrIbEEEESD_NSA_INSB_IiEEEESF_jNS0_19identity_decomposerENS1_16block_id_wrapperIjLb1EEEEE10hipError_tT1_PNSt15iterator_traitsISK_E10value_typeET2_T3_PNSL_ISQ_E10value_typeET4_T5_PSV_SW_PNS1_23onesweep_lookback_stateEbbT6_jjT7_P12ihipStream_tbENKUlT_T0_SK_SP_E_clIPbSD_PiSF_EEDaS13_S14_SK_SP_EUlS13_E_NS1_11comp_targetILNS1_3genE5ELNS1_11target_archE942ELNS1_3gpuE9ELNS1_3repE0EEENS1_47radix_sort_onesweep_sort_config_static_selectorELNS0_4arch9wavefront6targetE1EEEvSK_,"axG",@progbits,_ZN7rocprim17ROCPRIM_400000_NS6detail17trampoline_kernelINS0_14default_configENS1_35radix_sort_onesweep_config_selectorIbiEEZZNS1_29radix_sort_onesweep_iterationIS3_Lb0EN6thrust23THRUST_200600_302600_NS6detail15normal_iteratorINS8_10device_ptrIbEEEESD_NSA_INSB_IiEEEESF_jNS0_19identity_decomposerENS1_16block_id_wrapperIjLb1EEEEE10hipError_tT1_PNSt15iterator_traitsISK_E10value_typeET2_T3_PNSL_ISQ_E10value_typeET4_T5_PSV_SW_PNS1_23onesweep_lookback_stateEbbT6_jjT7_P12ihipStream_tbENKUlT_T0_SK_SP_E_clIPbSD_PiSF_EEDaS13_S14_SK_SP_EUlS13_E_NS1_11comp_targetILNS1_3genE5ELNS1_11target_archE942ELNS1_3gpuE9ELNS1_3repE0EEENS1_47radix_sort_onesweep_sort_config_static_selectorELNS0_4arch9wavefront6targetE1EEEvSK_,comdat
.Lfunc_end2061:
	.size	_ZN7rocprim17ROCPRIM_400000_NS6detail17trampoline_kernelINS0_14default_configENS1_35radix_sort_onesweep_config_selectorIbiEEZZNS1_29radix_sort_onesweep_iterationIS3_Lb0EN6thrust23THRUST_200600_302600_NS6detail15normal_iteratorINS8_10device_ptrIbEEEESD_NSA_INSB_IiEEEESF_jNS0_19identity_decomposerENS1_16block_id_wrapperIjLb1EEEEE10hipError_tT1_PNSt15iterator_traitsISK_E10value_typeET2_T3_PNSL_ISQ_E10value_typeET4_T5_PSV_SW_PNS1_23onesweep_lookback_stateEbbT6_jjT7_P12ihipStream_tbENKUlT_T0_SK_SP_E_clIPbSD_PiSF_EEDaS13_S14_SK_SP_EUlS13_E_NS1_11comp_targetILNS1_3genE5ELNS1_11target_archE942ELNS1_3gpuE9ELNS1_3repE0EEENS1_47radix_sort_onesweep_sort_config_static_selectorELNS0_4arch9wavefront6targetE1EEEvSK_, .Lfunc_end2061-_ZN7rocprim17ROCPRIM_400000_NS6detail17trampoline_kernelINS0_14default_configENS1_35radix_sort_onesweep_config_selectorIbiEEZZNS1_29radix_sort_onesweep_iterationIS3_Lb0EN6thrust23THRUST_200600_302600_NS6detail15normal_iteratorINS8_10device_ptrIbEEEESD_NSA_INSB_IiEEEESF_jNS0_19identity_decomposerENS1_16block_id_wrapperIjLb1EEEEE10hipError_tT1_PNSt15iterator_traitsISK_E10value_typeET2_T3_PNSL_ISQ_E10value_typeET4_T5_PSV_SW_PNS1_23onesweep_lookback_stateEbbT6_jjT7_P12ihipStream_tbENKUlT_T0_SK_SP_E_clIPbSD_PiSF_EEDaS13_S14_SK_SP_EUlS13_E_NS1_11comp_targetILNS1_3genE5ELNS1_11target_archE942ELNS1_3gpuE9ELNS1_3repE0EEENS1_47radix_sort_onesweep_sort_config_static_selectorELNS0_4arch9wavefront6targetE1EEEvSK_
                                        ; -- End function
	.set _ZN7rocprim17ROCPRIM_400000_NS6detail17trampoline_kernelINS0_14default_configENS1_35radix_sort_onesweep_config_selectorIbiEEZZNS1_29radix_sort_onesweep_iterationIS3_Lb0EN6thrust23THRUST_200600_302600_NS6detail15normal_iteratorINS8_10device_ptrIbEEEESD_NSA_INSB_IiEEEESF_jNS0_19identity_decomposerENS1_16block_id_wrapperIjLb1EEEEE10hipError_tT1_PNSt15iterator_traitsISK_E10value_typeET2_T3_PNSL_ISQ_E10value_typeET4_T5_PSV_SW_PNS1_23onesweep_lookback_stateEbbT6_jjT7_P12ihipStream_tbENKUlT_T0_SK_SP_E_clIPbSD_PiSF_EEDaS13_S14_SK_SP_EUlS13_E_NS1_11comp_targetILNS1_3genE5ELNS1_11target_archE942ELNS1_3gpuE9ELNS1_3repE0EEENS1_47radix_sort_onesweep_sort_config_static_selectorELNS0_4arch9wavefront6targetE1EEEvSK_.num_vgpr, 0
	.set _ZN7rocprim17ROCPRIM_400000_NS6detail17trampoline_kernelINS0_14default_configENS1_35radix_sort_onesweep_config_selectorIbiEEZZNS1_29radix_sort_onesweep_iterationIS3_Lb0EN6thrust23THRUST_200600_302600_NS6detail15normal_iteratorINS8_10device_ptrIbEEEESD_NSA_INSB_IiEEEESF_jNS0_19identity_decomposerENS1_16block_id_wrapperIjLb1EEEEE10hipError_tT1_PNSt15iterator_traitsISK_E10value_typeET2_T3_PNSL_ISQ_E10value_typeET4_T5_PSV_SW_PNS1_23onesweep_lookback_stateEbbT6_jjT7_P12ihipStream_tbENKUlT_T0_SK_SP_E_clIPbSD_PiSF_EEDaS13_S14_SK_SP_EUlS13_E_NS1_11comp_targetILNS1_3genE5ELNS1_11target_archE942ELNS1_3gpuE9ELNS1_3repE0EEENS1_47radix_sort_onesweep_sort_config_static_selectorELNS0_4arch9wavefront6targetE1EEEvSK_.num_agpr, 0
	.set _ZN7rocprim17ROCPRIM_400000_NS6detail17trampoline_kernelINS0_14default_configENS1_35radix_sort_onesweep_config_selectorIbiEEZZNS1_29radix_sort_onesweep_iterationIS3_Lb0EN6thrust23THRUST_200600_302600_NS6detail15normal_iteratorINS8_10device_ptrIbEEEESD_NSA_INSB_IiEEEESF_jNS0_19identity_decomposerENS1_16block_id_wrapperIjLb1EEEEE10hipError_tT1_PNSt15iterator_traitsISK_E10value_typeET2_T3_PNSL_ISQ_E10value_typeET4_T5_PSV_SW_PNS1_23onesweep_lookback_stateEbbT6_jjT7_P12ihipStream_tbENKUlT_T0_SK_SP_E_clIPbSD_PiSF_EEDaS13_S14_SK_SP_EUlS13_E_NS1_11comp_targetILNS1_3genE5ELNS1_11target_archE942ELNS1_3gpuE9ELNS1_3repE0EEENS1_47radix_sort_onesweep_sort_config_static_selectorELNS0_4arch9wavefront6targetE1EEEvSK_.numbered_sgpr, 0
	.set _ZN7rocprim17ROCPRIM_400000_NS6detail17trampoline_kernelINS0_14default_configENS1_35radix_sort_onesweep_config_selectorIbiEEZZNS1_29radix_sort_onesweep_iterationIS3_Lb0EN6thrust23THRUST_200600_302600_NS6detail15normal_iteratorINS8_10device_ptrIbEEEESD_NSA_INSB_IiEEEESF_jNS0_19identity_decomposerENS1_16block_id_wrapperIjLb1EEEEE10hipError_tT1_PNSt15iterator_traitsISK_E10value_typeET2_T3_PNSL_ISQ_E10value_typeET4_T5_PSV_SW_PNS1_23onesweep_lookback_stateEbbT6_jjT7_P12ihipStream_tbENKUlT_T0_SK_SP_E_clIPbSD_PiSF_EEDaS13_S14_SK_SP_EUlS13_E_NS1_11comp_targetILNS1_3genE5ELNS1_11target_archE942ELNS1_3gpuE9ELNS1_3repE0EEENS1_47radix_sort_onesweep_sort_config_static_selectorELNS0_4arch9wavefront6targetE1EEEvSK_.num_named_barrier, 0
	.set _ZN7rocprim17ROCPRIM_400000_NS6detail17trampoline_kernelINS0_14default_configENS1_35radix_sort_onesweep_config_selectorIbiEEZZNS1_29radix_sort_onesweep_iterationIS3_Lb0EN6thrust23THRUST_200600_302600_NS6detail15normal_iteratorINS8_10device_ptrIbEEEESD_NSA_INSB_IiEEEESF_jNS0_19identity_decomposerENS1_16block_id_wrapperIjLb1EEEEE10hipError_tT1_PNSt15iterator_traitsISK_E10value_typeET2_T3_PNSL_ISQ_E10value_typeET4_T5_PSV_SW_PNS1_23onesweep_lookback_stateEbbT6_jjT7_P12ihipStream_tbENKUlT_T0_SK_SP_E_clIPbSD_PiSF_EEDaS13_S14_SK_SP_EUlS13_E_NS1_11comp_targetILNS1_3genE5ELNS1_11target_archE942ELNS1_3gpuE9ELNS1_3repE0EEENS1_47radix_sort_onesweep_sort_config_static_selectorELNS0_4arch9wavefront6targetE1EEEvSK_.private_seg_size, 0
	.set _ZN7rocprim17ROCPRIM_400000_NS6detail17trampoline_kernelINS0_14default_configENS1_35radix_sort_onesweep_config_selectorIbiEEZZNS1_29radix_sort_onesweep_iterationIS3_Lb0EN6thrust23THRUST_200600_302600_NS6detail15normal_iteratorINS8_10device_ptrIbEEEESD_NSA_INSB_IiEEEESF_jNS0_19identity_decomposerENS1_16block_id_wrapperIjLb1EEEEE10hipError_tT1_PNSt15iterator_traitsISK_E10value_typeET2_T3_PNSL_ISQ_E10value_typeET4_T5_PSV_SW_PNS1_23onesweep_lookback_stateEbbT6_jjT7_P12ihipStream_tbENKUlT_T0_SK_SP_E_clIPbSD_PiSF_EEDaS13_S14_SK_SP_EUlS13_E_NS1_11comp_targetILNS1_3genE5ELNS1_11target_archE942ELNS1_3gpuE9ELNS1_3repE0EEENS1_47radix_sort_onesweep_sort_config_static_selectorELNS0_4arch9wavefront6targetE1EEEvSK_.uses_vcc, 0
	.set _ZN7rocprim17ROCPRIM_400000_NS6detail17trampoline_kernelINS0_14default_configENS1_35radix_sort_onesweep_config_selectorIbiEEZZNS1_29radix_sort_onesweep_iterationIS3_Lb0EN6thrust23THRUST_200600_302600_NS6detail15normal_iteratorINS8_10device_ptrIbEEEESD_NSA_INSB_IiEEEESF_jNS0_19identity_decomposerENS1_16block_id_wrapperIjLb1EEEEE10hipError_tT1_PNSt15iterator_traitsISK_E10value_typeET2_T3_PNSL_ISQ_E10value_typeET4_T5_PSV_SW_PNS1_23onesweep_lookback_stateEbbT6_jjT7_P12ihipStream_tbENKUlT_T0_SK_SP_E_clIPbSD_PiSF_EEDaS13_S14_SK_SP_EUlS13_E_NS1_11comp_targetILNS1_3genE5ELNS1_11target_archE942ELNS1_3gpuE9ELNS1_3repE0EEENS1_47radix_sort_onesweep_sort_config_static_selectorELNS0_4arch9wavefront6targetE1EEEvSK_.uses_flat_scratch, 0
	.set _ZN7rocprim17ROCPRIM_400000_NS6detail17trampoline_kernelINS0_14default_configENS1_35radix_sort_onesweep_config_selectorIbiEEZZNS1_29radix_sort_onesweep_iterationIS3_Lb0EN6thrust23THRUST_200600_302600_NS6detail15normal_iteratorINS8_10device_ptrIbEEEESD_NSA_INSB_IiEEEESF_jNS0_19identity_decomposerENS1_16block_id_wrapperIjLb1EEEEE10hipError_tT1_PNSt15iterator_traitsISK_E10value_typeET2_T3_PNSL_ISQ_E10value_typeET4_T5_PSV_SW_PNS1_23onesweep_lookback_stateEbbT6_jjT7_P12ihipStream_tbENKUlT_T0_SK_SP_E_clIPbSD_PiSF_EEDaS13_S14_SK_SP_EUlS13_E_NS1_11comp_targetILNS1_3genE5ELNS1_11target_archE942ELNS1_3gpuE9ELNS1_3repE0EEENS1_47radix_sort_onesweep_sort_config_static_selectorELNS0_4arch9wavefront6targetE1EEEvSK_.has_dyn_sized_stack, 0
	.set _ZN7rocprim17ROCPRIM_400000_NS6detail17trampoline_kernelINS0_14default_configENS1_35radix_sort_onesweep_config_selectorIbiEEZZNS1_29radix_sort_onesweep_iterationIS3_Lb0EN6thrust23THRUST_200600_302600_NS6detail15normal_iteratorINS8_10device_ptrIbEEEESD_NSA_INSB_IiEEEESF_jNS0_19identity_decomposerENS1_16block_id_wrapperIjLb1EEEEE10hipError_tT1_PNSt15iterator_traitsISK_E10value_typeET2_T3_PNSL_ISQ_E10value_typeET4_T5_PSV_SW_PNS1_23onesweep_lookback_stateEbbT6_jjT7_P12ihipStream_tbENKUlT_T0_SK_SP_E_clIPbSD_PiSF_EEDaS13_S14_SK_SP_EUlS13_E_NS1_11comp_targetILNS1_3genE5ELNS1_11target_archE942ELNS1_3gpuE9ELNS1_3repE0EEENS1_47radix_sort_onesweep_sort_config_static_selectorELNS0_4arch9wavefront6targetE1EEEvSK_.has_recursion, 0
	.set _ZN7rocprim17ROCPRIM_400000_NS6detail17trampoline_kernelINS0_14default_configENS1_35radix_sort_onesweep_config_selectorIbiEEZZNS1_29radix_sort_onesweep_iterationIS3_Lb0EN6thrust23THRUST_200600_302600_NS6detail15normal_iteratorINS8_10device_ptrIbEEEESD_NSA_INSB_IiEEEESF_jNS0_19identity_decomposerENS1_16block_id_wrapperIjLb1EEEEE10hipError_tT1_PNSt15iterator_traitsISK_E10value_typeET2_T3_PNSL_ISQ_E10value_typeET4_T5_PSV_SW_PNS1_23onesweep_lookback_stateEbbT6_jjT7_P12ihipStream_tbENKUlT_T0_SK_SP_E_clIPbSD_PiSF_EEDaS13_S14_SK_SP_EUlS13_E_NS1_11comp_targetILNS1_3genE5ELNS1_11target_archE942ELNS1_3gpuE9ELNS1_3repE0EEENS1_47radix_sort_onesweep_sort_config_static_selectorELNS0_4arch9wavefront6targetE1EEEvSK_.has_indirect_call, 0
	.section	.AMDGPU.csdata,"",@progbits
; Kernel info:
; codeLenInByte = 0
; TotalNumSgprs: 6
; NumVgprs: 0
; NumAgprs: 0
; TotalNumVgprs: 0
; ScratchSize: 0
; MemoryBound: 0
; FloatMode: 240
; IeeeMode: 1
; LDSByteSize: 0 bytes/workgroup (compile time only)
; SGPRBlocks: 0
; VGPRBlocks: 0
; NumSGPRsForWavesPerEU: 6
; NumVGPRsForWavesPerEU: 1
; AccumOffset: 4
; Occupancy: 8
; WaveLimiterHint : 0
; COMPUTE_PGM_RSRC2:SCRATCH_EN: 0
; COMPUTE_PGM_RSRC2:USER_SGPR: 2
; COMPUTE_PGM_RSRC2:TRAP_HANDLER: 0
; COMPUTE_PGM_RSRC2:TGID_X_EN: 1
; COMPUTE_PGM_RSRC2:TGID_Y_EN: 0
; COMPUTE_PGM_RSRC2:TGID_Z_EN: 0
; COMPUTE_PGM_RSRC2:TIDIG_COMP_CNT: 0
; COMPUTE_PGM_RSRC3_GFX90A:ACCUM_OFFSET: 0
; COMPUTE_PGM_RSRC3_GFX90A:TG_SPLIT: 0
	.section	.text._ZN7rocprim17ROCPRIM_400000_NS6detail17trampoline_kernelINS0_14default_configENS1_35radix_sort_onesweep_config_selectorIbiEEZZNS1_29radix_sort_onesweep_iterationIS3_Lb0EN6thrust23THRUST_200600_302600_NS6detail15normal_iteratorINS8_10device_ptrIbEEEESD_NSA_INSB_IiEEEESF_jNS0_19identity_decomposerENS1_16block_id_wrapperIjLb1EEEEE10hipError_tT1_PNSt15iterator_traitsISK_E10value_typeET2_T3_PNSL_ISQ_E10value_typeET4_T5_PSV_SW_PNS1_23onesweep_lookback_stateEbbT6_jjT7_P12ihipStream_tbENKUlT_T0_SK_SP_E_clIPbSD_PiSF_EEDaS13_S14_SK_SP_EUlS13_E_NS1_11comp_targetILNS1_3genE2ELNS1_11target_archE906ELNS1_3gpuE6ELNS1_3repE0EEENS1_47radix_sort_onesweep_sort_config_static_selectorELNS0_4arch9wavefront6targetE1EEEvSK_,"axG",@progbits,_ZN7rocprim17ROCPRIM_400000_NS6detail17trampoline_kernelINS0_14default_configENS1_35radix_sort_onesweep_config_selectorIbiEEZZNS1_29radix_sort_onesweep_iterationIS3_Lb0EN6thrust23THRUST_200600_302600_NS6detail15normal_iteratorINS8_10device_ptrIbEEEESD_NSA_INSB_IiEEEESF_jNS0_19identity_decomposerENS1_16block_id_wrapperIjLb1EEEEE10hipError_tT1_PNSt15iterator_traitsISK_E10value_typeET2_T3_PNSL_ISQ_E10value_typeET4_T5_PSV_SW_PNS1_23onesweep_lookback_stateEbbT6_jjT7_P12ihipStream_tbENKUlT_T0_SK_SP_E_clIPbSD_PiSF_EEDaS13_S14_SK_SP_EUlS13_E_NS1_11comp_targetILNS1_3genE2ELNS1_11target_archE906ELNS1_3gpuE6ELNS1_3repE0EEENS1_47radix_sort_onesweep_sort_config_static_selectorELNS0_4arch9wavefront6targetE1EEEvSK_,comdat
	.protected	_ZN7rocprim17ROCPRIM_400000_NS6detail17trampoline_kernelINS0_14default_configENS1_35radix_sort_onesweep_config_selectorIbiEEZZNS1_29radix_sort_onesweep_iterationIS3_Lb0EN6thrust23THRUST_200600_302600_NS6detail15normal_iteratorINS8_10device_ptrIbEEEESD_NSA_INSB_IiEEEESF_jNS0_19identity_decomposerENS1_16block_id_wrapperIjLb1EEEEE10hipError_tT1_PNSt15iterator_traitsISK_E10value_typeET2_T3_PNSL_ISQ_E10value_typeET4_T5_PSV_SW_PNS1_23onesweep_lookback_stateEbbT6_jjT7_P12ihipStream_tbENKUlT_T0_SK_SP_E_clIPbSD_PiSF_EEDaS13_S14_SK_SP_EUlS13_E_NS1_11comp_targetILNS1_3genE2ELNS1_11target_archE906ELNS1_3gpuE6ELNS1_3repE0EEENS1_47radix_sort_onesweep_sort_config_static_selectorELNS0_4arch9wavefront6targetE1EEEvSK_ ; -- Begin function _ZN7rocprim17ROCPRIM_400000_NS6detail17trampoline_kernelINS0_14default_configENS1_35radix_sort_onesweep_config_selectorIbiEEZZNS1_29radix_sort_onesweep_iterationIS3_Lb0EN6thrust23THRUST_200600_302600_NS6detail15normal_iteratorINS8_10device_ptrIbEEEESD_NSA_INSB_IiEEEESF_jNS0_19identity_decomposerENS1_16block_id_wrapperIjLb1EEEEE10hipError_tT1_PNSt15iterator_traitsISK_E10value_typeET2_T3_PNSL_ISQ_E10value_typeET4_T5_PSV_SW_PNS1_23onesweep_lookback_stateEbbT6_jjT7_P12ihipStream_tbENKUlT_T0_SK_SP_E_clIPbSD_PiSF_EEDaS13_S14_SK_SP_EUlS13_E_NS1_11comp_targetILNS1_3genE2ELNS1_11target_archE906ELNS1_3gpuE6ELNS1_3repE0EEENS1_47radix_sort_onesweep_sort_config_static_selectorELNS0_4arch9wavefront6targetE1EEEvSK_
	.globl	_ZN7rocprim17ROCPRIM_400000_NS6detail17trampoline_kernelINS0_14default_configENS1_35radix_sort_onesweep_config_selectorIbiEEZZNS1_29radix_sort_onesweep_iterationIS3_Lb0EN6thrust23THRUST_200600_302600_NS6detail15normal_iteratorINS8_10device_ptrIbEEEESD_NSA_INSB_IiEEEESF_jNS0_19identity_decomposerENS1_16block_id_wrapperIjLb1EEEEE10hipError_tT1_PNSt15iterator_traitsISK_E10value_typeET2_T3_PNSL_ISQ_E10value_typeET4_T5_PSV_SW_PNS1_23onesweep_lookback_stateEbbT6_jjT7_P12ihipStream_tbENKUlT_T0_SK_SP_E_clIPbSD_PiSF_EEDaS13_S14_SK_SP_EUlS13_E_NS1_11comp_targetILNS1_3genE2ELNS1_11target_archE906ELNS1_3gpuE6ELNS1_3repE0EEENS1_47radix_sort_onesweep_sort_config_static_selectorELNS0_4arch9wavefront6targetE1EEEvSK_
	.p2align	8
	.type	_ZN7rocprim17ROCPRIM_400000_NS6detail17trampoline_kernelINS0_14default_configENS1_35radix_sort_onesweep_config_selectorIbiEEZZNS1_29radix_sort_onesweep_iterationIS3_Lb0EN6thrust23THRUST_200600_302600_NS6detail15normal_iteratorINS8_10device_ptrIbEEEESD_NSA_INSB_IiEEEESF_jNS0_19identity_decomposerENS1_16block_id_wrapperIjLb1EEEEE10hipError_tT1_PNSt15iterator_traitsISK_E10value_typeET2_T3_PNSL_ISQ_E10value_typeET4_T5_PSV_SW_PNS1_23onesweep_lookback_stateEbbT6_jjT7_P12ihipStream_tbENKUlT_T0_SK_SP_E_clIPbSD_PiSF_EEDaS13_S14_SK_SP_EUlS13_E_NS1_11comp_targetILNS1_3genE2ELNS1_11target_archE906ELNS1_3gpuE6ELNS1_3repE0EEENS1_47radix_sort_onesweep_sort_config_static_selectorELNS0_4arch9wavefront6targetE1EEEvSK_,@function
_ZN7rocprim17ROCPRIM_400000_NS6detail17trampoline_kernelINS0_14default_configENS1_35radix_sort_onesweep_config_selectorIbiEEZZNS1_29radix_sort_onesweep_iterationIS3_Lb0EN6thrust23THRUST_200600_302600_NS6detail15normal_iteratorINS8_10device_ptrIbEEEESD_NSA_INSB_IiEEEESF_jNS0_19identity_decomposerENS1_16block_id_wrapperIjLb1EEEEE10hipError_tT1_PNSt15iterator_traitsISK_E10value_typeET2_T3_PNSL_ISQ_E10value_typeET4_T5_PSV_SW_PNS1_23onesweep_lookback_stateEbbT6_jjT7_P12ihipStream_tbENKUlT_T0_SK_SP_E_clIPbSD_PiSF_EEDaS13_S14_SK_SP_EUlS13_E_NS1_11comp_targetILNS1_3genE2ELNS1_11target_archE906ELNS1_3gpuE6ELNS1_3repE0EEENS1_47radix_sort_onesweep_sort_config_static_selectorELNS0_4arch9wavefront6targetE1EEEvSK_: ; @_ZN7rocprim17ROCPRIM_400000_NS6detail17trampoline_kernelINS0_14default_configENS1_35radix_sort_onesweep_config_selectorIbiEEZZNS1_29radix_sort_onesweep_iterationIS3_Lb0EN6thrust23THRUST_200600_302600_NS6detail15normal_iteratorINS8_10device_ptrIbEEEESD_NSA_INSB_IiEEEESF_jNS0_19identity_decomposerENS1_16block_id_wrapperIjLb1EEEEE10hipError_tT1_PNSt15iterator_traitsISK_E10value_typeET2_T3_PNSL_ISQ_E10value_typeET4_T5_PSV_SW_PNS1_23onesweep_lookback_stateEbbT6_jjT7_P12ihipStream_tbENKUlT_T0_SK_SP_E_clIPbSD_PiSF_EEDaS13_S14_SK_SP_EUlS13_E_NS1_11comp_targetILNS1_3genE2ELNS1_11target_archE906ELNS1_3gpuE6ELNS1_3repE0EEENS1_47radix_sort_onesweep_sort_config_static_selectorELNS0_4arch9wavefront6targetE1EEEvSK_
; %bb.0:
	.section	.rodata,"a",@progbits
	.p2align	6, 0x0
	.amdhsa_kernel _ZN7rocprim17ROCPRIM_400000_NS6detail17trampoline_kernelINS0_14default_configENS1_35radix_sort_onesweep_config_selectorIbiEEZZNS1_29radix_sort_onesweep_iterationIS3_Lb0EN6thrust23THRUST_200600_302600_NS6detail15normal_iteratorINS8_10device_ptrIbEEEESD_NSA_INSB_IiEEEESF_jNS0_19identity_decomposerENS1_16block_id_wrapperIjLb1EEEEE10hipError_tT1_PNSt15iterator_traitsISK_E10value_typeET2_T3_PNSL_ISQ_E10value_typeET4_T5_PSV_SW_PNS1_23onesweep_lookback_stateEbbT6_jjT7_P12ihipStream_tbENKUlT_T0_SK_SP_E_clIPbSD_PiSF_EEDaS13_S14_SK_SP_EUlS13_E_NS1_11comp_targetILNS1_3genE2ELNS1_11target_archE906ELNS1_3gpuE6ELNS1_3repE0EEENS1_47radix_sort_onesweep_sort_config_static_selectorELNS0_4arch9wavefront6targetE1EEEvSK_
		.amdhsa_group_segment_fixed_size 0
		.amdhsa_private_segment_fixed_size 0
		.amdhsa_kernarg_size 88
		.amdhsa_user_sgpr_count 2
		.amdhsa_user_sgpr_dispatch_ptr 0
		.amdhsa_user_sgpr_queue_ptr 0
		.amdhsa_user_sgpr_kernarg_segment_ptr 1
		.amdhsa_user_sgpr_dispatch_id 0
		.amdhsa_user_sgpr_kernarg_preload_length 0
		.amdhsa_user_sgpr_kernarg_preload_offset 0
		.amdhsa_user_sgpr_private_segment_size 0
		.amdhsa_uses_dynamic_stack 0
		.amdhsa_enable_private_segment 0
		.amdhsa_system_sgpr_workgroup_id_x 1
		.amdhsa_system_sgpr_workgroup_id_y 0
		.amdhsa_system_sgpr_workgroup_id_z 0
		.amdhsa_system_sgpr_workgroup_info 0
		.amdhsa_system_vgpr_workitem_id 0
		.amdhsa_next_free_vgpr 1
		.amdhsa_next_free_sgpr 0
		.amdhsa_accum_offset 4
		.amdhsa_reserve_vcc 0
		.amdhsa_float_round_mode_32 0
		.amdhsa_float_round_mode_16_64 0
		.amdhsa_float_denorm_mode_32 3
		.amdhsa_float_denorm_mode_16_64 3
		.amdhsa_dx10_clamp 1
		.amdhsa_ieee_mode 1
		.amdhsa_fp16_overflow 0
		.amdhsa_tg_split 0
		.amdhsa_exception_fp_ieee_invalid_op 0
		.amdhsa_exception_fp_denorm_src 0
		.amdhsa_exception_fp_ieee_div_zero 0
		.amdhsa_exception_fp_ieee_overflow 0
		.amdhsa_exception_fp_ieee_underflow 0
		.amdhsa_exception_fp_ieee_inexact 0
		.amdhsa_exception_int_div_zero 0
	.end_amdhsa_kernel
	.section	.text._ZN7rocprim17ROCPRIM_400000_NS6detail17trampoline_kernelINS0_14default_configENS1_35radix_sort_onesweep_config_selectorIbiEEZZNS1_29radix_sort_onesweep_iterationIS3_Lb0EN6thrust23THRUST_200600_302600_NS6detail15normal_iteratorINS8_10device_ptrIbEEEESD_NSA_INSB_IiEEEESF_jNS0_19identity_decomposerENS1_16block_id_wrapperIjLb1EEEEE10hipError_tT1_PNSt15iterator_traitsISK_E10value_typeET2_T3_PNSL_ISQ_E10value_typeET4_T5_PSV_SW_PNS1_23onesweep_lookback_stateEbbT6_jjT7_P12ihipStream_tbENKUlT_T0_SK_SP_E_clIPbSD_PiSF_EEDaS13_S14_SK_SP_EUlS13_E_NS1_11comp_targetILNS1_3genE2ELNS1_11target_archE906ELNS1_3gpuE6ELNS1_3repE0EEENS1_47radix_sort_onesweep_sort_config_static_selectorELNS0_4arch9wavefront6targetE1EEEvSK_,"axG",@progbits,_ZN7rocprim17ROCPRIM_400000_NS6detail17trampoline_kernelINS0_14default_configENS1_35radix_sort_onesweep_config_selectorIbiEEZZNS1_29radix_sort_onesweep_iterationIS3_Lb0EN6thrust23THRUST_200600_302600_NS6detail15normal_iteratorINS8_10device_ptrIbEEEESD_NSA_INSB_IiEEEESF_jNS0_19identity_decomposerENS1_16block_id_wrapperIjLb1EEEEE10hipError_tT1_PNSt15iterator_traitsISK_E10value_typeET2_T3_PNSL_ISQ_E10value_typeET4_T5_PSV_SW_PNS1_23onesweep_lookback_stateEbbT6_jjT7_P12ihipStream_tbENKUlT_T0_SK_SP_E_clIPbSD_PiSF_EEDaS13_S14_SK_SP_EUlS13_E_NS1_11comp_targetILNS1_3genE2ELNS1_11target_archE906ELNS1_3gpuE6ELNS1_3repE0EEENS1_47radix_sort_onesweep_sort_config_static_selectorELNS0_4arch9wavefront6targetE1EEEvSK_,comdat
.Lfunc_end2062:
	.size	_ZN7rocprim17ROCPRIM_400000_NS6detail17trampoline_kernelINS0_14default_configENS1_35radix_sort_onesweep_config_selectorIbiEEZZNS1_29radix_sort_onesweep_iterationIS3_Lb0EN6thrust23THRUST_200600_302600_NS6detail15normal_iteratorINS8_10device_ptrIbEEEESD_NSA_INSB_IiEEEESF_jNS0_19identity_decomposerENS1_16block_id_wrapperIjLb1EEEEE10hipError_tT1_PNSt15iterator_traitsISK_E10value_typeET2_T3_PNSL_ISQ_E10value_typeET4_T5_PSV_SW_PNS1_23onesweep_lookback_stateEbbT6_jjT7_P12ihipStream_tbENKUlT_T0_SK_SP_E_clIPbSD_PiSF_EEDaS13_S14_SK_SP_EUlS13_E_NS1_11comp_targetILNS1_3genE2ELNS1_11target_archE906ELNS1_3gpuE6ELNS1_3repE0EEENS1_47radix_sort_onesweep_sort_config_static_selectorELNS0_4arch9wavefront6targetE1EEEvSK_, .Lfunc_end2062-_ZN7rocprim17ROCPRIM_400000_NS6detail17trampoline_kernelINS0_14default_configENS1_35radix_sort_onesweep_config_selectorIbiEEZZNS1_29radix_sort_onesweep_iterationIS3_Lb0EN6thrust23THRUST_200600_302600_NS6detail15normal_iteratorINS8_10device_ptrIbEEEESD_NSA_INSB_IiEEEESF_jNS0_19identity_decomposerENS1_16block_id_wrapperIjLb1EEEEE10hipError_tT1_PNSt15iterator_traitsISK_E10value_typeET2_T3_PNSL_ISQ_E10value_typeET4_T5_PSV_SW_PNS1_23onesweep_lookback_stateEbbT6_jjT7_P12ihipStream_tbENKUlT_T0_SK_SP_E_clIPbSD_PiSF_EEDaS13_S14_SK_SP_EUlS13_E_NS1_11comp_targetILNS1_3genE2ELNS1_11target_archE906ELNS1_3gpuE6ELNS1_3repE0EEENS1_47radix_sort_onesweep_sort_config_static_selectorELNS0_4arch9wavefront6targetE1EEEvSK_
                                        ; -- End function
	.set _ZN7rocprim17ROCPRIM_400000_NS6detail17trampoline_kernelINS0_14default_configENS1_35radix_sort_onesweep_config_selectorIbiEEZZNS1_29radix_sort_onesweep_iterationIS3_Lb0EN6thrust23THRUST_200600_302600_NS6detail15normal_iteratorINS8_10device_ptrIbEEEESD_NSA_INSB_IiEEEESF_jNS0_19identity_decomposerENS1_16block_id_wrapperIjLb1EEEEE10hipError_tT1_PNSt15iterator_traitsISK_E10value_typeET2_T3_PNSL_ISQ_E10value_typeET4_T5_PSV_SW_PNS1_23onesweep_lookback_stateEbbT6_jjT7_P12ihipStream_tbENKUlT_T0_SK_SP_E_clIPbSD_PiSF_EEDaS13_S14_SK_SP_EUlS13_E_NS1_11comp_targetILNS1_3genE2ELNS1_11target_archE906ELNS1_3gpuE6ELNS1_3repE0EEENS1_47radix_sort_onesweep_sort_config_static_selectorELNS0_4arch9wavefront6targetE1EEEvSK_.num_vgpr, 0
	.set _ZN7rocprim17ROCPRIM_400000_NS6detail17trampoline_kernelINS0_14default_configENS1_35radix_sort_onesweep_config_selectorIbiEEZZNS1_29radix_sort_onesweep_iterationIS3_Lb0EN6thrust23THRUST_200600_302600_NS6detail15normal_iteratorINS8_10device_ptrIbEEEESD_NSA_INSB_IiEEEESF_jNS0_19identity_decomposerENS1_16block_id_wrapperIjLb1EEEEE10hipError_tT1_PNSt15iterator_traitsISK_E10value_typeET2_T3_PNSL_ISQ_E10value_typeET4_T5_PSV_SW_PNS1_23onesweep_lookback_stateEbbT6_jjT7_P12ihipStream_tbENKUlT_T0_SK_SP_E_clIPbSD_PiSF_EEDaS13_S14_SK_SP_EUlS13_E_NS1_11comp_targetILNS1_3genE2ELNS1_11target_archE906ELNS1_3gpuE6ELNS1_3repE0EEENS1_47radix_sort_onesweep_sort_config_static_selectorELNS0_4arch9wavefront6targetE1EEEvSK_.num_agpr, 0
	.set _ZN7rocprim17ROCPRIM_400000_NS6detail17trampoline_kernelINS0_14default_configENS1_35radix_sort_onesweep_config_selectorIbiEEZZNS1_29radix_sort_onesweep_iterationIS3_Lb0EN6thrust23THRUST_200600_302600_NS6detail15normal_iteratorINS8_10device_ptrIbEEEESD_NSA_INSB_IiEEEESF_jNS0_19identity_decomposerENS1_16block_id_wrapperIjLb1EEEEE10hipError_tT1_PNSt15iterator_traitsISK_E10value_typeET2_T3_PNSL_ISQ_E10value_typeET4_T5_PSV_SW_PNS1_23onesweep_lookback_stateEbbT6_jjT7_P12ihipStream_tbENKUlT_T0_SK_SP_E_clIPbSD_PiSF_EEDaS13_S14_SK_SP_EUlS13_E_NS1_11comp_targetILNS1_3genE2ELNS1_11target_archE906ELNS1_3gpuE6ELNS1_3repE0EEENS1_47radix_sort_onesweep_sort_config_static_selectorELNS0_4arch9wavefront6targetE1EEEvSK_.numbered_sgpr, 0
	.set _ZN7rocprim17ROCPRIM_400000_NS6detail17trampoline_kernelINS0_14default_configENS1_35radix_sort_onesweep_config_selectorIbiEEZZNS1_29radix_sort_onesweep_iterationIS3_Lb0EN6thrust23THRUST_200600_302600_NS6detail15normal_iteratorINS8_10device_ptrIbEEEESD_NSA_INSB_IiEEEESF_jNS0_19identity_decomposerENS1_16block_id_wrapperIjLb1EEEEE10hipError_tT1_PNSt15iterator_traitsISK_E10value_typeET2_T3_PNSL_ISQ_E10value_typeET4_T5_PSV_SW_PNS1_23onesweep_lookback_stateEbbT6_jjT7_P12ihipStream_tbENKUlT_T0_SK_SP_E_clIPbSD_PiSF_EEDaS13_S14_SK_SP_EUlS13_E_NS1_11comp_targetILNS1_3genE2ELNS1_11target_archE906ELNS1_3gpuE6ELNS1_3repE0EEENS1_47radix_sort_onesweep_sort_config_static_selectorELNS0_4arch9wavefront6targetE1EEEvSK_.num_named_barrier, 0
	.set _ZN7rocprim17ROCPRIM_400000_NS6detail17trampoline_kernelINS0_14default_configENS1_35radix_sort_onesweep_config_selectorIbiEEZZNS1_29radix_sort_onesweep_iterationIS3_Lb0EN6thrust23THRUST_200600_302600_NS6detail15normal_iteratorINS8_10device_ptrIbEEEESD_NSA_INSB_IiEEEESF_jNS0_19identity_decomposerENS1_16block_id_wrapperIjLb1EEEEE10hipError_tT1_PNSt15iterator_traitsISK_E10value_typeET2_T3_PNSL_ISQ_E10value_typeET4_T5_PSV_SW_PNS1_23onesweep_lookback_stateEbbT6_jjT7_P12ihipStream_tbENKUlT_T0_SK_SP_E_clIPbSD_PiSF_EEDaS13_S14_SK_SP_EUlS13_E_NS1_11comp_targetILNS1_3genE2ELNS1_11target_archE906ELNS1_3gpuE6ELNS1_3repE0EEENS1_47radix_sort_onesweep_sort_config_static_selectorELNS0_4arch9wavefront6targetE1EEEvSK_.private_seg_size, 0
	.set _ZN7rocprim17ROCPRIM_400000_NS6detail17trampoline_kernelINS0_14default_configENS1_35radix_sort_onesweep_config_selectorIbiEEZZNS1_29radix_sort_onesweep_iterationIS3_Lb0EN6thrust23THRUST_200600_302600_NS6detail15normal_iteratorINS8_10device_ptrIbEEEESD_NSA_INSB_IiEEEESF_jNS0_19identity_decomposerENS1_16block_id_wrapperIjLb1EEEEE10hipError_tT1_PNSt15iterator_traitsISK_E10value_typeET2_T3_PNSL_ISQ_E10value_typeET4_T5_PSV_SW_PNS1_23onesweep_lookback_stateEbbT6_jjT7_P12ihipStream_tbENKUlT_T0_SK_SP_E_clIPbSD_PiSF_EEDaS13_S14_SK_SP_EUlS13_E_NS1_11comp_targetILNS1_3genE2ELNS1_11target_archE906ELNS1_3gpuE6ELNS1_3repE0EEENS1_47radix_sort_onesweep_sort_config_static_selectorELNS0_4arch9wavefront6targetE1EEEvSK_.uses_vcc, 0
	.set _ZN7rocprim17ROCPRIM_400000_NS6detail17trampoline_kernelINS0_14default_configENS1_35radix_sort_onesweep_config_selectorIbiEEZZNS1_29radix_sort_onesweep_iterationIS3_Lb0EN6thrust23THRUST_200600_302600_NS6detail15normal_iteratorINS8_10device_ptrIbEEEESD_NSA_INSB_IiEEEESF_jNS0_19identity_decomposerENS1_16block_id_wrapperIjLb1EEEEE10hipError_tT1_PNSt15iterator_traitsISK_E10value_typeET2_T3_PNSL_ISQ_E10value_typeET4_T5_PSV_SW_PNS1_23onesweep_lookback_stateEbbT6_jjT7_P12ihipStream_tbENKUlT_T0_SK_SP_E_clIPbSD_PiSF_EEDaS13_S14_SK_SP_EUlS13_E_NS1_11comp_targetILNS1_3genE2ELNS1_11target_archE906ELNS1_3gpuE6ELNS1_3repE0EEENS1_47radix_sort_onesweep_sort_config_static_selectorELNS0_4arch9wavefront6targetE1EEEvSK_.uses_flat_scratch, 0
	.set _ZN7rocprim17ROCPRIM_400000_NS6detail17trampoline_kernelINS0_14default_configENS1_35radix_sort_onesweep_config_selectorIbiEEZZNS1_29radix_sort_onesweep_iterationIS3_Lb0EN6thrust23THRUST_200600_302600_NS6detail15normal_iteratorINS8_10device_ptrIbEEEESD_NSA_INSB_IiEEEESF_jNS0_19identity_decomposerENS1_16block_id_wrapperIjLb1EEEEE10hipError_tT1_PNSt15iterator_traitsISK_E10value_typeET2_T3_PNSL_ISQ_E10value_typeET4_T5_PSV_SW_PNS1_23onesweep_lookback_stateEbbT6_jjT7_P12ihipStream_tbENKUlT_T0_SK_SP_E_clIPbSD_PiSF_EEDaS13_S14_SK_SP_EUlS13_E_NS1_11comp_targetILNS1_3genE2ELNS1_11target_archE906ELNS1_3gpuE6ELNS1_3repE0EEENS1_47radix_sort_onesweep_sort_config_static_selectorELNS0_4arch9wavefront6targetE1EEEvSK_.has_dyn_sized_stack, 0
	.set _ZN7rocprim17ROCPRIM_400000_NS6detail17trampoline_kernelINS0_14default_configENS1_35radix_sort_onesweep_config_selectorIbiEEZZNS1_29radix_sort_onesweep_iterationIS3_Lb0EN6thrust23THRUST_200600_302600_NS6detail15normal_iteratorINS8_10device_ptrIbEEEESD_NSA_INSB_IiEEEESF_jNS0_19identity_decomposerENS1_16block_id_wrapperIjLb1EEEEE10hipError_tT1_PNSt15iterator_traitsISK_E10value_typeET2_T3_PNSL_ISQ_E10value_typeET4_T5_PSV_SW_PNS1_23onesweep_lookback_stateEbbT6_jjT7_P12ihipStream_tbENKUlT_T0_SK_SP_E_clIPbSD_PiSF_EEDaS13_S14_SK_SP_EUlS13_E_NS1_11comp_targetILNS1_3genE2ELNS1_11target_archE906ELNS1_3gpuE6ELNS1_3repE0EEENS1_47radix_sort_onesweep_sort_config_static_selectorELNS0_4arch9wavefront6targetE1EEEvSK_.has_recursion, 0
	.set _ZN7rocprim17ROCPRIM_400000_NS6detail17trampoline_kernelINS0_14default_configENS1_35radix_sort_onesweep_config_selectorIbiEEZZNS1_29radix_sort_onesweep_iterationIS3_Lb0EN6thrust23THRUST_200600_302600_NS6detail15normal_iteratorINS8_10device_ptrIbEEEESD_NSA_INSB_IiEEEESF_jNS0_19identity_decomposerENS1_16block_id_wrapperIjLb1EEEEE10hipError_tT1_PNSt15iterator_traitsISK_E10value_typeET2_T3_PNSL_ISQ_E10value_typeET4_T5_PSV_SW_PNS1_23onesweep_lookback_stateEbbT6_jjT7_P12ihipStream_tbENKUlT_T0_SK_SP_E_clIPbSD_PiSF_EEDaS13_S14_SK_SP_EUlS13_E_NS1_11comp_targetILNS1_3genE2ELNS1_11target_archE906ELNS1_3gpuE6ELNS1_3repE0EEENS1_47radix_sort_onesweep_sort_config_static_selectorELNS0_4arch9wavefront6targetE1EEEvSK_.has_indirect_call, 0
	.section	.AMDGPU.csdata,"",@progbits
; Kernel info:
; codeLenInByte = 0
; TotalNumSgprs: 6
; NumVgprs: 0
; NumAgprs: 0
; TotalNumVgprs: 0
; ScratchSize: 0
; MemoryBound: 0
; FloatMode: 240
; IeeeMode: 1
; LDSByteSize: 0 bytes/workgroup (compile time only)
; SGPRBlocks: 0
; VGPRBlocks: 0
; NumSGPRsForWavesPerEU: 6
; NumVGPRsForWavesPerEU: 1
; AccumOffset: 4
; Occupancy: 8
; WaveLimiterHint : 0
; COMPUTE_PGM_RSRC2:SCRATCH_EN: 0
; COMPUTE_PGM_RSRC2:USER_SGPR: 2
; COMPUTE_PGM_RSRC2:TRAP_HANDLER: 0
; COMPUTE_PGM_RSRC2:TGID_X_EN: 1
; COMPUTE_PGM_RSRC2:TGID_Y_EN: 0
; COMPUTE_PGM_RSRC2:TGID_Z_EN: 0
; COMPUTE_PGM_RSRC2:TIDIG_COMP_CNT: 0
; COMPUTE_PGM_RSRC3_GFX90A:ACCUM_OFFSET: 0
; COMPUTE_PGM_RSRC3_GFX90A:TG_SPLIT: 0
	.section	.text._ZN7rocprim17ROCPRIM_400000_NS6detail17trampoline_kernelINS0_14default_configENS1_35radix_sort_onesweep_config_selectorIbiEEZZNS1_29radix_sort_onesweep_iterationIS3_Lb0EN6thrust23THRUST_200600_302600_NS6detail15normal_iteratorINS8_10device_ptrIbEEEESD_NSA_INSB_IiEEEESF_jNS0_19identity_decomposerENS1_16block_id_wrapperIjLb1EEEEE10hipError_tT1_PNSt15iterator_traitsISK_E10value_typeET2_T3_PNSL_ISQ_E10value_typeET4_T5_PSV_SW_PNS1_23onesweep_lookback_stateEbbT6_jjT7_P12ihipStream_tbENKUlT_T0_SK_SP_E_clIPbSD_PiSF_EEDaS13_S14_SK_SP_EUlS13_E_NS1_11comp_targetILNS1_3genE4ELNS1_11target_archE910ELNS1_3gpuE8ELNS1_3repE0EEENS1_47radix_sort_onesweep_sort_config_static_selectorELNS0_4arch9wavefront6targetE1EEEvSK_,"axG",@progbits,_ZN7rocprim17ROCPRIM_400000_NS6detail17trampoline_kernelINS0_14default_configENS1_35radix_sort_onesweep_config_selectorIbiEEZZNS1_29radix_sort_onesweep_iterationIS3_Lb0EN6thrust23THRUST_200600_302600_NS6detail15normal_iteratorINS8_10device_ptrIbEEEESD_NSA_INSB_IiEEEESF_jNS0_19identity_decomposerENS1_16block_id_wrapperIjLb1EEEEE10hipError_tT1_PNSt15iterator_traitsISK_E10value_typeET2_T3_PNSL_ISQ_E10value_typeET4_T5_PSV_SW_PNS1_23onesweep_lookback_stateEbbT6_jjT7_P12ihipStream_tbENKUlT_T0_SK_SP_E_clIPbSD_PiSF_EEDaS13_S14_SK_SP_EUlS13_E_NS1_11comp_targetILNS1_3genE4ELNS1_11target_archE910ELNS1_3gpuE8ELNS1_3repE0EEENS1_47radix_sort_onesweep_sort_config_static_selectorELNS0_4arch9wavefront6targetE1EEEvSK_,comdat
	.protected	_ZN7rocprim17ROCPRIM_400000_NS6detail17trampoline_kernelINS0_14default_configENS1_35radix_sort_onesweep_config_selectorIbiEEZZNS1_29radix_sort_onesweep_iterationIS3_Lb0EN6thrust23THRUST_200600_302600_NS6detail15normal_iteratorINS8_10device_ptrIbEEEESD_NSA_INSB_IiEEEESF_jNS0_19identity_decomposerENS1_16block_id_wrapperIjLb1EEEEE10hipError_tT1_PNSt15iterator_traitsISK_E10value_typeET2_T3_PNSL_ISQ_E10value_typeET4_T5_PSV_SW_PNS1_23onesweep_lookback_stateEbbT6_jjT7_P12ihipStream_tbENKUlT_T0_SK_SP_E_clIPbSD_PiSF_EEDaS13_S14_SK_SP_EUlS13_E_NS1_11comp_targetILNS1_3genE4ELNS1_11target_archE910ELNS1_3gpuE8ELNS1_3repE0EEENS1_47radix_sort_onesweep_sort_config_static_selectorELNS0_4arch9wavefront6targetE1EEEvSK_ ; -- Begin function _ZN7rocprim17ROCPRIM_400000_NS6detail17trampoline_kernelINS0_14default_configENS1_35radix_sort_onesweep_config_selectorIbiEEZZNS1_29radix_sort_onesweep_iterationIS3_Lb0EN6thrust23THRUST_200600_302600_NS6detail15normal_iteratorINS8_10device_ptrIbEEEESD_NSA_INSB_IiEEEESF_jNS0_19identity_decomposerENS1_16block_id_wrapperIjLb1EEEEE10hipError_tT1_PNSt15iterator_traitsISK_E10value_typeET2_T3_PNSL_ISQ_E10value_typeET4_T5_PSV_SW_PNS1_23onesweep_lookback_stateEbbT6_jjT7_P12ihipStream_tbENKUlT_T0_SK_SP_E_clIPbSD_PiSF_EEDaS13_S14_SK_SP_EUlS13_E_NS1_11comp_targetILNS1_3genE4ELNS1_11target_archE910ELNS1_3gpuE8ELNS1_3repE0EEENS1_47radix_sort_onesweep_sort_config_static_selectorELNS0_4arch9wavefront6targetE1EEEvSK_
	.globl	_ZN7rocprim17ROCPRIM_400000_NS6detail17trampoline_kernelINS0_14default_configENS1_35radix_sort_onesweep_config_selectorIbiEEZZNS1_29radix_sort_onesweep_iterationIS3_Lb0EN6thrust23THRUST_200600_302600_NS6detail15normal_iteratorINS8_10device_ptrIbEEEESD_NSA_INSB_IiEEEESF_jNS0_19identity_decomposerENS1_16block_id_wrapperIjLb1EEEEE10hipError_tT1_PNSt15iterator_traitsISK_E10value_typeET2_T3_PNSL_ISQ_E10value_typeET4_T5_PSV_SW_PNS1_23onesweep_lookback_stateEbbT6_jjT7_P12ihipStream_tbENKUlT_T0_SK_SP_E_clIPbSD_PiSF_EEDaS13_S14_SK_SP_EUlS13_E_NS1_11comp_targetILNS1_3genE4ELNS1_11target_archE910ELNS1_3gpuE8ELNS1_3repE0EEENS1_47radix_sort_onesweep_sort_config_static_selectorELNS0_4arch9wavefront6targetE1EEEvSK_
	.p2align	8
	.type	_ZN7rocprim17ROCPRIM_400000_NS6detail17trampoline_kernelINS0_14default_configENS1_35radix_sort_onesweep_config_selectorIbiEEZZNS1_29radix_sort_onesweep_iterationIS3_Lb0EN6thrust23THRUST_200600_302600_NS6detail15normal_iteratorINS8_10device_ptrIbEEEESD_NSA_INSB_IiEEEESF_jNS0_19identity_decomposerENS1_16block_id_wrapperIjLb1EEEEE10hipError_tT1_PNSt15iterator_traitsISK_E10value_typeET2_T3_PNSL_ISQ_E10value_typeET4_T5_PSV_SW_PNS1_23onesweep_lookback_stateEbbT6_jjT7_P12ihipStream_tbENKUlT_T0_SK_SP_E_clIPbSD_PiSF_EEDaS13_S14_SK_SP_EUlS13_E_NS1_11comp_targetILNS1_3genE4ELNS1_11target_archE910ELNS1_3gpuE8ELNS1_3repE0EEENS1_47radix_sort_onesweep_sort_config_static_selectorELNS0_4arch9wavefront6targetE1EEEvSK_,@function
_ZN7rocprim17ROCPRIM_400000_NS6detail17trampoline_kernelINS0_14default_configENS1_35radix_sort_onesweep_config_selectorIbiEEZZNS1_29radix_sort_onesweep_iterationIS3_Lb0EN6thrust23THRUST_200600_302600_NS6detail15normal_iteratorINS8_10device_ptrIbEEEESD_NSA_INSB_IiEEEESF_jNS0_19identity_decomposerENS1_16block_id_wrapperIjLb1EEEEE10hipError_tT1_PNSt15iterator_traitsISK_E10value_typeET2_T3_PNSL_ISQ_E10value_typeET4_T5_PSV_SW_PNS1_23onesweep_lookback_stateEbbT6_jjT7_P12ihipStream_tbENKUlT_T0_SK_SP_E_clIPbSD_PiSF_EEDaS13_S14_SK_SP_EUlS13_E_NS1_11comp_targetILNS1_3genE4ELNS1_11target_archE910ELNS1_3gpuE8ELNS1_3repE0EEENS1_47radix_sort_onesweep_sort_config_static_selectorELNS0_4arch9wavefront6targetE1EEEvSK_: ; @_ZN7rocprim17ROCPRIM_400000_NS6detail17trampoline_kernelINS0_14default_configENS1_35radix_sort_onesweep_config_selectorIbiEEZZNS1_29radix_sort_onesweep_iterationIS3_Lb0EN6thrust23THRUST_200600_302600_NS6detail15normal_iteratorINS8_10device_ptrIbEEEESD_NSA_INSB_IiEEEESF_jNS0_19identity_decomposerENS1_16block_id_wrapperIjLb1EEEEE10hipError_tT1_PNSt15iterator_traitsISK_E10value_typeET2_T3_PNSL_ISQ_E10value_typeET4_T5_PSV_SW_PNS1_23onesweep_lookback_stateEbbT6_jjT7_P12ihipStream_tbENKUlT_T0_SK_SP_E_clIPbSD_PiSF_EEDaS13_S14_SK_SP_EUlS13_E_NS1_11comp_targetILNS1_3genE4ELNS1_11target_archE910ELNS1_3gpuE8ELNS1_3repE0EEENS1_47radix_sort_onesweep_sort_config_static_selectorELNS0_4arch9wavefront6targetE1EEEvSK_
; %bb.0:
	.section	.rodata,"a",@progbits
	.p2align	6, 0x0
	.amdhsa_kernel _ZN7rocprim17ROCPRIM_400000_NS6detail17trampoline_kernelINS0_14default_configENS1_35radix_sort_onesweep_config_selectorIbiEEZZNS1_29radix_sort_onesweep_iterationIS3_Lb0EN6thrust23THRUST_200600_302600_NS6detail15normal_iteratorINS8_10device_ptrIbEEEESD_NSA_INSB_IiEEEESF_jNS0_19identity_decomposerENS1_16block_id_wrapperIjLb1EEEEE10hipError_tT1_PNSt15iterator_traitsISK_E10value_typeET2_T3_PNSL_ISQ_E10value_typeET4_T5_PSV_SW_PNS1_23onesweep_lookback_stateEbbT6_jjT7_P12ihipStream_tbENKUlT_T0_SK_SP_E_clIPbSD_PiSF_EEDaS13_S14_SK_SP_EUlS13_E_NS1_11comp_targetILNS1_3genE4ELNS1_11target_archE910ELNS1_3gpuE8ELNS1_3repE0EEENS1_47radix_sort_onesweep_sort_config_static_selectorELNS0_4arch9wavefront6targetE1EEEvSK_
		.amdhsa_group_segment_fixed_size 0
		.amdhsa_private_segment_fixed_size 0
		.amdhsa_kernarg_size 88
		.amdhsa_user_sgpr_count 2
		.amdhsa_user_sgpr_dispatch_ptr 0
		.amdhsa_user_sgpr_queue_ptr 0
		.amdhsa_user_sgpr_kernarg_segment_ptr 1
		.amdhsa_user_sgpr_dispatch_id 0
		.amdhsa_user_sgpr_kernarg_preload_length 0
		.amdhsa_user_sgpr_kernarg_preload_offset 0
		.amdhsa_user_sgpr_private_segment_size 0
		.amdhsa_uses_dynamic_stack 0
		.amdhsa_enable_private_segment 0
		.amdhsa_system_sgpr_workgroup_id_x 1
		.amdhsa_system_sgpr_workgroup_id_y 0
		.amdhsa_system_sgpr_workgroup_id_z 0
		.amdhsa_system_sgpr_workgroup_info 0
		.amdhsa_system_vgpr_workitem_id 0
		.amdhsa_next_free_vgpr 1
		.amdhsa_next_free_sgpr 0
		.amdhsa_accum_offset 4
		.amdhsa_reserve_vcc 0
		.amdhsa_float_round_mode_32 0
		.amdhsa_float_round_mode_16_64 0
		.amdhsa_float_denorm_mode_32 3
		.amdhsa_float_denorm_mode_16_64 3
		.amdhsa_dx10_clamp 1
		.amdhsa_ieee_mode 1
		.amdhsa_fp16_overflow 0
		.amdhsa_tg_split 0
		.amdhsa_exception_fp_ieee_invalid_op 0
		.amdhsa_exception_fp_denorm_src 0
		.amdhsa_exception_fp_ieee_div_zero 0
		.amdhsa_exception_fp_ieee_overflow 0
		.amdhsa_exception_fp_ieee_underflow 0
		.amdhsa_exception_fp_ieee_inexact 0
		.amdhsa_exception_int_div_zero 0
	.end_amdhsa_kernel
	.section	.text._ZN7rocprim17ROCPRIM_400000_NS6detail17trampoline_kernelINS0_14default_configENS1_35radix_sort_onesweep_config_selectorIbiEEZZNS1_29radix_sort_onesweep_iterationIS3_Lb0EN6thrust23THRUST_200600_302600_NS6detail15normal_iteratorINS8_10device_ptrIbEEEESD_NSA_INSB_IiEEEESF_jNS0_19identity_decomposerENS1_16block_id_wrapperIjLb1EEEEE10hipError_tT1_PNSt15iterator_traitsISK_E10value_typeET2_T3_PNSL_ISQ_E10value_typeET4_T5_PSV_SW_PNS1_23onesweep_lookback_stateEbbT6_jjT7_P12ihipStream_tbENKUlT_T0_SK_SP_E_clIPbSD_PiSF_EEDaS13_S14_SK_SP_EUlS13_E_NS1_11comp_targetILNS1_3genE4ELNS1_11target_archE910ELNS1_3gpuE8ELNS1_3repE0EEENS1_47radix_sort_onesweep_sort_config_static_selectorELNS0_4arch9wavefront6targetE1EEEvSK_,"axG",@progbits,_ZN7rocprim17ROCPRIM_400000_NS6detail17trampoline_kernelINS0_14default_configENS1_35radix_sort_onesweep_config_selectorIbiEEZZNS1_29radix_sort_onesweep_iterationIS3_Lb0EN6thrust23THRUST_200600_302600_NS6detail15normal_iteratorINS8_10device_ptrIbEEEESD_NSA_INSB_IiEEEESF_jNS0_19identity_decomposerENS1_16block_id_wrapperIjLb1EEEEE10hipError_tT1_PNSt15iterator_traitsISK_E10value_typeET2_T3_PNSL_ISQ_E10value_typeET4_T5_PSV_SW_PNS1_23onesweep_lookback_stateEbbT6_jjT7_P12ihipStream_tbENKUlT_T0_SK_SP_E_clIPbSD_PiSF_EEDaS13_S14_SK_SP_EUlS13_E_NS1_11comp_targetILNS1_3genE4ELNS1_11target_archE910ELNS1_3gpuE8ELNS1_3repE0EEENS1_47radix_sort_onesweep_sort_config_static_selectorELNS0_4arch9wavefront6targetE1EEEvSK_,comdat
.Lfunc_end2063:
	.size	_ZN7rocprim17ROCPRIM_400000_NS6detail17trampoline_kernelINS0_14default_configENS1_35radix_sort_onesweep_config_selectorIbiEEZZNS1_29radix_sort_onesweep_iterationIS3_Lb0EN6thrust23THRUST_200600_302600_NS6detail15normal_iteratorINS8_10device_ptrIbEEEESD_NSA_INSB_IiEEEESF_jNS0_19identity_decomposerENS1_16block_id_wrapperIjLb1EEEEE10hipError_tT1_PNSt15iterator_traitsISK_E10value_typeET2_T3_PNSL_ISQ_E10value_typeET4_T5_PSV_SW_PNS1_23onesweep_lookback_stateEbbT6_jjT7_P12ihipStream_tbENKUlT_T0_SK_SP_E_clIPbSD_PiSF_EEDaS13_S14_SK_SP_EUlS13_E_NS1_11comp_targetILNS1_3genE4ELNS1_11target_archE910ELNS1_3gpuE8ELNS1_3repE0EEENS1_47radix_sort_onesweep_sort_config_static_selectorELNS0_4arch9wavefront6targetE1EEEvSK_, .Lfunc_end2063-_ZN7rocprim17ROCPRIM_400000_NS6detail17trampoline_kernelINS0_14default_configENS1_35radix_sort_onesweep_config_selectorIbiEEZZNS1_29radix_sort_onesweep_iterationIS3_Lb0EN6thrust23THRUST_200600_302600_NS6detail15normal_iteratorINS8_10device_ptrIbEEEESD_NSA_INSB_IiEEEESF_jNS0_19identity_decomposerENS1_16block_id_wrapperIjLb1EEEEE10hipError_tT1_PNSt15iterator_traitsISK_E10value_typeET2_T3_PNSL_ISQ_E10value_typeET4_T5_PSV_SW_PNS1_23onesweep_lookback_stateEbbT6_jjT7_P12ihipStream_tbENKUlT_T0_SK_SP_E_clIPbSD_PiSF_EEDaS13_S14_SK_SP_EUlS13_E_NS1_11comp_targetILNS1_3genE4ELNS1_11target_archE910ELNS1_3gpuE8ELNS1_3repE0EEENS1_47radix_sort_onesweep_sort_config_static_selectorELNS0_4arch9wavefront6targetE1EEEvSK_
                                        ; -- End function
	.set _ZN7rocprim17ROCPRIM_400000_NS6detail17trampoline_kernelINS0_14default_configENS1_35radix_sort_onesweep_config_selectorIbiEEZZNS1_29radix_sort_onesweep_iterationIS3_Lb0EN6thrust23THRUST_200600_302600_NS6detail15normal_iteratorINS8_10device_ptrIbEEEESD_NSA_INSB_IiEEEESF_jNS0_19identity_decomposerENS1_16block_id_wrapperIjLb1EEEEE10hipError_tT1_PNSt15iterator_traitsISK_E10value_typeET2_T3_PNSL_ISQ_E10value_typeET4_T5_PSV_SW_PNS1_23onesweep_lookback_stateEbbT6_jjT7_P12ihipStream_tbENKUlT_T0_SK_SP_E_clIPbSD_PiSF_EEDaS13_S14_SK_SP_EUlS13_E_NS1_11comp_targetILNS1_3genE4ELNS1_11target_archE910ELNS1_3gpuE8ELNS1_3repE0EEENS1_47radix_sort_onesweep_sort_config_static_selectorELNS0_4arch9wavefront6targetE1EEEvSK_.num_vgpr, 0
	.set _ZN7rocprim17ROCPRIM_400000_NS6detail17trampoline_kernelINS0_14default_configENS1_35radix_sort_onesweep_config_selectorIbiEEZZNS1_29radix_sort_onesweep_iterationIS3_Lb0EN6thrust23THRUST_200600_302600_NS6detail15normal_iteratorINS8_10device_ptrIbEEEESD_NSA_INSB_IiEEEESF_jNS0_19identity_decomposerENS1_16block_id_wrapperIjLb1EEEEE10hipError_tT1_PNSt15iterator_traitsISK_E10value_typeET2_T3_PNSL_ISQ_E10value_typeET4_T5_PSV_SW_PNS1_23onesweep_lookback_stateEbbT6_jjT7_P12ihipStream_tbENKUlT_T0_SK_SP_E_clIPbSD_PiSF_EEDaS13_S14_SK_SP_EUlS13_E_NS1_11comp_targetILNS1_3genE4ELNS1_11target_archE910ELNS1_3gpuE8ELNS1_3repE0EEENS1_47radix_sort_onesweep_sort_config_static_selectorELNS0_4arch9wavefront6targetE1EEEvSK_.num_agpr, 0
	.set _ZN7rocprim17ROCPRIM_400000_NS6detail17trampoline_kernelINS0_14default_configENS1_35radix_sort_onesweep_config_selectorIbiEEZZNS1_29radix_sort_onesweep_iterationIS3_Lb0EN6thrust23THRUST_200600_302600_NS6detail15normal_iteratorINS8_10device_ptrIbEEEESD_NSA_INSB_IiEEEESF_jNS0_19identity_decomposerENS1_16block_id_wrapperIjLb1EEEEE10hipError_tT1_PNSt15iterator_traitsISK_E10value_typeET2_T3_PNSL_ISQ_E10value_typeET4_T5_PSV_SW_PNS1_23onesweep_lookback_stateEbbT6_jjT7_P12ihipStream_tbENKUlT_T0_SK_SP_E_clIPbSD_PiSF_EEDaS13_S14_SK_SP_EUlS13_E_NS1_11comp_targetILNS1_3genE4ELNS1_11target_archE910ELNS1_3gpuE8ELNS1_3repE0EEENS1_47radix_sort_onesweep_sort_config_static_selectorELNS0_4arch9wavefront6targetE1EEEvSK_.numbered_sgpr, 0
	.set _ZN7rocprim17ROCPRIM_400000_NS6detail17trampoline_kernelINS0_14default_configENS1_35radix_sort_onesweep_config_selectorIbiEEZZNS1_29radix_sort_onesweep_iterationIS3_Lb0EN6thrust23THRUST_200600_302600_NS6detail15normal_iteratorINS8_10device_ptrIbEEEESD_NSA_INSB_IiEEEESF_jNS0_19identity_decomposerENS1_16block_id_wrapperIjLb1EEEEE10hipError_tT1_PNSt15iterator_traitsISK_E10value_typeET2_T3_PNSL_ISQ_E10value_typeET4_T5_PSV_SW_PNS1_23onesweep_lookback_stateEbbT6_jjT7_P12ihipStream_tbENKUlT_T0_SK_SP_E_clIPbSD_PiSF_EEDaS13_S14_SK_SP_EUlS13_E_NS1_11comp_targetILNS1_3genE4ELNS1_11target_archE910ELNS1_3gpuE8ELNS1_3repE0EEENS1_47radix_sort_onesweep_sort_config_static_selectorELNS0_4arch9wavefront6targetE1EEEvSK_.num_named_barrier, 0
	.set _ZN7rocprim17ROCPRIM_400000_NS6detail17trampoline_kernelINS0_14default_configENS1_35radix_sort_onesweep_config_selectorIbiEEZZNS1_29radix_sort_onesweep_iterationIS3_Lb0EN6thrust23THRUST_200600_302600_NS6detail15normal_iteratorINS8_10device_ptrIbEEEESD_NSA_INSB_IiEEEESF_jNS0_19identity_decomposerENS1_16block_id_wrapperIjLb1EEEEE10hipError_tT1_PNSt15iterator_traitsISK_E10value_typeET2_T3_PNSL_ISQ_E10value_typeET4_T5_PSV_SW_PNS1_23onesweep_lookback_stateEbbT6_jjT7_P12ihipStream_tbENKUlT_T0_SK_SP_E_clIPbSD_PiSF_EEDaS13_S14_SK_SP_EUlS13_E_NS1_11comp_targetILNS1_3genE4ELNS1_11target_archE910ELNS1_3gpuE8ELNS1_3repE0EEENS1_47radix_sort_onesweep_sort_config_static_selectorELNS0_4arch9wavefront6targetE1EEEvSK_.private_seg_size, 0
	.set _ZN7rocprim17ROCPRIM_400000_NS6detail17trampoline_kernelINS0_14default_configENS1_35radix_sort_onesweep_config_selectorIbiEEZZNS1_29radix_sort_onesweep_iterationIS3_Lb0EN6thrust23THRUST_200600_302600_NS6detail15normal_iteratorINS8_10device_ptrIbEEEESD_NSA_INSB_IiEEEESF_jNS0_19identity_decomposerENS1_16block_id_wrapperIjLb1EEEEE10hipError_tT1_PNSt15iterator_traitsISK_E10value_typeET2_T3_PNSL_ISQ_E10value_typeET4_T5_PSV_SW_PNS1_23onesweep_lookback_stateEbbT6_jjT7_P12ihipStream_tbENKUlT_T0_SK_SP_E_clIPbSD_PiSF_EEDaS13_S14_SK_SP_EUlS13_E_NS1_11comp_targetILNS1_3genE4ELNS1_11target_archE910ELNS1_3gpuE8ELNS1_3repE0EEENS1_47radix_sort_onesweep_sort_config_static_selectorELNS0_4arch9wavefront6targetE1EEEvSK_.uses_vcc, 0
	.set _ZN7rocprim17ROCPRIM_400000_NS6detail17trampoline_kernelINS0_14default_configENS1_35radix_sort_onesweep_config_selectorIbiEEZZNS1_29radix_sort_onesweep_iterationIS3_Lb0EN6thrust23THRUST_200600_302600_NS6detail15normal_iteratorINS8_10device_ptrIbEEEESD_NSA_INSB_IiEEEESF_jNS0_19identity_decomposerENS1_16block_id_wrapperIjLb1EEEEE10hipError_tT1_PNSt15iterator_traitsISK_E10value_typeET2_T3_PNSL_ISQ_E10value_typeET4_T5_PSV_SW_PNS1_23onesweep_lookback_stateEbbT6_jjT7_P12ihipStream_tbENKUlT_T0_SK_SP_E_clIPbSD_PiSF_EEDaS13_S14_SK_SP_EUlS13_E_NS1_11comp_targetILNS1_3genE4ELNS1_11target_archE910ELNS1_3gpuE8ELNS1_3repE0EEENS1_47radix_sort_onesweep_sort_config_static_selectorELNS0_4arch9wavefront6targetE1EEEvSK_.uses_flat_scratch, 0
	.set _ZN7rocprim17ROCPRIM_400000_NS6detail17trampoline_kernelINS0_14default_configENS1_35radix_sort_onesweep_config_selectorIbiEEZZNS1_29radix_sort_onesweep_iterationIS3_Lb0EN6thrust23THRUST_200600_302600_NS6detail15normal_iteratorINS8_10device_ptrIbEEEESD_NSA_INSB_IiEEEESF_jNS0_19identity_decomposerENS1_16block_id_wrapperIjLb1EEEEE10hipError_tT1_PNSt15iterator_traitsISK_E10value_typeET2_T3_PNSL_ISQ_E10value_typeET4_T5_PSV_SW_PNS1_23onesweep_lookback_stateEbbT6_jjT7_P12ihipStream_tbENKUlT_T0_SK_SP_E_clIPbSD_PiSF_EEDaS13_S14_SK_SP_EUlS13_E_NS1_11comp_targetILNS1_3genE4ELNS1_11target_archE910ELNS1_3gpuE8ELNS1_3repE0EEENS1_47radix_sort_onesweep_sort_config_static_selectorELNS0_4arch9wavefront6targetE1EEEvSK_.has_dyn_sized_stack, 0
	.set _ZN7rocprim17ROCPRIM_400000_NS6detail17trampoline_kernelINS0_14default_configENS1_35radix_sort_onesweep_config_selectorIbiEEZZNS1_29radix_sort_onesweep_iterationIS3_Lb0EN6thrust23THRUST_200600_302600_NS6detail15normal_iteratorINS8_10device_ptrIbEEEESD_NSA_INSB_IiEEEESF_jNS0_19identity_decomposerENS1_16block_id_wrapperIjLb1EEEEE10hipError_tT1_PNSt15iterator_traitsISK_E10value_typeET2_T3_PNSL_ISQ_E10value_typeET4_T5_PSV_SW_PNS1_23onesweep_lookback_stateEbbT6_jjT7_P12ihipStream_tbENKUlT_T0_SK_SP_E_clIPbSD_PiSF_EEDaS13_S14_SK_SP_EUlS13_E_NS1_11comp_targetILNS1_3genE4ELNS1_11target_archE910ELNS1_3gpuE8ELNS1_3repE0EEENS1_47radix_sort_onesweep_sort_config_static_selectorELNS0_4arch9wavefront6targetE1EEEvSK_.has_recursion, 0
	.set _ZN7rocprim17ROCPRIM_400000_NS6detail17trampoline_kernelINS0_14default_configENS1_35radix_sort_onesweep_config_selectorIbiEEZZNS1_29radix_sort_onesweep_iterationIS3_Lb0EN6thrust23THRUST_200600_302600_NS6detail15normal_iteratorINS8_10device_ptrIbEEEESD_NSA_INSB_IiEEEESF_jNS0_19identity_decomposerENS1_16block_id_wrapperIjLb1EEEEE10hipError_tT1_PNSt15iterator_traitsISK_E10value_typeET2_T3_PNSL_ISQ_E10value_typeET4_T5_PSV_SW_PNS1_23onesweep_lookback_stateEbbT6_jjT7_P12ihipStream_tbENKUlT_T0_SK_SP_E_clIPbSD_PiSF_EEDaS13_S14_SK_SP_EUlS13_E_NS1_11comp_targetILNS1_3genE4ELNS1_11target_archE910ELNS1_3gpuE8ELNS1_3repE0EEENS1_47radix_sort_onesweep_sort_config_static_selectorELNS0_4arch9wavefront6targetE1EEEvSK_.has_indirect_call, 0
	.section	.AMDGPU.csdata,"",@progbits
; Kernel info:
; codeLenInByte = 0
; TotalNumSgprs: 6
; NumVgprs: 0
; NumAgprs: 0
; TotalNumVgprs: 0
; ScratchSize: 0
; MemoryBound: 0
; FloatMode: 240
; IeeeMode: 1
; LDSByteSize: 0 bytes/workgroup (compile time only)
; SGPRBlocks: 0
; VGPRBlocks: 0
; NumSGPRsForWavesPerEU: 6
; NumVGPRsForWavesPerEU: 1
; AccumOffset: 4
; Occupancy: 8
; WaveLimiterHint : 0
; COMPUTE_PGM_RSRC2:SCRATCH_EN: 0
; COMPUTE_PGM_RSRC2:USER_SGPR: 2
; COMPUTE_PGM_RSRC2:TRAP_HANDLER: 0
; COMPUTE_PGM_RSRC2:TGID_X_EN: 1
; COMPUTE_PGM_RSRC2:TGID_Y_EN: 0
; COMPUTE_PGM_RSRC2:TGID_Z_EN: 0
; COMPUTE_PGM_RSRC2:TIDIG_COMP_CNT: 0
; COMPUTE_PGM_RSRC3_GFX90A:ACCUM_OFFSET: 0
; COMPUTE_PGM_RSRC3_GFX90A:TG_SPLIT: 0
	.section	.text._ZN7rocprim17ROCPRIM_400000_NS6detail17trampoline_kernelINS0_14default_configENS1_35radix_sort_onesweep_config_selectorIbiEEZZNS1_29radix_sort_onesweep_iterationIS3_Lb0EN6thrust23THRUST_200600_302600_NS6detail15normal_iteratorINS8_10device_ptrIbEEEESD_NSA_INSB_IiEEEESF_jNS0_19identity_decomposerENS1_16block_id_wrapperIjLb1EEEEE10hipError_tT1_PNSt15iterator_traitsISK_E10value_typeET2_T3_PNSL_ISQ_E10value_typeET4_T5_PSV_SW_PNS1_23onesweep_lookback_stateEbbT6_jjT7_P12ihipStream_tbENKUlT_T0_SK_SP_E_clIPbSD_PiSF_EEDaS13_S14_SK_SP_EUlS13_E_NS1_11comp_targetILNS1_3genE3ELNS1_11target_archE908ELNS1_3gpuE7ELNS1_3repE0EEENS1_47radix_sort_onesweep_sort_config_static_selectorELNS0_4arch9wavefront6targetE1EEEvSK_,"axG",@progbits,_ZN7rocprim17ROCPRIM_400000_NS6detail17trampoline_kernelINS0_14default_configENS1_35radix_sort_onesweep_config_selectorIbiEEZZNS1_29radix_sort_onesweep_iterationIS3_Lb0EN6thrust23THRUST_200600_302600_NS6detail15normal_iteratorINS8_10device_ptrIbEEEESD_NSA_INSB_IiEEEESF_jNS0_19identity_decomposerENS1_16block_id_wrapperIjLb1EEEEE10hipError_tT1_PNSt15iterator_traitsISK_E10value_typeET2_T3_PNSL_ISQ_E10value_typeET4_T5_PSV_SW_PNS1_23onesweep_lookback_stateEbbT6_jjT7_P12ihipStream_tbENKUlT_T0_SK_SP_E_clIPbSD_PiSF_EEDaS13_S14_SK_SP_EUlS13_E_NS1_11comp_targetILNS1_3genE3ELNS1_11target_archE908ELNS1_3gpuE7ELNS1_3repE0EEENS1_47radix_sort_onesweep_sort_config_static_selectorELNS0_4arch9wavefront6targetE1EEEvSK_,comdat
	.protected	_ZN7rocprim17ROCPRIM_400000_NS6detail17trampoline_kernelINS0_14default_configENS1_35radix_sort_onesweep_config_selectorIbiEEZZNS1_29radix_sort_onesweep_iterationIS3_Lb0EN6thrust23THRUST_200600_302600_NS6detail15normal_iteratorINS8_10device_ptrIbEEEESD_NSA_INSB_IiEEEESF_jNS0_19identity_decomposerENS1_16block_id_wrapperIjLb1EEEEE10hipError_tT1_PNSt15iterator_traitsISK_E10value_typeET2_T3_PNSL_ISQ_E10value_typeET4_T5_PSV_SW_PNS1_23onesweep_lookback_stateEbbT6_jjT7_P12ihipStream_tbENKUlT_T0_SK_SP_E_clIPbSD_PiSF_EEDaS13_S14_SK_SP_EUlS13_E_NS1_11comp_targetILNS1_3genE3ELNS1_11target_archE908ELNS1_3gpuE7ELNS1_3repE0EEENS1_47radix_sort_onesweep_sort_config_static_selectorELNS0_4arch9wavefront6targetE1EEEvSK_ ; -- Begin function _ZN7rocprim17ROCPRIM_400000_NS6detail17trampoline_kernelINS0_14default_configENS1_35radix_sort_onesweep_config_selectorIbiEEZZNS1_29radix_sort_onesweep_iterationIS3_Lb0EN6thrust23THRUST_200600_302600_NS6detail15normal_iteratorINS8_10device_ptrIbEEEESD_NSA_INSB_IiEEEESF_jNS0_19identity_decomposerENS1_16block_id_wrapperIjLb1EEEEE10hipError_tT1_PNSt15iterator_traitsISK_E10value_typeET2_T3_PNSL_ISQ_E10value_typeET4_T5_PSV_SW_PNS1_23onesweep_lookback_stateEbbT6_jjT7_P12ihipStream_tbENKUlT_T0_SK_SP_E_clIPbSD_PiSF_EEDaS13_S14_SK_SP_EUlS13_E_NS1_11comp_targetILNS1_3genE3ELNS1_11target_archE908ELNS1_3gpuE7ELNS1_3repE0EEENS1_47radix_sort_onesweep_sort_config_static_selectorELNS0_4arch9wavefront6targetE1EEEvSK_
	.globl	_ZN7rocprim17ROCPRIM_400000_NS6detail17trampoline_kernelINS0_14default_configENS1_35radix_sort_onesweep_config_selectorIbiEEZZNS1_29radix_sort_onesweep_iterationIS3_Lb0EN6thrust23THRUST_200600_302600_NS6detail15normal_iteratorINS8_10device_ptrIbEEEESD_NSA_INSB_IiEEEESF_jNS0_19identity_decomposerENS1_16block_id_wrapperIjLb1EEEEE10hipError_tT1_PNSt15iterator_traitsISK_E10value_typeET2_T3_PNSL_ISQ_E10value_typeET4_T5_PSV_SW_PNS1_23onesweep_lookback_stateEbbT6_jjT7_P12ihipStream_tbENKUlT_T0_SK_SP_E_clIPbSD_PiSF_EEDaS13_S14_SK_SP_EUlS13_E_NS1_11comp_targetILNS1_3genE3ELNS1_11target_archE908ELNS1_3gpuE7ELNS1_3repE0EEENS1_47radix_sort_onesweep_sort_config_static_selectorELNS0_4arch9wavefront6targetE1EEEvSK_
	.p2align	8
	.type	_ZN7rocprim17ROCPRIM_400000_NS6detail17trampoline_kernelINS0_14default_configENS1_35radix_sort_onesweep_config_selectorIbiEEZZNS1_29radix_sort_onesweep_iterationIS3_Lb0EN6thrust23THRUST_200600_302600_NS6detail15normal_iteratorINS8_10device_ptrIbEEEESD_NSA_INSB_IiEEEESF_jNS0_19identity_decomposerENS1_16block_id_wrapperIjLb1EEEEE10hipError_tT1_PNSt15iterator_traitsISK_E10value_typeET2_T3_PNSL_ISQ_E10value_typeET4_T5_PSV_SW_PNS1_23onesweep_lookback_stateEbbT6_jjT7_P12ihipStream_tbENKUlT_T0_SK_SP_E_clIPbSD_PiSF_EEDaS13_S14_SK_SP_EUlS13_E_NS1_11comp_targetILNS1_3genE3ELNS1_11target_archE908ELNS1_3gpuE7ELNS1_3repE0EEENS1_47radix_sort_onesweep_sort_config_static_selectorELNS0_4arch9wavefront6targetE1EEEvSK_,@function
_ZN7rocprim17ROCPRIM_400000_NS6detail17trampoline_kernelINS0_14default_configENS1_35radix_sort_onesweep_config_selectorIbiEEZZNS1_29radix_sort_onesweep_iterationIS3_Lb0EN6thrust23THRUST_200600_302600_NS6detail15normal_iteratorINS8_10device_ptrIbEEEESD_NSA_INSB_IiEEEESF_jNS0_19identity_decomposerENS1_16block_id_wrapperIjLb1EEEEE10hipError_tT1_PNSt15iterator_traitsISK_E10value_typeET2_T3_PNSL_ISQ_E10value_typeET4_T5_PSV_SW_PNS1_23onesweep_lookback_stateEbbT6_jjT7_P12ihipStream_tbENKUlT_T0_SK_SP_E_clIPbSD_PiSF_EEDaS13_S14_SK_SP_EUlS13_E_NS1_11comp_targetILNS1_3genE3ELNS1_11target_archE908ELNS1_3gpuE7ELNS1_3repE0EEENS1_47radix_sort_onesweep_sort_config_static_selectorELNS0_4arch9wavefront6targetE1EEEvSK_: ; @_ZN7rocprim17ROCPRIM_400000_NS6detail17trampoline_kernelINS0_14default_configENS1_35radix_sort_onesweep_config_selectorIbiEEZZNS1_29radix_sort_onesweep_iterationIS3_Lb0EN6thrust23THRUST_200600_302600_NS6detail15normal_iteratorINS8_10device_ptrIbEEEESD_NSA_INSB_IiEEEESF_jNS0_19identity_decomposerENS1_16block_id_wrapperIjLb1EEEEE10hipError_tT1_PNSt15iterator_traitsISK_E10value_typeET2_T3_PNSL_ISQ_E10value_typeET4_T5_PSV_SW_PNS1_23onesweep_lookback_stateEbbT6_jjT7_P12ihipStream_tbENKUlT_T0_SK_SP_E_clIPbSD_PiSF_EEDaS13_S14_SK_SP_EUlS13_E_NS1_11comp_targetILNS1_3genE3ELNS1_11target_archE908ELNS1_3gpuE7ELNS1_3repE0EEENS1_47radix_sort_onesweep_sort_config_static_selectorELNS0_4arch9wavefront6targetE1EEEvSK_
; %bb.0:
	.section	.rodata,"a",@progbits
	.p2align	6, 0x0
	.amdhsa_kernel _ZN7rocprim17ROCPRIM_400000_NS6detail17trampoline_kernelINS0_14default_configENS1_35radix_sort_onesweep_config_selectorIbiEEZZNS1_29radix_sort_onesweep_iterationIS3_Lb0EN6thrust23THRUST_200600_302600_NS6detail15normal_iteratorINS8_10device_ptrIbEEEESD_NSA_INSB_IiEEEESF_jNS0_19identity_decomposerENS1_16block_id_wrapperIjLb1EEEEE10hipError_tT1_PNSt15iterator_traitsISK_E10value_typeET2_T3_PNSL_ISQ_E10value_typeET4_T5_PSV_SW_PNS1_23onesweep_lookback_stateEbbT6_jjT7_P12ihipStream_tbENKUlT_T0_SK_SP_E_clIPbSD_PiSF_EEDaS13_S14_SK_SP_EUlS13_E_NS1_11comp_targetILNS1_3genE3ELNS1_11target_archE908ELNS1_3gpuE7ELNS1_3repE0EEENS1_47radix_sort_onesweep_sort_config_static_selectorELNS0_4arch9wavefront6targetE1EEEvSK_
		.amdhsa_group_segment_fixed_size 0
		.amdhsa_private_segment_fixed_size 0
		.amdhsa_kernarg_size 88
		.amdhsa_user_sgpr_count 2
		.amdhsa_user_sgpr_dispatch_ptr 0
		.amdhsa_user_sgpr_queue_ptr 0
		.amdhsa_user_sgpr_kernarg_segment_ptr 1
		.amdhsa_user_sgpr_dispatch_id 0
		.amdhsa_user_sgpr_kernarg_preload_length 0
		.amdhsa_user_sgpr_kernarg_preload_offset 0
		.amdhsa_user_sgpr_private_segment_size 0
		.amdhsa_uses_dynamic_stack 0
		.amdhsa_enable_private_segment 0
		.amdhsa_system_sgpr_workgroup_id_x 1
		.amdhsa_system_sgpr_workgroup_id_y 0
		.amdhsa_system_sgpr_workgroup_id_z 0
		.amdhsa_system_sgpr_workgroup_info 0
		.amdhsa_system_vgpr_workitem_id 0
		.amdhsa_next_free_vgpr 1
		.amdhsa_next_free_sgpr 0
		.amdhsa_accum_offset 4
		.amdhsa_reserve_vcc 0
		.amdhsa_float_round_mode_32 0
		.amdhsa_float_round_mode_16_64 0
		.amdhsa_float_denorm_mode_32 3
		.amdhsa_float_denorm_mode_16_64 3
		.amdhsa_dx10_clamp 1
		.amdhsa_ieee_mode 1
		.amdhsa_fp16_overflow 0
		.amdhsa_tg_split 0
		.amdhsa_exception_fp_ieee_invalid_op 0
		.amdhsa_exception_fp_denorm_src 0
		.amdhsa_exception_fp_ieee_div_zero 0
		.amdhsa_exception_fp_ieee_overflow 0
		.amdhsa_exception_fp_ieee_underflow 0
		.amdhsa_exception_fp_ieee_inexact 0
		.amdhsa_exception_int_div_zero 0
	.end_amdhsa_kernel
	.section	.text._ZN7rocprim17ROCPRIM_400000_NS6detail17trampoline_kernelINS0_14default_configENS1_35radix_sort_onesweep_config_selectorIbiEEZZNS1_29radix_sort_onesweep_iterationIS3_Lb0EN6thrust23THRUST_200600_302600_NS6detail15normal_iteratorINS8_10device_ptrIbEEEESD_NSA_INSB_IiEEEESF_jNS0_19identity_decomposerENS1_16block_id_wrapperIjLb1EEEEE10hipError_tT1_PNSt15iterator_traitsISK_E10value_typeET2_T3_PNSL_ISQ_E10value_typeET4_T5_PSV_SW_PNS1_23onesweep_lookback_stateEbbT6_jjT7_P12ihipStream_tbENKUlT_T0_SK_SP_E_clIPbSD_PiSF_EEDaS13_S14_SK_SP_EUlS13_E_NS1_11comp_targetILNS1_3genE3ELNS1_11target_archE908ELNS1_3gpuE7ELNS1_3repE0EEENS1_47radix_sort_onesweep_sort_config_static_selectorELNS0_4arch9wavefront6targetE1EEEvSK_,"axG",@progbits,_ZN7rocprim17ROCPRIM_400000_NS6detail17trampoline_kernelINS0_14default_configENS1_35radix_sort_onesweep_config_selectorIbiEEZZNS1_29radix_sort_onesweep_iterationIS3_Lb0EN6thrust23THRUST_200600_302600_NS6detail15normal_iteratorINS8_10device_ptrIbEEEESD_NSA_INSB_IiEEEESF_jNS0_19identity_decomposerENS1_16block_id_wrapperIjLb1EEEEE10hipError_tT1_PNSt15iterator_traitsISK_E10value_typeET2_T3_PNSL_ISQ_E10value_typeET4_T5_PSV_SW_PNS1_23onesweep_lookback_stateEbbT6_jjT7_P12ihipStream_tbENKUlT_T0_SK_SP_E_clIPbSD_PiSF_EEDaS13_S14_SK_SP_EUlS13_E_NS1_11comp_targetILNS1_3genE3ELNS1_11target_archE908ELNS1_3gpuE7ELNS1_3repE0EEENS1_47radix_sort_onesweep_sort_config_static_selectorELNS0_4arch9wavefront6targetE1EEEvSK_,comdat
.Lfunc_end2064:
	.size	_ZN7rocprim17ROCPRIM_400000_NS6detail17trampoline_kernelINS0_14default_configENS1_35radix_sort_onesweep_config_selectorIbiEEZZNS1_29radix_sort_onesweep_iterationIS3_Lb0EN6thrust23THRUST_200600_302600_NS6detail15normal_iteratorINS8_10device_ptrIbEEEESD_NSA_INSB_IiEEEESF_jNS0_19identity_decomposerENS1_16block_id_wrapperIjLb1EEEEE10hipError_tT1_PNSt15iterator_traitsISK_E10value_typeET2_T3_PNSL_ISQ_E10value_typeET4_T5_PSV_SW_PNS1_23onesweep_lookback_stateEbbT6_jjT7_P12ihipStream_tbENKUlT_T0_SK_SP_E_clIPbSD_PiSF_EEDaS13_S14_SK_SP_EUlS13_E_NS1_11comp_targetILNS1_3genE3ELNS1_11target_archE908ELNS1_3gpuE7ELNS1_3repE0EEENS1_47radix_sort_onesweep_sort_config_static_selectorELNS0_4arch9wavefront6targetE1EEEvSK_, .Lfunc_end2064-_ZN7rocprim17ROCPRIM_400000_NS6detail17trampoline_kernelINS0_14default_configENS1_35radix_sort_onesweep_config_selectorIbiEEZZNS1_29radix_sort_onesweep_iterationIS3_Lb0EN6thrust23THRUST_200600_302600_NS6detail15normal_iteratorINS8_10device_ptrIbEEEESD_NSA_INSB_IiEEEESF_jNS0_19identity_decomposerENS1_16block_id_wrapperIjLb1EEEEE10hipError_tT1_PNSt15iterator_traitsISK_E10value_typeET2_T3_PNSL_ISQ_E10value_typeET4_T5_PSV_SW_PNS1_23onesweep_lookback_stateEbbT6_jjT7_P12ihipStream_tbENKUlT_T0_SK_SP_E_clIPbSD_PiSF_EEDaS13_S14_SK_SP_EUlS13_E_NS1_11comp_targetILNS1_3genE3ELNS1_11target_archE908ELNS1_3gpuE7ELNS1_3repE0EEENS1_47radix_sort_onesweep_sort_config_static_selectorELNS0_4arch9wavefront6targetE1EEEvSK_
                                        ; -- End function
	.set _ZN7rocprim17ROCPRIM_400000_NS6detail17trampoline_kernelINS0_14default_configENS1_35radix_sort_onesweep_config_selectorIbiEEZZNS1_29radix_sort_onesweep_iterationIS3_Lb0EN6thrust23THRUST_200600_302600_NS6detail15normal_iteratorINS8_10device_ptrIbEEEESD_NSA_INSB_IiEEEESF_jNS0_19identity_decomposerENS1_16block_id_wrapperIjLb1EEEEE10hipError_tT1_PNSt15iterator_traitsISK_E10value_typeET2_T3_PNSL_ISQ_E10value_typeET4_T5_PSV_SW_PNS1_23onesweep_lookback_stateEbbT6_jjT7_P12ihipStream_tbENKUlT_T0_SK_SP_E_clIPbSD_PiSF_EEDaS13_S14_SK_SP_EUlS13_E_NS1_11comp_targetILNS1_3genE3ELNS1_11target_archE908ELNS1_3gpuE7ELNS1_3repE0EEENS1_47radix_sort_onesweep_sort_config_static_selectorELNS0_4arch9wavefront6targetE1EEEvSK_.num_vgpr, 0
	.set _ZN7rocprim17ROCPRIM_400000_NS6detail17trampoline_kernelINS0_14default_configENS1_35radix_sort_onesweep_config_selectorIbiEEZZNS1_29radix_sort_onesweep_iterationIS3_Lb0EN6thrust23THRUST_200600_302600_NS6detail15normal_iteratorINS8_10device_ptrIbEEEESD_NSA_INSB_IiEEEESF_jNS0_19identity_decomposerENS1_16block_id_wrapperIjLb1EEEEE10hipError_tT1_PNSt15iterator_traitsISK_E10value_typeET2_T3_PNSL_ISQ_E10value_typeET4_T5_PSV_SW_PNS1_23onesweep_lookback_stateEbbT6_jjT7_P12ihipStream_tbENKUlT_T0_SK_SP_E_clIPbSD_PiSF_EEDaS13_S14_SK_SP_EUlS13_E_NS1_11comp_targetILNS1_3genE3ELNS1_11target_archE908ELNS1_3gpuE7ELNS1_3repE0EEENS1_47radix_sort_onesweep_sort_config_static_selectorELNS0_4arch9wavefront6targetE1EEEvSK_.num_agpr, 0
	.set _ZN7rocprim17ROCPRIM_400000_NS6detail17trampoline_kernelINS0_14default_configENS1_35radix_sort_onesweep_config_selectorIbiEEZZNS1_29radix_sort_onesweep_iterationIS3_Lb0EN6thrust23THRUST_200600_302600_NS6detail15normal_iteratorINS8_10device_ptrIbEEEESD_NSA_INSB_IiEEEESF_jNS0_19identity_decomposerENS1_16block_id_wrapperIjLb1EEEEE10hipError_tT1_PNSt15iterator_traitsISK_E10value_typeET2_T3_PNSL_ISQ_E10value_typeET4_T5_PSV_SW_PNS1_23onesweep_lookback_stateEbbT6_jjT7_P12ihipStream_tbENKUlT_T0_SK_SP_E_clIPbSD_PiSF_EEDaS13_S14_SK_SP_EUlS13_E_NS1_11comp_targetILNS1_3genE3ELNS1_11target_archE908ELNS1_3gpuE7ELNS1_3repE0EEENS1_47radix_sort_onesweep_sort_config_static_selectorELNS0_4arch9wavefront6targetE1EEEvSK_.numbered_sgpr, 0
	.set _ZN7rocprim17ROCPRIM_400000_NS6detail17trampoline_kernelINS0_14default_configENS1_35radix_sort_onesweep_config_selectorIbiEEZZNS1_29radix_sort_onesweep_iterationIS3_Lb0EN6thrust23THRUST_200600_302600_NS6detail15normal_iteratorINS8_10device_ptrIbEEEESD_NSA_INSB_IiEEEESF_jNS0_19identity_decomposerENS1_16block_id_wrapperIjLb1EEEEE10hipError_tT1_PNSt15iterator_traitsISK_E10value_typeET2_T3_PNSL_ISQ_E10value_typeET4_T5_PSV_SW_PNS1_23onesweep_lookback_stateEbbT6_jjT7_P12ihipStream_tbENKUlT_T0_SK_SP_E_clIPbSD_PiSF_EEDaS13_S14_SK_SP_EUlS13_E_NS1_11comp_targetILNS1_3genE3ELNS1_11target_archE908ELNS1_3gpuE7ELNS1_3repE0EEENS1_47radix_sort_onesweep_sort_config_static_selectorELNS0_4arch9wavefront6targetE1EEEvSK_.num_named_barrier, 0
	.set _ZN7rocprim17ROCPRIM_400000_NS6detail17trampoline_kernelINS0_14default_configENS1_35radix_sort_onesweep_config_selectorIbiEEZZNS1_29radix_sort_onesweep_iterationIS3_Lb0EN6thrust23THRUST_200600_302600_NS6detail15normal_iteratorINS8_10device_ptrIbEEEESD_NSA_INSB_IiEEEESF_jNS0_19identity_decomposerENS1_16block_id_wrapperIjLb1EEEEE10hipError_tT1_PNSt15iterator_traitsISK_E10value_typeET2_T3_PNSL_ISQ_E10value_typeET4_T5_PSV_SW_PNS1_23onesweep_lookback_stateEbbT6_jjT7_P12ihipStream_tbENKUlT_T0_SK_SP_E_clIPbSD_PiSF_EEDaS13_S14_SK_SP_EUlS13_E_NS1_11comp_targetILNS1_3genE3ELNS1_11target_archE908ELNS1_3gpuE7ELNS1_3repE0EEENS1_47radix_sort_onesweep_sort_config_static_selectorELNS0_4arch9wavefront6targetE1EEEvSK_.private_seg_size, 0
	.set _ZN7rocprim17ROCPRIM_400000_NS6detail17trampoline_kernelINS0_14default_configENS1_35radix_sort_onesweep_config_selectorIbiEEZZNS1_29radix_sort_onesweep_iterationIS3_Lb0EN6thrust23THRUST_200600_302600_NS6detail15normal_iteratorINS8_10device_ptrIbEEEESD_NSA_INSB_IiEEEESF_jNS0_19identity_decomposerENS1_16block_id_wrapperIjLb1EEEEE10hipError_tT1_PNSt15iterator_traitsISK_E10value_typeET2_T3_PNSL_ISQ_E10value_typeET4_T5_PSV_SW_PNS1_23onesweep_lookback_stateEbbT6_jjT7_P12ihipStream_tbENKUlT_T0_SK_SP_E_clIPbSD_PiSF_EEDaS13_S14_SK_SP_EUlS13_E_NS1_11comp_targetILNS1_3genE3ELNS1_11target_archE908ELNS1_3gpuE7ELNS1_3repE0EEENS1_47radix_sort_onesweep_sort_config_static_selectorELNS0_4arch9wavefront6targetE1EEEvSK_.uses_vcc, 0
	.set _ZN7rocprim17ROCPRIM_400000_NS6detail17trampoline_kernelINS0_14default_configENS1_35radix_sort_onesweep_config_selectorIbiEEZZNS1_29radix_sort_onesweep_iterationIS3_Lb0EN6thrust23THRUST_200600_302600_NS6detail15normal_iteratorINS8_10device_ptrIbEEEESD_NSA_INSB_IiEEEESF_jNS0_19identity_decomposerENS1_16block_id_wrapperIjLb1EEEEE10hipError_tT1_PNSt15iterator_traitsISK_E10value_typeET2_T3_PNSL_ISQ_E10value_typeET4_T5_PSV_SW_PNS1_23onesweep_lookback_stateEbbT6_jjT7_P12ihipStream_tbENKUlT_T0_SK_SP_E_clIPbSD_PiSF_EEDaS13_S14_SK_SP_EUlS13_E_NS1_11comp_targetILNS1_3genE3ELNS1_11target_archE908ELNS1_3gpuE7ELNS1_3repE0EEENS1_47radix_sort_onesweep_sort_config_static_selectorELNS0_4arch9wavefront6targetE1EEEvSK_.uses_flat_scratch, 0
	.set _ZN7rocprim17ROCPRIM_400000_NS6detail17trampoline_kernelINS0_14default_configENS1_35radix_sort_onesweep_config_selectorIbiEEZZNS1_29radix_sort_onesweep_iterationIS3_Lb0EN6thrust23THRUST_200600_302600_NS6detail15normal_iteratorINS8_10device_ptrIbEEEESD_NSA_INSB_IiEEEESF_jNS0_19identity_decomposerENS1_16block_id_wrapperIjLb1EEEEE10hipError_tT1_PNSt15iterator_traitsISK_E10value_typeET2_T3_PNSL_ISQ_E10value_typeET4_T5_PSV_SW_PNS1_23onesweep_lookback_stateEbbT6_jjT7_P12ihipStream_tbENKUlT_T0_SK_SP_E_clIPbSD_PiSF_EEDaS13_S14_SK_SP_EUlS13_E_NS1_11comp_targetILNS1_3genE3ELNS1_11target_archE908ELNS1_3gpuE7ELNS1_3repE0EEENS1_47radix_sort_onesweep_sort_config_static_selectorELNS0_4arch9wavefront6targetE1EEEvSK_.has_dyn_sized_stack, 0
	.set _ZN7rocprim17ROCPRIM_400000_NS6detail17trampoline_kernelINS0_14default_configENS1_35radix_sort_onesweep_config_selectorIbiEEZZNS1_29radix_sort_onesweep_iterationIS3_Lb0EN6thrust23THRUST_200600_302600_NS6detail15normal_iteratorINS8_10device_ptrIbEEEESD_NSA_INSB_IiEEEESF_jNS0_19identity_decomposerENS1_16block_id_wrapperIjLb1EEEEE10hipError_tT1_PNSt15iterator_traitsISK_E10value_typeET2_T3_PNSL_ISQ_E10value_typeET4_T5_PSV_SW_PNS1_23onesweep_lookback_stateEbbT6_jjT7_P12ihipStream_tbENKUlT_T0_SK_SP_E_clIPbSD_PiSF_EEDaS13_S14_SK_SP_EUlS13_E_NS1_11comp_targetILNS1_3genE3ELNS1_11target_archE908ELNS1_3gpuE7ELNS1_3repE0EEENS1_47radix_sort_onesweep_sort_config_static_selectorELNS0_4arch9wavefront6targetE1EEEvSK_.has_recursion, 0
	.set _ZN7rocprim17ROCPRIM_400000_NS6detail17trampoline_kernelINS0_14default_configENS1_35radix_sort_onesweep_config_selectorIbiEEZZNS1_29radix_sort_onesweep_iterationIS3_Lb0EN6thrust23THRUST_200600_302600_NS6detail15normal_iteratorINS8_10device_ptrIbEEEESD_NSA_INSB_IiEEEESF_jNS0_19identity_decomposerENS1_16block_id_wrapperIjLb1EEEEE10hipError_tT1_PNSt15iterator_traitsISK_E10value_typeET2_T3_PNSL_ISQ_E10value_typeET4_T5_PSV_SW_PNS1_23onesweep_lookback_stateEbbT6_jjT7_P12ihipStream_tbENKUlT_T0_SK_SP_E_clIPbSD_PiSF_EEDaS13_S14_SK_SP_EUlS13_E_NS1_11comp_targetILNS1_3genE3ELNS1_11target_archE908ELNS1_3gpuE7ELNS1_3repE0EEENS1_47radix_sort_onesweep_sort_config_static_selectorELNS0_4arch9wavefront6targetE1EEEvSK_.has_indirect_call, 0
	.section	.AMDGPU.csdata,"",@progbits
; Kernel info:
; codeLenInByte = 0
; TotalNumSgprs: 6
; NumVgprs: 0
; NumAgprs: 0
; TotalNumVgprs: 0
; ScratchSize: 0
; MemoryBound: 0
; FloatMode: 240
; IeeeMode: 1
; LDSByteSize: 0 bytes/workgroup (compile time only)
; SGPRBlocks: 0
; VGPRBlocks: 0
; NumSGPRsForWavesPerEU: 6
; NumVGPRsForWavesPerEU: 1
; AccumOffset: 4
; Occupancy: 8
; WaveLimiterHint : 0
; COMPUTE_PGM_RSRC2:SCRATCH_EN: 0
; COMPUTE_PGM_RSRC2:USER_SGPR: 2
; COMPUTE_PGM_RSRC2:TRAP_HANDLER: 0
; COMPUTE_PGM_RSRC2:TGID_X_EN: 1
; COMPUTE_PGM_RSRC2:TGID_Y_EN: 0
; COMPUTE_PGM_RSRC2:TGID_Z_EN: 0
; COMPUTE_PGM_RSRC2:TIDIG_COMP_CNT: 0
; COMPUTE_PGM_RSRC3_GFX90A:ACCUM_OFFSET: 0
; COMPUTE_PGM_RSRC3_GFX90A:TG_SPLIT: 0
	.section	.text._ZN7rocprim17ROCPRIM_400000_NS6detail17trampoline_kernelINS0_14default_configENS1_35radix_sort_onesweep_config_selectorIbiEEZZNS1_29radix_sort_onesweep_iterationIS3_Lb0EN6thrust23THRUST_200600_302600_NS6detail15normal_iteratorINS8_10device_ptrIbEEEESD_NSA_INSB_IiEEEESF_jNS0_19identity_decomposerENS1_16block_id_wrapperIjLb1EEEEE10hipError_tT1_PNSt15iterator_traitsISK_E10value_typeET2_T3_PNSL_ISQ_E10value_typeET4_T5_PSV_SW_PNS1_23onesweep_lookback_stateEbbT6_jjT7_P12ihipStream_tbENKUlT_T0_SK_SP_E_clIPbSD_PiSF_EEDaS13_S14_SK_SP_EUlS13_E_NS1_11comp_targetILNS1_3genE10ELNS1_11target_archE1201ELNS1_3gpuE5ELNS1_3repE0EEENS1_47radix_sort_onesweep_sort_config_static_selectorELNS0_4arch9wavefront6targetE1EEEvSK_,"axG",@progbits,_ZN7rocprim17ROCPRIM_400000_NS6detail17trampoline_kernelINS0_14default_configENS1_35radix_sort_onesweep_config_selectorIbiEEZZNS1_29radix_sort_onesweep_iterationIS3_Lb0EN6thrust23THRUST_200600_302600_NS6detail15normal_iteratorINS8_10device_ptrIbEEEESD_NSA_INSB_IiEEEESF_jNS0_19identity_decomposerENS1_16block_id_wrapperIjLb1EEEEE10hipError_tT1_PNSt15iterator_traitsISK_E10value_typeET2_T3_PNSL_ISQ_E10value_typeET4_T5_PSV_SW_PNS1_23onesweep_lookback_stateEbbT6_jjT7_P12ihipStream_tbENKUlT_T0_SK_SP_E_clIPbSD_PiSF_EEDaS13_S14_SK_SP_EUlS13_E_NS1_11comp_targetILNS1_3genE10ELNS1_11target_archE1201ELNS1_3gpuE5ELNS1_3repE0EEENS1_47radix_sort_onesweep_sort_config_static_selectorELNS0_4arch9wavefront6targetE1EEEvSK_,comdat
	.protected	_ZN7rocprim17ROCPRIM_400000_NS6detail17trampoline_kernelINS0_14default_configENS1_35radix_sort_onesweep_config_selectorIbiEEZZNS1_29radix_sort_onesweep_iterationIS3_Lb0EN6thrust23THRUST_200600_302600_NS6detail15normal_iteratorINS8_10device_ptrIbEEEESD_NSA_INSB_IiEEEESF_jNS0_19identity_decomposerENS1_16block_id_wrapperIjLb1EEEEE10hipError_tT1_PNSt15iterator_traitsISK_E10value_typeET2_T3_PNSL_ISQ_E10value_typeET4_T5_PSV_SW_PNS1_23onesweep_lookback_stateEbbT6_jjT7_P12ihipStream_tbENKUlT_T0_SK_SP_E_clIPbSD_PiSF_EEDaS13_S14_SK_SP_EUlS13_E_NS1_11comp_targetILNS1_3genE10ELNS1_11target_archE1201ELNS1_3gpuE5ELNS1_3repE0EEENS1_47radix_sort_onesweep_sort_config_static_selectorELNS0_4arch9wavefront6targetE1EEEvSK_ ; -- Begin function _ZN7rocprim17ROCPRIM_400000_NS6detail17trampoline_kernelINS0_14default_configENS1_35radix_sort_onesweep_config_selectorIbiEEZZNS1_29radix_sort_onesweep_iterationIS3_Lb0EN6thrust23THRUST_200600_302600_NS6detail15normal_iteratorINS8_10device_ptrIbEEEESD_NSA_INSB_IiEEEESF_jNS0_19identity_decomposerENS1_16block_id_wrapperIjLb1EEEEE10hipError_tT1_PNSt15iterator_traitsISK_E10value_typeET2_T3_PNSL_ISQ_E10value_typeET4_T5_PSV_SW_PNS1_23onesweep_lookback_stateEbbT6_jjT7_P12ihipStream_tbENKUlT_T0_SK_SP_E_clIPbSD_PiSF_EEDaS13_S14_SK_SP_EUlS13_E_NS1_11comp_targetILNS1_3genE10ELNS1_11target_archE1201ELNS1_3gpuE5ELNS1_3repE0EEENS1_47radix_sort_onesweep_sort_config_static_selectorELNS0_4arch9wavefront6targetE1EEEvSK_
	.globl	_ZN7rocprim17ROCPRIM_400000_NS6detail17trampoline_kernelINS0_14default_configENS1_35radix_sort_onesweep_config_selectorIbiEEZZNS1_29radix_sort_onesweep_iterationIS3_Lb0EN6thrust23THRUST_200600_302600_NS6detail15normal_iteratorINS8_10device_ptrIbEEEESD_NSA_INSB_IiEEEESF_jNS0_19identity_decomposerENS1_16block_id_wrapperIjLb1EEEEE10hipError_tT1_PNSt15iterator_traitsISK_E10value_typeET2_T3_PNSL_ISQ_E10value_typeET4_T5_PSV_SW_PNS1_23onesweep_lookback_stateEbbT6_jjT7_P12ihipStream_tbENKUlT_T0_SK_SP_E_clIPbSD_PiSF_EEDaS13_S14_SK_SP_EUlS13_E_NS1_11comp_targetILNS1_3genE10ELNS1_11target_archE1201ELNS1_3gpuE5ELNS1_3repE0EEENS1_47radix_sort_onesweep_sort_config_static_selectorELNS0_4arch9wavefront6targetE1EEEvSK_
	.p2align	8
	.type	_ZN7rocprim17ROCPRIM_400000_NS6detail17trampoline_kernelINS0_14default_configENS1_35radix_sort_onesweep_config_selectorIbiEEZZNS1_29radix_sort_onesweep_iterationIS3_Lb0EN6thrust23THRUST_200600_302600_NS6detail15normal_iteratorINS8_10device_ptrIbEEEESD_NSA_INSB_IiEEEESF_jNS0_19identity_decomposerENS1_16block_id_wrapperIjLb1EEEEE10hipError_tT1_PNSt15iterator_traitsISK_E10value_typeET2_T3_PNSL_ISQ_E10value_typeET4_T5_PSV_SW_PNS1_23onesweep_lookback_stateEbbT6_jjT7_P12ihipStream_tbENKUlT_T0_SK_SP_E_clIPbSD_PiSF_EEDaS13_S14_SK_SP_EUlS13_E_NS1_11comp_targetILNS1_3genE10ELNS1_11target_archE1201ELNS1_3gpuE5ELNS1_3repE0EEENS1_47radix_sort_onesweep_sort_config_static_selectorELNS0_4arch9wavefront6targetE1EEEvSK_,@function
_ZN7rocprim17ROCPRIM_400000_NS6detail17trampoline_kernelINS0_14default_configENS1_35radix_sort_onesweep_config_selectorIbiEEZZNS1_29radix_sort_onesweep_iterationIS3_Lb0EN6thrust23THRUST_200600_302600_NS6detail15normal_iteratorINS8_10device_ptrIbEEEESD_NSA_INSB_IiEEEESF_jNS0_19identity_decomposerENS1_16block_id_wrapperIjLb1EEEEE10hipError_tT1_PNSt15iterator_traitsISK_E10value_typeET2_T3_PNSL_ISQ_E10value_typeET4_T5_PSV_SW_PNS1_23onesweep_lookback_stateEbbT6_jjT7_P12ihipStream_tbENKUlT_T0_SK_SP_E_clIPbSD_PiSF_EEDaS13_S14_SK_SP_EUlS13_E_NS1_11comp_targetILNS1_3genE10ELNS1_11target_archE1201ELNS1_3gpuE5ELNS1_3repE0EEENS1_47radix_sort_onesweep_sort_config_static_selectorELNS0_4arch9wavefront6targetE1EEEvSK_: ; @_ZN7rocprim17ROCPRIM_400000_NS6detail17trampoline_kernelINS0_14default_configENS1_35radix_sort_onesweep_config_selectorIbiEEZZNS1_29radix_sort_onesweep_iterationIS3_Lb0EN6thrust23THRUST_200600_302600_NS6detail15normal_iteratorINS8_10device_ptrIbEEEESD_NSA_INSB_IiEEEESF_jNS0_19identity_decomposerENS1_16block_id_wrapperIjLb1EEEEE10hipError_tT1_PNSt15iterator_traitsISK_E10value_typeET2_T3_PNSL_ISQ_E10value_typeET4_T5_PSV_SW_PNS1_23onesweep_lookback_stateEbbT6_jjT7_P12ihipStream_tbENKUlT_T0_SK_SP_E_clIPbSD_PiSF_EEDaS13_S14_SK_SP_EUlS13_E_NS1_11comp_targetILNS1_3genE10ELNS1_11target_archE1201ELNS1_3gpuE5ELNS1_3repE0EEENS1_47radix_sort_onesweep_sort_config_static_selectorELNS0_4arch9wavefront6targetE1EEEvSK_
; %bb.0:
	.section	.rodata,"a",@progbits
	.p2align	6, 0x0
	.amdhsa_kernel _ZN7rocprim17ROCPRIM_400000_NS6detail17trampoline_kernelINS0_14default_configENS1_35radix_sort_onesweep_config_selectorIbiEEZZNS1_29radix_sort_onesweep_iterationIS3_Lb0EN6thrust23THRUST_200600_302600_NS6detail15normal_iteratorINS8_10device_ptrIbEEEESD_NSA_INSB_IiEEEESF_jNS0_19identity_decomposerENS1_16block_id_wrapperIjLb1EEEEE10hipError_tT1_PNSt15iterator_traitsISK_E10value_typeET2_T3_PNSL_ISQ_E10value_typeET4_T5_PSV_SW_PNS1_23onesweep_lookback_stateEbbT6_jjT7_P12ihipStream_tbENKUlT_T0_SK_SP_E_clIPbSD_PiSF_EEDaS13_S14_SK_SP_EUlS13_E_NS1_11comp_targetILNS1_3genE10ELNS1_11target_archE1201ELNS1_3gpuE5ELNS1_3repE0EEENS1_47radix_sort_onesweep_sort_config_static_selectorELNS0_4arch9wavefront6targetE1EEEvSK_
		.amdhsa_group_segment_fixed_size 0
		.amdhsa_private_segment_fixed_size 0
		.amdhsa_kernarg_size 88
		.amdhsa_user_sgpr_count 2
		.amdhsa_user_sgpr_dispatch_ptr 0
		.amdhsa_user_sgpr_queue_ptr 0
		.amdhsa_user_sgpr_kernarg_segment_ptr 1
		.amdhsa_user_sgpr_dispatch_id 0
		.amdhsa_user_sgpr_kernarg_preload_length 0
		.amdhsa_user_sgpr_kernarg_preload_offset 0
		.amdhsa_user_sgpr_private_segment_size 0
		.amdhsa_uses_dynamic_stack 0
		.amdhsa_enable_private_segment 0
		.amdhsa_system_sgpr_workgroup_id_x 1
		.amdhsa_system_sgpr_workgroup_id_y 0
		.amdhsa_system_sgpr_workgroup_id_z 0
		.amdhsa_system_sgpr_workgroup_info 0
		.amdhsa_system_vgpr_workitem_id 0
		.amdhsa_next_free_vgpr 1
		.amdhsa_next_free_sgpr 0
		.amdhsa_accum_offset 4
		.amdhsa_reserve_vcc 0
		.amdhsa_float_round_mode_32 0
		.amdhsa_float_round_mode_16_64 0
		.amdhsa_float_denorm_mode_32 3
		.amdhsa_float_denorm_mode_16_64 3
		.amdhsa_dx10_clamp 1
		.amdhsa_ieee_mode 1
		.amdhsa_fp16_overflow 0
		.amdhsa_tg_split 0
		.amdhsa_exception_fp_ieee_invalid_op 0
		.amdhsa_exception_fp_denorm_src 0
		.amdhsa_exception_fp_ieee_div_zero 0
		.amdhsa_exception_fp_ieee_overflow 0
		.amdhsa_exception_fp_ieee_underflow 0
		.amdhsa_exception_fp_ieee_inexact 0
		.amdhsa_exception_int_div_zero 0
	.end_amdhsa_kernel
	.section	.text._ZN7rocprim17ROCPRIM_400000_NS6detail17trampoline_kernelINS0_14default_configENS1_35radix_sort_onesweep_config_selectorIbiEEZZNS1_29radix_sort_onesweep_iterationIS3_Lb0EN6thrust23THRUST_200600_302600_NS6detail15normal_iteratorINS8_10device_ptrIbEEEESD_NSA_INSB_IiEEEESF_jNS0_19identity_decomposerENS1_16block_id_wrapperIjLb1EEEEE10hipError_tT1_PNSt15iterator_traitsISK_E10value_typeET2_T3_PNSL_ISQ_E10value_typeET4_T5_PSV_SW_PNS1_23onesweep_lookback_stateEbbT6_jjT7_P12ihipStream_tbENKUlT_T0_SK_SP_E_clIPbSD_PiSF_EEDaS13_S14_SK_SP_EUlS13_E_NS1_11comp_targetILNS1_3genE10ELNS1_11target_archE1201ELNS1_3gpuE5ELNS1_3repE0EEENS1_47radix_sort_onesweep_sort_config_static_selectorELNS0_4arch9wavefront6targetE1EEEvSK_,"axG",@progbits,_ZN7rocprim17ROCPRIM_400000_NS6detail17trampoline_kernelINS0_14default_configENS1_35radix_sort_onesweep_config_selectorIbiEEZZNS1_29radix_sort_onesweep_iterationIS3_Lb0EN6thrust23THRUST_200600_302600_NS6detail15normal_iteratorINS8_10device_ptrIbEEEESD_NSA_INSB_IiEEEESF_jNS0_19identity_decomposerENS1_16block_id_wrapperIjLb1EEEEE10hipError_tT1_PNSt15iterator_traitsISK_E10value_typeET2_T3_PNSL_ISQ_E10value_typeET4_T5_PSV_SW_PNS1_23onesweep_lookback_stateEbbT6_jjT7_P12ihipStream_tbENKUlT_T0_SK_SP_E_clIPbSD_PiSF_EEDaS13_S14_SK_SP_EUlS13_E_NS1_11comp_targetILNS1_3genE10ELNS1_11target_archE1201ELNS1_3gpuE5ELNS1_3repE0EEENS1_47radix_sort_onesweep_sort_config_static_selectorELNS0_4arch9wavefront6targetE1EEEvSK_,comdat
.Lfunc_end2065:
	.size	_ZN7rocprim17ROCPRIM_400000_NS6detail17trampoline_kernelINS0_14default_configENS1_35radix_sort_onesweep_config_selectorIbiEEZZNS1_29radix_sort_onesweep_iterationIS3_Lb0EN6thrust23THRUST_200600_302600_NS6detail15normal_iteratorINS8_10device_ptrIbEEEESD_NSA_INSB_IiEEEESF_jNS0_19identity_decomposerENS1_16block_id_wrapperIjLb1EEEEE10hipError_tT1_PNSt15iterator_traitsISK_E10value_typeET2_T3_PNSL_ISQ_E10value_typeET4_T5_PSV_SW_PNS1_23onesweep_lookback_stateEbbT6_jjT7_P12ihipStream_tbENKUlT_T0_SK_SP_E_clIPbSD_PiSF_EEDaS13_S14_SK_SP_EUlS13_E_NS1_11comp_targetILNS1_3genE10ELNS1_11target_archE1201ELNS1_3gpuE5ELNS1_3repE0EEENS1_47radix_sort_onesweep_sort_config_static_selectorELNS0_4arch9wavefront6targetE1EEEvSK_, .Lfunc_end2065-_ZN7rocprim17ROCPRIM_400000_NS6detail17trampoline_kernelINS0_14default_configENS1_35radix_sort_onesweep_config_selectorIbiEEZZNS1_29radix_sort_onesweep_iterationIS3_Lb0EN6thrust23THRUST_200600_302600_NS6detail15normal_iteratorINS8_10device_ptrIbEEEESD_NSA_INSB_IiEEEESF_jNS0_19identity_decomposerENS1_16block_id_wrapperIjLb1EEEEE10hipError_tT1_PNSt15iterator_traitsISK_E10value_typeET2_T3_PNSL_ISQ_E10value_typeET4_T5_PSV_SW_PNS1_23onesweep_lookback_stateEbbT6_jjT7_P12ihipStream_tbENKUlT_T0_SK_SP_E_clIPbSD_PiSF_EEDaS13_S14_SK_SP_EUlS13_E_NS1_11comp_targetILNS1_3genE10ELNS1_11target_archE1201ELNS1_3gpuE5ELNS1_3repE0EEENS1_47radix_sort_onesweep_sort_config_static_selectorELNS0_4arch9wavefront6targetE1EEEvSK_
                                        ; -- End function
	.set _ZN7rocprim17ROCPRIM_400000_NS6detail17trampoline_kernelINS0_14default_configENS1_35radix_sort_onesweep_config_selectorIbiEEZZNS1_29radix_sort_onesweep_iterationIS3_Lb0EN6thrust23THRUST_200600_302600_NS6detail15normal_iteratorINS8_10device_ptrIbEEEESD_NSA_INSB_IiEEEESF_jNS0_19identity_decomposerENS1_16block_id_wrapperIjLb1EEEEE10hipError_tT1_PNSt15iterator_traitsISK_E10value_typeET2_T3_PNSL_ISQ_E10value_typeET4_T5_PSV_SW_PNS1_23onesweep_lookback_stateEbbT6_jjT7_P12ihipStream_tbENKUlT_T0_SK_SP_E_clIPbSD_PiSF_EEDaS13_S14_SK_SP_EUlS13_E_NS1_11comp_targetILNS1_3genE10ELNS1_11target_archE1201ELNS1_3gpuE5ELNS1_3repE0EEENS1_47radix_sort_onesweep_sort_config_static_selectorELNS0_4arch9wavefront6targetE1EEEvSK_.num_vgpr, 0
	.set _ZN7rocprim17ROCPRIM_400000_NS6detail17trampoline_kernelINS0_14default_configENS1_35radix_sort_onesweep_config_selectorIbiEEZZNS1_29radix_sort_onesweep_iterationIS3_Lb0EN6thrust23THRUST_200600_302600_NS6detail15normal_iteratorINS8_10device_ptrIbEEEESD_NSA_INSB_IiEEEESF_jNS0_19identity_decomposerENS1_16block_id_wrapperIjLb1EEEEE10hipError_tT1_PNSt15iterator_traitsISK_E10value_typeET2_T3_PNSL_ISQ_E10value_typeET4_T5_PSV_SW_PNS1_23onesweep_lookback_stateEbbT6_jjT7_P12ihipStream_tbENKUlT_T0_SK_SP_E_clIPbSD_PiSF_EEDaS13_S14_SK_SP_EUlS13_E_NS1_11comp_targetILNS1_3genE10ELNS1_11target_archE1201ELNS1_3gpuE5ELNS1_3repE0EEENS1_47radix_sort_onesweep_sort_config_static_selectorELNS0_4arch9wavefront6targetE1EEEvSK_.num_agpr, 0
	.set _ZN7rocprim17ROCPRIM_400000_NS6detail17trampoline_kernelINS0_14default_configENS1_35radix_sort_onesweep_config_selectorIbiEEZZNS1_29radix_sort_onesweep_iterationIS3_Lb0EN6thrust23THRUST_200600_302600_NS6detail15normal_iteratorINS8_10device_ptrIbEEEESD_NSA_INSB_IiEEEESF_jNS0_19identity_decomposerENS1_16block_id_wrapperIjLb1EEEEE10hipError_tT1_PNSt15iterator_traitsISK_E10value_typeET2_T3_PNSL_ISQ_E10value_typeET4_T5_PSV_SW_PNS1_23onesweep_lookback_stateEbbT6_jjT7_P12ihipStream_tbENKUlT_T0_SK_SP_E_clIPbSD_PiSF_EEDaS13_S14_SK_SP_EUlS13_E_NS1_11comp_targetILNS1_3genE10ELNS1_11target_archE1201ELNS1_3gpuE5ELNS1_3repE0EEENS1_47radix_sort_onesweep_sort_config_static_selectorELNS0_4arch9wavefront6targetE1EEEvSK_.numbered_sgpr, 0
	.set _ZN7rocprim17ROCPRIM_400000_NS6detail17trampoline_kernelINS0_14default_configENS1_35radix_sort_onesweep_config_selectorIbiEEZZNS1_29radix_sort_onesweep_iterationIS3_Lb0EN6thrust23THRUST_200600_302600_NS6detail15normal_iteratorINS8_10device_ptrIbEEEESD_NSA_INSB_IiEEEESF_jNS0_19identity_decomposerENS1_16block_id_wrapperIjLb1EEEEE10hipError_tT1_PNSt15iterator_traitsISK_E10value_typeET2_T3_PNSL_ISQ_E10value_typeET4_T5_PSV_SW_PNS1_23onesweep_lookback_stateEbbT6_jjT7_P12ihipStream_tbENKUlT_T0_SK_SP_E_clIPbSD_PiSF_EEDaS13_S14_SK_SP_EUlS13_E_NS1_11comp_targetILNS1_3genE10ELNS1_11target_archE1201ELNS1_3gpuE5ELNS1_3repE0EEENS1_47radix_sort_onesweep_sort_config_static_selectorELNS0_4arch9wavefront6targetE1EEEvSK_.num_named_barrier, 0
	.set _ZN7rocprim17ROCPRIM_400000_NS6detail17trampoline_kernelINS0_14default_configENS1_35radix_sort_onesweep_config_selectorIbiEEZZNS1_29radix_sort_onesweep_iterationIS3_Lb0EN6thrust23THRUST_200600_302600_NS6detail15normal_iteratorINS8_10device_ptrIbEEEESD_NSA_INSB_IiEEEESF_jNS0_19identity_decomposerENS1_16block_id_wrapperIjLb1EEEEE10hipError_tT1_PNSt15iterator_traitsISK_E10value_typeET2_T3_PNSL_ISQ_E10value_typeET4_T5_PSV_SW_PNS1_23onesweep_lookback_stateEbbT6_jjT7_P12ihipStream_tbENKUlT_T0_SK_SP_E_clIPbSD_PiSF_EEDaS13_S14_SK_SP_EUlS13_E_NS1_11comp_targetILNS1_3genE10ELNS1_11target_archE1201ELNS1_3gpuE5ELNS1_3repE0EEENS1_47radix_sort_onesweep_sort_config_static_selectorELNS0_4arch9wavefront6targetE1EEEvSK_.private_seg_size, 0
	.set _ZN7rocprim17ROCPRIM_400000_NS6detail17trampoline_kernelINS0_14default_configENS1_35radix_sort_onesweep_config_selectorIbiEEZZNS1_29radix_sort_onesweep_iterationIS3_Lb0EN6thrust23THRUST_200600_302600_NS6detail15normal_iteratorINS8_10device_ptrIbEEEESD_NSA_INSB_IiEEEESF_jNS0_19identity_decomposerENS1_16block_id_wrapperIjLb1EEEEE10hipError_tT1_PNSt15iterator_traitsISK_E10value_typeET2_T3_PNSL_ISQ_E10value_typeET4_T5_PSV_SW_PNS1_23onesweep_lookback_stateEbbT6_jjT7_P12ihipStream_tbENKUlT_T0_SK_SP_E_clIPbSD_PiSF_EEDaS13_S14_SK_SP_EUlS13_E_NS1_11comp_targetILNS1_3genE10ELNS1_11target_archE1201ELNS1_3gpuE5ELNS1_3repE0EEENS1_47radix_sort_onesweep_sort_config_static_selectorELNS0_4arch9wavefront6targetE1EEEvSK_.uses_vcc, 0
	.set _ZN7rocprim17ROCPRIM_400000_NS6detail17trampoline_kernelINS0_14default_configENS1_35radix_sort_onesweep_config_selectorIbiEEZZNS1_29radix_sort_onesweep_iterationIS3_Lb0EN6thrust23THRUST_200600_302600_NS6detail15normal_iteratorINS8_10device_ptrIbEEEESD_NSA_INSB_IiEEEESF_jNS0_19identity_decomposerENS1_16block_id_wrapperIjLb1EEEEE10hipError_tT1_PNSt15iterator_traitsISK_E10value_typeET2_T3_PNSL_ISQ_E10value_typeET4_T5_PSV_SW_PNS1_23onesweep_lookback_stateEbbT6_jjT7_P12ihipStream_tbENKUlT_T0_SK_SP_E_clIPbSD_PiSF_EEDaS13_S14_SK_SP_EUlS13_E_NS1_11comp_targetILNS1_3genE10ELNS1_11target_archE1201ELNS1_3gpuE5ELNS1_3repE0EEENS1_47radix_sort_onesweep_sort_config_static_selectorELNS0_4arch9wavefront6targetE1EEEvSK_.uses_flat_scratch, 0
	.set _ZN7rocprim17ROCPRIM_400000_NS6detail17trampoline_kernelINS0_14default_configENS1_35radix_sort_onesweep_config_selectorIbiEEZZNS1_29radix_sort_onesweep_iterationIS3_Lb0EN6thrust23THRUST_200600_302600_NS6detail15normal_iteratorINS8_10device_ptrIbEEEESD_NSA_INSB_IiEEEESF_jNS0_19identity_decomposerENS1_16block_id_wrapperIjLb1EEEEE10hipError_tT1_PNSt15iterator_traitsISK_E10value_typeET2_T3_PNSL_ISQ_E10value_typeET4_T5_PSV_SW_PNS1_23onesweep_lookback_stateEbbT6_jjT7_P12ihipStream_tbENKUlT_T0_SK_SP_E_clIPbSD_PiSF_EEDaS13_S14_SK_SP_EUlS13_E_NS1_11comp_targetILNS1_3genE10ELNS1_11target_archE1201ELNS1_3gpuE5ELNS1_3repE0EEENS1_47radix_sort_onesweep_sort_config_static_selectorELNS0_4arch9wavefront6targetE1EEEvSK_.has_dyn_sized_stack, 0
	.set _ZN7rocprim17ROCPRIM_400000_NS6detail17trampoline_kernelINS0_14default_configENS1_35radix_sort_onesweep_config_selectorIbiEEZZNS1_29radix_sort_onesweep_iterationIS3_Lb0EN6thrust23THRUST_200600_302600_NS6detail15normal_iteratorINS8_10device_ptrIbEEEESD_NSA_INSB_IiEEEESF_jNS0_19identity_decomposerENS1_16block_id_wrapperIjLb1EEEEE10hipError_tT1_PNSt15iterator_traitsISK_E10value_typeET2_T3_PNSL_ISQ_E10value_typeET4_T5_PSV_SW_PNS1_23onesweep_lookback_stateEbbT6_jjT7_P12ihipStream_tbENKUlT_T0_SK_SP_E_clIPbSD_PiSF_EEDaS13_S14_SK_SP_EUlS13_E_NS1_11comp_targetILNS1_3genE10ELNS1_11target_archE1201ELNS1_3gpuE5ELNS1_3repE0EEENS1_47radix_sort_onesweep_sort_config_static_selectorELNS0_4arch9wavefront6targetE1EEEvSK_.has_recursion, 0
	.set _ZN7rocprim17ROCPRIM_400000_NS6detail17trampoline_kernelINS0_14default_configENS1_35radix_sort_onesweep_config_selectorIbiEEZZNS1_29radix_sort_onesweep_iterationIS3_Lb0EN6thrust23THRUST_200600_302600_NS6detail15normal_iteratorINS8_10device_ptrIbEEEESD_NSA_INSB_IiEEEESF_jNS0_19identity_decomposerENS1_16block_id_wrapperIjLb1EEEEE10hipError_tT1_PNSt15iterator_traitsISK_E10value_typeET2_T3_PNSL_ISQ_E10value_typeET4_T5_PSV_SW_PNS1_23onesweep_lookback_stateEbbT6_jjT7_P12ihipStream_tbENKUlT_T0_SK_SP_E_clIPbSD_PiSF_EEDaS13_S14_SK_SP_EUlS13_E_NS1_11comp_targetILNS1_3genE10ELNS1_11target_archE1201ELNS1_3gpuE5ELNS1_3repE0EEENS1_47radix_sort_onesweep_sort_config_static_selectorELNS0_4arch9wavefront6targetE1EEEvSK_.has_indirect_call, 0
	.section	.AMDGPU.csdata,"",@progbits
; Kernel info:
; codeLenInByte = 0
; TotalNumSgprs: 6
; NumVgprs: 0
; NumAgprs: 0
; TotalNumVgprs: 0
; ScratchSize: 0
; MemoryBound: 0
; FloatMode: 240
; IeeeMode: 1
; LDSByteSize: 0 bytes/workgroup (compile time only)
; SGPRBlocks: 0
; VGPRBlocks: 0
; NumSGPRsForWavesPerEU: 6
; NumVGPRsForWavesPerEU: 1
; AccumOffset: 4
; Occupancy: 8
; WaveLimiterHint : 0
; COMPUTE_PGM_RSRC2:SCRATCH_EN: 0
; COMPUTE_PGM_RSRC2:USER_SGPR: 2
; COMPUTE_PGM_RSRC2:TRAP_HANDLER: 0
; COMPUTE_PGM_RSRC2:TGID_X_EN: 1
; COMPUTE_PGM_RSRC2:TGID_Y_EN: 0
; COMPUTE_PGM_RSRC2:TGID_Z_EN: 0
; COMPUTE_PGM_RSRC2:TIDIG_COMP_CNT: 0
; COMPUTE_PGM_RSRC3_GFX90A:ACCUM_OFFSET: 0
; COMPUTE_PGM_RSRC3_GFX90A:TG_SPLIT: 0
	.section	.text._ZN7rocprim17ROCPRIM_400000_NS6detail17trampoline_kernelINS0_14default_configENS1_35radix_sort_onesweep_config_selectorIbiEEZZNS1_29radix_sort_onesweep_iterationIS3_Lb0EN6thrust23THRUST_200600_302600_NS6detail15normal_iteratorINS8_10device_ptrIbEEEESD_NSA_INSB_IiEEEESF_jNS0_19identity_decomposerENS1_16block_id_wrapperIjLb1EEEEE10hipError_tT1_PNSt15iterator_traitsISK_E10value_typeET2_T3_PNSL_ISQ_E10value_typeET4_T5_PSV_SW_PNS1_23onesweep_lookback_stateEbbT6_jjT7_P12ihipStream_tbENKUlT_T0_SK_SP_E_clIPbSD_PiSF_EEDaS13_S14_SK_SP_EUlS13_E_NS1_11comp_targetILNS1_3genE9ELNS1_11target_archE1100ELNS1_3gpuE3ELNS1_3repE0EEENS1_47radix_sort_onesweep_sort_config_static_selectorELNS0_4arch9wavefront6targetE1EEEvSK_,"axG",@progbits,_ZN7rocprim17ROCPRIM_400000_NS6detail17trampoline_kernelINS0_14default_configENS1_35radix_sort_onesweep_config_selectorIbiEEZZNS1_29radix_sort_onesweep_iterationIS3_Lb0EN6thrust23THRUST_200600_302600_NS6detail15normal_iteratorINS8_10device_ptrIbEEEESD_NSA_INSB_IiEEEESF_jNS0_19identity_decomposerENS1_16block_id_wrapperIjLb1EEEEE10hipError_tT1_PNSt15iterator_traitsISK_E10value_typeET2_T3_PNSL_ISQ_E10value_typeET4_T5_PSV_SW_PNS1_23onesweep_lookback_stateEbbT6_jjT7_P12ihipStream_tbENKUlT_T0_SK_SP_E_clIPbSD_PiSF_EEDaS13_S14_SK_SP_EUlS13_E_NS1_11comp_targetILNS1_3genE9ELNS1_11target_archE1100ELNS1_3gpuE3ELNS1_3repE0EEENS1_47radix_sort_onesweep_sort_config_static_selectorELNS0_4arch9wavefront6targetE1EEEvSK_,comdat
	.protected	_ZN7rocprim17ROCPRIM_400000_NS6detail17trampoline_kernelINS0_14default_configENS1_35radix_sort_onesweep_config_selectorIbiEEZZNS1_29radix_sort_onesweep_iterationIS3_Lb0EN6thrust23THRUST_200600_302600_NS6detail15normal_iteratorINS8_10device_ptrIbEEEESD_NSA_INSB_IiEEEESF_jNS0_19identity_decomposerENS1_16block_id_wrapperIjLb1EEEEE10hipError_tT1_PNSt15iterator_traitsISK_E10value_typeET2_T3_PNSL_ISQ_E10value_typeET4_T5_PSV_SW_PNS1_23onesweep_lookback_stateEbbT6_jjT7_P12ihipStream_tbENKUlT_T0_SK_SP_E_clIPbSD_PiSF_EEDaS13_S14_SK_SP_EUlS13_E_NS1_11comp_targetILNS1_3genE9ELNS1_11target_archE1100ELNS1_3gpuE3ELNS1_3repE0EEENS1_47radix_sort_onesweep_sort_config_static_selectorELNS0_4arch9wavefront6targetE1EEEvSK_ ; -- Begin function _ZN7rocprim17ROCPRIM_400000_NS6detail17trampoline_kernelINS0_14default_configENS1_35radix_sort_onesweep_config_selectorIbiEEZZNS1_29radix_sort_onesweep_iterationIS3_Lb0EN6thrust23THRUST_200600_302600_NS6detail15normal_iteratorINS8_10device_ptrIbEEEESD_NSA_INSB_IiEEEESF_jNS0_19identity_decomposerENS1_16block_id_wrapperIjLb1EEEEE10hipError_tT1_PNSt15iterator_traitsISK_E10value_typeET2_T3_PNSL_ISQ_E10value_typeET4_T5_PSV_SW_PNS1_23onesweep_lookback_stateEbbT6_jjT7_P12ihipStream_tbENKUlT_T0_SK_SP_E_clIPbSD_PiSF_EEDaS13_S14_SK_SP_EUlS13_E_NS1_11comp_targetILNS1_3genE9ELNS1_11target_archE1100ELNS1_3gpuE3ELNS1_3repE0EEENS1_47radix_sort_onesweep_sort_config_static_selectorELNS0_4arch9wavefront6targetE1EEEvSK_
	.globl	_ZN7rocprim17ROCPRIM_400000_NS6detail17trampoline_kernelINS0_14default_configENS1_35radix_sort_onesweep_config_selectorIbiEEZZNS1_29radix_sort_onesweep_iterationIS3_Lb0EN6thrust23THRUST_200600_302600_NS6detail15normal_iteratorINS8_10device_ptrIbEEEESD_NSA_INSB_IiEEEESF_jNS0_19identity_decomposerENS1_16block_id_wrapperIjLb1EEEEE10hipError_tT1_PNSt15iterator_traitsISK_E10value_typeET2_T3_PNSL_ISQ_E10value_typeET4_T5_PSV_SW_PNS1_23onesweep_lookback_stateEbbT6_jjT7_P12ihipStream_tbENKUlT_T0_SK_SP_E_clIPbSD_PiSF_EEDaS13_S14_SK_SP_EUlS13_E_NS1_11comp_targetILNS1_3genE9ELNS1_11target_archE1100ELNS1_3gpuE3ELNS1_3repE0EEENS1_47radix_sort_onesweep_sort_config_static_selectorELNS0_4arch9wavefront6targetE1EEEvSK_
	.p2align	8
	.type	_ZN7rocprim17ROCPRIM_400000_NS6detail17trampoline_kernelINS0_14default_configENS1_35radix_sort_onesweep_config_selectorIbiEEZZNS1_29radix_sort_onesweep_iterationIS3_Lb0EN6thrust23THRUST_200600_302600_NS6detail15normal_iteratorINS8_10device_ptrIbEEEESD_NSA_INSB_IiEEEESF_jNS0_19identity_decomposerENS1_16block_id_wrapperIjLb1EEEEE10hipError_tT1_PNSt15iterator_traitsISK_E10value_typeET2_T3_PNSL_ISQ_E10value_typeET4_T5_PSV_SW_PNS1_23onesweep_lookback_stateEbbT6_jjT7_P12ihipStream_tbENKUlT_T0_SK_SP_E_clIPbSD_PiSF_EEDaS13_S14_SK_SP_EUlS13_E_NS1_11comp_targetILNS1_3genE9ELNS1_11target_archE1100ELNS1_3gpuE3ELNS1_3repE0EEENS1_47radix_sort_onesweep_sort_config_static_selectorELNS0_4arch9wavefront6targetE1EEEvSK_,@function
_ZN7rocprim17ROCPRIM_400000_NS6detail17trampoline_kernelINS0_14default_configENS1_35radix_sort_onesweep_config_selectorIbiEEZZNS1_29radix_sort_onesweep_iterationIS3_Lb0EN6thrust23THRUST_200600_302600_NS6detail15normal_iteratorINS8_10device_ptrIbEEEESD_NSA_INSB_IiEEEESF_jNS0_19identity_decomposerENS1_16block_id_wrapperIjLb1EEEEE10hipError_tT1_PNSt15iterator_traitsISK_E10value_typeET2_T3_PNSL_ISQ_E10value_typeET4_T5_PSV_SW_PNS1_23onesweep_lookback_stateEbbT6_jjT7_P12ihipStream_tbENKUlT_T0_SK_SP_E_clIPbSD_PiSF_EEDaS13_S14_SK_SP_EUlS13_E_NS1_11comp_targetILNS1_3genE9ELNS1_11target_archE1100ELNS1_3gpuE3ELNS1_3repE0EEENS1_47radix_sort_onesweep_sort_config_static_selectorELNS0_4arch9wavefront6targetE1EEEvSK_: ; @_ZN7rocprim17ROCPRIM_400000_NS6detail17trampoline_kernelINS0_14default_configENS1_35radix_sort_onesweep_config_selectorIbiEEZZNS1_29radix_sort_onesweep_iterationIS3_Lb0EN6thrust23THRUST_200600_302600_NS6detail15normal_iteratorINS8_10device_ptrIbEEEESD_NSA_INSB_IiEEEESF_jNS0_19identity_decomposerENS1_16block_id_wrapperIjLb1EEEEE10hipError_tT1_PNSt15iterator_traitsISK_E10value_typeET2_T3_PNSL_ISQ_E10value_typeET4_T5_PSV_SW_PNS1_23onesweep_lookback_stateEbbT6_jjT7_P12ihipStream_tbENKUlT_T0_SK_SP_E_clIPbSD_PiSF_EEDaS13_S14_SK_SP_EUlS13_E_NS1_11comp_targetILNS1_3genE9ELNS1_11target_archE1100ELNS1_3gpuE3ELNS1_3repE0EEENS1_47radix_sort_onesweep_sort_config_static_selectorELNS0_4arch9wavefront6targetE1EEEvSK_
; %bb.0:
	.section	.rodata,"a",@progbits
	.p2align	6, 0x0
	.amdhsa_kernel _ZN7rocprim17ROCPRIM_400000_NS6detail17trampoline_kernelINS0_14default_configENS1_35radix_sort_onesweep_config_selectorIbiEEZZNS1_29radix_sort_onesweep_iterationIS3_Lb0EN6thrust23THRUST_200600_302600_NS6detail15normal_iteratorINS8_10device_ptrIbEEEESD_NSA_INSB_IiEEEESF_jNS0_19identity_decomposerENS1_16block_id_wrapperIjLb1EEEEE10hipError_tT1_PNSt15iterator_traitsISK_E10value_typeET2_T3_PNSL_ISQ_E10value_typeET4_T5_PSV_SW_PNS1_23onesweep_lookback_stateEbbT6_jjT7_P12ihipStream_tbENKUlT_T0_SK_SP_E_clIPbSD_PiSF_EEDaS13_S14_SK_SP_EUlS13_E_NS1_11comp_targetILNS1_3genE9ELNS1_11target_archE1100ELNS1_3gpuE3ELNS1_3repE0EEENS1_47radix_sort_onesweep_sort_config_static_selectorELNS0_4arch9wavefront6targetE1EEEvSK_
		.amdhsa_group_segment_fixed_size 0
		.amdhsa_private_segment_fixed_size 0
		.amdhsa_kernarg_size 88
		.amdhsa_user_sgpr_count 2
		.amdhsa_user_sgpr_dispatch_ptr 0
		.amdhsa_user_sgpr_queue_ptr 0
		.amdhsa_user_sgpr_kernarg_segment_ptr 1
		.amdhsa_user_sgpr_dispatch_id 0
		.amdhsa_user_sgpr_kernarg_preload_length 0
		.amdhsa_user_sgpr_kernarg_preload_offset 0
		.amdhsa_user_sgpr_private_segment_size 0
		.amdhsa_uses_dynamic_stack 0
		.amdhsa_enable_private_segment 0
		.amdhsa_system_sgpr_workgroup_id_x 1
		.amdhsa_system_sgpr_workgroup_id_y 0
		.amdhsa_system_sgpr_workgroup_id_z 0
		.amdhsa_system_sgpr_workgroup_info 0
		.amdhsa_system_vgpr_workitem_id 0
		.amdhsa_next_free_vgpr 1
		.amdhsa_next_free_sgpr 0
		.amdhsa_accum_offset 4
		.amdhsa_reserve_vcc 0
		.amdhsa_float_round_mode_32 0
		.amdhsa_float_round_mode_16_64 0
		.amdhsa_float_denorm_mode_32 3
		.amdhsa_float_denorm_mode_16_64 3
		.amdhsa_dx10_clamp 1
		.amdhsa_ieee_mode 1
		.amdhsa_fp16_overflow 0
		.amdhsa_tg_split 0
		.amdhsa_exception_fp_ieee_invalid_op 0
		.amdhsa_exception_fp_denorm_src 0
		.amdhsa_exception_fp_ieee_div_zero 0
		.amdhsa_exception_fp_ieee_overflow 0
		.amdhsa_exception_fp_ieee_underflow 0
		.amdhsa_exception_fp_ieee_inexact 0
		.amdhsa_exception_int_div_zero 0
	.end_amdhsa_kernel
	.section	.text._ZN7rocprim17ROCPRIM_400000_NS6detail17trampoline_kernelINS0_14default_configENS1_35radix_sort_onesweep_config_selectorIbiEEZZNS1_29radix_sort_onesweep_iterationIS3_Lb0EN6thrust23THRUST_200600_302600_NS6detail15normal_iteratorINS8_10device_ptrIbEEEESD_NSA_INSB_IiEEEESF_jNS0_19identity_decomposerENS1_16block_id_wrapperIjLb1EEEEE10hipError_tT1_PNSt15iterator_traitsISK_E10value_typeET2_T3_PNSL_ISQ_E10value_typeET4_T5_PSV_SW_PNS1_23onesweep_lookback_stateEbbT6_jjT7_P12ihipStream_tbENKUlT_T0_SK_SP_E_clIPbSD_PiSF_EEDaS13_S14_SK_SP_EUlS13_E_NS1_11comp_targetILNS1_3genE9ELNS1_11target_archE1100ELNS1_3gpuE3ELNS1_3repE0EEENS1_47radix_sort_onesweep_sort_config_static_selectorELNS0_4arch9wavefront6targetE1EEEvSK_,"axG",@progbits,_ZN7rocprim17ROCPRIM_400000_NS6detail17trampoline_kernelINS0_14default_configENS1_35radix_sort_onesweep_config_selectorIbiEEZZNS1_29radix_sort_onesweep_iterationIS3_Lb0EN6thrust23THRUST_200600_302600_NS6detail15normal_iteratorINS8_10device_ptrIbEEEESD_NSA_INSB_IiEEEESF_jNS0_19identity_decomposerENS1_16block_id_wrapperIjLb1EEEEE10hipError_tT1_PNSt15iterator_traitsISK_E10value_typeET2_T3_PNSL_ISQ_E10value_typeET4_T5_PSV_SW_PNS1_23onesweep_lookback_stateEbbT6_jjT7_P12ihipStream_tbENKUlT_T0_SK_SP_E_clIPbSD_PiSF_EEDaS13_S14_SK_SP_EUlS13_E_NS1_11comp_targetILNS1_3genE9ELNS1_11target_archE1100ELNS1_3gpuE3ELNS1_3repE0EEENS1_47radix_sort_onesweep_sort_config_static_selectorELNS0_4arch9wavefront6targetE1EEEvSK_,comdat
.Lfunc_end2066:
	.size	_ZN7rocprim17ROCPRIM_400000_NS6detail17trampoline_kernelINS0_14default_configENS1_35radix_sort_onesweep_config_selectorIbiEEZZNS1_29radix_sort_onesweep_iterationIS3_Lb0EN6thrust23THRUST_200600_302600_NS6detail15normal_iteratorINS8_10device_ptrIbEEEESD_NSA_INSB_IiEEEESF_jNS0_19identity_decomposerENS1_16block_id_wrapperIjLb1EEEEE10hipError_tT1_PNSt15iterator_traitsISK_E10value_typeET2_T3_PNSL_ISQ_E10value_typeET4_T5_PSV_SW_PNS1_23onesweep_lookback_stateEbbT6_jjT7_P12ihipStream_tbENKUlT_T0_SK_SP_E_clIPbSD_PiSF_EEDaS13_S14_SK_SP_EUlS13_E_NS1_11comp_targetILNS1_3genE9ELNS1_11target_archE1100ELNS1_3gpuE3ELNS1_3repE0EEENS1_47radix_sort_onesweep_sort_config_static_selectorELNS0_4arch9wavefront6targetE1EEEvSK_, .Lfunc_end2066-_ZN7rocprim17ROCPRIM_400000_NS6detail17trampoline_kernelINS0_14default_configENS1_35radix_sort_onesweep_config_selectorIbiEEZZNS1_29radix_sort_onesweep_iterationIS3_Lb0EN6thrust23THRUST_200600_302600_NS6detail15normal_iteratorINS8_10device_ptrIbEEEESD_NSA_INSB_IiEEEESF_jNS0_19identity_decomposerENS1_16block_id_wrapperIjLb1EEEEE10hipError_tT1_PNSt15iterator_traitsISK_E10value_typeET2_T3_PNSL_ISQ_E10value_typeET4_T5_PSV_SW_PNS1_23onesweep_lookback_stateEbbT6_jjT7_P12ihipStream_tbENKUlT_T0_SK_SP_E_clIPbSD_PiSF_EEDaS13_S14_SK_SP_EUlS13_E_NS1_11comp_targetILNS1_3genE9ELNS1_11target_archE1100ELNS1_3gpuE3ELNS1_3repE0EEENS1_47radix_sort_onesweep_sort_config_static_selectorELNS0_4arch9wavefront6targetE1EEEvSK_
                                        ; -- End function
	.set _ZN7rocprim17ROCPRIM_400000_NS6detail17trampoline_kernelINS0_14default_configENS1_35radix_sort_onesweep_config_selectorIbiEEZZNS1_29radix_sort_onesweep_iterationIS3_Lb0EN6thrust23THRUST_200600_302600_NS6detail15normal_iteratorINS8_10device_ptrIbEEEESD_NSA_INSB_IiEEEESF_jNS0_19identity_decomposerENS1_16block_id_wrapperIjLb1EEEEE10hipError_tT1_PNSt15iterator_traitsISK_E10value_typeET2_T3_PNSL_ISQ_E10value_typeET4_T5_PSV_SW_PNS1_23onesweep_lookback_stateEbbT6_jjT7_P12ihipStream_tbENKUlT_T0_SK_SP_E_clIPbSD_PiSF_EEDaS13_S14_SK_SP_EUlS13_E_NS1_11comp_targetILNS1_3genE9ELNS1_11target_archE1100ELNS1_3gpuE3ELNS1_3repE0EEENS1_47radix_sort_onesweep_sort_config_static_selectorELNS0_4arch9wavefront6targetE1EEEvSK_.num_vgpr, 0
	.set _ZN7rocprim17ROCPRIM_400000_NS6detail17trampoline_kernelINS0_14default_configENS1_35radix_sort_onesweep_config_selectorIbiEEZZNS1_29radix_sort_onesweep_iterationIS3_Lb0EN6thrust23THRUST_200600_302600_NS6detail15normal_iteratorINS8_10device_ptrIbEEEESD_NSA_INSB_IiEEEESF_jNS0_19identity_decomposerENS1_16block_id_wrapperIjLb1EEEEE10hipError_tT1_PNSt15iterator_traitsISK_E10value_typeET2_T3_PNSL_ISQ_E10value_typeET4_T5_PSV_SW_PNS1_23onesweep_lookback_stateEbbT6_jjT7_P12ihipStream_tbENKUlT_T0_SK_SP_E_clIPbSD_PiSF_EEDaS13_S14_SK_SP_EUlS13_E_NS1_11comp_targetILNS1_3genE9ELNS1_11target_archE1100ELNS1_3gpuE3ELNS1_3repE0EEENS1_47radix_sort_onesweep_sort_config_static_selectorELNS0_4arch9wavefront6targetE1EEEvSK_.num_agpr, 0
	.set _ZN7rocprim17ROCPRIM_400000_NS6detail17trampoline_kernelINS0_14default_configENS1_35radix_sort_onesweep_config_selectorIbiEEZZNS1_29radix_sort_onesweep_iterationIS3_Lb0EN6thrust23THRUST_200600_302600_NS6detail15normal_iteratorINS8_10device_ptrIbEEEESD_NSA_INSB_IiEEEESF_jNS0_19identity_decomposerENS1_16block_id_wrapperIjLb1EEEEE10hipError_tT1_PNSt15iterator_traitsISK_E10value_typeET2_T3_PNSL_ISQ_E10value_typeET4_T5_PSV_SW_PNS1_23onesweep_lookback_stateEbbT6_jjT7_P12ihipStream_tbENKUlT_T0_SK_SP_E_clIPbSD_PiSF_EEDaS13_S14_SK_SP_EUlS13_E_NS1_11comp_targetILNS1_3genE9ELNS1_11target_archE1100ELNS1_3gpuE3ELNS1_3repE0EEENS1_47radix_sort_onesweep_sort_config_static_selectorELNS0_4arch9wavefront6targetE1EEEvSK_.numbered_sgpr, 0
	.set _ZN7rocprim17ROCPRIM_400000_NS6detail17trampoline_kernelINS0_14default_configENS1_35radix_sort_onesweep_config_selectorIbiEEZZNS1_29radix_sort_onesweep_iterationIS3_Lb0EN6thrust23THRUST_200600_302600_NS6detail15normal_iteratorINS8_10device_ptrIbEEEESD_NSA_INSB_IiEEEESF_jNS0_19identity_decomposerENS1_16block_id_wrapperIjLb1EEEEE10hipError_tT1_PNSt15iterator_traitsISK_E10value_typeET2_T3_PNSL_ISQ_E10value_typeET4_T5_PSV_SW_PNS1_23onesweep_lookback_stateEbbT6_jjT7_P12ihipStream_tbENKUlT_T0_SK_SP_E_clIPbSD_PiSF_EEDaS13_S14_SK_SP_EUlS13_E_NS1_11comp_targetILNS1_3genE9ELNS1_11target_archE1100ELNS1_3gpuE3ELNS1_3repE0EEENS1_47radix_sort_onesweep_sort_config_static_selectorELNS0_4arch9wavefront6targetE1EEEvSK_.num_named_barrier, 0
	.set _ZN7rocprim17ROCPRIM_400000_NS6detail17trampoline_kernelINS0_14default_configENS1_35radix_sort_onesweep_config_selectorIbiEEZZNS1_29radix_sort_onesweep_iterationIS3_Lb0EN6thrust23THRUST_200600_302600_NS6detail15normal_iteratorINS8_10device_ptrIbEEEESD_NSA_INSB_IiEEEESF_jNS0_19identity_decomposerENS1_16block_id_wrapperIjLb1EEEEE10hipError_tT1_PNSt15iterator_traitsISK_E10value_typeET2_T3_PNSL_ISQ_E10value_typeET4_T5_PSV_SW_PNS1_23onesweep_lookback_stateEbbT6_jjT7_P12ihipStream_tbENKUlT_T0_SK_SP_E_clIPbSD_PiSF_EEDaS13_S14_SK_SP_EUlS13_E_NS1_11comp_targetILNS1_3genE9ELNS1_11target_archE1100ELNS1_3gpuE3ELNS1_3repE0EEENS1_47radix_sort_onesweep_sort_config_static_selectorELNS0_4arch9wavefront6targetE1EEEvSK_.private_seg_size, 0
	.set _ZN7rocprim17ROCPRIM_400000_NS6detail17trampoline_kernelINS0_14default_configENS1_35radix_sort_onesweep_config_selectorIbiEEZZNS1_29radix_sort_onesweep_iterationIS3_Lb0EN6thrust23THRUST_200600_302600_NS6detail15normal_iteratorINS8_10device_ptrIbEEEESD_NSA_INSB_IiEEEESF_jNS0_19identity_decomposerENS1_16block_id_wrapperIjLb1EEEEE10hipError_tT1_PNSt15iterator_traitsISK_E10value_typeET2_T3_PNSL_ISQ_E10value_typeET4_T5_PSV_SW_PNS1_23onesweep_lookback_stateEbbT6_jjT7_P12ihipStream_tbENKUlT_T0_SK_SP_E_clIPbSD_PiSF_EEDaS13_S14_SK_SP_EUlS13_E_NS1_11comp_targetILNS1_3genE9ELNS1_11target_archE1100ELNS1_3gpuE3ELNS1_3repE0EEENS1_47radix_sort_onesweep_sort_config_static_selectorELNS0_4arch9wavefront6targetE1EEEvSK_.uses_vcc, 0
	.set _ZN7rocprim17ROCPRIM_400000_NS6detail17trampoline_kernelINS0_14default_configENS1_35radix_sort_onesweep_config_selectorIbiEEZZNS1_29radix_sort_onesweep_iterationIS3_Lb0EN6thrust23THRUST_200600_302600_NS6detail15normal_iteratorINS8_10device_ptrIbEEEESD_NSA_INSB_IiEEEESF_jNS0_19identity_decomposerENS1_16block_id_wrapperIjLb1EEEEE10hipError_tT1_PNSt15iterator_traitsISK_E10value_typeET2_T3_PNSL_ISQ_E10value_typeET4_T5_PSV_SW_PNS1_23onesweep_lookback_stateEbbT6_jjT7_P12ihipStream_tbENKUlT_T0_SK_SP_E_clIPbSD_PiSF_EEDaS13_S14_SK_SP_EUlS13_E_NS1_11comp_targetILNS1_3genE9ELNS1_11target_archE1100ELNS1_3gpuE3ELNS1_3repE0EEENS1_47radix_sort_onesweep_sort_config_static_selectorELNS0_4arch9wavefront6targetE1EEEvSK_.uses_flat_scratch, 0
	.set _ZN7rocprim17ROCPRIM_400000_NS6detail17trampoline_kernelINS0_14default_configENS1_35radix_sort_onesweep_config_selectorIbiEEZZNS1_29radix_sort_onesweep_iterationIS3_Lb0EN6thrust23THRUST_200600_302600_NS6detail15normal_iteratorINS8_10device_ptrIbEEEESD_NSA_INSB_IiEEEESF_jNS0_19identity_decomposerENS1_16block_id_wrapperIjLb1EEEEE10hipError_tT1_PNSt15iterator_traitsISK_E10value_typeET2_T3_PNSL_ISQ_E10value_typeET4_T5_PSV_SW_PNS1_23onesweep_lookback_stateEbbT6_jjT7_P12ihipStream_tbENKUlT_T0_SK_SP_E_clIPbSD_PiSF_EEDaS13_S14_SK_SP_EUlS13_E_NS1_11comp_targetILNS1_3genE9ELNS1_11target_archE1100ELNS1_3gpuE3ELNS1_3repE0EEENS1_47radix_sort_onesweep_sort_config_static_selectorELNS0_4arch9wavefront6targetE1EEEvSK_.has_dyn_sized_stack, 0
	.set _ZN7rocprim17ROCPRIM_400000_NS6detail17trampoline_kernelINS0_14default_configENS1_35radix_sort_onesweep_config_selectorIbiEEZZNS1_29radix_sort_onesweep_iterationIS3_Lb0EN6thrust23THRUST_200600_302600_NS6detail15normal_iteratorINS8_10device_ptrIbEEEESD_NSA_INSB_IiEEEESF_jNS0_19identity_decomposerENS1_16block_id_wrapperIjLb1EEEEE10hipError_tT1_PNSt15iterator_traitsISK_E10value_typeET2_T3_PNSL_ISQ_E10value_typeET4_T5_PSV_SW_PNS1_23onesweep_lookback_stateEbbT6_jjT7_P12ihipStream_tbENKUlT_T0_SK_SP_E_clIPbSD_PiSF_EEDaS13_S14_SK_SP_EUlS13_E_NS1_11comp_targetILNS1_3genE9ELNS1_11target_archE1100ELNS1_3gpuE3ELNS1_3repE0EEENS1_47radix_sort_onesweep_sort_config_static_selectorELNS0_4arch9wavefront6targetE1EEEvSK_.has_recursion, 0
	.set _ZN7rocprim17ROCPRIM_400000_NS6detail17trampoline_kernelINS0_14default_configENS1_35radix_sort_onesweep_config_selectorIbiEEZZNS1_29radix_sort_onesweep_iterationIS3_Lb0EN6thrust23THRUST_200600_302600_NS6detail15normal_iteratorINS8_10device_ptrIbEEEESD_NSA_INSB_IiEEEESF_jNS0_19identity_decomposerENS1_16block_id_wrapperIjLb1EEEEE10hipError_tT1_PNSt15iterator_traitsISK_E10value_typeET2_T3_PNSL_ISQ_E10value_typeET4_T5_PSV_SW_PNS1_23onesweep_lookback_stateEbbT6_jjT7_P12ihipStream_tbENKUlT_T0_SK_SP_E_clIPbSD_PiSF_EEDaS13_S14_SK_SP_EUlS13_E_NS1_11comp_targetILNS1_3genE9ELNS1_11target_archE1100ELNS1_3gpuE3ELNS1_3repE0EEENS1_47radix_sort_onesweep_sort_config_static_selectorELNS0_4arch9wavefront6targetE1EEEvSK_.has_indirect_call, 0
	.section	.AMDGPU.csdata,"",@progbits
; Kernel info:
; codeLenInByte = 0
; TotalNumSgprs: 6
; NumVgprs: 0
; NumAgprs: 0
; TotalNumVgprs: 0
; ScratchSize: 0
; MemoryBound: 0
; FloatMode: 240
; IeeeMode: 1
; LDSByteSize: 0 bytes/workgroup (compile time only)
; SGPRBlocks: 0
; VGPRBlocks: 0
; NumSGPRsForWavesPerEU: 6
; NumVGPRsForWavesPerEU: 1
; AccumOffset: 4
; Occupancy: 8
; WaveLimiterHint : 0
; COMPUTE_PGM_RSRC2:SCRATCH_EN: 0
; COMPUTE_PGM_RSRC2:USER_SGPR: 2
; COMPUTE_PGM_RSRC2:TRAP_HANDLER: 0
; COMPUTE_PGM_RSRC2:TGID_X_EN: 1
; COMPUTE_PGM_RSRC2:TGID_Y_EN: 0
; COMPUTE_PGM_RSRC2:TGID_Z_EN: 0
; COMPUTE_PGM_RSRC2:TIDIG_COMP_CNT: 0
; COMPUTE_PGM_RSRC3_GFX90A:ACCUM_OFFSET: 0
; COMPUTE_PGM_RSRC3_GFX90A:TG_SPLIT: 0
	.section	.text._ZN7rocprim17ROCPRIM_400000_NS6detail17trampoline_kernelINS0_14default_configENS1_35radix_sort_onesweep_config_selectorIbiEEZZNS1_29radix_sort_onesweep_iterationIS3_Lb0EN6thrust23THRUST_200600_302600_NS6detail15normal_iteratorINS8_10device_ptrIbEEEESD_NSA_INSB_IiEEEESF_jNS0_19identity_decomposerENS1_16block_id_wrapperIjLb1EEEEE10hipError_tT1_PNSt15iterator_traitsISK_E10value_typeET2_T3_PNSL_ISQ_E10value_typeET4_T5_PSV_SW_PNS1_23onesweep_lookback_stateEbbT6_jjT7_P12ihipStream_tbENKUlT_T0_SK_SP_E_clIPbSD_PiSF_EEDaS13_S14_SK_SP_EUlS13_E_NS1_11comp_targetILNS1_3genE8ELNS1_11target_archE1030ELNS1_3gpuE2ELNS1_3repE0EEENS1_47radix_sort_onesweep_sort_config_static_selectorELNS0_4arch9wavefront6targetE1EEEvSK_,"axG",@progbits,_ZN7rocprim17ROCPRIM_400000_NS6detail17trampoline_kernelINS0_14default_configENS1_35radix_sort_onesweep_config_selectorIbiEEZZNS1_29radix_sort_onesweep_iterationIS3_Lb0EN6thrust23THRUST_200600_302600_NS6detail15normal_iteratorINS8_10device_ptrIbEEEESD_NSA_INSB_IiEEEESF_jNS0_19identity_decomposerENS1_16block_id_wrapperIjLb1EEEEE10hipError_tT1_PNSt15iterator_traitsISK_E10value_typeET2_T3_PNSL_ISQ_E10value_typeET4_T5_PSV_SW_PNS1_23onesweep_lookback_stateEbbT6_jjT7_P12ihipStream_tbENKUlT_T0_SK_SP_E_clIPbSD_PiSF_EEDaS13_S14_SK_SP_EUlS13_E_NS1_11comp_targetILNS1_3genE8ELNS1_11target_archE1030ELNS1_3gpuE2ELNS1_3repE0EEENS1_47radix_sort_onesweep_sort_config_static_selectorELNS0_4arch9wavefront6targetE1EEEvSK_,comdat
	.protected	_ZN7rocprim17ROCPRIM_400000_NS6detail17trampoline_kernelINS0_14default_configENS1_35radix_sort_onesweep_config_selectorIbiEEZZNS1_29radix_sort_onesweep_iterationIS3_Lb0EN6thrust23THRUST_200600_302600_NS6detail15normal_iteratorINS8_10device_ptrIbEEEESD_NSA_INSB_IiEEEESF_jNS0_19identity_decomposerENS1_16block_id_wrapperIjLb1EEEEE10hipError_tT1_PNSt15iterator_traitsISK_E10value_typeET2_T3_PNSL_ISQ_E10value_typeET4_T5_PSV_SW_PNS1_23onesweep_lookback_stateEbbT6_jjT7_P12ihipStream_tbENKUlT_T0_SK_SP_E_clIPbSD_PiSF_EEDaS13_S14_SK_SP_EUlS13_E_NS1_11comp_targetILNS1_3genE8ELNS1_11target_archE1030ELNS1_3gpuE2ELNS1_3repE0EEENS1_47radix_sort_onesweep_sort_config_static_selectorELNS0_4arch9wavefront6targetE1EEEvSK_ ; -- Begin function _ZN7rocprim17ROCPRIM_400000_NS6detail17trampoline_kernelINS0_14default_configENS1_35radix_sort_onesweep_config_selectorIbiEEZZNS1_29radix_sort_onesweep_iterationIS3_Lb0EN6thrust23THRUST_200600_302600_NS6detail15normal_iteratorINS8_10device_ptrIbEEEESD_NSA_INSB_IiEEEESF_jNS0_19identity_decomposerENS1_16block_id_wrapperIjLb1EEEEE10hipError_tT1_PNSt15iterator_traitsISK_E10value_typeET2_T3_PNSL_ISQ_E10value_typeET4_T5_PSV_SW_PNS1_23onesweep_lookback_stateEbbT6_jjT7_P12ihipStream_tbENKUlT_T0_SK_SP_E_clIPbSD_PiSF_EEDaS13_S14_SK_SP_EUlS13_E_NS1_11comp_targetILNS1_3genE8ELNS1_11target_archE1030ELNS1_3gpuE2ELNS1_3repE0EEENS1_47radix_sort_onesweep_sort_config_static_selectorELNS0_4arch9wavefront6targetE1EEEvSK_
	.globl	_ZN7rocprim17ROCPRIM_400000_NS6detail17trampoline_kernelINS0_14default_configENS1_35radix_sort_onesweep_config_selectorIbiEEZZNS1_29radix_sort_onesweep_iterationIS3_Lb0EN6thrust23THRUST_200600_302600_NS6detail15normal_iteratorINS8_10device_ptrIbEEEESD_NSA_INSB_IiEEEESF_jNS0_19identity_decomposerENS1_16block_id_wrapperIjLb1EEEEE10hipError_tT1_PNSt15iterator_traitsISK_E10value_typeET2_T3_PNSL_ISQ_E10value_typeET4_T5_PSV_SW_PNS1_23onesweep_lookback_stateEbbT6_jjT7_P12ihipStream_tbENKUlT_T0_SK_SP_E_clIPbSD_PiSF_EEDaS13_S14_SK_SP_EUlS13_E_NS1_11comp_targetILNS1_3genE8ELNS1_11target_archE1030ELNS1_3gpuE2ELNS1_3repE0EEENS1_47radix_sort_onesweep_sort_config_static_selectorELNS0_4arch9wavefront6targetE1EEEvSK_
	.p2align	8
	.type	_ZN7rocprim17ROCPRIM_400000_NS6detail17trampoline_kernelINS0_14default_configENS1_35radix_sort_onesweep_config_selectorIbiEEZZNS1_29radix_sort_onesweep_iterationIS3_Lb0EN6thrust23THRUST_200600_302600_NS6detail15normal_iteratorINS8_10device_ptrIbEEEESD_NSA_INSB_IiEEEESF_jNS0_19identity_decomposerENS1_16block_id_wrapperIjLb1EEEEE10hipError_tT1_PNSt15iterator_traitsISK_E10value_typeET2_T3_PNSL_ISQ_E10value_typeET4_T5_PSV_SW_PNS1_23onesweep_lookback_stateEbbT6_jjT7_P12ihipStream_tbENKUlT_T0_SK_SP_E_clIPbSD_PiSF_EEDaS13_S14_SK_SP_EUlS13_E_NS1_11comp_targetILNS1_3genE8ELNS1_11target_archE1030ELNS1_3gpuE2ELNS1_3repE0EEENS1_47radix_sort_onesweep_sort_config_static_selectorELNS0_4arch9wavefront6targetE1EEEvSK_,@function
_ZN7rocprim17ROCPRIM_400000_NS6detail17trampoline_kernelINS0_14default_configENS1_35radix_sort_onesweep_config_selectorIbiEEZZNS1_29radix_sort_onesweep_iterationIS3_Lb0EN6thrust23THRUST_200600_302600_NS6detail15normal_iteratorINS8_10device_ptrIbEEEESD_NSA_INSB_IiEEEESF_jNS0_19identity_decomposerENS1_16block_id_wrapperIjLb1EEEEE10hipError_tT1_PNSt15iterator_traitsISK_E10value_typeET2_T3_PNSL_ISQ_E10value_typeET4_T5_PSV_SW_PNS1_23onesweep_lookback_stateEbbT6_jjT7_P12ihipStream_tbENKUlT_T0_SK_SP_E_clIPbSD_PiSF_EEDaS13_S14_SK_SP_EUlS13_E_NS1_11comp_targetILNS1_3genE8ELNS1_11target_archE1030ELNS1_3gpuE2ELNS1_3repE0EEENS1_47radix_sort_onesweep_sort_config_static_selectorELNS0_4arch9wavefront6targetE1EEEvSK_: ; @_ZN7rocprim17ROCPRIM_400000_NS6detail17trampoline_kernelINS0_14default_configENS1_35radix_sort_onesweep_config_selectorIbiEEZZNS1_29radix_sort_onesweep_iterationIS3_Lb0EN6thrust23THRUST_200600_302600_NS6detail15normal_iteratorINS8_10device_ptrIbEEEESD_NSA_INSB_IiEEEESF_jNS0_19identity_decomposerENS1_16block_id_wrapperIjLb1EEEEE10hipError_tT1_PNSt15iterator_traitsISK_E10value_typeET2_T3_PNSL_ISQ_E10value_typeET4_T5_PSV_SW_PNS1_23onesweep_lookback_stateEbbT6_jjT7_P12ihipStream_tbENKUlT_T0_SK_SP_E_clIPbSD_PiSF_EEDaS13_S14_SK_SP_EUlS13_E_NS1_11comp_targetILNS1_3genE8ELNS1_11target_archE1030ELNS1_3gpuE2ELNS1_3repE0EEENS1_47radix_sort_onesweep_sort_config_static_selectorELNS0_4arch9wavefront6targetE1EEEvSK_
; %bb.0:
	.section	.rodata,"a",@progbits
	.p2align	6, 0x0
	.amdhsa_kernel _ZN7rocprim17ROCPRIM_400000_NS6detail17trampoline_kernelINS0_14default_configENS1_35radix_sort_onesweep_config_selectorIbiEEZZNS1_29radix_sort_onesweep_iterationIS3_Lb0EN6thrust23THRUST_200600_302600_NS6detail15normal_iteratorINS8_10device_ptrIbEEEESD_NSA_INSB_IiEEEESF_jNS0_19identity_decomposerENS1_16block_id_wrapperIjLb1EEEEE10hipError_tT1_PNSt15iterator_traitsISK_E10value_typeET2_T3_PNSL_ISQ_E10value_typeET4_T5_PSV_SW_PNS1_23onesweep_lookback_stateEbbT6_jjT7_P12ihipStream_tbENKUlT_T0_SK_SP_E_clIPbSD_PiSF_EEDaS13_S14_SK_SP_EUlS13_E_NS1_11comp_targetILNS1_3genE8ELNS1_11target_archE1030ELNS1_3gpuE2ELNS1_3repE0EEENS1_47radix_sort_onesweep_sort_config_static_selectorELNS0_4arch9wavefront6targetE1EEEvSK_
		.amdhsa_group_segment_fixed_size 0
		.amdhsa_private_segment_fixed_size 0
		.amdhsa_kernarg_size 88
		.amdhsa_user_sgpr_count 2
		.amdhsa_user_sgpr_dispatch_ptr 0
		.amdhsa_user_sgpr_queue_ptr 0
		.amdhsa_user_sgpr_kernarg_segment_ptr 1
		.amdhsa_user_sgpr_dispatch_id 0
		.amdhsa_user_sgpr_kernarg_preload_length 0
		.amdhsa_user_sgpr_kernarg_preload_offset 0
		.amdhsa_user_sgpr_private_segment_size 0
		.amdhsa_uses_dynamic_stack 0
		.amdhsa_enable_private_segment 0
		.amdhsa_system_sgpr_workgroup_id_x 1
		.amdhsa_system_sgpr_workgroup_id_y 0
		.amdhsa_system_sgpr_workgroup_id_z 0
		.amdhsa_system_sgpr_workgroup_info 0
		.amdhsa_system_vgpr_workitem_id 0
		.amdhsa_next_free_vgpr 1
		.amdhsa_next_free_sgpr 0
		.amdhsa_accum_offset 4
		.amdhsa_reserve_vcc 0
		.amdhsa_float_round_mode_32 0
		.amdhsa_float_round_mode_16_64 0
		.amdhsa_float_denorm_mode_32 3
		.amdhsa_float_denorm_mode_16_64 3
		.amdhsa_dx10_clamp 1
		.amdhsa_ieee_mode 1
		.amdhsa_fp16_overflow 0
		.amdhsa_tg_split 0
		.amdhsa_exception_fp_ieee_invalid_op 0
		.amdhsa_exception_fp_denorm_src 0
		.amdhsa_exception_fp_ieee_div_zero 0
		.amdhsa_exception_fp_ieee_overflow 0
		.amdhsa_exception_fp_ieee_underflow 0
		.amdhsa_exception_fp_ieee_inexact 0
		.amdhsa_exception_int_div_zero 0
	.end_amdhsa_kernel
	.section	.text._ZN7rocprim17ROCPRIM_400000_NS6detail17trampoline_kernelINS0_14default_configENS1_35radix_sort_onesweep_config_selectorIbiEEZZNS1_29radix_sort_onesweep_iterationIS3_Lb0EN6thrust23THRUST_200600_302600_NS6detail15normal_iteratorINS8_10device_ptrIbEEEESD_NSA_INSB_IiEEEESF_jNS0_19identity_decomposerENS1_16block_id_wrapperIjLb1EEEEE10hipError_tT1_PNSt15iterator_traitsISK_E10value_typeET2_T3_PNSL_ISQ_E10value_typeET4_T5_PSV_SW_PNS1_23onesweep_lookback_stateEbbT6_jjT7_P12ihipStream_tbENKUlT_T0_SK_SP_E_clIPbSD_PiSF_EEDaS13_S14_SK_SP_EUlS13_E_NS1_11comp_targetILNS1_3genE8ELNS1_11target_archE1030ELNS1_3gpuE2ELNS1_3repE0EEENS1_47radix_sort_onesweep_sort_config_static_selectorELNS0_4arch9wavefront6targetE1EEEvSK_,"axG",@progbits,_ZN7rocprim17ROCPRIM_400000_NS6detail17trampoline_kernelINS0_14default_configENS1_35radix_sort_onesweep_config_selectorIbiEEZZNS1_29radix_sort_onesweep_iterationIS3_Lb0EN6thrust23THRUST_200600_302600_NS6detail15normal_iteratorINS8_10device_ptrIbEEEESD_NSA_INSB_IiEEEESF_jNS0_19identity_decomposerENS1_16block_id_wrapperIjLb1EEEEE10hipError_tT1_PNSt15iterator_traitsISK_E10value_typeET2_T3_PNSL_ISQ_E10value_typeET4_T5_PSV_SW_PNS1_23onesweep_lookback_stateEbbT6_jjT7_P12ihipStream_tbENKUlT_T0_SK_SP_E_clIPbSD_PiSF_EEDaS13_S14_SK_SP_EUlS13_E_NS1_11comp_targetILNS1_3genE8ELNS1_11target_archE1030ELNS1_3gpuE2ELNS1_3repE0EEENS1_47radix_sort_onesweep_sort_config_static_selectorELNS0_4arch9wavefront6targetE1EEEvSK_,comdat
.Lfunc_end2067:
	.size	_ZN7rocprim17ROCPRIM_400000_NS6detail17trampoline_kernelINS0_14default_configENS1_35radix_sort_onesweep_config_selectorIbiEEZZNS1_29radix_sort_onesweep_iterationIS3_Lb0EN6thrust23THRUST_200600_302600_NS6detail15normal_iteratorINS8_10device_ptrIbEEEESD_NSA_INSB_IiEEEESF_jNS0_19identity_decomposerENS1_16block_id_wrapperIjLb1EEEEE10hipError_tT1_PNSt15iterator_traitsISK_E10value_typeET2_T3_PNSL_ISQ_E10value_typeET4_T5_PSV_SW_PNS1_23onesweep_lookback_stateEbbT6_jjT7_P12ihipStream_tbENKUlT_T0_SK_SP_E_clIPbSD_PiSF_EEDaS13_S14_SK_SP_EUlS13_E_NS1_11comp_targetILNS1_3genE8ELNS1_11target_archE1030ELNS1_3gpuE2ELNS1_3repE0EEENS1_47radix_sort_onesweep_sort_config_static_selectorELNS0_4arch9wavefront6targetE1EEEvSK_, .Lfunc_end2067-_ZN7rocprim17ROCPRIM_400000_NS6detail17trampoline_kernelINS0_14default_configENS1_35radix_sort_onesweep_config_selectorIbiEEZZNS1_29radix_sort_onesweep_iterationIS3_Lb0EN6thrust23THRUST_200600_302600_NS6detail15normal_iteratorINS8_10device_ptrIbEEEESD_NSA_INSB_IiEEEESF_jNS0_19identity_decomposerENS1_16block_id_wrapperIjLb1EEEEE10hipError_tT1_PNSt15iterator_traitsISK_E10value_typeET2_T3_PNSL_ISQ_E10value_typeET4_T5_PSV_SW_PNS1_23onesweep_lookback_stateEbbT6_jjT7_P12ihipStream_tbENKUlT_T0_SK_SP_E_clIPbSD_PiSF_EEDaS13_S14_SK_SP_EUlS13_E_NS1_11comp_targetILNS1_3genE8ELNS1_11target_archE1030ELNS1_3gpuE2ELNS1_3repE0EEENS1_47radix_sort_onesweep_sort_config_static_selectorELNS0_4arch9wavefront6targetE1EEEvSK_
                                        ; -- End function
	.set _ZN7rocprim17ROCPRIM_400000_NS6detail17trampoline_kernelINS0_14default_configENS1_35radix_sort_onesweep_config_selectorIbiEEZZNS1_29radix_sort_onesweep_iterationIS3_Lb0EN6thrust23THRUST_200600_302600_NS6detail15normal_iteratorINS8_10device_ptrIbEEEESD_NSA_INSB_IiEEEESF_jNS0_19identity_decomposerENS1_16block_id_wrapperIjLb1EEEEE10hipError_tT1_PNSt15iterator_traitsISK_E10value_typeET2_T3_PNSL_ISQ_E10value_typeET4_T5_PSV_SW_PNS1_23onesweep_lookback_stateEbbT6_jjT7_P12ihipStream_tbENKUlT_T0_SK_SP_E_clIPbSD_PiSF_EEDaS13_S14_SK_SP_EUlS13_E_NS1_11comp_targetILNS1_3genE8ELNS1_11target_archE1030ELNS1_3gpuE2ELNS1_3repE0EEENS1_47radix_sort_onesweep_sort_config_static_selectorELNS0_4arch9wavefront6targetE1EEEvSK_.num_vgpr, 0
	.set _ZN7rocprim17ROCPRIM_400000_NS6detail17trampoline_kernelINS0_14default_configENS1_35radix_sort_onesweep_config_selectorIbiEEZZNS1_29radix_sort_onesweep_iterationIS3_Lb0EN6thrust23THRUST_200600_302600_NS6detail15normal_iteratorINS8_10device_ptrIbEEEESD_NSA_INSB_IiEEEESF_jNS0_19identity_decomposerENS1_16block_id_wrapperIjLb1EEEEE10hipError_tT1_PNSt15iterator_traitsISK_E10value_typeET2_T3_PNSL_ISQ_E10value_typeET4_T5_PSV_SW_PNS1_23onesweep_lookback_stateEbbT6_jjT7_P12ihipStream_tbENKUlT_T0_SK_SP_E_clIPbSD_PiSF_EEDaS13_S14_SK_SP_EUlS13_E_NS1_11comp_targetILNS1_3genE8ELNS1_11target_archE1030ELNS1_3gpuE2ELNS1_3repE0EEENS1_47radix_sort_onesweep_sort_config_static_selectorELNS0_4arch9wavefront6targetE1EEEvSK_.num_agpr, 0
	.set _ZN7rocprim17ROCPRIM_400000_NS6detail17trampoline_kernelINS0_14default_configENS1_35radix_sort_onesweep_config_selectorIbiEEZZNS1_29radix_sort_onesweep_iterationIS3_Lb0EN6thrust23THRUST_200600_302600_NS6detail15normal_iteratorINS8_10device_ptrIbEEEESD_NSA_INSB_IiEEEESF_jNS0_19identity_decomposerENS1_16block_id_wrapperIjLb1EEEEE10hipError_tT1_PNSt15iterator_traitsISK_E10value_typeET2_T3_PNSL_ISQ_E10value_typeET4_T5_PSV_SW_PNS1_23onesweep_lookback_stateEbbT6_jjT7_P12ihipStream_tbENKUlT_T0_SK_SP_E_clIPbSD_PiSF_EEDaS13_S14_SK_SP_EUlS13_E_NS1_11comp_targetILNS1_3genE8ELNS1_11target_archE1030ELNS1_3gpuE2ELNS1_3repE0EEENS1_47radix_sort_onesweep_sort_config_static_selectorELNS0_4arch9wavefront6targetE1EEEvSK_.numbered_sgpr, 0
	.set _ZN7rocprim17ROCPRIM_400000_NS6detail17trampoline_kernelINS0_14default_configENS1_35radix_sort_onesweep_config_selectorIbiEEZZNS1_29radix_sort_onesweep_iterationIS3_Lb0EN6thrust23THRUST_200600_302600_NS6detail15normal_iteratorINS8_10device_ptrIbEEEESD_NSA_INSB_IiEEEESF_jNS0_19identity_decomposerENS1_16block_id_wrapperIjLb1EEEEE10hipError_tT1_PNSt15iterator_traitsISK_E10value_typeET2_T3_PNSL_ISQ_E10value_typeET4_T5_PSV_SW_PNS1_23onesweep_lookback_stateEbbT6_jjT7_P12ihipStream_tbENKUlT_T0_SK_SP_E_clIPbSD_PiSF_EEDaS13_S14_SK_SP_EUlS13_E_NS1_11comp_targetILNS1_3genE8ELNS1_11target_archE1030ELNS1_3gpuE2ELNS1_3repE0EEENS1_47radix_sort_onesweep_sort_config_static_selectorELNS0_4arch9wavefront6targetE1EEEvSK_.num_named_barrier, 0
	.set _ZN7rocprim17ROCPRIM_400000_NS6detail17trampoline_kernelINS0_14default_configENS1_35radix_sort_onesweep_config_selectorIbiEEZZNS1_29radix_sort_onesweep_iterationIS3_Lb0EN6thrust23THRUST_200600_302600_NS6detail15normal_iteratorINS8_10device_ptrIbEEEESD_NSA_INSB_IiEEEESF_jNS0_19identity_decomposerENS1_16block_id_wrapperIjLb1EEEEE10hipError_tT1_PNSt15iterator_traitsISK_E10value_typeET2_T3_PNSL_ISQ_E10value_typeET4_T5_PSV_SW_PNS1_23onesweep_lookback_stateEbbT6_jjT7_P12ihipStream_tbENKUlT_T0_SK_SP_E_clIPbSD_PiSF_EEDaS13_S14_SK_SP_EUlS13_E_NS1_11comp_targetILNS1_3genE8ELNS1_11target_archE1030ELNS1_3gpuE2ELNS1_3repE0EEENS1_47radix_sort_onesweep_sort_config_static_selectorELNS0_4arch9wavefront6targetE1EEEvSK_.private_seg_size, 0
	.set _ZN7rocprim17ROCPRIM_400000_NS6detail17trampoline_kernelINS0_14default_configENS1_35radix_sort_onesweep_config_selectorIbiEEZZNS1_29radix_sort_onesweep_iterationIS3_Lb0EN6thrust23THRUST_200600_302600_NS6detail15normal_iteratorINS8_10device_ptrIbEEEESD_NSA_INSB_IiEEEESF_jNS0_19identity_decomposerENS1_16block_id_wrapperIjLb1EEEEE10hipError_tT1_PNSt15iterator_traitsISK_E10value_typeET2_T3_PNSL_ISQ_E10value_typeET4_T5_PSV_SW_PNS1_23onesweep_lookback_stateEbbT6_jjT7_P12ihipStream_tbENKUlT_T0_SK_SP_E_clIPbSD_PiSF_EEDaS13_S14_SK_SP_EUlS13_E_NS1_11comp_targetILNS1_3genE8ELNS1_11target_archE1030ELNS1_3gpuE2ELNS1_3repE0EEENS1_47radix_sort_onesweep_sort_config_static_selectorELNS0_4arch9wavefront6targetE1EEEvSK_.uses_vcc, 0
	.set _ZN7rocprim17ROCPRIM_400000_NS6detail17trampoline_kernelINS0_14default_configENS1_35radix_sort_onesweep_config_selectorIbiEEZZNS1_29radix_sort_onesweep_iterationIS3_Lb0EN6thrust23THRUST_200600_302600_NS6detail15normal_iteratorINS8_10device_ptrIbEEEESD_NSA_INSB_IiEEEESF_jNS0_19identity_decomposerENS1_16block_id_wrapperIjLb1EEEEE10hipError_tT1_PNSt15iterator_traitsISK_E10value_typeET2_T3_PNSL_ISQ_E10value_typeET4_T5_PSV_SW_PNS1_23onesweep_lookback_stateEbbT6_jjT7_P12ihipStream_tbENKUlT_T0_SK_SP_E_clIPbSD_PiSF_EEDaS13_S14_SK_SP_EUlS13_E_NS1_11comp_targetILNS1_3genE8ELNS1_11target_archE1030ELNS1_3gpuE2ELNS1_3repE0EEENS1_47radix_sort_onesweep_sort_config_static_selectorELNS0_4arch9wavefront6targetE1EEEvSK_.uses_flat_scratch, 0
	.set _ZN7rocprim17ROCPRIM_400000_NS6detail17trampoline_kernelINS0_14default_configENS1_35radix_sort_onesweep_config_selectorIbiEEZZNS1_29radix_sort_onesweep_iterationIS3_Lb0EN6thrust23THRUST_200600_302600_NS6detail15normal_iteratorINS8_10device_ptrIbEEEESD_NSA_INSB_IiEEEESF_jNS0_19identity_decomposerENS1_16block_id_wrapperIjLb1EEEEE10hipError_tT1_PNSt15iterator_traitsISK_E10value_typeET2_T3_PNSL_ISQ_E10value_typeET4_T5_PSV_SW_PNS1_23onesweep_lookback_stateEbbT6_jjT7_P12ihipStream_tbENKUlT_T0_SK_SP_E_clIPbSD_PiSF_EEDaS13_S14_SK_SP_EUlS13_E_NS1_11comp_targetILNS1_3genE8ELNS1_11target_archE1030ELNS1_3gpuE2ELNS1_3repE0EEENS1_47radix_sort_onesweep_sort_config_static_selectorELNS0_4arch9wavefront6targetE1EEEvSK_.has_dyn_sized_stack, 0
	.set _ZN7rocprim17ROCPRIM_400000_NS6detail17trampoline_kernelINS0_14default_configENS1_35radix_sort_onesweep_config_selectorIbiEEZZNS1_29radix_sort_onesweep_iterationIS3_Lb0EN6thrust23THRUST_200600_302600_NS6detail15normal_iteratorINS8_10device_ptrIbEEEESD_NSA_INSB_IiEEEESF_jNS0_19identity_decomposerENS1_16block_id_wrapperIjLb1EEEEE10hipError_tT1_PNSt15iterator_traitsISK_E10value_typeET2_T3_PNSL_ISQ_E10value_typeET4_T5_PSV_SW_PNS1_23onesweep_lookback_stateEbbT6_jjT7_P12ihipStream_tbENKUlT_T0_SK_SP_E_clIPbSD_PiSF_EEDaS13_S14_SK_SP_EUlS13_E_NS1_11comp_targetILNS1_3genE8ELNS1_11target_archE1030ELNS1_3gpuE2ELNS1_3repE0EEENS1_47radix_sort_onesweep_sort_config_static_selectorELNS0_4arch9wavefront6targetE1EEEvSK_.has_recursion, 0
	.set _ZN7rocprim17ROCPRIM_400000_NS6detail17trampoline_kernelINS0_14default_configENS1_35radix_sort_onesweep_config_selectorIbiEEZZNS1_29radix_sort_onesweep_iterationIS3_Lb0EN6thrust23THRUST_200600_302600_NS6detail15normal_iteratorINS8_10device_ptrIbEEEESD_NSA_INSB_IiEEEESF_jNS0_19identity_decomposerENS1_16block_id_wrapperIjLb1EEEEE10hipError_tT1_PNSt15iterator_traitsISK_E10value_typeET2_T3_PNSL_ISQ_E10value_typeET4_T5_PSV_SW_PNS1_23onesweep_lookback_stateEbbT6_jjT7_P12ihipStream_tbENKUlT_T0_SK_SP_E_clIPbSD_PiSF_EEDaS13_S14_SK_SP_EUlS13_E_NS1_11comp_targetILNS1_3genE8ELNS1_11target_archE1030ELNS1_3gpuE2ELNS1_3repE0EEENS1_47radix_sort_onesweep_sort_config_static_selectorELNS0_4arch9wavefront6targetE1EEEvSK_.has_indirect_call, 0
	.section	.AMDGPU.csdata,"",@progbits
; Kernel info:
; codeLenInByte = 0
; TotalNumSgprs: 6
; NumVgprs: 0
; NumAgprs: 0
; TotalNumVgprs: 0
; ScratchSize: 0
; MemoryBound: 0
; FloatMode: 240
; IeeeMode: 1
; LDSByteSize: 0 bytes/workgroup (compile time only)
; SGPRBlocks: 0
; VGPRBlocks: 0
; NumSGPRsForWavesPerEU: 6
; NumVGPRsForWavesPerEU: 1
; AccumOffset: 4
; Occupancy: 8
; WaveLimiterHint : 0
; COMPUTE_PGM_RSRC2:SCRATCH_EN: 0
; COMPUTE_PGM_RSRC2:USER_SGPR: 2
; COMPUTE_PGM_RSRC2:TRAP_HANDLER: 0
; COMPUTE_PGM_RSRC2:TGID_X_EN: 1
; COMPUTE_PGM_RSRC2:TGID_Y_EN: 0
; COMPUTE_PGM_RSRC2:TGID_Z_EN: 0
; COMPUTE_PGM_RSRC2:TIDIG_COMP_CNT: 0
; COMPUTE_PGM_RSRC3_GFX90A:ACCUM_OFFSET: 0
; COMPUTE_PGM_RSRC3_GFX90A:TG_SPLIT: 0
	.section	.text._ZN7rocprim17ROCPRIM_400000_NS6detail17trampoline_kernelINS0_14default_configENS1_35radix_sort_onesweep_config_selectorIbiEEZZNS1_29radix_sort_onesweep_iterationIS3_Lb0EN6thrust23THRUST_200600_302600_NS6detail15normal_iteratorINS8_10device_ptrIbEEEESD_NSA_INSB_IiEEEESF_jNS0_19identity_decomposerENS1_16block_id_wrapperIjLb0EEEEE10hipError_tT1_PNSt15iterator_traitsISK_E10value_typeET2_T3_PNSL_ISQ_E10value_typeET4_T5_PSV_SW_PNS1_23onesweep_lookback_stateEbbT6_jjT7_P12ihipStream_tbENKUlT_T0_SK_SP_E_clISD_SD_SF_SF_EEDaS13_S14_SK_SP_EUlS13_E_NS1_11comp_targetILNS1_3genE0ELNS1_11target_archE4294967295ELNS1_3gpuE0ELNS1_3repE0EEENS1_47radix_sort_onesweep_sort_config_static_selectorELNS0_4arch9wavefront6targetE1EEEvSK_,"axG",@progbits,_ZN7rocprim17ROCPRIM_400000_NS6detail17trampoline_kernelINS0_14default_configENS1_35radix_sort_onesweep_config_selectorIbiEEZZNS1_29radix_sort_onesweep_iterationIS3_Lb0EN6thrust23THRUST_200600_302600_NS6detail15normal_iteratorINS8_10device_ptrIbEEEESD_NSA_INSB_IiEEEESF_jNS0_19identity_decomposerENS1_16block_id_wrapperIjLb0EEEEE10hipError_tT1_PNSt15iterator_traitsISK_E10value_typeET2_T3_PNSL_ISQ_E10value_typeET4_T5_PSV_SW_PNS1_23onesweep_lookback_stateEbbT6_jjT7_P12ihipStream_tbENKUlT_T0_SK_SP_E_clISD_SD_SF_SF_EEDaS13_S14_SK_SP_EUlS13_E_NS1_11comp_targetILNS1_3genE0ELNS1_11target_archE4294967295ELNS1_3gpuE0ELNS1_3repE0EEENS1_47radix_sort_onesweep_sort_config_static_selectorELNS0_4arch9wavefront6targetE1EEEvSK_,comdat
	.protected	_ZN7rocprim17ROCPRIM_400000_NS6detail17trampoline_kernelINS0_14default_configENS1_35radix_sort_onesweep_config_selectorIbiEEZZNS1_29radix_sort_onesweep_iterationIS3_Lb0EN6thrust23THRUST_200600_302600_NS6detail15normal_iteratorINS8_10device_ptrIbEEEESD_NSA_INSB_IiEEEESF_jNS0_19identity_decomposerENS1_16block_id_wrapperIjLb0EEEEE10hipError_tT1_PNSt15iterator_traitsISK_E10value_typeET2_T3_PNSL_ISQ_E10value_typeET4_T5_PSV_SW_PNS1_23onesweep_lookback_stateEbbT6_jjT7_P12ihipStream_tbENKUlT_T0_SK_SP_E_clISD_SD_SF_SF_EEDaS13_S14_SK_SP_EUlS13_E_NS1_11comp_targetILNS1_3genE0ELNS1_11target_archE4294967295ELNS1_3gpuE0ELNS1_3repE0EEENS1_47radix_sort_onesweep_sort_config_static_selectorELNS0_4arch9wavefront6targetE1EEEvSK_ ; -- Begin function _ZN7rocprim17ROCPRIM_400000_NS6detail17trampoline_kernelINS0_14default_configENS1_35radix_sort_onesweep_config_selectorIbiEEZZNS1_29radix_sort_onesweep_iterationIS3_Lb0EN6thrust23THRUST_200600_302600_NS6detail15normal_iteratorINS8_10device_ptrIbEEEESD_NSA_INSB_IiEEEESF_jNS0_19identity_decomposerENS1_16block_id_wrapperIjLb0EEEEE10hipError_tT1_PNSt15iterator_traitsISK_E10value_typeET2_T3_PNSL_ISQ_E10value_typeET4_T5_PSV_SW_PNS1_23onesweep_lookback_stateEbbT6_jjT7_P12ihipStream_tbENKUlT_T0_SK_SP_E_clISD_SD_SF_SF_EEDaS13_S14_SK_SP_EUlS13_E_NS1_11comp_targetILNS1_3genE0ELNS1_11target_archE4294967295ELNS1_3gpuE0ELNS1_3repE0EEENS1_47radix_sort_onesweep_sort_config_static_selectorELNS0_4arch9wavefront6targetE1EEEvSK_
	.globl	_ZN7rocprim17ROCPRIM_400000_NS6detail17trampoline_kernelINS0_14default_configENS1_35radix_sort_onesweep_config_selectorIbiEEZZNS1_29radix_sort_onesweep_iterationIS3_Lb0EN6thrust23THRUST_200600_302600_NS6detail15normal_iteratorINS8_10device_ptrIbEEEESD_NSA_INSB_IiEEEESF_jNS0_19identity_decomposerENS1_16block_id_wrapperIjLb0EEEEE10hipError_tT1_PNSt15iterator_traitsISK_E10value_typeET2_T3_PNSL_ISQ_E10value_typeET4_T5_PSV_SW_PNS1_23onesweep_lookback_stateEbbT6_jjT7_P12ihipStream_tbENKUlT_T0_SK_SP_E_clISD_SD_SF_SF_EEDaS13_S14_SK_SP_EUlS13_E_NS1_11comp_targetILNS1_3genE0ELNS1_11target_archE4294967295ELNS1_3gpuE0ELNS1_3repE0EEENS1_47radix_sort_onesweep_sort_config_static_selectorELNS0_4arch9wavefront6targetE1EEEvSK_
	.p2align	8
	.type	_ZN7rocprim17ROCPRIM_400000_NS6detail17trampoline_kernelINS0_14default_configENS1_35radix_sort_onesweep_config_selectorIbiEEZZNS1_29radix_sort_onesweep_iterationIS3_Lb0EN6thrust23THRUST_200600_302600_NS6detail15normal_iteratorINS8_10device_ptrIbEEEESD_NSA_INSB_IiEEEESF_jNS0_19identity_decomposerENS1_16block_id_wrapperIjLb0EEEEE10hipError_tT1_PNSt15iterator_traitsISK_E10value_typeET2_T3_PNSL_ISQ_E10value_typeET4_T5_PSV_SW_PNS1_23onesweep_lookback_stateEbbT6_jjT7_P12ihipStream_tbENKUlT_T0_SK_SP_E_clISD_SD_SF_SF_EEDaS13_S14_SK_SP_EUlS13_E_NS1_11comp_targetILNS1_3genE0ELNS1_11target_archE4294967295ELNS1_3gpuE0ELNS1_3repE0EEENS1_47radix_sort_onesweep_sort_config_static_selectorELNS0_4arch9wavefront6targetE1EEEvSK_,@function
_ZN7rocprim17ROCPRIM_400000_NS6detail17trampoline_kernelINS0_14default_configENS1_35radix_sort_onesweep_config_selectorIbiEEZZNS1_29radix_sort_onesweep_iterationIS3_Lb0EN6thrust23THRUST_200600_302600_NS6detail15normal_iteratorINS8_10device_ptrIbEEEESD_NSA_INSB_IiEEEESF_jNS0_19identity_decomposerENS1_16block_id_wrapperIjLb0EEEEE10hipError_tT1_PNSt15iterator_traitsISK_E10value_typeET2_T3_PNSL_ISQ_E10value_typeET4_T5_PSV_SW_PNS1_23onesweep_lookback_stateEbbT6_jjT7_P12ihipStream_tbENKUlT_T0_SK_SP_E_clISD_SD_SF_SF_EEDaS13_S14_SK_SP_EUlS13_E_NS1_11comp_targetILNS1_3genE0ELNS1_11target_archE4294967295ELNS1_3gpuE0ELNS1_3repE0EEENS1_47radix_sort_onesweep_sort_config_static_selectorELNS0_4arch9wavefront6targetE1EEEvSK_: ; @_ZN7rocprim17ROCPRIM_400000_NS6detail17trampoline_kernelINS0_14default_configENS1_35radix_sort_onesweep_config_selectorIbiEEZZNS1_29radix_sort_onesweep_iterationIS3_Lb0EN6thrust23THRUST_200600_302600_NS6detail15normal_iteratorINS8_10device_ptrIbEEEESD_NSA_INSB_IiEEEESF_jNS0_19identity_decomposerENS1_16block_id_wrapperIjLb0EEEEE10hipError_tT1_PNSt15iterator_traitsISK_E10value_typeET2_T3_PNSL_ISQ_E10value_typeET4_T5_PSV_SW_PNS1_23onesweep_lookback_stateEbbT6_jjT7_P12ihipStream_tbENKUlT_T0_SK_SP_E_clISD_SD_SF_SF_EEDaS13_S14_SK_SP_EUlS13_E_NS1_11comp_targetILNS1_3genE0ELNS1_11target_archE4294967295ELNS1_3gpuE0ELNS1_3repE0EEENS1_47radix_sort_onesweep_sort_config_static_selectorELNS0_4arch9wavefront6targetE1EEEvSK_
; %bb.0:
	.section	.rodata,"a",@progbits
	.p2align	6, 0x0
	.amdhsa_kernel _ZN7rocprim17ROCPRIM_400000_NS6detail17trampoline_kernelINS0_14default_configENS1_35radix_sort_onesweep_config_selectorIbiEEZZNS1_29radix_sort_onesweep_iterationIS3_Lb0EN6thrust23THRUST_200600_302600_NS6detail15normal_iteratorINS8_10device_ptrIbEEEESD_NSA_INSB_IiEEEESF_jNS0_19identity_decomposerENS1_16block_id_wrapperIjLb0EEEEE10hipError_tT1_PNSt15iterator_traitsISK_E10value_typeET2_T3_PNSL_ISQ_E10value_typeET4_T5_PSV_SW_PNS1_23onesweep_lookback_stateEbbT6_jjT7_P12ihipStream_tbENKUlT_T0_SK_SP_E_clISD_SD_SF_SF_EEDaS13_S14_SK_SP_EUlS13_E_NS1_11comp_targetILNS1_3genE0ELNS1_11target_archE4294967295ELNS1_3gpuE0ELNS1_3repE0EEENS1_47radix_sort_onesweep_sort_config_static_selectorELNS0_4arch9wavefront6targetE1EEEvSK_
		.amdhsa_group_segment_fixed_size 0
		.amdhsa_private_segment_fixed_size 0
		.amdhsa_kernarg_size 88
		.amdhsa_user_sgpr_count 2
		.amdhsa_user_sgpr_dispatch_ptr 0
		.amdhsa_user_sgpr_queue_ptr 0
		.amdhsa_user_sgpr_kernarg_segment_ptr 1
		.amdhsa_user_sgpr_dispatch_id 0
		.amdhsa_user_sgpr_kernarg_preload_length 0
		.amdhsa_user_sgpr_kernarg_preload_offset 0
		.amdhsa_user_sgpr_private_segment_size 0
		.amdhsa_uses_dynamic_stack 0
		.amdhsa_enable_private_segment 0
		.amdhsa_system_sgpr_workgroup_id_x 1
		.amdhsa_system_sgpr_workgroup_id_y 0
		.amdhsa_system_sgpr_workgroup_id_z 0
		.amdhsa_system_sgpr_workgroup_info 0
		.amdhsa_system_vgpr_workitem_id 0
		.amdhsa_next_free_vgpr 1
		.amdhsa_next_free_sgpr 0
		.amdhsa_accum_offset 4
		.amdhsa_reserve_vcc 0
		.amdhsa_float_round_mode_32 0
		.amdhsa_float_round_mode_16_64 0
		.amdhsa_float_denorm_mode_32 3
		.amdhsa_float_denorm_mode_16_64 3
		.amdhsa_dx10_clamp 1
		.amdhsa_ieee_mode 1
		.amdhsa_fp16_overflow 0
		.amdhsa_tg_split 0
		.amdhsa_exception_fp_ieee_invalid_op 0
		.amdhsa_exception_fp_denorm_src 0
		.amdhsa_exception_fp_ieee_div_zero 0
		.amdhsa_exception_fp_ieee_overflow 0
		.amdhsa_exception_fp_ieee_underflow 0
		.amdhsa_exception_fp_ieee_inexact 0
		.amdhsa_exception_int_div_zero 0
	.end_amdhsa_kernel
	.section	.text._ZN7rocprim17ROCPRIM_400000_NS6detail17trampoline_kernelINS0_14default_configENS1_35radix_sort_onesweep_config_selectorIbiEEZZNS1_29radix_sort_onesweep_iterationIS3_Lb0EN6thrust23THRUST_200600_302600_NS6detail15normal_iteratorINS8_10device_ptrIbEEEESD_NSA_INSB_IiEEEESF_jNS0_19identity_decomposerENS1_16block_id_wrapperIjLb0EEEEE10hipError_tT1_PNSt15iterator_traitsISK_E10value_typeET2_T3_PNSL_ISQ_E10value_typeET4_T5_PSV_SW_PNS1_23onesweep_lookback_stateEbbT6_jjT7_P12ihipStream_tbENKUlT_T0_SK_SP_E_clISD_SD_SF_SF_EEDaS13_S14_SK_SP_EUlS13_E_NS1_11comp_targetILNS1_3genE0ELNS1_11target_archE4294967295ELNS1_3gpuE0ELNS1_3repE0EEENS1_47radix_sort_onesweep_sort_config_static_selectorELNS0_4arch9wavefront6targetE1EEEvSK_,"axG",@progbits,_ZN7rocprim17ROCPRIM_400000_NS6detail17trampoline_kernelINS0_14default_configENS1_35radix_sort_onesweep_config_selectorIbiEEZZNS1_29radix_sort_onesweep_iterationIS3_Lb0EN6thrust23THRUST_200600_302600_NS6detail15normal_iteratorINS8_10device_ptrIbEEEESD_NSA_INSB_IiEEEESF_jNS0_19identity_decomposerENS1_16block_id_wrapperIjLb0EEEEE10hipError_tT1_PNSt15iterator_traitsISK_E10value_typeET2_T3_PNSL_ISQ_E10value_typeET4_T5_PSV_SW_PNS1_23onesweep_lookback_stateEbbT6_jjT7_P12ihipStream_tbENKUlT_T0_SK_SP_E_clISD_SD_SF_SF_EEDaS13_S14_SK_SP_EUlS13_E_NS1_11comp_targetILNS1_3genE0ELNS1_11target_archE4294967295ELNS1_3gpuE0ELNS1_3repE0EEENS1_47radix_sort_onesweep_sort_config_static_selectorELNS0_4arch9wavefront6targetE1EEEvSK_,comdat
.Lfunc_end2068:
	.size	_ZN7rocprim17ROCPRIM_400000_NS6detail17trampoline_kernelINS0_14default_configENS1_35radix_sort_onesweep_config_selectorIbiEEZZNS1_29radix_sort_onesweep_iterationIS3_Lb0EN6thrust23THRUST_200600_302600_NS6detail15normal_iteratorINS8_10device_ptrIbEEEESD_NSA_INSB_IiEEEESF_jNS0_19identity_decomposerENS1_16block_id_wrapperIjLb0EEEEE10hipError_tT1_PNSt15iterator_traitsISK_E10value_typeET2_T3_PNSL_ISQ_E10value_typeET4_T5_PSV_SW_PNS1_23onesweep_lookback_stateEbbT6_jjT7_P12ihipStream_tbENKUlT_T0_SK_SP_E_clISD_SD_SF_SF_EEDaS13_S14_SK_SP_EUlS13_E_NS1_11comp_targetILNS1_3genE0ELNS1_11target_archE4294967295ELNS1_3gpuE0ELNS1_3repE0EEENS1_47radix_sort_onesweep_sort_config_static_selectorELNS0_4arch9wavefront6targetE1EEEvSK_, .Lfunc_end2068-_ZN7rocprim17ROCPRIM_400000_NS6detail17trampoline_kernelINS0_14default_configENS1_35radix_sort_onesweep_config_selectorIbiEEZZNS1_29radix_sort_onesweep_iterationIS3_Lb0EN6thrust23THRUST_200600_302600_NS6detail15normal_iteratorINS8_10device_ptrIbEEEESD_NSA_INSB_IiEEEESF_jNS0_19identity_decomposerENS1_16block_id_wrapperIjLb0EEEEE10hipError_tT1_PNSt15iterator_traitsISK_E10value_typeET2_T3_PNSL_ISQ_E10value_typeET4_T5_PSV_SW_PNS1_23onesweep_lookback_stateEbbT6_jjT7_P12ihipStream_tbENKUlT_T0_SK_SP_E_clISD_SD_SF_SF_EEDaS13_S14_SK_SP_EUlS13_E_NS1_11comp_targetILNS1_3genE0ELNS1_11target_archE4294967295ELNS1_3gpuE0ELNS1_3repE0EEENS1_47radix_sort_onesweep_sort_config_static_selectorELNS0_4arch9wavefront6targetE1EEEvSK_
                                        ; -- End function
	.set _ZN7rocprim17ROCPRIM_400000_NS6detail17trampoline_kernelINS0_14default_configENS1_35radix_sort_onesweep_config_selectorIbiEEZZNS1_29radix_sort_onesweep_iterationIS3_Lb0EN6thrust23THRUST_200600_302600_NS6detail15normal_iteratorINS8_10device_ptrIbEEEESD_NSA_INSB_IiEEEESF_jNS0_19identity_decomposerENS1_16block_id_wrapperIjLb0EEEEE10hipError_tT1_PNSt15iterator_traitsISK_E10value_typeET2_T3_PNSL_ISQ_E10value_typeET4_T5_PSV_SW_PNS1_23onesweep_lookback_stateEbbT6_jjT7_P12ihipStream_tbENKUlT_T0_SK_SP_E_clISD_SD_SF_SF_EEDaS13_S14_SK_SP_EUlS13_E_NS1_11comp_targetILNS1_3genE0ELNS1_11target_archE4294967295ELNS1_3gpuE0ELNS1_3repE0EEENS1_47radix_sort_onesweep_sort_config_static_selectorELNS0_4arch9wavefront6targetE1EEEvSK_.num_vgpr, 0
	.set _ZN7rocprim17ROCPRIM_400000_NS6detail17trampoline_kernelINS0_14default_configENS1_35radix_sort_onesweep_config_selectorIbiEEZZNS1_29radix_sort_onesweep_iterationIS3_Lb0EN6thrust23THRUST_200600_302600_NS6detail15normal_iteratorINS8_10device_ptrIbEEEESD_NSA_INSB_IiEEEESF_jNS0_19identity_decomposerENS1_16block_id_wrapperIjLb0EEEEE10hipError_tT1_PNSt15iterator_traitsISK_E10value_typeET2_T3_PNSL_ISQ_E10value_typeET4_T5_PSV_SW_PNS1_23onesweep_lookback_stateEbbT6_jjT7_P12ihipStream_tbENKUlT_T0_SK_SP_E_clISD_SD_SF_SF_EEDaS13_S14_SK_SP_EUlS13_E_NS1_11comp_targetILNS1_3genE0ELNS1_11target_archE4294967295ELNS1_3gpuE0ELNS1_3repE0EEENS1_47radix_sort_onesweep_sort_config_static_selectorELNS0_4arch9wavefront6targetE1EEEvSK_.num_agpr, 0
	.set _ZN7rocprim17ROCPRIM_400000_NS6detail17trampoline_kernelINS0_14default_configENS1_35radix_sort_onesweep_config_selectorIbiEEZZNS1_29radix_sort_onesweep_iterationIS3_Lb0EN6thrust23THRUST_200600_302600_NS6detail15normal_iteratorINS8_10device_ptrIbEEEESD_NSA_INSB_IiEEEESF_jNS0_19identity_decomposerENS1_16block_id_wrapperIjLb0EEEEE10hipError_tT1_PNSt15iterator_traitsISK_E10value_typeET2_T3_PNSL_ISQ_E10value_typeET4_T5_PSV_SW_PNS1_23onesweep_lookback_stateEbbT6_jjT7_P12ihipStream_tbENKUlT_T0_SK_SP_E_clISD_SD_SF_SF_EEDaS13_S14_SK_SP_EUlS13_E_NS1_11comp_targetILNS1_3genE0ELNS1_11target_archE4294967295ELNS1_3gpuE0ELNS1_3repE0EEENS1_47radix_sort_onesweep_sort_config_static_selectorELNS0_4arch9wavefront6targetE1EEEvSK_.numbered_sgpr, 0
	.set _ZN7rocprim17ROCPRIM_400000_NS6detail17trampoline_kernelINS0_14default_configENS1_35radix_sort_onesweep_config_selectorIbiEEZZNS1_29radix_sort_onesweep_iterationIS3_Lb0EN6thrust23THRUST_200600_302600_NS6detail15normal_iteratorINS8_10device_ptrIbEEEESD_NSA_INSB_IiEEEESF_jNS0_19identity_decomposerENS1_16block_id_wrapperIjLb0EEEEE10hipError_tT1_PNSt15iterator_traitsISK_E10value_typeET2_T3_PNSL_ISQ_E10value_typeET4_T5_PSV_SW_PNS1_23onesweep_lookback_stateEbbT6_jjT7_P12ihipStream_tbENKUlT_T0_SK_SP_E_clISD_SD_SF_SF_EEDaS13_S14_SK_SP_EUlS13_E_NS1_11comp_targetILNS1_3genE0ELNS1_11target_archE4294967295ELNS1_3gpuE0ELNS1_3repE0EEENS1_47radix_sort_onesweep_sort_config_static_selectorELNS0_4arch9wavefront6targetE1EEEvSK_.num_named_barrier, 0
	.set _ZN7rocprim17ROCPRIM_400000_NS6detail17trampoline_kernelINS0_14default_configENS1_35radix_sort_onesweep_config_selectorIbiEEZZNS1_29radix_sort_onesweep_iterationIS3_Lb0EN6thrust23THRUST_200600_302600_NS6detail15normal_iteratorINS8_10device_ptrIbEEEESD_NSA_INSB_IiEEEESF_jNS0_19identity_decomposerENS1_16block_id_wrapperIjLb0EEEEE10hipError_tT1_PNSt15iterator_traitsISK_E10value_typeET2_T3_PNSL_ISQ_E10value_typeET4_T5_PSV_SW_PNS1_23onesweep_lookback_stateEbbT6_jjT7_P12ihipStream_tbENKUlT_T0_SK_SP_E_clISD_SD_SF_SF_EEDaS13_S14_SK_SP_EUlS13_E_NS1_11comp_targetILNS1_3genE0ELNS1_11target_archE4294967295ELNS1_3gpuE0ELNS1_3repE0EEENS1_47radix_sort_onesweep_sort_config_static_selectorELNS0_4arch9wavefront6targetE1EEEvSK_.private_seg_size, 0
	.set _ZN7rocprim17ROCPRIM_400000_NS6detail17trampoline_kernelINS0_14default_configENS1_35radix_sort_onesweep_config_selectorIbiEEZZNS1_29radix_sort_onesweep_iterationIS3_Lb0EN6thrust23THRUST_200600_302600_NS6detail15normal_iteratorINS8_10device_ptrIbEEEESD_NSA_INSB_IiEEEESF_jNS0_19identity_decomposerENS1_16block_id_wrapperIjLb0EEEEE10hipError_tT1_PNSt15iterator_traitsISK_E10value_typeET2_T3_PNSL_ISQ_E10value_typeET4_T5_PSV_SW_PNS1_23onesweep_lookback_stateEbbT6_jjT7_P12ihipStream_tbENKUlT_T0_SK_SP_E_clISD_SD_SF_SF_EEDaS13_S14_SK_SP_EUlS13_E_NS1_11comp_targetILNS1_3genE0ELNS1_11target_archE4294967295ELNS1_3gpuE0ELNS1_3repE0EEENS1_47radix_sort_onesweep_sort_config_static_selectorELNS0_4arch9wavefront6targetE1EEEvSK_.uses_vcc, 0
	.set _ZN7rocprim17ROCPRIM_400000_NS6detail17trampoline_kernelINS0_14default_configENS1_35radix_sort_onesweep_config_selectorIbiEEZZNS1_29radix_sort_onesweep_iterationIS3_Lb0EN6thrust23THRUST_200600_302600_NS6detail15normal_iteratorINS8_10device_ptrIbEEEESD_NSA_INSB_IiEEEESF_jNS0_19identity_decomposerENS1_16block_id_wrapperIjLb0EEEEE10hipError_tT1_PNSt15iterator_traitsISK_E10value_typeET2_T3_PNSL_ISQ_E10value_typeET4_T5_PSV_SW_PNS1_23onesweep_lookback_stateEbbT6_jjT7_P12ihipStream_tbENKUlT_T0_SK_SP_E_clISD_SD_SF_SF_EEDaS13_S14_SK_SP_EUlS13_E_NS1_11comp_targetILNS1_3genE0ELNS1_11target_archE4294967295ELNS1_3gpuE0ELNS1_3repE0EEENS1_47radix_sort_onesweep_sort_config_static_selectorELNS0_4arch9wavefront6targetE1EEEvSK_.uses_flat_scratch, 0
	.set _ZN7rocprim17ROCPRIM_400000_NS6detail17trampoline_kernelINS0_14default_configENS1_35radix_sort_onesweep_config_selectorIbiEEZZNS1_29radix_sort_onesweep_iterationIS3_Lb0EN6thrust23THRUST_200600_302600_NS6detail15normal_iteratorINS8_10device_ptrIbEEEESD_NSA_INSB_IiEEEESF_jNS0_19identity_decomposerENS1_16block_id_wrapperIjLb0EEEEE10hipError_tT1_PNSt15iterator_traitsISK_E10value_typeET2_T3_PNSL_ISQ_E10value_typeET4_T5_PSV_SW_PNS1_23onesweep_lookback_stateEbbT6_jjT7_P12ihipStream_tbENKUlT_T0_SK_SP_E_clISD_SD_SF_SF_EEDaS13_S14_SK_SP_EUlS13_E_NS1_11comp_targetILNS1_3genE0ELNS1_11target_archE4294967295ELNS1_3gpuE0ELNS1_3repE0EEENS1_47radix_sort_onesweep_sort_config_static_selectorELNS0_4arch9wavefront6targetE1EEEvSK_.has_dyn_sized_stack, 0
	.set _ZN7rocprim17ROCPRIM_400000_NS6detail17trampoline_kernelINS0_14default_configENS1_35radix_sort_onesweep_config_selectorIbiEEZZNS1_29radix_sort_onesweep_iterationIS3_Lb0EN6thrust23THRUST_200600_302600_NS6detail15normal_iteratorINS8_10device_ptrIbEEEESD_NSA_INSB_IiEEEESF_jNS0_19identity_decomposerENS1_16block_id_wrapperIjLb0EEEEE10hipError_tT1_PNSt15iterator_traitsISK_E10value_typeET2_T3_PNSL_ISQ_E10value_typeET4_T5_PSV_SW_PNS1_23onesweep_lookback_stateEbbT6_jjT7_P12ihipStream_tbENKUlT_T0_SK_SP_E_clISD_SD_SF_SF_EEDaS13_S14_SK_SP_EUlS13_E_NS1_11comp_targetILNS1_3genE0ELNS1_11target_archE4294967295ELNS1_3gpuE0ELNS1_3repE0EEENS1_47radix_sort_onesweep_sort_config_static_selectorELNS0_4arch9wavefront6targetE1EEEvSK_.has_recursion, 0
	.set _ZN7rocprim17ROCPRIM_400000_NS6detail17trampoline_kernelINS0_14default_configENS1_35radix_sort_onesweep_config_selectorIbiEEZZNS1_29radix_sort_onesweep_iterationIS3_Lb0EN6thrust23THRUST_200600_302600_NS6detail15normal_iteratorINS8_10device_ptrIbEEEESD_NSA_INSB_IiEEEESF_jNS0_19identity_decomposerENS1_16block_id_wrapperIjLb0EEEEE10hipError_tT1_PNSt15iterator_traitsISK_E10value_typeET2_T3_PNSL_ISQ_E10value_typeET4_T5_PSV_SW_PNS1_23onesweep_lookback_stateEbbT6_jjT7_P12ihipStream_tbENKUlT_T0_SK_SP_E_clISD_SD_SF_SF_EEDaS13_S14_SK_SP_EUlS13_E_NS1_11comp_targetILNS1_3genE0ELNS1_11target_archE4294967295ELNS1_3gpuE0ELNS1_3repE0EEENS1_47radix_sort_onesweep_sort_config_static_selectorELNS0_4arch9wavefront6targetE1EEEvSK_.has_indirect_call, 0
	.section	.AMDGPU.csdata,"",@progbits
; Kernel info:
; codeLenInByte = 0
; TotalNumSgprs: 6
; NumVgprs: 0
; NumAgprs: 0
; TotalNumVgprs: 0
; ScratchSize: 0
; MemoryBound: 0
; FloatMode: 240
; IeeeMode: 1
; LDSByteSize: 0 bytes/workgroup (compile time only)
; SGPRBlocks: 0
; VGPRBlocks: 0
; NumSGPRsForWavesPerEU: 6
; NumVGPRsForWavesPerEU: 1
; AccumOffset: 4
; Occupancy: 8
; WaveLimiterHint : 0
; COMPUTE_PGM_RSRC2:SCRATCH_EN: 0
; COMPUTE_PGM_RSRC2:USER_SGPR: 2
; COMPUTE_PGM_RSRC2:TRAP_HANDLER: 0
; COMPUTE_PGM_RSRC2:TGID_X_EN: 1
; COMPUTE_PGM_RSRC2:TGID_Y_EN: 0
; COMPUTE_PGM_RSRC2:TGID_Z_EN: 0
; COMPUTE_PGM_RSRC2:TIDIG_COMP_CNT: 0
; COMPUTE_PGM_RSRC3_GFX90A:ACCUM_OFFSET: 0
; COMPUTE_PGM_RSRC3_GFX90A:TG_SPLIT: 0
	.section	.text._ZN7rocprim17ROCPRIM_400000_NS6detail17trampoline_kernelINS0_14default_configENS1_35radix_sort_onesweep_config_selectorIbiEEZZNS1_29radix_sort_onesweep_iterationIS3_Lb0EN6thrust23THRUST_200600_302600_NS6detail15normal_iteratorINS8_10device_ptrIbEEEESD_NSA_INSB_IiEEEESF_jNS0_19identity_decomposerENS1_16block_id_wrapperIjLb0EEEEE10hipError_tT1_PNSt15iterator_traitsISK_E10value_typeET2_T3_PNSL_ISQ_E10value_typeET4_T5_PSV_SW_PNS1_23onesweep_lookback_stateEbbT6_jjT7_P12ihipStream_tbENKUlT_T0_SK_SP_E_clISD_SD_SF_SF_EEDaS13_S14_SK_SP_EUlS13_E_NS1_11comp_targetILNS1_3genE6ELNS1_11target_archE950ELNS1_3gpuE13ELNS1_3repE0EEENS1_47radix_sort_onesweep_sort_config_static_selectorELNS0_4arch9wavefront6targetE1EEEvSK_,"axG",@progbits,_ZN7rocprim17ROCPRIM_400000_NS6detail17trampoline_kernelINS0_14default_configENS1_35radix_sort_onesweep_config_selectorIbiEEZZNS1_29radix_sort_onesweep_iterationIS3_Lb0EN6thrust23THRUST_200600_302600_NS6detail15normal_iteratorINS8_10device_ptrIbEEEESD_NSA_INSB_IiEEEESF_jNS0_19identity_decomposerENS1_16block_id_wrapperIjLb0EEEEE10hipError_tT1_PNSt15iterator_traitsISK_E10value_typeET2_T3_PNSL_ISQ_E10value_typeET4_T5_PSV_SW_PNS1_23onesweep_lookback_stateEbbT6_jjT7_P12ihipStream_tbENKUlT_T0_SK_SP_E_clISD_SD_SF_SF_EEDaS13_S14_SK_SP_EUlS13_E_NS1_11comp_targetILNS1_3genE6ELNS1_11target_archE950ELNS1_3gpuE13ELNS1_3repE0EEENS1_47radix_sort_onesweep_sort_config_static_selectorELNS0_4arch9wavefront6targetE1EEEvSK_,comdat
	.protected	_ZN7rocprim17ROCPRIM_400000_NS6detail17trampoline_kernelINS0_14default_configENS1_35radix_sort_onesweep_config_selectorIbiEEZZNS1_29radix_sort_onesweep_iterationIS3_Lb0EN6thrust23THRUST_200600_302600_NS6detail15normal_iteratorINS8_10device_ptrIbEEEESD_NSA_INSB_IiEEEESF_jNS0_19identity_decomposerENS1_16block_id_wrapperIjLb0EEEEE10hipError_tT1_PNSt15iterator_traitsISK_E10value_typeET2_T3_PNSL_ISQ_E10value_typeET4_T5_PSV_SW_PNS1_23onesweep_lookback_stateEbbT6_jjT7_P12ihipStream_tbENKUlT_T0_SK_SP_E_clISD_SD_SF_SF_EEDaS13_S14_SK_SP_EUlS13_E_NS1_11comp_targetILNS1_3genE6ELNS1_11target_archE950ELNS1_3gpuE13ELNS1_3repE0EEENS1_47radix_sort_onesweep_sort_config_static_selectorELNS0_4arch9wavefront6targetE1EEEvSK_ ; -- Begin function _ZN7rocprim17ROCPRIM_400000_NS6detail17trampoline_kernelINS0_14default_configENS1_35radix_sort_onesweep_config_selectorIbiEEZZNS1_29radix_sort_onesweep_iterationIS3_Lb0EN6thrust23THRUST_200600_302600_NS6detail15normal_iteratorINS8_10device_ptrIbEEEESD_NSA_INSB_IiEEEESF_jNS0_19identity_decomposerENS1_16block_id_wrapperIjLb0EEEEE10hipError_tT1_PNSt15iterator_traitsISK_E10value_typeET2_T3_PNSL_ISQ_E10value_typeET4_T5_PSV_SW_PNS1_23onesweep_lookback_stateEbbT6_jjT7_P12ihipStream_tbENKUlT_T0_SK_SP_E_clISD_SD_SF_SF_EEDaS13_S14_SK_SP_EUlS13_E_NS1_11comp_targetILNS1_3genE6ELNS1_11target_archE950ELNS1_3gpuE13ELNS1_3repE0EEENS1_47radix_sort_onesweep_sort_config_static_selectorELNS0_4arch9wavefront6targetE1EEEvSK_
	.globl	_ZN7rocprim17ROCPRIM_400000_NS6detail17trampoline_kernelINS0_14default_configENS1_35radix_sort_onesweep_config_selectorIbiEEZZNS1_29radix_sort_onesweep_iterationIS3_Lb0EN6thrust23THRUST_200600_302600_NS6detail15normal_iteratorINS8_10device_ptrIbEEEESD_NSA_INSB_IiEEEESF_jNS0_19identity_decomposerENS1_16block_id_wrapperIjLb0EEEEE10hipError_tT1_PNSt15iterator_traitsISK_E10value_typeET2_T3_PNSL_ISQ_E10value_typeET4_T5_PSV_SW_PNS1_23onesweep_lookback_stateEbbT6_jjT7_P12ihipStream_tbENKUlT_T0_SK_SP_E_clISD_SD_SF_SF_EEDaS13_S14_SK_SP_EUlS13_E_NS1_11comp_targetILNS1_3genE6ELNS1_11target_archE950ELNS1_3gpuE13ELNS1_3repE0EEENS1_47radix_sort_onesweep_sort_config_static_selectorELNS0_4arch9wavefront6targetE1EEEvSK_
	.p2align	8
	.type	_ZN7rocprim17ROCPRIM_400000_NS6detail17trampoline_kernelINS0_14default_configENS1_35radix_sort_onesweep_config_selectorIbiEEZZNS1_29radix_sort_onesweep_iterationIS3_Lb0EN6thrust23THRUST_200600_302600_NS6detail15normal_iteratorINS8_10device_ptrIbEEEESD_NSA_INSB_IiEEEESF_jNS0_19identity_decomposerENS1_16block_id_wrapperIjLb0EEEEE10hipError_tT1_PNSt15iterator_traitsISK_E10value_typeET2_T3_PNSL_ISQ_E10value_typeET4_T5_PSV_SW_PNS1_23onesweep_lookback_stateEbbT6_jjT7_P12ihipStream_tbENKUlT_T0_SK_SP_E_clISD_SD_SF_SF_EEDaS13_S14_SK_SP_EUlS13_E_NS1_11comp_targetILNS1_3genE6ELNS1_11target_archE950ELNS1_3gpuE13ELNS1_3repE0EEENS1_47radix_sort_onesweep_sort_config_static_selectorELNS0_4arch9wavefront6targetE1EEEvSK_,@function
_ZN7rocprim17ROCPRIM_400000_NS6detail17trampoline_kernelINS0_14default_configENS1_35radix_sort_onesweep_config_selectorIbiEEZZNS1_29radix_sort_onesweep_iterationIS3_Lb0EN6thrust23THRUST_200600_302600_NS6detail15normal_iteratorINS8_10device_ptrIbEEEESD_NSA_INSB_IiEEEESF_jNS0_19identity_decomposerENS1_16block_id_wrapperIjLb0EEEEE10hipError_tT1_PNSt15iterator_traitsISK_E10value_typeET2_T3_PNSL_ISQ_E10value_typeET4_T5_PSV_SW_PNS1_23onesweep_lookback_stateEbbT6_jjT7_P12ihipStream_tbENKUlT_T0_SK_SP_E_clISD_SD_SF_SF_EEDaS13_S14_SK_SP_EUlS13_E_NS1_11comp_targetILNS1_3genE6ELNS1_11target_archE950ELNS1_3gpuE13ELNS1_3repE0EEENS1_47radix_sort_onesweep_sort_config_static_selectorELNS0_4arch9wavefront6targetE1EEEvSK_: ; @_ZN7rocprim17ROCPRIM_400000_NS6detail17trampoline_kernelINS0_14default_configENS1_35radix_sort_onesweep_config_selectorIbiEEZZNS1_29radix_sort_onesweep_iterationIS3_Lb0EN6thrust23THRUST_200600_302600_NS6detail15normal_iteratorINS8_10device_ptrIbEEEESD_NSA_INSB_IiEEEESF_jNS0_19identity_decomposerENS1_16block_id_wrapperIjLb0EEEEE10hipError_tT1_PNSt15iterator_traitsISK_E10value_typeET2_T3_PNSL_ISQ_E10value_typeET4_T5_PSV_SW_PNS1_23onesweep_lookback_stateEbbT6_jjT7_P12ihipStream_tbENKUlT_T0_SK_SP_E_clISD_SD_SF_SF_EEDaS13_S14_SK_SP_EUlS13_E_NS1_11comp_targetILNS1_3genE6ELNS1_11target_archE950ELNS1_3gpuE13ELNS1_3repE0EEENS1_47radix_sort_onesweep_sort_config_static_selectorELNS0_4arch9wavefront6targetE1EEEvSK_
; %bb.0:
	s_load_dwordx8 s[48:55], s[0:1], 0x0
	s_load_dwordx4 s[60:63], s[0:1], 0x44
	s_load_dwordx4 s[56:59], s[0:1], 0x28
	s_load_dwordx2 s[46:47], s[0:1], 0x38
	s_mov_b64 s[4:5], -1
	v_mbcnt_lo_u32_b32 v1, -1, 0
	s_waitcnt lgkmcnt(0)
	s_cmp_ge_u32 s2, s62
	s_cbranch_scc0 .LBB2069_194
; %bb.1:
	s_load_dword s3, s[0:1], 0x20
	s_lshl_b32 s4, s62, 14
	v_and_b32_e32 v2, 0x3ff, v0
	s_lshl_b32 s62, s2, 14
	v_mbcnt_hi_u32_b32 v32, -1, v1
	s_waitcnt lgkmcnt(0)
	s_sub_i32 s3, s3, s4
	s_add_u32 s4, s48, s62
	v_lshlrev_b32_e32 v3, 4, v2
	s_addc_u32 s5, s49, 0
	v_and_b32_e32 v6, 63, v32
	v_and_b32_e32 v4, 0x3c00, v3
	v_mov_b32_e32 v7, 0
	v_lshl_add_u64 v[8:9], s[4:5], 0, v[6:7]
	v_mov_b32_e32 v5, v7
	v_or_b32_e32 v10, v6, v4
	s_mov_b32 s63, 0
	v_lshl_add_u64 v[8:9], v[8:9], 0, v[4:5]
	v_cmp_gt_u32_e32 vcc, s3, v10
	v_mov_b32_e32 v7, 1
	v_mov_b32_e32 v5, 1
	v_mov_b32_e32 v12, 1
	s_and_saveexec_b64 s[4:5], vcc
	s_cbranch_execz .LBB2069_3
; %bb.2:
	global_load_ubyte v12, v[8:9], off
	s_waitcnt vmcnt(0)
	v_and_b32_e32 v7, 1, v12
.LBB2069_3:
	s_or_b64 exec, exec, s[4:5]
	v_or_b32_e32 v3, 64, v10
	v_cmp_gt_u32_e64 s[42:43], s3, v3
	v_mov_b32_e32 v3, 1
	s_and_saveexec_b64 s[4:5], s[42:43]
	s_cbranch_execz .LBB2069_5
; %bb.4:
	global_load_ubyte v5, v[8:9], off offset:64
	s_waitcnt vmcnt(0)
	v_and_b32_e32 v3, 1, v5
.LBB2069_5:
	s_or_b64 exec, exec, s[4:5]
	v_or_b32_e32 v11, 0x80, v10
	v_cmp_gt_u32_e64 s[4:5], s3, v11
	v_mov_b32_e32 v14, 1
	v_mov_b32_e32 v13, 1
	v_mov_b32_e32 v27, 1
	s_and_saveexec_b64 s[6:7], s[4:5]
	s_cbranch_execz .LBB2069_7
; %bb.6:
	global_load_ubyte v27, v[8:9], off offset:128
	s_waitcnt vmcnt(0)
	v_and_b32_e32 v14, 1, v27
.LBB2069_7:
	s_or_b64 exec, exec, s[6:7]
	v_or_b32_e32 v11, 0xc0, v10
	v_cmp_gt_u32_e64 s[6:7], s3, v11
	v_mov_b32_e32 v16, 1
	s_and_saveexec_b64 s[8:9], s[6:7]
	s_cbranch_execz .LBB2069_9
; %bb.8:
	global_load_ubyte v13, v[8:9], off offset:192
	s_waitcnt vmcnt(0)
	v_and_b32_e32 v16, 1, v13
.LBB2069_9:
	s_or_b64 exec, exec, s[8:9]
	v_or_b32_e32 v11, 0x100, v10
	v_cmp_gt_u32_e64 s[8:9], s3, v11
	v_mov_b32_e32 v18, 1
	v_mov_b32_e32 v30, 1
	v_mov_b32_e32 v31, 1
	s_and_saveexec_b64 s[10:11], s[8:9]
	s_cbranch_execz .LBB2069_11
; %bb.10:
	global_load_ubyte v31, v[8:9], off offset:256
	s_waitcnt vmcnt(0)
	v_and_b32_e32 v18, 1, v31
.LBB2069_11:
	;; [unrolled: 24-line block ×7, first 2 shown]
	s_or_b64 exec, exec, s[30:31]
	v_or_b32_e32 v10, 0x3c0, v10
	v_cmp_gt_u32_e64 s[30:31], s3, v10
	v_mov_b32_e32 v29, 1
	s_and_saveexec_b64 s[34:35], s[30:31]
	s_cbranch_execz .LBB2069_33
; %bb.32:
	global_load_ubyte v52, v[8:9], off offset:960
	s_waitcnt vmcnt(0)
	v_and_b32_e32 v29, 1, v52
.LBB2069_33:
	s_or_b64 exec, exec, s[34:35]
	s_load_dword s34, s[0:1], 0x64
	s_load_dword s33, s[0:1], 0x58
	s_add_u32 s35, s0, 0x58
	s_addc_u32 s36, s1, 0
	v_mov_b32_e32 v9, 0
	s_waitcnt lgkmcnt(0)
	s_lshr_b32 s37, s34, 16
	s_cmp_lt_u32 s2, s33
	s_cselect_b32 s34, 12, 18
	s_add_u32 s34, s35, s34
	s_addc_u32 s35, s36, 0
	global_load_ushort v15, v9, s[34:35]
	v_bfe_u32 v8, v0, 10, 10
	v_bfe_u32 v10, v0, 20, 10
	v_lshrrev_b32_e32 v7, s60, v7
	s_lshl_b32 s34, -1, s61
	v_mad_u32_u24 v17, v10, s37, v8
	v_bitop3_b32 v8, v7, s34, v7 bitop3:0x30
	s_not_b32 s66, s34
	v_cmp_ne_u32_e64 s[34:35], 0, v8
	v_lshl_add_u64 v[10:11], v[8:9], 0, -1
	v_mul_u32_u24_e32 v7, 0x44, v8
	v_xor_b32_e32 v10, s34, v10
	v_xor_b32_e32 v8, s35, v11
	v_and_b32_e32 v10, exec_lo, v10
	v_and_b32_e32 v11, exec_hi, v8
	v_mbcnt_lo_u32_b32 v8, v10, 0
	v_mbcnt_hi_u32_b32 v46, v11, v8
	v_cmp_ne_u64_e64 s[34:35], 0, v[10:11]
	v_cmp_eq_u32_e64 s[36:37], 0, v46
	v_mul_u32_u24_e32 v42, 20, v2
	s_movk_i32 s38, 0x44
	s_and_b64 s[36:37], s[34:35], s[36:37]
	ds_write2_b32 v42, v9, v9 offset0:16 offset1:17
	ds_write2_b32 v42, v9, v9 offset0:18 offset1:19
	ds_write_b32 v42, v9 offset:80
	s_waitcnt lgkmcnt(0)
	s_barrier
	s_waitcnt vmcnt(0)
	; wave barrier
	v_mad_u64_u32 v[56:57], s[40:41], v17, v15, v[2:3]
	v_lshrrev_b32_e32 v8, 4, v56
	v_and_b32_e32 v63, 0xffffffc, v8
	v_add_u32_e32 v59, v63, v7
	s_and_saveexec_b64 s[34:35], s[36:37]
; %bb.34:
	v_bcnt_u32_b32 v7, v10, 0
	v_bcnt_u32_b32 v7, v11, v7
	ds_write_b32 v59, v7 offset:64
; %bb.35:
	s_or_b64 exec, exec, s[34:35]
	v_lshrrev_b32_e32 v3, s60, v3
	v_and_b32_e32 v8, s66, v3
	v_mul_u32_u24_e32 v10, 0x44, v8
	v_mad_u32_u24 v3, v8, s38, v63
	v_cmp_ne_u32_e64 s[34:35], 0, v8
	v_lshl_add_u64 v[8:9], v[8:9], 0, -1
	s_nop 0
	v_xor_b32_e32 v8, s34, v8
	; wave barrier
	ds_read_b32 v3, v3 offset:64
	v_xor_b32_e32 v7, s35, v9
	v_and_b32_e32 v8, exec_lo, v8
	v_and_b32_e32 v9, exec_hi, v7
	v_mbcnt_lo_u32_b32 v7, v8, 0
	v_mbcnt_hi_u32_b32 v7, v9, v7
	v_cmp_eq_u32_e64 s[34:35], 0, v7
	v_cmp_ne_u64_e64 s[36:37], 0, v[8:9]
	s_and_b64 s[36:37], s[36:37], s[34:35]
	v_add_u32_e32 v60, v63, v10
	; wave barrier
	s_and_saveexec_b64 s[34:35], s[36:37]
	s_cbranch_execz .LBB2069_37
; %bb.36:
	v_bcnt_u32_b32 v8, v8, 0
	v_bcnt_u32_b32 v8, v9, v8
	s_waitcnt lgkmcnt(0)
	v_add_u32_e32 v8, v3, v8
	ds_write_b32 v60, v8 offset:64
.LBB2069_37:
	s_or_b64 exec, exec, s[34:35]
	v_lshrrev_b32_e32 v8, s60, v14
	v_and_b32_e32 v8, s66, v8
	v_mad_u32_u24 v9, v8, s38, v63
	; wave barrier
	ds_read_b32 v14, v9 offset:64
	v_mov_b32_e32 v9, 0
	v_cmp_ne_u32_e64 s[34:35], 0, v8
	v_lshl_add_u64 v[10:11], v[8:9], 0, -1
	v_mul_u32_u24_e32 v17, 0x44, v8
	v_xor_b32_e32 v10, s34, v10
	v_xor_b32_e32 v8, s35, v11
	v_and_b32_e32 v10, exec_lo, v10
	v_and_b32_e32 v11, exec_hi, v8
	v_mbcnt_lo_u32_b32 v8, v10, 0
	v_mbcnt_hi_u32_b32 v15, v11, v8
	v_cmp_eq_u32_e64 s[34:35], 0, v15
	v_cmp_ne_u64_e64 s[36:37], 0, v[10:11]
	s_and_b64 s[36:37], s[36:37], s[34:35]
	v_add_u32_e32 v61, v63, v17
	; wave barrier
	s_and_saveexec_b64 s[34:35], s[36:37]
	s_cbranch_execz .LBB2069_39
; %bb.38:
	v_bcnt_u32_b32 v8, v10, 0
	v_bcnt_u32_b32 v8, v11, v8
	s_waitcnt lgkmcnt(0)
	v_add_u32_e32 v8, v14, v8
	ds_write_b32 v61, v8 offset:64
.LBB2069_39:
	s_or_b64 exec, exec, s[34:35]
	v_lshrrev_b32_e32 v8, s60, v16
	v_and_b32_e32 v8, s66, v8
	v_mul_u32_u24_e32 v10, 0x44, v8
	v_mad_u32_u24 v11, v8, s38, v63
	v_cmp_ne_u32_e64 s[34:35], 0, v8
	v_lshl_add_u64 v[8:9], v[8:9], 0, -1
	s_nop 0
	v_xor_b32_e32 v8, s34, v8
	; wave barrier
	ds_read_b32 v16, v11 offset:64
	v_xor_b32_e32 v9, s35, v9
	v_and_b32_e32 v8, exec_lo, v8
	v_and_b32_e32 v9, exec_hi, v9
	v_mbcnt_lo_u32_b32 v11, v8, 0
	v_mbcnt_hi_u32_b32 v17, v9, v11
	v_cmp_eq_u32_e64 s[34:35], 0, v17
	v_cmp_ne_u64_e64 s[36:37], 0, v[8:9]
	s_and_b64 s[36:37], s[36:37], s[34:35]
	v_add_u32_e32 v62, v63, v10
	; wave barrier
	s_and_saveexec_b64 s[34:35], s[36:37]
	s_cbranch_execz .LBB2069_41
; %bb.40:
	v_bcnt_u32_b32 v8, v8, 0
	v_bcnt_u32_b32 v8, v9, v8
	s_waitcnt lgkmcnt(0)
	v_add_u32_e32 v8, v16, v8
	ds_write_b32 v62, v8 offset:64
.LBB2069_41:
	s_or_b64 exec, exec, s[34:35]
	v_lshrrev_b32_e32 v8, s60, v18
	v_and_b32_e32 v8, s66, v8
	v_mad_u32_u24 v9, v8, s38, v63
	; wave barrier
	ds_read_b32 v18, v9 offset:64
	v_mov_b32_e32 v9, 0
	v_cmp_ne_u32_e64 s[34:35], 0, v8
	v_lshl_add_u64 v[10:11], v[8:9], 0, -1
	v_mul_u32_u24_e32 v21, 0x44, v8
	v_xor_b32_e32 v10, s34, v10
	v_xor_b32_e32 v8, s35, v11
	v_and_b32_e32 v10, exec_lo, v10
	v_and_b32_e32 v11, exec_hi, v8
	v_mbcnt_lo_u32_b32 v8, v10, 0
	v_mbcnt_hi_u32_b32 v19, v11, v8
	v_cmp_eq_u32_e64 s[34:35], 0, v19
	v_cmp_ne_u64_e64 s[36:37], 0, v[10:11]
	s_and_b64 s[36:37], s[36:37], s[34:35]
	v_add_u32_e32 v64, v63, v21
	; wave barrier
	s_and_saveexec_b64 s[34:35], s[36:37]
	s_cbranch_execz .LBB2069_43
; %bb.42:
	v_bcnt_u32_b32 v8, v10, 0
	v_bcnt_u32_b32 v8, v11, v8
	s_waitcnt lgkmcnt(0)
	v_add_u32_e32 v8, v18, v8
	ds_write_b32 v64, v8 offset:64
.LBB2069_43:
	;; [unrolled: 60-line block ×7, first 2 shown]
	s_or_b64 exec, exec, s[34:35]
	v_lshrrev_b32_e32 v8, s60, v29
	v_and_b32_e32 v8, s66, v8
	v_mul_u32_u24_e32 v10, 0x44, v8
	v_mad_u32_u24 v11, v8, s38, v63
	v_cmp_ne_u32_e64 s[34:35], 0, v8
	v_lshl_add_u64 v[8:9], v[8:9], 0, -1
	s_nop 0
	v_xor_b32_e32 v8, s34, v8
	; wave barrier
	ds_read_b32 v57, v11 offset:64
	v_xor_b32_e32 v9, s35, v9
	v_and_b32_e32 v8, exec_lo, v8
	v_and_b32_e32 v9, exec_hi, v9
	v_mbcnt_lo_u32_b32 v11, v8, 0
	v_mbcnt_hi_u32_b32 v58, v9, v11
	v_cmp_eq_u32_e64 s[34:35], 0, v58
	v_cmp_ne_u64_e64 s[36:37], 0, v[8:9]
	s_and_b64 s[36:37], s[36:37], s[34:35]
	v_add_u32_e32 v75, v63, v10
	; wave barrier
	s_and_saveexec_b64 s[34:35], s[36:37]
	s_cbranch_execz .LBB2069_65
; %bb.64:
	v_bcnt_u32_b32 v8, v8, 0
	v_bcnt_u32_b32 v8, v9, v8
	s_waitcnt lgkmcnt(0)
	v_add_u32_e32 v8, v57, v8
	ds_write_b32 v75, v8 offset:64
.LBB2069_65:
	s_or_b64 exec, exec, s[34:35]
	; wave barrier
	s_waitcnt lgkmcnt(0)
	s_barrier
	ds_read2_b32 v[10:11], v42 offset0:16 offset1:17
	ds_read2_b32 v[8:9], v42 offset0:18 offset1:19
	ds_read_b32 v29, v42 offset:80
	v_cmp_lt_u32_e64 s[44:45], 31, v32
	s_waitcnt lgkmcnt(1)
	v_add3_u32 v63, v11, v10, v8
	s_waitcnt lgkmcnt(0)
	v_add3_u32 v29, v63, v9, v29
	v_and_b32_e32 v63, 15, v32
	v_cmp_eq_u32_e64 s[34:35], 0, v63
	v_mov_b32_dpp v76, v29 row_shr:1 row_mask:0xf bank_mask:0xf
	v_cmp_lt_u32_e64 s[36:37], 1, v63
	v_cndmask_b32_e64 v76, v76, 0, s[34:35]
	v_add_u32_e32 v29, v76, v29
	v_cmp_lt_u32_e64 s[38:39], 3, v63
	v_cmp_lt_u32_e64 s[40:41], 7, v63
	v_mov_b32_dpp v76, v29 row_shr:2 row_mask:0xf bank_mask:0xf
	v_cndmask_b32_e64 v76, 0, v76, s[36:37]
	v_add_u32_e32 v29, v29, v76
	s_nop 1
	v_mov_b32_dpp v76, v29 row_shr:4 row_mask:0xf bank_mask:0xf
	v_cndmask_b32_e64 v76, 0, v76, s[38:39]
	v_add_u32_e32 v29, v29, v76
	s_nop 1
	v_mov_b32_dpp v76, v29 row_shr:8 row_mask:0xf bank_mask:0xf
	v_cndmask_b32_e64 v63, 0, v76, s[40:41]
	v_add_u32_e32 v29, v29, v63
	v_bfe_i32 v76, v32, 4, 1
	s_nop 0
	v_mov_b32_dpp v63, v29 row_bcast:15 row_mask:0xf bank_mask:0xf
	v_and_b32_e32 v63, v76, v63
	v_add_u32_e32 v29, v29, v63
	v_lshrrev_b32_e32 v76, 6, v2
	s_nop 0
	v_mov_b32_dpp v63, v29 row_bcast:31 row_mask:0xf bank_mask:0xf
	v_cndmask_b32_e64 v63, 0, v63, s[44:45]
	v_add_u32_e32 v63, v29, v63
	v_and_b32_e32 v29, 63, v2
	v_cmp_eq_u32_e64 s[44:45], 63, v29
	s_and_saveexec_b64 s[64:65], s[44:45]
; %bb.66:
	v_lshlrev_b32_e32 v29, 2, v76
	ds_write_b32 v29, v63
; %bb.67:
	s_or_b64 exec, exec, s[64:65]
	v_cmp_gt_u32_e64 s[44:45], 16, v2
	v_lshlrev_b32_e32 v29, 2, v2
	s_waitcnt lgkmcnt(0)
	s_barrier
	s_and_saveexec_b64 s[64:65], s[44:45]
	s_cbranch_execz .LBB2069_69
; %bb.68:
	ds_read_b32 v77, v29
	s_waitcnt lgkmcnt(0)
	s_nop 0
	v_mov_b32_dpp v78, v77 row_shr:1 row_mask:0xf bank_mask:0xf
	v_cndmask_b32_e64 v78, v78, 0, s[34:35]
	v_add_u32_e32 v77, v78, v77
	s_nop 1
	v_mov_b32_dpp v78, v77 row_shr:2 row_mask:0xf bank_mask:0xf
	v_cndmask_b32_e64 v78, 0, v78, s[36:37]
	v_add_u32_e32 v77, v77, v78
	s_nop 1
	v_mov_b32_dpp v78, v77 row_shr:4 row_mask:0xf bank_mask:0xf
	v_cndmask_b32_e64 v78, 0, v78, s[38:39]
	v_add_u32_e32 v77, v77, v78
	s_nop 1
	v_mov_b32_dpp v78, v77 row_shr:8 row_mask:0xf bank_mask:0xf
	v_cndmask_b32_e64 v78, 0, v78, s[40:41]
	v_add_u32_e32 v77, v77, v78
	ds_write_b32 v29, v77
.LBB2069_69:
	s_or_b64 exec, exec, s[64:65]
	v_cmp_lt_u32_e64 s[34:35], 63, v2
	v_mov_b32_e32 v77, 0
	s_waitcnt lgkmcnt(0)
	s_barrier
	s_and_saveexec_b64 s[36:37], s[34:35]
; %bb.70:
	v_lshl_add_u32 v76, v76, 2, -4
	ds_read_b32 v77, v76
; %bb.71:
	s_or_b64 exec, exec, s[36:37]
	v_subrev_co_u32_e64 v76, s[34:35], 1, v32
	v_and_b32_e32 v78, 64, v32
	v_cmp_lt_i32_e64 s[36:37], v76, v78
	s_waitcnt lgkmcnt(0)
	v_add_u32_e32 v63, v77, v63
	s_movk_i32 s38, 0x100
	v_cndmask_b32_e64 v32, v76, v32, s[36:37]
	v_lshlrev_b32_e32 v32, 2, v32
	ds_bpermute_b32 v32, v32, v63
	v_cmp_gt_u32_e64 s[36:37], s38, v2
	s_waitcnt lgkmcnt(0)
	v_cndmask_b32_e64 v32, v32, v77, s[34:35]
	v_cmp_ne_u32_e64 s[34:35], 0, v2
	s_nop 1
	v_cndmask_b32_e64 v32, 0, v32, s[34:35]
	v_add_u32_e32 v10, v32, v10
	v_add_u32_e32 v11, v10, v11
	;; [unrolled: 1-line block ×4, first 2 shown]
	ds_write2_b32 v42, v32, v10 offset0:16 offset1:17
	ds_write2_b32 v42, v11, v8 offset0:18 offset1:19
	ds_write_b32 v42, v9 offset:80
	s_waitcnt lgkmcnt(0)
	s_barrier
	ds_read_b32 v8, v59 offset:64
	ds_read_b32 v59, v60 offset:64
	;; [unrolled: 1-line block ×16, first 2 shown]
	s_movk_i32 s34, 0xff
	v_cmp_lt_u32_e64 s[34:35], s34, v2
                                        ; implicit-def: $vgpr32
                                        ; implicit-def: $vgpr42
	s_and_saveexec_b64 s[40:41], s[36:37]
	s_cbranch_execz .LBB2069_75
; %bb.72:
	v_mul_u32_u24_e32 v9, 0x44, v2
	ds_read_b32 v32, v9 offset:64
	v_add_u32_e32 v10, 1, v2
	v_cmp_ne_u32_e64 s[38:39], s38, v10
	v_mov_b32_e32 v9, 0x4000
	s_and_saveexec_b64 s[44:45], s[38:39]
; %bb.73:
	v_mul_u32_u24_e32 v9, 0x44, v10
	ds_read_b32 v9, v9 offset:64
; %bb.74:
	s_or_b64 exec, exec, s[44:45]
	s_waitcnt lgkmcnt(0)
	v_sub_u32_e32 v42, v9, v32
.LBB2069_75:
	s_or_b64 exec, exec, s[40:41]
	s_waitcnt lgkmcnt(14)
	v_add_u32_e32 v46, v8, v46
	v_add3_u32 v74, v7, v3, v59
	s_waitcnt lgkmcnt(13)
	v_add3_u32 v75, v15, v14, v60
	s_waitcnt lgkmcnt(12)
	;; [unrolled: 2-line block ×14, first 2 shown]
	v_add3_u32 v88, v58, v57, v73
	v_mov_b32_e32 v9, 0
	s_barrier
	ds_write_b8 v46, v12 offset:1024
	ds_write_b8 v74, v5 offset:1024
	;; [unrolled: 1-line block ×16, first 2 shown]
	s_and_saveexec_b64 s[38:39], s[36:37]
	s_cbranch_execz .LBB2069_85
; %bb.76:
	v_lshl_add_u32 v8, s2, 8, v2
	v_lshl_add_u64 v[10:11], v[8:9], 2, s[46:47]
	v_or_b32_e32 v5, 2.0, v42
	global_store_dword v[10:11], v5, off sc1
	s_mov_b64 s[40:41], 0
	s_brev_b32 s67, -4
	s_mov_b32 s68, s2
	v_mov_b32_e32 v5, 0
                                        ; implicit-def: $sgpr36_sgpr37
	s_branch .LBB2069_79
.LBB2069_77:                            ;   in Loop: Header=BB2069_79 Depth=1
	s_or_b64 exec, exec, s[64:65]
.LBB2069_78:                            ;   in Loop: Header=BB2069_79 Depth=1
	s_or_b64 exec, exec, s[44:45]
	v_and_b32_e32 v12, 0x3fffffff, v8
	v_add_u32_e32 v5, v12, v5
	v_cmp_gt_i32_e64 s[36:37], -2.0, v8
	s_and_b64 s[44:45], exec, s[36:37]
	s_or_b64 s[40:41], s[44:45], s[40:41]
	s_andn2_b64 exec, exec, s[40:41]
	s_cbranch_execz .LBB2069_84
.LBB2069_79:                            ; =>This Loop Header: Depth=1
                                        ;     Child Loop BB2069_82 Depth 2
	s_or_b64 s[36:37], s[36:37], exec
	s_cmp_eq_u32 s68, 0
	s_cbranch_scc1 .LBB2069_83
; %bb.80:                               ;   in Loop: Header=BB2069_79 Depth=1
	s_add_i32 s68, s68, -1
	v_lshl_or_b32 v8, s68, 8, v2
	v_lshl_add_u64 v[12:13], v[8:9], 2, s[46:47]
	global_load_dword v8, v[12:13], off sc1
	s_waitcnt vmcnt(0)
	v_cmp_gt_u32_e64 s[36:37], 2.0, v8
	s_and_saveexec_b64 s[44:45], s[36:37]
	s_cbranch_execz .LBB2069_78
; %bb.81:                               ;   in Loop: Header=BB2069_79 Depth=1
	s_mov_b64 s[64:65], 0
.LBB2069_82:                            ;   Parent Loop BB2069_79 Depth=1
                                        ; =>  This Inner Loop Header: Depth=2
	global_load_dword v8, v[12:13], off sc1
	s_waitcnt vmcnt(0)
	v_cmp_lt_u32_e64 s[36:37], s67, v8
	s_or_b64 s[64:65], s[36:37], s[64:65]
	s_andn2_b64 exec, exec, s[64:65]
	s_cbranch_execnz .LBB2069_82
	s_branch .LBB2069_77
.LBB2069_83:                            ;   in Loop: Header=BB2069_79 Depth=1
                                        ; implicit-def: $sgpr68
	s_and_b64 s[44:45], exec, s[36:37]
	s_or_b64 s[40:41], s[44:45], s[40:41]
	s_andn2_b64 exec, exec, s[40:41]
	s_cbranch_execnz .LBB2069_79
.LBB2069_84:
	s_or_b64 exec, exec, s[40:41]
	v_add_u32_e32 v8, v5, v42
	v_or_b32_e32 v8, 0x80000000, v8
	global_store_dword v[10:11], v8, off sc1
	global_load_dword v8, v29, s[56:57]
	v_sub_u32_e32 v5, v5, v32
	s_waitcnt vmcnt(0)
	v_add_u32_e32 v5, v5, v8
	ds_write_b32 v29, v5
.LBB2069_85:
	s_or_b64 exec, exec, s[38:39]
	v_cmp_gt_u32_e64 s[36:37], s3, v2
	s_waitcnt lgkmcnt(0)
	s_barrier
	s_and_saveexec_b64 s[38:39], s[36:37]
	s_cbranch_execz .LBB2069_87
; %bb.86:
	ds_read_u8 v5, v2 offset:1024
	s_waitcnt lgkmcnt(0)
	v_and_b32_e32 v8, 1, v5
	v_lshrrev_b32_e32 v8, s60, v8
	v_and_b32_e32 v8, s66, v8
	v_lshlrev_b32_e32 v9, 2, v8
	ds_read_b32 v9, v9
	s_waitcnt lgkmcnt(0)
	v_add_u32_e32 v9, v9, v2
	global_store_byte v9, v5, s[50:51]
	scratch_store_dword off, v8, off
.LBB2069_87:
	s_or_b64 exec, exec, s[38:39]
	v_or_b32_e32 v5, 0x400, v2
	v_cmp_gt_u32_e64 s[36:37], s3, v5
	s_and_saveexec_b64 s[38:39], s[36:37]
	s_cbranch_execz .LBB2069_89
; %bb.88:
	ds_read_u8 v8, v2 offset:2048
	s_waitcnt lgkmcnt(0)
	v_and_b32_e32 v9, 1, v8
	v_lshrrev_b32_e32 v9, s60, v9
	v_and_b32_e32 v9, s66, v9
	v_lshlrev_b32_e32 v10, 2, v9
	ds_read_b32 v10, v10
	s_waitcnt lgkmcnt(0)
	v_add_u32_e32 v5, v10, v5
	global_store_byte v5, v8, s[50:51]
	scratch_store_dword off, v9, off offset:4
.LBB2069_89:
	s_or_b64 exec, exec, s[38:39]
	v_or_b32_e32 v5, 0x800, v2
	v_cmp_gt_u32_e64 s[36:37], s3, v5
	s_and_saveexec_b64 s[38:39], s[36:37]
	s_cbranch_execz .LBB2069_91
; %bb.90:
	ds_read_u8 v8, v2 offset:3072
	s_waitcnt lgkmcnt(0)
	v_and_b32_e32 v9, 1, v8
	v_lshrrev_b32_e32 v9, s60, v9
	v_and_b32_e32 v9, s66, v9
	v_lshlrev_b32_e32 v10, 2, v9
	ds_read_b32 v10, v10
	s_waitcnt lgkmcnt(0)
	v_add_u32_e32 v5, v10, v5
	global_store_byte v5, v8, s[50:51]
	scratch_store_dword off, v9, off offset:8
.LBB2069_91:
	;; [unrolled: 18-line block ×15, first 2 shown]
	s_or_b64 exec, exec, s[38:39]
	s_lshl_b64 s[36:37], s[62:63], 2
	s_add_u32 s36, s52, s36
	s_addc_u32 s37, s53, s37
	v_lshlrev_b32_e32 v8, 2, v6
	v_mov_b32_e32 v9, 0
	v_lshl_add_u64 v[10:11], s[36:37], 0, v[8:9]
	v_lshlrev_b32_e32 v8, 2, v4
	v_lshl_add_u64 v[4:5], v[10:11], 0, v[8:9]
                                        ; implicit-def: $vgpr6
	s_and_saveexec_b64 s[36:37], vcc
	s_xor_b64 s[36:37], exec, s[36:37]
	s_cbranch_execz .LBB2069_133
; %bb.118:
	global_load_dword v6, v[4:5], off
	s_or_b64 exec, exec, s[36:37]
                                        ; implicit-def: $vgpr8
	s_and_saveexec_b64 s[36:37], s[42:43]
	s_cbranch_execnz .LBB2069_134
.LBB2069_119:
	s_or_b64 exec, exec, s[36:37]
                                        ; implicit-def: $vgpr9
	s_and_saveexec_b64 s[36:37], s[4:5]
	s_cbranch_execz .LBB2069_135
.LBB2069_120:
	global_load_dword v9, v[4:5], off offset:512
	s_or_b64 exec, exec, s[36:37]
                                        ; implicit-def: $vgpr10
	s_and_saveexec_b64 s[4:5], s[6:7]
	s_cbranch_execnz .LBB2069_136
.LBB2069_121:
	s_or_b64 exec, exec, s[4:5]
                                        ; implicit-def: $vgpr11
	s_and_saveexec_b64 s[4:5], s[8:9]
	s_cbranch_execz .LBB2069_137
.LBB2069_122:
	global_load_dword v11, v[4:5], off offset:1024
	s_or_b64 exec, exec, s[4:5]
                                        ; implicit-def: $vgpr12
	s_and_saveexec_b64 s[4:5], s[10:11]
	s_cbranch_execnz .LBB2069_138
.LBB2069_123:
	s_or_b64 exec, exec, s[4:5]
                                        ; implicit-def: $vgpr13
	s_and_saveexec_b64 s[4:5], s[12:13]
	s_cbranch_execz .LBB2069_139
.LBB2069_124:
	global_load_dword v13, v[4:5], off offset:1536
	s_or_b64 exec, exec, s[4:5]
                                        ; implicit-def: $vgpr27
	s_and_saveexec_b64 s[4:5], s[14:15]
	s_cbranch_execnz .LBB2069_140
.LBB2069_125:
	s_or_b64 exec, exec, s[4:5]
                                        ; implicit-def: $vgpr30
	s_and_saveexec_b64 s[4:5], s[16:17]
	s_cbranch_execz .LBB2069_141
.LBB2069_126:
	global_load_dword v30, v[4:5], off offset:2048
	s_or_b64 exec, exec, s[4:5]
                                        ; implicit-def: $vgpr31
	s_and_saveexec_b64 s[4:5], s[18:19]
	s_cbranch_execnz .LBB2069_142
.LBB2069_127:
	s_or_b64 exec, exec, s[4:5]
                                        ; implicit-def: $vgpr35
	s_and_saveexec_b64 s[4:5], s[20:21]
	s_cbranch_execz .LBB2069_143
.LBB2069_128:
	global_load_dword v35, v[4:5], off offset:2560
	s_or_b64 exec, exec, s[4:5]
                                        ; implicit-def: $vgpr36
	s_and_saveexec_b64 s[4:5], s[22:23]
	s_cbranch_execnz .LBB2069_144
.LBB2069_129:
	s_or_b64 exec, exec, s[4:5]
                                        ; implicit-def: $vgpr39
	s_and_saveexec_b64 s[4:5], s[24:25]
	s_cbranch_execz .LBB2069_145
.LBB2069_130:
	global_load_dword v39, v[4:5], off offset:3072
	s_or_b64 exec, exec, s[4:5]
                                        ; implicit-def: $vgpr40
	s_and_saveexec_b64 s[4:5], s[26:27]
	s_cbranch_execnz .LBB2069_146
.LBB2069_131:
	s_or_b64 exec, exec, s[4:5]
                                        ; implicit-def: $vgpr43
	s_and_saveexec_b64 s[4:5], s[28:29]
	s_cbranch_execz .LBB2069_147
.LBB2069_132:
	global_load_dword v43, v[4:5], off offset:3584
	s_or_b64 exec, exec, s[4:5]
                                        ; implicit-def: $vgpr45
	s_and_saveexec_b64 s[4:5], s[30:31]
	s_cbranch_execnz .LBB2069_148
	s_branch .LBB2069_149
.LBB2069_133:
	s_or_b64 exec, exec, s[36:37]
                                        ; implicit-def: $vgpr8
	s_and_saveexec_b64 s[36:37], s[42:43]
	s_cbranch_execz .LBB2069_119
.LBB2069_134:
	global_load_dword v8, v[4:5], off offset:256
	s_or_b64 exec, exec, s[36:37]
                                        ; implicit-def: $vgpr9
	s_and_saveexec_b64 s[36:37], s[4:5]
	s_cbranch_execnz .LBB2069_120
.LBB2069_135:
	s_or_b64 exec, exec, s[36:37]
                                        ; implicit-def: $vgpr10
	s_and_saveexec_b64 s[4:5], s[6:7]
	s_cbranch_execz .LBB2069_121
.LBB2069_136:
	global_load_dword v10, v[4:5], off offset:768
	s_or_b64 exec, exec, s[4:5]
                                        ; implicit-def: $vgpr11
	s_and_saveexec_b64 s[4:5], s[8:9]
	s_cbranch_execnz .LBB2069_122
.LBB2069_137:
	s_or_b64 exec, exec, s[4:5]
                                        ; implicit-def: $vgpr12
	s_and_saveexec_b64 s[4:5], s[10:11]
	s_cbranch_execz .LBB2069_123
.LBB2069_138:
	global_load_dword v12, v[4:5], off offset:1280
	s_or_b64 exec, exec, s[4:5]
                                        ; implicit-def: $vgpr13
	s_and_saveexec_b64 s[4:5], s[12:13]
	s_cbranch_execnz .LBB2069_124
.LBB2069_139:
	s_or_b64 exec, exec, s[4:5]
                                        ; implicit-def: $vgpr27
	s_and_saveexec_b64 s[4:5], s[14:15]
	s_cbranch_execz .LBB2069_125
.LBB2069_140:
	global_load_dword v27, v[4:5], off offset:1792
	s_or_b64 exec, exec, s[4:5]
                                        ; implicit-def: $vgpr30
	s_and_saveexec_b64 s[4:5], s[16:17]
	s_cbranch_execnz .LBB2069_126
.LBB2069_141:
	s_or_b64 exec, exec, s[4:5]
                                        ; implicit-def: $vgpr31
	s_and_saveexec_b64 s[4:5], s[18:19]
	s_cbranch_execz .LBB2069_127
.LBB2069_142:
	global_load_dword v31, v[4:5], off offset:2304
	s_or_b64 exec, exec, s[4:5]
                                        ; implicit-def: $vgpr35
	s_and_saveexec_b64 s[4:5], s[20:21]
	s_cbranch_execnz .LBB2069_128
.LBB2069_143:
	s_or_b64 exec, exec, s[4:5]
                                        ; implicit-def: $vgpr36
	s_and_saveexec_b64 s[4:5], s[22:23]
	s_cbranch_execz .LBB2069_129
.LBB2069_144:
	global_load_dword v36, v[4:5], off offset:2816
	s_or_b64 exec, exec, s[4:5]
                                        ; implicit-def: $vgpr39
	s_and_saveexec_b64 s[4:5], s[24:25]
	s_cbranch_execnz .LBB2069_130
.LBB2069_145:
	s_or_b64 exec, exec, s[4:5]
                                        ; implicit-def: $vgpr40
	s_and_saveexec_b64 s[4:5], s[26:27]
	s_cbranch_execz .LBB2069_131
.LBB2069_146:
	global_load_dword v40, v[4:5], off offset:3328
	s_or_b64 exec, exec, s[4:5]
                                        ; implicit-def: $vgpr43
	s_and_saveexec_b64 s[4:5], s[28:29]
	s_cbranch_execnz .LBB2069_132
.LBB2069_147:
	s_or_b64 exec, exec, s[4:5]
                                        ; implicit-def: $vgpr45
	s_and_saveexec_b64 s[4:5], s[30:31]
	s_cbranch_execz .LBB2069_149
.LBB2069_148:
	global_load_dword v45, v[4:5], off offset:3840
.LBB2069_149:
	s_or_b64 exec, exec, s[4:5]
	v_mov_b32_e32 v4, 0x400
	s_movk_i32 s6, 0x400
	v_lshl_add_u32 v48, v88, 2, v4
	v_add3_u32 v49, v58, v73, v57
	v_lshl_add_u32 v52, v87, 2, v4
	v_add3_u32 v53, v56, v72, v55
	;; [unrolled: 2-line block ×15, first 2 shown]
	v_lshl_add_u32 v7, v46, 2, v4
	s_mov_b32 s7, 0
	s_mov_b32 s8, 0
	s_movk_i32 s9, 0x1000
	v_mov_b32_e32 v5, 0
	s_movk_i32 s10, 0x800
	s_movk_i32 s11, 0xc00
	s_mov_b32 s12, 0
	s_barrier
	s_branch .LBB2069_151
.LBB2069_150:                           ;   in Loop: Header=BB2069_151 Depth=1
	s_or_b64 exec, exec, s[4:5]
	s_addk_i32 s12, 0xc000
	s_addk_i32 s8, 0xf000
	s_add_i32 s7, s7, 16
	s_cmp_eq_u32 s12, 0xffff0000
	v_add_u32_e32 v2, 0x1000, v2
	s_barrier
	s_cbranch_scc1 .LBB2069_191
.LBB2069_151:                           ; =>This Inner Loop Header: Depth=1
	v_add_u32_e32 v4, s8, v46
	v_cmp_gt_u32_e32 vcc, s9, v4
	s_and_saveexec_b64 s[4:5], vcc
	s_cbranch_execz .LBB2069_153
; %bb.152:                              ;   in Loop: Header=BB2069_151 Depth=1
	v_add_u32_e32 v4, s12, v7
	s_waitcnt vmcnt(0)
	ds_write_b32 v4, v6
.LBB2069_153:                           ;   in Loop: Header=BB2069_151 Depth=1
	s_or_b64 exec, exec, s[4:5]
	v_add_u32_e32 v4, s8, v3
	v_cmp_gt_u32_e32 vcc, s9, v4
	s_and_saveexec_b64 s[4:5], vcc
	s_cbranch_execz .LBB2069_155
; %bb.154:                              ;   in Loop: Header=BB2069_151 Depth=1
	v_add_u32_e32 v4, s12, v15
	s_waitcnt vmcnt(0)
	ds_write_b32 v4, v8
.LBB2069_155:                           ;   in Loop: Header=BB2069_151 Depth=1
	s_or_b64 exec, exec, s[4:5]
	v_add_u32_e32 v4, s8, v14
	v_cmp_gt_u32_e32 vcc, s9, v4
	s_and_saveexec_b64 s[4:5], vcc
	s_cbranch_execz .LBB2069_157
; %bb.156:                              ;   in Loop: Header=BB2069_151 Depth=1
	v_add_u32_e32 v4, s12, v17
	s_waitcnt vmcnt(0)
	ds_write_b32 v4, v9
.LBB2069_157:                           ;   in Loop: Header=BB2069_151 Depth=1
	s_or_b64 exec, exec, s[4:5]
	v_add_u32_e32 v4, s8, v16
	v_cmp_gt_u32_e32 vcc, s9, v4
	s_and_saveexec_b64 s[4:5], vcc
	s_cbranch_execz .LBB2069_159
; %bb.158:                              ;   in Loop: Header=BB2069_151 Depth=1
	v_add_u32_e32 v4, s12, v19
	s_waitcnt vmcnt(0)
	ds_write_b32 v4, v10
.LBB2069_159:                           ;   in Loop: Header=BB2069_151 Depth=1
	s_or_b64 exec, exec, s[4:5]
	v_add_u32_e32 v4, s8, v18
	v_cmp_gt_u32_e32 vcc, s9, v4
	s_and_saveexec_b64 s[4:5], vcc
	s_cbranch_execz .LBB2069_161
; %bb.160:                              ;   in Loop: Header=BB2069_151 Depth=1
	v_add_u32_e32 v4, s12, v21
	s_waitcnt vmcnt(0)
	ds_write_b32 v4, v11
.LBB2069_161:                           ;   in Loop: Header=BB2069_151 Depth=1
	s_or_b64 exec, exec, s[4:5]
	v_add_u32_e32 v4, s8, v20
	v_cmp_gt_u32_e32 vcc, s9, v4
	s_and_saveexec_b64 s[4:5], vcc
	s_cbranch_execz .LBB2069_163
; %bb.162:                              ;   in Loop: Header=BB2069_151 Depth=1
	v_add_u32_e32 v4, s12, v23
	s_waitcnt vmcnt(0)
	ds_write_b32 v4, v12
.LBB2069_163:                           ;   in Loop: Header=BB2069_151 Depth=1
	s_or_b64 exec, exec, s[4:5]
	v_add_u32_e32 v4, s8, v22
	v_cmp_gt_u32_e32 vcc, s9, v4
	s_and_saveexec_b64 s[4:5], vcc
	s_cbranch_execz .LBB2069_165
; %bb.164:                              ;   in Loop: Header=BB2069_151 Depth=1
	v_add_u32_e32 v4, s12, v25
	s_waitcnt vmcnt(0)
	ds_write_b32 v4, v13
.LBB2069_165:                           ;   in Loop: Header=BB2069_151 Depth=1
	s_or_b64 exec, exec, s[4:5]
	v_add_u32_e32 v4, s8, v24
	v_cmp_gt_u32_e32 vcc, s9, v4
	s_and_saveexec_b64 s[4:5], vcc
	s_cbranch_execz .LBB2069_167
; %bb.166:                              ;   in Loop: Header=BB2069_151 Depth=1
	v_add_u32_e32 v4, s12, v28
	s_waitcnt vmcnt(0)
	ds_write_b32 v4, v27
.LBB2069_167:                           ;   in Loop: Header=BB2069_151 Depth=1
	s_or_b64 exec, exec, s[4:5]
	v_add_u32_e32 v4, s8, v26
	v_cmp_gt_u32_e32 vcc, s9, v4
	s_and_saveexec_b64 s[4:5], vcc
	s_cbranch_execz .LBB2069_169
; %bb.168:                              ;   in Loop: Header=BB2069_151 Depth=1
	v_add_u32_e32 v4, s12, v34
	s_waitcnt vmcnt(0)
	ds_write_b32 v4, v30
.LBB2069_169:                           ;   in Loop: Header=BB2069_151 Depth=1
	s_or_b64 exec, exec, s[4:5]
	v_add_u32_e32 v4, s8, v33
	v_cmp_gt_u32_e32 vcc, s9, v4
	s_and_saveexec_b64 s[4:5], vcc
	s_cbranch_execz .LBB2069_171
; %bb.170:                              ;   in Loop: Header=BB2069_151 Depth=1
	v_add_u32_e32 v4, s12, v38
	s_waitcnt vmcnt(0)
	ds_write_b32 v4, v31
.LBB2069_171:                           ;   in Loop: Header=BB2069_151 Depth=1
	s_or_b64 exec, exec, s[4:5]
	v_add_u32_e32 v4, s8, v37
	v_cmp_gt_u32_e32 vcc, s9, v4
	s_and_saveexec_b64 s[4:5], vcc
	s_cbranch_execz .LBB2069_173
; %bb.172:                              ;   in Loop: Header=BB2069_151 Depth=1
	v_add_u32_e32 v4, s12, v44
	s_waitcnt vmcnt(0)
	ds_write_b32 v4, v35
.LBB2069_173:                           ;   in Loop: Header=BB2069_151 Depth=1
	s_or_b64 exec, exec, s[4:5]
	v_add_u32_e32 v4, s8, v41
	v_cmp_gt_u32_e32 vcc, s9, v4
	s_and_saveexec_b64 s[4:5], vcc
	s_cbranch_execz .LBB2069_175
; %bb.174:                              ;   in Loop: Header=BB2069_151 Depth=1
	v_add_u32_e32 v4, s12, v50
	s_waitcnt vmcnt(0)
	ds_write_b32 v4, v36
.LBB2069_175:                           ;   in Loop: Header=BB2069_151 Depth=1
	s_or_b64 exec, exec, s[4:5]
	v_add_u32_e32 v4, s8, v47
	v_cmp_gt_u32_e32 vcc, s9, v4
	s_and_saveexec_b64 s[4:5], vcc
	s_cbranch_execz .LBB2069_177
; %bb.176:                              ;   in Loop: Header=BB2069_151 Depth=1
	v_add_u32_e32 v4, s12, v54
	s_waitcnt vmcnt(0)
	ds_write_b32 v4, v39
.LBB2069_177:                           ;   in Loop: Header=BB2069_151 Depth=1
	s_or_b64 exec, exec, s[4:5]
	v_add_u32_e32 v4, s8, v51
	v_cmp_gt_u32_e32 vcc, s9, v4
	s_and_saveexec_b64 s[4:5], vcc
	s_cbranch_execz .LBB2069_179
; %bb.178:                              ;   in Loop: Header=BB2069_151 Depth=1
	v_add_u32_e32 v4, s12, v55
	s_waitcnt vmcnt(0)
	ds_write_b32 v4, v40
.LBB2069_179:                           ;   in Loop: Header=BB2069_151 Depth=1
	s_or_b64 exec, exec, s[4:5]
	v_add_u32_e32 v4, s8, v53
	v_cmp_gt_u32_e32 vcc, s9, v4
	s_and_saveexec_b64 s[4:5], vcc
	s_cbranch_execz .LBB2069_181
; %bb.180:                              ;   in Loop: Header=BB2069_151 Depth=1
	v_add_u32_e32 v4, s12, v52
	s_waitcnt vmcnt(0)
	ds_write_b32 v4, v43
.LBB2069_181:                           ;   in Loop: Header=BB2069_151 Depth=1
	s_or_b64 exec, exec, s[4:5]
	v_add_u32_e32 v4, s8, v49
	v_cmp_gt_u32_e32 vcc, s9, v4
	s_and_saveexec_b64 s[4:5], vcc
	s_cbranch_execz .LBB2069_183
; %bb.182:                              ;   in Loop: Header=BB2069_151 Depth=1
	v_add_u32_e32 v4, s12, v48
	s_waitcnt vmcnt(0)
	ds_write_b32 v4, v45
.LBB2069_183:                           ;   in Loop: Header=BB2069_151 Depth=1
	s_or_b64 exec, exec, s[4:5]
	v_cmp_gt_u32_e32 vcc, s3, v2
	s_waitcnt lgkmcnt(0)
	s_barrier
	s_and_saveexec_b64 s[4:5], vcc
	s_cbranch_execz .LBB2069_185
; %bb.184:                              ;   in Loop: Header=BB2069_151 Depth=1
	scratch_load_dword v4, off, s7
	s_waitcnt vmcnt(0)
	v_lshlrev_b32_e32 v4, 2, v4
	ds_read_b32 v4, v4
	ds_read_b32 v58, v29 offset:1024
	s_waitcnt lgkmcnt(1)
	v_add_u32_e32 v4, v2, v4
	v_lshl_add_u64 v[56:57], v[4:5], 2, s[54:55]
	s_waitcnt lgkmcnt(0)
	global_store_dword v[56:57], v58, off
.LBB2069_185:                           ;   in Loop: Header=BB2069_151 Depth=1
	s_or_b64 exec, exec, s[4:5]
	v_add_u32_e32 v4, 0x400, v2
	v_cmp_gt_u32_e32 vcc, s3, v4
	s_and_saveexec_b64 s[4:5], vcc
	s_cbranch_execz .LBB2069_187
; %bb.186:                              ;   in Loop: Header=BB2069_151 Depth=1
	s_add_i32 s13, s7, 4
	scratch_load_dword v4, off, s13
	s_waitcnt vmcnt(0)
	v_lshlrev_b32_e32 v4, 2, v4
	ds_read_b32 v4, v4
	ds_read_b32 v58, v29 offset:5120
	s_waitcnt lgkmcnt(1)
	v_add3_u32 v4, v2, v4, s6
	v_lshl_add_u64 v[56:57], v[4:5], 2, s[54:55]
	s_waitcnt lgkmcnt(0)
	global_store_dword v[56:57], v58, off
.LBB2069_187:                           ;   in Loop: Header=BB2069_151 Depth=1
	s_or_b64 exec, exec, s[4:5]
	v_add_u32_e32 v4, 0x800, v2
	v_cmp_gt_u32_e32 vcc, s3, v4
	s_and_saveexec_b64 s[4:5], vcc
	s_cbranch_execz .LBB2069_189
; %bb.188:                              ;   in Loop: Header=BB2069_151 Depth=1
	s_add_i32 s13, s7, 8
	scratch_load_dword v4, off, s13
	s_waitcnt vmcnt(0)
	v_lshlrev_b32_e32 v4, 2, v4
	ds_read_b32 v4, v4
	ds_read_b32 v58, v29 offset:9216
	s_waitcnt lgkmcnt(1)
	v_add3_u32 v4, v2, v4, s10
	v_lshl_add_u64 v[56:57], v[4:5], 2, s[54:55]
	s_waitcnt lgkmcnt(0)
	global_store_dword v[56:57], v58, off
.LBB2069_189:                           ;   in Loop: Header=BB2069_151 Depth=1
	s_or_b64 exec, exec, s[4:5]
	v_add_u32_e32 v4, 0xc00, v2
	v_cmp_gt_u32_e32 vcc, s3, v4
	s_and_saveexec_b64 s[4:5], vcc
	s_cbranch_execz .LBB2069_150
; %bb.190:                              ;   in Loop: Header=BB2069_151 Depth=1
	s_add_i32 s13, s7, 12
	scratch_load_dword v4, off, s13
	s_waitcnt vmcnt(0)
	v_lshlrev_b32_e32 v4, 2, v4
	ds_read_b32 v4, v4
	ds_read_b32 v58, v29 offset:13312
	s_waitcnt lgkmcnt(1)
	v_add3_u32 v4, v2, v4, s11
	v_lshl_add_u64 v[56:57], v[4:5], 2, s[54:55]
	s_waitcnt lgkmcnt(0)
	global_store_dword v[56:57], v58, off
	s_branch .LBB2069_150
.LBB2069_191:
	s_add_i32 s33, s33, -1
	s_cmp_eq_u32 s2, s33
	s_cselect_b64 s[4:5], -1, 0
	s_xor_b64 s[6:7], s[34:35], -1
	s_and_b64 s[6:7], s[6:7], s[4:5]
	s_and_saveexec_b64 s[4:5], s[6:7]
	s_cbranch_execz .LBB2069_193
; %bb.192:
	ds_read_b32 v2, v29
	s_waitcnt lgkmcnt(0)
	v_add3_u32 v2, v32, v42, v2
	global_store_dword v29, v2, s[58:59]
.LBB2069_193:
	s_or_b64 exec, exec, s[4:5]
	s_mov_b64 s[4:5], 0
.LBB2069_194:
	s_and_b64 vcc, exec, s[4:5]
	s_cbranch_vccz .LBB2069_283
; %bb.195:
	s_lshl_b32 s10, s2, 14
	v_and_b32_e32 v16, 0x3ff, v0
	s_add_u32 s4, s48, s10
	v_mbcnt_hi_u32_b32 v42, -1, v1
	s_addc_u32 s5, s49, 0
	v_and_b32_e32 v20, 63, v42
	v_lshlrev_b32_e32 v1, 4, v16
	v_mov_b32_e32 v21, 0
	v_and_b32_e32 v18, 0x3c00, v1
	v_lshl_add_u64 v[2:3], s[4:5], 0, v[20:21]
	v_mov_b32_e32 v19, v21
	v_lshl_add_u64 v[2:3], v[2:3], 0, v[18:19]
	s_load_dword s3, s[0:1], 0x58
	s_load_dword s4, s[0:1], 0x64
	global_load_ubyte v4, v[2:3], off
	s_add_u32 s0, s0, 0x58
	s_addc_u32 s1, s1, 0
	v_mov_b32_e32 v1, v21
	s_waitcnt lgkmcnt(0)
	s_lshr_b32 s5, s4, 16
	s_cmp_lt_u32 s2, s3
	s_cselect_b32 s4, 12, 18
	s_add_u32 s0, s0, s4
	s_addc_u32 s1, s1, 0
	global_load_ushort v17, v21, s[0:1]
	global_load_ubyte v57, v[2:3], off offset:64
	global_load_ubyte v56, v[2:3], off offset:128
	;; [unrolled: 1-line block ×14, first 2 shown]
                                        ; kill: killed $sgpr0 killed $sgpr1
	global_load_ubyte v13, v[2:3], off offset:960
	v_bfe_u32 v2, v0, 10, 10
	v_bfe_u32 v0, v0, 20, 10
	v_mad_u32_u24 v2, v0, s5, v2
	s_lshl_b32 s0, -1, s61
	s_not_b32 s14, s0
	s_mov_b32 s11, 0
	s_movk_i32 s4, 0x44
	v_mul_u32_u24_e32 v44, 20, v16
	ds_write2_b32 v44, v21, v21 offset0:16 offset1:17
	ds_write2_b32 v44, v21, v21 offset0:18 offset1:19
	ds_write_b32 v44, v21 offset:80
	s_waitcnt lgkmcnt(0)
	s_barrier
	s_waitcnt vmcnt(16)
	; wave barrier
	v_and_b32_e32 v0, 1, v4
	v_lshrrev_b32_e32 v0, s60, v0
	v_bitop3_b32 v0, v0, s0, v0 bitop3:0x30
	v_mul_u32_u24_e32 v19, 0x44, v0
	v_cmp_ne_u32_e32 vcc, 0, v0
	v_lshl_add_u64 v[0:1], v[0:1], 0, -1
	s_waitcnt vmcnt(15)
	v_mad_u64_u32 v[2:3], s[0:1], v2, v17, v[16:17]
	v_xor_b32_e32 v0, vcc_lo, v0
	v_xor_b32_e32 v1, vcc_hi, v1
	v_and_b32_e32 v0, exec_lo, v0
	v_and_b32_e32 v1, exec_hi, v1
	v_mbcnt_lo_u32_b32 v3, v0, 0
	v_lshrrev_b32_e32 v2, 4, v2
	v_mbcnt_hi_u32_b32 v46, v1, v3
	v_cmp_ne_u64_e32 vcc, 0, v[0:1]
	v_and_b32_e32 v37, 0xffffffc, v2
	v_cmp_eq_u32_e64 s[0:1], 0, v46
	s_and_b64 s[6:7], vcc, s[0:1]
	v_add_u32_e32 v58, v37, v19
	s_and_saveexec_b64 s[0:1], s[6:7]
; %bb.196:
	v_bcnt_u32_b32 v0, v0, 0
	v_bcnt_u32_b32 v0, v1, v0
	ds_write_b32 v58, v0 offset:64
; %bb.197:
	s_or_b64 exec, exec, s[0:1]
	s_waitcnt vmcnt(14)
	v_lshrrev_b32_sdwa v0, s60, v57 dst_sel:DWORD dst_unused:UNUSED_PAD src0_sel:DWORD src1_sel:BYTE_0
	v_and_b32_e32 v0, s14, v0
	v_mad_u32_u24 v1, v0, s4, v37
	; wave barrier
	ds_read_b32 v17, v1 offset:64
	v_mov_b32_e32 v1, v21
	v_mul_u32_u24_e32 v2, 0x44, v0
	v_cmp_ne_u32_e32 vcc, 0, v0
	v_lshl_add_u64 v[0:1], v[0:1], 0, -1
	v_add_u32_e32 v21, v37, v2
	v_xor_b32_e32 v0, vcc_lo, v0
	v_xor_b32_e32 v1, vcc_hi, v1
	v_and_b32_e32 v0, exec_lo, v0
	v_and_b32_e32 v1, exec_hi, v1
	v_mbcnt_lo_u32_b32 v3, v0, 0
	v_mbcnt_hi_u32_b32 v19, v1, v3
	v_cmp_eq_u32_e32 vcc, 0, v19
	v_cmp_ne_u64_e64 s[0:1], 0, v[0:1]
	s_and_b64 s[4:5], s[0:1], vcc
	; wave barrier
	s_and_saveexec_b64 s[0:1], s[4:5]
	s_cbranch_execz .LBB2069_199
; %bb.198:
	v_bcnt_u32_b32 v0, v0, 0
	v_bcnt_u32_b32 v0, v1, v0
	s_waitcnt lgkmcnt(0)
	v_add_u32_e32 v0, v17, v0
	ds_write_b32 v21, v0 offset:64
.LBB2069_199:
	s_or_b64 exec, exec, s[0:1]
	s_waitcnt vmcnt(13)
	v_lshrrev_b32_sdwa v0, s60, v56 dst_sel:DWORD dst_unused:UNUSED_PAD src0_sel:DWORD src1_sel:BYTE_0
	v_and_b32_e32 v0, s14, v0
	s_movk_i32 s4, 0x44
	v_mad_u32_u24 v1, v0, s4, v37
	; wave barrier
	ds_read_b32 v22, v1 offset:64
	v_mov_b32_e32 v1, 0
	v_cmp_ne_u32_e32 vcc, 0, v0
	v_lshl_add_u64 v[2:3], v[0:1], 0, -1
	v_mul_u32_u24_e32 v24, 0x44, v0
	v_xor_b32_e32 v2, vcc_lo, v2
	v_xor_b32_e32 v0, vcc_hi, v3
	v_and_b32_e32 v2, exec_lo, v2
	v_and_b32_e32 v3, exec_hi, v0
	v_mbcnt_lo_u32_b32 v0, v2, 0
	v_mbcnt_hi_u32_b32 v23, v3, v0
	v_cmp_eq_u32_e32 vcc, 0, v23
	v_cmp_ne_u64_e64 s[0:1], 0, v[2:3]
	s_and_b64 s[6:7], s[0:1], vcc
	v_add_u32_e32 v59, v37, v24
	; wave barrier
	s_and_saveexec_b64 s[0:1], s[6:7]
	s_cbranch_execz .LBB2069_201
; %bb.200:
	v_bcnt_u32_b32 v0, v2, 0
	v_bcnt_u32_b32 v0, v3, v0
	s_waitcnt lgkmcnt(0)
	v_add_u32_e32 v0, v22, v0
	ds_write_b32 v59, v0 offset:64
.LBB2069_201:
	s_or_b64 exec, exec, s[0:1]
	s_waitcnt vmcnt(12)
	v_lshrrev_b32_sdwa v0, s60, v55 dst_sel:DWORD dst_unused:UNUSED_PAD src0_sel:DWORD src1_sel:BYTE_0
	v_and_b32_e32 v0, s14, v0
	v_mul_u32_u24_e32 v2, 0x44, v0
	v_mad_u32_u24 v3, v0, s4, v37
	v_cmp_ne_u32_e32 vcc, 0, v0
	v_lshl_add_u64 v[0:1], v[0:1], 0, -1
	s_nop 0
	v_xor_b32_e32 v0, vcc_lo, v0
	; wave barrier
	ds_read_b32 v24, v3 offset:64
	v_xor_b32_e32 v1, vcc_hi, v1
	v_and_b32_e32 v0, exec_lo, v0
	v_and_b32_e32 v1, exec_hi, v1
	v_mbcnt_lo_u32_b32 v3, v0, 0
	v_mbcnt_hi_u32_b32 v25, v1, v3
	v_cmp_eq_u32_e32 vcc, 0, v25
	v_cmp_ne_u64_e64 s[0:1], 0, v[0:1]
	s_and_b64 s[4:5], s[0:1], vcc
	v_add_u32_e32 v60, v37, v2
	; wave barrier
	s_and_saveexec_b64 s[0:1], s[4:5]
	s_cbranch_execz .LBB2069_203
; %bb.202:
	v_bcnt_u32_b32 v0, v0, 0
	v_bcnt_u32_b32 v0, v1, v0
	s_waitcnt lgkmcnt(0)
	v_add_u32_e32 v0, v24, v0
	ds_write_b32 v60, v0 offset:64
.LBB2069_203:
	s_or_b64 exec, exec, s[0:1]
	s_waitcnt vmcnt(11)
	v_lshrrev_b32_sdwa v0, s60, v54 dst_sel:DWORD dst_unused:UNUSED_PAD src0_sel:DWORD src1_sel:BYTE_0
	v_and_b32_e32 v0, s14, v0
	s_movk_i32 s4, 0x44
	v_mad_u32_u24 v1, v0, s4, v37
	; wave barrier
	ds_read_b32 v26, v1 offset:64
	v_mov_b32_e32 v1, 0
	v_cmp_ne_u32_e32 vcc, 0, v0
	v_lshl_add_u64 v[2:3], v[0:1], 0, -1
	v_mul_u32_u24_e32 v28, 0x44, v0
	v_xor_b32_e32 v2, vcc_lo, v2
	v_xor_b32_e32 v0, vcc_hi, v3
	v_and_b32_e32 v2, exec_lo, v2
	v_and_b32_e32 v3, exec_hi, v0
	v_mbcnt_lo_u32_b32 v0, v2, 0
	v_mbcnt_hi_u32_b32 v27, v3, v0
	v_cmp_eq_u32_e32 vcc, 0, v27
	v_cmp_ne_u64_e64 s[0:1], 0, v[2:3]
	s_and_b64 s[6:7], s[0:1], vcc
	v_add_u32_e32 v61, v37, v28
	; wave barrier
	s_and_saveexec_b64 s[0:1], s[6:7]
	s_cbranch_execz .LBB2069_205
; %bb.204:
	v_bcnt_u32_b32 v0, v2, 0
	v_bcnt_u32_b32 v0, v3, v0
	s_waitcnt lgkmcnt(0)
	v_add_u32_e32 v0, v26, v0
	ds_write_b32 v61, v0 offset:64
.LBB2069_205:
	s_or_b64 exec, exec, s[0:1]
	s_waitcnt vmcnt(10)
	v_lshrrev_b32_sdwa v0, s60, v15 dst_sel:DWORD dst_unused:UNUSED_PAD src0_sel:DWORD src1_sel:BYTE_0
	v_and_b32_e32 v0, s14, v0
	v_mul_u32_u24_e32 v2, 0x44, v0
	v_mad_u32_u24 v3, v0, s4, v37
	v_cmp_ne_u32_e32 vcc, 0, v0
	v_lshl_add_u64 v[0:1], v[0:1], 0, -1
	s_nop 0
	v_xor_b32_e32 v0, vcc_lo, v0
	; wave barrier
	ds_read_b32 v28, v3 offset:64
	v_xor_b32_e32 v1, vcc_hi, v1
	v_and_b32_e32 v0, exec_lo, v0
	v_and_b32_e32 v1, exec_hi, v1
	v_mbcnt_lo_u32_b32 v3, v0, 0
	v_mbcnt_hi_u32_b32 v29, v1, v3
	v_cmp_eq_u32_e32 vcc, 0, v29
	v_cmp_ne_u64_e64 s[0:1], 0, v[0:1]
	s_and_b64 s[4:5], s[0:1], vcc
	v_add_u32_e32 v62, v37, v2
	; wave barrier
	s_and_saveexec_b64 s[0:1], s[4:5]
	s_cbranch_execz .LBB2069_207
; %bb.206:
	v_bcnt_u32_b32 v0, v0, 0
	v_bcnt_u32_b32 v0, v1, v0
	s_waitcnt lgkmcnt(0)
	v_add_u32_e32 v0, v28, v0
	ds_write_b32 v62, v0 offset:64
.LBB2069_207:
	s_or_b64 exec, exec, s[0:1]
	s_waitcnt vmcnt(9)
	v_lshrrev_b32_sdwa v0, s60, v14 dst_sel:DWORD dst_unused:UNUSED_PAD src0_sel:DWORD src1_sel:BYTE_0
	v_and_b32_e32 v0, s14, v0
	s_movk_i32 s4, 0x44
	v_mad_u32_u24 v1, v0, s4, v37
	; wave barrier
	ds_read_b32 v30, v1 offset:64
	v_mov_b32_e32 v1, 0
	v_cmp_ne_u32_e32 vcc, 0, v0
	v_lshl_add_u64 v[2:3], v[0:1], 0, -1
	v_mul_u32_u24_e32 v32, 0x44, v0
	v_xor_b32_e32 v2, vcc_lo, v2
	v_xor_b32_e32 v0, vcc_hi, v3
	v_and_b32_e32 v2, exec_lo, v2
	v_and_b32_e32 v3, exec_hi, v0
	v_mbcnt_lo_u32_b32 v0, v2, 0
	v_mbcnt_hi_u32_b32 v31, v3, v0
	v_cmp_eq_u32_e32 vcc, 0, v31
	v_cmp_ne_u64_e64 s[0:1], 0, v[2:3]
	s_and_b64 s[6:7], s[0:1], vcc
	v_add_u32_e32 v63, v37, v32
	; wave barrier
	s_and_saveexec_b64 s[0:1], s[6:7]
	s_cbranch_execz .LBB2069_209
; %bb.208:
	v_bcnt_u32_b32 v0, v2, 0
	v_bcnt_u32_b32 v0, v3, v0
	s_waitcnt lgkmcnt(0)
	v_add_u32_e32 v0, v30, v0
	ds_write_b32 v63, v0 offset:64
.LBB2069_209:
	s_or_b64 exec, exec, s[0:1]
	s_waitcnt vmcnt(8)
	v_lshrrev_b32_sdwa v0, s60, v12 dst_sel:DWORD dst_unused:UNUSED_PAD src0_sel:DWORD src1_sel:BYTE_0
	v_and_b32_e32 v0, s14, v0
	v_mul_u32_u24_e32 v2, 0x44, v0
	v_mad_u32_u24 v3, v0, s4, v37
	v_cmp_ne_u32_e32 vcc, 0, v0
	v_lshl_add_u64 v[0:1], v[0:1], 0, -1
	s_nop 0
	v_xor_b32_e32 v0, vcc_lo, v0
	; wave barrier
	ds_read_b32 v32, v3 offset:64
	v_xor_b32_e32 v1, vcc_hi, v1
	v_and_b32_e32 v0, exec_lo, v0
	v_and_b32_e32 v1, exec_hi, v1
	v_mbcnt_lo_u32_b32 v3, v0, 0
	v_mbcnt_hi_u32_b32 v33, v1, v3
	v_cmp_eq_u32_e32 vcc, 0, v33
	v_cmp_ne_u64_e64 s[0:1], 0, v[0:1]
	s_and_b64 s[4:5], s[0:1], vcc
	v_add_u32_e32 v64, v37, v2
	; wave barrier
	s_and_saveexec_b64 s[0:1], s[4:5]
	s_cbranch_execz .LBB2069_211
; %bb.210:
	v_bcnt_u32_b32 v0, v0, 0
	v_bcnt_u32_b32 v0, v1, v0
	s_waitcnt lgkmcnt(0)
	v_add_u32_e32 v0, v32, v0
	ds_write_b32 v64, v0 offset:64
.LBB2069_211:
	s_or_b64 exec, exec, s[0:1]
	s_waitcnt vmcnt(7)
	v_lshrrev_b32_sdwa v0, s60, v5 dst_sel:DWORD dst_unused:UNUSED_PAD src0_sel:DWORD src1_sel:BYTE_0
	v_and_b32_e32 v0, s14, v0
	s_movk_i32 s4, 0x44
	v_mad_u32_u24 v1, v0, s4, v37
	; wave barrier
	ds_read_b32 v34, v1 offset:64
	v_mov_b32_e32 v1, 0
	v_cmp_ne_u32_e32 vcc, 0, v0
	v_lshl_add_u64 v[2:3], v[0:1], 0, -1
	v_mul_u32_u24_e32 v36, 0x44, v0
	v_xor_b32_e32 v2, vcc_lo, v2
	v_xor_b32_e32 v0, vcc_hi, v3
	v_and_b32_e32 v2, exec_lo, v2
	v_and_b32_e32 v3, exec_hi, v0
	v_mbcnt_lo_u32_b32 v0, v2, 0
	v_mbcnt_hi_u32_b32 v35, v3, v0
	v_cmp_eq_u32_e32 vcc, 0, v35
	v_cmp_ne_u64_e64 s[0:1], 0, v[2:3]
	s_and_b64 s[6:7], s[0:1], vcc
	v_add_u32_e32 v65, v37, v36
	; wave barrier
	s_and_saveexec_b64 s[0:1], s[6:7]
	s_cbranch_execz .LBB2069_213
; %bb.212:
	v_bcnt_u32_b32 v0, v2, 0
	v_bcnt_u32_b32 v0, v3, v0
	s_waitcnt lgkmcnt(0)
	v_add_u32_e32 v0, v34, v0
	ds_write_b32 v65, v0 offset:64
.LBB2069_213:
	s_or_b64 exec, exec, s[0:1]
	s_waitcnt vmcnt(6)
	v_lshrrev_b32_sdwa v0, s60, v6 dst_sel:DWORD dst_unused:UNUSED_PAD src0_sel:DWORD src1_sel:BYTE_0
	v_and_b32_e32 v0, s14, v0
	v_mul_u32_u24_e32 v2, 0x44, v0
	v_mad_u32_u24 v3, v0, s4, v37
	v_cmp_ne_u32_e32 vcc, 0, v0
	v_lshl_add_u64 v[0:1], v[0:1], 0, -1
	s_nop 0
	v_xor_b32_e32 v0, vcc_lo, v0
	; wave barrier
	ds_read_b32 v36, v3 offset:64
	v_xor_b32_e32 v1, vcc_hi, v1
	v_and_b32_e32 v0, exec_lo, v0
	v_and_b32_e32 v1, exec_hi, v1
	v_mbcnt_lo_u32_b32 v3, v0, 0
	v_mbcnt_hi_u32_b32 v38, v1, v3
	v_cmp_eq_u32_e32 vcc, 0, v38
	v_cmp_ne_u64_e64 s[0:1], 0, v[0:1]
	s_and_b64 s[4:5], s[0:1], vcc
	v_add_u32_e32 v66, v37, v2
	; wave barrier
	s_and_saveexec_b64 s[0:1], s[4:5]
	s_cbranch_execz .LBB2069_215
; %bb.214:
	v_bcnt_u32_b32 v0, v0, 0
	v_bcnt_u32_b32 v0, v1, v0
	s_waitcnt lgkmcnt(0)
	v_add_u32_e32 v0, v36, v0
	ds_write_b32 v66, v0 offset:64
.LBB2069_215:
	s_or_b64 exec, exec, s[0:1]
	s_waitcnt vmcnt(5)
	v_lshrrev_b32_sdwa v0, s60, v7 dst_sel:DWORD dst_unused:UNUSED_PAD src0_sel:DWORD src1_sel:BYTE_0
	v_and_b32_e32 v0, s14, v0
	s_movk_i32 s4, 0x44
	v_mad_u32_u24 v1, v0, s4, v37
	; wave barrier
	ds_read_b32 v39, v1 offset:64
	v_mov_b32_e32 v1, 0
	v_cmp_ne_u32_e32 vcc, 0, v0
	v_lshl_add_u64 v[2:3], v[0:1], 0, -1
	v_mul_u32_u24_e32 v41, 0x44, v0
	v_xor_b32_e32 v2, vcc_lo, v2
	v_xor_b32_e32 v0, vcc_hi, v3
	v_and_b32_e32 v2, exec_lo, v2
	v_and_b32_e32 v3, exec_hi, v0
	v_mbcnt_lo_u32_b32 v0, v2, 0
	v_mbcnt_hi_u32_b32 v40, v3, v0
	v_cmp_eq_u32_e32 vcc, 0, v40
	v_cmp_ne_u64_e64 s[0:1], 0, v[2:3]
	s_and_b64 s[6:7], s[0:1], vcc
	v_add_u32_e32 v67, v37, v41
	; wave barrier
	s_and_saveexec_b64 s[0:1], s[6:7]
	s_cbranch_execz .LBB2069_217
; %bb.216:
	v_bcnt_u32_b32 v0, v2, 0
	v_bcnt_u32_b32 v0, v3, v0
	s_waitcnt lgkmcnt(0)
	v_add_u32_e32 v0, v39, v0
	ds_write_b32 v67, v0 offset:64
.LBB2069_217:
	s_or_b64 exec, exec, s[0:1]
	s_waitcnt vmcnt(4)
	v_lshrrev_b32_sdwa v0, s60, v8 dst_sel:DWORD dst_unused:UNUSED_PAD src0_sel:DWORD src1_sel:BYTE_0
	v_and_b32_e32 v0, s14, v0
	v_mul_u32_u24_e32 v2, 0x44, v0
	v_mad_u32_u24 v3, v0, s4, v37
	v_cmp_ne_u32_e32 vcc, 0, v0
	v_lshl_add_u64 v[0:1], v[0:1], 0, -1
	s_nop 0
	v_xor_b32_e32 v0, vcc_lo, v0
	; wave barrier
	ds_read_b32 v41, v3 offset:64
	v_xor_b32_e32 v1, vcc_hi, v1
	v_and_b32_e32 v0, exec_lo, v0
	v_and_b32_e32 v1, exec_hi, v1
	v_mbcnt_lo_u32_b32 v3, v0, 0
	v_mbcnt_hi_u32_b32 v43, v1, v3
	v_cmp_eq_u32_e32 vcc, 0, v43
	v_cmp_ne_u64_e64 s[0:1], 0, v[0:1]
	s_and_b64 s[4:5], s[0:1], vcc
	v_add_u32_e32 v68, v37, v2
	; wave barrier
	s_and_saveexec_b64 s[0:1], s[4:5]
	s_cbranch_execz .LBB2069_219
; %bb.218:
	v_bcnt_u32_b32 v0, v0, 0
	v_bcnt_u32_b32 v0, v1, v0
	s_waitcnt lgkmcnt(0)
	v_add_u32_e32 v0, v41, v0
	ds_write_b32 v68, v0 offset:64
.LBB2069_219:
	s_or_b64 exec, exec, s[0:1]
	s_waitcnt vmcnt(3)
	v_lshrrev_b32_sdwa v0, s60, v9 dst_sel:DWORD dst_unused:UNUSED_PAD src0_sel:DWORD src1_sel:BYTE_0
	v_and_b32_e32 v0, s14, v0
	s_movk_i32 s4, 0x44
	v_mad_u32_u24 v1, v0, s4, v37
	; wave barrier
	ds_read_b32 v45, v1 offset:64
	v_mov_b32_e32 v1, 0
	v_cmp_ne_u32_e32 vcc, 0, v0
	v_lshl_add_u64 v[2:3], v[0:1], 0, -1
	v_mul_u32_u24_e32 v48, 0x44, v0
	v_xor_b32_e32 v2, vcc_lo, v2
	v_xor_b32_e32 v0, vcc_hi, v3
	v_and_b32_e32 v2, exec_lo, v2
	v_and_b32_e32 v3, exec_hi, v0
	v_mbcnt_lo_u32_b32 v0, v2, 0
	v_mbcnt_hi_u32_b32 v47, v3, v0
	v_cmp_eq_u32_e32 vcc, 0, v47
	v_cmp_ne_u64_e64 s[0:1], 0, v[2:3]
	s_and_b64 s[6:7], s[0:1], vcc
	v_add_u32_e32 v69, v37, v48
	; wave barrier
	s_and_saveexec_b64 s[0:1], s[6:7]
	s_cbranch_execz .LBB2069_221
; %bb.220:
	v_bcnt_u32_b32 v0, v2, 0
	v_bcnt_u32_b32 v0, v3, v0
	s_waitcnt lgkmcnt(0)
	v_add_u32_e32 v0, v45, v0
	ds_write_b32 v69, v0 offset:64
.LBB2069_221:
	s_or_b64 exec, exec, s[0:1]
	s_waitcnt vmcnt(2)
	v_lshrrev_b32_sdwa v0, s60, v10 dst_sel:DWORD dst_unused:UNUSED_PAD src0_sel:DWORD src1_sel:BYTE_0
	v_and_b32_e32 v0, s14, v0
	v_mul_u32_u24_e32 v2, 0x44, v0
	v_mad_u32_u24 v3, v0, s4, v37
	v_cmp_ne_u32_e32 vcc, 0, v0
	v_lshl_add_u64 v[0:1], v[0:1], 0, -1
	s_nop 0
	v_xor_b32_e32 v0, vcc_lo, v0
	; wave barrier
	ds_read_b32 v48, v3 offset:64
	v_xor_b32_e32 v1, vcc_hi, v1
	v_and_b32_e32 v0, exec_lo, v0
	v_and_b32_e32 v1, exec_hi, v1
	v_mbcnt_lo_u32_b32 v3, v0, 0
	v_mbcnt_hi_u32_b32 v49, v1, v3
	v_cmp_eq_u32_e32 vcc, 0, v49
	v_cmp_ne_u64_e64 s[0:1], 0, v[0:1]
	s_and_b64 s[4:5], s[0:1], vcc
	v_add_u32_e32 v70, v37, v2
	; wave barrier
	s_and_saveexec_b64 s[0:1], s[4:5]
	s_cbranch_execz .LBB2069_223
; %bb.222:
	v_bcnt_u32_b32 v0, v0, 0
	v_bcnt_u32_b32 v0, v1, v0
	s_waitcnt lgkmcnt(0)
	v_add_u32_e32 v0, v48, v0
	ds_write_b32 v70, v0 offset:64
.LBB2069_223:
	s_or_b64 exec, exec, s[0:1]
	s_waitcnt vmcnt(1)
	v_lshrrev_b32_sdwa v0, s60, v11 dst_sel:DWORD dst_unused:UNUSED_PAD src0_sel:DWORD src1_sel:BYTE_0
	v_and_b32_e32 v0, s14, v0
	s_movk_i32 s4, 0x44
	v_mad_u32_u24 v1, v0, s4, v37
	; wave barrier
	ds_read_b32 v50, v1 offset:64
	v_mov_b32_e32 v1, 0
	v_cmp_ne_u32_e32 vcc, 0, v0
	v_lshl_add_u64 v[2:3], v[0:1], 0, -1
	v_mul_u32_u24_e32 v52, 0x44, v0
	v_xor_b32_e32 v2, vcc_lo, v2
	v_xor_b32_e32 v0, vcc_hi, v3
	v_and_b32_e32 v2, exec_lo, v2
	v_and_b32_e32 v3, exec_hi, v0
	v_mbcnt_lo_u32_b32 v0, v2, 0
	v_mbcnt_hi_u32_b32 v51, v3, v0
	v_cmp_eq_u32_e32 vcc, 0, v51
	v_cmp_ne_u64_e64 s[0:1], 0, v[2:3]
	s_and_b64 s[6:7], s[0:1], vcc
	v_add_u32_e32 v72, v37, v52
	; wave barrier
	s_and_saveexec_b64 s[0:1], s[6:7]
	s_cbranch_execz .LBB2069_225
; %bb.224:
	v_bcnt_u32_b32 v0, v2, 0
	v_bcnt_u32_b32 v0, v3, v0
	s_waitcnt lgkmcnt(0)
	v_add_u32_e32 v0, v50, v0
	ds_write_b32 v72, v0 offset:64
.LBB2069_225:
	s_or_b64 exec, exec, s[0:1]
	s_waitcnt vmcnt(0)
	v_lshrrev_b32_sdwa v0, s60, v13 dst_sel:DWORD dst_unused:UNUSED_PAD src0_sel:DWORD src1_sel:BYTE_0
	v_and_b32_e32 v0, s14, v0
	v_mul_u32_u24_e32 v2, 0x44, v0
	v_mad_u32_u24 v3, v0, s4, v37
	v_cmp_ne_u32_e32 vcc, 0, v0
	v_lshl_add_u64 v[0:1], v[0:1], 0, -1
	s_nop 0
	v_xor_b32_e32 v0, vcc_lo, v0
	; wave barrier
	ds_read_b32 v52, v3 offset:64
	v_xor_b32_e32 v1, vcc_hi, v1
	v_and_b32_e32 v0, exec_lo, v0
	v_and_b32_e32 v1, exec_hi, v1
	v_mbcnt_lo_u32_b32 v3, v0, 0
	v_mbcnt_hi_u32_b32 v53, v1, v3
	v_cmp_eq_u32_e32 vcc, 0, v53
	v_cmp_ne_u64_e64 s[0:1], 0, v[0:1]
	s_and_b64 s[4:5], s[0:1], vcc
	v_add_u32_e32 v73, v37, v2
	; wave barrier
	s_and_saveexec_b64 s[0:1], s[4:5]
	s_cbranch_execz .LBB2069_227
; %bb.226:
	v_bcnt_u32_b32 v0, v0, 0
	v_bcnt_u32_b32 v0, v1, v0
	s_waitcnt lgkmcnt(0)
	v_add_u32_e32 v0, v52, v0
	ds_write_b32 v73, v0 offset:64
.LBB2069_227:
	s_or_b64 exec, exec, s[0:1]
	; wave barrier
	s_waitcnt lgkmcnt(0)
	s_barrier
	ds_read2_b32 v[2:3], v44 offset0:16 offset1:17
	ds_read2_b32 v[0:1], v44 offset0:18 offset1:19
	ds_read_b32 v37, v44 offset:80
	v_cmp_lt_u32_e64 s[8:9], 31, v42
	s_waitcnt lgkmcnt(1)
	v_add3_u32 v71, v3, v2, v0
	s_waitcnt lgkmcnt(0)
	v_add3_u32 v37, v71, v1, v37
	v_and_b32_e32 v71, 15, v42
	v_cmp_eq_u32_e32 vcc, 0, v71
	v_mov_b32_dpp v74, v37 row_shr:1 row_mask:0xf bank_mask:0xf
	v_cmp_lt_u32_e64 s[0:1], 1, v71
	v_cndmask_b32_e64 v74, v74, 0, vcc
	v_add_u32_e32 v37, v74, v37
	v_cmp_lt_u32_e64 s[6:7], 3, v71
	v_cmp_lt_u32_e64 s[4:5], 7, v71
	v_mov_b32_dpp v74, v37 row_shr:2 row_mask:0xf bank_mask:0xf
	v_cndmask_b32_e64 v74, 0, v74, s[0:1]
	v_add_u32_e32 v37, v37, v74
	s_nop 1
	v_mov_b32_dpp v74, v37 row_shr:4 row_mask:0xf bank_mask:0xf
	v_cndmask_b32_e64 v74, 0, v74, s[6:7]
	v_add_u32_e32 v37, v37, v74
	s_nop 1
	v_mov_b32_dpp v74, v37 row_shr:8 row_mask:0xf bank_mask:0xf
	v_cndmask_b32_e64 v71, 0, v74, s[4:5]
	v_add_u32_e32 v37, v37, v71
	v_bfe_i32 v74, v42, 4, 1
	s_nop 0
	v_mov_b32_dpp v71, v37 row_bcast:15 row_mask:0xf bank_mask:0xf
	v_and_b32_e32 v71, v74, v71
	v_add_u32_e32 v37, v37, v71
	v_lshrrev_b32_e32 v74, 6, v16
	s_nop 0
	v_mov_b32_dpp v71, v37 row_bcast:31 row_mask:0xf bank_mask:0xf
	v_cndmask_b32_e64 v71, 0, v71, s[8:9]
	v_add_u32_e32 v71, v37, v71
	v_and_b32_e32 v37, 63, v16
	v_cmp_eq_u32_e64 s[8:9], 63, v37
	s_and_saveexec_b64 s[12:13], s[8:9]
; %bb.228:
	v_lshlrev_b32_e32 v37, 2, v74
	ds_write_b32 v37, v71
; %bb.229:
	s_or_b64 exec, exec, s[12:13]
	v_cmp_gt_u32_e64 s[8:9], 16, v16
	v_lshlrev_b32_e32 v37, 2, v16
	s_waitcnt lgkmcnt(0)
	s_barrier
	s_and_saveexec_b64 s[12:13], s[8:9]
	s_cbranch_execz .LBB2069_231
; %bb.230:
	ds_read_b32 v75, v37
	s_waitcnt lgkmcnt(0)
	s_nop 0
	v_mov_b32_dpp v76, v75 row_shr:1 row_mask:0xf bank_mask:0xf
	v_cndmask_b32_e64 v76, v76, 0, vcc
	v_add_u32_e32 v75, v76, v75
	s_nop 1
	v_mov_b32_dpp v76, v75 row_shr:2 row_mask:0xf bank_mask:0xf
	v_cndmask_b32_e64 v76, 0, v76, s[0:1]
	v_add_u32_e32 v75, v75, v76
	s_nop 1
	v_mov_b32_dpp v76, v75 row_shr:4 row_mask:0xf bank_mask:0xf
	v_cndmask_b32_e64 v76, 0, v76, s[6:7]
	;; [unrolled: 4-line block ×3, first 2 shown]
	v_add_u32_e32 v75, v75, v76
	ds_write_b32 v37, v75
.LBB2069_231:
	s_or_b64 exec, exec, s[12:13]
	v_cmp_lt_u32_e32 vcc, 63, v16
	v_mov_b32_e32 v75, 0
	s_waitcnt lgkmcnt(0)
	s_barrier
	s_and_saveexec_b64 s[0:1], vcc
; %bb.232:
	v_lshl_add_u32 v74, v74, 2, -4
	ds_read_b32 v75, v74
; %bb.233:
	s_or_b64 exec, exec, s[0:1]
	v_subrev_co_u32_e32 v74, vcc, 1, v42
	v_and_b32_e32 v76, 64, v42
	v_cmp_lt_i32_e64 s[0:1], v74, v76
	s_waitcnt lgkmcnt(0)
	v_add_u32_e32 v71, v75, v71
	s_movk_i32 s4, 0x100
	v_cndmask_b32_e64 v42, v74, v42, s[0:1]
	v_lshlrev_b32_e32 v42, 2, v42
	ds_bpermute_b32 v42, v42, v71
	s_movk_i32 s0, 0xff
	s_waitcnt lgkmcnt(0)
	v_cndmask_b32_e32 v42, v42, v75, vcc
	v_cmp_ne_u32_e32 vcc, 0, v16
	s_nop 1
	v_cndmask_b32_e32 v42, 0, v42, vcc
	v_add_u32_e32 v2, v42, v2
	v_add_u32_e32 v3, v2, v3
	;; [unrolled: 1-line block ×4, first 2 shown]
	ds_write2_b32 v44, v42, v2 offset0:16 offset1:17
	ds_write2_b32 v44, v3, v0 offset0:18 offset1:19
	ds_write_b32 v44, v1 offset:80
	s_waitcnt lgkmcnt(0)
	s_barrier
	ds_read_b32 v0, v58 offset:64
	ds_read_b32 v58, v21 offset:64
	;; [unrolled: 1-line block ×16, first 2 shown]
	v_cmp_lt_u32_e32 vcc, s0, v16
	v_cmp_gt_u32_e64 s[0:1], s4, v16
                                        ; implicit-def: $vgpr42
                                        ; implicit-def: $vgpr44
	s_and_saveexec_b64 s[6:7], s[0:1]
	s_cbranch_execz .LBB2069_237
; %bb.234:
	v_mul_u32_u24_e32 v1, 0x44, v16
	ds_read_b32 v42, v1 offset:64
	v_add_u32_e32 v2, 1, v16
	v_cmp_ne_u32_e64 s[4:5], s4, v2
	v_mov_b32_e32 v1, 0x4000
	s_and_saveexec_b64 s[8:9], s[4:5]
; %bb.235:
	v_mul_u32_u24_e32 v1, 0x44, v2
	ds_read_b32 v1, v1 offset:64
; %bb.236:
	s_or_b64 exec, exec, s[8:9]
	s_waitcnt lgkmcnt(0)
	v_sub_u32_e32 v44, v1, v42
.LBB2069_237:
	s_or_b64 exec, exec, s[6:7]
	s_waitcnt lgkmcnt(14)
	v_add_u32_e32 v46, v0, v46
	v_add3_u32 v70, v19, v17, v58
	s_waitcnt lgkmcnt(13)
	v_add3_u32 v72, v23, v22, v59
	s_waitcnt lgkmcnt(12)
	;; [unrolled: 2-line block ×7, first 2 shown]
	s_barrier
	ds_write_b8 v46, v4 offset:1024
	v_add3_u32 v80, v35, v34, v65
	ds_write_b8 v70, v57 offset:1024
	v_add3_u32 v57, v38, v36, v66
	;; [unrolled: 2-line block ×5, first 2 shown]
	v_add3_u32 v81, v49, v48, v71
	v_add3_u32 v82, v51, v50, v74
	;; [unrolled: 1-line block ×3, first 2 shown]
	v_mov_b32_e32 v1, 0
	ds_write_b8 v76, v15 offset:1024
	ds_write_b8 v78, v14 offset:1024
	;; [unrolled: 1-line block ×11, first 2 shown]
	s_and_saveexec_b64 s[4:5], s[0:1]
	s_cbranch_execz .LBB2069_247
; %bb.238:
	v_lshl_add_u32 v0, s2, 8, v16
	v_lshl_add_u64 v[2:3], v[0:1], 2, s[46:47]
	v_or_b32_e32 v0, 2.0, v44
	s_mov_b64 s[6:7], 0
	s_brev_b32 s15, -4
	s_mov_b32 s16, s2
	v_mov_b32_e32 v6, 0
	global_store_dword v[2:3], v0, off sc1
                                        ; implicit-def: $sgpr0_sgpr1
	s_branch .LBB2069_241
.LBB2069_239:                           ;   in Loop: Header=BB2069_241 Depth=1
	s_or_b64 exec, exec, s[12:13]
.LBB2069_240:                           ;   in Loop: Header=BB2069_241 Depth=1
	s_or_b64 exec, exec, s[8:9]
	v_and_b32_e32 v4, 0x3fffffff, v0
	v_add_u32_e32 v6, v4, v6
	v_cmp_gt_i32_e64 s[0:1], -2.0, v0
	s_and_b64 s[8:9], exec, s[0:1]
	s_or_b64 s[6:7], s[8:9], s[6:7]
	s_andn2_b64 exec, exec, s[6:7]
	s_cbranch_execz .LBB2069_246
.LBB2069_241:                           ; =>This Loop Header: Depth=1
                                        ;     Child Loop BB2069_244 Depth 2
	s_or_b64 s[0:1], s[0:1], exec
	s_cmp_eq_u32 s16, 0
	s_cbranch_scc1 .LBB2069_245
; %bb.242:                              ;   in Loop: Header=BB2069_241 Depth=1
	s_add_i32 s16, s16, -1
	v_lshl_or_b32 v0, s16, 8, v16
	v_lshl_add_u64 v[4:5], v[0:1], 2, s[46:47]
	global_load_dword v0, v[4:5], off sc1
	s_waitcnt vmcnt(0)
	v_cmp_gt_u32_e64 s[0:1], 2.0, v0
	s_and_saveexec_b64 s[8:9], s[0:1]
	s_cbranch_execz .LBB2069_240
; %bb.243:                              ;   in Loop: Header=BB2069_241 Depth=1
	s_mov_b64 s[12:13], 0
.LBB2069_244:                           ;   Parent Loop BB2069_241 Depth=1
                                        ; =>  This Inner Loop Header: Depth=2
	global_load_dword v0, v[4:5], off sc1
	s_waitcnt vmcnt(0)
	v_cmp_lt_u32_e64 s[0:1], s15, v0
	s_or_b64 s[12:13], s[0:1], s[12:13]
	s_andn2_b64 exec, exec, s[12:13]
	s_cbranch_execnz .LBB2069_244
	s_branch .LBB2069_239
.LBB2069_245:                           ;   in Loop: Header=BB2069_241 Depth=1
                                        ; implicit-def: $sgpr16
	s_and_b64 s[8:9], exec, s[0:1]
	s_or_b64 s[6:7], s[8:9], s[6:7]
	s_andn2_b64 exec, exec, s[6:7]
	s_cbranch_execnz .LBB2069_241
.LBB2069_246:
	s_or_b64 exec, exec, s[6:7]
	v_add_u32_e32 v0, v6, v44
	v_or_b32_e32 v0, 0x80000000, v0
	global_store_dword v[2:3], v0, off sc1
	global_load_dword v0, v37, s[56:57]
	v_sub_u32_e32 v1, v6, v42
	s_waitcnt vmcnt(0)
	v_add_u32_e32 v0, v1, v0
	ds_write_b32 v37, v0
.LBB2069_247:
	s_or_b64 exec, exec, s[4:5]
	s_waitcnt lgkmcnt(0)
	s_barrier
	ds_read_u8 v8, v16 offset:1024
	ds_read_u8 v9, v16 offset:2048
	ds_read_u8 v10, v16 offset:3072
	ds_read_u8 v11, v16 offset:4096
	ds_read_u8 v12, v16 offset:5120
	ds_read_u8 v13, v16 offset:6144
	ds_read_u8 v14, v16 offset:7168
	ds_read_u8 v15, v16 offset:8192
	s_waitcnt lgkmcnt(7)
	v_and_b32_e32 v0, 1, v8
	s_waitcnt lgkmcnt(6)
	v_and_b32_e32 v1, 1, v9
	;; [unrolled: 2-line block ×8, first 2 shown]
	v_lshrrev_b32_e32 v0, s60, v0
	v_lshrrev_b32_e32 v1, s60, v1
	;; [unrolled: 1-line block ×8, first 2 shown]
	v_and_b32_e32 v0, s14, v0
	v_and_b32_e32 v1, s14, v1
	;; [unrolled: 1-line block ×8, first 2 shown]
	v_lshlrev_b32_e32 v21, 2, v0
	v_lshlrev_b32_e32 v84, 2, v1
	;; [unrolled: 1-line block ×8, first 2 shown]
	ds_read_b32 v21, v21
	ds_read_b32 v84, v84
	;; [unrolled: 1-line block ×8, first 2 shown]
	s_waitcnt lgkmcnt(7)
	v_add_u32_e32 v21, v21, v16
	s_movk_i32 s6, 0x400
	global_store_byte v21, v8, s[50:51]
	s_waitcnt lgkmcnt(6)
	v_add3_u32 v8, v84, v16, s6
	s_movk_i32 s7, 0x800
	global_store_byte v8, v9, s[50:51]
	s_waitcnt lgkmcnt(5)
	v_add3_u32 v8, v85, v16, s7
	;; [unrolled: 4-line block ×7, first 2 shown]
	global_store_byte v8, v15, s[50:51]
	ds_read_u8 v21, v16 offset:9216
	ds_read_u8 v84, v16 offset:10240
	;; [unrolled: 1-line block ×8, first 2 shown]
	s_waitcnt lgkmcnt(7)
	v_and_b32_e32 v8, 1, v21
	s_waitcnt lgkmcnt(6)
	v_and_b32_e32 v9, 1, v84
	;; [unrolled: 2-line block ×8, first 2 shown]
	v_lshrrev_b32_e32 v8, s60, v8
	v_lshrrev_b32_e32 v9, s60, v9
	;; [unrolled: 1-line block ×8, first 2 shown]
	v_and_b32_e32 v8, s14, v8
	v_and_b32_e32 v9, s14, v9
	;; [unrolled: 1-line block ×8, first 2 shown]
	v_lshlrev_b32_e32 v91, 2, v8
	v_lshlrev_b32_e32 v92, 2, v9
	;; [unrolled: 1-line block ×8, first 2 shown]
	s_movk_i32 s0, 0x2000
	ds_read_b32 v91, v91
	ds_read_b32 v92, v92
	ds_read_b32 v93, v93
	ds_read_b32 v94, v94
	ds_read_b32 v95, v95
	ds_read_b32 v96, v96
	ds_read_b32 v97, v97
	ds_read_b32 v98, v98
	s_waitcnt lgkmcnt(7)
	v_add3_u32 v91, v91, v16, s0
	s_movk_i32 s0, 0x2400
	global_store_byte v91, v21, s[50:51]
	s_waitcnt lgkmcnt(6)
	v_add3_u32 v21, v92, v16, s0
	s_movk_i32 s0, 0x2800
	global_store_byte v21, v84, s[50:51]
	;; [unrolled: 4-line block ×7, first 2 shown]
	s_waitcnt lgkmcnt(0)
	v_add3_u32 v21, v98, v16, s0
	s_lshl_b64 s[0:1], s[10:11], 2
	s_add_u32 s0, s52, s0
	global_store_byte v21, v90, s[50:51]
	s_addc_u32 s1, s53, s1
	v_lshlrev_b32_e32 v20, 2, v20
	v_mov_b32_e32 v21, 0
	v_lshl_add_u64 v[84:85], s[0:1], 0, v[20:21]
	v_lshlrev_b32_e32 v20, 2, v18
	v_lshl_add_u64 v[98:99], v[84:85], 0, v[20:21]
	global_load_dword v18, v[98:99], off
	global_load_dword v84, v[98:99], off offset:256
	global_load_dword v85, v[98:99], off offset:512
	;; [unrolled: 1-line block ×14, first 2 shown]
	s_nop 0
	global_load_dword v98, v[98:99], off offset:3840
	v_mul_u32_u24_e32 v20, 3, v16
	v_mov_b32_e32 v99, 0x400
	scratch_store_dwordx4 off, v[0:3], off
	scratch_store_dwordx4 off, v[4:7], off offset:16
	scratch_store_dwordx4 off, v[8:11], off offset:32
	;; [unrolled: 1-line block ×3, first 2 shown]
	v_lshl_add_u32 v0, v83, 2, v99
	v_add3_u32 v1, v53, v77, v52
	v_lshl_add_u32 v2, v82, 2, v99
	v_add3_u32 v3, v51, v74, v50
	;; [unrolled: 2-line block ×15, first 2 shown]
	v_lshl_add_u32 v19, v46, 2, v99
	s_mov_b32 s10, 0
	s_mov_b32 s11, 0
	v_add_u32_e32 v35, v16, v20
	s_mov_b32 s12, 0
	s_barrier
	s_branch .LBB2069_249
.LBB2069_248:                           ;   in Loop: Header=BB2069_249 Depth=1
	s_or_b64 exec, exec, s[4:5]
	s_waitcnt lgkmcnt(0)
	s_barrier
	scratch_load_dwordx4 v[38:41], off, s10
	ds_read2st64_b32 v[48:49], v35 offset0:4 offset1:20
	ds_read2st64_b32 v[50:51], v35 offset0:36 offset1:52
	s_addk_i32 s12, 0xc000
	s_addk_i32 s11, 0xf000
	s_add_i32 s10, s10, 16
	s_cmp_eq_u32 s12, 0xffff0000
	s_waitcnt vmcnt(0)
	v_lshlrev_b32_e32 v20, 2, v38
	ds_read_b32 v20, v20
	v_lshlrev_b32_e32 v36, 2, v39
	v_lshlrev_b32_e32 v38, 2, v40
	;; [unrolled: 1-line block ×3, first 2 shown]
	ds_read_b32 v36, v36
	ds_read_b32 v40, v38
	;; [unrolled: 1-line block ×3, first 2 shown]
	s_waitcnt lgkmcnt(3)
	v_add_u32_e32 v20, v16, v20
	v_lshl_add_u64 v[38:39], v[20:21], 2, s[54:55]
	s_waitcnt lgkmcnt(2)
	v_add3_u32 v20, v16, v36, s6
	global_store_dword v[38:39], v48, off
	v_lshl_add_u64 v[38:39], v[20:21], 2, s[54:55]
	s_waitcnt lgkmcnt(1)
	v_add3_u32 v20, v16, v40, s7
	global_store_dword v[38:39], v49, off
	;; [unrolled: 4-line block ×3, first 2 shown]
	v_lshl_add_u64 v[38:39], v[20:21], 2, s[54:55]
	v_add_u32_e32 v16, 0x1000, v16
	global_store_dword v[38:39], v51, off
	s_barrier
	s_cbranch_scc1 .LBB2069_281
.LBB2069_249:                           ; =>This Inner Loop Header: Depth=1
	v_add_u32_e32 v20, s11, v46
	v_cmp_gt_u32_e64 s[0:1], s9, v20
	s_and_saveexec_b64 s[4:5], s[0:1]
	s_cbranch_execz .LBB2069_251
; %bb.250:                              ;   in Loop: Header=BB2069_249 Depth=1
	v_add_u32_e32 v20, s12, v19
	s_waitcnt vmcnt(19)
	ds_write_b32 v20, v18
.LBB2069_251:                           ;   in Loop: Header=BB2069_249 Depth=1
	s_or_b64 exec, exec, s[4:5]
	v_add_u32_e32 v20, s11, v17
	v_cmp_gt_u32_e64 s[0:1], s9, v20
	s_and_saveexec_b64 s[4:5], s[0:1]
	s_cbranch_execz .LBB2069_253
; %bb.252:                              ;   in Loop: Header=BB2069_249 Depth=1
	v_add_u32_e32 v20, s12, v23
	s_waitcnt vmcnt(18)
	ds_write_b32 v20, v84
.LBB2069_253:                           ;   in Loop: Header=BB2069_249 Depth=1
	s_or_b64 exec, exec, s[4:5]
	;; [unrolled: 10-line block ×15, first 2 shown]
	v_add_u32_e32 v20, s11, v1
	v_cmp_gt_u32_e64 s[0:1], s9, v20
	s_and_saveexec_b64 s[4:5], s[0:1]
	s_cbranch_execz .LBB2069_248
; %bb.280:                              ;   in Loop: Header=BB2069_249 Depth=1
	v_add_u32_e32 v20, s12, v0
	s_waitcnt vmcnt(4)
	ds_write_b32 v20, v98
	s_branch .LBB2069_248
.LBB2069_281:
	s_add_i32 s3, s3, -1
	s_cmp_eq_u32 s2, s3
	s_cselect_b64 s[0:1], -1, 0
	s_xor_b64 s[2:3], vcc, -1
	s_and_b64 s[0:1], s[2:3], s[0:1]
	s_and_saveexec_b64 s[2:3], s[0:1]
	s_cbranch_execz .LBB2069_283
; %bb.282:
	ds_read_b32 v0, v37
	s_waitcnt lgkmcnt(0)
	v_add3_u32 v0, v42, v44, v0
	global_store_dword v37, v0, s[58:59]
.LBB2069_283:
	s_endpgm
	.section	.rodata,"a",@progbits
	.p2align	6, 0x0
	.amdhsa_kernel _ZN7rocprim17ROCPRIM_400000_NS6detail17trampoline_kernelINS0_14default_configENS1_35radix_sort_onesweep_config_selectorIbiEEZZNS1_29radix_sort_onesweep_iterationIS3_Lb0EN6thrust23THRUST_200600_302600_NS6detail15normal_iteratorINS8_10device_ptrIbEEEESD_NSA_INSB_IiEEEESF_jNS0_19identity_decomposerENS1_16block_id_wrapperIjLb0EEEEE10hipError_tT1_PNSt15iterator_traitsISK_E10value_typeET2_T3_PNSL_ISQ_E10value_typeET4_T5_PSV_SW_PNS1_23onesweep_lookback_stateEbbT6_jjT7_P12ihipStream_tbENKUlT_T0_SK_SP_E_clISD_SD_SF_SF_EEDaS13_S14_SK_SP_EUlS13_E_NS1_11comp_targetILNS1_3genE6ELNS1_11target_archE950ELNS1_3gpuE13ELNS1_3repE0EEENS1_47radix_sort_onesweep_sort_config_static_selectorELNS0_4arch9wavefront6targetE1EEEvSK_
		.amdhsa_group_segment_fixed_size 20552
		.amdhsa_private_segment_fixed_size 80
		.amdhsa_kernarg_size 344
		.amdhsa_user_sgpr_count 2
		.amdhsa_user_sgpr_dispatch_ptr 0
		.amdhsa_user_sgpr_queue_ptr 0
		.amdhsa_user_sgpr_kernarg_segment_ptr 1
		.amdhsa_user_sgpr_dispatch_id 0
		.amdhsa_user_sgpr_kernarg_preload_length 0
		.amdhsa_user_sgpr_kernarg_preload_offset 0
		.amdhsa_user_sgpr_private_segment_size 0
		.amdhsa_uses_dynamic_stack 0
		.amdhsa_enable_private_segment 1
		.amdhsa_system_sgpr_workgroup_id_x 1
		.amdhsa_system_sgpr_workgroup_id_y 0
		.amdhsa_system_sgpr_workgroup_id_z 0
		.amdhsa_system_sgpr_workgroup_info 0
		.amdhsa_system_vgpr_workitem_id 2
		.amdhsa_next_free_vgpr 100
		.amdhsa_next_free_sgpr 69
		.amdhsa_accum_offset 100
		.amdhsa_reserve_vcc 1
		.amdhsa_float_round_mode_32 0
		.amdhsa_float_round_mode_16_64 0
		.amdhsa_float_denorm_mode_32 3
		.amdhsa_float_denorm_mode_16_64 3
		.amdhsa_dx10_clamp 1
		.amdhsa_ieee_mode 1
		.amdhsa_fp16_overflow 0
		.amdhsa_tg_split 0
		.amdhsa_exception_fp_ieee_invalid_op 0
		.amdhsa_exception_fp_denorm_src 0
		.amdhsa_exception_fp_ieee_div_zero 0
		.amdhsa_exception_fp_ieee_overflow 0
		.amdhsa_exception_fp_ieee_underflow 0
		.amdhsa_exception_fp_ieee_inexact 0
		.amdhsa_exception_int_div_zero 0
	.end_amdhsa_kernel
	.section	.text._ZN7rocprim17ROCPRIM_400000_NS6detail17trampoline_kernelINS0_14default_configENS1_35radix_sort_onesweep_config_selectorIbiEEZZNS1_29radix_sort_onesweep_iterationIS3_Lb0EN6thrust23THRUST_200600_302600_NS6detail15normal_iteratorINS8_10device_ptrIbEEEESD_NSA_INSB_IiEEEESF_jNS0_19identity_decomposerENS1_16block_id_wrapperIjLb0EEEEE10hipError_tT1_PNSt15iterator_traitsISK_E10value_typeET2_T3_PNSL_ISQ_E10value_typeET4_T5_PSV_SW_PNS1_23onesweep_lookback_stateEbbT6_jjT7_P12ihipStream_tbENKUlT_T0_SK_SP_E_clISD_SD_SF_SF_EEDaS13_S14_SK_SP_EUlS13_E_NS1_11comp_targetILNS1_3genE6ELNS1_11target_archE950ELNS1_3gpuE13ELNS1_3repE0EEENS1_47radix_sort_onesweep_sort_config_static_selectorELNS0_4arch9wavefront6targetE1EEEvSK_,"axG",@progbits,_ZN7rocprim17ROCPRIM_400000_NS6detail17trampoline_kernelINS0_14default_configENS1_35radix_sort_onesweep_config_selectorIbiEEZZNS1_29radix_sort_onesweep_iterationIS3_Lb0EN6thrust23THRUST_200600_302600_NS6detail15normal_iteratorINS8_10device_ptrIbEEEESD_NSA_INSB_IiEEEESF_jNS0_19identity_decomposerENS1_16block_id_wrapperIjLb0EEEEE10hipError_tT1_PNSt15iterator_traitsISK_E10value_typeET2_T3_PNSL_ISQ_E10value_typeET4_T5_PSV_SW_PNS1_23onesweep_lookback_stateEbbT6_jjT7_P12ihipStream_tbENKUlT_T0_SK_SP_E_clISD_SD_SF_SF_EEDaS13_S14_SK_SP_EUlS13_E_NS1_11comp_targetILNS1_3genE6ELNS1_11target_archE950ELNS1_3gpuE13ELNS1_3repE0EEENS1_47radix_sort_onesweep_sort_config_static_selectorELNS0_4arch9wavefront6targetE1EEEvSK_,comdat
.Lfunc_end2069:
	.size	_ZN7rocprim17ROCPRIM_400000_NS6detail17trampoline_kernelINS0_14default_configENS1_35radix_sort_onesweep_config_selectorIbiEEZZNS1_29radix_sort_onesweep_iterationIS3_Lb0EN6thrust23THRUST_200600_302600_NS6detail15normal_iteratorINS8_10device_ptrIbEEEESD_NSA_INSB_IiEEEESF_jNS0_19identity_decomposerENS1_16block_id_wrapperIjLb0EEEEE10hipError_tT1_PNSt15iterator_traitsISK_E10value_typeET2_T3_PNSL_ISQ_E10value_typeET4_T5_PSV_SW_PNS1_23onesweep_lookback_stateEbbT6_jjT7_P12ihipStream_tbENKUlT_T0_SK_SP_E_clISD_SD_SF_SF_EEDaS13_S14_SK_SP_EUlS13_E_NS1_11comp_targetILNS1_3genE6ELNS1_11target_archE950ELNS1_3gpuE13ELNS1_3repE0EEENS1_47radix_sort_onesweep_sort_config_static_selectorELNS0_4arch9wavefront6targetE1EEEvSK_, .Lfunc_end2069-_ZN7rocprim17ROCPRIM_400000_NS6detail17trampoline_kernelINS0_14default_configENS1_35radix_sort_onesweep_config_selectorIbiEEZZNS1_29radix_sort_onesweep_iterationIS3_Lb0EN6thrust23THRUST_200600_302600_NS6detail15normal_iteratorINS8_10device_ptrIbEEEESD_NSA_INSB_IiEEEESF_jNS0_19identity_decomposerENS1_16block_id_wrapperIjLb0EEEEE10hipError_tT1_PNSt15iterator_traitsISK_E10value_typeET2_T3_PNSL_ISQ_E10value_typeET4_T5_PSV_SW_PNS1_23onesweep_lookback_stateEbbT6_jjT7_P12ihipStream_tbENKUlT_T0_SK_SP_E_clISD_SD_SF_SF_EEDaS13_S14_SK_SP_EUlS13_E_NS1_11comp_targetILNS1_3genE6ELNS1_11target_archE950ELNS1_3gpuE13ELNS1_3repE0EEENS1_47radix_sort_onesweep_sort_config_static_selectorELNS0_4arch9wavefront6targetE1EEEvSK_
                                        ; -- End function
	.set _ZN7rocprim17ROCPRIM_400000_NS6detail17trampoline_kernelINS0_14default_configENS1_35radix_sort_onesweep_config_selectorIbiEEZZNS1_29radix_sort_onesweep_iterationIS3_Lb0EN6thrust23THRUST_200600_302600_NS6detail15normal_iteratorINS8_10device_ptrIbEEEESD_NSA_INSB_IiEEEESF_jNS0_19identity_decomposerENS1_16block_id_wrapperIjLb0EEEEE10hipError_tT1_PNSt15iterator_traitsISK_E10value_typeET2_T3_PNSL_ISQ_E10value_typeET4_T5_PSV_SW_PNS1_23onesweep_lookback_stateEbbT6_jjT7_P12ihipStream_tbENKUlT_T0_SK_SP_E_clISD_SD_SF_SF_EEDaS13_S14_SK_SP_EUlS13_E_NS1_11comp_targetILNS1_3genE6ELNS1_11target_archE950ELNS1_3gpuE13ELNS1_3repE0EEENS1_47radix_sort_onesweep_sort_config_static_selectorELNS0_4arch9wavefront6targetE1EEEvSK_.num_vgpr, 100
	.set _ZN7rocprim17ROCPRIM_400000_NS6detail17trampoline_kernelINS0_14default_configENS1_35radix_sort_onesweep_config_selectorIbiEEZZNS1_29radix_sort_onesweep_iterationIS3_Lb0EN6thrust23THRUST_200600_302600_NS6detail15normal_iteratorINS8_10device_ptrIbEEEESD_NSA_INSB_IiEEEESF_jNS0_19identity_decomposerENS1_16block_id_wrapperIjLb0EEEEE10hipError_tT1_PNSt15iterator_traitsISK_E10value_typeET2_T3_PNSL_ISQ_E10value_typeET4_T5_PSV_SW_PNS1_23onesweep_lookback_stateEbbT6_jjT7_P12ihipStream_tbENKUlT_T0_SK_SP_E_clISD_SD_SF_SF_EEDaS13_S14_SK_SP_EUlS13_E_NS1_11comp_targetILNS1_3genE6ELNS1_11target_archE950ELNS1_3gpuE13ELNS1_3repE0EEENS1_47radix_sort_onesweep_sort_config_static_selectorELNS0_4arch9wavefront6targetE1EEEvSK_.num_agpr, 0
	.set _ZN7rocprim17ROCPRIM_400000_NS6detail17trampoline_kernelINS0_14default_configENS1_35radix_sort_onesweep_config_selectorIbiEEZZNS1_29radix_sort_onesweep_iterationIS3_Lb0EN6thrust23THRUST_200600_302600_NS6detail15normal_iteratorINS8_10device_ptrIbEEEESD_NSA_INSB_IiEEEESF_jNS0_19identity_decomposerENS1_16block_id_wrapperIjLb0EEEEE10hipError_tT1_PNSt15iterator_traitsISK_E10value_typeET2_T3_PNSL_ISQ_E10value_typeET4_T5_PSV_SW_PNS1_23onesweep_lookback_stateEbbT6_jjT7_P12ihipStream_tbENKUlT_T0_SK_SP_E_clISD_SD_SF_SF_EEDaS13_S14_SK_SP_EUlS13_E_NS1_11comp_targetILNS1_3genE6ELNS1_11target_archE950ELNS1_3gpuE13ELNS1_3repE0EEENS1_47radix_sort_onesweep_sort_config_static_selectorELNS0_4arch9wavefront6targetE1EEEvSK_.numbered_sgpr, 69
	.set _ZN7rocprim17ROCPRIM_400000_NS6detail17trampoline_kernelINS0_14default_configENS1_35radix_sort_onesweep_config_selectorIbiEEZZNS1_29radix_sort_onesweep_iterationIS3_Lb0EN6thrust23THRUST_200600_302600_NS6detail15normal_iteratorINS8_10device_ptrIbEEEESD_NSA_INSB_IiEEEESF_jNS0_19identity_decomposerENS1_16block_id_wrapperIjLb0EEEEE10hipError_tT1_PNSt15iterator_traitsISK_E10value_typeET2_T3_PNSL_ISQ_E10value_typeET4_T5_PSV_SW_PNS1_23onesweep_lookback_stateEbbT6_jjT7_P12ihipStream_tbENKUlT_T0_SK_SP_E_clISD_SD_SF_SF_EEDaS13_S14_SK_SP_EUlS13_E_NS1_11comp_targetILNS1_3genE6ELNS1_11target_archE950ELNS1_3gpuE13ELNS1_3repE0EEENS1_47radix_sort_onesweep_sort_config_static_selectorELNS0_4arch9wavefront6targetE1EEEvSK_.num_named_barrier, 0
	.set _ZN7rocprim17ROCPRIM_400000_NS6detail17trampoline_kernelINS0_14default_configENS1_35radix_sort_onesweep_config_selectorIbiEEZZNS1_29radix_sort_onesweep_iterationIS3_Lb0EN6thrust23THRUST_200600_302600_NS6detail15normal_iteratorINS8_10device_ptrIbEEEESD_NSA_INSB_IiEEEESF_jNS0_19identity_decomposerENS1_16block_id_wrapperIjLb0EEEEE10hipError_tT1_PNSt15iterator_traitsISK_E10value_typeET2_T3_PNSL_ISQ_E10value_typeET4_T5_PSV_SW_PNS1_23onesweep_lookback_stateEbbT6_jjT7_P12ihipStream_tbENKUlT_T0_SK_SP_E_clISD_SD_SF_SF_EEDaS13_S14_SK_SP_EUlS13_E_NS1_11comp_targetILNS1_3genE6ELNS1_11target_archE950ELNS1_3gpuE13ELNS1_3repE0EEENS1_47radix_sort_onesweep_sort_config_static_selectorELNS0_4arch9wavefront6targetE1EEEvSK_.private_seg_size, 80
	.set _ZN7rocprim17ROCPRIM_400000_NS6detail17trampoline_kernelINS0_14default_configENS1_35radix_sort_onesweep_config_selectorIbiEEZZNS1_29radix_sort_onesweep_iterationIS3_Lb0EN6thrust23THRUST_200600_302600_NS6detail15normal_iteratorINS8_10device_ptrIbEEEESD_NSA_INSB_IiEEEESF_jNS0_19identity_decomposerENS1_16block_id_wrapperIjLb0EEEEE10hipError_tT1_PNSt15iterator_traitsISK_E10value_typeET2_T3_PNSL_ISQ_E10value_typeET4_T5_PSV_SW_PNS1_23onesweep_lookback_stateEbbT6_jjT7_P12ihipStream_tbENKUlT_T0_SK_SP_E_clISD_SD_SF_SF_EEDaS13_S14_SK_SP_EUlS13_E_NS1_11comp_targetILNS1_3genE6ELNS1_11target_archE950ELNS1_3gpuE13ELNS1_3repE0EEENS1_47radix_sort_onesweep_sort_config_static_selectorELNS0_4arch9wavefront6targetE1EEEvSK_.uses_vcc, 1
	.set _ZN7rocprim17ROCPRIM_400000_NS6detail17trampoline_kernelINS0_14default_configENS1_35radix_sort_onesweep_config_selectorIbiEEZZNS1_29radix_sort_onesweep_iterationIS3_Lb0EN6thrust23THRUST_200600_302600_NS6detail15normal_iteratorINS8_10device_ptrIbEEEESD_NSA_INSB_IiEEEESF_jNS0_19identity_decomposerENS1_16block_id_wrapperIjLb0EEEEE10hipError_tT1_PNSt15iterator_traitsISK_E10value_typeET2_T3_PNSL_ISQ_E10value_typeET4_T5_PSV_SW_PNS1_23onesweep_lookback_stateEbbT6_jjT7_P12ihipStream_tbENKUlT_T0_SK_SP_E_clISD_SD_SF_SF_EEDaS13_S14_SK_SP_EUlS13_E_NS1_11comp_targetILNS1_3genE6ELNS1_11target_archE950ELNS1_3gpuE13ELNS1_3repE0EEENS1_47radix_sort_onesweep_sort_config_static_selectorELNS0_4arch9wavefront6targetE1EEEvSK_.uses_flat_scratch, 0
	.set _ZN7rocprim17ROCPRIM_400000_NS6detail17trampoline_kernelINS0_14default_configENS1_35radix_sort_onesweep_config_selectorIbiEEZZNS1_29radix_sort_onesweep_iterationIS3_Lb0EN6thrust23THRUST_200600_302600_NS6detail15normal_iteratorINS8_10device_ptrIbEEEESD_NSA_INSB_IiEEEESF_jNS0_19identity_decomposerENS1_16block_id_wrapperIjLb0EEEEE10hipError_tT1_PNSt15iterator_traitsISK_E10value_typeET2_T3_PNSL_ISQ_E10value_typeET4_T5_PSV_SW_PNS1_23onesweep_lookback_stateEbbT6_jjT7_P12ihipStream_tbENKUlT_T0_SK_SP_E_clISD_SD_SF_SF_EEDaS13_S14_SK_SP_EUlS13_E_NS1_11comp_targetILNS1_3genE6ELNS1_11target_archE950ELNS1_3gpuE13ELNS1_3repE0EEENS1_47radix_sort_onesweep_sort_config_static_selectorELNS0_4arch9wavefront6targetE1EEEvSK_.has_dyn_sized_stack, 0
	.set _ZN7rocprim17ROCPRIM_400000_NS6detail17trampoline_kernelINS0_14default_configENS1_35radix_sort_onesweep_config_selectorIbiEEZZNS1_29radix_sort_onesweep_iterationIS3_Lb0EN6thrust23THRUST_200600_302600_NS6detail15normal_iteratorINS8_10device_ptrIbEEEESD_NSA_INSB_IiEEEESF_jNS0_19identity_decomposerENS1_16block_id_wrapperIjLb0EEEEE10hipError_tT1_PNSt15iterator_traitsISK_E10value_typeET2_T3_PNSL_ISQ_E10value_typeET4_T5_PSV_SW_PNS1_23onesweep_lookback_stateEbbT6_jjT7_P12ihipStream_tbENKUlT_T0_SK_SP_E_clISD_SD_SF_SF_EEDaS13_S14_SK_SP_EUlS13_E_NS1_11comp_targetILNS1_3genE6ELNS1_11target_archE950ELNS1_3gpuE13ELNS1_3repE0EEENS1_47radix_sort_onesweep_sort_config_static_selectorELNS0_4arch9wavefront6targetE1EEEvSK_.has_recursion, 0
	.set _ZN7rocprim17ROCPRIM_400000_NS6detail17trampoline_kernelINS0_14default_configENS1_35radix_sort_onesweep_config_selectorIbiEEZZNS1_29radix_sort_onesweep_iterationIS3_Lb0EN6thrust23THRUST_200600_302600_NS6detail15normal_iteratorINS8_10device_ptrIbEEEESD_NSA_INSB_IiEEEESF_jNS0_19identity_decomposerENS1_16block_id_wrapperIjLb0EEEEE10hipError_tT1_PNSt15iterator_traitsISK_E10value_typeET2_T3_PNSL_ISQ_E10value_typeET4_T5_PSV_SW_PNS1_23onesweep_lookback_stateEbbT6_jjT7_P12ihipStream_tbENKUlT_T0_SK_SP_E_clISD_SD_SF_SF_EEDaS13_S14_SK_SP_EUlS13_E_NS1_11comp_targetILNS1_3genE6ELNS1_11target_archE950ELNS1_3gpuE13ELNS1_3repE0EEENS1_47radix_sort_onesweep_sort_config_static_selectorELNS0_4arch9wavefront6targetE1EEEvSK_.has_indirect_call, 0
	.section	.AMDGPU.csdata,"",@progbits
; Kernel info:
; codeLenInByte = 14788
; TotalNumSgprs: 75
; NumVgprs: 100
; NumAgprs: 0
; TotalNumVgprs: 100
; ScratchSize: 80
; MemoryBound: 0
; FloatMode: 240
; IeeeMode: 1
; LDSByteSize: 20552 bytes/workgroup (compile time only)
; SGPRBlocks: 9
; VGPRBlocks: 12
; NumSGPRsForWavesPerEU: 75
; NumVGPRsForWavesPerEU: 100
; AccumOffset: 100
; Occupancy: 4
; WaveLimiterHint : 1
; COMPUTE_PGM_RSRC2:SCRATCH_EN: 1
; COMPUTE_PGM_RSRC2:USER_SGPR: 2
; COMPUTE_PGM_RSRC2:TRAP_HANDLER: 0
; COMPUTE_PGM_RSRC2:TGID_X_EN: 1
; COMPUTE_PGM_RSRC2:TGID_Y_EN: 0
; COMPUTE_PGM_RSRC2:TGID_Z_EN: 0
; COMPUTE_PGM_RSRC2:TIDIG_COMP_CNT: 2
; COMPUTE_PGM_RSRC3_GFX90A:ACCUM_OFFSET: 24
; COMPUTE_PGM_RSRC3_GFX90A:TG_SPLIT: 0
	.section	.text._ZN7rocprim17ROCPRIM_400000_NS6detail17trampoline_kernelINS0_14default_configENS1_35radix_sort_onesweep_config_selectorIbiEEZZNS1_29radix_sort_onesweep_iterationIS3_Lb0EN6thrust23THRUST_200600_302600_NS6detail15normal_iteratorINS8_10device_ptrIbEEEESD_NSA_INSB_IiEEEESF_jNS0_19identity_decomposerENS1_16block_id_wrapperIjLb0EEEEE10hipError_tT1_PNSt15iterator_traitsISK_E10value_typeET2_T3_PNSL_ISQ_E10value_typeET4_T5_PSV_SW_PNS1_23onesweep_lookback_stateEbbT6_jjT7_P12ihipStream_tbENKUlT_T0_SK_SP_E_clISD_SD_SF_SF_EEDaS13_S14_SK_SP_EUlS13_E_NS1_11comp_targetILNS1_3genE5ELNS1_11target_archE942ELNS1_3gpuE9ELNS1_3repE0EEENS1_47radix_sort_onesweep_sort_config_static_selectorELNS0_4arch9wavefront6targetE1EEEvSK_,"axG",@progbits,_ZN7rocprim17ROCPRIM_400000_NS6detail17trampoline_kernelINS0_14default_configENS1_35radix_sort_onesweep_config_selectorIbiEEZZNS1_29radix_sort_onesweep_iterationIS3_Lb0EN6thrust23THRUST_200600_302600_NS6detail15normal_iteratorINS8_10device_ptrIbEEEESD_NSA_INSB_IiEEEESF_jNS0_19identity_decomposerENS1_16block_id_wrapperIjLb0EEEEE10hipError_tT1_PNSt15iterator_traitsISK_E10value_typeET2_T3_PNSL_ISQ_E10value_typeET4_T5_PSV_SW_PNS1_23onesweep_lookback_stateEbbT6_jjT7_P12ihipStream_tbENKUlT_T0_SK_SP_E_clISD_SD_SF_SF_EEDaS13_S14_SK_SP_EUlS13_E_NS1_11comp_targetILNS1_3genE5ELNS1_11target_archE942ELNS1_3gpuE9ELNS1_3repE0EEENS1_47radix_sort_onesweep_sort_config_static_selectorELNS0_4arch9wavefront6targetE1EEEvSK_,comdat
	.protected	_ZN7rocprim17ROCPRIM_400000_NS6detail17trampoline_kernelINS0_14default_configENS1_35radix_sort_onesweep_config_selectorIbiEEZZNS1_29radix_sort_onesweep_iterationIS3_Lb0EN6thrust23THRUST_200600_302600_NS6detail15normal_iteratorINS8_10device_ptrIbEEEESD_NSA_INSB_IiEEEESF_jNS0_19identity_decomposerENS1_16block_id_wrapperIjLb0EEEEE10hipError_tT1_PNSt15iterator_traitsISK_E10value_typeET2_T3_PNSL_ISQ_E10value_typeET4_T5_PSV_SW_PNS1_23onesweep_lookback_stateEbbT6_jjT7_P12ihipStream_tbENKUlT_T0_SK_SP_E_clISD_SD_SF_SF_EEDaS13_S14_SK_SP_EUlS13_E_NS1_11comp_targetILNS1_3genE5ELNS1_11target_archE942ELNS1_3gpuE9ELNS1_3repE0EEENS1_47radix_sort_onesweep_sort_config_static_selectorELNS0_4arch9wavefront6targetE1EEEvSK_ ; -- Begin function _ZN7rocprim17ROCPRIM_400000_NS6detail17trampoline_kernelINS0_14default_configENS1_35radix_sort_onesweep_config_selectorIbiEEZZNS1_29radix_sort_onesweep_iterationIS3_Lb0EN6thrust23THRUST_200600_302600_NS6detail15normal_iteratorINS8_10device_ptrIbEEEESD_NSA_INSB_IiEEEESF_jNS0_19identity_decomposerENS1_16block_id_wrapperIjLb0EEEEE10hipError_tT1_PNSt15iterator_traitsISK_E10value_typeET2_T3_PNSL_ISQ_E10value_typeET4_T5_PSV_SW_PNS1_23onesweep_lookback_stateEbbT6_jjT7_P12ihipStream_tbENKUlT_T0_SK_SP_E_clISD_SD_SF_SF_EEDaS13_S14_SK_SP_EUlS13_E_NS1_11comp_targetILNS1_3genE5ELNS1_11target_archE942ELNS1_3gpuE9ELNS1_3repE0EEENS1_47radix_sort_onesweep_sort_config_static_selectorELNS0_4arch9wavefront6targetE1EEEvSK_
	.globl	_ZN7rocprim17ROCPRIM_400000_NS6detail17trampoline_kernelINS0_14default_configENS1_35radix_sort_onesweep_config_selectorIbiEEZZNS1_29radix_sort_onesweep_iterationIS3_Lb0EN6thrust23THRUST_200600_302600_NS6detail15normal_iteratorINS8_10device_ptrIbEEEESD_NSA_INSB_IiEEEESF_jNS0_19identity_decomposerENS1_16block_id_wrapperIjLb0EEEEE10hipError_tT1_PNSt15iterator_traitsISK_E10value_typeET2_T3_PNSL_ISQ_E10value_typeET4_T5_PSV_SW_PNS1_23onesweep_lookback_stateEbbT6_jjT7_P12ihipStream_tbENKUlT_T0_SK_SP_E_clISD_SD_SF_SF_EEDaS13_S14_SK_SP_EUlS13_E_NS1_11comp_targetILNS1_3genE5ELNS1_11target_archE942ELNS1_3gpuE9ELNS1_3repE0EEENS1_47radix_sort_onesweep_sort_config_static_selectorELNS0_4arch9wavefront6targetE1EEEvSK_
	.p2align	8
	.type	_ZN7rocprim17ROCPRIM_400000_NS6detail17trampoline_kernelINS0_14default_configENS1_35radix_sort_onesweep_config_selectorIbiEEZZNS1_29radix_sort_onesweep_iterationIS3_Lb0EN6thrust23THRUST_200600_302600_NS6detail15normal_iteratorINS8_10device_ptrIbEEEESD_NSA_INSB_IiEEEESF_jNS0_19identity_decomposerENS1_16block_id_wrapperIjLb0EEEEE10hipError_tT1_PNSt15iterator_traitsISK_E10value_typeET2_T3_PNSL_ISQ_E10value_typeET4_T5_PSV_SW_PNS1_23onesweep_lookback_stateEbbT6_jjT7_P12ihipStream_tbENKUlT_T0_SK_SP_E_clISD_SD_SF_SF_EEDaS13_S14_SK_SP_EUlS13_E_NS1_11comp_targetILNS1_3genE5ELNS1_11target_archE942ELNS1_3gpuE9ELNS1_3repE0EEENS1_47radix_sort_onesweep_sort_config_static_selectorELNS0_4arch9wavefront6targetE1EEEvSK_,@function
_ZN7rocprim17ROCPRIM_400000_NS6detail17trampoline_kernelINS0_14default_configENS1_35radix_sort_onesweep_config_selectorIbiEEZZNS1_29radix_sort_onesweep_iterationIS3_Lb0EN6thrust23THRUST_200600_302600_NS6detail15normal_iteratorINS8_10device_ptrIbEEEESD_NSA_INSB_IiEEEESF_jNS0_19identity_decomposerENS1_16block_id_wrapperIjLb0EEEEE10hipError_tT1_PNSt15iterator_traitsISK_E10value_typeET2_T3_PNSL_ISQ_E10value_typeET4_T5_PSV_SW_PNS1_23onesweep_lookback_stateEbbT6_jjT7_P12ihipStream_tbENKUlT_T0_SK_SP_E_clISD_SD_SF_SF_EEDaS13_S14_SK_SP_EUlS13_E_NS1_11comp_targetILNS1_3genE5ELNS1_11target_archE942ELNS1_3gpuE9ELNS1_3repE0EEENS1_47radix_sort_onesweep_sort_config_static_selectorELNS0_4arch9wavefront6targetE1EEEvSK_: ; @_ZN7rocprim17ROCPRIM_400000_NS6detail17trampoline_kernelINS0_14default_configENS1_35radix_sort_onesweep_config_selectorIbiEEZZNS1_29radix_sort_onesweep_iterationIS3_Lb0EN6thrust23THRUST_200600_302600_NS6detail15normal_iteratorINS8_10device_ptrIbEEEESD_NSA_INSB_IiEEEESF_jNS0_19identity_decomposerENS1_16block_id_wrapperIjLb0EEEEE10hipError_tT1_PNSt15iterator_traitsISK_E10value_typeET2_T3_PNSL_ISQ_E10value_typeET4_T5_PSV_SW_PNS1_23onesweep_lookback_stateEbbT6_jjT7_P12ihipStream_tbENKUlT_T0_SK_SP_E_clISD_SD_SF_SF_EEDaS13_S14_SK_SP_EUlS13_E_NS1_11comp_targetILNS1_3genE5ELNS1_11target_archE942ELNS1_3gpuE9ELNS1_3repE0EEENS1_47radix_sort_onesweep_sort_config_static_selectorELNS0_4arch9wavefront6targetE1EEEvSK_
; %bb.0:
	.section	.rodata,"a",@progbits
	.p2align	6, 0x0
	.amdhsa_kernel _ZN7rocprim17ROCPRIM_400000_NS6detail17trampoline_kernelINS0_14default_configENS1_35radix_sort_onesweep_config_selectorIbiEEZZNS1_29radix_sort_onesweep_iterationIS3_Lb0EN6thrust23THRUST_200600_302600_NS6detail15normal_iteratorINS8_10device_ptrIbEEEESD_NSA_INSB_IiEEEESF_jNS0_19identity_decomposerENS1_16block_id_wrapperIjLb0EEEEE10hipError_tT1_PNSt15iterator_traitsISK_E10value_typeET2_T3_PNSL_ISQ_E10value_typeET4_T5_PSV_SW_PNS1_23onesweep_lookback_stateEbbT6_jjT7_P12ihipStream_tbENKUlT_T0_SK_SP_E_clISD_SD_SF_SF_EEDaS13_S14_SK_SP_EUlS13_E_NS1_11comp_targetILNS1_3genE5ELNS1_11target_archE942ELNS1_3gpuE9ELNS1_3repE0EEENS1_47radix_sort_onesweep_sort_config_static_selectorELNS0_4arch9wavefront6targetE1EEEvSK_
		.amdhsa_group_segment_fixed_size 0
		.amdhsa_private_segment_fixed_size 0
		.amdhsa_kernarg_size 88
		.amdhsa_user_sgpr_count 2
		.amdhsa_user_sgpr_dispatch_ptr 0
		.amdhsa_user_sgpr_queue_ptr 0
		.amdhsa_user_sgpr_kernarg_segment_ptr 1
		.amdhsa_user_sgpr_dispatch_id 0
		.amdhsa_user_sgpr_kernarg_preload_length 0
		.amdhsa_user_sgpr_kernarg_preload_offset 0
		.amdhsa_user_sgpr_private_segment_size 0
		.amdhsa_uses_dynamic_stack 0
		.amdhsa_enable_private_segment 0
		.amdhsa_system_sgpr_workgroup_id_x 1
		.amdhsa_system_sgpr_workgroup_id_y 0
		.amdhsa_system_sgpr_workgroup_id_z 0
		.amdhsa_system_sgpr_workgroup_info 0
		.amdhsa_system_vgpr_workitem_id 0
		.amdhsa_next_free_vgpr 1
		.amdhsa_next_free_sgpr 0
		.amdhsa_accum_offset 4
		.amdhsa_reserve_vcc 0
		.amdhsa_float_round_mode_32 0
		.amdhsa_float_round_mode_16_64 0
		.amdhsa_float_denorm_mode_32 3
		.amdhsa_float_denorm_mode_16_64 3
		.amdhsa_dx10_clamp 1
		.amdhsa_ieee_mode 1
		.amdhsa_fp16_overflow 0
		.amdhsa_tg_split 0
		.amdhsa_exception_fp_ieee_invalid_op 0
		.amdhsa_exception_fp_denorm_src 0
		.amdhsa_exception_fp_ieee_div_zero 0
		.amdhsa_exception_fp_ieee_overflow 0
		.amdhsa_exception_fp_ieee_underflow 0
		.amdhsa_exception_fp_ieee_inexact 0
		.amdhsa_exception_int_div_zero 0
	.end_amdhsa_kernel
	.section	.text._ZN7rocprim17ROCPRIM_400000_NS6detail17trampoline_kernelINS0_14default_configENS1_35radix_sort_onesweep_config_selectorIbiEEZZNS1_29radix_sort_onesweep_iterationIS3_Lb0EN6thrust23THRUST_200600_302600_NS6detail15normal_iteratorINS8_10device_ptrIbEEEESD_NSA_INSB_IiEEEESF_jNS0_19identity_decomposerENS1_16block_id_wrapperIjLb0EEEEE10hipError_tT1_PNSt15iterator_traitsISK_E10value_typeET2_T3_PNSL_ISQ_E10value_typeET4_T5_PSV_SW_PNS1_23onesweep_lookback_stateEbbT6_jjT7_P12ihipStream_tbENKUlT_T0_SK_SP_E_clISD_SD_SF_SF_EEDaS13_S14_SK_SP_EUlS13_E_NS1_11comp_targetILNS1_3genE5ELNS1_11target_archE942ELNS1_3gpuE9ELNS1_3repE0EEENS1_47radix_sort_onesweep_sort_config_static_selectorELNS0_4arch9wavefront6targetE1EEEvSK_,"axG",@progbits,_ZN7rocprim17ROCPRIM_400000_NS6detail17trampoline_kernelINS0_14default_configENS1_35radix_sort_onesweep_config_selectorIbiEEZZNS1_29radix_sort_onesweep_iterationIS3_Lb0EN6thrust23THRUST_200600_302600_NS6detail15normal_iteratorINS8_10device_ptrIbEEEESD_NSA_INSB_IiEEEESF_jNS0_19identity_decomposerENS1_16block_id_wrapperIjLb0EEEEE10hipError_tT1_PNSt15iterator_traitsISK_E10value_typeET2_T3_PNSL_ISQ_E10value_typeET4_T5_PSV_SW_PNS1_23onesweep_lookback_stateEbbT6_jjT7_P12ihipStream_tbENKUlT_T0_SK_SP_E_clISD_SD_SF_SF_EEDaS13_S14_SK_SP_EUlS13_E_NS1_11comp_targetILNS1_3genE5ELNS1_11target_archE942ELNS1_3gpuE9ELNS1_3repE0EEENS1_47radix_sort_onesweep_sort_config_static_selectorELNS0_4arch9wavefront6targetE1EEEvSK_,comdat
.Lfunc_end2070:
	.size	_ZN7rocprim17ROCPRIM_400000_NS6detail17trampoline_kernelINS0_14default_configENS1_35radix_sort_onesweep_config_selectorIbiEEZZNS1_29radix_sort_onesweep_iterationIS3_Lb0EN6thrust23THRUST_200600_302600_NS6detail15normal_iteratorINS8_10device_ptrIbEEEESD_NSA_INSB_IiEEEESF_jNS0_19identity_decomposerENS1_16block_id_wrapperIjLb0EEEEE10hipError_tT1_PNSt15iterator_traitsISK_E10value_typeET2_T3_PNSL_ISQ_E10value_typeET4_T5_PSV_SW_PNS1_23onesweep_lookback_stateEbbT6_jjT7_P12ihipStream_tbENKUlT_T0_SK_SP_E_clISD_SD_SF_SF_EEDaS13_S14_SK_SP_EUlS13_E_NS1_11comp_targetILNS1_3genE5ELNS1_11target_archE942ELNS1_3gpuE9ELNS1_3repE0EEENS1_47radix_sort_onesweep_sort_config_static_selectorELNS0_4arch9wavefront6targetE1EEEvSK_, .Lfunc_end2070-_ZN7rocprim17ROCPRIM_400000_NS6detail17trampoline_kernelINS0_14default_configENS1_35radix_sort_onesweep_config_selectorIbiEEZZNS1_29radix_sort_onesweep_iterationIS3_Lb0EN6thrust23THRUST_200600_302600_NS6detail15normal_iteratorINS8_10device_ptrIbEEEESD_NSA_INSB_IiEEEESF_jNS0_19identity_decomposerENS1_16block_id_wrapperIjLb0EEEEE10hipError_tT1_PNSt15iterator_traitsISK_E10value_typeET2_T3_PNSL_ISQ_E10value_typeET4_T5_PSV_SW_PNS1_23onesweep_lookback_stateEbbT6_jjT7_P12ihipStream_tbENKUlT_T0_SK_SP_E_clISD_SD_SF_SF_EEDaS13_S14_SK_SP_EUlS13_E_NS1_11comp_targetILNS1_3genE5ELNS1_11target_archE942ELNS1_3gpuE9ELNS1_3repE0EEENS1_47radix_sort_onesweep_sort_config_static_selectorELNS0_4arch9wavefront6targetE1EEEvSK_
                                        ; -- End function
	.set _ZN7rocprim17ROCPRIM_400000_NS6detail17trampoline_kernelINS0_14default_configENS1_35radix_sort_onesweep_config_selectorIbiEEZZNS1_29radix_sort_onesweep_iterationIS3_Lb0EN6thrust23THRUST_200600_302600_NS6detail15normal_iteratorINS8_10device_ptrIbEEEESD_NSA_INSB_IiEEEESF_jNS0_19identity_decomposerENS1_16block_id_wrapperIjLb0EEEEE10hipError_tT1_PNSt15iterator_traitsISK_E10value_typeET2_T3_PNSL_ISQ_E10value_typeET4_T5_PSV_SW_PNS1_23onesweep_lookback_stateEbbT6_jjT7_P12ihipStream_tbENKUlT_T0_SK_SP_E_clISD_SD_SF_SF_EEDaS13_S14_SK_SP_EUlS13_E_NS1_11comp_targetILNS1_3genE5ELNS1_11target_archE942ELNS1_3gpuE9ELNS1_3repE0EEENS1_47radix_sort_onesweep_sort_config_static_selectorELNS0_4arch9wavefront6targetE1EEEvSK_.num_vgpr, 0
	.set _ZN7rocprim17ROCPRIM_400000_NS6detail17trampoline_kernelINS0_14default_configENS1_35radix_sort_onesweep_config_selectorIbiEEZZNS1_29radix_sort_onesweep_iterationIS3_Lb0EN6thrust23THRUST_200600_302600_NS6detail15normal_iteratorINS8_10device_ptrIbEEEESD_NSA_INSB_IiEEEESF_jNS0_19identity_decomposerENS1_16block_id_wrapperIjLb0EEEEE10hipError_tT1_PNSt15iterator_traitsISK_E10value_typeET2_T3_PNSL_ISQ_E10value_typeET4_T5_PSV_SW_PNS1_23onesweep_lookback_stateEbbT6_jjT7_P12ihipStream_tbENKUlT_T0_SK_SP_E_clISD_SD_SF_SF_EEDaS13_S14_SK_SP_EUlS13_E_NS1_11comp_targetILNS1_3genE5ELNS1_11target_archE942ELNS1_3gpuE9ELNS1_3repE0EEENS1_47radix_sort_onesweep_sort_config_static_selectorELNS0_4arch9wavefront6targetE1EEEvSK_.num_agpr, 0
	.set _ZN7rocprim17ROCPRIM_400000_NS6detail17trampoline_kernelINS0_14default_configENS1_35radix_sort_onesweep_config_selectorIbiEEZZNS1_29radix_sort_onesweep_iterationIS3_Lb0EN6thrust23THRUST_200600_302600_NS6detail15normal_iteratorINS8_10device_ptrIbEEEESD_NSA_INSB_IiEEEESF_jNS0_19identity_decomposerENS1_16block_id_wrapperIjLb0EEEEE10hipError_tT1_PNSt15iterator_traitsISK_E10value_typeET2_T3_PNSL_ISQ_E10value_typeET4_T5_PSV_SW_PNS1_23onesweep_lookback_stateEbbT6_jjT7_P12ihipStream_tbENKUlT_T0_SK_SP_E_clISD_SD_SF_SF_EEDaS13_S14_SK_SP_EUlS13_E_NS1_11comp_targetILNS1_3genE5ELNS1_11target_archE942ELNS1_3gpuE9ELNS1_3repE0EEENS1_47radix_sort_onesweep_sort_config_static_selectorELNS0_4arch9wavefront6targetE1EEEvSK_.numbered_sgpr, 0
	.set _ZN7rocprim17ROCPRIM_400000_NS6detail17trampoline_kernelINS0_14default_configENS1_35radix_sort_onesweep_config_selectorIbiEEZZNS1_29radix_sort_onesweep_iterationIS3_Lb0EN6thrust23THRUST_200600_302600_NS6detail15normal_iteratorINS8_10device_ptrIbEEEESD_NSA_INSB_IiEEEESF_jNS0_19identity_decomposerENS1_16block_id_wrapperIjLb0EEEEE10hipError_tT1_PNSt15iterator_traitsISK_E10value_typeET2_T3_PNSL_ISQ_E10value_typeET4_T5_PSV_SW_PNS1_23onesweep_lookback_stateEbbT6_jjT7_P12ihipStream_tbENKUlT_T0_SK_SP_E_clISD_SD_SF_SF_EEDaS13_S14_SK_SP_EUlS13_E_NS1_11comp_targetILNS1_3genE5ELNS1_11target_archE942ELNS1_3gpuE9ELNS1_3repE0EEENS1_47radix_sort_onesweep_sort_config_static_selectorELNS0_4arch9wavefront6targetE1EEEvSK_.num_named_barrier, 0
	.set _ZN7rocprim17ROCPRIM_400000_NS6detail17trampoline_kernelINS0_14default_configENS1_35radix_sort_onesweep_config_selectorIbiEEZZNS1_29radix_sort_onesweep_iterationIS3_Lb0EN6thrust23THRUST_200600_302600_NS6detail15normal_iteratorINS8_10device_ptrIbEEEESD_NSA_INSB_IiEEEESF_jNS0_19identity_decomposerENS1_16block_id_wrapperIjLb0EEEEE10hipError_tT1_PNSt15iterator_traitsISK_E10value_typeET2_T3_PNSL_ISQ_E10value_typeET4_T5_PSV_SW_PNS1_23onesweep_lookback_stateEbbT6_jjT7_P12ihipStream_tbENKUlT_T0_SK_SP_E_clISD_SD_SF_SF_EEDaS13_S14_SK_SP_EUlS13_E_NS1_11comp_targetILNS1_3genE5ELNS1_11target_archE942ELNS1_3gpuE9ELNS1_3repE0EEENS1_47radix_sort_onesweep_sort_config_static_selectorELNS0_4arch9wavefront6targetE1EEEvSK_.private_seg_size, 0
	.set _ZN7rocprim17ROCPRIM_400000_NS6detail17trampoline_kernelINS0_14default_configENS1_35radix_sort_onesweep_config_selectorIbiEEZZNS1_29radix_sort_onesweep_iterationIS3_Lb0EN6thrust23THRUST_200600_302600_NS6detail15normal_iteratorINS8_10device_ptrIbEEEESD_NSA_INSB_IiEEEESF_jNS0_19identity_decomposerENS1_16block_id_wrapperIjLb0EEEEE10hipError_tT1_PNSt15iterator_traitsISK_E10value_typeET2_T3_PNSL_ISQ_E10value_typeET4_T5_PSV_SW_PNS1_23onesweep_lookback_stateEbbT6_jjT7_P12ihipStream_tbENKUlT_T0_SK_SP_E_clISD_SD_SF_SF_EEDaS13_S14_SK_SP_EUlS13_E_NS1_11comp_targetILNS1_3genE5ELNS1_11target_archE942ELNS1_3gpuE9ELNS1_3repE0EEENS1_47radix_sort_onesweep_sort_config_static_selectorELNS0_4arch9wavefront6targetE1EEEvSK_.uses_vcc, 0
	.set _ZN7rocprim17ROCPRIM_400000_NS6detail17trampoline_kernelINS0_14default_configENS1_35radix_sort_onesweep_config_selectorIbiEEZZNS1_29radix_sort_onesweep_iterationIS3_Lb0EN6thrust23THRUST_200600_302600_NS6detail15normal_iteratorINS8_10device_ptrIbEEEESD_NSA_INSB_IiEEEESF_jNS0_19identity_decomposerENS1_16block_id_wrapperIjLb0EEEEE10hipError_tT1_PNSt15iterator_traitsISK_E10value_typeET2_T3_PNSL_ISQ_E10value_typeET4_T5_PSV_SW_PNS1_23onesweep_lookback_stateEbbT6_jjT7_P12ihipStream_tbENKUlT_T0_SK_SP_E_clISD_SD_SF_SF_EEDaS13_S14_SK_SP_EUlS13_E_NS1_11comp_targetILNS1_3genE5ELNS1_11target_archE942ELNS1_3gpuE9ELNS1_3repE0EEENS1_47radix_sort_onesweep_sort_config_static_selectorELNS0_4arch9wavefront6targetE1EEEvSK_.uses_flat_scratch, 0
	.set _ZN7rocprim17ROCPRIM_400000_NS6detail17trampoline_kernelINS0_14default_configENS1_35radix_sort_onesweep_config_selectorIbiEEZZNS1_29radix_sort_onesweep_iterationIS3_Lb0EN6thrust23THRUST_200600_302600_NS6detail15normal_iteratorINS8_10device_ptrIbEEEESD_NSA_INSB_IiEEEESF_jNS0_19identity_decomposerENS1_16block_id_wrapperIjLb0EEEEE10hipError_tT1_PNSt15iterator_traitsISK_E10value_typeET2_T3_PNSL_ISQ_E10value_typeET4_T5_PSV_SW_PNS1_23onesweep_lookback_stateEbbT6_jjT7_P12ihipStream_tbENKUlT_T0_SK_SP_E_clISD_SD_SF_SF_EEDaS13_S14_SK_SP_EUlS13_E_NS1_11comp_targetILNS1_3genE5ELNS1_11target_archE942ELNS1_3gpuE9ELNS1_3repE0EEENS1_47radix_sort_onesweep_sort_config_static_selectorELNS0_4arch9wavefront6targetE1EEEvSK_.has_dyn_sized_stack, 0
	.set _ZN7rocprim17ROCPRIM_400000_NS6detail17trampoline_kernelINS0_14default_configENS1_35radix_sort_onesweep_config_selectorIbiEEZZNS1_29radix_sort_onesweep_iterationIS3_Lb0EN6thrust23THRUST_200600_302600_NS6detail15normal_iteratorINS8_10device_ptrIbEEEESD_NSA_INSB_IiEEEESF_jNS0_19identity_decomposerENS1_16block_id_wrapperIjLb0EEEEE10hipError_tT1_PNSt15iterator_traitsISK_E10value_typeET2_T3_PNSL_ISQ_E10value_typeET4_T5_PSV_SW_PNS1_23onesweep_lookback_stateEbbT6_jjT7_P12ihipStream_tbENKUlT_T0_SK_SP_E_clISD_SD_SF_SF_EEDaS13_S14_SK_SP_EUlS13_E_NS1_11comp_targetILNS1_3genE5ELNS1_11target_archE942ELNS1_3gpuE9ELNS1_3repE0EEENS1_47radix_sort_onesweep_sort_config_static_selectorELNS0_4arch9wavefront6targetE1EEEvSK_.has_recursion, 0
	.set _ZN7rocprim17ROCPRIM_400000_NS6detail17trampoline_kernelINS0_14default_configENS1_35radix_sort_onesweep_config_selectorIbiEEZZNS1_29radix_sort_onesweep_iterationIS3_Lb0EN6thrust23THRUST_200600_302600_NS6detail15normal_iteratorINS8_10device_ptrIbEEEESD_NSA_INSB_IiEEEESF_jNS0_19identity_decomposerENS1_16block_id_wrapperIjLb0EEEEE10hipError_tT1_PNSt15iterator_traitsISK_E10value_typeET2_T3_PNSL_ISQ_E10value_typeET4_T5_PSV_SW_PNS1_23onesweep_lookback_stateEbbT6_jjT7_P12ihipStream_tbENKUlT_T0_SK_SP_E_clISD_SD_SF_SF_EEDaS13_S14_SK_SP_EUlS13_E_NS1_11comp_targetILNS1_3genE5ELNS1_11target_archE942ELNS1_3gpuE9ELNS1_3repE0EEENS1_47radix_sort_onesweep_sort_config_static_selectorELNS0_4arch9wavefront6targetE1EEEvSK_.has_indirect_call, 0
	.section	.AMDGPU.csdata,"",@progbits
; Kernel info:
; codeLenInByte = 0
; TotalNumSgprs: 6
; NumVgprs: 0
; NumAgprs: 0
; TotalNumVgprs: 0
; ScratchSize: 0
; MemoryBound: 0
; FloatMode: 240
; IeeeMode: 1
; LDSByteSize: 0 bytes/workgroup (compile time only)
; SGPRBlocks: 0
; VGPRBlocks: 0
; NumSGPRsForWavesPerEU: 6
; NumVGPRsForWavesPerEU: 1
; AccumOffset: 4
; Occupancy: 8
; WaveLimiterHint : 0
; COMPUTE_PGM_RSRC2:SCRATCH_EN: 0
; COMPUTE_PGM_RSRC2:USER_SGPR: 2
; COMPUTE_PGM_RSRC2:TRAP_HANDLER: 0
; COMPUTE_PGM_RSRC2:TGID_X_EN: 1
; COMPUTE_PGM_RSRC2:TGID_Y_EN: 0
; COMPUTE_PGM_RSRC2:TGID_Z_EN: 0
; COMPUTE_PGM_RSRC2:TIDIG_COMP_CNT: 0
; COMPUTE_PGM_RSRC3_GFX90A:ACCUM_OFFSET: 0
; COMPUTE_PGM_RSRC3_GFX90A:TG_SPLIT: 0
	.section	.text._ZN7rocprim17ROCPRIM_400000_NS6detail17trampoline_kernelINS0_14default_configENS1_35radix_sort_onesweep_config_selectorIbiEEZZNS1_29radix_sort_onesweep_iterationIS3_Lb0EN6thrust23THRUST_200600_302600_NS6detail15normal_iteratorINS8_10device_ptrIbEEEESD_NSA_INSB_IiEEEESF_jNS0_19identity_decomposerENS1_16block_id_wrapperIjLb0EEEEE10hipError_tT1_PNSt15iterator_traitsISK_E10value_typeET2_T3_PNSL_ISQ_E10value_typeET4_T5_PSV_SW_PNS1_23onesweep_lookback_stateEbbT6_jjT7_P12ihipStream_tbENKUlT_T0_SK_SP_E_clISD_SD_SF_SF_EEDaS13_S14_SK_SP_EUlS13_E_NS1_11comp_targetILNS1_3genE2ELNS1_11target_archE906ELNS1_3gpuE6ELNS1_3repE0EEENS1_47radix_sort_onesweep_sort_config_static_selectorELNS0_4arch9wavefront6targetE1EEEvSK_,"axG",@progbits,_ZN7rocprim17ROCPRIM_400000_NS6detail17trampoline_kernelINS0_14default_configENS1_35radix_sort_onesweep_config_selectorIbiEEZZNS1_29radix_sort_onesweep_iterationIS3_Lb0EN6thrust23THRUST_200600_302600_NS6detail15normal_iteratorINS8_10device_ptrIbEEEESD_NSA_INSB_IiEEEESF_jNS0_19identity_decomposerENS1_16block_id_wrapperIjLb0EEEEE10hipError_tT1_PNSt15iterator_traitsISK_E10value_typeET2_T3_PNSL_ISQ_E10value_typeET4_T5_PSV_SW_PNS1_23onesweep_lookback_stateEbbT6_jjT7_P12ihipStream_tbENKUlT_T0_SK_SP_E_clISD_SD_SF_SF_EEDaS13_S14_SK_SP_EUlS13_E_NS1_11comp_targetILNS1_3genE2ELNS1_11target_archE906ELNS1_3gpuE6ELNS1_3repE0EEENS1_47radix_sort_onesweep_sort_config_static_selectorELNS0_4arch9wavefront6targetE1EEEvSK_,comdat
	.protected	_ZN7rocprim17ROCPRIM_400000_NS6detail17trampoline_kernelINS0_14default_configENS1_35radix_sort_onesweep_config_selectorIbiEEZZNS1_29radix_sort_onesweep_iterationIS3_Lb0EN6thrust23THRUST_200600_302600_NS6detail15normal_iteratorINS8_10device_ptrIbEEEESD_NSA_INSB_IiEEEESF_jNS0_19identity_decomposerENS1_16block_id_wrapperIjLb0EEEEE10hipError_tT1_PNSt15iterator_traitsISK_E10value_typeET2_T3_PNSL_ISQ_E10value_typeET4_T5_PSV_SW_PNS1_23onesweep_lookback_stateEbbT6_jjT7_P12ihipStream_tbENKUlT_T0_SK_SP_E_clISD_SD_SF_SF_EEDaS13_S14_SK_SP_EUlS13_E_NS1_11comp_targetILNS1_3genE2ELNS1_11target_archE906ELNS1_3gpuE6ELNS1_3repE0EEENS1_47radix_sort_onesweep_sort_config_static_selectorELNS0_4arch9wavefront6targetE1EEEvSK_ ; -- Begin function _ZN7rocprim17ROCPRIM_400000_NS6detail17trampoline_kernelINS0_14default_configENS1_35radix_sort_onesweep_config_selectorIbiEEZZNS1_29radix_sort_onesweep_iterationIS3_Lb0EN6thrust23THRUST_200600_302600_NS6detail15normal_iteratorINS8_10device_ptrIbEEEESD_NSA_INSB_IiEEEESF_jNS0_19identity_decomposerENS1_16block_id_wrapperIjLb0EEEEE10hipError_tT1_PNSt15iterator_traitsISK_E10value_typeET2_T3_PNSL_ISQ_E10value_typeET4_T5_PSV_SW_PNS1_23onesweep_lookback_stateEbbT6_jjT7_P12ihipStream_tbENKUlT_T0_SK_SP_E_clISD_SD_SF_SF_EEDaS13_S14_SK_SP_EUlS13_E_NS1_11comp_targetILNS1_3genE2ELNS1_11target_archE906ELNS1_3gpuE6ELNS1_3repE0EEENS1_47radix_sort_onesweep_sort_config_static_selectorELNS0_4arch9wavefront6targetE1EEEvSK_
	.globl	_ZN7rocprim17ROCPRIM_400000_NS6detail17trampoline_kernelINS0_14default_configENS1_35radix_sort_onesweep_config_selectorIbiEEZZNS1_29radix_sort_onesweep_iterationIS3_Lb0EN6thrust23THRUST_200600_302600_NS6detail15normal_iteratorINS8_10device_ptrIbEEEESD_NSA_INSB_IiEEEESF_jNS0_19identity_decomposerENS1_16block_id_wrapperIjLb0EEEEE10hipError_tT1_PNSt15iterator_traitsISK_E10value_typeET2_T3_PNSL_ISQ_E10value_typeET4_T5_PSV_SW_PNS1_23onesweep_lookback_stateEbbT6_jjT7_P12ihipStream_tbENKUlT_T0_SK_SP_E_clISD_SD_SF_SF_EEDaS13_S14_SK_SP_EUlS13_E_NS1_11comp_targetILNS1_3genE2ELNS1_11target_archE906ELNS1_3gpuE6ELNS1_3repE0EEENS1_47radix_sort_onesweep_sort_config_static_selectorELNS0_4arch9wavefront6targetE1EEEvSK_
	.p2align	8
	.type	_ZN7rocprim17ROCPRIM_400000_NS6detail17trampoline_kernelINS0_14default_configENS1_35radix_sort_onesweep_config_selectorIbiEEZZNS1_29radix_sort_onesweep_iterationIS3_Lb0EN6thrust23THRUST_200600_302600_NS6detail15normal_iteratorINS8_10device_ptrIbEEEESD_NSA_INSB_IiEEEESF_jNS0_19identity_decomposerENS1_16block_id_wrapperIjLb0EEEEE10hipError_tT1_PNSt15iterator_traitsISK_E10value_typeET2_T3_PNSL_ISQ_E10value_typeET4_T5_PSV_SW_PNS1_23onesweep_lookback_stateEbbT6_jjT7_P12ihipStream_tbENKUlT_T0_SK_SP_E_clISD_SD_SF_SF_EEDaS13_S14_SK_SP_EUlS13_E_NS1_11comp_targetILNS1_3genE2ELNS1_11target_archE906ELNS1_3gpuE6ELNS1_3repE0EEENS1_47radix_sort_onesweep_sort_config_static_selectorELNS0_4arch9wavefront6targetE1EEEvSK_,@function
_ZN7rocprim17ROCPRIM_400000_NS6detail17trampoline_kernelINS0_14default_configENS1_35radix_sort_onesweep_config_selectorIbiEEZZNS1_29radix_sort_onesweep_iterationIS3_Lb0EN6thrust23THRUST_200600_302600_NS6detail15normal_iteratorINS8_10device_ptrIbEEEESD_NSA_INSB_IiEEEESF_jNS0_19identity_decomposerENS1_16block_id_wrapperIjLb0EEEEE10hipError_tT1_PNSt15iterator_traitsISK_E10value_typeET2_T3_PNSL_ISQ_E10value_typeET4_T5_PSV_SW_PNS1_23onesweep_lookback_stateEbbT6_jjT7_P12ihipStream_tbENKUlT_T0_SK_SP_E_clISD_SD_SF_SF_EEDaS13_S14_SK_SP_EUlS13_E_NS1_11comp_targetILNS1_3genE2ELNS1_11target_archE906ELNS1_3gpuE6ELNS1_3repE0EEENS1_47radix_sort_onesweep_sort_config_static_selectorELNS0_4arch9wavefront6targetE1EEEvSK_: ; @_ZN7rocprim17ROCPRIM_400000_NS6detail17trampoline_kernelINS0_14default_configENS1_35radix_sort_onesweep_config_selectorIbiEEZZNS1_29radix_sort_onesweep_iterationIS3_Lb0EN6thrust23THRUST_200600_302600_NS6detail15normal_iteratorINS8_10device_ptrIbEEEESD_NSA_INSB_IiEEEESF_jNS0_19identity_decomposerENS1_16block_id_wrapperIjLb0EEEEE10hipError_tT1_PNSt15iterator_traitsISK_E10value_typeET2_T3_PNSL_ISQ_E10value_typeET4_T5_PSV_SW_PNS1_23onesweep_lookback_stateEbbT6_jjT7_P12ihipStream_tbENKUlT_T0_SK_SP_E_clISD_SD_SF_SF_EEDaS13_S14_SK_SP_EUlS13_E_NS1_11comp_targetILNS1_3genE2ELNS1_11target_archE906ELNS1_3gpuE6ELNS1_3repE0EEENS1_47radix_sort_onesweep_sort_config_static_selectorELNS0_4arch9wavefront6targetE1EEEvSK_
; %bb.0:
	.section	.rodata,"a",@progbits
	.p2align	6, 0x0
	.amdhsa_kernel _ZN7rocprim17ROCPRIM_400000_NS6detail17trampoline_kernelINS0_14default_configENS1_35radix_sort_onesweep_config_selectorIbiEEZZNS1_29radix_sort_onesweep_iterationIS3_Lb0EN6thrust23THRUST_200600_302600_NS6detail15normal_iteratorINS8_10device_ptrIbEEEESD_NSA_INSB_IiEEEESF_jNS0_19identity_decomposerENS1_16block_id_wrapperIjLb0EEEEE10hipError_tT1_PNSt15iterator_traitsISK_E10value_typeET2_T3_PNSL_ISQ_E10value_typeET4_T5_PSV_SW_PNS1_23onesweep_lookback_stateEbbT6_jjT7_P12ihipStream_tbENKUlT_T0_SK_SP_E_clISD_SD_SF_SF_EEDaS13_S14_SK_SP_EUlS13_E_NS1_11comp_targetILNS1_3genE2ELNS1_11target_archE906ELNS1_3gpuE6ELNS1_3repE0EEENS1_47radix_sort_onesweep_sort_config_static_selectorELNS0_4arch9wavefront6targetE1EEEvSK_
		.amdhsa_group_segment_fixed_size 0
		.amdhsa_private_segment_fixed_size 0
		.amdhsa_kernarg_size 88
		.amdhsa_user_sgpr_count 2
		.amdhsa_user_sgpr_dispatch_ptr 0
		.amdhsa_user_sgpr_queue_ptr 0
		.amdhsa_user_sgpr_kernarg_segment_ptr 1
		.amdhsa_user_sgpr_dispatch_id 0
		.amdhsa_user_sgpr_kernarg_preload_length 0
		.amdhsa_user_sgpr_kernarg_preload_offset 0
		.amdhsa_user_sgpr_private_segment_size 0
		.amdhsa_uses_dynamic_stack 0
		.amdhsa_enable_private_segment 0
		.amdhsa_system_sgpr_workgroup_id_x 1
		.amdhsa_system_sgpr_workgroup_id_y 0
		.amdhsa_system_sgpr_workgroup_id_z 0
		.amdhsa_system_sgpr_workgroup_info 0
		.amdhsa_system_vgpr_workitem_id 0
		.amdhsa_next_free_vgpr 1
		.amdhsa_next_free_sgpr 0
		.amdhsa_accum_offset 4
		.amdhsa_reserve_vcc 0
		.amdhsa_float_round_mode_32 0
		.amdhsa_float_round_mode_16_64 0
		.amdhsa_float_denorm_mode_32 3
		.amdhsa_float_denorm_mode_16_64 3
		.amdhsa_dx10_clamp 1
		.amdhsa_ieee_mode 1
		.amdhsa_fp16_overflow 0
		.amdhsa_tg_split 0
		.amdhsa_exception_fp_ieee_invalid_op 0
		.amdhsa_exception_fp_denorm_src 0
		.amdhsa_exception_fp_ieee_div_zero 0
		.amdhsa_exception_fp_ieee_overflow 0
		.amdhsa_exception_fp_ieee_underflow 0
		.amdhsa_exception_fp_ieee_inexact 0
		.amdhsa_exception_int_div_zero 0
	.end_amdhsa_kernel
	.section	.text._ZN7rocprim17ROCPRIM_400000_NS6detail17trampoline_kernelINS0_14default_configENS1_35radix_sort_onesweep_config_selectorIbiEEZZNS1_29radix_sort_onesweep_iterationIS3_Lb0EN6thrust23THRUST_200600_302600_NS6detail15normal_iteratorINS8_10device_ptrIbEEEESD_NSA_INSB_IiEEEESF_jNS0_19identity_decomposerENS1_16block_id_wrapperIjLb0EEEEE10hipError_tT1_PNSt15iterator_traitsISK_E10value_typeET2_T3_PNSL_ISQ_E10value_typeET4_T5_PSV_SW_PNS1_23onesweep_lookback_stateEbbT6_jjT7_P12ihipStream_tbENKUlT_T0_SK_SP_E_clISD_SD_SF_SF_EEDaS13_S14_SK_SP_EUlS13_E_NS1_11comp_targetILNS1_3genE2ELNS1_11target_archE906ELNS1_3gpuE6ELNS1_3repE0EEENS1_47radix_sort_onesweep_sort_config_static_selectorELNS0_4arch9wavefront6targetE1EEEvSK_,"axG",@progbits,_ZN7rocprim17ROCPRIM_400000_NS6detail17trampoline_kernelINS0_14default_configENS1_35radix_sort_onesweep_config_selectorIbiEEZZNS1_29radix_sort_onesweep_iterationIS3_Lb0EN6thrust23THRUST_200600_302600_NS6detail15normal_iteratorINS8_10device_ptrIbEEEESD_NSA_INSB_IiEEEESF_jNS0_19identity_decomposerENS1_16block_id_wrapperIjLb0EEEEE10hipError_tT1_PNSt15iterator_traitsISK_E10value_typeET2_T3_PNSL_ISQ_E10value_typeET4_T5_PSV_SW_PNS1_23onesweep_lookback_stateEbbT6_jjT7_P12ihipStream_tbENKUlT_T0_SK_SP_E_clISD_SD_SF_SF_EEDaS13_S14_SK_SP_EUlS13_E_NS1_11comp_targetILNS1_3genE2ELNS1_11target_archE906ELNS1_3gpuE6ELNS1_3repE0EEENS1_47radix_sort_onesweep_sort_config_static_selectorELNS0_4arch9wavefront6targetE1EEEvSK_,comdat
.Lfunc_end2071:
	.size	_ZN7rocprim17ROCPRIM_400000_NS6detail17trampoline_kernelINS0_14default_configENS1_35radix_sort_onesweep_config_selectorIbiEEZZNS1_29radix_sort_onesweep_iterationIS3_Lb0EN6thrust23THRUST_200600_302600_NS6detail15normal_iteratorINS8_10device_ptrIbEEEESD_NSA_INSB_IiEEEESF_jNS0_19identity_decomposerENS1_16block_id_wrapperIjLb0EEEEE10hipError_tT1_PNSt15iterator_traitsISK_E10value_typeET2_T3_PNSL_ISQ_E10value_typeET4_T5_PSV_SW_PNS1_23onesweep_lookback_stateEbbT6_jjT7_P12ihipStream_tbENKUlT_T0_SK_SP_E_clISD_SD_SF_SF_EEDaS13_S14_SK_SP_EUlS13_E_NS1_11comp_targetILNS1_3genE2ELNS1_11target_archE906ELNS1_3gpuE6ELNS1_3repE0EEENS1_47radix_sort_onesweep_sort_config_static_selectorELNS0_4arch9wavefront6targetE1EEEvSK_, .Lfunc_end2071-_ZN7rocprim17ROCPRIM_400000_NS6detail17trampoline_kernelINS0_14default_configENS1_35radix_sort_onesweep_config_selectorIbiEEZZNS1_29radix_sort_onesweep_iterationIS3_Lb0EN6thrust23THRUST_200600_302600_NS6detail15normal_iteratorINS8_10device_ptrIbEEEESD_NSA_INSB_IiEEEESF_jNS0_19identity_decomposerENS1_16block_id_wrapperIjLb0EEEEE10hipError_tT1_PNSt15iterator_traitsISK_E10value_typeET2_T3_PNSL_ISQ_E10value_typeET4_T5_PSV_SW_PNS1_23onesweep_lookback_stateEbbT6_jjT7_P12ihipStream_tbENKUlT_T0_SK_SP_E_clISD_SD_SF_SF_EEDaS13_S14_SK_SP_EUlS13_E_NS1_11comp_targetILNS1_3genE2ELNS1_11target_archE906ELNS1_3gpuE6ELNS1_3repE0EEENS1_47radix_sort_onesweep_sort_config_static_selectorELNS0_4arch9wavefront6targetE1EEEvSK_
                                        ; -- End function
	.set _ZN7rocprim17ROCPRIM_400000_NS6detail17trampoline_kernelINS0_14default_configENS1_35radix_sort_onesweep_config_selectorIbiEEZZNS1_29radix_sort_onesweep_iterationIS3_Lb0EN6thrust23THRUST_200600_302600_NS6detail15normal_iteratorINS8_10device_ptrIbEEEESD_NSA_INSB_IiEEEESF_jNS0_19identity_decomposerENS1_16block_id_wrapperIjLb0EEEEE10hipError_tT1_PNSt15iterator_traitsISK_E10value_typeET2_T3_PNSL_ISQ_E10value_typeET4_T5_PSV_SW_PNS1_23onesweep_lookback_stateEbbT6_jjT7_P12ihipStream_tbENKUlT_T0_SK_SP_E_clISD_SD_SF_SF_EEDaS13_S14_SK_SP_EUlS13_E_NS1_11comp_targetILNS1_3genE2ELNS1_11target_archE906ELNS1_3gpuE6ELNS1_3repE0EEENS1_47radix_sort_onesweep_sort_config_static_selectorELNS0_4arch9wavefront6targetE1EEEvSK_.num_vgpr, 0
	.set _ZN7rocprim17ROCPRIM_400000_NS6detail17trampoline_kernelINS0_14default_configENS1_35radix_sort_onesweep_config_selectorIbiEEZZNS1_29radix_sort_onesweep_iterationIS3_Lb0EN6thrust23THRUST_200600_302600_NS6detail15normal_iteratorINS8_10device_ptrIbEEEESD_NSA_INSB_IiEEEESF_jNS0_19identity_decomposerENS1_16block_id_wrapperIjLb0EEEEE10hipError_tT1_PNSt15iterator_traitsISK_E10value_typeET2_T3_PNSL_ISQ_E10value_typeET4_T5_PSV_SW_PNS1_23onesweep_lookback_stateEbbT6_jjT7_P12ihipStream_tbENKUlT_T0_SK_SP_E_clISD_SD_SF_SF_EEDaS13_S14_SK_SP_EUlS13_E_NS1_11comp_targetILNS1_3genE2ELNS1_11target_archE906ELNS1_3gpuE6ELNS1_3repE0EEENS1_47radix_sort_onesweep_sort_config_static_selectorELNS0_4arch9wavefront6targetE1EEEvSK_.num_agpr, 0
	.set _ZN7rocprim17ROCPRIM_400000_NS6detail17trampoline_kernelINS0_14default_configENS1_35radix_sort_onesweep_config_selectorIbiEEZZNS1_29radix_sort_onesweep_iterationIS3_Lb0EN6thrust23THRUST_200600_302600_NS6detail15normal_iteratorINS8_10device_ptrIbEEEESD_NSA_INSB_IiEEEESF_jNS0_19identity_decomposerENS1_16block_id_wrapperIjLb0EEEEE10hipError_tT1_PNSt15iterator_traitsISK_E10value_typeET2_T3_PNSL_ISQ_E10value_typeET4_T5_PSV_SW_PNS1_23onesweep_lookback_stateEbbT6_jjT7_P12ihipStream_tbENKUlT_T0_SK_SP_E_clISD_SD_SF_SF_EEDaS13_S14_SK_SP_EUlS13_E_NS1_11comp_targetILNS1_3genE2ELNS1_11target_archE906ELNS1_3gpuE6ELNS1_3repE0EEENS1_47radix_sort_onesweep_sort_config_static_selectorELNS0_4arch9wavefront6targetE1EEEvSK_.numbered_sgpr, 0
	.set _ZN7rocprim17ROCPRIM_400000_NS6detail17trampoline_kernelINS0_14default_configENS1_35radix_sort_onesweep_config_selectorIbiEEZZNS1_29radix_sort_onesweep_iterationIS3_Lb0EN6thrust23THRUST_200600_302600_NS6detail15normal_iteratorINS8_10device_ptrIbEEEESD_NSA_INSB_IiEEEESF_jNS0_19identity_decomposerENS1_16block_id_wrapperIjLb0EEEEE10hipError_tT1_PNSt15iterator_traitsISK_E10value_typeET2_T3_PNSL_ISQ_E10value_typeET4_T5_PSV_SW_PNS1_23onesweep_lookback_stateEbbT6_jjT7_P12ihipStream_tbENKUlT_T0_SK_SP_E_clISD_SD_SF_SF_EEDaS13_S14_SK_SP_EUlS13_E_NS1_11comp_targetILNS1_3genE2ELNS1_11target_archE906ELNS1_3gpuE6ELNS1_3repE0EEENS1_47radix_sort_onesweep_sort_config_static_selectorELNS0_4arch9wavefront6targetE1EEEvSK_.num_named_barrier, 0
	.set _ZN7rocprim17ROCPRIM_400000_NS6detail17trampoline_kernelINS0_14default_configENS1_35radix_sort_onesweep_config_selectorIbiEEZZNS1_29radix_sort_onesweep_iterationIS3_Lb0EN6thrust23THRUST_200600_302600_NS6detail15normal_iteratorINS8_10device_ptrIbEEEESD_NSA_INSB_IiEEEESF_jNS0_19identity_decomposerENS1_16block_id_wrapperIjLb0EEEEE10hipError_tT1_PNSt15iterator_traitsISK_E10value_typeET2_T3_PNSL_ISQ_E10value_typeET4_T5_PSV_SW_PNS1_23onesweep_lookback_stateEbbT6_jjT7_P12ihipStream_tbENKUlT_T0_SK_SP_E_clISD_SD_SF_SF_EEDaS13_S14_SK_SP_EUlS13_E_NS1_11comp_targetILNS1_3genE2ELNS1_11target_archE906ELNS1_3gpuE6ELNS1_3repE0EEENS1_47radix_sort_onesweep_sort_config_static_selectorELNS0_4arch9wavefront6targetE1EEEvSK_.private_seg_size, 0
	.set _ZN7rocprim17ROCPRIM_400000_NS6detail17trampoline_kernelINS0_14default_configENS1_35radix_sort_onesweep_config_selectorIbiEEZZNS1_29radix_sort_onesweep_iterationIS3_Lb0EN6thrust23THRUST_200600_302600_NS6detail15normal_iteratorINS8_10device_ptrIbEEEESD_NSA_INSB_IiEEEESF_jNS0_19identity_decomposerENS1_16block_id_wrapperIjLb0EEEEE10hipError_tT1_PNSt15iterator_traitsISK_E10value_typeET2_T3_PNSL_ISQ_E10value_typeET4_T5_PSV_SW_PNS1_23onesweep_lookback_stateEbbT6_jjT7_P12ihipStream_tbENKUlT_T0_SK_SP_E_clISD_SD_SF_SF_EEDaS13_S14_SK_SP_EUlS13_E_NS1_11comp_targetILNS1_3genE2ELNS1_11target_archE906ELNS1_3gpuE6ELNS1_3repE0EEENS1_47radix_sort_onesweep_sort_config_static_selectorELNS0_4arch9wavefront6targetE1EEEvSK_.uses_vcc, 0
	.set _ZN7rocprim17ROCPRIM_400000_NS6detail17trampoline_kernelINS0_14default_configENS1_35radix_sort_onesweep_config_selectorIbiEEZZNS1_29radix_sort_onesweep_iterationIS3_Lb0EN6thrust23THRUST_200600_302600_NS6detail15normal_iteratorINS8_10device_ptrIbEEEESD_NSA_INSB_IiEEEESF_jNS0_19identity_decomposerENS1_16block_id_wrapperIjLb0EEEEE10hipError_tT1_PNSt15iterator_traitsISK_E10value_typeET2_T3_PNSL_ISQ_E10value_typeET4_T5_PSV_SW_PNS1_23onesweep_lookback_stateEbbT6_jjT7_P12ihipStream_tbENKUlT_T0_SK_SP_E_clISD_SD_SF_SF_EEDaS13_S14_SK_SP_EUlS13_E_NS1_11comp_targetILNS1_3genE2ELNS1_11target_archE906ELNS1_3gpuE6ELNS1_3repE0EEENS1_47radix_sort_onesweep_sort_config_static_selectorELNS0_4arch9wavefront6targetE1EEEvSK_.uses_flat_scratch, 0
	.set _ZN7rocprim17ROCPRIM_400000_NS6detail17trampoline_kernelINS0_14default_configENS1_35radix_sort_onesweep_config_selectorIbiEEZZNS1_29radix_sort_onesweep_iterationIS3_Lb0EN6thrust23THRUST_200600_302600_NS6detail15normal_iteratorINS8_10device_ptrIbEEEESD_NSA_INSB_IiEEEESF_jNS0_19identity_decomposerENS1_16block_id_wrapperIjLb0EEEEE10hipError_tT1_PNSt15iterator_traitsISK_E10value_typeET2_T3_PNSL_ISQ_E10value_typeET4_T5_PSV_SW_PNS1_23onesweep_lookback_stateEbbT6_jjT7_P12ihipStream_tbENKUlT_T0_SK_SP_E_clISD_SD_SF_SF_EEDaS13_S14_SK_SP_EUlS13_E_NS1_11comp_targetILNS1_3genE2ELNS1_11target_archE906ELNS1_3gpuE6ELNS1_3repE0EEENS1_47radix_sort_onesweep_sort_config_static_selectorELNS0_4arch9wavefront6targetE1EEEvSK_.has_dyn_sized_stack, 0
	.set _ZN7rocprim17ROCPRIM_400000_NS6detail17trampoline_kernelINS0_14default_configENS1_35radix_sort_onesweep_config_selectorIbiEEZZNS1_29radix_sort_onesweep_iterationIS3_Lb0EN6thrust23THRUST_200600_302600_NS6detail15normal_iteratorINS8_10device_ptrIbEEEESD_NSA_INSB_IiEEEESF_jNS0_19identity_decomposerENS1_16block_id_wrapperIjLb0EEEEE10hipError_tT1_PNSt15iterator_traitsISK_E10value_typeET2_T3_PNSL_ISQ_E10value_typeET4_T5_PSV_SW_PNS1_23onesweep_lookback_stateEbbT6_jjT7_P12ihipStream_tbENKUlT_T0_SK_SP_E_clISD_SD_SF_SF_EEDaS13_S14_SK_SP_EUlS13_E_NS1_11comp_targetILNS1_3genE2ELNS1_11target_archE906ELNS1_3gpuE6ELNS1_3repE0EEENS1_47radix_sort_onesweep_sort_config_static_selectorELNS0_4arch9wavefront6targetE1EEEvSK_.has_recursion, 0
	.set _ZN7rocprim17ROCPRIM_400000_NS6detail17trampoline_kernelINS0_14default_configENS1_35radix_sort_onesweep_config_selectorIbiEEZZNS1_29radix_sort_onesweep_iterationIS3_Lb0EN6thrust23THRUST_200600_302600_NS6detail15normal_iteratorINS8_10device_ptrIbEEEESD_NSA_INSB_IiEEEESF_jNS0_19identity_decomposerENS1_16block_id_wrapperIjLb0EEEEE10hipError_tT1_PNSt15iterator_traitsISK_E10value_typeET2_T3_PNSL_ISQ_E10value_typeET4_T5_PSV_SW_PNS1_23onesweep_lookback_stateEbbT6_jjT7_P12ihipStream_tbENKUlT_T0_SK_SP_E_clISD_SD_SF_SF_EEDaS13_S14_SK_SP_EUlS13_E_NS1_11comp_targetILNS1_3genE2ELNS1_11target_archE906ELNS1_3gpuE6ELNS1_3repE0EEENS1_47radix_sort_onesweep_sort_config_static_selectorELNS0_4arch9wavefront6targetE1EEEvSK_.has_indirect_call, 0
	.section	.AMDGPU.csdata,"",@progbits
; Kernel info:
; codeLenInByte = 0
; TotalNumSgprs: 6
; NumVgprs: 0
; NumAgprs: 0
; TotalNumVgprs: 0
; ScratchSize: 0
; MemoryBound: 0
; FloatMode: 240
; IeeeMode: 1
; LDSByteSize: 0 bytes/workgroup (compile time only)
; SGPRBlocks: 0
; VGPRBlocks: 0
; NumSGPRsForWavesPerEU: 6
; NumVGPRsForWavesPerEU: 1
; AccumOffset: 4
; Occupancy: 8
; WaveLimiterHint : 0
; COMPUTE_PGM_RSRC2:SCRATCH_EN: 0
; COMPUTE_PGM_RSRC2:USER_SGPR: 2
; COMPUTE_PGM_RSRC2:TRAP_HANDLER: 0
; COMPUTE_PGM_RSRC2:TGID_X_EN: 1
; COMPUTE_PGM_RSRC2:TGID_Y_EN: 0
; COMPUTE_PGM_RSRC2:TGID_Z_EN: 0
; COMPUTE_PGM_RSRC2:TIDIG_COMP_CNT: 0
; COMPUTE_PGM_RSRC3_GFX90A:ACCUM_OFFSET: 0
; COMPUTE_PGM_RSRC3_GFX90A:TG_SPLIT: 0
	.section	.text._ZN7rocprim17ROCPRIM_400000_NS6detail17trampoline_kernelINS0_14default_configENS1_35radix_sort_onesweep_config_selectorIbiEEZZNS1_29radix_sort_onesweep_iterationIS3_Lb0EN6thrust23THRUST_200600_302600_NS6detail15normal_iteratorINS8_10device_ptrIbEEEESD_NSA_INSB_IiEEEESF_jNS0_19identity_decomposerENS1_16block_id_wrapperIjLb0EEEEE10hipError_tT1_PNSt15iterator_traitsISK_E10value_typeET2_T3_PNSL_ISQ_E10value_typeET4_T5_PSV_SW_PNS1_23onesweep_lookback_stateEbbT6_jjT7_P12ihipStream_tbENKUlT_T0_SK_SP_E_clISD_SD_SF_SF_EEDaS13_S14_SK_SP_EUlS13_E_NS1_11comp_targetILNS1_3genE4ELNS1_11target_archE910ELNS1_3gpuE8ELNS1_3repE0EEENS1_47radix_sort_onesweep_sort_config_static_selectorELNS0_4arch9wavefront6targetE1EEEvSK_,"axG",@progbits,_ZN7rocprim17ROCPRIM_400000_NS6detail17trampoline_kernelINS0_14default_configENS1_35radix_sort_onesweep_config_selectorIbiEEZZNS1_29radix_sort_onesweep_iterationIS3_Lb0EN6thrust23THRUST_200600_302600_NS6detail15normal_iteratorINS8_10device_ptrIbEEEESD_NSA_INSB_IiEEEESF_jNS0_19identity_decomposerENS1_16block_id_wrapperIjLb0EEEEE10hipError_tT1_PNSt15iterator_traitsISK_E10value_typeET2_T3_PNSL_ISQ_E10value_typeET4_T5_PSV_SW_PNS1_23onesweep_lookback_stateEbbT6_jjT7_P12ihipStream_tbENKUlT_T0_SK_SP_E_clISD_SD_SF_SF_EEDaS13_S14_SK_SP_EUlS13_E_NS1_11comp_targetILNS1_3genE4ELNS1_11target_archE910ELNS1_3gpuE8ELNS1_3repE0EEENS1_47radix_sort_onesweep_sort_config_static_selectorELNS0_4arch9wavefront6targetE1EEEvSK_,comdat
	.protected	_ZN7rocprim17ROCPRIM_400000_NS6detail17trampoline_kernelINS0_14default_configENS1_35radix_sort_onesweep_config_selectorIbiEEZZNS1_29radix_sort_onesweep_iterationIS3_Lb0EN6thrust23THRUST_200600_302600_NS6detail15normal_iteratorINS8_10device_ptrIbEEEESD_NSA_INSB_IiEEEESF_jNS0_19identity_decomposerENS1_16block_id_wrapperIjLb0EEEEE10hipError_tT1_PNSt15iterator_traitsISK_E10value_typeET2_T3_PNSL_ISQ_E10value_typeET4_T5_PSV_SW_PNS1_23onesweep_lookback_stateEbbT6_jjT7_P12ihipStream_tbENKUlT_T0_SK_SP_E_clISD_SD_SF_SF_EEDaS13_S14_SK_SP_EUlS13_E_NS1_11comp_targetILNS1_3genE4ELNS1_11target_archE910ELNS1_3gpuE8ELNS1_3repE0EEENS1_47radix_sort_onesweep_sort_config_static_selectorELNS0_4arch9wavefront6targetE1EEEvSK_ ; -- Begin function _ZN7rocprim17ROCPRIM_400000_NS6detail17trampoline_kernelINS0_14default_configENS1_35radix_sort_onesweep_config_selectorIbiEEZZNS1_29radix_sort_onesweep_iterationIS3_Lb0EN6thrust23THRUST_200600_302600_NS6detail15normal_iteratorINS8_10device_ptrIbEEEESD_NSA_INSB_IiEEEESF_jNS0_19identity_decomposerENS1_16block_id_wrapperIjLb0EEEEE10hipError_tT1_PNSt15iterator_traitsISK_E10value_typeET2_T3_PNSL_ISQ_E10value_typeET4_T5_PSV_SW_PNS1_23onesweep_lookback_stateEbbT6_jjT7_P12ihipStream_tbENKUlT_T0_SK_SP_E_clISD_SD_SF_SF_EEDaS13_S14_SK_SP_EUlS13_E_NS1_11comp_targetILNS1_3genE4ELNS1_11target_archE910ELNS1_3gpuE8ELNS1_3repE0EEENS1_47radix_sort_onesweep_sort_config_static_selectorELNS0_4arch9wavefront6targetE1EEEvSK_
	.globl	_ZN7rocprim17ROCPRIM_400000_NS6detail17trampoline_kernelINS0_14default_configENS1_35radix_sort_onesweep_config_selectorIbiEEZZNS1_29radix_sort_onesweep_iterationIS3_Lb0EN6thrust23THRUST_200600_302600_NS6detail15normal_iteratorINS8_10device_ptrIbEEEESD_NSA_INSB_IiEEEESF_jNS0_19identity_decomposerENS1_16block_id_wrapperIjLb0EEEEE10hipError_tT1_PNSt15iterator_traitsISK_E10value_typeET2_T3_PNSL_ISQ_E10value_typeET4_T5_PSV_SW_PNS1_23onesweep_lookback_stateEbbT6_jjT7_P12ihipStream_tbENKUlT_T0_SK_SP_E_clISD_SD_SF_SF_EEDaS13_S14_SK_SP_EUlS13_E_NS1_11comp_targetILNS1_3genE4ELNS1_11target_archE910ELNS1_3gpuE8ELNS1_3repE0EEENS1_47radix_sort_onesweep_sort_config_static_selectorELNS0_4arch9wavefront6targetE1EEEvSK_
	.p2align	8
	.type	_ZN7rocprim17ROCPRIM_400000_NS6detail17trampoline_kernelINS0_14default_configENS1_35radix_sort_onesweep_config_selectorIbiEEZZNS1_29radix_sort_onesweep_iterationIS3_Lb0EN6thrust23THRUST_200600_302600_NS6detail15normal_iteratorINS8_10device_ptrIbEEEESD_NSA_INSB_IiEEEESF_jNS0_19identity_decomposerENS1_16block_id_wrapperIjLb0EEEEE10hipError_tT1_PNSt15iterator_traitsISK_E10value_typeET2_T3_PNSL_ISQ_E10value_typeET4_T5_PSV_SW_PNS1_23onesweep_lookback_stateEbbT6_jjT7_P12ihipStream_tbENKUlT_T0_SK_SP_E_clISD_SD_SF_SF_EEDaS13_S14_SK_SP_EUlS13_E_NS1_11comp_targetILNS1_3genE4ELNS1_11target_archE910ELNS1_3gpuE8ELNS1_3repE0EEENS1_47radix_sort_onesweep_sort_config_static_selectorELNS0_4arch9wavefront6targetE1EEEvSK_,@function
_ZN7rocprim17ROCPRIM_400000_NS6detail17trampoline_kernelINS0_14default_configENS1_35radix_sort_onesweep_config_selectorIbiEEZZNS1_29radix_sort_onesweep_iterationIS3_Lb0EN6thrust23THRUST_200600_302600_NS6detail15normal_iteratorINS8_10device_ptrIbEEEESD_NSA_INSB_IiEEEESF_jNS0_19identity_decomposerENS1_16block_id_wrapperIjLb0EEEEE10hipError_tT1_PNSt15iterator_traitsISK_E10value_typeET2_T3_PNSL_ISQ_E10value_typeET4_T5_PSV_SW_PNS1_23onesweep_lookback_stateEbbT6_jjT7_P12ihipStream_tbENKUlT_T0_SK_SP_E_clISD_SD_SF_SF_EEDaS13_S14_SK_SP_EUlS13_E_NS1_11comp_targetILNS1_3genE4ELNS1_11target_archE910ELNS1_3gpuE8ELNS1_3repE0EEENS1_47radix_sort_onesweep_sort_config_static_selectorELNS0_4arch9wavefront6targetE1EEEvSK_: ; @_ZN7rocprim17ROCPRIM_400000_NS6detail17trampoline_kernelINS0_14default_configENS1_35radix_sort_onesweep_config_selectorIbiEEZZNS1_29radix_sort_onesweep_iterationIS3_Lb0EN6thrust23THRUST_200600_302600_NS6detail15normal_iteratorINS8_10device_ptrIbEEEESD_NSA_INSB_IiEEEESF_jNS0_19identity_decomposerENS1_16block_id_wrapperIjLb0EEEEE10hipError_tT1_PNSt15iterator_traitsISK_E10value_typeET2_T3_PNSL_ISQ_E10value_typeET4_T5_PSV_SW_PNS1_23onesweep_lookback_stateEbbT6_jjT7_P12ihipStream_tbENKUlT_T0_SK_SP_E_clISD_SD_SF_SF_EEDaS13_S14_SK_SP_EUlS13_E_NS1_11comp_targetILNS1_3genE4ELNS1_11target_archE910ELNS1_3gpuE8ELNS1_3repE0EEENS1_47radix_sort_onesweep_sort_config_static_selectorELNS0_4arch9wavefront6targetE1EEEvSK_
; %bb.0:
	.section	.rodata,"a",@progbits
	.p2align	6, 0x0
	.amdhsa_kernel _ZN7rocprim17ROCPRIM_400000_NS6detail17trampoline_kernelINS0_14default_configENS1_35radix_sort_onesweep_config_selectorIbiEEZZNS1_29radix_sort_onesweep_iterationIS3_Lb0EN6thrust23THRUST_200600_302600_NS6detail15normal_iteratorINS8_10device_ptrIbEEEESD_NSA_INSB_IiEEEESF_jNS0_19identity_decomposerENS1_16block_id_wrapperIjLb0EEEEE10hipError_tT1_PNSt15iterator_traitsISK_E10value_typeET2_T3_PNSL_ISQ_E10value_typeET4_T5_PSV_SW_PNS1_23onesweep_lookback_stateEbbT6_jjT7_P12ihipStream_tbENKUlT_T0_SK_SP_E_clISD_SD_SF_SF_EEDaS13_S14_SK_SP_EUlS13_E_NS1_11comp_targetILNS1_3genE4ELNS1_11target_archE910ELNS1_3gpuE8ELNS1_3repE0EEENS1_47radix_sort_onesweep_sort_config_static_selectorELNS0_4arch9wavefront6targetE1EEEvSK_
		.amdhsa_group_segment_fixed_size 0
		.amdhsa_private_segment_fixed_size 0
		.amdhsa_kernarg_size 88
		.amdhsa_user_sgpr_count 2
		.amdhsa_user_sgpr_dispatch_ptr 0
		.amdhsa_user_sgpr_queue_ptr 0
		.amdhsa_user_sgpr_kernarg_segment_ptr 1
		.amdhsa_user_sgpr_dispatch_id 0
		.amdhsa_user_sgpr_kernarg_preload_length 0
		.amdhsa_user_sgpr_kernarg_preload_offset 0
		.amdhsa_user_sgpr_private_segment_size 0
		.amdhsa_uses_dynamic_stack 0
		.amdhsa_enable_private_segment 0
		.amdhsa_system_sgpr_workgroup_id_x 1
		.amdhsa_system_sgpr_workgroup_id_y 0
		.amdhsa_system_sgpr_workgroup_id_z 0
		.amdhsa_system_sgpr_workgroup_info 0
		.amdhsa_system_vgpr_workitem_id 0
		.amdhsa_next_free_vgpr 1
		.amdhsa_next_free_sgpr 0
		.amdhsa_accum_offset 4
		.amdhsa_reserve_vcc 0
		.amdhsa_float_round_mode_32 0
		.amdhsa_float_round_mode_16_64 0
		.amdhsa_float_denorm_mode_32 3
		.amdhsa_float_denorm_mode_16_64 3
		.amdhsa_dx10_clamp 1
		.amdhsa_ieee_mode 1
		.amdhsa_fp16_overflow 0
		.amdhsa_tg_split 0
		.amdhsa_exception_fp_ieee_invalid_op 0
		.amdhsa_exception_fp_denorm_src 0
		.amdhsa_exception_fp_ieee_div_zero 0
		.amdhsa_exception_fp_ieee_overflow 0
		.amdhsa_exception_fp_ieee_underflow 0
		.amdhsa_exception_fp_ieee_inexact 0
		.amdhsa_exception_int_div_zero 0
	.end_amdhsa_kernel
	.section	.text._ZN7rocprim17ROCPRIM_400000_NS6detail17trampoline_kernelINS0_14default_configENS1_35radix_sort_onesweep_config_selectorIbiEEZZNS1_29radix_sort_onesweep_iterationIS3_Lb0EN6thrust23THRUST_200600_302600_NS6detail15normal_iteratorINS8_10device_ptrIbEEEESD_NSA_INSB_IiEEEESF_jNS0_19identity_decomposerENS1_16block_id_wrapperIjLb0EEEEE10hipError_tT1_PNSt15iterator_traitsISK_E10value_typeET2_T3_PNSL_ISQ_E10value_typeET4_T5_PSV_SW_PNS1_23onesweep_lookback_stateEbbT6_jjT7_P12ihipStream_tbENKUlT_T0_SK_SP_E_clISD_SD_SF_SF_EEDaS13_S14_SK_SP_EUlS13_E_NS1_11comp_targetILNS1_3genE4ELNS1_11target_archE910ELNS1_3gpuE8ELNS1_3repE0EEENS1_47radix_sort_onesweep_sort_config_static_selectorELNS0_4arch9wavefront6targetE1EEEvSK_,"axG",@progbits,_ZN7rocprim17ROCPRIM_400000_NS6detail17trampoline_kernelINS0_14default_configENS1_35radix_sort_onesweep_config_selectorIbiEEZZNS1_29radix_sort_onesweep_iterationIS3_Lb0EN6thrust23THRUST_200600_302600_NS6detail15normal_iteratorINS8_10device_ptrIbEEEESD_NSA_INSB_IiEEEESF_jNS0_19identity_decomposerENS1_16block_id_wrapperIjLb0EEEEE10hipError_tT1_PNSt15iterator_traitsISK_E10value_typeET2_T3_PNSL_ISQ_E10value_typeET4_T5_PSV_SW_PNS1_23onesweep_lookback_stateEbbT6_jjT7_P12ihipStream_tbENKUlT_T0_SK_SP_E_clISD_SD_SF_SF_EEDaS13_S14_SK_SP_EUlS13_E_NS1_11comp_targetILNS1_3genE4ELNS1_11target_archE910ELNS1_3gpuE8ELNS1_3repE0EEENS1_47radix_sort_onesweep_sort_config_static_selectorELNS0_4arch9wavefront6targetE1EEEvSK_,comdat
.Lfunc_end2072:
	.size	_ZN7rocprim17ROCPRIM_400000_NS6detail17trampoline_kernelINS0_14default_configENS1_35radix_sort_onesweep_config_selectorIbiEEZZNS1_29radix_sort_onesweep_iterationIS3_Lb0EN6thrust23THRUST_200600_302600_NS6detail15normal_iteratorINS8_10device_ptrIbEEEESD_NSA_INSB_IiEEEESF_jNS0_19identity_decomposerENS1_16block_id_wrapperIjLb0EEEEE10hipError_tT1_PNSt15iterator_traitsISK_E10value_typeET2_T3_PNSL_ISQ_E10value_typeET4_T5_PSV_SW_PNS1_23onesweep_lookback_stateEbbT6_jjT7_P12ihipStream_tbENKUlT_T0_SK_SP_E_clISD_SD_SF_SF_EEDaS13_S14_SK_SP_EUlS13_E_NS1_11comp_targetILNS1_3genE4ELNS1_11target_archE910ELNS1_3gpuE8ELNS1_3repE0EEENS1_47radix_sort_onesweep_sort_config_static_selectorELNS0_4arch9wavefront6targetE1EEEvSK_, .Lfunc_end2072-_ZN7rocprim17ROCPRIM_400000_NS6detail17trampoline_kernelINS0_14default_configENS1_35radix_sort_onesweep_config_selectorIbiEEZZNS1_29radix_sort_onesweep_iterationIS3_Lb0EN6thrust23THRUST_200600_302600_NS6detail15normal_iteratorINS8_10device_ptrIbEEEESD_NSA_INSB_IiEEEESF_jNS0_19identity_decomposerENS1_16block_id_wrapperIjLb0EEEEE10hipError_tT1_PNSt15iterator_traitsISK_E10value_typeET2_T3_PNSL_ISQ_E10value_typeET4_T5_PSV_SW_PNS1_23onesweep_lookback_stateEbbT6_jjT7_P12ihipStream_tbENKUlT_T0_SK_SP_E_clISD_SD_SF_SF_EEDaS13_S14_SK_SP_EUlS13_E_NS1_11comp_targetILNS1_3genE4ELNS1_11target_archE910ELNS1_3gpuE8ELNS1_3repE0EEENS1_47radix_sort_onesweep_sort_config_static_selectorELNS0_4arch9wavefront6targetE1EEEvSK_
                                        ; -- End function
	.set _ZN7rocprim17ROCPRIM_400000_NS6detail17trampoline_kernelINS0_14default_configENS1_35radix_sort_onesweep_config_selectorIbiEEZZNS1_29radix_sort_onesweep_iterationIS3_Lb0EN6thrust23THRUST_200600_302600_NS6detail15normal_iteratorINS8_10device_ptrIbEEEESD_NSA_INSB_IiEEEESF_jNS0_19identity_decomposerENS1_16block_id_wrapperIjLb0EEEEE10hipError_tT1_PNSt15iterator_traitsISK_E10value_typeET2_T3_PNSL_ISQ_E10value_typeET4_T5_PSV_SW_PNS1_23onesweep_lookback_stateEbbT6_jjT7_P12ihipStream_tbENKUlT_T0_SK_SP_E_clISD_SD_SF_SF_EEDaS13_S14_SK_SP_EUlS13_E_NS1_11comp_targetILNS1_3genE4ELNS1_11target_archE910ELNS1_3gpuE8ELNS1_3repE0EEENS1_47radix_sort_onesweep_sort_config_static_selectorELNS0_4arch9wavefront6targetE1EEEvSK_.num_vgpr, 0
	.set _ZN7rocprim17ROCPRIM_400000_NS6detail17trampoline_kernelINS0_14default_configENS1_35radix_sort_onesweep_config_selectorIbiEEZZNS1_29radix_sort_onesweep_iterationIS3_Lb0EN6thrust23THRUST_200600_302600_NS6detail15normal_iteratorINS8_10device_ptrIbEEEESD_NSA_INSB_IiEEEESF_jNS0_19identity_decomposerENS1_16block_id_wrapperIjLb0EEEEE10hipError_tT1_PNSt15iterator_traitsISK_E10value_typeET2_T3_PNSL_ISQ_E10value_typeET4_T5_PSV_SW_PNS1_23onesweep_lookback_stateEbbT6_jjT7_P12ihipStream_tbENKUlT_T0_SK_SP_E_clISD_SD_SF_SF_EEDaS13_S14_SK_SP_EUlS13_E_NS1_11comp_targetILNS1_3genE4ELNS1_11target_archE910ELNS1_3gpuE8ELNS1_3repE0EEENS1_47radix_sort_onesweep_sort_config_static_selectorELNS0_4arch9wavefront6targetE1EEEvSK_.num_agpr, 0
	.set _ZN7rocprim17ROCPRIM_400000_NS6detail17trampoline_kernelINS0_14default_configENS1_35radix_sort_onesweep_config_selectorIbiEEZZNS1_29radix_sort_onesweep_iterationIS3_Lb0EN6thrust23THRUST_200600_302600_NS6detail15normal_iteratorINS8_10device_ptrIbEEEESD_NSA_INSB_IiEEEESF_jNS0_19identity_decomposerENS1_16block_id_wrapperIjLb0EEEEE10hipError_tT1_PNSt15iterator_traitsISK_E10value_typeET2_T3_PNSL_ISQ_E10value_typeET4_T5_PSV_SW_PNS1_23onesweep_lookback_stateEbbT6_jjT7_P12ihipStream_tbENKUlT_T0_SK_SP_E_clISD_SD_SF_SF_EEDaS13_S14_SK_SP_EUlS13_E_NS1_11comp_targetILNS1_3genE4ELNS1_11target_archE910ELNS1_3gpuE8ELNS1_3repE0EEENS1_47radix_sort_onesweep_sort_config_static_selectorELNS0_4arch9wavefront6targetE1EEEvSK_.numbered_sgpr, 0
	.set _ZN7rocprim17ROCPRIM_400000_NS6detail17trampoline_kernelINS0_14default_configENS1_35radix_sort_onesweep_config_selectorIbiEEZZNS1_29radix_sort_onesweep_iterationIS3_Lb0EN6thrust23THRUST_200600_302600_NS6detail15normal_iteratorINS8_10device_ptrIbEEEESD_NSA_INSB_IiEEEESF_jNS0_19identity_decomposerENS1_16block_id_wrapperIjLb0EEEEE10hipError_tT1_PNSt15iterator_traitsISK_E10value_typeET2_T3_PNSL_ISQ_E10value_typeET4_T5_PSV_SW_PNS1_23onesweep_lookback_stateEbbT6_jjT7_P12ihipStream_tbENKUlT_T0_SK_SP_E_clISD_SD_SF_SF_EEDaS13_S14_SK_SP_EUlS13_E_NS1_11comp_targetILNS1_3genE4ELNS1_11target_archE910ELNS1_3gpuE8ELNS1_3repE0EEENS1_47radix_sort_onesweep_sort_config_static_selectorELNS0_4arch9wavefront6targetE1EEEvSK_.num_named_barrier, 0
	.set _ZN7rocprim17ROCPRIM_400000_NS6detail17trampoline_kernelINS0_14default_configENS1_35radix_sort_onesweep_config_selectorIbiEEZZNS1_29radix_sort_onesweep_iterationIS3_Lb0EN6thrust23THRUST_200600_302600_NS6detail15normal_iteratorINS8_10device_ptrIbEEEESD_NSA_INSB_IiEEEESF_jNS0_19identity_decomposerENS1_16block_id_wrapperIjLb0EEEEE10hipError_tT1_PNSt15iterator_traitsISK_E10value_typeET2_T3_PNSL_ISQ_E10value_typeET4_T5_PSV_SW_PNS1_23onesweep_lookback_stateEbbT6_jjT7_P12ihipStream_tbENKUlT_T0_SK_SP_E_clISD_SD_SF_SF_EEDaS13_S14_SK_SP_EUlS13_E_NS1_11comp_targetILNS1_3genE4ELNS1_11target_archE910ELNS1_3gpuE8ELNS1_3repE0EEENS1_47radix_sort_onesweep_sort_config_static_selectorELNS0_4arch9wavefront6targetE1EEEvSK_.private_seg_size, 0
	.set _ZN7rocprim17ROCPRIM_400000_NS6detail17trampoline_kernelINS0_14default_configENS1_35radix_sort_onesweep_config_selectorIbiEEZZNS1_29radix_sort_onesweep_iterationIS3_Lb0EN6thrust23THRUST_200600_302600_NS6detail15normal_iteratorINS8_10device_ptrIbEEEESD_NSA_INSB_IiEEEESF_jNS0_19identity_decomposerENS1_16block_id_wrapperIjLb0EEEEE10hipError_tT1_PNSt15iterator_traitsISK_E10value_typeET2_T3_PNSL_ISQ_E10value_typeET4_T5_PSV_SW_PNS1_23onesweep_lookback_stateEbbT6_jjT7_P12ihipStream_tbENKUlT_T0_SK_SP_E_clISD_SD_SF_SF_EEDaS13_S14_SK_SP_EUlS13_E_NS1_11comp_targetILNS1_3genE4ELNS1_11target_archE910ELNS1_3gpuE8ELNS1_3repE0EEENS1_47radix_sort_onesweep_sort_config_static_selectorELNS0_4arch9wavefront6targetE1EEEvSK_.uses_vcc, 0
	.set _ZN7rocprim17ROCPRIM_400000_NS6detail17trampoline_kernelINS0_14default_configENS1_35radix_sort_onesweep_config_selectorIbiEEZZNS1_29radix_sort_onesweep_iterationIS3_Lb0EN6thrust23THRUST_200600_302600_NS6detail15normal_iteratorINS8_10device_ptrIbEEEESD_NSA_INSB_IiEEEESF_jNS0_19identity_decomposerENS1_16block_id_wrapperIjLb0EEEEE10hipError_tT1_PNSt15iterator_traitsISK_E10value_typeET2_T3_PNSL_ISQ_E10value_typeET4_T5_PSV_SW_PNS1_23onesweep_lookback_stateEbbT6_jjT7_P12ihipStream_tbENKUlT_T0_SK_SP_E_clISD_SD_SF_SF_EEDaS13_S14_SK_SP_EUlS13_E_NS1_11comp_targetILNS1_3genE4ELNS1_11target_archE910ELNS1_3gpuE8ELNS1_3repE0EEENS1_47radix_sort_onesweep_sort_config_static_selectorELNS0_4arch9wavefront6targetE1EEEvSK_.uses_flat_scratch, 0
	.set _ZN7rocprim17ROCPRIM_400000_NS6detail17trampoline_kernelINS0_14default_configENS1_35radix_sort_onesweep_config_selectorIbiEEZZNS1_29radix_sort_onesweep_iterationIS3_Lb0EN6thrust23THRUST_200600_302600_NS6detail15normal_iteratorINS8_10device_ptrIbEEEESD_NSA_INSB_IiEEEESF_jNS0_19identity_decomposerENS1_16block_id_wrapperIjLb0EEEEE10hipError_tT1_PNSt15iterator_traitsISK_E10value_typeET2_T3_PNSL_ISQ_E10value_typeET4_T5_PSV_SW_PNS1_23onesweep_lookback_stateEbbT6_jjT7_P12ihipStream_tbENKUlT_T0_SK_SP_E_clISD_SD_SF_SF_EEDaS13_S14_SK_SP_EUlS13_E_NS1_11comp_targetILNS1_3genE4ELNS1_11target_archE910ELNS1_3gpuE8ELNS1_3repE0EEENS1_47radix_sort_onesweep_sort_config_static_selectorELNS0_4arch9wavefront6targetE1EEEvSK_.has_dyn_sized_stack, 0
	.set _ZN7rocprim17ROCPRIM_400000_NS6detail17trampoline_kernelINS0_14default_configENS1_35radix_sort_onesweep_config_selectorIbiEEZZNS1_29radix_sort_onesweep_iterationIS3_Lb0EN6thrust23THRUST_200600_302600_NS6detail15normal_iteratorINS8_10device_ptrIbEEEESD_NSA_INSB_IiEEEESF_jNS0_19identity_decomposerENS1_16block_id_wrapperIjLb0EEEEE10hipError_tT1_PNSt15iterator_traitsISK_E10value_typeET2_T3_PNSL_ISQ_E10value_typeET4_T5_PSV_SW_PNS1_23onesweep_lookback_stateEbbT6_jjT7_P12ihipStream_tbENKUlT_T0_SK_SP_E_clISD_SD_SF_SF_EEDaS13_S14_SK_SP_EUlS13_E_NS1_11comp_targetILNS1_3genE4ELNS1_11target_archE910ELNS1_3gpuE8ELNS1_3repE0EEENS1_47radix_sort_onesweep_sort_config_static_selectorELNS0_4arch9wavefront6targetE1EEEvSK_.has_recursion, 0
	.set _ZN7rocprim17ROCPRIM_400000_NS6detail17trampoline_kernelINS0_14default_configENS1_35radix_sort_onesweep_config_selectorIbiEEZZNS1_29radix_sort_onesweep_iterationIS3_Lb0EN6thrust23THRUST_200600_302600_NS6detail15normal_iteratorINS8_10device_ptrIbEEEESD_NSA_INSB_IiEEEESF_jNS0_19identity_decomposerENS1_16block_id_wrapperIjLb0EEEEE10hipError_tT1_PNSt15iterator_traitsISK_E10value_typeET2_T3_PNSL_ISQ_E10value_typeET4_T5_PSV_SW_PNS1_23onesweep_lookback_stateEbbT6_jjT7_P12ihipStream_tbENKUlT_T0_SK_SP_E_clISD_SD_SF_SF_EEDaS13_S14_SK_SP_EUlS13_E_NS1_11comp_targetILNS1_3genE4ELNS1_11target_archE910ELNS1_3gpuE8ELNS1_3repE0EEENS1_47radix_sort_onesweep_sort_config_static_selectorELNS0_4arch9wavefront6targetE1EEEvSK_.has_indirect_call, 0
	.section	.AMDGPU.csdata,"",@progbits
; Kernel info:
; codeLenInByte = 0
; TotalNumSgprs: 6
; NumVgprs: 0
; NumAgprs: 0
; TotalNumVgprs: 0
; ScratchSize: 0
; MemoryBound: 0
; FloatMode: 240
; IeeeMode: 1
; LDSByteSize: 0 bytes/workgroup (compile time only)
; SGPRBlocks: 0
; VGPRBlocks: 0
; NumSGPRsForWavesPerEU: 6
; NumVGPRsForWavesPerEU: 1
; AccumOffset: 4
; Occupancy: 8
; WaveLimiterHint : 0
; COMPUTE_PGM_RSRC2:SCRATCH_EN: 0
; COMPUTE_PGM_RSRC2:USER_SGPR: 2
; COMPUTE_PGM_RSRC2:TRAP_HANDLER: 0
; COMPUTE_PGM_RSRC2:TGID_X_EN: 1
; COMPUTE_PGM_RSRC2:TGID_Y_EN: 0
; COMPUTE_PGM_RSRC2:TGID_Z_EN: 0
; COMPUTE_PGM_RSRC2:TIDIG_COMP_CNT: 0
; COMPUTE_PGM_RSRC3_GFX90A:ACCUM_OFFSET: 0
; COMPUTE_PGM_RSRC3_GFX90A:TG_SPLIT: 0
	.section	.text._ZN7rocprim17ROCPRIM_400000_NS6detail17trampoline_kernelINS0_14default_configENS1_35radix_sort_onesweep_config_selectorIbiEEZZNS1_29radix_sort_onesweep_iterationIS3_Lb0EN6thrust23THRUST_200600_302600_NS6detail15normal_iteratorINS8_10device_ptrIbEEEESD_NSA_INSB_IiEEEESF_jNS0_19identity_decomposerENS1_16block_id_wrapperIjLb0EEEEE10hipError_tT1_PNSt15iterator_traitsISK_E10value_typeET2_T3_PNSL_ISQ_E10value_typeET4_T5_PSV_SW_PNS1_23onesweep_lookback_stateEbbT6_jjT7_P12ihipStream_tbENKUlT_T0_SK_SP_E_clISD_SD_SF_SF_EEDaS13_S14_SK_SP_EUlS13_E_NS1_11comp_targetILNS1_3genE3ELNS1_11target_archE908ELNS1_3gpuE7ELNS1_3repE0EEENS1_47radix_sort_onesweep_sort_config_static_selectorELNS0_4arch9wavefront6targetE1EEEvSK_,"axG",@progbits,_ZN7rocprim17ROCPRIM_400000_NS6detail17trampoline_kernelINS0_14default_configENS1_35radix_sort_onesweep_config_selectorIbiEEZZNS1_29radix_sort_onesweep_iterationIS3_Lb0EN6thrust23THRUST_200600_302600_NS6detail15normal_iteratorINS8_10device_ptrIbEEEESD_NSA_INSB_IiEEEESF_jNS0_19identity_decomposerENS1_16block_id_wrapperIjLb0EEEEE10hipError_tT1_PNSt15iterator_traitsISK_E10value_typeET2_T3_PNSL_ISQ_E10value_typeET4_T5_PSV_SW_PNS1_23onesweep_lookback_stateEbbT6_jjT7_P12ihipStream_tbENKUlT_T0_SK_SP_E_clISD_SD_SF_SF_EEDaS13_S14_SK_SP_EUlS13_E_NS1_11comp_targetILNS1_3genE3ELNS1_11target_archE908ELNS1_3gpuE7ELNS1_3repE0EEENS1_47radix_sort_onesweep_sort_config_static_selectorELNS0_4arch9wavefront6targetE1EEEvSK_,comdat
	.protected	_ZN7rocprim17ROCPRIM_400000_NS6detail17trampoline_kernelINS0_14default_configENS1_35radix_sort_onesweep_config_selectorIbiEEZZNS1_29radix_sort_onesweep_iterationIS3_Lb0EN6thrust23THRUST_200600_302600_NS6detail15normal_iteratorINS8_10device_ptrIbEEEESD_NSA_INSB_IiEEEESF_jNS0_19identity_decomposerENS1_16block_id_wrapperIjLb0EEEEE10hipError_tT1_PNSt15iterator_traitsISK_E10value_typeET2_T3_PNSL_ISQ_E10value_typeET4_T5_PSV_SW_PNS1_23onesweep_lookback_stateEbbT6_jjT7_P12ihipStream_tbENKUlT_T0_SK_SP_E_clISD_SD_SF_SF_EEDaS13_S14_SK_SP_EUlS13_E_NS1_11comp_targetILNS1_3genE3ELNS1_11target_archE908ELNS1_3gpuE7ELNS1_3repE0EEENS1_47radix_sort_onesweep_sort_config_static_selectorELNS0_4arch9wavefront6targetE1EEEvSK_ ; -- Begin function _ZN7rocprim17ROCPRIM_400000_NS6detail17trampoline_kernelINS0_14default_configENS1_35radix_sort_onesweep_config_selectorIbiEEZZNS1_29radix_sort_onesweep_iterationIS3_Lb0EN6thrust23THRUST_200600_302600_NS6detail15normal_iteratorINS8_10device_ptrIbEEEESD_NSA_INSB_IiEEEESF_jNS0_19identity_decomposerENS1_16block_id_wrapperIjLb0EEEEE10hipError_tT1_PNSt15iterator_traitsISK_E10value_typeET2_T3_PNSL_ISQ_E10value_typeET4_T5_PSV_SW_PNS1_23onesweep_lookback_stateEbbT6_jjT7_P12ihipStream_tbENKUlT_T0_SK_SP_E_clISD_SD_SF_SF_EEDaS13_S14_SK_SP_EUlS13_E_NS1_11comp_targetILNS1_3genE3ELNS1_11target_archE908ELNS1_3gpuE7ELNS1_3repE0EEENS1_47radix_sort_onesweep_sort_config_static_selectorELNS0_4arch9wavefront6targetE1EEEvSK_
	.globl	_ZN7rocprim17ROCPRIM_400000_NS6detail17trampoline_kernelINS0_14default_configENS1_35radix_sort_onesweep_config_selectorIbiEEZZNS1_29radix_sort_onesweep_iterationIS3_Lb0EN6thrust23THRUST_200600_302600_NS6detail15normal_iteratorINS8_10device_ptrIbEEEESD_NSA_INSB_IiEEEESF_jNS0_19identity_decomposerENS1_16block_id_wrapperIjLb0EEEEE10hipError_tT1_PNSt15iterator_traitsISK_E10value_typeET2_T3_PNSL_ISQ_E10value_typeET4_T5_PSV_SW_PNS1_23onesweep_lookback_stateEbbT6_jjT7_P12ihipStream_tbENKUlT_T0_SK_SP_E_clISD_SD_SF_SF_EEDaS13_S14_SK_SP_EUlS13_E_NS1_11comp_targetILNS1_3genE3ELNS1_11target_archE908ELNS1_3gpuE7ELNS1_3repE0EEENS1_47radix_sort_onesweep_sort_config_static_selectorELNS0_4arch9wavefront6targetE1EEEvSK_
	.p2align	8
	.type	_ZN7rocprim17ROCPRIM_400000_NS6detail17trampoline_kernelINS0_14default_configENS1_35radix_sort_onesweep_config_selectorIbiEEZZNS1_29radix_sort_onesweep_iterationIS3_Lb0EN6thrust23THRUST_200600_302600_NS6detail15normal_iteratorINS8_10device_ptrIbEEEESD_NSA_INSB_IiEEEESF_jNS0_19identity_decomposerENS1_16block_id_wrapperIjLb0EEEEE10hipError_tT1_PNSt15iterator_traitsISK_E10value_typeET2_T3_PNSL_ISQ_E10value_typeET4_T5_PSV_SW_PNS1_23onesweep_lookback_stateEbbT6_jjT7_P12ihipStream_tbENKUlT_T0_SK_SP_E_clISD_SD_SF_SF_EEDaS13_S14_SK_SP_EUlS13_E_NS1_11comp_targetILNS1_3genE3ELNS1_11target_archE908ELNS1_3gpuE7ELNS1_3repE0EEENS1_47radix_sort_onesweep_sort_config_static_selectorELNS0_4arch9wavefront6targetE1EEEvSK_,@function
_ZN7rocprim17ROCPRIM_400000_NS6detail17trampoline_kernelINS0_14default_configENS1_35radix_sort_onesweep_config_selectorIbiEEZZNS1_29radix_sort_onesweep_iterationIS3_Lb0EN6thrust23THRUST_200600_302600_NS6detail15normal_iteratorINS8_10device_ptrIbEEEESD_NSA_INSB_IiEEEESF_jNS0_19identity_decomposerENS1_16block_id_wrapperIjLb0EEEEE10hipError_tT1_PNSt15iterator_traitsISK_E10value_typeET2_T3_PNSL_ISQ_E10value_typeET4_T5_PSV_SW_PNS1_23onesweep_lookback_stateEbbT6_jjT7_P12ihipStream_tbENKUlT_T0_SK_SP_E_clISD_SD_SF_SF_EEDaS13_S14_SK_SP_EUlS13_E_NS1_11comp_targetILNS1_3genE3ELNS1_11target_archE908ELNS1_3gpuE7ELNS1_3repE0EEENS1_47radix_sort_onesweep_sort_config_static_selectorELNS0_4arch9wavefront6targetE1EEEvSK_: ; @_ZN7rocprim17ROCPRIM_400000_NS6detail17trampoline_kernelINS0_14default_configENS1_35radix_sort_onesweep_config_selectorIbiEEZZNS1_29radix_sort_onesweep_iterationIS3_Lb0EN6thrust23THRUST_200600_302600_NS6detail15normal_iteratorINS8_10device_ptrIbEEEESD_NSA_INSB_IiEEEESF_jNS0_19identity_decomposerENS1_16block_id_wrapperIjLb0EEEEE10hipError_tT1_PNSt15iterator_traitsISK_E10value_typeET2_T3_PNSL_ISQ_E10value_typeET4_T5_PSV_SW_PNS1_23onesweep_lookback_stateEbbT6_jjT7_P12ihipStream_tbENKUlT_T0_SK_SP_E_clISD_SD_SF_SF_EEDaS13_S14_SK_SP_EUlS13_E_NS1_11comp_targetILNS1_3genE3ELNS1_11target_archE908ELNS1_3gpuE7ELNS1_3repE0EEENS1_47radix_sort_onesweep_sort_config_static_selectorELNS0_4arch9wavefront6targetE1EEEvSK_
; %bb.0:
	.section	.rodata,"a",@progbits
	.p2align	6, 0x0
	.amdhsa_kernel _ZN7rocprim17ROCPRIM_400000_NS6detail17trampoline_kernelINS0_14default_configENS1_35radix_sort_onesweep_config_selectorIbiEEZZNS1_29radix_sort_onesweep_iterationIS3_Lb0EN6thrust23THRUST_200600_302600_NS6detail15normal_iteratorINS8_10device_ptrIbEEEESD_NSA_INSB_IiEEEESF_jNS0_19identity_decomposerENS1_16block_id_wrapperIjLb0EEEEE10hipError_tT1_PNSt15iterator_traitsISK_E10value_typeET2_T3_PNSL_ISQ_E10value_typeET4_T5_PSV_SW_PNS1_23onesweep_lookback_stateEbbT6_jjT7_P12ihipStream_tbENKUlT_T0_SK_SP_E_clISD_SD_SF_SF_EEDaS13_S14_SK_SP_EUlS13_E_NS1_11comp_targetILNS1_3genE3ELNS1_11target_archE908ELNS1_3gpuE7ELNS1_3repE0EEENS1_47radix_sort_onesweep_sort_config_static_selectorELNS0_4arch9wavefront6targetE1EEEvSK_
		.amdhsa_group_segment_fixed_size 0
		.amdhsa_private_segment_fixed_size 0
		.amdhsa_kernarg_size 88
		.amdhsa_user_sgpr_count 2
		.amdhsa_user_sgpr_dispatch_ptr 0
		.amdhsa_user_sgpr_queue_ptr 0
		.amdhsa_user_sgpr_kernarg_segment_ptr 1
		.amdhsa_user_sgpr_dispatch_id 0
		.amdhsa_user_sgpr_kernarg_preload_length 0
		.amdhsa_user_sgpr_kernarg_preload_offset 0
		.amdhsa_user_sgpr_private_segment_size 0
		.amdhsa_uses_dynamic_stack 0
		.amdhsa_enable_private_segment 0
		.amdhsa_system_sgpr_workgroup_id_x 1
		.amdhsa_system_sgpr_workgroup_id_y 0
		.amdhsa_system_sgpr_workgroup_id_z 0
		.amdhsa_system_sgpr_workgroup_info 0
		.amdhsa_system_vgpr_workitem_id 0
		.amdhsa_next_free_vgpr 1
		.amdhsa_next_free_sgpr 0
		.amdhsa_accum_offset 4
		.amdhsa_reserve_vcc 0
		.amdhsa_float_round_mode_32 0
		.amdhsa_float_round_mode_16_64 0
		.amdhsa_float_denorm_mode_32 3
		.amdhsa_float_denorm_mode_16_64 3
		.amdhsa_dx10_clamp 1
		.amdhsa_ieee_mode 1
		.amdhsa_fp16_overflow 0
		.amdhsa_tg_split 0
		.amdhsa_exception_fp_ieee_invalid_op 0
		.amdhsa_exception_fp_denorm_src 0
		.amdhsa_exception_fp_ieee_div_zero 0
		.amdhsa_exception_fp_ieee_overflow 0
		.amdhsa_exception_fp_ieee_underflow 0
		.amdhsa_exception_fp_ieee_inexact 0
		.amdhsa_exception_int_div_zero 0
	.end_amdhsa_kernel
	.section	.text._ZN7rocprim17ROCPRIM_400000_NS6detail17trampoline_kernelINS0_14default_configENS1_35radix_sort_onesweep_config_selectorIbiEEZZNS1_29radix_sort_onesweep_iterationIS3_Lb0EN6thrust23THRUST_200600_302600_NS6detail15normal_iteratorINS8_10device_ptrIbEEEESD_NSA_INSB_IiEEEESF_jNS0_19identity_decomposerENS1_16block_id_wrapperIjLb0EEEEE10hipError_tT1_PNSt15iterator_traitsISK_E10value_typeET2_T3_PNSL_ISQ_E10value_typeET4_T5_PSV_SW_PNS1_23onesweep_lookback_stateEbbT6_jjT7_P12ihipStream_tbENKUlT_T0_SK_SP_E_clISD_SD_SF_SF_EEDaS13_S14_SK_SP_EUlS13_E_NS1_11comp_targetILNS1_3genE3ELNS1_11target_archE908ELNS1_3gpuE7ELNS1_3repE0EEENS1_47radix_sort_onesweep_sort_config_static_selectorELNS0_4arch9wavefront6targetE1EEEvSK_,"axG",@progbits,_ZN7rocprim17ROCPRIM_400000_NS6detail17trampoline_kernelINS0_14default_configENS1_35radix_sort_onesweep_config_selectorIbiEEZZNS1_29radix_sort_onesweep_iterationIS3_Lb0EN6thrust23THRUST_200600_302600_NS6detail15normal_iteratorINS8_10device_ptrIbEEEESD_NSA_INSB_IiEEEESF_jNS0_19identity_decomposerENS1_16block_id_wrapperIjLb0EEEEE10hipError_tT1_PNSt15iterator_traitsISK_E10value_typeET2_T3_PNSL_ISQ_E10value_typeET4_T5_PSV_SW_PNS1_23onesweep_lookback_stateEbbT6_jjT7_P12ihipStream_tbENKUlT_T0_SK_SP_E_clISD_SD_SF_SF_EEDaS13_S14_SK_SP_EUlS13_E_NS1_11comp_targetILNS1_3genE3ELNS1_11target_archE908ELNS1_3gpuE7ELNS1_3repE0EEENS1_47radix_sort_onesweep_sort_config_static_selectorELNS0_4arch9wavefront6targetE1EEEvSK_,comdat
.Lfunc_end2073:
	.size	_ZN7rocprim17ROCPRIM_400000_NS6detail17trampoline_kernelINS0_14default_configENS1_35radix_sort_onesweep_config_selectorIbiEEZZNS1_29radix_sort_onesweep_iterationIS3_Lb0EN6thrust23THRUST_200600_302600_NS6detail15normal_iteratorINS8_10device_ptrIbEEEESD_NSA_INSB_IiEEEESF_jNS0_19identity_decomposerENS1_16block_id_wrapperIjLb0EEEEE10hipError_tT1_PNSt15iterator_traitsISK_E10value_typeET2_T3_PNSL_ISQ_E10value_typeET4_T5_PSV_SW_PNS1_23onesweep_lookback_stateEbbT6_jjT7_P12ihipStream_tbENKUlT_T0_SK_SP_E_clISD_SD_SF_SF_EEDaS13_S14_SK_SP_EUlS13_E_NS1_11comp_targetILNS1_3genE3ELNS1_11target_archE908ELNS1_3gpuE7ELNS1_3repE0EEENS1_47radix_sort_onesweep_sort_config_static_selectorELNS0_4arch9wavefront6targetE1EEEvSK_, .Lfunc_end2073-_ZN7rocprim17ROCPRIM_400000_NS6detail17trampoline_kernelINS0_14default_configENS1_35radix_sort_onesweep_config_selectorIbiEEZZNS1_29radix_sort_onesweep_iterationIS3_Lb0EN6thrust23THRUST_200600_302600_NS6detail15normal_iteratorINS8_10device_ptrIbEEEESD_NSA_INSB_IiEEEESF_jNS0_19identity_decomposerENS1_16block_id_wrapperIjLb0EEEEE10hipError_tT1_PNSt15iterator_traitsISK_E10value_typeET2_T3_PNSL_ISQ_E10value_typeET4_T5_PSV_SW_PNS1_23onesweep_lookback_stateEbbT6_jjT7_P12ihipStream_tbENKUlT_T0_SK_SP_E_clISD_SD_SF_SF_EEDaS13_S14_SK_SP_EUlS13_E_NS1_11comp_targetILNS1_3genE3ELNS1_11target_archE908ELNS1_3gpuE7ELNS1_3repE0EEENS1_47radix_sort_onesweep_sort_config_static_selectorELNS0_4arch9wavefront6targetE1EEEvSK_
                                        ; -- End function
	.set _ZN7rocprim17ROCPRIM_400000_NS6detail17trampoline_kernelINS0_14default_configENS1_35radix_sort_onesweep_config_selectorIbiEEZZNS1_29radix_sort_onesweep_iterationIS3_Lb0EN6thrust23THRUST_200600_302600_NS6detail15normal_iteratorINS8_10device_ptrIbEEEESD_NSA_INSB_IiEEEESF_jNS0_19identity_decomposerENS1_16block_id_wrapperIjLb0EEEEE10hipError_tT1_PNSt15iterator_traitsISK_E10value_typeET2_T3_PNSL_ISQ_E10value_typeET4_T5_PSV_SW_PNS1_23onesweep_lookback_stateEbbT6_jjT7_P12ihipStream_tbENKUlT_T0_SK_SP_E_clISD_SD_SF_SF_EEDaS13_S14_SK_SP_EUlS13_E_NS1_11comp_targetILNS1_3genE3ELNS1_11target_archE908ELNS1_3gpuE7ELNS1_3repE0EEENS1_47radix_sort_onesweep_sort_config_static_selectorELNS0_4arch9wavefront6targetE1EEEvSK_.num_vgpr, 0
	.set _ZN7rocprim17ROCPRIM_400000_NS6detail17trampoline_kernelINS0_14default_configENS1_35radix_sort_onesweep_config_selectorIbiEEZZNS1_29radix_sort_onesweep_iterationIS3_Lb0EN6thrust23THRUST_200600_302600_NS6detail15normal_iteratorINS8_10device_ptrIbEEEESD_NSA_INSB_IiEEEESF_jNS0_19identity_decomposerENS1_16block_id_wrapperIjLb0EEEEE10hipError_tT1_PNSt15iterator_traitsISK_E10value_typeET2_T3_PNSL_ISQ_E10value_typeET4_T5_PSV_SW_PNS1_23onesweep_lookback_stateEbbT6_jjT7_P12ihipStream_tbENKUlT_T0_SK_SP_E_clISD_SD_SF_SF_EEDaS13_S14_SK_SP_EUlS13_E_NS1_11comp_targetILNS1_3genE3ELNS1_11target_archE908ELNS1_3gpuE7ELNS1_3repE0EEENS1_47radix_sort_onesweep_sort_config_static_selectorELNS0_4arch9wavefront6targetE1EEEvSK_.num_agpr, 0
	.set _ZN7rocprim17ROCPRIM_400000_NS6detail17trampoline_kernelINS0_14default_configENS1_35radix_sort_onesweep_config_selectorIbiEEZZNS1_29radix_sort_onesweep_iterationIS3_Lb0EN6thrust23THRUST_200600_302600_NS6detail15normal_iteratorINS8_10device_ptrIbEEEESD_NSA_INSB_IiEEEESF_jNS0_19identity_decomposerENS1_16block_id_wrapperIjLb0EEEEE10hipError_tT1_PNSt15iterator_traitsISK_E10value_typeET2_T3_PNSL_ISQ_E10value_typeET4_T5_PSV_SW_PNS1_23onesweep_lookback_stateEbbT6_jjT7_P12ihipStream_tbENKUlT_T0_SK_SP_E_clISD_SD_SF_SF_EEDaS13_S14_SK_SP_EUlS13_E_NS1_11comp_targetILNS1_3genE3ELNS1_11target_archE908ELNS1_3gpuE7ELNS1_3repE0EEENS1_47radix_sort_onesweep_sort_config_static_selectorELNS0_4arch9wavefront6targetE1EEEvSK_.numbered_sgpr, 0
	.set _ZN7rocprim17ROCPRIM_400000_NS6detail17trampoline_kernelINS0_14default_configENS1_35radix_sort_onesweep_config_selectorIbiEEZZNS1_29radix_sort_onesweep_iterationIS3_Lb0EN6thrust23THRUST_200600_302600_NS6detail15normal_iteratorINS8_10device_ptrIbEEEESD_NSA_INSB_IiEEEESF_jNS0_19identity_decomposerENS1_16block_id_wrapperIjLb0EEEEE10hipError_tT1_PNSt15iterator_traitsISK_E10value_typeET2_T3_PNSL_ISQ_E10value_typeET4_T5_PSV_SW_PNS1_23onesweep_lookback_stateEbbT6_jjT7_P12ihipStream_tbENKUlT_T0_SK_SP_E_clISD_SD_SF_SF_EEDaS13_S14_SK_SP_EUlS13_E_NS1_11comp_targetILNS1_3genE3ELNS1_11target_archE908ELNS1_3gpuE7ELNS1_3repE0EEENS1_47radix_sort_onesweep_sort_config_static_selectorELNS0_4arch9wavefront6targetE1EEEvSK_.num_named_barrier, 0
	.set _ZN7rocprim17ROCPRIM_400000_NS6detail17trampoline_kernelINS0_14default_configENS1_35radix_sort_onesweep_config_selectorIbiEEZZNS1_29radix_sort_onesweep_iterationIS3_Lb0EN6thrust23THRUST_200600_302600_NS6detail15normal_iteratorINS8_10device_ptrIbEEEESD_NSA_INSB_IiEEEESF_jNS0_19identity_decomposerENS1_16block_id_wrapperIjLb0EEEEE10hipError_tT1_PNSt15iterator_traitsISK_E10value_typeET2_T3_PNSL_ISQ_E10value_typeET4_T5_PSV_SW_PNS1_23onesweep_lookback_stateEbbT6_jjT7_P12ihipStream_tbENKUlT_T0_SK_SP_E_clISD_SD_SF_SF_EEDaS13_S14_SK_SP_EUlS13_E_NS1_11comp_targetILNS1_3genE3ELNS1_11target_archE908ELNS1_3gpuE7ELNS1_3repE0EEENS1_47radix_sort_onesweep_sort_config_static_selectorELNS0_4arch9wavefront6targetE1EEEvSK_.private_seg_size, 0
	.set _ZN7rocprim17ROCPRIM_400000_NS6detail17trampoline_kernelINS0_14default_configENS1_35radix_sort_onesweep_config_selectorIbiEEZZNS1_29radix_sort_onesweep_iterationIS3_Lb0EN6thrust23THRUST_200600_302600_NS6detail15normal_iteratorINS8_10device_ptrIbEEEESD_NSA_INSB_IiEEEESF_jNS0_19identity_decomposerENS1_16block_id_wrapperIjLb0EEEEE10hipError_tT1_PNSt15iterator_traitsISK_E10value_typeET2_T3_PNSL_ISQ_E10value_typeET4_T5_PSV_SW_PNS1_23onesweep_lookback_stateEbbT6_jjT7_P12ihipStream_tbENKUlT_T0_SK_SP_E_clISD_SD_SF_SF_EEDaS13_S14_SK_SP_EUlS13_E_NS1_11comp_targetILNS1_3genE3ELNS1_11target_archE908ELNS1_3gpuE7ELNS1_3repE0EEENS1_47radix_sort_onesweep_sort_config_static_selectorELNS0_4arch9wavefront6targetE1EEEvSK_.uses_vcc, 0
	.set _ZN7rocprim17ROCPRIM_400000_NS6detail17trampoline_kernelINS0_14default_configENS1_35radix_sort_onesweep_config_selectorIbiEEZZNS1_29radix_sort_onesweep_iterationIS3_Lb0EN6thrust23THRUST_200600_302600_NS6detail15normal_iteratorINS8_10device_ptrIbEEEESD_NSA_INSB_IiEEEESF_jNS0_19identity_decomposerENS1_16block_id_wrapperIjLb0EEEEE10hipError_tT1_PNSt15iterator_traitsISK_E10value_typeET2_T3_PNSL_ISQ_E10value_typeET4_T5_PSV_SW_PNS1_23onesweep_lookback_stateEbbT6_jjT7_P12ihipStream_tbENKUlT_T0_SK_SP_E_clISD_SD_SF_SF_EEDaS13_S14_SK_SP_EUlS13_E_NS1_11comp_targetILNS1_3genE3ELNS1_11target_archE908ELNS1_3gpuE7ELNS1_3repE0EEENS1_47radix_sort_onesweep_sort_config_static_selectorELNS0_4arch9wavefront6targetE1EEEvSK_.uses_flat_scratch, 0
	.set _ZN7rocprim17ROCPRIM_400000_NS6detail17trampoline_kernelINS0_14default_configENS1_35radix_sort_onesweep_config_selectorIbiEEZZNS1_29radix_sort_onesweep_iterationIS3_Lb0EN6thrust23THRUST_200600_302600_NS6detail15normal_iteratorINS8_10device_ptrIbEEEESD_NSA_INSB_IiEEEESF_jNS0_19identity_decomposerENS1_16block_id_wrapperIjLb0EEEEE10hipError_tT1_PNSt15iterator_traitsISK_E10value_typeET2_T3_PNSL_ISQ_E10value_typeET4_T5_PSV_SW_PNS1_23onesweep_lookback_stateEbbT6_jjT7_P12ihipStream_tbENKUlT_T0_SK_SP_E_clISD_SD_SF_SF_EEDaS13_S14_SK_SP_EUlS13_E_NS1_11comp_targetILNS1_3genE3ELNS1_11target_archE908ELNS1_3gpuE7ELNS1_3repE0EEENS1_47radix_sort_onesweep_sort_config_static_selectorELNS0_4arch9wavefront6targetE1EEEvSK_.has_dyn_sized_stack, 0
	.set _ZN7rocprim17ROCPRIM_400000_NS6detail17trampoline_kernelINS0_14default_configENS1_35radix_sort_onesweep_config_selectorIbiEEZZNS1_29radix_sort_onesweep_iterationIS3_Lb0EN6thrust23THRUST_200600_302600_NS6detail15normal_iteratorINS8_10device_ptrIbEEEESD_NSA_INSB_IiEEEESF_jNS0_19identity_decomposerENS1_16block_id_wrapperIjLb0EEEEE10hipError_tT1_PNSt15iterator_traitsISK_E10value_typeET2_T3_PNSL_ISQ_E10value_typeET4_T5_PSV_SW_PNS1_23onesweep_lookback_stateEbbT6_jjT7_P12ihipStream_tbENKUlT_T0_SK_SP_E_clISD_SD_SF_SF_EEDaS13_S14_SK_SP_EUlS13_E_NS1_11comp_targetILNS1_3genE3ELNS1_11target_archE908ELNS1_3gpuE7ELNS1_3repE0EEENS1_47radix_sort_onesweep_sort_config_static_selectorELNS0_4arch9wavefront6targetE1EEEvSK_.has_recursion, 0
	.set _ZN7rocprim17ROCPRIM_400000_NS6detail17trampoline_kernelINS0_14default_configENS1_35radix_sort_onesweep_config_selectorIbiEEZZNS1_29radix_sort_onesweep_iterationIS3_Lb0EN6thrust23THRUST_200600_302600_NS6detail15normal_iteratorINS8_10device_ptrIbEEEESD_NSA_INSB_IiEEEESF_jNS0_19identity_decomposerENS1_16block_id_wrapperIjLb0EEEEE10hipError_tT1_PNSt15iterator_traitsISK_E10value_typeET2_T3_PNSL_ISQ_E10value_typeET4_T5_PSV_SW_PNS1_23onesweep_lookback_stateEbbT6_jjT7_P12ihipStream_tbENKUlT_T0_SK_SP_E_clISD_SD_SF_SF_EEDaS13_S14_SK_SP_EUlS13_E_NS1_11comp_targetILNS1_3genE3ELNS1_11target_archE908ELNS1_3gpuE7ELNS1_3repE0EEENS1_47radix_sort_onesweep_sort_config_static_selectorELNS0_4arch9wavefront6targetE1EEEvSK_.has_indirect_call, 0
	.section	.AMDGPU.csdata,"",@progbits
; Kernel info:
; codeLenInByte = 0
; TotalNumSgprs: 6
; NumVgprs: 0
; NumAgprs: 0
; TotalNumVgprs: 0
; ScratchSize: 0
; MemoryBound: 0
; FloatMode: 240
; IeeeMode: 1
; LDSByteSize: 0 bytes/workgroup (compile time only)
; SGPRBlocks: 0
; VGPRBlocks: 0
; NumSGPRsForWavesPerEU: 6
; NumVGPRsForWavesPerEU: 1
; AccumOffset: 4
; Occupancy: 8
; WaveLimiterHint : 0
; COMPUTE_PGM_RSRC2:SCRATCH_EN: 0
; COMPUTE_PGM_RSRC2:USER_SGPR: 2
; COMPUTE_PGM_RSRC2:TRAP_HANDLER: 0
; COMPUTE_PGM_RSRC2:TGID_X_EN: 1
; COMPUTE_PGM_RSRC2:TGID_Y_EN: 0
; COMPUTE_PGM_RSRC2:TGID_Z_EN: 0
; COMPUTE_PGM_RSRC2:TIDIG_COMP_CNT: 0
; COMPUTE_PGM_RSRC3_GFX90A:ACCUM_OFFSET: 0
; COMPUTE_PGM_RSRC3_GFX90A:TG_SPLIT: 0
	.section	.text._ZN7rocprim17ROCPRIM_400000_NS6detail17trampoline_kernelINS0_14default_configENS1_35radix_sort_onesweep_config_selectorIbiEEZZNS1_29radix_sort_onesweep_iterationIS3_Lb0EN6thrust23THRUST_200600_302600_NS6detail15normal_iteratorINS8_10device_ptrIbEEEESD_NSA_INSB_IiEEEESF_jNS0_19identity_decomposerENS1_16block_id_wrapperIjLb0EEEEE10hipError_tT1_PNSt15iterator_traitsISK_E10value_typeET2_T3_PNSL_ISQ_E10value_typeET4_T5_PSV_SW_PNS1_23onesweep_lookback_stateEbbT6_jjT7_P12ihipStream_tbENKUlT_T0_SK_SP_E_clISD_SD_SF_SF_EEDaS13_S14_SK_SP_EUlS13_E_NS1_11comp_targetILNS1_3genE10ELNS1_11target_archE1201ELNS1_3gpuE5ELNS1_3repE0EEENS1_47radix_sort_onesweep_sort_config_static_selectorELNS0_4arch9wavefront6targetE1EEEvSK_,"axG",@progbits,_ZN7rocprim17ROCPRIM_400000_NS6detail17trampoline_kernelINS0_14default_configENS1_35radix_sort_onesweep_config_selectorIbiEEZZNS1_29radix_sort_onesweep_iterationIS3_Lb0EN6thrust23THRUST_200600_302600_NS6detail15normal_iteratorINS8_10device_ptrIbEEEESD_NSA_INSB_IiEEEESF_jNS0_19identity_decomposerENS1_16block_id_wrapperIjLb0EEEEE10hipError_tT1_PNSt15iterator_traitsISK_E10value_typeET2_T3_PNSL_ISQ_E10value_typeET4_T5_PSV_SW_PNS1_23onesweep_lookback_stateEbbT6_jjT7_P12ihipStream_tbENKUlT_T0_SK_SP_E_clISD_SD_SF_SF_EEDaS13_S14_SK_SP_EUlS13_E_NS1_11comp_targetILNS1_3genE10ELNS1_11target_archE1201ELNS1_3gpuE5ELNS1_3repE0EEENS1_47radix_sort_onesweep_sort_config_static_selectorELNS0_4arch9wavefront6targetE1EEEvSK_,comdat
	.protected	_ZN7rocprim17ROCPRIM_400000_NS6detail17trampoline_kernelINS0_14default_configENS1_35radix_sort_onesweep_config_selectorIbiEEZZNS1_29radix_sort_onesweep_iterationIS3_Lb0EN6thrust23THRUST_200600_302600_NS6detail15normal_iteratorINS8_10device_ptrIbEEEESD_NSA_INSB_IiEEEESF_jNS0_19identity_decomposerENS1_16block_id_wrapperIjLb0EEEEE10hipError_tT1_PNSt15iterator_traitsISK_E10value_typeET2_T3_PNSL_ISQ_E10value_typeET4_T5_PSV_SW_PNS1_23onesweep_lookback_stateEbbT6_jjT7_P12ihipStream_tbENKUlT_T0_SK_SP_E_clISD_SD_SF_SF_EEDaS13_S14_SK_SP_EUlS13_E_NS1_11comp_targetILNS1_3genE10ELNS1_11target_archE1201ELNS1_3gpuE5ELNS1_3repE0EEENS1_47radix_sort_onesweep_sort_config_static_selectorELNS0_4arch9wavefront6targetE1EEEvSK_ ; -- Begin function _ZN7rocprim17ROCPRIM_400000_NS6detail17trampoline_kernelINS0_14default_configENS1_35radix_sort_onesweep_config_selectorIbiEEZZNS1_29radix_sort_onesweep_iterationIS3_Lb0EN6thrust23THRUST_200600_302600_NS6detail15normal_iteratorINS8_10device_ptrIbEEEESD_NSA_INSB_IiEEEESF_jNS0_19identity_decomposerENS1_16block_id_wrapperIjLb0EEEEE10hipError_tT1_PNSt15iterator_traitsISK_E10value_typeET2_T3_PNSL_ISQ_E10value_typeET4_T5_PSV_SW_PNS1_23onesweep_lookback_stateEbbT6_jjT7_P12ihipStream_tbENKUlT_T0_SK_SP_E_clISD_SD_SF_SF_EEDaS13_S14_SK_SP_EUlS13_E_NS1_11comp_targetILNS1_3genE10ELNS1_11target_archE1201ELNS1_3gpuE5ELNS1_3repE0EEENS1_47radix_sort_onesweep_sort_config_static_selectorELNS0_4arch9wavefront6targetE1EEEvSK_
	.globl	_ZN7rocprim17ROCPRIM_400000_NS6detail17trampoline_kernelINS0_14default_configENS1_35radix_sort_onesweep_config_selectorIbiEEZZNS1_29radix_sort_onesweep_iterationIS3_Lb0EN6thrust23THRUST_200600_302600_NS6detail15normal_iteratorINS8_10device_ptrIbEEEESD_NSA_INSB_IiEEEESF_jNS0_19identity_decomposerENS1_16block_id_wrapperIjLb0EEEEE10hipError_tT1_PNSt15iterator_traitsISK_E10value_typeET2_T3_PNSL_ISQ_E10value_typeET4_T5_PSV_SW_PNS1_23onesweep_lookback_stateEbbT6_jjT7_P12ihipStream_tbENKUlT_T0_SK_SP_E_clISD_SD_SF_SF_EEDaS13_S14_SK_SP_EUlS13_E_NS1_11comp_targetILNS1_3genE10ELNS1_11target_archE1201ELNS1_3gpuE5ELNS1_3repE0EEENS1_47radix_sort_onesweep_sort_config_static_selectorELNS0_4arch9wavefront6targetE1EEEvSK_
	.p2align	8
	.type	_ZN7rocprim17ROCPRIM_400000_NS6detail17trampoline_kernelINS0_14default_configENS1_35radix_sort_onesweep_config_selectorIbiEEZZNS1_29radix_sort_onesweep_iterationIS3_Lb0EN6thrust23THRUST_200600_302600_NS6detail15normal_iteratorINS8_10device_ptrIbEEEESD_NSA_INSB_IiEEEESF_jNS0_19identity_decomposerENS1_16block_id_wrapperIjLb0EEEEE10hipError_tT1_PNSt15iterator_traitsISK_E10value_typeET2_T3_PNSL_ISQ_E10value_typeET4_T5_PSV_SW_PNS1_23onesweep_lookback_stateEbbT6_jjT7_P12ihipStream_tbENKUlT_T0_SK_SP_E_clISD_SD_SF_SF_EEDaS13_S14_SK_SP_EUlS13_E_NS1_11comp_targetILNS1_3genE10ELNS1_11target_archE1201ELNS1_3gpuE5ELNS1_3repE0EEENS1_47radix_sort_onesweep_sort_config_static_selectorELNS0_4arch9wavefront6targetE1EEEvSK_,@function
_ZN7rocprim17ROCPRIM_400000_NS6detail17trampoline_kernelINS0_14default_configENS1_35radix_sort_onesweep_config_selectorIbiEEZZNS1_29radix_sort_onesweep_iterationIS3_Lb0EN6thrust23THRUST_200600_302600_NS6detail15normal_iteratorINS8_10device_ptrIbEEEESD_NSA_INSB_IiEEEESF_jNS0_19identity_decomposerENS1_16block_id_wrapperIjLb0EEEEE10hipError_tT1_PNSt15iterator_traitsISK_E10value_typeET2_T3_PNSL_ISQ_E10value_typeET4_T5_PSV_SW_PNS1_23onesweep_lookback_stateEbbT6_jjT7_P12ihipStream_tbENKUlT_T0_SK_SP_E_clISD_SD_SF_SF_EEDaS13_S14_SK_SP_EUlS13_E_NS1_11comp_targetILNS1_3genE10ELNS1_11target_archE1201ELNS1_3gpuE5ELNS1_3repE0EEENS1_47radix_sort_onesweep_sort_config_static_selectorELNS0_4arch9wavefront6targetE1EEEvSK_: ; @_ZN7rocprim17ROCPRIM_400000_NS6detail17trampoline_kernelINS0_14default_configENS1_35radix_sort_onesweep_config_selectorIbiEEZZNS1_29radix_sort_onesweep_iterationIS3_Lb0EN6thrust23THRUST_200600_302600_NS6detail15normal_iteratorINS8_10device_ptrIbEEEESD_NSA_INSB_IiEEEESF_jNS0_19identity_decomposerENS1_16block_id_wrapperIjLb0EEEEE10hipError_tT1_PNSt15iterator_traitsISK_E10value_typeET2_T3_PNSL_ISQ_E10value_typeET4_T5_PSV_SW_PNS1_23onesweep_lookback_stateEbbT6_jjT7_P12ihipStream_tbENKUlT_T0_SK_SP_E_clISD_SD_SF_SF_EEDaS13_S14_SK_SP_EUlS13_E_NS1_11comp_targetILNS1_3genE10ELNS1_11target_archE1201ELNS1_3gpuE5ELNS1_3repE0EEENS1_47radix_sort_onesweep_sort_config_static_selectorELNS0_4arch9wavefront6targetE1EEEvSK_
; %bb.0:
	.section	.rodata,"a",@progbits
	.p2align	6, 0x0
	.amdhsa_kernel _ZN7rocprim17ROCPRIM_400000_NS6detail17trampoline_kernelINS0_14default_configENS1_35radix_sort_onesweep_config_selectorIbiEEZZNS1_29radix_sort_onesweep_iterationIS3_Lb0EN6thrust23THRUST_200600_302600_NS6detail15normal_iteratorINS8_10device_ptrIbEEEESD_NSA_INSB_IiEEEESF_jNS0_19identity_decomposerENS1_16block_id_wrapperIjLb0EEEEE10hipError_tT1_PNSt15iterator_traitsISK_E10value_typeET2_T3_PNSL_ISQ_E10value_typeET4_T5_PSV_SW_PNS1_23onesweep_lookback_stateEbbT6_jjT7_P12ihipStream_tbENKUlT_T0_SK_SP_E_clISD_SD_SF_SF_EEDaS13_S14_SK_SP_EUlS13_E_NS1_11comp_targetILNS1_3genE10ELNS1_11target_archE1201ELNS1_3gpuE5ELNS1_3repE0EEENS1_47radix_sort_onesweep_sort_config_static_selectorELNS0_4arch9wavefront6targetE1EEEvSK_
		.amdhsa_group_segment_fixed_size 0
		.amdhsa_private_segment_fixed_size 0
		.amdhsa_kernarg_size 88
		.amdhsa_user_sgpr_count 2
		.amdhsa_user_sgpr_dispatch_ptr 0
		.amdhsa_user_sgpr_queue_ptr 0
		.amdhsa_user_sgpr_kernarg_segment_ptr 1
		.amdhsa_user_sgpr_dispatch_id 0
		.amdhsa_user_sgpr_kernarg_preload_length 0
		.amdhsa_user_sgpr_kernarg_preload_offset 0
		.amdhsa_user_sgpr_private_segment_size 0
		.amdhsa_uses_dynamic_stack 0
		.amdhsa_enable_private_segment 0
		.amdhsa_system_sgpr_workgroup_id_x 1
		.amdhsa_system_sgpr_workgroup_id_y 0
		.amdhsa_system_sgpr_workgroup_id_z 0
		.amdhsa_system_sgpr_workgroup_info 0
		.amdhsa_system_vgpr_workitem_id 0
		.amdhsa_next_free_vgpr 1
		.amdhsa_next_free_sgpr 0
		.amdhsa_accum_offset 4
		.amdhsa_reserve_vcc 0
		.amdhsa_float_round_mode_32 0
		.amdhsa_float_round_mode_16_64 0
		.amdhsa_float_denorm_mode_32 3
		.amdhsa_float_denorm_mode_16_64 3
		.amdhsa_dx10_clamp 1
		.amdhsa_ieee_mode 1
		.amdhsa_fp16_overflow 0
		.amdhsa_tg_split 0
		.amdhsa_exception_fp_ieee_invalid_op 0
		.amdhsa_exception_fp_denorm_src 0
		.amdhsa_exception_fp_ieee_div_zero 0
		.amdhsa_exception_fp_ieee_overflow 0
		.amdhsa_exception_fp_ieee_underflow 0
		.amdhsa_exception_fp_ieee_inexact 0
		.amdhsa_exception_int_div_zero 0
	.end_amdhsa_kernel
	.section	.text._ZN7rocprim17ROCPRIM_400000_NS6detail17trampoline_kernelINS0_14default_configENS1_35radix_sort_onesweep_config_selectorIbiEEZZNS1_29radix_sort_onesweep_iterationIS3_Lb0EN6thrust23THRUST_200600_302600_NS6detail15normal_iteratorINS8_10device_ptrIbEEEESD_NSA_INSB_IiEEEESF_jNS0_19identity_decomposerENS1_16block_id_wrapperIjLb0EEEEE10hipError_tT1_PNSt15iterator_traitsISK_E10value_typeET2_T3_PNSL_ISQ_E10value_typeET4_T5_PSV_SW_PNS1_23onesweep_lookback_stateEbbT6_jjT7_P12ihipStream_tbENKUlT_T0_SK_SP_E_clISD_SD_SF_SF_EEDaS13_S14_SK_SP_EUlS13_E_NS1_11comp_targetILNS1_3genE10ELNS1_11target_archE1201ELNS1_3gpuE5ELNS1_3repE0EEENS1_47radix_sort_onesweep_sort_config_static_selectorELNS0_4arch9wavefront6targetE1EEEvSK_,"axG",@progbits,_ZN7rocprim17ROCPRIM_400000_NS6detail17trampoline_kernelINS0_14default_configENS1_35radix_sort_onesweep_config_selectorIbiEEZZNS1_29radix_sort_onesweep_iterationIS3_Lb0EN6thrust23THRUST_200600_302600_NS6detail15normal_iteratorINS8_10device_ptrIbEEEESD_NSA_INSB_IiEEEESF_jNS0_19identity_decomposerENS1_16block_id_wrapperIjLb0EEEEE10hipError_tT1_PNSt15iterator_traitsISK_E10value_typeET2_T3_PNSL_ISQ_E10value_typeET4_T5_PSV_SW_PNS1_23onesweep_lookback_stateEbbT6_jjT7_P12ihipStream_tbENKUlT_T0_SK_SP_E_clISD_SD_SF_SF_EEDaS13_S14_SK_SP_EUlS13_E_NS1_11comp_targetILNS1_3genE10ELNS1_11target_archE1201ELNS1_3gpuE5ELNS1_3repE0EEENS1_47radix_sort_onesweep_sort_config_static_selectorELNS0_4arch9wavefront6targetE1EEEvSK_,comdat
.Lfunc_end2074:
	.size	_ZN7rocprim17ROCPRIM_400000_NS6detail17trampoline_kernelINS0_14default_configENS1_35radix_sort_onesweep_config_selectorIbiEEZZNS1_29radix_sort_onesweep_iterationIS3_Lb0EN6thrust23THRUST_200600_302600_NS6detail15normal_iteratorINS8_10device_ptrIbEEEESD_NSA_INSB_IiEEEESF_jNS0_19identity_decomposerENS1_16block_id_wrapperIjLb0EEEEE10hipError_tT1_PNSt15iterator_traitsISK_E10value_typeET2_T3_PNSL_ISQ_E10value_typeET4_T5_PSV_SW_PNS1_23onesweep_lookback_stateEbbT6_jjT7_P12ihipStream_tbENKUlT_T0_SK_SP_E_clISD_SD_SF_SF_EEDaS13_S14_SK_SP_EUlS13_E_NS1_11comp_targetILNS1_3genE10ELNS1_11target_archE1201ELNS1_3gpuE5ELNS1_3repE0EEENS1_47radix_sort_onesweep_sort_config_static_selectorELNS0_4arch9wavefront6targetE1EEEvSK_, .Lfunc_end2074-_ZN7rocprim17ROCPRIM_400000_NS6detail17trampoline_kernelINS0_14default_configENS1_35radix_sort_onesweep_config_selectorIbiEEZZNS1_29radix_sort_onesweep_iterationIS3_Lb0EN6thrust23THRUST_200600_302600_NS6detail15normal_iteratorINS8_10device_ptrIbEEEESD_NSA_INSB_IiEEEESF_jNS0_19identity_decomposerENS1_16block_id_wrapperIjLb0EEEEE10hipError_tT1_PNSt15iterator_traitsISK_E10value_typeET2_T3_PNSL_ISQ_E10value_typeET4_T5_PSV_SW_PNS1_23onesweep_lookback_stateEbbT6_jjT7_P12ihipStream_tbENKUlT_T0_SK_SP_E_clISD_SD_SF_SF_EEDaS13_S14_SK_SP_EUlS13_E_NS1_11comp_targetILNS1_3genE10ELNS1_11target_archE1201ELNS1_3gpuE5ELNS1_3repE0EEENS1_47radix_sort_onesweep_sort_config_static_selectorELNS0_4arch9wavefront6targetE1EEEvSK_
                                        ; -- End function
	.set _ZN7rocprim17ROCPRIM_400000_NS6detail17trampoline_kernelINS0_14default_configENS1_35radix_sort_onesweep_config_selectorIbiEEZZNS1_29radix_sort_onesweep_iterationIS3_Lb0EN6thrust23THRUST_200600_302600_NS6detail15normal_iteratorINS8_10device_ptrIbEEEESD_NSA_INSB_IiEEEESF_jNS0_19identity_decomposerENS1_16block_id_wrapperIjLb0EEEEE10hipError_tT1_PNSt15iterator_traitsISK_E10value_typeET2_T3_PNSL_ISQ_E10value_typeET4_T5_PSV_SW_PNS1_23onesweep_lookback_stateEbbT6_jjT7_P12ihipStream_tbENKUlT_T0_SK_SP_E_clISD_SD_SF_SF_EEDaS13_S14_SK_SP_EUlS13_E_NS1_11comp_targetILNS1_3genE10ELNS1_11target_archE1201ELNS1_3gpuE5ELNS1_3repE0EEENS1_47radix_sort_onesweep_sort_config_static_selectorELNS0_4arch9wavefront6targetE1EEEvSK_.num_vgpr, 0
	.set _ZN7rocprim17ROCPRIM_400000_NS6detail17trampoline_kernelINS0_14default_configENS1_35radix_sort_onesweep_config_selectorIbiEEZZNS1_29radix_sort_onesweep_iterationIS3_Lb0EN6thrust23THRUST_200600_302600_NS6detail15normal_iteratorINS8_10device_ptrIbEEEESD_NSA_INSB_IiEEEESF_jNS0_19identity_decomposerENS1_16block_id_wrapperIjLb0EEEEE10hipError_tT1_PNSt15iterator_traitsISK_E10value_typeET2_T3_PNSL_ISQ_E10value_typeET4_T5_PSV_SW_PNS1_23onesweep_lookback_stateEbbT6_jjT7_P12ihipStream_tbENKUlT_T0_SK_SP_E_clISD_SD_SF_SF_EEDaS13_S14_SK_SP_EUlS13_E_NS1_11comp_targetILNS1_3genE10ELNS1_11target_archE1201ELNS1_3gpuE5ELNS1_3repE0EEENS1_47radix_sort_onesweep_sort_config_static_selectorELNS0_4arch9wavefront6targetE1EEEvSK_.num_agpr, 0
	.set _ZN7rocprim17ROCPRIM_400000_NS6detail17trampoline_kernelINS0_14default_configENS1_35radix_sort_onesweep_config_selectorIbiEEZZNS1_29radix_sort_onesweep_iterationIS3_Lb0EN6thrust23THRUST_200600_302600_NS6detail15normal_iteratorINS8_10device_ptrIbEEEESD_NSA_INSB_IiEEEESF_jNS0_19identity_decomposerENS1_16block_id_wrapperIjLb0EEEEE10hipError_tT1_PNSt15iterator_traitsISK_E10value_typeET2_T3_PNSL_ISQ_E10value_typeET4_T5_PSV_SW_PNS1_23onesweep_lookback_stateEbbT6_jjT7_P12ihipStream_tbENKUlT_T0_SK_SP_E_clISD_SD_SF_SF_EEDaS13_S14_SK_SP_EUlS13_E_NS1_11comp_targetILNS1_3genE10ELNS1_11target_archE1201ELNS1_3gpuE5ELNS1_3repE0EEENS1_47radix_sort_onesweep_sort_config_static_selectorELNS0_4arch9wavefront6targetE1EEEvSK_.numbered_sgpr, 0
	.set _ZN7rocprim17ROCPRIM_400000_NS6detail17trampoline_kernelINS0_14default_configENS1_35radix_sort_onesweep_config_selectorIbiEEZZNS1_29radix_sort_onesweep_iterationIS3_Lb0EN6thrust23THRUST_200600_302600_NS6detail15normal_iteratorINS8_10device_ptrIbEEEESD_NSA_INSB_IiEEEESF_jNS0_19identity_decomposerENS1_16block_id_wrapperIjLb0EEEEE10hipError_tT1_PNSt15iterator_traitsISK_E10value_typeET2_T3_PNSL_ISQ_E10value_typeET4_T5_PSV_SW_PNS1_23onesweep_lookback_stateEbbT6_jjT7_P12ihipStream_tbENKUlT_T0_SK_SP_E_clISD_SD_SF_SF_EEDaS13_S14_SK_SP_EUlS13_E_NS1_11comp_targetILNS1_3genE10ELNS1_11target_archE1201ELNS1_3gpuE5ELNS1_3repE0EEENS1_47radix_sort_onesweep_sort_config_static_selectorELNS0_4arch9wavefront6targetE1EEEvSK_.num_named_barrier, 0
	.set _ZN7rocprim17ROCPRIM_400000_NS6detail17trampoline_kernelINS0_14default_configENS1_35radix_sort_onesweep_config_selectorIbiEEZZNS1_29radix_sort_onesweep_iterationIS3_Lb0EN6thrust23THRUST_200600_302600_NS6detail15normal_iteratorINS8_10device_ptrIbEEEESD_NSA_INSB_IiEEEESF_jNS0_19identity_decomposerENS1_16block_id_wrapperIjLb0EEEEE10hipError_tT1_PNSt15iterator_traitsISK_E10value_typeET2_T3_PNSL_ISQ_E10value_typeET4_T5_PSV_SW_PNS1_23onesweep_lookback_stateEbbT6_jjT7_P12ihipStream_tbENKUlT_T0_SK_SP_E_clISD_SD_SF_SF_EEDaS13_S14_SK_SP_EUlS13_E_NS1_11comp_targetILNS1_3genE10ELNS1_11target_archE1201ELNS1_3gpuE5ELNS1_3repE0EEENS1_47radix_sort_onesweep_sort_config_static_selectorELNS0_4arch9wavefront6targetE1EEEvSK_.private_seg_size, 0
	.set _ZN7rocprim17ROCPRIM_400000_NS6detail17trampoline_kernelINS0_14default_configENS1_35radix_sort_onesweep_config_selectorIbiEEZZNS1_29radix_sort_onesweep_iterationIS3_Lb0EN6thrust23THRUST_200600_302600_NS6detail15normal_iteratorINS8_10device_ptrIbEEEESD_NSA_INSB_IiEEEESF_jNS0_19identity_decomposerENS1_16block_id_wrapperIjLb0EEEEE10hipError_tT1_PNSt15iterator_traitsISK_E10value_typeET2_T3_PNSL_ISQ_E10value_typeET4_T5_PSV_SW_PNS1_23onesweep_lookback_stateEbbT6_jjT7_P12ihipStream_tbENKUlT_T0_SK_SP_E_clISD_SD_SF_SF_EEDaS13_S14_SK_SP_EUlS13_E_NS1_11comp_targetILNS1_3genE10ELNS1_11target_archE1201ELNS1_3gpuE5ELNS1_3repE0EEENS1_47radix_sort_onesweep_sort_config_static_selectorELNS0_4arch9wavefront6targetE1EEEvSK_.uses_vcc, 0
	.set _ZN7rocprim17ROCPRIM_400000_NS6detail17trampoline_kernelINS0_14default_configENS1_35radix_sort_onesweep_config_selectorIbiEEZZNS1_29radix_sort_onesweep_iterationIS3_Lb0EN6thrust23THRUST_200600_302600_NS6detail15normal_iteratorINS8_10device_ptrIbEEEESD_NSA_INSB_IiEEEESF_jNS0_19identity_decomposerENS1_16block_id_wrapperIjLb0EEEEE10hipError_tT1_PNSt15iterator_traitsISK_E10value_typeET2_T3_PNSL_ISQ_E10value_typeET4_T5_PSV_SW_PNS1_23onesweep_lookback_stateEbbT6_jjT7_P12ihipStream_tbENKUlT_T0_SK_SP_E_clISD_SD_SF_SF_EEDaS13_S14_SK_SP_EUlS13_E_NS1_11comp_targetILNS1_3genE10ELNS1_11target_archE1201ELNS1_3gpuE5ELNS1_3repE0EEENS1_47radix_sort_onesweep_sort_config_static_selectorELNS0_4arch9wavefront6targetE1EEEvSK_.uses_flat_scratch, 0
	.set _ZN7rocprim17ROCPRIM_400000_NS6detail17trampoline_kernelINS0_14default_configENS1_35radix_sort_onesweep_config_selectorIbiEEZZNS1_29radix_sort_onesweep_iterationIS3_Lb0EN6thrust23THRUST_200600_302600_NS6detail15normal_iteratorINS8_10device_ptrIbEEEESD_NSA_INSB_IiEEEESF_jNS0_19identity_decomposerENS1_16block_id_wrapperIjLb0EEEEE10hipError_tT1_PNSt15iterator_traitsISK_E10value_typeET2_T3_PNSL_ISQ_E10value_typeET4_T5_PSV_SW_PNS1_23onesweep_lookback_stateEbbT6_jjT7_P12ihipStream_tbENKUlT_T0_SK_SP_E_clISD_SD_SF_SF_EEDaS13_S14_SK_SP_EUlS13_E_NS1_11comp_targetILNS1_3genE10ELNS1_11target_archE1201ELNS1_3gpuE5ELNS1_3repE0EEENS1_47radix_sort_onesweep_sort_config_static_selectorELNS0_4arch9wavefront6targetE1EEEvSK_.has_dyn_sized_stack, 0
	.set _ZN7rocprim17ROCPRIM_400000_NS6detail17trampoline_kernelINS0_14default_configENS1_35radix_sort_onesweep_config_selectorIbiEEZZNS1_29radix_sort_onesweep_iterationIS3_Lb0EN6thrust23THRUST_200600_302600_NS6detail15normal_iteratorINS8_10device_ptrIbEEEESD_NSA_INSB_IiEEEESF_jNS0_19identity_decomposerENS1_16block_id_wrapperIjLb0EEEEE10hipError_tT1_PNSt15iterator_traitsISK_E10value_typeET2_T3_PNSL_ISQ_E10value_typeET4_T5_PSV_SW_PNS1_23onesweep_lookback_stateEbbT6_jjT7_P12ihipStream_tbENKUlT_T0_SK_SP_E_clISD_SD_SF_SF_EEDaS13_S14_SK_SP_EUlS13_E_NS1_11comp_targetILNS1_3genE10ELNS1_11target_archE1201ELNS1_3gpuE5ELNS1_3repE0EEENS1_47radix_sort_onesweep_sort_config_static_selectorELNS0_4arch9wavefront6targetE1EEEvSK_.has_recursion, 0
	.set _ZN7rocprim17ROCPRIM_400000_NS6detail17trampoline_kernelINS0_14default_configENS1_35radix_sort_onesweep_config_selectorIbiEEZZNS1_29radix_sort_onesweep_iterationIS3_Lb0EN6thrust23THRUST_200600_302600_NS6detail15normal_iteratorINS8_10device_ptrIbEEEESD_NSA_INSB_IiEEEESF_jNS0_19identity_decomposerENS1_16block_id_wrapperIjLb0EEEEE10hipError_tT1_PNSt15iterator_traitsISK_E10value_typeET2_T3_PNSL_ISQ_E10value_typeET4_T5_PSV_SW_PNS1_23onesweep_lookback_stateEbbT6_jjT7_P12ihipStream_tbENKUlT_T0_SK_SP_E_clISD_SD_SF_SF_EEDaS13_S14_SK_SP_EUlS13_E_NS1_11comp_targetILNS1_3genE10ELNS1_11target_archE1201ELNS1_3gpuE5ELNS1_3repE0EEENS1_47radix_sort_onesweep_sort_config_static_selectorELNS0_4arch9wavefront6targetE1EEEvSK_.has_indirect_call, 0
	.section	.AMDGPU.csdata,"",@progbits
; Kernel info:
; codeLenInByte = 0
; TotalNumSgprs: 6
; NumVgprs: 0
; NumAgprs: 0
; TotalNumVgprs: 0
; ScratchSize: 0
; MemoryBound: 0
; FloatMode: 240
; IeeeMode: 1
; LDSByteSize: 0 bytes/workgroup (compile time only)
; SGPRBlocks: 0
; VGPRBlocks: 0
; NumSGPRsForWavesPerEU: 6
; NumVGPRsForWavesPerEU: 1
; AccumOffset: 4
; Occupancy: 8
; WaveLimiterHint : 0
; COMPUTE_PGM_RSRC2:SCRATCH_EN: 0
; COMPUTE_PGM_RSRC2:USER_SGPR: 2
; COMPUTE_PGM_RSRC2:TRAP_HANDLER: 0
; COMPUTE_PGM_RSRC2:TGID_X_EN: 1
; COMPUTE_PGM_RSRC2:TGID_Y_EN: 0
; COMPUTE_PGM_RSRC2:TGID_Z_EN: 0
; COMPUTE_PGM_RSRC2:TIDIG_COMP_CNT: 0
; COMPUTE_PGM_RSRC3_GFX90A:ACCUM_OFFSET: 0
; COMPUTE_PGM_RSRC3_GFX90A:TG_SPLIT: 0
	.section	.text._ZN7rocprim17ROCPRIM_400000_NS6detail17trampoline_kernelINS0_14default_configENS1_35radix_sort_onesweep_config_selectorIbiEEZZNS1_29radix_sort_onesweep_iterationIS3_Lb0EN6thrust23THRUST_200600_302600_NS6detail15normal_iteratorINS8_10device_ptrIbEEEESD_NSA_INSB_IiEEEESF_jNS0_19identity_decomposerENS1_16block_id_wrapperIjLb0EEEEE10hipError_tT1_PNSt15iterator_traitsISK_E10value_typeET2_T3_PNSL_ISQ_E10value_typeET4_T5_PSV_SW_PNS1_23onesweep_lookback_stateEbbT6_jjT7_P12ihipStream_tbENKUlT_T0_SK_SP_E_clISD_SD_SF_SF_EEDaS13_S14_SK_SP_EUlS13_E_NS1_11comp_targetILNS1_3genE9ELNS1_11target_archE1100ELNS1_3gpuE3ELNS1_3repE0EEENS1_47radix_sort_onesweep_sort_config_static_selectorELNS0_4arch9wavefront6targetE1EEEvSK_,"axG",@progbits,_ZN7rocprim17ROCPRIM_400000_NS6detail17trampoline_kernelINS0_14default_configENS1_35radix_sort_onesweep_config_selectorIbiEEZZNS1_29radix_sort_onesweep_iterationIS3_Lb0EN6thrust23THRUST_200600_302600_NS6detail15normal_iteratorINS8_10device_ptrIbEEEESD_NSA_INSB_IiEEEESF_jNS0_19identity_decomposerENS1_16block_id_wrapperIjLb0EEEEE10hipError_tT1_PNSt15iterator_traitsISK_E10value_typeET2_T3_PNSL_ISQ_E10value_typeET4_T5_PSV_SW_PNS1_23onesweep_lookback_stateEbbT6_jjT7_P12ihipStream_tbENKUlT_T0_SK_SP_E_clISD_SD_SF_SF_EEDaS13_S14_SK_SP_EUlS13_E_NS1_11comp_targetILNS1_3genE9ELNS1_11target_archE1100ELNS1_3gpuE3ELNS1_3repE0EEENS1_47radix_sort_onesweep_sort_config_static_selectorELNS0_4arch9wavefront6targetE1EEEvSK_,comdat
	.protected	_ZN7rocprim17ROCPRIM_400000_NS6detail17trampoline_kernelINS0_14default_configENS1_35radix_sort_onesweep_config_selectorIbiEEZZNS1_29radix_sort_onesweep_iterationIS3_Lb0EN6thrust23THRUST_200600_302600_NS6detail15normal_iteratorINS8_10device_ptrIbEEEESD_NSA_INSB_IiEEEESF_jNS0_19identity_decomposerENS1_16block_id_wrapperIjLb0EEEEE10hipError_tT1_PNSt15iterator_traitsISK_E10value_typeET2_T3_PNSL_ISQ_E10value_typeET4_T5_PSV_SW_PNS1_23onesweep_lookback_stateEbbT6_jjT7_P12ihipStream_tbENKUlT_T0_SK_SP_E_clISD_SD_SF_SF_EEDaS13_S14_SK_SP_EUlS13_E_NS1_11comp_targetILNS1_3genE9ELNS1_11target_archE1100ELNS1_3gpuE3ELNS1_3repE0EEENS1_47radix_sort_onesweep_sort_config_static_selectorELNS0_4arch9wavefront6targetE1EEEvSK_ ; -- Begin function _ZN7rocprim17ROCPRIM_400000_NS6detail17trampoline_kernelINS0_14default_configENS1_35radix_sort_onesweep_config_selectorIbiEEZZNS1_29radix_sort_onesweep_iterationIS3_Lb0EN6thrust23THRUST_200600_302600_NS6detail15normal_iteratorINS8_10device_ptrIbEEEESD_NSA_INSB_IiEEEESF_jNS0_19identity_decomposerENS1_16block_id_wrapperIjLb0EEEEE10hipError_tT1_PNSt15iterator_traitsISK_E10value_typeET2_T3_PNSL_ISQ_E10value_typeET4_T5_PSV_SW_PNS1_23onesweep_lookback_stateEbbT6_jjT7_P12ihipStream_tbENKUlT_T0_SK_SP_E_clISD_SD_SF_SF_EEDaS13_S14_SK_SP_EUlS13_E_NS1_11comp_targetILNS1_3genE9ELNS1_11target_archE1100ELNS1_3gpuE3ELNS1_3repE0EEENS1_47radix_sort_onesweep_sort_config_static_selectorELNS0_4arch9wavefront6targetE1EEEvSK_
	.globl	_ZN7rocprim17ROCPRIM_400000_NS6detail17trampoline_kernelINS0_14default_configENS1_35radix_sort_onesweep_config_selectorIbiEEZZNS1_29radix_sort_onesweep_iterationIS3_Lb0EN6thrust23THRUST_200600_302600_NS6detail15normal_iteratorINS8_10device_ptrIbEEEESD_NSA_INSB_IiEEEESF_jNS0_19identity_decomposerENS1_16block_id_wrapperIjLb0EEEEE10hipError_tT1_PNSt15iterator_traitsISK_E10value_typeET2_T3_PNSL_ISQ_E10value_typeET4_T5_PSV_SW_PNS1_23onesweep_lookback_stateEbbT6_jjT7_P12ihipStream_tbENKUlT_T0_SK_SP_E_clISD_SD_SF_SF_EEDaS13_S14_SK_SP_EUlS13_E_NS1_11comp_targetILNS1_3genE9ELNS1_11target_archE1100ELNS1_3gpuE3ELNS1_3repE0EEENS1_47radix_sort_onesweep_sort_config_static_selectorELNS0_4arch9wavefront6targetE1EEEvSK_
	.p2align	8
	.type	_ZN7rocprim17ROCPRIM_400000_NS6detail17trampoline_kernelINS0_14default_configENS1_35radix_sort_onesweep_config_selectorIbiEEZZNS1_29radix_sort_onesweep_iterationIS3_Lb0EN6thrust23THRUST_200600_302600_NS6detail15normal_iteratorINS8_10device_ptrIbEEEESD_NSA_INSB_IiEEEESF_jNS0_19identity_decomposerENS1_16block_id_wrapperIjLb0EEEEE10hipError_tT1_PNSt15iterator_traitsISK_E10value_typeET2_T3_PNSL_ISQ_E10value_typeET4_T5_PSV_SW_PNS1_23onesweep_lookback_stateEbbT6_jjT7_P12ihipStream_tbENKUlT_T0_SK_SP_E_clISD_SD_SF_SF_EEDaS13_S14_SK_SP_EUlS13_E_NS1_11comp_targetILNS1_3genE9ELNS1_11target_archE1100ELNS1_3gpuE3ELNS1_3repE0EEENS1_47radix_sort_onesweep_sort_config_static_selectorELNS0_4arch9wavefront6targetE1EEEvSK_,@function
_ZN7rocprim17ROCPRIM_400000_NS6detail17trampoline_kernelINS0_14default_configENS1_35radix_sort_onesweep_config_selectorIbiEEZZNS1_29radix_sort_onesweep_iterationIS3_Lb0EN6thrust23THRUST_200600_302600_NS6detail15normal_iteratorINS8_10device_ptrIbEEEESD_NSA_INSB_IiEEEESF_jNS0_19identity_decomposerENS1_16block_id_wrapperIjLb0EEEEE10hipError_tT1_PNSt15iterator_traitsISK_E10value_typeET2_T3_PNSL_ISQ_E10value_typeET4_T5_PSV_SW_PNS1_23onesweep_lookback_stateEbbT6_jjT7_P12ihipStream_tbENKUlT_T0_SK_SP_E_clISD_SD_SF_SF_EEDaS13_S14_SK_SP_EUlS13_E_NS1_11comp_targetILNS1_3genE9ELNS1_11target_archE1100ELNS1_3gpuE3ELNS1_3repE0EEENS1_47radix_sort_onesweep_sort_config_static_selectorELNS0_4arch9wavefront6targetE1EEEvSK_: ; @_ZN7rocprim17ROCPRIM_400000_NS6detail17trampoline_kernelINS0_14default_configENS1_35radix_sort_onesweep_config_selectorIbiEEZZNS1_29radix_sort_onesweep_iterationIS3_Lb0EN6thrust23THRUST_200600_302600_NS6detail15normal_iteratorINS8_10device_ptrIbEEEESD_NSA_INSB_IiEEEESF_jNS0_19identity_decomposerENS1_16block_id_wrapperIjLb0EEEEE10hipError_tT1_PNSt15iterator_traitsISK_E10value_typeET2_T3_PNSL_ISQ_E10value_typeET4_T5_PSV_SW_PNS1_23onesweep_lookback_stateEbbT6_jjT7_P12ihipStream_tbENKUlT_T0_SK_SP_E_clISD_SD_SF_SF_EEDaS13_S14_SK_SP_EUlS13_E_NS1_11comp_targetILNS1_3genE9ELNS1_11target_archE1100ELNS1_3gpuE3ELNS1_3repE0EEENS1_47radix_sort_onesweep_sort_config_static_selectorELNS0_4arch9wavefront6targetE1EEEvSK_
; %bb.0:
	.section	.rodata,"a",@progbits
	.p2align	6, 0x0
	.amdhsa_kernel _ZN7rocprim17ROCPRIM_400000_NS6detail17trampoline_kernelINS0_14default_configENS1_35radix_sort_onesweep_config_selectorIbiEEZZNS1_29radix_sort_onesweep_iterationIS3_Lb0EN6thrust23THRUST_200600_302600_NS6detail15normal_iteratorINS8_10device_ptrIbEEEESD_NSA_INSB_IiEEEESF_jNS0_19identity_decomposerENS1_16block_id_wrapperIjLb0EEEEE10hipError_tT1_PNSt15iterator_traitsISK_E10value_typeET2_T3_PNSL_ISQ_E10value_typeET4_T5_PSV_SW_PNS1_23onesweep_lookback_stateEbbT6_jjT7_P12ihipStream_tbENKUlT_T0_SK_SP_E_clISD_SD_SF_SF_EEDaS13_S14_SK_SP_EUlS13_E_NS1_11comp_targetILNS1_3genE9ELNS1_11target_archE1100ELNS1_3gpuE3ELNS1_3repE0EEENS1_47radix_sort_onesweep_sort_config_static_selectorELNS0_4arch9wavefront6targetE1EEEvSK_
		.amdhsa_group_segment_fixed_size 0
		.amdhsa_private_segment_fixed_size 0
		.amdhsa_kernarg_size 88
		.amdhsa_user_sgpr_count 2
		.amdhsa_user_sgpr_dispatch_ptr 0
		.amdhsa_user_sgpr_queue_ptr 0
		.amdhsa_user_sgpr_kernarg_segment_ptr 1
		.amdhsa_user_sgpr_dispatch_id 0
		.amdhsa_user_sgpr_kernarg_preload_length 0
		.amdhsa_user_sgpr_kernarg_preload_offset 0
		.amdhsa_user_sgpr_private_segment_size 0
		.amdhsa_uses_dynamic_stack 0
		.amdhsa_enable_private_segment 0
		.amdhsa_system_sgpr_workgroup_id_x 1
		.amdhsa_system_sgpr_workgroup_id_y 0
		.amdhsa_system_sgpr_workgroup_id_z 0
		.amdhsa_system_sgpr_workgroup_info 0
		.amdhsa_system_vgpr_workitem_id 0
		.amdhsa_next_free_vgpr 1
		.amdhsa_next_free_sgpr 0
		.amdhsa_accum_offset 4
		.amdhsa_reserve_vcc 0
		.amdhsa_float_round_mode_32 0
		.amdhsa_float_round_mode_16_64 0
		.amdhsa_float_denorm_mode_32 3
		.amdhsa_float_denorm_mode_16_64 3
		.amdhsa_dx10_clamp 1
		.amdhsa_ieee_mode 1
		.amdhsa_fp16_overflow 0
		.amdhsa_tg_split 0
		.amdhsa_exception_fp_ieee_invalid_op 0
		.amdhsa_exception_fp_denorm_src 0
		.amdhsa_exception_fp_ieee_div_zero 0
		.amdhsa_exception_fp_ieee_overflow 0
		.amdhsa_exception_fp_ieee_underflow 0
		.amdhsa_exception_fp_ieee_inexact 0
		.amdhsa_exception_int_div_zero 0
	.end_amdhsa_kernel
	.section	.text._ZN7rocprim17ROCPRIM_400000_NS6detail17trampoline_kernelINS0_14default_configENS1_35radix_sort_onesweep_config_selectorIbiEEZZNS1_29radix_sort_onesweep_iterationIS3_Lb0EN6thrust23THRUST_200600_302600_NS6detail15normal_iteratorINS8_10device_ptrIbEEEESD_NSA_INSB_IiEEEESF_jNS0_19identity_decomposerENS1_16block_id_wrapperIjLb0EEEEE10hipError_tT1_PNSt15iterator_traitsISK_E10value_typeET2_T3_PNSL_ISQ_E10value_typeET4_T5_PSV_SW_PNS1_23onesweep_lookback_stateEbbT6_jjT7_P12ihipStream_tbENKUlT_T0_SK_SP_E_clISD_SD_SF_SF_EEDaS13_S14_SK_SP_EUlS13_E_NS1_11comp_targetILNS1_3genE9ELNS1_11target_archE1100ELNS1_3gpuE3ELNS1_3repE0EEENS1_47radix_sort_onesweep_sort_config_static_selectorELNS0_4arch9wavefront6targetE1EEEvSK_,"axG",@progbits,_ZN7rocprim17ROCPRIM_400000_NS6detail17trampoline_kernelINS0_14default_configENS1_35radix_sort_onesweep_config_selectorIbiEEZZNS1_29radix_sort_onesweep_iterationIS3_Lb0EN6thrust23THRUST_200600_302600_NS6detail15normal_iteratorINS8_10device_ptrIbEEEESD_NSA_INSB_IiEEEESF_jNS0_19identity_decomposerENS1_16block_id_wrapperIjLb0EEEEE10hipError_tT1_PNSt15iterator_traitsISK_E10value_typeET2_T3_PNSL_ISQ_E10value_typeET4_T5_PSV_SW_PNS1_23onesweep_lookback_stateEbbT6_jjT7_P12ihipStream_tbENKUlT_T0_SK_SP_E_clISD_SD_SF_SF_EEDaS13_S14_SK_SP_EUlS13_E_NS1_11comp_targetILNS1_3genE9ELNS1_11target_archE1100ELNS1_3gpuE3ELNS1_3repE0EEENS1_47radix_sort_onesweep_sort_config_static_selectorELNS0_4arch9wavefront6targetE1EEEvSK_,comdat
.Lfunc_end2075:
	.size	_ZN7rocprim17ROCPRIM_400000_NS6detail17trampoline_kernelINS0_14default_configENS1_35radix_sort_onesweep_config_selectorIbiEEZZNS1_29radix_sort_onesweep_iterationIS3_Lb0EN6thrust23THRUST_200600_302600_NS6detail15normal_iteratorINS8_10device_ptrIbEEEESD_NSA_INSB_IiEEEESF_jNS0_19identity_decomposerENS1_16block_id_wrapperIjLb0EEEEE10hipError_tT1_PNSt15iterator_traitsISK_E10value_typeET2_T3_PNSL_ISQ_E10value_typeET4_T5_PSV_SW_PNS1_23onesweep_lookback_stateEbbT6_jjT7_P12ihipStream_tbENKUlT_T0_SK_SP_E_clISD_SD_SF_SF_EEDaS13_S14_SK_SP_EUlS13_E_NS1_11comp_targetILNS1_3genE9ELNS1_11target_archE1100ELNS1_3gpuE3ELNS1_3repE0EEENS1_47radix_sort_onesweep_sort_config_static_selectorELNS0_4arch9wavefront6targetE1EEEvSK_, .Lfunc_end2075-_ZN7rocprim17ROCPRIM_400000_NS6detail17trampoline_kernelINS0_14default_configENS1_35radix_sort_onesweep_config_selectorIbiEEZZNS1_29radix_sort_onesweep_iterationIS3_Lb0EN6thrust23THRUST_200600_302600_NS6detail15normal_iteratorINS8_10device_ptrIbEEEESD_NSA_INSB_IiEEEESF_jNS0_19identity_decomposerENS1_16block_id_wrapperIjLb0EEEEE10hipError_tT1_PNSt15iterator_traitsISK_E10value_typeET2_T3_PNSL_ISQ_E10value_typeET4_T5_PSV_SW_PNS1_23onesweep_lookback_stateEbbT6_jjT7_P12ihipStream_tbENKUlT_T0_SK_SP_E_clISD_SD_SF_SF_EEDaS13_S14_SK_SP_EUlS13_E_NS1_11comp_targetILNS1_3genE9ELNS1_11target_archE1100ELNS1_3gpuE3ELNS1_3repE0EEENS1_47radix_sort_onesweep_sort_config_static_selectorELNS0_4arch9wavefront6targetE1EEEvSK_
                                        ; -- End function
	.set _ZN7rocprim17ROCPRIM_400000_NS6detail17trampoline_kernelINS0_14default_configENS1_35radix_sort_onesweep_config_selectorIbiEEZZNS1_29radix_sort_onesweep_iterationIS3_Lb0EN6thrust23THRUST_200600_302600_NS6detail15normal_iteratorINS8_10device_ptrIbEEEESD_NSA_INSB_IiEEEESF_jNS0_19identity_decomposerENS1_16block_id_wrapperIjLb0EEEEE10hipError_tT1_PNSt15iterator_traitsISK_E10value_typeET2_T3_PNSL_ISQ_E10value_typeET4_T5_PSV_SW_PNS1_23onesweep_lookback_stateEbbT6_jjT7_P12ihipStream_tbENKUlT_T0_SK_SP_E_clISD_SD_SF_SF_EEDaS13_S14_SK_SP_EUlS13_E_NS1_11comp_targetILNS1_3genE9ELNS1_11target_archE1100ELNS1_3gpuE3ELNS1_3repE0EEENS1_47radix_sort_onesweep_sort_config_static_selectorELNS0_4arch9wavefront6targetE1EEEvSK_.num_vgpr, 0
	.set _ZN7rocprim17ROCPRIM_400000_NS6detail17trampoline_kernelINS0_14default_configENS1_35radix_sort_onesweep_config_selectorIbiEEZZNS1_29radix_sort_onesweep_iterationIS3_Lb0EN6thrust23THRUST_200600_302600_NS6detail15normal_iteratorINS8_10device_ptrIbEEEESD_NSA_INSB_IiEEEESF_jNS0_19identity_decomposerENS1_16block_id_wrapperIjLb0EEEEE10hipError_tT1_PNSt15iterator_traitsISK_E10value_typeET2_T3_PNSL_ISQ_E10value_typeET4_T5_PSV_SW_PNS1_23onesweep_lookback_stateEbbT6_jjT7_P12ihipStream_tbENKUlT_T0_SK_SP_E_clISD_SD_SF_SF_EEDaS13_S14_SK_SP_EUlS13_E_NS1_11comp_targetILNS1_3genE9ELNS1_11target_archE1100ELNS1_3gpuE3ELNS1_3repE0EEENS1_47radix_sort_onesweep_sort_config_static_selectorELNS0_4arch9wavefront6targetE1EEEvSK_.num_agpr, 0
	.set _ZN7rocprim17ROCPRIM_400000_NS6detail17trampoline_kernelINS0_14default_configENS1_35radix_sort_onesweep_config_selectorIbiEEZZNS1_29radix_sort_onesweep_iterationIS3_Lb0EN6thrust23THRUST_200600_302600_NS6detail15normal_iteratorINS8_10device_ptrIbEEEESD_NSA_INSB_IiEEEESF_jNS0_19identity_decomposerENS1_16block_id_wrapperIjLb0EEEEE10hipError_tT1_PNSt15iterator_traitsISK_E10value_typeET2_T3_PNSL_ISQ_E10value_typeET4_T5_PSV_SW_PNS1_23onesweep_lookback_stateEbbT6_jjT7_P12ihipStream_tbENKUlT_T0_SK_SP_E_clISD_SD_SF_SF_EEDaS13_S14_SK_SP_EUlS13_E_NS1_11comp_targetILNS1_3genE9ELNS1_11target_archE1100ELNS1_3gpuE3ELNS1_3repE0EEENS1_47radix_sort_onesweep_sort_config_static_selectorELNS0_4arch9wavefront6targetE1EEEvSK_.numbered_sgpr, 0
	.set _ZN7rocprim17ROCPRIM_400000_NS6detail17trampoline_kernelINS0_14default_configENS1_35radix_sort_onesweep_config_selectorIbiEEZZNS1_29radix_sort_onesweep_iterationIS3_Lb0EN6thrust23THRUST_200600_302600_NS6detail15normal_iteratorINS8_10device_ptrIbEEEESD_NSA_INSB_IiEEEESF_jNS0_19identity_decomposerENS1_16block_id_wrapperIjLb0EEEEE10hipError_tT1_PNSt15iterator_traitsISK_E10value_typeET2_T3_PNSL_ISQ_E10value_typeET4_T5_PSV_SW_PNS1_23onesweep_lookback_stateEbbT6_jjT7_P12ihipStream_tbENKUlT_T0_SK_SP_E_clISD_SD_SF_SF_EEDaS13_S14_SK_SP_EUlS13_E_NS1_11comp_targetILNS1_3genE9ELNS1_11target_archE1100ELNS1_3gpuE3ELNS1_3repE0EEENS1_47radix_sort_onesweep_sort_config_static_selectorELNS0_4arch9wavefront6targetE1EEEvSK_.num_named_barrier, 0
	.set _ZN7rocprim17ROCPRIM_400000_NS6detail17trampoline_kernelINS0_14default_configENS1_35radix_sort_onesweep_config_selectorIbiEEZZNS1_29radix_sort_onesweep_iterationIS3_Lb0EN6thrust23THRUST_200600_302600_NS6detail15normal_iteratorINS8_10device_ptrIbEEEESD_NSA_INSB_IiEEEESF_jNS0_19identity_decomposerENS1_16block_id_wrapperIjLb0EEEEE10hipError_tT1_PNSt15iterator_traitsISK_E10value_typeET2_T3_PNSL_ISQ_E10value_typeET4_T5_PSV_SW_PNS1_23onesweep_lookback_stateEbbT6_jjT7_P12ihipStream_tbENKUlT_T0_SK_SP_E_clISD_SD_SF_SF_EEDaS13_S14_SK_SP_EUlS13_E_NS1_11comp_targetILNS1_3genE9ELNS1_11target_archE1100ELNS1_3gpuE3ELNS1_3repE0EEENS1_47radix_sort_onesweep_sort_config_static_selectorELNS0_4arch9wavefront6targetE1EEEvSK_.private_seg_size, 0
	.set _ZN7rocprim17ROCPRIM_400000_NS6detail17trampoline_kernelINS0_14default_configENS1_35radix_sort_onesweep_config_selectorIbiEEZZNS1_29radix_sort_onesweep_iterationIS3_Lb0EN6thrust23THRUST_200600_302600_NS6detail15normal_iteratorINS8_10device_ptrIbEEEESD_NSA_INSB_IiEEEESF_jNS0_19identity_decomposerENS1_16block_id_wrapperIjLb0EEEEE10hipError_tT1_PNSt15iterator_traitsISK_E10value_typeET2_T3_PNSL_ISQ_E10value_typeET4_T5_PSV_SW_PNS1_23onesweep_lookback_stateEbbT6_jjT7_P12ihipStream_tbENKUlT_T0_SK_SP_E_clISD_SD_SF_SF_EEDaS13_S14_SK_SP_EUlS13_E_NS1_11comp_targetILNS1_3genE9ELNS1_11target_archE1100ELNS1_3gpuE3ELNS1_3repE0EEENS1_47radix_sort_onesweep_sort_config_static_selectorELNS0_4arch9wavefront6targetE1EEEvSK_.uses_vcc, 0
	.set _ZN7rocprim17ROCPRIM_400000_NS6detail17trampoline_kernelINS0_14default_configENS1_35radix_sort_onesweep_config_selectorIbiEEZZNS1_29radix_sort_onesweep_iterationIS3_Lb0EN6thrust23THRUST_200600_302600_NS6detail15normal_iteratorINS8_10device_ptrIbEEEESD_NSA_INSB_IiEEEESF_jNS0_19identity_decomposerENS1_16block_id_wrapperIjLb0EEEEE10hipError_tT1_PNSt15iterator_traitsISK_E10value_typeET2_T3_PNSL_ISQ_E10value_typeET4_T5_PSV_SW_PNS1_23onesweep_lookback_stateEbbT6_jjT7_P12ihipStream_tbENKUlT_T0_SK_SP_E_clISD_SD_SF_SF_EEDaS13_S14_SK_SP_EUlS13_E_NS1_11comp_targetILNS1_3genE9ELNS1_11target_archE1100ELNS1_3gpuE3ELNS1_3repE0EEENS1_47radix_sort_onesweep_sort_config_static_selectorELNS0_4arch9wavefront6targetE1EEEvSK_.uses_flat_scratch, 0
	.set _ZN7rocprim17ROCPRIM_400000_NS6detail17trampoline_kernelINS0_14default_configENS1_35radix_sort_onesweep_config_selectorIbiEEZZNS1_29radix_sort_onesweep_iterationIS3_Lb0EN6thrust23THRUST_200600_302600_NS6detail15normal_iteratorINS8_10device_ptrIbEEEESD_NSA_INSB_IiEEEESF_jNS0_19identity_decomposerENS1_16block_id_wrapperIjLb0EEEEE10hipError_tT1_PNSt15iterator_traitsISK_E10value_typeET2_T3_PNSL_ISQ_E10value_typeET4_T5_PSV_SW_PNS1_23onesweep_lookback_stateEbbT6_jjT7_P12ihipStream_tbENKUlT_T0_SK_SP_E_clISD_SD_SF_SF_EEDaS13_S14_SK_SP_EUlS13_E_NS1_11comp_targetILNS1_3genE9ELNS1_11target_archE1100ELNS1_3gpuE3ELNS1_3repE0EEENS1_47radix_sort_onesweep_sort_config_static_selectorELNS0_4arch9wavefront6targetE1EEEvSK_.has_dyn_sized_stack, 0
	.set _ZN7rocprim17ROCPRIM_400000_NS6detail17trampoline_kernelINS0_14default_configENS1_35radix_sort_onesweep_config_selectorIbiEEZZNS1_29radix_sort_onesweep_iterationIS3_Lb0EN6thrust23THRUST_200600_302600_NS6detail15normal_iteratorINS8_10device_ptrIbEEEESD_NSA_INSB_IiEEEESF_jNS0_19identity_decomposerENS1_16block_id_wrapperIjLb0EEEEE10hipError_tT1_PNSt15iterator_traitsISK_E10value_typeET2_T3_PNSL_ISQ_E10value_typeET4_T5_PSV_SW_PNS1_23onesweep_lookback_stateEbbT6_jjT7_P12ihipStream_tbENKUlT_T0_SK_SP_E_clISD_SD_SF_SF_EEDaS13_S14_SK_SP_EUlS13_E_NS1_11comp_targetILNS1_3genE9ELNS1_11target_archE1100ELNS1_3gpuE3ELNS1_3repE0EEENS1_47radix_sort_onesweep_sort_config_static_selectorELNS0_4arch9wavefront6targetE1EEEvSK_.has_recursion, 0
	.set _ZN7rocprim17ROCPRIM_400000_NS6detail17trampoline_kernelINS0_14default_configENS1_35radix_sort_onesweep_config_selectorIbiEEZZNS1_29radix_sort_onesweep_iterationIS3_Lb0EN6thrust23THRUST_200600_302600_NS6detail15normal_iteratorINS8_10device_ptrIbEEEESD_NSA_INSB_IiEEEESF_jNS0_19identity_decomposerENS1_16block_id_wrapperIjLb0EEEEE10hipError_tT1_PNSt15iterator_traitsISK_E10value_typeET2_T3_PNSL_ISQ_E10value_typeET4_T5_PSV_SW_PNS1_23onesweep_lookback_stateEbbT6_jjT7_P12ihipStream_tbENKUlT_T0_SK_SP_E_clISD_SD_SF_SF_EEDaS13_S14_SK_SP_EUlS13_E_NS1_11comp_targetILNS1_3genE9ELNS1_11target_archE1100ELNS1_3gpuE3ELNS1_3repE0EEENS1_47radix_sort_onesweep_sort_config_static_selectorELNS0_4arch9wavefront6targetE1EEEvSK_.has_indirect_call, 0
	.section	.AMDGPU.csdata,"",@progbits
; Kernel info:
; codeLenInByte = 0
; TotalNumSgprs: 6
; NumVgprs: 0
; NumAgprs: 0
; TotalNumVgprs: 0
; ScratchSize: 0
; MemoryBound: 0
; FloatMode: 240
; IeeeMode: 1
; LDSByteSize: 0 bytes/workgroup (compile time only)
; SGPRBlocks: 0
; VGPRBlocks: 0
; NumSGPRsForWavesPerEU: 6
; NumVGPRsForWavesPerEU: 1
; AccumOffset: 4
; Occupancy: 8
; WaveLimiterHint : 0
; COMPUTE_PGM_RSRC2:SCRATCH_EN: 0
; COMPUTE_PGM_RSRC2:USER_SGPR: 2
; COMPUTE_PGM_RSRC2:TRAP_HANDLER: 0
; COMPUTE_PGM_RSRC2:TGID_X_EN: 1
; COMPUTE_PGM_RSRC2:TGID_Y_EN: 0
; COMPUTE_PGM_RSRC2:TGID_Z_EN: 0
; COMPUTE_PGM_RSRC2:TIDIG_COMP_CNT: 0
; COMPUTE_PGM_RSRC3_GFX90A:ACCUM_OFFSET: 0
; COMPUTE_PGM_RSRC3_GFX90A:TG_SPLIT: 0
	.section	.text._ZN7rocprim17ROCPRIM_400000_NS6detail17trampoline_kernelINS0_14default_configENS1_35radix_sort_onesweep_config_selectorIbiEEZZNS1_29radix_sort_onesweep_iterationIS3_Lb0EN6thrust23THRUST_200600_302600_NS6detail15normal_iteratorINS8_10device_ptrIbEEEESD_NSA_INSB_IiEEEESF_jNS0_19identity_decomposerENS1_16block_id_wrapperIjLb0EEEEE10hipError_tT1_PNSt15iterator_traitsISK_E10value_typeET2_T3_PNSL_ISQ_E10value_typeET4_T5_PSV_SW_PNS1_23onesweep_lookback_stateEbbT6_jjT7_P12ihipStream_tbENKUlT_T0_SK_SP_E_clISD_SD_SF_SF_EEDaS13_S14_SK_SP_EUlS13_E_NS1_11comp_targetILNS1_3genE8ELNS1_11target_archE1030ELNS1_3gpuE2ELNS1_3repE0EEENS1_47radix_sort_onesweep_sort_config_static_selectorELNS0_4arch9wavefront6targetE1EEEvSK_,"axG",@progbits,_ZN7rocprim17ROCPRIM_400000_NS6detail17trampoline_kernelINS0_14default_configENS1_35radix_sort_onesweep_config_selectorIbiEEZZNS1_29radix_sort_onesweep_iterationIS3_Lb0EN6thrust23THRUST_200600_302600_NS6detail15normal_iteratorINS8_10device_ptrIbEEEESD_NSA_INSB_IiEEEESF_jNS0_19identity_decomposerENS1_16block_id_wrapperIjLb0EEEEE10hipError_tT1_PNSt15iterator_traitsISK_E10value_typeET2_T3_PNSL_ISQ_E10value_typeET4_T5_PSV_SW_PNS1_23onesweep_lookback_stateEbbT6_jjT7_P12ihipStream_tbENKUlT_T0_SK_SP_E_clISD_SD_SF_SF_EEDaS13_S14_SK_SP_EUlS13_E_NS1_11comp_targetILNS1_3genE8ELNS1_11target_archE1030ELNS1_3gpuE2ELNS1_3repE0EEENS1_47radix_sort_onesweep_sort_config_static_selectorELNS0_4arch9wavefront6targetE1EEEvSK_,comdat
	.protected	_ZN7rocprim17ROCPRIM_400000_NS6detail17trampoline_kernelINS0_14default_configENS1_35radix_sort_onesweep_config_selectorIbiEEZZNS1_29radix_sort_onesweep_iterationIS3_Lb0EN6thrust23THRUST_200600_302600_NS6detail15normal_iteratorINS8_10device_ptrIbEEEESD_NSA_INSB_IiEEEESF_jNS0_19identity_decomposerENS1_16block_id_wrapperIjLb0EEEEE10hipError_tT1_PNSt15iterator_traitsISK_E10value_typeET2_T3_PNSL_ISQ_E10value_typeET4_T5_PSV_SW_PNS1_23onesweep_lookback_stateEbbT6_jjT7_P12ihipStream_tbENKUlT_T0_SK_SP_E_clISD_SD_SF_SF_EEDaS13_S14_SK_SP_EUlS13_E_NS1_11comp_targetILNS1_3genE8ELNS1_11target_archE1030ELNS1_3gpuE2ELNS1_3repE0EEENS1_47radix_sort_onesweep_sort_config_static_selectorELNS0_4arch9wavefront6targetE1EEEvSK_ ; -- Begin function _ZN7rocprim17ROCPRIM_400000_NS6detail17trampoline_kernelINS0_14default_configENS1_35radix_sort_onesweep_config_selectorIbiEEZZNS1_29radix_sort_onesweep_iterationIS3_Lb0EN6thrust23THRUST_200600_302600_NS6detail15normal_iteratorINS8_10device_ptrIbEEEESD_NSA_INSB_IiEEEESF_jNS0_19identity_decomposerENS1_16block_id_wrapperIjLb0EEEEE10hipError_tT1_PNSt15iterator_traitsISK_E10value_typeET2_T3_PNSL_ISQ_E10value_typeET4_T5_PSV_SW_PNS1_23onesweep_lookback_stateEbbT6_jjT7_P12ihipStream_tbENKUlT_T0_SK_SP_E_clISD_SD_SF_SF_EEDaS13_S14_SK_SP_EUlS13_E_NS1_11comp_targetILNS1_3genE8ELNS1_11target_archE1030ELNS1_3gpuE2ELNS1_3repE0EEENS1_47radix_sort_onesweep_sort_config_static_selectorELNS0_4arch9wavefront6targetE1EEEvSK_
	.globl	_ZN7rocprim17ROCPRIM_400000_NS6detail17trampoline_kernelINS0_14default_configENS1_35radix_sort_onesweep_config_selectorIbiEEZZNS1_29radix_sort_onesweep_iterationIS3_Lb0EN6thrust23THRUST_200600_302600_NS6detail15normal_iteratorINS8_10device_ptrIbEEEESD_NSA_INSB_IiEEEESF_jNS0_19identity_decomposerENS1_16block_id_wrapperIjLb0EEEEE10hipError_tT1_PNSt15iterator_traitsISK_E10value_typeET2_T3_PNSL_ISQ_E10value_typeET4_T5_PSV_SW_PNS1_23onesweep_lookback_stateEbbT6_jjT7_P12ihipStream_tbENKUlT_T0_SK_SP_E_clISD_SD_SF_SF_EEDaS13_S14_SK_SP_EUlS13_E_NS1_11comp_targetILNS1_3genE8ELNS1_11target_archE1030ELNS1_3gpuE2ELNS1_3repE0EEENS1_47radix_sort_onesweep_sort_config_static_selectorELNS0_4arch9wavefront6targetE1EEEvSK_
	.p2align	8
	.type	_ZN7rocprim17ROCPRIM_400000_NS6detail17trampoline_kernelINS0_14default_configENS1_35radix_sort_onesweep_config_selectorIbiEEZZNS1_29radix_sort_onesweep_iterationIS3_Lb0EN6thrust23THRUST_200600_302600_NS6detail15normal_iteratorINS8_10device_ptrIbEEEESD_NSA_INSB_IiEEEESF_jNS0_19identity_decomposerENS1_16block_id_wrapperIjLb0EEEEE10hipError_tT1_PNSt15iterator_traitsISK_E10value_typeET2_T3_PNSL_ISQ_E10value_typeET4_T5_PSV_SW_PNS1_23onesweep_lookback_stateEbbT6_jjT7_P12ihipStream_tbENKUlT_T0_SK_SP_E_clISD_SD_SF_SF_EEDaS13_S14_SK_SP_EUlS13_E_NS1_11comp_targetILNS1_3genE8ELNS1_11target_archE1030ELNS1_3gpuE2ELNS1_3repE0EEENS1_47radix_sort_onesweep_sort_config_static_selectorELNS0_4arch9wavefront6targetE1EEEvSK_,@function
_ZN7rocprim17ROCPRIM_400000_NS6detail17trampoline_kernelINS0_14default_configENS1_35radix_sort_onesweep_config_selectorIbiEEZZNS1_29radix_sort_onesweep_iterationIS3_Lb0EN6thrust23THRUST_200600_302600_NS6detail15normal_iteratorINS8_10device_ptrIbEEEESD_NSA_INSB_IiEEEESF_jNS0_19identity_decomposerENS1_16block_id_wrapperIjLb0EEEEE10hipError_tT1_PNSt15iterator_traitsISK_E10value_typeET2_T3_PNSL_ISQ_E10value_typeET4_T5_PSV_SW_PNS1_23onesweep_lookback_stateEbbT6_jjT7_P12ihipStream_tbENKUlT_T0_SK_SP_E_clISD_SD_SF_SF_EEDaS13_S14_SK_SP_EUlS13_E_NS1_11comp_targetILNS1_3genE8ELNS1_11target_archE1030ELNS1_3gpuE2ELNS1_3repE0EEENS1_47radix_sort_onesweep_sort_config_static_selectorELNS0_4arch9wavefront6targetE1EEEvSK_: ; @_ZN7rocprim17ROCPRIM_400000_NS6detail17trampoline_kernelINS0_14default_configENS1_35radix_sort_onesweep_config_selectorIbiEEZZNS1_29radix_sort_onesweep_iterationIS3_Lb0EN6thrust23THRUST_200600_302600_NS6detail15normal_iteratorINS8_10device_ptrIbEEEESD_NSA_INSB_IiEEEESF_jNS0_19identity_decomposerENS1_16block_id_wrapperIjLb0EEEEE10hipError_tT1_PNSt15iterator_traitsISK_E10value_typeET2_T3_PNSL_ISQ_E10value_typeET4_T5_PSV_SW_PNS1_23onesweep_lookback_stateEbbT6_jjT7_P12ihipStream_tbENKUlT_T0_SK_SP_E_clISD_SD_SF_SF_EEDaS13_S14_SK_SP_EUlS13_E_NS1_11comp_targetILNS1_3genE8ELNS1_11target_archE1030ELNS1_3gpuE2ELNS1_3repE0EEENS1_47radix_sort_onesweep_sort_config_static_selectorELNS0_4arch9wavefront6targetE1EEEvSK_
; %bb.0:
	.section	.rodata,"a",@progbits
	.p2align	6, 0x0
	.amdhsa_kernel _ZN7rocprim17ROCPRIM_400000_NS6detail17trampoline_kernelINS0_14default_configENS1_35radix_sort_onesweep_config_selectorIbiEEZZNS1_29radix_sort_onesweep_iterationIS3_Lb0EN6thrust23THRUST_200600_302600_NS6detail15normal_iteratorINS8_10device_ptrIbEEEESD_NSA_INSB_IiEEEESF_jNS0_19identity_decomposerENS1_16block_id_wrapperIjLb0EEEEE10hipError_tT1_PNSt15iterator_traitsISK_E10value_typeET2_T3_PNSL_ISQ_E10value_typeET4_T5_PSV_SW_PNS1_23onesweep_lookback_stateEbbT6_jjT7_P12ihipStream_tbENKUlT_T0_SK_SP_E_clISD_SD_SF_SF_EEDaS13_S14_SK_SP_EUlS13_E_NS1_11comp_targetILNS1_3genE8ELNS1_11target_archE1030ELNS1_3gpuE2ELNS1_3repE0EEENS1_47radix_sort_onesweep_sort_config_static_selectorELNS0_4arch9wavefront6targetE1EEEvSK_
		.amdhsa_group_segment_fixed_size 0
		.amdhsa_private_segment_fixed_size 0
		.amdhsa_kernarg_size 88
		.amdhsa_user_sgpr_count 2
		.amdhsa_user_sgpr_dispatch_ptr 0
		.amdhsa_user_sgpr_queue_ptr 0
		.amdhsa_user_sgpr_kernarg_segment_ptr 1
		.amdhsa_user_sgpr_dispatch_id 0
		.amdhsa_user_sgpr_kernarg_preload_length 0
		.amdhsa_user_sgpr_kernarg_preload_offset 0
		.amdhsa_user_sgpr_private_segment_size 0
		.amdhsa_uses_dynamic_stack 0
		.amdhsa_enable_private_segment 0
		.amdhsa_system_sgpr_workgroup_id_x 1
		.amdhsa_system_sgpr_workgroup_id_y 0
		.amdhsa_system_sgpr_workgroup_id_z 0
		.amdhsa_system_sgpr_workgroup_info 0
		.amdhsa_system_vgpr_workitem_id 0
		.amdhsa_next_free_vgpr 1
		.amdhsa_next_free_sgpr 0
		.amdhsa_accum_offset 4
		.amdhsa_reserve_vcc 0
		.amdhsa_float_round_mode_32 0
		.amdhsa_float_round_mode_16_64 0
		.amdhsa_float_denorm_mode_32 3
		.amdhsa_float_denorm_mode_16_64 3
		.amdhsa_dx10_clamp 1
		.amdhsa_ieee_mode 1
		.amdhsa_fp16_overflow 0
		.amdhsa_tg_split 0
		.amdhsa_exception_fp_ieee_invalid_op 0
		.amdhsa_exception_fp_denorm_src 0
		.amdhsa_exception_fp_ieee_div_zero 0
		.amdhsa_exception_fp_ieee_overflow 0
		.amdhsa_exception_fp_ieee_underflow 0
		.amdhsa_exception_fp_ieee_inexact 0
		.amdhsa_exception_int_div_zero 0
	.end_amdhsa_kernel
	.section	.text._ZN7rocprim17ROCPRIM_400000_NS6detail17trampoline_kernelINS0_14default_configENS1_35radix_sort_onesweep_config_selectorIbiEEZZNS1_29radix_sort_onesweep_iterationIS3_Lb0EN6thrust23THRUST_200600_302600_NS6detail15normal_iteratorINS8_10device_ptrIbEEEESD_NSA_INSB_IiEEEESF_jNS0_19identity_decomposerENS1_16block_id_wrapperIjLb0EEEEE10hipError_tT1_PNSt15iterator_traitsISK_E10value_typeET2_T3_PNSL_ISQ_E10value_typeET4_T5_PSV_SW_PNS1_23onesweep_lookback_stateEbbT6_jjT7_P12ihipStream_tbENKUlT_T0_SK_SP_E_clISD_SD_SF_SF_EEDaS13_S14_SK_SP_EUlS13_E_NS1_11comp_targetILNS1_3genE8ELNS1_11target_archE1030ELNS1_3gpuE2ELNS1_3repE0EEENS1_47radix_sort_onesweep_sort_config_static_selectorELNS0_4arch9wavefront6targetE1EEEvSK_,"axG",@progbits,_ZN7rocprim17ROCPRIM_400000_NS6detail17trampoline_kernelINS0_14default_configENS1_35radix_sort_onesweep_config_selectorIbiEEZZNS1_29radix_sort_onesweep_iterationIS3_Lb0EN6thrust23THRUST_200600_302600_NS6detail15normal_iteratorINS8_10device_ptrIbEEEESD_NSA_INSB_IiEEEESF_jNS0_19identity_decomposerENS1_16block_id_wrapperIjLb0EEEEE10hipError_tT1_PNSt15iterator_traitsISK_E10value_typeET2_T3_PNSL_ISQ_E10value_typeET4_T5_PSV_SW_PNS1_23onesweep_lookback_stateEbbT6_jjT7_P12ihipStream_tbENKUlT_T0_SK_SP_E_clISD_SD_SF_SF_EEDaS13_S14_SK_SP_EUlS13_E_NS1_11comp_targetILNS1_3genE8ELNS1_11target_archE1030ELNS1_3gpuE2ELNS1_3repE0EEENS1_47radix_sort_onesweep_sort_config_static_selectorELNS0_4arch9wavefront6targetE1EEEvSK_,comdat
.Lfunc_end2076:
	.size	_ZN7rocprim17ROCPRIM_400000_NS6detail17trampoline_kernelINS0_14default_configENS1_35radix_sort_onesweep_config_selectorIbiEEZZNS1_29radix_sort_onesweep_iterationIS3_Lb0EN6thrust23THRUST_200600_302600_NS6detail15normal_iteratorINS8_10device_ptrIbEEEESD_NSA_INSB_IiEEEESF_jNS0_19identity_decomposerENS1_16block_id_wrapperIjLb0EEEEE10hipError_tT1_PNSt15iterator_traitsISK_E10value_typeET2_T3_PNSL_ISQ_E10value_typeET4_T5_PSV_SW_PNS1_23onesweep_lookback_stateEbbT6_jjT7_P12ihipStream_tbENKUlT_T0_SK_SP_E_clISD_SD_SF_SF_EEDaS13_S14_SK_SP_EUlS13_E_NS1_11comp_targetILNS1_3genE8ELNS1_11target_archE1030ELNS1_3gpuE2ELNS1_3repE0EEENS1_47radix_sort_onesweep_sort_config_static_selectorELNS0_4arch9wavefront6targetE1EEEvSK_, .Lfunc_end2076-_ZN7rocprim17ROCPRIM_400000_NS6detail17trampoline_kernelINS0_14default_configENS1_35radix_sort_onesweep_config_selectorIbiEEZZNS1_29radix_sort_onesweep_iterationIS3_Lb0EN6thrust23THRUST_200600_302600_NS6detail15normal_iteratorINS8_10device_ptrIbEEEESD_NSA_INSB_IiEEEESF_jNS0_19identity_decomposerENS1_16block_id_wrapperIjLb0EEEEE10hipError_tT1_PNSt15iterator_traitsISK_E10value_typeET2_T3_PNSL_ISQ_E10value_typeET4_T5_PSV_SW_PNS1_23onesweep_lookback_stateEbbT6_jjT7_P12ihipStream_tbENKUlT_T0_SK_SP_E_clISD_SD_SF_SF_EEDaS13_S14_SK_SP_EUlS13_E_NS1_11comp_targetILNS1_3genE8ELNS1_11target_archE1030ELNS1_3gpuE2ELNS1_3repE0EEENS1_47radix_sort_onesweep_sort_config_static_selectorELNS0_4arch9wavefront6targetE1EEEvSK_
                                        ; -- End function
	.set _ZN7rocprim17ROCPRIM_400000_NS6detail17trampoline_kernelINS0_14default_configENS1_35radix_sort_onesweep_config_selectorIbiEEZZNS1_29radix_sort_onesweep_iterationIS3_Lb0EN6thrust23THRUST_200600_302600_NS6detail15normal_iteratorINS8_10device_ptrIbEEEESD_NSA_INSB_IiEEEESF_jNS0_19identity_decomposerENS1_16block_id_wrapperIjLb0EEEEE10hipError_tT1_PNSt15iterator_traitsISK_E10value_typeET2_T3_PNSL_ISQ_E10value_typeET4_T5_PSV_SW_PNS1_23onesweep_lookback_stateEbbT6_jjT7_P12ihipStream_tbENKUlT_T0_SK_SP_E_clISD_SD_SF_SF_EEDaS13_S14_SK_SP_EUlS13_E_NS1_11comp_targetILNS1_3genE8ELNS1_11target_archE1030ELNS1_3gpuE2ELNS1_3repE0EEENS1_47radix_sort_onesweep_sort_config_static_selectorELNS0_4arch9wavefront6targetE1EEEvSK_.num_vgpr, 0
	.set _ZN7rocprim17ROCPRIM_400000_NS6detail17trampoline_kernelINS0_14default_configENS1_35radix_sort_onesweep_config_selectorIbiEEZZNS1_29radix_sort_onesweep_iterationIS3_Lb0EN6thrust23THRUST_200600_302600_NS6detail15normal_iteratorINS8_10device_ptrIbEEEESD_NSA_INSB_IiEEEESF_jNS0_19identity_decomposerENS1_16block_id_wrapperIjLb0EEEEE10hipError_tT1_PNSt15iterator_traitsISK_E10value_typeET2_T3_PNSL_ISQ_E10value_typeET4_T5_PSV_SW_PNS1_23onesweep_lookback_stateEbbT6_jjT7_P12ihipStream_tbENKUlT_T0_SK_SP_E_clISD_SD_SF_SF_EEDaS13_S14_SK_SP_EUlS13_E_NS1_11comp_targetILNS1_3genE8ELNS1_11target_archE1030ELNS1_3gpuE2ELNS1_3repE0EEENS1_47radix_sort_onesweep_sort_config_static_selectorELNS0_4arch9wavefront6targetE1EEEvSK_.num_agpr, 0
	.set _ZN7rocprim17ROCPRIM_400000_NS6detail17trampoline_kernelINS0_14default_configENS1_35radix_sort_onesweep_config_selectorIbiEEZZNS1_29radix_sort_onesweep_iterationIS3_Lb0EN6thrust23THRUST_200600_302600_NS6detail15normal_iteratorINS8_10device_ptrIbEEEESD_NSA_INSB_IiEEEESF_jNS0_19identity_decomposerENS1_16block_id_wrapperIjLb0EEEEE10hipError_tT1_PNSt15iterator_traitsISK_E10value_typeET2_T3_PNSL_ISQ_E10value_typeET4_T5_PSV_SW_PNS1_23onesweep_lookback_stateEbbT6_jjT7_P12ihipStream_tbENKUlT_T0_SK_SP_E_clISD_SD_SF_SF_EEDaS13_S14_SK_SP_EUlS13_E_NS1_11comp_targetILNS1_3genE8ELNS1_11target_archE1030ELNS1_3gpuE2ELNS1_3repE0EEENS1_47radix_sort_onesweep_sort_config_static_selectorELNS0_4arch9wavefront6targetE1EEEvSK_.numbered_sgpr, 0
	.set _ZN7rocprim17ROCPRIM_400000_NS6detail17trampoline_kernelINS0_14default_configENS1_35radix_sort_onesweep_config_selectorIbiEEZZNS1_29radix_sort_onesweep_iterationIS3_Lb0EN6thrust23THRUST_200600_302600_NS6detail15normal_iteratorINS8_10device_ptrIbEEEESD_NSA_INSB_IiEEEESF_jNS0_19identity_decomposerENS1_16block_id_wrapperIjLb0EEEEE10hipError_tT1_PNSt15iterator_traitsISK_E10value_typeET2_T3_PNSL_ISQ_E10value_typeET4_T5_PSV_SW_PNS1_23onesweep_lookback_stateEbbT6_jjT7_P12ihipStream_tbENKUlT_T0_SK_SP_E_clISD_SD_SF_SF_EEDaS13_S14_SK_SP_EUlS13_E_NS1_11comp_targetILNS1_3genE8ELNS1_11target_archE1030ELNS1_3gpuE2ELNS1_3repE0EEENS1_47radix_sort_onesweep_sort_config_static_selectorELNS0_4arch9wavefront6targetE1EEEvSK_.num_named_barrier, 0
	.set _ZN7rocprim17ROCPRIM_400000_NS6detail17trampoline_kernelINS0_14default_configENS1_35radix_sort_onesweep_config_selectorIbiEEZZNS1_29radix_sort_onesweep_iterationIS3_Lb0EN6thrust23THRUST_200600_302600_NS6detail15normal_iteratorINS8_10device_ptrIbEEEESD_NSA_INSB_IiEEEESF_jNS0_19identity_decomposerENS1_16block_id_wrapperIjLb0EEEEE10hipError_tT1_PNSt15iterator_traitsISK_E10value_typeET2_T3_PNSL_ISQ_E10value_typeET4_T5_PSV_SW_PNS1_23onesweep_lookback_stateEbbT6_jjT7_P12ihipStream_tbENKUlT_T0_SK_SP_E_clISD_SD_SF_SF_EEDaS13_S14_SK_SP_EUlS13_E_NS1_11comp_targetILNS1_3genE8ELNS1_11target_archE1030ELNS1_3gpuE2ELNS1_3repE0EEENS1_47radix_sort_onesweep_sort_config_static_selectorELNS0_4arch9wavefront6targetE1EEEvSK_.private_seg_size, 0
	.set _ZN7rocprim17ROCPRIM_400000_NS6detail17trampoline_kernelINS0_14default_configENS1_35radix_sort_onesweep_config_selectorIbiEEZZNS1_29radix_sort_onesweep_iterationIS3_Lb0EN6thrust23THRUST_200600_302600_NS6detail15normal_iteratorINS8_10device_ptrIbEEEESD_NSA_INSB_IiEEEESF_jNS0_19identity_decomposerENS1_16block_id_wrapperIjLb0EEEEE10hipError_tT1_PNSt15iterator_traitsISK_E10value_typeET2_T3_PNSL_ISQ_E10value_typeET4_T5_PSV_SW_PNS1_23onesweep_lookback_stateEbbT6_jjT7_P12ihipStream_tbENKUlT_T0_SK_SP_E_clISD_SD_SF_SF_EEDaS13_S14_SK_SP_EUlS13_E_NS1_11comp_targetILNS1_3genE8ELNS1_11target_archE1030ELNS1_3gpuE2ELNS1_3repE0EEENS1_47radix_sort_onesweep_sort_config_static_selectorELNS0_4arch9wavefront6targetE1EEEvSK_.uses_vcc, 0
	.set _ZN7rocprim17ROCPRIM_400000_NS6detail17trampoline_kernelINS0_14default_configENS1_35radix_sort_onesweep_config_selectorIbiEEZZNS1_29radix_sort_onesweep_iterationIS3_Lb0EN6thrust23THRUST_200600_302600_NS6detail15normal_iteratorINS8_10device_ptrIbEEEESD_NSA_INSB_IiEEEESF_jNS0_19identity_decomposerENS1_16block_id_wrapperIjLb0EEEEE10hipError_tT1_PNSt15iterator_traitsISK_E10value_typeET2_T3_PNSL_ISQ_E10value_typeET4_T5_PSV_SW_PNS1_23onesweep_lookback_stateEbbT6_jjT7_P12ihipStream_tbENKUlT_T0_SK_SP_E_clISD_SD_SF_SF_EEDaS13_S14_SK_SP_EUlS13_E_NS1_11comp_targetILNS1_3genE8ELNS1_11target_archE1030ELNS1_3gpuE2ELNS1_3repE0EEENS1_47radix_sort_onesweep_sort_config_static_selectorELNS0_4arch9wavefront6targetE1EEEvSK_.uses_flat_scratch, 0
	.set _ZN7rocprim17ROCPRIM_400000_NS6detail17trampoline_kernelINS0_14default_configENS1_35radix_sort_onesweep_config_selectorIbiEEZZNS1_29radix_sort_onesweep_iterationIS3_Lb0EN6thrust23THRUST_200600_302600_NS6detail15normal_iteratorINS8_10device_ptrIbEEEESD_NSA_INSB_IiEEEESF_jNS0_19identity_decomposerENS1_16block_id_wrapperIjLb0EEEEE10hipError_tT1_PNSt15iterator_traitsISK_E10value_typeET2_T3_PNSL_ISQ_E10value_typeET4_T5_PSV_SW_PNS1_23onesweep_lookback_stateEbbT6_jjT7_P12ihipStream_tbENKUlT_T0_SK_SP_E_clISD_SD_SF_SF_EEDaS13_S14_SK_SP_EUlS13_E_NS1_11comp_targetILNS1_3genE8ELNS1_11target_archE1030ELNS1_3gpuE2ELNS1_3repE0EEENS1_47radix_sort_onesweep_sort_config_static_selectorELNS0_4arch9wavefront6targetE1EEEvSK_.has_dyn_sized_stack, 0
	.set _ZN7rocprim17ROCPRIM_400000_NS6detail17trampoline_kernelINS0_14default_configENS1_35radix_sort_onesweep_config_selectorIbiEEZZNS1_29radix_sort_onesweep_iterationIS3_Lb0EN6thrust23THRUST_200600_302600_NS6detail15normal_iteratorINS8_10device_ptrIbEEEESD_NSA_INSB_IiEEEESF_jNS0_19identity_decomposerENS1_16block_id_wrapperIjLb0EEEEE10hipError_tT1_PNSt15iterator_traitsISK_E10value_typeET2_T3_PNSL_ISQ_E10value_typeET4_T5_PSV_SW_PNS1_23onesweep_lookback_stateEbbT6_jjT7_P12ihipStream_tbENKUlT_T0_SK_SP_E_clISD_SD_SF_SF_EEDaS13_S14_SK_SP_EUlS13_E_NS1_11comp_targetILNS1_3genE8ELNS1_11target_archE1030ELNS1_3gpuE2ELNS1_3repE0EEENS1_47radix_sort_onesweep_sort_config_static_selectorELNS0_4arch9wavefront6targetE1EEEvSK_.has_recursion, 0
	.set _ZN7rocprim17ROCPRIM_400000_NS6detail17trampoline_kernelINS0_14default_configENS1_35radix_sort_onesweep_config_selectorIbiEEZZNS1_29radix_sort_onesweep_iterationIS3_Lb0EN6thrust23THRUST_200600_302600_NS6detail15normal_iteratorINS8_10device_ptrIbEEEESD_NSA_INSB_IiEEEESF_jNS0_19identity_decomposerENS1_16block_id_wrapperIjLb0EEEEE10hipError_tT1_PNSt15iterator_traitsISK_E10value_typeET2_T3_PNSL_ISQ_E10value_typeET4_T5_PSV_SW_PNS1_23onesweep_lookback_stateEbbT6_jjT7_P12ihipStream_tbENKUlT_T0_SK_SP_E_clISD_SD_SF_SF_EEDaS13_S14_SK_SP_EUlS13_E_NS1_11comp_targetILNS1_3genE8ELNS1_11target_archE1030ELNS1_3gpuE2ELNS1_3repE0EEENS1_47radix_sort_onesweep_sort_config_static_selectorELNS0_4arch9wavefront6targetE1EEEvSK_.has_indirect_call, 0
	.section	.AMDGPU.csdata,"",@progbits
; Kernel info:
; codeLenInByte = 0
; TotalNumSgprs: 6
; NumVgprs: 0
; NumAgprs: 0
; TotalNumVgprs: 0
; ScratchSize: 0
; MemoryBound: 0
; FloatMode: 240
; IeeeMode: 1
; LDSByteSize: 0 bytes/workgroup (compile time only)
; SGPRBlocks: 0
; VGPRBlocks: 0
; NumSGPRsForWavesPerEU: 6
; NumVGPRsForWavesPerEU: 1
; AccumOffset: 4
; Occupancy: 8
; WaveLimiterHint : 0
; COMPUTE_PGM_RSRC2:SCRATCH_EN: 0
; COMPUTE_PGM_RSRC2:USER_SGPR: 2
; COMPUTE_PGM_RSRC2:TRAP_HANDLER: 0
; COMPUTE_PGM_RSRC2:TGID_X_EN: 1
; COMPUTE_PGM_RSRC2:TGID_Y_EN: 0
; COMPUTE_PGM_RSRC2:TGID_Z_EN: 0
; COMPUTE_PGM_RSRC2:TIDIG_COMP_CNT: 0
; COMPUTE_PGM_RSRC3_GFX90A:ACCUM_OFFSET: 0
; COMPUTE_PGM_RSRC3_GFX90A:TG_SPLIT: 0
	.section	.text._ZN7rocprim17ROCPRIM_400000_NS6detail17trampoline_kernelINS0_14default_configENS1_35radix_sort_onesweep_config_selectorIbiEEZZNS1_29radix_sort_onesweep_iterationIS3_Lb0EN6thrust23THRUST_200600_302600_NS6detail15normal_iteratorINS8_10device_ptrIbEEEESD_NSA_INSB_IiEEEESF_jNS0_19identity_decomposerENS1_16block_id_wrapperIjLb0EEEEE10hipError_tT1_PNSt15iterator_traitsISK_E10value_typeET2_T3_PNSL_ISQ_E10value_typeET4_T5_PSV_SW_PNS1_23onesweep_lookback_stateEbbT6_jjT7_P12ihipStream_tbENKUlT_T0_SK_SP_E_clISD_PbSF_PiEEDaS13_S14_SK_SP_EUlS13_E_NS1_11comp_targetILNS1_3genE0ELNS1_11target_archE4294967295ELNS1_3gpuE0ELNS1_3repE0EEENS1_47radix_sort_onesweep_sort_config_static_selectorELNS0_4arch9wavefront6targetE1EEEvSK_,"axG",@progbits,_ZN7rocprim17ROCPRIM_400000_NS6detail17trampoline_kernelINS0_14default_configENS1_35radix_sort_onesweep_config_selectorIbiEEZZNS1_29radix_sort_onesweep_iterationIS3_Lb0EN6thrust23THRUST_200600_302600_NS6detail15normal_iteratorINS8_10device_ptrIbEEEESD_NSA_INSB_IiEEEESF_jNS0_19identity_decomposerENS1_16block_id_wrapperIjLb0EEEEE10hipError_tT1_PNSt15iterator_traitsISK_E10value_typeET2_T3_PNSL_ISQ_E10value_typeET4_T5_PSV_SW_PNS1_23onesweep_lookback_stateEbbT6_jjT7_P12ihipStream_tbENKUlT_T0_SK_SP_E_clISD_PbSF_PiEEDaS13_S14_SK_SP_EUlS13_E_NS1_11comp_targetILNS1_3genE0ELNS1_11target_archE4294967295ELNS1_3gpuE0ELNS1_3repE0EEENS1_47radix_sort_onesweep_sort_config_static_selectorELNS0_4arch9wavefront6targetE1EEEvSK_,comdat
	.protected	_ZN7rocprim17ROCPRIM_400000_NS6detail17trampoline_kernelINS0_14default_configENS1_35radix_sort_onesweep_config_selectorIbiEEZZNS1_29radix_sort_onesweep_iterationIS3_Lb0EN6thrust23THRUST_200600_302600_NS6detail15normal_iteratorINS8_10device_ptrIbEEEESD_NSA_INSB_IiEEEESF_jNS0_19identity_decomposerENS1_16block_id_wrapperIjLb0EEEEE10hipError_tT1_PNSt15iterator_traitsISK_E10value_typeET2_T3_PNSL_ISQ_E10value_typeET4_T5_PSV_SW_PNS1_23onesweep_lookback_stateEbbT6_jjT7_P12ihipStream_tbENKUlT_T0_SK_SP_E_clISD_PbSF_PiEEDaS13_S14_SK_SP_EUlS13_E_NS1_11comp_targetILNS1_3genE0ELNS1_11target_archE4294967295ELNS1_3gpuE0ELNS1_3repE0EEENS1_47radix_sort_onesweep_sort_config_static_selectorELNS0_4arch9wavefront6targetE1EEEvSK_ ; -- Begin function _ZN7rocprim17ROCPRIM_400000_NS6detail17trampoline_kernelINS0_14default_configENS1_35radix_sort_onesweep_config_selectorIbiEEZZNS1_29radix_sort_onesweep_iterationIS3_Lb0EN6thrust23THRUST_200600_302600_NS6detail15normal_iteratorINS8_10device_ptrIbEEEESD_NSA_INSB_IiEEEESF_jNS0_19identity_decomposerENS1_16block_id_wrapperIjLb0EEEEE10hipError_tT1_PNSt15iterator_traitsISK_E10value_typeET2_T3_PNSL_ISQ_E10value_typeET4_T5_PSV_SW_PNS1_23onesweep_lookback_stateEbbT6_jjT7_P12ihipStream_tbENKUlT_T0_SK_SP_E_clISD_PbSF_PiEEDaS13_S14_SK_SP_EUlS13_E_NS1_11comp_targetILNS1_3genE0ELNS1_11target_archE4294967295ELNS1_3gpuE0ELNS1_3repE0EEENS1_47radix_sort_onesweep_sort_config_static_selectorELNS0_4arch9wavefront6targetE1EEEvSK_
	.globl	_ZN7rocprim17ROCPRIM_400000_NS6detail17trampoline_kernelINS0_14default_configENS1_35radix_sort_onesweep_config_selectorIbiEEZZNS1_29radix_sort_onesweep_iterationIS3_Lb0EN6thrust23THRUST_200600_302600_NS6detail15normal_iteratorINS8_10device_ptrIbEEEESD_NSA_INSB_IiEEEESF_jNS0_19identity_decomposerENS1_16block_id_wrapperIjLb0EEEEE10hipError_tT1_PNSt15iterator_traitsISK_E10value_typeET2_T3_PNSL_ISQ_E10value_typeET4_T5_PSV_SW_PNS1_23onesweep_lookback_stateEbbT6_jjT7_P12ihipStream_tbENKUlT_T0_SK_SP_E_clISD_PbSF_PiEEDaS13_S14_SK_SP_EUlS13_E_NS1_11comp_targetILNS1_3genE0ELNS1_11target_archE4294967295ELNS1_3gpuE0ELNS1_3repE0EEENS1_47radix_sort_onesweep_sort_config_static_selectorELNS0_4arch9wavefront6targetE1EEEvSK_
	.p2align	8
	.type	_ZN7rocprim17ROCPRIM_400000_NS6detail17trampoline_kernelINS0_14default_configENS1_35radix_sort_onesweep_config_selectorIbiEEZZNS1_29radix_sort_onesweep_iterationIS3_Lb0EN6thrust23THRUST_200600_302600_NS6detail15normal_iteratorINS8_10device_ptrIbEEEESD_NSA_INSB_IiEEEESF_jNS0_19identity_decomposerENS1_16block_id_wrapperIjLb0EEEEE10hipError_tT1_PNSt15iterator_traitsISK_E10value_typeET2_T3_PNSL_ISQ_E10value_typeET4_T5_PSV_SW_PNS1_23onesweep_lookback_stateEbbT6_jjT7_P12ihipStream_tbENKUlT_T0_SK_SP_E_clISD_PbSF_PiEEDaS13_S14_SK_SP_EUlS13_E_NS1_11comp_targetILNS1_3genE0ELNS1_11target_archE4294967295ELNS1_3gpuE0ELNS1_3repE0EEENS1_47radix_sort_onesweep_sort_config_static_selectorELNS0_4arch9wavefront6targetE1EEEvSK_,@function
_ZN7rocprim17ROCPRIM_400000_NS6detail17trampoline_kernelINS0_14default_configENS1_35radix_sort_onesweep_config_selectorIbiEEZZNS1_29radix_sort_onesweep_iterationIS3_Lb0EN6thrust23THRUST_200600_302600_NS6detail15normal_iteratorINS8_10device_ptrIbEEEESD_NSA_INSB_IiEEEESF_jNS0_19identity_decomposerENS1_16block_id_wrapperIjLb0EEEEE10hipError_tT1_PNSt15iterator_traitsISK_E10value_typeET2_T3_PNSL_ISQ_E10value_typeET4_T5_PSV_SW_PNS1_23onesweep_lookback_stateEbbT6_jjT7_P12ihipStream_tbENKUlT_T0_SK_SP_E_clISD_PbSF_PiEEDaS13_S14_SK_SP_EUlS13_E_NS1_11comp_targetILNS1_3genE0ELNS1_11target_archE4294967295ELNS1_3gpuE0ELNS1_3repE0EEENS1_47radix_sort_onesweep_sort_config_static_selectorELNS0_4arch9wavefront6targetE1EEEvSK_: ; @_ZN7rocprim17ROCPRIM_400000_NS6detail17trampoline_kernelINS0_14default_configENS1_35radix_sort_onesweep_config_selectorIbiEEZZNS1_29radix_sort_onesweep_iterationIS3_Lb0EN6thrust23THRUST_200600_302600_NS6detail15normal_iteratorINS8_10device_ptrIbEEEESD_NSA_INSB_IiEEEESF_jNS0_19identity_decomposerENS1_16block_id_wrapperIjLb0EEEEE10hipError_tT1_PNSt15iterator_traitsISK_E10value_typeET2_T3_PNSL_ISQ_E10value_typeET4_T5_PSV_SW_PNS1_23onesweep_lookback_stateEbbT6_jjT7_P12ihipStream_tbENKUlT_T0_SK_SP_E_clISD_PbSF_PiEEDaS13_S14_SK_SP_EUlS13_E_NS1_11comp_targetILNS1_3genE0ELNS1_11target_archE4294967295ELNS1_3gpuE0ELNS1_3repE0EEENS1_47radix_sort_onesweep_sort_config_static_selectorELNS0_4arch9wavefront6targetE1EEEvSK_
; %bb.0:
	.section	.rodata,"a",@progbits
	.p2align	6, 0x0
	.amdhsa_kernel _ZN7rocprim17ROCPRIM_400000_NS6detail17trampoline_kernelINS0_14default_configENS1_35radix_sort_onesweep_config_selectorIbiEEZZNS1_29radix_sort_onesweep_iterationIS3_Lb0EN6thrust23THRUST_200600_302600_NS6detail15normal_iteratorINS8_10device_ptrIbEEEESD_NSA_INSB_IiEEEESF_jNS0_19identity_decomposerENS1_16block_id_wrapperIjLb0EEEEE10hipError_tT1_PNSt15iterator_traitsISK_E10value_typeET2_T3_PNSL_ISQ_E10value_typeET4_T5_PSV_SW_PNS1_23onesweep_lookback_stateEbbT6_jjT7_P12ihipStream_tbENKUlT_T0_SK_SP_E_clISD_PbSF_PiEEDaS13_S14_SK_SP_EUlS13_E_NS1_11comp_targetILNS1_3genE0ELNS1_11target_archE4294967295ELNS1_3gpuE0ELNS1_3repE0EEENS1_47radix_sort_onesweep_sort_config_static_selectorELNS0_4arch9wavefront6targetE1EEEvSK_
		.amdhsa_group_segment_fixed_size 0
		.amdhsa_private_segment_fixed_size 0
		.amdhsa_kernarg_size 88
		.amdhsa_user_sgpr_count 2
		.amdhsa_user_sgpr_dispatch_ptr 0
		.amdhsa_user_sgpr_queue_ptr 0
		.amdhsa_user_sgpr_kernarg_segment_ptr 1
		.amdhsa_user_sgpr_dispatch_id 0
		.amdhsa_user_sgpr_kernarg_preload_length 0
		.amdhsa_user_sgpr_kernarg_preload_offset 0
		.amdhsa_user_sgpr_private_segment_size 0
		.amdhsa_uses_dynamic_stack 0
		.amdhsa_enable_private_segment 0
		.amdhsa_system_sgpr_workgroup_id_x 1
		.amdhsa_system_sgpr_workgroup_id_y 0
		.amdhsa_system_sgpr_workgroup_id_z 0
		.amdhsa_system_sgpr_workgroup_info 0
		.amdhsa_system_vgpr_workitem_id 0
		.amdhsa_next_free_vgpr 1
		.amdhsa_next_free_sgpr 0
		.amdhsa_accum_offset 4
		.amdhsa_reserve_vcc 0
		.amdhsa_float_round_mode_32 0
		.amdhsa_float_round_mode_16_64 0
		.amdhsa_float_denorm_mode_32 3
		.amdhsa_float_denorm_mode_16_64 3
		.amdhsa_dx10_clamp 1
		.amdhsa_ieee_mode 1
		.amdhsa_fp16_overflow 0
		.amdhsa_tg_split 0
		.amdhsa_exception_fp_ieee_invalid_op 0
		.amdhsa_exception_fp_denorm_src 0
		.amdhsa_exception_fp_ieee_div_zero 0
		.amdhsa_exception_fp_ieee_overflow 0
		.amdhsa_exception_fp_ieee_underflow 0
		.amdhsa_exception_fp_ieee_inexact 0
		.amdhsa_exception_int_div_zero 0
	.end_amdhsa_kernel
	.section	.text._ZN7rocprim17ROCPRIM_400000_NS6detail17trampoline_kernelINS0_14default_configENS1_35radix_sort_onesweep_config_selectorIbiEEZZNS1_29radix_sort_onesweep_iterationIS3_Lb0EN6thrust23THRUST_200600_302600_NS6detail15normal_iteratorINS8_10device_ptrIbEEEESD_NSA_INSB_IiEEEESF_jNS0_19identity_decomposerENS1_16block_id_wrapperIjLb0EEEEE10hipError_tT1_PNSt15iterator_traitsISK_E10value_typeET2_T3_PNSL_ISQ_E10value_typeET4_T5_PSV_SW_PNS1_23onesweep_lookback_stateEbbT6_jjT7_P12ihipStream_tbENKUlT_T0_SK_SP_E_clISD_PbSF_PiEEDaS13_S14_SK_SP_EUlS13_E_NS1_11comp_targetILNS1_3genE0ELNS1_11target_archE4294967295ELNS1_3gpuE0ELNS1_3repE0EEENS1_47radix_sort_onesweep_sort_config_static_selectorELNS0_4arch9wavefront6targetE1EEEvSK_,"axG",@progbits,_ZN7rocprim17ROCPRIM_400000_NS6detail17trampoline_kernelINS0_14default_configENS1_35radix_sort_onesweep_config_selectorIbiEEZZNS1_29radix_sort_onesweep_iterationIS3_Lb0EN6thrust23THRUST_200600_302600_NS6detail15normal_iteratorINS8_10device_ptrIbEEEESD_NSA_INSB_IiEEEESF_jNS0_19identity_decomposerENS1_16block_id_wrapperIjLb0EEEEE10hipError_tT1_PNSt15iterator_traitsISK_E10value_typeET2_T3_PNSL_ISQ_E10value_typeET4_T5_PSV_SW_PNS1_23onesweep_lookback_stateEbbT6_jjT7_P12ihipStream_tbENKUlT_T0_SK_SP_E_clISD_PbSF_PiEEDaS13_S14_SK_SP_EUlS13_E_NS1_11comp_targetILNS1_3genE0ELNS1_11target_archE4294967295ELNS1_3gpuE0ELNS1_3repE0EEENS1_47radix_sort_onesweep_sort_config_static_selectorELNS0_4arch9wavefront6targetE1EEEvSK_,comdat
.Lfunc_end2077:
	.size	_ZN7rocprim17ROCPRIM_400000_NS6detail17trampoline_kernelINS0_14default_configENS1_35radix_sort_onesweep_config_selectorIbiEEZZNS1_29radix_sort_onesweep_iterationIS3_Lb0EN6thrust23THRUST_200600_302600_NS6detail15normal_iteratorINS8_10device_ptrIbEEEESD_NSA_INSB_IiEEEESF_jNS0_19identity_decomposerENS1_16block_id_wrapperIjLb0EEEEE10hipError_tT1_PNSt15iterator_traitsISK_E10value_typeET2_T3_PNSL_ISQ_E10value_typeET4_T5_PSV_SW_PNS1_23onesweep_lookback_stateEbbT6_jjT7_P12ihipStream_tbENKUlT_T0_SK_SP_E_clISD_PbSF_PiEEDaS13_S14_SK_SP_EUlS13_E_NS1_11comp_targetILNS1_3genE0ELNS1_11target_archE4294967295ELNS1_3gpuE0ELNS1_3repE0EEENS1_47radix_sort_onesweep_sort_config_static_selectorELNS0_4arch9wavefront6targetE1EEEvSK_, .Lfunc_end2077-_ZN7rocprim17ROCPRIM_400000_NS6detail17trampoline_kernelINS0_14default_configENS1_35radix_sort_onesweep_config_selectorIbiEEZZNS1_29radix_sort_onesweep_iterationIS3_Lb0EN6thrust23THRUST_200600_302600_NS6detail15normal_iteratorINS8_10device_ptrIbEEEESD_NSA_INSB_IiEEEESF_jNS0_19identity_decomposerENS1_16block_id_wrapperIjLb0EEEEE10hipError_tT1_PNSt15iterator_traitsISK_E10value_typeET2_T3_PNSL_ISQ_E10value_typeET4_T5_PSV_SW_PNS1_23onesweep_lookback_stateEbbT6_jjT7_P12ihipStream_tbENKUlT_T0_SK_SP_E_clISD_PbSF_PiEEDaS13_S14_SK_SP_EUlS13_E_NS1_11comp_targetILNS1_3genE0ELNS1_11target_archE4294967295ELNS1_3gpuE0ELNS1_3repE0EEENS1_47radix_sort_onesweep_sort_config_static_selectorELNS0_4arch9wavefront6targetE1EEEvSK_
                                        ; -- End function
	.set _ZN7rocprim17ROCPRIM_400000_NS6detail17trampoline_kernelINS0_14default_configENS1_35radix_sort_onesweep_config_selectorIbiEEZZNS1_29radix_sort_onesweep_iterationIS3_Lb0EN6thrust23THRUST_200600_302600_NS6detail15normal_iteratorINS8_10device_ptrIbEEEESD_NSA_INSB_IiEEEESF_jNS0_19identity_decomposerENS1_16block_id_wrapperIjLb0EEEEE10hipError_tT1_PNSt15iterator_traitsISK_E10value_typeET2_T3_PNSL_ISQ_E10value_typeET4_T5_PSV_SW_PNS1_23onesweep_lookback_stateEbbT6_jjT7_P12ihipStream_tbENKUlT_T0_SK_SP_E_clISD_PbSF_PiEEDaS13_S14_SK_SP_EUlS13_E_NS1_11comp_targetILNS1_3genE0ELNS1_11target_archE4294967295ELNS1_3gpuE0ELNS1_3repE0EEENS1_47radix_sort_onesweep_sort_config_static_selectorELNS0_4arch9wavefront6targetE1EEEvSK_.num_vgpr, 0
	.set _ZN7rocprim17ROCPRIM_400000_NS6detail17trampoline_kernelINS0_14default_configENS1_35radix_sort_onesweep_config_selectorIbiEEZZNS1_29radix_sort_onesweep_iterationIS3_Lb0EN6thrust23THRUST_200600_302600_NS6detail15normal_iteratorINS8_10device_ptrIbEEEESD_NSA_INSB_IiEEEESF_jNS0_19identity_decomposerENS1_16block_id_wrapperIjLb0EEEEE10hipError_tT1_PNSt15iterator_traitsISK_E10value_typeET2_T3_PNSL_ISQ_E10value_typeET4_T5_PSV_SW_PNS1_23onesweep_lookback_stateEbbT6_jjT7_P12ihipStream_tbENKUlT_T0_SK_SP_E_clISD_PbSF_PiEEDaS13_S14_SK_SP_EUlS13_E_NS1_11comp_targetILNS1_3genE0ELNS1_11target_archE4294967295ELNS1_3gpuE0ELNS1_3repE0EEENS1_47radix_sort_onesweep_sort_config_static_selectorELNS0_4arch9wavefront6targetE1EEEvSK_.num_agpr, 0
	.set _ZN7rocprim17ROCPRIM_400000_NS6detail17trampoline_kernelINS0_14default_configENS1_35radix_sort_onesweep_config_selectorIbiEEZZNS1_29radix_sort_onesweep_iterationIS3_Lb0EN6thrust23THRUST_200600_302600_NS6detail15normal_iteratorINS8_10device_ptrIbEEEESD_NSA_INSB_IiEEEESF_jNS0_19identity_decomposerENS1_16block_id_wrapperIjLb0EEEEE10hipError_tT1_PNSt15iterator_traitsISK_E10value_typeET2_T3_PNSL_ISQ_E10value_typeET4_T5_PSV_SW_PNS1_23onesweep_lookback_stateEbbT6_jjT7_P12ihipStream_tbENKUlT_T0_SK_SP_E_clISD_PbSF_PiEEDaS13_S14_SK_SP_EUlS13_E_NS1_11comp_targetILNS1_3genE0ELNS1_11target_archE4294967295ELNS1_3gpuE0ELNS1_3repE0EEENS1_47radix_sort_onesweep_sort_config_static_selectorELNS0_4arch9wavefront6targetE1EEEvSK_.numbered_sgpr, 0
	.set _ZN7rocprim17ROCPRIM_400000_NS6detail17trampoline_kernelINS0_14default_configENS1_35radix_sort_onesweep_config_selectorIbiEEZZNS1_29radix_sort_onesweep_iterationIS3_Lb0EN6thrust23THRUST_200600_302600_NS6detail15normal_iteratorINS8_10device_ptrIbEEEESD_NSA_INSB_IiEEEESF_jNS0_19identity_decomposerENS1_16block_id_wrapperIjLb0EEEEE10hipError_tT1_PNSt15iterator_traitsISK_E10value_typeET2_T3_PNSL_ISQ_E10value_typeET4_T5_PSV_SW_PNS1_23onesweep_lookback_stateEbbT6_jjT7_P12ihipStream_tbENKUlT_T0_SK_SP_E_clISD_PbSF_PiEEDaS13_S14_SK_SP_EUlS13_E_NS1_11comp_targetILNS1_3genE0ELNS1_11target_archE4294967295ELNS1_3gpuE0ELNS1_3repE0EEENS1_47radix_sort_onesweep_sort_config_static_selectorELNS0_4arch9wavefront6targetE1EEEvSK_.num_named_barrier, 0
	.set _ZN7rocprim17ROCPRIM_400000_NS6detail17trampoline_kernelINS0_14default_configENS1_35radix_sort_onesweep_config_selectorIbiEEZZNS1_29radix_sort_onesweep_iterationIS3_Lb0EN6thrust23THRUST_200600_302600_NS6detail15normal_iteratorINS8_10device_ptrIbEEEESD_NSA_INSB_IiEEEESF_jNS0_19identity_decomposerENS1_16block_id_wrapperIjLb0EEEEE10hipError_tT1_PNSt15iterator_traitsISK_E10value_typeET2_T3_PNSL_ISQ_E10value_typeET4_T5_PSV_SW_PNS1_23onesweep_lookback_stateEbbT6_jjT7_P12ihipStream_tbENKUlT_T0_SK_SP_E_clISD_PbSF_PiEEDaS13_S14_SK_SP_EUlS13_E_NS1_11comp_targetILNS1_3genE0ELNS1_11target_archE4294967295ELNS1_3gpuE0ELNS1_3repE0EEENS1_47radix_sort_onesweep_sort_config_static_selectorELNS0_4arch9wavefront6targetE1EEEvSK_.private_seg_size, 0
	.set _ZN7rocprim17ROCPRIM_400000_NS6detail17trampoline_kernelINS0_14default_configENS1_35radix_sort_onesweep_config_selectorIbiEEZZNS1_29radix_sort_onesweep_iterationIS3_Lb0EN6thrust23THRUST_200600_302600_NS6detail15normal_iteratorINS8_10device_ptrIbEEEESD_NSA_INSB_IiEEEESF_jNS0_19identity_decomposerENS1_16block_id_wrapperIjLb0EEEEE10hipError_tT1_PNSt15iterator_traitsISK_E10value_typeET2_T3_PNSL_ISQ_E10value_typeET4_T5_PSV_SW_PNS1_23onesweep_lookback_stateEbbT6_jjT7_P12ihipStream_tbENKUlT_T0_SK_SP_E_clISD_PbSF_PiEEDaS13_S14_SK_SP_EUlS13_E_NS1_11comp_targetILNS1_3genE0ELNS1_11target_archE4294967295ELNS1_3gpuE0ELNS1_3repE0EEENS1_47radix_sort_onesweep_sort_config_static_selectorELNS0_4arch9wavefront6targetE1EEEvSK_.uses_vcc, 0
	.set _ZN7rocprim17ROCPRIM_400000_NS6detail17trampoline_kernelINS0_14default_configENS1_35radix_sort_onesweep_config_selectorIbiEEZZNS1_29radix_sort_onesweep_iterationIS3_Lb0EN6thrust23THRUST_200600_302600_NS6detail15normal_iteratorINS8_10device_ptrIbEEEESD_NSA_INSB_IiEEEESF_jNS0_19identity_decomposerENS1_16block_id_wrapperIjLb0EEEEE10hipError_tT1_PNSt15iterator_traitsISK_E10value_typeET2_T3_PNSL_ISQ_E10value_typeET4_T5_PSV_SW_PNS1_23onesweep_lookback_stateEbbT6_jjT7_P12ihipStream_tbENKUlT_T0_SK_SP_E_clISD_PbSF_PiEEDaS13_S14_SK_SP_EUlS13_E_NS1_11comp_targetILNS1_3genE0ELNS1_11target_archE4294967295ELNS1_3gpuE0ELNS1_3repE0EEENS1_47radix_sort_onesweep_sort_config_static_selectorELNS0_4arch9wavefront6targetE1EEEvSK_.uses_flat_scratch, 0
	.set _ZN7rocprim17ROCPRIM_400000_NS6detail17trampoline_kernelINS0_14default_configENS1_35radix_sort_onesweep_config_selectorIbiEEZZNS1_29radix_sort_onesweep_iterationIS3_Lb0EN6thrust23THRUST_200600_302600_NS6detail15normal_iteratorINS8_10device_ptrIbEEEESD_NSA_INSB_IiEEEESF_jNS0_19identity_decomposerENS1_16block_id_wrapperIjLb0EEEEE10hipError_tT1_PNSt15iterator_traitsISK_E10value_typeET2_T3_PNSL_ISQ_E10value_typeET4_T5_PSV_SW_PNS1_23onesweep_lookback_stateEbbT6_jjT7_P12ihipStream_tbENKUlT_T0_SK_SP_E_clISD_PbSF_PiEEDaS13_S14_SK_SP_EUlS13_E_NS1_11comp_targetILNS1_3genE0ELNS1_11target_archE4294967295ELNS1_3gpuE0ELNS1_3repE0EEENS1_47radix_sort_onesweep_sort_config_static_selectorELNS0_4arch9wavefront6targetE1EEEvSK_.has_dyn_sized_stack, 0
	.set _ZN7rocprim17ROCPRIM_400000_NS6detail17trampoline_kernelINS0_14default_configENS1_35radix_sort_onesweep_config_selectorIbiEEZZNS1_29radix_sort_onesweep_iterationIS3_Lb0EN6thrust23THRUST_200600_302600_NS6detail15normal_iteratorINS8_10device_ptrIbEEEESD_NSA_INSB_IiEEEESF_jNS0_19identity_decomposerENS1_16block_id_wrapperIjLb0EEEEE10hipError_tT1_PNSt15iterator_traitsISK_E10value_typeET2_T3_PNSL_ISQ_E10value_typeET4_T5_PSV_SW_PNS1_23onesweep_lookback_stateEbbT6_jjT7_P12ihipStream_tbENKUlT_T0_SK_SP_E_clISD_PbSF_PiEEDaS13_S14_SK_SP_EUlS13_E_NS1_11comp_targetILNS1_3genE0ELNS1_11target_archE4294967295ELNS1_3gpuE0ELNS1_3repE0EEENS1_47radix_sort_onesweep_sort_config_static_selectorELNS0_4arch9wavefront6targetE1EEEvSK_.has_recursion, 0
	.set _ZN7rocprim17ROCPRIM_400000_NS6detail17trampoline_kernelINS0_14default_configENS1_35radix_sort_onesweep_config_selectorIbiEEZZNS1_29radix_sort_onesweep_iterationIS3_Lb0EN6thrust23THRUST_200600_302600_NS6detail15normal_iteratorINS8_10device_ptrIbEEEESD_NSA_INSB_IiEEEESF_jNS0_19identity_decomposerENS1_16block_id_wrapperIjLb0EEEEE10hipError_tT1_PNSt15iterator_traitsISK_E10value_typeET2_T3_PNSL_ISQ_E10value_typeET4_T5_PSV_SW_PNS1_23onesweep_lookback_stateEbbT6_jjT7_P12ihipStream_tbENKUlT_T0_SK_SP_E_clISD_PbSF_PiEEDaS13_S14_SK_SP_EUlS13_E_NS1_11comp_targetILNS1_3genE0ELNS1_11target_archE4294967295ELNS1_3gpuE0ELNS1_3repE0EEENS1_47radix_sort_onesweep_sort_config_static_selectorELNS0_4arch9wavefront6targetE1EEEvSK_.has_indirect_call, 0
	.section	.AMDGPU.csdata,"",@progbits
; Kernel info:
; codeLenInByte = 0
; TotalNumSgprs: 6
; NumVgprs: 0
; NumAgprs: 0
; TotalNumVgprs: 0
; ScratchSize: 0
; MemoryBound: 0
; FloatMode: 240
; IeeeMode: 1
; LDSByteSize: 0 bytes/workgroup (compile time only)
; SGPRBlocks: 0
; VGPRBlocks: 0
; NumSGPRsForWavesPerEU: 6
; NumVGPRsForWavesPerEU: 1
; AccumOffset: 4
; Occupancy: 8
; WaveLimiterHint : 0
; COMPUTE_PGM_RSRC2:SCRATCH_EN: 0
; COMPUTE_PGM_RSRC2:USER_SGPR: 2
; COMPUTE_PGM_RSRC2:TRAP_HANDLER: 0
; COMPUTE_PGM_RSRC2:TGID_X_EN: 1
; COMPUTE_PGM_RSRC2:TGID_Y_EN: 0
; COMPUTE_PGM_RSRC2:TGID_Z_EN: 0
; COMPUTE_PGM_RSRC2:TIDIG_COMP_CNT: 0
; COMPUTE_PGM_RSRC3_GFX90A:ACCUM_OFFSET: 0
; COMPUTE_PGM_RSRC3_GFX90A:TG_SPLIT: 0
	.section	.text._ZN7rocprim17ROCPRIM_400000_NS6detail17trampoline_kernelINS0_14default_configENS1_35radix_sort_onesweep_config_selectorIbiEEZZNS1_29radix_sort_onesweep_iterationIS3_Lb0EN6thrust23THRUST_200600_302600_NS6detail15normal_iteratorINS8_10device_ptrIbEEEESD_NSA_INSB_IiEEEESF_jNS0_19identity_decomposerENS1_16block_id_wrapperIjLb0EEEEE10hipError_tT1_PNSt15iterator_traitsISK_E10value_typeET2_T3_PNSL_ISQ_E10value_typeET4_T5_PSV_SW_PNS1_23onesweep_lookback_stateEbbT6_jjT7_P12ihipStream_tbENKUlT_T0_SK_SP_E_clISD_PbSF_PiEEDaS13_S14_SK_SP_EUlS13_E_NS1_11comp_targetILNS1_3genE6ELNS1_11target_archE950ELNS1_3gpuE13ELNS1_3repE0EEENS1_47radix_sort_onesweep_sort_config_static_selectorELNS0_4arch9wavefront6targetE1EEEvSK_,"axG",@progbits,_ZN7rocprim17ROCPRIM_400000_NS6detail17trampoline_kernelINS0_14default_configENS1_35radix_sort_onesweep_config_selectorIbiEEZZNS1_29radix_sort_onesweep_iterationIS3_Lb0EN6thrust23THRUST_200600_302600_NS6detail15normal_iteratorINS8_10device_ptrIbEEEESD_NSA_INSB_IiEEEESF_jNS0_19identity_decomposerENS1_16block_id_wrapperIjLb0EEEEE10hipError_tT1_PNSt15iterator_traitsISK_E10value_typeET2_T3_PNSL_ISQ_E10value_typeET4_T5_PSV_SW_PNS1_23onesweep_lookback_stateEbbT6_jjT7_P12ihipStream_tbENKUlT_T0_SK_SP_E_clISD_PbSF_PiEEDaS13_S14_SK_SP_EUlS13_E_NS1_11comp_targetILNS1_3genE6ELNS1_11target_archE950ELNS1_3gpuE13ELNS1_3repE0EEENS1_47radix_sort_onesweep_sort_config_static_selectorELNS0_4arch9wavefront6targetE1EEEvSK_,comdat
	.protected	_ZN7rocprim17ROCPRIM_400000_NS6detail17trampoline_kernelINS0_14default_configENS1_35radix_sort_onesweep_config_selectorIbiEEZZNS1_29radix_sort_onesweep_iterationIS3_Lb0EN6thrust23THRUST_200600_302600_NS6detail15normal_iteratorINS8_10device_ptrIbEEEESD_NSA_INSB_IiEEEESF_jNS0_19identity_decomposerENS1_16block_id_wrapperIjLb0EEEEE10hipError_tT1_PNSt15iterator_traitsISK_E10value_typeET2_T3_PNSL_ISQ_E10value_typeET4_T5_PSV_SW_PNS1_23onesweep_lookback_stateEbbT6_jjT7_P12ihipStream_tbENKUlT_T0_SK_SP_E_clISD_PbSF_PiEEDaS13_S14_SK_SP_EUlS13_E_NS1_11comp_targetILNS1_3genE6ELNS1_11target_archE950ELNS1_3gpuE13ELNS1_3repE0EEENS1_47radix_sort_onesweep_sort_config_static_selectorELNS0_4arch9wavefront6targetE1EEEvSK_ ; -- Begin function _ZN7rocprim17ROCPRIM_400000_NS6detail17trampoline_kernelINS0_14default_configENS1_35radix_sort_onesweep_config_selectorIbiEEZZNS1_29radix_sort_onesweep_iterationIS3_Lb0EN6thrust23THRUST_200600_302600_NS6detail15normal_iteratorINS8_10device_ptrIbEEEESD_NSA_INSB_IiEEEESF_jNS0_19identity_decomposerENS1_16block_id_wrapperIjLb0EEEEE10hipError_tT1_PNSt15iterator_traitsISK_E10value_typeET2_T3_PNSL_ISQ_E10value_typeET4_T5_PSV_SW_PNS1_23onesweep_lookback_stateEbbT6_jjT7_P12ihipStream_tbENKUlT_T0_SK_SP_E_clISD_PbSF_PiEEDaS13_S14_SK_SP_EUlS13_E_NS1_11comp_targetILNS1_3genE6ELNS1_11target_archE950ELNS1_3gpuE13ELNS1_3repE0EEENS1_47radix_sort_onesweep_sort_config_static_selectorELNS0_4arch9wavefront6targetE1EEEvSK_
	.globl	_ZN7rocprim17ROCPRIM_400000_NS6detail17trampoline_kernelINS0_14default_configENS1_35radix_sort_onesweep_config_selectorIbiEEZZNS1_29radix_sort_onesweep_iterationIS3_Lb0EN6thrust23THRUST_200600_302600_NS6detail15normal_iteratorINS8_10device_ptrIbEEEESD_NSA_INSB_IiEEEESF_jNS0_19identity_decomposerENS1_16block_id_wrapperIjLb0EEEEE10hipError_tT1_PNSt15iterator_traitsISK_E10value_typeET2_T3_PNSL_ISQ_E10value_typeET4_T5_PSV_SW_PNS1_23onesweep_lookback_stateEbbT6_jjT7_P12ihipStream_tbENKUlT_T0_SK_SP_E_clISD_PbSF_PiEEDaS13_S14_SK_SP_EUlS13_E_NS1_11comp_targetILNS1_3genE6ELNS1_11target_archE950ELNS1_3gpuE13ELNS1_3repE0EEENS1_47radix_sort_onesweep_sort_config_static_selectorELNS0_4arch9wavefront6targetE1EEEvSK_
	.p2align	8
	.type	_ZN7rocprim17ROCPRIM_400000_NS6detail17trampoline_kernelINS0_14default_configENS1_35radix_sort_onesweep_config_selectorIbiEEZZNS1_29radix_sort_onesweep_iterationIS3_Lb0EN6thrust23THRUST_200600_302600_NS6detail15normal_iteratorINS8_10device_ptrIbEEEESD_NSA_INSB_IiEEEESF_jNS0_19identity_decomposerENS1_16block_id_wrapperIjLb0EEEEE10hipError_tT1_PNSt15iterator_traitsISK_E10value_typeET2_T3_PNSL_ISQ_E10value_typeET4_T5_PSV_SW_PNS1_23onesweep_lookback_stateEbbT6_jjT7_P12ihipStream_tbENKUlT_T0_SK_SP_E_clISD_PbSF_PiEEDaS13_S14_SK_SP_EUlS13_E_NS1_11comp_targetILNS1_3genE6ELNS1_11target_archE950ELNS1_3gpuE13ELNS1_3repE0EEENS1_47radix_sort_onesweep_sort_config_static_selectorELNS0_4arch9wavefront6targetE1EEEvSK_,@function
_ZN7rocprim17ROCPRIM_400000_NS6detail17trampoline_kernelINS0_14default_configENS1_35radix_sort_onesweep_config_selectorIbiEEZZNS1_29radix_sort_onesweep_iterationIS3_Lb0EN6thrust23THRUST_200600_302600_NS6detail15normal_iteratorINS8_10device_ptrIbEEEESD_NSA_INSB_IiEEEESF_jNS0_19identity_decomposerENS1_16block_id_wrapperIjLb0EEEEE10hipError_tT1_PNSt15iterator_traitsISK_E10value_typeET2_T3_PNSL_ISQ_E10value_typeET4_T5_PSV_SW_PNS1_23onesweep_lookback_stateEbbT6_jjT7_P12ihipStream_tbENKUlT_T0_SK_SP_E_clISD_PbSF_PiEEDaS13_S14_SK_SP_EUlS13_E_NS1_11comp_targetILNS1_3genE6ELNS1_11target_archE950ELNS1_3gpuE13ELNS1_3repE0EEENS1_47radix_sort_onesweep_sort_config_static_selectorELNS0_4arch9wavefront6targetE1EEEvSK_: ; @_ZN7rocprim17ROCPRIM_400000_NS6detail17trampoline_kernelINS0_14default_configENS1_35radix_sort_onesweep_config_selectorIbiEEZZNS1_29radix_sort_onesweep_iterationIS3_Lb0EN6thrust23THRUST_200600_302600_NS6detail15normal_iteratorINS8_10device_ptrIbEEEESD_NSA_INSB_IiEEEESF_jNS0_19identity_decomposerENS1_16block_id_wrapperIjLb0EEEEE10hipError_tT1_PNSt15iterator_traitsISK_E10value_typeET2_T3_PNSL_ISQ_E10value_typeET4_T5_PSV_SW_PNS1_23onesweep_lookback_stateEbbT6_jjT7_P12ihipStream_tbENKUlT_T0_SK_SP_E_clISD_PbSF_PiEEDaS13_S14_SK_SP_EUlS13_E_NS1_11comp_targetILNS1_3genE6ELNS1_11target_archE950ELNS1_3gpuE13ELNS1_3repE0EEENS1_47radix_sort_onesweep_sort_config_static_selectorELNS0_4arch9wavefront6targetE1EEEvSK_
; %bb.0:
	s_load_dwordx8 s[48:55], s[0:1], 0x0
	s_load_dwordx4 s[60:63], s[0:1], 0x44
	s_load_dwordx4 s[56:59], s[0:1], 0x28
	s_load_dwordx2 s[46:47], s[0:1], 0x38
	s_mov_b64 s[4:5], -1
	v_mbcnt_lo_u32_b32 v1, -1, 0
	s_waitcnt lgkmcnt(0)
	s_cmp_ge_u32 s2, s62
	s_cbranch_scc0 .LBB2078_194
; %bb.1:
	s_load_dword s3, s[0:1], 0x20
	s_lshl_b32 s4, s62, 14
	v_and_b32_e32 v2, 0x3ff, v0
	s_lshl_b32 s62, s2, 14
	v_mbcnt_hi_u32_b32 v32, -1, v1
	s_waitcnt lgkmcnt(0)
	s_sub_i32 s3, s3, s4
	s_add_u32 s4, s48, s62
	v_lshlrev_b32_e32 v3, 4, v2
	s_addc_u32 s5, s49, 0
	v_and_b32_e32 v6, 63, v32
	v_and_b32_e32 v4, 0x3c00, v3
	v_mov_b32_e32 v7, 0
	v_lshl_add_u64 v[8:9], s[4:5], 0, v[6:7]
	v_mov_b32_e32 v5, v7
	v_or_b32_e32 v10, v6, v4
	s_mov_b32 s63, 0
	v_lshl_add_u64 v[8:9], v[8:9], 0, v[4:5]
	v_cmp_gt_u32_e32 vcc, s3, v10
	v_mov_b32_e32 v7, 1
	v_mov_b32_e32 v5, 1
	;; [unrolled: 1-line block ×3, first 2 shown]
	s_and_saveexec_b64 s[4:5], vcc
	s_cbranch_execz .LBB2078_3
; %bb.2:
	global_load_ubyte v12, v[8:9], off
	s_waitcnt vmcnt(0)
	v_and_b32_e32 v7, 1, v12
.LBB2078_3:
	s_or_b64 exec, exec, s[4:5]
	v_or_b32_e32 v3, 64, v10
	v_cmp_gt_u32_e64 s[42:43], s3, v3
	v_mov_b32_e32 v3, 1
	s_and_saveexec_b64 s[4:5], s[42:43]
	s_cbranch_execz .LBB2078_5
; %bb.4:
	global_load_ubyte v5, v[8:9], off offset:64
	s_waitcnt vmcnt(0)
	v_and_b32_e32 v3, 1, v5
.LBB2078_5:
	s_or_b64 exec, exec, s[4:5]
	v_or_b32_e32 v11, 0x80, v10
	v_cmp_gt_u32_e64 s[4:5], s3, v11
	v_mov_b32_e32 v14, 1
	v_mov_b32_e32 v13, 1
	v_mov_b32_e32 v27, 1
	s_and_saveexec_b64 s[6:7], s[4:5]
	s_cbranch_execz .LBB2078_7
; %bb.6:
	global_load_ubyte v27, v[8:9], off offset:128
	s_waitcnt vmcnt(0)
	v_and_b32_e32 v14, 1, v27
.LBB2078_7:
	s_or_b64 exec, exec, s[6:7]
	v_or_b32_e32 v11, 0xc0, v10
	v_cmp_gt_u32_e64 s[6:7], s3, v11
	v_mov_b32_e32 v16, 1
	s_and_saveexec_b64 s[8:9], s[6:7]
	s_cbranch_execz .LBB2078_9
; %bb.8:
	global_load_ubyte v13, v[8:9], off offset:192
	s_waitcnt vmcnt(0)
	v_and_b32_e32 v16, 1, v13
.LBB2078_9:
	s_or_b64 exec, exec, s[8:9]
	v_or_b32_e32 v11, 0x100, v10
	v_cmp_gt_u32_e64 s[8:9], s3, v11
	v_mov_b32_e32 v18, 1
	v_mov_b32_e32 v30, 1
	v_mov_b32_e32 v31, 1
	s_and_saveexec_b64 s[10:11], s[8:9]
	s_cbranch_execz .LBB2078_11
; %bb.10:
	global_load_ubyte v31, v[8:9], off offset:256
	s_waitcnt vmcnt(0)
	v_and_b32_e32 v18, 1, v31
.LBB2078_11:
	;; [unrolled: 24-line block ×7, first 2 shown]
	s_or_b64 exec, exec, s[30:31]
	v_or_b32_e32 v10, 0x3c0, v10
	v_cmp_gt_u32_e64 s[30:31], s3, v10
	v_mov_b32_e32 v29, 1
	s_and_saveexec_b64 s[34:35], s[30:31]
	s_cbranch_execz .LBB2078_33
; %bb.32:
	global_load_ubyte v52, v[8:9], off offset:960
	s_waitcnt vmcnt(0)
	v_and_b32_e32 v29, 1, v52
.LBB2078_33:
	s_or_b64 exec, exec, s[34:35]
	s_load_dword s34, s[0:1], 0x64
	s_load_dword s33, s[0:1], 0x58
	s_add_u32 s35, s0, 0x58
	s_addc_u32 s36, s1, 0
	v_mov_b32_e32 v9, 0
	s_waitcnt lgkmcnt(0)
	s_lshr_b32 s37, s34, 16
	s_cmp_lt_u32 s2, s33
	s_cselect_b32 s34, 12, 18
	s_add_u32 s34, s35, s34
	s_addc_u32 s35, s36, 0
	global_load_ushort v15, v9, s[34:35]
	v_bfe_u32 v8, v0, 10, 10
	v_bfe_u32 v10, v0, 20, 10
	v_lshrrev_b32_e32 v7, s60, v7
	s_lshl_b32 s34, -1, s61
	v_mad_u32_u24 v17, v10, s37, v8
	v_bitop3_b32 v8, v7, s34, v7 bitop3:0x30
	s_not_b32 s66, s34
	v_cmp_ne_u32_e64 s[34:35], 0, v8
	v_lshl_add_u64 v[10:11], v[8:9], 0, -1
	v_mul_u32_u24_e32 v7, 0x44, v8
	v_xor_b32_e32 v10, s34, v10
	v_xor_b32_e32 v8, s35, v11
	v_and_b32_e32 v10, exec_lo, v10
	v_and_b32_e32 v11, exec_hi, v8
	v_mbcnt_lo_u32_b32 v8, v10, 0
	v_mbcnt_hi_u32_b32 v46, v11, v8
	v_cmp_ne_u64_e64 s[34:35], 0, v[10:11]
	v_cmp_eq_u32_e64 s[36:37], 0, v46
	v_mul_u32_u24_e32 v42, 20, v2
	s_movk_i32 s38, 0x44
	s_and_b64 s[36:37], s[34:35], s[36:37]
	ds_write2_b32 v42, v9, v9 offset0:16 offset1:17
	ds_write2_b32 v42, v9, v9 offset0:18 offset1:19
	ds_write_b32 v42, v9 offset:80
	s_waitcnt lgkmcnt(0)
	s_barrier
	s_waitcnt vmcnt(0)
	; wave barrier
	v_mad_u64_u32 v[56:57], s[40:41], v17, v15, v[2:3]
	v_lshrrev_b32_e32 v8, 4, v56
	v_and_b32_e32 v63, 0xffffffc, v8
	v_add_u32_e32 v59, v63, v7
	s_and_saveexec_b64 s[34:35], s[36:37]
; %bb.34:
	v_bcnt_u32_b32 v7, v10, 0
	v_bcnt_u32_b32 v7, v11, v7
	ds_write_b32 v59, v7 offset:64
; %bb.35:
	s_or_b64 exec, exec, s[34:35]
	v_lshrrev_b32_e32 v3, s60, v3
	v_and_b32_e32 v8, s66, v3
	v_mul_u32_u24_e32 v10, 0x44, v8
	v_mad_u32_u24 v3, v8, s38, v63
	v_cmp_ne_u32_e64 s[34:35], 0, v8
	v_lshl_add_u64 v[8:9], v[8:9], 0, -1
	s_nop 0
	v_xor_b32_e32 v8, s34, v8
	; wave barrier
	ds_read_b32 v3, v3 offset:64
	v_xor_b32_e32 v7, s35, v9
	v_and_b32_e32 v8, exec_lo, v8
	v_and_b32_e32 v9, exec_hi, v7
	v_mbcnt_lo_u32_b32 v7, v8, 0
	v_mbcnt_hi_u32_b32 v7, v9, v7
	v_cmp_eq_u32_e64 s[34:35], 0, v7
	v_cmp_ne_u64_e64 s[36:37], 0, v[8:9]
	s_and_b64 s[36:37], s[36:37], s[34:35]
	v_add_u32_e32 v60, v63, v10
	; wave barrier
	s_and_saveexec_b64 s[34:35], s[36:37]
	s_cbranch_execz .LBB2078_37
; %bb.36:
	v_bcnt_u32_b32 v8, v8, 0
	v_bcnt_u32_b32 v8, v9, v8
	s_waitcnt lgkmcnt(0)
	v_add_u32_e32 v8, v3, v8
	ds_write_b32 v60, v8 offset:64
.LBB2078_37:
	s_or_b64 exec, exec, s[34:35]
	v_lshrrev_b32_e32 v8, s60, v14
	v_and_b32_e32 v8, s66, v8
	v_mad_u32_u24 v9, v8, s38, v63
	; wave barrier
	ds_read_b32 v14, v9 offset:64
	v_mov_b32_e32 v9, 0
	v_cmp_ne_u32_e64 s[34:35], 0, v8
	v_lshl_add_u64 v[10:11], v[8:9], 0, -1
	v_mul_u32_u24_e32 v17, 0x44, v8
	v_xor_b32_e32 v10, s34, v10
	v_xor_b32_e32 v8, s35, v11
	v_and_b32_e32 v10, exec_lo, v10
	v_and_b32_e32 v11, exec_hi, v8
	v_mbcnt_lo_u32_b32 v8, v10, 0
	v_mbcnt_hi_u32_b32 v15, v11, v8
	v_cmp_eq_u32_e64 s[34:35], 0, v15
	v_cmp_ne_u64_e64 s[36:37], 0, v[10:11]
	s_and_b64 s[36:37], s[36:37], s[34:35]
	v_add_u32_e32 v61, v63, v17
	; wave barrier
	s_and_saveexec_b64 s[34:35], s[36:37]
	s_cbranch_execz .LBB2078_39
; %bb.38:
	v_bcnt_u32_b32 v8, v10, 0
	v_bcnt_u32_b32 v8, v11, v8
	s_waitcnt lgkmcnt(0)
	v_add_u32_e32 v8, v14, v8
	ds_write_b32 v61, v8 offset:64
.LBB2078_39:
	s_or_b64 exec, exec, s[34:35]
	v_lshrrev_b32_e32 v8, s60, v16
	v_and_b32_e32 v8, s66, v8
	v_mul_u32_u24_e32 v10, 0x44, v8
	v_mad_u32_u24 v11, v8, s38, v63
	v_cmp_ne_u32_e64 s[34:35], 0, v8
	v_lshl_add_u64 v[8:9], v[8:9], 0, -1
	s_nop 0
	v_xor_b32_e32 v8, s34, v8
	; wave barrier
	ds_read_b32 v16, v11 offset:64
	v_xor_b32_e32 v9, s35, v9
	v_and_b32_e32 v8, exec_lo, v8
	v_and_b32_e32 v9, exec_hi, v9
	v_mbcnt_lo_u32_b32 v11, v8, 0
	v_mbcnt_hi_u32_b32 v17, v9, v11
	v_cmp_eq_u32_e64 s[34:35], 0, v17
	v_cmp_ne_u64_e64 s[36:37], 0, v[8:9]
	s_and_b64 s[36:37], s[36:37], s[34:35]
	v_add_u32_e32 v62, v63, v10
	; wave barrier
	s_and_saveexec_b64 s[34:35], s[36:37]
	s_cbranch_execz .LBB2078_41
; %bb.40:
	v_bcnt_u32_b32 v8, v8, 0
	v_bcnt_u32_b32 v8, v9, v8
	s_waitcnt lgkmcnt(0)
	v_add_u32_e32 v8, v16, v8
	ds_write_b32 v62, v8 offset:64
.LBB2078_41:
	s_or_b64 exec, exec, s[34:35]
	v_lshrrev_b32_e32 v8, s60, v18
	v_and_b32_e32 v8, s66, v8
	v_mad_u32_u24 v9, v8, s38, v63
	; wave barrier
	ds_read_b32 v18, v9 offset:64
	v_mov_b32_e32 v9, 0
	v_cmp_ne_u32_e64 s[34:35], 0, v8
	v_lshl_add_u64 v[10:11], v[8:9], 0, -1
	v_mul_u32_u24_e32 v21, 0x44, v8
	v_xor_b32_e32 v10, s34, v10
	v_xor_b32_e32 v8, s35, v11
	v_and_b32_e32 v10, exec_lo, v10
	v_and_b32_e32 v11, exec_hi, v8
	v_mbcnt_lo_u32_b32 v8, v10, 0
	v_mbcnt_hi_u32_b32 v19, v11, v8
	v_cmp_eq_u32_e64 s[34:35], 0, v19
	v_cmp_ne_u64_e64 s[36:37], 0, v[10:11]
	s_and_b64 s[36:37], s[36:37], s[34:35]
	v_add_u32_e32 v64, v63, v21
	; wave barrier
	s_and_saveexec_b64 s[34:35], s[36:37]
	s_cbranch_execz .LBB2078_43
; %bb.42:
	v_bcnt_u32_b32 v8, v10, 0
	v_bcnt_u32_b32 v8, v11, v8
	s_waitcnt lgkmcnt(0)
	v_add_u32_e32 v8, v18, v8
	ds_write_b32 v64, v8 offset:64
.LBB2078_43:
	;; [unrolled: 60-line block ×7, first 2 shown]
	s_or_b64 exec, exec, s[34:35]
	v_lshrrev_b32_e32 v8, s60, v29
	v_and_b32_e32 v8, s66, v8
	v_mul_u32_u24_e32 v10, 0x44, v8
	v_mad_u32_u24 v11, v8, s38, v63
	v_cmp_ne_u32_e64 s[34:35], 0, v8
	v_lshl_add_u64 v[8:9], v[8:9], 0, -1
	s_nop 0
	v_xor_b32_e32 v8, s34, v8
	; wave barrier
	ds_read_b32 v57, v11 offset:64
	v_xor_b32_e32 v9, s35, v9
	v_and_b32_e32 v8, exec_lo, v8
	v_and_b32_e32 v9, exec_hi, v9
	v_mbcnt_lo_u32_b32 v11, v8, 0
	v_mbcnt_hi_u32_b32 v58, v9, v11
	v_cmp_eq_u32_e64 s[34:35], 0, v58
	v_cmp_ne_u64_e64 s[36:37], 0, v[8:9]
	s_and_b64 s[36:37], s[36:37], s[34:35]
	v_add_u32_e32 v75, v63, v10
	; wave barrier
	s_and_saveexec_b64 s[34:35], s[36:37]
	s_cbranch_execz .LBB2078_65
; %bb.64:
	v_bcnt_u32_b32 v8, v8, 0
	v_bcnt_u32_b32 v8, v9, v8
	s_waitcnt lgkmcnt(0)
	v_add_u32_e32 v8, v57, v8
	ds_write_b32 v75, v8 offset:64
.LBB2078_65:
	s_or_b64 exec, exec, s[34:35]
	; wave barrier
	s_waitcnt lgkmcnt(0)
	s_barrier
	ds_read2_b32 v[10:11], v42 offset0:16 offset1:17
	ds_read2_b32 v[8:9], v42 offset0:18 offset1:19
	ds_read_b32 v29, v42 offset:80
	v_cmp_lt_u32_e64 s[44:45], 31, v32
	s_waitcnt lgkmcnt(1)
	v_add3_u32 v63, v11, v10, v8
	s_waitcnt lgkmcnt(0)
	v_add3_u32 v29, v63, v9, v29
	v_and_b32_e32 v63, 15, v32
	v_cmp_eq_u32_e64 s[34:35], 0, v63
	v_mov_b32_dpp v76, v29 row_shr:1 row_mask:0xf bank_mask:0xf
	v_cmp_lt_u32_e64 s[36:37], 1, v63
	v_cndmask_b32_e64 v76, v76, 0, s[34:35]
	v_add_u32_e32 v29, v76, v29
	v_cmp_lt_u32_e64 s[38:39], 3, v63
	v_cmp_lt_u32_e64 s[40:41], 7, v63
	v_mov_b32_dpp v76, v29 row_shr:2 row_mask:0xf bank_mask:0xf
	v_cndmask_b32_e64 v76, 0, v76, s[36:37]
	v_add_u32_e32 v29, v29, v76
	s_nop 1
	v_mov_b32_dpp v76, v29 row_shr:4 row_mask:0xf bank_mask:0xf
	v_cndmask_b32_e64 v76, 0, v76, s[38:39]
	v_add_u32_e32 v29, v29, v76
	s_nop 1
	v_mov_b32_dpp v76, v29 row_shr:8 row_mask:0xf bank_mask:0xf
	v_cndmask_b32_e64 v63, 0, v76, s[40:41]
	v_add_u32_e32 v29, v29, v63
	v_bfe_i32 v76, v32, 4, 1
	s_nop 0
	v_mov_b32_dpp v63, v29 row_bcast:15 row_mask:0xf bank_mask:0xf
	v_and_b32_e32 v63, v76, v63
	v_add_u32_e32 v29, v29, v63
	v_lshrrev_b32_e32 v76, 6, v2
	s_nop 0
	v_mov_b32_dpp v63, v29 row_bcast:31 row_mask:0xf bank_mask:0xf
	v_cndmask_b32_e64 v63, 0, v63, s[44:45]
	v_add_u32_e32 v63, v29, v63
	v_and_b32_e32 v29, 63, v2
	v_cmp_eq_u32_e64 s[44:45], 63, v29
	s_and_saveexec_b64 s[64:65], s[44:45]
; %bb.66:
	v_lshlrev_b32_e32 v29, 2, v76
	ds_write_b32 v29, v63
; %bb.67:
	s_or_b64 exec, exec, s[64:65]
	v_cmp_gt_u32_e64 s[44:45], 16, v2
	v_lshlrev_b32_e32 v29, 2, v2
	s_waitcnt lgkmcnt(0)
	s_barrier
	s_and_saveexec_b64 s[64:65], s[44:45]
	s_cbranch_execz .LBB2078_69
; %bb.68:
	ds_read_b32 v77, v29
	s_waitcnt lgkmcnt(0)
	s_nop 0
	v_mov_b32_dpp v78, v77 row_shr:1 row_mask:0xf bank_mask:0xf
	v_cndmask_b32_e64 v78, v78, 0, s[34:35]
	v_add_u32_e32 v77, v78, v77
	s_nop 1
	v_mov_b32_dpp v78, v77 row_shr:2 row_mask:0xf bank_mask:0xf
	v_cndmask_b32_e64 v78, 0, v78, s[36:37]
	v_add_u32_e32 v77, v77, v78
	;; [unrolled: 4-line block ×4, first 2 shown]
	ds_write_b32 v29, v77
.LBB2078_69:
	s_or_b64 exec, exec, s[64:65]
	v_cmp_lt_u32_e64 s[34:35], 63, v2
	v_mov_b32_e32 v77, 0
	s_waitcnt lgkmcnt(0)
	s_barrier
	s_and_saveexec_b64 s[36:37], s[34:35]
; %bb.70:
	v_lshl_add_u32 v76, v76, 2, -4
	ds_read_b32 v77, v76
; %bb.71:
	s_or_b64 exec, exec, s[36:37]
	v_subrev_co_u32_e64 v76, s[34:35], 1, v32
	v_and_b32_e32 v78, 64, v32
	v_cmp_lt_i32_e64 s[36:37], v76, v78
	s_waitcnt lgkmcnt(0)
	v_add_u32_e32 v63, v77, v63
	s_movk_i32 s38, 0x100
	v_cndmask_b32_e64 v32, v76, v32, s[36:37]
	v_lshlrev_b32_e32 v32, 2, v32
	ds_bpermute_b32 v32, v32, v63
	v_cmp_gt_u32_e64 s[36:37], s38, v2
	s_waitcnt lgkmcnt(0)
	v_cndmask_b32_e64 v32, v32, v77, s[34:35]
	v_cmp_ne_u32_e64 s[34:35], 0, v2
	s_nop 1
	v_cndmask_b32_e64 v32, 0, v32, s[34:35]
	v_add_u32_e32 v10, v32, v10
	v_add_u32_e32 v11, v10, v11
	;; [unrolled: 1-line block ×4, first 2 shown]
	ds_write2_b32 v42, v32, v10 offset0:16 offset1:17
	ds_write2_b32 v42, v11, v8 offset0:18 offset1:19
	ds_write_b32 v42, v9 offset:80
	s_waitcnt lgkmcnt(0)
	s_barrier
	ds_read_b32 v8, v59 offset:64
	ds_read_b32 v59, v60 offset:64
	;; [unrolled: 1-line block ×16, first 2 shown]
	s_movk_i32 s34, 0xff
	v_cmp_lt_u32_e64 s[34:35], s34, v2
                                        ; implicit-def: $vgpr32
                                        ; implicit-def: $vgpr42
	s_and_saveexec_b64 s[40:41], s[36:37]
	s_cbranch_execz .LBB2078_75
; %bb.72:
	v_mul_u32_u24_e32 v9, 0x44, v2
	ds_read_b32 v32, v9 offset:64
	v_add_u32_e32 v10, 1, v2
	v_cmp_ne_u32_e64 s[38:39], s38, v10
	v_mov_b32_e32 v9, 0x4000
	s_and_saveexec_b64 s[44:45], s[38:39]
; %bb.73:
	v_mul_u32_u24_e32 v9, 0x44, v10
	ds_read_b32 v9, v9 offset:64
; %bb.74:
	s_or_b64 exec, exec, s[44:45]
	s_waitcnt lgkmcnt(0)
	v_sub_u32_e32 v42, v9, v32
.LBB2078_75:
	s_or_b64 exec, exec, s[40:41]
	s_waitcnt lgkmcnt(14)
	v_add_u32_e32 v46, v8, v46
	v_add3_u32 v74, v7, v3, v59
	s_waitcnt lgkmcnt(13)
	v_add3_u32 v75, v15, v14, v60
	s_waitcnt lgkmcnt(12)
	;; [unrolled: 2-line block ×14, first 2 shown]
	v_add3_u32 v88, v58, v57, v73
	v_mov_b32_e32 v9, 0
	s_barrier
	ds_write_b8 v46, v12 offset:1024
	ds_write_b8 v74, v5 offset:1024
	;; [unrolled: 1-line block ×16, first 2 shown]
	s_and_saveexec_b64 s[38:39], s[36:37]
	s_cbranch_execz .LBB2078_85
; %bb.76:
	v_lshl_add_u32 v8, s2, 8, v2
	v_lshl_add_u64 v[10:11], v[8:9], 2, s[46:47]
	v_or_b32_e32 v5, 2.0, v42
	global_store_dword v[10:11], v5, off sc1
	s_mov_b64 s[40:41], 0
	s_brev_b32 s67, -4
	s_mov_b32 s68, s2
	v_mov_b32_e32 v5, 0
                                        ; implicit-def: $sgpr36_sgpr37
	s_branch .LBB2078_79
.LBB2078_77:                            ;   in Loop: Header=BB2078_79 Depth=1
	s_or_b64 exec, exec, s[64:65]
.LBB2078_78:                            ;   in Loop: Header=BB2078_79 Depth=1
	s_or_b64 exec, exec, s[44:45]
	v_and_b32_e32 v12, 0x3fffffff, v8
	v_add_u32_e32 v5, v12, v5
	v_cmp_gt_i32_e64 s[36:37], -2.0, v8
	s_and_b64 s[44:45], exec, s[36:37]
	s_or_b64 s[40:41], s[44:45], s[40:41]
	s_andn2_b64 exec, exec, s[40:41]
	s_cbranch_execz .LBB2078_84
.LBB2078_79:                            ; =>This Loop Header: Depth=1
                                        ;     Child Loop BB2078_82 Depth 2
	s_or_b64 s[36:37], s[36:37], exec
	s_cmp_eq_u32 s68, 0
	s_cbranch_scc1 .LBB2078_83
; %bb.80:                               ;   in Loop: Header=BB2078_79 Depth=1
	s_add_i32 s68, s68, -1
	v_lshl_or_b32 v8, s68, 8, v2
	v_lshl_add_u64 v[12:13], v[8:9], 2, s[46:47]
	global_load_dword v8, v[12:13], off sc1
	s_waitcnt vmcnt(0)
	v_cmp_gt_u32_e64 s[36:37], 2.0, v8
	s_and_saveexec_b64 s[44:45], s[36:37]
	s_cbranch_execz .LBB2078_78
; %bb.81:                               ;   in Loop: Header=BB2078_79 Depth=1
	s_mov_b64 s[64:65], 0
.LBB2078_82:                            ;   Parent Loop BB2078_79 Depth=1
                                        ; =>  This Inner Loop Header: Depth=2
	global_load_dword v8, v[12:13], off sc1
	s_waitcnt vmcnt(0)
	v_cmp_lt_u32_e64 s[36:37], s67, v8
	s_or_b64 s[64:65], s[36:37], s[64:65]
	s_andn2_b64 exec, exec, s[64:65]
	s_cbranch_execnz .LBB2078_82
	s_branch .LBB2078_77
.LBB2078_83:                            ;   in Loop: Header=BB2078_79 Depth=1
                                        ; implicit-def: $sgpr68
	s_and_b64 s[44:45], exec, s[36:37]
	s_or_b64 s[40:41], s[44:45], s[40:41]
	s_andn2_b64 exec, exec, s[40:41]
	s_cbranch_execnz .LBB2078_79
.LBB2078_84:
	s_or_b64 exec, exec, s[40:41]
	v_add_u32_e32 v8, v5, v42
	v_or_b32_e32 v8, 0x80000000, v8
	global_store_dword v[10:11], v8, off sc1
	global_load_dword v8, v29, s[56:57]
	v_sub_u32_e32 v5, v5, v32
	s_waitcnt vmcnt(0)
	v_add_u32_e32 v5, v5, v8
	ds_write_b32 v29, v5
.LBB2078_85:
	s_or_b64 exec, exec, s[38:39]
	v_cmp_gt_u32_e64 s[36:37], s3, v2
	s_waitcnt lgkmcnt(0)
	s_barrier
	s_and_saveexec_b64 s[38:39], s[36:37]
	s_cbranch_execz .LBB2078_87
; %bb.86:
	ds_read_u8 v5, v2 offset:1024
	s_waitcnt lgkmcnt(0)
	v_and_b32_e32 v8, 1, v5
	v_lshrrev_b32_e32 v8, s60, v8
	v_and_b32_e32 v8, s66, v8
	v_lshlrev_b32_e32 v9, 2, v8
	ds_read_b32 v9, v9
	s_waitcnt lgkmcnt(0)
	v_add_u32_e32 v9, v9, v2
	global_store_byte v9, v5, s[50:51]
	scratch_store_dword off, v8, off
.LBB2078_87:
	s_or_b64 exec, exec, s[38:39]
	v_or_b32_e32 v5, 0x400, v2
	v_cmp_gt_u32_e64 s[36:37], s3, v5
	s_and_saveexec_b64 s[38:39], s[36:37]
	s_cbranch_execz .LBB2078_89
; %bb.88:
	ds_read_u8 v8, v2 offset:2048
	s_waitcnt lgkmcnt(0)
	v_and_b32_e32 v9, 1, v8
	v_lshrrev_b32_e32 v9, s60, v9
	v_and_b32_e32 v9, s66, v9
	v_lshlrev_b32_e32 v10, 2, v9
	ds_read_b32 v10, v10
	s_waitcnt lgkmcnt(0)
	v_add_u32_e32 v5, v10, v5
	global_store_byte v5, v8, s[50:51]
	scratch_store_dword off, v9, off offset:4
.LBB2078_89:
	s_or_b64 exec, exec, s[38:39]
	v_or_b32_e32 v5, 0x800, v2
	v_cmp_gt_u32_e64 s[36:37], s3, v5
	s_and_saveexec_b64 s[38:39], s[36:37]
	s_cbranch_execz .LBB2078_91
; %bb.90:
	ds_read_u8 v8, v2 offset:3072
	s_waitcnt lgkmcnt(0)
	v_and_b32_e32 v9, 1, v8
	v_lshrrev_b32_e32 v9, s60, v9
	v_and_b32_e32 v9, s66, v9
	v_lshlrev_b32_e32 v10, 2, v9
	ds_read_b32 v10, v10
	s_waitcnt lgkmcnt(0)
	v_add_u32_e32 v5, v10, v5
	global_store_byte v5, v8, s[50:51]
	scratch_store_dword off, v9, off offset:8
.LBB2078_91:
	;; [unrolled: 18-line block ×15, first 2 shown]
	s_or_b64 exec, exec, s[38:39]
	s_lshl_b64 s[36:37], s[62:63], 2
	s_add_u32 s36, s52, s36
	s_addc_u32 s37, s53, s37
	v_lshlrev_b32_e32 v8, 2, v6
	v_mov_b32_e32 v9, 0
	v_lshl_add_u64 v[10:11], s[36:37], 0, v[8:9]
	v_lshlrev_b32_e32 v8, 2, v4
	v_lshl_add_u64 v[4:5], v[10:11], 0, v[8:9]
                                        ; implicit-def: $vgpr6
	s_and_saveexec_b64 s[36:37], vcc
	s_xor_b64 s[36:37], exec, s[36:37]
	s_cbranch_execz .LBB2078_133
; %bb.118:
	global_load_dword v6, v[4:5], off
	s_or_b64 exec, exec, s[36:37]
                                        ; implicit-def: $vgpr8
	s_and_saveexec_b64 s[36:37], s[42:43]
	s_cbranch_execnz .LBB2078_134
.LBB2078_119:
	s_or_b64 exec, exec, s[36:37]
                                        ; implicit-def: $vgpr9
	s_and_saveexec_b64 s[36:37], s[4:5]
	s_cbranch_execz .LBB2078_135
.LBB2078_120:
	global_load_dword v9, v[4:5], off offset:512
	s_or_b64 exec, exec, s[36:37]
                                        ; implicit-def: $vgpr10
	s_and_saveexec_b64 s[4:5], s[6:7]
	s_cbranch_execnz .LBB2078_136
.LBB2078_121:
	s_or_b64 exec, exec, s[4:5]
                                        ; implicit-def: $vgpr11
	s_and_saveexec_b64 s[4:5], s[8:9]
	s_cbranch_execz .LBB2078_137
.LBB2078_122:
	global_load_dword v11, v[4:5], off offset:1024
	s_or_b64 exec, exec, s[4:5]
                                        ; implicit-def: $vgpr12
	s_and_saveexec_b64 s[4:5], s[10:11]
	s_cbranch_execnz .LBB2078_138
.LBB2078_123:
	s_or_b64 exec, exec, s[4:5]
                                        ; implicit-def: $vgpr13
	s_and_saveexec_b64 s[4:5], s[12:13]
	s_cbranch_execz .LBB2078_139
.LBB2078_124:
	global_load_dword v13, v[4:5], off offset:1536
	s_or_b64 exec, exec, s[4:5]
                                        ; implicit-def: $vgpr27
	s_and_saveexec_b64 s[4:5], s[14:15]
	s_cbranch_execnz .LBB2078_140
.LBB2078_125:
	s_or_b64 exec, exec, s[4:5]
                                        ; implicit-def: $vgpr30
	s_and_saveexec_b64 s[4:5], s[16:17]
	s_cbranch_execz .LBB2078_141
.LBB2078_126:
	global_load_dword v30, v[4:5], off offset:2048
	s_or_b64 exec, exec, s[4:5]
                                        ; implicit-def: $vgpr31
	s_and_saveexec_b64 s[4:5], s[18:19]
	s_cbranch_execnz .LBB2078_142
.LBB2078_127:
	s_or_b64 exec, exec, s[4:5]
                                        ; implicit-def: $vgpr35
	s_and_saveexec_b64 s[4:5], s[20:21]
	s_cbranch_execz .LBB2078_143
.LBB2078_128:
	global_load_dword v35, v[4:5], off offset:2560
	s_or_b64 exec, exec, s[4:5]
                                        ; implicit-def: $vgpr36
	s_and_saveexec_b64 s[4:5], s[22:23]
	s_cbranch_execnz .LBB2078_144
.LBB2078_129:
	s_or_b64 exec, exec, s[4:5]
                                        ; implicit-def: $vgpr39
	s_and_saveexec_b64 s[4:5], s[24:25]
	s_cbranch_execz .LBB2078_145
.LBB2078_130:
	global_load_dword v39, v[4:5], off offset:3072
	s_or_b64 exec, exec, s[4:5]
                                        ; implicit-def: $vgpr40
	s_and_saveexec_b64 s[4:5], s[26:27]
	s_cbranch_execnz .LBB2078_146
.LBB2078_131:
	s_or_b64 exec, exec, s[4:5]
                                        ; implicit-def: $vgpr43
	s_and_saveexec_b64 s[4:5], s[28:29]
	s_cbranch_execz .LBB2078_147
.LBB2078_132:
	global_load_dword v43, v[4:5], off offset:3584
	s_or_b64 exec, exec, s[4:5]
                                        ; implicit-def: $vgpr45
	s_and_saveexec_b64 s[4:5], s[30:31]
	s_cbranch_execnz .LBB2078_148
	s_branch .LBB2078_149
.LBB2078_133:
	s_or_b64 exec, exec, s[36:37]
                                        ; implicit-def: $vgpr8
	s_and_saveexec_b64 s[36:37], s[42:43]
	s_cbranch_execz .LBB2078_119
.LBB2078_134:
	global_load_dword v8, v[4:5], off offset:256
	s_or_b64 exec, exec, s[36:37]
                                        ; implicit-def: $vgpr9
	s_and_saveexec_b64 s[36:37], s[4:5]
	s_cbranch_execnz .LBB2078_120
.LBB2078_135:
	s_or_b64 exec, exec, s[36:37]
                                        ; implicit-def: $vgpr10
	s_and_saveexec_b64 s[4:5], s[6:7]
	s_cbranch_execz .LBB2078_121
.LBB2078_136:
	global_load_dword v10, v[4:5], off offset:768
	s_or_b64 exec, exec, s[4:5]
                                        ; implicit-def: $vgpr11
	s_and_saveexec_b64 s[4:5], s[8:9]
	s_cbranch_execnz .LBB2078_122
.LBB2078_137:
	s_or_b64 exec, exec, s[4:5]
                                        ; implicit-def: $vgpr12
	s_and_saveexec_b64 s[4:5], s[10:11]
	s_cbranch_execz .LBB2078_123
.LBB2078_138:
	global_load_dword v12, v[4:5], off offset:1280
	s_or_b64 exec, exec, s[4:5]
                                        ; implicit-def: $vgpr13
	s_and_saveexec_b64 s[4:5], s[12:13]
	s_cbranch_execnz .LBB2078_124
.LBB2078_139:
	s_or_b64 exec, exec, s[4:5]
                                        ; implicit-def: $vgpr27
	s_and_saveexec_b64 s[4:5], s[14:15]
	s_cbranch_execz .LBB2078_125
.LBB2078_140:
	global_load_dword v27, v[4:5], off offset:1792
	s_or_b64 exec, exec, s[4:5]
                                        ; implicit-def: $vgpr30
	s_and_saveexec_b64 s[4:5], s[16:17]
	s_cbranch_execnz .LBB2078_126
.LBB2078_141:
	s_or_b64 exec, exec, s[4:5]
                                        ; implicit-def: $vgpr31
	s_and_saveexec_b64 s[4:5], s[18:19]
	s_cbranch_execz .LBB2078_127
.LBB2078_142:
	global_load_dword v31, v[4:5], off offset:2304
	s_or_b64 exec, exec, s[4:5]
                                        ; implicit-def: $vgpr35
	s_and_saveexec_b64 s[4:5], s[20:21]
	s_cbranch_execnz .LBB2078_128
.LBB2078_143:
	s_or_b64 exec, exec, s[4:5]
                                        ; implicit-def: $vgpr36
	s_and_saveexec_b64 s[4:5], s[22:23]
	s_cbranch_execz .LBB2078_129
.LBB2078_144:
	global_load_dword v36, v[4:5], off offset:2816
	s_or_b64 exec, exec, s[4:5]
                                        ; implicit-def: $vgpr39
	s_and_saveexec_b64 s[4:5], s[24:25]
	s_cbranch_execnz .LBB2078_130
.LBB2078_145:
	s_or_b64 exec, exec, s[4:5]
                                        ; implicit-def: $vgpr40
	s_and_saveexec_b64 s[4:5], s[26:27]
	s_cbranch_execz .LBB2078_131
.LBB2078_146:
	global_load_dword v40, v[4:5], off offset:3328
	s_or_b64 exec, exec, s[4:5]
                                        ; implicit-def: $vgpr43
	s_and_saveexec_b64 s[4:5], s[28:29]
	s_cbranch_execnz .LBB2078_132
.LBB2078_147:
	s_or_b64 exec, exec, s[4:5]
                                        ; implicit-def: $vgpr45
	s_and_saveexec_b64 s[4:5], s[30:31]
	s_cbranch_execz .LBB2078_149
.LBB2078_148:
	global_load_dword v45, v[4:5], off offset:3840
.LBB2078_149:
	s_or_b64 exec, exec, s[4:5]
	v_mov_b32_e32 v4, 0x400
	s_movk_i32 s6, 0x400
	v_lshl_add_u32 v48, v88, 2, v4
	v_add3_u32 v49, v58, v73, v57
	v_lshl_add_u32 v52, v87, 2, v4
	v_add3_u32 v53, v56, v72, v55
	;; [unrolled: 2-line block ×15, first 2 shown]
	v_lshl_add_u32 v7, v46, 2, v4
	s_mov_b32 s7, 0
	s_mov_b32 s8, 0
	s_movk_i32 s9, 0x1000
	v_mov_b32_e32 v5, 0
	s_movk_i32 s10, 0x800
	s_movk_i32 s11, 0xc00
	s_mov_b32 s12, 0
	s_barrier
	s_branch .LBB2078_151
.LBB2078_150:                           ;   in Loop: Header=BB2078_151 Depth=1
	s_or_b64 exec, exec, s[4:5]
	s_addk_i32 s12, 0xc000
	s_addk_i32 s8, 0xf000
	s_add_i32 s7, s7, 16
	s_cmp_eq_u32 s12, 0xffff0000
	v_add_u32_e32 v2, 0x1000, v2
	s_barrier
	s_cbranch_scc1 .LBB2078_191
.LBB2078_151:                           ; =>This Inner Loop Header: Depth=1
	v_add_u32_e32 v4, s8, v46
	v_cmp_gt_u32_e32 vcc, s9, v4
	s_and_saveexec_b64 s[4:5], vcc
	s_cbranch_execz .LBB2078_153
; %bb.152:                              ;   in Loop: Header=BB2078_151 Depth=1
	v_add_u32_e32 v4, s12, v7
	s_waitcnt vmcnt(0)
	ds_write_b32 v4, v6
.LBB2078_153:                           ;   in Loop: Header=BB2078_151 Depth=1
	s_or_b64 exec, exec, s[4:5]
	v_add_u32_e32 v4, s8, v3
	v_cmp_gt_u32_e32 vcc, s9, v4
	s_and_saveexec_b64 s[4:5], vcc
	s_cbranch_execz .LBB2078_155
; %bb.154:                              ;   in Loop: Header=BB2078_151 Depth=1
	v_add_u32_e32 v4, s12, v15
	s_waitcnt vmcnt(0)
	ds_write_b32 v4, v8
.LBB2078_155:                           ;   in Loop: Header=BB2078_151 Depth=1
	s_or_b64 exec, exec, s[4:5]
	v_add_u32_e32 v4, s8, v14
	v_cmp_gt_u32_e32 vcc, s9, v4
	s_and_saveexec_b64 s[4:5], vcc
	s_cbranch_execz .LBB2078_157
; %bb.156:                              ;   in Loop: Header=BB2078_151 Depth=1
	v_add_u32_e32 v4, s12, v17
	s_waitcnt vmcnt(0)
	ds_write_b32 v4, v9
.LBB2078_157:                           ;   in Loop: Header=BB2078_151 Depth=1
	s_or_b64 exec, exec, s[4:5]
	v_add_u32_e32 v4, s8, v16
	v_cmp_gt_u32_e32 vcc, s9, v4
	s_and_saveexec_b64 s[4:5], vcc
	s_cbranch_execz .LBB2078_159
; %bb.158:                              ;   in Loop: Header=BB2078_151 Depth=1
	v_add_u32_e32 v4, s12, v19
	s_waitcnt vmcnt(0)
	ds_write_b32 v4, v10
.LBB2078_159:                           ;   in Loop: Header=BB2078_151 Depth=1
	s_or_b64 exec, exec, s[4:5]
	v_add_u32_e32 v4, s8, v18
	v_cmp_gt_u32_e32 vcc, s9, v4
	s_and_saveexec_b64 s[4:5], vcc
	s_cbranch_execz .LBB2078_161
; %bb.160:                              ;   in Loop: Header=BB2078_151 Depth=1
	v_add_u32_e32 v4, s12, v21
	s_waitcnt vmcnt(0)
	ds_write_b32 v4, v11
.LBB2078_161:                           ;   in Loop: Header=BB2078_151 Depth=1
	s_or_b64 exec, exec, s[4:5]
	v_add_u32_e32 v4, s8, v20
	v_cmp_gt_u32_e32 vcc, s9, v4
	s_and_saveexec_b64 s[4:5], vcc
	s_cbranch_execz .LBB2078_163
; %bb.162:                              ;   in Loop: Header=BB2078_151 Depth=1
	v_add_u32_e32 v4, s12, v23
	s_waitcnt vmcnt(0)
	ds_write_b32 v4, v12
.LBB2078_163:                           ;   in Loop: Header=BB2078_151 Depth=1
	s_or_b64 exec, exec, s[4:5]
	v_add_u32_e32 v4, s8, v22
	v_cmp_gt_u32_e32 vcc, s9, v4
	s_and_saveexec_b64 s[4:5], vcc
	s_cbranch_execz .LBB2078_165
; %bb.164:                              ;   in Loop: Header=BB2078_151 Depth=1
	v_add_u32_e32 v4, s12, v25
	s_waitcnt vmcnt(0)
	ds_write_b32 v4, v13
.LBB2078_165:                           ;   in Loop: Header=BB2078_151 Depth=1
	s_or_b64 exec, exec, s[4:5]
	v_add_u32_e32 v4, s8, v24
	v_cmp_gt_u32_e32 vcc, s9, v4
	s_and_saveexec_b64 s[4:5], vcc
	s_cbranch_execz .LBB2078_167
; %bb.166:                              ;   in Loop: Header=BB2078_151 Depth=1
	v_add_u32_e32 v4, s12, v28
	s_waitcnt vmcnt(0)
	ds_write_b32 v4, v27
.LBB2078_167:                           ;   in Loop: Header=BB2078_151 Depth=1
	s_or_b64 exec, exec, s[4:5]
	v_add_u32_e32 v4, s8, v26
	v_cmp_gt_u32_e32 vcc, s9, v4
	s_and_saveexec_b64 s[4:5], vcc
	s_cbranch_execz .LBB2078_169
; %bb.168:                              ;   in Loop: Header=BB2078_151 Depth=1
	v_add_u32_e32 v4, s12, v34
	s_waitcnt vmcnt(0)
	ds_write_b32 v4, v30
.LBB2078_169:                           ;   in Loop: Header=BB2078_151 Depth=1
	s_or_b64 exec, exec, s[4:5]
	v_add_u32_e32 v4, s8, v33
	v_cmp_gt_u32_e32 vcc, s9, v4
	s_and_saveexec_b64 s[4:5], vcc
	s_cbranch_execz .LBB2078_171
; %bb.170:                              ;   in Loop: Header=BB2078_151 Depth=1
	v_add_u32_e32 v4, s12, v38
	s_waitcnt vmcnt(0)
	ds_write_b32 v4, v31
.LBB2078_171:                           ;   in Loop: Header=BB2078_151 Depth=1
	s_or_b64 exec, exec, s[4:5]
	v_add_u32_e32 v4, s8, v37
	v_cmp_gt_u32_e32 vcc, s9, v4
	s_and_saveexec_b64 s[4:5], vcc
	s_cbranch_execz .LBB2078_173
; %bb.172:                              ;   in Loop: Header=BB2078_151 Depth=1
	v_add_u32_e32 v4, s12, v44
	s_waitcnt vmcnt(0)
	ds_write_b32 v4, v35
.LBB2078_173:                           ;   in Loop: Header=BB2078_151 Depth=1
	s_or_b64 exec, exec, s[4:5]
	v_add_u32_e32 v4, s8, v41
	v_cmp_gt_u32_e32 vcc, s9, v4
	s_and_saveexec_b64 s[4:5], vcc
	s_cbranch_execz .LBB2078_175
; %bb.174:                              ;   in Loop: Header=BB2078_151 Depth=1
	v_add_u32_e32 v4, s12, v50
	s_waitcnt vmcnt(0)
	ds_write_b32 v4, v36
.LBB2078_175:                           ;   in Loop: Header=BB2078_151 Depth=1
	s_or_b64 exec, exec, s[4:5]
	v_add_u32_e32 v4, s8, v47
	v_cmp_gt_u32_e32 vcc, s9, v4
	s_and_saveexec_b64 s[4:5], vcc
	s_cbranch_execz .LBB2078_177
; %bb.176:                              ;   in Loop: Header=BB2078_151 Depth=1
	v_add_u32_e32 v4, s12, v54
	s_waitcnt vmcnt(0)
	ds_write_b32 v4, v39
.LBB2078_177:                           ;   in Loop: Header=BB2078_151 Depth=1
	s_or_b64 exec, exec, s[4:5]
	v_add_u32_e32 v4, s8, v51
	v_cmp_gt_u32_e32 vcc, s9, v4
	s_and_saveexec_b64 s[4:5], vcc
	s_cbranch_execz .LBB2078_179
; %bb.178:                              ;   in Loop: Header=BB2078_151 Depth=1
	v_add_u32_e32 v4, s12, v55
	s_waitcnt vmcnt(0)
	ds_write_b32 v4, v40
.LBB2078_179:                           ;   in Loop: Header=BB2078_151 Depth=1
	s_or_b64 exec, exec, s[4:5]
	v_add_u32_e32 v4, s8, v53
	v_cmp_gt_u32_e32 vcc, s9, v4
	s_and_saveexec_b64 s[4:5], vcc
	s_cbranch_execz .LBB2078_181
; %bb.180:                              ;   in Loop: Header=BB2078_151 Depth=1
	v_add_u32_e32 v4, s12, v52
	s_waitcnt vmcnt(0)
	ds_write_b32 v4, v43
.LBB2078_181:                           ;   in Loop: Header=BB2078_151 Depth=1
	s_or_b64 exec, exec, s[4:5]
	v_add_u32_e32 v4, s8, v49
	v_cmp_gt_u32_e32 vcc, s9, v4
	s_and_saveexec_b64 s[4:5], vcc
	s_cbranch_execz .LBB2078_183
; %bb.182:                              ;   in Loop: Header=BB2078_151 Depth=1
	v_add_u32_e32 v4, s12, v48
	s_waitcnt vmcnt(0)
	ds_write_b32 v4, v45
.LBB2078_183:                           ;   in Loop: Header=BB2078_151 Depth=1
	s_or_b64 exec, exec, s[4:5]
	v_cmp_gt_u32_e32 vcc, s3, v2
	s_waitcnt lgkmcnt(0)
	s_barrier
	s_and_saveexec_b64 s[4:5], vcc
	s_cbranch_execz .LBB2078_185
; %bb.184:                              ;   in Loop: Header=BB2078_151 Depth=1
	scratch_load_dword v4, off, s7
	s_waitcnt vmcnt(0)
	v_lshlrev_b32_e32 v4, 2, v4
	ds_read_b32 v4, v4
	ds_read_b32 v58, v29 offset:1024
	s_waitcnt lgkmcnt(1)
	v_add_u32_e32 v4, v2, v4
	v_lshl_add_u64 v[56:57], v[4:5], 2, s[54:55]
	s_waitcnt lgkmcnt(0)
	global_store_dword v[56:57], v58, off
.LBB2078_185:                           ;   in Loop: Header=BB2078_151 Depth=1
	s_or_b64 exec, exec, s[4:5]
	v_add_u32_e32 v4, 0x400, v2
	v_cmp_gt_u32_e32 vcc, s3, v4
	s_and_saveexec_b64 s[4:5], vcc
	s_cbranch_execz .LBB2078_187
; %bb.186:                              ;   in Loop: Header=BB2078_151 Depth=1
	s_add_i32 s13, s7, 4
	scratch_load_dword v4, off, s13
	s_waitcnt vmcnt(0)
	v_lshlrev_b32_e32 v4, 2, v4
	ds_read_b32 v4, v4
	ds_read_b32 v58, v29 offset:5120
	s_waitcnt lgkmcnt(1)
	v_add3_u32 v4, v2, v4, s6
	v_lshl_add_u64 v[56:57], v[4:5], 2, s[54:55]
	s_waitcnt lgkmcnt(0)
	global_store_dword v[56:57], v58, off
.LBB2078_187:                           ;   in Loop: Header=BB2078_151 Depth=1
	s_or_b64 exec, exec, s[4:5]
	v_add_u32_e32 v4, 0x800, v2
	v_cmp_gt_u32_e32 vcc, s3, v4
	s_and_saveexec_b64 s[4:5], vcc
	s_cbranch_execz .LBB2078_189
; %bb.188:                              ;   in Loop: Header=BB2078_151 Depth=1
	s_add_i32 s13, s7, 8
	scratch_load_dword v4, off, s13
	s_waitcnt vmcnt(0)
	v_lshlrev_b32_e32 v4, 2, v4
	ds_read_b32 v4, v4
	ds_read_b32 v58, v29 offset:9216
	s_waitcnt lgkmcnt(1)
	v_add3_u32 v4, v2, v4, s10
	v_lshl_add_u64 v[56:57], v[4:5], 2, s[54:55]
	s_waitcnt lgkmcnt(0)
	global_store_dword v[56:57], v58, off
.LBB2078_189:                           ;   in Loop: Header=BB2078_151 Depth=1
	s_or_b64 exec, exec, s[4:5]
	v_add_u32_e32 v4, 0xc00, v2
	v_cmp_gt_u32_e32 vcc, s3, v4
	s_and_saveexec_b64 s[4:5], vcc
	s_cbranch_execz .LBB2078_150
; %bb.190:                              ;   in Loop: Header=BB2078_151 Depth=1
	s_add_i32 s13, s7, 12
	scratch_load_dword v4, off, s13
	s_waitcnt vmcnt(0)
	v_lshlrev_b32_e32 v4, 2, v4
	ds_read_b32 v4, v4
	ds_read_b32 v58, v29 offset:13312
	s_waitcnt lgkmcnt(1)
	v_add3_u32 v4, v2, v4, s11
	v_lshl_add_u64 v[56:57], v[4:5], 2, s[54:55]
	s_waitcnt lgkmcnt(0)
	global_store_dword v[56:57], v58, off
	s_branch .LBB2078_150
.LBB2078_191:
	s_add_i32 s33, s33, -1
	s_cmp_eq_u32 s2, s33
	s_cselect_b64 s[4:5], -1, 0
	s_xor_b64 s[6:7], s[34:35], -1
	s_and_b64 s[6:7], s[6:7], s[4:5]
	s_and_saveexec_b64 s[4:5], s[6:7]
	s_cbranch_execz .LBB2078_193
; %bb.192:
	ds_read_b32 v2, v29
	s_waitcnt lgkmcnt(0)
	v_add3_u32 v2, v32, v42, v2
	global_store_dword v29, v2, s[58:59]
.LBB2078_193:
	s_or_b64 exec, exec, s[4:5]
	s_mov_b64 s[4:5], 0
.LBB2078_194:
	s_and_b64 vcc, exec, s[4:5]
	s_cbranch_vccz .LBB2078_283
; %bb.195:
	s_lshl_b32 s10, s2, 14
	v_and_b32_e32 v16, 0x3ff, v0
	s_add_u32 s4, s48, s10
	v_mbcnt_hi_u32_b32 v42, -1, v1
	s_addc_u32 s5, s49, 0
	v_and_b32_e32 v20, 63, v42
	v_lshlrev_b32_e32 v1, 4, v16
	v_mov_b32_e32 v21, 0
	v_and_b32_e32 v18, 0x3c00, v1
	v_lshl_add_u64 v[2:3], s[4:5], 0, v[20:21]
	v_mov_b32_e32 v19, v21
	v_lshl_add_u64 v[2:3], v[2:3], 0, v[18:19]
	s_load_dword s3, s[0:1], 0x58
	s_load_dword s4, s[0:1], 0x64
	global_load_ubyte v4, v[2:3], off
	s_add_u32 s0, s0, 0x58
	s_addc_u32 s1, s1, 0
	v_mov_b32_e32 v1, v21
	s_waitcnt lgkmcnt(0)
	s_lshr_b32 s5, s4, 16
	s_cmp_lt_u32 s2, s3
	s_cselect_b32 s4, 12, 18
	s_add_u32 s0, s0, s4
	s_addc_u32 s1, s1, 0
	global_load_ushort v17, v21, s[0:1]
	global_load_ubyte v57, v[2:3], off offset:64
	global_load_ubyte v56, v[2:3], off offset:128
	;; [unrolled: 1-line block ×14, first 2 shown]
                                        ; kill: killed $sgpr0 killed $sgpr1
	global_load_ubyte v13, v[2:3], off offset:960
	v_bfe_u32 v2, v0, 10, 10
	v_bfe_u32 v0, v0, 20, 10
	v_mad_u32_u24 v2, v0, s5, v2
	s_lshl_b32 s0, -1, s61
	s_not_b32 s14, s0
	s_mov_b32 s11, 0
	s_movk_i32 s4, 0x44
	v_mul_u32_u24_e32 v44, 20, v16
	ds_write2_b32 v44, v21, v21 offset0:16 offset1:17
	ds_write2_b32 v44, v21, v21 offset0:18 offset1:19
	ds_write_b32 v44, v21 offset:80
	s_waitcnt lgkmcnt(0)
	s_barrier
	s_waitcnt vmcnt(16)
	; wave barrier
	v_and_b32_e32 v0, 1, v4
	v_lshrrev_b32_e32 v0, s60, v0
	v_bitop3_b32 v0, v0, s0, v0 bitop3:0x30
	v_mul_u32_u24_e32 v19, 0x44, v0
	v_cmp_ne_u32_e32 vcc, 0, v0
	v_lshl_add_u64 v[0:1], v[0:1], 0, -1
	s_waitcnt vmcnt(15)
	v_mad_u64_u32 v[2:3], s[0:1], v2, v17, v[16:17]
	v_xor_b32_e32 v0, vcc_lo, v0
	v_xor_b32_e32 v1, vcc_hi, v1
	v_and_b32_e32 v0, exec_lo, v0
	v_and_b32_e32 v1, exec_hi, v1
	v_mbcnt_lo_u32_b32 v3, v0, 0
	v_lshrrev_b32_e32 v2, 4, v2
	v_mbcnt_hi_u32_b32 v46, v1, v3
	v_cmp_ne_u64_e32 vcc, 0, v[0:1]
	v_and_b32_e32 v37, 0xffffffc, v2
	v_cmp_eq_u32_e64 s[0:1], 0, v46
	s_and_b64 s[6:7], vcc, s[0:1]
	v_add_u32_e32 v58, v37, v19
	s_and_saveexec_b64 s[0:1], s[6:7]
; %bb.196:
	v_bcnt_u32_b32 v0, v0, 0
	v_bcnt_u32_b32 v0, v1, v0
	ds_write_b32 v58, v0 offset:64
; %bb.197:
	s_or_b64 exec, exec, s[0:1]
	s_waitcnt vmcnt(14)
	v_lshrrev_b32_sdwa v0, s60, v57 dst_sel:DWORD dst_unused:UNUSED_PAD src0_sel:DWORD src1_sel:BYTE_0
	v_and_b32_e32 v0, s14, v0
	v_mad_u32_u24 v1, v0, s4, v37
	; wave barrier
	ds_read_b32 v17, v1 offset:64
	v_mov_b32_e32 v1, v21
	v_mul_u32_u24_e32 v2, 0x44, v0
	v_cmp_ne_u32_e32 vcc, 0, v0
	v_lshl_add_u64 v[0:1], v[0:1], 0, -1
	v_add_u32_e32 v21, v37, v2
	v_xor_b32_e32 v0, vcc_lo, v0
	v_xor_b32_e32 v1, vcc_hi, v1
	v_and_b32_e32 v0, exec_lo, v0
	v_and_b32_e32 v1, exec_hi, v1
	v_mbcnt_lo_u32_b32 v3, v0, 0
	v_mbcnt_hi_u32_b32 v19, v1, v3
	v_cmp_eq_u32_e32 vcc, 0, v19
	v_cmp_ne_u64_e64 s[0:1], 0, v[0:1]
	s_and_b64 s[4:5], s[0:1], vcc
	; wave barrier
	s_and_saveexec_b64 s[0:1], s[4:5]
	s_cbranch_execz .LBB2078_199
; %bb.198:
	v_bcnt_u32_b32 v0, v0, 0
	v_bcnt_u32_b32 v0, v1, v0
	s_waitcnt lgkmcnt(0)
	v_add_u32_e32 v0, v17, v0
	ds_write_b32 v21, v0 offset:64
.LBB2078_199:
	s_or_b64 exec, exec, s[0:1]
	s_waitcnt vmcnt(13)
	v_lshrrev_b32_sdwa v0, s60, v56 dst_sel:DWORD dst_unused:UNUSED_PAD src0_sel:DWORD src1_sel:BYTE_0
	v_and_b32_e32 v0, s14, v0
	s_movk_i32 s4, 0x44
	v_mad_u32_u24 v1, v0, s4, v37
	; wave barrier
	ds_read_b32 v22, v1 offset:64
	v_mov_b32_e32 v1, 0
	v_cmp_ne_u32_e32 vcc, 0, v0
	v_lshl_add_u64 v[2:3], v[0:1], 0, -1
	v_mul_u32_u24_e32 v24, 0x44, v0
	v_xor_b32_e32 v2, vcc_lo, v2
	v_xor_b32_e32 v0, vcc_hi, v3
	v_and_b32_e32 v2, exec_lo, v2
	v_and_b32_e32 v3, exec_hi, v0
	v_mbcnt_lo_u32_b32 v0, v2, 0
	v_mbcnt_hi_u32_b32 v23, v3, v0
	v_cmp_eq_u32_e32 vcc, 0, v23
	v_cmp_ne_u64_e64 s[0:1], 0, v[2:3]
	s_and_b64 s[6:7], s[0:1], vcc
	v_add_u32_e32 v59, v37, v24
	; wave barrier
	s_and_saveexec_b64 s[0:1], s[6:7]
	s_cbranch_execz .LBB2078_201
; %bb.200:
	v_bcnt_u32_b32 v0, v2, 0
	v_bcnt_u32_b32 v0, v3, v0
	s_waitcnt lgkmcnt(0)
	v_add_u32_e32 v0, v22, v0
	ds_write_b32 v59, v0 offset:64
.LBB2078_201:
	s_or_b64 exec, exec, s[0:1]
	s_waitcnt vmcnt(12)
	v_lshrrev_b32_sdwa v0, s60, v55 dst_sel:DWORD dst_unused:UNUSED_PAD src0_sel:DWORD src1_sel:BYTE_0
	v_and_b32_e32 v0, s14, v0
	v_mul_u32_u24_e32 v2, 0x44, v0
	v_mad_u32_u24 v3, v0, s4, v37
	v_cmp_ne_u32_e32 vcc, 0, v0
	v_lshl_add_u64 v[0:1], v[0:1], 0, -1
	s_nop 0
	v_xor_b32_e32 v0, vcc_lo, v0
	; wave barrier
	ds_read_b32 v24, v3 offset:64
	v_xor_b32_e32 v1, vcc_hi, v1
	v_and_b32_e32 v0, exec_lo, v0
	v_and_b32_e32 v1, exec_hi, v1
	v_mbcnt_lo_u32_b32 v3, v0, 0
	v_mbcnt_hi_u32_b32 v25, v1, v3
	v_cmp_eq_u32_e32 vcc, 0, v25
	v_cmp_ne_u64_e64 s[0:1], 0, v[0:1]
	s_and_b64 s[4:5], s[0:1], vcc
	v_add_u32_e32 v60, v37, v2
	; wave barrier
	s_and_saveexec_b64 s[0:1], s[4:5]
	s_cbranch_execz .LBB2078_203
; %bb.202:
	v_bcnt_u32_b32 v0, v0, 0
	v_bcnt_u32_b32 v0, v1, v0
	s_waitcnt lgkmcnt(0)
	v_add_u32_e32 v0, v24, v0
	ds_write_b32 v60, v0 offset:64
.LBB2078_203:
	s_or_b64 exec, exec, s[0:1]
	s_waitcnt vmcnt(11)
	v_lshrrev_b32_sdwa v0, s60, v54 dst_sel:DWORD dst_unused:UNUSED_PAD src0_sel:DWORD src1_sel:BYTE_0
	v_and_b32_e32 v0, s14, v0
	s_movk_i32 s4, 0x44
	v_mad_u32_u24 v1, v0, s4, v37
	; wave barrier
	ds_read_b32 v26, v1 offset:64
	v_mov_b32_e32 v1, 0
	v_cmp_ne_u32_e32 vcc, 0, v0
	v_lshl_add_u64 v[2:3], v[0:1], 0, -1
	v_mul_u32_u24_e32 v28, 0x44, v0
	v_xor_b32_e32 v2, vcc_lo, v2
	v_xor_b32_e32 v0, vcc_hi, v3
	v_and_b32_e32 v2, exec_lo, v2
	v_and_b32_e32 v3, exec_hi, v0
	v_mbcnt_lo_u32_b32 v0, v2, 0
	v_mbcnt_hi_u32_b32 v27, v3, v0
	v_cmp_eq_u32_e32 vcc, 0, v27
	v_cmp_ne_u64_e64 s[0:1], 0, v[2:3]
	s_and_b64 s[6:7], s[0:1], vcc
	v_add_u32_e32 v61, v37, v28
	; wave barrier
	s_and_saveexec_b64 s[0:1], s[6:7]
	s_cbranch_execz .LBB2078_205
; %bb.204:
	v_bcnt_u32_b32 v0, v2, 0
	v_bcnt_u32_b32 v0, v3, v0
	s_waitcnt lgkmcnt(0)
	v_add_u32_e32 v0, v26, v0
	ds_write_b32 v61, v0 offset:64
.LBB2078_205:
	s_or_b64 exec, exec, s[0:1]
	s_waitcnt vmcnt(10)
	v_lshrrev_b32_sdwa v0, s60, v15 dst_sel:DWORD dst_unused:UNUSED_PAD src0_sel:DWORD src1_sel:BYTE_0
	v_and_b32_e32 v0, s14, v0
	v_mul_u32_u24_e32 v2, 0x44, v0
	v_mad_u32_u24 v3, v0, s4, v37
	v_cmp_ne_u32_e32 vcc, 0, v0
	v_lshl_add_u64 v[0:1], v[0:1], 0, -1
	s_nop 0
	v_xor_b32_e32 v0, vcc_lo, v0
	; wave barrier
	ds_read_b32 v28, v3 offset:64
	v_xor_b32_e32 v1, vcc_hi, v1
	v_and_b32_e32 v0, exec_lo, v0
	v_and_b32_e32 v1, exec_hi, v1
	v_mbcnt_lo_u32_b32 v3, v0, 0
	v_mbcnt_hi_u32_b32 v29, v1, v3
	v_cmp_eq_u32_e32 vcc, 0, v29
	v_cmp_ne_u64_e64 s[0:1], 0, v[0:1]
	s_and_b64 s[4:5], s[0:1], vcc
	v_add_u32_e32 v62, v37, v2
	;; [unrolled: 63-line block ×7, first 2 shown]
	; wave barrier
	s_and_saveexec_b64 s[0:1], s[4:5]
	s_cbranch_execz .LBB2078_227
; %bb.226:
	v_bcnt_u32_b32 v0, v0, 0
	v_bcnt_u32_b32 v0, v1, v0
	s_waitcnt lgkmcnt(0)
	v_add_u32_e32 v0, v52, v0
	ds_write_b32 v73, v0 offset:64
.LBB2078_227:
	s_or_b64 exec, exec, s[0:1]
	; wave barrier
	s_waitcnt lgkmcnt(0)
	s_barrier
	ds_read2_b32 v[2:3], v44 offset0:16 offset1:17
	ds_read2_b32 v[0:1], v44 offset0:18 offset1:19
	ds_read_b32 v37, v44 offset:80
	v_cmp_lt_u32_e64 s[8:9], 31, v42
	s_waitcnt lgkmcnt(1)
	v_add3_u32 v71, v3, v2, v0
	s_waitcnt lgkmcnt(0)
	v_add3_u32 v37, v71, v1, v37
	v_and_b32_e32 v71, 15, v42
	v_cmp_eq_u32_e32 vcc, 0, v71
	v_mov_b32_dpp v74, v37 row_shr:1 row_mask:0xf bank_mask:0xf
	v_cmp_lt_u32_e64 s[0:1], 1, v71
	v_cndmask_b32_e64 v74, v74, 0, vcc
	v_add_u32_e32 v37, v74, v37
	v_cmp_lt_u32_e64 s[6:7], 3, v71
	v_cmp_lt_u32_e64 s[4:5], 7, v71
	v_mov_b32_dpp v74, v37 row_shr:2 row_mask:0xf bank_mask:0xf
	v_cndmask_b32_e64 v74, 0, v74, s[0:1]
	v_add_u32_e32 v37, v37, v74
	s_nop 1
	v_mov_b32_dpp v74, v37 row_shr:4 row_mask:0xf bank_mask:0xf
	v_cndmask_b32_e64 v74, 0, v74, s[6:7]
	v_add_u32_e32 v37, v37, v74
	s_nop 1
	v_mov_b32_dpp v74, v37 row_shr:8 row_mask:0xf bank_mask:0xf
	v_cndmask_b32_e64 v71, 0, v74, s[4:5]
	v_add_u32_e32 v37, v37, v71
	v_bfe_i32 v74, v42, 4, 1
	s_nop 0
	v_mov_b32_dpp v71, v37 row_bcast:15 row_mask:0xf bank_mask:0xf
	v_and_b32_e32 v71, v74, v71
	v_add_u32_e32 v37, v37, v71
	v_lshrrev_b32_e32 v74, 6, v16
	s_nop 0
	v_mov_b32_dpp v71, v37 row_bcast:31 row_mask:0xf bank_mask:0xf
	v_cndmask_b32_e64 v71, 0, v71, s[8:9]
	v_add_u32_e32 v71, v37, v71
	v_and_b32_e32 v37, 63, v16
	v_cmp_eq_u32_e64 s[8:9], 63, v37
	s_and_saveexec_b64 s[12:13], s[8:9]
; %bb.228:
	v_lshlrev_b32_e32 v37, 2, v74
	ds_write_b32 v37, v71
; %bb.229:
	s_or_b64 exec, exec, s[12:13]
	v_cmp_gt_u32_e64 s[8:9], 16, v16
	v_lshlrev_b32_e32 v37, 2, v16
	s_waitcnt lgkmcnt(0)
	s_barrier
	s_and_saveexec_b64 s[12:13], s[8:9]
	s_cbranch_execz .LBB2078_231
; %bb.230:
	ds_read_b32 v75, v37
	s_waitcnt lgkmcnt(0)
	s_nop 0
	v_mov_b32_dpp v76, v75 row_shr:1 row_mask:0xf bank_mask:0xf
	v_cndmask_b32_e64 v76, v76, 0, vcc
	v_add_u32_e32 v75, v76, v75
	s_nop 1
	v_mov_b32_dpp v76, v75 row_shr:2 row_mask:0xf bank_mask:0xf
	v_cndmask_b32_e64 v76, 0, v76, s[0:1]
	v_add_u32_e32 v75, v75, v76
	s_nop 1
	v_mov_b32_dpp v76, v75 row_shr:4 row_mask:0xf bank_mask:0xf
	v_cndmask_b32_e64 v76, 0, v76, s[6:7]
	;; [unrolled: 4-line block ×3, first 2 shown]
	v_add_u32_e32 v75, v75, v76
	ds_write_b32 v37, v75
.LBB2078_231:
	s_or_b64 exec, exec, s[12:13]
	v_cmp_lt_u32_e32 vcc, 63, v16
	v_mov_b32_e32 v75, 0
	s_waitcnt lgkmcnt(0)
	s_barrier
	s_and_saveexec_b64 s[0:1], vcc
; %bb.232:
	v_lshl_add_u32 v74, v74, 2, -4
	ds_read_b32 v75, v74
; %bb.233:
	s_or_b64 exec, exec, s[0:1]
	v_subrev_co_u32_e32 v74, vcc, 1, v42
	v_and_b32_e32 v76, 64, v42
	v_cmp_lt_i32_e64 s[0:1], v74, v76
	s_waitcnt lgkmcnt(0)
	v_add_u32_e32 v71, v75, v71
	s_movk_i32 s4, 0x100
	v_cndmask_b32_e64 v42, v74, v42, s[0:1]
	v_lshlrev_b32_e32 v42, 2, v42
	ds_bpermute_b32 v42, v42, v71
	s_movk_i32 s0, 0xff
	s_waitcnt lgkmcnt(0)
	v_cndmask_b32_e32 v42, v42, v75, vcc
	v_cmp_ne_u32_e32 vcc, 0, v16
	s_nop 1
	v_cndmask_b32_e32 v42, 0, v42, vcc
	v_add_u32_e32 v2, v42, v2
	v_add_u32_e32 v3, v2, v3
	;; [unrolled: 1-line block ×4, first 2 shown]
	ds_write2_b32 v44, v42, v2 offset0:16 offset1:17
	ds_write2_b32 v44, v3, v0 offset0:18 offset1:19
	ds_write_b32 v44, v1 offset:80
	s_waitcnt lgkmcnt(0)
	s_barrier
	ds_read_b32 v0, v58 offset:64
	ds_read_b32 v58, v21 offset:64
	ds_read_b32 v59, v59 offset:64
	ds_read_b32 v60, v60 offset:64
	ds_read_b32 v61, v61 offset:64
	ds_read_b32 v62, v62 offset:64
	ds_read_b32 v63, v63 offset:64
	ds_read_b32 v64, v64 offset:64
	ds_read_b32 v65, v65 offset:64
	ds_read_b32 v66, v66 offset:64
	ds_read_b32 v67, v67 offset:64
	ds_read_b32 v68, v68 offset:64
	ds_read_b32 v69, v69 offset:64
	ds_read_b32 v71, v70 offset:64
	ds_read_b32 v74, v72 offset:64
	ds_read_b32 v77, v73 offset:64
	v_cmp_lt_u32_e32 vcc, s0, v16
	v_cmp_gt_u32_e64 s[0:1], s4, v16
                                        ; implicit-def: $vgpr42
                                        ; implicit-def: $vgpr44
	s_and_saveexec_b64 s[6:7], s[0:1]
	s_cbranch_execz .LBB2078_237
; %bb.234:
	v_mul_u32_u24_e32 v1, 0x44, v16
	ds_read_b32 v42, v1 offset:64
	v_add_u32_e32 v2, 1, v16
	v_cmp_ne_u32_e64 s[4:5], s4, v2
	v_mov_b32_e32 v1, 0x4000
	s_and_saveexec_b64 s[8:9], s[4:5]
; %bb.235:
	v_mul_u32_u24_e32 v1, 0x44, v2
	ds_read_b32 v1, v1 offset:64
; %bb.236:
	s_or_b64 exec, exec, s[8:9]
	s_waitcnt lgkmcnt(0)
	v_sub_u32_e32 v44, v1, v42
.LBB2078_237:
	s_or_b64 exec, exec, s[6:7]
	s_waitcnt lgkmcnt(14)
	v_add_u32_e32 v46, v0, v46
	v_add3_u32 v70, v19, v17, v58
	s_waitcnt lgkmcnt(13)
	v_add3_u32 v72, v23, v22, v59
	s_waitcnt lgkmcnt(12)
	v_add3_u32 v73, v25, v24, v60
	s_waitcnt lgkmcnt(11)
	v_add3_u32 v75, v27, v26, v61
	s_waitcnt lgkmcnt(10)
	v_add3_u32 v76, v29, v28, v62
	s_waitcnt lgkmcnt(9)
	v_add3_u32 v78, v31, v30, v63
	s_waitcnt lgkmcnt(8)
	v_add3_u32 v79, v33, v32, v64
	s_waitcnt lgkmcnt(0)
	s_barrier
	ds_write_b8 v46, v4 offset:1024
	v_add3_u32 v80, v35, v34, v65
	ds_write_b8 v70, v57 offset:1024
	v_add3_u32 v57, v38, v36, v66
	;; [unrolled: 2-line block ×5, first 2 shown]
	v_add3_u32 v81, v49, v48, v71
	v_add3_u32 v82, v51, v50, v74
	;; [unrolled: 1-line block ×3, first 2 shown]
	v_mov_b32_e32 v1, 0
	ds_write_b8 v76, v15 offset:1024
	ds_write_b8 v78, v14 offset:1024
	;; [unrolled: 1-line block ×11, first 2 shown]
	s_and_saveexec_b64 s[4:5], s[0:1]
	s_cbranch_execz .LBB2078_247
; %bb.238:
	v_lshl_add_u32 v0, s2, 8, v16
	v_lshl_add_u64 v[2:3], v[0:1], 2, s[46:47]
	v_or_b32_e32 v0, 2.0, v44
	s_mov_b64 s[6:7], 0
	s_brev_b32 s15, -4
	s_mov_b32 s16, s2
	v_mov_b32_e32 v6, 0
	global_store_dword v[2:3], v0, off sc1
                                        ; implicit-def: $sgpr0_sgpr1
	s_branch .LBB2078_241
.LBB2078_239:                           ;   in Loop: Header=BB2078_241 Depth=1
	s_or_b64 exec, exec, s[12:13]
.LBB2078_240:                           ;   in Loop: Header=BB2078_241 Depth=1
	s_or_b64 exec, exec, s[8:9]
	v_and_b32_e32 v4, 0x3fffffff, v0
	v_add_u32_e32 v6, v4, v6
	v_cmp_gt_i32_e64 s[0:1], -2.0, v0
	s_and_b64 s[8:9], exec, s[0:1]
	s_or_b64 s[6:7], s[8:9], s[6:7]
	s_andn2_b64 exec, exec, s[6:7]
	s_cbranch_execz .LBB2078_246
.LBB2078_241:                           ; =>This Loop Header: Depth=1
                                        ;     Child Loop BB2078_244 Depth 2
	s_or_b64 s[0:1], s[0:1], exec
	s_cmp_eq_u32 s16, 0
	s_cbranch_scc1 .LBB2078_245
; %bb.242:                              ;   in Loop: Header=BB2078_241 Depth=1
	s_add_i32 s16, s16, -1
	v_lshl_or_b32 v0, s16, 8, v16
	v_lshl_add_u64 v[4:5], v[0:1], 2, s[46:47]
	global_load_dword v0, v[4:5], off sc1
	s_waitcnt vmcnt(0)
	v_cmp_gt_u32_e64 s[0:1], 2.0, v0
	s_and_saveexec_b64 s[8:9], s[0:1]
	s_cbranch_execz .LBB2078_240
; %bb.243:                              ;   in Loop: Header=BB2078_241 Depth=1
	s_mov_b64 s[12:13], 0
.LBB2078_244:                           ;   Parent Loop BB2078_241 Depth=1
                                        ; =>  This Inner Loop Header: Depth=2
	global_load_dword v0, v[4:5], off sc1
	s_waitcnt vmcnt(0)
	v_cmp_lt_u32_e64 s[0:1], s15, v0
	s_or_b64 s[12:13], s[0:1], s[12:13]
	s_andn2_b64 exec, exec, s[12:13]
	s_cbranch_execnz .LBB2078_244
	s_branch .LBB2078_239
.LBB2078_245:                           ;   in Loop: Header=BB2078_241 Depth=1
                                        ; implicit-def: $sgpr16
	s_and_b64 s[8:9], exec, s[0:1]
	s_or_b64 s[6:7], s[8:9], s[6:7]
	s_andn2_b64 exec, exec, s[6:7]
	s_cbranch_execnz .LBB2078_241
.LBB2078_246:
	s_or_b64 exec, exec, s[6:7]
	v_add_u32_e32 v0, v6, v44
	v_or_b32_e32 v0, 0x80000000, v0
	global_store_dword v[2:3], v0, off sc1
	global_load_dword v0, v37, s[56:57]
	v_sub_u32_e32 v1, v6, v42
	s_waitcnt vmcnt(0)
	v_add_u32_e32 v0, v1, v0
	ds_write_b32 v37, v0
.LBB2078_247:
	s_or_b64 exec, exec, s[4:5]
	s_waitcnt lgkmcnt(0)
	s_barrier
	ds_read_u8 v8, v16 offset:1024
	ds_read_u8 v9, v16 offset:2048
	;; [unrolled: 1-line block ×8, first 2 shown]
	s_waitcnt lgkmcnt(7)
	v_and_b32_e32 v0, 1, v8
	s_waitcnt lgkmcnt(6)
	v_and_b32_e32 v1, 1, v9
	;; [unrolled: 2-line block ×8, first 2 shown]
	v_lshrrev_b32_e32 v0, s60, v0
	v_lshrrev_b32_e32 v1, s60, v1
	;; [unrolled: 1-line block ×8, first 2 shown]
	v_and_b32_e32 v0, s14, v0
	v_and_b32_e32 v1, s14, v1
	;; [unrolled: 1-line block ×8, first 2 shown]
	v_lshlrev_b32_e32 v21, 2, v0
	v_lshlrev_b32_e32 v84, 2, v1
	v_lshlrev_b32_e32 v85, 2, v2
	v_lshlrev_b32_e32 v86, 2, v3
	v_lshlrev_b32_e32 v87, 2, v4
	v_lshlrev_b32_e32 v88, 2, v5
	v_lshlrev_b32_e32 v89, 2, v6
	v_lshlrev_b32_e32 v90, 2, v7
	ds_read_b32 v21, v21
	ds_read_b32 v84, v84
	;; [unrolled: 1-line block ×8, first 2 shown]
	s_waitcnt lgkmcnt(7)
	v_add_u32_e32 v21, v21, v16
	s_movk_i32 s6, 0x400
	global_store_byte v21, v8, s[50:51]
	s_waitcnt lgkmcnt(6)
	v_add3_u32 v8, v84, v16, s6
	s_movk_i32 s7, 0x800
	global_store_byte v8, v9, s[50:51]
	s_waitcnt lgkmcnt(5)
	v_add3_u32 v8, v85, v16, s7
	;; [unrolled: 4-line block ×7, first 2 shown]
	global_store_byte v8, v15, s[50:51]
	ds_read_u8 v21, v16 offset:9216
	ds_read_u8 v84, v16 offset:10240
	;; [unrolled: 1-line block ×8, first 2 shown]
	s_waitcnt lgkmcnt(7)
	v_and_b32_e32 v8, 1, v21
	s_waitcnt lgkmcnt(6)
	v_and_b32_e32 v9, 1, v84
	;; [unrolled: 2-line block ×8, first 2 shown]
	v_lshrrev_b32_e32 v8, s60, v8
	v_lshrrev_b32_e32 v9, s60, v9
	v_lshrrev_b32_e32 v10, s60, v10
	v_lshrrev_b32_e32 v11, s60, v11
	v_lshrrev_b32_e32 v12, s60, v12
	v_lshrrev_b32_e32 v13, s60, v13
	v_lshrrev_b32_e32 v14, s60, v14
	v_lshrrev_b32_e32 v15, s60, v15
	v_and_b32_e32 v8, s14, v8
	v_and_b32_e32 v9, s14, v9
	;; [unrolled: 1-line block ×8, first 2 shown]
	v_lshlrev_b32_e32 v91, 2, v8
	v_lshlrev_b32_e32 v92, 2, v9
	;; [unrolled: 1-line block ×8, first 2 shown]
	s_movk_i32 s0, 0x2000
	ds_read_b32 v91, v91
	ds_read_b32 v92, v92
	;; [unrolled: 1-line block ×8, first 2 shown]
	s_waitcnt lgkmcnt(7)
	v_add3_u32 v91, v91, v16, s0
	s_movk_i32 s0, 0x2400
	global_store_byte v91, v21, s[50:51]
	s_waitcnt lgkmcnt(6)
	v_add3_u32 v21, v92, v16, s0
	s_movk_i32 s0, 0x2800
	global_store_byte v21, v84, s[50:51]
	;; [unrolled: 4-line block ×7, first 2 shown]
	s_waitcnt lgkmcnt(0)
	v_add3_u32 v21, v98, v16, s0
	s_lshl_b64 s[0:1], s[10:11], 2
	s_add_u32 s0, s52, s0
	global_store_byte v21, v90, s[50:51]
	s_addc_u32 s1, s53, s1
	v_lshlrev_b32_e32 v20, 2, v20
	v_mov_b32_e32 v21, 0
	v_lshl_add_u64 v[84:85], s[0:1], 0, v[20:21]
	v_lshlrev_b32_e32 v20, 2, v18
	v_lshl_add_u64 v[98:99], v[84:85], 0, v[20:21]
	global_load_dword v18, v[98:99], off
	global_load_dword v84, v[98:99], off offset:256
	global_load_dword v85, v[98:99], off offset:512
	;; [unrolled: 1-line block ×14, first 2 shown]
	s_nop 0
	global_load_dword v98, v[98:99], off offset:3840
	v_mul_u32_u24_e32 v20, 3, v16
	v_mov_b32_e32 v99, 0x400
	scratch_store_dwordx4 off, v[0:3], off
	scratch_store_dwordx4 off, v[4:7], off offset:16
	scratch_store_dwordx4 off, v[8:11], off offset:32
	;; [unrolled: 1-line block ×3, first 2 shown]
	v_lshl_add_u32 v0, v83, 2, v99
	v_add3_u32 v1, v53, v77, v52
	v_lshl_add_u32 v2, v82, 2, v99
	v_add3_u32 v3, v51, v74, v50
	;; [unrolled: 2-line block ×15, first 2 shown]
	v_lshl_add_u32 v19, v46, 2, v99
	s_mov_b32 s10, 0
	s_mov_b32 s11, 0
	v_add_u32_e32 v35, v16, v20
	s_mov_b32 s12, 0
	s_barrier
	s_branch .LBB2078_249
.LBB2078_248:                           ;   in Loop: Header=BB2078_249 Depth=1
	s_or_b64 exec, exec, s[4:5]
	s_waitcnt lgkmcnt(0)
	s_barrier
	scratch_load_dwordx4 v[38:41], off, s10
	ds_read2st64_b32 v[48:49], v35 offset0:4 offset1:20
	ds_read2st64_b32 v[50:51], v35 offset0:36 offset1:52
	s_addk_i32 s12, 0xc000
	s_addk_i32 s11, 0xf000
	s_add_i32 s10, s10, 16
	s_cmp_eq_u32 s12, 0xffff0000
	s_waitcnt vmcnt(0)
	v_lshlrev_b32_e32 v20, 2, v38
	ds_read_b32 v20, v20
	v_lshlrev_b32_e32 v36, 2, v39
	v_lshlrev_b32_e32 v38, 2, v40
	;; [unrolled: 1-line block ×3, first 2 shown]
	ds_read_b32 v36, v36
	ds_read_b32 v40, v38
	;; [unrolled: 1-line block ×3, first 2 shown]
	s_waitcnt lgkmcnt(3)
	v_add_u32_e32 v20, v16, v20
	v_lshl_add_u64 v[38:39], v[20:21], 2, s[54:55]
	s_waitcnt lgkmcnt(2)
	v_add3_u32 v20, v16, v36, s6
	global_store_dword v[38:39], v48, off
	v_lshl_add_u64 v[38:39], v[20:21], 2, s[54:55]
	s_waitcnt lgkmcnt(1)
	v_add3_u32 v20, v16, v40, s7
	global_store_dword v[38:39], v49, off
	;; [unrolled: 4-line block ×3, first 2 shown]
	v_lshl_add_u64 v[38:39], v[20:21], 2, s[54:55]
	v_add_u32_e32 v16, 0x1000, v16
	global_store_dword v[38:39], v51, off
	s_barrier
	s_cbranch_scc1 .LBB2078_281
.LBB2078_249:                           ; =>This Inner Loop Header: Depth=1
	v_add_u32_e32 v20, s11, v46
	v_cmp_gt_u32_e64 s[0:1], s9, v20
	s_and_saveexec_b64 s[4:5], s[0:1]
	s_cbranch_execz .LBB2078_251
; %bb.250:                              ;   in Loop: Header=BB2078_249 Depth=1
	v_add_u32_e32 v20, s12, v19
	s_waitcnt vmcnt(19)
	ds_write_b32 v20, v18
.LBB2078_251:                           ;   in Loop: Header=BB2078_249 Depth=1
	s_or_b64 exec, exec, s[4:5]
	v_add_u32_e32 v20, s11, v17
	v_cmp_gt_u32_e64 s[0:1], s9, v20
	s_and_saveexec_b64 s[4:5], s[0:1]
	s_cbranch_execz .LBB2078_253
; %bb.252:                              ;   in Loop: Header=BB2078_249 Depth=1
	v_add_u32_e32 v20, s12, v23
	s_waitcnt vmcnt(18)
	ds_write_b32 v20, v84
.LBB2078_253:                           ;   in Loop: Header=BB2078_249 Depth=1
	s_or_b64 exec, exec, s[4:5]
	;; [unrolled: 10-line block ×15, first 2 shown]
	v_add_u32_e32 v20, s11, v1
	v_cmp_gt_u32_e64 s[0:1], s9, v20
	s_and_saveexec_b64 s[4:5], s[0:1]
	s_cbranch_execz .LBB2078_248
; %bb.280:                              ;   in Loop: Header=BB2078_249 Depth=1
	v_add_u32_e32 v20, s12, v0
	s_waitcnt vmcnt(4)
	ds_write_b32 v20, v98
	s_branch .LBB2078_248
.LBB2078_281:
	s_add_i32 s3, s3, -1
	s_cmp_eq_u32 s2, s3
	s_cselect_b64 s[0:1], -1, 0
	s_xor_b64 s[2:3], vcc, -1
	s_and_b64 s[0:1], s[2:3], s[0:1]
	s_and_saveexec_b64 s[2:3], s[0:1]
	s_cbranch_execz .LBB2078_283
; %bb.282:
	ds_read_b32 v0, v37
	s_waitcnt lgkmcnt(0)
	v_add3_u32 v0, v42, v44, v0
	global_store_dword v37, v0, s[58:59]
.LBB2078_283:
	s_endpgm
	.section	.rodata,"a",@progbits
	.p2align	6, 0x0
	.amdhsa_kernel _ZN7rocprim17ROCPRIM_400000_NS6detail17trampoline_kernelINS0_14default_configENS1_35radix_sort_onesweep_config_selectorIbiEEZZNS1_29radix_sort_onesweep_iterationIS3_Lb0EN6thrust23THRUST_200600_302600_NS6detail15normal_iteratorINS8_10device_ptrIbEEEESD_NSA_INSB_IiEEEESF_jNS0_19identity_decomposerENS1_16block_id_wrapperIjLb0EEEEE10hipError_tT1_PNSt15iterator_traitsISK_E10value_typeET2_T3_PNSL_ISQ_E10value_typeET4_T5_PSV_SW_PNS1_23onesweep_lookback_stateEbbT6_jjT7_P12ihipStream_tbENKUlT_T0_SK_SP_E_clISD_PbSF_PiEEDaS13_S14_SK_SP_EUlS13_E_NS1_11comp_targetILNS1_3genE6ELNS1_11target_archE950ELNS1_3gpuE13ELNS1_3repE0EEENS1_47radix_sort_onesweep_sort_config_static_selectorELNS0_4arch9wavefront6targetE1EEEvSK_
		.amdhsa_group_segment_fixed_size 20552
		.amdhsa_private_segment_fixed_size 80
		.amdhsa_kernarg_size 344
		.amdhsa_user_sgpr_count 2
		.amdhsa_user_sgpr_dispatch_ptr 0
		.amdhsa_user_sgpr_queue_ptr 0
		.amdhsa_user_sgpr_kernarg_segment_ptr 1
		.amdhsa_user_sgpr_dispatch_id 0
		.amdhsa_user_sgpr_kernarg_preload_length 0
		.amdhsa_user_sgpr_kernarg_preload_offset 0
		.amdhsa_user_sgpr_private_segment_size 0
		.amdhsa_uses_dynamic_stack 0
		.amdhsa_enable_private_segment 1
		.amdhsa_system_sgpr_workgroup_id_x 1
		.amdhsa_system_sgpr_workgroup_id_y 0
		.amdhsa_system_sgpr_workgroup_id_z 0
		.amdhsa_system_sgpr_workgroup_info 0
		.amdhsa_system_vgpr_workitem_id 2
		.amdhsa_next_free_vgpr 100
		.amdhsa_next_free_sgpr 69
		.amdhsa_accum_offset 100
		.amdhsa_reserve_vcc 1
		.amdhsa_float_round_mode_32 0
		.amdhsa_float_round_mode_16_64 0
		.amdhsa_float_denorm_mode_32 3
		.amdhsa_float_denorm_mode_16_64 3
		.amdhsa_dx10_clamp 1
		.amdhsa_ieee_mode 1
		.amdhsa_fp16_overflow 0
		.amdhsa_tg_split 0
		.amdhsa_exception_fp_ieee_invalid_op 0
		.amdhsa_exception_fp_denorm_src 0
		.amdhsa_exception_fp_ieee_div_zero 0
		.amdhsa_exception_fp_ieee_overflow 0
		.amdhsa_exception_fp_ieee_underflow 0
		.amdhsa_exception_fp_ieee_inexact 0
		.amdhsa_exception_int_div_zero 0
	.end_amdhsa_kernel
	.section	.text._ZN7rocprim17ROCPRIM_400000_NS6detail17trampoline_kernelINS0_14default_configENS1_35radix_sort_onesweep_config_selectorIbiEEZZNS1_29radix_sort_onesweep_iterationIS3_Lb0EN6thrust23THRUST_200600_302600_NS6detail15normal_iteratorINS8_10device_ptrIbEEEESD_NSA_INSB_IiEEEESF_jNS0_19identity_decomposerENS1_16block_id_wrapperIjLb0EEEEE10hipError_tT1_PNSt15iterator_traitsISK_E10value_typeET2_T3_PNSL_ISQ_E10value_typeET4_T5_PSV_SW_PNS1_23onesweep_lookback_stateEbbT6_jjT7_P12ihipStream_tbENKUlT_T0_SK_SP_E_clISD_PbSF_PiEEDaS13_S14_SK_SP_EUlS13_E_NS1_11comp_targetILNS1_3genE6ELNS1_11target_archE950ELNS1_3gpuE13ELNS1_3repE0EEENS1_47radix_sort_onesweep_sort_config_static_selectorELNS0_4arch9wavefront6targetE1EEEvSK_,"axG",@progbits,_ZN7rocprim17ROCPRIM_400000_NS6detail17trampoline_kernelINS0_14default_configENS1_35radix_sort_onesweep_config_selectorIbiEEZZNS1_29radix_sort_onesweep_iterationIS3_Lb0EN6thrust23THRUST_200600_302600_NS6detail15normal_iteratorINS8_10device_ptrIbEEEESD_NSA_INSB_IiEEEESF_jNS0_19identity_decomposerENS1_16block_id_wrapperIjLb0EEEEE10hipError_tT1_PNSt15iterator_traitsISK_E10value_typeET2_T3_PNSL_ISQ_E10value_typeET4_T5_PSV_SW_PNS1_23onesweep_lookback_stateEbbT6_jjT7_P12ihipStream_tbENKUlT_T0_SK_SP_E_clISD_PbSF_PiEEDaS13_S14_SK_SP_EUlS13_E_NS1_11comp_targetILNS1_3genE6ELNS1_11target_archE950ELNS1_3gpuE13ELNS1_3repE0EEENS1_47radix_sort_onesweep_sort_config_static_selectorELNS0_4arch9wavefront6targetE1EEEvSK_,comdat
.Lfunc_end2078:
	.size	_ZN7rocprim17ROCPRIM_400000_NS6detail17trampoline_kernelINS0_14default_configENS1_35radix_sort_onesweep_config_selectorIbiEEZZNS1_29radix_sort_onesweep_iterationIS3_Lb0EN6thrust23THRUST_200600_302600_NS6detail15normal_iteratorINS8_10device_ptrIbEEEESD_NSA_INSB_IiEEEESF_jNS0_19identity_decomposerENS1_16block_id_wrapperIjLb0EEEEE10hipError_tT1_PNSt15iterator_traitsISK_E10value_typeET2_T3_PNSL_ISQ_E10value_typeET4_T5_PSV_SW_PNS1_23onesweep_lookback_stateEbbT6_jjT7_P12ihipStream_tbENKUlT_T0_SK_SP_E_clISD_PbSF_PiEEDaS13_S14_SK_SP_EUlS13_E_NS1_11comp_targetILNS1_3genE6ELNS1_11target_archE950ELNS1_3gpuE13ELNS1_3repE0EEENS1_47radix_sort_onesweep_sort_config_static_selectorELNS0_4arch9wavefront6targetE1EEEvSK_, .Lfunc_end2078-_ZN7rocprim17ROCPRIM_400000_NS6detail17trampoline_kernelINS0_14default_configENS1_35radix_sort_onesweep_config_selectorIbiEEZZNS1_29radix_sort_onesweep_iterationIS3_Lb0EN6thrust23THRUST_200600_302600_NS6detail15normal_iteratorINS8_10device_ptrIbEEEESD_NSA_INSB_IiEEEESF_jNS0_19identity_decomposerENS1_16block_id_wrapperIjLb0EEEEE10hipError_tT1_PNSt15iterator_traitsISK_E10value_typeET2_T3_PNSL_ISQ_E10value_typeET4_T5_PSV_SW_PNS1_23onesweep_lookback_stateEbbT6_jjT7_P12ihipStream_tbENKUlT_T0_SK_SP_E_clISD_PbSF_PiEEDaS13_S14_SK_SP_EUlS13_E_NS1_11comp_targetILNS1_3genE6ELNS1_11target_archE950ELNS1_3gpuE13ELNS1_3repE0EEENS1_47radix_sort_onesweep_sort_config_static_selectorELNS0_4arch9wavefront6targetE1EEEvSK_
                                        ; -- End function
	.set _ZN7rocprim17ROCPRIM_400000_NS6detail17trampoline_kernelINS0_14default_configENS1_35radix_sort_onesweep_config_selectorIbiEEZZNS1_29radix_sort_onesweep_iterationIS3_Lb0EN6thrust23THRUST_200600_302600_NS6detail15normal_iteratorINS8_10device_ptrIbEEEESD_NSA_INSB_IiEEEESF_jNS0_19identity_decomposerENS1_16block_id_wrapperIjLb0EEEEE10hipError_tT1_PNSt15iterator_traitsISK_E10value_typeET2_T3_PNSL_ISQ_E10value_typeET4_T5_PSV_SW_PNS1_23onesweep_lookback_stateEbbT6_jjT7_P12ihipStream_tbENKUlT_T0_SK_SP_E_clISD_PbSF_PiEEDaS13_S14_SK_SP_EUlS13_E_NS1_11comp_targetILNS1_3genE6ELNS1_11target_archE950ELNS1_3gpuE13ELNS1_3repE0EEENS1_47radix_sort_onesweep_sort_config_static_selectorELNS0_4arch9wavefront6targetE1EEEvSK_.num_vgpr, 100
	.set _ZN7rocprim17ROCPRIM_400000_NS6detail17trampoline_kernelINS0_14default_configENS1_35radix_sort_onesweep_config_selectorIbiEEZZNS1_29radix_sort_onesweep_iterationIS3_Lb0EN6thrust23THRUST_200600_302600_NS6detail15normal_iteratorINS8_10device_ptrIbEEEESD_NSA_INSB_IiEEEESF_jNS0_19identity_decomposerENS1_16block_id_wrapperIjLb0EEEEE10hipError_tT1_PNSt15iterator_traitsISK_E10value_typeET2_T3_PNSL_ISQ_E10value_typeET4_T5_PSV_SW_PNS1_23onesweep_lookback_stateEbbT6_jjT7_P12ihipStream_tbENKUlT_T0_SK_SP_E_clISD_PbSF_PiEEDaS13_S14_SK_SP_EUlS13_E_NS1_11comp_targetILNS1_3genE6ELNS1_11target_archE950ELNS1_3gpuE13ELNS1_3repE0EEENS1_47radix_sort_onesweep_sort_config_static_selectorELNS0_4arch9wavefront6targetE1EEEvSK_.num_agpr, 0
	.set _ZN7rocprim17ROCPRIM_400000_NS6detail17trampoline_kernelINS0_14default_configENS1_35radix_sort_onesweep_config_selectorIbiEEZZNS1_29radix_sort_onesweep_iterationIS3_Lb0EN6thrust23THRUST_200600_302600_NS6detail15normal_iteratorINS8_10device_ptrIbEEEESD_NSA_INSB_IiEEEESF_jNS0_19identity_decomposerENS1_16block_id_wrapperIjLb0EEEEE10hipError_tT1_PNSt15iterator_traitsISK_E10value_typeET2_T3_PNSL_ISQ_E10value_typeET4_T5_PSV_SW_PNS1_23onesweep_lookback_stateEbbT6_jjT7_P12ihipStream_tbENKUlT_T0_SK_SP_E_clISD_PbSF_PiEEDaS13_S14_SK_SP_EUlS13_E_NS1_11comp_targetILNS1_3genE6ELNS1_11target_archE950ELNS1_3gpuE13ELNS1_3repE0EEENS1_47radix_sort_onesweep_sort_config_static_selectorELNS0_4arch9wavefront6targetE1EEEvSK_.numbered_sgpr, 69
	.set _ZN7rocprim17ROCPRIM_400000_NS6detail17trampoline_kernelINS0_14default_configENS1_35radix_sort_onesweep_config_selectorIbiEEZZNS1_29radix_sort_onesweep_iterationIS3_Lb0EN6thrust23THRUST_200600_302600_NS6detail15normal_iteratorINS8_10device_ptrIbEEEESD_NSA_INSB_IiEEEESF_jNS0_19identity_decomposerENS1_16block_id_wrapperIjLb0EEEEE10hipError_tT1_PNSt15iterator_traitsISK_E10value_typeET2_T3_PNSL_ISQ_E10value_typeET4_T5_PSV_SW_PNS1_23onesweep_lookback_stateEbbT6_jjT7_P12ihipStream_tbENKUlT_T0_SK_SP_E_clISD_PbSF_PiEEDaS13_S14_SK_SP_EUlS13_E_NS1_11comp_targetILNS1_3genE6ELNS1_11target_archE950ELNS1_3gpuE13ELNS1_3repE0EEENS1_47radix_sort_onesweep_sort_config_static_selectorELNS0_4arch9wavefront6targetE1EEEvSK_.num_named_barrier, 0
	.set _ZN7rocprim17ROCPRIM_400000_NS6detail17trampoline_kernelINS0_14default_configENS1_35radix_sort_onesweep_config_selectorIbiEEZZNS1_29radix_sort_onesweep_iterationIS3_Lb0EN6thrust23THRUST_200600_302600_NS6detail15normal_iteratorINS8_10device_ptrIbEEEESD_NSA_INSB_IiEEEESF_jNS0_19identity_decomposerENS1_16block_id_wrapperIjLb0EEEEE10hipError_tT1_PNSt15iterator_traitsISK_E10value_typeET2_T3_PNSL_ISQ_E10value_typeET4_T5_PSV_SW_PNS1_23onesweep_lookback_stateEbbT6_jjT7_P12ihipStream_tbENKUlT_T0_SK_SP_E_clISD_PbSF_PiEEDaS13_S14_SK_SP_EUlS13_E_NS1_11comp_targetILNS1_3genE6ELNS1_11target_archE950ELNS1_3gpuE13ELNS1_3repE0EEENS1_47radix_sort_onesweep_sort_config_static_selectorELNS0_4arch9wavefront6targetE1EEEvSK_.private_seg_size, 80
	.set _ZN7rocprim17ROCPRIM_400000_NS6detail17trampoline_kernelINS0_14default_configENS1_35radix_sort_onesweep_config_selectorIbiEEZZNS1_29radix_sort_onesweep_iterationIS3_Lb0EN6thrust23THRUST_200600_302600_NS6detail15normal_iteratorINS8_10device_ptrIbEEEESD_NSA_INSB_IiEEEESF_jNS0_19identity_decomposerENS1_16block_id_wrapperIjLb0EEEEE10hipError_tT1_PNSt15iterator_traitsISK_E10value_typeET2_T3_PNSL_ISQ_E10value_typeET4_T5_PSV_SW_PNS1_23onesweep_lookback_stateEbbT6_jjT7_P12ihipStream_tbENKUlT_T0_SK_SP_E_clISD_PbSF_PiEEDaS13_S14_SK_SP_EUlS13_E_NS1_11comp_targetILNS1_3genE6ELNS1_11target_archE950ELNS1_3gpuE13ELNS1_3repE0EEENS1_47radix_sort_onesweep_sort_config_static_selectorELNS0_4arch9wavefront6targetE1EEEvSK_.uses_vcc, 1
	.set _ZN7rocprim17ROCPRIM_400000_NS6detail17trampoline_kernelINS0_14default_configENS1_35radix_sort_onesweep_config_selectorIbiEEZZNS1_29radix_sort_onesweep_iterationIS3_Lb0EN6thrust23THRUST_200600_302600_NS6detail15normal_iteratorINS8_10device_ptrIbEEEESD_NSA_INSB_IiEEEESF_jNS0_19identity_decomposerENS1_16block_id_wrapperIjLb0EEEEE10hipError_tT1_PNSt15iterator_traitsISK_E10value_typeET2_T3_PNSL_ISQ_E10value_typeET4_T5_PSV_SW_PNS1_23onesweep_lookback_stateEbbT6_jjT7_P12ihipStream_tbENKUlT_T0_SK_SP_E_clISD_PbSF_PiEEDaS13_S14_SK_SP_EUlS13_E_NS1_11comp_targetILNS1_3genE6ELNS1_11target_archE950ELNS1_3gpuE13ELNS1_3repE0EEENS1_47radix_sort_onesweep_sort_config_static_selectorELNS0_4arch9wavefront6targetE1EEEvSK_.uses_flat_scratch, 0
	.set _ZN7rocprim17ROCPRIM_400000_NS6detail17trampoline_kernelINS0_14default_configENS1_35radix_sort_onesweep_config_selectorIbiEEZZNS1_29radix_sort_onesweep_iterationIS3_Lb0EN6thrust23THRUST_200600_302600_NS6detail15normal_iteratorINS8_10device_ptrIbEEEESD_NSA_INSB_IiEEEESF_jNS0_19identity_decomposerENS1_16block_id_wrapperIjLb0EEEEE10hipError_tT1_PNSt15iterator_traitsISK_E10value_typeET2_T3_PNSL_ISQ_E10value_typeET4_T5_PSV_SW_PNS1_23onesweep_lookback_stateEbbT6_jjT7_P12ihipStream_tbENKUlT_T0_SK_SP_E_clISD_PbSF_PiEEDaS13_S14_SK_SP_EUlS13_E_NS1_11comp_targetILNS1_3genE6ELNS1_11target_archE950ELNS1_3gpuE13ELNS1_3repE0EEENS1_47radix_sort_onesweep_sort_config_static_selectorELNS0_4arch9wavefront6targetE1EEEvSK_.has_dyn_sized_stack, 0
	.set _ZN7rocprim17ROCPRIM_400000_NS6detail17trampoline_kernelINS0_14default_configENS1_35radix_sort_onesweep_config_selectorIbiEEZZNS1_29radix_sort_onesweep_iterationIS3_Lb0EN6thrust23THRUST_200600_302600_NS6detail15normal_iteratorINS8_10device_ptrIbEEEESD_NSA_INSB_IiEEEESF_jNS0_19identity_decomposerENS1_16block_id_wrapperIjLb0EEEEE10hipError_tT1_PNSt15iterator_traitsISK_E10value_typeET2_T3_PNSL_ISQ_E10value_typeET4_T5_PSV_SW_PNS1_23onesweep_lookback_stateEbbT6_jjT7_P12ihipStream_tbENKUlT_T0_SK_SP_E_clISD_PbSF_PiEEDaS13_S14_SK_SP_EUlS13_E_NS1_11comp_targetILNS1_3genE6ELNS1_11target_archE950ELNS1_3gpuE13ELNS1_3repE0EEENS1_47radix_sort_onesweep_sort_config_static_selectorELNS0_4arch9wavefront6targetE1EEEvSK_.has_recursion, 0
	.set _ZN7rocprim17ROCPRIM_400000_NS6detail17trampoline_kernelINS0_14default_configENS1_35radix_sort_onesweep_config_selectorIbiEEZZNS1_29radix_sort_onesweep_iterationIS3_Lb0EN6thrust23THRUST_200600_302600_NS6detail15normal_iteratorINS8_10device_ptrIbEEEESD_NSA_INSB_IiEEEESF_jNS0_19identity_decomposerENS1_16block_id_wrapperIjLb0EEEEE10hipError_tT1_PNSt15iterator_traitsISK_E10value_typeET2_T3_PNSL_ISQ_E10value_typeET4_T5_PSV_SW_PNS1_23onesweep_lookback_stateEbbT6_jjT7_P12ihipStream_tbENKUlT_T0_SK_SP_E_clISD_PbSF_PiEEDaS13_S14_SK_SP_EUlS13_E_NS1_11comp_targetILNS1_3genE6ELNS1_11target_archE950ELNS1_3gpuE13ELNS1_3repE0EEENS1_47radix_sort_onesweep_sort_config_static_selectorELNS0_4arch9wavefront6targetE1EEEvSK_.has_indirect_call, 0
	.section	.AMDGPU.csdata,"",@progbits
; Kernel info:
; codeLenInByte = 14788
; TotalNumSgprs: 75
; NumVgprs: 100
; NumAgprs: 0
; TotalNumVgprs: 100
; ScratchSize: 80
; MemoryBound: 0
; FloatMode: 240
; IeeeMode: 1
; LDSByteSize: 20552 bytes/workgroup (compile time only)
; SGPRBlocks: 9
; VGPRBlocks: 12
; NumSGPRsForWavesPerEU: 75
; NumVGPRsForWavesPerEU: 100
; AccumOffset: 100
; Occupancy: 4
; WaveLimiterHint : 1
; COMPUTE_PGM_RSRC2:SCRATCH_EN: 1
; COMPUTE_PGM_RSRC2:USER_SGPR: 2
; COMPUTE_PGM_RSRC2:TRAP_HANDLER: 0
; COMPUTE_PGM_RSRC2:TGID_X_EN: 1
; COMPUTE_PGM_RSRC2:TGID_Y_EN: 0
; COMPUTE_PGM_RSRC2:TGID_Z_EN: 0
; COMPUTE_PGM_RSRC2:TIDIG_COMP_CNT: 2
; COMPUTE_PGM_RSRC3_GFX90A:ACCUM_OFFSET: 24
; COMPUTE_PGM_RSRC3_GFX90A:TG_SPLIT: 0
	.section	.text._ZN7rocprim17ROCPRIM_400000_NS6detail17trampoline_kernelINS0_14default_configENS1_35radix_sort_onesweep_config_selectorIbiEEZZNS1_29radix_sort_onesweep_iterationIS3_Lb0EN6thrust23THRUST_200600_302600_NS6detail15normal_iteratorINS8_10device_ptrIbEEEESD_NSA_INSB_IiEEEESF_jNS0_19identity_decomposerENS1_16block_id_wrapperIjLb0EEEEE10hipError_tT1_PNSt15iterator_traitsISK_E10value_typeET2_T3_PNSL_ISQ_E10value_typeET4_T5_PSV_SW_PNS1_23onesweep_lookback_stateEbbT6_jjT7_P12ihipStream_tbENKUlT_T0_SK_SP_E_clISD_PbSF_PiEEDaS13_S14_SK_SP_EUlS13_E_NS1_11comp_targetILNS1_3genE5ELNS1_11target_archE942ELNS1_3gpuE9ELNS1_3repE0EEENS1_47radix_sort_onesweep_sort_config_static_selectorELNS0_4arch9wavefront6targetE1EEEvSK_,"axG",@progbits,_ZN7rocprim17ROCPRIM_400000_NS6detail17trampoline_kernelINS0_14default_configENS1_35radix_sort_onesweep_config_selectorIbiEEZZNS1_29radix_sort_onesweep_iterationIS3_Lb0EN6thrust23THRUST_200600_302600_NS6detail15normal_iteratorINS8_10device_ptrIbEEEESD_NSA_INSB_IiEEEESF_jNS0_19identity_decomposerENS1_16block_id_wrapperIjLb0EEEEE10hipError_tT1_PNSt15iterator_traitsISK_E10value_typeET2_T3_PNSL_ISQ_E10value_typeET4_T5_PSV_SW_PNS1_23onesweep_lookback_stateEbbT6_jjT7_P12ihipStream_tbENKUlT_T0_SK_SP_E_clISD_PbSF_PiEEDaS13_S14_SK_SP_EUlS13_E_NS1_11comp_targetILNS1_3genE5ELNS1_11target_archE942ELNS1_3gpuE9ELNS1_3repE0EEENS1_47radix_sort_onesweep_sort_config_static_selectorELNS0_4arch9wavefront6targetE1EEEvSK_,comdat
	.protected	_ZN7rocprim17ROCPRIM_400000_NS6detail17trampoline_kernelINS0_14default_configENS1_35radix_sort_onesweep_config_selectorIbiEEZZNS1_29radix_sort_onesweep_iterationIS3_Lb0EN6thrust23THRUST_200600_302600_NS6detail15normal_iteratorINS8_10device_ptrIbEEEESD_NSA_INSB_IiEEEESF_jNS0_19identity_decomposerENS1_16block_id_wrapperIjLb0EEEEE10hipError_tT1_PNSt15iterator_traitsISK_E10value_typeET2_T3_PNSL_ISQ_E10value_typeET4_T5_PSV_SW_PNS1_23onesweep_lookback_stateEbbT6_jjT7_P12ihipStream_tbENKUlT_T0_SK_SP_E_clISD_PbSF_PiEEDaS13_S14_SK_SP_EUlS13_E_NS1_11comp_targetILNS1_3genE5ELNS1_11target_archE942ELNS1_3gpuE9ELNS1_3repE0EEENS1_47radix_sort_onesweep_sort_config_static_selectorELNS0_4arch9wavefront6targetE1EEEvSK_ ; -- Begin function _ZN7rocprim17ROCPRIM_400000_NS6detail17trampoline_kernelINS0_14default_configENS1_35radix_sort_onesweep_config_selectorIbiEEZZNS1_29radix_sort_onesweep_iterationIS3_Lb0EN6thrust23THRUST_200600_302600_NS6detail15normal_iteratorINS8_10device_ptrIbEEEESD_NSA_INSB_IiEEEESF_jNS0_19identity_decomposerENS1_16block_id_wrapperIjLb0EEEEE10hipError_tT1_PNSt15iterator_traitsISK_E10value_typeET2_T3_PNSL_ISQ_E10value_typeET4_T5_PSV_SW_PNS1_23onesweep_lookback_stateEbbT6_jjT7_P12ihipStream_tbENKUlT_T0_SK_SP_E_clISD_PbSF_PiEEDaS13_S14_SK_SP_EUlS13_E_NS1_11comp_targetILNS1_3genE5ELNS1_11target_archE942ELNS1_3gpuE9ELNS1_3repE0EEENS1_47radix_sort_onesweep_sort_config_static_selectorELNS0_4arch9wavefront6targetE1EEEvSK_
	.globl	_ZN7rocprim17ROCPRIM_400000_NS6detail17trampoline_kernelINS0_14default_configENS1_35radix_sort_onesweep_config_selectorIbiEEZZNS1_29radix_sort_onesweep_iterationIS3_Lb0EN6thrust23THRUST_200600_302600_NS6detail15normal_iteratorINS8_10device_ptrIbEEEESD_NSA_INSB_IiEEEESF_jNS0_19identity_decomposerENS1_16block_id_wrapperIjLb0EEEEE10hipError_tT1_PNSt15iterator_traitsISK_E10value_typeET2_T3_PNSL_ISQ_E10value_typeET4_T5_PSV_SW_PNS1_23onesweep_lookback_stateEbbT6_jjT7_P12ihipStream_tbENKUlT_T0_SK_SP_E_clISD_PbSF_PiEEDaS13_S14_SK_SP_EUlS13_E_NS1_11comp_targetILNS1_3genE5ELNS1_11target_archE942ELNS1_3gpuE9ELNS1_3repE0EEENS1_47radix_sort_onesweep_sort_config_static_selectorELNS0_4arch9wavefront6targetE1EEEvSK_
	.p2align	8
	.type	_ZN7rocprim17ROCPRIM_400000_NS6detail17trampoline_kernelINS0_14default_configENS1_35radix_sort_onesweep_config_selectorIbiEEZZNS1_29radix_sort_onesweep_iterationIS3_Lb0EN6thrust23THRUST_200600_302600_NS6detail15normal_iteratorINS8_10device_ptrIbEEEESD_NSA_INSB_IiEEEESF_jNS0_19identity_decomposerENS1_16block_id_wrapperIjLb0EEEEE10hipError_tT1_PNSt15iterator_traitsISK_E10value_typeET2_T3_PNSL_ISQ_E10value_typeET4_T5_PSV_SW_PNS1_23onesweep_lookback_stateEbbT6_jjT7_P12ihipStream_tbENKUlT_T0_SK_SP_E_clISD_PbSF_PiEEDaS13_S14_SK_SP_EUlS13_E_NS1_11comp_targetILNS1_3genE5ELNS1_11target_archE942ELNS1_3gpuE9ELNS1_3repE0EEENS1_47radix_sort_onesweep_sort_config_static_selectorELNS0_4arch9wavefront6targetE1EEEvSK_,@function
_ZN7rocprim17ROCPRIM_400000_NS6detail17trampoline_kernelINS0_14default_configENS1_35radix_sort_onesweep_config_selectorIbiEEZZNS1_29radix_sort_onesweep_iterationIS3_Lb0EN6thrust23THRUST_200600_302600_NS6detail15normal_iteratorINS8_10device_ptrIbEEEESD_NSA_INSB_IiEEEESF_jNS0_19identity_decomposerENS1_16block_id_wrapperIjLb0EEEEE10hipError_tT1_PNSt15iterator_traitsISK_E10value_typeET2_T3_PNSL_ISQ_E10value_typeET4_T5_PSV_SW_PNS1_23onesweep_lookback_stateEbbT6_jjT7_P12ihipStream_tbENKUlT_T0_SK_SP_E_clISD_PbSF_PiEEDaS13_S14_SK_SP_EUlS13_E_NS1_11comp_targetILNS1_3genE5ELNS1_11target_archE942ELNS1_3gpuE9ELNS1_3repE0EEENS1_47radix_sort_onesweep_sort_config_static_selectorELNS0_4arch9wavefront6targetE1EEEvSK_: ; @_ZN7rocprim17ROCPRIM_400000_NS6detail17trampoline_kernelINS0_14default_configENS1_35radix_sort_onesweep_config_selectorIbiEEZZNS1_29radix_sort_onesweep_iterationIS3_Lb0EN6thrust23THRUST_200600_302600_NS6detail15normal_iteratorINS8_10device_ptrIbEEEESD_NSA_INSB_IiEEEESF_jNS0_19identity_decomposerENS1_16block_id_wrapperIjLb0EEEEE10hipError_tT1_PNSt15iterator_traitsISK_E10value_typeET2_T3_PNSL_ISQ_E10value_typeET4_T5_PSV_SW_PNS1_23onesweep_lookback_stateEbbT6_jjT7_P12ihipStream_tbENKUlT_T0_SK_SP_E_clISD_PbSF_PiEEDaS13_S14_SK_SP_EUlS13_E_NS1_11comp_targetILNS1_3genE5ELNS1_11target_archE942ELNS1_3gpuE9ELNS1_3repE0EEENS1_47radix_sort_onesweep_sort_config_static_selectorELNS0_4arch9wavefront6targetE1EEEvSK_
; %bb.0:
	.section	.rodata,"a",@progbits
	.p2align	6, 0x0
	.amdhsa_kernel _ZN7rocprim17ROCPRIM_400000_NS6detail17trampoline_kernelINS0_14default_configENS1_35radix_sort_onesweep_config_selectorIbiEEZZNS1_29radix_sort_onesweep_iterationIS3_Lb0EN6thrust23THRUST_200600_302600_NS6detail15normal_iteratorINS8_10device_ptrIbEEEESD_NSA_INSB_IiEEEESF_jNS0_19identity_decomposerENS1_16block_id_wrapperIjLb0EEEEE10hipError_tT1_PNSt15iterator_traitsISK_E10value_typeET2_T3_PNSL_ISQ_E10value_typeET4_T5_PSV_SW_PNS1_23onesweep_lookback_stateEbbT6_jjT7_P12ihipStream_tbENKUlT_T0_SK_SP_E_clISD_PbSF_PiEEDaS13_S14_SK_SP_EUlS13_E_NS1_11comp_targetILNS1_3genE5ELNS1_11target_archE942ELNS1_3gpuE9ELNS1_3repE0EEENS1_47radix_sort_onesweep_sort_config_static_selectorELNS0_4arch9wavefront6targetE1EEEvSK_
		.amdhsa_group_segment_fixed_size 0
		.amdhsa_private_segment_fixed_size 0
		.amdhsa_kernarg_size 88
		.amdhsa_user_sgpr_count 2
		.amdhsa_user_sgpr_dispatch_ptr 0
		.amdhsa_user_sgpr_queue_ptr 0
		.amdhsa_user_sgpr_kernarg_segment_ptr 1
		.amdhsa_user_sgpr_dispatch_id 0
		.amdhsa_user_sgpr_kernarg_preload_length 0
		.amdhsa_user_sgpr_kernarg_preload_offset 0
		.amdhsa_user_sgpr_private_segment_size 0
		.amdhsa_uses_dynamic_stack 0
		.amdhsa_enable_private_segment 0
		.amdhsa_system_sgpr_workgroup_id_x 1
		.amdhsa_system_sgpr_workgroup_id_y 0
		.amdhsa_system_sgpr_workgroup_id_z 0
		.amdhsa_system_sgpr_workgroup_info 0
		.amdhsa_system_vgpr_workitem_id 0
		.amdhsa_next_free_vgpr 1
		.amdhsa_next_free_sgpr 0
		.amdhsa_accum_offset 4
		.amdhsa_reserve_vcc 0
		.amdhsa_float_round_mode_32 0
		.amdhsa_float_round_mode_16_64 0
		.amdhsa_float_denorm_mode_32 3
		.amdhsa_float_denorm_mode_16_64 3
		.amdhsa_dx10_clamp 1
		.amdhsa_ieee_mode 1
		.amdhsa_fp16_overflow 0
		.amdhsa_tg_split 0
		.amdhsa_exception_fp_ieee_invalid_op 0
		.amdhsa_exception_fp_denorm_src 0
		.amdhsa_exception_fp_ieee_div_zero 0
		.amdhsa_exception_fp_ieee_overflow 0
		.amdhsa_exception_fp_ieee_underflow 0
		.amdhsa_exception_fp_ieee_inexact 0
		.amdhsa_exception_int_div_zero 0
	.end_amdhsa_kernel
	.section	.text._ZN7rocprim17ROCPRIM_400000_NS6detail17trampoline_kernelINS0_14default_configENS1_35radix_sort_onesweep_config_selectorIbiEEZZNS1_29radix_sort_onesweep_iterationIS3_Lb0EN6thrust23THRUST_200600_302600_NS6detail15normal_iteratorINS8_10device_ptrIbEEEESD_NSA_INSB_IiEEEESF_jNS0_19identity_decomposerENS1_16block_id_wrapperIjLb0EEEEE10hipError_tT1_PNSt15iterator_traitsISK_E10value_typeET2_T3_PNSL_ISQ_E10value_typeET4_T5_PSV_SW_PNS1_23onesweep_lookback_stateEbbT6_jjT7_P12ihipStream_tbENKUlT_T0_SK_SP_E_clISD_PbSF_PiEEDaS13_S14_SK_SP_EUlS13_E_NS1_11comp_targetILNS1_3genE5ELNS1_11target_archE942ELNS1_3gpuE9ELNS1_3repE0EEENS1_47radix_sort_onesweep_sort_config_static_selectorELNS0_4arch9wavefront6targetE1EEEvSK_,"axG",@progbits,_ZN7rocprim17ROCPRIM_400000_NS6detail17trampoline_kernelINS0_14default_configENS1_35radix_sort_onesweep_config_selectorIbiEEZZNS1_29radix_sort_onesweep_iterationIS3_Lb0EN6thrust23THRUST_200600_302600_NS6detail15normal_iteratorINS8_10device_ptrIbEEEESD_NSA_INSB_IiEEEESF_jNS0_19identity_decomposerENS1_16block_id_wrapperIjLb0EEEEE10hipError_tT1_PNSt15iterator_traitsISK_E10value_typeET2_T3_PNSL_ISQ_E10value_typeET4_T5_PSV_SW_PNS1_23onesweep_lookback_stateEbbT6_jjT7_P12ihipStream_tbENKUlT_T0_SK_SP_E_clISD_PbSF_PiEEDaS13_S14_SK_SP_EUlS13_E_NS1_11comp_targetILNS1_3genE5ELNS1_11target_archE942ELNS1_3gpuE9ELNS1_3repE0EEENS1_47radix_sort_onesweep_sort_config_static_selectorELNS0_4arch9wavefront6targetE1EEEvSK_,comdat
.Lfunc_end2079:
	.size	_ZN7rocprim17ROCPRIM_400000_NS6detail17trampoline_kernelINS0_14default_configENS1_35radix_sort_onesweep_config_selectorIbiEEZZNS1_29radix_sort_onesweep_iterationIS3_Lb0EN6thrust23THRUST_200600_302600_NS6detail15normal_iteratorINS8_10device_ptrIbEEEESD_NSA_INSB_IiEEEESF_jNS0_19identity_decomposerENS1_16block_id_wrapperIjLb0EEEEE10hipError_tT1_PNSt15iterator_traitsISK_E10value_typeET2_T3_PNSL_ISQ_E10value_typeET4_T5_PSV_SW_PNS1_23onesweep_lookback_stateEbbT6_jjT7_P12ihipStream_tbENKUlT_T0_SK_SP_E_clISD_PbSF_PiEEDaS13_S14_SK_SP_EUlS13_E_NS1_11comp_targetILNS1_3genE5ELNS1_11target_archE942ELNS1_3gpuE9ELNS1_3repE0EEENS1_47radix_sort_onesweep_sort_config_static_selectorELNS0_4arch9wavefront6targetE1EEEvSK_, .Lfunc_end2079-_ZN7rocprim17ROCPRIM_400000_NS6detail17trampoline_kernelINS0_14default_configENS1_35radix_sort_onesweep_config_selectorIbiEEZZNS1_29radix_sort_onesweep_iterationIS3_Lb0EN6thrust23THRUST_200600_302600_NS6detail15normal_iteratorINS8_10device_ptrIbEEEESD_NSA_INSB_IiEEEESF_jNS0_19identity_decomposerENS1_16block_id_wrapperIjLb0EEEEE10hipError_tT1_PNSt15iterator_traitsISK_E10value_typeET2_T3_PNSL_ISQ_E10value_typeET4_T5_PSV_SW_PNS1_23onesweep_lookback_stateEbbT6_jjT7_P12ihipStream_tbENKUlT_T0_SK_SP_E_clISD_PbSF_PiEEDaS13_S14_SK_SP_EUlS13_E_NS1_11comp_targetILNS1_3genE5ELNS1_11target_archE942ELNS1_3gpuE9ELNS1_3repE0EEENS1_47radix_sort_onesweep_sort_config_static_selectorELNS0_4arch9wavefront6targetE1EEEvSK_
                                        ; -- End function
	.set _ZN7rocprim17ROCPRIM_400000_NS6detail17trampoline_kernelINS0_14default_configENS1_35radix_sort_onesweep_config_selectorIbiEEZZNS1_29radix_sort_onesweep_iterationIS3_Lb0EN6thrust23THRUST_200600_302600_NS6detail15normal_iteratorINS8_10device_ptrIbEEEESD_NSA_INSB_IiEEEESF_jNS0_19identity_decomposerENS1_16block_id_wrapperIjLb0EEEEE10hipError_tT1_PNSt15iterator_traitsISK_E10value_typeET2_T3_PNSL_ISQ_E10value_typeET4_T5_PSV_SW_PNS1_23onesweep_lookback_stateEbbT6_jjT7_P12ihipStream_tbENKUlT_T0_SK_SP_E_clISD_PbSF_PiEEDaS13_S14_SK_SP_EUlS13_E_NS1_11comp_targetILNS1_3genE5ELNS1_11target_archE942ELNS1_3gpuE9ELNS1_3repE0EEENS1_47radix_sort_onesweep_sort_config_static_selectorELNS0_4arch9wavefront6targetE1EEEvSK_.num_vgpr, 0
	.set _ZN7rocprim17ROCPRIM_400000_NS6detail17trampoline_kernelINS0_14default_configENS1_35radix_sort_onesweep_config_selectorIbiEEZZNS1_29radix_sort_onesweep_iterationIS3_Lb0EN6thrust23THRUST_200600_302600_NS6detail15normal_iteratorINS8_10device_ptrIbEEEESD_NSA_INSB_IiEEEESF_jNS0_19identity_decomposerENS1_16block_id_wrapperIjLb0EEEEE10hipError_tT1_PNSt15iterator_traitsISK_E10value_typeET2_T3_PNSL_ISQ_E10value_typeET4_T5_PSV_SW_PNS1_23onesweep_lookback_stateEbbT6_jjT7_P12ihipStream_tbENKUlT_T0_SK_SP_E_clISD_PbSF_PiEEDaS13_S14_SK_SP_EUlS13_E_NS1_11comp_targetILNS1_3genE5ELNS1_11target_archE942ELNS1_3gpuE9ELNS1_3repE0EEENS1_47radix_sort_onesweep_sort_config_static_selectorELNS0_4arch9wavefront6targetE1EEEvSK_.num_agpr, 0
	.set _ZN7rocprim17ROCPRIM_400000_NS6detail17trampoline_kernelINS0_14default_configENS1_35radix_sort_onesweep_config_selectorIbiEEZZNS1_29radix_sort_onesweep_iterationIS3_Lb0EN6thrust23THRUST_200600_302600_NS6detail15normal_iteratorINS8_10device_ptrIbEEEESD_NSA_INSB_IiEEEESF_jNS0_19identity_decomposerENS1_16block_id_wrapperIjLb0EEEEE10hipError_tT1_PNSt15iterator_traitsISK_E10value_typeET2_T3_PNSL_ISQ_E10value_typeET4_T5_PSV_SW_PNS1_23onesweep_lookback_stateEbbT6_jjT7_P12ihipStream_tbENKUlT_T0_SK_SP_E_clISD_PbSF_PiEEDaS13_S14_SK_SP_EUlS13_E_NS1_11comp_targetILNS1_3genE5ELNS1_11target_archE942ELNS1_3gpuE9ELNS1_3repE0EEENS1_47radix_sort_onesweep_sort_config_static_selectorELNS0_4arch9wavefront6targetE1EEEvSK_.numbered_sgpr, 0
	.set _ZN7rocprim17ROCPRIM_400000_NS6detail17trampoline_kernelINS0_14default_configENS1_35radix_sort_onesweep_config_selectorIbiEEZZNS1_29radix_sort_onesweep_iterationIS3_Lb0EN6thrust23THRUST_200600_302600_NS6detail15normal_iteratorINS8_10device_ptrIbEEEESD_NSA_INSB_IiEEEESF_jNS0_19identity_decomposerENS1_16block_id_wrapperIjLb0EEEEE10hipError_tT1_PNSt15iterator_traitsISK_E10value_typeET2_T3_PNSL_ISQ_E10value_typeET4_T5_PSV_SW_PNS1_23onesweep_lookback_stateEbbT6_jjT7_P12ihipStream_tbENKUlT_T0_SK_SP_E_clISD_PbSF_PiEEDaS13_S14_SK_SP_EUlS13_E_NS1_11comp_targetILNS1_3genE5ELNS1_11target_archE942ELNS1_3gpuE9ELNS1_3repE0EEENS1_47radix_sort_onesweep_sort_config_static_selectorELNS0_4arch9wavefront6targetE1EEEvSK_.num_named_barrier, 0
	.set _ZN7rocprim17ROCPRIM_400000_NS6detail17trampoline_kernelINS0_14default_configENS1_35radix_sort_onesweep_config_selectorIbiEEZZNS1_29radix_sort_onesweep_iterationIS3_Lb0EN6thrust23THRUST_200600_302600_NS6detail15normal_iteratorINS8_10device_ptrIbEEEESD_NSA_INSB_IiEEEESF_jNS0_19identity_decomposerENS1_16block_id_wrapperIjLb0EEEEE10hipError_tT1_PNSt15iterator_traitsISK_E10value_typeET2_T3_PNSL_ISQ_E10value_typeET4_T5_PSV_SW_PNS1_23onesweep_lookback_stateEbbT6_jjT7_P12ihipStream_tbENKUlT_T0_SK_SP_E_clISD_PbSF_PiEEDaS13_S14_SK_SP_EUlS13_E_NS1_11comp_targetILNS1_3genE5ELNS1_11target_archE942ELNS1_3gpuE9ELNS1_3repE0EEENS1_47radix_sort_onesweep_sort_config_static_selectorELNS0_4arch9wavefront6targetE1EEEvSK_.private_seg_size, 0
	.set _ZN7rocprim17ROCPRIM_400000_NS6detail17trampoline_kernelINS0_14default_configENS1_35radix_sort_onesweep_config_selectorIbiEEZZNS1_29radix_sort_onesweep_iterationIS3_Lb0EN6thrust23THRUST_200600_302600_NS6detail15normal_iteratorINS8_10device_ptrIbEEEESD_NSA_INSB_IiEEEESF_jNS0_19identity_decomposerENS1_16block_id_wrapperIjLb0EEEEE10hipError_tT1_PNSt15iterator_traitsISK_E10value_typeET2_T3_PNSL_ISQ_E10value_typeET4_T5_PSV_SW_PNS1_23onesweep_lookback_stateEbbT6_jjT7_P12ihipStream_tbENKUlT_T0_SK_SP_E_clISD_PbSF_PiEEDaS13_S14_SK_SP_EUlS13_E_NS1_11comp_targetILNS1_3genE5ELNS1_11target_archE942ELNS1_3gpuE9ELNS1_3repE0EEENS1_47radix_sort_onesweep_sort_config_static_selectorELNS0_4arch9wavefront6targetE1EEEvSK_.uses_vcc, 0
	.set _ZN7rocprim17ROCPRIM_400000_NS6detail17trampoline_kernelINS0_14default_configENS1_35radix_sort_onesweep_config_selectorIbiEEZZNS1_29radix_sort_onesweep_iterationIS3_Lb0EN6thrust23THRUST_200600_302600_NS6detail15normal_iteratorINS8_10device_ptrIbEEEESD_NSA_INSB_IiEEEESF_jNS0_19identity_decomposerENS1_16block_id_wrapperIjLb0EEEEE10hipError_tT1_PNSt15iterator_traitsISK_E10value_typeET2_T3_PNSL_ISQ_E10value_typeET4_T5_PSV_SW_PNS1_23onesweep_lookback_stateEbbT6_jjT7_P12ihipStream_tbENKUlT_T0_SK_SP_E_clISD_PbSF_PiEEDaS13_S14_SK_SP_EUlS13_E_NS1_11comp_targetILNS1_3genE5ELNS1_11target_archE942ELNS1_3gpuE9ELNS1_3repE0EEENS1_47radix_sort_onesweep_sort_config_static_selectorELNS0_4arch9wavefront6targetE1EEEvSK_.uses_flat_scratch, 0
	.set _ZN7rocprim17ROCPRIM_400000_NS6detail17trampoline_kernelINS0_14default_configENS1_35radix_sort_onesweep_config_selectorIbiEEZZNS1_29radix_sort_onesweep_iterationIS3_Lb0EN6thrust23THRUST_200600_302600_NS6detail15normal_iteratorINS8_10device_ptrIbEEEESD_NSA_INSB_IiEEEESF_jNS0_19identity_decomposerENS1_16block_id_wrapperIjLb0EEEEE10hipError_tT1_PNSt15iterator_traitsISK_E10value_typeET2_T3_PNSL_ISQ_E10value_typeET4_T5_PSV_SW_PNS1_23onesweep_lookback_stateEbbT6_jjT7_P12ihipStream_tbENKUlT_T0_SK_SP_E_clISD_PbSF_PiEEDaS13_S14_SK_SP_EUlS13_E_NS1_11comp_targetILNS1_3genE5ELNS1_11target_archE942ELNS1_3gpuE9ELNS1_3repE0EEENS1_47radix_sort_onesweep_sort_config_static_selectorELNS0_4arch9wavefront6targetE1EEEvSK_.has_dyn_sized_stack, 0
	.set _ZN7rocprim17ROCPRIM_400000_NS6detail17trampoline_kernelINS0_14default_configENS1_35radix_sort_onesweep_config_selectorIbiEEZZNS1_29radix_sort_onesweep_iterationIS3_Lb0EN6thrust23THRUST_200600_302600_NS6detail15normal_iteratorINS8_10device_ptrIbEEEESD_NSA_INSB_IiEEEESF_jNS0_19identity_decomposerENS1_16block_id_wrapperIjLb0EEEEE10hipError_tT1_PNSt15iterator_traitsISK_E10value_typeET2_T3_PNSL_ISQ_E10value_typeET4_T5_PSV_SW_PNS1_23onesweep_lookback_stateEbbT6_jjT7_P12ihipStream_tbENKUlT_T0_SK_SP_E_clISD_PbSF_PiEEDaS13_S14_SK_SP_EUlS13_E_NS1_11comp_targetILNS1_3genE5ELNS1_11target_archE942ELNS1_3gpuE9ELNS1_3repE0EEENS1_47radix_sort_onesweep_sort_config_static_selectorELNS0_4arch9wavefront6targetE1EEEvSK_.has_recursion, 0
	.set _ZN7rocprim17ROCPRIM_400000_NS6detail17trampoline_kernelINS0_14default_configENS1_35radix_sort_onesweep_config_selectorIbiEEZZNS1_29radix_sort_onesweep_iterationIS3_Lb0EN6thrust23THRUST_200600_302600_NS6detail15normal_iteratorINS8_10device_ptrIbEEEESD_NSA_INSB_IiEEEESF_jNS0_19identity_decomposerENS1_16block_id_wrapperIjLb0EEEEE10hipError_tT1_PNSt15iterator_traitsISK_E10value_typeET2_T3_PNSL_ISQ_E10value_typeET4_T5_PSV_SW_PNS1_23onesweep_lookback_stateEbbT6_jjT7_P12ihipStream_tbENKUlT_T0_SK_SP_E_clISD_PbSF_PiEEDaS13_S14_SK_SP_EUlS13_E_NS1_11comp_targetILNS1_3genE5ELNS1_11target_archE942ELNS1_3gpuE9ELNS1_3repE0EEENS1_47radix_sort_onesweep_sort_config_static_selectorELNS0_4arch9wavefront6targetE1EEEvSK_.has_indirect_call, 0
	.section	.AMDGPU.csdata,"",@progbits
; Kernel info:
; codeLenInByte = 0
; TotalNumSgprs: 6
; NumVgprs: 0
; NumAgprs: 0
; TotalNumVgprs: 0
; ScratchSize: 0
; MemoryBound: 0
; FloatMode: 240
; IeeeMode: 1
; LDSByteSize: 0 bytes/workgroup (compile time only)
; SGPRBlocks: 0
; VGPRBlocks: 0
; NumSGPRsForWavesPerEU: 6
; NumVGPRsForWavesPerEU: 1
; AccumOffset: 4
; Occupancy: 8
; WaveLimiterHint : 0
; COMPUTE_PGM_RSRC2:SCRATCH_EN: 0
; COMPUTE_PGM_RSRC2:USER_SGPR: 2
; COMPUTE_PGM_RSRC2:TRAP_HANDLER: 0
; COMPUTE_PGM_RSRC2:TGID_X_EN: 1
; COMPUTE_PGM_RSRC2:TGID_Y_EN: 0
; COMPUTE_PGM_RSRC2:TGID_Z_EN: 0
; COMPUTE_PGM_RSRC2:TIDIG_COMP_CNT: 0
; COMPUTE_PGM_RSRC3_GFX90A:ACCUM_OFFSET: 0
; COMPUTE_PGM_RSRC3_GFX90A:TG_SPLIT: 0
	.section	.text._ZN7rocprim17ROCPRIM_400000_NS6detail17trampoline_kernelINS0_14default_configENS1_35radix_sort_onesweep_config_selectorIbiEEZZNS1_29radix_sort_onesweep_iterationIS3_Lb0EN6thrust23THRUST_200600_302600_NS6detail15normal_iteratorINS8_10device_ptrIbEEEESD_NSA_INSB_IiEEEESF_jNS0_19identity_decomposerENS1_16block_id_wrapperIjLb0EEEEE10hipError_tT1_PNSt15iterator_traitsISK_E10value_typeET2_T3_PNSL_ISQ_E10value_typeET4_T5_PSV_SW_PNS1_23onesweep_lookback_stateEbbT6_jjT7_P12ihipStream_tbENKUlT_T0_SK_SP_E_clISD_PbSF_PiEEDaS13_S14_SK_SP_EUlS13_E_NS1_11comp_targetILNS1_3genE2ELNS1_11target_archE906ELNS1_3gpuE6ELNS1_3repE0EEENS1_47radix_sort_onesweep_sort_config_static_selectorELNS0_4arch9wavefront6targetE1EEEvSK_,"axG",@progbits,_ZN7rocprim17ROCPRIM_400000_NS6detail17trampoline_kernelINS0_14default_configENS1_35radix_sort_onesweep_config_selectorIbiEEZZNS1_29radix_sort_onesweep_iterationIS3_Lb0EN6thrust23THRUST_200600_302600_NS6detail15normal_iteratorINS8_10device_ptrIbEEEESD_NSA_INSB_IiEEEESF_jNS0_19identity_decomposerENS1_16block_id_wrapperIjLb0EEEEE10hipError_tT1_PNSt15iterator_traitsISK_E10value_typeET2_T3_PNSL_ISQ_E10value_typeET4_T5_PSV_SW_PNS1_23onesweep_lookback_stateEbbT6_jjT7_P12ihipStream_tbENKUlT_T0_SK_SP_E_clISD_PbSF_PiEEDaS13_S14_SK_SP_EUlS13_E_NS1_11comp_targetILNS1_3genE2ELNS1_11target_archE906ELNS1_3gpuE6ELNS1_3repE0EEENS1_47radix_sort_onesweep_sort_config_static_selectorELNS0_4arch9wavefront6targetE1EEEvSK_,comdat
	.protected	_ZN7rocprim17ROCPRIM_400000_NS6detail17trampoline_kernelINS0_14default_configENS1_35radix_sort_onesweep_config_selectorIbiEEZZNS1_29radix_sort_onesweep_iterationIS3_Lb0EN6thrust23THRUST_200600_302600_NS6detail15normal_iteratorINS8_10device_ptrIbEEEESD_NSA_INSB_IiEEEESF_jNS0_19identity_decomposerENS1_16block_id_wrapperIjLb0EEEEE10hipError_tT1_PNSt15iterator_traitsISK_E10value_typeET2_T3_PNSL_ISQ_E10value_typeET4_T5_PSV_SW_PNS1_23onesweep_lookback_stateEbbT6_jjT7_P12ihipStream_tbENKUlT_T0_SK_SP_E_clISD_PbSF_PiEEDaS13_S14_SK_SP_EUlS13_E_NS1_11comp_targetILNS1_3genE2ELNS1_11target_archE906ELNS1_3gpuE6ELNS1_3repE0EEENS1_47radix_sort_onesweep_sort_config_static_selectorELNS0_4arch9wavefront6targetE1EEEvSK_ ; -- Begin function _ZN7rocprim17ROCPRIM_400000_NS6detail17trampoline_kernelINS0_14default_configENS1_35radix_sort_onesweep_config_selectorIbiEEZZNS1_29radix_sort_onesweep_iterationIS3_Lb0EN6thrust23THRUST_200600_302600_NS6detail15normal_iteratorINS8_10device_ptrIbEEEESD_NSA_INSB_IiEEEESF_jNS0_19identity_decomposerENS1_16block_id_wrapperIjLb0EEEEE10hipError_tT1_PNSt15iterator_traitsISK_E10value_typeET2_T3_PNSL_ISQ_E10value_typeET4_T5_PSV_SW_PNS1_23onesweep_lookback_stateEbbT6_jjT7_P12ihipStream_tbENKUlT_T0_SK_SP_E_clISD_PbSF_PiEEDaS13_S14_SK_SP_EUlS13_E_NS1_11comp_targetILNS1_3genE2ELNS1_11target_archE906ELNS1_3gpuE6ELNS1_3repE0EEENS1_47radix_sort_onesweep_sort_config_static_selectorELNS0_4arch9wavefront6targetE1EEEvSK_
	.globl	_ZN7rocprim17ROCPRIM_400000_NS6detail17trampoline_kernelINS0_14default_configENS1_35radix_sort_onesweep_config_selectorIbiEEZZNS1_29radix_sort_onesweep_iterationIS3_Lb0EN6thrust23THRUST_200600_302600_NS6detail15normal_iteratorINS8_10device_ptrIbEEEESD_NSA_INSB_IiEEEESF_jNS0_19identity_decomposerENS1_16block_id_wrapperIjLb0EEEEE10hipError_tT1_PNSt15iterator_traitsISK_E10value_typeET2_T3_PNSL_ISQ_E10value_typeET4_T5_PSV_SW_PNS1_23onesweep_lookback_stateEbbT6_jjT7_P12ihipStream_tbENKUlT_T0_SK_SP_E_clISD_PbSF_PiEEDaS13_S14_SK_SP_EUlS13_E_NS1_11comp_targetILNS1_3genE2ELNS1_11target_archE906ELNS1_3gpuE6ELNS1_3repE0EEENS1_47radix_sort_onesweep_sort_config_static_selectorELNS0_4arch9wavefront6targetE1EEEvSK_
	.p2align	8
	.type	_ZN7rocprim17ROCPRIM_400000_NS6detail17trampoline_kernelINS0_14default_configENS1_35radix_sort_onesweep_config_selectorIbiEEZZNS1_29radix_sort_onesweep_iterationIS3_Lb0EN6thrust23THRUST_200600_302600_NS6detail15normal_iteratorINS8_10device_ptrIbEEEESD_NSA_INSB_IiEEEESF_jNS0_19identity_decomposerENS1_16block_id_wrapperIjLb0EEEEE10hipError_tT1_PNSt15iterator_traitsISK_E10value_typeET2_T3_PNSL_ISQ_E10value_typeET4_T5_PSV_SW_PNS1_23onesweep_lookback_stateEbbT6_jjT7_P12ihipStream_tbENKUlT_T0_SK_SP_E_clISD_PbSF_PiEEDaS13_S14_SK_SP_EUlS13_E_NS1_11comp_targetILNS1_3genE2ELNS1_11target_archE906ELNS1_3gpuE6ELNS1_3repE0EEENS1_47radix_sort_onesweep_sort_config_static_selectorELNS0_4arch9wavefront6targetE1EEEvSK_,@function
_ZN7rocprim17ROCPRIM_400000_NS6detail17trampoline_kernelINS0_14default_configENS1_35radix_sort_onesweep_config_selectorIbiEEZZNS1_29radix_sort_onesweep_iterationIS3_Lb0EN6thrust23THRUST_200600_302600_NS6detail15normal_iteratorINS8_10device_ptrIbEEEESD_NSA_INSB_IiEEEESF_jNS0_19identity_decomposerENS1_16block_id_wrapperIjLb0EEEEE10hipError_tT1_PNSt15iterator_traitsISK_E10value_typeET2_T3_PNSL_ISQ_E10value_typeET4_T5_PSV_SW_PNS1_23onesweep_lookback_stateEbbT6_jjT7_P12ihipStream_tbENKUlT_T0_SK_SP_E_clISD_PbSF_PiEEDaS13_S14_SK_SP_EUlS13_E_NS1_11comp_targetILNS1_3genE2ELNS1_11target_archE906ELNS1_3gpuE6ELNS1_3repE0EEENS1_47radix_sort_onesweep_sort_config_static_selectorELNS0_4arch9wavefront6targetE1EEEvSK_: ; @_ZN7rocprim17ROCPRIM_400000_NS6detail17trampoline_kernelINS0_14default_configENS1_35radix_sort_onesweep_config_selectorIbiEEZZNS1_29radix_sort_onesweep_iterationIS3_Lb0EN6thrust23THRUST_200600_302600_NS6detail15normal_iteratorINS8_10device_ptrIbEEEESD_NSA_INSB_IiEEEESF_jNS0_19identity_decomposerENS1_16block_id_wrapperIjLb0EEEEE10hipError_tT1_PNSt15iterator_traitsISK_E10value_typeET2_T3_PNSL_ISQ_E10value_typeET4_T5_PSV_SW_PNS1_23onesweep_lookback_stateEbbT6_jjT7_P12ihipStream_tbENKUlT_T0_SK_SP_E_clISD_PbSF_PiEEDaS13_S14_SK_SP_EUlS13_E_NS1_11comp_targetILNS1_3genE2ELNS1_11target_archE906ELNS1_3gpuE6ELNS1_3repE0EEENS1_47radix_sort_onesweep_sort_config_static_selectorELNS0_4arch9wavefront6targetE1EEEvSK_
; %bb.0:
	.section	.rodata,"a",@progbits
	.p2align	6, 0x0
	.amdhsa_kernel _ZN7rocprim17ROCPRIM_400000_NS6detail17trampoline_kernelINS0_14default_configENS1_35radix_sort_onesweep_config_selectorIbiEEZZNS1_29radix_sort_onesweep_iterationIS3_Lb0EN6thrust23THRUST_200600_302600_NS6detail15normal_iteratorINS8_10device_ptrIbEEEESD_NSA_INSB_IiEEEESF_jNS0_19identity_decomposerENS1_16block_id_wrapperIjLb0EEEEE10hipError_tT1_PNSt15iterator_traitsISK_E10value_typeET2_T3_PNSL_ISQ_E10value_typeET4_T5_PSV_SW_PNS1_23onesweep_lookback_stateEbbT6_jjT7_P12ihipStream_tbENKUlT_T0_SK_SP_E_clISD_PbSF_PiEEDaS13_S14_SK_SP_EUlS13_E_NS1_11comp_targetILNS1_3genE2ELNS1_11target_archE906ELNS1_3gpuE6ELNS1_3repE0EEENS1_47radix_sort_onesweep_sort_config_static_selectorELNS0_4arch9wavefront6targetE1EEEvSK_
		.amdhsa_group_segment_fixed_size 0
		.amdhsa_private_segment_fixed_size 0
		.amdhsa_kernarg_size 88
		.amdhsa_user_sgpr_count 2
		.amdhsa_user_sgpr_dispatch_ptr 0
		.amdhsa_user_sgpr_queue_ptr 0
		.amdhsa_user_sgpr_kernarg_segment_ptr 1
		.amdhsa_user_sgpr_dispatch_id 0
		.amdhsa_user_sgpr_kernarg_preload_length 0
		.amdhsa_user_sgpr_kernarg_preload_offset 0
		.amdhsa_user_sgpr_private_segment_size 0
		.amdhsa_uses_dynamic_stack 0
		.amdhsa_enable_private_segment 0
		.amdhsa_system_sgpr_workgroup_id_x 1
		.amdhsa_system_sgpr_workgroup_id_y 0
		.amdhsa_system_sgpr_workgroup_id_z 0
		.amdhsa_system_sgpr_workgroup_info 0
		.amdhsa_system_vgpr_workitem_id 0
		.amdhsa_next_free_vgpr 1
		.amdhsa_next_free_sgpr 0
		.amdhsa_accum_offset 4
		.amdhsa_reserve_vcc 0
		.amdhsa_float_round_mode_32 0
		.amdhsa_float_round_mode_16_64 0
		.amdhsa_float_denorm_mode_32 3
		.amdhsa_float_denorm_mode_16_64 3
		.amdhsa_dx10_clamp 1
		.amdhsa_ieee_mode 1
		.amdhsa_fp16_overflow 0
		.amdhsa_tg_split 0
		.amdhsa_exception_fp_ieee_invalid_op 0
		.amdhsa_exception_fp_denorm_src 0
		.amdhsa_exception_fp_ieee_div_zero 0
		.amdhsa_exception_fp_ieee_overflow 0
		.amdhsa_exception_fp_ieee_underflow 0
		.amdhsa_exception_fp_ieee_inexact 0
		.amdhsa_exception_int_div_zero 0
	.end_amdhsa_kernel
	.section	.text._ZN7rocprim17ROCPRIM_400000_NS6detail17trampoline_kernelINS0_14default_configENS1_35radix_sort_onesweep_config_selectorIbiEEZZNS1_29radix_sort_onesweep_iterationIS3_Lb0EN6thrust23THRUST_200600_302600_NS6detail15normal_iteratorINS8_10device_ptrIbEEEESD_NSA_INSB_IiEEEESF_jNS0_19identity_decomposerENS1_16block_id_wrapperIjLb0EEEEE10hipError_tT1_PNSt15iterator_traitsISK_E10value_typeET2_T3_PNSL_ISQ_E10value_typeET4_T5_PSV_SW_PNS1_23onesweep_lookback_stateEbbT6_jjT7_P12ihipStream_tbENKUlT_T0_SK_SP_E_clISD_PbSF_PiEEDaS13_S14_SK_SP_EUlS13_E_NS1_11comp_targetILNS1_3genE2ELNS1_11target_archE906ELNS1_3gpuE6ELNS1_3repE0EEENS1_47radix_sort_onesweep_sort_config_static_selectorELNS0_4arch9wavefront6targetE1EEEvSK_,"axG",@progbits,_ZN7rocprim17ROCPRIM_400000_NS6detail17trampoline_kernelINS0_14default_configENS1_35radix_sort_onesweep_config_selectorIbiEEZZNS1_29radix_sort_onesweep_iterationIS3_Lb0EN6thrust23THRUST_200600_302600_NS6detail15normal_iteratorINS8_10device_ptrIbEEEESD_NSA_INSB_IiEEEESF_jNS0_19identity_decomposerENS1_16block_id_wrapperIjLb0EEEEE10hipError_tT1_PNSt15iterator_traitsISK_E10value_typeET2_T3_PNSL_ISQ_E10value_typeET4_T5_PSV_SW_PNS1_23onesweep_lookback_stateEbbT6_jjT7_P12ihipStream_tbENKUlT_T0_SK_SP_E_clISD_PbSF_PiEEDaS13_S14_SK_SP_EUlS13_E_NS1_11comp_targetILNS1_3genE2ELNS1_11target_archE906ELNS1_3gpuE6ELNS1_3repE0EEENS1_47radix_sort_onesweep_sort_config_static_selectorELNS0_4arch9wavefront6targetE1EEEvSK_,comdat
.Lfunc_end2080:
	.size	_ZN7rocprim17ROCPRIM_400000_NS6detail17trampoline_kernelINS0_14default_configENS1_35radix_sort_onesweep_config_selectorIbiEEZZNS1_29radix_sort_onesweep_iterationIS3_Lb0EN6thrust23THRUST_200600_302600_NS6detail15normal_iteratorINS8_10device_ptrIbEEEESD_NSA_INSB_IiEEEESF_jNS0_19identity_decomposerENS1_16block_id_wrapperIjLb0EEEEE10hipError_tT1_PNSt15iterator_traitsISK_E10value_typeET2_T3_PNSL_ISQ_E10value_typeET4_T5_PSV_SW_PNS1_23onesweep_lookback_stateEbbT6_jjT7_P12ihipStream_tbENKUlT_T0_SK_SP_E_clISD_PbSF_PiEEDaS13_S14_SK_SP_EUlS13_E_NS1_11comp_targetILNS1_3genE2ELNS1_11target_archE906ELNS1_3gpuE6ELNS1_3repE0EEENS1_47radix_sort_onesweep_sort_config_static_selectorELNS0_4arch9wavefront6targetE1EEEvSK_, .Lfunc_end2080-_ZN7rocprim17ROCPRIM_400000_NS6detail17trampoline_kernelINS0_14default_configENS1_35radix_sort_onesweep_config_selectorIbiEEZZNS1_29radix_sort_onesweep_iterationIS3_Lb0EN6thrust23THRUST_200600_302600_NS6detail15normal_iteratorINS8_10device_ptrIbEEEESD_NSA_INSB_IiEEEESF_jNS0_19identity_decomposerENS1_16block_id_wrapperIjLb0EEEEE10hipError_tT1_PNSt15iterator_traitsISK_E10value_typeET2_T3_PNSL_ISQ_E10value_typeET4_T5_PSV_SW_PNS1_23onesweep_lookback_stateEbbT6_jjT7_P12ihipStream_tbENKUlT_T0_SK_SP_E_clISD_PbSF_PiEEDaS13_S14_SK_SP_EUlS13_E_NS1_11comp_targetILNS1_3genE2ELNS1_11target_archE906ELNS1_3gpuE6ELNS1_3repE0EEENS1_47radix_sort_onesweep_sort_config_static_selectorELNS0_4arch9wavefront6targetE1EEEvSK_
                                        ; -- End function
	.set _ZN7rocprim17ROCPRIM_400000_NS6detail17trampoline_kernelINS0_14default_configENS1_35radix_sort_onesweep_config_selectorIbiEEZZNS1_29radix_sort_onesweep_iterationIS3_Lb0EN6thrust23THRUST_200600_302600_NS6detail15normal_iteratorINS8_10device_ptrIbEEEESD_NSA_INSB_IiEEEESF_jNS0_19identity_decomposerENS1_16block_id_wrapperIjLb0EEEEE10hipError_tT1_PNSt15iterator_traitsISK_E10value_typeET2_T3_PNSL_ISQ_E10value_typeET4_T5_PSV_SW_PNS1_23onesweep_lookback_stateEbbT6_jjT7_P12ihipStream_tbENKUlT_T0_SK_SP_E_clISD_PbSF_PiEEDaS13_S14_SK_SP_EUlS13_E_NS1_11comp_targetILNS1_3genE2ELNS1_11target_archE906ELNS1_3gpuE6ELNS1_3repE0EEENS1_47radix_sort_onesweep_sort_config_static_selectorELNS0_4arch9wavefront6targetE1EEEvSK_.num_vgpr, 0
	.set _ZN7rocprim17ROCPRIM_400000_NS6detail17trampoline_kernelINS0_14default_configENS1_35radix_sort_onesweep_config_selectorIbiEEZZNS1_29radix_sort_onesweep_iterationIS3_Lb0EN6thrust23THRUST_200600_302600_NS6detail15normal_iteratorINS8_10device_ptrIbEEEESD_NSA_INSB_IiEEEESF_jNS0_19identity_decomposerENS1_16block_id_wrapperIjLb0EEEEE10hipError_tT1_PNSt15iterator_traitsISK_E10value_typeET2_T3_PNSL_ISQ_E10value_typeET4_T5_PSV_SW_PNS1_23onesweep_lookback_stateEbbT6_jjT7_P12ihipStream_tbENKUlT_T0_SK_SP_E_clISD_PbSF_PiEEDaS13_S14_SK_SP_EUlS13_E_NS1_11comp_targetILNS1_3genE2ELNS1_11target_archE906ELNS1_3gpuE6ELNS1_3repE0EEENS1_47radix_sort_onesweep_sort_config_static_selectorELNS0_4arch9wavefront6targetE1EEEvSK_.num_agpr, 0
	.set _ZN7rocprim17ROCPRIM_400000_NS6detail17trampoline_kernelINS0_14default_configENS1_35radix_sort_onesweep_config_selectorIbiEEZZNS1_29radix_sort_onesweep_iterationIS3_Lb0EN6thrust23THRUST_200600_302600_NS6detail15normal_iteratorINS8_10device_ptrIbEEEESD_NSA_INSB_IiEEEESF_jNS0_19identity_decomposerENS1_16block_id_wrapperIjLb0EEEEE10hipError_tT1_PNSt15iterator_traitsISK_E10value_typeET2_T3_PNSL_ISQ_E10value_typeET4_T5_PSV_SW_PNS1_23onesweep_lookback_stateEbbT6_jjT7_P12ihipStream_tbENKUlT_T0_SK_SP_E_clISD_PbSF_PiEEDaS13_S14_SK_SP_EUlS13_E_NS1_11comp_targetILNS1_3genE2ELNS1_11target_archE906ELNS1_3gpuE6ELNS1_3repE0EEENS1_47radix_sort_onesweep_sort_config_static_selectorELNS0_4arch9wavefront6targetE1EEEvSK_.numbered_sgpr, 0
	.set _ZN7rocprim17ROCPRIM_400000_NS6detail17trampoline_kernelINS0_14default_configENS1_35radix_sort_onesweep_config_selectorIbiEEZZNS1_29radix_sort_onesweep_iterationIS3_Lb0EN6thrust23THRUST_200600_302600_NS6detail15normal_iteratorINS8_10device_ptrIbEEEESD_NSA_INSB_IiEEEESF_jNS0_19identity_decomposerENS1_16block_id_wrapperIjLb0EEEEE10hipError_tT1_PNSt15iterator_traitsISK_E10value_typeET2_T3_PNSL_ISQ_E10value_typeET4_T5_PSV_SW_PNS1_23onesweep_lookback_stateEbbT6_jjT7_P12ihipStream_tbENKUlT_T0_SK_SP_E_clISD_PbSF_PiEEDaS13_S14_SK_SP_EUlS13_E_NS1_11comp_targetILNS1_3genE2ELNS1_11target_archE906ELNS1_3gpuE6ELNS1_3repE0EEENS1_47radix_sort_onesweep_sort_config_static_selectorELNS0_4arch9wavefront6targetE1EEEvSK_.num_named_barrier, 0
	.set _ZN7rocprim17ROCPRIM_400000_NS6detail17trampoline_kernelINS0_14default_configENS1_35radix_sort_onesweep_config_selectorIbiEEZZNS1_29radix_sort_onesweep_iterationIS3_Lb0EN6thrust23THRUST_200600_302600_NS6detail15normal_iteratorINS8_10device_ptrIbEEEESD_NSA_INSB_IiEEEESF_jNS0_19identity_decomposerENS1_16block_id_wrapperIjLb0EEEEE10hipError_tT1_PNSt15iterator_traitsISK_E10value_typeET2_T3_PNSL_ISQ_E10value_typeET4_T5_PSV_SW_PNS1_23onesweep_lookback_stateEbbT6_jjT7_P12ihipStream_tbENKUlT_T0_SK_SP_E_clISD_PbSF_PiEEDaS13_S14_SK_SP_EUlS13_E_NS1_11comp_targetILNS1_3genE2ELNS1_11target_archE906ELNS1_3gpuE6ELNS1_3repE0EEENS1_47radix_sort_onesweep_sort_config_static_selectorELNS0_4arch9wavefront6targetE1EEEvSK_.private_seg_size, 0
	.set _ZN7rocprim17ROCPRIM_400000_NS6detail17trampoline_kernelINS0_14default_configENS1_35radix_sort_onesweep_config_selectorIbiEEZZNS1_29radix_sort_onesweep_iterationIS3_Lb0EN6thrust23THRUST_200600_302600_NS6detail15normal_iteratorINS8_10device_ptrIbEEEESD_NSA_INSB_IiEEEESF_jNS0_19identity_decomposerENS1_16block_id_wrapperIjLb0EEEEE10hipError_tT1_PNSt15iterator_traitsISK_E10value_typeET2_T3_PNSL_ISQ_E10value_typeET4_T5_PSV_SW_PNS1_23onesweep_lookback_stateEbbT6_jjT7_P12ihipStream_tbENKUlT_T0_SK_SP_E_clISD_PbSF_PiEEDaS13_S14_SK_SP_EUlS13_E_NS1_11comp_targetILNS1_3genE2ELNS1_11target_archE906ELNS1_3gpuE6ELNS1_3repE0EEENS1_47radix_sort_onesweep_sort_config_static_selectorELNS0_4arch9wavefront6targetE1EEEvSK_.uses_vcc, 0
	.set _ZN7rocprim17ROCPRIM_400000_NS6detail17trampoline_kernelINS0_14default_configENS1_35radix_sort_onesweep_config_selectorIbiEEZZNS1_29radix_sort_onesweep_iterationIS3_Lb0EN6thrust23THRUST_200600_302600_NS6detail15normal_iteratorINS8_10device_ptrIbEEEESD_NSA_INSB_IiEEEESF_jNS0_19identity_decomposerENS1_16block_id_wrapperIjLb0EEEEE10hipError_tT1_PNSt15iterator_traitsISK_E10value_typeET2_T3_PNSL_ISQ_E10value_typeET4_T5_PSV_SW_PNS1_23onesweep_lookback_stateEbbT6_jjT7_P12ihipStream_tbENKUlT_T0_SK_SP_E_clISD_PbSF_PiEEDaS13_S14_SK_SP_EUlS13_E_NS1_11comp_targetILNS1_3genE2ELNS1_11target_archE906ELNS1_3gpuE6ELNS1_3repE0EEENS1_47radix_sort_onesweep_sort_config_static_selectorELNS0_4arch9wavefront6targetE1EEEvSK_.uses_flat_scratch, 0
	.set _ZN7rocprim17ROCPRIM_400000_NS6detail17trampoline_kernelINS0_14default_configENS1_35radix_sort_onesweep_config_selectorIbiEEZZNS1_29radix_sort_onesweep_iterationIS3_Lb0EN6thrust23THRUST_200600_302600_NS6detail15normal_iteratorINS8_10device_ptrIbEEEESD_NSA_INSB_IiEEEESF_jNS0_19identity_decomposerENS1_16block_id_wrapperIjLb0EEEEE10hipError_tT1_PNSt15iterator_traitsISK_E10value_typeET2_T3_PNSL_ISQ_E10value_typeET4_T5_PSV_SW_PNS1_23onesweep_lookback_stateEbbT6_jjT7_P12ihipStream_tbENKUlT_T0_SK_SP_E_clISD_PbSF_PiEEDaS13_S14_SK_SP_EUlS13_E_NS1_11comp_targetILNS1_3genE2ELNS1_11target_archE906ELNS1_3gpuE6ELNS1_3repE0EEENS1_47radix_sort_onesweep_sort_config_static_selectorELNS0_4arch9wavefront6targetE1EEEvSK_.has_dyn_sized_stack, 0
	.set _ZN7rocprim17ROCPRIM_400000_NS6detail17trampoline_kernelINS0_14default_configENS1_35radix_sort_onesweep_config_selectorIbiEEZZNS1_29radix_sort_onesweep_iterationIS3_Lb0EN6thrust23THRUST_200600_302600_NS6detail15normal_iteratorINS8_10device_ptrIbEEEESD_NSA_INSB_IiEEEESF_jNS0_19identity_decomposerENS1_16block_id_wrapperIjLb0EEEEE10hipError_tT1_PNSt15iterator_traitsISK_E10value_typeET2_T3_PNSL_ISQ_E10value_typeET4_T5_PSV_SW_PNS1_23onesweep_lookback_stateEbbT6_jjT7_P12ihipStream_tbENKUlT_T0_SK_SP_E_clISD_PbSF_PiEEDaS13_S14_SK_SP_EUlS13_E_NS1_11comp_targetILNS1_3genE2ELNS1_11target_archE906ELNS1_3gpuE6ELNS1_3repE0EEENS1_47radix_sort_onesweep_sort_config_static_selectorELNS0_4arch9wavefront6targetE1EEEvSK_.has_recursion, 0
	.set _ZN7rocprim17ROCPRIM_400000_NS6detail17trampoline_kernelINS0_14default_configENS1_35radix_sort_onesweep_config_selectorIbiEEZZNS1_29radix_sort_onesweep_iterationIS3_Lb0EN6thrust23THRUST_200600_302600_NS6detail15normal_iteratorINS8_10device_ptrIbEEEESD_NSA_INSB_IiEEEESF_jNS0_19identity_decomposerENS1_16block_id_wrapperIjLb0EEEEE10hipError_tT1_PNSt15iterator_traitsISK_E10value_typeET2_T3_PNSL_ISQ_E10value_typeET4_T5_PSV_SW_PNS1_23onesweep_lookback_stateEbbT6_jjT7_P12ihipStream_tbENKUlT_T0_SK_SP_E_clISD_PbSF_PiEEDaS13_S14_SK_SP_EUlS13_E_NS1_11comp_targetILNS1_3genE2ELNS1_11target_archE906ELNS1_3gpuE6ELNS1_3repE0EEENS1_47radix_sort_onesweep_sort_config_static_selectorELNS0_4arch9wavefront6targetE1EEEvSK_.has_indirect_call, 0
	.section	.AMDGPU.csdata,"",@progbits
; Kernel info:
; codeLenInByte = 0
; TotalNumSgprs: 6
; NumVgprs: 0
; NumAgprs: 0
; TotalNumVgprs: 0
; ScratchSize: 0
; MemoryBound: 0
; FloatMode: 240
; IeeeMode: 1
; LDSByteSize: 0 bytes/workgroup (compile time only)
; SGPRBlocks: 0
; VGPRBlocks: 0
; NumSGPRsForWavesPerEU: 6
; NumVGPRsForWavesPerEU: 1
; AccumOffset: 4
; Occupancy: 8
; WaveLimiterHint : 0
; COMPUTE_PGM_RSRC2:SCRATCH_EN: 0
; COMPUTE_PGM_RSRC2:USER_SGPR: 2
; COMPUTE_PGM_RSRC2:TRAP_HANDLER: 0
; COMPUTE_PGM_RSRC2:TGID_X_EN: 1
; COMPUTE_PGM_RSRC2:TGID_Y_EN: 0
; COMPUTE_PGM_RSRC2:TGID_Z_EN: 0
; COMPUTE_PGM_RSRC2:TIDIG_COMP_CNT: 0
; COMPUTE_PGM_RSRC3_GFX90A:ACCUM_OFFSET: 0
; COMPUTE_PGM_RSRC3_GFX90A:TG_SPLIT: 0
	.section	.text._ZN7rocprim17ROCPRIM_400000_NS6detail17trampoline_kernelINS0_14default_configENS1_35radix_sort_onesweep_config_selectorIbiEEZZNS1_29radix_sort_onesweep_iterationIS3_Lb0EN6thrust23THRUST_200600_302600_NS6detail15normal_iteratorINS8_10device_ptrIbEEEESD_NSA_INSB_IiEEEESF_jNS0_19identity_decomposerENS1_16block_id_wrapperIjLb0EEEEE10hipError_tT1_PNSt15iterator_traitsISK_E10value_typeET2_T3_PNSL_ISQ_E10value_typeET4_T5_PSV_SW_PNS1_23onesweep_lookback_stateEbbT6_jjT7_P12ihipStream_tbENKUlT_T0_SK_SP_E_clISD_PbSF_PiEEDaS13_S14_SK_SP_EUlS13_E_NS1_11comp_targetILNS1_3genE4ELNS1_11target_archE910ELNS1_3gpuE8ELNS1_3repE0EEENS1_47radix_sort_onesweep_sort_config_static_selectorELNS0_4arch9wavefront6targetE1EEEvSK_,"axG",@progbits,_ZN7rocprim17ROCPRIM_400000_NS6detail17trampoline_kernelINS0_14default_configENS1_35radix_sort_onesweep_config_selectorIbiEEZZNS1_29radix_sort_onesweep_iterationIS3_Lb0EN6thrust23THRUST_200600_302600_NS6detail15normal_iteratorINS8_10device_ptrIbEEEESD_NSA_INSB_IiEEEESF_jNS0_19identity_decomposerENS1_16block_id_wrapperIjLb0EEEEE10hipError_tT1_PNSt15iterator_traitsISK_E10value_typeET2_T3_PNSL_ISQ_E10value_typeET4_T5_PSV_SW_PNS1_23onesweep_lookback_stateEbbT6_jjT7_P12ihipStream_tbENKUlT_T0_SK_SP_E_clISD_PbSF_PiEEDaS13_S14_SK_SP_EUlS13_E_NS1_11comp_targetILNS1_3genE4ELNS1_11target_archE910ELNS1_3gpuE8ELNS1_3repE0EEENS1_47radix_sort_onesweep_sort_config_static_selectorELNS0_4arch9wavefront6targetE1EEEvSK_,comdat
	.protected	_ZN7rocprim17ROCPRIM_400000_NS6detail17trampoline_kernelINS0_14default_configENS1_35radix_sort_onesweep_config_selectorIbiEEZZNS1_29radix_sort_onesweep_iterationIS3_Lb0EN6thrust23THRUST_200600_302600_NS6detail15normal_iteratorINS8_10device_ptrIbEEEESD_NSA_INSB_IiEEEESF_jNS0_19identity_decomposerENS1_16block_id_wrapperIjLb0EEEEE10hipError_tT1_PNSt15iterator_traitsISK_E10value_typeET2_T3_PNSL_ISQ_E10value_typeET4_T5_PSV_SW_PNS1_23onesweep_lookback_stateEbbT6_jjT7_P12ihipStream_tbENKUlT_T0_SK_SP_E_clISD_PbSF_PiEEDaS13_S14_SK_SP_EUlS13_E_NS1_11comp_targetILNS1_3genE4ELNS1_11target_archE910ELNS1_3gpuE8ELNS1_3repE0EEENS1_47radix_sort_onesweep_sort_config_static_selectorELNS0_4arch9wavefront6targetE1EEEvSK_ ; -- Begin function _ZN7rocprim17ROCPRIM_400000_NS6detail17trampoline_kernelINS0_14default_configENS1_35radix_sort_onesweep_config_selectorIbiEEZZNS1_29radix_sort_onesweep_iterationIS3_Lb0EN6thrust23THRUST_200600_302600_NS6detail15normal_iteratorINS8_10device_ptrIbEEEESD_NSA_INSB_IiEEEESF_jNS0_19identity_decomposerENS1_16block_id_wrapperIjLb0EEEEE10hipError_tT1_PNSt15iterator_traitsISK_E10value_typeET2_T3_PNSL_ISQ_E10value_typeET4_T5_PSV_SW_PNS1_23onesweep_lookback_stateEbbT6_jjT7_P12ihipStream_tbENKUlT_T0_SK_SP_E_clISD_PbSF_PiEEDaS13_S14_SK_SP_EUlS13_E_NS1_11comp_targetILNS1_3genE4ELNS1_11target_archE910ELNS1_3gpuE8ELNS1_3repE0EEENS1_47radix_sort_onesweep_sort_config_static_selectorELNS0_4arch9wavefront6targetE1EEEvSK_
	.globl	_ZN7rocprim17ROCPRIM_400000_NS6detail17trampoline_kernelINS0_14default_configENS1_35radix_sort_onesweep_config_selectorIbiEEZZNS1_29radix_sort_onesweep_iterationIS3_Lb0EN6thrust23THRUST_200600_302600_NS6detail15normal_iteratorINS8_10device_ptrIbEEEESD_NSA_INSB_IiEEEESF_jNS0_19identity_decomposerENS1_16block_id_wrapperIjLb0EEEEE10hipError_tT1_PNSt15iterator_traitsISK_E10value_typeET2_T3_PNSL_ISQ_E10value_typeET4_T5_PSV_SW_PNS1_23onesweep_lookback_stateEbbT6_jjT7_P12ihipStream_tbENKUlT_T0_SK_SP_E_clISD_PbSF_PiEEDaS13_S14_SK_SP_EUlS13_E_NS1_11comp_targetILNS1_3genE4ELNS1_11target_archE910ELNS1_3gpuE8ELNS1_3repE0EEENS1_47radix_sort_onesweep_sort_config_static_selectorELNS0_4arch9wavefront6targetE1EEEvSK_
	.p2align	8
	.type	_ZN7rocprim17ROCPRIM_400000_NS6detail17trampoline_kernelINS0_14default_configENS1_35radix_sort_onesweep_config_selectorIbiEEZZNS1_29radix_sort_onesweep_iterationIS3_Lb0EN6thrust23THRUST_200600_302600_NS6detail15normal_iteratorINS8_10device_ptrIbEEEESD_NSA_INSB_IiEEEESF_jNS0_19identity_decomposerENS1_16block_id_wrapperIjLb0EEEEE10hipError_tT1_PNSt15iterator_traitsISK_E10value_typeET2_T3_PNSL_ISQ_E10value_typeET4_T5_PSV_SW_PNS1_23onesweep_lookback_stateEbbT6_jjT7_P12ihipStream_tbENKUlT_T0_SK_SP_E_clISD_PbSF_PiEEDaS13_S14_SK_SP_EUlS13_E_NS1_11comp_targetILNS1_3genE4ELNS1_11target_archE910ELNS1_3gpuE8ELNS1_3repE0EEENS1_47radix_sort_onesweep_sort_config_static_selectorELNS0_4arch9wavefront6targetE1EEEvSK_,@function
_ZN7rocprim17ROCPRIM_400000_NS6detail17trampoline_kernelINS0_14default_configENS1_35radix_sort_onesweep_config_selectorIbiEEZZNS1_29radix_sort_onesweep_iterationIS3_Lb0EN6thrust23THRUST_200600_302600_NS6detail15normal_iteratorINS8_10device_ptrIbEEEESD_NSA_INSB_IiEEEESF_jNS0_19identity_decomposerENS1_16block_id_wrapperIjLb0EEEEE10hipError_tT1_PNSt15iterator_traitsISK_E10value_typeET2_T3_PNSL_ISQ_E10value_typeET4_T5_PSV_SW_PNS1_23onesweep_lookback_stateEbbT6_jjT7_P12ihipStream_tbENKUlT_T0_SK_SP_E_clISD_PbSF_PiEEDaS13_S14_SK_SP_EUlS13_E_NS1_11comp_targetILNS1_3genE4ELNS1_11target_archE910ELNS1_3gpuE8ELNS1_3repE0EEENS1_47radix_sort_onesweep_sort_config_static_selectorELNS0_4arch9wavefront6targetE1EEEvSK_: ; @_ZN7rocprim17ROCPRIM_400000_NS6detail17trampoline_kernelINS0_14default_configENS1_35radix_sort_onesweep_config_selectorIbiEEZZNS1_29radix_sort_onesweep_iterationIS3_Lb0EN6thrust23THRUST_200600_302600_NS6detail15normal_iteratorINS8_10device_ptrIbEEEESD_NSA_INSB_IiEEEESF_jNS0_19identity_decomposerENS1_16block_id_wrapperIjLb0EEEEE10hipError_tT1_PNSt15iterator_traitsISK_E10value_typeET2_T3_PNSL_ISQ_E10value_typeET4_T5_PSV_SW_PNS1_23onesweep_lookback_stateEbbT6_jjT7_P12ihipStream_tbENKUlT_T0_SK_SP_E_clISD_PbSF_PiEEDaS13_S14_SK_SP_EUlS13_E_NS1_11comp_targetILNS1_3genE4ELNS1_11target_archE910ELNS1_3gpuE8ELNS1_3repE0EEENS1_47radix_sort_onesweep_sort_config_static_selectorELNS0_4arch9wavefront6targetE1EEEvSK_
; %bb.0:
	.section	.rodata,"a",@progbits
	.p2align	6, 0x0
	.amdhsa_kernel _ZN7rocprim17ROCPRIM_400000_NS6detail17trampoline_kernelINS0_14default_configENS1_35radix_sort_onesweep_config_selectorIbiEEZZNS1_29radix_sort_onesweep_iterationIS3_Lb0EN6thrust23THRUST_200600_302600_NS6detail15normal_iteratorINS8_10device_ptrIbEEEESD_NSA_INSB_IiEEEESF_jNS0_19identity_decomposerENS1_16block_id_wrapperIjLb0EEEEE10hipError_tT1_PNSt15iterator_traitsISK_E10value_typeET2_T3_PNSL_ISQ_E10value_typeET4_T5_PSV_SW_PNS1_23onesweep_lookback_stateEbbT6_jjT7_P12ihipStream_tbENKUlT_T0_SK_SP_E_clISD_PbSF_PiEEDaS13_S14_SK_SP_EUlS13_E_NS1_11comp_targetILNS1_3genE4ELNS1_11target_archE910ELNS1_3gpuE8ELNS1_3repE0EEENS1_47radix_sort_onesweep_sort_config_static_selectorELNS0_4arch9wavefront6targetE1EEEvSK_
		.amdhsa_group_segment_fixed_size 0
		.amdhsa_private_segment_fixed_size 0
		.amdhsa_kernarg_size 88
		.amdhsa_user_sgpr_count 2
		.amdhsa_user_sgpr_dispatch_ptr 0
		.amdhsa_user_sgpr_queue_ptr 0
		.amdhsa_user_sgpr_kernarg_segment_ptr 1
		.amdhsa_user_sgpr_dispatch_id 0
		.amdhsa_user_sgpr_kernarg_preload_length 0
		.amdhsa_user_sgpr_kernarg_preload_offset 0
		.amdhsa_user_sgpr_private_segment_size 0
		.amdhsa_uses_dynamic_stack 0
		.amdhsa_enable_private_segment 0
		.amdhsa_system_sgpr_workgroup_id_x 1
		.amdhsa_system_sgpr_workgroup_id_y 0
		.amdhsa_system_sgpr_workgroup_id_z 0
		.amdhsa_system_sgpr_workgroup_info 0
		.amdhsa_system_vgpr_workitem_id 0
		.amdhsa_next_free_vgpr 1
		.amdhsa_next_free_sgpr 0
		.amdhsa_accum_offset 4
		.amdhsa_reserve_vcc 0
		.amdhsa_float_round_mode_32 0
		.amdhsa_float_round_mode_16_64 0
		.amdhsa_float_denorm_mode_32 3
		.amdhsa_float_denorm_mode_16_64 3
		.amdhsa_dx10_clamp 1
		.amdhsa_ieee_mode 1
		.amdhsa_fp16_overflow 0
		.amdhsa_tg_split 0
		.amdhsa_exception_fp_ieee_invalid_op 0
		.amdhsa_exception_fp_denorm_src 0
		.amdhsa_exception_fp_ieee_div_zero 0
		.amdhsa_exception_fp_ieee_overflow 0
		.amdhsa_exception_fp_ieee_underflow 0
		.amdhsa_exception_fp_ieee_inexact 0
		.amdhsa_exception_int_div_zero 0
	.end_amdhsa_kernel
	.section	.text._ZN7rocprim17ROCPRIM_400000_NS6detail17trampoline_kernelINS0_14default_configENS1_35radix_sort_onesweep_config_selectorIbiEEZZNS1_29radix_sort_onesweep_iterationIS3_Lb0EN6thrust23THRUST_200600_302600_NS6detail15normal_iteratorINS8_10device_ptrIbEEEESD_NSA_INSB_IiEEEESF_jNS0_19identity_decomposerENS1_16block_id_wrapperIjLb0EEEEE10hipError_tT1_PNSt15iterator_traitsISK_E10value_typeET2_T3_PNSL_ISQ_E10value_typeET4_T5_PSV_SW_PNS1_23onesweep_lookback_stateEbbT6_jjT7_P12ihipStream_tbENKUlT_T0_SK_SP_E_clISD_PbSF_PiEEDaS13_S14_SK_SP_EUlS13_E_NS1_11comp_targetILNS1_3genE4ELNS1_11target_archE910ELNS1_3gpuE8ELNS1_3repE0EEENS1_47radix_sort_onesweep_sort_config_static_selectorELNS0_4arch9wavefront6targetE1EEEvSK_,"axG",@progbits,_ZN7rocprim17ROCPRIM_400000_NS6detail17trampoline_kernelINS0_14default_configENS1_35radix_sort_onesweep_config_selectorIbiEEZZNS1_29radix_sort_onesweep_iterationIS3_Lb0EN6thrust23THRUST_200600_302600_NS6detail15normal_iteratorINS8_10device_ptrIbEEEESD_NSA_INSB_IiEEEESF_jNS0_19identity_decomposerENS1_16block_id_wrapperIjLb0EEEEE10hipError_tT1_PNSt15iterator_traitsISK_E10value_typeET2_T3_PNSL_ISQ_E10value_typeET4_T5_PSV_SW_PNS1_23onesweep_lookback_stateEbbT6_jjT7_P12ihipStream_tbENKUlT_T0_SK_SP_E_clISD_PbSF_PiEEDaS13_S14_SK_SP_EUlS13_E_NS1_11comp_targetILNS1_3genE4ELNS1_11target_archE910ELNS1_3gpuE8ELNS1_3repE0EEENS1_47radix_sort_onesweep_sort_config_static_selectorELNS0_4arch9wavefront6targetE1EEEvSK_,comdat
.Lfunc_end2081:
	.size	_ZN7rocprim17ROCPRIM_400000_NS6detail17trampoline_kernelINS0_14default_configENS1_35radix_sort_onesweep_config_selectorIbiEEZZNS1_29radix_sort_onesweep_iterationIS3_Lb0EN6thrust23THRUST_200600_302600_NS6detail15normal_iteratorINS8_10device_ptrIbEEEESD_NSA_INSB_IiEEEESF_jNS0_19identity_decomposerENS1_16block_id_wrapperIjLb0EEEEE10hipError_tT1_PNSt15iterator_traitsISK_E10value_typeET2_T3_PNSL_ISQ_E10value_typeET4_T5_PSV_SW_PNS1_23onesweep_lookback_stateEbbT6_jjT7_P12ihipStream_tbENKUlT_T0_SK_SP_E_clISD_PbSF_PiEEDaS13_S14_SK_SP_EUlS13_E_NS1_11comp_targetILNS1_3genE4ELNS1_11target_archE910ELNS1_3gpuE8ELNS1_3repE0EEENS1_47radix_sort_onesweep_sort_config_static_selectorELNS0_4arch9wavefront6targetE1EEEvSK_, .Lfunc_end2081-_ZN7rocprim17ROCPRIM_400000_NS6detail17trampoline_kernelINS0_14default_configENS1_35radix_sort_onesweep_config_selectorIbiEEZZNS1_29radix_sort_onesweep_iterationIS3_Lb0EN6thrust23THRUST_200600_302600_NS6detail15normal_iteratorINS8_10device_ptrIbEEEESD_NSA_INSB_IiEEEESF_jNS0_19identity_decomposerENS1_16block_id_wrapperIjLb0EEEEE10hipError_tT1_PNSt15iterator_traitsISK_E10value_typeET2_T3_PNSL_ISQ_E10value_typeET4_T5_PSV_SW_PNS1_23onesweep_lookback_stateEbbT6_jjT7_P12ihipStream_tbENKUlT_T0_SK_SP_E_clISD_PbSF_PiEEDaS13_S14_SK_SP_EUlS13_E_NS1_11comp_targetILNS1_3genE4ELNS1_11target_archE910ELNS1_3gpuE8ELNS1_3repE0EEENS1_47radix_sort_onesweep_sort_config_static_selectorELNS0_4arch9wavefront6targetE1EEEvSK_
                                        ; -- End function
	.set _ZN7rocprim17ROCPRIM_400000_NS6detail17trampoline_kernelINS0_14default_configENS1_35radix_sort_onesweep_config_selectorIbiEEZZNS1_29radix_sort_onesweep_iterationIS3_Lb0EN6thrust23THRUST_200600_302600_NS6detail15normal_iteratorINS8_10device_ptrIbEEEESD_NSA_INSB_IiEEEESF_jNS0_19identity_decomposerENS1_16block_id_wrapperIjLb0EEEEE10hipError_tT1_PNSt15iterator_traitsISK_E10value_typeET2_T3_PNSL_ISQ_E10value_typeET4_T5_PSV_SW_PNS1_23onesweep_lookback_stateEbbT6_jjT7_P12ihipStream_tbENKUlT_T0_SK_SP_E_clISD_PbSF_PiEEDaS13_S14_SK_SP_EUlS13_E_NS1_11comp_targetILNS1_3genE4ELNS1_11target_archE910ELNS1_3gpuE8ELNS1_3repE0EEENS1_47radix_sort_onesweep_sort_config_static_selectorELNS0_4arch9wavefront6targetE1EEEvSK_.num_vgpr, 0
	.set _ZN7rocprim17ROCPRIM_400000_NS6detail17trampoline_kernelINS0_14default_configENS1_35radix_sort_onesweep_config_selectorIbiEEZZNS1_29radix_sort_onesweep_iterationIS3_Lb0EN6thrust23THRUST_200600_302600_NS6detail15normal_iteratorINS8_10device_ptrIbEEEESD_NSA_INSB_IiEEEESF_jNS0_19identity_decomposerENS1_16block_id_wrapperIjLb0EEEEE10hipError_tT1_PNSt15iterator_traitsISK_E10value_typeET2_T3_PNSL_ISQ_E10value_typeET4_T5_PSV_SW_PNS1_23onesweep_lookback_stateEbbT6_jjT7_P12ihipStream_tbENKUlT_T0_SK_SP_E_clISD_PbSF_PiEEDaS13_S14_SK_SP_EUlS13_E_NS1_11comp_targetILNS1_3genE4ELNS1_11target_archE910ELNS1_3gpuE8ELNS1_3repE0EEENS1_47radix_sort_onesweep_sort_config_static_selectorELNS0_4arch9wavefront6targetE1EEEvSK_.num_agpr, 0
	.set _ZN7rocprim17ROCPRIM_400000_NS6detail17trampoline_kernelINS0_14default_configENS1_35radix_sort_onesweep_config_selectorIbiEEZZNS1_29radix_sort_onesweep_iterationIS3_Lb0EN6thrust23THRUST_200600_302600_NS6detail15normal_iteratorINS8_10device_ptrIbEEEESD_NSA_INSB_IiEEEESF_jNS0_19identity_decomposerENS1_16block_id_wrapperIjLb0EEEEE10hipError_tT1_PNSt15iterator_traitsISK_E10value_typeET2_T3_PNSL_ISQ_E10value_typeET4_T5_PSV_SW_PNS1_23onesweep_lookback_stateEbbT6_jjT7_P12ihipStream_tbENKUlT_T0_SK_SP_E_clISD_PbSF_PiEEDaS13_S14_SK_SP_EUlS13_E_NS1_11comp_targetILNS1_3genE4ELNS1_11target_archE910ELNS1_3gpuE8ELNS1_3repE0EEENS1_47radix_sort_onesweep_sort_config_static_selectorELNS0_4arch9wavefront6targetE1EEEvSK_.numbered_sgpr, 0
	.set _ZN7rocprim17ROCPRIM_400000_NS6detail17trampoline_kernelINS0_14default_configENS1_35radix_sort_onesweep_config_selectorIbiEEZZNS1_29radix_sort_onesweep_iterationIS3_Lb0EN6thrust23THRUST_200600_302600_NS6detail15normal_iteratorINS8_10device_ptrIbEEEESD_NSA_INSB_IiEEEESF_jNS0_19identity_decomposerENS1_16block_id_wrapperIjLb0EEEEE10hipError_tT1_PNSt15iterator_traitsISK_E10value_typeET2_T3_PNSL_ISQ_E10value_typeET4_T5_PSV_SW_PNS1_23onesweep_lookback_stateEbbT6_jjT7_P12ihipStream_tbENKUlT_T0_SK_SP_E_clISD_PbSF_PiEEDaS13_S14_SK_SP_EUlS13_E_NS1_11comp_targetILNS1_3genE4ELNS1_11target_archE910ELNS1_3gpuE8ELNS1_3repE0EEENS1_47radix_sort_onesweep_sort_config_static_selectorELNS0_4arch9wavefront6targetE1EEEvSK_.num_named_barrier, 0
	.set _ZN7rocprim17ROCPRIM_400000_NS6detail17trampoline_kernelINS0_14default_configENS1_35radix_sort_onesweep_config_selectorIbiEEZZNS1_29radix_sort_onesweep_iterationIS3_Lb0EN6thrust23THRUST_200600_302600_NS6detail15normal_iteratorINS8_10device_ptrIbEEEESD_NSA_INSB_IiEEEESF_jNS0_19identity_decomposerENS1_16block_id_wrapperIjLb0EEEEE10hipError_tT1_PNSt15iterator_traitsISK_E10value_typeET2_T3_PNSL_ISQ_E10value_typeET4_T5_PSV_SW_PNS1_23onesweep_lookback_stateEbbT6_jjT7_P12ihipStream_tbENKUlT_T0_SK_SP_E_clISD_PbSF_PiEEDaS13_S14_SK_SP_EUlS13_E_NS1_11comp_targetILNS1_3genE4ELNS1_11target_archE910ELNS1_3gpuE8ELNS1_3repE0EEENS1_47radix_sort_onesweep_sort_config_static_selectorELNS0_4arch9wavefront6targetE1EEEvSK_.private_seg_size, 0
	.set _ZN7rocprim17ROCPRIM_400000_NS6detail17trampoline_kernelINS0_14default_configENS1_35radix_sort_onesweep_config_selectorIbiEEZZNS1_29radix_sort_onesweep_iterationIS3_Lb0EN6thrust23THRUST_200600_302600_NS6detail15normal_iteratorINS8_10device_ptrIbEEEESD_NSA_INSB_IiEEEESF_jNS0_19identity_decomposerENS1_16block_id_wrapperIjLb0EEEEE10hipError_tT1_PNSt15iterator_traitsISK_E10value_typeET2_T3_PNSL_ISQ_E10value_typeET4_T5_PSV_SW_PNS1_23onesweep_lookback_stateEbbT6_jjT7_P12ihipStream_tbENKUlT_T0_SK_SP_E_clISD_PbSF_PiEEDaS13_S14_SK_SP_EUlS13_E_NS1_11comp_targetILNS1_3genE4ELNS1_11target_archE910ELNS1_3gpuE8ELNS1_3repE0EEENS1_47radix_sort_onesweep_sort_config_static_selectorELNS0_4arch9wavefront6targetE1EEEvSK_.uses_vcc, 0
	.set _ZN7rocprim17ROCPRIM_400000_NS6detail17trampoline_kernelINS0_14default_configENS1_35radix_sort_onesweep_config_selectorIbiEEZZNS1_29radix_sort_onesweep_iterationIS3_Lb0EN6thrust23THRUST_200600_302600_NS6detail15normal_iteratorINS8_10device_ptrIbEEEESD_NSA_INSB_IiEEEESF_jNS0_19identity_decomposerENS1_16block_id_wrapperIjLb0EEEEE10hipError_tT1_PNSt15iterator_traitsISK_E10value_typeET2_T3_PNSL_ISQ_E10value_typeET4_T5_PSV_SW_PNS1_23onesweep_lookback_stateEbbT6_jjT7_P12ihipStream_tbENKUlT_T0_SK_SP_E_clISD_PbSF_PiEEDaS13_S14_SK_SP_EUlS13_E_NS1_11comp_targetILNS1_3genE4ELNS1_11target_archE910ELNS1_3gpuE8ELNS1_3repE0EEENS1_47radix_sort_onesweep_sort_config_static_selectorELNS0_4arch9wavefront6targetE1EEEvSK_.uses_flat_scratch, 0
	.set _ZN7rocprim17ROCPRIM_400000_NS6detail17trampoline_kernelINS0_14default_configENS1_35radix_sort_onesweep_config_selectorIbiEEZZNS1_29radix_sort_onesweep_iterationIS3_Lb0EN6thrust23THRUST_200600_302600_NS6detail15normal_iteratorINS8_10device_ptrIbEEEESD_NSA_INSB_IiEEEESF_jNS0_19identity_decomposerENS1_16block_id_wrapperIjLb0EEEEE10hipError_tT1_PNSt15iterator_traitsISK_E10value_typeET2_T3_PNSL_ISQ_E10value_typeET4_T5_PSV_SW_PNS1_23onesweep_lookback_stateEbbT6_jjT7_P12ihipStream_tbENKUlT_T0_SK_SP_E_clISD_PbSF_PiEEDaS13_S14_SK_SP_EUlS13_E_NS1_11comp_targetILNS1_3genE4ELNS1_11target_archE910ELNS1_3gpuE8ELNS1_3repE0EEENS1_47radix_sort_onesweep_sort_config_static_selectorELNS0_4arch9wavefront6targetE1EEEvSK_.has_dyn_sized_stack, 0
	.set _ZN7rocprim17ROCPRIM_400000_NS6detail17trampoline_kernelINS0_14default_configENS1_35radix_sort_onesweep_config_selectorIbiEEZZNS1_29radix_sort_onesweep_iterationIS3_Lb0EN6thrust23THRUST_200600_302600_NS6detail15normal_iteratorINS8_10device_ptrIbEEEESD_NSA_INSB_IiEEEESF_jNS0_19identity_decomposerENS1_16block_id_wrapperIjLb0EEEEE10hipError_tT1_PNSt15iterator_traitsISK_E10value_typeET2_T3_PNSL_ISQ_E10value_typeET4_T5_PSV_SW_PNS1_23onesweep_lookback_stateEbbT6_jjT7_P12ihipStream_tbENKUlT_T0_SK_SP_E_clISD_PbSF_PiEEDaS13_S14_SK_SP_EUlS13_E_NS1_11comp_targetILNS1_3genE4ELNS1_11target_archE910ELNS1_3gpuE8ELNS1_3repE0EEENS1_47radix_sort_onesweep_sort_config_static_selectorELNS0_4arch9wavefront6targetE1EEEvSK_.has_recursion, 0
	.set _ZN7rocprim17ROCPRIM_400000_NS6detail17trampoline_kernelINS0_14default_configENS1_35radix_sort_onesweep_config_selectorIbiEEZZNS1_29radix_sort_onesweep_iterationIS3_Lb0EN6thrust23THRUST_200600_302600_NS6detail15normal_iteratorINS8_10device_ptrIbEEEESD_NSA_INSB_IiEEEESF_jNS0_19identity_decomposerENS1_16block_id_wrapperIjLb0EEEEE10hipError_tT1_PNSt15iterator_traitsISK_E10value_typeET2_T3_PNSL_ISQ_E10value_typeET4_T5_PSV_SW_PNS1_23onesweep_lookback_stateEbbT6_jjT7_P12ihipStream_tbENKUlT_T0_SK_SP_E_clISD_PbSF_PiEEDaS13_S14_SK_SP_EUlS13_E_NS1_11comp_targetILNS1_3genE4ELNS1_11target_archE910ELNS1_3gpuE8ELNS1_3repE0EEENS1_47radix_sort_onesweep_sort_config_static_selectorELNS0_4arch9wavefront6targetE1EEEvSK_.has_indirect_call, 0
	.section	.AMDGPU.csdata,"",@progbits
; Kernel info:
; codeLenInByte = 0
; TotalNumSgprs: 6
; NumVgprs: 0
; NumAgprs: 0
; TotalNumVgprs: 0
; ScratchSize: 0
; MemoryBound: 0
; FloatMode: 240
; IeeeMode: 1
; LDSByteSize: 0 bytes/workgroup (compile time only)
; SGPRBlocks: 0
; VGPRBlocks: 0
; NumSGPRsForWavesPerEU: 6
; NumVGPRsForWavesPerEU: 1
; AccumOffset: 4
; Occupancy: 8
; WaveLimiterHint : 0
; COMPUTE_PGM_RSRC2:SCRATCH_EN: 0
; COMPUTE_PGM_RSRC2:USER_SGPR: 2
; COMPUTE_PGM_RSRC2:TRAP_HANDLER: 0
; COMPUTE_PGM_RSRC2:TGID_X_EN: 1
; COMPUTE_PGM_RSRC2:TGID_Y_EN: 0
; COMPUTE_PGM_RSRC2:TGID_Z_EN: 0
; COMPUTE_PGM_RSRC2:TIDIG_COMP_CNT: 0
; COMPUTE_PGM_RSRC3_GFX90A:ACCUM_OFFSET: 0
; COMPUTE_PGM_RSRC3_GFX90A:TG_SPLIT: 0
	.section	.text._ZN7rocprim17ROCPRIM_400000_NS6detail17trampoline_kernelINS0_14default_configENS1_35radix_sort_onesweep_config_selectorIbiEEZZNS1_29radix_sort_onesweep_iterationIS3_Lb0EN6thrust23THRUST_200600_302600_NS6detail15normal_iteratorINS8_10device_ptrIbEEEESD_NSA_INSB_IiEEEESF_jNS0_19identity_decomposerENS1_16block_id_wrapperIjLb0EEEEE10hipError_tT1_PNSt15iterator_traitsISK_E10value_typeET2_T3_PNSL_ISQ_E10value_typeET4_T5_PSV_SW_PNS1_23onesweep_lookback_stateEbbT6_jjT7_P12ihipStream_tbENKUlT_T0_SK_SP_E_clISD_PbSF_PiEEDaS13_S14_SK_SP_EUlS13_E_NS1_11comp_targetILNS1_3genE3ELNS1_11target_archE908ELNS1_3gpuE7ELNS1_3repE0EEENS1_47radix_sort_onesweep_sort_config_static_selectorELNS0_4arch9wavefront6targetE1EEEvSK_,"axG",@progbits,_ZN7rocprim17ROCPRIM_400000_NS6detail17trampoline_kernelINS0_14default_configENS1_35radix_sort_onesweep_config_selectorIbiEEZZNS1_29radix_sort_onesweep_iterationIS3_Lb0EN6thrust23THRUST_200600_302600_NS6detail15normal_iteratorINS8_10device_ptrIbEEEESD_NSA_INSB_IiEEEESF_jNS0_19identity_decomposerENS1_16block_id_wrapperIjLb0EEEEE10hipError_tT1_PNSt15iterator_traitsISK_E10value_typeET2_T3_PNSL_ISQ_E10value_typeET4_T5_PSV_SW_PNS1_23onesweep_lookback_stateEbbT6_jjT7_P12ihipStream_tbENKUlT_T0_SK_SP_E_clISD_PbSF_PiEEDaS13_S14_SK_SP_EUlS13_E_NS1_11comp_targetILNS1_3genE3ELNS1_11target_archE908ELNS1_3gpuE7ELNS1_3repE0EEENS1_47radix_sort_onesweep_sort_config_static_selectorELNS0_4arch9wavefront6targetE1EEEvSK_,comdat
	.protected	_ZN7rocprim17ROCPRIM_400000_NS6detail17trampoline_kernelINS0_14default_configENS1_35radix_sort_onesweep_config_selectorIbiEEZZNS1_29radix_sort_onesweep_iterationIS3_Lb0EN6thrust23THRUST_200600_302600_NS6detail15normal_iteratorINS8_10device_ptrIbEEEESD_NSA_INSB_IiEEEESF_jNS0_19identity_decomposerENS1_16block_id_wrapperIjLb0EEEEE10hipError_tT1_PNSt15iterator_traitsISK_E10value_typeET2_T3_PNSL_ISQ_E10value_typeET4_T5_PSV_SW_PNS1_23onesweep_lookback_stateEbbT6_jjT7_P12ihipStream_tbENKUlT_T0_SK_SP_E_clISD_PbSF_PiEEDaS13_S14_SK_SP_EUlS13_E_NS1_11comp_targetILNS1_3genE3ELNS1_11target_archE908ELNS1_3gpuE7ELNS1_3repE0EEENS1_47radix_sort_onesweep_sort_config_static_selectorELNS0_4arch9wavefront6targetE1EEEvSK_ ; -- Begin function _ZN7rocprim17ROCPRIM_400000_NS6detail17trampoline_kernelINS0_14default_configENS1_35radix_sort_onesweep_config_selectorIbiEEZZNS1_29radix_sort_onesweep_iterationIS3_Lb0EN6thrust23THRUST_200600_302600_NS6detail15normal_iteratorINS8_10device_ptrIbEEEESD_NSA_INSB_IiEEEESF_jNS0_19identity_decomposerENS1_16block_id_wrapperIjLb0EEEEE10hipError_tT1_PNSt15iterator_traitsISK_E10value_typeET2_T3_PNSL_ISQ_E10value_typeET4_T5_PSV_SW_PNS1_23onesweep_lookback_stateEbbT6_jjT7_P12ihipStream_tbENKUlT_T0_SK_SP_E_clISD_PbSF_PiEEDaS13_S14_SK_SP_EUlS13_E_NS1_11comp_targetILNS1_3genE3ELNS1_11target_archE908ELNS1_3gpuE7ELNS1_3repE0EEENS1_47radix_sort_onesweep_sort_config_static_selectorELNS0_4arch9wavefront6targetE1EEEvSK_
	.globl	_ZN7rocprim17ROCPRIM_400000_NS6detail17trampoline_kernelINS0_14default_configENS1_35radix_sort_onesweep_config_selectorIbiEEZZNS1_29radix_sort_onesweep_iterationIS3_Lb0EN6thrust23THRUST_200600_302600_NS6detail15normal_iteratorINS8_10device_ptrIbEEEESD_NSA_INSB_IiEEEESF_jNS0_19identity_decomposerENS1_16block_id_wrapperIjLb0EEEEE10hipError_tT1_PNSt15iterator_traitsISK_E10value_typeET2_T3_PNSL_ISQ_E10value_typeET4_T5_PSV_SW_PNS1_23onesweep_lookback_stateEbbT6_jjT7_P12ihipStream_tbENKUlT_T0_SK_SP_E_clISD_PbSF_PiEEDaS13_S14_SK_SP_EUlS13_E_NS1_11comp_targetILNS1_3genE3ELNS1_11target_archE908ELNS1_3gpuE7ELNS1_3repE0EEENS1_47radix_sort_onesweep_sort_config_static_selectorELNS0_4arch9wavefront6targetE1EEEvSK_
	.p2align	8
	.type	_ZN7rocprim17ROCPRIM_400000_NS6detail17trampoline_kernelINS0_14default_configENS1_35radix_sort_onesweep_config_selectorIbiEEZZNS1_29radix_sort_onesweep_iterationIS3_Lb0EN6thrust23THRUST_200600_302600_NS6detail15normal_iteratorINS8_10device_ptrIbEEEESD_NSA_INSB_IiEEEESF_jNS0_19identity_decomposerENS1_16block_id_wrapperIjLb0EEEEE10hipError_tT1_PNSt15iterator_traitsISK_E10value_typeET2_T3_PNSL_ISQ_E10value_typeET4_T5_PSV_SW_PNS1_23onesweep_lookback_stateEbbT6_jjT7_P12ihipStream_tbENKUlT_T0_SK_SP_E_clISD_PbSF_PiEEDaS13_S14_SK_SP_EUlS13_E_NS1_11comp_targetILNS1_3genE3ELNS1_11target_archE908ELNS1_3gpuE7ELNS1_3repE0EEENS1_47radix_sort_onesweep_sort_config_static_selectorELNS0_4arch9wavefront6targetE1EEEvSK_,@function
_ZN7rocprim17ROCPRIM_400000_NS6detail17trampoline_kernelINS0_14default_configENS1_35radix_sort_onesweep_config_selectorIbiEEZZNS1_29radix_sort_onesweep_iterationIS3_Lb0EN6thrust23THRUST_200600_302600_NS6detail15normal_iteratorINS8_10device_ptrIbEEEESD_NSA_INSB_IiEEEESF_jNS0_19identity_decomposerENS1_16block_id_wrapperIjLb0EEEEE10hipError_tT1_PNSt15iterator_traitsISK_E10value_typeET2_T3_PNSL_ISQ_E10value_typeET4_T5_PSV_SW_PNS1_23onesweep_lookback_stateEbbT6_jjT7_P12ihipStream_tbENKUlT_T0_SK_SP_E_clISD_PbSF_PiEEDaS13_S14_SK_SP_EUlS13_E_NS1_11comp_targetILNS1_3genE3ELNS1_11target_archE908ELNS1_3gpuE7ELNS1_3repE0EEENS1_47radix_sort_onesweep_sort_config_static_selectorELNS0_4arch9wavefront6targetE1EEEvSK_: ; @_ZN7rocprim17ROCPRIM_400000_NS6detail17trampoline_kernelINS0_14default_configENS1_35radix_sort_onesweep_config_selectorIbiEEZZNS1_29radix_sort_onesweep_iterationIS3_Lb0EN6thrust23THRUST_200600_302600_NS6detail15normal_iteratorINS8_10device_ptrIbEEEESD_NSA_INSB_IiEEEESF_jNS0_19identity_decomposerENS1_16block_id_wrapperIjLb0EEEEE10hipError_tT1_PNSt15iterator_traitsISK_E10value_typeET2_T3_PNSL_ISQ_E10value_typeET4_T5_PSV_SW_PNS1_23onesweep_lookback_stateEbbT6_jjT7_P12ihipStream_tbENKUlT_T0_SK_SP_E_clISD_PbSF_PiEEDaS13_S14_SK_SP_EUlS13_E_NS1_11comp_targetILNS1_3genE3ELNS1_11target_archE908ELNS1_3gpuE7ELNS1_3repE0EEENS1_47radix_sort_onesweep_sort_config_static_selectorELNS0_4arch9wavefront6targetE1EEEvSK_
; %bb.0:
	.section	.rodata,"a",@progbits
	.p2align	6, 0x0
	.amdhsa_kernel _ZN7rocprim17ROCPRIM_400000_NS6detail17trampoline_kernelINS0_14default_configENS1_35radix_sort_onesweep_config_selectorIbiEEZZNS1_29radix_sort_onesweep_iterationIS3_Lb0EN6thrust23THRUST_200600_302600_NS6detail15normal_iteratorINS8_10device_ptrIbEEEESD_NSA_INSB_IiEEEESF_jNS0_19identity_decomposerENS1_16block_id_wrapperIjLb0EEEEE10hipError_tT1_PNSt15iterator_traitsISK_E10value_typeET2_T3_PNSL_ISQ_E10value_typeET4_T5_PSV_SW_PNS1_23onesweep_lookback_stateEbbT6_jjT7_P12ihipStream_tbENKUlT_T0_SK_SP_E_clISD_PbSF_PiEEDaS13_S14_SK_SP_EUlS13_E_NS1_11comp_targetILNS1_3genE3ELNS1_11target_archE908ELNS1_3gpuE7ELNS1_3repE0EEENS1_47radix_sort_onesweep_sort_config_static_selectorELNS0_4arch9wavefront6targetE1EEEvSK_
		.amdhsa_group_segment_fixed_size 0
		.amdhsa_private_segment_fixed_size 0
		.amdhsa_kernarg_size 88
		.amdhsa_user_sgpr_count 2
		.amdhsa_user_sgpr_dispatch_ptr 0
		.amdhsa_user_sgpr_queue_ptr 0
		.amdhsa_user_sgpr_kernarg_segment_ptr 1
		.amdhsa_user_sgpr_dispatch_id 0
		.amdhsa_user_sgpr_kernarg_preload_length 0
		.amdhsa_user_sgpr_kernarg_preload_offset 0
		.amdhsa_user_sgpr_private_segment_size 0
		.amdhsa_uses_dynamic_stack 0
		.amdhsa_enable_private_segment 0
		.amdhsa_system_sgpr_workgroup_id_x 1
		.amdhsa_system_sgpr_workgroup_id_y 0
		.amdhsa_system_sgpr_workgroup_id_z 0
		.amdhsa_system_sgpr_workgroup_info 0
		.amdhsa_system_vgpr_workitem_id 0
		.amdhsa_next_free_vgpr 1
		.amdhsa_next_free_sgpr 0
		.amdhsa_accum_offset 4
		.amdhsa_reserve_vcc 0
		.amdhsa_float_round_mode_32 0
		.amdhsa_float_round_mode_16_64 0
		.amdhsa_float_denorm_mode_32 3
		.amdhsa_float_denorm_mode_16_64 3
		.amdhsa_dx10_clamp 1
		.amdhsa_ieee_mode 1
		.amdhsa_fp16_overflow 0
		.amdhsa_tg_split 0
		.amdhsa_exception_fp_ieee_invalid_op 0
		.amdhsa_exception_fp_denorm_src 0
		.amdhsa_exception_fp_ieee_div_zero 0
		.amdhsa_exception_fp_ieee_overflow 0
		.amdhsa_exception_fp_ieee_underflow 0
		.amdhsa_exception_fp_ieee_inexact 0
		.amdhsa_exception_int_div_zero 0
	.end_amdhsa_kernel
	.section	.text._ZN7rocprim17ROCPRIM_400000_NS6detail17trampoline_kernelINS0_14default_configENS1_35radix_sort_onesweep_config_selectorIbiEEZZNS1_29radix_sort_onesweep_iterationIS3_Lb0EN6thrust23THRUST_200600_302600_NS6detail15normal_iteratorINS8_10device_ptrIbEEEESD_NSA_INSB_IiEEEESF_jNS0_19identity_decomposerENS1_16block_id_wrapperIjLb0EEEEE10hipError_tT1_PNSt15iterator_traitsISK_E10value_typeET2_T3_PNSL_ISQ_E10value_typeET4_T5_PSV_SW_PNS1_23onesweep_lookback_stateEbbT6_jjT7_P12ihipStream_tbENKUlT_T0_SK_SP_E_clISD_PbSF_PiEEDaS13_S14_SK_SP_EUlS13_E_NS1_11comp_targetILNS1_3genE3ELNS1_11target_archE908ELNS1_3gpuE7ELNS1_3repE0EEENS1_47radix_sort_onesweep_sort_config_static_selectorELNS0_4arch9wavefront6targetE1EEEvSK_,"axG",@progbits,_ZN7rocprim17ROCPRIM_400000_NS6detail17trampoline_kernelINS0_14default_configENS1_35radix_sort_onesweep_config_selectorIbiEEZZNS1_29radix_sort_onesweep_iterationIS3_Lb0EN6thrust23THRUST_200600_302600_NS6detail15normal_iteratorINS8_10device_ptrIbEEEESD_NSA_INSB_IiEEEESF_jNS0_19identity_decomposerENS1_16block_id_wrapperIjLb0EEEEE10hipError_tT1_PNSt15iterator_traitsISK_E10value_typeET2_T3_PNSL_ISQ_E10value_typeET4_T5_PSV_SW_PNS1_23onesweep_lookback_stateEbbT6_jjT7_P12ihipStream_tbENKUlT_T0_SK_SP_E_clISD_PbSF_PiEEDaS13_S14_SK_SP_EUlS13_E_NS1_11comp_targetILNS1_3genE3ELNS1_11target_archE908ELNS1_3gpuE7ELNS1_3repE0EEENS1_47radix_sort_onesweep_sort_config_static_selectorELNS0_4arch9wavefront6targetE1EEEvSK_,comdat
.Lfunc_end2082:
	.size	_ZN7rocprim17ROCPRIM_400000_NS6detail17trampoline_kernelINS0_14default_configENS1_35radix_sort_onesweep_config_selectorIbiEEZZNS1_29radix_sort_onesweep_iterationIS3_Lb0EN6thrust23THRUST_200600_302600_NS6detail15normal_iteratorINS8_10device_ptrIbEEEESD_NSA_INSB_IiEEEESF_jNS0_19identity_decomposerENS1_16block_id_wrapperIjLb0EEEEE10hipError_tT1_PNSt15iterator_traitsISK_E10value_typeET2_T3_PNSL_ISQ_E10value_typeET4_T5_PSV_SW_PNS1_23onesweep_lookback_stateEbbT6_jjT7_P12ihipStream_tbENKUlT_T0_SK_SP_E_clISD_PbSF_PiEEDaS13_S14_SK_SP_EUlS13_E_NS1_11comp_targetILNS1_3genE3ELNS1_11target_archE908ELNS1_3gpuE7ELNS1_3repE0EEENS1_47radix_sort_onesweep_sort_config_static_selectorELNS0_4arch9wavefront6targetE1EEEvSK_, .Lfunc_end2082-_ZN7rocprim17ROCPRIM_400000_NS6detail17trampoline_kernelINS0_14default_configENS1_35radix_sort_onesweep_config_selectorIbiEEZZNS1_29radix_sort_onesweep_iterationIS3_Lb0EN6thrust23THRUST_200600_302600_NS6detail15normal_iteratorINS8_10device_ptrIbEEEESD_NSA_INSB_IiEEEESF_jNS0_19identity_decomposerENS1_16block_id_wrapperIjLb0EEEEE10hipError_tT1_PNSt15iterator_traitsISK_E10value_typeET2_T3_PNSL_ISQ_E10value_typeET4_T5_PSV_SW_PNS1_23onesweep_lookback_stateEbbT6_jjT7_P12ihipStream_tbENKUlT_T0_SK_SP_E_clISD_PbSF_PiEEDaS13_S14_SK_SP_EUlS13_E_NS1_11comp_targetILNS1_3genE3ELNS1_11target_archE908ELNS1_3gpuE7ELNS1_3repE0EEENS1_47radix_sort_onesweep_sort_config_static_selectorELNS0_4arch9wavefront6targetE1EEEvSK_
                                        ; -- End function
	.set _ZN7rocprim17ROCPRIM_400000_NS6detail17trampoline_kernelINS0_14default_configENS1_35radix_sort_onesweep_config_selectorIbiEEZZNS1_29radix_sort_onesweep_iterationIS3_Lb0EN6thrust23THRUST_200600_302600_NS6detail15normal_iteratorINS8_10device_ptrIbEEEESD_NSA_INSB_IiEEEESF_jNS0_19identity_decomposerENS1_16block_id_wrapperIjLb0EEEEE10hipError_tT1_PNSt15iterator_traitsISK_E10value_typeET2_T3_PNSL_ISQ_E10value_typeET4_T5_PSV_SW_PNS1_23onesweep_lookback_stateEbbT6_jjT7_P12ihipStream_tbENKUlT_T0_SK_SP_E_clISD_PbSF_PiEEDaS13_S14_SK_SP_EUlS13_E_NS1_11comp_targetILNS1_3genE3ELNS1_11target_archE908ELNS1_3gpuE7ELNS1_3repE0EEENS1_47radix_sort_onesweep_sort_config_static_selectorELNS0_4arch9wavefront6targetE1EEEvSK_.num_vgpr, 0
	.set _ZN7rocprim17ROCPRIM_400000_NS6detail17trampoline_kernelINS0_14default_configENS1_35radix_sort_onesweep_config_selectorIbiEEZZNS1_29radix_sort_onesweep_iterationIS3_Lb0EN6thrust23THRUST_200600_302600_NS6detail15normal_iteratorINS8_10device_ptrIbEEEESD_NSA_INSB_IiEEEESF_jNS0_19identity_decomposerENS1_16block_id_wrapperIjLb0EEEEE10hipError_tT1_PNSt15iterator_traitsISK_E10value_typeET2_T3_PNSL_ISQ_E10value_typeET4_T5_PSV_SW_PNS1_23onesweep_lookback_stateEbbT6_jjT7_P12ihipStream_tbENKUlT_T0_SK_SP_E_clISD_PbSF_PiEEDaS13_S14_SK_SP_EUlS13_E_NS1_11comp_targetILNS1_3genE3ELNS1_11target_archE908ELNS1_3gpuE7ELNS1_3repE0EEENS1_47radix_sort_onesweep_sort_config_static_selectorELNS0_4arch9wavefront6targetE1EEEvSK_.num_agpr, 0
	.set _ZN7rocprim17ROCPRIM_400000_NS6detail17trampoline_kernelINS0_14default_configENS1_35radix_sort_onesweep_config_selectorIbiEEZZNS1_29radix_sort_onesweep_iterationIS3_Lb0EN6thrust23THRUST_200600_302600_NS6detail15normal_iteratorINS8_10device_ptrIbEEEESD_NSA_INSB_IiEEEESF_jNS0_19identity_decomposerENS1_16block_id_wrapperIjLb0EEEEE10hipError_tT1_PNSt15iterator_traitsISK_E10value_typeET2_T3_PNSL_ISQ_E10value_typeET4_T5_PSV_SW_PNS1_23onesweep_lookback_stateEbbT6_jjT7_P12ihipStream_tbENKUlT_T0_SK_SP_E_clISD_PbSF_PiEEDaS13_S14_SK_SP_EUlS13_E_NS1_11comp_targetILNS1_3genE3ELNS1_11target_archE908ELNS1_3gpuE7ELNS1_3repE0EEENS1_47radix_sort_onesweep_sort_config_static_selectorELNS0_4arch9wavefront6targetE1EEEvSK_.numbered_sgpr, 0
	.set _ZN7rocprim17ROCPRIM_400000_NS6detail17trampoline_kernelINS0_14default_configENS1_35radix_sort_onesweep_config_selectorIbiEEZZNS1_29radix_sort_onesweep_iterationIS3_Lb0EN6thrust23THRUST_200600_302600_NS6detail15normal_iteratorINS8_10device_ptrIbEEEESD_NSA_INSB_IiEEEESF_jNS0_19identity_decomposerENS1_16block_id_wrapperIjLb0EEEEE10hipError_tT1_PNSt15iterator_traitsISK_E10value_typeET2_T3_PNSL_ISQ_E10value_typeET4_T5_PSV_SW_PNS1_23onesweep_lookback_stateEbbT6_jjT7_P12ihipStream_tbENKUlT_T0_SK_SP_E_clISD_PbSF_PiEEDaS13_S14_SK_SP_EUlS13_E_NS1_11comp_targetILNS1_3genE3ELNS1_11target_archE908ELNS1_3gpuE7ELNS1_3repE0EEENS1_47radix_sort_onesweep_sort_config_static_selectorELNS0_4arch9wavefront6targetE1EEEvSK_.num_named_barrier, 0
	.set _ZN7rocprim17ROCPRIM_400000_NS6detail17trampoline_kernelINS0_14default_configENS1_35radix_sort_onesweep_config_selectorIbiEEZZNS1_29radix_sort_onesweep_iterationIS3_Lb0EN6thrust23THRUST_200600_302600_NS6detail15normal_iteratorINS8_10device_ptrIbEEEESD_NSA_INSB_IiEEEESF_jNS0_19identity_decomposerENS1_16block_id_wrapperIjLb0EEEEE10hipError_tT1_PNSt15iterator_traitsISK_E10value_typeET2_T3_PNSL_ISQ_E10value_typeET4_T5_PSV_SW_PNS1_23onesweep_lookback_stateEbbT6_jjT7_P12ihipStream_tbENKUlT_T0_SK_SP_E_clISD_PbSF_PiEEDaS13_S14_SK_SP_EUlS13_E_NS1_11comp_targetILNS1_3genE3ELNS1_11target_archE908ELNS1_3gpuE7ELNS1_3repE0EEENS1_47radix_sort_onesweep_sort_config_static_selectorELNS0_4arch9wavefront6targetE1EEEvSK_.private_seg_size, 0
	.set _ZN7rocprim17ROCPRIM_400000_NS6detail17trampoline_kernelINS0_14default_configENS1_35radix_sort_onesweep_config_selectorIbiEEZZNS1_29radix_sort_onesweep_iterationIS3_Lb0EN6thrust23THRUST_200600_302600_NS6detail15normal_iteratorINS8_10device_ptrIbEEEESD_NSA_INSB_IiEEEESF_jNS0_19identity_decomposerENS1_16block_id_wrapperIjLb0EEEEE10hipError_tT1_PNSt15iterator_traitsISK_E10value_typeET2_T3_PNSL_ISQ_E10value_typeET4_T5_PSV_SW_PNS1_23onesweep_lookback_stateEbbT6_jjT7_P12ihipStream_tbENKUlT_T0_SK_SP_E_clISD_PbSF_PiEEDaS13_S14_SK_SP_EUlS13_E_NS1_11comp_targetILNS1_3genE3ELNS1_11target_archE908ELNS1_3gpuE7ELNS1_3repE0EEENS1_47radix_sort_onesweep_sort_config_static_selectorELNS0_4arch9wavefront6targetE1EEEvSK_.uses_vcc, 0
	.set _ZN7rocprim17ROCPRIM_400000_NS6detail17trampoline_kernelINS0_14default_configENS1_35radix_sort_onesweep_config_selectorIbiEEZZNS1_29radix_sort_onesweep_iterationIS3_Lb0EN6thrust23THRUST_200600_302600_NS6detail15normal_iteratorINS8_10device_ptrIbEEEESD_NSA_INSB_IiEEEESF_jNS0_19identity_decomposerENS1_16block_id_wrapperIjLb0EEEEE10hipError_tT1_PNSt15iterator_traitsISK_E10value_typeET2_T3_PNSL_ISQ_E10value_typeET4_T5_PSV_SW_PNS1_23onesweep_lookback_stateEbbT6_jjT7_P12ihipStream_tbENKUlT_T0_SK_SP_E_clISD_PbSF_PiEEDaS13_S14_SK_SP_EUlS13_E_NS1_11comp_targetILNS1_3genE3ELNS1_11target_archE908ELNS1_3gpuE7ELNS1_3repE0EEENS1_47radix_sort_onesweep_sort_config_static_selectorELNS0_4arch9wavefront6targetE1EEEvSK_.uses_flat_scratch, 0
	.set _ZN7rocprim17ROCPRIM_400000_NS6detail17trampoline_kernelINS0_14default_configENS1_35radix_sort_onesweep_config_selectorIbiEEZZNS1_29radix_sort_onesweep_iterationIS3_Lb0EN6thrust23THRUST_200600_302600_NS6detail15normal_iteratorINS8_10device_ptrIbEEEESD_NSA_INSB_IiEEEESF_jNS0_19identity_decomposerENS1_16block_id_wrapperIjLb0EEEEE10hipError_tT1_PNSt15iterator_traitsISK_E10value_typeET2_T3_PNSL_ISQ_E10value_typeET4_T5_PSV_SW_PNS1_23onesweep_lookback_stateEbbT6_jjT7_P12ihipStream_tbENKUlT_T0_SK_SP_E_clISD_PbSF_PiEEDaS13_S14_SK_SP_EUlS13_E_NS1_11comp_targetILNS1_3genE3ELNS1_11target_archE908ELNS1_3gpuE7ELNS1_3repE0EEENS1_47radix_sort_onesweep_sort_config_static_selectorELNS0_4arch9wavefront6targetE1EEEvSK_.has_dyn_sized_stack, 0
	.set _ZN7rocprim17ROCPRIM_400000_NS6detail17trampoline_kernelINS0_14default_configENS1_35radix_sort_onesweep_config_selectorIbiEEZZNS1_29radix_sort_onesweep_iterationIS3_Lb0EN6thrust23THRUST_200600_302600_NS6detail15normal_iteratorINS8_10device_ptrIbEEEESD_NSA_INSB_IiEEEESF_jNS0_19identity_decomposerENS1_16block_id_wrapperIjLb0EEEEE10hipError_tT1_PNSt15iterator_traitsISK_E10value_typeET2_T3_PNSL_ISQ_E10value_typeET4_T5_PSV_SW_PNS1_23onesweep_lookback_stateEbbT6_jjT7_P12ihipStream_tbENKUlT_T0_SK_SP_E_clISD_PbSF_PiEEDaS13_S14_SK_SP_EUlS13_E_NS1_11comp_targetILNS1_3genE3ELNS1_11target_archE908ELNS1_3gpuE7ELNS1_3repE0EEENS1_47radix_sort_onesweep_sort_config_static_selectorELNS0_4arch9wavefront6targetE1EEEvSK_.has_recursion, 0
	.set _ZN7rocprim17ROCPRIM_400000_NS6detail17trampoline_kernelINS0_14default_configENS1_35radix_sort_onesweep_config_selectorIbiEEZZNS1_29radix_sort_onesweep_iterationIS3_Lb0EN6thrust23THRUST_200600_302600_NS6detail15normal_iteratorINS8_10device_ptrIbEEEESD_NSA_INSB_IiEEEESF_jNS0_19identity_decomposerENS1_16block_id_wrapperIjLb0EEEEE10hipError_tT1_PNSt15iterator_traitsISK_E10value_typeET2_T3_PNSL_ISQ_E10value_typeET4_T5_PSV_SW_PNS1_23onesweep_lookback_stateEbbT6_jjT7_P12ihipStream_tbENKUlT_T0_SK_SP_E_clISD_PbSF_PiEEDaS13_S14_SK_SP_EUlS13_E_NS1_11comp_targetILNS1_3genE3ELNS1_11target_archE908ELNS1_3gpuE7ELNS1_3repE0EEENS1_47radix_sort_onesweep_sort_config_static_selectorELNS0_4arch9wavefront6targetE1EEEvSK_.has_indirect_call, 0
	.section	.AMDGPU.csdata,"",@progbits
; Kernel info:
; codeLenInByte = 0
; TotalNumSgprs: 6
; NumVgprs: 0
; NumAgprs: 0
; TotalNumVgprs: 0
; ScratchSize: 0
; MemoryBound: 0
; FloatMode: 240
; IeeeMode: 1
; LDSByteSize: 0 bytes/workgroup (compile time only)
; SGPRBlocks: 0
; VGPRBlocks: 0
; NumSGPRsForWavesPerEU: 6
; NumVGPRsForWavesPerEU: 1
; AccumOffset: 4
; Occupancy: 8
; WaveLimiterHint : 0
; COMPUTE_PGM_RSRC2:SCRATCH_EN: 0
; COMPUTE_PGM_RSRC2:USER_SGPR: 2
; COMPUTE_PGM_RSRC2:TRAP_HANDLER: 0
; COMPUTE_PGM_RSRC2:TGID_X_EN: 1
; COMPUTE_PGM_RSRC2:TGID_Y_EN: 0
; COMPUTE_PGM_RSRC2:TGID_Z_EN: 0
; COMPUTE_PGM_RSRC2:TIDIG_COMP_CNT: 0
; COMPUTE_PGM_RSRC3_GFX90A:ACCUM_OFFSET: 0
; COMPUTE_PGM_RSRC3_GFX90A:TG_SPLIT: 0
	.section	.text._ZN7rocprim17ROCPRIM_400000_NS6detail17trampoline_kernelINS0_14default_configENS1_35radix_sort_onesweep_config_selectorIbiEEZZNS1_29radix_sort_onesweep_iterationIS3_Lb0EN6thrust23THRUST_200600_302600_NS6detail15normal_iteratorINS8_10device_ptrIbEEEESD_NSA_INSB_IiEEEESF_jNS0_19identity_decomposerENS1_16block_id_wrapperIjLb0EEEEE10hipError_tT1_PNSt15iterator_traitsISK_E10value_typeET2_T3_PNSL_ISQ_E10value_typeET4_T5_PSV_SW_PNS1_23onesweep_lookback_stateEbbT6_jjT7_P12ihipStream_tbENKUlT_T0_SK_SP_E_clISD_PbSF_PiEEDaS13_S14_SK_SP_EUlS13_E_NS1_11comp_targetILNS1_3genE10ELNS1_11target_archE1201ELNS1_3gpuE5ELNS1_3repE0EEENS1_47radix_sort_onesweep_sort_config_static_selectorELNS0_4arch9wavefront6targetE1EEEvSK_,"axG",@progbits,_ZN7rocprim17ROCPRIM_400000_NS6detail17trampoline_kernelINS0_14default_configENS1_35radix_sort_onesweep_config_selectorIbiEEZZNS1_29radix_sort_onesweep_iterationIS3_Lb0EN6thrust23THRUST_200600_302600_NS6detail15normal_iteratorINS8_10device_ptrIbEEEESD_NSA_INSB_IiEEEESF_jNS0_19identity_decomposerENS1_16block_id_wrapperIjLb0EEEEE10hipError_tT1_PNSt15iterator_traitsISK_E10value_typeET2_T3_PNSL_ISQ_E10value_typeET4_T5_PSV_SW_PNS1_23onesweep_lookback_stateEbbT6_jjT7_P12ihipStream_tbENKUlT_T0_SK_SP_E_clISD_PbSF_PiEEDaS13_S14_SK_SP_EUlS13_E_NS1_11comp_targetILNS1_3genE10ELNS1_11target_archE1201ELNS1_3gpuE5ELNS1_3repE0EEENS1_47radix_sort_onesweep_sort_config_static_selectorELNS0_4arch9wavefront6targetE1EEEvSK_,comdat
	.protected	_ZN7rocprim17ROCPRIM_400000_NS6detail17trampoline_kernelINS0_14default_configENS1_35radix_sort_onesweep_config_selectorIbiEEZZNS1_29radix_sort_onesweep_iterationIS3_Lb0EN6thrust23THRUST_200600_302600_NS6detail15normal_iteratorINS8_10device_ptrIbEEEESD_NSA_INSB_IiEEEESF_jNS0_19identity_decomposerENS1_16block_id_wrapperIjLb0EEEEE10hipError_tT1_PNSt15iterator_traitsISK_E10value_typeET2_T3_PNSL_ISQ_E10value_typeET4_T5_PSV_SW_PNS1_23onesweep_lookback_stateEbbT6_jjT7_P12ihipStream_tbENKUlT_T0_SK_SP_E_clISD_PbSF_PiEEDaS13_S14_SK_SP_EUlS13_E_NS1_11comp_targetILNS1_3genE10ELNS1_11target_archE1201ELNS1_3gpuE5ELNS1_3repE0EEENS1_47radix_sort_onesweep_sort_config_static_selectorELNS0_4arch9wavefront6targetE1EEEvSK_ ; -- Begin function _ZN7rocprim17ROCPRIM_400000_NS6detail17trampoline_kernelINS0_14default_configENS1_35radix_sort_onesweep_config_selectorIbiEEZZNS1_29radix_sort_onesweep_iterationIS3_Lb0EN6thrust23THRUST_200600_302600_NS6detail15normal_iteratorINS8_10device_ptrIbEEEESD_NSA_INSB_IiEEEESF_jNS0_19identity_decomposerENS1_16block_id_wrapperIjLb0EEEEE10hipError_tT1_PNSt15iterator_traitsISK_E10value_typeET2_T3_PNSL_ISQ_E10value_typeET4_T5_PSV_SW_PNS1_23onesweep_lookback_stateEbbT6_jjT7_P12ihipStream_tbENKUlT_T0_SK_SP_E_clISD_PbSF_PiEEDaS13_S14_SK_SP_EUlS13_E_NS1_11comp_targetILNS1_3genE10ELNS1_11target_archE1201ELNS1_3gpuE5ELNS1_3repE0EEENS1_47radix_sort_onesweep_sort_config_static_selectorELNS0_4arch9wavefront6targetE1EEEvSK_
	.globl	_ZN7rocprim17ROCPRIM_400000_NS6detail17trampoline_kernelINS0_14default_configENS1_35radix_sort_onesweep_config_selectorIbiEEZZNS1_29radix_sort_onesweep_iterationIS3_Lb0EN6thrust23THRUST_200600_302600_NS6detail15normal_iteratorINS8_10device_ptrIbEEEESD_NSA_INSB_IiEEEESF_jNS0_19identity_decomposerENS1_16block_id_wrapperIjLb0EEEEE10hipError_tT1_PNSt15iterator_traitsISK_E10value_typeET2_T3_PNSL_ISQ_E10value_typeET4_T5_PSV_SW_PNS1_23onesweep_lookback_stateEbbT6_jjT7_P12ihipStream_tbENKUlT_T0_SK_SP_E_clISD_PbSF_PiEEDaS13_S14_SK_SP_EUlS13_E_NS1_11comp_targetILNS1_3genE10ELNS1_11target_archE1201ELNS1_3gpuE5ELNS1_3repE0EEENS1_47radix_sort_onesweep_sort_config_static_selectorELNS0_4arch9wavefront6targetE1EEEvSK_
	.p2align	8
	.type	_ZN7rocprim17ROCPRIM_400000_NS6detail17trampoline_kernelINS0_14default_configENS1_35radix_sort_onesweep_config_selectorIbiEEZZNS1_29radix_sort_onesweep_iterationIS3_Lb0EN6thrust23THRUST_200600_302600_NS6detail15normal_iteratorINS8_10device_ptrIbEEEESD_NSA_INSB_IiEEEESF_jNS0_19identity_decomposerENS1_16block_id_wrapperIjLb0EEEEE10hipError_tT1_PNSt15iterator_traitsISK_E10value_typeET2_T3_PNSL_ISQ_E10value_typeET4_T5_PSV_SW_PNS1_23onesweep_lookback_stateEbbT6_jjT7_P12ihipStream_tbENKUlT_T0_SK_SP_E_clISD_PbSF_PiEEDaS13_S14_SK_SP_EUlS13_E_NS1_11comp_targetILNS1_3genE10ELNS1_11target_archE1201ELNS1_3gpuE5ELNS1_3repE0EEENS1_47radix_sort_onesweep_sort_config_static_selectorELNS0_4arch9wavefront6targetE1EEEvSK_,@function
_ZN7rocprim17ROCPRIM_400000_NS6detail17trampoline_kernelINS0_14default_configENS1_35radix_sort_onesweep_config_selectorIbiEEZZNS1_29radix_sort_onesweep_iterationIS3_Lb0EN6thrust23THRUST_200600_302600_NS6detail15normal_iteratorINS8_10device_ptrIbEEEESD_NSA_INSB_IiEEEESF_jNS0_19identity_decomposerENS1_16block_id_wrapperIjLb0EEEEE10hipError_tT1_PNSt15iterator_traitsISK_E10value_typeET2_T3_PNSL_ISQ_E10value_typeET4_T5_PSV_SW_PNS1_23onesweep_lookback_stateEbbT6_jjT7_P12ihipStream_tbENKUlT_T0_SK_SP_E_clISD_PbSF_PiEEDaS13_S14_SK_SP_EUlS13_E_NS1_11comp_targetILNS1_3genE10ELNS1_11target_archE1201ELNS1_3gpuE5ELNS1_3repE0EEENS1_47radix_sort_onesweep_sort_config_static_selectorELNS0_4arch9wavefront6targetE1EEEvSK_: ; @_ZN7rocprim17ROCPRIM_400000_NS6detail17trampoline_kernelINS0_14default_configENS1_35radix_sort_onesweep_config_selectorIbiEEZZNS1_29radix_sort_onesweep_iterationIS3_Lb0EN6thrust23THRUST_200600_302600_NS6detail15normal_iteratorINS8_10device_ptrIbEEEESD_NSA_INSB_IiEEEESF_jNS0_19identity_decomposerENS1_16block_id_wrapperIjLb0EEEEE10hipError_tT1_PNSt15iterator_traitsISK_E10value_typeET2_T3_PNSL_ISQ_E10value_typeET4_T5_PSV_SW_PNS1_23onesweep_lookback_stateEbbT6_jjT7_P12ihipStream_tbENKUlT_T0_SK_SP_E_clISD_PbSF_PiEEDaS13_S14_SK_SP_EUlS13_E_NS1_11comp_targetILNS1_3genE10ELNS1_11target_archE1201ELNS1_3gpuE5ELNS1_3repE0EEENS1_47radix_sort_onesweep_sort_config_static_selectorELNS0_4arch9wavefront6targetE1EEEvSK_
; %bb.0:
	.section	.rodata,"a",@progbits
	.p2align	6, 0x0
	.amdhsa_kernel _ZN7rocprim17ROCPRIM_400000_NS6detail17trampoline_kernelINS0_14default_configENS1_35radix_sort_onesweep_config_selectorIbiEEZZNS1_29radix_sort_onesweep_iterationIS3_Lb0EN6thrust23THRUST_200600_302600_NS6detail15normal_iteratorINS8_10device_ptrIbEEEESD_NSA_INSB_IiEEEESF_jNS0_19identity_decomposerENS1_16block_id_wrapperIjLb0EEEEE10hipError_tT1_PNSt15iterator_traitsISK_E10value_typeET2_T3_PNSL_ISQ_E10value_typeET4_T5_PSV_SW_PNS1_23onesweep_lookback_stateEbbT6_jjT7_P12ihipStream_tbENKUlT_T0_SK_SP_E_clISD_PbSF_PiEEDaS13_S14_SK_SP_EUlS13_E_NS1_11comp_targetILNS1_3genE10ELNS1_11target_archE1201ELNS1_3gpuE5ELNS1_3repE0EEENS1_47radix_sort_onesweep_sort_config_static_selectorELNS0_4arch9wavefront6targetE1EEEvSK_
		.amdhsa_group_segment_fixed_size 0
		.amdhsa_private_segment_fixed_size 0
		.amdhsa_kernarg_size 88
		.amdhsa_user_sgpr_count 2
		.amdhsa_user_sgpr_dispatch_ptr 0
		.amdhsa_user_sgpr_queue_ptr 0
		.amdhsa_user_sgpr_kernarg_segment_ptr 1
		.amdhsa_user_sgpr_dispatch_id 0
		.amdhsa_user_sgpr_kernarg_preload_length 0
		.amdhsa_user_sgpr_kernarg_preload_offset 0
		.amdhsa_user_sgpr_private_segment_size 0
		.amdhsa_uses_dynamic_stack 0
		.amdhsa_enable_private_segment 0
		.amdhsa_system_sgpr_workgroup_id_x 1
		.amdhsa_system_sgpr_workgroup_id_y 0
		.amdhsa_system_sgpr_workgroup_id_z 0
		.amdhsa_system_sgpr_workgroup_info 0
		.amdhsa_system_vgpr_workitem_id 0
		.amdhsa_next_free_vgpr 1
		.amdhsa_next_free_sgpr 0
		.amdhsa_accum_offset 4
		.amdhsa_reserve_vcc 0
		.amdhsa_float_round_mode_32 0
		.amdhsa_float_round_mode_16_64 0
		.amdhsa_float_denorm_mode_32 3
		.amdhsa_float_denorm_mode_16_64 3
		.amdhsa_dx10_clamp 1
		.amdhsa_ieee_mode 1
		.amdhsa_fp16_overflow 0
		.amdhsa_tg_split 0
		.amdhsa_exception_fp_ieee_invalid_op 0
		.amdhsa_exception_fp_denorm_src 0
		.amdhsa_exception_fp_ieee_div_zero 0
		.amdhsa_exception_fp_ieee_overflow 0
		.amdhsa_exception_fp_ieee_underflow 0
		.amdhsa_exception_fp_ieee_inexact 0
		.amdhsa_exception_int_div_zero 0
	.end_amdhsa_kernel
	.section	.text._ZN7rocprim17ROCPRIM_400000_NS6detail17trampoline_kernelINS0_14default_configENS1_35radix_sort_onesweep_config_selectorIbiEEZZNS1_29radix_sort_onesweep_iterationIS3_Lb0EN6thrust23THRUST_200600_302600_NS6detail15normal_iteratorINS8_10device_ptrIbEEEESD_NSA_INSB_IiEEEESF_jNS0_19identity_decomposerENS1_16block_id_wrapperIjLb0EEEEE10hipError_tT1_PNSt15iterator_traitsISK_E10value_typeET2_T3_PNSL_ISQ_E10value_typeET4_T5_PSV_SW_PNS1_23onesweep_lookback_stateEbbT6_jjT7_P12ihipStream_tbENKUlT_T0_SK_SP_E_clISD_PbSF_PiEEDaS13_S14_SK_SP_EUlS13_E_NS1_11comp_targetILNS1_3genE10ELNS1_11target_archE1201ELNS1_3gpuE5ELNS1_3repE0EEENS1_47radix_sort_onesweep_sort_config_static_selectorELNS0_4arch9wavefront6targetE1EEEvSK_,"axG",@progbits,_ZN7rocprim17ROCPRIM_400000_NS6detail17trampoline_kernelINS0_14default_configENS1_35radix_sort_onesweep_config_selectorIbiEEZZNS1_29radix_sort_onesweep_iterationIS3_Lb0EN6thrust23THRUST_200600_302600_NS6detail15normal_iteratorINS8_10device_ptrIbEEEESD_NSA_INSB_IiEEEESF_jNS0_19identity_decomposerENS1_16block_id_wrapperIjLb0EEEEE10hipError_tT1_PNSt15iterator_traitsISK_E10value_typeET2_T3_PNSL_ISQ_E10value_typeET4_T5_PSV_SW_PNS1_23onesweep_lookback_stateEbbT6_jjT7_P12ihipStream_tbENKUlT_T0_SK_SP_E_clISD_PbSF_PiEEDaS13_S14_SK_SP_EUlS13_E_NS1_11comp_targetILNS1_3genE10ELNS1_11target_archE1201ELNS1_3gpuE5ELNS1_3repE0EEENS1_47radix_sort_onesweep_sort_config_static_selectorELNS0_4arch9wavefront6targetE1EEEvSK_,comdat
.Lfunc_end2083:
	.size	_ZN7rocprim17ROCPRIM_400000_NS6detail17trampoline_kernelINS0_14default_configENS1_35radix_sort_onesweep_config_selectorIbiEEZZNS1_29radix_sort_onesweep_iterationIS3_Lb0EN6thrust23THRUST_200600_302600_NS6detail15normal_iteratorINS8_10device_ptrIbEEEESD_NSA_INSB_IiEEEESF_jNS0_19identity_decomposerENS1_16block_id_wrapperIjLb0EEEEE10hipError_tT1_PNSt15iterator_traitsISK_E10value_typeET2_T3_PNSL_ISQ_E10value_typeET4_T5_PSV_SW_PNS1_23onesweep_lookback_stateEbbT6_jjT7_P12ihipStream_tbENKUlT_T0_SK_SP_E_clISD_PbSF_PiEEDaS13_S14_SK_SP_EUlS13_E_NS1_11comp_targetILNS1_3genE10ELNS1_11target_archE1201ELNS1_3gpuE5ELNS1_3repE0EEENS1_47radix_sort_onesweep_sort_config_static_selectorELNS0_4arch9wavefront6targetE1EEEvSK_, .Lfunc_end2083-_ZN7rocprim17ROCPRIM_400000_NS6detail17trampoline_kernelINS0_14default_configENS1_35radix_sort_onesweep_config_selectorIbiEEZZNS1_29radix_sort_onesweep_iterationIS3_Lb0EN6thrust23THRUST_200600_302600_NS6detail15normal_iteratorINS8_10device_ptrIbEEEESD_NSA_INSB_IiEEEESF_jNS0_19identity_decomposerENS1_16block_id_wrapperIjLb0EEEEE10hipError_tT1_PNSt15iterator_traitsISK_E10value_typeET2_T3_PNSL_ISQ_E10value_typeET4_T5_PSV_SW_PNS1_23onesweep_lookback_stateEbbT6_jjT7_P12ihipStream_tbENKUlT_T0_SK_SP_E_clISD_PbSF_PiEEDaS13_S14_SK_SP_EUlS13_E_NS1_11comp_targetILNS1_3genE10ELNS1_11target_archE1201ELNS1_3gpuE5ELNS1_3repE0EEENS1_47radix_sort_onesweep_sort_config_static_selectorELNS0_4arch9wavefront6targetE1EEEvSK_
                                        ; -- End function
	.set _ZN7rocprim17ROCPRIM_400000_NS6detail17trampoline_kernelINS0_14default_configENS1_35radix_sort_onesweep_config_selectorIbiEEZZNS1_29radix_sort_onesweep_iterationIS3_Lb0EN6thrust23THRUST_200600_302600_NS6detail15normal_iteratorINS8_10device_ptrIbEEEESD_NSA_INSB_IiEEEESF_jNS0_19identity_decomposerENS1_16block_id_wrapperIjLb0EEEEE10hipError_tT1_PNSt15iterator_traitsISK_E10value_typeET2_T3_PNSL_ISQ_E10value_typeET4_T5_PSV_SW_PNS1_23onesweep_lookback_stateEbbT6_jjT7_P12ihipStream_tbENKUlT_T0_SK_SP_E_clISD_PbSF_PiEEDaS13_S14_SK_SP_EUlS13_E_NS1_11comp_targetILNS1_3genE10ELNS1_11target_archE1201ELNS1_3gpuE5ELNS1_3repE0EEENS1_47radix_sort_onesweep_sort_config_static_selectorELNS0_4arch9wavefront6targetE1EEEvSK_.num_vgpr, 0
	.set _ZN7rocprim17ROCPRIM_400000_NS6detail17trampoline_kernelINS0_14default_configENS1_35radix_sort_onesweep_config_selectorIbiEEZZNS1_29radix_sort_onesweep_iterationIS3_Lb0EN6thrust23THRUST_200600_302600_NS6detail15normal_iteratorINS8_10device_ptrIbEEEESD_NSA_INSB_IiEEEESF_jNS0_19identity_decomposerENS1_16block_id_wrapperIjLb0EEEEE10hipError_tT1_PNSt15iterator_traitsISK_E10value_typeET2_T3_PNSL_ISQ_E10value_typeET4_T5_PSV_SW_PNS1_23onesweep_lookback_stateEbbT6_jjT7_P12ihipStream_tbENKUlT_T0_SK_SP_E_clISD_PbSF_PiEEDaS13_S14_SK_SP_EUlS13_E_NS1_11comp_targetILNS1_3genE10ELNS1_11target_archE1201ELNS1_3gpuE5ELNS1_3repE0EEENS1_47radix_sort_onesweep_sort_config_static_selectorELNS0_4arch9wavefront6targetE1EEEvSK_.num_agpr, 0
	.set _ZN7rocprim17ROCPRIM_400000_NS6detail17trampoline_kernelINS0_14default_configENS1_35radix_sort_onesweep_config_selectorIbiEEZZNS1_29radix_sort_onesweep_iterationIS3_Lb0EN6thrust23THRUST_200600_302600_NS6detail15normal_iteratorINS8_10device_ptrIbEEEESD_NSA_INSB_IiEEEESF_jNS0_19identity_decomposerENS1_16block_id_wrapperIjLb0EEEEE10hipError_tT1_PNSt15iterator_traitsISK_E10value_typeET2_T3_PNSL_ISQ_E10value_typeET4_T5_PSV_SW_PNS1_23onesweep_lookback_stateEbbT6_jjT7_P12ihipStream_tbENKUlT_T0_SK_SP_E_clISD_PbSF_PiEEDaS13_S14_SK_SP_EUlS13_E_NS1_11comp_targetILNS1_3genE10ELNS1_11target_archE1201ELNS1_3gpuE5ELNS1_3repE0EEENS1_47radix_sort_onesweep_sort_config_static_selectorELNS0_4arch9wavefront6targetE1EEEvSK_.numbered_sgpr, 0
	.set _ZN7rocprim17ROCPRIM_400000_NS6detail17trampoline_kernelINS0_14default_configENS1_35radix_sort_onesweep_config_selectorIbiEEZZNS1_29radix_sort_onesweep_iterationIS3_Lb0EN6thrust23THRUST_200600_302600_NS6detail15normal_iteratorINS8_10device_ptrIbEEEESD_NSA_INSB_IiEEEESF_jNS0_19identity_decomposerENS1_16block_id_wrapperIjLb0EEEEE10hipError_tT1_PNSt15iterator_traitsISK_E10value_typeET2_T3_PNSL_ISQ_E10value_typeET4_T5_PSV_SW_PNS1_23onesweep_lookback_stateEbbT6_jjT7_P12ihipStream_tbENKUlT_T0_SK_SP_E_clISD_PbSF_PiEEDaS13_S14_SK_SP_EUlS13_E_NS1_11comp_targetILNS1_3genE10ELNS1_11target_archE1201ELNS1_3gpuE5ELNS1_3repE0EEENS1_47radix_sort_onesweep_sort_config_static_selectorELNS0_4arch9wavefront6targetE1EEEvSK_.num_named_barrier, 0
	.set _ZN7rocprim17ROCPRIM_400000_NS6detail17trampoline_kernelINS0_14default_configENS1_35radix_sort_onesweep_config_selectorIbiEEZZNS1_29radix_sort_onesweep_iterationIS3_Lb0EN6thrust23THRUST_200600_302600_NS6detail15normal_iteratorINS8_10device_ptrIbEEEESD_NSA_INSB_IiEEEESF_jNS0_19identity_decomposerENS1_16block_id_wrapperIjLb0EEEEE10hipError_tT1_PNSt15iterator_traitsISK_E10value_typeET2_T3_PNSL_ISQ_E10value_typeET4_T5_PSV_SW_PNS1_23onesweep_lookback_stateEbbT6_jjT7_P12ihipStream_tbENKUlT_T0_SK_SP_E_clISD_PbSF_PiEEDaS13_S14_SK_SP_EUlS13_E_NS1_11comp_targetILNS1_3genE10ELNS1_11target_archE1201ELNS1_3gpuE5ELNS1_3repE0EEENS1_47radix_sort_onesweep_sort_config_static_selectorELNS0_4arch9wavefront6targetE1EEEvSK_.private_seg_size, 0
	.set _ZN7rocprim17ROCPRIM_400000_NS6detail17trampoline_kernelINS0_14default_configENS1_35radix_sort_onesweep_config_selectorIbiEEZZNS1_29radix_sort_onesweep_iterationIS3_Lb0EN6thrust23THRUST_200600_302600_NS6detail15normal_iteratorINS8_10device_ptrIbEEEESD_NSA_INSB_IiEEEESF_jNS0_19identity_decomposerENS1_16block_id_wrapperIjLb0EEEEE10hipError_tT1_PNSt15iterator_traitsISK_E10value_typeET2_T3_PNSL_ISQ_E10value_typeET4_T5_PSV_SW_PNS1_23onesweep_lookback_stateEbbT6_jjT7_P12ihipStream_tbENKUlT_T0_SK_SP_E_clISD_PbSF_PiEEDaS13_S14_SK_SP_EUlS13_E_NS1_11comp_targetILNS1_3genE10ELNS1_11target_archE1201ELNS1_3gpuE5ELNS1_3repE0EEENS1_47radix_sort_onesweep_sort_config_static_selectorELNS0_4arch9wavefront6targetE1EEEvSK_.uses_vcc, 0
	.set _ZN7rocprim17ROCPRIM_400000_NS6detail17trampoline_kernelINS0_14default_configENS1_35radix_sort_onesweep_config_selectorIbiEEZZNS1_29radix_sort_onesweep_iterationIS3_Lb0EN6thrust23THRUST_200600_302600_NS6detail15normal_iteratorINS8_10device_ptrIbEEEESD_NSA_INSB_IiEEEESF_jNS0_19identity_decomposerENS1_16block_id_wrapperIjLb0EEEEE10hipError_tT1_PNSt15iterator_traitsISK_E10value_typeET2_T3_PNSL_ISQ_E10value_typeET4_T5_PSV_SW_PNS1_23onesweep_lookback_stateEbbT6_jjT7_P12ihipStream_tbENKUlT_T0_SK_SP_E_clISD_PbSF_PiEEDaS13_S14_SK_SP_EUlS13_E_NS1_11comp_targetILNS1_3genE10ELNS1_11target_archE1201ELNS1_3gpuE5ELNS1_3repE0EEENS1_47radix_sort_onesweep_sort_config_static_selectorELNS0_4arch9wavefront6targetE1EEEvSK_.uses_flat_scratch, 0
	.set _ZN7rocprim17ROCPRIM_400000_NS6detail17trampoline_kernelINS0_14default_configENS1_35radix_sort_onesweep_config_selectorIbiEEZZNS1_29radix_sort_onesweep_iterationIS3_Lb0EN6thrust23THRUST_200600_302600_NS6detail15normal_iteratorINS8_10device_ptrIbEEEESD_NSA_INSB_IiEEEESF_jNS0_19identity_decomposerENS1_16block_id_wrapperIjLb0EEEEE10hipError_tT1_PNSt15iterator_traitsISK_E10value_typeET2_T3_PNSL_ISQ_E10value_typeET4_T5_PSV_SW_PNS1_23onesweep_lookback_stateEbbT6_jjT7_P12ihipStream_tbENKUlT_T0_SK_SP_E_clISD_PbSF_PiEEDaS13_S14_SK_SP_EUlS13_E_NS1_11comp_targetILNS1_3genE10ELNS1_11target_archE1201ELNS1_3gpuE5ELNS1_3repE0EEENS1_47radix_sort_onesweep_sort_config_static_selectorELNS0_4arch9wavefront6targetE1EEEvSK_.has_dyn_sized_stack, 0
	.set _ZN7rocprim17ROCPRIM_400000_NS6detail17trampoline_kernelINS0_14default_configENS1_35radix_sort_onesweep_config_selectorIbiEEZZNS1_29radix_sort_onesweep_iterationIS3_Lb0EN6thrust23THRUST_200600_302600_NS6detail15normal_iteratorINS8_10device_ptrIbEEEESD_NSA_INSB_IiEEEESF_jNS0_19identity_decomposerENS1_16block_id_wrapperIjLb0EEEEE10hipError_tT1_PNSt15iterator_traitsISK_E10value_typeET2_T3_PNSL_ISQ_E10value_typeET4_T5_PSV_SW_PNS1_23onesweep_lookback_stateEbbT6_jjT7_P12ihipStream_tbENKUlT_T0_SK_SP_E_clISD_PbSF_PiEEDaS13_S14_SK_SP_EUlS13_E_NS1_11comp_targetILNS1_3genE10ELNS1_11target_archE1201ELNS1_3gpuE5ELNS1_3repE0EEENS1_47radix_sort_onesweep_sort_config_static_selectorELNS0_4arch9wavefront6targetE1EEEvSK_.has_recursion, 0
	.set _ZN7rocprim17ROCPRIM_400000_NS6detail17trampoline_kernelINS0_14default_configENS1_35radix_sort_onesweep_config_selectorIbiEEZZNS1_29radix_sort_onesweep_iterationIS3_Lb0EN6thrust23THRUST_200600_302600_NS6detail15normal_iteratorINS8_10device_ptrIbEEEESD_NSA_INSB_IiEEEESF_jNS0_19identity_decomposerENS1_16block_id_wrapperIjLb0EEEEE10hipError_tT1_PNSt15iterator_traitsISK_E10value_typeET2_T3_PNSL_ISQ_E10value_typeET4_T5_PSV_SW_PNS1_23onesweep_lookback_stateEbbT6_jjT7_P12ihipStream_tbENKUlT_T0_SK_SP_E_clISD_PbSF_PiEEDaS13_S14_SK_SP_EUlS13_E_NS1_11comp_targetILNS1_3genE10ELNS1_11target_archE1201ELNS1_3gpuE5ELNS1_3repE0EEENS1_47radix_sort_onesweep_sort_config_static_selectorELNS0_4arch9wavefront6targetE1EEEvSK_.has_indirect_call, 0
	.section	.AMDGPU.csdata,"",@progbits
; Kernel info:
; codeLenInByte = 0
; TotalNumSgprs: 6
; NumVgprs: 0
; NumAgprs: 0
; TotalNumVgprs: 0
; ScratchSize: 0
; MemoryBound: 0
; FloatMode: 240
; IeeeMode: 1
; LDSByteSize: 0 bytes/workgroup (compile time only)
; SGPRBlocks: 0
; VGPRBlocks: 0
; NumSGPRsForWavesPerEU: 6
; NumVGPRsForWavesPerEU: 1
; AccumOffset: 4
; Occupancy: 8
; WaveLimiterHint : 0
; COMPUTE_PGM_RSRC2:SCRATCH_EN: 0
; COMPUTE_PGM_RSRC2:USER_SGPR: 2
; COMPUTE_PGM_RSRC2:TRAP_HANDLER: 0
; COMPUTE_PGM_RSRC2:TGID_X_EN: 1
; COMPUTE_PGM_RSRC2:TGID_Y_EN: 0
; COMPUTE_PGM_RSRC2:TGID_Z_EN: 0
; COMPUTE_PGM_RSRC2:TIDIG_COMP_CNT: 0
; COMPUTE_PGM_RSRC3_GFX90A:ACCUM_OFFSET: 0
; COMPUTE_PGM_RSRC3_GFX90A:TG_SPLIT: 0
	.section	.text._ZN7rocprim17ROCPRIM_400000_NS6detail17trampoline_kernelINS0_14default_configENS1_35radix_sort_onesweep_config_selectorIbiEEZZNS1_29radix_sort_onesweep_iterationIS3_Lb0EN6thrust23THRUST_200600_302600_NS6detail15normal_iteratorINS8_10device_ptrIbEEEESD_NSA_INSB_IiEEEESF_jNS0_19identity_decomposerENS1_16block_id_wrapperIjLb0EEEEE10hipError_tT1_PNSt15iterator_traitsISK_E10value_typeET2_T3_PNSL_ISQ_E10value_typeET4_T5_PSV_SW_PNS1_23onesweep_lookback_stateEbbT6_jjT7_P12ihipStream_tbENKUlT_T0_SK_SP_E_clISD_PbSF_PiEEDaS13_S14_SK_SP_EUlS13_E_NS1_11comp_targetILNS1_3genE9ELNS1_11target_archE1100ELNS1_3gpuE3ELNS1_3repE0EEENS1_47radix_sort_onesweep_sort_config_static_selectorELNS0_4arch9wavefront6targetE1EEEvSK_,"axG",@progbits,_ZN7rocprim17ROCPRIM_400000_NS6detail17trampoline_kernelINS0_14default_configENS1_35radix_sort_onesweep_config_selectorIbiEEZZNS1_29radix_sort_onesweep_iterationIS3_Lb0EN6thrust23THRUST_200600_302600_NS6detail15normal_iteratorINS8_10device_ptrIbEEEESD_NSA_INSB_IiEEEESF_jNS0_19identity_decomposerENS1_16block_id_wrapperIjLb0EEEEE10hipError_tT1_PNSt15iterator_traitsISK_E10value_typeET2_T3_PNSL_ISQ_E10value_typeET4_T5_PSV_SW_PNS1_23onesweep_lookback_stateEbbT6_jjT7_P12ihipStream_tbENKUlT_T0_SK_SP_E_clISD_PbSF_PiEEDaS13_S14_SK_SP_EUlS13_E_NS1_11comp_targetILNS1_3genE9ELNS1_11target_archE1100ELNS1_3gpuE3ELNS1_3repE0EEENS1_47radix_sort_onesweep_sort_config_static_selectorELNS0_4arch9wavefront6targetE1EEEvSK_,comdat
	.protected	_ZN7rocprim17ROCPRIM_400000_NS6detail17trampoline_kernelINS0_14default_configENS1_35radix_sort_onesweep_config_selectorIbiEEZZNS1_29radix_sort_onesweep_iterationIS3_Lb0EN6thrust23THRUST_200600_302600_NS6detail15normal_iteratorINS8_10device_ptrIbEEEESD_NSA_INSB_IiEEEESF_jNS0_19identity_decomposerENS1_16block_id_wrapperIjLb0EEEEE10hipError_tT1_PNSt15iterator_traitsISK_E10value_typeET2_T3_PNSL_ISQ_E10value_typeET4_T5_PSV_SW_PNS1_23onesweep_lookback_stateEbbT6_jjT7_P12ihipStream_tbENKUlT_T0_SK_SP_E_clISD_PbSF_PiEEDaS13_S14_SK_SP_EUlS13_E_NS1_11comp_targetILNS1_3genE9ELNS1_11target_archE1100ELNS1_3gpuE3ELNS1_3repE0EEENS1_47radix_sort_onesweep_sort_config_static_selectorELNS0_4arch9wavefront6targetE1EEEvSK_ ; -- Begin function _ZN7rocprim17ROCPRIM_400000_NS6detail17trampoline_kernelINS0_14default_configENS1_35radix_sort_onesweep_config_selectorIbiEEZZNS1_29radix_sort_onesweep_iterationIS3_Lb0EN6thrust23THRUST_200600_302600_NS6detail15normal_iteratorINS8_10device_ptrIbEEEESD_NSA_INSB_IiEEEESF_jNS0_19identity_decomposerENS1_16block_id_wrapperIjLb0EEEEE10hipError_tT1_PNSt15iterator_traitsISK_E10value_typeET2_T3_PNSL_ISQ_E10value_typeET4_T5_PSV_SW_PNS1_23onesweep_lookback_stateEbbT6_jjT7_P12ihipStream_tbENKUlT_T0_SK_SP_E_clISD_PbSF_PiEEDaS13_S14_SK_SP_EUlS13_E_NS1_11comp_targetILNS1_3genE9ELNS1_11target_archE1100ELNS1_3gpuE3ELNS1_3repE0EEENS1_47radix_sort_onesweep_sort_config_static_selectorELNS0_4arch9wavefront6targetE1EEEvSK_
	.globl	_ZN7rocprim17ROCPRIM_400000_NS6detail17trampoline_kernelINS0_14default_configENS1_35radix_sort_onesweep_config_selectorIbiEEZZNS1_29radix_sort_onesweep_iterationIS3_Lb0EN6thrust23THRUST_200600_302600_NS6detail15normal_iteratorINS8_10device_ptrIbEEEESD_NSA_INSB_IiEEEESF_jNS0_19identity_decomposerENS1_16block_id_wrapperIjLb0EEEEE10hipError_tT1_PNSt15iterator_traitsISK_E10value_typeET2_T3_PNSL_ISQ_E10value_typeET4_T5_PSV_SW_PNS1_23onesweep_lookback_stateEbbT6_jjT7_P12ihipStream_tbENKUlT_T0_SK_SP_E_clISD_PbSF_PiEEDaS13_S14_SK_SP_EUlS13_E_NS1_11comp_targetILNS1_3genE9ELNS1_11target_archE1100ELNS1_3gpuE3ELNS1_3repE0EEENS1_47radix_sort_onesweep_sort_config_static_selectorELNS0_4arch9wavefront6targetE1EEEvSK_
	.p2align	8
	.type	_ZN7rocprim17ROCPRIM_400000_NS6detail17trampoline_kernelINS0_14default_configENS1_35radix_sort_onesweep_config_selectorIbiEEZZNS1_29radix_sort_onesweep_iterationIS3_Lb0EN6thrust23THRUST_200600_302600_NS6detail15normal_iteratorINS8_10device_ptrIbEEEESD_NSA_INSB_IiEEEESF_jNS0_19identity_decomposerENS1_16block_id_wrapperIjLb0EEEEE10hipError_tT1_PNSt15iterator_traitsISK_E10value_typeET2_T3_PNSL_ISQ_E10value_typeET4_T5_PSV_SW_PNS1_23onesweep_lookback_stateEbbT6_jjT7_P12ihipStream_tbENKUlT_T0_SK_SP_E_clISD_PbSF_PiEEDaS13_S14_SK_SP_EUlS13_E_NS1_11comp_targetILNS1_3genE9ELNS1_11target_archE1100ELNS1_3gpuE3ELNS1_3repE0EEENS1_47radix_sort_onesweep_sort_config_static_selectorELNS0_4arch9wavefront6targetE1EEEvSK_,@function
_ZN7rocprim17ROCPRIM_400000_NS6detail17trampoline_kernelINS0_14default_configENS1_35radix_sort_onesweep_config_selectorIbiEEZZNS1_29radix_sort_onesweep_iterationIS3_Lb0EN6thrust23THRUST_200600_302600_NS6detail15normal_iteratorINS8_10device_ptrIbEEEESD_NSA_INSB_IiEEEESF_jNS0_19identity_decomposerENS1_16block_id_wrapperIjLb0EEEEE10hipError_tT1_PNSt15iterator_traitsISK_E10value_typeET2_T3_PNSL_ISQ_E10value_typeET4_T5_PSV_SW_PNS1_23onesweep_lookback_stateEbbT6_jjT7_P12ihipStream_tbENKUlT_T0_SK_SP_E_clISD_PbSF_PiEEDaS13_S14_SK_SP_EUlS13_E_NS1_11comp_targetILNS1_3genE9ELNS1_11target_archE1100ELNS1_3gpuE3ELNS1_3repE0EEENS1_47radix_sort_onesweep_sort_config_static_selectorELNS0_4arch9wavefront6targetE1EEEvSK_: ; @_ZN7rocprim17ROCPRIM_400000_NS6detail17trampoline_kernelINS0_14default_configENS1_35radix_sort_onesweep_config_selectorIbiEEZZNS1_29radix_sort_onesweep_iterationIS3_Lb0EN6thrust23THRUST_200600_302600_NS6detail15normal_iteratorINS8_10device_ptrIbEEEESD_NSA_INSB_IiEEEESF_jNS0_19identity_decomposerENS1_16block_id_wrapperIjLb0EEEEE10hipError_tT1_PNSt15iterator_traitsISK_E10value_typeET2_T3_PNSL_ISQ_E10value_typeET4_T5_PSV_SW_PNS1_23onesweep_lookback_stateEbbT6_jjT7_P12ihipStream_tbENKUlT_T0_SK_SP_E_clISD_PbSF_PiEEDaS13_S14_SK_SP_EUlS13_E_NS1_11comp_targetILNS1_3genE9ELNS1_11target_archE1100ELNS1_3gpuE3ELNS1_3repE0EEENS1_47radix_sort_onesweep_sort_config_static_selectorELNS0_4arch9wavefront6targetE1EEEvSK_
; %bb.0:
	.section	.rodata,"a",@progbits
	.p2align	6, 0x0
	.amdhsa_kernel _ZN7rocprim17ROCPRIM_400000_NS6detail17trampoline_kernelINS0_14default_configENS1_35radix_sort_onesweep_config_selectorIbiEEZZNS1_29radix_sort_onesweep_iterationIS3_Lb0EN6thrust23THRUST_200600_302600_NS6detail15normal_iteratorINS8_10device_ptrIbEEEESD_NSA_INSB_IiEEEESF_jNS0_19identity_decomposerENS1_16block_id_wrapperIjLb0EEEEE10hipError_tT1_PNSt15iterator_traitsISK_E10value_typeET2_T3_PNSL_ISQ_E10value_typeET4_T5_PSV_SW_PNS1_23onesweep_lookback_stateEbbT6_jjT7_P12ihipStream_tbENKUlT_T0_SK_SP_E_clISD_PbSF_PiEEDaS13_S14_SK_SP_EUlS13_E_NS1_11comp_targetILNS1_3genE9ELNS1_11target_archE1100ELNS1_3gpuE3ELNS1_3repE0EEENS1_47radix_sort_onesweep_sort_config_static_selectorELNS0_4arch9wavefront6targetE1EEEvSK_
		.amdhsa_group_segment_fixed_size 0
		.amdhsa_private_segment_fixed_size 0
		.amdhsa_kernarg_size 88
		.amdhsa_user_sgpr_count 2
		.amdhsa_user_sgpr_dispatch_ptr 0
		.amdhsa_user_sgpr_queue_ptr 0
		.amdhsa_user_sgpr_kernarg_segment_ptr 1
		.amdhsa_user_sgpr_dispatch_id 0
		.amdhsa_user_sgpr_kernarg_preload_length 0
		.amdhsa_user_sgpr_kernarg_preload_offset 0
		.amdhsa_user_sgpr_private_segment_size 0
		.amdhsa_uses_dynamic_stack 0
		.amdhsa_enable_private_segment 0
		.amdhsa_system_sgpr_workgroup_id_x 1
		.amdhsa_system_sgpr_workgroup_id_y 0
		.amdhsa_system_sgpr_workgroup_id_z 0
		.amdhsa_system_sgpr_workgroup_info 0
		.amdhsa_system_vgpr_workitem_id 0
		.amdhsa_next_free_vgpr 1
		.amdhsa_next_free_sgpr 0
		.amdhsa_accum_offset 4
		.amdhsa_reserve_vcc 0
		.amdhsa_float_round_mode_32 0
		.amdhsa_float_round_mode_16_64 0
		.amdhsa_float_denorm_mode_32 3
		.amdhsa_float_denorm_mode_16_64 3
		.amdhsa_dx10_clamp 1
		.amdhsa_ieee_mode 1
		.amdhsa_fp16_overflow 0
		.amdhsa_tg_split 0
		.amdhsa_exception_fp_ieee_invalid_op 0
		.amdhsa_exception_fp_denorm_src 0
		.amdhsa_exception_fp_ieee_div_zero 0
		.amdhsa_exception_fp_ieee_overflow 0
		.amdhsa_exception_fp_ieee_underflow 0
		.amdhsa_exception_fp_ieee_inexact 0
		.amdhsa_exception_int_div_zero 0
	.end_amdhsa_kernel
	.section	.text._ZN7rocprim17ROCPRIM_400000_NS6detail17trampoline_kernelINS0_14default_configENS1_35radix_sort_onesweep_config_selectorIbiEEZZNS1_29radix_sort_onesweep_iterationIS3_Lb0EN6thrust23THRUST_200600_302600_NS6detail15normal_iteratorINS8_10device_ptrIbEEEESD_NSA_INSB_IiEEEESF_jNS0_19identity_decomposerENS1_16block_id_wrapperIjLb0EEEEE10hipError_tT1_PNSt15iterator_traitsISK_E10value_typeET2_T3_PNSL_ISQ_E10value_typeET4_T5_PSV_SW_PNS1_23onesweep_lookback_stateEbbT6_jjT7_P12ihipStream_tbENKUlT_T0_SK_SP_E_clISD_PbSF_PiEEDaS13_S14_SK_SP_EUlS13_E_NS1_11comp_targetILNS1_3genE9ELNS1_11target_archE1100ELNS1_3gpuE3ELNS1_3repE0EEENS1_47radix_sort_onesweep_sort_config_static_selectorELNS0_4arch9wavefront6targetE1EEEvSK_,"axG",@progbits,_ZN7rocprim17ROCPRIM_400000_NS6detail17trampoline_kernelINS0_14default_configENS1_35radix_sort_onesweep_config_selectorIbiEEZZNS1_29radix_sort_onesweep_iterationIS3_Lb0EN6thrust23THRUST_200600_302600_NS6detail15normal_iteratorINS8_10device_ptrIbEEEESD_NSA_INSB_IiEEEESF_jNS0_19identity_decomposerENS1_16block_id_wrapperIjLb0EEEEE10hipError_tT1_PNSt15iterator_traitsISK_E10value_typeET2_T3_PNSL_ISQ_E10value_typeET4_T5_PSV_SW_PNS1_23onesweep_lookback_stateEbbT6_jjT7_P12ihipStream_tbENKUlT_T0_SK_SP_E_clISD_PbSF_PiEEDaS13_S14_SK_SP_EUlS13_E_NS1_11comp_targetILNS1_3genE9ELNS1_11target_archE1100ELNS1_3gpuE3ELNS1_3repE0EEENS1_47radix_sort_onesweep_sort_config_static_selectorELNS0_4arch9wavefront6targetE1EEEvSK_,comdat
.Lfunc_end2084:
	.size	_ZN7rocprim17ROCPRIM_400000_NS6detail17trampoline_kernelINS0_14default_configENS1_35radix_sort_onesweep_config_selectorIbiEEZZNS1_29radix_sort_onesweep_iterationIS3_Lb0EN6thrust23THRUST_200600_302600_NS6detail15normal_iteratorINS8_10device_ptrIbEEEESD_NSA_INSB_IiEEEESF_jNS0_19identity_decomposerENS1_16block_id_wrapperIjLb0EEEEE10hipError_tT1_PNSt15iterator_traitsISK_E10value_typeET2_T3_PNSL_ISQ_E10value_typeET4_T5_PSV_SW_PNS1_23onesweep_lookback_stateEbbT6_jjT7_P12ihipStream_tbENKUlT_T0_SK_SP_E_clISD_PbSF_PiEEDaS13_S14_SK_SP_EUlS13_E_NS1_11comp_targetILNS1_3genE9ELNS1_11target_archE1100ELNS1_3gpuE3ELNS1_3repE0EEENS1_47radix_sort_onesweep_sort_config_static_selectorELNS0_4arch9wavefront6targetE1EEEvSK_, .Lfunc_end2084-_ZN7rocprim17ROCPRIM_400000_NS6detail17trampoline_kernelINS0_14default_configENS1_35radix_sort_onesweep_config_selectorIbiEEZZNS1_29radix_sort_onesweep_iterationIS3_Lb0EN6thrust23THRUST_200600_302600_NS6detail15normal_iteratorINS8_10device_ptrIbEEEESD_NSA_INSB_IiEEEESF_jNS0_19identity_decomposerENS1_16block_id_wrapperIjLb0EEEEE10hipError_tT1_PNSt15iterator_traitsISK_E10value_typeET2_T3_PNSL_ISQ_E10value_typeET4_T5_PSV_SW_PNS1_23onesweep_lookback_stateEbbT6_jjT7_P12ihipStream_tbENKUlT_T0_SK_SP_E_clISD_PbSF_PiEEDaS13_S14_SK_SP_EUlS13_E_NS1_11comp_targetILNS1_3genE9ELNS1_11target_archE1100ELNS1_3gpuE3ELNS1_3repE0EEENS1_47radix_sort_onesweep_sort_config_static_selectorELNS0_4arch9wavefront6targetE1EEEvSK_
                                        ; -- End function
	.set _ZN7rocprim17ROCPRIM_400000_NS6detail17trampoline_kernelINS0_14default_configENS1_35radix_sort_onesweep_config_selectorIbiEEZZNS1_29radix_sort_onesweep_iterationIS3_Lb0EN6thrust23THRUST_200600_302600_NS6detail15normal_iteratorINS8_10device_ptrIbEEEESD_NSA_INSB_IiEEEESF_jNS0_19identity_decomposerENS1_16block_id_wrapperIjLb0EEEEE10hipError_tT1_PNSt15iterator_traitsISK_E10value_typeET2_T3_PNSL_ISQ_E10value_typeET4_T5_PSV_SW_PNS1_23onesweep_lookback_stateEbbT6_jjT7_P12ihipStream_tbENKUlT_T0_SK_SP_E_clISD_PbSF_PiEEDaS13_S14_SK_SP_EUlS13_E_NS1_11comp_targetILNS1_3genE9ELNS1_11target_archE1100ELNS1_3gpuE3ELNS1_3repE0EEENS1_47radix_sort_onesweep_sort_config_static_selectorELNS0_4arch9wavefront6targetE1EEEvSK_.num_vgpr, 0
	.set _ZN7rocprim17ROCPRIM_400000_NS6detail17trampoline_kernelINS0_14default_configENS1_35radix_sort_onesweep_config_selectorIbiEEZZNS1_29radix_sort_onesweep_iterationIS3_Lb0EN6thrust23THRUST_200600_302600_NS6detail15normal_iteratorINS8_10device_ptrIbEEEESD_NSA_INSB_IiEEEESF_jNS0_19identity_decomposerENS1_16block_id_wrapperIjLb0EEEEE10hipError_tT1_PNSt15iterator_traitsISK_E10value_typeET2_T3_PNSL_ISQ_E10value_typeET4_T5_PSV_SW_PNS1_23onesweep_lookback_stateEbbT6_jjT7_P12ihipStream_tbENKUlT_T0_SK_SP_E_clISD_PbSF_PiEEDaS13_S14_SK_SP_EUlS13_E_NS1_11comp_targetILNS1_3genE9ELNS1_11target_archE1100ELNS1_3gpuE3ELNS1_3repE0EEENS1_47radix_sort_onesweep_sort_config_static_selectorELNS0_4arch9wavefront6targetE1EEEvSK_.num_agpr, 0
	.set _ZN7rocprim17ROCPRIM_400000_NS6detail17trampoline_kernelINS0_14default_configENS1_35radix_sort_onesweep_config_selectorIbiEEZZNS1_29radix_sort_onesweep_iterationIS3_Lb0EN6thrust23THRUST_200600_302600_NS6detail15normal_iteratorINS8_10device_ptrIbEEEESD_NSA_INSB_IiEEEESF_jNS0_19identity_decomposerENS1_16block_id_wrapperIjLb0EEEEE10hipError_tT1_PNSt15iterator_traitsISK_E10value_typeET2_T3_PNSL_ISQ_E10value_typeET4_T5_PSV_SW_PNS1_23onesweep_lookback_stateEbbT6_jjT7_P12ihipStream_tbENKUlT_T0_SK_SP_E_clISD_PbSF_PiEEDaS13_S14_SK_SP_EUlS13_E_NS1_11comp_targetILNS1_3genE9ELNS1_11target_archE1100ELNS1_3gpuE3ELNS1_3repE0EEENS1_47radix_sort_onesweep_sort_config_static_selectorELNS0_4arch9wavefront6targetE1EEEvSK_.numbered_sgpr, 0
	.set _ZN7rocprim17ROCPRIM_400000_NS6detail17trampoline_kernelINS0_14default_configENS1_35radix_sort_onesweep_config_selectorIbiEEZZNS1_29radix_sort_onesweep_iterationIS3_Lb0EN6thrust23THRUST_200600_302600_NS6detail15normal_iteratorINS8_10device_ptrIbEEEESD_NSA_INSB_IiEEEESF_jNS0_19identity_decomposerENS1_16block_id_wrapperIjLb0EEEEE10hipError_tT1_PNSt15iterator_traitsISK_E10value_typeET2_T3_PNSL_ISQ_E10value_typeET4_T5_PSV_SW_PNS1_23onesweep_lookback_stateEbbT6_jjT7_P12ihipStream_tbENKUlT_T0_SK_SP_E_clISD_PbSF_PiEEDaS13_S14_SK_SP_EUlS13_E_NS1_11comp_targetILNS1_3genE9ELNS1_11target_archE1100ELNS1_3gpuE3ELNS1_3repE0EEENS1_47radix_sort_onesweep_sort_config_static_selectorELNS0_4arch9wavefront6targetE1EEEvSK_.num_named_barrier, 0
	.set _ZN7rocprim17ROCPRIM_400000_NS6detail17trampoline_kernelINS0_14default_configENS1_35radix_sort_onesweep_config_selectorIbiEEZZNS1_29radix_sort_onesweep_iterationIS3_Lb0EN6thrust23THRUST_200600_302600_NS6detail15normal_iteratorINS8_10device_ptrIbEEEESD_NSA_INSB_IiEEEESF_jNS0_19identity_decomposerENS1_16block_id_wrapperIjLb0EEEEE10hipError_tT1_PNSt15iterator_traitsISK_E10value_typeET2_T3_PNSL_ISQ_E10value_typeET4_T5_PSV_SW_PNS1_23onesweep_lookback_stateEbbT6_jjT7_P12ihipStream_tbENKUlT_T0_SK_SP_E_clISD_PbSF_PiEEDaS13_S14_SK_SP_EUlS13_E_NS1_11comp_targetILNS1_3genE9ELNS1_11target_archE1100ELNS1_3gpuE3ELNS1_3repE0EEENS1_47radix_sort_onesweep_sort_config_static_selectorELNS0_4arch9wavefront6targetE1EEEvSK_.private_seg_size, 0
	.set _ZN7rocprim17ROCPRIM_400000_NS6detail17trampoline_kernelINS0_14default_configENS1_35radix_sort_onesweep_config_selectorIbiEEZZNS1_29radix_sort_onesweep_iterationIS3_Lb0EN6thrust23THRUST_200600_302600_NS6detail15normal_iteratorINS8_10device_ptrIbEEEESD_NSA_INSB_IiEEEESF_jNS0_19identity_decomposerENS1_16block_id_wrapperIjLb0EEEEE10hipError_tT1_PNSt15iterator_traitsISK_E10value_typeET2_T3_PNSL_ISQ_E10value_typeET4_T5_PSV_SW_PNS1_23onesweep_lookback_stateEbbT6_jjT7_P12ihipStream_tbENKUlT_T0_SK_SP_E_clISD_PbSF_PiEEDaS13_S14_SK_SP_EUlS13_E_NS1_11comp_targetILNS1_3genE9ELNS1_11target_archE1100ELNS1_3gpuE3ELNS1_3repE0EEENS1_47radix_sort_onesweep_sort_config_static_selectorELNS0_4arch9wavefront6targetE1EEEvSK_.uses_vcc, 0
	.set _ZN7rocprim17ROCPRIM_400000_NS6detail17trampoline_kernelINS0_14default_configENS1_35radix_sort_onesweep_config_selectorIbiEEZZNS1_29radix_sort_onesweep_iterationIS3_Lb0EN6thrust23THRUST_200600_302600_NS6detail15normal_iteratorINS8_10device_ptrIbEEEESD_NSA_INSB_IiEEEESF_jNS0_19identity_decomposerENS1_16block_id_wrapperIjLb0EEEEE10hipError_tT1_PNSt15iterator_traitsISK_E10value_typeET2_T3_PNSL_ISQ_E10value_typeET4_T5_PSV_SW_PNS1_23onesweep_lookback_stateEbbT6_jjT7_P12ihipStream_tbENKUlT_T0_SK_SP_E_clISD_PbSF_PiEEDaS13_S14_SK_SP_EUlS13_E_NS1_11comp_targetILNS1_3genE9ELNS1_11target_archE1100ELNS1_3gpuE3ELNS1_3repE0EEENS1_47radix_sort_onesweep_sort_config_static_selectorELNS0_4arch9wavefront6targetE1EEEvSK_.uses_flat_scratch, 0
	.set _ZN7rocprim17ROCPRIM_400000_NS6detail17trampoline_kernelINS0_14default_configENS1_35radix_sort_onesweep_config_selectorIbiEEZZNS1_29radix_sort_onesweep_iterationIS3_Lb0EN6thrust23THRUST_200600_302600_NS6detail15normal_iteratorINS8_10device_ptrIbEEEESD_NSA_INSB_IiEEEESF_jNS0_19identity_decomposerENS1_16block_id_wrapperIjLb0EEEEE10hipError_tT1_PNSt15iterator_traitsISK_E10value_typeET2_T3_PNSL_ISQ_E10value_typeET4_T5_PSV_SW_PNS1_23onesweep_lookback_stateEbbT6_jjT7_P12ihipStream_tbENKUlT_T0_SK_SP_E_clISD_PbSF_PiEEDaS13_S14_SK_SP_EUlS13_E_NS1_11comp_targetILNS1_3genE9ELNS1_11target_archE1100ELNS1_3gpuE3ELNS1_3repE0EEENS1_47radix_sort_onesweep_sort_config_static_selectorELNS0_4arch9wavefront6targetE1EEEvSK_.has_dyn_sized_stack, 0
	.set _ZN7rocprim17ROCPRIM_400000_NS6detail17trampoline_kernelINS0_14default_configENS1_35radix_sort_onesweep_config_selectorIbiEEZZNS1_29radix_sort_onesweep_iterationIS3_Lb0EN6thrust23THRUST_200600_302600_NS6detail15normal_iteratorINS8_10device_ptrIbEEEESD_NSA_INSB_IiEEEESF_jNS0_19identity_decomposerENS1_16block_id_wrapperIjLb0EEEEE10hipError_tT1_PNSt15iterator_traitsISK_E10value_typeET2_T3_PNSL_ISQ_E10value_typeET4_T5_PSV_SW_PNS1_23onesweep_lookback_stateEbbT6_jjT7_P12ihipStream_tbENKUlT_T0_SK_SP_E_clISD_PbSF_PiEEDaS13_S14_SK_SP_EUlS13_E_NS1_11comp_targetILNS1_3genE9ELNS1_11target_archE1100ELNS1_3gpuE3ELNS1_3repE0EEENS1_47radix_sort_onesweep_sort_config_static_selectorELNS0_4arch9wavefront6targetE1EEEvSK_.has_recursion, 0
	.set _ZN7rocprim17ROCPRIM_400000_NS6detail17trampoline_kernelINS0_14default_configENS1_35radix_sort_onesweep_config_selectorIbiEEZZNS1_29radix_sort_onesweep_iterationIS3_Lb0EN6thrust23THRUST_200600_302600_NS6detail15normal_iteratorINS8_10device_ptrIbEEEESD_NSA_INSB_IiEEEESF_jNS0_19identity_decomposerENS1_16block_id_wrapperIjLb0EEEEE10hipError_tT1_PNSt15iterator_traitsISK_E10value_typeET2_T3_PNSL_ISQ_E10value_typeET4_T5_PSV_SW_PNS1_23onesweep_lookback_stateEbbT6_jjT7_P12ihipStream_tbENKUlT_T0_SK_SP_E_clISD_PbSF_PiEEDaS13_S14_SK_SP_EUlS13_E_NS1_11comp_targetILNS1_3genE9ELNS1_11target_archE1100ELNS1_3gpuE3ELNS1_3repE0EEENS1_47radix_sort_onesweep_sort_config_static_selectorELNS0_4arch9wavefront6targetE1EEEvSK_.has_indirect_call, 0
	.section	.AMDGPU.csdata,"",@progbits
; Kernel info:
; codeLenInByte = 0
; TotalNumSgprs: 6
; NumVgprs: 0
; NumAgprs: 0
; TotalNumVgprs: 0
; ScratchSize: 0
; MemoryBound: 0
; FloatMode: 240
; IeeeMode: 1
; LDSByteSize: 0 bytes/workgroup (compile time only)
; SGPRBlocks: 0
; VGPRBlocks: 0
; NumSGPRsForWavesPerEU: 6
; NumVGPRsForWavesPerEU: 1
; AccumOffset: 4
; Occupancy: 8
; WaveLimiterHint : 0
; COMPUTE_PGM_RSRC2:SCRATCH_EN: 0
; COMPUTE_PGM_RSRC2:USER_SGPR: 2
; COMPUTE_PGM_RSRC2:TRAP_HANDLER: 0
; COMPUTE_PGM_RSRC2:TGID_X_EN: 1
; COMPUTE_PGM_RSRC2:TGID_Y_EN: 0
; COMPUTE_PGM_RSRC2:TGID_Z_EN: 0
; COMPUTE_PGM_RSRC2:TIDIG_COMP_CNT: 0
; COMPUTE_PGM_RSRC3_GFX90A:ACCUM_OFFSET: 0
; COMPUTE_PGM_RSRC3_GFX90A:TG_SPLIT: 0
	.section	.text._ZN7rocprim17ROCPRIM_400000_NS6detail17trampoline_kernelINS0_14default_configENS1_35radix_sort_onesweep_config_selectorIbiEEZZNS1_29radix_sort_onesweep_iterationIS3_Lb0EN6thrust23THRUST_200600_302600_NS6detail15normal_iteratorINS8_10device_ptrIbEEEESD_NSA_INSB_IiEEEESF_jNS0_19identity_decomposerENS1_16block_id_wrapperIjLb0EEEEE10hipError_tT1_PNSt15iterator_traitsISK_E10value_typeET2_T3_PNSL_ISQ_E10value_typeET4_T5_PSV_SW_PNS1_23onesweep_lookback_stateEbbT6_jjT7_P12ihipStream_tbENKUlT_T0_SK_SP_E_clISD_PbSF_PiEEDaS13_S14_SK_SP_EUlS13_E_NS1_11comp_targetILNS1_3genE8ELNS1_11target_archE1030ELNS1_3gpuE2ELNS1_3repE0EEENS1_47radix_sort_onesweep_sort_config_static_selectorELNS0_4arch9wavefront6targetE1EEEvSK_,"axG",@progbits,_ZN7rocprim17ROCPRIM_400000_NS6detail17trampoline_kernelINS0_14default_configENS1_35radix_sort_onesweep_config_selectorIbiEEZZNS1_29radix_sort_onesweep_iterationIS3_Lb0EN6thrust23THRUST_200600_302600_NS6detail15normal_iteratorINS8_10device_ptrIbEEEESD_NSA_INSB_IiEEEESF_jNS0_19identity_decomposerENS1_16block_id_wrapperIjLb0EEEEE10hipError_tT1_PNSt15iterator_traitsISK_E10value_typeET2_T3_PNSL_ISQ_E10value_typeET4_T5_PSV_SW_PNS1_23onesweep_lookback_stateEbbT6_jjT7_P12ihipStream_tbENKUlT_T0_SK_SP_E_clISD_PbSF_PiEEDaS13_S14_SK_SP_EUlS13_E_NS1_11comp_targetILNS1_3genE8ELNS1_11target_archE1030ELNS1_3gpuE2ELNS1_3repE0EEENS1_47radix_sort_onesweep_sort_config_static_selectorELNS0_4arch9wavefront6targetE1EEEvSK_,comdat
	.protected	_ZN7rocprim17ROCPRIM_400000_NS6detail17trampoline_kernelINS0_14default_configENS1_35radix_sort_onesweep_config_selectorIbiEEZZNS1_29radix_sort_onesweep_iterationIS3_Lb0EN6thrust23THRUST_200600_302600_NS6detail15normal_iteratorINS8_10device_ptrIbEEEESD_NSA_INSB_IiEEEESF_jNS0_19identity_decomposerENS1_16block_id_wrapperIjLb0EEEEE10hipError_tT1_PNSt15iterator_traitsISK_E10value_typeET2_T3_PNSL_ISQ_E10value_typeET4_T5_PSV_SW_PNS1_23onesweep_lookback_stateEbbT6_jjT7_P12ihipStream_tbENKUlT_T0_SK_SP_E_clISD_PbSF_PiEEDaS13_S14_SK_SP_EUlS13_E_NS1_11comp_targetILNS1_3genE8ELNS1_11target_archE1030ELNS1_3gpuE2ELNS1_3repE0EEENS1_47radix_sort_onesweep_sort_config_static_selectorELNS0_4arch9wavefront6targetE1EEEvSK_ ; -- Begin function _ZN7rocprim17ROCPRIM_400000_NS6detail17trampoline_kernelINS0_14default_configENS1_35radix_sort_onesweep_config_selectorIbiEEZZNS1_29radix_sort_onesweep_iterationIS3_Lb0EN6thrust23THRUST_200600_302600_NS6detail15normal_iteratorINS8_10device_ptrIbEEEESD_NSA_INSB_IiEEEESF_jNS0_19identity_decomposerENS1_16block_id_wrapperIjLb0EEEEE10hipError_tT1_PNSt15iterator_traitsISK_E10value_typeET2_T3_PNSL_ISQ_E10value_typeET4_T5_PSV_SW_PNS1_23onesweep_lookback_stateEbbT6_jjT7_P12ihipStream_tbENKUlT_T0_SK_SP_E_clISD_PbSF_PiEEDaS13_S14_SK_SP_EUlS13_E_NS1_11comp_targetILNS1_3genE8ELNS1_11target_archE1030ELNS1_3gpuE2ELNS1_3repE0EEENS1_47radix_sort_onesweep_sort_config_static_selectorELNS0_4arch9wavefront6targetE1EEEvSK_
	.globl	_ZN7rocprim17ROCPRIM_400000_NS6detail17trampoline_kernelINS0_14default_configENS1_35radix_sort_onesweep_config_selectorIbiEEZZNS1_29radix_sort_onesweep_iterationIS3_Lb0EN6thrust23THRUST_200600_302600_NS6detail15normal_iteratorINS8_10device_ptrIbEEEESD_NSA_INSB_IiEEEESF_jNS0_19identity_decomposerENS1_16block_id_wrapperIjLb0EEEEE10hipError_tT1_PNSt15iterator_traitsISK_E10value_typeET2_T3_PNSL_ISQ_E10value_typeET4_T5_PSV_SW_PNS1_23onesweep_lookback_stateEbbT6_jjT7_P12ihipStream_tbENKUlT_T0_SK_SP_E_clISD_PbSF_PiEEDaS13_S14_SK_SP_EUlS13_E_NS1_11comp_targetILNS1_3genE8ELNS1_11target_archE1030ELNS1_3gpuE2ELNS1_3repE0EEENS1_47radix_sort_onesweep_sort_config_static_selectorELNS0_4arch9wavefront6targetE1EEEvSK_
	.p2align	8
	.type	_ZN7rocprim17ROCPRIM_400000_NS6detail17trampoline_kernelINS0_14default_configENS1_35radix_sort_onesweep_config_selectorIbiEEZZNS1_29radix_sort_onesweep_iterationIS3_Lb0EN6thrust23THRUST_200600_302600_NS6detail15normal_iteratorINS8_10device_ptrIbEEEESD_NSA_INSB_IiEEEESF_jNS0_19identity_decomposerENS1_16block_id_wrapperIjLb0EEEEE10hipError_tT1_PNSt15iterator_traitsISK_E10value_typeET2_T3_PNSL_ISQ_E10value_typeET4_T5_PSV_SW_PNS1_23onesweep_lookback_stateEbbT6_jjT7_P12ihipStream_tbENKUlT_T0_SK_SP_E_clISD_PbSF_PiEEDaS13_S14_SK_SP_EUlS13_E_NS1_11comp_targetILNS1_3genE8ELNS1_11target_archE1030ELNS1_3gpuE2ELNS1_3repE0EEENS1_47radix_sort_onesweep_sort_config_static_selectorELNS0_4arch9wavefront6targetE1EEEvSK_,@function
_ZN7rocprim17ROCPRIM_400000_NS6detail17trampoline_kernelINS0_14default_configENS1_35radix_sort_onesweep_config_selectorIbiEEZZNS1_29radix_sort_onesweep_iterationIS3_Lb0EN6thrust23THRUST_200600_302600_NS6detail15normal_iteratorINS8_10device_ptrIbEEEESD_NSA_INSB_IiEEEESF_jNS0_19identity_decomposerENS1_16block_id_wrapperIjLb0EEEEE10hipError_tT1_PNSt15iterator_traitsISK_E10value_typeET2_T3_PNSL_ISQ_E10value_typeET4_T5_PSV_SW_PNS1_23onesweep_lookback_stateEbbT6_jjT7_P12ihipStream_tbENKUlT_T0_SK_SP_E_clISD_PbSF_PiEEDaS13_S14_SK_SP_EUlS13_E_NS1_11comp_targetILNS1_3genE8ELNS1_11target_archE1030ELNS1_3gpuE2ELNS1_3repE0EEENS1_47radix_sort_onesweep_sort_config_static_selectorELNS0_4arch9wavefront6targetE1EEEvSK_: ; @_ZN7rocprim17ROCPRIM_400000_NS6detail17trampoline_kernelINS0_14default_configENS1_35radix_sort_onesweep_config_selectorIbiEEZZNS1_29radix_sort_onesweep_iterationIS3_Lb0EN6thrust23THRUST_200600_302600_NS6detail15normal_iteratorINS8_10device_ptrIbEEEESD_NSA_INSB_IiEEEESF_jNS0_19identity_decomposerENS1_16block_id_wrapperIjLb0EEEEE10hipError_tT1_PNSt15iterator_traitsISK_E10value_typeET2_T3_PNSL_ISQ_E10value_typeET4_T5_PSV_SW_PNS1_23onesweep_lookback_stateEbbT6_jjT7_P12ihipStream_tbENKUlT_T0_SK_SP_E_clISD_PbSF_PiEEDaS13_S14_SK_SP_EUlS13_E_NS1_11comp_targetILNS1_3genE8ELNS1_11target_archE1030ELNS1_3gpuE2ELNS1_3repE0EEENS1_47radix_sort_onesweep_sort_config_static_selectorELNS0_4arch9wavefront6targetE1EEEvSK_
; %bb.0:
	.section	.rodata,"a",@progbits
	.p2align	6, 0x0
	.amdhsa_kernel _ZN7rocprim17ROCPRIM_400000_NS6detail17trampoline_kernelINS0_14default_configENS1_35radix_sort_onesweep_config_selectorIbiEEZZNS1_29radix_sort_onesweep_iterationIS3_Lb0EN6thrust23THRUST_200600_302600_NS6detail15normal_iteratorINS8_10device_ptrIbEEEESD_NSA_INSB_IiEEEESF_jNS0_19identity_decomposerENS1_16block_id_wrapperIjLb0EEEEE10hipError_tT1_PNSt15iterator_traitsISK_E10value_typeET2_T3_PNSL_ISQ_E10value_typeET4_T5_PSV_SW_PNS1_23onesweep_lookback_stateEbbT6_jjT7_P12ihipStream_tbENKUlT_T0_SK_SP_E_clISD_PbSF_PiEEDaS13_S14_SK_SP_EUlS13_E_NS1_11comp_targetILNS1_3genE8ELNS1_11target_archE1030ELNS1_3gpuE2ELNS1_3repE0EEENS1_47radix_sort_onesweep_sort_config_static_selectorELNS0_4arch9wavefront6targetE1EEEvSK_
		.amdhsa_group_segment_fixed_size 0
		.amdhsa_private_segment_fixed_size 0
		.amdhsa_kernarg_size 88
		.amdhsa_user_sgpr_count 2
		.amdhsa_user_sgpr_dispatch_ptr 0
		.amdhsa_user_sgpr_queue_ptr 0
		.amdhsa_user_sgpr_kernarg_segment_ptr 1
		.amdhsa_user_sgpr_dispatch_id 0
		.amdhsa_user_sgpr_kernarg_preload_length 0
		.amdhsa_user_sgpr_kernarg_preload_offset 0
		.amdhsa_user_sgpr_private_segment_size 0
		.amdhsa_uses_dynamic_stack 0
		.amdhsa_enable_private_segment 0
		.amdhsa_system_sgpr_workgroup_id_x 1
		.amdhsa_system_sgpr_workgroup_id_y 0
		.amdhsa_system_sgpr_workgroup_id_z 0
		.amdhsa_system_sgpr_workgroup_info 0
		.amdhsa_system_vgpr_workitem_id 0
		.amdhsa_next_free_vgpr 1
		.amdhsa_next_free_sgpr 0
		.amdhsa_accum_offset 4
		.amdhsa_reserve_vcc 0
		.amdhsa_float_round_mode_32 0
		.amdhsa_float_round_mode_16_64 0
		.amdhsa_float_denorm_mode_32 3
		.amdhsa_float_denorm_mode_16_64 3
		.amdhsa_dx10_clamp 1
		.amdhsa_ieee_mode 1
		.amdhsa_fp16_overflow 0
		.amdhsa_tg_split 0
		.amdhsa_exception_fp_ieee_invalid_op 0
		.amdhsa_exception_fp_denorm_src 0
		.amdhsa_exception_fp_ieee_div_zero 0
		.amdhsa_exception_fp_ieee_overflow 0
		.amdhsa_exception_fp_ieee_underflow 0
		.amdhsa_exception_fp_ieee_inexact 0
		.amdhsa_exception_int_div_zero 0
	.end_amdhsa_kernel
	.section	.text._ZN7rocprim17ROCPRIM_400000_NS6detail17trampoline_kernelINS0_14default_configENS1_35radix_sort_onesweep_config_selectorIbiEEZZNS1_29radix_sort_onesweep_iterationIS3_Lb0EN6thrust23THRUST_200600_302600_NS6detail15normal_iteratorINS8_10device_ptrIbEEEESD_NSA_INSB_IiEEEESF_jNS0_19identity_decomposerENS1_16block_id_wrapperIjLb0EEEEE10hipError_tT1_PNSt15iterator_traitsISK_E10value_typeET2_T3_PNSL_ISQ_E10value_typeET4_T5_PSV_SW_PNS1_23onesweep_lookback_stateEbbT6_jjT7_P12ihipStream_tbENKUlT_T0_SK_SP_E_clISD_PbSF_PiEEDaS13_S14_SK_SP_EUlS13_E_NS1_11comp_targetILNS1_3genE8ELNS1_11target_archE1030ELNS1_3gpuE2ELNS1_3repE0EEENS1_47radix_sort_onesweep_sort_config_static_selectorELNS0_4arch9wavefront6targetE1EEEvSK_,"axG",@progbits,_ZN7rocprim17ROCPRIM_400000_NS6detail17trampoline_kernelINS0_14default_configENS1_35radix_sort_onesweep_config_selectorIbiEEZZNS1_29radix_sort_onesweep_iterationIS3_Lb0EN6thrust23THRUST_200600_302600_NS6detail15normal_iteratorINS8_10device_ptrIbEEEESD_NSA_INSB_IiEEEESF_jNS0_19identity_decomposerENS1_16block_id_wrapperIjLb0EEEEE10hipError_tT1_PNSt15iterator_traitsISK_E10value_typeET2_T3_PNSL_ISQ_E10value_typeET4_T5_PSV_SW_PNS1_23onesweep_lookback_stateEbbT6_jjT7_P12ihipStream_tbENKUlT_T0_SK_SP_E_clISD_PbSF_PiEEDaS13_S14_SK_SP_EUlS13_E_NS1_11comp_targetILNS1_3genE8ELNS1_11target_archE1030ELNS1_3gpuE2ELNS1_3repE0EEENS1_47radix_sort_onesweep_sort_config_static_selectorELNS0_4arch9wavefront6targetE1EEEvSK_,comdat
.Lfunc_end2085:
	.size	_ZN7rocprim17ROCPRIM_400000_NS6detail17trampoline_kernelINS0_14default_configENS1_35radix_sort_onesweep_config_selectorIbiEEZZNS1_29radix_sort_onesweep_iterationIS3_Lb0EN6thrust23THRUST_200600_302600_NS6detail15normal_iteratorINS8_10device_ptrIbEEEESD_NSA_INSB_IiEEEESF_jNS0_19identity_decomposerENS1_16block_id_wrapperIjLb0EEEEE10hipError_tT1_PNSt15iterator_traitsISK_E10value_typeET2_T3_PNSL_ISQ_E10value_typeET4_T5_PSV_SW_PNS1_23onesweep_lookback_stateEbbT6_jjT7_P12ihipStream_tbENKUlT_T0_SK_SP_E_clISD_PbSF_PiEEDaS13_S14_SK_SP_EUlS13_E_NS1_11comp_targetILNS1_3genE8ELNS1_11target_archE1030ELNS1_3gpuE2ELNS1_3repE0EEENS1_47radix_sort_onesweep_sort_config_static_selectorELNS0_4arch9wavefront6targetE1EEEvSK_, .Lfunc_end2085-_ZN7rocprim17ROCPRIM_400000_NS6detail17trampoline_kernelINS0_14default_configENS1_35radix_sort_onesweep_config_selectorIbiEEZZNS1_29radix_sort_onesweep_iterationIS3_Lb0EN6thrust23THRUST_200600_302600_NS6detail15normal_iteratorINS8_10device_ptrIbEEEESD_NSA_INSB_IiEEEESF_jNS0_19identity_decomposerENS1_16block_id_wrapperIjLb0EEEEE10hipError_tT1_PNSt15iterator_traitsISK_E10value_typeET2_T3_PNSL_ISQ_E10value_typeET4_T5_PSV_SW_PNS1_23onesweep_lookback_stateEbbT6_jjT7_P12ihipStream_tbENKUlT_T0_SK_SP_E_clISD_PbSF_PiEEDaS13_S14_SK_SP_EUlS13_E_NS1_11comp_targetILNS1_3genE8ELNS1_11target_archE1030ELNS1_3gpuE2ELNS1_3repE0EEENS1_47radix_sort_onesweep_sort_config_static_selectorELNS0_4arch9wavefront6targetE1EEEvSK_
                                        ; -- End function
	.set _ZN7rocprim17ROCPRIM_400000_NS6detail17trampoline_kernelINS0_14default_configENS1_35radix_sort_onesweep_config_selectorIbiEEZZNS1_29radix_sort_onesweep_iterationIS3_Lb0EN6thrust23THRUST_200600_302600_NS6detail15normal_iteratorINS8_10device_ptrIbEEEESD_NSA_INSB_IiEEEESF_jNS0_19identity_decomposerENS1_16block_id_wrapperIjLb0EEEEE10hipError_tT1_PNSt15iterator_traitsISK_E10value_typeET2_T3_PNSL_ISQ_E10value_typeET4_T5_PSV_SW_PNS1_23onesweep_lookback_stateEbbT6_jjT7_P12ihipStream_tbENKUlT_T0_SK_SP_E_clISD_PbSF_PiEEDaS13_S14_SK_SP_EUlS13_E_NS1_11comp_targetILNS1_3genE8ELNS1_11target_archE1030ELNS1_3gpuE2ELNS1_3repE0EEENS1_47radix_sort_onesweep_sort_config_static_selectorELNS0_4arch9wavefront6targetE1EEEvSK_.num_vgpr, 0
	.set _ZN7rocprim17ROCPRIM_400000_NS6detail17trampoline_kernelINS0_14default_configENS1_35radix_sort_onesweep_config_selectorIbiEEZZNS1_29radix_sort_onesweep_iterationIS3_Lb0EN6thrust23THRUST_200600_302600_NS6detail15normal_iteratorINS8_10device_ptrIbEEEESD_NSA_INSB_IiEEEESF_jNS0_19identity_decomposerENS1_16block_id_wrapperIjLb0EEEEE10hipError_tT1_PNSt15iterator_traitsISK_E10value_typeET2_T3_PNSL_ISQ_E10value_typeET4_T5_PSV_SW_PNS1_23onesweep_lookback_stateEbbT6_jjT7_P12ihipStream_tbENKUlT_T0_SK_SP_E_clISD_PbSF_PiEEDaS13_S14_SK_SP_EUlS13_E_NS1_11comp_targetILNS1_3genE8ELNS1_11target_archE1030ELNS1_3gpuE2ELNS1_3repE0EEENS1_47radix_sort_onesweep_sort_config_static_selectorELNS0_4arch9wavefront6targetE1EEEvSK_.num_agpr, 0
	.set _ZN7rocprim17ROCPRIM_400000_NS6detail17trampoline_kernelINS0_14default_configENS1_35radix_sort_onesweep_config_selectorIbiEEZZNS1_29radix_sort_onesweep_iterationIS3_Lb0EN6thrust23THRUST_200600_302600_NS6detail15normal_iteratorINS8_10device_ptrIbEEEESD_NSA_INSB_IiEEEESF_jNS0_19identity_decomposerENS1_16block_id_wrapperIjLb0EEEEE10hipError_tT1_PNSt15iterator_traitsISK_E10value_typeET2_T3_PNSL_ISQ_E10value_typeET4_T5_PSV_SW_PNS1_23onesweep_lookback_stateEbbT6_jjT7_P12ihipStream_tbENKUlT_T0_SK_SP_E_clISD_PbSF_PiEEDaS13_S14_SK_SP_EUlS13_E_NS1_11comp_targetILNS1_3genE8ELNS1_11target_archE1030ELNS1_3gpuE2ELNS1_3repE0EEENS1_47radix_sort_onesweep_sort_config_static_selectorELNS0_4arch9wavefront6targetE1EEEvSK_.numbered_sgpr, 0
	.set _ZN7rocprim17ROCPRIM_400000_NS6detail17trampoline_kernelINS0_14default_configENS1_35radix_sort_onesweep_config_selectorIbiEEZZNS1_29radix_sort_onesweep_iterationIS3_Lb0EN6thrust23THRUST_200600_302600_NS6detail15normal_iteratorINS8_10device_ptrIbEEEESD_NSA_INSB_IiEEEESF_jNS0_19identity_decomposerENS1_16block_id_wrapperIjLb0EEEEE10hipError_tT1_PNSt15iterator_traitsISK_E10value_typeET2_T3_PNSL_ISQ_E10value_typeET4_T5_PSV_SW_PNS1_23onesweep_lookback_stateEbbT6_jjT7_P12ihipStream_tbENKUlT_T0_SK_SP_E_clISD_PbSF_PiEEDaS13_S14_SK_SP_EUlS13_E_NS1_11comp_targetILNS1_3genE8ELNS1_11target_archE1030ELNS1_3gpuE2ELNS1_3repE0EEENS1_47radix_sort_onesweep_sort_config_static_selectorELNS0_4arch9wavefront6targetE1EEEvSK_.num_named_barrier, 0
	.set _ZN7rocprim17ROCPRIM_400000_NS6detail17trampoline_kernelINS0_14default_configENS1_35radix_sort_onesweep_config_selectorIbiEEZZNS1_29radix_sort_onesweep_iterationIS3_Lb0EN6thrust23THRUST_200600_302600_NS6detail15normal_iteratorINS8_10device_ptrIbEEEESD_NSA_INSB_IiEEEESF_jNS0_19identity_decomposerENS1_16block_id_wrapperIjLb0EEEEE10hipError_tT1_PNSt15iterator_traitsISK_E10value_typeET2_T3_PNSL_ISQ_E10value_typeET4_T5_PSV_SW_PNS1_23onesweep_lookback_stateEbbT6_jjT7_P12ihipStream_tbENKUlT_T0_SK_SP_E_clISD_PbSF_PiEEDaS13_S14_SK_SP_EUlS13_E_NS1_11comp_targetILNS1_3genE8ELNS1_11target_archE1030ELNS1_3gpuE2ELNS1_3repE0EEENS1_47radix_sort_onesweep_sort_config_static_selectorELNS0_4arch9wavefront6targetE1EEEvSK_.private_seg_size, 0
	.set _ZN7rocprim17ROCPRIM_400000_NS6detail17trampoline_kernelINS0_14default_configENS1_35radix_sort_onesweep_config_selectorIbiEEZZNS1_29radix_sort_onesweep_iterationIS3_Lb0EN6thrust23THRUST_200600_302600_NS6detail15normal_iteratorINS8_10device_ptrIbEEEESD_NSA_INSB_IiEEEESF_jNS0_19identity_decomposerENS1_16block_id_wrapperIjLb0EEEEE10hipError_tT1_PNSt15iterator_traitsISK_E10value_typeET2_T3_PNSL_ISQ_E10value_typeET4_T5_PSV_SW_PNS1_23onesweep_lookback_stateEbbT6_jjT7_P12ihipStream_tbENKUlT_T0_SK_SP_E_clISD_PbSF_PiEEDaS13_S14_SK_SP_EUlS13_E_NS1_11comp_targetILNS1_3genE8ELNS1_11target_archE1030ELNS1_3gpuE2ELNS1_3repE0EEENS1_47radix_sort_onesweep_sort_config_static_selectorELNS0_4arch9wavefront6targetE1EEEvSK_.uses_vcc, 0
	.set _ZN7rocprim17ROCPRIM_400000_NS6detail17trampoline_kernelINS0_14default_configENS1_35radix_sort_onesweep_config_selectorIbiEEZZNS1_29radix_sort_onesweep_iterationIS3_Lb0EN6thrust23THRUST_200600_302600_NS6detail15normal_iteratorINS8_10device_ptrIbEEEESD_NSA_INSB_IiEEEESF_jNS0_19identity_decomposerENS1_16block_id_wrapperIjLb0EEEEE10hipError_tT1_PNSt15iterator_traitsISK_E10value_typeET2_T3_PNSL_ISQ_E10value_typeET4_T5_PSV_SW_PNS1_23onesweep_lookback_stateEbbT6_jjT7_P12ihipStream_tbENKUlT_T0_SK_SP_E_clISD_PbSF_PiEEDaS13_S14_SK_SP_EUlS13_E_NS1_11comp_targetILNS1_3genE8ELNS1_11target_archE1030ELNS1_3gpuE2ELNS1_3repE0EEENS1_47radix_sort_onesweep_sort_config_static_selectorELNS0_4arch9wavefront6targetE1EEEvSK_.uses_flat_scratch, 0
	.set _ZN7rocprim17ROCPRIM_400000_NS6detail17trampoline_kernelINS0_14default_configENS1_35radix_sort_onesweep_config_selectorIbiEEZZNS1_29radix_sort_onesweep_iterationIS3_Lb0EN6thrust23THRUST_200600_302600_NS6detail15normal_iteratorINS8_10device_ptrIbEEEESD_NSA_INSB_IiEEEESF_jNS0_19identity_decomposerENS1_16block_id_wrapperIjLb0EEEEE10hipError_tT1_PNSt15iterator_traitsISK_E10value_typeET2_T3_PNSL_ISQ_E10value_typeET4_T5_PSV_SW_PNS1_23onesweep_lookback_stateEbbT6_jjT7_P12ihipStream_tbENKUlT_T0_SK_SP_E_clISD_PbSF_PiEEDaS13_S14_SK_SP_EUlS13_E_NS1_11comp_targetILNS1_3genE8ELNS1_11target_archE1030ELNS1_3gpuE2ELNS1_3repE0EEENS1_47radix_sort_onesweep_sort_config_static_selectorELNS0_4arch9wavefront6targetE1EEEvSK_.has_dyn_sized_stack, 0
	.set _ZN7rocprim17ROCPRIM_400000_NS6detail17trampoline_kernelINS0_14default_configENS1_35radix_sort_onesweep_config_selectorIbiEEZZNS1_29radix_sort_onesweep_iterationIS3_Lb0EN6thrust23THRUST_200600_302600_NS6detail15normal_iteratorINS8_10device_ptrIbEEEESD_NSA_INSB_IiEEEESF_jNS0_19identity_decomposerENS1_16block_id_wrapperIjLb0EEEEE10hipError_tT1_PNSt15iterator_traitsISK_E10value_typeET2_T3_PNSL_ISQ_E10value_typeET4_T5_PSV_SW_PNS1_23onesweep_lookback_stateEbbT6_jjT7_P12ihipStream_tbENKUlT_T0_SK_SP_E_clISD_PbSF_PiEEDaS13_S14_SK_SP_EUlS13_E_NS1_11comp_targetILNS1_3genE8ELNS1_11target_archE1030ELNS1_3gpuE2ELNS1_3repE0EEENS1_47radix_sort_onesweep_sort_config_static_selectorELNS0_4arch9wavefront6targetE1EEEvSK_.has_recursion, 0
	.set _ZN7rocprim17ROCPRIM_400000_NS6detail17trampoline_kernelINS0_14default_configENS1_35radix_sort_onesweep_config_selectorIbiEEZZNS1_29radix_sort_onesweep_iterationIS3_Lb0EN6thrust23THRUST_200600_302600_NS6detail15normal_iteratorINS8_10device_ptrIbEEEESD_NSA_INSB_IiEEEESF_jNS0_19identity_decomposerENS1_16block_id_wrapperIjLb0EEEEE10hipError_tT1_PNSt15iterator_traitsISK_E10value_typeET2_T3_PNSL_ISQ_E10value_typeET4_T5_PSV_SW_PNS1_23onesweep_lookback_stateEbbT6_jjT7_P12ihipStream_tbENKUlT_T0_SK_SP_E_clISD_PbSF_PiEEDaS13_S14_SK_SP_EUlS13_E_NS1_11comp_targetILNS1_3genE8ELNS1_11target_archE1030ELNS1_3gpuE2ELNS1_3repE0EEENS1_47radix_sort_onesweep_sort_config_static_selectorELNS0_4arch9wavefront6targetE1EEEvSK_.has_indirect_call, 0
	.section	.AMDGPU.csdata,"",@progbits
; Kernel info:
; codeLenInByte = 0
; TotalNumSgprs: 6
; NumVgprs: 0
; NumAgprs: 0
; TotalNumVgprs: 0
; ScratchSize: 0
; MemoryBound: 0
; FloatMode: 240
; IeeeMode: 1
; LDSByteSize: 0 bytes/workgroup (compile time only)
; SGPRBlocks: 0
; VGPRBlocks: 0
; NumSGPRsForWavesPerEU: 6
; NumVGPRsForWavesPerEU: 1
; AccumOffset: 4
; Occupancy: 8
; WaveLimiterHint : 0
; COMPUTE_PGM_RSRC2:SCRATCH_EN: 0
; COMPUTE_PGM_RSRC2:USER_SGPR: 2
; COMPUTE_PGM_RSRC2:TRAP_HANDLER: 0
; COMPUTE_PGM_RSRC2:TGID_X_EN: 1
; COMPUTE_PGM_RSRC2:TGID_Y_EN: 0
; COMPUTE_PGM_RSRC2:TGID_Z_EN: 0
; COMPUTE_PGM_RSRC2:TIDIG_COMP_CNT: 0
; COMPUTE_PGM_RSRC3_GFX90A:ACCUM_OFFSET: 0
; COMPUTE_PGM_RSRC3_GFX90A:TG_SPLIT: 0
	.section	.text._ZN7rocprim17ROCPRIM_400000_NS6detail17trampoline_kernelINS0_14default_configENS1_35radix_sort_onesweep_config_selectorIbiEEZZNS1_29radix_sort_onesweep_iterationIS3_Lb0EN6thrust23THRUST_200600_302600_NS6detail15normal_iteratorINS8_10device_ptrIbEEEESD_NSA_INSB_IiEEEESF_jNS0_19identity_decomposerENS1_16block_id_wrapperIjLb0EEEEE10hipError_tT1_PNSt15iterator_traitsISK_E10value_typeET2_T3_PNSL_ISQ_E10value_typeET4_T5_PSV_SW_PNS1_23onesweep_lookback_stateEbbT6_jjT7_P12ihipStream_tbENKUlT_T0_SK_SP_E_clIPbSD_PiSF_EEDaS13_S14_SK_SP_EUlS13_E_NS1_11comp_targetILNS1_3genE0ELNS1_11target_archE4294967295ELNS1_3gpuE0ELNS1_3repE0EEENS1_47radix_sort_onesweep_sort_config_static_selectorELNS0_4arch9wavefront6targetE1EEEvSK_,"axG",@progbits,_ZN7rocprim17ROCPRIM_400000_NS6detail17trampoline_kernelINS0_14default_configENS1_35radix_sort_onesweep_config_selectorIbiEEZZNS1_29radix_sort_onesweep_iterationIS3_Lb0EN6thrust23THRUST_200600_302600_NS6detail15normal_iteratorINS8_10device_ptrIbEEEESD_NSA_INSB_IiEEEESF_jNS0_19identity_decomposerENS1_16block_id_wrapperIjLb0EEEEE10hipError_tT1_PNSt15iterator_traitsISK_E10value_typeET2_T3_PNSL_ISQ_E10value_typeET4_T5_PSV_SW_PNS1_23onesweep_lookback_stateEbbT6_jjT7_P12ihipStream_tbENKUlT_T0_SK_SP_E_clIPbSD_PiSF_EEDaS13_S14_SK_SP_EUlS13_E_NS1_11comp_targetILNS1_3genE0ELNS1_11target_archE4294967295ELNS1_3gpuE0ELNS1_3repE0EEENS1_47radix_sort_onesweep_sort_config_static_selectorELNS0_4arch9wavefront6targetE1EEEvSK_,comdat
	.protected	_ZN7rocprim17ROCPRIM_400000_NS6detail17trampoline_kernelINS0_14default_configENS1_35radix_sort_onesweep_config_selectorIbiEEZZNS1_29radix_sort_onesweep_iterationIS3_Lb0EN6thrust23THRUST_200600_302600_NS6detail15normal_iteratorINS8_10device_ptrIbEEEESD_NSA_INSB_IiEEEESF_jNS0_19identity_decomposerENS1_16block_id_wrapperIjLb0EEEEE10hipError_tT1_PNSt15iterator_traitsISK_E10value_typeET2_T3_PNSL_ISQ_E10value_typeET4_T5_PSV_SW_PNS1_23onesweep_lookback_stateEbbT6_jjT7_P12ihipStream_tbENKUlT_T0_SK_SP_E_clIPbSD_PiSF_EEDaS13_S14_SK_SP_EUlS13_E_NS1_11comp_targetILNS1_3genE0ELNS1_11target_archE4294967295ELNS1_3gpuE0ELNS1_3repE0EEENS1_47radix_sort_onesweep_sort_config_static_selectorELNS0_4arch9wavefront6targetE1EEEvSK_ ; -- Begin function _ZN7rocprim17ROCPRIM_400000_NS6detail17trampoline_kernelINS0_14default_configENS1_35radix_sort_onesweep_config_selectorIbiEEZZNS1_29radix_sort_onesweep_iterationIS3_Lb0EN6thrust23THRUST_200600_302600_NS6detail15normal_iteratorINS8_10device_ptrIbEEEESD_NSA_INSB_IiEEEESF_jNS0_19identity_decomposerENS1_16block_id_wrapperIjLb0EEEEE10hipError_tT1_PNSt15iterator_traitsISK_E10value_typeET2_T3_PNSL_ISQ_E10value_typeET4_T5_PSV_SW_PNS1_23onesweep_lookback_stateEbbT6_jjT7_P12ihipStream_tbENKUlT_T0_SK_SP_E_clIPbSD_PiSF_EEDaS13_S14_SK_SP_EUlS13_E_NS1_11comp_targetILNS1_3genE0ELNS1_11target_archE4294967295ELNS1_3gpuE0ELNS1_3repE0EEENS1_47radix_sort_onesweep_sort_config_static_selectorELNS0_4arch9wavefront6targetE1EEEvSK_
	.globl	_ZN7rocprim17ROCPRIM_400000_NS6detail17trampoline_kernelINS0_14default_configENS1_35radix_sort_onesweep_config_selectorIbiEEZZNS1_29radix_sort_onesweep_iterationIS3_Lb0EN6thrust23THRUST_200600_302600_NS6detail15normal_iteratorINS8_10device_ptrIbEEEESD_NSA_INSB_IiEEEESF_jNS0_19identity_decomposerENS1_16block_id_wrapperIjLb0EEEEE10hipError_tT1_PNSt15iterator_traitsISK_E10value_typeET2_T3_PNSL_ISQ_E10value_typeET4_T5_PSV_SW_PNS1_23onesweep_lookback_stateEbbT6_jjT7_P12ihipStream_tbENKUlT_T0_SK_SP_E_clIPbSD_PiSF_EEDaS13_S14_SK_SP_EUlS13_E_NS1_11comp_targetILNS1_3genE0ELNS1_11target_archE4294967295ELNS1_3gpuE0ELNS1_3repE0EEENS1_47radix_sort_onesweep_sort_config_static_selectorELNS0_4arch9wavefront6targetE1EEEvSK_
	.p2align	8
	.type	_ZN7rocprim17ROCPRIM_400000_NS6detail17trampoline_kernelINS0_14default_configENS1_35radix_sort_onesweep_config_selectorIbiEEZZNS1_29radix_sort_onesweep_iterationIS3_Lb0EN6thrust23THRUST_200600_302600_NS6detail15normal_iteratorINS8_10device_ptrIbEEEESD_NSA_INSB_IiEEEESF_jNS0_19identity_decomposerENS1_16block_id_wrapperIjLb0EEEEE10hipError_tT1_PNSt15iterator_traitsISK_E10value_typeET2_T3_PNSL_ISQ_E10value_typeET4_T5_PSV_SW_PNS1_23onesweep_lookback_stateEbbT6_jjT7_P12ihipStream_tbENKUlT_T0_SK_SP_E_clIPbSD_PiSF_EEDaS13_S14_SK_SP_EUlS13_E_NS1_11comp_targetILNS1_3genE0ELNS1_11target_archE4294967295ELNS1_3gpuE0ELNS1_3repE0EEENS1_47radix_sort_onesweep_sort_config_static_selectorELNS0_4arch9wavefront6targetE1EEEvSK_,@function
_ZN7rocprim17ROCPRIM_400000_NS6detail17trampoline_kernelINS0_14default_configENS1_35radix_sort_onesweep_config_selectorIbiEEZZNS1_29radix_sort_onesweep_iterationIS3_Lb0EN6thrust23THRUST_200600_302600_NS6detail15normal_iteratorINS8_10device_ptrIbEEEESD_NSA_INSB_IiEEEESF_jNS0_19identity_decomposerENS1_16block_id_wrapperIjLb0EEEEE10hipError_tT1_PNSt15iterator_traitsISK_E10value_typeET2_T3_PNSL_ISQ_E10value_typeET4_T5_PSV_SW_PNS1_23onesweep_lookback_stateEbbT6_jjT7_P12ihipStream_tbENKUlT_T0_SK_SP_E_clIPbSD_PiSF_EEDaS13_S14_SK_SP_EUlS13_E_NS1_11comp_targetILNS1_3genE0ELNS1_11target_archE4294967295ELNS1_3gpuE0ELNS1_3repE0EEENS1_47radix_sort_onesweep_sort_config_static_selectorELNS0_4arch9wavefront6targetE1EEEvSK_: ; @_ZN7rocprim17ROCPRIM_400000_NS6detail17trampoline_kernelINS0_14default_configENS1_35radix_sort_onesweep_config_selectorIbiEEZZNS1_29radix_sort_onesweep_iterationIS3_Lb0EN6thrust23THRUST_200600_302600_NS6detail15normal_iteratorINS8_10device_ptrIbEEEESD_NSA_INSB_IiEEEESF_jNS0_19identity_decomposerENS1_16block_id_wrapperIjLb0EEEEE10hipError_tT1_PNSt15iterator_traitsISK_E10value_typeET2_T3_PNSL_ISQ_E10value_typeET4_T5_PSV_SW_PNS1_23onesweep_lookback_stateEbbT6_jjT7_P12ihipStream_tbENKUlT_T0_SK_SP_E_clIPbSD_PiSF_EEDaS13_S14_SK_SP_EUlS13_E_NS1_11comp_targetILNS1_3genE0ELNS1_11target_archE4294967295ELNS1_3gpuE0ELNS1_3repE0EEENS1_47radix_sort_onesweep_sort_config_static_selectorELNS0_4arch9wavefront6targetE1EEEvSK_
; %bb.0:
	.section	.rodata,"a",@progbits
	.p2align	6, 0x0
	.amdhsa_kernel _ZN7rocprim17ROCPRIM_400000_NS6detail17trampoline_kernelINS0_14default_configENS1_35radix_sort_onesweep_config_selectorIbiEEZZNS1_29radix_sort_onesweep_iterationIS3_Lb0EN6thrust23THRUST_200600_302600_NS6detail15normal_iteratorINS8_10device_ptrIbEEEESD_NSA_INSB_IiEEEESF_jNS0_19identity_decomposerENS1_16block_id_wrapperIjLb0EEEEE10hipError_tT1_PNSt15iterator_traitsISK_E10value_typeET2_T3_PNSL_ISQ_E10value_typeET4_T5_PSV_SW_PNS1_23onesweep_lookback_stateEbbT6_jjT7_P12ihipStream_tbENKUlT_T0_SK_SP_E_clIPbSD_PiSF_EEDaS13_S14_SK_SP_EUlS13_E_NS1_11comp_targetILNS1_3genE0ELNS1_11target_archE4294967295ELNS1_3gpuE0ELNS1_3repE0EEENS1_47radix_sort_onesweep_sort_config_static_selectorELNS0_4arch9wavefront6targetE1EEEvSK_
		.amdhsa_group_segment_fixed_size 0
		.amdhsa_private_segment_fixed_size 0
		.amdhsa_kernarg_size 88
		.amdhsa_user_sgpr_count 2
		.amdhsa_user_sgpr_dispatch_ptr 0
		.amdhsa_user_sgpr_queue_ptr 0
		.amdhsa_user_sgpr_kernarg_segment_ptr 1
		.amdhsa_user_sgpr_dispatch_id 0
		.amdhsa_user_sgpr_kernarg_preload_length 0
		.amdhsa_user_sgpr_kernarg_preload_offset 0
		.amdhsa_user_sgpr_private_segment_size 0
		.amdhsa_uses_dynamic_stack 0
		.amdhsa_enable_private_segment 0
		.amdhsa_system_sgpr_workgroup_id_x 1
		.amdhsa_system_sgpr_workgroup_id_y 0
		.amdhsa_system_sgpr_workgroup_id_z 0
		.amdhsa_system_sgpr_workgroup_info 0
		.amdhsa_system_vgpr_workitem_id 0
		.amdhsa_next_free_vgpr 1
		.amdhsa_next_free_sgpr 0
		.amdhsa_accum_offset 4
		.amdhsa_reserve_vcc 0
		.amdhsa_float_round_mode_32 0
		.amdhsa_float_round_mode_16_64 0
		.amdhsa_float_denorm_mode_32 3
		.amdhsa_float_denorm_mode_16_64 3
		.amdhsa_dx10_clamp 1
		.amdhsa_ieee_mode 1
		.amdhsa_fp16_overflow 0
		.amdhsa_tg_split 0
		.amdhsa_exception_fp_ieee_invalid_op 0
		.amdhsa_exception_fp_denorm_src 0
		.amdhsa_exception_fp_ieee_div_zero 0
		.amdhsa_exception_fp_ieee_overflow 0
		.amdhsa_exception_fp_ieee_underflow 0
		.amdhsa_exception_fp_ieee_inexact 0
		.amdhsa_exception_int_div_zero 0
	.end_amdhsa_kernel
	.section	.text._ZN7rocprim17ROCPRIM_400000_NS6detail17trampoline_kernelINS0_14default_configENS1_35radix_sort_onesweep_config_selectorIbiEEZZNS1_29radix_sort_onesweep_iterationIS3_Lb0EN6thrust23THRUST_200600_302600_NS6detail15normal_iteratorINS8_10device_ptrIbEEEESD_NSA_INSB_IiEEEESF_jNS0_19identity_decomposerENS1_16block_id_wrapperIjLb0EEEEE10hipError_tT1_PNSt15iterator_traitsISK_E10value_typeET2_T3_PNSL_ISQ_E10value_typeET4_T5_PSV_SW_PNS1_23onesweep_lookback_stateEbbT6_jjT7_P12ihipStream_tbENKUlT_T0_SK_SP_E_clIPbSD_PiSF_EEDaS13_S14_SK_SP_EUlS13_E_NS1_11comp_targetILNS1_3genE0ELNS1_11target_archE4294967295ELNS1_3gpuE0ELNS1_3repE0EEENS1_47radix_sort_onesweep_sort_config_static_selectorELNS0_4arch9wavefront6targetE1EEEvSK_,"axG",@progbits,_ZN7rocprim17ROCPRIM_400000_NS6detail17trampoline_kernelINS0_14default_configENS1_35radix_sort_onesweep_config_selectorIbiEEZZNS1_29radix_sort_onesweep_iterationIS3_Lb0EN6thrust23THRUST_200600_302600_NS6detail15normal_iteratorINS8_10device_ptrIbEEEESD_NSA_INSB_IiEEEESF_jNS0_19identity_decomposerENS1_16block_id_wrapperIjLb0EEEEE10hipError_tT1_PNSt15iterator_traitsISK_E10value_typeET2_T3_PNSL_ISQ_E10value_typeET4_T5_PSV_SW_PNS1_23onesweep_lookback_stateEbbT6_jjT7_P12ihipStream_tbENKUlT_T0_SK_SP_E_clIPbSD_PiSF_EEDaS13_S14_SK_SP_EUlS13_E_NS1_11comp_targetILNS1_3genE0ELNS1_11target_archE4294967295ELNS1_3gpuE0ELNS1_3repE0EEENS1_47radix_sort_onesweep_sort_config_static_selectorELNS0_4arch9wavefront6targetE1EEEvSK_,comdat
.Lfunc_end2086:
	.size	_ZN7rocprim17ROCPRIM_400000_NS6detail17trampoline_kernelINS0_14default_configENS1_35radix_sort_onesweep_config_selectorIbiEEZZNS1_29radix_sort_onesweep_iterationIS3_Lb0EN6thrust23THRUST_200600_302600_NS6detail15normal_iteratorINS8_10device_ptrIbEEEESD_NSA_INSB_IiEEEESF_jNS0_19identity_decomposerENS1_16block_id_wrapperIjLb0EEEEE10hipError_tT1_PNSt15iterator_traitsISK_E10value_typeET2_T3_PNSL_ISQ_E10value_typeET4_T5_PSV_SW_PNS1_23onesweep_lookback_stateEbbT6_jjT7_P12ihipStream_tbENKUlT_T0_SK_SP_E_clIPbSD_PiSF_EEDaS13_S14_SK_SP_EUlS13_E_NS1_11comp_targetILNS1_3genE0ELNS1_11target_archE4294967295ELNS1_3gpuE0ELNS1_3repE0EEENS1_47radix_sort_onesweep_sort_config_static_selectorELNS0_4arch9wavefront6targetE1EEEvSK_, .Lfunc_end2086-_ZN7rocprim17ROCPRIM_400000_NS6detail17trampoline_kernelINS0_14default_configENS1_35radix_sort_onesweep_config_selectorIbiEEZZNS1_29radix_sort_onesweep_iterationIS3_Lb0EN6thrust23THRUST_200600_302600_NS6detail15normal_iteratorINS8_10device_ptrIbEEEESD_NSA_INSB_IiEEEESF_jNS0_19identity_decomposerENS1_16block_id_wrapperIjLb0EEEEE10hipError_tT1_PNSt15iterator_traitsISK_E10value_typeET2_T3_PNSL_ISQ_E10value_typeET4_T5_PSV_SW_PNS1_23onesweep_lookback_stateEbbT6_jjT7_P12ihipStream_tbENKUlT_T0_SK_SP_E_clIPbSD_PiSF_EEDaS13_S14_SK_SP_EUlS13_E_NS1_11comp_targetILNS1_3genE0ELNS1_11target_archE4294967295ELNS1_3gpuE0ELNS1_3repE0EEENS1_47radix_sort_onesweep_sort_config_static_selectorELNS0_4arch9wavefront6targetE1EEEvSK_
                                        ; -- End function
	.set _ZN7rocprim17ROCPRIM_400000_NS6detail17trampoline_kernelINS0_14default_configENS1_35radix_sort_onesweep_config_selectorIbiEEZZNS1_29radix_sort_onesweep_iterationIS3_Lb0EN6thrust23THRUST_200600_302600_NS6detail15normal_iteratorINS8_10device_ptrIbEEEESD_NSA_INSB_IiEEEESF_jNS0_19identity_decomposerENS1_16block_id_wrapperIjLb0EEEEE10hipError_tT1_PNSt15iterator_traitsISK_E10value_typeET2_T3_PNSL_ISQ_E10value_typeET4_T5_PSV_SW_PNS1_23onesweep_lookback_stateEbbT6_jjT7_P12ihipStream_tbENKUlT_T0_SK_SP_E_clIPbSD_PiSF_EEDaS13_S14_SK_SP_EUlS13_E_NS1_11comp_targetILNS1_3genE0ELNS1_11target_archE4294967295ELNS1_3gpuE0ELNS1_3repE0EEENS1_47radix_sort_onesweep_sort_config_static_selectorELNS0_4arch9wavefront6targetE1EEEvSK_.num_vgpr, 0
	.set _ZN7rocprim17ROCPRIM_400000_NS6detail17trampoline_kernelINS0_14default_configENS1_35radix_sort_onesweep_config_selectorIbiEEZZNS1_29radix_sort_onesweep_iterationIS3_Lb0EN6thrust23THRUST_200600_302600_NS6detail15normal_iteratorINS8_10device_ptrIbEEEESD_NSA_INSB_IiEEEESF_jNS0_19identity_decomposerENS1_16block_id_wrapperIjLb0EEEEE10hipError_tT1_PNSt15iterator_traitsISK_E10value_typeET2_T3_PNSL_ISQ_E10value_typeET4_T5_PSV_SW_PNS1_23onesweep_lookback_stateEbbT6_jjT7_P12ihipStream_tbENKUlT_T0_SK_SP_E_clIPbSD_PiSF_EEDaS13_S14_SK_SP_EUlS13_E_NS1_11comp_targetILNS1_3genE0ELNS1_11target_archE4294967295ELNS1_3gpuE0ELNS1_3repE0EEENS1_47radix_sort_onesweep_sort_config_static_selectorELNS0_4arch9wavefront6targetE1EEEvSK_.num_agpr, 0
	.set _ZN7rocprim17ROCPRIM_400000_NS6detail17trampoline_kernelINS0_14default_configENS1_35radix_sort_onesweep_config_selectorIbiEEZZNS1_29radix_sort_onesweep_iterationIS3_Lb0EN6thrust23THRUST_200600_302600_NS6detail15normal_iteratorINS8_10device_ptrIbEEEESD_NSA_INSB_IiEEEESF_jNS0_19identity_decomposerENS1_16block_id_wrapperIjLb0EEEEE10hipError_tT1_PNSt15iterator_traitsISK_E10value_typeET2_T3_PNSL_ISQ_E10value_typeET4_T5_PSV_SW_PNS1_23onesweep_lookback_stateEbbT6_jjT7_P12ihipStream_tbENKUlT_T0_SK_SP_E_clIPbSD_PiSF_EEDaS13_S14_SK_SP_EUlS13_E_NS1_11comp_targetILNS1_3genE0ELNS1_11target_archE4294967295ELNS1_3gpuE0ELNS1_3repE0EEENS1_47radix_sort_onesweep_sort_config_static_selectorELNS0_4arch9wavefront6targetE1EEEvSK_.numbered_sgpr, 0
	.set _ZN7rocprim17ROCPRIM_400000_NS6detail17trampoline_kernelINS0_14default_configENS1_35radix_sort_onesweep_config_selectorIbiEEZZNS1_29radix_sort_onesweep_iterationIS3_Lb0EN6thrust23THRUST_200600_302600_NS6detail15normal_iteratorINS8_10device_ptrIbEEEESD_NSA_INSB_IiEEEESF_jNS0_19identity_decomposerENS1_16block_id_wrapperIjLb0EEEEE10hipError_tT1_PNSt15iterator_traitsISK_E10value_typeET2_T3_PNSL_ISQ_E10value_typeET4_T5_PSV_SW_PNS1_23onesweep_lookback_stateEbbT6_jjT7_P12ihipStream_tbENKUlT_T0_SK_SP_E_clIPbSD_PiSF_EEDaS13_S14_SK_SP_EUlS13_E_NS1_11comp_targetILNS1_3genE0ELNS1_11target_archE4294967295ELNS1_3gpuE0ELNS1_3repE0EEENS1_47radix_sort_onesweep_sort_config_static_selectorELNS0_4arch9wavefront6targetE1EEEvSK_.num_named_barrier, 0
	.set _ZN7rocprim17ROCPRIM_400000_NS6detail17trampoline_kernelINS0_14default_configENS1_35radix_sort_onesweep_config_selectorIbiEEZZNS1_29radix_sort_onesweep_iterationIS3_Lb0EN6thrust23THRUST_200600_302600_NS6detail15normal_iteratorINS8_10device_ptrIbEEEESD_NSA_INSB_IiEEEESF_jNS0_19identity_decomposerENS1_16block_id_wrapperIjLb0EEEEE10hipError_tT1_PNSt15iterator_traitsISK_E10value_typeET2_T3_PNSL_ISQ_E10value_typeET4_T5_PSV_SW_PNS1_23onesweep_lookback_stateEbbT6_jjT7_P12ihipStream_tbENKUlT_T0_SK_SP_E_clIPbSD_PiSF_EEDaS13_S14_SK_SP_EUlS13_E_NS1_11comp_targetILNS1_3genE0ELNS1_11target_archE4294967295ELNS1_3gpuE0ELNS1_3repE0EEENS1_47radix_sort_onesweep_sort_config_static_selectorELNS0_4arch9wavefront6targetE1EEEvSK_.private_seg_size, 0
	.set _ZN7rocprim17ROCPRIM_400000_NS6detail17trampoline_kernelINS0_14default_configENS1_35radix_sort_onesweep_config_selectorIbiEEZZNS1_29radix_sort_onesweep_iterationIS3_Lb0EN6thrust23THRUST_200600_302600_NS6detail15normal_iteratorINS8_10device_ptrIbEEEESD_NSA_INSB_IiEEEESF_jNS0_19identity_decomposerENS1_16block_id_wrapperIjLb0EEEEE10hipError_tT1_PNSt15iterator_traitsISK_E10value_typeET2_T3_PNSL_ISQ_E10value_typeET4_T5_PSV_SW_PNS1_23onesweep_lookback_stateEbbT6_jjT7_P12ihipStream_tbENKUlT_T0_SK_SP_E_clIPbSD_PiSF_EEDaS13_S14_SK_SP_EUlS13_E_NS1_11comp_targetILNS1_3genE0ELNS1_11target_archE4294967295ELNS1_3gpuE0ELNS1_3repE0EEENS1_47radix_sort_onesweep_sort_config_static_selectorELNS0_4arch9wavefront6targetE1EEEvSK_.uses_vcc, 0
	.set _ZN7rocprim17ROCPRIM_400000_NS6detail17trampoline_kernelINS0_14default_configENS1_35radix_sort_onesweep_config_selectorIbiEEZZNS1_29radix_sort_onesweep_iterationIS3_Lb0EN6thrust23THRUST_200600_302600_NS6detail15normal_iteratorINS8_10device_ptrIbEEEESD_NSA_INSB_IiEEEESF_jNS0_19identity_decomposerENS1_16block_id_wrapperIjLb0EEEEE10hipError_tT1_PNSt15iterator_traitsISK_E10value_typeET2_T3_PNSL_ISQ_E10value_typeET4_T5_PSV_SW_PNS1_23onesweep_lookback_stateEbbT6_jjT7_P12ihipStream_tbENKUlT_T0_SK_SP_E_clIPbSD_PiSF_EEDaS13_S14_SK_SP_EUlS13_E_NS1_11comp_targetILNS1_3genE0ELNS1_11target_archE4294967295ELNS1_3gpuE0ELNS1_3repE0EEENS1_47radix_sort_onesweep_sort_config_static_selectorELNS0_4arch9wavefront6targetE1EEEvSK_.uses_flat_scratch, 0
	.set _ZN7rocprim17ROCPRIM_400000_NS6detail17trampoline_kernelINS0_14default_configENS1_35radix_sort_onesweep_config_selectorIbiEEZZNS1_29radix_sort_onesweep_iterationIS3_Lb0EN6thrust23THRUST_200600_302600_NS6detail15normal_iteratorINS8_10device_ptrIbEEEESD_NSA_INSB_IiEEEESF_jNS0_19identity_decomposerENS1_16block_id_wrapperIjLb0EEEEE10hipError_tT1_PNSt15iterator_traitsISK_E10value_typeET2_T3_PNSL_ISQ_E10value_typeET4_T5_PSV_SW_PNS1_23onesweep_lookback_stateEbbT6_jjT7_P12ihipStream_tbENKUlT_T0_SK_SP_E_clIPbSD_PiSF_EEDaS13_S14_SK_SP_EUlS13_E_NS1_11comp_targetILNS1_3genE0ELNS1_11target_archE4294967295ELNS1_3gpuE0ELNS1_3repE0EEENS1_47radix_sort_onesweep_sort_config_static_selectorELNS0_4arch9wavefront6targetE1EEEvSK_.has_dyn_sized_stack, 0
	.set _ZN7rocprim17ROCPRIM_400000_NS6detail17trampoline_kernelINS0_14default_configENS1_35radix_sort_onesweep_config_selectorIbiEEZZNS1_29radix_sort_onesweep_iterationIS3_Lb0EN6thrust23THRUST_200600_302600_NS6detail15normal_iteratorINS8_10device_ptrIbEEEESD_NSA_INSB_IiEEEESF_jNS0_19identity_decomposerENS1_16block_id_wrapperIjLb0EEEEE10hipError_tT1_PNSt15iterator_traitsISK_E10value_typeET2_T3_PNSL_ISQ_E10value_typeET4_T5_PSV_SW_PNS1_23onesweep_lookback_stateEbbT6_jjT7_P12ihipStream_tbENKUlT_T0_SK_SP_E_clIPbSD_PiSF_EEDaS13_S14_SK_SP_EUlS13_E_NS1_11comp_targetILNS1_3genE0ELNS1_11target_archE4294967295ELNS1_3gpuE0ELNS1_3repE0EEENS1_47radix_sort_onesweep_sort_config_static_selectorELNS0_4arch9wavefront6targetE1EEEvSK_.has_recursion, 0
	.set _ZN7rocprim17ROCPRIM_400000_NS6detail17trampoline_kernelINS0_14default_configENS1_35radix_sort_onesweep_config_selectorIbiEEZZNS1_29radix_sort_onesweep_iterationIS3_Lb0EN6thrust23THRUST_200600_302600_NS6detail15normal_iteratorINS8_10device_ptrIbEEEESD_NSA_INSB_IiEEEESF_jNS0_19identity_decomposerENS1_16block_id_wrapperIjLb0EEEEE10hipError_tT1_PNSt15iterator_traitsISK_E10value_typeET2_T3_PNSL_ISQ_E10value_typeET4_T5_PSV_SW_PNS1_23onesweep_lookback_stateEbbT6_jjT7_P12ihipStream_tbENKUlT_T0_SK_SP_E_clIPbSD_PiSF_EEDaS13_S14_SK_SP_EUlS13_E_NS1_11comp_targetILNS1_3genE0ELNS1_11target_archE4294967295ELNS1_3gpuE0ELNS1_3repE0EEENS1_47radix_sort_onesweep_sort_config_static_selectorELNS0_4arch9wavefront6targetE1EEEvSK_.has_indirect_call, 0
	.section	.AMDGPU.csdata,"",@progbits
; Kernel info:
; codeLenInByte = 0
; TotalNumSgprs: 6
; NumVgprs: 0
; NumAgprs: 0
; TotalNumVgprs: 0
; ScratchSize: 0
; MemoryBound: 0
; FloatMode: 240
; IeeeMode: 1
; LDSByteSize: 0 bytes/workgroup (compile time only)
; SGPRBlocks: 0
; VGPRBlocks: 0
; NumSGPRsForWavesPerEU: 6
; NumVGPRsForWavesPerEU: 1
; AccumOffset: 4
; Occupancy: 8
; WaveLimiterHint : 0
; COMPUTE_PGM_RSRC2:SCRATCH_EN: 0
; COMPUTE_PGM_RSRC2:USER_SGPR: 2
; COMPUTE_PGM_RSRC2:TRAP_HANDLER: 0
; COMPUTE_PGM_RSRC2:TGID_X_EN: 1
; COMPUTE_PGM_RSRC2:TGID_Y_EN: 0
; COMPUTE_PGM_RSRC2:TGID_Z_EN: 0
; COMPUTE_PGM_RSRC2:TIDIG_COMP_CNT: 0
; COMPUTE_PGM_RSRC3_GFX90A:ACCUM_OFFSET: 0
; COMPUTE_PGM_RSRC3_GFX90A:TG_SPLIT: 0
	.section	.text._ZN7rocprim17ROCPRIM_400000_NS6detail17trampoline_kernelINS0_14default_configENS1_35radix_sort_onesweep_config_selectorIbiEEZZNS1_29radix_sort_onesweep_iterationIS3_Lb0EN6thrust23THRUST_200600_302600_NS6detail15normal_iteratorINS8_10device_ptrIbEEEESD_NSA_INSB_IiEEEESF_jNS0_19identity_decomposerENS1_16block_id_wrapperIjLb0EEEEE10hipError_tT1_PNSt15iterator_traitsISK_E10value_typeET2_T3_PNSL_ISQ_E10value_typeET4_T5_PSV_SW_PNS1_23onesweep_lookback_stateEbbT6_jjT7_P12ihipStream_tbENKUlT_T0_SK_SP_E_clIPbSD_PiSF_EEDaS13_S14_SK_SP_EUlS13_E_NS1_11comp_targetILNS1_3genE6ELNS1_11target_archE950ELNS1_3gpuE13ELNS1_3repE0EEENS1_47radix_sort_onesweep_sort_config_static_selectorELNS0_4arch9wavefront6targetE1EEEvSK_,"axG",@progbits,_ZN7rocprim17ROCPRIM_400000_NS6detail17trampoline_kernelINS0_14default_configENS1_35radix_sort_onesweep_config_selectorIbiEEZZNS1_29radix_sort_onesweep_iterationIS3_Lb0EN6thrust23THRUST_200600_302600_NS6detail15normal_iteratorINS8_10device_ptrIbEEEESD_NSA_INSB_IiEEEESF_jNS0_19identity_decomposerENS1_16block_id_wrapperIjLb0EEEEE10hipError_tT1_PNSt15iterator_traitsISK_E10value_typeET2_T3_PNSL_ISQ_E10value_typeET4_T5_PSV_SW_PNS1_23onesweep_lookback_stateEbbT6_jjT7_P12ihipStream_tbENKUlT_T0_SK_SP_E_clIPbSD_PiSF_EEDaS13_S14_SK_SP_EUlS13_E_NS1_11comp_targetILNS1_3genE6ELNS1_11target_archE950ELNS1_3gpuE13ELNS1_3repE0EEENS1_47radix_sort_onesweep_sort_config_static_selectorELNS0_4arch9wavefront6targetE1EEEvSK_,comdat
	.protected	_ZN7rocprim17ROCPRIM_400000_NS6detail17trampoline_kernelINS0_14default_configENS1_35radix_sort_onesweep_config_selectorIbiEEZZNS1_29radix_sort_onesweep_iterationIS3_Lb0EN6thrust23THRUST_200600_302600_NS6detail15normal_iteratorINS8_10device_ptrIbEEEESD_NSA_INSB_IiEEEESF_jNS0_19identity_decomposerENS1_16block_id_wrapperIjLb0EEEEE10hipError_tT1_PNSt15iterator_traitsISK_E10value_typeET2_T3_PNSL_ISQ_E10value_typeET4_T5_PSV_SW_PNS1_23onesweep_lookback_stateEbbT6_jjT7_P12ihipStream_tbENKUlT_T0_SK_SP_E_clIPbSD_PiSF_EEDaS13_S14_SK_SP_EUlS13_E_NS1_11comp_targetILNS1_3genE6ELNS1_11target_archE950ELNS1_3gpuE13ELNS1_3repE0EEENS1_47radix_sort_onesweep_sort_config_static_selectorELNS0_4arch9wavefront6targetE1EEEvSK_ ; -- Begin function _ZN7rocprim17ROCPRIM_400000_NS6detail17trampoline_kernelINS0_14default_configENS1_35radix_sort_onesweep_config_selectorIbiEEZZNS1_29radix_sort_onesweep_iterationIS3_Lb0EN6thrust23THRUST_200600_302600_NS6detail15normal_iteratorINS8_10device_ptrIbEEEESD_NSA_INSB_IiEEEESF_jNS0_19identity_decomposerENS1_16block_id_wrapperIjLb0EEEEE10hipError_tT1_PNSt15iterator_traitsISK_E10value_typeET2_T3_PNSL_ISQ_E10value_typeET4_T5_PSV_SW_PNS1_23onesweep_lookback_stateEbbT6_jjT7_P12ihipStream_tbENKUlT_T0_SK_SP_E_clIPbSD_PiSF_EEDaS13_S14_SK_SP_EUlS13_E_NS1_11comp_targetILNS1_3genE6ELNS1_11target_archE950ELNS1_3gpuE13ELNS1_3repE0EEENS1_47radix_sort_onesweep_sort_config_static_selectorELNS0_4arch9wavefront6targetE1EEEvSK_
	.globl	_ZN7rocprim17ROCPRIM_400000_NS6detail17trampoline_kernelINS0_14default_configENS1_35radix_sort_onesweep_config_selectorIbiEEZZNS1_29radix_sort_onesweep_iterationIS3_Lb0EN6thrust23THRUST_200600_302600_NS6detail15normal_iteratorINS8_10device_ptrIbEEEESD_NSA_INSB_IiEEEESF_jNS0_19identity_decomposerENS1_16block_id_wrapperIjLb0EEEEE10hipError_tT1_PNSt15iterator_traitsISK_E10value_typeET2_T3_PNSL_ISQ_E10value_typeET4_T5_PSV_SW_PNS1_23onesweep_lookback_stateEbbT6_jjT7_P12ihipStream_tbENKUlT_T0_SK_SP_E_clIPbSD_PiSF_EEDaS13_S14_SK_SP_EUlS13_E_NS1_11comp_targetILNS1_3genE6ELNS1_11target_archE950ELNS1_3gpuE13ELNS1_3repE0EEENS1_47radix_sort_onesweep_sort_config_static_selectorELNS0_4arch9wavefront6targetE1EEEvSK_
	.p2align	8
	.type	_ZN7rocprim17ROCPRIM_400000_NS6detail17trampoline_kernelINS0_14default_configENS1_35radix_sort_onesweep_config_selectorIbiEEZZNS1_29radix_sort_onesweep_iterationIS3_Lb0EN6thrust23THRUST_200600_302600_NS6detail15normal_iteratorINS8_10device_ptrIbEEEESD_NSA_INSB_IiEEEESF_jNS0_19identity_decomposerENS1_16block_id_wrapperIjLb0EEEEE10hipError_tT1_PNSt15iterator_traitsISK_E10value_typeET2_T3_PNSL_ISQ_E10value_typeET4_T5_PSV_SW_PNS1_23onesweep_lookback_stateEbbT6_jjT7_P12ihipStream_tbENKUlT_T0_SK_SP_E_clIPbSD_PiSF_EEDaS13_S14_SK_SP_EUlS13_E_NS1_11comp_targetILNS1_3genE6ELNS1_11target_archE950ELNS1_3gpuE13ELNS1_3repE0EEENS1_47radix_sort_onesweep_sort_config_static_selectorELNS0_4arch9wavefront6targetE1EEEvSK_,@function
_ZN7rocprim17ROCPRIM_400000_NS6detail17trampoline_kernelINS0_14default_configENS1_35radix_sort_onesweep_config_selectorIbiEEZZNS1_29radix_sort_onesweep_iterationIS3_Lb0EN6thrust23THRUST_200600_302600_NS6detail15normal_iteratorINS8_10device_ptrIbEEEESD_NSA_INSB_IiEEEESF_jNS0_19identity_decomposerENS1_16block_id_wrapperIjLb0EEEEE10hipError_tT1_PNSt15iterator_traitsISK_E10value_typeET2_T3_PNSL_ISQ_E10value_typeET4_T5_PSV_SW_PNS1_23onesweep_lookback_stateEbbT6_jjT7_P12ihipStream_tbENKUlT_T0_SK_SP_E_clIPbSD_PiSF_EEDaS13_S14_SK_SP_EUlS13_E_NS1_11comp_targetILNS1_3genE6ELNS1_11target_archE950ELNS1_3gpuE13ELNS1_3repE0EEENS1_47radix_sort_onesweep_sort_config_static_selectorELNS0_4arch9wavefront6targetE1EEEvSK_: ; @_ZN7rocprim17ROCPRIM_400000_NS6detail17trampoline_kernelINS0_14default_configENS1_35radix_sort_onesweep_config_selectorIbiEEZZNS1_29radix_sort_onesweep_iterationIS3_Lb0EN6thrust23THRUST_200600_302600_NS6detail15normal_iteratorINS8_10device_ptrIbEEEESD_NSA_INSB_IiEEEESF_jNS0_19identity_decomposerENS1_16block_id_wrapperIjLb0EEEEE10hipError_tT1_PNSt15iterator_traitsISK_E10value_typeET2_T3_PNSL_ISQ_E10value_typeET4_T5_PSV_SW_PNS1_23onesweep_lookback_stateEbbT6_jjT7_P12ihipStream_tbENKUlT_T0_SK_SP_E_clIPbSD_PiSF_EEDaS13_S14_SK_SP_EUlS13_E_NS1_11comp_targetILNS1_3genE6ELNS1_11target_archE950ELNS1_3gpuE13ELNS1_3repE0EEENS1_47radix_sort_onesweep_sort_config_static_selectorELNS0_4arch9wavefront6targetE1EEEvSK_
; %bb.0:
	s_load_dwordx8 s[48:55], s[0:1], 0x0
	s_load_dwordx4 s[60:63], s[0:1], 0x44
	s_load_dwordx4 s[56:59], s[0:1], 0x28
	s_load_dwordx2 s[46:47], s[0:1], 0x38
	s_mov_b64 s[4:5], -1
	v_mbcnt_lo_u32_b32 v1, -1, 0
	s_waitcnt lgkmcnt(0)
	s_cmp_ge_u32 s2, s62
	s_cbranch_scc0 .LBB2087_194
; %bb.1:
	s_load_dword s3, s[0:1], 0x20
	s_lshl_b32 s4, s62, 14
	v_and_b32_e32 v2, 0x3ff, v0
	s_lshl_b32 s62, s2, 14
	v_mbcnt_hi_u32_b32 v32, -1, v1
	s_waitcnt lgkmcnt(0)
	s_sub_i32 s3, s3, s4
	s_add_u32 s4, s48, s62
	v_lshlrev_b32_e32 v3, 4, v2
	s_addc_u32 s5, s49, 0
	v_and_b32_e32 v6, 63, v32
	v_and_b32_e32 v4, 0x3c00, v3
	v_mov_b32_e32 v7, 0
	v_lshl_add_u64 v[8:9], s[4:5], 0, v[6:7]
	v_mov_b32_e32 v5, v7
	v_or_b32_e32 v10, v6, v4
	s_mov_b32 s63, 0
	v_lshl_add_u64 v[8:9], v[8:9], 0, v[4:5]
	v_cmp_gt_u32_e32 vcc, s3, v10
	v_mov_b32_e32 v7, 1
	v_mov_b32_e32 v5, 1
	;; [unrolled: 1-line block ×3, first 2 shown]
	s_and_saveexec_b64 s[4:5], vcc
	s_cbranch_execz .LBB2087_3
; %bb.2:
	global_load_ubyte v12, v[8:9], off
	s_waitcnt vmcnt(0)
	v_and_b32_e32 v7, 1, v12
.LBB2087_3:
	s_or_b64 exec, exec, s[4:5]
	v_or_b32_e32 v3, 64, v10
	v_cmp_gt_u32_e64 s[42:43], s3, v3
	v_mov_b32_e32 v3, 1
	s_and_saveexec_b64 s[4:5], s[42:43]
	s_cbranch_execz .LBB2087_5
; %bb.4:
	global_load_ubyte v5, v[8:9], off offset:64
	s_waitcnt vmcnt(0)
	v_and_b32_e32 v3, 1, v5
.LBB2087_5:
	s_or_b64 exec, exec, s[4:5]
	v_or_b32_e32 v11, 0x80, v10
	v_cmp_gt_u32_e64 s[4:5], s3, v11
	v_mov_b32_e32 v14, 1
	v_mov_b32_e32 v13, 1
	v_mov_b32_e32 v27, 1
	s_and_saveexec_b64 s[6:7], s[4:5]
	s_cbranch_execz .LBB2087_7
; %bb.6:
	global_load_ubyte v27, v[8:9], off offset:128
	s_waitcnt vmcnt(0)
	v_and_b32_e32 v14, 1, v27
.LBB2087_7:
	s_or_b64 exec, exec, s[6:7]
	v_or_b32_e32 v11, 0xc0, v10
	v_cmp_gt_u32_e64 s[6:7], s3, v11
	v_mov_b32_e32 v16, 1
	s_and_saveexec_b64 s[8:9], s[6:7]
	s_cbranch_execz .LBB2087_9
; %bb.8:
	global_load_ubyte v13, v[8:9], off offset:192
	s_waitcnt vmcnt(0)
	v_and_b32_e32 v16, 1, v13
.LBB2087_9:
	s_or_b64 exec, exec, s[8:9]
	v_or_b32_e32 v11, 0x100, v10
	v_cmp_gt_u32_e64 s[8:9], s3, v11
	v_mov_b32_e32 v18, 1
	v_mov_b32_e32 v30, 1
	v_mov_b32_e32 v31, 1
	s_and_saveexec_b64 s[10:11], s[8:9]
	s_cbranch_execz .LBB2087_11
; %bb.10:
	global_load_ubyte v31, v[8:9], off offset:256
	s_waitcnt vmcnt(0)
	v_and_b32_e32 v18, 1, v31
.LBB2087_11:
	;; [unrolled: 24-line block ×7, first 2 shown]
	s_or_b64 exec, exec, s[30:31]
	v_or_b32_e32 v10, 0x3c0, v10
	v_cmp_gt_u32_e64 s[30:31], s3, v10
	v_mov_b32_e32 v29, 1
	s_and_saveexec_b64 s[34:35], s[30:31]
	s_cbranch_execz .LBB2087_33
; %bb.32:
	global_load_ubyte v52, v[8:9], off offset:960
	s_waitcnt vmcnt(0)
	v_and_b32_e32 v29, 1, v52
.LBB2087_33:
	s_or_b64 exec, exec, s[34:35]
	s_load_dword s34, s[0:1], 0x64
	s_load_dword s33, s[0:1], 0x58
	s_add_u32 s35, s0, 0x58
	s_addc_u32 s36, s1, 0
	v_mov_b32_e32 v9, 0
	s_waitcnt lgkmcnt(0)
	s_lshr_b32 s37, s34, 16
	s_cmp_lt_u32 s2, s33
	s_cselect_b32 s34, 12, 18
	s_add_u32 s34, s35, s34
	s_addc_u32 s35, s36, 0
	global_load_ushort v15, v9, s[34:35]
	v_bfe_u32 v8, v0, 10, 10
	v_bfe_u32 v10, v0, 20, 10
	v_lshrrev_b32_e32 v7, s60, v7
	s_lshl_b32 s34, -1, s61
	v_mad_u32_u24 v17, v10, s37, v8
	v_bitop3_b32 v8, v7, s34, v7 bitop3:0x30
	s_not_b32 s66, s34
	v_cmp_ne_u32_e64 s[34:35], 0, v8
	v_lshl_add_u64 v[10:11], v[8:9], 0, -1
	v_mul_u32_u24_e32 v7, 0x44, v8
	v_xor_b32_e32 v10, s34, v10
	v_xor_b32_e32 v8, s35, v11
	v_and_b32_e32 v10, exec_lo, v10
	v_and_b32_e32 v11, exec_hi, v8
	v_mbcnt_lo_u32_b32 v8, v10, 0
	v_mbcnt_hi_u32_b32 v46, v11, v8
	v_cmp_ne_u64_e64 s[34:35], 0, v[10:11]
	v_cmp_eq_u32_e64 s[36:37], 0, v46
	v_mul_u32_u24_e32 v42, 20, v2
	s_movk_i32 s38, 0x44
	s_and_b64 s[36:37], s[34:35], s[36:37]
	ds_write2_b32 v42, v9, v9 offset0:16 offset1:17
	ds_write2_b32 v42, v9, v9 offset0:18 offset1:19
	ds_write_b32 v42, v9 offset:80
	s_waitcnt lgkmcnt(0)
	s_barrier
	s_waitcnt vmcnt(0)
	; wave barrier
	v_mad_u64_u32 v[56:57], s[40:41], v17, v15, v[2:3]
	v_lshrrev_b32_e32 v8, 4, v56
	v_and_b32_e32 v63, 0xffffffc, v8
	v_add_u32_e32 v59, v63, v7
	s_and_saveexec_b64 s[34:35], s[36:37]
; %bb.34:
	v_bcnt_u32_b32 v7, v10, 0
	v_bcnt_u32_b32 v7, v11, v7
	ds_write_b32 v59, v7 offset:64
; %bb.35:
	s_or_b64 exec, exec, s[34:35]
	v_lshrrev_b32_e32 v3, s60, v3
	v_and_b32_e32 v8, s66, v3
	v_mul_u32_u24_e32 v10, 0x44, v8
	v_mad_u32_u24 v3, v8, s38, v63
	v_cmp_ne_u32_e64 s[34:35], 0, v8
	v_lshl_add_u64 v[8:9], v[8:9], 0, -1
	s_nop 0
	v_xor_b32_e32 v8, s34, v8
	; wave barrier
	ds_read_b32 v3, v3 offset:64
	v_xor_b32_e32 v7, s35, v9
	v_and_b32_e32 v8, exec_lo, v8
	v_and_b32_e32 v9, exec_hi, v7
	v_mbcnt_lo_u32_b32 v7, v8, 0
	v_mbcnt_hi_u32_b32 v7, v9, v7
	v_cmp_eq_u32_e64 s[34:35], 0, v7
	v_cmp_ne_u64_e64 s[36:37], 0, v[8:9]
	s_and_b64 s[36:37], s[36:37], s[34:35]
	v_add_u32_e32 v60, v63, v10
	; wave barrier
	s_and_saveexec_b64 s[34:35], s[36:37]
	s_cbranch_execz .LBB2087_37
; %bb.36:
	v_bcnt_u32_b32 v8, v8, 0
	v_bcnt_u32_b32 v8, v9, v8
	s_waitcnt lgkmcnt(0)
	v_add_u32_e32 v8, v3, v8
	ds_write_b32 v60, v8 offset:64
.LBB2087_37:
	s_or_b64 exec, exec, s[34:35]
	v_lshrrev_b32_e32 v8, s60, v14
	v_and_b32_e32 v8, s66, v8
	v_mad_u32_u24 v9, v8, s38, v63
	; wave barrier
	ds_read_b32 v14, v9 offset:64
	v_mov_b32_e32 v9, 0
	v_cmp_ne_u32_e64 s[34:35], 0, v8
	v_lshl_add_u64 v[10:11], v[8:9], 0, -1
	v_mul_u32_u24_e32 v17, 0x44, v8
	v_xor_b32_e32 v10, s34, v10
	v_xor_b32_e32 v8, s35, v11
	v_and_b32_e32 v10, exec_lo, v10
	v_and_b32_e32 v11, exec_hi, v8
	v_mbcnt_lo_u32_b32 v8, v10, 0
	v_mbcnt_hi_u32_b32 v15, v11, v8
	v_cmp_eq_u32_e64 s[34:35], 0, v15
	v_cmp_ne_u64_e64 s[36:37], 0, v[10:11]
	s_and_b64 s[36:37], s[36:37], s[34:35]
	v_add_u32_e32 v61, v63, v17
	; wave barrier
	s_and_saveexec_b64 s[34:35], s[36:37]
	s_cbranch_execz .LBB2087_39
; %bb.38:
	v_bcnt_u32_b32 v8, v10, 0
	v_bcnt_u32_b32 v8, v11, v8
	s_waitcnt lgkmcnt(0)
	v_add_u32_e32 v8, v14, v8
	ds_write_b32 v61, v8 offset:64
.LBB2087_39:
	s_or_b64 exec, exec, s[34:35]
	v_lshrrev_b32_e32 v8, s60, v16
	v_and_b32_e32 v8, s66, v8
	v_mul_u32_u24_e32 v10, 0x44, v8
	v_mad_u32_u24 v11, v8, s38, v63
	v_cmp_ne_u32_e64 s[34:35], 0, v8
	v_lshl_add_u64 v[8:9], v[8:9], 0, -1
	s_nop 0
	v_xor_b32_e32 v8, s34, v8
	; wave barrier
	ds_read_b32 v16, v11 offset:64
	v_xor_b32_e32 v9, s35, v9
	v_and_b32_e32 v8, exec_lo, v8
	v_and_b32_e32 v9, exec_hi, v9
	v_mbcnt_lo_u32_b32 v11, v8, 0
	v_mbcnt_hi_u32_b32 v17, v9, v11
	v_cmp_eq_u32_e64 s[34:35], 0, v17
	v_cmp_ne_u64_e64 s[36:37], 0, v[8:9]
	s_and_b64 s[36:37], s[36:37], s[34:35]
	v_add_u32_e32 v62, v63, v10
	; wave barrier
	s_and_saveexec_b64 s[34:35], s[36:37]
	s_cbranch_execz .LBB2087_41
; %bb.40:
	v_bcnt_u32_b32 v8, v8, 0
	v_bcnt_u32_b32 v8, v9, v8
	s_waitcnt lgkmcnt(0)
	v_add_u32_e32 v8, v16, v8
	ds_write_b32 v62, v8 offset:64
.LBB2087_41:
	s_or_b64 exec, exec, s[34:35]
	v_lshrrev_b32_e32 v8, s60, v18
	v_and_b32_e32 v8, s66, v8
	v_mad_u32_u24 v9, v8, s38, v63
	; wave barrier
	ds_read_b32 v18, v9 offset:64
	v_mov_b32_e32 v9, 0
	v_cmp_ne_u32_e64 s[34:35], 0, v8
	v_lshl_add_u64 v[10:11], v[8:9], 0, -1
	v_mul_u32_u24_e32 v21, 0x44, v8
	v_xor_b32_e32 v10, s34, v10
	v_xor_b32_e32 v8, s35, v11
	v_and_b32_e32 v10, exec_lo, v10
	v_and_b32_e32 v11, exec_hi, v8
	v_mbcnt_lo_u32_b32 v8, v10, 0
	v_mbcnt_hi_u32_b32 v19, v11, v8
	v_cmp_eq_u32_e64 s[34:35], 0, v19
	v_cmp_ne_u64_e64 s[36:37], 0, v[10:11]
	s_and_b64 s[36:37], s[36:37], s[34:35]
	v_add_u32_e32 v64, v63, v21
	; wave barrier
	s_and_saveexec_b64 s[34:35], s[36:37]
	s_cbranch_execz .LBB2087_43
; %bb.42:
	v_bcnt_u32_b32 v8, v10, 0
	v_bcnt_u32_b32 v8, v11, v8
	s_waitcnt lgkmcnt(0)
	v_add_u32_e32 v8, v18, v8
	ds_write_b32 v64, v8 offset:64
.LBB2087_43:
	;; [unrolled: 60-line block ×7, first 2 shown]
	s_or_b64 exec, exec, s[34:35]
	v_lshrrev_b32_e32 v8, s60, v29
	v_and_b32_e32 v8, s66, v8
	v_mul_u32_u24_e32 v10, 0x44, v8
	v_mad_u32_u24 v11, v8, s38, v63
	v_cmp_ne_u32_e64 s[34:35], 0, v8
	v_lshl_add_u64 v[8:9], v[8:9], 0, -1
	s_nop 0
	v_xor_b32_e32 v8, s34, v8
	; wave barrier
	ds_read_b32 v57, v11 offset:64
	v_xor_b32_e32 v9, s35, v9
	v_and_b32_e32 v8, exec_lo, v8
	v_and_b32_e32 v9, exec_hi, v9
	v_mbcnt_lo_u32_b32 v11, v8, 0
	v_mbcnt_hi_u32_b32 v58, v9, v11
	v_cmp_eq_u32_e64 s[34:35], 0, v58
	v_cmp_ne_u64_e64 s[36:37], 0, v[8:9]
	s_and_b64 s[36:37], s[36:37], s[34:35]
	v_add_u32_e32 v75, v63, v10
	; wave barrier
	s_and_saveexec_b64 s[34:35], s[36:37]
	s_cbranch_execz .LBB2087_65
; %bb.64:
	v_bcnt_u32_b32 v8, v8, 0
	v_bcnt_u32_b32 v8, v9, v8
	s_waitcnt lgkmcnt(0)
	v_add_u32_e32 v8, v57, v8
	ds_write_b32 v75, v8 offset:64
.LBB2087_65:
	s_or_b64 exec, exec, s[34:35]
	; wave barrier
	s_waitcnt lgkmcnt(0)
	s_barrier
	ds_read2_b32 v[10:11], v42 offset0:16 offset1:17
	ds_read2_b32 v[8:9], v42 offset0:18 offset1:19
	ds_read_b32 v29, v42 offset:80
	v_cmp_lt_u32_e64 s[44:45], 31, v32
	s_waitcnt lgkmcnt(1)
	v_add3_u32 v63, v11, v10, v8
	s_waitcnt lgkmcnt(0)
	v_add3_u32 v29, v63, v9, v29
	v_and_b32_e32 v63, 15, v32
	v_cmp_eq_u32_e64 s[34:35], 0, v63
	v_mov_b32_dpp v76, v29 row_shr:1 row_mask:0xf bank_mask:0xf
	v_cmp_lt_u32_e64 s[36:37], 1, v63
	v_cndmask_b32_e64 v76, v76, 0, s[34:35]
	v_add_u32_e32 v29, v76, v29
	v_cmp_lt_u32_e64 s[38:39], 3, v63
	v_cmp_lt_u32_e64 s[40:41], 7, v63
	v_mov_b32_dpp v76, v29 row_shr:2 row_mask:0xf bank_mask:0xf
	v_cndmask_b32_e64 v76, 0, v76, s[36:37]
	v_add_u32_e32 v29, v29, v76
	s_nop 1
	v_mov_b32_dpp v76, v29 row_shr:4 row_mask:0xf bank_mask:0xf
	v_cndmask_b32_e64 v76, 0, v76, s[38:39]
	v_add_u32_e32 v29, v29, v76
	s_nop 1
	v_mov_b32_dpp v76, v29 row_shr:8 row_mask:0xf bank_mask:0xf
	v_cndmask_b32_e64 v63, 0, v76, s[40:41]
	v_add_u32_e32 v29, v29, v63
	v_bfe_i32 v76, v32, 4, 1
	s_nop 0
	v_mov_b32_dpp v63, v29 row_bcast:15 row_mask:0xf bank_mask:0xf
	v_and_b32_e32 v63, v76, v63
	v_add_u32_e32 v29, v29, v63
	v_lshrrev_b32_e32 v76, 6, v2
	s_nop 0
	v_mov_b32_dpp v63, v29 row_bcast:31 row_mask:0xf bank_mask:0xf
	v_cndmask_b32_e64 v63, 0, v63, s[44:45]
	v_add_u32_e32 v63, v29, v63
	v_and_b32_e32 v29, 63, v2
	v_cmp_eq_u32_e64 s[44:45], 63, v29
	s_and_saveexec_b64 s[64:65], s[44:45]
; %bb.66:
	v_lshlrev_b32_e32 v29, 2, v76
	ds_write_b32 v29, v63
; %bb.67:
	s_or_b64 exec, exec, s[64:65]
	v_cmp_gt_u32_e64 s[44:45], 16, v2
	v_lshlrev_b32_e32 v29, 2, v2
	s_waitcnt lgkmcnt(0)
	s_barrier
	s_and_saveexec_b64 s[64:65], s[44:45]
	s_cbranch_execz .LBB2087_69
; %bb.68:
	ds_read_b32 v77, v29
	s_waitcnt lgkmcnt(0)
	s_nop 0
	v_mov_b32_dpp v78, v77 row_shr:1 row_mask:0xf bank_mask:0xf
	v_cndmask_b32_e64 v78, v78, 0, s[34:35]
	v_add_u32_e32 v77, v78, v77
	s_nop 1
	v_mov_b32_dpp v78, v77 row_shr:2 row_mask:0xf bank_mask:0xf
	v_cndmask_b32_e64 v78, 0, v78, s[36:37]
	v_add_u32_e32 v77, v77, v78
	;; [unrolled: 4-line block ×4, first 2 shown]
	ds_write_b32 v29, v77
.LBB2087_69:
	s_or_b64 exec, exec, s[64:65]
	v_cmp_lt_u32_e64 s[34:35], 63, v2
	v_mov_b32_e32 v77, 0
	s_waitcnt lgkmcnt(0)
	s_barrier
	s_and_saveexec_b64 s[36:37], s[34:35]
; %bb.70:
	v_lshl_add_u32 v76, v76, 2, -4
	ds_read_b32 v77, v76
; %bb.71:
	s_or_b64 exec, exec, s[36:37]
	v_subrev_co_u32_e64 v76, s[34:35], 1, v32
	v_and_b32_e32 v78, 64, v32
	v_cmp_lt_i32_e64 s[36:37], v76, v78
	s_waitcnt lgkmcnt(0)
	v_add_u32_e32 v63, v77, v63
	s_movk_i32 s38, 0x100
	v_cndmask_b32_e64 v32, v76, v32, s[36:37]
	v_lshlrev_b32_e32 v32, 2, v32
	ds_bpermute_b32 v32, v32, v63
	v_cmp_gt_u32_e64 s[36:37], s38, v2
	s_waitcnt lgkmcnt(0)
	v_cndmask_b32_e64 v32, v32, v77, s[34:35]
	v_cmp_ne_u32_e64 s[34:35], 0, v2
	s_nop 1
	v_cndmask_b32_e64 v32, 0, v32, s[34:35]
	v_add_u32_e32 v10, v32, v10
	v_add_u32_e32 v11, v10, v11
	;; [unrolled: 1-line block ×4, first 2 shown]
	ds_write2_b32 v42, v32, v10 offset0:16 offset1:17
	ds_write2_b32 v42, v11, v8 offset0:18 offset1:19
	ds_write_b32 v42, v9 offset:80
	s_waitcnt lgkmcnt(0)
	s_barrier
	ds_read_b32 v8, v59 offset:64
	ds_read_b32 v59, v60 offset:64
	;; [unrolled: 1-line block ×16, first 2 shown]
	s_movk_i32 s34, 0xff
	v_cmp_lt_u32_e64 s[34:35], s34, v2
                                        ; implicit-def: $vgpr32
                                        ; implicit-def: $vgpr42
	s_and_saveexec_b64 s[40:41], s[36:37]
	s_cbranch_execz .LBB2087_75
; %bb.72:
	v_mul_u32_u24_e32 v9, 0x44, v2
	ds_read_b32 v32, v9 offset:64
	v_add_u32_e32 v10, 1, v2
	v_cmp_ne_u32_e64 s[38:39], s38, v10
	v_mov_b32_e32 v9, 0x4000
	s_and_saveexec_b64 s[44:45], s[38:39]
; %bb.73:
	v_mul_u32_u24_e32 v9, 0x44, v10
	ds_read_b32 v9, v9 offset:64
; %bb.74:
	s_or_b64 exec, exec, s[44:45]
	s_waitcnt lgkmcnt(0)
	v_sub_u32_e32 v42, v9, v32
.LBB2087_75:
	s_or_b64 exec, exec, s[40:41]
	s_waitcnt lgkmcnt(14)
	v_add_u32_e32 v46, v8, v46
	v_add3_u32 v74, v7, v3, v59
	s_waitcnt lgkmcnt(13)
	v_add3_u32 v75, v15, v14, v60
	s_waitcnt lgkmcnt(12)
	v_add3_u32 v76, v17, v16, v61
	s_waitcnt lgkmcnt(11)
	v_add3_u32 v77, v19, v18, v62
	s_waitcnt lgkmcnt(10)
	v_add3_u32 v78, v21, v20, v63
	s_waitcnt lgkmcnt(9)
	v_add3_u32 v79, v23, v22, v64
	s_waitcnt lgkmcnt(8)
	v_add3_u32 v80, v25, v24, v65
	s_waitcnt lgkmcnt(7)
	v_add3_u32 v81, v28, v26, v66
	s_waitcnt lgkmcnt(6)
	v_add3_u32 v82, v34, v33, v67
	s_waitcnt lgkmcnt(5)
	v_add3_u32 v83, v38, v37, v68
	s_waitcnt lgkmcnt(4)
	v_add3_u32 v84, v44, v41, v69
	s_waitcnt lgkmcnt(3)
	v_add3_u32 v85, v50, v47, v70
	s_waitcnt lgkmcnt(2)
	v_add3_u32 v86, v54, v51, v71
	s_waitcnt lgkmcnt(1)
	v_add3_u32 v87, v56, v55, v72
	s_waitcnt lgkmcnt(0)
	v_add3_u32 v88, v58, v57, v73
	v_mov_b32_e32 v9, 0
	s_barrier
	ds_write_b8 v46, v12 offset:1024
	ds_write_b8 v74, v5 offset:1024
	ds_write_b8 v75, v27 offset:1024
	ds_write_b8 v76, v13 offset:1024
	ds_write_b8 v77, v31 offset:1024
	ds_write_b8 v78, v30 offset:1024
	ds_write_b8 v79, v36 offset:1024
	ds_write_b8 v80, v35 offset:1024
	ds_write_b8 v81, v40 offset:1024
	ds_write_b8 v82, v39 offset:1024
	ds_write_b8 v83, v45 offset:1024
	ds_write_b8 v84, v43 offset:1024
	ds_write_b8 v85, v49 offset:1024
	ds_write_b8 v86, v48 offset:1024
	ds_write_b8 v87, v53 offset:1024
	ds_write_b8 v88, v52 offset:1024
	s_and_saveexec_b64 s[38:39], s[36:37]
	s_cbranch_execz .LBB2087_85
; %bb.76:
	v_lshl_add_u32 v8, s2, 8, v2
	v_lshl_add_u64 v[10:11], v[8:9], 2, s[46:47]
	v_or_b32_e32 v5, 2.0, v42
	global_store_dword v[10:11], v5, off sc1
	s_mov_b64 s[40:41], 0
	s_brev_b32 s67, -4
	s_mov_b32 s68, s2
	v_mov_b32_e32 v5, 0
                                        ; implicit-def: $sgpr36_sgpr37
	s_branch .LBB2087_79
.LBB2087_77:                            ;   in Loop: Header=BB2087_79 Depth=1
	s_or_b64 exec, exec, s[64:65]
.LBB2087_78:                            ;   in Loop: Header=BB2087_79 Depth=1
	s_or_b64 exec, exec, s[44:45]
	v_and_b32_e32 v12, 0x3fffffff, v8
	v_add_u32_e32 v5, v12, v5
	v_cmp_gt_i32_e64 s[36:37], -2.0, v8
	s_and_b64 s[44:45], exec, s[36:37]
	s_or_b64 s[40:41], s[44:45], s[40:41]
	s_andn2_b64 exec, exec, s[40:41]
	s_cbranch_execz .LBB2087_84
.LBB2087_79:                            ; =>This Loop Header: Depth=1
                                        ;     Child Loop BB2087_82 Depth 2
	s_or_b64 s[36:37], s[36:37], exec
	s_cmp_eq_u32 s68, 0
	s_cbranch_scc1 .LBB2087_83
; %bb.80:                               ;   in Loop: Header=BB2087_79 Depth=1
	s_add_i32 s68, s68, -1
	v_lshl_or_b32 v8, s68, 8, v2
	v_lshl_add_u64 v[12:13], v[8:9], 2, s[46:47]
	global_load_dword v8, v[12:13], off sc1
	s_waitcnt vmcnt(0)
	v_cmp_gt_u32_e64 s[36:37], 2.0, v8
	s_and_saveexec_b64 s[44:45], s[36:37]
	s_cbranch_execz .LBB2087_78
; %bb.81:                               ;   in Loop: Header=BB2087_79 Depth=1
	s_mov_b64 s[64:65], 0
.LBB2087_82:                            ;   Parent Loop BB2087_79 Depth=1
                                        ; =>  This Inner Loop Header: Depth=2
	global_load_dword v8, v[12:13], off sc1
	s_waitcnt vmcnt(0)
	v_cmp_lt_u32_e64 s[36:37], s67, v8
	s_or_b64 s[64:65], s[36:37], s[64:65]
	s_andn2_b64 exec, exec, s[64:65]
	s_cbranch_execnz .LBB2087_82
	s_branch .LBB2087_77
.LBB2087_83:                            ;   in Loop: Header=BB2087_79 Depth=1
                                        ; implicit-def: $sgpr68
	s_and_b64 s[44:45], exec, s[36:37]
	s_or_b64 s[40:41], s[44:45], s[40:41]
	s_andn2_b64 exec, exec, s[40:41]
	s_cbranch_execnz .LBB2087_79
.LBB2087_84:
	s_or_b64 exec, exec, s[40:41]
	v_add_u32_e32 v8, v5, v42
	v_or_b32_e32 v8, 0x80000000, v8
	global_store_dword v[10:11], v8, off sc1
	global_load_dword v8, v29, s[56:57]
	v_sub_u32_e32 v5, v5, v32
	s_waitcnt vmcnt(0)
	v_add_u32_e32 v5, v5, v8
	ds_write_b32 v29, v5
.LBB2087_85:
	s_or_b64 exec, exec, s[38:39]
	v_cmp_gt_u32_e64 s[36:37], s3, v2
	s_waitcnt lgkmcnt(0)
	s_barrier
	s_and_saveexec_b64 s[38:39], s[36:37]
	s_cbranch_execz .LBB2087_87
; %bb.86:
	ds_read_u8 v5, v2 offset:1024
	s_waitcnt lgkmcnt(0)
	v_and_b32_e32 v8, 1, v5
	v_lshrrev_b32_e32 v8, s60, v8
	v_and_b32_e32 v8, s66, v8
	v_lshlrev_b32_e32 v9, 2, v8
	ds_read_b32 v9, v9
	s_waitcnt lgkmcnt(0)
	v_add_u32_e32 v9, v9, v2
	global_store_byte v9, v5, s[50:51]
	scratch_store_dword off, v8, off
.LBB2087_87:
	s_or_b64 exec, exec, s[38:39]
	v_or_b32_e32 v5, 0x400, v2
	v_cmp_gt_u32_e64 s[36:37], s3, v5
	s_and_saveexec_b64 s[38:39], s[36:37]
	s_cbranch_execz .LBB2087_89
; %bb.88:
	ds_read_u8 v8, v2 offset:2048
	s_waitcnt lgkmcnt(0)
	v_and_b32_e32 v9, 1, v8
	v_lshrrev_b32_e32 v9, s60, v9
	v_and_b32_e32 v9, s66, v9
	v_lshlrev_b32_e32 v10, 2, v9
	ds_read_b32 v10, v10
	s_waitcnt lgkmcnt(0)
	v_add_u32_e32 v5, v10, v5
	global_store_byte v5, v8, s[50:51]
	scratch_store_dword off, v9, off offset:4
.LBB2087_89:
	s_or_b64 exec, exec, s[38:39]
	v_or_b32_e32 v5, 0x800, v2
	v_cmp_gt_u32_e64 s[36:37], s3, v5
	s_and_saveexec_b64 s[38:39], s[36:37]
	s_cbranch_execz .LBB2087_91
; %bb.90:
	ds_read_u8 v8, v2 offset:3072
	s_waitcnt lgkmcnt(0)
	v_and_b32_e32 v9, 1, v8
	v_lshrrev_b32_e32 v9, s60, v9
	v_and_b32_e32 v9, s66, v9
	v_lshlrev_b32_e32 v10, 2, v9
	ds_read_b32 v10, v10
	s_waitcnt lgkmcnt(0)
	v_add_u32_e32 v5, v10, v5
	global_store_byte v5, v8, s[50:51]
	scratch_store_dword off, v9, off offset:8
.LBB2087_91:
	;; [unrolled: 18-line block ×15, first 2 shown]
	s_or_b64 exec, exec, s[38:39]
	s_lshl_b64 s[36:37], s[62:63], 2
	s_add_u32 s36, s52, s36
	s_addc_u32 s37, s53, s37
	v_lshlrev_b32_e32 v8, 2, v6
	v_mov_b32_e32 v9, 0
	v_lshl_add_u64 v[10:11], s[36:37], 0, v[8:9]
	v_lshlrev_b32_e32 v8, 2, v4
	v_lshl_add_u64 v[4:5], v[10:11], 0, v[8:9]
                                        ; implicit-def: $vgpr6
	s_and_saveexec_b64 s[36:37], vcc
	s_xor_b64 s[36:37], exec, s[36:37]
	s_cbranch_execz .LBB2087_133
; %bb.118:
	global_load_dword v6, v[4:5], off
	s_or_b64 exec, exec, s[36:37]
                                        ; implicit-def: $vgpr8
	s_and_saveexec_b64 s[36:37], s[42:43]
	s_cbranch_execnz .LBB2087_134
.LBB2087_119:
	s_or_b64 exec, exec, s[36:37]
                                        ; implicit-def: $vgpr9
	s_and_saveexec_b64 s[36:37], s[4:5]
	s_cbranch_execz .LBB2087_135
.LBB2087_120:
	global_load_dword v9, v[4:5], off offset:512
	s_or_b64 exec, exec, s[36:37]
                                        ; implicit-def: $vgpr10
	s_and_saveexec_b64 s[4:5], s[6:7]
	s_cbranch_execnz .LBB2087_136
.LBB2087_121:
	s_or_b64 exec, exec, s[4:5]
                                        ; implicit-def: $vgpr11
	s_and_saveexec_b64 s[4:5], s[8:9]
	s_cbranch_execz .LBB2087_137
.LBB2087_122:
	global_load_dword v11, v[4:5], off offset:1024
	s_or_b64 exec, exec, s[4:5]
                                        ; implicit-def: $vgpr12
	s_and_saveexec_b64 s[4:5], s[10:11]
	s_cbranch_execnz .LBB2087_138
.LBB2087_123:
	s_or_b64 exec, exec, s[4:5]
                                        ; implicit-def: $vgpr13
	s_and_saveexec_b64 s[4:5], s[12:13]
	s_cbranch_execz .LBB2087_139
.LBB2087_124:
	global_load_dword v13, v[4:5], off offset:1536
	s_or_b64 exec, exec, s[4:5]
                                        ; implicit-def: $vgpr27
	s_and_saveexec_b64 s[4:5], s[14:15]
	s_cbranch_execnz .LBB2087_140
.LBB2087_125:
	s_or_b64 exec, exec, s[4:5]
                                        ; implicit-def: $vgpr30
	s_and_saveexec_b64 s[4:5], s[16:17]
	s_cbranch_execz .LBB2087_141
.LBB2087_126:
	global_load_dword v30, v[4:5], off offset:2048
	s_or_b64 exec, exec, s[4:5]
                                        ; implicit-def: $vgpr31
	s_and_saveexec_b64 s[4:5], s[18:19]
	s_cbranch_execnz .LBB2087_142
.LBB2087_127:
	s_or_b64 exec, exec, s[4:5]
                                        ; implicit-def: $vgpr35
	s_and_saveexec_b64 s[4:5], s[20:21]
	s_cbranch_execz .LBB2087_143
.LBB2087_128:
	global_load_dword v35, v[4:5], off offset:2560
	s_or_b64 exec, exec, s[4:5]
                                        ; implicit-def: $vgpr36
	s_and_saveexec_b64 s[4:5], s[22:23]
	s_cbranch_execnz .LBB2087_144
.LBB2087_129:
	s_or_b64 exec, exec, s[4:5]
                                        ; implicit-def: $vgpr39
	s_and_saveexec_b64 s[4:5], s[24:25]
	s_cbranch_execz .LBB2087_145
.LBB2087_130:
	global_load_dword v39, v[4:5], off offset:3072
	s_or_b64 exec, exec, s[4:5]
                                        ; implicit-def: $vgpr40
	s_and_saveexec_b64 s[4:5], s[26:27]
	s_cbranch_execnz .LBB2087_146
.LBB2087_131:
	s_or_b64 exec, exec, s[4:5]
                                        ; implicit-def: $vgpr43
	s_and_saveexec_b64 s[4:5], s[28:29]
	s_cbranch_execz .LBB2087_147
.LBB2087_132:
	global_load_dword v43, v[4:5], off offset:3584
	s_or_b64 exec, exec, s[4:5]
                                        ; implicit-def: $vgpr45
	s_and_saveexec_b64 s[4:5], s[30:31]
	s_cbranch_execnz .LBB2087_148
	s_branch .LBB2087_149
.LBB2087_133:
	s_or_b64 exec, exec, s[36:37]
                                        ; implicit-def: $vgpr8
	s_and_saveexec_b64 s[36:37], s[42:43]
	s_cbranch_execz .LBB2087_119
.LBB2087_134:
	global_load_dword v8, v[4:5], off offset:256
	s_or_b64 exec, exec, s[36:37]
                                        ; implicit-def: $vgpr9
	s_and_saveexec_b64 s[36:37], s[4:5]
	s_cbranch_execnz .LBB2087_120
.LBB2087_135:
	s_or_b64 exec, exec, s[36:37]
                                        ; implicit-def: $vgpr10
	s_and_saveexec_b64 s[4:5], s[6:7]
	s_cbranch_execz .LBB2087_121
.LBB2087_136:
	global_load_dword v10, v[4:5], off offset:768
	s_or_b64 exec, exec, s[4:5]
                                        ; implicit-def: $vgpr11
	s_and_saveexec_b64 s[4:5], s[8:9]
	s_cbranch_execnz .LBB2087_122
.LBB2087_137:
	s_or_b64 exec, exec, s[4:5]
                                        ; implicit-def: $vgpr12
	s_and_saveexec_b64 s[4:5], s[10:11]
	s_cbranch_execz .LBB2087_123
.LBB2087_138:
	global_load_dword v12, v[4:5], off offset:1280
	s_or_b64 exec, exec, s[4:5]
                                        ; implicit-def: $vgpr13
	s_and_saveexec_b64 s[4:5], s[12:13]
	s_cbranch_execnz .LBB2087_124
.LBB2087_139:
	s_or_b64 exec, exec, s[4:5]
                                        ; implicit-def: $vgpr27
	s_and_saveexec_b64 s[4:5], s[14:15]
	s_cbranch_execz .LBB2087_125
.LBB2087_140:
	global_load_dword v27, v[4:5], off offset:1792
	s_or_b64 exec, exec, s[4:5]
                                        ; implicit-def: $vgpr30
	s_and_saveexec_b64 s[4:5], s[16:17]
	s_cbranch_execnz .LBB2087_126
.LBB2087_141:
	s_or_b64 exec, exec, s[4:5]
                                        ; implicit-def: $vgpr31
	s_and_saveexec_b64 s[4:5], s[18:19]
	s_cbranch_execz .LBB2087_127
.LBB2087_142:
	global_load_dword v31, v[4:5], off offset:2304
	s_or_b64 exec, exec, s[4:5]
                                        ; implicit-def: $vgpr35
	s_and_saveexec_b64 s[4:5], s[20:21]
	s_cbranch_execnz .LBB2087_128
.LBB2087_143:
	s_or_b64 exec, exec, s[4:5]
                                        ; implicit-def: $vgpr36
	s_and_saveexec_b64 s[4:5], s[22:23]
	s_cbranch_execz .LBB2087_129
.LBB2087_144:
	global_load_dword v36, v[4:5], off offset:2816
	s_or_b64 exec, exec, s[4:5]
                                        ; implicit-def: $vgpr39
	s_and_saveexec_b64 s[4:5], s[24:25]
	s_cbranch_execnz .LBB2087_130
.LBB2087_145:
	s_or_b64 exec, exec, s[4:5]
                                        ; implicit-def: $vgpr40
	s_and_saveexec_b64 s[4:5], s[26:27]
	s_cbranch_execz .LBB2087_131
.LBB2087_146:
	global_load_dword v40, v[4:5], off offset:3328
	s_or_b64 exec, exec, s[4:5]
                                        ; implicit-def: $vgpr43
	s_and_saveexec_b64 s[4:5], s[28:29]
	s_cbranch_execnz .LBB2087_132
.LBB2087_147:
	s_or_b64 exec, exec, s[4:5]
                                        ; implicit-def: $vgpr45
	s_and_saveexec_b64 s[4:5], s[30:31]
	s_cbranch_execz .LBB2087_149
.LBB2087_148:
	global_load_dword v45, v[4:5], off offset:3840
.LBB2087_149:
	s_or_b64 exec, exec, s[4:5]
	v_mov_b32_e32 v4, 0x400
	s_movk_i32 s6, 0x400
	v_lshl_add_u32 v48, v88, 2, v4
	v_add3_u32 v49, v58, v73, v57
	v_lshl_add_u32 v52, v87, 2, v4
	v_add3_u32 v53, v56, v72, v55
	;; [unrolled: 2-line block ×15, first 2 shown]
	v_lshl_add_u32 v7, v46, 2, v4
	s_mov_b32 s7, 0
	s_mov_b32 s8, 0
	s_movk_i32 s9, 0x1000
	v_mov_b32_e32 v5, 0
	s_movk_i32 s10, 0x800
	s_movk_i32 s11, 0xc00
	s_mov_b32 s12, 0
	s_barrier
	s_branch .LBB2087_151
.LBB2087_150:                           ;   in Loop: Header=BB2087_151 Depth=1
	s_or_b64 exec, exec, s[4:5]
	s_addk_i32 s12, 0xc000
	s_addk_i32 s8, 0xf000
	s_add_i32 s7, s7, 16
	s_cmp_eq_u32 s12, 0xffff0000
	v_add_u32_e32 v2, 0x1000, v2
	s_barrier
	s_cbranch_scc1 .LBB2087_191
.LBB2087_151:                           ; =>This Inner Loop Header: Depth=1
	v_add_u32_e32 v4, s8, v46
	v_cmp_gt_u32_e32 vcc, s9, v4
	s_and_saveexec_b64 s[4:5], vcc
	s_cbranch_execz .LBB2087_153
; %bb.152:                              ;   in Loop: Header=BB2087_151 Depth=1
	v_add_u32_e32 v4, s12, v7
	s_waitcnt vmcnt(0)
	ds_write_b32 v4, v6
.LBB2087_153:                           ;   in Loop: Header=BB2087_151 Depth=1
	s_or_b64 exec, exec, s[4:5]
	v_add_u32_e32 v4, s8, v3
	v_cmp_gt_u32_e32 vcc, s9, v4
	s_and_saveexec_b64 s[4:5], vcc
	s_cbranch_execz .LBB2087_155
; %bb.154:                              ;   in Loop: Header=BB2087_151 Depth=1
	v_add_u32_e32 v4, s12, v15
	s_waitcnt vmcnt(0)
	ds_write_b32 v4, v8
.LBB2087_155:                           ;   in Loop: Header=BB2087_151 Depth=1
	s_or_b64 exec, exec, s[4:5]
	v_add_u32_e32 v4, s8, v14
	v_cmp_gt_u32_e32 vcc, s9, v4
	s_and_saveexec_b64 s[4:5], vcc
	s_cbranch_execz .LBB2087_157
; %bb.156:                              ;   in Loop: Header=BB2087_151 Depth=1
	v_add_u32_e32 v4, s12, v17
	s_waitcnt vmcnt(0)
	ds_write_b32 v4, v9
.LBB2087_157:                           ;   in Loop: Header=BB2087_151 Depth=1
	s_or_b64 exec, exec, s[4:5]
	v_add_u32_e32 v4, s8, v16
	v_cmp_gt_u32_e32 vcc, s9, v4
	s_and_saveexec_b64 s[4:5], vcc
	s_cbranch_execz .LBB2087_159
; %bb.158:                              ;   in Loop: Header=BB2087_151 Depth=1
	v_add_u32_e32 v4, s12, v19
	s_waitcnt vmcnt(0)
	ds_write_b32 v4, v10
.LBB2087_159:                           ;   in Loop: Header=BB2087_151 Depth=1
	s_or_b64 exec, exec, s[4:5]
	v_add_u32_e32 v4, s8, v18
	v_cmp_gt_u32_e32 vcc, s9, v4
	s_and_saveexec_b64 s[4:5], vcc
	s_cbranch_execz .LBB2087_161
; %bb.160:                              ;   in Loop: Header=BB2087_151 Depth=1
	v_add_u32_e32 v4, s12, v21
	s_waitcnt vmcnt(0)
	ds_write_b32 v4, v11
.LBB2087_161:                           ;   in Loop: Header=BB2087_151 Depth=1
	s_or_b64 exec, exec, s[4:5]
	v_add_u32_e32 v4, s8, v20
	v_cmp_gt_u32_e32 vcc, s9, v4
	s_and_saveexec_b64 s[4:5], vcc
	s_cbranch_execz .LBB2087_163
; %bb.162:                              ;   in Loop: Header=BB2087_151 Depth=1
	v_add_u32_e32 v4, s12, v23
	s_waitcnt vmcnt(0)
	ds_write_b32 v4, v12
.LBB2087_163:                           ;   in Loop: Header=BB2087_151 Depth=1
	s_or_b64 exec, exec, s[4:5]
	v_add_u32_e32 v4, s8, v22
	v_cmp_gt_u32_e32 vcc, s9, v4
	s_and_saveexec_b64 s[4:5], vcc
	s_cbranch_execz .LBB2087_165
; %bb.164:                              ;   in Loop: Header=BB2087_151 Depth=1
	v_add_u32_e32 v4, s12, v25
	s_waitcnt vmcnt(0)
	ds_write_b32 v4, v13
.LBB2087_165:                           ;   in Loop: Header=BB2087_151 Depth=1
	s_or_b64 exec, exec, s[4:5]
	v_add_u32_e32 v4, s8, v24
	v_cmp_gt_u32_e32 vcc, s9, v4
	s_and_saveexec_b64 s[4:5], vcc
	s_cbranch_execz .LBB2087_167
; %bb.166:                              ;   in Loop: Header=BB2087_151 Depth=1
	v_add_u32_e32 v4, s12, v28
	s_waitcnt vmcnt(0)
	ds_write_b32 v4, v27
.LBB2087_167:                           ;   in Loop: Header=BB2087_151 Depth=1
	s_or_b64 exec, exec, s[4:5]
	v_add_u32_e32 v4, s8, v26
	v_cmp_gt_u32_e32 vcc, s9, v4
	s_and_saveexec_b64 s[4:5], vcc
	s_cbranch_execz .LBB2087_169
; %bb.168:                              ;   in Loop: Header=BB2087_151 Depth=1
	v_add_u32_e32 v4, s12, v34
	s_waitcnt vmcnt(0)
	ds_write_b32 v4, v30
.LBB2087_169:                           ;   in Loop: Header=BB2087_151 Depth=1
	s_or_b64 exec, exec, s[4:5]
	v_add_u32_e32 v4, s8, v33
	v_cmp_gt_u32_e32 vcc, s9, v4
	s_and_saveexec_b64 s[4:5], vcc
	s_cbranch_execz .LBB2087_171
; %bb.170:                              ;   in Loop: Header=BB2087_151 Depth=1
	v_add_u32_e32 v4, s12, v38
	s_waitcnt vmcnt(0)
	ds_write_b32 v4, v31
.LBB2087_171:                           ;   in Loop: Header=BB2087_151 Depth=1
	s_or_b64 exec, exec, s[4:5]
	v_add_u32_e32 v4, s8, v37
	v_cmp_gt_u32_e32 vcc, s9, v4
	s_and_saveexec_b64 s[4:5], vcc
	s_cbranch_execz .LBB2087_173
; %bb.172:                              ;   in Loop: Header=BB2087_151 Depth=1
	v_add_u32_e32 v4, s12, v44
	s_waitcnt vmcnt(0)
	ds_write_b32 v4, v35
.LBB2087_173:                           ;   in Loop: Header=BB2087_151 Depth=1
	s_or_b64 exec, exec, s[4:5]
	v_add_u32_e32 v4, s8, v41
	v_cmp_gt_u32_e32 vcc, s9, v4
	s_and_saveexec_b64 s[4:5], vcc
	s_cbranch_execz .LBB2087_175
; %bb.174:                              ;   in Loop: Header=BB2087_151 Depth=1
	v_add_u32_e32 v4, s12, v50
	s_waitcnt vmcnt(0)
	ds_write_b32 v4, v36
.LBB2087_175:                           ;   in Loop: Header=BB2087_151 Depth=1
	s_or_b64 exec, exec, s[4:5]
	v_add_u32_e32 v4, s8, v47
	v_cmp_gt_u32_e32 vcc, s9, v4
	s_and_saveexec_b64 s[4:5], vcc
	s_cbranch_execz .LBB2087_177
; %bb.176:                              ;   in Loop: Header=BB2087_151 Depth=1
	v_add_u32_e32 v4, s12, v54
	s_waitcnt vmcnt(0)
	ds_write_b32 v4, v39
.LBB2087_177:                           ;   in Loop: Header=BB2087_151 Depth=1
	s_or_b64 exec, exec, s[4:5]
	v_add_u32_e32 v4, s8, v51
	v_cmp_gt_u32_e32 vcc, s9, v4
	s_and_saveexec_b64 s[4:5], vcc
	s_cbranch_execz .LBB2087_179
; %bb.178:                              ;   in Loop: Header=BB2087_151 Depth=1
	v_add_u32_e32 v4, s12, v55
	s_waitcnt vmcnt(0)
	ds_write_b32 v4, v40
.LBB2087_179:                           ;   in Loop: Header=BB2087_151 Depth=1
	s_or_b64 exec, exec, s[4:5]
	v_add_u32_e32 v4, s8, v53
	v_cmp_gt_u32_e32 vcc, s9, v4
	s_and_saveexec_b64 s[4:5], vcc
	s_cbranch_execz .LBB2087_181
; %bb.180:                              ;   in Loop: Header=BB2087_151 Depth=1
	v_add_u32_e32 v4, s12, v52
	s_waitcnt vmcnt(0)
	ds_write_b32 v4, v43
.LBB2087_181:                           ;   in Loop: Header=BB2087_151 Depth=1
	s_or_b64 exec, exec, s[4:5]
	v_add_u32_e32 v4, s8, v49
	v_cmp_gt_u32_e32 vcc, s9, v4
	s_and_saveexec_b64 s[4:5], vcc
	s_cbranch_execz .LBB2087_183
; %bb.182:                              ;   in Loop: Header=BB2087_151 Depth=1
	v_add_u32_e32 v4, s12, v48
	s_waitcnt vmcnt(0)
	ds_write_b32 v4, v45
.LBB2087_183:                           ;   in Loop: Header=BB2087_151 Depth=1
	s_or_b64 exec, exec, s[4:5]
	v_cmp_gt_u32_e32 vcc, s3, v2
	s_waitcnt lgkmcnt(0)
	s_barrier
	s_and_saveexec_b64 s[4:5], vcc
	s_cbranch_execz .LBB2087_185
; %bb.184:                              ;   in Loop: Header=BB2087_151 Depth=1
	scratch_load_dword v4, off, s7
	s_waitcnt vmcnt(0)
	v_lshlrev_b32_e32 v4, 2, v4
	ds_read_b32 v4, v4
	ds_read_b32 v58, v29 offset:1024
	s_waitcnt lgkmcnt(1)
	v_add_u32_e32 v4, v2, v4
	v_lshl_add_u64 v[56:57], v[4:5], 2, s[54:55]
	s_waitcnt lgkmcnt(0)
	global_store_dword v[56:57], v58, off
.LBB2087_185:                           ;   in Loop: Header=BB2087_151 Depth=1
	s_or_b64 exec, exec, s[4:5]
	v_add_u32_e32 v4, 0x400, v2
	v_cmp_gt_u32_e32 vcc, s3, v4
	s_and_saveexec_b64 s[4:5], vcc
	s_cbranch_execz .LBB2087_187
; %bb.186:                              ;   in Loop: Header=BB2087_151 Depth=1
	s_add_i32 s13, s7, 4
	scratch_load_dword v4, off, s13
	s_waitcnt vmcnt(0)
	v_lshlrev_b32_e32 v4, 2, v4
	ds_read_b32 v4, v4
	ds_read_b32 v58, v29 offset:5120
	s_waitcnt lgkmcnt(1)
	v_add3_u32 v4, v2, v4, s6
	v_lshl_add_u64 v[56:57], v[4:5], 2, s[54:55]
	s_waitcnt lgkmcnt(0)
	global_store_dword v[56:57], v58, off
.LBB2087_187:                           ;   in Loop: Header=BB2087_151 Depth=1
	s_or_b64 exec, exec, s[4:5]
	v_add_u32_e32 v4, 0x800, v2
	v_cmp_gt_u32_e32 vcc, s3, v4
	s_and_saveexec_b64 s[4:5], vcc
	s_cbranch_execz .LBB2087_189
; %bb.188:                              ;   in Loop: Header=BB2087_151 Depth=1
	s_add_i32 s13, s7, 8
	scratch_load_dword v4, off, s13
	s_waitcnt vmcnt(0)
	v_lshlrev_b32_e32 v4, 2, v4
	ds_read_b32 v4, v4
	ds_read_b32 v58, v29 offset:9216
	s_waitcnt lgkmcnt(1)
	v_add3_u32 v4, v2, v4, s10
	v_lshl_add_u64 v[56:57], v[4:5], 2, s[54:55]
	s_waitcnt lgkmcnt(0)
	global_store_dword v[56:57], v58, off
.LBB2087_189:                           ;   in Loop: Header=BB2087_151 Depth=1
	s_or_b64 exec, exec, s[4:5]
	v_add_u32_e32 v4, 0xc00, v2
	v_cmp_gt_u32_e32 vcc, s3, v4
	s_and_saveexec_b64 s[4:5], vcc
	s_cbranch_execz .LBB2087_150
; %bb.190:                              ;   in Loop: Header=BB2087_151 Depth=1
	s_add_i32 s13, s7, 12
	scratch_load_dword v4, off, s13
	s_waitcnt vmcnt(0)
	v_lshlrev_b32_e32 v4, 2, v4
	ds_read_b32 v4, v4
	ds_read_b32 v58, v29 offset:13312
	s_waitcnt lgkmcnt(1)
	v_add3_u32 v4, v2, v4, s11
	v_lshl_add_u64 v[56:57], v[4:5], 2, s[54:55]
	s_waitcnt lgkmcnt(0)
	global_store_dword v[56:57], v58, off
	s_branch .LBB2087_150
.LBB2087_191:
	s_add_i32 s33, s33, -1
	s_cmp_eq_u32 s2, s33
	s_cselect_b64 s[4:5], -1, 0
	s_xor_b64 s[6:7], s[34:35], -1
	s_and_b64 s[6:7], s[6:7], s[4:5]
	s_and_saveexec_b64 s[4:5], s[6:7]
	s_cbranch_execz .LBB2087_193
; %bb.192:
	ds_read_b32 v2, v29
	s_waitcnt lgkmcnt(0)
	v_add3_u32 v2, v32, v42, v2
	global_store_dword v29, v2, s[58:59]
.LBB2087_193:
	s_or_b64 exec, exec, s[4:5]
	s_mov_b64 s[4:5], 0
.LBB2087_194:
	s_and_b64 vcc, exec, s[4:5]
	s_cbranch_vccz .LBB2087_283
; %bb.195:
	s_lshl_b32 s10, s2, 14
	v_and_b32_e32 v16, 0x3ff, v0
	s_add_u32 s4, s48, s10
	v_mbcnt_hi_u32_b32 v42, -1, v1
	s_addc_u32 s5, s49, 0
	v_and_b32_e32 v20, 63, v42
	v_lshlrev_b32_e32 v1, 4, v16
	v_mov_b32_e32 v21, 0
	v_and_b32_e32 v18, 0x3c00, v1
	v_lshl_add_u64 v[2:3], s[4:5], 0, v[20:21]
	v_mov_b32_e32 v19, v21
	v_lshl_add_u64 v[2:3], v[2:3], 0, v[18:19]
	s_load_dword s3, s[0:1], 0x58
	s_load_dword s4, s[0:1], 0x64
	global_load_ubyte v4, v[2:3], off
	s_add_u32 s0, s0, 0x58
	s_addc_u32 s1, s1, 0
	v_mov_b32_e32 v1, v21
	s_waitcnt lgkmcnt(0)
	s_lshr_b32 s5, s4, 16
	s_cmp_lt_u32 s2, s3
	s_cselect_b32 s4, 12, 18
	s_add_u32 s0, s0, s4
	s_addc_u32 s1, s1, 0
	global_load_ushort v17, v21, s[0:1]
	global_load_ubyte v57, v[2:3], off offset:64
	global_load_ubyte v56, v[2:3], off offset:128
	global_load_ubyte v55, v[2:3], off offset:192
	global_load_ubyte v54, v[2:3], off offset:256
	global_load_ubyte v15, v[2:3], off offset:320
	global_load_ubyte v14, v[2:3], off offset:384
	global_load_ubyte v12, v[2:3], off offset:448
	global_load_ubyte v5, v[2:3], off offset:512
	global_load_ubyte v6, v[2:3], off offset:576
	global_load_ubyte v7, v[2:3], off offset:640
	global_load_ubyte v8, v[2:3], off offset:704
	global_load_ubyte v9, v[2:3], off offset:768
	global_load_ubyte v10, v[2:3], off offset:832
	global_load_ubyte v11, v[2:3], off offset:896
                                        ; kill: killed $sgpr0 killed $sgpr1
	global_load_ubyte v13, v[2:3], off offset:960
	v_bfe_u32 v2, v0, 10, 10
	v_bfe_u32 v0, v0, 20, 10
	v_mad_u32_u24 v2, v0, s5, v2
	s_lshl_b32 s0, -1, s61
	s_not_b32 s14, s0
	s_mov_b32 s11, 0
	s_movk_i32 s4, 0x44
	v_mul_u32_u24_e32 v44, 20, v16
	ds_write2_b32 v44, v21, v21 offset0:16 offset1:17
	ds_write2_b32 v44, v21, v21 offset0:18 offset1:19
	ds_write_b32 v44, v21 offset:80
	s_waitcnt lgkmcnt(0)
	s_barrier
	s_waitcnt vmcnt(16)
	; wave barrier
	v_and_b32_e32 v0, 1, v4
	v_lshrrev_b32_e32 v0, s60, v0
	v_bitop3_b32 v0, v0, s0, v0 bitop3:0x30
	v_mul_u32_u24_e32 v19, 0x44, v0
	v_cmp_ne_u32_e32 vcc, 0, v0
	v_lshl_add_u64 v[0:1], v[0:1], 0, -1
	s_waitcnt vmcnt(15)
	v_mad_u64_u32 v[2:3], s[0:1], v2, v17, v[16:17]
	v_xor_b32_e32 v0, vcc_lo, v0
	v_xor_b32_e32 v1, vcc_hi, v1
	v_and_b32_e32 v0, exec_lo, v0
	v_and_b32_e32 v1, exec_hi, v1
	v_mbcnt_lo_u32_b32 v3, v0, 0
	v_lshrrev_b32_e32 v2, 4, v2
	v_mbcnt_hi_u32_b32 v46, v1, v3
	v_cmp_ne_u64_e32 vcc, 0, v[0:1]
	v_and_b32_e32 v37, 0xffffffc, v2
	v_cmp_eq_u32_e64 s[0:1], 0, v46
	s_and_b64 s[6:7], vcc, s[0:1]
	v_add_u32_e32 v58, v37, v19
	s_and_saveexec_b64 s[0:1], s[6:7]
; %bb.196:
	v_bcnt_u32_b32 v0, v0, 0
	v_bcnt_u32_b32 v0, v1, v0
	ds_write_b32 v58, v0 offset:64
; %bb.197:
	s_or_b64 exec, exec, s[0:1]
	s_waitcnt vmcnt(14)
	v_lshrrev_b32_sdwa v0, s60, v57 dst_sel:DWORD dst_unused:UNUSED_PAD src0_sel:DWORD src1_sel:BYTE_0
	v_and_b32_e32 v0, s14, v0
	v_mad_u32_u24 v1, v0, s4, v37
	; wave barrier
	ds_read_b32 v17, v1 offset:64
	v_mov_b32_e32 v1, v21
	v_mul_u32_u24_e32 v2, 0x44, v0
	v_cmp_ne_u32_e32 vcc, 0, v0
	v_lshl_add_u64 v[0:1], v[0:1], 0, -1
	v_add_u32_e32 v21, v37, v2
	v_xor_b32_e32 v0, vcc_lo, v0
	v_xor_b32_e32 v1, vcc_hi, v1
	v_and_b32_e32 v0, exec_lo, v0
	v_and_b32_e32 v1, exec_hi, v1
	v_mbcnt_lo_u32_b32 v3, v0, 0
	v_mbcnt_hi_u32_b32 v19, v1, v3
	v_cmp_eq_u32_e32 vcc, 0, v19
	v_cmp_ne_u64_e64 s[0:1], 0, v[0:1]
	s_and_b64 s[4:5], s[0:1], vcc
	; wave barrier
	s_and_saveexec_b64 s[0:1], s[4:5]
	s_cbranch_execz .LBB2087_199
; %bb.198:
	v_bcnt_u32_b32 v0, v0, 0
	v_bcnt_u32_b32 v0, v1, v0
	s_waitcnt lgkmcnt(0)
	v_add_u32_e32 v0, v17, v0
	ds_write_b32 v21, v0 offset:64
.LBB2087_199:
	s_or_b64 exec, exec, s[0:1]
	s_waitcnt vmcnt(13)
	v_lshrrev_b32_sdwa v0, s60, v56 dst_sel:DWORD dst_unused:UNUSED_PAD src0_sel:DWORD src1_sel:BYTE_0
	v_and_b32_e32 v0, s14, v0
	s_movk_i32 s4, 0x44
	v_mad_u32_u24 v1, v0, s4, v37
	; wave barrier
	ds_read_b32 v22, v1 offset:64
	v_mov_b32_e32 v1, 0
	v_cmp_ne_u32_e32 vcc, 0, v0
	v_lshl_add_u64 v[2:3], v[0:1], 0, -1
	v_mul_u32_u24_e32 v24, 0x44, v0
	v_xor_b32_e32 v2, vcc_lo, v2
	v_xor_b32_e32 v0, vcc_hi, v3
	v_and_b32_e32 v2, exec_lo, v2
	v_and_b32_e32 v3, exec_hi, v0
	v_mbcnt_lo_u32_b32 v0, v2, 0
	v_mbcnt_hi_u32_b32 v23, v3, v0
	v_cmp_eq_u32_e32 vcc, 0, v23
	v_cmp_ne_u64_e64 s[0:1], 0, v[2:3]
	s_and_b64 s[6:7], s[0:1], vcc
	v_add_u32_e32 v59, v37, v24
	; wave barrier
	s_and_saveexec_b64 s[0:1], s[6:7]
	s_cbranch_execz .LBB2087_201
; %bb.200:
	v_bcnt_u32_b32 v0, v2, 0
	v_bcnt_u32_b32 v0, v3, v0
	s_waitcnt lgkmcnt(0)
	v_add_u32_e32 v0, v22, v0
	ds_write_b32 v59, v0 offset:64
.LBB2087_201:
	s_or_b64 exec, exec, s[0:1]
	s_waitcnt vmcnt(12)
	v_lshrrev_b32_sdwa v0, s60, v55 dst_sel:DWORD dst_unused:UNUSED_PAD src0_sel:DWORD src1_sel:BYTE_0
	v_and_b32_e32 v0, s14, v0
	v_mul_u32_u24_e32 v2, 0x44, v0
	v_mad_u32_u24 v3, v0, s4, v37
	v_cmp_ne_u32_e32 vcc, 0, v0
	v_lshl_add_u64 v[0:1], v[0:1], 0, -1
	s_nop 0
	v_xor_b32_e32 v0, vcc_lo, v0
	; wave barrier
	ds_read_b32 v24, v3 offset:64
	v_xor_b32_e32 v1, vcc_hi, v1
	v_and_b32_e32 v0, exec_lo, v0
	v_and_b32_e32 v1, exec_hi, v1
	v_mbcnt_lo_u32_b32 v3, v0, 0
	v_mbcnt_hi_u32_b32 v25, v1, v3
	v_cmp_eq_u32_e32 vcc, 0, v25
	v_cmp_ne_u64_e64 s[0:1], 0, v[0:1]
	s_and_b64 s[4:5], s[0:1], vcc
	v_add_u32_e32 v60, v37, v2
	; wave barrier
	s_and_saveexec_b64 s[0:1], s[4:5]
	s_cbranch_execz .LBB2087_203
; %bb.202:
	v_bcnt_u32_b32 v0, v0, 0
	v_bcnt_u32_b32 v0, v1, v0
	s_waitcnt lgkmcnt(0)
	v_add_u32_e32 v0, v24, v0
	ds_write_b32 v60, v0 offset:64
.LBB2087_203:
	s_or_b64 exec, exec, s[0:1]
	s_waitcnt vmcnt(11)
	v_lshrrev_b32_sdwa v0, s60, v54 dst_sel:DWORD dst_unused:UNUSED_PAD src0_sel:DWORD src1_sel:BYTE_0
	v_and_b32_e32 v0, s14, v0
	s_movk_i32 s4, 0x44
	v_mad_u32_u24 v1, v0, s4, v37
	; wave barrier
	ds_read_b32 v26, v1 offset:64
	v_mov_b32_e32 v1, 0
	v_cmp_ne_u32_e32 vcc, 0, v0
	v_lshl_add_u64 v[2:3], v[0:1], 0, -1
	v_mul_u32_u24_e32 v28, 0x44, v0
	v_xor_b32_e32 v2, vcc_lo, v2
	v_xor_b32_e32 v0, vcc_hi, v3
	v_and_b32_e32 v2, exec_lo, v2
	v_and_b32_e32 v3, exec_hi, v0
	v_mbcnt_lo_u32_b32 v0, v2, 0
	v_mbcnt_hi_u32_b32 v27, v3, v0
	v_cmp_eq_u32_e32 vcc, 0, v27
	v_cmp_ne_u64_e64 s[0:1], 0, v[2:3]
	s_and_b64 s[6:7], s[0:1], vcc
	v_add_u32_e32 v61, v37, v28
	; wave barrier
	s_and_saveexec_b64 s[0:1], s[6:7]
	s_cbranch_execz .LBB2087_205
; %bb.204:
	v_bcnt_u32_b32 v0, v2, 0
	v_bcnt_u32_b32 v0, v3, v0
	s_waitcnt lgkmcnt(0)
	v_add_u32_e32 v0, v26, v0
	ds_write_b32 v61, v0 offset:64
.LBB2087_205:
	s_or_b64 exec, exec, s[0:1]
	s_waitcnt vmcnt(10)
	v_lshrrev_b32_sdwa v0, s60, v15 dst_sel:DWORD dst_unused:UNUSED_PAD src0_sel:DWORD src1_sel:BYTE_0
	v_and_b32_e32 v0, s14, v0
	v_mul_u32_u24_e32 v2, 0x44, v0
	v_mad_u32_u24 v3, v0, s4, v37
	v_cmp_ne_u32_e32 vcc, 0, v0
	v_lshl_add_u64 v[0:1], v[0:1], 0, -1
	s_nop 0
	v_xor_b32_e32 v0, vcc_lo, v0
	; wave barrier
	ds_read_b32 v28, v3 offset:64
	v_xor_b32_e32 v1, vcc_hi, v1
	v_and_b32_e32 v0, exec_lo, v0
	v_and_b32_e32 v1, exec_hi, v1
	v_mbcnt_lo_u32_b32 v3, v0, 0
	v_mbcnt_hi_u32_b32 v29, v1, v3
	v_cmp_eq_u32_e32 vcc, 0, v29
	v_cmp_ne_u64_e64 s[0:1], 0, v[0:1]
	s_and_b64 s[4:5], s[0:1], vcc
	v_add_u32_e32 v62, v37, v2
	;; [unrolled: 63-line block ×7, first 2 shown]
	; wave barrier
	s_and_saveexec_b64 s[0:1], s[4:5]
	s_cbranch_execz .LBB2087_227
; %bb.226:
	v_bcnt_u32_b32 v0, v0, 0
	v_bcnt_u32_b32 v0, v1, v0
	s_waitcnt lgkmcnt(0)
	v_add_u32_e32 v0, v52, v0
	ds_write_b32 v73, v0 offset:64
.LBB2087_227:
	s_or_b64 exec, exec, s[0:1]
	; wave barrier
	s_waitcnt lgkmcnt(0)
	s_barrier
	ds_read2_b32 v[2:3], v44 offset0:16 offset1:17
	ds_read2_b32 v[0:1], v44 offset0:18 offset1:19
	ds_read_b32 v37, v44 offset:80
	v_cmp_lt_u32_e64 s[8:9], 31, v42
	s_waitcnt lgkmcnt(1)
	v_add3_u32 v71, v3, v2, v0
	s_waitcnt lgkmcnt(0)
	v_add3_u32 v37, v71, v1, v37
	v_and_b32_e32 v71, 15, v42
	v_cmp_eq_u32_e32 vcc, 0, v71
	v_mov_b32_dpp v74, v37 row_shr:1 row_mask:0xf bank_mask:0xf
	v_cmp_lt_u32_e64 s[0:1], 1, v71
	v_cndmask_b32_e64 v74, v74, 0, vcc
	v_add_u32_e32 v37, v74, v37
	v_cmp_lt_u32_e64 s[6:7], 3, v71
	v_cmp_lt_u32_e64 s[4:5], 7, v71
	v_mov_b32_dpp v74, v37 row_shr:2 row_mask:0xf bank_mask:0xf
	v_cndmask_b32_e64 v74, 0, v74, s[0:1]
	v_add_u32_e32 v37, v37, v74
	s_nop 1
	v_mov_b32_dpp v74, v37 row_shr:4 row_mask:0xf bank_mask:0xf
	v_cndmask_b32_e64 v74, 0, v74, s[6:7]
	v_add_u32_e32 v37, v37, v74
	s_nop 1
	v_mov_b32_dpp v74, v37 row_shr:8 row_mask:0xf bank_mask:0xf
	v_cndmask_b32_e64 v71, 0, v74, s[4:5]
	v_add_u32_e32 v37, v37, v71
	v_bfe_i32 v74, v42, 4, 1
	s_nop 0
	v_mov_b32_dpp v71, v37 row_bcast:15 row_mask:0xf bank_mask:0xf
	v_and_b32_e32 v71, v74, v71
	v_add_u32_e32 v37, v37, v71
	v_lshrrev_b32_e32 v74, 6, v16
	s_nop 0
	v_mov_b32_dpp v71, v37 row_bcast:31 row_mask:0xf bank_mask:0xf
	v_cndmask_b32_e64 v71, 0, v71, s[8:9]
	v_add_u32_e32 v71, v37, v71
	v_and_b32_e32 v37, 63, v16
	v_cmp_eq_u32_e64 s[8:9], 63, v37
	s_and_saveexec_b64 s[12:13], s[8:9]
; %bb.228:
	v_lshlrev_b32_e32 v37, 2, v74
	ds_write_b32 v37, v71
; %bb.229:
	s_or_b64 exec, exec, s[12:13]
	v_cmp_gt_u32_e64 s[8:9], 16, v16
	v_lshlrev_b32_e32 v37, 2, v16
	s_waitcnt lgkmcnt(0)
	s_barrier
	s_and_saveexec_b64 s[12:13], s[8:9]
	s_cbranch_execz .LBB2087_231
; %bb.230:
	ds_read_b32 v75, v37
	s_waitcnt lgkmcnt(0)
	s_nop 0
	v_mov_b32_dpp v76, v75 row_shr:1 row_mask:0xf bank_mask:0xf
	v_cndmask_b32_e64 v76, v76, 0, vcc
	v_add_u32_e32 v75, v76, v75
	s_nop 1
	v_mov_b32_dpp v76, v75 row_shr:2 row_mask:0xf bank_mask:0xf
	v_cndmask_b32_e64 v76, 0, v76, s[0:1]
	v_add_u32_e32 v75, v75, v76
	s_nop 1
	v_mov_b32_dpp v76, v75 row_shr:4 row_mask:0xf bank_mask:0xf
	v_cndmask_b32_e64 v76, 0, v76, s[6:7]
	;; [unrolled: 4-line block ×3, first 2 shown]
	v_add_u32_e32 v75, v75, v76
	ds_write_b32 v37, v75
.LBB2087_231:
	s_or_b64 exec, exec, s[12:13]
	v_cmp_lt_u32_e32 vcc, 63, v16
	v_mov_b32_e32 v75, 0
	s_waitcnt lgkmcnt(0)
	s_barrier
	s_and_saveexec_b64 s[0:1], vcc
; %bb.232:
	v_lshl_add_u32 v74, v74, 2, -4
	ds_read_b32 v75, v74
; %bb.233:
	s_or_b64 exec, exec, s[0:1]
	v_subrev_co_u32_e32 v74, vcc, 1, v42
	v_and_b32_e32 v76, 64, v42
	v_cmp_lt_i32_e64 s[0:1], v74, v76
	s_waitcnt lgkmcnt(0)
	v_add_u32_e32 v71, v75, v71
	s_movk_i32 s4, 0x100
	v_cndmask_b32_e64 v42, v74, v42, s[0:1]
	v_lshlrev_b32_e32 v42, 2, v42
	ds_bpermute_b32 v42, v42, v71
	s_movk_i32 s0, 0xff
	s_waitcnt lgkmcnt(0)
	v_cndmask_b32_e32 v42, v42, v75, vcc
	v_cmp_ne_u32_e32 vcc, 0, v16
	s_nop 1
	v_cndmask_b32_e32 v42, 0, v42, vcc
	v_add_u32_e32 v2, v42, v2
	v_add_u32_e32 v3, v2, v3
	;; [unrolled: 1-line block ×4, first 2 shown]
	ds_write2_b32 v44, v42, v2 offset0:16 offset1:17
	ds_write2_b32 v44, v3, v0 offset0:18 offset1:19
	ds_write_b32 v44, v1 offset:80
	s_waitcnt lgkmcnt(0)
	s_barrier
	ds_read_b32 v0, v58 offset:64
	ds_read_b32 v58, v21 offset:64
	ds_read_b32 v59, v59 offset:64
	ds_read_b32 v60, v60 offset:64
	ds_read_b32 v61, v61 offset:64
	ds_read_b32 v62, v62 offset:64
	ds_read_b32 v63, v63 offset:64
	ds_read_b32 v64, v64 offset:64
	ds_read_b32 v65, v65 offset:64
	ds_read_b32 v66, v66 offset:64
	ds_read_b32 v67, v67 offset:64
	ds_read_b32 v68, v68 offset:64
	ds_read_b32 v69, v69 offset:64
	ds_read_b32 v71, v70 offset:64
	ds_read_b32 v74, v72 offset:64
	ds_read_b32 v77, v73 offset:64
	v_cmp_lt_u32_e32 vcc, s0, v16
	v_cmp_gt_u32_e64 s[0:1], s4, v16
                                        ; implicit-def: $vgpr42
                                        ; implicit-def: $vgpr44
	s_and_saveexec_b64 s[6:7], s[0:1]
	s_cbranch_execz .LBB2087_237
; %bb.234:
	v_mul_u32_u24_e32 v1, 0x44, v16
	ds_read_b32 v42, v1 offset:64
	v_add_u32_e32 v2, 1, v16
	v_cmp_ne_u32_e64 s[4:5], s4, v2
	v_mov_b32_e32 v1, 0x4000
	s_and_saveexec_b64 s[8:9], s[4:5]
; %bb.235:
	v_mul_u32_u24_e32 v1, 0x44, v2
	ds_read_b32 v1, v1 offset:64
; %bb.236:
	s_or_b64 exec, exec, s[8:9]
	s_waitcnt lgkmcnt(0)
	v_sub_u32_e32 v44, v1, v42
.LBB2087_237:
	s_or_b64 exec, exec, s[6:7]
	s_waitcnt lgkmcnt(14)
	v_add_u32_e32 v46, v0, v46
	v_add3_u32 v70, v19, v17, v58
	s_waitcnt lgkmcnt(13)
	v_add3_u32 v72, v23, v22, v59
	s_waitcnt lgkmcnt(12)
	v_add3_u32 v73, v25, v24, v60
	s_waitcnt lgkmcnt(11)
	v_add3_u32 v75, v27, v26, v61
	s_waitcnt lgkmcnt(10)
	v_add3_u32 v76, v29, v28, v62
	s_waitcnt lgkmcnt(9)
	v_add3_u32 v78, v31, v30, v63
	s_waitcnt lgkmcnt(8)
	v_add3_u32 v79, v33, v32, v64
	s_waitcnt lgkmcnt(0)
	s_barrier
	ds_write_b8 v46, v4 offset:1024
	v_add3_u32 v80, v35, v34, v65
	ds_write_b8 v70, v57 offset:1024
	v_add3_u32 v57, v38, v36, v66
	;; [unrolled: 2-line block ×5, first 2 shown]
	v_add3_u32 v81, v49, v48, v71
	v_add3_u32 v82, v51, v50, v74
	;; [unrolled: 1-line block ×3, first 2 shown]
	v_mov_b32_e32 v1, 0
	ds_write_b8 v76, v15 offset:1024
	ds_write_b8 v78, v14 offset:1024
	;; [unrolled: 1-line block ×11, first 2 shown]
	s_and_saveexec_b64 s[4:5], s[0:1]
	s_cbranch_execz .LBB2087_247
; %bb.238:
	v_lshl_add_u32 v0, s2, 8, v16
	v_lshl_add_u64 v[2:3], v[0:1], 2, s[46:47]
	v_or_b32_e32 v0, 2.0, v44
	s_mov_b64 s[6:7], 0
	s_brev_b32 s15, -4
	s_mov_b32 s16, s2
	v_mov_b32_e32 v6, 0
	global_store_dword v[2:3], v0, off sc1
                                        ; implicit-def: $sgpr0_sgpr1
	s_branch .LBB2087_241
.LBB2087_239:                           ;   in Loop: Header=BB2087_241 Depth=1
	s_or_b64 exec, exec, s[12:13]
.LBB2087_240:                           ;   in Loop: Header=BB2087_241 Depth=1
	s_or_b64 exec, exec, s[8:9]
	v_and_b32_e32 v4, 0x3fffffff, v0
	v_add_u32_e32 v6, v4, v6
	v_cmp_gt_i32_e64 s[0:1], -2.0, v0
	s_and_b64 s[8:9], exec, s[0:1]
	s_or_b64 s[6:7], s[8:9], s[6:7]
	s_andn2_b64 exec, exec, s[6:7]
	s_cbranch_execz .LBB2087_246
.LBB2087_241:                           ; =>This Loop Header: Depth=1
                                        ;     Child Loop BB2087_244 Depth 2
	s_or_b64 s[0:1], s[0:1], exec
	s_cmp_eq_u32 s16, 0
	s_cbranch_scc1 .LBB2087_245
; %bb.242:                              ;   in Loop: Header=BB2087_241 Depth=1
	s_add_i32 s16, s16, -1
	v_lshl_or_b32 v0, s16, 8, v16
	v_lshl_add_u64 v[4:5], v[0:1], 2, s[46:47]
	global_load_dword v0, v[4:5], off sc1
	s_waitcnt vmcnt(0)
	v_cmp_gt_u32_e64 s[0:1], 2.0, v0
	s_and_saveexec_b64 s[8:9], s[0:1]
	s_cbranch_execz .LBB2087_240
; %bb.243:                              ;   in Loop: Header=BB2087_241 Depth=1
	s_mov_b64 s[12:13], 0
.LBB2087_244:                           ;   Parent Loop BB2087_241 Depth=1
                                        ; =>  This Inner Loop Header: Depth=2
	global_load_dword v0, v[4:5], off sc1
	s_waitcnt vmcnt(0)
	v_cmp_lt_u32_e64 s[0:1], s15, v0
	s_or_b64 s[12:13], s[0:1], s[12:13]
	s_andn2_b64 exec, exec, s[12:13]
	s_cbranch_execnz .LBB2087_244
	s_branch .LBB2087_239
.LBB2087_245:                           ;   in Loop: Header=BB2087_241 Depth=1
                                        ; implicit-def: $sgpr16
	s_and_b64 s[8:9], exec, s[0:1]
	s_or_b64 s[6:7], s[8:9], s[6:7]
	s_andn2_b64 exec, exec, s[6:7]
	s_cbranch_execnz .LBB2087_241
.LBB2087_246:
	s_or_b64 exec, exec, s[6:7]
	v_add_u32_e32 v0, v6, v44
	v_or_b32_e32 v0, 0x80000000, v0
	global_store_dword v[2:3], v0, off sc1
	global_load_dword v0, v37, s[56:57]
	v_sub_u32_e32 v1, v6, v42
	s_waitcnt vmcnt(0)
	v_add_u32_e32 v0, v1, v0
	ds_write_b32 v37, v0
.LBB2087_247:
	s_or_b64 exec, exec, s[4:5]
	s_waitcnt lgkmcnt(0)
	s_barrier
	ds_read_u8 v8, v16 offset:1024
	ds_read_u8 v9, v16 offset:2048
	ds_read_u8 v10, v16 offset:3072
	ds_read_u8 v11, v16 offset:4096
	ds_read_u8 v12, v16 offset:5120
	ds_read_u8 v13, v16 offset:6144
	ds_read_u8 v14, v16 offset:7168
	ds_read_u8 v15, v16 offset:8192
	s_waitcnt lgkmcnt(7)
	v_and_b32_e32 v0, 1, v8
	s_waitcnt lgkmcnt(6)
	v_and_b32_e32 v1, 1, v9
	;; [unrolled: 2-line block ×8, first 2 shown]
	v_lshrrev_b32_e32 v0, s60, v0
	v_lshrrev_b32_e32 v1, s60, v1
	;; [unrolled: 1-line block ×8, first 2 shown]
	v_and_b32_e32 v0, s14, v0
	v_and_b32_e32 v1, s14, v1
	;; [unrolled: 1-line block ×8, first 2 shown]
	v_lshlrev_b32_e32 v21, 2, v0
	v_lshlrev_b32_e32 v84, 2, v1
	;; [unrolled: 1-line block ×8, first 2 shown]
	ds_read_b32 v21, v21
	ds_read_b32 v84, v84
	ds_read_b32 v85, v85
	ds_read_b32 v86, v86
	ds_read_b32 v87, v87
	ds_read_b32 v88, v88
	ds_read_b32 v89, v89
	ds_read_b32 v90, v90
	s_waitcnt lgkmcnt(7)
	v_add_u32_e32 v21, v21, v16
	s_movk_i32 s6, 0x400
	global_store_byte v21, v8, s[50:51]
	s_waitcnt lgkmcnt(6)
	v_add3_u32 v8, v84, v16, s6
	s_movk_i32 s7, 0x800
	global_store_byte v8, v9, s[50:51]
	s_waitcnt lgkmcnt(5)
	v_add3_u32 v8, v85, v16, s7
	;; [unrolled: 4-line block ×7, first 2 shown]
	global_store_byte v8, v15, s[50:51]
	ds_read_u8 v21, v16 offset:9216
	ds_read_u8 v84, v16 offset:10240
	;; [unrolled: 1-line block ×8, first 2 shown]
	s_waitcnt lgkmcnt(7)
	v_and_b32_e32 v8, 1, v21
	s_waitcnt lgkmcnt(6)
	v_and_b32_e32 v9, 1, v84
	;; [unrolled: 2-line block ×8, first 2 shown]
	v_lshrrev_b32_e32 v8, s60, v8
	v_lshrrev_b32_e32 v9, s60, v9
	;; [unrolled: 1-line block ×8, first 2 shown]
	v_and_b32_e32 v8, s14, v8
	v_and_b32_e32 v9, s14, v9
	;; [unrolled: 1-line block ×8, first 2 shown]
	v_lshlrev_b32_e32 v91, 2, v8
	v_lshlrev_b32_e32 v92, 2, v9
	;; [unrolled: 1-line block ×8, first 2 shown]
	s_movk_i32 s0, 0x2000
	ds_read_b32 v91, v91
	ds_read_b32 v92, v92
	;; [unrolled: 1-line block ×8, first 2 shown]
	s_waitcnt lgkmcnt(7)
	v_add3_u32 v91, v91, v16, s0
	s_movk_i32 s0, 0x2400
	global_store_byte v91, v21, s[50:51]
	s_waitcnt lgkmcnt(6)
	v_add3_u32 v21, v92, v16, s0
	s_movk_i32 s0, 0x2800
	global_store_byte v21, v84, s[50:51]
	;; [unrolled: 4-line block ×7, first 2 shown]
	s_waitcnt lgkmcnt(0)
	v_add3_u32 v21, v98, v16, s0
	s_lshl_b64 s[0:1], s[10:11], 2
	s_add_u32 s0, s52, s0
	global_store_byte v21, v90, s[50:51]
	s_addc_u32 s1, s53, s1
	v_lshlrev_b32_e32 v20, 2, v20
	v_mov_b32_e32 v21, 0
	v_lshl_add_u64 v[84:85], s[0:1], 0, v[20:21]
	v_lshlrev_b32_e32 v20, 2, v18
	v_lshl_add_u64 v[98:99], v[84:85], 0, v[20:21]
	global_load_dword v18, v[98:99], off
	global_load_dword v84, v[98:99], off offset:256
	global_load_dword v85, v[98:99], off offset:512
	;; [unrolled: 1-line block ×14, first 2 shown]
	s_nop 0
	global_load_dword v98, v[98:99], off offset:3840
	v_mul_u32_u24_e32 v20, 3, v16
	v_mov_b32_e32 v99, 0x400
	scratch_store_dwordx4 off, v[0:3], off
	scratch_store_dwordx4 off, v[4:7], off offset:16
	scratch_store_dwordx4 off, v[8:11], off offset:32
	;; [unrolled: 1-line block ×3, first 2 shown]
	v_lshl_add_u32 v0, v83, 2, v99
	v_add3_u32 v1, v53, v77, v52
	v_lshl_add_u32 v2, v82, 2, v99
	v_add3_u32 v3, v51, v74, v50
	;; [unrolled: 2-line block ×15, first 2 shown]
	v_lshl_add_u32 v19, v46, 2, v99
	s_mov_b32 s10, 0
	s_mov_b32 s11, 0
	v_add_u32_e32 v35, v16, v20
	s_mov_b32 s12, 0
	s_barrier
	s_branch .LBB2087_249
.LBB2087_248:                           ;   in Loop: Header=BB2087_249 Depth=1
	s_or_b64 exec, exec, s[4:5]
	s_waitcnt lgkmcnt(0)
	s_barrier
	scratch_load_dwordx4 v[38:41], off, s10
	ds_read2st64_b32 v[48:49], v35 offset0:4 offset1:20
	ds_read2st64_b32 v[50:51], v35 offset0:36 offset1:52
	s_addk_i32 s12, 0xc000
	s_addk_i32 s11, 0xf000
	s_add_i32 s10, s10, 16
	s_cmp_eq_u32 s12, 0xffff0000
	s_waitcnt vmcnt(0)
	v_lshlrev_b32_e32 v20, 2, v38
	ds_read_b32 v20, v20
	v_lshlrev_b32_e32 v36, 2, v39
	v_lshlrev_b32_e32 v38, 2, v40
	;; [unrolled: 1-line block ×3, first 2 shown]
	ds_read_b32 v36, v36
	ds_read_b32 v40, v38
	;; [unrolled: 1-line block ×3, first 2 shown]
	s_waitcnt lgkmcnt(3)
	v_add_u32_e32 v20, v16, v20
	v_lshl_add_u64 v[38:39], v[20:21], 2, s[54:55]
	s_waitcnt lgkmcnt(2)
	v_add3_u32 v20, v16, v36, s6
	global_store_dword v[38:39], v48, off
	v_lshl_add_u64 v[38:39], v[20:21], 2, s[54:55]
	s_waitcnt lgkmcnt(1)
	v_add3_u32 v20, v16, v40, s7
	global_store_dword v[38:39], v49, off
	;; [unrolled: 4-line block ×3, first 2 shown]
	v_lshl_add_u64 v[38:39], v[20:21], 2, s[54:55]
	v_add_u32_e32 v16, 0x1000, v16
	global_store_dword v[38:39], v51, off
	s_barrier
	s_cbranch_scc1 .LBB2087_281
.LBB2087_249:                           ; =>This Inner Loop Header: Depth=1
	v_add_u32_e32 v20, s11, v46
	v_cmp_gt_u32_e64 s[0:1], s9, v20
	s_and_saveexec_b64 s[4:5], s[0:1]
	s_cbranch_execz .LBB2087_251
; %bb.250:                              ;   in Loop: Header=BB2087_249 Depth=1
	v_add_u32_e32 v20, s12, v19
	s_waitcnt vmcnt(19)
	ds_write_b32 v20, v18
.LBB2087_251:                           ;   in Loop: Header=BB2087_249 Depth=1
	s_or_b64 exec, exec, s[4:5]
	v_add_u32_e32 v20, s11, v17
	v_cmp_gt_u32_e64 s[0:1], s9, v20
	s_and_saveexec_b64 s[4:5], s[0:1]
	s_cbranch_execz .LBB2087_253
; %bb.252:                              ;   in Loop: Header=BB2087_249 Depth=1
	v_add_u32_e32 v20, s12, v23
	s_waitcnt vmcnt(18)
	ds_write_b32 v20, v84
.LBB2087_253:                           ;   in Loop: Header=BB2087_249 Depth=1
	s_or_b64 exec, exec, s[4:5]
	;; [unrolled: 10-line block ×15, first 2 shown]
	v_add_u32_e32 v20, s11, v1
	v_cmp_gt_u32_e64 s[0:1], s9, v20
	s_and_saveexec_b64 s[4:5], s[0:1]
	s_cbranch_execz .LBB2087_248
; %bb.280:                              ;   in Loop: Header=BB2087_249 Depth=1
	v_add_u32_e32 v20, s12, v0
	s_waitcnt vmcnt(4)
	ds_write_b32 v20, v98
	s_branch .LBB2087_248
.LBB2087_281:
	s_add_i32 s3, s3, -1
	s_cmp_eq_u32 s2, s3
	s_cselect_b64 s[0:1], -1, 0
	s_xor_b64 s[2:3], vcc, -1
	s_and_b64 s[0:1], s[2:3], s[0:1]
	s_and_saveexec_b64 s[2:3], s[0:1]
	s_cbranch_execz .LBB2087_283
; %bb.282:
	ds_read_b32 v0, v37
	s_waitcnt lgkmcnt(0)
	v_add3_u32 v0, v42, v44, v0
	global_store_dword v37, v0, s[58:59]
.LBB2087_283:
	s_endpgm
	.section	.rodata,"a",@progbits
	.p2align	6, 0x0
	.amdhsa_kernel _ZN7rocprim17ROCPRIM_400000_NS6detail17trampoline_kernelINS0_14default_configENS1_35radix_sort_onesweep_config_selectorIbiEEZZNS1_29radix_sort_onesweep_iterationIS3_Lb0EN6thrust23THRUST_200600_302600_NS6detail15normal_iteratorINS8_10device_ptrIbEEEESD_NSA_INSB_IiEEEESF_jNS0_19identity_decomposerENS1_16block_id_wrapperIjLb0EEEEE10hipError_tT1_PNSt15iterator_traitsISK_E10value_typeET2_T3_PNSL_ISQ_E10value_typeET4_T5_PSV_SW_PNS1_23onesweep_lookback_stateEbbT6_jjT7_P12ihipStream_tbENKUlT_T0_SK_SP_E_clIPbSD_PiSF_EEDaS13_S14_SK_SP_EUlS13_E_NS1_11comp_targetILNS1_3genE6ELNS1_11target_archE950ELNS1_3gpuE13ELNS1_3repE0EEENS1_47radix_sort_onesweep_sort_config_static_selectorELNS0_4arch9wavefront6targetE1EEEvSK_
		.amdhsa_group_segment_fixed_size 20552
		.amdhsa_private_segment_fixed_size 80
		.amdhsa_kernarg_size 344
		.amdhsa_user_sgpr_count 2
		.amdhsa_user_sgpr_dispatch_ptr 0
		.amdhsa_user_sgpr_queue_ptr 0
		.amdhsa_user_sgpr_kernarg_segment_ptr 1
		.amdhsa_user_sgpr_dispatch_id 0
		.amdhsa_user_sgpr_kernarg_preload_length 0
		.amdhsa_user_sgpr_kernarg_preload_offset 0
		.amdhsa_user_sgpr_private_segment_size 0
		.amdhsa_uses_dynamic_stack 0
		.amdhsa_enable_private_segment 1
		.amdhsa_system_sgpr_workgroup_id_x 1
		.amdhsa_system_sgpr_workgroup_id_y 0
		.amdhsa_system_sgpr_workgroup_id_z 0
		.amdhsa_system_sgpr_workgroup_info 0
		.amdhsa_system_vgpr_workitem_id 2
		.amdhsa_next_free_vgpr 100
		.amdhsa_next_free_sgpr 69
		.amdhsa_accum_offset 100
		.amdhsa_reserve_vcc 1
		.amdhsa_float_round_mode_32 0
		.amdhsa_float_round_mode_16_64 0
		.amdhsa_float_denorm_mode_32 3
		.amdhsa_float_denorm_mode_16_64 3
		.amdhsa_dx10_clamp 1
		.amdhsa_ieee_mode 1
		.amdhsa_fp16_overflow 0
		.amdhsa_tg_split 0
		.amdhsa_exception_fp_ieee_invalid_op 0
		.amdhsa_exception_fp_denorm_src 0
		.amdhsa_exception_fp_ieee_div_zero 0
		.amdhsa_exception_fp_ieee_overflow 0
		.amdhsa_exception_fp_ieee_underflow 0
		.amdhsa_exception_fp_ieee_inexact 0
		.amdhsa_exception_int_div_zero 0
	.end_amdhsa_kernel
	.section	.text._ZN7rocprim17ROCPRIM_400000_NS6detail17trampoline_kernelINS0_14default_configENS1_35radix_sort_onesweep_config_selectorIbiEEZZNS1_29radix_sort_onesweep_iterationIS3_Lb0EN6thrust23THRUST_200600_302600_NS6detail15normal_iteratorINS8_10device_ptrIbEEEESD_NSA_INSB_IiEEEESF_jNS0_19identity_decomposerENS1_16block_id_wrapperIjLb0EEEEE10hipError_tT1_PNSt15iterator_traitsISK_E10value_typeET2_T3_PNSL_ISQ_E10value_typeET4_T5_PSV_SW_PNS1_23onesweep_lookback_stateEbbT6_jjT7_P12ihipStream_tbENKUlT_T0_SK_SP_E_clIPbSD_PiSF_EEDaS13_S14_SK_SP_EUlS13_E_NS1_11comp_targetILNS1_3genE6ELNS1_11target_archE950ELNS1_3gpuE13ELNS1_3repE0EEENS1_47radix_sort_onesweep_sort_config_static_selectorELNS0_4arch9wavefront6targetE1EEEvSK_,"axG",@progbits,_ZN7rocprim17ROCPRIM_400000_NS6detail17trampoline_kernelINS0_14default_configENS1_35radix_sort_onesweep_config_selectorIbiEEZZNS1_29radix_sort_onesweep_iterationIS3_Lb0EN6thrust23THRUST_200600_302600_NS6detail15normal_iteratorINS8_10device_ptrIbEEEESD_NSA_INSB_IiEEEESF_jNS0_19identity_decomposerENS1_16block_id_wrapperIjLb0EEEEE10hipError_tT1_PNSt15iterator_traitsISK_E10value_typeET2_T3_PNSL_ISQ_E10value_typeET4_T5_PSV_SW_PNS1_23onesweep_lookback_stateEbbT6_jjT7_P12ihipStream_tbENKUlT_T0_SK_SP_E_clIPbSD_PiSF_EEDaS13_S14_SK_SP_EUlS13_E_NS1_11comp_targetILNS1_3genE6ELNS1_11target_archE950ELNS1_3gpuE13ELNS1_3repE0EEENS1_47radix_sort_onesweep_sort_config_static_selectorELNS0_4arch9wavefront6targetE1EEEvSK_,comdat
.Lfunc_end2087:
	.size	_ZN7rocprim17ROCPRIM_400000_NS6detail17trampoline_kernelINS0_14default_configENS1_35radix_sort_onesweep_config_selectorIbiEEZZNS1_29radix_sort_onesweep_iterationIS3_Lb0EN6thrust23THRUST_200600_302600_NS6detail15normal_iteratorINS8_10device_ptrIbEEEESD_NSA_INSB_IiEEEESF_jNS0_19identity_decomposerENS1_16block_id_wrapperIjLb0EEEEE10hipError_tT1_PNSt15iterator_traitsISK_E10value_typeET2_T3_PNSL_ISQ_E10value_typeET4_T5_PSV_SW_PNS1_23onesweep_lookback_stateEbbT6_jjT7_P12ihipStream_tbENKUlT_T0_SK_SP_E_clIPbSD_PiSF_EEDaS13_S14_SK_SP_EUlS13_E_NS1_11comp_targetILNS1_3genE6ELNS1_11target_archE950ELNS1_3gpuE13ELNS1_3repE0EEENS1_47radix_sort_onesweep_sort_config_static_selectorELNS0_4arch9wavefront6targetE1EEEvSK_, .Lfunc_end2087-_ZN7rocprim17ROCPRIM_400000_NS6detail17trampoline_kernelINS0_14default_configENS1_35radix_sort_onesweep_config_selectorIbiEEZZNS1_29radix_sort_onesweep_iterationIS3_Lb0EN6thrust23THRUST_200600_302600_NS6detail15normal_iteratorINS8_10device_ptrIbEEEESD_NSA_INSB_IiEEEESF_jNS0_19identity_decomposerENS1_16block_id_wrapperIjLb0EEEEE10hipError_tT1_PNSt15iterator_traitsISK_E10value_typeET2_T3_PNSL_ISQ_E10value_typeET4_T5_PSV_SW_PNS1_23onesweep_lookback_stateEbbT6_jjT7_P12ihipStream_tbENKUlT_T0_SK_SP_E_clIPbSD_PiSF_EEDaS13_S14_SK_SP_EUlS13_E_NS1_11comp_targetILNS1_3genE6ELNS1_11target_archE950ELNS1_3gpuE13ELNS1_3repE0EEENS1_47radix_sort_onesweep_sort_config_static_selectorELNS0_4arch9wavefront6targetE1EEEvSK_
                                        ; -- End function
	.set _ZN7rocprim17ROCPRIM_400000_NS6detail17trampoline_kernelINS0_14default_configENS1_35radix_sort_onesweep_config_selectorIbiEEZZNS1_29radix_sort_onesweep_iterationIS3_Lb0EN6thrust23THRUST_200600_302600_NS6detail15normal_iteratorINS8_10device_ptrIbEEEESD_NSA_INSB_IiEEEESF_jNS0_19identity_decomposerENS1_16block_id_wrapperIjLb0EEEEE10hipError_tT1_PNSt15iterator_traitsISK_E10value_typeET2_T3_PNSL_ISQ_E10value_typeET4_T5_PSV_SW_PNS1_23onesweep_lookback_stateEbbT6_jjT7_P12ihipStream_tbENKUlT_T0_SK_SP_E_clIPbSD_PiSF_EEDaS13_S14_SK_SP_EUlS13_E_NS1_11comp_targetILNS1_3genE6ELNS1_11target_archE950ELNS1_3gpuE13ELNS1_3repE0EEENS1_47radix_sort_onesweep_sort_config_static_selectorELNS0_4arch9wavefront6targetE1EEEvSK_.num_vgpr, 100
	.set _ZN7rocprim17ROCPRIM_400000_NS6detail17trampoline_kernelINS0_14default_configENS1_35radix_sort_onesweep_config_selectorIbiEEZZNS1_29radix_sort_onesweep_iterationIS3_Lb0EN6thrust23THRUST_200600_302600_NS6detail15normal_iteratorINS8_10device_ptrIbEEEESD_NSA_INSB_IiEEEESF_jNS0_19identity_decomposerENS1_16block_id_wrapperIjLb0EEEEE10hipError_tT1_PNSt15iterator_traitsISK_E10value_typeET2_T3_PNSL_ISQ_E10value_typeET4_T5_PSV_SW_PNS1_23onesweep_lookback_stateEbbT6_jjT7_P12ihipStream_tbENKUlT_T0_SK_SP_E_clIPbSD_PiSF_EEDaS13_S14_SK_SP_EUlS13_E_NS1_11comp_targetILNS1_3genE6ELNS1_11target_archE950ELNS1_3gpuE13ELNS1_3repE0EEENS1_47radix_sort_onesweep_sort_config_static_selectorELNS0_4arch9wavefront6targetE1EEEvSK_.num_agpr, 0
	.set _ZN7rocprim17ROCPRIM_400000_NS6detail17trampoline_kernelINS0_14default_configENS1_35radix_sort_onesweep_config_selectorIbiEEZZNS1_29radix_sort_onesweep_iterationIS3_Lb0EN6thrust23THRUST_200600_302600_NS6detail15normal_iteratorINS8_10device_ptrIbEEEESD_NSA_INSB_IiEEEESF_jNS0_19identity_decomposerENS1_16block_id_wrapperIjLb0EEEEE10hipError_tT1_PNSt15iterator_traitsISK_E10value_typeET2_T3_PNSL_ISQ_E10value_typeET4_T5_PSV_SW_PNS1_23onesweep_lookback_stateEbbT6_jjT7_P12ihipStream_tbENKUlT_T0_SK_SP_E_clIPbSD_PiSF_EEDaS13_S14_SK_SP_EUlS13_E_NS1_11comp_targetILNS1_3genE6ELNS1_11target_archE950ELNS1_3gpuE13ELNS1_3repE0EEENS1_47radix_sort_onesweep_sort_config_static_selectorELNS0_4arch9wavefront6targetE1EEEvSK_.numbered_sgpr, 69
	.set _ZN7rocprim17ROCPRIM_400000_NS6detail17trampoline_kernelINS0_14default_configENS1_35radix_sort_onesweep_config_selectorIbiEEZZNS1_29radix_sort_onesweep_iterationIS3_Lb0EN6thrust23THRUST_200600_302600_NS6detail15normal_iteratorINS8_10device_ptrIbEEEESD_NSA_INSB_IiEEEESF_jNS0_19identity_decomposerENS1_16block_id_wrapperIjLb0EEEEE10hipError_tT1_PNSt15iterator_traitsISK_E10value_typeET2_T3_PNSL_ISQ_E10value_typeET4_T5_PSV_SW_PNS1_23onesweep_lookback_stateEbbT6_jjT7_P12ihipStream_tbENKUlT_T0_SK_SP_E_clIPbSD_PiSF_EEDaS13_S14_SK_SP_EUlS13_E_NS1_11comp_targetILNS1_3genE6ELNS1_11target_archE950ELNS1_3gpuE13ELNS1_3repE0EEENS1_47radix_sort_onesweep_sort_config_static_selectorELNS0_4arch9wavefront6targetE1EEEvSK_.num_named_barrier, 0
	.set _ZN7rocprim17ROCPRIM_400000_NS6detail17trampoline_kernelINS0_14default_configENS1_35radix_sort_onesweep_config_selectorIbiEEZZNS1_29radix_sort_onesweep_iterationIS3_Lb0EN6thrust23THRUST_200600_302600_NS6detail15normal_iteratorINS8_10device_ptrIbEEEESD_NSA_INSB_IiEEEESF_jNS0_19identity_decomposerENS1_16block_id_wrapperIjLb0EEEEE10hipError_tT1_PNSt15iterator_traitsISK_E10value_typeET2_T3_PNSL_ISQ_E10value_typeET4_T5_PSV_SW_PNS1_23onesweep_lookback_stateEbbT6_jjT7_P12ihipStream_tbENKUlT_T0_SK_SP_E_clIPbSD_PiSF_EEDaS13_S14_SK_SP_EUlS13_E_NS1_11comp_targetILNS1_3genE6ELNS1_11target_archE950ELNS1_3gpuE13ELNS1_3repE0EEENS1_47radix_sort_onesweep_sort_config_static_selectorELNS0_4arch9wavefront6targetE1EEEvSK_.private_seg_size, 80
	.set _ZN7rocprim17ROCPRIM_400000_NS6detail17trampoline_kernelINS0_14default_configENS1_35radix_sort_onesweep_config_selectorIbiEEZZNS1_29radix_sort_onesweep_iterationIS3_Lb0EN6thrust23THRUST_200600_302600_NS6detail15normal_iteratorINS8_10device_ptrIbEEEESD_NSA_INSB_IiEEEESF_jNS0_19identity_decomposerENS1_16block_id_wrapperIjLb0EEEEE10hipError_tT1_PNSt15iterator_traitsISK_E10value_typeET2_T3_PNSL_ISQ_E10value_typeET4_T5_PSV_SW_PNS1_23onesweep_lookback_stateEbbT6_jjT7_P12ihipStream_tbENKUlT_T0_SK_SP_E_clIPbSD_PiSF_EEDaS13_S14_SK_SP_EUlS13_E_NS1_11comp_targetILNS1_3genE6ELNS1_11target_archE950ELNS1_3gpuE13ELNS1_3repE0EEENS1_47radix_sort_onesweep_sort_config_static_selectorELNS0_4arch9wavefront6targetE1EEEvSK_.uses_vcc, 1
	.set _ZN7rocprim17ROCPRIM_400000_NS6detail17trampoline_kernelINS0_14default_configENS1_35radix_sort_onesweep_config_selectorIbiEEZZNS1_29radix_sort_onesweep_iterationIS3_Lb0EN6thrust23THRUST_200600_302600_NS6detail15normal_iteratorINS8_10device_ptrIbEEEESD_NSA_INSB_IiEEEESF_jNS0_19identity_decomposerENS1_16block_id_wrapperIjLb0EEEEE10hipError_tT1_PNSt15iterator_traitsISK_E10value_typeET2_T3_PNSL_ISQ_E10value_typeET4_T5_PSV_SW_PNS1_23onesweep_lookback_stateEbbT6_jjT7_P12ihipStream_tbENKUlT_T0_SK_SP_E_clIPbSD_PiSF_EEDaS13_S14_SK_SP_EUlS13_E_NS1_11comp_targetILNS1_3genE6ELNS1_11target_archE950ELNS1_3gpuE13ELNS1_3repE0EEENS1_47radix_sort_onesweep_sort_config_static_selectorELNS0_4arch9wavefront6targetE1EEEvSK_.uses_flat_scratch, 0
	.set _ZN7rocprim17ROCPRIM_400000_NS6detail17trampoline_kernelINS0_14default_configENS1_35radix_sort_onesweep_config_selectorIbiEEZZNS1_29radix_sort_onesweep_iterationIS3_Lb0EN6thrust23THRUST_200600_302600_NS6detail15normal_iteratorINS8_10device_ptrIbEEEESD_NSA_INSB_IiEEEESF_jNS0_19identity_decomposerENS1_16block_id_wrapperIjLb0EEEEE10hipError_tT1_PNSt15iterator_traitsISK_E10value_typeET2_T3_PNSL_ISQ_E10value_typeET4_T5_PSV_SW_PNS1_23onesweep_lookback_stateEbbT6_jjT7_P12ihipStream_tbENKUlT_T0_SK_SP_E_clIPbSD_PiSF_EEDaS13_S14_SK_SP_EUlS13_E_NS1_11comp_targetILNS1_3genE6ELNS1_11target_archE950ELNS1_3gpuE13ELNS1_3repE0EEENS1_47radix_sort_onesweep_sort_config_static_selectorELNS0_4arch9wavefront6targetE1EEEvSK_.has_dyn_sized_stack, 0
	.set _ZN7rocprim17ROCPRIM_400000_NS6detail17trampoline_kernelINS0_14default_configENS1_35radix_sort_onesweep_config_selectorIbiEEZZNS1_29radix_sort_onesweep_iterationIS3_Lb0EN6thrust23THRUST_200600_302600_NS6detail15normal_iteratorINS8_10device_ptrIbEEEESD_NSA_INSB_IiEEEESF_jNS0_19identity_decomposerENS1_16block_id_wrapperIjLb0EEEEE10hipError_tT1_PNSt15iterator_traitsISK_E10value_typeET2_T3_PNSL_ISQ_E10value_typeET4_T5_PSV_SW_PNS1_23onesweep_lookback_stateEbbT6_jjT7_P12ihipStream_tbENKUlT_T0_SK_SP_E_clIPbSD_PiSF_EEDaS13_S14_SK_SP_EUlS13_E_NS1_11comp_targetILNS1_3genE6ELNS1_11target_archE950ELNS1_3gpuE13ELNS1_3repE0EEENS1_47radix_sort_onesweep_sort_config_static_selectorELNS0_4arch9wavefront6targetE1EEEvSK_.has_recursion, 0
	.set _ZN7rocprim17ROCPRIM_400000_NS6detail17trampoline_kernelINS0_14default_configENS1_35radix_sort_onesweep_config_selectorIbiEEZZNS1_29radix_sort_onesweep_iterationIS3_Lb0EN6thrust23THRUST_200600_302600_NS6detail15normal_iteratorINS8_10device_ptrIbEEEESD_NSA_INSB_IiEEEESF_jNS0_19identity_decomposerENS1_16block_id_wrapperIjLb0EEEEE10hipError_tT1_PNSt15iterator_traitsISK_E10value_typeET2_T3_PNSL_ISQ_E10value_typeET4_T5_PSV_SW_PNS1_23onesweep_lookback_stateEbbT6_jjT7_P12ihipStream_tbENKUlT_T0_SK_SP_E_clIPbSD_PiSF_EEDaS13_S14_SK_SP_EUlS13_E_NS1_11comp_targetILNS1_3genE6ELNS1_11target_archE950ELNS1_3gpuE13ELNS1_3repE0EEENS1_47radix_sort_onesweep_sort_config_static_selectorELNS0_4arch9wavefront6targetE1EEEvSK_.has_indirect_call, 0
	.section	.AMDGPU.csdata,"",@progbits
; Kernel info:
; codeLenInByte = 14788
; TotalNumSgprs: 75
; NumVgprs: 100
; NumAgprs: 0
; TotalNumVgprs: 100
; ScratchSize: 80
; MemoryBound: 0
; FloatMode: 240
; IeeeMode: 1
; LDSByteSize: 20552 bytes/workgroup (compile time only)
; SGPRBlocks: 9
; VGPRBlocks: 12
; NumSGPRsForWavesPerEU: 75
; NumVGPRsForWavesPerEU: 100
; AccumOffset: 100
; Occupancy: 4
; WaveLimiterHint : 1
; COMPUTE_PGM_RSRC2:SCRATCH_EN: 1
; COMPUTE_PGM_RSRC2:USER_SGPR: 2
; COMPUTE_PGM_RSRC2:TRAP_HANDLER: 0
; COMPUTE_PGM_RSRC2:TGID_X_EN: 1
; COMPUTE_PGM_RSRC2:TGID_Y_EN: 0
; COMPUTE_PGM_RSRC2:TGID_Z_EN: 0
; COMPUTE_PGM_RSRC2:TIDIG_COMP_CNT: 2
; COMPUTE_PGM_RSRC3_GFX90A:ACCUM_OFFSET: 24
; COMPUTE_PGM_RSRC3_GFX90A:TG_SPLIT: 0
	.section	.text._ZN7rocprim17ROCPRIM_400000_NS6detail17trampoline_kernelINS0_14default_configENS1_35radix_sort_onesweep_config_selectorIbiEEZZNS1_29radix_sort_onesweep_iterationIS3_Lb0EN6thrust23THRUST_200600_302600_NS6detail15normal_iteratorINS8_10device_ptrIbEEEESD_NSA_INSB_IiEEEESF_jNS0_19identity_decomposerENS1_16block_id_wrapperIjLb0EEEEE10hipError_tT1_PNSt15iterator_traitsISK_E10value_typeET2_T3_PNSL_ISQ_E10value_typeET4_T5_PSV_SW_PNS1_23onesweep_lookback_stateEbbT6_jjT7_P12ihipStream_tbENKUlT_T0_SK_SP_E_clIPbSD_PiSF_EEDaS13_S14_SK_SP_EUlS13_E_NS1_11comp_targetILNS1_3genE5ELNS1_11target_archE942ELNS1_3gpuE9ELNS1_3repE0EEENS1_47radix_sort_onesweep_sort_config_static_selectorELNS0_4arch9wavefront6targetE1EEEvSK_,"axG",@progbits,_ZN7rocprim17ROCPRIM_400000_NS6detail17trampoline_kernelINS0_14default_configENS1_35radix_sort_onesweep_config_selectorIbiEEZZNS1_29radix_sort_onesweep_iterationIS3_Lb0EN6thrust23THRUST_200600_302600_NS6detail15normal_iteratorINS8_10device_ptrIbEEEESD_NSA_INSB_IiEEEESF_jNS0_19identity_decomposerENS1_16block_id_wrapperIjLb0EEEEE10hipError_tT1_PNSt15iterator_traitsISK_E10value_typeET2_T3_PNSL_ISQ_E10value_typeET4_T5_PSV_SW_PNS1_23onesweep_lookback_stateEbbT6_jjT7_P12ihipStream_tbENKUlT_T0_SK_SP_E_clIPbSD_PiSF_EEDaS13_S14_SK_SP_EUlS13_E_NS1_11comp_targetILNS1_3genE5ELNS1_11target_archE942ELNS1_3gpuE9ELNS1_3repE0EEENS1_47radix_sort_onesweep_sort_config_static_selectorELNS0_4arch9wavefront6targetE1EEEvSK_,comdat
	.protected	_ZN7rocprim17ROCPRIM_400000_NS6detail17trampoline_kernelINS0_14default_configENS1_35radix_sort_onesweep_config_selectorIbiEEZZNS1_29radix_sort_onesweep_iterationIS3_Lb0EN6thrust23THRUST_200600_302600_NS6detail15normal_iteratorINS8_10device_ptrIbEEEESD_NSA_INSB_IiEEEESF_jNS0_19identity_decomposerENS1_16block_id_wrapperIjLb0EEEEE10hipError_tT1_PNSt15iterator_traitsISK_E10value_typeET2_T3_PNSL_ISQ_E10value_typeET4_T5_PSV_SW_PNS1_23onesweep_lookback_stateEbbT6_jjT7_P12ihipStream_tbENKUlT_T0_SK_SP_E_clIPbSD_PiSF_EEDaS13_S14_SK_SP_EUlS13_E_NS1_11comp_targetILNS1_3genE5ELNS1_11target_archE942ELNS1_3gpuE9ELNS1_3repE0EEENS1_47radix_sort_onesweep_sort_config_static_selectorELNS0_4arch9wavefront6targetE1EEEvSK_ ; -- Begin function _ZN7rocprim17ROCPRIM_400000_NS6detail17trampoline_kernelINS0_14default_configENS1_35radix_sort_onesweep_config_selectorIbiEEZZNS1_29radix_sort_onesweep_iterationIS3_Lb0EN6thrust23THRUST_200600_302600_NS6detail15normal_iteratorINS8_10device_ptrIbEEEESD_NSA_INSB_IiEEEESF_jNS0_19identity_decomposerENS1_16block_id_wrapperIjLb0EEEEE10hipError_tT1_PNSt15iterator_traitsISK_E10value_typeET2_T3_PNSL_ISQ_E10value_typeET4_T5_PSV_SW_PNS1_23onesweep_lookback_stateEbbT6_jjT7_P12ihipStream_tbENKUlT_T0_SK_SP_E_clIPbSD_PiSF_EEDaS13_S14_SK_SP_EUlS13_E_NS1_11comp_targetILNS1_3genE5ELNS1_11target_archE942ELNS1_3gpuE9ELNS1_3repE0EEENS1_47radix_sort_onesweep_sort_config_static_selectorELNS0_4arch9wavefront6targetE1EEEvSK_
	.globl	_ZN7rocprim17ROCPRIM_400000_NS6detail17trampoline_kernelINS0_14default_configENS1_35radix_sort_onesweep_config_selectorIbiEEZZNS1_29radix_sort_onesweep_iterationIS3_Lb0EN6thrust23THRUST_200600_302600_NS6detail15normal_iteratorINS8_10device_ptrIbEEEESD_NSA_INSB_IiEEEESF_jNS0_19identity_decomposerENS1_16block_id_wrapperIjLb0EEEEE10hipError_tT1_PNSt15iterator_traitsISK_E10value_typeET2_T3_PNSL_ISQ_E10value_typeET4_T5_PSV_SW_PNS1_23onesweep_lookback_stateEbbT6_jjT7_P12ihipStream_tbENKUlT_T0_SK_SP_E_clIPbSD_PiSF_EEDaS13_S14_SK_SP_EUlS13_E_NS1_11comp_targetILNS1_3genE5ELNS1_11target_archE942ELNS1_3gpuE9ELNS1_3repE0EEENS1_47radix_sort_onesweep_sort_config_static_selectorELNS0_4arch9wavefront6targetE1EEEvSK_
	.p2align	8
	.type	_ZN7rocprim17ROCPRIM_400000_NS6detail17trampoline_kernelINS0_14default_configENS1_35radix_sort_onesweep_config_selectorIbiEEZZNS1_29radix_sort_onesweep_iterationIS3_Lb0EN6thrust23THRUST_200600_302600_NS6detail15normal_iteratorINS8_10device_ptrIbEEEESD_NSA_INSB_IiEEEESF_jNS0_19identity_decomposerENS1_16block_id_wrapperIjLb0EEEEE10hipError_tT1_PNSt15iterator_traitsISK_E10value_typeET2_T3_PNSL_ISQ_E10value_typeET4_T5_PSV_SW_PNS1_23onesweep_lookback_stateEbbT6_jjT7_P12ihipStream_tbENKUlT_T0_SK_SP_E_clIPbSD_PiSF_EEDaS13_S14_SK_SP_EUlS13_E_NS1_11comp_targetILNS1_3genE5ELNS1_11target_archE942ELNS1_3gpuE9ELNS1_3repE0EEENS1_47radix_sort_onesweep_sort_config_static_selectorELNS0_4arch9wavefront6targetE1EEEvSK_,@function
_ZN7rocprim17ROCPRIM_400000_NS6detail17trampoline_kernelINS0_14default_configENS1_35radix_sort_onesweep_config_selectorIbiEEZZNS1_29radix_sort_onesweep_iterationIS3_Lb0EN6thrust23THRUST_200600_302600_NS6detail15normal_iteratorINS8_10device_ptrIbEEEESD_NSA_INSB_IiEEEESF_jNS0_19identity_decomposerENS1_16block_id_wrapperIjLb0EEEEE10hipError_tT1_PNSt15iterator_traitsISK_E10value_typeET2_T3_PNSL_ISQ_E10value_typeET4_T5_PSV_SW_PNS1_23onesweep_lookback_stateEbbT6_jjT7_P12ihipStream_tbENKUlT_T0_SK_SP_E_clIPbSD_PiSF_EEDaS13_S14_SK_SP_EUlS13_E_NS1_11comp_targetILNS1_3genE5ELNS1_11target_archE942ELNS1_3gpuE9ELNS1_3repE0EEENS1_47radix_sort_onesweep_sort_config_static_selectorELNS0_4arch9wavefront6targetE1EEEvSK_: ; @_ZN7rocprim17ROCPRIM_400000_NS6detail17trampoline_kernelINS0_14default_configENS1_35radix_sort_onesweep_config_selectorIbiEEZZNS1_29radix_sort_onesweep_iterationIS3_Lb0EN6thrust23THRUST_200600_302600_NS6detail15normal_iteratorINS8_10device_ptrIbEEEESD_NSA_INSB_IiEEEESF_jNS0_19identity_decomposerENS1_16block_id_wrapperIjLb0EEEEE10hipError_tT1_PNSt15iterator_traitsISK_E10value_typeET2_T3_PNSL_ISQ_E10value_typeET4_T5_PSV_SW_PNS1_23onesweep_lookback_stateEbbT6_jjT7_P12ihipStream_tbENKUlT_T0_SK_SP_E_clIPbSD_PiSF_EEDaS13_S14_SK_SP_EUlS13_E_NS1_11comp_targetILNS1_3genE5ELNS1_11target_archE942ELNS1_3gpuE9ELNS1_3repE0EEENS1_47radix_sort_onesweep_sort_config_static_selectorELNS0_4arch9wavefront6targetE1EEEvSK_
; %bb.0:
	.section	.rodata,"a",@progbits
	.p2align	6, 0x0
	.amdhsa_kernel _ZN7rocprim17ROCPRIM_400000_NS6detail17trampoline_kernelINS0_14default_configENS1_35radix_sort_onesweep_config_selectorIbiEEZZNS1_29radix_sort_onesweep_iterationIS3_Lb0EN6thrust23THRUST_200600_302600_NS6detail15normal_iteratorINS8_10device_ptrIbEEEESD_NSA_INSB_IiEEEESF_jNS0_19identity_decomposerENS1_16block_id_wrapperIjLb0EEEEE10hipError_tT1_PNSt15iterator_traitsISK_E10value_typeET2_T3_PNSL_ISQ_E10value_typeET4_T5_PSV_SW_PNS1_23onesweep_lookback_stateEbbT6_jjT7_P12ihipStream_tbENKUlT_T0_SK_SP_E_clIPbSD_PiSF_EEDaS13_S14_SK_SP_EUlS13_E_NS1_11comp_targetILNS1_3genE5ELNS1_11target_archE942ELNS1_3gpuE9ELNS1_3repE0EEENS1_47radix_sort_onesweep_sort_config_static_selectorELNS0_4arch9wavefront6targetE1EEEvSK_
		.amdhsa_group_segment_fixed_size 0
		.amdhsa_private_segment_fixed_size 0
		.amdhsa_kernarg_size 88
		.amdhsa_user_sgpr_count 2
		.amdhsa_user_sgpr_dispatch_ptr 0
		.amdhsa_user_sgpr_queue_ptr 0
		.amdhsa_user_sgpr_kernarg_segment_ptr 1
		.amdhsa_user_sgpr_dispatch_id 0
		.amdhsa_user_sgpr_kernarg_preload_length 0
		.amdhsa_user_sgpr_kernarg_preload_offset 0
		.amdhsa_user_sgpr_private_segment_size 0
		.amdhsa_uses_dynamic_stack 0
		.amdhsa_enable_private_segment 0
		.amdhsa_system_sgpr_workgroup_id_x 1
		.amdhsa_system_sgpr_workgroup_id_y 0
		.amdhsa_system_sgpr_workgroup_id_z 0
		.amdhsa_system_sgpr_workgroup_info 0
		.amdhsa_system_vgpr_workitem_id 0
		.amdhsa_next_free_vgpr 1
		.amdhsa_next_free_sgpr 0
		.amdhsa_accum_offset 4
		.amdhsa_reserve_vcc 0
		.amdhsa_float_round_mode_32 0
		.amdhsa_float_round_mode_16_64 0
		.amdhsa_float_denorm_mode_32 3
		.amdhsa_float_denorm_mode_16_64 3
		.amdhsa_dx10_clamp 1
		.amdhsa_ieee_mode 1
		.amdhsa_fp16_overflow 0
		.amdhsa_tg_split 0
		.amdhsa_exception_fp_ieee_invalid_op 0
		.amdhsa_exception_fp_denorm_src 0
		.amdhsa_exception_fp_ieee_div_zero 0
		.amdhsa_exception_fp_ieee_overflow 0
		.amdhsa_exception_fp_ieee_underflow 0
		.amdhsa_exception_fp_ieee_inexact 0
		.amdhsa_exception_int_div_zero 0
	.end_amdhsa_kernel
	.section	.text._ZN7rocprim17ROCPRIM_400000_NS6detail17trampoline_kernelINS0_14default_configENS1_35radix_sort_onesweep_config_selectorIbiEEZZNS1_29radix_sort_onesweep_iterationIS3_Lb0EN6thrust23THRUST_200600_302600_NS6detail15normal_iteratorINS8_10device_ptrIbEEEESD_NSA_INSB_IiEEEESF_jNS0_19identity_decomposerENS1_16block_id_wrapperIjLb0EEEEE10hipError_tT1_PNSt15iterator_traitsISK_E10value_typeET2_T3_PNSL_ISQ_E10value_typeET4_T5_PSV_SW_PNS1_23onesweep_lookback_stateEbbT6_jjT7_P12ihipStream_tbENKUlT_T0_SK_SP_E_clIPbSD_PiSF_EEDaS13_S14_SK_SP_EUlS13_E_NS1_11comp_targetILNS1_3genE5ELNS1_11target_archE942ELNS1_3gpuE9ELNS1_3repE0EEENS1_47radix_sort_onesweep_sort_config_static_selectorELNS0_4arch9wavefront6targetE1EEEvSK_,"axG",@progbits,_ZN7rocprim17ROCPRIM_400000_NS6detail17trampoline_kernelINS0_14default_configENS1_35radix_sort_onesweep_config_selectorIbiEEZZNS1_29radix_sort_onesweep_iterationIS3_Lb0EN6thrust23THRUST_200600_302600_NS6detail15normal_iteratorINS8_10device_ptrIbEEEESD_NSA_INSB_IiEEEESF_jNS0_19identity_decomposerENS1_16block_id_wrapperIjLb0EEEEE10hipError_tT1_PNSt15iterator_traitsISK_E10value_typeET2_T3_PNSL_ISQ_E10value_typeET4_T5_PSV_SW_PNS1_23onesweep_lookback_stateEbbT6_jjT7_P12ihipStream_tbENKUlT_T0_SK_SP_E_clIPbSD_PiSF_EEDaS13_S14_SK_SP_EUlS13_E_NS1_11comp_targetILNS1_3genE5ELNS1_11target_archE942ELNS1_3gpuE9ELNS1_3repE0EEENS1_47radix_sort_onesweep_sort_config_static_selectorELNS0_4arch9wavefront6targetE1EEEvSK_,comdat
.Lfunc_end2088:
	.size	_ZN7rocprim17ROCPRIM_400000_NS6detail17trampoline_kernelINS0_14default_configENS1_35radix_sort_onesweep_config_selectorIbiEEZZNS1_29radix_sort_onesweep_iterationIS3_Lb0EN6thrust23THRUST_200600_302600_NS6detail15normal_iteratorINS8_10device_ptrIbEEEESD_NSA_INSB_IiEEEESF_jNS0_19identity_decomposerENS1_16block_id_wrapperIjLb0EEEEE10hipError_tT1_PNSt15iterator_traitsISK_E10value_typeET2_T3_PNSL_ISQ_E10value_typeET4_T5_PSV_SW_PNS1_23onesweep_lookback_stateEbbT6_jjT7_P12ihipStream_tbENKUlT_T0_SK_SP_E_clIPbSD_PiSF_EEDaS13_S14_SK_SP_EUlS13_E_NS1_11comp_targetILNS1_3genE5ELNS1_11target_archE942ELNS1_3gpuE9ELNS1_3repE0EEENS1_47radix_sort_onesweep_sort_config_static_selectorELNS0_4arch9wavefront6targetE1EEEvSK_, .Lfunc_end2088-_ZN7rocprim17ROCPRIM_400000_NS6detail17trampoline_kernelINS0_14default_configENS1_35radix_sort_onesweep_config_selectorIbiEEZZNS1_29radix_sort_onesweep_iterationIS3_Lb0EN6thrust23THRUST_200600_302600_NS6detail15normal_iteratorINS8_10device_ptrIbEEEESD_NSA_INSB_IiEEEESF_jNS0_19identity_decomposerENS1_16block_id_wrapperIjLb0EEEEE10hipError_tT1_PNSt15iterator_traitsISK_E10value_typeET2_T3_PNSL_ISQ_E10value_typeET4_T5_PSV_SW_PNS1_23onesweep_lookback_stateEbbT6_jjT7_P12ihipStream_tbENKUlT_T0_SK_SP_E_clIPbSD_PiSF_EEDaS13_S14_SK_SP_EUlS13_E_NS1_11comp_targetILNS1_3genE5ELNS1_11target_archE942ELNS1_3gpuE9ELNS1_3repE0EEENS1_47radix_sort_onesweep_sort_config_static_selectorELNS0_4arch9wavefront6targetE1EEEvSK_
                                        ; -- End function
	.set _ZN7rocprim17ROCPRIM_400000_NS6detail17trampoline_kernelINS0_14default_configENS1_35radix_sort_onesweep_config_selectorIbiEEZZNS1_29radix_sort_onesweep_iterationIS3_Lb0EN6thrust23THRUST_200600_302600_NS6detail15normal_iteratorINS8_10device_ptrIbEEEESD_NSA_INSB_IiEEEESF_jNS0_19identity_decomposerENS1_16block_id_wrapperIjLb0EEEEE10hipError_tT1_PNSt15iterator_traitsISK_E10value_typeET2_T3_PNSL_ISQ_E10value_typeET4_T5_PSV_SW_PNS1_23onesweep_lookback_stateEbbT6_jjT7_P12ihipStream_tbENKUlT_T0_SK_SP_E_clIPbSD_PiSF_EEDaS13_S14_SK_SP_EUlS13_E_NS1_11comp_targetILNS1_3genE5ELNS1_11target_archE942ELNS1_3gpuE9ELNS1_3repE0EEENS1_47radix_sort_onesweep_sort_config_static_selectorELNS0_4arch9wavefront6targetE1EEEvSK_.num_vgpr, 0
	.set _ZN7rocprim17ROCPRIM_400000_NS6detail17trampoline_kernelINS0_14default_configENS1_35radix_sort_onesweep_config_selectorIbiEEZZNS1_29radix_sort_onesweep_iterationIS3_Lb0EN6thrust23THRUST_200600_302600_NS6detail15normal_iteratorINS8_10device_ptrIbEEEESD_NSA_INSB_IiEEEESF_jNS0_19identity_decomposerENS1_16block_id_wrapperIjLb0EEEEE10hipError_tT1_PNSt15iterator_traitsISK_E10value_typeET2_T3_PNSL_ISQ_E10value_typeET4_T5_PSV_SW_PNS1_23onesweep_lookback_stateEbbT6_jjT7_P12ihipStream_tbENKUlT_T0_SK_SP_E_clIPbSD_PiSF_EEDaS13_S14_SK_SP_EUlS13_E_NS1_11comp_targetILNS1_3genE5ELNS1_11target_archE942ELNS1_3gpuE9ELNS1_3repE0EEENS1_47radix_sort_onesweep_sort_config_static_selectorELNS0_4arch9wavefront6targetE1EEEvSK_.num_agpr, 0
	.set _ZN7rocprim17ROCPRIM_400000_NS6detail17trampoline_kernelINS0_14default_configENS1_35radix_sort_onesweep_config_selectorIbiEEZZNS1_29radix_sort_onesweep_iterationIS3_Lb0EN6thrust23THRUST_200600_302600_NS6detail15normal_iteratorINS8_10device_ptrIbEEEESD_NSA_INSB_IiEEEESF_jNS0_19identity_decomposerENS1_16block_id_wrapperIjLb0EEEEE10hipError_tT1_PNSt15iterator_traitsISK_E10value_typeET2_T3_PNSL_ISQ_E10value_typeET4_T5_PSV_SW_PNS1_23onesweep_lookback_stateEbbT6_jjT7_P12ihipStream_tbENKUlT_T0_SK_SP_E_clIPbSD_PiSF_EEDaS13_S14_SK_SP_EUlS13_E_NS1_11comp_targetILNS1_3genE5ELNS1_11target_archE942ELNS1_3gpuE9ELNS1_3repE0EEENS1_47radix_sort_onesweep_sort_config_static_selectorELNS0_4arch9wavefront6targetE1EEEvSK_.numbered_sgpr, 0
	.set _ZN7rocprim17ROCPRIM_400000_NS6detail17trampoline_kernelINS0_14default_configENS1_35radix_sort_onesweep_config_selectorIbiEEZZNS1_29radix_sort_onesweep_iterationIS3_Lb0EN6thrust23THRUST_200600_302600_NS6detail15normal_iteratorINS8_10device_ptrIbEEEESD_NSA_INSB_IiEEEESF_jNS0_19identity_decomposerENS1_16block_id_wrapperIjLb0EEEEE10hipError_tT1_PNSt15iterator_traitsISK_E10value_typeET2_T3_PNSL_ISQ_E10value_typeET4_T5_PSV_SW_PNS1_23onesweep_lookback_stateEbbT6_jjT7_P12ihipStream_tbENKUlT_T0_SK_SP_E_clIPbSD_PiSF_EEDaS13_S14_SK_SP_EUlS13_E_NS1_11comp_targetILNS1_3genE5ELNS1_11target_archE942ELNS1_3gpuE9ELNS1_3repE0EEENS1_47radix_sort_onesweep_sort_config_static_selectorELNS0_4arch9wavefront6targetE1EEEvSK_.num_named_barrier, 0
	.set _ZN7rocprim17ROCPRIM_400000_NS6detail17trampoline_kernelINS0_14default_configENS1_35radix_sort_onesweep_config_selectorIbiEEZZNS1_29radix_sort_onesweep_iterationIS3_Lb0EN6thrust23THRUST_200600_302600_NS6detail15normal_iteratorINS8_10device_ptrIbEEEESD_NSA_INSB_IiEEEESF_jNS0_19identity_decomposerENS1_16block_id_wrapperIjLb0EEEEE10hipError_tT1_PNSt15iterator_traitsISK_E10value_typeET2_T3_PNSL_ISQ_E10value_typeET4_T5_PSV_SW_PNS1_23onesweep_lookback_stateEbbT6_jjT7_P12ihipStream_tbENKUlT_T0_SK_SP_E_clIPbSD_PiSF_EEDaS13_S14_SK_SP_EUlS13_E_NS1_11comp_targetILNS1_3genE5ELNS1_11target_archE942ELNS1_3gpuE9ELNS1_3repE0EEENS1_47radix_sort_onesweep_sort_config_static_selectorELNS0_4arch9wavefront6targetE1EEEvSK_.private_seg_size, 0
	.set _ZN7rocprim17ROCPRIM_400000_NS6detail17trampoline_kernelINS0_14default_configENS1_35radix_sort_onesweep_config_selectorIbiEEZZNS1_29radix_sort_onesweep_iterationIS3_Lb0EN6thrust23THRUST_200600_302600_NS6detail15normal_iteratorINS8_10device_ptrIbEEEESD_NSA_INSB_IiEEEESF_jNS0_19identity_decomposerENS1_16block_id_wrapperIjLb0EEEEE10hipError_tT1_PNSt15iterator_traitsISK_E10value_typeET2_T3_PNSL_ISQ_E10value_typeET4_T5_PSV_SW_PNS1_23onesweep_lookback_stateEbbT6_jjT7_P12ihipStream_tbENKUlT_T0_SK_SP_E_clIPbSD_PiSF_EEDaS13_S14_SK_SP_EUlS13_E_NS1_11comp_targetILNS1_3genE5ELNS1_11target_archE942ELNS1_3gpuE9ELNS1_3repE0EEENS1_47radix_sort_onesweep_sort_config_static_selectorELNS0_4arch9wavefront6targetE1EEEvSK_.uses_vcc, 0
	.set _ZN7rocprim17ROCPRIM_400000_NS6detail17trampoline_kernelINS0_14default_configENS1_35radix_sort_onesweep_config_selectorIbiEEZZNS1_29radix_sort_onesweep_iterationIS3_Lb0EN6thrust23THRUST_200600_302600_NS6detail15normal_iteratorINS8_10device_ptrIbEEEESD_NSA_INSB_IiEEEESF_jNS0_19identity_decomposerENS1_16block_id_wrapperIjLb0EEEEE10hipError_tT1_PNSt15iterator_traitsISK_E10value_typeET2_T3_PNSL_ISQ_E10value_typeET4_T5_PSV_SW_PNS1_23onesweep_lookback_stateEbbT6_jjT7_P12ihipStream_tbENKUlT_T0_SK_SP_E_clIPbSD_PiSF_EEDaS13_S14_SK_SP_EUlS13_E_NS1_11comp_targetILNS1_3genE5ELNS1_11target_archE942ELNS1_3gpuE9ELNS1_3repE0EEENS1_47radix_sort_onesweep_sort_config_static_selectorELNS0_4arch9wavefront6targetE1EEEvSK_.uses_flat_scratch, 0
	.set _ZN7rocprim17ROCPRIM_400000_NS6detail17trampoline_kernelINS0_14default_configENS1_35radix_sort_onesweep_config_selectorIbiEEZZNS1_29radix_sort_onesweep_iterationIS3_Lb0EN6thrust23THRUST_200600_302600_NS6detail15normal_iteratorINS8_10device_ptrIbEEEESD_NSA_INSB_IiEEEESF_jNS0_19identity_decomposerENS1_16block_id_wrapperIjLb0EEEEE10hipError_tT1_PNSt15iterator_traitsISK_E10value_typeET2_T3_PNSL_ISQ_E10value_typeET4_T5_PSV_SW_PNS1_23onesweep_lookback_stateEbbT6_jjT7_P12ihipStream_tbENKUlT_T0_SK_SP_E_clIPbSD_PiSF_EEDaS13_S14_SK_SP_EUlS13_E_NS1_11comp_targetILNS1_3genE5ELNS1_11target_archE942ELNS1_3gpuE9ELNS1_3repE0EEENS1_47radix_sort_onesweep_sort_config_static_selectorELNS0_4arch9wavefront6targetE1EEEvSK_.has_dyn_sized_stack, 0
	.set _ZN7rocprim17ROCPRIM_400000_NS6detail17trampoline_kernelINS0_14default_configENS1_35radix_sort_onesweep_config_selectorIbiEEZZNS1_29radix_sort_onesweep_iterationIS3_Lb0EN6thrust23THRUST_200600_302600_NS6detail15normal_iteratorINS8_10device_ptrIbEEEESD_NSA_INSB_IiEEEESF_jNS0_19identity_decomposerENS1_16block_id_wrapperIjLb0EEEEE10hipError_tT1_PNSt15iterator_traitsISK_E10value_typeET2_T3_PNSL_ISQ_E10value_typeET4_T5_PSV_SW_PNS1_23onesweep_lookback_stateEbbT6_jjT7_P12ihipStream_tbENKUlT_T0_SK_SP_E_clIPbSD_PiSF_EEDaS13_S14_SK_SP_EUlS13_E_NS1_11comp_targetILNS1_3genE5ELNS1_11target_archE942ELNS1_3gpuE9ELNS1_3repE0EEENS1_47radix_sort_onesweep_sort_config_static_selectorELNS0_4arch9wavefront6targetE1EEEvSK_.has_recursion, 0
	.set _ZN7rocprim17ROCPRIM_400000_NS6detail17trampoline_kernelINS0_14default_configENS1_35radix_sort_onesweep_config_selectorIbiEEZZNS1_29radix_sort_onesweep_iterationIS3_Lb0EN6thrust23THRUST_200600_302600_NS6detail15normal_iteratorINS8_10device_ptrIbEEEESD_NSA_INSB_IiEEEESF_jNS0_19identity_decomposerENS1_16block_id_wrapperIjLb0EEEEE10hipError_tT1_PNSt15iterator_traitsISK_E10value_typeET2_T3_PNSL_ISQ_E10value_typeET4_T5_PSV_SW_PNS1_23onesweep_lookback_stateEbbT6_jjT7_P12ihipStream_tbENKUlT_T0_SK_SP_E_clIPbSD_PiSF_EEDaS13_S14_SK_SP_EUlS13_E_NS1_11comp_targetILNS1_3genE5ELNS1_11target_archE942ELNS1_3gpuE9ELNS1_3repE0EEENS1_47radix_sort_onesweep_sort_config_static_selectorELNS0_4arch9wavefront6targetE1EEEvSK_.has_indirect_call, 0
	.section	.AMDGPU.csdata,"",@progbits
; Kernel info:
; codeLenInByte = 0
; TotalNumSgprs: 6
; NumVgprs: 0
; NumAgprs: 0
; TotalNumVgprs: 0
; ScratchSize: 0
; MemoryBound: 0
; FloatMode: 240
; IeeeMode: 1
; LDSByteSize: 0 bytes/workgroup (compile time only)
; SGPRBlocks: 0
; VGPRBlocks: 0
; NumSGPRsForWavesPerEU: 6
; NumVGPRsForWavesPerEU: 1
; AccumOffset: 4
; Occupancy: 8
; WaveLimiterHint : 0
; COMPUTE_PGM_RSRC2:SCRATCH_EN: 0
; COMPUTE_PGM_RSRC2:USER_SGPR: 2
; COMPUTE_PGM_RSRC2:TRAP_HANDLER: 0
; COMPUTE_PGM_RSRC2:TGID_X_EN: 1
; COMPUTE_PGM_RSRC2:TGID_Y_EN: 0
; COMPUTE_PGM_RSRC2:TGID_Z_EN: 0
; COMPUTE_PGM_RSRC2:TIDIG_COMP_CNT: 0
; COMPUTE_PGM_RSRC3_GFX90A:ACCUM_OFFSET: 0
; COMPUTE_PGM_RSRC3_GFX90A:TG_SPLIT: 0
	.section	.text._ZN7rocprim17ROCPRIM_400000_NS6detail17trampoline_kernelINS0_14default_configENS1_35radix_sort_onesweep_config_selectorIbiEEZZNS1_29radix_sort_onesweep_iterationIS3_Lb0EN6thrust23THRUST_200600_302600_NS6detail15normal_iteratorINS8_10device_ptrIbEEEESD_NSA_INSB_IiEEEESF_jNS0_19identity_decomposerENS1_16block_id_wrapperIjLb0EEEEE10hipError_tT1_PNSt15iterator_traitsISK_E10value_typeET2_T3_PNSL_ISQ_E10value_typeET4_T5_PSV_SW_PNS1_23onesweep_lookback_stateEbbT6_jjT7_P12ihipStream_tbENKUlT_T0_SK_SP_E_clIPbSD_PiSF_EEDaS13_S14_SK_SP_EUlS13_E_NS1_11comp_targetILNS1_3genE2ELNS1_11target_archE906ELNS1_3gpuE6ELNS1_3repE0EEENS1_47radix_sort_onesweep_sort_config_static_selectorELNS0_4arch9wavefront6targetE1EEEvSK_,"axG",@progbits,_ZN7rocprim17ROCPRIM_400000_NS6detail17trampoline_kernelINS0_14default_configENS1_35radix_sort_onesweep_config_selectorIbiEEZZNS1_29radix_sort_onesweep_iterationIS3_Lb0EN6thrust23THRUST_200600_302600_NS6detail15normal_iteratorINS8_10device_ptrIbEEEESD_NSA_INSB_IiEEEESF_jNS0_19identity_decomposerENS1_16block_id_wrapperIjLb0EEEEE10hipError_tT1_PNSt15iterator_traitsISK_E10value_typeET2_T3_PNSL_ISQ_E10value_typeET4_T5_PSV_SW_PNS1_23onesweep_lookback_stateEbbT6_jjT7_P12ihipStream_tbENKUlT_T0_SK_SP_E_clIPbSD_PiSF_EEDaS13_S14_SK_SP_EUlS13_E_NS1_11comp_targetILNS1_3genE2ELNS1_11target_archE906ELNS1_3gpuE6ELNS1_3repE0EEENS1_47radix_sort_onesweep_sort_config_static_selectorELNS0_4arch9wavefront6targetE1EEEvSK_,comdat
	.protected	_ZN7rocprim17ROCPRIM_400000_NS6detail17trampoline_kernelINS0_14default_configENS1_35radix_sort_onesweep_config_selectorIbiEEZZNS1_29radix_sort_onesweep_iterationIS3_Lb0EN6thrust23THRUST_200600_302600_NS6detail15normal_iteratorINS8_10device_ptrIbEEEESD_NSA_INSB_IiEEEESF_jNS0_19identity_decomposerENS1_16block_id_wrapperIjLb0EEEEE10hipError_tT1_PNSt15iterator_traitsISK_E10value_typeET2_T3_PNSL_ISQ_E10value_typeET4_T5_PSV_SW_PNS1_23onesweep_lookback_stateEbbT6_jjT7_P12ihipStream_tbENKUlT_T0_SK_SP_E_clIPbSD_PiSF_EEDaS13_S14_SK_SP_EUlS13_E_NS1_11comp_targetILNS1_3genE2ELNS1_11target_archE906ELNS1_3gpuE6ELNS1_3repE0EEENS1_47radix_sort_onesweep_sort_config_static_selectorELNS0_4arch9wavefront6targetE1EEEvSK_ ; -- Begin function _ZN7rocprim17ROCPRIM_400000_NS6detail17trampoline_kernelINS0_14default_configENS1_35radix_sort_onesweep_config_selectorIbiEEZZNS1_29radix_sort_onesweep_iterationIS3_Lb0EN6thrust23THRUST_200600_302600_NS6detail15normal_iteratorINS8_10device_ptrIbEEEESD_NSA_INSB_IiEEEESF_jNS0_19identity_decomposerENS1_16block_id_wrapperIjLb0EEEEE10hipError_tT1_PNSt15iterator_traitsISK_E10value_typeET2_T3_PNSL_ISQ_E10value_typeET4_T5_PSV_SW_PNS1_23onesweep_lookback_stateEbbT6_jjT7_P12ihipStream_tbENKUlT_T0_SK_SP_E_clIPbSD_PiSF_EEDaS13_S14_SK_SP_EUlS13_E_NS1_11comp_targetILNS1_3genE2ELNS1_11target_archE906ELNS1_3gpuE6ELNS1_3repE0EEENS1_47radix_sort_onesweep_sort_config_static_selectorELNS0_4arch9wavefront6targetE1EEEvSK_
	.globl	_ZN7rocprim17ROCPRIM_400000_NS6detail17trampoline_kernelINS0_14default_configENS1_35radix_sort_onesweep_config_selectorIbiEEZZNS1_29radix_sort_onesweep_iterationIS3_Lb0EN6thrust23THRUST_200600_302600_NS6detail15normal_iteratorINS8_10device_ptrIbEEEESD_NSA_INSB_IiEEEESF_jNS0_19identity_decomposerENS1_16block_id_wrapperIjLb0EEEEE10hipError_tT1_PNSt15iterator_traitsISK_E10value_typeET2_T3_PNSL_ISQ_E10value_typeET4_T5_PSV_SW_PNS1_23onesweep_lookback_stateEbbT6_jjT7_P12ihipStream_tbENKUlT_T0_SK_SP_E_clIPbSD_PiSF_EEDaS13_S14_SK_SP_EUlS13_E_NS1_11comp_targetILNS1_3genE2ELNS1_11target_archE906ELNS1_3gpuE6ELNS1_3repE0EEENS1_47radix_sort_onesweep_sort_config_static_selectorELNS0_4arch9wavefront6targetE1EEEvSK_
	.p2align	8
	.type	_ZN7rocprim17ROCPRIM_400000_NS6detail17trampoline_kernelINS0_14default_configENS1_35radix_sort_onesweep_config_selectorIbiEEZZNS1_29radix_sort_onesweep_iterationIS3_Lb0EN6thrust23THRUST_200600_302600_NS6detail15normal_iteratorINS8_10device_ptrIbEEEESD_NSA_INSB_IiEEEESF_jNS0_19identity_decomposerENS1_16block_id_wrapperIjLb0EEEEE10hipError_tT1_PNSt15iterator_traitsISK_E10value_typeET2_T3_PNSL_ISQ_E10value_typeET4_T5_PSV_SW_PNS1_23onesweep_lookback_stateEbbT6_jjT7_P12ihipStream_tbENKUlT_T0_SK_SP_E_clIPbSD_PiSF_EEDaS13_S14_SK_SP_EUlS13_E_NS1_11comp_targetILNS1_3genE2ELNS1_11target_archE906ELNS1_3gpuE6ELNS1_3repE0EEENS1_47radix_sort_onesweep_sort_config_static_selectorELNS0_4arch9wavefront6targetE1EEEvSK_,@function
_ZN7rocprim17ROCPRIM_400000_NS6detail17trampoline_kernelINS0_14default_configENS1_35radix_sort_onesweep_config_selectorIbiEEZZNS1_29radix_sort_onesweep_iterationIS3_Lb0EN6thrust23THRUST_200600_302600_NS6detail15normal_iteratorINS8_10device_ptrIbEEEESD_NSA_INSB_IiEEEESF_jNS0_19identity_decomposerENS1_16block_id_wrapperIjLb0EEEEE10hipError_tT1_PNSt15iterator_traitsISK_E10value_typeET2_T3_PNSL_ISQ_E10value_typeET4_T5_PSV_SW_PNS1_23onesweep_lookback_stateEbbT6_jjT7_P12ihipStream_tbENKUlT_T0_SK_SP_E_clIPbSD_PiSF_EEDaS13_S14_SK_SP_EUlS13_E_NS1_11comp_targetILNS1_3genE2ELNS1_11target_archE906ELNS1_3gpuE6ELNS1_3repE0EEENS1_47radix_sort_onesweep_sort_config_static_selectorELNS0_4arch9wavefront6targetE1EEEvSK_: ; @_ZN7rocprim17ROCPRIM_400000_NS6detail17trampoline_kernelINS0_14default_configENS1_35radix_sort_onesweep_config_selectorIbiEEZZNS1_29radix_sort_onesweep_iterationIS3_Lb0EN6thrust23THRUST_200600_302600_NS6detail15normal_iteratorINS8_10device_ptrIbEEEESD_NSA_INSB_IiEEEESF_jNS0_19identity_decomposerENS1_16block_id_wrapperIjLb0EEEEE10hipError_tT1_PNSt15iterator_traitsISK_E10value_typeET2_T3_PNSL_ISQ_E10value_typeET4_T5_PSV_SW_PNS1_23onesweep_lookback_stateEbbT6_jjT7_P12ihipStream_tbENKUlT_T0_SK_SP_E_clIPbSD_PiSF_EEDaS13_S14_SK_SP_EUlS13_E_NS1_11comp_targetILNS1_3genE2ELNS1_11target_archE906ELNS1_3gpuE6ELNS1_3repE0EEENS1_47radix_sort_onesweep_sort_config_static_selectorELNS0_4arch9wavefront6targetE1EEEvSK_
; %bb.0:
	.section	.rodata,"a",@progbits
	.p2align	6, 0x0
	.amdhsa_kernel _ZN7rocprim17ROCPRIM_400000_NS6detail17trampoline_kernelINS0_14default_configENS1_35radix_sort_onesweep_config_selectorIbiEEZZNS1_29radix_sort_onesweep_iterationIS3_Lb0EN6thrust23THRUST_200600_302600_NS6detail15normal_iteratorINS8_10device_ptrIbEEEESD_NSA_INSB_IiEEEESF_jNS0_19identity_decomposerENS1_16block_id_wrapperIjLb0EEEEE10hipError_tT1_PNSt15iterator_traitsISK_E10value_typeET2_T3_PNSL_ISQ_E10value_typeET4_T5_PSV_SW_PNS1_23onesweep_lookback_stateEbbT6_jjT7_P12ihipStream_tbENKUlT_T0_SK_SP_E_clIPbSD_PiSF_EEDaS13_S14_SK_SP_EUlS13_E_NS1_11comp_targetILNS1_3genE2ELNS1_11target_archE906ELNS1_3gpuE6ELNS1_3repE0EEENS1_47radix_sort_onesweep_sort_config_static_selectorELNS0_4arch9wavefront6targetE1EEEvSK_
		.amdhsa_group_segment_fixed_size 0
		.amdhsa_private_segment_fixed_size 0
		.amdhsa_kernarg_size 88
		.amdhsa_user_sgpr_count 2
		.amdhsa_user_sgpr_dispatch_ptr 0
		.amdhsa_user_sgpr_queue_ptr 0
		.amdhsa_user_sgpr_kernarg_segment_ptr 1
		.amdhsa_user_sgpr_dispatch_id 0
		.amdhsa_user_sgpr_kernarg_preload_length 0
		.amdhsa_user_sgpr_kernarg_preload_offset 0
		.amdhsa_user_sgpr_private_segment_size 0
		.amdhsa_uses_dynamic_stack 0
		.amdhsa_enable_private_segment 0
		.amdhsa_system_sgpr_workgroup_id_x 1
		.amdhsa_system_sgpr_workgroup_id_y 0
		.amdhsa_system_sgpr_workgroup_id_z 0
		.amdhsa_system_sgpr_workgroup_info 0
		.amdhsa_system_vgpr_workitem_id 0
		.amdhsa_next_free_vgpr 1
		.amdhsa_next_free_sgpr 0
		.amdhsa_accum_offset 4
		.amdhsa_reserve_vcc 0
		.amdhsa_float_round_mode_32 0
		.amdhsa_float_round_mode_16_64 0
		.amdhsa_float_denorm_mode_32 3
		.amdhsa_float_denorm_mode_16_64 3
		.amdhsa_dx10_clamp 1
		.amdhsa_ieee_mode 1
		.amdhsa_fp16_overflow 0
		.amdhsa_tg_split 0
		.amdhsa_exception_fp_ieee_invalid_op 0
		.amdhsa_exception_fp_denorm_src 0
		.amdhsa_exception_fp_ieee_div_zero 0
		.amdhsa_exception_fp_ieee_overflow 0
		.amdhsa_exception_fp_ieee_underflow 0
		.amdhsa_exception_fp_ieee_inexact 0
		.amdhsa_exception_int_div_zero 0
	.end_amdhsa_kernel
	.section	.text._ZN7rocprim17ROCPRIM_400000_NS6detail17trampoline_kernelINS0_14default_configENS1_35radix_sort_onesweep_config_selectorIbiEEZZNS1_29radix_sort_onesweep_iterationIS3_Lb0EN6thrust23THRUST_200600_302600_NS6detail15normal_iteratorINS8_10device_ptrIbEEEESD_NSA_INSB_IiEEEESF_jNS0_19identity_decomposerENS1_16block_id_wrapperIjLb0EEEEE10hipError_tT1_PNSt15iterator_traitsISK_E10value_typeET2_T3_PNSL_ISQ_E10value_typeET4_T5_PSV_SW_PNS1_23onesweep_lookback_stateEbbT6_jjT7_P12ihipStream_tbENKUlT_T0_SK_SP_E_clIPbSD_PiSF_EEDaS13_S14_SK_SP_EUlS13_E_NS1_11comp_targetILNS1_3genE2ELNS1_11target_archE906ELNS1_3gpuE6ELNS1_3repE0EEENS1_47radix_sort_onesweep_sort_config_static_selectorELNS0_4arch9wavefront6targetE1EEEvSK_,"axG",@progbits,_ZN7rocprim17ROCPRIM_400000_NS6detail17trampoline_kernelINS0_14default_configENS1_35radix_sort_onesweep_config_selectorIbiEEZZNS1_29radix_sort_onesweep_iterationIS3_Lb0EN6thrust23THRUST_200600_302600_NS6detail15normal_iteratorINS8_10device_ptrIbEEEESD_NSA_INSB_IiEEEESF_jNS0_19identity_decomposerENS1_16block_id_wrapperIjLb0EEEEE10hipError_tT1_PNSt15iterator_traitsISK_E10value_typeET2_T3_PNSL_ISQ_E10value_typeET4_T5_PSV_SW_PNS1_23onesweep_lookback_stateEbbT6_jjT7_P12ihipStream_tbENKUlT_T0_SK_SP_E_clIPbSD_PiSF_EEDaS13_S14_SK_SP_EUlS13_E_NS1_11comp_targetILNS1_3genE2ELNS1_11target_archE906ELNS1_3gpuE6ELNS1_3repE0EEENS1_47radix_sort_onesweep_sort_config_static_selectorELNS0_4arch9wavefront6targetE1EEEvSK_,comdat
.Lfunc_end2089:
	.size	_ZN7rocprim17ROCPRIM_400000_NS6detail17trampoline_kernelINS0_14default_configENS1_35radix_sort_onesweep_config_selectorIbiEEZZNS1_29radix_sort_onesweep_iterationIS3_Lb0EN6thrust23THRUST_200600_302600_NS6detail15normal_iteratorINS8_10device_ptrIbEEEESD_NSA_INSB_IiEEEESF_jNS0_19identity_decomposerENS1_16block_id_wrapperIjLb0EEEEE10hipError_tT1_PNSt15iterator_traitsISK_E10value_typeET2_T3_PNSL_ISQ_E10value_typeET4_T5_PSV_SW_PNS1_23onesweep_lookback_stateEbbT6_jjT7_P12ihipStream_tbENKUlT_T0_SK_SP_E_clIPbSD_PiSF_EEDaS13_S14_SK_SP_EUlS13_E_NS1_11comp_targetILNS1_3genE2ELNS1_11target_archE906ELNS1_3gpuE6ELNS1_3repE0EEENS1_47radix_sort_onesweep_sort_config_static_selectorELNS0_4arch9wavefront6targetE1EEEvSK_, .Lfunc_end2089-_ZN7rocprim17ROCPRIM_400000_NS6detail17trampoline_kernelINS0_14default_configENS1_35radix_sort_onesweep_config_selectorIbiEEZZNS1_29radix_sort_onesweep_iterationIS3_Lb0EN6thrust23THRUST_200600_302600_NS6detail15normal_iteratorINS8_10device_ptrIbEEEESD_NSA_INSB_IiEEEESF_jNS0_19identity_decomposerENS1_16block_id_wrapperIjLb0EEEEE10hipError_tT1_PNSt15iterator_traitsISK_E10value_typeET2_T3_PNSL_ISQ_E10value_typeET4_T5_PSV_SW_PNS1_23onesweep_lookback_stateEbbT6_jjT7_P12ihipStream_tbENKUlT_T0_SK_SP_E_clIPbSD_PiSF_EEDaS13_S14_SK_SP_EUlS13_E_NS1_11comp_targetILNS1_3genE2ELNS1_11target_archE906ELNS1_3gpuE6ELNS1_3repE0EEENS1_47radix_sort_onesweep_sort_config_static_selectorELNS0_4arch9wavefront6targetE1EEEvSK_
                                        ; -- End function
	.set _ZN7rocprim17ROCPRIM_400000_NS6detail17trampoline_kernelINS0_14default_configENS1_35radix_sort_onesweep_config_selectorIbiEEZZNS1_29radix_sort_onesweep_iterationIS3_Lb0EN6thrust23THRUST_200600_302600_NS6detail15normal_iteratorINS8_10device_ptrIbEEEESD_NSA_INSB_IiEEEESF_jNS0_19identity_decomposerENS1_16block_id_wrapperIjLb0EEEEE10hipError_tT1_PNSt15iterator_traitsISK_E10value_typeET2_T3_PNSL_ISQ_E10value_typeET4_T5_PSV_SW_PNS1_23onesweep_lookback_stateEbbT6_jjT7_P12ihipStream_tbENKUlT_T0_SK_SP_E_clIPbSD_PiSF_EEDaS13_S14_SK_SP_EUlS13_E_NS1_11comp_targetILNS1_3genE2ELNS1_11target_archE906ELNS1_3gpuE6ELNS1_3repE0EEENS1_47radix_sort_onesweep_sort_config_static_selectorELNS0_4arch9wavefront6targetE1EEEvSK_.num_vgpr, 0
	.set _ZN7rocprim17ROCPRIM_400000_NS6detail17trampoline_kernelINS0_14default_configENS1_35radix_sort_onesweep_config_selectorIbiEEZZNS1_29radix_sort_onesweep_iterationIS3_Lb0EN6thrust23THRUST_200600_302600_NS6detail15normal_iteratorINS8_10device_ptrIbEEEESD_NSA_INSB_IiEEEESF_jNS0_19identity_decomposerENS1_16block_id_wrapperIjLb0EEEEE10hipError_tT1_PNSt15iterator_traitsISK_E10value_typeET2_T3_PNSL_ISQ_E10value_typeET4_T5_PSV_SW_PNS1_23onesweep_lookback_stateEbbT6_jjT7_P12ihipStream_tbENKUlT_T0_SK_SP_E_clIPbSD_PiSF_EEDaS13_S14_SK_SP_EUlS13_E_NS1_11comp_targetILNS1_3genE2ELNS1_11target_archE906ELNS1_3gpuE6ELNS1_3repE0EEENS1_47radix_sort_onesweep_sort_config_static_selectorELNS0_4arch9wavefront6targetE1EEEvSK_.num_agpr, 0
	.set _ZN7rocprim17ROCPRIM_400000_NS6detail17trampoline_kernelINS0_14default_configENS1_35radix_sort_onesweep_config_selectorIbiEEZZNS1_29radix_sort_onesweep_iterationIS3_Lb0EN6thrust23THRUST_200600_302600_NS6detail15normal_iteratorINS8_10device_ptrIbEEEESD_NSA_INSB_IiEEEESF_jNS0_19identity_decomposerENS1_16block_id_wrapperIjLb0EEEEE10hipError_tT1_PNSt15iterator_traitsISK_E10value_typeET2_T3_PNSL_ISQ_E10value_typeET4_T5_PSV_SW_PNS1_23onesweep_lookback_stateEbbT6_jjT7_P12ihipStream_tbENKUlT_T0_SK_SP_E_clIPbSD_PiSF_EEDaS13_S14_SK_SP_EUlS13_E_NS1_11comp_targetILNS1_3genE2ELNS1_11target_archE906ELNS1_3gpuE6ELNS1_3repE0EEENS1_47radix_sort_onesweep_sort_config_static_selectorELNS0_4arch9wavefront6targetE1EEEvSK_.numbered_sgpr, 0
	.set _ZN7rocprim17ROCPRIM_400000_NS6detail17trampoline_kernelINS0_14default_configENS1_35radix_sort_onesweep_config_selectorIbiEEZZNS1_29radix_sort_onesweep_iterationIS3_Lb0EN6thrust23THRUST_200600_302600_NS6detail15normal_iteratorINS8_10device_ptrIbEEEESD_NSA_INSB_IiEEEESF_jNS0_19identity_decomposerENS1_16block_id_wrapperIjLb0EEEEE10hipError_tT1_PNSt15iterator_traitsISK_E10value_typeET2_T3_PNSL_ISQ_E10value_typeET4_T5_PSV_SW_PNS1_23onesweep_lookback_stateEbbT6_jjT7_P12ihipStream_tbENKUlT_T0_SK_SP_E_clIPbSD_PiSF_EEDaS13_S14_SK_SP_EUlS13_E_NS1_11comp_targetILNS1_3genE2ELNS1_11target_archE906ELNS1_3gpuE6ELNS1_3repE0EEENS1_47radix_sort_onesweep_sort_config_static_selectorELNS0_4arch9wavefront6targetE1EEEvSK_.num_named_barrier, 0
	.set _ZN7rocprim17ROCPRIM_400000_NS6detail17trampoline_kernelINS0_14default_configENS1_35radix_sort_onesweep_config_selectorIbiEEZZNS1_29radix_sort_onesweep_iterationIS3_Lb0EN6thrust23THRUST_200600_302600_NS6detail15normal_iteratorINS8_10device_ptrIbEEEESD_NSA_INSB_IiEEEESF_jNS0_19identity_decomposerENS1_16block_id_wrapperIjLb0EEEEE10hipError_tT1_PNSt15iterator_traitsISK_E10value_typeET2_T3_PNSL_ISQ_E10value_typeET4_T5_PSV_SW_PNS1_23onesweep_lookback_stateEbbT6_jjT7_P12ihipStream_tbENKUlT_T0_SK_SP_E_clIPbSD_PiSF_EEDaS13_S14_SK_SP_EUlS13_E_NS1_11comp_targetILNS1_3genE2ELNS1_11target_archE906ELNS1_3gpuE6ELNS1_3repE0EEENS1_47radix_sort_onesweep_sort_config_static_selectorELNS0_4arch9wavefront6targetE1EEEvSK_.private_seg_size, 0
	.set _ZN7rocprim17ROCPRIM_400000_NS6detail17trampoline_kernelINS0_14default_configENS1_35radix_sort_onesweep_config_selectorIbiEEZZNS1_29radix_sort_onesweep_iterationIS3_Lb0EN6thrust23THRUST_200600_302600_NS6detail15normal_iteratorINS8_10device_ptrIbEEEESD_NSA_INSB_IiEEEESF_jNS0_19identity_decomposerENS1_16block_id_wrapperIjLb0EEEEE10hipError_tT1_PNSt15iterator_traitsISK_E10value_typeET2_T3_PNSL_ISQ_E10value_typeET4_T5_PSV_SW_PNS1_23onesweep_lookback_stateEbbT6_jjT7_P12ihipStream_tbENKUlT_T0_SK_SP_E_clIPbSD_PiSF_EEDaS13_S14_SK_SP_EUlS13_E_NS1_11comp_targetILNS1_3genE2ELNS1_11target_archE906ELNS1_3gpuE6ELNS1_3repE0EEENS1_47radix_sort_onesweep_sort_config_static_selectorELNS0_4arch9wavefront6targetE1EEEvSK_.uses_vcc, 0
	.set _ZN7rocprim17ROCPRIM_400000_NS6detail17trampoline_kernelINS0_14default_configENS1_35radix_sort_onesweep_config_selectorIbiEEZZNS1_29radix_sort_onesweep_iterationIS3_Lb0EN6thrust23THRUST_200600_302600_NS6detail15normal_iteratorINS8_10device_ptrIbEEEESD_NSA_INSB_IiEEEESF_jNS0_19identity_decomposerENS1_16block_id_wrapperIjLb0EEEEE10hipError_tT1_PNSt15iterator_traitsISK_E10value_typeET2_T3_PNSL_ISQ_E10value_typeET4_T5_PSV_SW_PNS1_23onesweep_lookback_stateEbbT6_jjT7_P12ihipStream_tbENKUlT_T0_SK_SP_E_clIPbSD_PiSF_EEDaS13_S14_SK_SP_EUlS13_E_NS1_11comp_targetILNS1_3genE2ELNS1_11target_archE906ELNS1_3gpuE6ELNS1_3repE0EEENS1_47radix_sort_onesweep_sort_config_static_selectorELNS0_4arch9wavefront6targetE1EEEvSK_.uses_flat_scratch, 0
	.set _ZN7rocprim17ROCPRIM_400000_NS6detail17trampoline_kernelINS0_14default_configENS1_35radix_sort_onesweep_config_selectorIbiEEZZNS1_29radix_sort_onesweep_iterationIS3_Lb0EN6thrust23THRUST_200600_302600_NS6detail15normal_iteratorINS8_10device_ptrIbEEEESD_NSA_INSB_IiEEEESF_jNS0_19identity_decomposerENS1_16block_id_wrapperIjLb0EEEEE10hipError_tT1_PNSt15iterator_traitsISK_E10value_typeET2_T3_PNSL_ISQ_E10value_typeET4_T5_PSV_SW_PNS1_23onesweep_lookback_stateEbbT6_jjT7_P12ihipStream_tbENKUlT_T0_SK_SP_E_clIPbSD_PiSF_EEDaS13_S14_SK_SP_EUlS13_E_NS1_11comp_targetILNS1_3genE2ELNS1_11target_archE906ELNS1_3gpuE6ELNS1_3repE0EEENS1_47radix_sort_onesweep_sort_config_static_selectorELNS0_4arch9wavefront6targetE1EEEvSK_.has_dyn_sized_stack, 0
	.set _ZN7rocprim17ROCPRIM_400000_NS6detail17trampoline_kernelINS0_14default_configENS1_35radix_sort_onesweep_config_selectorIbiEEZZNS1_29radix_sort_onesweep_iterationIS3_Lb0EN6thrust23THRUST_200600_302600_NS6detail15normal_iteratorINS8_10device_ptrIbEEEESD_NSA_INSB_IiEEEESF_jNS0_19identity_decomposerENS1_16block_id_wrapperIjLb0EEEEE10hipError_tT1_PNSt15iterator_traitsISK_E10value_typeET2_T3_PNSL_ISQ_E10value_typeET4_T5_PSV_SW_PNS1_23onesweep_lookback_stateEbbT6_jjT7_P12ihipStream_tbENKUlT_T0_SK_SP_E_clIPbSD_PiSF_EEDaS13_S14_SK_SP_EUlS13_E_NS1_11comp_targetILNS1_3genE2ELNS1_11target_archE906ELNS1_3gpuE6ELNS1_3repE0EEENS1_47radix_sort_onesweep_sort_config_static_selectorELNS0_4arch9wavefront6targetE1EEEvSK_.has_recursion, 0
	.set _ZN7rocprim17ROCPRIM_400000_NS6detail17trampoline_kernelINS0_14default_configENS1_35radix_sort_onesweep_config_selectorIbiEEZZNS1_29radix_sort_onesweep_iterationIS3_Lb0EN6thrust23THRUST_200600_302600_NS6detail15normal_iteratorINS8_10device_ptrIbEEEESD_NSA_INSB_IiEEEESF_jNS0_19identity_decomposerENS1_16block_id_wrapperIjLb0EEEEE10hipError_tT1_PNSt15iterator_traitsISK_E10value_typeET2_T3_PNSL_ISQ_E10value_typeET4_T5_PSV_SW_PNS1_23onesweep_lookback_stateEbbT6_jjT7_P12ihipStream_tbENKUlT_T0_SK_SP_E_clIPbSD_PiSF_EEDaS13_S14_SK_SP_EUlS13_E_NS1_11comp_targetILNS1_3genE2ELNS1_11target_archE906ELNS1_3gpuE6ELNS1_3repE0EEENS1_47radix_sort_onesweep_sort_config_static_selectorELNS0_4arch9wavefront6targetE1EEEvSK_.has_indirect_call, 0
	.section	.AMDGPU.csdata,"",@progbits
; Kernel info:
; codeLenInByte = 0
; TotalNumSgprs: 6
; NumVgprs: 0
; NumAgprs: 0
; TotalNumVgprs: 0
; ScratchSize: 0
; MemoryBound: 0
; FloatMode: 240
; IeeeMode: 1
; LDSByteSize: 0 bytes/workgroup (compile time only)
; SGPRBlocks: 0
; VGPRBlocks: 0
; NumSGPRsForWavesPerEU: 6
; NumVGPRsForWavesPerEU: 1
; AccumOffset: 4
; Occupancy: 8
; WaveLimiterHint : 0
; COMPUTE_PGM_RSRC2:SCRATCH_EN: 0
; COMPUTE_PGM_RSRC2:USER_SGPR: 2
; COMPUTE_PGM_RSRC2:TRAP_HANDLER: 0
; COMPUTE_PGM_RSRC2:TGID_X_EN: 1
; COMPUTE_PGM_RSRC2:TGID_Y_EN: 0
; COMPUTE_PGM_RSRC2:TGID_Z_EN: 0
; COMPUTE_PGM_RSRC2:TIDIG_COMP_CNT: 0
; COMPUTE_PGM_RSRC3_GFX90A:ACCUM_OFFSET: 0
; COMPUTE_PGM_RSRC3_GFX90A:TG_SPLIT: 0
	.section	.text._ZN7rocprim17ROCPRIM_400000_NS6detail17trampoline_kernelINS0_14default_configENS1_35radix_sort_onesweep_config_selectorIbiEEZZNS1_29radix_sort_onesweep_iterationIS3_Lb0EN6thrust23THRUST_200600_302600_NS6detail15normal_iteratorINS8_10device_ptrIbEEEESD_NSA_INSB_IiEEEESF_jNS0_19identity_decomposerENS1_16block_id_wrapperIjLb0EEEEE10hipError_tT1_PNSt15iterator_traitsISK_E10value_typeET2_T3_PNSL_ISQ_E10value_typeET4_T5_PSV_SW_PNS1_23onesweep_lookback_stateEbbT6_jjT7_P12ihipStream_tbENKUlT_T0_SK_SP_E_clIPbSD_PiSF_EEDaS13_S14_SK_SP_EUlS13_E_NS1_11comp_targetILNS1_3genE4ELNS1_11target_archE910ELNS1_3gpuE8ELNS1_3repE0EEENS1_47radix_sort_onesweep_sort_config_static_selectorELNS0_4arch9wavefront6targetE1EEEvSK_,"axG",@progbits,_ZN7rocprim17ROCPRIM_400000_NS6detail17trampoline_kernelINS0_14default_configENS1_35radix_sort_onesweep_config_selectorIbiEEZZNS1_29radix_sort_onesweep_iterationIS3_Lb0EN6thrust23THRUST_200600_302600_NS6detail15normal_iteratorINS8_10device_ptrIbEEEESD_NSA_INSB_IiEEEESF_jNS0_19identity_decomposerENS1_16block_id_wrapperIjLb0EEEEE10hipError_tT1_PNSt15iterator_traitsISK_E10value_typeET2_T3_PNSL_ISQ_E10value_typeET4_T5_PSV_SW_PNS1_23onesweep_lookback_stateEbbT6_jjT7_P12ihipStream_tbENKUlT_T0_SK_SP_E_clIPbSD_PiSF_EEDaS13_S14_SK_SP_EUlS13_E_NS1_11comp_targetILNS1_3genE4ELNS1_11target_archE910ELNS1_3gpuE8ELNS1_3repE0EEENS1_47radix_sort_onesweep_sort_config_static_selectorELNS0_4arch9wavefront6targetE1EEEvSK_,comdat
	.protected	_ZN7rocprim17ROCPRIM_400000_NS6detail17trampoline_kernelINS0_14default_configENS1_35radix_sort_onesweep_config_selectorIbiEEZZNS1_29radix_sort_onesweep_iterationIS3_Lb0EN6thrust23THRUST_200600_302600_NS6detail15normal_iteratorINS8_10device_ptrIbEEEESD_NSA_INSB_IiEEEESF_jNS0_19identity_decomposerENS1_16block_id_wrapperIjLb0EEEEE10hipError_tT1_PNSt15iterator_traitsISK_E10value_typeET2_T3_PNSL_ISQ_E10value_typeET4_T5_PSV_SW_PNS1_23onesweep_lookback_stateEbbT6_jjT7_P12ihipStream_tbENKUlT_T0_SK_SP_E_clIPbSD_PiSF_EEDaS13_S14_SK_SP_EUlS13_E_NS1_11comp_targetILNS1_3genE4ELNS1_11target_archE910ELNS1_3gpuE8ELNS1_3repE0EEENS1_47radix_sort_onesweep_sort_config_static_selectorELNS0_4arch9wavefront6targetE1EEEvSK_ ; -- Begin function _ZN7rocprim17ROCPRIM_400000_NS6detail17trampoline_kernelINS0_14default_configENS1_35radix_sort_onesweep_config_selectorIbiEEZZNS1_29radix_sort_onesweep_iterationIS3_Lb0EN6thrust23THRUST_200600_302600_NS6detail15normal_iteratorINS8_10device_ptrIbEEEESD_NSA_INSB_IiEEEESF_jNS0_19identity_decomposerENS1_16block_id_wrapperIjLb0EEEEE10hipError_tT1_PNSt15iterator_traitsISK_E10value_typeET2_T3_PNSL_ISQ_E10value_typeET4_T5_PSV_SW_PNS1_23onesweep_lookback_stateEbbT6_jjT7_P12ihipStream_tbENKUlT_T0_SK_SP_E_clIPbSD_PiSF_EEDaS13_S14_SK_SP_EUlS13_E_NS1_11comp_targetILNS1_3genE4ELNS1_11target_archE910ELNS1_3gpuE8ELNS1_3repE0EEENS1_47radix_sort_onesweep_sort_config_static_selectorELNS0_4arch9wavefront6targetE1EEEvSK_
	.globl	_ZN7rocprim17ROCPRIM_400000_NS6detail17trampoline_kernelINS0_14default_configENS1_35radix_sort_onesweep_config_selectorIbiEEZZNS1_29radix_sort_onesweep_iterationIS3_Lb0EN6thrust23THRUST_200600_302600_NS6detail15normal_iteratorINS8_10device_ptrIbEEEESD_NSA_INSB_IiEEEESF_jNS0_19identity_decomposerENS1_16block_id_wrapperIjLb0EEEEE10hipError_tT1_PNSt15iterator_traitsISK_E10value_typeET2_T3_PNSL_ISQ_E10value_typeET4_T5_PSV_SW_PNS1_23onesweep_lookback_stateEbbT6_jjT7_P12ihipStream_tbENKUlT_T0_SK_SP_E_clIPbSD_PiSF_EEDaS13_S14_SK_SP_EUlS13_E_NS1_11comp_targetILNS1_3genE4ELNS1_11target_archE910ELNS1_3gpuE8ELNS1_3repE0EEENS1_47radix_sort_onesweep_sort_config_static_selectorELNS0_4arch9wavefront6targetE1EEEvSK_
	.p2align	8
	.type	_ZN7rocprim17ROCPRIM_400000_NS6detail17trampoline_kernelINS0_14default_configENS1_35radix_sort_onesweep_config_selectorIbiEEZZNS1_29radix_sort_onesweep_iterationIS3_Lb0EN6thrust23THRUST_200600_302600_NS6detail15normal_iteratorINS8_10device_ptrIbEEEESD_NSA_INSB_IiEEEESF_jNS0_19identity_decomposerENS1_16block_id_wrapperIjLb0EEEEE10hipError_tT1_PNSt15iterator_traitsISK_E10value_typeET2_T3_PNSL_ISQ_E10value_typeET4_T5_PSV_SW_PNS1_23onesweep_lookback_stateEbbT6_jjT7_P12ihipStream_tbENKUlT_T0_SK_SP_E_clIPbSD_PiSF_EEDaS13_S14_SK_SP_EUlS13_E_NS1_11comp_targetILNS1_3genE4ELNS1_11target_archE910ELNS1_3gpuE8ELNS1_3repE0EEENS1_47radix_sort_onesweep_sort_config_static_selectorELNS0_4arch9wavefront6targetE1EEEvSK_,@function
_ZN7rocprim17ROCPRIM_400000_NS6detail17trampoline_kernelINS0_14default_configENS1_35radix_sort_onesweep_config_selectorIbiEEZZNS1_29radix_sort_onesweep_iterationIS3_Lb0EN6thrust23THRUST_200600_302600_NS6detail15normal_iteratorINS8_10device_ptrIbEEEESD_NSA_INSB_IiEEEESF_jNS0_19identity_decomposerENS1_16block_id_wrapperIjLb0EEEEE10hipError_tT1_PNSt15iterator_traitsISK_E10value_typeET2_T3_PNSL_ISQ_E10value_typeET4_T5_PSV_SW_PNS1_23onesweep_lookback_stateEbbT6_jjT7_P12ihipStream_tbENKUlT_T0_SK_SP_E_clIPbSD_PiSF_EEDaS13_S14_SK_SP_EUlS13_E_NS1_11comp_targetILNS1_3genE4ELNS1_11target_archE910ELNS1_3gpuE8ELNS1_3repE0EEENS1_47radix_sort_onesweep_sort_config_static_selectorELNS0_4arch9wavefront6targetE1EEEvSK_: ; @_ZN7rocprim17ROCPRIM_400000_NS6detail17trampoline_kernelINS0_14default_configENS1_35radix_sort_onesweep_config_selectorIbiEEZZNS1_29radix_sort_onesweep_iterationIS3_Lb0EN6thrust23THRUST_200600_302600_NS6detail15normal_iteratorINS8_10device_ptrIbEEEESD_NSA_INSB_IiEEEESF_jNS0_19identity_decomposerENS1_16block_id_wrapperIjLb0EEEEE10hipError_tT1_PNSt15iterator_traitsISK_E10value_typeET2_T3_PNSL_ISQ_E10value_typeET4_T5_PSV_SW_PNS1_23onesweep_lookback_stateEbbT6_jjT7_P12ihipStream_tbENKUlT_T0_SK_SP_E_clIPbSD_PiSF_EEDaS13_S14_SK_SP_EUlS13_E_NS1_11comp_targetILNS1_3genE4ELNS1_11target_archE910ELNS1_3gpuE8ELNS1_3repE0EEENS1_47radix_sort_onesweep_sort_config_static_selectorELNS0_4arch9wavefront6targetE1EEEvSK_
; %bb.0:
	.section	.rodata,"a",@progbits
	.p2align	6, 0x0
	.amdhsa_kernel _ZN7rocprim17ROCPRIM_400000_NS6detail17trampoline_kernelINS0_14default_configENS1_35radix_sort_onesweep_config_selectorIbiEEZZNS1_29radix_sort_onesweep_iterationIS3_Lb0EN6thrust23THRUST_200600_302600_NS6detail15normal_iteratorINS8_10device_ptrIbEEEESD_NSA_INSB_IiEEEESF_jNS0_19identity_decomposerENS1_16block_id_wrapperIjLb0EEEEE10hipError_tT1_PNSt15iterator_traitsISK_E10value_typeET2_T3_PNSL_ISQ_E10value_typeET4_T5_PSV_SW_PNS1_23onesweep_lookback_stateEbbT6_jjT7_P12ihipStream_tbENKUlT_T0_SK_SP_E_clIPbSD_PiSF_EEDaS13_S14_SK_SP_EUlS13_E_NS1_11comp_targetILNS1_3genE4ELNS1_11target_archE910ELNS1_3gpuE8ELNS1_3repE0EEENS1_47radix_sort_onesweep_sort_config_static_selectorELNS0_4arch9wavefront6targetE1EEEvSK_
		.amdhsa_group_segment_fixed_size 0
		.amdhsa_private_segment_fixed_size 0
		.amdhsa_kernarg_size 88
		.amdhsa_user_sgpr_count 2
		.amdhsa_user_sgpr_dispatch_ptr 0
		.amdhsa_user_sgpr_queue_ptr 0
		.amdhsa_user_sgpr_kernarg_segment_ptr 1
		.amdhsa_user_sgpr_dispatch_id 0
		.amdhsa_user_sgpr_kernarg_preload_length 0
		.amdhsa_user_sgpr_kernarg_preload_offset 0
		.amdhsa_user_sgpr_private_segment_size 0
		.amdhsa_uses_dynamic_stack 0
		.amdhsa_enable_private_segment 0
		.amdhsa_system_sgpr_workgroup_id_x 1
		.amdhsa_system_sgpr_workgroup_id_y 0
		.amdhsa_system_sgpr_workgroup_id_z 0
		.amdhsa_system_sgpr_workgroup_info 0
		.amdhsa_system_vgpr_workitem_id 0
		.amdhsa_next_free_vgpr 1
		.amdhsa_next_free_sgpr 0
		.amdhsa_accum_offset 4
		.amdhsa_reserve_vcc 0
		.amdhsa_float_round_mode_32 0
		.amdhsa_float_round_mode_16_64 0
		.amdhsa_float_denorm_mode_32 3
		.amdhsa_float_denorm_mode_16_64 3
		.amdhsa_dx10_clamp 1
		.amdhsa_ieee_mode 1
		.amdhsa_fp16_overflow 0
		.amdhsa_tg_split 0
		.amdhsa_exception_fp_ieee_invalid_op 0
		.amdhsa_exception_fp_denorm_src 0
		.amdhsa_exception_fp_ieee_div_zero 0
		.amdhsa_exception_fp_ieee_overflow 0
		.amdhsa_exception_fp_ieee_underflow 0
		.amdhsa_exception_fp_ieee_inexact 0
		.amdhsa_exception_int_div_zero 0
	.end_amdhsa_kernel
	.section	.text._ZN7rocprim17ROCPRIM_400000_NS6detail17trampoline_kernelINS0_14default_configENS1_35radix_sort_onesweep_config_selectorIbiEEZZNS1_29radix_sort_onesweep_iterationIS3_Lb0EN6thrust23THRUST_200600_302600_NS6detail15normal_iteratorINS8_10device_ptrIbEEEESD_NSA_INSB_IiEEEESF_jNS0_19identity_decomposerENS1_16block_id_wrapperIjLb0EEEEE10hipError_tT1_PNSt15iterator_traitsISK_E10value_typeET2_T3_PNSL_ISQ_E10value_typeET4_T5_PSV_SW_PNS1_23onesweep_lookback_stateEbbT6_jjT7_P12ihipStream_tbENKUlT_T0_SK_SP_E_clIPbSD_PiSF_EEDaS13_S14_SK_SP_EUlS13_E_NS1_11comp_targetILNS1_3genE4ELNS1_11target_archE910ELNS1_3gpuE8ELNS1_3repE0EEENS1_47radix_sort_onesweep_sort_config_static_selectorELNS0_4arch9wavefront6targetE1EEEvSK_,"axG",@progbits,_ZN7rocprim17ROCPRIM_400000_NS6detail17trampoline_kernelINS0_14default_configENS1_35radix_sort_onesweep_config_selectorIbiEEZZNS1_29radix_sort_onesweep_iterationIS3_Lb0EN6thrust23THRUST_200600_302600_NS6detail15normal_iteratorINS8_10device_ptrIbEEEESD_NSA_INSB_IiEEEESF_jNS0_19identity_decomposerENS1_16block_id_wrapperIjLb0EEEEE10hipError_tT1_PNSt15iterator_traitsISK_E10value_typeET2_T3_PNSL_ISQ_E10value_typeET4_T5_PSV_SW_PNS1_23onesweep_lookback_stateEbbT6_jjT7_P12ihipStream_tbENKUlT_T0_SK_SP_E_clIPbSD_PiSF_EEDaS13_S14_SK_SP_EUlS13_E_NS1_11comp_targetILNS1_3genE4ELNS1_11target_archE910ELNS1_3gpuE8ELNS1_3repE0EEENS1_47radix_sort_onesweep_sort_config_static_selectorELNS0_4arch9wavefront6targetE1EEEvSK_,comdat
.Lfunc_end2090:
	.size	_ZN7rocprim17ROCPRIM_400000_NS6detail17trampoline_kernelINS0_14default_configENS1_35radix_sort_onesweep_config_selectorIbiEEZZNS1_29radix_sort_onesweep_iterationIS3_Lb0EN6thrust23THRUST_200600_302600_NS6detail15normal_iteratorINS8_10device_ptrIbEEEESD_NSA_INSB_IiEEEESF_jNS0_19identity_decomposerENS1_16block_id_wrapperIjLb0EEEEE10hipError_tT1_PNSt15iterator_traitsISK_E10value_typeET2_T3_PNSL_ISQ_E10value_typeET4_T5_PSV_SW_PNS1_23onesweep_lookback_stateEbbT6_jjT7_P12ihipStream_tbENKUlT_T0_SK_SP_E_clIPbSD_PiSF_EEDaS13_S14_SK_SP_EUlS13_E_NS1_11comp_targetILNS1_3genE4ELNS1_11target_archE910ELNS1_3gpuE8ELNS1_3repE0EEENS1_47radix_sort_onesweep_sort_config_static_selectorELNS0_4arch9wavefront6targetE1EEEvSK_, .Lfunc_end2090-_ZN7rocprim17ROCPRIM_400000_NS6detail17trampoline_kernelINS0_14default_configENS1_35radix_sort_onesweep_config_selectorIbiEEZZNS1_29radix_sort_onesweep_iterationIS3_Lb0EN6thrust23THRUST_200600_302600_NS6detail15normal_iteratorINS8_10device_ptrIbEEEESD_NSA_INSB_IiEEEESF_jNS0_19identity_decomposerENS1_16block_id_wrapperIjLb0EEEEE10hipError_tT1_PNSt15iterator_traitsISK_E10value_typeET2_T3_PNSL_ISQ_E10value_typeET4_T5_PSV_SW_PNS1_23onesweep_lookback_stateEbbT6_jjT7_P12ihipStream_tbENKUlT_T0_SK_SP_E_clIPbSD_PiSF_EEDaS13_S14_SK_SP_EUlS13_E_NS1_11comp_targetILNS1_3genE4ELNS1_11target_archE910ELNS1_3gpuE8ELNS1_3repE0EEENS1_47radix_sort_onesweep_sort_config_static_selectorELNS0_4arch9wavefront6targetE1EEEvSK_
                                        ; -- End function
	.set _ZN7rocprim17ROCPRIM_400000_NS6detail17trampoline_kernelINS0_14default_configENS1_35radix_sort_onesweep_config_selectorIbiEEZZNS1_29radix_sort_onesweep_iterationIS3_Lb0EN6thrust23THRUST_200600_302600_NS6detail15normal_iteratorINS8_10device_ptrIbEEEESD_NSA_INSB_IiEEEESF_jNS0_19identity_decomposerENS1_16block_id_wrapperIjLb0EEEEE10hipError_tT1_PNSt15iterator_traitsISK_E10value_typeET2_T3_PNSL_ISQ_E10value_typeET4_T5_PSV_SW_PNS1_23onesweep_lookback_stateEbbT6_jjT7_P12ihipStream_tbENKUlT_T0_SK_SP_E_clIPbSD_PiSF_EEDaS13_S14_SK_SP_EUlS13_E_NS1_11comp_targetILNS1_3genE4ELNS1_11target_archE910ELNS1_3gpuE8ELNS1_3repE0EEENS1_47radix_sort_onesweep_sort_config_static_selectorELNS0_4arch9wavefront6targetE1EEEvSK_.num_vgpr, 0
	.set _ZN7rocprim17ROCPRIM_400000_NS6detail17trampoline_kernelINS0_14default_configENS1_35radix_sort_onesweep_config_selectorIbiEEZZNS1_29radix_sort_onesweep_iterationIS3_Lb0EN6thrust23THRUST_200600_302600_NS6detail15normal_iteratorINS8_10device_ptrIbEEEESD_NSA_INSB_IiEEEESF_jNS0_19identity_decomposerENS1_16block_id_wrapperIjLb0EEEEE10hipError_tT1_PNSt15iterator_traitsISK_E10value_typeET2_T3_PNSL_ISQ_E10value_typeET4_T5_PSV_SW_PNS1_23onesweep_lookback_stateEbbT6_jjT7_P12ihipStream_tbENKUlT_T0_SK_SP_E_clIPbSD_PiSF_EEDaS13_S14_SK_SP_EUlS13_E_NS1_11comp_targetILNS1_3genE4ELNS1_11target_archE910ELNS1_3gpuE8ELNS1_3repE0EEENS1_47radix_sort_onesweep_sort_config_static_selectorELNS0_4arch9wavefront6targetE1EEEvSK_.num_agpr, 0
	.set _ZN7rocprim17ROCPRIM_400000_NS6detail17trampoline_kernelINS0_14default_configENS1_35radix_sort_onesweep_config_selectorIbiEEZZNS1_29radix_sort_onesweep_iterationIS3_Lb0EN6thrust23THRUST_200600_302600_NS6detail15normal_iteratorINS8_10device_ptrIbEEEESD_NSA_INSB_IiEEEESF_jNS0_19identity_decomposerENS1_16block_id_wrapperIjLb0EEEEE10hipError_tT1_PNSt15iterator_traitsISK_E10value_typeET2_T3_PNSL_ISQ_E10value_typeET4_T5_PSV_SW_PNS1_23onesweep_lookback_stateEbbT6_jjT7_P12ihipStream_tbENKUlT_T0_SK_SP_E_clIPbSD_PiSF_EEDaS13_S14_SK_SP_EUlS13_E_NS1_11comp_targetILNS1_3genE4ELNS1_11target_archE910ELNS1_3gpuE8ELNS1_3repE0EEENS1_47radix_sort_onesweep_sort_config_static_selectorELNS0_4arch9wavefront6targetE1EEEvSK_.numbered_sgpr, 0
	.set _ZN7rocprim17ROCPRIM_400000_NS6detail17trampoline_kernelINS0_14default_configENS1_35radix_sort_onesweep_config_selectorIbiEEZZNS1_29radix_sort_onesweep_iterationIS3_Lb0EN6thrust23THRUST_200600_302600_NS6detail15normal_iteratorINS8_10device_ptrIbEEEESD_NSA_INSB_IiEEEESF_jNS0_19identity_decomposerENS1_16block_id_wrapperIjLb0EEEEE10hipError_tT1_PNSt15iterator_traitsISK_E10value_typeET2_T3_PNSL_ISQ_E10value_typeET4_T5_PSV_SW_PNS1_23onesweep_lookback_stateEbbT6_jjT7_P12ihipStream_tbENKUlT_T0_SK_SP_E_clIPbSD_PiSF_EEDaS13_S14_SK_SP_EUlS13_E_NS1_11comp_targetILNS1_3genE4ELNS1_11target_archE910ELNS1_3gpuE8ELNS1_3repE0EEENS1_47radix_sort_onesweep_sort_config_static_selectorELNS0_4arch9wavefront6targetE1EEEvSK_.num_named_barrier, 0
	.set _ZN7rocprim17ROCPRIM_400000_NS6detail17trampoline_kernelINS0_14default_configENS1_35radix_sort_onesweep_config_selectorIbiEEZZNS1_29radix_sort_onesweep_iterationIS3_Lb0EN6thrust23THRUST_200600_302600_NS6detail15normal_iteratorINS8_10device_ptrIbEEEESD_NSA_INSB_IiEEEESF_jNS0_19identity_decomposerENS1_16block_id_wrapperIjLb0EEEEE10hipError_tT1_PNSt15iterator_traitsISK_E10value_typeET2_T3_PNSL_ISQ_E10value_typeET4_T5_PSV_SW_PNS1_23onesweep_lookback_stateEbbT6_jjT7_P12ihipStream_tbENKUlT_T0_SK_SP_E_clIPbSD_PiSF_EEDaS13_S14_SK_SP_EUlS13_E_NS1_11comp_targetILNS1_3genE4ELNS1_11target_archE910ELNS1_3gpuE8ELNS1_3repE0EEENS1_47radix_sort_onesweep_sort_config_static_selectorELNS0_4arch9wavefront6targetE1EEEvSK_.private_seg_size, 0
	.set _ZN7rocprim17ROCPRIM_400000_NS6detail17trampoline_kernelINS0_14default_configENS1_35radix_sort_onesweep_config_selectorIbiEEZZNS1_29radix_sort_onesweep_iterationIS3_Lb0EN6thrust23THRUST_200600_302600_NS6detail15normal_iteratorINS8_10device_ptrIbEEEESD_NSA_INSB_IiEEEESF_jNS0_19identity_decomposerENS1_16block_id_wrapperIjLb0EEEEE10hipError_tT1_PNSt15iterator_traitsISK_E10value_typeET2_T3_PNSL_ISQ_E10value_typeET4_T5_PSV_SW_PNS1_23onesweep_lookback_stateEbbT6_jjT7_P12ihipStream_tbENKUlT_T0_SK_SP_E_clIPbSD_PiSF_EEDaS13_S14_SK_SP_EUlS13_E_NS1_11comp_targetILNS1_3genE4ELNS1_11target_archE910ELNS1_3gpuE8ELNS1_3repE0EEENS1_47radix_sort_onesweep_sort_config_static_selectorELNS0_4arch9wavefront6targetE1EEEvSK_.uses_vcc, 0
	.set _ZN7rocprim17ROCPRIM_400000_NS6detail17trampoline_kernelINS0_14default_configENS1_35radix_sort_onesweep_config_selectorIbiEEZZNS1_29radix_sort_onesweep_iterationIS3_Lb0EN6thrust23THRUST_200600_302600_NS6detail15normal_iteratorINS8_10device_ptrIbEEEESD_NSA_INSB_IiEEEESF_jNS0_19identity_decomposerENS1_16block_id_wrapperIjLb0EEEEE10hipError_tT1_PNSt15iterator_traitsISK_E10value_typeET2_T3_PNSL_ISQ_E10value_typeET4_T5_PSV_SW_PNS1_23onesweep_lookback_stateEbbT6_jjT7_P12ihipStream_tbENKUlT_T0_SK_SP_E_clIPbSD_PiSF_EEDaS13_S14_SK_SP_EUlS13_E_NS1_11comp_targetILNS1_3genE4ELNS1_11target_archE910ELNS1_3gpuE8ELNS1_3repE0EEENS1_47radix_sort_onesweep_sort_config_static_selectorELNS0_4arch9wavefront6targetE1EEEvSK_.uses_flat_scratch, 0
	.set _ZN7rocprim17ROCPRIM_400000_NS6detail17trampoline_kernelINS0_14default_configENS1_35radix_sort_onesweep_config_selectorIbiEEZZNS1_29radix_sort_onesweep_iterationIS3_Lb0EN6thrust23THRUST_200600_302600_NS6detail15normal_iteratorINS8_10device_ptrIbEEEESD_NSA_INSB_IiEEEESF_jNS0_19identity_decomposerENS1_16block_id_wrapperIjLb0EEEEE10hipError_tT1_PNSt15iterator_traitsISK_E10value_typeET2_T3_PNSL_ISQ_E10value_typeET4_T5_PSV_SW_PNS1_23onesweep_lookback_stateEbbT6_jjT7_P12ihipStream_tbENKUlT_T0_SK_SP_E_clIPbSD_PiSF_EEDaS13_S14_SK_SP_EUlS13_E_NS1_11comp_targetILNS1_3genE4ELNS1_11target_archE910ELNS1_3gpuE8ELNS1_3repE0EEENS1_47radix_sort_onesweep_sort_config_static_selectorELNS0_4arch9wavefront6targetE1EEEvSK_.has_dyn_sized_stack, 0
	.set _ZN7rocprim17ROCPRIM_400000_NS6detail17trampoline_kernelINS0_14default_configENS1_35radix_sort_onesweep_config_selectorIbiEEZZNS1_29radix_sort_onesweep_iterationIS3_Lb0EN6thrust23THRUST_200600_302600_NS6detail15normal_iteratorINS8_10device_ptrIbEEEESD_NSA_INSB_IiEEEESF_jNS0_19identity_decomposerENS1_16block_id_wrapperIjLb0EEEEE10hipError_tT1_PNSt15iterator_traitsISK_E10value_typeET2_T3_PNSL_ISQ_E10value_typeET4_T5_PSV_SW_PNS1_23onesweep_lookback_stateEbbT6_jjT7_P12ihipStream_tbENKUlT_T0_SK_SP_E_clIPbSD_PiSF_EEDaS13_S14_SK_SP_EUlS13_E_NS1_11comp_targetILNS1_3genE4ELNS1_11target_archE910ELNS1_3gpuE8ELNS1_3repE0EEENS1_47radix_sort_onesweep_sort_config_static_selectorELNS0_4arch9wavefront6targetE1EEEvSK_.has_recursion, 0
	.set _ZN7rocprim17ROCPRIM_400000_NS6detail17trampoline_kernelINS0_14default_configENS1_35radix_sort_onesweep_config_selectorIbiEEZZNS1_29radix_sort_onesweep_iterationIS3_Lb0EN6thrust23THRUST_200600_302600_NS6detail15normal_iteratorINS8_10device_ptrIbEEEESD_NSA_INSB_IiEEEESF_jNS0_19identity_decomposerENS1_16block_id_wrapperIjLb0EEEEE10hipError_tT1_PNSt15iterator_traitsISK_E10value_typeET2_T3_PNSL_ISQ_E10value_typeET4_T5_PSV_SW_PNS1_23onesweep_lookback_stateEbbT6_jjT7_P12ihipStream_tbENKUlT_T0_SK_SP_E_clIPbSD_PiSF_EEDaS13_S14_SK_SP_EUlS13_E_NS1_11comp_targetILNS1_3genE4ELNS1_11target_archE910ELNS1_3gpuE8ELNS1_3repE0EEENS1_47radix_sort_onesweep_sort_config_static_selectorELNS0_4arch9wavefront6targetE1EEEvSK_.has_indirect_call, 0
	.section	.AMDGPU.csdata,"",@progbits
; Kernel info:
; codeLenInByte = 0
; TotalNumSgprs: 6
; NumVgprs: 0
; NumAgprs: 0
; TotalNumVgprs: 0
; ScratchSize: 0
; MemoryBound: 0
; FloatMode: 240
; IeeeMode: 1
; LDSByteSize: 0 bytes/workgroup (compile time only)
; SGPRBlocks: 0
; VGPRBlocks: 0
; NumSGPRsForWavesPerEU: 6
; NumVGPRsForWavesPerEU: 1
; AccumOffset: 4
; Occupancy: 8
; WaveLimiterHint : 0
; COMPUTE_PGM_RSRC2:SCRATCH_EN: 0
; COMPUTE_PGM_RSRC2:USER_SGPR: 2
; COMPUTE_PGM_RSRC2:TRAP_HANDLER: 0
; COMPUTE_PGM_RSRC2:TGID_X_EN: 1
; COMPUTE_PGM_RSRC2:TGID_Y_EN: 0
; COMPUTE_PGM_RSRC2:TGID_Z_EN: 0
; COMPUTE_PGM_RSRC2:TIDIG_COMP_CNT: 0
; COMPUTE_PGM_RSRC3_GFX90A:ACCUM_OFFSET: 0
; COMPUTE_PGM_RSRC3_GFX90A:TG_SPLIT: 0
	.section	.text._ZN7rocprim17ROCPRIM_400000_NS6detail17trampoline_kernelINS0_14default_configENS1_35radix_sort_onesweep_config_selectorIbiEEZZNS1_29radix_sort_onesweep_iterationIS3_Lb0EN6thrust23THRUST_200600_302600_NS6detail15normal_iteratorINS8_10device_ptrIbEEEESD_NSA_INSB_IiEEEESF_jNS0_19identity_decomposerENS1_16block_id_wrapperIjLb0EEEEE10hipError_tT1_PNSt15iterator_traitsISK_E10value_typeET2_T3_PNSL_ISQ_E10value_typeET4_T5_PSV_SW_PNS1_23onesweep_lookback_stateEbbT6_jjT7_P12ihipStream_tbENKUlT_T0_SK_SP_E_clIPbSD_PiSF_EEDaS13_S14_SK_SP_EUlS13_E_NS1_11comp_targetILNS1_3genE3ELNS1_11target_archE908ELNS1_3gpuE7ELNS1_3repE0EEENS1_47radix_sort_onesweep_sort_config_static_selectorELNS0_4arch9wavefront6targetE1EEEvSK_,"axG",@progbits,_ZN7rocprim17ROCPRIM_400000_NS6detail17trampoline_kernelINS0_14default_configENS1_35radix_sort_onesweep_config_selectorIbiEEZZNS1_29radix_sort_onesweep_iterationIS3_Lb0EN6thrust23THRUST_200600_302600_NS6detail15normal_iteratorINS8_10device_ptrIbEEEESD_NSA_INSB_IiEEEESF_jNS0_19identity_decomposerENS1_16block_id_wrapperIjLb0EEEEE10hipError_tT1_PNSt15iterator_traitsISK_E10value_typeET2_T3_PNSL_ISQ_E10value_typeET4_T5_PSV_SW_PNS1_23onesweep_lookback_stateEbbT6_jjT7_P12ihipStream_tbENKUlT_T0_SK_SP_E_clIPbSD_PiSF_EEDaS13_S14_SK_SP_EUlS13_E_NS1_11comp_targetILNS1_3genE3ELNS1_11target_archE908ELNS1_3gpuE7ELNS1_3repE0EEENS1_47radix_sort_onesweep_sort_config_static_selectorELNS0_4arch9wavefront6targetE1EEEvSK_,comdat
	.protected	_ZN7rocprim17ROCPRIM_400000_NS6detail17trampoline_kernelINS0_14default_configENS1_35radix_sort_onesweep_config_selectorIbiEEZZNS1_29radix_sort_onesweep_iterationIS3_Lb0EN6thrust23THRUST_200600_302600_NS6detail15normal_iteratorINS8_10device_ptrIbEEEESD_NSA_INSB_IiEEEESF_jNS0_19identity_decomposerENS1_16block_id_wrapperIjLb0EEEEE10hipError_tT1_PNSt15iterator_traitsISK_E10value_typeET2_T3_PNSL_ISQ_E10value_typeET4_T5_PSV_SW_PNS1_23onesweep_lookback_stateEbbT6_jjT7_P12ihipStream_tbENKUlT_T0_SK_SP_E_clIPbSD_PiSF_EEDaS13_S14_SK_SP_EUlS13_E_NS1_11comp_targetILNS1_3genE3ELNS1_11target_archE908ELNS1_3gpuE7ELNS1_3repE0EEENS1_47radix_sort_onesweep_sort_config_static_selectorELNS0_4arch9wavefront6targetE1EEEvSK_ ; -- Begin function _ZN7rocprim17ROCPRIM_400000_NS6detail17trampoline_kernelINS0_14default_configENS1_35radix_sort_onesweep_config_selectorIbiEEZZNS1_29radix_sort_onesweep_iterationIS3_Lb0EN6thrust23THRUST_200600_302600_NS6detail15normal_iteratorINS8_10device_ptrIbEEEESD_NSA_INSB_IiEEEESF_jNS0_19identity_decomposerENS1_16block_id_wrapperIjLb0EEEEE10hipError_tT1_PNSt15iterator_traitsISK_E10value_typeET2_T3_PNSL_ISQ_E10value_typeET4_T5_PSV_SW_PNS1_23onesweep_lookback_stateEbbT6_jjT7_P12ihipStream_tbENKUlT_T0_SK_SP_E_clIPbSD_PiSF_EEDaS13_S14_SK_SP_EUlS13_E_NS1_11comp_targetILNS1_3genE3ELNS1_11target_archE908ELNS1_3gpuE7ELNS1_3repE0EEENS1_47radix_sort_onesweep_sort_config_static_selectorELNS0_4arch9wavefront6targetE1EEEvSK_
	.globl	_ZN7rocprim17ROCPRIM_400000_NS6detail17trampoline_kernelINS0_14default_configENS1_35radix_sort_onesweep_config_selectorIbiEEZZNS1_29radix_sort_onesweep_iterationIS3_Lb0EN6thrust23THRUST_200600_302600_NS6detail15normal_iteratorINS8_10device_ptrIbEEEESD_NSA_INSB_IiEEEESF_jNS0_19identity_decomposerENS1_16block_id_wrapperIjLb0EEEEE10hipError_tT1_PNSt15iterator_traitsISK_E10value_typeET2_T3_PNSL_ISQ_E10value_typeET4_T5_PSV_SW_PNS1_23onesweep_lookback_stateEbbT6_jjT7_P12ihipStream_tbENKUlT_T0_SK_SP_E_clIPbSD_PiSF_EEDaS13_S14_SK_SP_EUlS13_E_NS1_11comp_targetILNS1_3genE3ELNS1_11target_archE908ELNS1_3gpuE7ELNS1_3repE0EEENS1_47radix_sort_onesweep_sort_config_static_selectorELNS0_4arch9wavefront6targetE1EEEvSK_
	.p2align	8
	.type	_ZN7rocprim17ROCPRIM_400000_NS6detail17trampoline_kernelINS0_14default_configENS1_35radix_sort_onesweep_config_selectorIbiEEZZNS1_29radix_sort_onesweep_iterationIS3_Lb0EN6thrust23THRUST_200600_302600_NS6detail15normal_iteratorINS8_10device_ptrIbEEEESD_NSA_INSB_IiEEEESF_jNS0_19identity_decomposerENS1_16block_id_wrapperIjLb0EEEEE10hipError_tT1_PNSt15iterator_traitsISK_E10value_typeET2_T3_PNSL_ISQ_E10value_typeET4_T5_PSV_SW_PNS1_23onesweep_lookback_stateEbbT6_jjT7_P12ihipStream_tbENKUlT_T0_SK_SP_E_clIPbSD_PiSF_EEDaS13_S14_SK_SP_EUlS13_E_NS1_11comp_targetILNS1_3genE3ELNS1_11target_archE908ELNS1_3gpuE7ELNS1_3repE0EEENS1_47radix_sort_onesweep_sort_config_static_selectorELNS0_4arch9wavefront6targetE1EEEvSK_,@function
_ZN7rocprim17ROCPRIM_400000_NS6detail17trampoline_kernelINS0_14default_configENS1_35radix_sort_onesweep_config_selectorIbiEEZZNS1_29radix_sort_onesweep_iterationIS3_Lb0EN6thrust23THRUST_200600_302600_NS6detail15normal_iteratorINS8_10device_ptrIbEEEESD_NSA_INSB_IiEEEESF_jNS0_19identity_decomposerENS1_16block_id_wrapperIjLb0EEEEE10hipError_tT1_PNSt15iterator_traitsISK_E10value_typeET2_T3_PNSL_ISQ_E10value_typeET4_T5_PSV_SW_PNS1_23onesweep_lookback_stateEbbT6_jjT7_P12ihipStream_tbENKUlT_T0_SK_SP_E_clIPbSD_PiSF_EEDaS13_S14_SK_SP_EUlS13_E_NS1_11comp_targetILNS1_3genE3ELNS1_11target_archE908ELNS1_3gpuE7ELNS1_3repE0EEENS1_47radix_sort_onesweep_sort_config_static_selectorELNS0_4arch9wavefront6targetE1EEEvSK_: ; @_ZN7rocprim17ROCPRIM_400000_NS6detail17trampoline_kernelINS0_14default_configENS1_35radix_sort_onesweep_config_selectorIbiEEZZNS1_29radix_sort_onesweep_iterationIS3_Lb0EN6thrust23THRUST_200600_302600_NS6detail15normal_iteratorINS8_10device_ptrIbEEEESD_NSA_INSB_IiEEEESF_jNS0_19identity_decomposerENS1_16block_id_wrapperIjLb0EEEEE10hipError_tT1_PNSt15iterator_traitsISK_E10value_typeET2_T3_PNSL_ISQ_E10value_typeET4_T5_PSV_SW_PNS1_23onesweep_lookback_stateEbbT6_jjT7_P12ihipStream_tbENKUlT_T0_SK_SP_E_clIPbSD_PiSF_EEDaS13_S14_SK_SP_EUlS13_E_NS1_11comp_targetILNS1_3genE3ELNS1_11target_archE908ELNS1_3gpuE7ELNS1_3repE0EEENS1_47radix_sort_onesweep_sort_config_static_selectorELNS0_4arch9wavefront6targetE1EEEvSK_
; %bb.0:
	.section	.rodata,"a",@progbits
	.p2align	6, 0x0
	.amdhsa_kernel _ZN7rocprim17ROCPRIM_400000_NS6detail17trampoline_kernelINS0_14default_configENS1_35radix_sort_onesweep_config_selectorIbiEEZZNS1_29radix_sort_onesweep_iterationIS3_Lb0EN6thrust23THRUST_200600_302600_NS6detail15normal_iteratorINS8_10device_ptrIbEEEESD_NSA_INSB_IiEEEESF_jNS0_19identity_decomposerENS1_16block_id_wrapperIjLb0EEEEE10hipError_tT1_PNSt15iterator_traitsISK_E10value_typeET2_T3_PNSL_ISQ_E10value_typeET4_T5_PSV_SW_PNS1_23onesweep_lookback_stateEbbT6_jjT7_P12ihipStream_tbENKUlT_T0_SK_SP_E_clIPbSD_PiSF_EEDaS13_S14_SK_SP_EUlS13_E_NS1_11comp_targetILNS1_3genE3ELNS1_11target_archE908ELNS1_3gpuE7ELNS1_3repE0EEENS1_47radix_sort_onesweep_sort_config_static_selectorELNS0_4arch9wavefront6targetE1EEEvSK_
		.amdhsa_group_segment_fixed_size 0
		.amdhsa_private_segment_fixed_size 0
		.amdhsa_kernarg_size 88
		.amdhsa_user_sgpr_count 2
		.amdhsa_user_sgpr_dispatch_ptr 0
		.amdhsa_user_sgpr_queue_ptr 0
		.amdhsa_user_sgpr_kernarg_segment_ptr 1
		.amdhsa_user_sgpr_dispatch_id 0
		.amdhsa_user_sgpr_kernarg_preload_length 0
		.amdhsa_user_sgpr_kernarg_preload_offset 0
		.amdhsa_user_sgpr_private_segment_size 0
		.amdhsa_uses_dynamic_stack 0
		.amdhsa_enable_private_segment 0
		.amdhsa_system_sgpr_workgroup_id_x 1
		.amdhsa_system_sgpr_workgroup_id_y 0
		.amdhsa_system_sgpr_workgroup_id_z 0
		.amdhsa_system_sgpr_workgroup_info 0
		.amdhsa_system_vgpr_workitem_id 0
		.amdhsa_next_free_vgpr 1
		.amdhsa_next_free_sgpr 0
		.amdhsa_accum_offset 4
		.amdhsa_reserve_vcc 0
		.amdhsa_float_round_mode_32 0
		.amdhsa_float_round_mode_16_64 0
		.amdhsa_float_denorm_mode_32 3
		.amdhsa_float_denorm_mode_16_64 3
		.amdhsa_dx10_clamp 1
		.amdhsa_ieee_mode 1
		.amdhsa_fp16_overflow 0
		.amdhsa_tg_split 0
		.amdhsa_exception_fp_ieee_invalid_op 0
		.amdhsa_exception_fp_denorm_src 0
		.amdhsa_exception_fp_ieee_div_zero 0
		.amdhsa_exception_fp_ieee_overflow 0
		.amdhsa_exception_fp_ieee_underflow 0
		.amdhsa_exception_fp_ieee_inexact 0
		.amdhsa_exception_int_div_zero 0
	.end_amdhsa_kernel
	.section	.text._ZN7rocprim17ROCPRIM_400000_NS6detail17trampoline_kernelINS0_14default_configENS1_35radix_sort_onesweep_config_selectorIbiEEZZNS1_29radix_sort_onesweep_iterationIS3_Lb0EN6thrust23THRUST_200600_302600_NS6detail15normal_iteratorINS8_10device_ptrIbEEEESD_NSA_INSB_IiEEEESF_jNS0_19identity_decomposerENS1_16block_id_wrapperIjLb0EEEEE10hipError_tT1_PNSt15iterator_traitsISK_E10value_typeET2_T3_PNSL_ISQ_E10value_typeET4_T5_PSV_SW_PNS1_23onesweep_lookback_stateEbbT6_jjT7_P12ihipStream_tbENKUlT_T0_SK_SP_E_clIPbSD_PiSF_EEDaS13_S14_SK_SP_EUlS13_E_NS1_11comp_targetILNS1_3genE3ELNS1_11target_archE908ELNS1_3gpuE7ELNS1_3repE0EEENS1_47radix_sort_onesweep_sort_config_static_selectorELNS0_4arch9wavefront6targetE1EEEvSK_,"axG",@progbits,_ZN7rocprim17ROCPRIM_400000_NS6detail17trampoline_kernelINS0_14default_configENS1_35radix_sort_onesweep_config_selectorIbiEEZZNS1_29radix_sort_onesweep_iterationIS3_Lb0EN6thrust23THRUST_200600_302600_NS6detail15normal_iteratorINS8_10device_ptrIbEEEESD_NSA_INSB_IiEEEESF_jNS0_19identity_decomposerENS1_16block_id_wrapperIjLb0EEEEE10hipError_tT1_PNSt15iterator_traitsISK_E10value_typeET2_T3_PNSL_ISQ_E10value_typeET4_T5_PSV_SW_PNS1_23onesweep_lookback_stateEbbT6_jjT7_P12ihipStream_tbENKUlT_T0_SK_SP_E_clIPbSD_PiSF_EEDaS13_S14_SK_SP_EUlS13_E_NS1_11comp_targetILNS1_3genE3ELNS1_11target_archE908ELNS1_3gpuE7ELNS1_3repE0EEENS1_47radix_sort_onesweep_sort_config_static_selectorELNS0_4arch9wavefront6targetE1EEEvSK_,comdat
.Lfunc_end2091:
	.size	_ZN7rocprim17ROCPRIM_400000_NS6detail17trampoline_kernelINS0_14default_configENS1_35radix_sort_onesweep_config_selectorIbiEEZZNS1_29radix_sort_onesweep_iterationIS3_Lb0EN6thrust23THRUST_200600_302600_NS6detail15normal_iteratorINS8_10device_ptrIbEEEESD_NSA_INSB_IiEEEESF_jNS0_19identity_decomposerENS1_16block_id_wrapperIjLb0EEEEE10hipError_tT1_PNSt15iterator_traitsISK_E10value_typeET2_T3_PNSL_ISQ_E10value_typeET4_T5_PSV_SW_PNS1_23onesweep_lookback_stateEbbT6_jjT7_P12ihipStream_tbENKUlT_T0_SK_SP_E_clIPbSD_PiSF_EEDaS13_S14_SK_SP_EUlS13_E_NS1_11comp_targetILNS1_3genE3ELNS1_11target_archE908ELNS1_3gpuE7ELNS1_3repE0EEENS1_47radix_sort_onesweep_sort_config_static_selectorELNS0_4arch9wavefront6targetE1EEEvSK_, .Lfunc_end2091-_ZN7rocprim17ROCPRIM_400000_NS6detail17trampoline_kernelINS0_14default_configENS1_35radix_sort_onesweep_config_selectorIbiEEZZNS1_29radix_sort_onesweep_iterationIS3_Lb0EN6thrust23THRUST_200600_302600_NS6detail15normal_iteratorINS8_10device_ptrIbEEEESD_NSA_INSB_IiEEEESF_jNS0_19identity_decomposerENS1_16block_id_wrapperIjLb0EEEEE10hipError_tT1_PNSt15iterator_traitsISK_E10value_typeET2_T3_PNSL_ISQ_E10value_typeET4_T5_PSV_SW_PNS1_23onesweep_lookback_stateEbbT6_jjT7_P12ihipStream_tbENKUlT_T0_SK_SP_E_clIPbSD_PiSF_EEDaS13_S14_SK_SP_EUlS13_E_NS1_11comp_targetILNS1_3genE3ELNS1_11target_archE908ELNS1_3gpuE7ELNS1_3repE0EEENS1_47radix_sort_onesweep_sort_config_static_selectorELNS0_4arch9wavefront6targetE1EEEvSK_
                                        ; -- End function
	.set _ZN7rocprim17ROCPRIM_400000_NS6detail17trampoline_kernelINS0_14default_configENS1_35radix_sort_onesweep_config_selectorIbiEEZZNS1_29radix_sort_onesweep_iterationIS3_Lb0EN6thrust23THRUST_200600_302600_NS6detail15normal_iteratorINS8_10device_ptrIbEEEESD_NSA_INSB_IiEEEESF_jNS0_19identity_decomposerENS1_16block_id_wrapperIjLb0EEEEE10hipError_tT1_PNSt15iterator_traitsISK_E10value_typeET2_T3_PNSL_ISQ_E10value_typeET4_T5_PSV_SW_PNS1_23onesweep_lookback_stateEbbT6_jjT7_P12ihipStream_tbENKUlT_T0_SK_SP_E_clIPbSD_PiSF_EEDaS13_S14_SK_SP_EUlS13_E_NS1_11comp_targetILNS1_3genE3ELNS1_11target_archE908ELNS1_3gpuE7ELNS1_3repE0EEENS1_47radix_sort_onesweep_sort_config_static_selectorELNS0_4arch9wavefront6targetE1EEEvSK_.num_vgpr, 0
	.set _ZN7rocprim17ROCPRIM_400000_NS6detail17trampoline_kernelINS0_14default_configENS1_35radix_sort_onesweep_config_selectorIbiEEZZNS1_29radix_sort_onesweep_iterationIS3_Lb0EN6thrust23THRUST_200600_302600_NS6detail15normal_iteratorINS8_10device_ptrIbEEEESD_NSA_INSB_IiEEEESF_jNS0_19identity_decomposerENS1_16block_id_wrapperIjLb0EEEEE10hipError_tT1_PNSt15iterator_traitsISK_E10value_typeET2_T3_PNSL_ISQ_E10value_typeET4_T5_PSV_SW_PNS1_23onesweep_lookback_stateEbbT6_jjT7_P12ihipStream_tbENKUlT_T0_SK_SP_E_clIPbSD_PiSF_EEDaS13_S14_SK_SP_EUlS13_E_NS1_11comp_targetILNS1_3genE3ELNS1_11target_archE908ELNS1_3gpuE7ELNS1_3repE0EEENS1_47radix_sort_onesweep_sort_config_static_selectorELNS0_4arch9wavefront6targetE1EEEvSK_.num_agpr, 0
	.set _ZN7rocprim17ROCPRIM_400000_NS6detail17trampoline_kernelINS0_14default_configENS1_35radix_sort_onesweep_config_selectorIbiEEZZNS1_29radix_sort_onesweep_iterationIS3_Lb0EN6thrust23THRUST_200600_302600_NS6detail15normal_iteratorINS8_10device_ptrIbEEEESD_NSA_INSB_IiEEEESF_jNS0_19identity_decomposerENS1_16block_id_wrapperIjLb0EEEEE10hipError_tT1_PNSt15iterator_traitsISK_E10value_typeET2_T3_PNSL_ISQ_E10value_typeET4_T5_PSV_SW_PNS1_23onesweep_lookback_stateEbbT6_jjT7_P12ihipStream_tbENKUlT_T0_SK_SP_E_clIPbSD_PiSF_EEDaS13_S14_SK_SP_EUlS13_E_NS1_11comp_targetILNS1_3genE3ELNS1_11target_archE908ELNS1_3gpuE7ELNS1_3repE0EEENS1_47radix_sort_onesweep_sort_config_static_selectorELNS0_4arch9wavefront6targetE1EEEvSK_.numbered_sgpr, 0
	.set _ZN7rocprim17ROCPRIM_400000_NS6detail17trampoline_kernelINS0_14default_configENS1_35radix_sort_onesweep_config_selectorIbiEEZZNS1_29radix_sort_onesweep_iterationIS3_Lb0EN6thrust23THRUST_200600_302600_NS6detail15normal_iteratorINS8_10device_ptrIbEEEESD_NSA_INSB_IiEEEESF_jNS0_19identity_decomposerENS1_16block_id_wrapperIjLb0EEEEE10hipError_tT1_PNSt15iterator_traitsISK_E10value_typeET2_T3_PNSL_ISQ_E10value_typeET4_T5_PSV_SW_PNS1_23onesweep_lookback_stateEbbT6_jjT7_P12ihipStream_tbENKUlT_T0_SK_SP_E_clIPbSD_PiSF_EEDaS13_S14_SK_SP_EUlS13_E_NS1_11comp_targetILNS1_3genE3ELNS1_11target_archE908ELNS1_3gpuE7ELNS1_3repE0EEENS1_47radix_sort_onesweep_sort_config_static_selectorELNS0_4arch9wavefront6targetE1EEEvSK_.num_named_barrier, 0
	.set _ZN7rocprim17ROCPRIM_400000_NS6detail17trampoline_kernelINS0_14default_configENS1_35radix_sort_onesweep_config_selectorIbiEEZZNS1_29radix_sort_onesweep_iterationIS3_Lb0EN6thrust23THRUST_200600_302600_NS6detail15normal_iteratorINS8_10device_ptrIbEEEESD_NSA_INSB_IiEEEESF_jNS0_19identity_decomposerENS1_16block_id_wrapperIjLb0EEEEE10hipError_tT1_PNSt15iterator_traitsISK_E10value_typeET2_T3_PNSL_ISQ_E10value_typeET4_T5_PSV_SW_PNS1_23onesweep_lookback_stateEbbT6_jjT7_P12ihipStream_tbENKUlT_T0_SK_SP_E_clIPbSD_PiSF_EEDaS13_S14_SK_SP_EUlS13_E_NS1_11comp_targetILNS1_3genE3ELNS1_11target_archE908ELNS1_3gpuE7ELNS1_3repE0EEENS1_47radix_sort_onesweep_sort_config_static_selectorELNS0_4arch9wavefront6targetE1EEEvSK_.private_seg_size, 0
	.set _ZN7rocprim17ROCPRIM_400000_NS6detail17trampoline_kernelINS0_14default_configENS1_35radix_sort_onesweep_config_selectorIbiEEZZNS1_29radix_sort_onesweep_iterationIS3_Lb0EN6thrust23THRUST_200600_302600_NS6detail15normal_iteratorINS8_10device_ptrIbEEEESD_NSA_INSB_IiEEEESF_jNS0_19identity_decomposerENS1_16block_id_wrapperIjLb0EEEEE10hipError_tT1_PNSt15iterator_traitsISK_E10value_typeET2_T3_PNSL_ISQ_E10value_typeET4_T5_PSV_SW_PNS1_23onesweep_lookback_stateEbbT6_jjT7_P12ihipStream_tbENKUlT_T0_SK_SP_E_clIPbSD_PiSF_EEDaS13_S14_SK_SP_EUlS13_E_NS1_11comp_targetILNS1_3genE3ELNS1_11target_archE908ELNS1_3gpuE7ELNS1_3repE0EEENS1_47radix_sort_onesweep_sort_config_static_selectorELNS0_4arch9wavefront6targetE1EEEvSK_.uses_vcc, 0
	.set _ZN7rocprim17ROCPRIM_400000_NS6detail17trampoline_kernelINS0_14default_configENS1_35radix_sort_onesweep_config_selectorIbiEEZZNS1_29radix_sort_onesweep_iterationIS3_Lb0EN6thrust23THRUST_200600_302600_NS6detail15normal_iteratorINS8_10device_ptrIbEEEESD_NSA_INSB_IiEEEESF_jNS0_19identity_decomposerENS1_16block_id_wrapperIjLb0EEEEE10hipError_tT1_PNSt15iterator_traitsISK_E10value_typeET2_T3_PNSL_ISQ_E10value_typeET4_T5_PSV_SW_PNS1_23onesweep_lookback_stateEbbT6_jjT7_P12ihipStream_tbENKUlT_T0_SK_SP_E_clIPbSD_PiSF_EEDaS13_S14_SK_SP_EUlS13_E_NS1_11comp_targetILNS1_3genE3ELNS1_11target_archE908ELNS1_3gpuE7ELNS1_3repE0EEENS1_47radix_sort_onesweep_sort_config_static_selectorELNS0_4arch9wavefront6targetE1EEEvSK_.uses_flat_scratch, 0
	.set _ZN7rocprim17ROCPRIM_400000_NS6detail17trampoline_kernelINS0_14default_configENS1_35radix_sort_onesweep_config_selectorIbiEEZZNS1_29radix_sort_onesweep_iterationIS3_Lb0EN6thrust23THRUST_200600_302600_NS6detail15normal_iteratorINS8_10device_ptrIbEEEESD_NSA_INSB_IiEEEESF_jNS0_19identity_decomposerENS1_16block_id_wrapperIjLb0EEEEE10hipError_tT1_PNSt15iterator_traitsISK_E10value_typeET2_T3_PNSL_ISQ_E10value_typeET4_T5_PSV_SW_PNS1_23onesweep_lookback_stateEbbT6_jjT7_P12ihipStream_tbENKUlT_T0_SK_SP_E_clIPbSD_PiSF_EEDaS13_S14_SK_SP_EUlS13_E_NS1_11comp_targetILNS1_3genE3ELNS1_11target_archE908ELNS1_3gpuE7ELNS1_3repE0EEENS1_47radix_sort_onesweep_sort_config_static_selectorELNS0_4arch9wavefront6targetE1EEEvSK_.has_dyn_sized_stack, 0
	.set _ZN7rocprim17ROCPRIM_400000_NS6detail17trampoline_kernelINS0_14default_configENS1_35radix_sort_onesweep_config_selectorIbiEEZZNS1_29radix_sort_onesweep_iterationIS3_Lb0EN6thrust23THRUST_200600_302600_NS6detail15normal_iteratorINS8_10device_ptrIbEEEESD_NSA_INSB_IiEEEESF_jNS0_19identity_decomposerENS1_16block_id_wrapperIjLb0EEEEE10hipError_tT1_PNSt15iterator_traitsISK_E10value_typeET2_T3_PNSL_ISQ_E10value_typeET4_T5_PSV_SW_PNS1_23onesweep_lookback_stateEbbT6_jjT7_P12ihipStream_tbENKUlT_T0_SK_SP_E_clIPbSD_PiSF_EEDaS13_S14_SK_SP_EUlS13_E_NS1_11comp_targetILNS1_3genE3ELNS1_11target_archE908ELNS1_3gpuE7ELNS1_3repE0EEENS1_47radix_sort_onesweep_sort_config_static_selectorELNS0_4arch9wavefront6targetE1EEEvSK_.has_recursion, 0
	.set _ZN7rocprim17ROCPRIM_400000_NS6detail17trampoline_kernelINS0_14default_configENS1_35radix_sort_onesweep_config_selectorIbiEEZZNS1_29radix_sort_onesweep_iterationIS3_Lb0EN6thrust23THRUST_200600_302600_NS6detail15normal_iteratorINS8_10device_ptrIbEEEESD_NSA_INSB_IiEEEESF_jNS0_19identity_decomposerENS1_16block_id_wrapperIjLb0EEEEE10hipError_tT1_PNSt15iterator_traitsISK_E10value_typeET2_T3_PNSL_ISQ_E10value_typeET4_T5_PSV_SW_PNS1_23onesweep_lookback_stateEbbT6_jjT7_P12ihipStream_tbENKUlT_T0_SK_SP_E_clIPbSD_PiSF_EEDaS13_S14_SK_SP_EUlS13_E_NS1_11comp_targetILNS1_3genE3ELNS1_11target_archE908ELNS1_3gpuE7ELNS1_3repE0EEENS1_47radix_sort_onesweep_sort_config_static_selectorELNS0_4arch9wavefront6targetE1EEEvSK_.has_indirect_call, 0
	.section	.AMDGPU.csdata,"",@progbits
; Kernel info:
; codeLenInByte = 0
; TotalNumSgprs: 6
; NumVgprs: 0
; NumAgprs: 0
; TotalNumVgprs: 0
; ScratchSize: 0
; MemoryBound: 0
; FloatMode: 240
; IeeeMode: 1
; LDSByteSize: 0 bytes/workgroup (compile time only)
; SGPRBlocks: 0
; VGPRBlocks: 0
; NumSGPRsForWavesPerEU: 6
; NumVGPRsForWavesPerEU: 1
; AccumOffset: 4
; Occupancy: 8
; WaveLimiterHint : 0
; COMPUTE_PGM_RSRC2:SCRATCH_EN: 0
; COMPUTE_PGM_RSRC2:USER_SGPR: 2
; COMPUTE_PGM_RSRC2:TRAP_HANDLER: 0
; COMPUTE_PGM_RSRC2:TGID_X_EN: 1
; COMPUTE_PGM_RSRC2:TGID_Y_EN: 0
; COMPUTE_PGM_RSRC2:TGID_Z_EN: 0
; COMPUTE_PGM_RSRC2:TIDIG_COMP_CNT: 0
; COMPUTE_PGM_RSRC3_GFX90A:ACCUM_OFFSET: 0
; COMPUTE_PGM_RSRC3_GFX90A:TG_SPLIT: 0
	.section	.text._ZN7rocprim17ROCPRIM_400000_NS6detail17trampoline_kernelINS0_14default_configENS1_35radix_sort_onesweep_config_selectorIbiEEZZNS1_29radix_sort_onesweep_iterationIS3_Lb0EN6thrust23THRUST_200600_302600_NS6detail15normal_iteratorINS8_10device_ptrIbEEEESD_NSA_INSB_IiEEEESF_jNS0_19identity_decomposerENS1_16block_id_wrapperIjLb0EEEEE10hipError_tT1_PNSt15iterator_traitsISK_E10value_typeET2_T3_PNSL_ISQ_E10value_typeET4_T5_PSV_SW_PNS1_23onesweep_lookback_stateEbbT6_jjT7_P12ihipStream_tbENKUlT_T0_SK_SP_E_clIPbSD_PiSF_EEDaS13_S14_SK_SP_EUlS13_E_NS1_11comp_targetILNS1_3genE10ELNS1_11target_archE1201ELNS1_3gpuE5ELNS1_3repE0EEENS1_47radix_sort_onesweep_sort_config_static_selectorELNS0_4arch9wavefront6targetE1EEEvSK_,"axG",@progbits,_ZN7rocprim17ROCPRIM_400000_NS6detail17trampoline_kernelINS0_14default_configENS1_35radix_sort_onesweep_config_selectorIbiEEZZNS1_29radix_sort_onesweep_iterationIS3_Lb0EN6thrust23THRUST_200600_302600_NS6detail15normal_iteratorINS8_10device_ptrIbEEEESD_NSA_INSB_IiEEEESF_jNS0_19identity_decomposerENS1_16block_id_wrapperIjLb0EEEEE10hipError_tT1_PNSt15iterator_traitsISK_E10value_typeET2_T3_PNSL_ISQ_E10value_typeET4_T5_PSV_SW_PNS1_23onesweep_lookback_stateEbbT6_jjT7_P12ihipStream_tbENKUlT_T0_SK_SP_E_clIPbSD_PiSF_EEDaS13_S14_SK_SP_EUlS13_E_NS1_11comp_targetILNS1_3genE10ELNS1_11target_archE1201ELNS1_3gpuE5ELNS1_3repE0EEENS1_47radix_sort_onesweep_sort_config_static_selectorELNS0_4arch9wavefront6targetE1EEEvSK_,comdat
	.protected	_ZN7rocprim17ROCPRIM_400000_NS6detail17trampoline_kernelINS0_14default_configENS1_35radix_sort_onesweep_config_selectorIbiEEZZNS1_29radix_sort_onesweep_iterationIS3_Lb0EN6thrust23THRUST_200600_302600_NS6detail15normal_iteratorINS8_10device_ptrIbEEEESD_NSA_INSB_IiEEEESF_jNS0_19identity_decomposerENS1_16block_id_wrapperIjLb0EEEEE10hipError_tT1_PNSt15iterator_traitsISK_E10value_typeET2_T3_PNSL_ISQ_E10value_typeET4_T5_PSV_SW_PNS1_23onesweep_lookback_stateEbbT6_jjT7_P12ihipStream_tbENKUlT_T0_SK_SP_E_clIPbSD_PiSF_EEDaS13_S14_SK_SP_EUlS13_E_NS1_11comp_targetILNS1_3genE10ELNS1_11target_archE1201ELNS1_3gpuE5ELNS1_3repE0EEENS1_47radix_sort_onesweep_sort_config_static_selectorELNS0_4arch9wavefront6targetE1EEEvSK_ ; -- Begin function _ZN7rocprim17ROCPRIM_400000_NS6detail17trampoline_kernelINS0_14default_configENS1_35radix_sort_onesweep_config_selectorIbiEEZZNS1_29radix_sort_onesweep_iterationIS3_Lb0EN6thrust23THRUST_200600_302600_NS6detail15normal_iteratorINS8_10device_ptrIbEEEESD_NSA_INSB_IiEEEESF_jNS0_19identity_decomposerENS1_16block_id_wrapperIjLb0EEEEE10hipError_tT1_PNSt15iterator_traitsISK_E10value_typeET2_T3_PNSL_ISQ_E10value_typeET4_T5_PSV_SW_PNS1_23onesweep_lookback_stateEbbT6_jjT7_P12ihipStream_tbENKUlT_T0_SK_SP_E_clIPbSD_PiSF_EEDaS13_S14_SK_SP_EUlS13_E_NS1_11comp_targetILNS1_3genE10ELNS1_11target_archE1201ELNS1_3gpuE5ELNS1_3repE0EEENS1_47radix_sort_onesweep_sort_config_static_selectorELNS0_4arch9wavefront6targetE1EEEvSK_
	.globl	_ZN7rocprim17ROCPRIM_400000_NS6detail17trampoline_kernelINS0_14default_configENS1_35radix_sort_onesweep_config_selectorIbiEEZZNS1_29radix_sort_onesweep_iterationIS3_Lb0EN6thrust23THRUST_200600_302600_NS6detail15normal_iteratorINS8_10device_ptrIbEEEESD_NSA_INSB_IiEEEESF_jNS0_19identity_decomposerENS1_16block_id_wrapperIjLb0EEEEE10hipError_tT1_PNSt15iterator_traitsISK_E10value_typeET2_T3_PNSL_ISQ_E10value_typeET4_T5_PSV_SW_PNS1_23onesweep_lookback_stateEbbT6_jjT7_P12ihipStream_tbENKUlT_T0_SK_SP_E_clIPbSD_PiSF_EEDaS13_S14_SK_SP_EUlS13_E_NS1_11comp_targetILNS1_3genE10ELNS1_11target_archE1201ELNS1_3gpuE5ELNS1_3repE0EEENS1_47radix_sort_onesweep_sort_config_static_selectorELNS0_4arch9wavefront6targetE1EEEvSK_
	.p2align	8
	.type	_ZN7rocprim17ROCPRIM_400000_NS6detail17trampoline_kernelINS0_14default_configENS1_35radix_sort_onesweep_config_selectorIbiEEZZNS1_29radix_sort_onesweep_iterationIS3_Lb0EN6thrust23THRUST_200600_302600_NS6detail15normal_iteratorINS8_10device_ptrIbEEEESD_NSA_INSB_IiEEEESF_jNS0_19identity_decomposerENS1_16block_id_wrapperIjLb0EEEEE10hipError_tT1_PNSt15iterator_traitsISK_E10value_typeET2_T3_PNSL_ISQ_E10value_typeET4_T5_PSV_SW_PNS1_23onesweep_lookback_stateEbbT6_jjT7_P12ihipStream_tbENKUlT_T0_SK_SP_E_clIPbSD_PiSF_EEDaS13_S14_SK_SP_EUlS13_E_NS1_11comp_targetILNS1_3genE10ELNS1_11target_archE1201ELNS1_3gpuE5ELNS1_3repE0EEENS1_47radix_sort_onesweep_sort_config_static_selectorELNS0_4arch9wavefront6targetE1EEEvSK_,@function
_ZN7rocprim17ROCPRIM_400000_NS6detail17trampoline_kernelINS0_14default_configENS1_35radix_sort_onesweep_config_selectorIbiEEZZNS1_29radix_sort_onesweep_iterationIS3_Lb0EN6thrust23THRUST_200600_302600_NS6detail15normal_iteratorINS8_10device_ptrIbEEEESD_NSA_INSB_IiEEEESF_jNS0_19identity_decomposerENS1_16block_id_wrapperIjLb0EEEEE10hipError_tT1_PNSt15iterator_traitsISK_E10value_typeET2_T3_PNSL_ISQ_E10value_typeET4_T5_PSV_SW_PNS1_23onesweep_lookback_stateEbbT6_jjT7_P12ihipStream_tbENKUlT_T0_SK_SP_E_clIPbSD_PiSF_EEDaS13_S14_SK_SP_EUlS13_E_NS1_11comp_targetILNS1_3genE10ELNS1_11target_archE1201ELNS1_3gpuE5ELNS1_3repE0EEENS1_47radix_sort_onesweep_sort_config_static_selectorELNS0_4arch9wavefront6targetE1EEEvSK_: ; @_ZN7rocprim17ROCPRIM_400000_NS6detail17trampoline_kernelINS0_14default_configENS1_35radix_sort_onesweep_config_selectorIbiEEZZNS1_29radix_sort_onesweep_iterationIS3_Lb0EN6thrust23THRUST_200600_302600_NS6detail15normal_iteratorINS8_10device_ptrIbEEEESD_NSA_INSB_IiEEEESF_jNS0_19identity_decomposerENS1_16block_id_wrapperIjLb0EEEEE10hipError_tT1_PNSt15iterator_traitsISK_E10value_typeET2_T3_PNSL_ISQ_E10value_typeET4_T5_PSV_SW_PNS1_23onesweep_lookback_stateEbbT6_jjT7_P12ihipStream_tbENKUlT_T0_SK_SP_E_clIPbSD_PiSF_EEDaS13_S14_SK_SP_EUlS13_E_NS1_11comp_targetILNS1_3genE10ELNS1_11target_archE1201ELNS1_3gpuE5ELNS1_3repE0EEENS1_47radix_sort_onesweep_sort_config_static_selectorELNS0_4arch9wavefront6targetE1EEEvSK_
; %bb.0:
	.section	.rodata,"a",@progbits
	.p2align	6, 0x0
	.amdhsa_kernel _ZN7rocprim17ROCPRIM_400000_NS6detail17trampoline_kernelINS0_14default_configENS1_35radix_sort_onesweep_config_selectorIbiEEZZNS1_29radix_sort_onesweep_iterationIS3_Lb0EN6thrust23THRUST_200600_302600_NS6detail15normal_iteratorINS8_10device_ptrIbEEEESD_NSA_INSB_IiEEEESF_jNS0_19identity_decomposerENS1_16block_id_wrapperIjLb0EEEEE10hipError_tT1_PNSt15iterator_traitsISK_E10value_typeET2_T3_PNSL_ISQ_E10value_typeET4_T5_PSV_SW_PNS1_23onesweep_lookback_stateEbbT6_jjT7_P12ihipStream_tbENKUlT_T0_SK_SP_E_clIPbSD_PiSF_EEDaS13_S14_SK_SP_EUlS13_E_NS1_11comp_targetILNS1_3genE10ELNS1_11target_archE1201ELNS1_3gpuE5ELNS1_3repE0EEENS1_47radix_sort_onesweep_sort_config_static_selectorELNS0_4arch9wavefront6targetE1EEEvSK_
		.amdhsa_group_segment_fixed_size 0
		.amdhsa_private_segment_fixed_size 0
		.amdhsa_kernarg_size 88
		.amdhsa_user_sgpr_count 2
		.amdhsa_user_sgpr_dispatch_ptr 0
		.amdhsa_user_sgpr_queue_ptr 0
		.amdhsa_user_sgpr_kernarg_segment_ptr 1
		.amdhsa_user_sgpr_dispatch_id 0
		.amdhsa_user_sgpr_kernarg_preload_length 0
		.amdhsa_user_sgpr_kernarg_preload_offset 0
		.amdhsa_user_sgpr_private_segment_size 0
		.amdhsa_uses_dynamic_stack 0
		.amdhsa_enable_private_segment 0
		.amdhsa_system_sgpr_workgroup_id_x 1
		.amdhsa_system_sgpr_workgroup_id_y 0
		.amdhsa_system_sgpr_workgroup_id_z 0
		.amdhsa_system_sgpr_workgroup_info 0
		.amdhsa_system_vgpr_workitem_id 0
		.amdhsa_next_free_vgpr 1
		.amdhsa_next_free_sgpr 0
		.amdhsa_accum_offset 4
		.amdhsa_reserve_vcc 0
		.amdhsa_float_round_mode_32 0
		.amdhsa_float_round_mode_16_64 0
		.amdhsa_float_denorm_mode_32 3
		.amdhsa_float_denorm_mode_16_64 3
		.amdhsa_dx10_clamp 1
		.amdhsa_ieee_mode 1
		.amdhsa_fp16_overflow 0
		.amdhsa_tg_split 0
		.amdhsa_exception_fp_ieee_invalid_op 0
		.amdhsa_exception_fp_denorm_src 0
		.amdhsa_exception_fp_ieee_div_zero 0
		.amdhsa_exception_fp_ieee_overflow 0
		.amdhsa_exception_fp_ieee_underflow 0
		.amdhsa_exception_fp_ieee_inexact 0
		.amdhsa_exception_int_div_zero 0
	.end_amdhsa_kernel
	.section	.text._ZN7rocprim17ROCPRIM_400000_NS6detail17trampoline_kernelINS0_14default_configENS1_35radix_sort_onesweep_config_selectorIbiEEZZNS1_29radix_sort_onesweep_iterationIS3_Lb0EN6thrust23THRUST_200600_302600_NS6detail15normal_iteratorINS8_10device_ptrIbEEEESD_NSA_INSB_IiEEEESF_jNS0_19identity_decomposerENS1_16block_id_wrapperIjLb0EEEEE10hipError_tT1_PNSt15iterator_traitsISK_E10value_typeET2_T3_PNSL_ISQ_E10value_typeET4_T5_PSV_SW_PNS1_23onesweep_lookback_stateEbbT6_jjT7_P12ihipStream_tbENKUlT_T0_SK_SP_E_clIPbSD_PiSF_EEDaS13_S14_SK_SP_EUlS13_E_NS1_11comp_targetILNS1_3genE10ELNS1_11target_archE1201ELNS1_3gpuE5ELNS1_3repE0EEENS1_47radix_sort_onesweep_sort_config_static_selectorELNS0_4arch9wavefront6targetE1EEEvSK_,"axG",@progbits,_ZN7rocprim17ROCPRIM_400000_NS6detail17trampoline_kernelINS0_14default_configENS1_35radix_sort_onesweep_config_selectorIbiEEZZNS1_29radix_sort_onesweep_iterationIS3_Lb0EN6thrust23THRUST_200600_302600_NS6detail15normal_iteratorINS8_10device_ptrIbEEEESD_NSA_INSB_IiEEEESF_jNS0_19identity_decomposerENS1_16block_id_wrapperIjLb0EEEEE10hipError_tT1_PNSt15iterator_traitsISK_E10value_typeET2_T3_PNSL_ISQ_E10value_typeET4_T5_PSV_SW_PNS1_23onesweep_lookback_stateEbbT6_jjT7_P12ihipStream_tbENKUlT_T0_SK_SP_E_clIPbSD_PiSF_EEDaS13_S14_SK_SP_EUlS13_E_NS1_11comp_targetILNS1_3genE10ELNS1_11target_archE1201ELNS1_3gpuE5ELNS1_3repE0EEENS1_47radix_sort_onesweep_sort_config_static_selectorELNS0_4arch9wavefront6targetE1EEEvSK_,comdat
.Lfunc_end2092:
	.size	_ZN7rocprim17ROCPRIM_400000_NS6detail17trampoline_kernelINS0_14default_configENS1_35radix_sort_onesweep_config_selectorIbiEEZZNS1_29radix_sort_onesweep_iterationIS3_Lb0EN6thrust23THRUST_200600_302600_NS6detail15normal_iteratorINS8_10device_ptrIbEEEESD_NSA_INSB_IiEEEESF_jNS0_19identity_decomposerENS1_16block_id_wrapperIjLb0EEEEE10hipError_tT1_PNSt15iterator_traitsISK_E10value_typeET2_T3_PNSL_ISQ_E10value_typeET4_T5_PSV_SW_PNS1_23onesweep_lookback_stateEbbT6_jjT7_P12ihipStream_tbENKUlT_T0_SK_SP_E_clIPbSD_PiSF_EEDaS13_S14_SK_SP_EUlS13_E_NS1_11comp_targetILNS1_3genE10ELNS1_11target_archE1201ELNS1_3gpuE5ELNS1_3repE0EEENS1_47radix_sort_onesweep_sort_config_static_selectorELNS0_4arch9wavefront6targetE1EEEvSK_, .Lfunc_end2092-_ZN7rocprim17ROCPRIM_400000_NS6detail17trampoline_kernelINS0_14default_configENS1_35radix_sort_onesweep_config_selectorIbiEEZZNS1_29radix_sort_onesweep_iterationIS3_Lb0EN6thrust23THRUST_200600_302600_NS6detail15normal_iteratorINS8_10device_ptrIbEEEESD_NSA_INSB_IiEEEESF_jNS0_19identity_decomposerENS1_16block_id_wrapperIjLb0EEEEE10hipError_tT1_PNSt15iterator_traitsISK_E10value_typeET2_T3_PNSL_ISQ_E10value_typeET4_T5_PSV_SW_PNS1_23onesweep_lookback_stateEbbT6_jjT7_P12ihipStream_tbENKUlT_T0_SK_SP_E_clIPbSD_PiSF_EEDaS13_S14_SK_SP_EUlS13_E_NS1_11comp_targetILNS1_3genE10ELNS1_11target_archE1201ELNS1_3gpuE5ELNS1_3repE0EEENS1_47radix_sort_onesweep_sort_config_static_selectorELNS0_4arch9wavefront6targetE1EEEvSK_
                                        ; -- End function
	.set _ZN7rocprim17ROCPRIM_400000_NS6detail17trampoline_kernelINS0_14default_configENS1_35radix_sort_onesweep_config_selectorIbiEEZZNS1_29radix_sort_onesweep_iterationIS3_Lb0EN6thrust23THRUST_200600_302600_NS6detail15normal_iteratorINS8_10device_ptrIbEEEESD_NSA_INSB_IiEEEESF_jNS0_19identity_decomposerENS1_16block_id_wrapperIjLb0EEEEE10hipError_tT1_PNSt15iterator_traitsISK_E10value_typeET2_T3_PNSL_ISQ_E10value_typeET4_T5_PSV_SW_PNS1_23onesweep_lookback_stateEbbT6_jjT7_P12ihipStream_tbENKUlT_T0_SK_SP_E_clIPbSD_PiSF_EEDaS13_S14_SK_SP_EUlS13_E_NS1_11comp_targetILNS1_3genE10ELNS1_11target_archE1201ELNS1_3gpuE5ELNS1_3repE0EEENS1_47radix_sort_onesweep_sort_config_static_selectorELNS0_4arch9wavefront6targetE1EEEvSK_.num_vgpr, 0
	.set _ZN7rocprim17ROCPRIM_400000_NS6detail17trampoline_kernelINS0_14default_configENS1_35radix_sort_onesweep_config_selectorIbiEEZZNS1_29radix_sort_onesweep_iterationIS3_Lb0EN6thrust23THRUST_200600_302600_NS6detail15normal_iteratorINS8_10device_ptrIbEEEESD_NSA_INSB_IiEEEESF_jNS0_19identity_decomposerENS1_16block_id_wrapperIjLb0EEEEE10hipError_tT1_PNSt15iterator_traitsISK_E10value_typeET2_T3_PNSL_ISQ_E10value_typeET4_T5_PSV_SW_PNS1_23onesweep_lookback_stateEbbT6_jjT7_P12ihipStream_tbENKUlT_T0_SK_SP_E_clIPbSD_PiSF_EEDaS13_S14_SK_SP_EUlS13_E_NS1_11comp_targetILNS1_3genE10ELNS1_11target_archE1201ELNS1_3gpuE5ELNS1_3repE0EEENS1_47radix_sort_onesweep_sort_config_static_selectorELNS0_4arch9wavefront6targetE1EEEvSK_.num_agpr, 0
	.set _ZN7rocprim17ROCPRIM_400000_NS6detail17trampoline_kernelINS0_14default_configENS1_35radix_sort_onesweep_config_selectorIbiEEZZNS1_29radix_sort_onesweep_iterationIS3_Lb0EN6thrust23THRUST_200600_302600_NS6detail15normal_iteratorINS8_10device_ptrIbEEEESD_NSA_INSB_IiEEEESF_jNS0_19identity_decomposerENS1_16block_id_wrapperIjLb0EEEEE10hipError_tT1_PNSt15iterator_traitsISK_E10value_typeET2_T3_PNSL_ISQ_E10value_typeET4_T5_PSV_SW_PNS1_23onesweep_lookback_stateEbbT6_jjT7_P12ihipStream_tbENKUlT_T0_SK_SP_E_clIPbSD_PiSF_EEDaS13_S14_SK_SP_EUlS13_E_NS1_11comp_targetILNS1_3genE10ELNS1_11target_archE1201ELNS1_3gpuE5ELNS1_3repE0EEENS1_47radix_sort_onesweep_sort_config_static_selectorELNS0_4arch9wavefront6targetE1EEEvSK_.numbered_sgpr, 0
	.set _ZN7rocprim17ROCPRIM_400000_NS6detail17trampoline_kernelINS0_14default_configENS1_35radix_sort_onesweep_config_selectorIbiEEZZNS1_29radix_sort_onesweep_iterationIS3_Lb0EN6thrust23THRUST_200600_302600_NS6detail15normal_iteratorINS8_10device_ptrIbEEEESD_NSA_INSB_IiEEEESF_jNS0_19identity_decomposerENS1_16block_id_wrapperIjLb0EEEEE10hipError_tT1_PNSt15iterator_traitsISK_E10value_typeET2_T3_PNSL_ISQ_E10value_typeET4_T5_PSV_SW_PNS1_23onesweep_lookback_stateEbbT6_jjT7_P12ihipStream_tbENKUlT_T0_SK_SP_E_clIPbSD_PiSF_EEDaS13_S14_SK_SP_EUlS13_E_NS1_11comp_targetILNS1_3genE10ELNS1_11target_archE1201ELNS1_3gpuE5ELNS1_3repE0EEENS1_47radix_sort_onesweep_sort_config_static_selectorELNS0_4arch9wavefront6targetE1EEEvSK_.num_named_barrier, 0
	.set _ZN7rocprim17ROCPRIM_400000_NS6detail17trampoline_kernelINS0_14default_configENS1_35radix_sort_onesweep_config_selectorIbiEEZZNS1_29radix_sort_onesweep_iterationIS3_Lb0EN6thrust23THRUST_200600_302600_NS6detail15normal_iteratorINS8_10device_ptrIbEEEESD_NSA_INSB_IiEEEESF_jNS0_19identity_decomposerENS1_16block_id_wrapperIjLb0EEEEE10hipError_tT1_PNSt15iterator_traitsISK_E10value_typeET2_T3_PNSL_ISQ_E10value_typeET4_T5_PSV_SW_PNS1_23onesweep_lookback_stateEbbT6_jjT7_P12ihipStream_tbENKUlT_T0_SK_SP_E_clIPbSD_PiSF_EEDaS13_S14_SK_SP_EUlS13_E_NS1_11comp_targetILNS1_3genE10ELNS1_11target_archE1201ELNS1_3gpuE5ELNS1_3repE0EEENS1_47radix_sort_onesweep_sort_config_static_selectorELNS0_4arch9wavefront6targetE1EEEvSK_.private_seg_size, 0
	.set _ZN7rocprim17ROCPRIM_400000_NS6detail17trampoline_kernelINS0_14default_configENS1_35radix_sort_onesweep_config_selectorIbiEEZZNS1_29radix_sort_onesweep_iterationIS3_Lb0EN6thrust23THRUST_200600_302600_NS6detail15normal_iteratorINS8_10device_ptrIbEEEESD_NSA_INSB_IiEEEESF_jNS0_19identity_decomposerENS1_16block_id_wrapperIjLb0EEEEE10hipError_tT1_PNSt15iterator_traitsISK_E10value_typeET2_T3_PNSL_ISQ_E10value_typeET4_T5_PSV_SW_PNS1_23onesweep_lookback_stateEbbT6_jjT7_P12ihipStream_tbENKUlT_T0_SK_SP_E_clIPbSD_PiSF_EEDaS13_S14_SK_SP_EUlS13_E_NS1_11comp_targetILNS1_3genE10ELNS1_11target_archE1201ELNS1_3gpuE5ELNS1_3repE0EEENS1_47radix_sort_onesweep_sort_config_static_selectorELNS0_4arch9wavefront6targetE1EEEvSK_.uses_vcc, 0
	.set _ZN7rocprim17ROCPRIM_400000_NS6detail17trampoline_kernelINS0_14default_configENS1_35radix_sort_onesweep_config_selectorIbiEEZZNS1_29radix_sort_onesweep_iterationIS3_Lb0EN6thrust23THRUST_200600_302600_NS6detail15normal_iteratorINS8_10device_ptrIbEEEESD_NSA_INSB_IiEEEESF_jNS0_19identity_decomposerENS1_16block_id_wrapperIjLb0EEEEE10hipError_tT1_PNSt15iterator_traitsISK_E10value_typeET2_T3_PNSL_ISQ_E10value_typeET4_T5_PSV_SW_PNS1_23onesweep_lookback_stateEbbT6_jjT7_P12ihipStream_tbENKUlT_T0_SK_SP_E_clIPbSD_PiSF_EEDaS13_S14_SK_SP_EUlS13_E_NS1_11comp_targetILNS1_3genE10ELNS1_11target_archE1201ELNS1_3gpuE5ELNS1_3repE0EEENS1_47radix_sort_onesweep_sort_config_static_selectorELNS0_4arch9wavefront6targetE1EEEvSK_.uses_flat_scratch, 0
	.set _ZN7rocprim17ROCPRIM_400000_NS6detail17trampoline_kernelINS0_14default_configENS1_35radix_sort_onesweep_config_selectorIbiEEZZNS1_29radix_sort_onesweep_iterationIS3_Lb0EN6thrust23THRUST_200600_302600_NS6detail15normal_iteratorINS8_10device_ptrIbEEEESD_NSA_INSB_IiEEEESF_jNS0_19identity_decomposerENS1_16block_id_wrapperIjLb0EEEEE10hipError_tT1_PNSt15iterator_traitsISK_E10value_typeET2_T3_PNSL_ISQ_E10value_typeET4_T5_PSV_SW_PNS1_23onesweep_lookback_stateEbbT6_jjT7_P12ihipStream_tbENKUlT_T0_SK_SP_E_clIPbSD_PiSF_EEDaS13_S14_SK_SP_EUlS13_E_NS1_11comp_targetILNS1_3genE10ELNS1_11target_archE1201ELNS1_3gpuE5ELNS1_3repE0EEENS1_47radix_sort_onesweep_sort_config_static_selectorELNS0_4arch9wavefront6targetE1EEEvSK_.has_dyn_sized_stack, 0
	.set _ZN7rocprim17ROCPRIM_400000_NS6detail17trampoline_kernelINS0_14default_configENS1_35radix_sort_onesweep_config_selectorIbiEEZZNS1_29radix_sort_onesweep_iterationIS3_Lb0EN6thrust23THRUST_200600_302600_NS6detail15normal_iteratorINS8_10device_ptrIbEEEESD_NSA_INSB_IiEEEESF_jNS0_19identity_decomposerENS1_16block_id_wrapperIjLb0EEEEE10hipError_tT1_PNSt15iterator_traitsISK_E10value_typeET2_T3_PNSL_ISQ_E10value_typeET4_T5_PSV_SW_PNS1_23onesweep_lookback_stateEbbT6_jjT7_P12ihipStream_tbENKUlT_T0_SK_SP_E_clIPbSD_PiSF_EEDaS13_S14_SK_SP_EUlS13_E_NS1_11comp_targetILNS1_3genE10ELNS1_11target_archE1201ELNS1_3gpuE5ELNS1_3repE0EEENS1_47radix_sort_onesweep_sort_config_static_selectorELNS0_4arch9wavefront6targetE1EEEvSK_.has_recursion, 0
	.set _ZN7rocprim17ROCPRIM_400000_NS6detail17trampoline_kernelINS0_14default_configENS1_35radix_sort_onesweep_config_selectorIbiEEZZNS1_29radix_sort_onesweep_iterationIS3_Lb0EN6thrust23THRUST_200600_302600_NS6detail15normal_iteratorINS8_10device_ptrIbEEEESD_NSA_INSB_IiEEEESF_jNS0_19identity_decomposerENS1_16block_id_wrapperIjLb0EEEEE10hipError_tT1_PNSt15iterator_traitsISK_E10value_typeET2_T3_PNSL_ISQ_E10value_typeET4_T5_PSV_SW_PNS1_23onesweep_lookback_stateEbbT6_jjT7_P12ihipStream_tbENKUlT_T0_SK_SP_E_clIPbSD_PiSF_EEDaS13_S14_SK_SP_EUlS13_E_NS1_11comp_targetILNS1_3genE10ELNS1_11target_archE1201ELNS1_3gpuE5ELNS1_3repE0EEENS1_47radix_sort_onesweep_sort_config_static_selectorELNS0_4arch9wavefront6targetE1EEEvSK_.has_indirect_call, 0
	.section	.AMDGPU.csdata,"",@progbits
; Kernel info:
; codeLenInByte = 0
; TotalNumSgprs: 6
; NumVgprs: 0
; NumAgprs: 0
; TotalNumVgprs: 0
; ScratchSize: 0
; MemoryBound: 0
; FloatMode: 240
; IeeeMode: 1
; LDSByteSize: 0 bytes/workgroup (compile time only)
; SGPRBlocks: 0
; VGPRBlocks: 0
; NumSGPRsForWavesPerEU: 6
; NumVGPRsForWavesPerEU: 1
; AccumOffset: 4
; Occupancy: 8
; WaveLimiterHint : 0
; COMPUTE_PGM_RSRC2:SCRATCH_EN: 0
; COMPUTE_PGM_RSRC2:USER_SGPR: 2
; COMPUTE_PGM_RSRC2:TRAP_HANDLER: 0
; COMPUTE_PGM_RSRC2:TGID_X_EN: 1
; COMPUTE_PGM_RSRC2:TGID_Y_EN: 0
; COMPUTE_PGM_RSRC2:TGID_Z_EN: 0
; COMPUTE_PGM_RSRC2:TIDIG_COMP_CNT: 0
; COMPUTE_PGM_RSRC3_GFX90A:ACCUM_OFFSET: 0
; COMPUTE_PGM_RSRC3_GFX90A:TG_SPLIT: 0
	.section	.text._ZN7rocprim17ROCPRIM_400000_NS6detail17trampoline_kernelINS0_14default_configENS1_35radix_sort_onesweep_config_selectorIbiEEZZNS1_29radix_sort_onesweep_iterationIS3_Lb0EN6thrust23THRUST_200600_302600_NS6detail15normal_iteratorINS8_10device_ptrIbEEEESD_NSA_INSB_IiEEEESF_jNS0_19identity_decomposerENS1_16block_id_wrapperIjLb0EEEEE10hipError_tT1_PNSt15iterator_traitsISK_E10value_typeET2_T3_PNSL_ISQ_E10value_typeET4_T5_PSV_SW_PNS1_23onesweep_lookback_stateEbbT6_jjT7_P12ihipStream_tbENKUlT_T0_SK_SP_E_clIPbSD_PiSF_EEDaS13_S14_SK_SP_EUlS13_E_NS1_11comp_targetILNS1_3genE9ELNS1_11target_archE1100ELNS1_3gpuE3ELNS1_3repE0EEENS1_47radix_sort_onesweep_sort_config_static_selectorELNS0_4arch9wavefront6targetE1EEEvSK_,"axG",@progbits,_ZN7rocprim17ROCPRIM_400000_NS6detail17trampoline_kernelINS0_14default_configENS1_35radix_sort_onesweep_config_selectorIbiEEZZNS1_29radix_sort_onesweep_iterationIS3_Lb0EN6thrust23THRUST_200600_302600_NS6detail15normal_iteratorINS8_10device_ptrIbEEEESD_NSA_INSB_IiEEEESF_jNS0_19identity_decomposerENS1_16block_id_wrapperIjLb0EEEEE10hipError_tT1_PNSt15iterator_traitsISK_E10value_typeET2_T3_PNSL_ISQ_E10value_typeET4_T5_PSV_SW_PNS1_23onesweep_lookback_stateEbbT6_jjT7_P12ihipStream_tbENKUlT_T0_SK_SP_E_clIPbSD_PiSF_EEDaS13_S14_SK_SP_EUlS13_E_NS1_11comp_targetILNS1_3genE9ELNS1_11target_archE1100ELNS1_3gpuE3ELNS1_3repE0EEENS1_47radix_sort_onesweep_sort_config_static_selectorELNS0_4arch9wavefront6targetE1EEEvSK_,comdat
	.protected	_ZN7rocprim17ROCPRIM_400000_NS6detail17trampoline_kernelINS0_14default_configENS1_35radix_sort_onesweep_config_selectorIbiEEZZNS1_29radix_sort_onesweep_iterationIS3_Lb0EN6thrust23THRUST_200600_302600_NS6detail15normal_iteratorINS8_10device_ptrIbEEEESD_NSA_INSB_IiEEEESF_jNS0_19identity_decomposerENS1_16block_id_wrapperIjLb0EEEEE10hipError_tT1_PNSt15iterator_traitsISK_E10value_typeET2_T3_PNSL_ISQ_E10value_typeET4_T5_PSV_SW_PNS1_23onesweep_lookback_stateEbbT6_jjT7_P12ihipStream_tbENKUlT_T0_SK_SP_E_clIPbSD_PiSF_EEDaS13_S14_SK_SP_EUlS13_E_NS1_11comp_targetILNS1_3genE9ELNS1_11target_archE1100ELNS1_3gpuE3ELNS1_3repE0EEENS1_47radix_sort_onesweep_sort_config_static_selectorELNS0_4arch9wavefront6targetE1EEEvSK_ ; -- Begin function _ZN7rocprim17ROCPRIM_400000_NS6detail17trampoline_kernelINS0_14default_configENS1_35radix_sort_onesweep_config_selectorIbiEEZZNS1_29radix_sort_onesweep_iterationIS3_Lb0EN6thrust23THRUST_200600_302600_NS6detail15normal_iteratorINS8_10device_ptrIbEEEESD_NSA_INSB_IiEEEESF_jNS0_19identity_decomposerENS1_16block_id_wrapperIjLb0EEEEE10hipError_tT1_PNSt15iterator_traitsISK_E10value_typeET2_T3_PNSL_ISQ_E10value_typeET4_T5_PSV_SW_PNS1_23onesweep_lookback_stateEbbT6_jjT7_P12ihipStream_tbENKUlT_T0_SK_SP_E_clIPbSD_PiSF_EEDaS13_S14_SK_SP_EUlS13_E_NS1_11comp_targetILNS1_3genE9ELNS1_11target_archE1100ELNS1_3gpuE3ELNS1_3repE0EEENS1_47radix_sort_onesweep_sort_config_static_selectorELNS0_4arch9wavefront6targetE1EEEvSK_
	.globl	_ZN7rocprim17ROCPRIM_400000_NS6detail17trampoline_kernelINS0_14default_configENS1_35radix_sort_onesweep_config_selectorIbiEEZZNS1_29radix_sort_onesweep_iterationIS3_Lb0EN6thrust23THRUST_200600_302600_NS6detail15normal_iteratorINS8_10device_ptrIbEEEESD_NSA_INSB_IiEEEESF_jNS0_19identity_decomposerENS1_16block_id_wrapperIjLb0EEEEE10hipError_tT1_PNSt15iterator_traitsISK_E10value_typeET2_T3_PNSL_ISQ_E10value_typeET4_T5_PSV_SW_PNS1_23onesweep_lookback_stateEbbT6_jjT7_P12ihipStream_tbENKUlT_T0_SK_SP_E_clIPbSD_PiSF_EEDaS13_S14_SK_SP_EUlS13_E_NS1_11comp_targetILNS1_3genE9ELNS1_11target_archE1100ELNS1_3gpuE3ELNS1_3repE0EEENS1_47radix_sort_onesweep_sort_config_static_selectorELNS0_4arch9wavefront6targetE1EEEvSK_
	.p2align	8
	.type	_ZN7rocprim17ROCPRIM_400000_NS6detail17trampoline_kernelINS0_14default_configENS1_35radix_sort_onesweep_config_selectorIbiEEZZNS1_29radix_sort_onesweep_iterationIS3_Lb0EN6thrust23THRUST_200600_302600_NS6detail15normal_iteratorINS8_10device_ptrIbEEEESD_NSA_INSB_IiEEEESF_jNS0_19identity_decomposerENS1_16block_id_wrapperIjLb0EEEEE10hipError_tT1_PNSt15iterator_traitsISK_E10value_typeET2_T3_PNSL_ISQ_E10value_typeET4_T5_PSV_SW_PNS1_23onesweep_lookback_stateEbbT6_jjT7_P12ihipStream_tbENKUlT_T0_SK_SP_E_clIPbSD_PiSF_EEDaS13_S14_SK_SP_EUlS13_E_NS1_11comp_targetILNS1_3genE9ELNS1_11target_archE1100ELNS1_3gpuE3ELNS1_3repE0EEENS1_47radix_sort_onesweep_sort_config_static_selectorELNS0_4arch9wavefront6targetE1EEEvSK_,@function
_ZN7rocprim17ROCPRIM_400000_NS6detail17trampoline_kernelINS0_14default_configENS1_35radix_sort_onesweep_config_selectorIbiEEZZNS1_29radix_sort_onesweep_iterationIS3_Lb0EN6thrust23THRUST_200600_302600_NS6detail15normal_iteratorINS8_10device_ptrIbEEEESD_NSA_INSB_IiEEEESF_jNS0_19identity_decomposerENS1_16block_id_wrapperIjLb0EEEEE10hipError_tT1_PNSt15iterator_traitsISK_E10value_typeET2_T3_PNSL_ISQ_E10value_typeET4_T5_PSV_SW_PNS1_23onesweep_lookback_stateEbbT6_jjT7_P12ihipStream_tbENKUlT_T0_SK_SP_E_clIPbSD_PiSF_EEDaS13_S14_SK_SP_EUlS13_E_NS1_11comp_targetILNS1_3genE9ELNS1_11target_archE1100ELNS1_3gpuE3ELNS1_3repE0EEENS1_47radix_sort_onesweep_sort_config_static_selectorELNS0_4arch9wavefront6targetE1EEEvSK_: ; @_ZN7rocprim17ROCPRIM_400000_NS6detail17trampoline_kernelINS0_14default_configENS1_35radix_sort_onesweep_config_selectorIbiEEZZNS1_29radix_sort_onesweep_iterationIS3_Lb0EN6thrust23THRUST_200600_302600_NS6detail15normal_iteratorINS8_10device_ptrIbEEEESD_NSA_INSB_IiEEEESF_jNS0_19identity_decomposerENS1_16block_id_wrapperIjLb0EEEEE10hipError_tT1_PNSt15iterator_traitsISK_E10value_typeET2_T3_PNSL_ISQ_E10value_typeET4_T5_PSV_SW_PNS1_23onesweep_lookback_stateEbbT6_jjT7_P12ihipStream_tbENKUlT_T0_SK_SP_E_clIPbSD_PiSF_EEDaS13_S14_SK_SP_EUlS13_E_NS1_11comp_targetILNS1_3genE9ELNS1_11target_archE1100ELNS1_3gpuE3ELNS1_3repE0EEENS1_47radix_sort_onesweep_sort_config_static_selectorELNS0_4arch9wavefront6targetE1EEEvSK_
; %bb.0:
	.section	.rodata,"a",@progbits
	.p2align	6, 0x0
	.amdhsa_kernel _ZN7rocprim17ROCPRIM_400000_NS6detail17trampoline_kernelINS0_14default_configENS1_35radix_sort_onesweep_config_selectorIbiEEZZNS1_29radix_sort_onesweep_iterationIS3_Lb0EN6thrust23THRUST_200600_302600_NS6detail15normal_iteratorINS8_10device_ptrIbEEEESD_NSA_INSB_IiEEEESF_jNS0_19identity_decomposerENS1_16block_id_wrapperIjLb0EEEEE10hipError_tT1_PNSt15iterator_traitsISK_E10value_typeET2_T3_PNSL_ISQ_E10value_typeET4_T5_PSV_SW_PNS1_23onesweep_lookback_stateEbbT6_jjT7_P12ihipStream_tbENKUlT_T0_SK_SP_E_clIPbSD_PiSF_EEDaS13_S14_SK_SP_EUlS13_E_NS1_11comp_targetILNS1_3genE9ELNS1_11target_archE1100ELNS1_3gpuE3ELNS1_3repE0EEENS1_47radix_sort_onesweep_sort_config_static_selectorELNS0_4arch9wavefront6targetE1EEEvSK_
		.amdhsa_group_segment_fixed_size 0
		.amdhsa_private_segment_fixed_size 0
		.amdhsa_kernarg_size 88
		.amdhsa_user_sgpr_count 2
		.amdhsa_user_sgpr_dispatch_ptr 0
		.amdhsa_user_sgpr_queue_ptr 0
		.amdhsa_user_sgpr_kernarg_segment_ptr 1
		.amdhsa_user_sgpr_dispatch_id 0
		.amdhsa_user_sgpr_kernarg_preload_length 0
		.amdhsa_user_sgpr_kernarg_preload_offset 0
		.amdhsa_user_sgpr_private_segment_size 0
		.amdhsa_uses_dynamic_stack 0
		.amdhsa_enable_private_segment 0
		.amdhsa_system_sgpr_workgroup_id_x 1
		.amdhsa_system_sgpr_workgroup_id_y 0
		.amdhsa_system_sgpr_workgroup_id_z 0
		.amdhsa_system_sgpr_workgroup_info 0
		.amdhsa_system_vgpr_workitem_id 0
		.amdhsa_next_free_vgpr 1
		.amdhsa_next_free_sgpr 0
		.amdhsa_accum_offset 4
		.amdhsa_reserve_vcc 0
		.amdhsa_float_round_mode_32 0
		.amdhsa_float_round_mode_16_64 0
		.amdhsa_float_denorm_mode_32 3
		.amdhsa_float_denorm_mode_16_64 3
		.amdhsa_dx10_clamp 1
		.amdhsa_ieee_mode 1
		.amdhsa_fp16_overflow 0
		.amdhsa_tg_split 0
		.amdhsa_exception_fp_ieee_invalid_op 0
		.amdhsa_exception_fp_denorm_src 0
		.amdhsa_exception_fp_ieee_div_zero 0
		.amdhsa_exception_fp_ieee_overflow 0
		.amdhsa_exception_fp_ieee_underflow 0
		.amdhsa_exception_fp_ieee_inexact 0
		.amdhsa_exception_int_div_zero 0
	.end_amdhsa_kernel
	.section	.text._ZN7rocprim17ROCPRIM_400000_NS6detail17trampoline_kernelINS0_14default_configENS1_35radix_sort_onesweep_config_selectorIbiEEZZNS1_29radix_sort_onesweep_iterationIS3_Lb0EN6thrust23THRUST_200600_302600_NS6detail15normal_iteratorINS8_10device_ptrIbEEEESD_NSA_INSB_IiEEEESF_jNS0_19identity_decomposerENS1_16block_id_wrapperIjLb0EEEEE10hipError_tT1_PNSt15iterator_traitsISK_E10value_typeET2_T3_PNSL_ISQ_E10value_typeET4_T5_PSV_SW_PNS1_23onesweep_lookback_stateEbbT6_jjT7_P12ihipStream_tbENKUlT_T0_SK_SP_E_clIPbSD_PiSF_EEDaS13_S14_SK_SP_EUlS13_E_NS1_11comp_targetILNS1_3genE9ELNS1_11target_archE1100ELNS1_3gpuE3ELNS1_3repE0EEENS1_47radix_sort_onesweep_sort_config_static_selectorELNS0_4arch9wavefront6targetE1EEEvSK_,"axG",@progbits,_ZN7rocprim17ROCPRIM_400000_NS6detail17trampoline_kernelINS0_14default_configENS1_35radix_sort_onesweep_config_selectorIbiEEZZNS1_29radix_sort_onesweep_iterationIS3_Lb0EN6thrust23THRUST_200600_302600_NS6detail15normal_iteratorINS8_10device_ptrIbEEEESD_NSA_INSB_IiEEEESF_jNS0_19identity_decomposerENS1_16block_id_wrapperIjLb0EEEEE10hipError_tT1_PNSt15iterator_traitsISK_E10value_typeET2_T3_PNSL_ISQ_E10value_typeET4_T5_PSV_SW_PNS1_23onesweep_lookback_stateEbbT6_jjT7_P12ihipStream_tbENKUlT_T0_SK_SP_E_clIPbSD_PiSF_EEDaS13_S14_SK_SP_EUlS13_E_NS1_11comp_targetILNS1_3genE9ELNS1_11target_archE1100ELNS1_3gpuE3ELNS1_3repE0EEENS1_47radix_sort_onesweep_sort_config_static_selectorELNS0_4arch9wavefront6targetE1EEEvSK_,comdat
.Lfunc_end2093:
	.size	_ZN7rocprim17ROCPRIM_400000_NS6detail17trampoline_kernelINS0_14default_configENS1_35radix_sort_onesweep_config_selectorIbiEEZZNS1_29radix_sort_onesweep_iterationIS3_Lb0EN6thrust23THRUST_200600_302600_NS6detail15normal_iteratorINS8_10device_ptrIbEEEESD_NSA_INSB_IiEEEESF_jNS0_19identity_decomposerENS1_16block_id_wrapperIjLb0EEEEE10hipError_tT1_PNSt15iterator_traitsISK_E10value_typeET2_T3_PNSL_ISQ_E10value_typeET4_T5_PSV_SW_PNS1_23onesweep_lookback_stateEbbT6_jjT7_P12ihipStream_tbENKUlT_T0_SK_SP_E_clIPbSD_PiSF_EEDaS13_S14_SK_SP_EUlS13_E_NS1_11comp_targetILNS1_3genE9ELNS1_11target_archE1100ELNS1_3gpuE3ELNS1_3repE0EEENS1_47radix_sort_onesweep_sort_config_static_selectorELNS0_4arch9wavefront6targetE1EEEvSK_, .Lfunc_end2093-_ZN7rocprim17ROCPRIM_400000_NS6detail17trampoline_kernelINS0_14default_configENS1_35radix_sort_onesweep_config_selectorIbiEEZZNS1_29radix_sort_onesweep_iterationIS3_Lb0EN6thrust23THRUST_200600_302600_NS6detail15normal_iteratorINS8_10device_ptrIbEEEESD_NSA_INSB_IiEEEESF_jNS0_19identity_decomposerENS1_16block_id_wrapperIjLb0EEEEE10hipError_tT1_PNSt15iterator_traitsISK_E10value_typeET2_T3_PNSL_ISQ_E10value_typeET4_T5_PSV_SW_PNS1_23onesweep_lookback_stateEbbT6_jjT7_P12ihipStream_tbENKUlT_T0_SK_SP_E_clIPbSD_PiSF_EEDaS13_S14_SK_SP_EUlS13_E_NS1_11comp_targetILNS1_3genE9ELNS1_11target_archE1100ELNS1_3gpuE3ELNS1_3repE0EEENS1_47radix_sort_onesweep_sort_config_static_selectorELNS0_4arch9wavefront6targetE1EEEvSK_
                                        ; -- End function
	.set _ZN7rocprim17ROCPRIM_400000_NS6detail17trampoline_kernelINS0_14default_configENS1_35radix_sort_onesweep_config_selectorIbiEEZZNS1_29radix_sort_onesweep_iterationIS3_Lb0EN6thrust23THRUST_200600_302600_NS6detail15normal_iteratorINS8_10device_ptrIbEEEESD_NSA_INSB_IiEEEESF_jNS0_19identity_decomposerENS1_16block_id_wrapperIjLb0EEEEE10hipError_tT1_PNSt15iterator_traitsISK_E10value_typeET2_T3_PNSL_ISQ_E10value_typeET4_T5_PSV_SW_PNS1_23onesweep_lookback_stateEbbT6_jjT7_P12ihipStream_tbENKUlT_T0_SK_SP_E_clIPbSD_PiSF_EEDaS13_S14_SK_SP_EUlS13_E_NS1_11comp_targetILNS1_3genE9ELNS1_11target_archE1100ELNS1_3gpuE3ELNS1_3repE0EEENS1_47radix_sort_onesweep_sort_config_static_selectorELNS0_4arch9wavefront6targetE1EEEvSK_.num_vgpr, 0
	.set _ZN7rocprim17ROCPRIM_400000_NS6detail17trampoline_kernelINS0_14default_configENS1_35radix_sort_onesweep_config_selectorIbiEEZZNS1_29radix_sort_onesweep_iterationIS3_Lb0EN6thrust23THRUST_200600_302600_NS6detail15normal_iteratorINS8_10device_ptrIbEEEESD_NSA_INSB_IiEEEESF_jNS0_19identity_decomposerENS1_16block_id_wrapperIjLb0EEEEE10hipError_tT1_PNSt15iterator_traitsISK_E10value_typeET2_T3_PNSL_ISQ_E10value_typeET4_T5_PSV_SW_PNS1_23onesweep_lookback_stateEbbT6_jjT7_P12ihipStream_tbENKUlT_T0_SK_SP_E_clIPbSD_PiSF_EEDaS13_S14_SK_SP_EUlS13_E_NS1_11comp_targetILNS1_3genE9ELNS1_11target_archE1100ELNS1_3gpuE3ELNS1_3repE0EEENS1_47radix_sort_onesweep_sort_config_static_selectorELNS0_4arch9wavefront6targetE1EEEvSK_.num_agpr, 0
	.set _ZN7rocprim17ROCPRIM_400000_NS6detail17trampoline_kernelINS0_14default_configENS1_35radix_sort_onesweep_config_selectorIbiEEZZNS1_29radix_sort_onesweep_iterationIS3_Lb0EN6thrust23THRUST_200600_302600_NS6detail15normal_iteratorINS8_10device_ptrIbEEEESD_NSA_INSB_IiEEEESF_jNS0_19identity_decomposerENS1_16block_id_wrapperIjLb0EEEEE10hipError_tT1_PNSt15iterator_traitsISK_E10value_typeET2_T3_PNSL_ISQ_E10value_typeET4_T5_PSV_SW_PNS1_23onesweep_lookback_stateEbbT6_jjT7_P12ihipStream_tbENKUlT_T0_SK_SP_E_clIPbSD_PiSF_EEDaS13_S14_SK_SP_EUlS13_E_NS1_11comp_targetILNS1_3genE9ELNS1_11target_archE1100ELNS1_3gpuE3ELNS1_3repE0EEENS1_47radix_sort_onesweep_sort_config_static_selectorELNS0_4arch9wavefront6targetE1EEEvSK_.numbered_sgpr, 0
	.set _ZN7rocprim17ROCPRIM_400000_NS6detail17trampoline_kernelINS0_14default_configENS1_35radix_sort_onesweep_config_selectorIbiEEZZNS1_29radix_sort_onesweep_iterationIS3_Lb0EN6thrust23THRUST_200600_302600_NS6detail15normal_iteratorINS8_10device_ptrIbEEEESD_NSA_INSB_IiEEEESF_jNS0_19identity_decomposerENS1_16block_id_wrapperIjLb0EEEEE10hipError_tT1_PNSt15iterator_traitsISK_E10value_typeET2_T3_PNSL_ISQ_E10value_typeET4_T5_PSV_SW_PNS1_23onesweep_lookback_stateEbbT6_jjT7_P12ihipStream_tbENKUlT_T0_SK_SP_E_clIPbSD_PiSF_EEDaS13_S14_SK_SP_EUlS13_E_NS1_11comp_targetILNS1_3genE9ELNS1_11target_archE1100ELNS1_3gpuE3ELNS1_3repE0EEENS1_47radix_sort_onesweep_sort_config_static_selectorELNS0_4arch9wavefront6targetE1EEEvSK_.num_named_barrier, 0
	.set _ZN7rocprim17ROCPRIM_400000_NS6detail17trampoline_kernelINS0_14default_configENS1_35radix_sort_onesweep_config_selectorIbiEEZZNS1_29radix_sort_onesweep_iterationIS3_Lb0EN6thrust23THRUST_200600_302600_NS6detail15normal_iteratorINS8_10device_ptrIbEEEESD_NSA_INSB_IiEEEESF_jNS0_19identity_decomposerENS1_16block_id_wrapperIjLb0EEEEE10hipError_tT1_PNSt15iterator_traitsISK_E10value_typeET2_T3_PNSL_ISQ_E10value_typeET4_T5_PSV_SW_PNS1_23onesweep_lookback_stateEbbT6_jjT7_P12ihipStream_tbENKUlT_T0_SK_SP_E_clIPbSD_PiSF_EEDaS13_S14_SK_SP_EUlS13_E_NS1_11comp_targetILNS1_3genE9ELNS1_11target_archE1100ELNS1_3gpuE3ELNS1_3repE0EEENS1_47radix_sort_onesweep_sort_config_static_selectorELNS0_4arch9wavefront6targetE1EEEvSK_.private_seg_size, 0
	.set _ZN7rocprim17ROCPRIM_400000_NS6detail17trampoline_kernelINS0_14default_configENS1_35radix_sort_onesweep_config_selectorIbiEEZZNS1_29radix_sort_onesweep_iterationIS3_Lb0EN6thrust23THRUST_200600_302600_NS6detail15normal_iteratorINS8_10device_ptrIbEEEESD_NSA_INSB_IiEEEESF_jNS0_19identity_decomposerENS1_16block_id_wrapperIjLb0EEEEE10hipError_tT1_PNSt15iterator_traitsISK_E10value_typeET2_T3_PNSL_ISQ_E10value_typeET4_T5_PSV_SW_PNS1_23onesweep_lookback_stateEbbT6_jjT7_P12ihipStream_tbENKUlT_T0_SK_SP_E_clIPbSD_PiSF_EEDaS13_S14_SK_SP_EUlS13_E_NS1_11comp_targetILNS1_3genE9ELNS1_11target_archE1100ELNS1_3gpuE3ELNS1_3repE0EEENS1_47radix_sort_onesweep_sort_config_static_selectorELNS0_4arch9wavefront6targetE1EEEvSK_.uses_vcc, 0
	.set _ZN7rocprim17ROCPRIM_400000_NS6detail17trampoline_kernelINS0_14default_configENS1_35radix_sort_onesweep_config_selectorIbiEEZZNS1_29radix_sort_onesweep_iterationIS3_Lb0EN6thrust23THRUST_200600_302600_NS6detail15normal_iteratorINS8_10device_ptrIbEEEESD_NSA_INSB_IiEEEESF_jNS0_19identity_decomposerENS1_16block_id_wrapperIjLb0EEEEE10hipError_tT1_PNSt15iterator_traitsISK_E10value_typeET2_T3_PNSL_ISQ_E10value_typeET4_T5_PSV_SW_PNS1_23onesweep_lookback_stateEbbT6_jjT7_P12ihipStream_tbENKUlT_T0_SK_SP_E_clIPbSD_PiSF_EEDaS13_S14_SK_SP_EUlS13_E_NS1_11comp_targetILNS1_3genE9ELNS1_11target_archE1100ELNS1_3gpuE3ELNS1_3repE0EEENS1_47radix_sort_onesweep_sort_config_static_selectorELNS0_4arch9wavefront6targetE1EEEvSK_.uses_flat_scratch, 0
	.set _ZN7rocprim17ROCPRIM_400000_NS6detail17trampoline_kernelINS0_14default_configENS1_35radix_sort_onesweep_config_selectorIbiEEZZNS1_29radix_sort_onesweep_iterationIS3_Lb0EN6thrust23THRUST_200600_302600_NS6detail15normal_iteratorINS8_10device_ptrIbEEEESD_NSA_INSB_IiEEEESF_jNS0_19identity_decomposerENS1_16block_id_wrapperIjLb0EEEEE10hipError_tT1_PNSt15iterator_traitsISK_E10value_typeET2_T3_PNSL_ISQ_E10value_typeET4_T5_PSV_SW_PNS1_23onesweep_lookback_stateEbbT6_jjT7_P12ihipStream_tbENKUlT_T0_SK_SP_E_clIPbSD_PiSF_EEDaS13_S14_SK_SP_EUlS13_E_NS1_11comp_targetILNS1_3genE9ELNS1_11target_archE1100ELNS1_3gpuE3ELNS1_3repE0EEENS1_47radix_sort_onesweep_sort_config_static_selectorELNS0_4arch9wavefront6targetE1EEEvSK_.has_dyn_sized_stack, 0
	.set _ZN7rocprim17ROCPRIM_400000_NS6detail17trampoline_kernelINS0_14default_configENS1_35radix_sort_onesweep_config_selectorIbiEEZZNS1_29radix_sort_onesweep_iterationIS3_Lb0EN6thrust23THRUST_200600_302600_NS6detail15normal_iteratorINS8_10device_ptrIbEEEESD_NSA_INSB_IiEEEESF_jNS0_19identity_decomposerENS1_16block_id_wrapperIjLb0EEEEE10hipError_tT1_PNSt15iterator_traitsISK_E10value_typeET2_T3_PNSL_ISQ_E10value_typeET4_T5_PSV_SW_PNS1_23onesweep_lookback_stateEbbT6_jjT7_P12ihipStream_tbENKUlT_T0_SK_SP_E_clIPbSD_PiSF_EEDaS13_S14_SK_SP_EUlS13_E_NS1_11comp_targetILNS1_3genE9ELNS1_11target_archE1100ELNS1_3gpuE3ELNS1_3repE0EEENS1_47radix_sort_onesweep_sort_config_static_selectorELNS0_4arch9wavefront6targetE1EEEvSK_.has_recursion, 0
	.set _ZN7rocprim17ROCPRIM_400000_NS6detail17trampoline_kernelINS0_14default_configENS1_35radix_sort_onesweep_config_selectorIbiEEZZNS1_29radix_sort_onesweep_iterationIS3_Lb0EN6thrust23THRUST_200600_302600_NS6detail15normal_iteratorINS8_10device_ptrIbEEEESD_NSA_INSB_IiEEEESF_jNS0_19identity_decomposerENS1_16block_id_wrapperIjLb0EEEEE10hipError_tT1_PNSt15iterator_traitsISK_E10value_typeET2_T3_PNSL_ISQ_E10value_typeET4_T5_PSV_SW_PNS1_23onesweep_lookback_stateEbbT6_jjT7_P12ihipStream_tbENKUlT_T0_SK_SP_E_clIPbSD_PiSF_EEDaS13_S14_SK_SP_EUlS13_E_NS1_11comp_targetILNS1_3genE9ELNS1_11target_archE1100ELNS1_3gpuE3ELNS1_3repE0EEENS1_47radix_sort_onesweep_sort_config_static_selectorELNS0_4arch9wavefront6targetE1EEEvSK_.has_indirect_call, 0
	.section	.AMDGPU.csdata,"",@progbits
; Kernel info:
; codeLenInByte = 0
; TotalNumSgprs: 6
; NumVgprs: 0
; NumAgprs: 0
; TotalNumVgprs: 0
; ScratchSize: 0
; MemoryBound: 0
; FloatMode: 240
; IeeeMode: 1
; LDSByteSize: 0 bytes/workgroup (compile time only)
; SGPRBlocks: 0
; VGPRBlocks: 0
; NumSGPRsForWavesPerEU: 6
; NumVGPRsForWavesPerEU: 1
; AccumOffset: 4
; Occupancy: 8
; WaveLimiterHint : 0
; COMPUTE_PGM_RSRC2:SCRATCH_EN: 0
; COMPUTE_PGM_RSRC2:USER_SGPR: 2
; COMPUTE_PGM_RSRC2:TRAP_HANDLER: 0
; COMPUTE_PGM_RSRC2:TGID_X_EN: 1
; COMPUTE_PGM_RSRC2:TGID_Y_EN: 0
; COMPUTE_PGM_RSRC2:TGID_Z_EN: 0
; COMPUTE_PGM_RSRC2:TIDIG_COMP_CNT: 0
; COMPUTE_PGM_RSRC3_GFX90A:ACCUM_OFFSET: 0
; COMPUTE_PGM_RSRC3_GFX90A:TG_SPLIT: 0
	.section	.text._ZN7rocprim17ROCPRIM_400000_NS6detail17trampoline_kernelINS0_14default_configENS1_35radix_sort_onesweep_config_selectorIbiEEZZNS1_29radix_sort_onesweep_iterationIS3_Lb0EN6thrust23THRUST_200600_302600_NS6detail15normal_iteratorINS8_10device_ptrIbEEEESD_NSA_INSB_IiEEEESF_jNS0_19identity_decomposerENS1_16block_id_wrapperIjLb0EEEEE10hipError_tT1_PNSt15iterator_traitsISK_E10value_typeET2_T3_PNSL_ISQ_E10value_typeET4_T5_PSV_SW_PNS1_23onesweep_lookback_stateEbbT6_jjT7_P12ihipStream_tbENKUlT_T0_SK_SP_E_clIPbSD_PiSF_EEDaS13_S14_SK_SP_EUlS13_E_NS1_11comp_targetILNS1_3genE8ELNS1_11target_archE1030ELNS1_3gpuE2ELNS1_3repE0EEENS1_47radix_sort_onesweep_sort_config_static_selectorELNS0_4arch9wavefront6targetE1EEEvSK_,"axG",@progbits,_ZN7rocprim17ROCPRIM_400000_NS6detail17trampoline_kernelINS0_14default_configENS1_35radix_sort_onesweep_config_selectorIbiEEZZNS1_29radix_sort_onesweep_iterationIS3_Lb0EN6thrust23THRUST_200600_302600_NS6detail15normal_iteratorINS8_10device_ptrIbEEEESD_NSA_INSB_IiEEEESF_jNS0_19identity_decomposerENS1_16block_id_wrapperIjLb0EEEEE10hipError_tT1_PNSt15iterator_traitsISK_E10value_typeET2_T3_PNSL_ISQ_E10value_typeET4_T5_PSV_SW_PNS1_23onesweep_lookback_stateEbbT6_jjT7_P12ihipStream_tbENKUlT_T0_SK_SP_E_clIPbSD_PiSF_EEDaS13_S14_SK_SP_EUlS13_E_NS1_11comp_targetILNS1_3genE8ELNS1_11target_archE1030ELNS1_3gpuE2ELNS1_3repE0EEENS1_47radix_sort_onesweep_sort_config_static_selectorELNS0_4arch9wavefront6targetE1EEEvSK_,comdat
	.protected	_ZN7rocprim17ROCPRIM_400000_NS6detail17trampoline_kernelINS0_14default_configENS1_35radix_sort_onesweep_config_selectorIbiEEZZNS1_29radix_sort_onesweep_iterationIS3_Lb0EN6thrust23THRUST_200600_302600_NS6detail15normal_iteratorINS8_10device_ptrIbEEEESD_NSA_INSB_IiEEEESF_jNS0_19identity_decomposerENS1_16block_id_wrapperIjLb0EEEEE10hipError_tT1_PNSt15iterator_traitsISK_E10value_typeET2_T3_PNSL_ISQ_E10value_typeET4_T5_PSV_SW_PNS1_23onesweep_lookback_stateEbbT6_jjT7_P12ihipStream_tbENKUlT_T0_SK_SP_E_clIPbSD_PiSF_EEDaS13_S14_SK_SP_EUlS13_E_NS1_11comp_targetILNS1_3genE8ELNS1_11target_archE1030ELNS1_3gpuE2ELNS1_3repE0EEENS1_47radix_sort_onesweep_sort_config_static_selectorELNS0_4arch9wavefront6targetE1EEEvSK_ ; -- Begin function _ZN7rocprim17ROCPRIM_400000_NS6detail17trampoline_kernelINS0_14default_configENS1_35radix_sort_onesweep_config_selectorIbiEEZZNS1_29radix_sort_onesweep_iterationIS3_Lb0EN6thrust23THRUST_200600_302600_NS6detail15normal_iteratorINS8_10device_ptrIbEEEESD_NSA_INSB_IiEEEESF_jNS0_19identity_decomposerENS1_16block_id_wrapperIjLb0EEEEE10hipError_tT1_PNSt15iterator_traitsISK_E10value_typeET2_T3_PNSL_ISQ_E10value_typeET4_T5_PSV_SW_PNS1_23onesweep_lookback_stateEbbT6_jjT7_P12ihipStream_tbENKUlT_T0_SK_SP_E_clIPbSD_PiSF_EEDaS13_S14_SK_SP_EUlS13_E_NS1_11comp_targetILNS1_3genE8ELNS1_11target_archE1030ELNS1_3gpuE2ELNS1_3repE0EEENS1_47radix_sort_onesweep_sort_config_static_selectorELNS0_4arch9wavefront6targetE1EEEvSK_
	.globl	_ZN7rocprim17ROCPRIM_400000_NS6detail17trampoline_kernelINS0_14default_configENS1_35radix_sort_onesweep_config_selectorIbiEEZZNS1_29radix_sort_onesweep_iterationIS3_Lb0EN6thrust23THRUST_200600_302600_NS6detail15normal_iteratorINS8_10device_ptrIbEEEESD_NSA_INSB_IiEEEESF_jNS0_19identity_decomposerENS1_16block_id_wrapperIjLb0EEEEE10hipError_tT1_PNSt15iterator_traitsISK_E10value_typeET2_T3_PNSL_ISQ_E10value_typeET4_T5_PSV_SW_PNS1_23onesweep_lookback_stateEbbT6_jjT7_P12ihipStream_tbENKUlT_T0_SK_SP_E_clIPbSD_PiSF_EEDaS13_S14_SK_SP_EUlS13_E_NS1_11comp_targetILNS1_3genE8ELNS1_11target_archE1030ELNS1_3gpuE2ELNS1_3repE0EEENS1_47radix_sort_onesweep_sort_config_static_selectorELNS0_4arch9wavefront6targetE1EEEvSK_
	.p2align	8
	.type	_ZN7rocprim17ROCPRIM_400000_NS6detail17trampoline_kernelINS0_14default_configENS1_35radix_sort_onesweep_config_selectorIbiEEZZNS1_29radix_sort_onesweep_iterationIS3_Lb0EN6thrust23THRUST_200600_302600_NS6detail15normal_iteratorINS8_10device_ptrIbEEEESD_NSA_INSB_IiEEEESF_jNS0_19identity_decomposerENS1_16block_id_wrapperIjLb0EEEEE10hipError_tT1_PNSt15iterator_traitsISK_E10value_typeET2_T3_PNSL_ISQ_E10value_typeET4_T5_PSV_SW_PNS1_23onesweep_lookback_stateEbbT6_jjT7_P12ihipStream_tbENKUlT_T0_SK_SP_E_clIPbSD_PiSF_EEDaS13_S14_SK_SP_EUlS13_E_NS1_11comp_targetILNS1_3genE8ELNS1_11target_archE1030ELNS1_3gpuE2ELNS1_3repE0EEENS1_47radix_sort_onesweep_sort_config_static_selectorELNS0_4arch9wavefront6targetE1EEEvSK_,@function
_ZN7rocprim17ROCPRIM_400000_NS6detail17trampoline_kernelINS0_14default_configENS1_35radix_sort_onesweep_config_selectorIbiEEZZNS1_29radix_sort_onesweep_iterationIS3_Lb0EN6thrust23THRUST_200600_302600_NS6detail15normal_iteratorINS8_10device_ptrIbEEEESD_NSA_INSB_IiEEEESF_jNS0_19identity_decomposerENS1_16block_id_wrapperIjLb0EEEEE10hipError_tT1_PNSt15iterator_traitsISK_E10value_typeET2_T3_PNSL_ISQ_E10value_typeET4_T5_PSV_SW_PNS1_23onesweep_lookback_stateEbbT6_jjT7_P12ihipStream_tbENKUlT_T0_SK_SP_E_clIPbSD_PiSF_EEDaS13_S14_SK_SP_EUlS13_E_NS1_11comp_targetILNS1_3genE8ELNS1_11target_archE1030ELNS1_3gpuE2ELNS1_3repE0EEENS1_47radix_sort_onesweep_sort_config_static_selectorELNS0_4arch9wavefront6targetE1EEEvSK_: ; @_ZN7rocprim17ROCPRIM_400000_NS6detail17trampoline_kernelINS0_14default_configENS1_35radix_sort_onesweep_config_selectorIbiEEZZNS1_29radix_sort_onesweep_iterationIS3_Lb0EN6thrust23THRUST_200600_302600_NS6detail15normal_iteratorINS8_10device_ptrIbEEEESD_NSA_INSB_IiEEEESF_jNS0_19identity_decomposerENS1_16block_id_wrapperIjLb0EEEEE10hipError_tT1_PNSt15iterator_traitsISK_E10value_typeET2_T3_PNSL_ISQ_E10value_typeET4_T5_PSV_SW_PNS1_23onesweep_lookback_stateEbbT6_jjT7_P12ihipStream_tbENKUlT_T0_SK_SP_E_clIPbSD_PiSF_EEDaS13_S14_SK_SP_EUlS13_E_NS1_11comp_targetILNS1_3genE8ELNS1_11target_archE1030ELNS1_3gpuE2ELNS1_3repE0EEENS1_47radix_sort_onesweep_sort_config_static_selectorELNS0_4arch9wavefront6targetE1EEEvSK_
; %bb.0:
	.section	.rodata,"a",@progbits
	.p2align	6, 0x0
	.amdhsa_kernel _ZN7rocprim17ROCPRIM_400000_NS6detail17trampoline_kernelINS0_14default_configENS1_35radix_sort_onesweep_config_selectorIbiEEZZNS1_29radix_sort_onesweep_iterationIS3_Lb0EN6thrust23THRUST_200600_302600_NS6detail15normal_iteratorINS8_10device_ptrIbEEEESD_NSA_INSB_IiEEEESF_jNS0_19identity_decomposerENS1_16block_id_wrapperIjLb0EEEEE10hipError_tT1_PNSt15iterator_traitsISK_E10value_typeET2_T3_PNSL_ISQ_E10value_typeET4_T5_PSV_SW_PNS1_23onesweep_lookback_stateEbbT6_jjT7_P12ihipStream_tbENKUlT_T0_SK_SP_E_clIPbSD_PiSF_EEDaS13_S14_SK_SP_EUlS13_E_NS1_11comp_targetILNS1_3genE8ELNS1_11target_archE1030ELNS1_3gpuE2ELNS1_3repE0EEENS1_47radix_sort_onesweep_sort_config_static_selectorELNS0_4arch9wavefront6targetE1EEEvSK_
		.amdhsa_group_segment_fixed_size 0
		.amdhsa_private_segment_fixed_size 0
		.amdhsa_kernarg_size 88
		.amdhsa_user_sgpr_count 2
		.amdhsa_user_sgpr_dispatch_ptr 0
		.amdhsa_user_sgpr_queue_ptr 0
		.amdhsa_user_sgpr_kernarg_segment_ptr 1
		.amdhsa_user_sgpr_dispatch_id 0
		.amdhsa_user_sgpr_kernarg_preload_length 0
		.amdhsa_user_sgpr_kernarg_preload_offset 0
		.amdhsa_user_sgpr_private_segment_size 0
		.amdhsa_uses_dynamic_stack 0
		.amdhsa_enable_private_segment 0
		.amdhsa_system_sgpr_workgroup_id_x 1
		.amdhsa_system_sgpr_workgroup_id_y 0
		.amdhsa_system_sgpr_workgroup_id_z 0
		.amdhsa_system_sgpr_workgroup_info 0
		.amdhsa_system_vgpr_workitem_id 0
		.amdhsa_next_free_vgpr 1
		.amdhsa_next_free_sgpr 0
		.amdhsa_accum_offset 4
		.amdhsa_reserve_vcc 0
		.amdhsa_float_round_mode_32 0
		.amdhsa_float_round_mode_16_64 0
		.amdhsa_float_denorm_mode_32 3
		.amdhsa_float_denorm_mode_16_64 3
		.amdhsa_dx10_clamp 1
		.amdhsa_ieee_mode 1
		.amdhsa_fp16_overflow 0
		.amdhsa_tg_split 0
		.amdhsa_exception_fp_ieee_invalid_op 0
		.amdhsa_exception_fp_denorm_src 0
		.amdhsa_exception_fp_ieee_div_zero 0
		.amdhsa_exception_fp_ieee_overflow 0
		.amdhsa_exception_fp_ieee_underflow 0
		.amdhsa_exception_fp_ieee_inexact 0
		.amdhsa_exception_int_div_zero 0
	.end_amdhsa_kernel
	.section	.text._ZN7rocprim17ROCPRIM_400000_NS6detail17trampoline_kernelINS0_14default_configENS1_35radix_sort_onesweep_config_selectorIbiEEZZNS1_29radix_sort_onesweep_iterationIS3_Lb0EN6thrust23THRUST_200600_302600_NS6detail15normal_iteratorINS8_10device_ptrIbEEEESD_NSA_INSB_IiEEEESF_jNS0_19identity_decomposerENS1_16block_id_wrapperIjLb0EEEEE10hipError_tT1_PNSt15iterator_traitsISK_E10value_typeET2_T3_PNSL_ISQ_E10value_typeET4_T5_PSV_SW_PNS1_23onesweep_lookback_stateEbbT6_jjT7_P12ihipStream_tbENKUlT_T0_SK_SP_E_clIPbSD_PiSF_EEDaS13_S14_SK_SP_EUlS13_E_NS1_11comp_targetILNS1_3genE8ELNS1_11target_archE1030ELNS1_3gpuE2ELNS1_3repE0EEENS1_47radix_sort_onesweep_sort_config_static_selectorELNS0_4arch9wavefront6targetE1EEEvSK_,"axG",@progbits,_ZN7rocprim17ROCPRIM_400000_NS6detail17trampoline_kernelINS0_14default_configENS1_35radix_sort_onesweep_config_selectorIbiEEZZNS1_29radix_sort_onesweep_iterationIS3_Lb0EN6thrust23THRUST_200600_302600_NS6detail15normal_iteratorINS8_10device_ptrIbEEEESD_NSA_INSB_IiEEEESF_jNS0_19identity_decomposerENS1_16block_id_wrapperIjLb0EEEEE10hipError_tT1_PNSt15iterator_traitsISK_E10value_typeET2_T3_PNSL_ISQ_E10value_typeET4_T5_PSV_SW_PNS1_23onesweep_lookback_stateEbbT6_jjT7_P12ihipStream_tbENKUlT_T0_SK_SP_E_clIPbSD_PiSF_EEDaS13_S14_SK_SP_EUlS13_E_NS1_11comp_targetILNS1_3genE8ELNS1_11target_archE1030ELNS1_3gpuE2ELNS1_3repE0EEENS1_47radix_sort_onesweep_sort_config_static_selectorELNS0_4arch9wavefront6targetE1EEEvSK_,comdat
.Lfunc_end2094:
	.size	_ZN7rocprim17ROCPRIM_400000_NS6detail17trampoline_kernelINS0_14default_configENS1_35radix_sort_onesweep_config_selectorIbiEEZZNS1_29radix_sort_onesweep_iterationIS3_Lb0EN6thrust23THRUST_200600_302600_NS6detail15normal_iteratorINS8_10device_ptrIbEEEESD_NSA_INSB_IiEEEESF_jNS0_19identity_decomposerENS1_16block_id_wrapperIjLb0EEEEE10hipError_tT1_PNSt15iterator_traitsISK_E10value_typeET2_T3_PNSL_ISQ_E10value_typeET4_T5_PSV_SW_PNS1_23onesweep_lookback_stateEbbT6_jjT7_P12ihipStream_tbENKUlT_T0_SK_SP_E_clIPbSD_PiSF_EEDaS13_S14_SK_SP_EUlS13_E_NS1_11comp_targetILNS1_3genE8ELNS1_11target_archE1030ELNS1_3gpuE2ELNS1_3repE0EEENS1_47radix_sort_onesweep_sort_config_static_selectorELNS0_4arch9wavefront6targetE1EEEvSK_, .Lfunc_end2094-_ZN7rocprim17ROCPRIM_400000_NS6detail17trampoline_kernelINS0_14default_configENS1_35radix_sort_onesweep_config_selectorIbiEEZZNS1_29radix_sort_onesweep_iterationIS3_Lb0EN6thrust23THRUST_200600_302600_NS6detail15normal_iteratorINS8_10device_ptrIbEEEESD_NSA_INSB_IiEEEESF_jNS0_19identity_decomposerENS1_16block_id_wrapperIjLb0EEEEE10hipError_tT1_PNSt15iterator_traitsISK_E10value_typeET2_T3_PNSL_ISQ_E10value_typeET4_T5_PSV_SW_PNS1_23onesweep_lookback_stateEbbT6_jjT7_P12ihipStream_tbENKUlT_T0_SK_SP_E_clIPbSD_PiSF_EEDaS13_S14_SK_SP_EUlS13_E_NS1_11comp_targetILNS1_3genE8ELNS1_11target_archE1030ELNS1_3gpuE2ELNS1_3repE0EEENS1_47radix_sort_onesweep_sort_config_static_selectorELNS0_4arch9wavefront6targetE1EEEvSK_
                                        ; -- End function
	.set _ZN7rocprim17ROCPRIM_400000_NS6detail17trampoline_kernelINS0_14default_configENS1_35radix_sort_onesweep_config_selectorIbiEEZZNS1_29radix_sort_onesweep_iterationIS3_Lb0EN6thrust23THRUST_200600_302600_NS6detail15normal_iteratorINS8_10device_ptrIbEEEESD_NSA_INSB_IiEEEESF_jNS0_19identity_decomposerENS1_16block_id_wrapperIjLb0EEEEE10hipError_tT1_PNSt15iterator_traitsISK_E10value_typeET2_T3_PNSL_ISQ_E10value_typeET4_T5_PSV_SW_PNS1_23onesweep_lookback_stateEbbT6_jjT7_P12ihipStream_tbENKUlT_T0_SK_SP_E_clIPbSD_PiSF_EEDaS13_S14_SK_SP_EUlS13_E_NS1_11comp_targetILNS1_3genE8ELNS1_11target_archE1030ELNS1_3gpuE2ELNS1_3repE0EEENS1_47radix_sort_onesweep_sort_config_static_selectorELNS0_4arch9wavefront6targetE1EEEvSK_.num_vgpr, 0
	.set _ZN7rocprim17ROCPRIM_400000_NS6detail17trampoline_kernelINS0_14default_configENS1_35radix_sort_onesweep_config_selectorIbiEEZZNS1_29radix_sort_onesweep_iterationIS3_Lb0EN6thrust23THRUST_200600_302600_NS6detail15normal_iteratorINS8_10device_ptrIbEEEESD_NSA_INSB_IiEEEESF_jNS0_19identity_decomposerENS1_16block_id_wrapperIjLb0EEEEE10hipError_tT1_PNSt15iterator_traitsISK_E10value_typeET2_T3_PNSL_ISQ_E10value_typeET4_T5_PSV_SW_PNS1_23onesweep_lookback_stateEbbT6_jjT7_P12ihipStream_tbENKUlT_T0_SK_SP_E_clIPbSD_PiSF_EEDaS13_S14_SK_SP_EUlS13_E_NS1_11comp_targetILNS1_3genE8ELNS1_11target_archE1030ELNS1_3gpuE2ELNS1_3repE0EEENS1_47radix_sort_onesweep_sort_config_static_selectorELNS0_4arch9wavefront6targetE1EEEvSK_.num_agpr, 0
	.set _ZN7rocprim17ROCPRIM_400000_NS6detail17trampoline_kernelINS0_14default_configENS1_35radix_sort_onesweep_config_selectorIbiEEZZNS1_29radix_sort_onesweep_iterationIS3_Lb0EN6thrust23THRUST_200600_302600_NS6detail15normal_iteratorINS8_10device_ptrIbEEEESD_NSA_INSB_IiEEEESF_jNS0_19identity_decomposerENS1_16block_id_wrapperIjLb0EEEEE10hipError_tT1_PNSt15iterator_traitsISK_E10value_typeET2_T3_PNSL_ISQ_E10value_typeET4_T5_PSV_SW_PNS1_23onesweep_lookback_stateEbbT6_jjT7_P12ihipStream_tbENKUlT_T0_SK_SP_E_clIPbSD_PiSF_EEDaS13_S14_SK_SP_EUlS13_E_NS1_11comp_targetILNS1_3genE8ELNS1_11target_archE1030ELNS1_3gpuE2ELNS1_3repE0EEENS1_47radix_sort_onesweep_sort_config_static_selectorELNS0_4arch9wavefront6targetE1EEEvSK_.numbered_sgpr, 0
	.set _ZN7rocprim17ROCPRIM_400000_NS6detail17trampoline_kernelINS0_14default_configENS1_35radix_sort_onesweep_config_selectorIbiEEZZNS1_29radix_sort_onesweep_iterationIS3_Lb0EN6thrust23THRUST_200600_302600_NS6detail15normal_iteratorINS8_10device_ptrIbEEEESD_NSA_INSB_IiEEEESF_jNS0_19identity_decomposerENS1_16block_id_wrapperIjLb0EEEEE10hipError_tT1_PNSt15iterator_traitsISK_E10value_typeET2_T3_PNSL_ISQ_E10value_typeET4_T5_PSV_SW_PNS1_23onesweep_lookback_stateEbbT6_jjT7_P12ihipStream_tbENKUlT_T0_SK_SP_E_clIPbSD_PiSF_EEDaS13_S14_SK_SP_EUlS13_E_NS1_11comp_targetILNS1_3genE8ELNS1_11target_archE1030ELNS1_3gpuE2ELNS1_3repE0EEENS1_47radix_sort_onesweep_sort_config_static_selectorELNS0_4arch9wavefront6targetE1EEEvSK_.num_named_barrier, 0
	.set _ZN7rocprim17ROCPRIM_400000_NS6detail17trampoline_kernelINS0_14default_configENS1_35radix_sort_onesweep_config_selectorIbiEEZZNS1_29radix_sort_onesweep_iterationIS3_Lb0EN6thrust23THRUST_200600_302600_NS6detail15normal_iteratorINS8_10device_ptrIbEEEESD_NSA_INSB_IiEEEESF_jNS0_19identity_decomposerENS1_16block_id_wrapperIjLb0EEEEE10hipError_tT1_PNSt15iterator_traitsISK_E10value_typeET2_T3_PNSL_ISQ_E10value_typeET4_T5_PSV_SW_PNS1_23onesweep_lookback_stateEbbT6_jjT7_P12ihipStream_tbENKUlT_T0_SK_SP_E_clIPbSD_PiSF_EEDaS13_S14_SK_SP_EUlS13_E_NS1_11comp_targetILNS1_3genE8ELNS1_11target_archE1030ELNS1_3gpuE2ELNS1_3repE0EEENS1_47radix_sort_onesweep_sort_config_static_selectorELNS0_4arch9wavefront6targetE1EEEvSK_.private_seg_size, 0
	.set _ZN7rocprim17ROCPRIM_400000_NS6detail17trampoline_kernelINS0_14default_configENS1_35radix_sort_onesweep_config_selectorIbiEEZZNS1_29radix_sort_onesweep_iterationIS3_Lb0EN6thrust23THRUST_200600_302600_NS6detail15normal_iteratorINS8_10device_ptrIbEEEESD_NSA_INSB_IiEEEESF_jNS0_19identity_decomposerENS1_16block_id_wrapperIjLb0EEEEE10hipError_tT1_PNSt15iterator_traitsISK_E10value_typeET2_T3_PNSL_ISQ_E10value_typeET4_T5_PSV_SW_PNS1_23onesweep_lookback_stateEbbT6_jjT7_P12ihipStream_tbENKUlT_T0_SK_SP_E_clIPbSD_PiSF_EEDaS13_S14_SK_SP_EUlS13_E_NS1_11comp_targetILNS1_3genE8ELNS1_11target_archE1030ELNS1_3gpuE2ELNS1_3repE0EEENS1_47radix_sort_onesweep_sort_config_static_selectorELNS0_4arch9wavefront6targetE1EEEvSK_.uses_vcc, 0
	.set _ZN7rocprim17ROCPRIM_400000_NS6detail17trampoline_kernelINS0_14default_configENS1_35radix_sort_onesweep_config_selectorIbiEEZZNS1_29radix_sort_onesweep_iterationIS3_Lb0EN6thrust23THRUST_200600_302600_NS6detail15normal_iteratorINS8_10device_ptrIbEEEESD_NSA_INSB_IiEEEESF_jNS0_19identity_decomposerENS1_16block_id_wrapperIjLb0EEEEE10hipError_tT1_PNSt15iterator_traitsISK_E10value_typeET2_T3_PNSL_ISQ_E10value_typeET4_T5_PSV_SW_PNS1_23onesweep_lookback_stateEbbT6_jjT7_P12ihipStream_tbENKUlT_T0_SK_SP_E_clIPbSD_PiSF_EEDaS13_S14_SK_SP_EUlS13_E_NS1_11comp_targetILNS1_3genE8ELNS1_11target_archE1030ELNS1_3gpuE2ELNS1_3repE0EEENS1_47radix_sort_onesweep_sort_config_static_selectorELNS0_4arch9wavefront6targetE1EEEvSK_.uses_flat_scratch, 0
	.set _ZN7rocprim17ROCPRIM_400000_NS6detail17trampoline_kernelINS0_14default_configENS1_35radix_sort_onesweep_config_selectorIbiEEZZNS1_29radix_sort_onesweep_iterationIS3_Lb0EN6thrust23THRUST_200600_302600_NS6detail15normal_iteratorINS8_10device_ptrIbEEEESD_NSA_INSB_IiEEEESF_jNS0_19identity_decomposerENS1_16block_id_wrapperIjLb0EEEEE10hipError_tT1_PNSt15iterator_traitsISK_E10value_typeET2_T3_PNSL_ISQ_E10value_typeET4_T5_PSV_SW_PNS1_23onesweep_lookback_stateEbbT6_jjT7_P12ihipStream_tbENKUlT_T0_SK_SP_E_clIPbSD_PiSF_EEDaS13_S14_SK_SP_EUlS13_E_NS1_11comp_targetILNS1_3genE8ELNS1_11target_archE1030ELNS1_3gpuE2ELNS1_3repE0EEENS1_47radix_sort_onesweep_sort_config_static_selectorELNS0_4arch9wavefront6targetE1EEEvSK_.has_dyn_sized_stack, 0
	.set _ZN7rocprim17ROCPRIM_400000_NS6detail17trampoline_kernelINS0_14default_configENS1_35radix_sort_onesweep_config_selectorIbiEEZZNS1_29radix_sort_onesweep_iterationIS3_Lb0EN6thrust23THRUST_200600_302600_NS6detail15normal_iteratorINS8_10device_ptrIbEEEESD_NSA_INSB_IiEEEESF_jNS0_19identity_decomposerENS1_16block_id_wrapperIjLb0EEEEE10hipError_tT1_PNSt15iterator_traitsISK_E10value_typeET2_T3_PNSL_ISQ_E10value_typeET4_T5_PSV_SW_PNS1_23onesweep_lookback_stateEbbT6_jjT7_P12ihipStream_tbENKUlT_T0_SK_SP_E_clIPbSD_PiSF_EEDaS13_S14_SK_SP_EUlS13_E_NS1_11comp_targetILNS1_3genE8ELNS1_11target_archE1030ELNS1_3gpuE2ELNS1_3repE0EEENS1_47radix_sort_onesweep_sort_config_static_selectorELNS0_4arch9wavefront6targetE1EEEvSK_.has_recursion, 0
	.set _ZN7rocprim17ROCPRIM_400000_NS6detail17trampoline_kernelINS0_14default_configENS1_35radix_sort_onesweep_config_selectorIbiEEZZNS1_29radix_sort_onesweep_iterationIS3_Lb0EN6thrust23THRUST_200600_302600_NS6detail15normal_iteratorINS8_10device_ptrIbEEEESD_NSA_INSB_IiEEEESF_jNS0_19identity_decomposerENS1_16block_id_wrapperIjLb0EEEEE10hipError_tT1_PNSt15iterator_traitsISK_E10value_typeET2_T3_PNSL_ISQ_E10value_typeET4_T5_PSV_SW_PNS1_23onesweep_lookback_stateEbbT6_jjT7_P12ihipStream_tbENKUlT_T0_SK_SP_E_clIPbSD_PiSF_EEDaS13_S14_SK_SP_EUlS13_E_NS1_11comp_targetILNS1_3genE8ELNS1_11target_archE1030ELNS1_3gpuE2ELNS1_3repE0EEENS1_47radix_sort_onesweep_sort_config_static_selectorELNS0_4arch9wavefront6targetE1EEEvSK_.has_indirect_call, 0
	.section	.AMDGPU.csdata,"",@progbits
; Kernel info:
; codeLenInByte = 0
; TotalNumSgprs: 6
; NumVgprs: 0
; NumAgprs: 0
; TotalNumVgprs: 0
; ScratchSize: 0
; MemoryBound: 0
; FloatMode: 240
; IeeeMode: 1
; LDSByteSize: 0 bytes/workgroup (compile time only)
; SGPRBlocks: 0
; VGPRBlocks: 0
; NumSGPRsForWavesPerEU: 6
; NumVGPRsForWavesPerEU: 1
; AccumOffset: 4
; Occupancy: 8
; WaveLimiterHint : 0
; COMPUTE_PGM_RSRC2:SCRATCH_EN: 0
; COMPUTE_PGM_RSRC2:USER_SGPR: 2
; COMPUTE_PGM_RSRC2:TRAP_HANDLER: 0
; COMPUTE_PGM_RSRC2:TGID_X_EN: 1
; COMPUTE_PGM_RSRC2:TGID_Y_EN: 0
; COMPUTE_PGM_RSRC2:TGID_Z_EN: 0
; COMPUTE_PGM_RSRC2:TIDIG_COMP_CNT: 0
; COMPUTE_PGM_RSRC3_GFX90A:ACCUM_OFFSET: 0
; COMPUTE_PGM_RSRC3_GFX90A:TG_SPLIT: 0
	.section	.text._ZN7rocprim17ROCPRIM_400000_NS6detail17trampoline_kernelINS0_13kernel_configILj256ELj4ELj4294967295EEENS1_37radix_sort_block_sort_config_selectorIbiEEZNS1_21radix_sort_block_sortIS4_Lb1EN6thrust23THRUST_200600_302600_NS6detail15normal_iteratorINS9_10device_ptrIbEEEESE_NSB_INSC_IiEEEESG_NS0_19identity_decomposerEEE10hipError_tT1_T2_T3_T4_jRjT5_jjP12ihipStream_tbEUlT_E_NS1_11comp_targetILNS1_3genE0ELNS1_11target_archE4294967295ELNS1_3gpuE0ELNS1_3repE0EEENS1_44radix_sort_block_sort_config_static_selectorELNS0_4arch9wavefront6targetE1EEEvSJ_,"axG",@progbits,_ZN7rocprim17ROCPRIM_400000_NS6detail17trampoline_kernelINS0_13kernel_configILj256ELj4ELj4294967295EEENS1_37radix_sort_block_sort_config_selectorIbiEEZNS1_21radix_sort_block_sortIS4_Lb1EN6thrust23THRUST_200600_302600_NS6detail15normal_iteratorINS9_10device_ptrIbEEEESE_NSB_INSC_IiEEEESG_NS0_19identity_decomposerEEE10hipError_tT1_T2_T3_T4_jRjT5_jjP12ihipStream_tbEUlT_E_NS1_11comp_targetILNS1_3genE0ELNS1_11target_archE4294967295ELNS1_3gpuE0ELNS1_3repE0EEENS1_44radix_sort_block_sort_config_static_selectorELNS0_4arch9wavefront6targetE1EEEvSJ_,comdat
	.protected	_ZN7rocprim17ROCPRIM_400000_NS6detail17trampoline_kernelINS0_13kernel_configILj256ELj4ELj4294967295EEENS1_37radix_sort_block_sort_config_selectorIbiEEZNS1_21radix_sort_block_sortIS4_Lb1EN6thrust23THRUST_200600_302600_NS6detail15normal_iteratorINS9_10device_ptrIbEEEESE_NSB_INSC_IiEEEESG_NS0_19identity_decomposerEEE10hipError_tT1_T2_T3_T4_jRjT5_jjP12ihipStream_tbEUlT_E_NS1_11comp_targetILNS1_3genE0ELNS1_11target_archE4294967295ELNS1_3gpuE0ELNS1_3repE0EEENS1_44radix_sort_block_sort_config_static_selectorELNS0_4arch9wavefront6targetE1EEEvSJ_ ; -- Begin function _ZN7rocprim17ROCPRIM_400000_NS6detail17trampoline_kernelINS0_13kernel_configILj256ELj4ELj4294967295EEENS1_37radix_sort_block_sort_config_selectorIbiEEZNS1_21radix_sort_block_sortIS4_Lb1EN6thrust23THRUST_200600_302600_NS6detail15normal_iteratorINS9_10device_ptrIbEEEESE_NSB_INSC_IiEEEESG_NS0_19identity_decomposerEEE10hipError_tT1_T2_T3_T4_jRjT5_jjP12ihipStream_tbEUlT_E_NS1_11comp_targetILNS1_3genE0ELNS1_11target_archE4294967295ELNS1_3gpuE0ELNS1_3repE0EEENS1_44radix_sort_block_sort_config_static_selectorELNS0_4arch9wavefront6targetE1EEEvSJ_
	.globl	_ZN7rocprim17ROCPRIM_400000_NS6detail17trampoline_kernelINS0_13kernel_configILj256ELj4ELj4294967295EEENS1_37radix_sort_block_sort_config_selectorIbiEEZNS1_21radix_sort_block_sortIS4_Lb1EN6thrust23THRUST_200600_302600_NS6detail15normal_iteratorINS9_10device_ptrIbEEEESE_NSB_INSC_IiEEEESG_NS0_19identity_decomposerEEE10hipError_tT1_T2_T3_T4_jRjT5_jjP12ihipStream_tbEUlT_E_NS1_11comp_targetILNS1_3genE0ELNS1_11target_archE4294967295ELNS1_3gpuE0ELNS1_3repE0EEENS1_44radix_sort_block_sort_config_static_selectorELNS0_4arch9wavefront6targetE1EEEvSJ_
	.p2align	8
	.type	_ZN7rocprim17ROCPRIM_400000_NS6detail17trampoline_kernelINS0_13kernel_configILj256ELj4ELj4294967295EEENS1_37radix_sort_block_sort_config_selectorIbiEEZNS1_21radix_sort_block_sortIS4_Lb1EN6thrust23THRUST_200600_302600_NS6detail15normal_iteratorINS9_10device_ptrIbEEEESE_NSB_INSC_IiEEEESG_NS0_19identity_decomposerEEE10hipError_tT1_T2_T3_T4_jRjT5_jjP12ihipStream_tbEUlT_E_NS1_11comp_targetILNS1_3genE0ELNS1_11target_archE4294967295ELNS1_3gpuE0ELNS1_3repE0EEENS1_44radix_sort_block_sort_config_static_selectorELNS0_4arch9wavefront6targetE1EEEvSJ_,@function
_ZN7rocprim17ROCPRIM_400000_NS6detail17trampoline_kernelINS0_13kernel_configILj256ELj4ELj4294967295EEENS1_37radix_sort_block_sort_config_selectorIbiEEZNS1_21radix_sort_block_sortIS4_Lb1EN6thrust23THRUST_200600_302600_NS6detail15normal_iteratorINS9_10device_ptrIbEEEESE_NSB_INSC_IiEEEESG_NS0_19identity_decomposerEEE10hipError_tT1_T2_T3_T4_jRjT5_jjP12ihipStream_tbEUlT_E_NS1_11comp_targetILNS1_3genE0ELNS1_11target_archE4294967295ELNS1_3gpuE0ELNS1_3repE0EEENS1_44radix_sort_block_sort_config_static_selectorELNS0_4arch9wavefront6targetE1EEEvSJ_: ; @_ZN7rocprim17ROCPRIM_400000_NS6detail17trampoline_kernelINS0_13kernel_configILj256ELj4ELj4294967295EEENS1_37radix_sort_block_sort_config_selectorIbiEEZNS1_21radix_sort_block_sortIS4_Lb1EN6thrust23THRUST_200600_302600_NS6detail15normal_iteratorINS9_10device_ptrIbEEEESE_NSB_INSC_IiEEEESG_NS0_19identity_decomposerEEE10hipError_tT1_T2_T3_T4_jRjT5_jjP12ihipStream_tbEUlT_E_NS1_11comp_targetILNS1_3genE0ELNS1_11target_archE4294967295ELNS1_3gpuE0ELNS1_3repE0EEENS1_44radix_sort_block_sort_config_static_selectorELNS0_4arch9wavefront6targetE1EEEvSJ_
; %bb.0:
	s_load_dword s4, s[0:1], 0x20
	s_load_dwordx8 s[36:43], s[0:1], 0x0
	s_lshl_b32 s28, s2, 10
	v_mbcnt_lo_u32_b32 v1, -1, 0
	v_and_b32_e32 v8, 0x3ff, v0
	s_waitcnt lgkmcnt(0)
	s_lshr_b32 s3, s4, 10
	s_cmp_lg_u32 s2, s3
	s_cselect_b64 s[30:31], -1, 0
	s_add_u32 s6, s36, s28
	v_mbcnt_hi_u32_b32 v1, -1, v1
	s_addc_u32 s7, s37, 0
	v_and_b32_e32 v10, 63, v1
	v_lshlrev_b32_e32 v14, 2, v8
	v_mov_b32_e32 v11, 0
	v_and_b32_e32 v12, 0x300, v14
	v_lshl_add_u64 v[2:3], s[6:7], 0, v[10:11]
	v_mov_b32_e32 v13, v11
	s_mov_b32 s29, 0
	s_cmp_eq_u32 s2, s3
	v_lshl_add_u64 v[6:7], v[2:3], 0, v[12:13]
	v_lshlrev_b32_e32 v2, 2, v10
	v_lshlrev_b32_e32 v4, 2, v12
	v_or_b32_e32 v16, v10, v12
	s_cbranch_scc1 .LBB2095_2
; %bb.1:
	s_lshl_b64 s[2:3], s[28:29], 2
	s_add_u32 s2, s40, s2
	s_addc_u32 s3, s41, s3
	v_mov_b32_e32 v3, v11
	v_lshl_add_u64 v[20:21], s[2:3], 0, v[2:3]
	v_mov_b32_e32 v5, v11
	v_lshl_add_u64 v[20:21], v[20:21], 0, v[4:5]
	global_load_ubyte v17, v[6:7], off offset:192
	global_load_ubyte v15, v[6:7], off offset:128
	global_load_ubyte v18, v[6:7], off offset:64
	global_load_ubyte v13, v[6:7], off
	global_load_dword v28, v[20:21], off
	global_load_dword v29, v[20:21], off offset:256
	global_load_dword v30, v[20:21], off offset:512
	;; [unrolled: 1-line block ×3, first 2 shown]
	v_or_b32_e32 v9, v10, v12
	s_load_dwordx2 s[34:35], s[0:1], 0x28
	s_sub_i32 s33, s4, s28
	s_cbranch_execz .LBB2095_3
	s_branch .LBB2095_17
.LBB2095_2:
                                        ; implicit-def: $vgpr13
                                        ; implicit-def: $vgpr18
                                        ; implicit-def: $vgpr15
                                        ; implicit-def: $vgpr17
                                        ; implicit-def: $vgpr28_vgpr29_vgpr30_vgpr31
                                        ; implicit-def: $vgpr9
	s_load_dwordx2 s[34:35], s[0:1], 0x28
	s_sub_i32 s33, s4, s28
.LBB2095_3:
	v_cmp_gt_u32_e32 vcc, s33, v16
	s_waitcnt vmcnt(6)
	v_mov_b32_e32 v15, 0
	s_waitcnt vmcnt(4)
	v_mov_b32_e32 v13, 0
	v_mov_b32_e32 v17, 0
	s_and_saveexec_b64 s[2:3], vcc
	s_cbranch_execz .LBB2095_5
; %bb.4:
	global_load_ubyte v13, v[6:7], off
	v_mov_b32_e32 v17, 0
.LBB2095_5:
	s_or_b64 exec, exec, s[2:3]
	v_or_b32_e32 v3, 64, v16
	v_cmp_gt_u32_e64 s[2:3], s33, v3
	v_mov_b32_e32 v18, v15
	s_and_saveexec_b64 s[4:5], s[2:3]
	s_cbranch_execz .LBB2095_7
; %bb.6:
	global_load_ubyte v18, v[6:7], off offset:64
.LBB2095_7:
	s_or_b64 exec, exec, s[4:5]
	v_or_b32_e32 v3, 0x80, v16
	v_cmp_gt_u32_e64 s[4:5], s33, v3
	s_and_saveexec_b64 s[6:7], s[4:5]
	s_cbranch_execz .LBB2095_9
; %bb.8:
	global_load_ubyte v15, v[6:7], off offset:128
.LBB2095_9:
	s_or_b64 exec, exec, s[6:7]
	v_or_b32_e32 v3, 0xc0, v16
	v_cmp_gt_u32_e64 s[6:7], s33, v3
	s_and_saveexec_b64 s[8:9], s[6:7]
	s_cbranch_execz .LBB2095_11
; %bb.10:
	global_load_ubyte v17, v[6:7], off offset:192
.LBB2095_11:
	s_or_b64 exec, exec, s[8:9]
	s_lshl_b64 s[8:9], s[28:29], 2
	s_add_u32 s8, s40, s8
	s_addc_u32 s9, s41, s9
	v_mov_b32_e32 v3, 0
	v_lshl_add_u64 v[6:7], s[8:9], 0, v[2:3]
	v_mov_b32_e32 v5, v3
	v_lshl_add_u64 v[6:7], v[6:7], 0, v[4:5]
	v_mov_b32_e32 v2, v3
	v_mov_b32_e32 v4, v3
	s_and_saveexec_b64 s[8:9], vcc
	s_cbranch_execnz .LBB2095_54
; %bb.12:
	s_or_b64 exec, exec, s[8:9]
	s_and_saveexec_b64 s[8:9], s[2:3]
	s_cbranch_execnz .LBB2095_55
.LBB2095_13:
	s_or_b64 exec, exec, s[8:9]
	s_and_saveexec_b64 s[2:3], s[4:5]
	s_cbranch_execnz .LBB2095_56
.LBB2095_14:
	s_or_b64 exec, exec, s[2:3]
	s_and_saveexec_b64 s[2:3], s[6:7]
	s_cbranch_execz .LBB2095_16
.LBB2095_15:
	global_load_dword v5, v[6:7], off offset:768
.LBB2095_16:
	s_or_b64 exec, exec, s[2:3]
	s_waitcnt vmcnt(0)
	v_mov_b64_e32 v[30:31], v[4:5]
	v_mov_b64_e32 v[28:29], v[2:3]
	v_mov_b32_e32 v9, v16
.LBB2095_17:
	s_waitcnt vmcnt(7)
	v_and_b32_e32 v2, 1, v17
	v_cmp_eq_u32_e32 vcc, 1, v2
	s_waitcnt vmcnt(6)
	v_and_b32_e32 v2, 1, v15
	v_cmp_eq_u32_e64 s[2:3], 1, v2
	s_waitcnt vmcnt(5)
	v_and_b32_e32 v2, 1, v18
	s_xor_b64 s[2:3], s[2:3], -1
	v_cmp_eq_u32_e64 s[4:5], 1, v2
	s_waitcnt vmcnt(4)
	v_and_b32_e32 v2, 1, v13
	v_cndmask_b32_e64 v4, 0, 1, s[2:3]
	s_xor_b64 s[2:3], vcc, -1
	v_cmp_eq_u32_e64 s[6:7], 1, v2
	s_xor_b64 s[4:5], s[4:5], -1
	v_cndmask_b32_e64 v5, 0, 1, s[2:3]
	s_load_dword s2, s[0:1], 0x3c
	s_xor_b64 s[6:7], s[6:7], -1
	v_cndmask_b32_e64 v3, 0, 1, s[4:5]
	v_cndmask_b32_e64 v2, 0, 1, s[6:7]
	v_lshlrev_b16_e32 v3, 8, v3
	s_waitcnt lgkmcnt(0)
	s_add_i32 s36, s35, s34
	v_or_b32_e32 v2, v2, v3
	v_lshlrev_b16_e32 v3, 8, v5
	v_or_b32_sdwa v3, v4, v3 dst_sel:WORD_1 dst_unused:UNUSED_PAD src0_sel:DWORD src1_sel:DWORD
	s_getpc_b64 s[0:1]
	s_add_u32 s0, s0, _ZN7rocprim17ROCPRIM_400000_NS16block_radix_sortIbLj256ELj4EiLj1ELj1ELj0ELNS0_26block_radix_rank_algorithmE1ELNS0_18block_padding_hintE2ELNS0_4arch9wavefront6targetE1EE19radix_bits_per_passE@rel32@lo+4
	s_addc_u32 s1, s1, _ZN7rocprim17ROCPRIM_400000_NS16block_radix_sortIbLj256ELj4EiLj1ELj1ELj0ELNS0_26block_radix_rank_algorithmE1ELNS0_18block_padding_hintE2ELNS0_4arch9wavefront6targetE1EE19radix_bits_per_passE@rel32@hi+12
	v_or_b32_sdwa v19, v2, v3 dst_sel:DWORD dst_unused:UNUSED_PAD src0_sel:WORD_0 src1_sel:DWORD
	s_load_dword s37, s[0:1], 0x0
	s_lshr_b32 s0, s2, 16
	v_bfe_u32 v2, v0, 10, 10
	v_bfe_u32 v0, v0, 20, 10
	s_and_b32 s1, s2, 0xffff
	v_mad_u32_u24 v0, v0, s0, v2
	v_mad_u64_u32 v[2:3], s[0:1], v0, s1, v[8:9]
	v_lshrrev_b32_e32 v0, 4, v2
	v_and_b32_e32 v18, 0xffffffc, v0
	v_and_b32_e32 v0, 15, v1
	v_cmp_eq_u32_e64 s[0:1], 0, v0
	v_cmp_lt_u32_e64 s[2:3], 1, v0
	v_cmp_lt_u32_e64 s[4:5], 3, v0
	;; [unrolled: 1-line block ×3, first 2 shown]
	v_and_b32_e32 v0, 16, v1
	v_cmp_eq_u32_e64 s[8:9], 0, v0
	v_and_b32_e32 v0, 0x3c0, v8
	v_min_u32_e32 v0, 0xc0, v0
	v_or_b32_e32 v0, 63, v0
	v_cmp_eq_u32_e64 s[12:13], v8, v0
	v_subrev_co_u32_e64 v0, s[18:19], 1, v1
	v_and_b32_e32 v2, 64, v1
	v_cmp_lt_i32_e32 vcc, v0, v2
	s_mov_b32 s26, 0
	s_mov_b32 s27, s26
	v_cndmask_b32_e32 v0, v0, v1, vcc
	v_lshlrev_b32_e32 v20, 2, v0
	v_lshrrev_b32_e32 v0, 4, v8
	v_and_b32_e32 v21, 60, v0
	v_and_b32_e32 v0, 3, v1
	v_cmp_eq_u32_e64 s[22:23], 0, v0
	v_cmp_lt_u32_e64 s[24:25], 1, v0
	v_mul_i32_i24_e32 v0, 3, v9
	s_mov_b32 s40, s26
	s_mov_b32 s41, s26
	v_lshlrev_b32_e32 v16, 2, v14
	v_cmp_lt_u32_e64 s[10:11], 31, v1
	v_cmp_gt_u32_e64 s[14:15], 4, v8
	v_cmp_lt_u32_e64 s[16:17], 63, v8
	v_cmp_eq_u32_e64 s[20:21], 0, v8
	v_mul_i32_i24_e32 v17, -12, v8
	v_add_u32_e32 v22, -4, v21
	v_mov_b64_e32 v[10:11], s[26:27]
	v_mov_b64_e32 v[12:13], s[40:41]
	v_mov_b32_e32 v15, 0
	s_mov_b32 s40, 0xc0c0004
	v_add_u32_e32 v23, v9, v0
	s_branch .LBB2095_19
.LBB2095_18:                            ;   in Loop: Header=BB2095_19 Depth=1
	s_andn2_b64 vcc, exec, s[26:27]
	s_mov_b32 s35, s41
	s_cbranch_vccz .LBB2095_35
.LBB2095_19:                            ; =>This Inner Loop Header: Depth=1
	s_waitcnt lgkmcnt(0)
	s_min_u32 s26, s37, s35
	s_lshl_b32 s41, -1, s26
	v_lshrrev_b32_sdwa v4, s34, v19 dst_sel:DWORD dst_unused:UNUSED_PAD src0_sel:DWORD src1_sel:BYTE_0
	v_bitop3_b32 v14, v4, s41, v4 bitop3:0x30
	v_cmp_ne_u32_e32 vcc, 0, v14
	v_lshl_add_u64 v[4:5], v[14:15], 0, -1
	s_waitcnt vmcnt(0)
	v_mov_b64_e32 v[0:1], v[28:29]
	v_xor_b32_e32 v4, vcc_lo, v4
	v_xor_b32_e32 v5, vcc_hi, v5
	v_and_b32_e32 v4, exec_lo, v4
	v_and_b32_e32 v5, exec_hi, v5
	v_mbcnt_lo_u32_b32 v7, v4, 0
	v_mbcnt_hi_u32_b32 v24, v5, v7
	v_lshlrev_b32_e32 v6, 4, v14
	v_cmp_eq_u32_e32 vcc, 0, v24
	v_cmp_ne_u64_e64 s[26:27], 0, v[4:5]
	v_mov_b64_e32 v[2:3], v[30:31]
	s_and_b64 s[44:45], s[26:27], vcc
	v_add_u32_e32 v26, v18, v6
	ds_write2_b64 v16, v[10:11], v[12:13] offset0:2 offset1:3
	s_waitcnt lgkmcnt(0)
	s_barrier
	; wave barrier
	s_and_saveexec_b64 s[26:27], s[44:45]
; %bb.20:                               ;   in Loop: Header=BB2095_19 Depth=1
	v_bcnt_u32_b32 v4, v4, 0
	v_bcnt_u32_b32 v4, v5, v4
	ds_write_b32 v26, v4 offset:16
; %bb.21:                               ;   in Loop: Header=BB2095_19 Depth=1
	s_or_b64 exec, exec, s[26:27]
	s_not_b32 s41, s41
	v_lshrrev_b32_sdwa v4, s34, v19 dst_sel:DWORD dst_unused:UNUSED_PAD src0_sel:DWORD src1_sel:BYTE_1
	v_and_b32_e32 v14, s41, v4
	v_lshlrev_b32_e32 v4, 4, v14
	v_add_u32_e32 v28, v18, v4
	v_cmp_ne_u32_e32 vcc, 0, v14
	v_lshl_add_u64 v[4:5], v[14:15], 0, -1
	s_nop 0
	v_xor_b32_e32 v4, vcc_lo, v4
	; wave barrier
	ds_read_b32 v27, v28 offset:16
	v_xor_b32_e32 v5, vcc_hi, v5
	v_and_b32_e32 v4, exec_lo, v4
	v_and_b32_e32 v5, exec_hi, v5
	v_mbcnt_lo_u32_b32 v6, v4, 0
	v_mbcnt_hi_u32_b32 v29, v5, v6
	v_cmp_eq_u32_e32 vcc, 0, v29
	v_cmp_ne_u64_e64 s[26:27], 0, v[4:5]
	s_and_b64 s[44:45], s[26:27], vcc
	; wave barrier
	s_and_saveexec_b64 s[26:27], s[44:45]
	s_cbranch_execz .LBB2095_23
; %bb.22:                               ;   in Loop: Header=BB2095_19 Depth=1
	v_bcnt_u32_b32 v4, v4, 0
	v_bcnt_u32_b32 v4, v5, v4
	s_waitcnt lgkmcnt(0)
	v_add_u32_e32 v4, v27, v4
	ds_write_b32 v28, v4 offset:16
.LBB2095_23:                            ;   in Loop: Header=BB2095_19 Depth=1
	s_or_b64 exec, exec, s[26:27]
	v_lshrrev_b32_sdwa v4, s34, v19 dst_sel:DWORD dst_unused:UNUSED_PAD src0_sel:DWORD src1_sel:BYTE_2
	v_and_b32_e32 v14, s41, v4
	v_lshlrev_b32_e32 v4, 4, v14
	v_add_u32_e32 v31, v18, v4
	v_cmp_ne_u32_e32 vcc, 0, v14
	v_lshl_add_u64 v[4:5], v[14:15], 0, -1
	s_nop 0
	v_xor_b32_e32 v4, vcc_lo, v4
	; wave barrier
	ds_read_b32 v30, v31 offset:16
	v_xor_b32_e32 v5, vcc_hi, v5
	v_and_b32_e32 v4, exec_lo, v4
	v_and_b32_e32 v5, exec_hi, v5
	v_mbcnt_lo_u32_b32 v6, v4, 0
	v_mbcnt_hi_u32_b32 v32, v5, v6
	v_cmp_eq_u32_e32 vcc, 0, v32
	v_cmp_ne_u64_e64 s[26:27], 0, v[4:5]
	s_and_b64 s[44:45], s[26:27], vcc
	; wave barrier
	s_and_saveexec_b64 s[26:27], s[44:45]
	s_cbranch_execz .LBB2095_25
; %bb.24:                               ;   in Loop: Header=BB2095_19 Depth=1
	v_bcnt_u32_b32 v4, v4, 0
	v_bcnt_u32_b32 v4, v5, v4
	s_waitcnt lgkmcnt(0)
	v_add_u32_e32 v4, v30, v4
	ds_write_b32 v31, v4 offset:16
.LBB2095_25:                            ;   in Loop: Header=BB2095_19 Depth=1
	s_or_b64 exec, exec, s[26:27]
	v_lshrrev_b32_e32 v25, 24, v19
	v_lshrrev_b32_e32 v4, s34, v25
	v_and_b32_e32 v14, s41, v4
	v_lshlrev_b32_e32 v4, 4, v14
	v_add_u32_e32 v34, v18, v4
	v_cmp_ne_u32_e32 vcc, 0, v14
	v_lshl_add_u64 v[4:5], v[14:15], 0, -1
	s_nop 0
	v_xor_b32_e32 v4, vcc_lo, v4
	; wave barrier
	ds_read_b32 v33, v34 offset:16
	v_xor_b32_e32 v5, vcc_hi, v5
	v_and_b32_e32 v4, exec_lo, v4
	v_and_b32_e32 v5, exec_hi, v5
	v_mbcnt_lo_u32_b32 v6, v4, 0
	v_mbcnt_hi_u32_b32 v35, v5, v6
	v_cmp_eq_u32_e32 vcc, 0, v35
	v_cmp_ne_u64_e64 s[26:27], 0, v[4:5]
	s_and_b64 s[44:45], s[26:27], vcc
	; wave barrier
	s_and_saveexec_b64 s[26:27], s[44:45]
	s_cbranch_execz .LBB2095_27
; %bb.26:                               ;   in Loop: Header=BB2095_19 Depth=1
	v_bcnt_u32_b32 v4, v4, 0
	v_bcnt_u32_b32 v4, v5, v4
	s_waitcnt lgkmcnt(0)
	v_add_u32_e32 v4, v33, v4
	ds_write_b32 v34, v4 offset:16
.LBB2095_27:                            ;   in Loop: Header=BB2095_19 Depth=1
	s_or_b64 exec, exec, s[26:27]
	; wave barrier
	s_waitcnt lgkmcnt(0)
	s_barrier
	ds_read2_b64 v[4:7], v16 offset0:2 offset1:3
	s_waitcnt lgkmcnt(0)
	v_add_u32_e32 v14, v5, v4
	v_add3_u32 v7, v14, v6, v7
	s_nop 1
	v_mov_b32_dpp v14, v7 row_shr:1 row_mask:0xf bank_mask:0xf
	v_cndmask_b32_e64 v14, v14, 0, s[0:1]
	v_add_u32_e32 v7, v14, v7
	s_nop 1
	v_mov_b32_dpp v14, v7 row_shr:2 row_mask:0xf bank_mask:0xf
	v_cndmask_b32_e64 v14, 0, v14, s[2:3]
	v_add_u32_e32 v7, v7, v14
	;; [unrolled: 4-line block ×4, first 2 shown]
	s_nop 1
	v_mov_b32_dpp v14, v7 row_bcast:15 row_mask:0xf bank_mask:0xf
	v_cndmask_b32_e64 v14, v14, 0, s[8:9]
	v_add_u32_e32 v7, v7, v14
	s_nop 1
	v_mov_b32_dpp v14, v7 row_bcast:31 row_mask:0xf bank_mask:0xf
	v_cndmask_b32_e64 v14, 0, v14, s[10:11]
	v_add_u32_e32 v7, v7, v14
	s_and_saveexec_b64 s[26:27], s[12:13]
; %bb.28:                               ;   in Loop: Header=BB2095_19 Depth=1
	ds_write_b32 v21, v7
; %bb.29:                               ;   in Loop: Header=BB2095_19 Depth=1
	s_or_b64 exec, exec, s[26:27]
	s_waitcnt lgkmcnt(0)
	s_barrier
	s_and_saveexec_b64 s[26:27], s[14:15]
	s_cbranch_execz .LBB2095_31
; %bb.30:                               ;   in Loop: Header=BB2095_19 Depth=1
	v_add_u32_e32 v14, v16, v17
	ds_read_b32 v36, v14
	s_waitcnt lgkmcnt(0)
	s_nop 0
	v_mov_b32_dpp v37, v36 row_shr:1 row_mask:0xf bank_mask:0xf
	v_cndmask_b32_e64 v37, v37, 0, s[22:23]
	v_add_u32_e32 v36, v37, v36
	s_nop 1
	v_mov_b32_dpp v37, v36 row_shr:2 row_mask:0xf bank_mask:0xf
	v_cndmask_b32_e64 v37, 0, v37, s[24:25]
	v_add_u32_e32 v36, v36, v37
	ds_write_b32 v14, v36
.LBB2095_31:                            ;   in Loop: Header=BB2095_19 Depth=1
	s_or_b64 exec, exec, s[26:27]
	v_mov_b32_e32 v14, 0
	s_waitcnt lgkmcnt(0)
	s_barrier
	s_and_saveexec_b64 s[26:27], s[16:17]
; %bb.32:                               ;   in Loop: Header=BB2095_19 Depth=1
	ds_read_b32 v14, v22
; %bb.33:                               ;   in Loop: Header=BB2095_19 Depth=1
	s_or_b64 exec, exec, s[26:27]
	s_waitcnt lgkmcnt(0)
	v_add_u32_e32 v7, v14, v7
	ds_bpermute_b32 v37, v20, v7
	s_add_i32 s34, s34, 8
	v_mov_b32_e32 v7, v19
	v_lshrrev_b32_e32 v36, 8, v19
	s_cmp_ge_u32 s34, s36
	s_waitcnt lgkmcnt(0)
	v_cndmask_b32_e64 v14, v37, v14, s[18:19]
	v_cndmask_b32_e64 v38, v14, 0, s[20:21]
	v_add_u32_e32 v39, v38, v4
	v_add_u32_e32 v4, v39, v5
	;; [unrolled: 1-line block ×3, first 2 shown]
	ds_write2_b64 v16, v[38:39], v[4:5] offset0:2 offset1:3
	s_waitcnt lgkmcnt(0)
	s_barrier
	ds_read_b32 v4, v26 offset:16
	ds_read_b32 v6, v28 offset:16
	;; [unrolled: 1-line block ×4, first 2 shown]
	v_lshrrev_b32_e32 v26, 16, v19
	s_waitcnt lgkmcnt(3)
	v_add_u32_e32 v5, v4, v24
	s_waitcnt lgkmcnt(2)
	v_add3_u32 v14, v29, v27, v6
	s_waitcnt lgkmcnt(1)
	v_add3_u32 v6, v32, v30, v28
	;; [unrolled: 2-line block ×3, first 2 shown]
	v_lshl_add_u32 v24, v5, 1, v5
	s_mov_b64 s[26:27], -1
	v_readfirstlane_b32 s41, v0
                                        ; implicit-def: $vgpr28_vgpr29_vgpr30_vgpr31
	s_cbranch_scc1 .LBB2095_18
; %bb.34:                               ;   in Loop: Header=BB2095_19 Depth=1
	s_barrier
	ds_write_b8 v5, v19
	ds_write_b8 v14, v36
	;; [unrolled: 1-line block ×4, first 2 shown]
	s_waitcnt lgkmcnt(0)
	s_barrier
	ds_read_u8 v19, v9 offset:64
	ds_read_u8 v27, v9 offset:128
	ds_read_u8 v28, v9
	ds_read_u8 v29, v9 offset:192
	s_waitcnt lgkmcnt(0)
	s_barrier
	v_perm_b32 v19, v28, v19, s40
	v_perm_b32 v27, v27, v29, s40
	v_lshl_or_b32 v19, v27, 16, v19
	v_add_u32_e32 v27, v5, v24
	v_mad_u64_u32 v[28:29], s[26:27], v14, 3, v[14:15]
	ds_write_b32 v27, v0
	ds_write_b32 v28, v1
	v_mad_u64_u32 v[28:29], s[26:27], v6, 3, v[6:7]
	ds_write_b32 v28, v2
	v_mad_u64_u32 v[28:29], s[26:27], v4, 3, v[4:5]
	ds_write_b32 v28, v3
	s_waitcnt lgkmcnt(0)
	s_barrier
	ds_read2st64_b32 v[28:29], v23 offset1:1
	ds_read2st64_b32 v[30:31], v23 offset0:2 offset1:3
	s_add_i32 s41, s35, -8
	s_mov_b64 s[26:27], 0
	s_waitcnt lgkmcnt(0)
	s_barrier
	s_branch .LBB2095_18
.LBB2095_35:
	s_barrier
	ds_write_b8 v5, v7
	ds_write_b8 v14, v36
	;; [unrolled: 1-line block ×4, first 2 shown]
	s_waitcnt lgkmcnt(0)
	s_barrier
	ds_read_u8 v7, v8
	ds_read_u8 v9, v8 offset:256
	ds_read_u8 v13, v8 offset:512
	;; [unrolled: 1-line block ×3, first 2 shown]
	v_add_u32_e32 v5, v5, v24
	s_waitcnt lgkmcnt(0)
	s_barrier
	v_mad_u64_u32 v[10:11], s[0:1], v14, 3, v[14:15]
	ds_write_b32 v5, v0
	ds_write_b32 v10, v1
	v_mad_u64_u32 v[0:1], s[0:1], v6, 3, v[6:7]
	ds_write_b32 v0, v2
	v_mad_u64_u32 v[0:1], s[0:1], v4, 3, v[4:5]
	ds_write_b32 v0, v3
	v_add_u32_e32 v0, v16, v17
	s_waitcnt lgkmcnt(0)
	s_barrier
	ds_read2st64_b32 v[4:5], v0 offset1:4
	ds_read2st64_b32 v[0:1], v0 offset0:8 offset1:12
	s_add_u32 s0, s38, s28
	v_xor_b32_e32 v11, 1, v9
	s_addc_u32 s1, s39, 0
	v_mov_b32_e32 v9, 0
	v_xor_b32_e32 v12, 1, v7
	v_xor_b32_e32 v10, 1, v13
	v_xor_b32_e32 v3, 1, v15
	v_lshl_add_u64 v[6:7], s[0:1], 0, v[8:9]
	s_andn2_b64 vcc, exec, s[30:31]
	v_lshlrev_b32_e32 v2, 2, v8
	s_cbranch_vccnz .LBB2095_37
; %bb.36:
	s_lshl_b64 s[0:1], s[28:29], 2
	s_add_u32 s0, s42, s0
	s_addc_u32 s1, s43, s1
	global_store_byte v[6:7], v12, off
	global_store_byte v[6:7], v11, off offset:256
	global_store_byte v[6:7], v10, off offset:512
	;; [unrolled: 1-line block ×3, first 2 shown]
	s_waitcnt lgkmcnt(1)
	global_store_dword v2, v4, s[0:1]
	global_store_dword v2, v5, s[0:1] offset:1024
	s_waitcnt lgkmcnt(0)
	global_store_dword v2, v0, s[0:1] offset:2048
	s_mov_b64 s[4:5], -1
	s_cbranch_execz .LBB2095_38
	s_branch .LBB2095_51
.LBB2095_37:
	s_mov_b64 s[4:5], 0
.LBB2095_38:
	v_cmp_gt_u32_e32 vcc, s33, v8
	s_and_saveexec_b64 s[0:1], vcc
	s_cbranch_execz .LBB2095_40
; %bb.39:
	global_store_byte v[6:7], v12, off
.LBB2095_40:
	s_or_b64 exec, exec, s[0:1]
	v_add_u32_e32 v9, 0x100, v8
	v_cmp_gt_u32_e64 s[0:1], s33, v9
	s_and_saveexec_b64 s[2:3], s[0:1]
	s_cbranch_execz .LBB2095_42
; %bb.41:
	global_store_byte v[6:7], v11, off offset:256
.LBB2095_42:
	s_or_b64 exec, exec, s[2:3]
	v_add_u32_e32 v9, 0x200, v8
	v_cmp_gt_u32_e64 s[2:3], s33, v9
	s_and_saveexec_b64 s[4:5], s[2:3]
	s_cbranch_execz .LBB2095_44
; %bb.43:
	global_store_byte v[6:7], v10, off offset:512
.LBB2095_44:
	;; [unrolled: 8-line block ×3, first 2 shown]
	s_or_b64 exec, exec, s[6:7]
	s_lshl_b64 s[6:7], s[28:29], 2
	s_add_u32 s6, s42, s6
	s_addc_u32 s7, s43, s7
	v_mov_b32_e32 v3, 0
	v_lshl_add_u64 v[6:7], s[6:7], 0, v[2:3]
	s_and_saveexec_b64 s[6:7], vcc
	s_cbranch_execnz .LBB2095_57
; %bb.47:
	s_or_b64 exec, exec, s[6:7]
	s_and_saveexec_b64 s[6:7], s[0:1]
	s_cbranch_execnz .LBB2095_58
.LBB2095_48:
	s_or_b64 exec, exec, s[6:7]
	s_and_saveexec_b64 s[0:1], s[2:3]
	s_cbranch_execz .LBB2095_50
.LBB2095_49:
	s_waitcnt lgkmcnt(0)
	global_store_dword v[6:7], v0, off offset:2048
.LBB2095_50:
	s_or_b64 exec, exec, s[0:1]
.LBB2095_51:
	s_and_saveexec_b64 s[0:1], s[4:5]
	s_cbranch_execnz .LBB2095_53
; %bb.52:
	s_endpgm
.LBB2095_53:
	s_lshl_b64 s[0:1], s[28:29], 2
	s_add_u32 s0, s42, s0
	s_addc_u32 s1, s43, s1
	s_waitcnt lgkmcnt(0)
	global_store_dword v2, v1, s[0:1] offset:3072
	s_endpgm
.LBB2095_54:
	global_load_dword v2, v[6:7], off
	v_mov_b32_e32 v4, v3
	v_mov_b32_e32 v5, v3
	s_or_b64 exec, exec, s[8:9]
	s_and_saveexec_b64 s[8:9], s[2:3]
	s_cbranch_execz .LBB2095_13
.LBB2095_55:
	global_load_dword v3, v[6:7], off offset:256
	s_or_b64 exec, exec, s[8:9]
	s_and_saveexec_b64 s[2:3], s[4:5]
	s_cbranch_execz .LBB2095_14
.LBB2095_56:
	global_load_dword v4, v[6:7], off offset:512
	s_or_b64 exec, exec, s[2:3]
	s_and_saveexec_b64 s[2:3], s[6:7]
	s_cbranch_execnz .LBB2095_15
	s_branch .LBB2095_16
.LBB2095_57:
	s_waitcnt lgkmcnt(1)
	global_store_dword v[6:7], v4, off
	s_or_b64 exec, exec, s[6:7]
	s_and_saveexec_b64 s[6:7], s[0:1]
	s_cbranch_execz .LBB2095_48
.LBB2095_58:
	s_waitcnt lgkmcnt(1)
	global_store_dword v[6:7], v5, off offset:1024
	s_or_b64 exec, exec, s[6:7]
	s_and_saveexec_b64 s[0:1], s[2:3]
	s_cbranch_execnz .LBB2095_49
	s_branch .LBB2095_50
	.section	.rodata,"a",@progbits
	.p2align	6, 0x0
	.amdhsa_kernel _ZN7rocprim17ROCPRIM_400000_NS6detail17trampoline_kernelINS0_13kernel_configILj256ELj4ELj4294967295EEENS1_37radix_sort_block_sort_config_selectorIbiEEZNS1_21radix_sort_block_sortIS4_Lb1EN6thrust23THRUST_200600_302600_NS6detail15normal_iteratorINS9_10device_ptrIbEEEESE_NSB_INSC_IiEEEESG_NS0_19identity_decomposerEEE10hipError_tT1_T2_T3_T4_jRjT5_jjP12ihipStream_tbEUlT_E_NS1_11comp_targetILNS1_3genE0ELNS1_11target_archE4294967295ELNS1_3gpuE0ELNS1_3repE0EEENS1_44radix_sort_block_sort_config_static_selectorELNS0_4arch9wavefront6targetE1EEEvSJ_
		.amdhsa_group_segment_fixed_size 4112
		.amdhsa_private_segment_fixed_size 0
		.amdhsa_kernarg_size 304
		.amdhsa_user_sgpr_count 2
		.amdhsa_user_sgpr_dispatch_ptr 0
		.amdhsa_user_sgpr_queue_ptr 0
		.amdhsa_user_sgpr_kernarg_segment_ptr 1
		.amdhsa_user_sgpr_dispatch_id 0
		.amdhsa_user_sgpr_kernarg_preload_length 0
		.amdhsa_user_sgpr_kernarg_preload_offset 0
		.amdhsa_user_sgpr_private_segment_size 0
		.amdhsa_uses_dynamic_stack 0
		.amdhsa_enable_private_segment 0
		.amdhsa_system_sgpr_workgroup_id_x 1
		.amdhsa_system_sgpr_workgroup_id_y 0
		.amdhsa_system_sgpr_workgroup_id_z 0
		.amdhsa_system_sgpr_workgroup_info 0
		.amdhsa_system_vgpr_workitem_id 2
		.amdhsa_next_free_vgpr 40
		.amdhsa_next_free_sgpr 46
		.amdhsa_accum_offset 40
		.amdhsa_reserve_vcc 1
		.amdhsa_float_round_mode_32 0
		.amdhsa_float_round_mode_16_64 0
		.amdhsa_float_denorm_mode_32 3
		.amdhsa_float_denorm_mode_16_64 3
		.amdhsa_dx10_clamp 1
		.amdhsa_ieee_mode 1
		.amdhsa_fp16_overflow 0
		.amdhsa_tg_split 0
		.amdhsa_exception_fp_ieee_invalid_op 0
		.amdhsa_exception_fp_denorm_src 0
		.amdhsa_exception_fp_ieee_div_zero 0
		.amdhsa_exception_fp_ieee_overflow 0
		.amdhsa_exception_fp_ieee_underflow 0
		.amdhsa_exception_fp_ieee_inexact 0
		.amdhsa_exception_int_div_zero 0
	.end_amdhsa_kernel
	.section	.text._ZN7rocprim17ROCPRIM_400000_NS6detail17trampoline_kernelINS0_13kernel_configILj256ELj4ELj4294967295EEENS1_37radix_sort_block_sort_config_selectorIbiEEZNS1_21radix_sort_block_sortIS4_Lb1EN6thrust23THRUST_200600_302600_NS6detail15normal_iteratorINS9_10device_ptrIbEEEESE_NSB_INSC_IiEEEESG_NS0_19identity_decomposerEEE10hipError_tT1_T2_T3_T4_jRjT5_jjP12ihipStream_tbEUlT_E_NS1_11comp_targetILNS1_3genE0ELNS1_11target_archE4294967295ELNS1_3gpuE0ELNS1_3repE0EEENS1_44radix_sort_block_sort_config_static_selectorELNS0_4arch9wavefront6targetE1EEEvSJ_,"axG",@progbits,_ZN7rocprim17ROCPRIM_400000_NS6detail17trampoline_kernelINS0_13kernel_configILj256ELj4ELj4294967295EEENS1_37radix_sort_block_sort_config_selectorIbiEEZNS1_21radix_sort_block_sortIS4_Lb1EN6thrust23THRUST_200600_302600_NS6detail15normal_iteratorINS9_10device_ptrIbEEEESE_NSB_INSC_IiEEEESG_NS0_19identity_decomposerEEE10hipError_tT1_T2_T3_T4_jRjT5_jjP12ihipStream_tbEUlT_E_NS1_11comp_targetILNS1_3genE0ELNS1_11target_archE4294967295ELNS1_3gpuE0ELNS1_3repE0EEENS1_44radix_sort_block_sort_config_static_selectorELNS0_4arch9wavefront6targetE1EEEvSJ_,comdat
.Lfunc_end2095:
	.size	_ZN7rocprim17ROCPRIM_400000_NS6detail17trampoline_kernelINS0_13kernel_configILj256ELj4ELj4294967295EEENS1_37radix_sort_block_sort_config_selectorIbiEEZNS1_21radix_sort_block_sortIS4_Lb1EN6thrust23THRUST_200600_302600_NS6detail15normal_iteratorINS9_10device_ptrIbEEEESE_NSB_INSC_IiEEEESG_NS0_19identity_decomposerEEE10hipError_tT1_T2_T3_T4_jRjT5_jjP12ihipStream_tbEUlT_E_NS1_11comp_targetILNS1_3genE0ELNS1_11target_archE4294967295ELNS1_3gpuE0ELNS1_3repE0EEENS1_44radix_sort_block_sort_config_static_selectorELNS0_4arch9wavefront6targetE1EEEvSJ_, .Lfunc_end2095-_ZN7rocprim17ROCPRIM_400000_NS6detail17trampoline_kernelINS0_13kernel_configILj256ELj4ELj4294967295EEENS1_37radix_sort_block_sort_config_selectorIbiEEZNS1_21radix_sort_block_sortIS4_Lb1EN6thrust23THRUST_200600_302600_NS6detail15normal_iteratorINS9_10device_ptrIbEEEESE_NSB_INSC_IiEEEESG_NS0_19identity_decomposerEEE10hipError_tT1_T2_T3_T4_jRjT5_jjP12ihipStream_tbEUlT_E_NS1_11comp_targetILNS1_3genE0ELNS1_11target_archE4294967295ELNS1_3gpuE0ELNS1_3repE0EEENS1_44radix_sort_block_sort_config_static_selectorELNS0_4arch9wavefront6targetE1EEEvSJ_
                                        ; -- End function
	.set _ZN7rocprim17ROCPRIM_400000_NS6detail17trampoline_kernelINS0_13kernel_configILj256ELj4ELj4294967295EEENS1_37radix_sort_block_sort_config_selectorIbiEEZNS1_21radix_sort_block_sortIS4_Lb1EN6thrust23THRUST_200600_302600_NS6detail15normal_iteratorINS9_10device_ptrIbEEEESE_NSB_INSC_IiEEEESG_NS0_19identity_decomposerEEE10hipError_tT1_T2_T3_T4_jRjT5_jjP12ihipStream_tbEUlT_E_NS1_11comp_targetILNS1_3genE0ELNS1_11target_archE4294967295ELNS1_3gpuE0ELNS1_3repE0EEENS1_44radix_sort_block_sort_config_static_selectorELNS0_4arch9wavefront6targetE1EEEvSJ_.num_vgpr, 40
	.set _ZN7rocprim17ROCPRIM_400000_NS6detail17trampoline_kernelINS0_13kernel_configILj256ELj4ELj4294967295EEENS1_37radix_sort_block_sort_config_selectorIbiEEZNS1_21radix_sort_block_sortIS4_Lb1EN6thrust23THRUST_200600_302600_NS6detail15normal_iteratorINS9_10device_ptrIbEEEESE_NSB_INSC_IiEEEESG_NS0_19identity_decomposerEEE10hipError_tT1_T2_T3_T4_jRjT5_jjP12ihipStream_tbEUlT_E_NS1_11comp_targetILNS1_3genE0ELNS1_11target_archE4294967295ELNS1_3gpuE0ELNS1_3repE0EEENS1_44radix_sort_block_sort_config_static_selectorELNS0_4arch9wavefront6targetE1EEEvSJ_.num_agpr, 0
	.set _ZN7rocprim17ROCPRIM_400000_NS6detail17trampoline_kernelINS0_13kernel_configILj256ELj4ELj4294967295EEENS1_37radix_sort_block_sort_config_selectorIbiEEZNS1_21radix_sort_block_sortIS4_Lb1EN6thrust23THRUST_200600_302600_NS6detail15normal_iteratorINS9_10device_ptrIbEEEESE_NSB_INSC_IiEEEESG_NS0_19identity_decomposerEEE10hipError_tT1_T2_T3_T4_jRjT5_jjP12ihipStream_tbEUlT_E_NS1_11comp_targetILNS1_3genE0ELNS1_11target_archE4294967295ELNS1_3gpuE0ELNS1_3repE0EEENS1_44radix_sort_block_sort_config_static_selectorELNS0_4arch9wavefront6targetE1EEEvSJ_.numbered_sgpr, 46
	.set _ZN7rocprim17ROCPRIM_400000_NS6detail17trampoline_kernelINS0_13kernel_configILj256ELj4ELj4294967295EEENS1_37radix_sort_block_sort_config_selectorIbiEEZNS1_21radix_sort_block_sortIS4_Lb1EN6thrust23THRUST_200600_302600_NS6detail15normal_iteratorINS9_10device_ptrIbEEEESE_NSB_INSC_IiEEEESG_NS0_19identity_decomposerEEE10hipError_tT1_T2_T3_T4_jRjT5_jjP12ihipStream_tbEUlT_E_NS1_11comp_targetILNS1_3genE0ELNS1_11target_archE4294967295ELNS1_3gpuE0ELNS1_3repE0EEENS1_44radix_sort_block_sort_config_static_selectorELNS0_4arch9wavefront6targetE1EEEvSJ_.num_named_barrier, 0
	.set _ZN7rocprim17ROCPRIM_400000_NS6detail17trampoline_kernelINS0_13kernel_configILj256ELj4ELj4294967295EEENS1_37radix_sort_block_sort_config_selectorIbiEEZNS1_21radix_sort_block_sortIS4_Lb1EN6thrust23THRUST_200600_302600_NS6detail15normal_iteratorINS9_10device_ptrIbEEEESE_NSB_INSC_IiEEEESG_NS0_19identity_decomposerEEE10hipError_tT1_T2_T3_T4_jRjT5_jjP12ihipStream_tbEUlT_E_NS1_11comp_targetILNS1_3genE0ELNS1_11target_archE4294967295ELNS1_3gpuE0ELNS1_3repE0EEENS1_44radix_sort_block_sort_config_static_selectorELNS0_4arch9wavefront6targetE1EEEvSJ_.private_seg_size, 0
	.set _ZN7rocprim17ROCPRIM_400000_NS6detail17trampoline_kernelINS0_13kernel_configILj256ELj4ELj4294967295EEENS1_37radix_sort_block_sort_config_selectorIbiEEZNS1_21radix_sort_block_sortIS4_Lb1EN6thrust23THRUST_200600_302600_NS6detail15normal_iteratorINS9_10device_ptrIbEEEESE_NSB_INSC_IiEEEESG_NS0_19identity_decomposerEEE10hipError_tT1_T2_T3_T4_jRjT5_jjP12ihipStream_tbEUlT_E_NS1_11comp_targetILNS1_3genE0ELNS1_11target_archE4294967295ELNS1_3gpuE0ELNS1_3repE0EEENS1_44radix_sort_block_sort_config_static_selectorELNS0_4arch9wavefront6targetE1EEEvSJ_.uses_vcc, 1
	.set _ZN7rocprim17ROCPRIM_400000_NS6detail17trampoline_kernelINS0_13kernel_configILj256ELj4ELj4294967295EEENS1_37radix_sort_block_sort_config_selectorIbiEEZNS1_21radix_sort_block_sortIS4_Lb1EN6thrust23THRUST_200600_302600_NS6detail15normal_iteratorINS9_10device_ptrIbEEEESE_NSB_INSC_IiEEEESG_NS0_19identity_decomposerEEE10hipError_tT1_T2_T3_T4_jRjT5_jjP12ihipStream_tbEUlT_E_NS1_11comp_targetILNS1_3genE0ELNS1_11target_archE4294967295ELNS1_3gpuE0ELNS1_3repE0EEENS1_44radix_sort_block_sort_config_static_selectorELNS0_4arch9wavefront6targetE1EEEvSJ_.uses_flat_scratch, 0
	.set _ZN7rocprim17ROCPRIM_400000_NS6detail17trampoline_kernelINS0_13kernel_configILj256ELj4ELj4294967295EEENS1_37radix_sort_block_sort_config_selectorIbiEEZNS1_21radix_sort_block_sortIS4_Lb1EN6thrust23THRUST_200600_302600_NS6detail15normal_iteratorINS9_10device_ptrIbEEEESE_NSB_INSC_IiEEEESG_NS0_19identity_decomposerEEE10hipError_tT1_T2_T3_T4_jRjT5_jjP12ihipStream_tbEUlT_E_NS1_11comp_targetILNS1_3genE0ELNS1_11target_archE4294967295ELNS1_3gpuE0ELNS1_3repE0EEENS1_44radix_sort_block_sort_config_static_selectorELNS0_4arch9wavefront6targetE1EEEvSJ_.has_dyn_sized_stack, 0
	.set _ZN7rocprim17ROCPRIM_400000_NS6detail17trampoline_kernelINS0_13kernel_configILj256ELj4ELj4294967295EEENS1_37radix_sort_block_sort_config_selectorIbiEEZNS1_21radix_sort_block_sortIS4_Lb1EN6thrust23THRUST_200600_302600_NS6detail15normal_iteratorINS9_10device_ptrIbEEEESE_NSB_INSC_IiEEEESG_NS0_19identity_decomposerEEE10hipError_tT1_T2_T3_T4_jRjT5_jjP12ihipStream_tbEUlT_E_NS1_11comp_targetILNS1_3genE0ELNS1_11target_archE4294967295ELNS1_3gpuE0ELNS1_3repE0EEENS1_44radix_sort_block_sort_config_static_selectorELNS0_4arch9wavefront6targetE1EEEvSJ_.has_recursion, 0
	.set _ZN7rocprim17ROCPRIM_400000_NS6detail17trampoline_kernelINS0_13kernel_configILj256ELj4ELj4294967295EEENS1_37radix_sort_block_sort_config_selectorIbiEEZNS1_21radix_sort_block_sortIS4_Lb1EN6thrust23THRUST_200600_302600_NS6detail15normal_iteratorINS9_10device_ptrIbEEEESE_NSB_INSC_IiEEEESG_NS0_19identity_decomposerEEE10hipError_tT1_T2_T3_T4_jRjT5_jjP12ihipStream_tbEUlT_E_NS1_11comp_targetILNS1_3genE0ELNS1_11target_archE4294967295ELNS1_3gpuE0ELNS1_3repE0EEENS1_44radix_sort_block_sort_config_static_selectorELNS0_4arch9wavefront6targetE1EEEvSJ_.has_indirect_call, 0
	.section	.AMDGPU.csdata,"",@progbits
; Kernel info:
; codeLenInByte = 2960
; TotalNumSgprs: 52
; NumVgprs: 40
; NumAgprs: 0
; TotalNumVgprs: 40
; ScratchSize: 0
; MemoryBound: 0
; FloatMode: 240
; IeeeMode: 1
; LDSByteSize: 4112 bytes/workgroup (compile time only)
; SGPRBlocks: 6
; VGPRBlocks: 4
; NumSGPRsForWavesPerEU: 52
; NumVGPRsForWavesPerEU: 40
; AccumOffset: 40
; Occupancy: 8
; WaveLimiterHint : 1
; COMPUTE_PGM_RSRC2:SCRATCH_EN: 0
; COMPUTE_PGM_RSRC2:USER_SGPR: 2
; COMPUTE_PGM_RSRC2:TRAP_HANDLER: 0
; COMPUTE_PGM_RSRC2:TGID_X_EN: 1
; COMPUTE_PGM_RSRC2:TGID_Y_EN: 0
; COMPUTE_PGM_RSRC2:TGID_Z_EN: 0
; COMPUTE_PGM_RSRC2:TIDIG_COMP_CNT: 2
; COMPUTE_PGM_RSRC3_GFX90A:ACCUM_OFFSET: 9
; COMPUTE_PGM_RSRC3_GFX90A:TG_SPLIT: 0
	.section	.text._ZN7rocprim17ROCPRIM_400000_NS6detail17trampoline_kernelINS0_13kernel_configILj256ELj4ELj4294967295EEENS1_37radix_sort_block_sort_config_selectorIbiEEZNS1_21radix_sort_block_sortIS4_Lb1EN6thrust23THRUST_200600_302600_NS6detail15normal_iteratorINS9_10device_ptrIbEEEESE_NSB_INSC_IiEEEESG_NS0_19identity_decomposerEEE10hipError_tT1_T2_T3_T4_jRjT5_jjP12ihipStream_tbEUlT_E_NS1_11comp_targetILNS1_3genE5ELNS1_11target_archE942ELNS1_3gpuE9ELNS1_3repE0EEENS1_44radix_sort_block_sort_config_static_selectorELNS0_4arch9wavefront6targetE1EEEvSJ_,"axG",@progbits,_ZN7rocprim17ROCPRIM_400000_NS6detail17trampoline_kernelINS0_13kernel_configILj256ELj4ELj4294967295EEENS1_37radix_sort_block_sort_config_selectorIbiEEZNS1_21radix_sort_block_sortIS4_Lb1EN6thrust23THRUST_200600_302600_NS6detail15normal_iteratorINS9_10device_ptrIbEEEESE_NSB_INSC_IiEEEESG_NS0_19identity_decomposerEEE10hipError_tT1_T2_T3_T4_jRjT5_jjP12ihipStream_tbEUlT_E_NS1_11comp_targetILNS1_3genE5ELNS1_11target_archE942ELNS1_3gpuE9ELNS1_3repE0EEENS1_44radix_sort_block_sort_config_static_selectorELNS0_4arch9wavefront6targetE1EEEvSJ_,comdat
	.protected	_ZN7rocprim17ROCPRIM_400000_NS6detail17trampoline_kernelINS0_13kernel_configILj256ELj4ELj4294967295EEENS1_37radix_sort_block_sort_config_selectorIbiEEZNS1_21radix_sort_block_sortIS4_Lb1EN6thrust23THRUST_200600_302600_NS6detail15normal_iteratorINS9_10device_ptrIbEEEESE_NSB_INSC_IiEEEESG_NS0_19identity_decomposerEEE10hipError_tT1_T2_T3_T4_jRjT5_jjP12ihipStream_tbEUlT_E_NS1_11comp_targetILNS1_3genE5ELNS1_11target_archE942ELNS1_3gpuE9ELNS1_3repE0EEENS1_44radix_sort_block_sort_config_static_selectorELNS0_4arch9wavefront6targetE1EEEvSJ_ ; -- Begin function _ZN7rocprim17ROCPRIM_400000_NS6detail17trampoline_kernelINS0_13kernel_configILj256ELj4ELj4294967295EEENS1_37radix_sort_block_sort_config_selectorIbiEEZNS1_21radix_sort_block_sortIS4_Lb1EN6thrust23THRUST_200600_302600_NS6detail15normal_iteratorINS9_10device_ptrIbEEEESE_NSB_INSC_IiEEEESG_NS0_19identity_decomposerEEE10hipError_tT1_T2_T3_T4_jRjT5_jjP12ihipStream_tbEUlT_E_NS1_11comp_targetILNS1_3genE5ELNS1_11target_archE942ELNS1_3gpuE9ELNS1_3repE0EEENS1_44radix_sort_block_sort_config_static_selectorELNS0_4arch9wavefront6targetE1EEEvSJ_
	.globl	_ZN7rocprim17ROCPRIM_400000_NS6detail17trampoline_kernelINS0_13kernel_configILj256ELj4ELj4294967295EEENS1_37radix_sort_block_sort_config_selectorIbiEEZNS1_21radix_sort_block_sortIS4_Lb1EN6thrust23THRUST_200600_302600_NS6detail15normal_iteratorINS9_10device_ptrIbEEEESE_NSB_INSC_IiEEEESG_NS0_19identity_decomposerEEE10hipError_tT1_T2_T3_T4_jRjT5_jjP12ihipStream_tbEUlT_E_NS1_11comp_targetILNS1_3genE5ELNS1_11target_archE942ELNS1_3gpuE9ELNS1_3repE0EEENS1_44radix_sort_block_sort_config_static_selectorELNS0_4arch9wavefront6targetE1EEEvSJ_
	.p2align	8
	.type	_ZN7rocprim17ROCPRIM_400000_NS6detail17trampoline_kernelINS0_13kernel_configILj256ELj4ELj4294967295EEENS1_37radix_sort_block_sort_config_selectorIbiEEZNS1_21radix_sort_block_sortIS4_Lb1EN6thrust23THRUST_200600_302600_NS6detail15normal_iteratorINS9_10device_ptrIbEEEESE_NSB_INSC_IiEEEESG_NS0_19identity_decomposerEEE10hipError_tT1_T2_T3_T4_jRjT5_jjP12ihipStream_tbEUlT_E_NS1_11comp_targetILNS1_3genE5ELNS1_11target_archE942ELNS1_3gpuE9ELNS1_3repE0EEENS1_44radix_sort_block_sort_config_static_selectorELNS0_4arch9wavefront6targetE1EEEvSJ_,@function
_ZN7rocprim17ROCPRIM_400000_NS6detail17trampoline_kernelINS0_13kernel_configILj256ELj4ELj4294967295EEENS1_37radix_sort_block_sort_config_selectorIbiEEZNS1_21radix_sort_block_sortIS4_Lb1EN6thrust23THRUST_200600_302600_NS6detail15normal_iteratorINS9_10device_ptrIbEEEESE_NSB_INSC_IiEEEESG_NS0_19identity_decomposerEEE10hipError_tT1_T2_T3_T4_jRjT5_jjP12ihipStream_tbEUlT_E_NS1_11comp_targetILNS1_3genE5ELNS1_11target_archE942ELNS1_3gpuE9ELNS1_3repE0EEENS1_44radix_sort_block_sort_config_static_selectorELNS0_4arch9wavefront6targetE1EEEvSJ_: ; @_ZN7rocprim17ROCPRIM_400000_NS6detail17trampoline_kernelINS0_13kernel_configILj256ELj4ELj4294967295EEENS1_37radix_sort_block_sort_config_selectorIbiEEZNS1_21radix_sort_block_sortIS4_Lb1EN6thrust23THRUST_200600_302600_NS6detail15normal_iteratorINS9_10device_ptrIbEEEESE_NSB_INSC_IiEEEESG_NS0_19identity_decomposerEEE10hipError_tT1_T2_T3_T4_jRjT5_jjP12ihipStream_tbEUlT_E_NS1_11comp_targetILNS1_3genE5ELNS1_11target_archE942ELNS1_3gpuE9ELNS1_3repE0EEENS1_44radix_sort_block_sort_config_static_selectorELNS0_4arch9wavefront6targetE1EEEvSJ_
; %bb.0:
	.section	.rodata,"a",@progbits
	.p2align	6, 0x0
	.amdhsa_kernel _ZN7rocprim17ROCPRIM_400000_NS6detail17trampoline_kernelINS0_13kernel_configILj256ELj4ELj4294967295EEENS1_37radix_sort_block_sort_config_selectorIbiEEZNS1_21radix_sort_block_sortIS4_Lb1EN6thrust23THRUST_200600_302600_NS6detail15normal_iteratorINS9_10device_ptrIbEEEESE_NSB_INSC_IiEEEESG_NS0_19identity_decomposerEEE10hipError_tT1_T2_T3_T4_jRjT5_jjP12ihipStream_tbEUlT_E_NS1_11comp_targetILNS1_3genE5ELNS1_11target_archE942ELNS1_3gpuE9ELNS1_3repE0EEENS1_44radix_sort_block_sort_config_static_selectorELNS0_4arch9wavefront6targetE1EEEvSJ_
		.amdhsa_group_segment_fixed_size 0
		.amdhsa_private_segment_fixed_size 0
		.amdhsa_kernarg_size 48
		.amdhsa_user_sgpr_count 2
		.amdhsa_user_sgpr_dispatch_ptr 0
		.amdhsa_user_sgpr_queue_ptr 0
		.amdhsa_user_sgpr_kernarg_segment_ptr 1
		.amdhsa_user_sgpr_dispatch_id 0
		.amdhsa_user_sgpr_kernarg_preload_length 0
		.amdhsa_user_sgpr_kernarg_preload_offset 0
		.amdhsa_user_sgpr_private_segment_size 0
		.amdhsa_uses_dynamic_stack 0
		.amdhsa_enable_private_segment 0
		.amdhsa_system_sgpr_workgroup_id_x 1
		.amdhsa_system_sgpr_workgroup_id_y 0
		.amdhsa_system_sgpr_workgroup_id_z 0
		.amdhsa_system_sgpr_workgroup_info 0
		.amdhsa_system_vgpr_workitem_id 0
		.amdhsa_next_free_vgpr 1
		.amdhsa_next_free_sgpr 0
		.amdhsa_accum_offset 4
		.amdhsa_reserve_vcc 0
		.amdhsa_float_round_mode_32 0
		.amdhsa_float_round_mode_16_64 0
		.amdhsa_float_denorm_mode_32 3
		.amdhsa_float_denorm_mode_16_64 3
		.amdhsa_dx10_clamp 1
		.amdhsa_ieee_mode 1
		.amdhsa_fp16_overflow 0
		.amdhsa_tg_split 0
		.amdhsa_exception_fp_ieee_invalid_op 0
		.amdhsa_exception_fp_denorm_src 0
		.amdhsa_exception_fp_ieee_div_zero 0
		.amdhsa_exception_fp_ieee_overflow 0
		.amdhsa_exception_fp_ieee_underflow 0
		.amdhsa_exception_fp_ieee_inexact 0
		.amdhsa_exception_int_div_zero 0
	.end_amdhsa_kernel
	.section	.text._ZN7rocprim17ROCPRIM_400000_NS6detail17trampoline_kernelINS0_13kernel_configILj256ELj4ELj4294967295EEENS1_37radix_sort_block_sort_config_selectorIbiEEZNS1_21radix_sort_block_sortIS4_Lb1EN6thrust23THRUST_200600_302600_NS6detail15normal_iteratorINS9_10device_ptrIbEEEESE_NSB_INSC_IiEEEESG_NS0_19identity_decomposerEEE10hipError_tT1_T2_T3_T4_jRjT5_jjP12ihipStream_tbEUlT_E_NS1_11comp_targetILNS1_3genE5ELNS1_11target_archE942ELNS1_3gpuE9ELNS1_3repE0EEENS1_44radix_sort_block_sort_config_static_selectorELNS0_4arch9wavefront6targetE1EEEvSJ_,"axG",@progbits,_ZN7rocprim17ROCPRIM_400000_NS6detail17trampoline_kernelINS0_13kernel_configILj256ELj4ELj4294967295EEENS1_37radix_sort_block_sort_config_selectorIbiEEZNS1_21radix_sort_block_sortIS4_Lb1EN6thrust23THRUST_200600_302600_NS6detail15normal_iteratorINS9_10device_ptrIbEEEESE_NSB_INSC_IiEEEESG_NS0_19identity_decomposerEEE10hipError_tT1_T2_T3_T4_jRjT5_jjP12ihipStream_tbEUlT_E_NS1_11comp_targetILNS1_3genE5ELNS1_11target_archE942ELNS1_3gpuE9ELNS1_3repE0EEENS1_44radix_sort_block_sort_config_static_selectorELNS0_4arch9wavefront6targetE1EEEvSJ_,comdat
.Lfunc_end2096:
	.size	_ZN7rocprim17ROCPRIM_400000_NS6detail17trampoline_kernelINS0_13kernel_configILj256ELj4ELj4294967295EEENS1_37radix_sort_block_sort_config_selectorIbiEEZNS1_21radix_sort_block_sortIS4_Lb1EN6thrust23THRUST_200600_302600_NS6detail15normal_iteratorINS9_10device_ptrIbEEEESE_NSB_INSC_IiEEEESG_NS0_19identity_decomposerEEE10hipError_tT1_T2_T3_T4_jRjT5_jjP12ihipStream_tbEUlT_E_NS1_11comp_targetILNS1_3genE5ELNS1_11target_archE942ELNS1_3gpuE9ELNS1_3repE0EEENS1_44radix_sort_block_sort_config_static_selectorELNS0_4arch9wavefront6targetE1EEEvSJ_, .Lfunc_end2096-_ZN7rocprim17ROCPRIM_400000_NS6detail17trampoline_kernelINS0_13kernel_configILj256ELj4ELj4294967295EEENS1_37radix_sort_block_sort_config_selectorIbiEEZNS1_21radix_sort_block_sortIS4_Lb1EN6thrust23THRUST_200600_302600_NS6detail15normal_iteratorINS9_10device_ptrIbEEEESE_NSB_INSC_IiEEEESG_NS0_19identity_decomposerEEE10hipError_tT1_T2_T3_T4_jRjT5_jjP12ihipStream_tbEUlT_E_NS1_11comp_targetILNS1_3genE5ELNS1_11target_archE942ELNS1_3gpuE9ELNS1_3repE0EEENS1_44radix_sort_block_sort_config_static_selectorELNS0_4arch9wavefront6targetE1EEEvSJ_
                                        ; -- End function
	.set _ZN7rocprim17ROCPRIM_400000_NS6detail17trampoline_kernelINS0_13kernel_configILj256ELj4ELj4294967295EEENS1_37radix_sort_block_sort_config_selectorIbiEEZNS1_21radix_sort_block_sortIS4_Lb1EN6thrust23THRUST_200600_302600_NS6detail15normal_iteratorINS9_10device_ptrIbEEEESE_NSB_INSC_IiEEEESG_NS0_19identity_decomposerEEE10hipError_tT1_T2_T3_T4_jRjT5_jjP12ihipStream_tbEUlT_E_NS1_11comp_targetILNS1_3genE5ELNS1_11target_archE942ELNS1_3gpuE9ELNS1_3repE0EEENS1_44radix_sort_block_sort_config_static_selectorELNS0_4arch9wavefront6targetE1EEEvSJ_.num_vgpr, 0
	.set _ZN7rocprim17ROCPRIM_400000_NS6detail17trampoline_kernelINS0_13kernel_configILj256ELj4ELj4294967295EEENS1_37radix_sort_block_sort_config_selectorIbiEEZNS1_21radix_sort_block_sortIS4_Lb1EN6thrust23THRUST_200600_302600_NS6detail15normal_iteratorINS9_10device_ptrIbEEEESE_NSB_INSC_IiEEEESG_NS0_19identity_decomposerEEE10hipError_tT1_T2_T3_T4_jRjT5_jjP12ihipStream_tbEUlT_E_NS1_11comp_targetILNS1_3genE5ELNS1_11target_archE942ELNS1_3gpuE9ELNS1_3repE0EEENS1_44radix_sort_block_sort_config_static_selectorELNS0_4arch9wavefront6targetE1EEEvSJ_.num_agpr, 0
	.set _ZN7rocprim17ROCPRIM_400000_NS6detail17trampoline_kernelINS0_13kernel_configILj256ELj4ELj4294967295EEENS1_37radix_sort_block_sort_config_selectorIbiEEZNS1_21radix_sort_block_sortIS4_Lb1EN6thrust23THRUST_200600_302600_NS6detail15normal_iteratorINS9_10device_ptrIbEEEESE_NSB_INSC_IiEEEESG_NS0_19identity_decomposerEEE10hipError_tT1_T2_T3_T4_jRjT5_jjP12ihipStream_tbEUlT_E_NS1_11comp_targetILNS1_3genE5ELNS1_11target_archE942ELNS1_3gpuE9ELNS1_3repE0EEENS1_44radix_sort_block_sort_config_static_selectorELNS0_4arch9wavefront6targetE1EEEvSJ_.numbered_sgpr, 0
	.set _ZN7rocprim17ROCPRIM_400000_NS6detail17trampoline_kernelINS0_13kernel_configILj256ELj4ELj4294967295EEENS1_37radix_sort_block_sort_config_selectorIbiEEZNS1_21radix_sort_block_sortIS4_Lb1EN6thrust23THRUST_200600_302600_NS6detail15normal_iteratorINS9_10device_ptrIbEEEESE_NSB_INSC_IiEEEESG_NS0_19identity_decomposerEEE10hipError_tT1_T2_T3_T4_jRjT5_jjP12ihipStream_tbEUlT_E_NS1_11comp_targetILNS1_3genE5ELNS1_11target_archE942ELNS1_3gpuE9ELNS1_3repE0EEENS1_44radix_sort_block_sort_config_static_selectorELNS0_4arch9wavefront6targetE1EEEvSJ_.num_named_barrier, 0
	.set _ZN7rocprim17ROCPRIM_400000_NS6detail17trampoline_kernelINS0_13kernel_configILj256ELj4ELj4294967295EEENS1_37radix_sort_block_sort_config_selectorIbiEEZNS1_21radix_sort_block_sortIS4_Lb1EN6thrust23THRUST_200600_302600_NS6detail15normal_iteratorINS9_10device_ptrIbEEEESE_NSB_INSC_IiEEEESG_NS0_19identity_decomposerEEE10hipError_tT1_T2_T3_T4_jRjT5_jjP12ihipStream_tbEUlT_E_NS1_11comp_targetILNS1_3genE5ELNS1_11target_archE942ELNS1_3gpuE9ELNS1_3repE0EEENS1_44radix_sort_block_sort_config_static_selectorELNS0_4arch9wavefront6targetE1EEEvSJ_.private_seg_size, 0
	.set _ZN7rocprim17ROCPRIM_400000_NS6detail17trampoline_kernelINS0_13kernel_configILj256ELj4ELj4294967295EEENS1_37radix_sort_block_sort_config_selectorIbiEEZNS1_21radix_sort_block_sortIS4_Lb1EN6thrust23THRUST_200600_302600_NS6detail15normal_iteratorINS9_10device_ptrIbEEEESE_NSB_INSC_IiEEEESG_NS0_19identity_decomposerEEE10hipError_tT1_T2_T3_T4_jRjT5_jjP12ihipStream_tbEUlT_E_NS1_11comp_targetILNS1_3genE5ELNS1_11target_archE942ELNS1_3gpuE9ELNS1_3repE0EEENS1_44radix_sort_block_sort_config_static_selectorELNS0_4arch9wavefront6targetE1EEEvSJ_.uses_vcc, 0
	.set _ZN7rocprim17ROCPRIM_400000_NS6detail17trampoline_kernelINS0_13kernel_configILj256ELj4ELj4294967295EEENS1_37radix_sort_block_sort_config_selectorIbiEEZNS1_21radix_sort_block_sortIS4_Lb1EN6thrust23THRUST_200600_302600_NS6detail15normal_iteratorINS9_10device_ptrIbEEEESE_NSB_INSC_IiEEEESG_NS0_19identity_decomposerEEE10hipError_tT1_T2_T3_T4_jRjT5_jjP12ihipStream_tbEUlT_E_NS1_11comp_targetILNS1_3genE5ELNS1_11target_archE942ELNS1_3gpuE9ELNS1_3repE0EEENS1_44radix_sort_block_sort_config_static_selectorELNS0_4arch9wavefront6targetE1EEEvSJ_.uses_flat_scratch, 0
	.set _ZN7rocprim17ROCPRIM_400000_NS6detail17trampoline_kernelINS0_13kernel_configILj256ELj4ELj4294967295EEENS1_37radix_sort_block_sort_config_selectorIbiEEZNS1_21radix_sort_block_sortIS4_Lb1EN6thrust23THRUST_200600_302600_NS6detail15normal_iteratorINS9_10device_ptrIbEEEESE_NSB_INSC_IiEEEESG_NS0_19identity_decomposerEEE10hipError_tT1_T2_T3_T4_jRjT5_jjP12ihipStream_tbEUlT_E_NS1_11comp_targetILNS1_3genE5ELNS1_11target_archE942ELNS1_3gpuE9ELNS1_3repE0EEENS1_44radix_sort_block_sort_config_static_selectorELNS0_4arch9wavefront6targetE1EEEvSJ_.has_dyn_sized_stack, 0
	.set _ZN7rocprim17ROCPRIM_400000_NS6detail17trampoline_kernelINS0_13kernel_configILj256ELj4ELj4294967295EEENS1_37radix_sort_block_sort_config_selectorIbiEEZNS1_21radix_sort_block_sortIS4_Lb1EN6thrust23THRUST_200600_302600_NS6detail15normal_iteratorINS9_10device_ptrIbEEEESE_NSB_INSC_IiEEEESG_NS0_19identity_decomposerEEE10hipError_tT1_T2_T3_T4_jRjT5_jjP12ihipStream_tbEUlT_E_NS1_11comp_targetILNS1_3genE5ELNS1_11target_archE942ELNS1_3gpuE9ELNS1_3repE0EEENS1_44radix_sort_block_sort_config_static_selectorELNS0_4arch9wavefront6targetE1EEEvSJ_.has_recursion, 0
	.set _ZN7rocprim17ROCPRIM_400000_NS6detail17trampoline_kernelINS0_13kernel_configILj256ELj4ELj4294967295EEENS1_37radix_sort_block_sort_config_selectorIbiEEZNS1_21radix_sort_block_sortIS4_Lb1EN6thrust23THRUST_200600_302600_NS6detail15normal_iteratorINS9_10device_ptrIbEEEESE_NSB_INSC_IiEEEESG_NS0_19identity_decomposerEEE10hipError_tT1_T2_T3_T4_jRjT5_jjP12ihipStream_tbEUlT_E_NS1_11comp_targetILNS1_3genE5ELNS1_11target_archE942ELNS1_3gpuE9ELNS1_3repE0EEENS1_44radix_sort_block_sort_config_static_selectorELNS0_4arch9wavefront6targetE1EEEvSJ_.has_indirect_call, 0
	.section	.AMDGPU.csdata,"",@progbits
; Kernel info:
; codeLenInByte = 0
; TotalNumSgprs: 6
; NumVgprs: 0
; NumAgprs: 0
; TotalNumVgprs: 0
; ScratchSize: 0
; MemoryBound: 0
; FloatMode: 240
; IeeeMode: 1
; LDSByteSize: 0 bytes/workgroup (compile time only)
; SGPRBlocks: 0
; VGPRBlocks: 0
; NumSGPRsForWavesPerEU: 6
; NumVGPRsForWavesPerEU: 1
; AccumOffset: 4
; Occupancy: 8
; WaveLimiterHint : 0
; COMPUTE_PGM_RSRC2:SCRATCH_EN: 0
; COMPUTE_PGM_RSRC2:USER_SGPR: 2
; COMPUTE_PGM_RSRC2:TRAP_HANDLER: 0
; COMPUTE_PGM_RSRC2:TGID_X_EN: 1
; COMPUTE_PGM_RSRC2:TGID_Y_EN: 0
; COMPUTE_PGM_RSRC2:TGID_Z_EN: 0
; COMPUTE_PGM_RSRC2:TIDIG_COMP_CNT: 0
; COMPUTE_PGM_RSRC3_GFX90A:ACCUM_OFFSET: 0
; COMPUTE_PGM_RSRC3_GFX90A:TG_SPLIT: 0
	.section	.text._ZN7rocprim17ROCPRIM_400000_NS6detail17trampoline_kernelINS0_13kernel_configILj256ELj4ELj4294967295EEENS1_37radix_sort_block_sort_config_selectorIbiEEZNS1_21radix_sort_block_sortIS4_Lb1EN6thrust23THRUST_200600_302600_NS6detail15normal_iteratorINS9_10device_ptrIbEEEESE_NSB_INSC_IiEEEESG_NS0_19identity_decomposerEEE10hipError_tT1_T2_T3_T4_jRjT5_jjP12ihipStream_tbEUlT_E_NS1_11comp_targetILNS1_3genE4ELNS1_11target_archE910ELNS1_3gpuE8ELNS1_3repE0EEENS1_44radix_sort_block_sort_config_static_selectorELNS0_4arch9wavefront6targetE1EEEvSJ_,"axG",@progbits,_ZN7rocprim17ROCPRIM_400000_NS6detail17trampoline_kernelINS0_13kernel_configILj256ELj4ELj4294967295EEENS1_37radix_sort_block_sort_config_selectorIbiEEZNS1_21radix_sort_block_sortIS4_Lb1EN6thrust23THRUST_200600_302600_NS6detail15normal_iteratorINS9_10device_ptrIbEEEESE_NSB_INSC_IiEEEESG_NS0_19identity_decomposerEEE10hipError_tT1_T2_T3_T4_jRjT5_jjP12ihipStream_tbEUlT_E_NS1_11comp_targetILNS1_3genE4ELNS1_11target_archE910ELNS1_3gpuE8ELNS1_3repE0EEENS1_44radix_sort_block_sort_config_static_selectorELNS0_4arch9wavefront6targetE1EEEvSJ_,comdat
	.protected	_ZN7rocprim17ROCPRIM_400000_NS6detail17trampoline_kernelINS0_13kernel_configILj256ELj4ELj4294967295EEENS1_37radix_sort_block_sort_config_selectorIbiEEZNS1_21radix_sort_block_sortIS4_Lb1EN6thrust23THRUST_200600_302600_NS6detail15normal_iteratorINS9_10device_ptrIbEEEESE_NSB_INSC_IiEEEESG_NS0_19identity_decomposerEEE10hipError_tT1_T2_T3_T4_jRjT5_jjP12ihipStream_tbEUlT_E_NS1_11comp_targetILNS1_3genE4ELNS1_11target_archE910ELNS1_3gpuE8ELNS1_3repE0EEENS1_44radix_sort_block_sort_config_static_selectorELNS0_4arch9wavefront6targetE1EEEvSJ_ ; -- Begin function _ZN7rocprim17ROCPRIM_400000_NS6detail17trampoline_kernelINS0_13kernel_configILj256ELj4ELj4294967295EEENS1_37radix_sort_block_sort_config_selectorIbiEEZNS1_21radix_sort_block_sortIS4_Lb1EN6thrust23THRUST_200600_302600_NS6detail15normal_iteratorINS9_10device_ptrIbEEEESE_NSB_INSC_IiEEEESG_NS0_19identity_decomposerEEE10hipError_tT1_T2_T3_T4_jRjT5_jjP12ihipStream_tbEUlT_E_NS1_11comp_targetILNS1_3genE4ELNS1_11target_archE910ELNS1_3gpuE8ELNS1_3repE0EEENS1_44radix_sort_block_sort_config_static_selectorELNS0_4arch9wavefront6targetE1EEEvSJ_
	.globl	_ZN7rocprim17ROCPRIM_400000_NS6detail17trampoline_kernelINS0_13kernel_configILj256ELj4ELj4294967295EEENS1_37radix_sort_block_sort_config_selectorIbiEEZNS1_21radix_sort_block_sortIS4_Lb1EN6thrust23THRUST_200600_302600_NS6detail15normal_iteratorINS9_10device_ptrIbEEEESE_NSB_INSC_IiEEEESG_NS0_19identity_decomposerEEE10hipError_tT1_T2_T3_T4_jRjT5_jjP12ihipStream_tbEUlT_E_NS1_11comp_targetILNS1_3genE4ELNS1_11target_archE910ELNS1_3gpuE8ELNS1_3repE0EEENS1_44radix_sort_block_sort_config_static_selectorELNS0_4arch9wavefront6targetE1EEEvSJ_
	.p2align	8
	.type	_ZN7rocprim17ROCPRIM_400000_NS6detail17trampoline_kernelINS0_13kernel_configILj256ELj4ELj4294967295EEENS1_37radix_sort_block_sort_config_selectorIbiEEZNS1_21radix_sort_block_sortIS4_Lb1EN6thrust23THRUST_200600_302600_NS6detail15normal_iteratorINS9_10device_ptrIbEEEESE_NSB_INSC_IiEEEESG_NS0_19identity_decomposerEEE10hipError_tT1_T2_T3_T4_jRjT5_jjP12ihipStream_tbEUlT_E_NS1_11comp_targetILNS1_3genE4ELNS1_11target_archE910ELNS1_3gpuE8ELNS1_3repE0EEENS1_44radix_sort_block_sort_config_static_selectorELNS0_4arch9wavefront6targetE1EEEvSJ_,@function
_ZN7rocprim17ROCPRIM_400000_NS6detail17trampoline_kernelINS0_13kernel_configILj256ELj4ELj4294967295EEENS1_37radix_sort_block_sort_config_selectorIbiEEZNS1_21radix_sort_block_sortIS4_Lb1EN6thrust23THRUST_200600_302600_NS6detail15normal_iteratorINS9_10device_ptrIbEEEESE_NSB_INSC_IiEEEESG_NS0_19identity_decomposerEEE10hipError_tT1_T2_T3_T4_jRjT5_jjP12ihipStream_tbEUlT_E_NS1_11comp_targetILNS1_3genE4ELNS1_11target_archE910ELNS1_3gpuE8ELNS1_3repE0EEENS1_44radix_sort_block_sort_config_static_selectorELNS0_4arch9wavefront6targetE1EEEvSJ_: ; @_ZN7rocprim17ROCPRIM_400000_NS6detail17trampoline_kernelINS0_13kernel_configILj256ELj4ELj4294967295EEENS1_37radix_sort_block_sort_config_selectorIbiEEZNS1_21radix_sort_block_sortIS4_Lb1EN6thrust23THRUST_200600_302600_NS6detail15normal_iteratorINS9_10device_ptrIbEEEESE_NSB_INSC_IiEEEESG_NS0_19identity_decomposerEEE10hipError_tT1_T2_T3_T4_jRjT5_jjP12ihipStream_tbEUlT_E_NS1_11comp_targetILNS1_3genE4ELNS1_11target_archE910ELNS1_3gpuE8ELNS1_3repE0EEENS1_44radix_sort_block_sort_config_static_selectorELNS0_4arch9wavefront6targetE1EEEvSJ_
; %bb.0:
	.section	.rodata,"a",@progbits
	.p2align	6, 0x0
	.amdhsa_kernel _ZN7rocprim17ROCPRIM_400000_NS6detail17trampoline_kernelINS0_13kernel_configILj256ELj4ELj4294967295EEENS1_37radix_sort_block_sort_config_selectorIbiEEZNS1_21radix_sort_block_sortIS4_Lb1EN6thrust23THRUST_200600_302600_NS6detail15normal_iteratorINS9_10device_ptrIbEEEESE_NSB_INSC_IiEEEESG_NS0_19identity_decomposerEEE10hipError_tT1_T2_T3_T4_jRjT5_jjP12ihipStream_tbEUlT_E_NS1_11comp_targetILNS1_3genE4ELNS1_11target_archE910ELNS1_3gpuE8ELNS1_3repE0EEENS1_44radix_sort_block_sort_config_static_selectorELNS0_4arch9wavefront6targetE1EEEvSJ_
		.amdhsa_group_segment_fixed_size 0
		.amdhsa_private_segment_fixed_size 0
		.amdhsa_kernarg_size 48
		.amdhsa_user_sgpr_count 2
		.amdhsa_user_sgpr_dispatch_ptr 0
		.amdhsa_user_sgpr_queue_ptr 0
		.amdhsa_user_sgpr_kernarg_segment_ptr 1
		.amdhsa_user_sgpr_dispatch_id 0
		.amdhsa_user_sgpr_kernarg_preload_length 0
		.amdhsa_user_sgpr_kernarg_preload_offset 0
		.amdhsa_user_sgpr_private_segment_size 0
		.amdhsa_uses_dynamic_stack 0
		.amdhsa_enable_private_segment 0
		.amdhsa_system_sgpr_workgroup_id_x 1
		.amdhsa_system_sgpr_workgroup_id_y 0
		.amdhsa_system_sgpr_workgroup_id_z 0
		.amdhsa_system_sgpr_workgroup_info 0
		.amdhsa_system_vgpr_workitem_id 0
		.amdhsa_next_free_vgpr 1
		.amdhsa_next_free_sgpr 0
		.amdhsa_accum_offset 4
		.amdhsa_reserve_vcc 0
		.amdhsa_float_round_mode_32 0
		.amdhsa_float_round_mode_16_64 0
		.amdhsa_float_denorm_mode_32 3
		.amdhsa_float_denorm_mode_16_64 3
		.amdhsa_dx10_clamp 1
		.amdhsa_ieee_mode 1
		.amdhsa_fp16_overflow 0
		.amdhsa_tg_split 0
		.amdhsa_exception_fp_ieee_invalid_op 0
		.amdhsa_exception_fp_denorm_src 0
		.amdhsa_exception_fp_ieee_div_zero 0
		.amdhsa_exception_fp_ieee_overflow 0
		.amdhsa_exception_fp_ieee_underflow 0
		.amdhsa_exception_fp_ieee_inexact 0
		.amdhsa_exception_int_div_zero 0
	.end_amdhsa_kernel
	.section	.text._ZN7rocprim17ROCPRIM_400000_NS6detail17trampoline_kernelINS0_13kernel_configILj256ELj4ELj4294967295EEENS1_37radix_sort_block_sort_config_selectorIbiEEZNS1_21radix_sort_block_sortIS4_Lb1EN6thrust23THRUST_200600_302600_NS6detail15normal_iteratorINS9_10device_ptrIbEEEESE_NSB_INSC_IiEEEESG_NS0_19identity_decomposerEEE10hipError_tT1_T2_T3_T4_jRjT5_jjP12ihipStream_tbEUlT_E_NS1_11comp_targetILNS1_3genE4ELNS1_11target_archE910ELNS1_3gpuE8ELNS1_3repE0EEENS1_44radix_sort_block_sort_config_static_selectorELNS0_4arch9wavefront6targetE1EEEvSJ_,"axG",@progbits,_ZN7rocprim17ROCPRIM_400000_NS6detail17trampoline_kernelINS0_13kernel_configILj256ELj4ELj4294967295EEENS1_37radix_sort_block_sort_config_selectorIbiEEZNS1_21radix_sort_block_sortIS4_Lb1EN6thrust23THRUST_200600_302600_NS6detail15normal_iteratorINS9_10device_ptrIbEEEESE_NSB_INSC_IiEEEESG_NS0_19identity_decomposerEEE10hipError_tT1_T2_T3_T4_jRjT5_jjP12ihipStream_tbEUlT_E_NS1_11comp_targetILNS1_3genE4ELNS1_11target_archE910ELNS1_3gpuE8ELNS1_3repE0EEENS1_44radix_sort_block_sort_config_static_selectorELNS0_4arch9wavefront6targetE1EEEvSJ_,comdat
.Lfunc_end2097:
	.size	_ZN7rocprim17ROCPRIM_400000_NS6detail17trampoline_kernelINS0_13kernel_configILj256ELj4ELj4294967295EEENS1_37radix_sort_block_sort_config_selectorIbiEEZNS1_21radix_sort_block_sortIS4_Lb1EN6thrust23THRUST_200600_302600_NS6detail15normal_iteratorINS9_10device_ptrIbEEEESE_NSB_INSC_IiEEEESG_NS0_19identity_decomposerEEE10hipError_tT1_T2_T3_T4_jRjT5_jjP12ihipStream_tbEUlT_E_NS1_11comp_targetILNS1_3genE4ELNS1_11target_archE910ELNS1_3gpuE8ELNS1_3repE0EEENS1_44radix_sort_block_sort_config_static_selectorELNS0_4arch9wavefront6targetE1EEEvSJ_, .Lfunc_end2097-_ZN7rocprim17ROCPRIM_400000_NS6detail17trampoline_kernelINS0_13kernel_configILj256ELj4ELj4294967295EEENS1_37radix_sort_block_sort_config_selectorIbiEEZNS1_21radix_sort_block_sortIS4_Lb1EN6thrust23THRUST_200600_302600_NS6detail15normal_iteratorINS9_10device_ptrIbEEEESE_NSB_INSC_IiEEEESG_NS0_19identity_decomposerEEE10hipError_tT1_T2_T3_T4_jRjT5_jjP12ihipStream_tbEUlT_E_NS1_11comp_targetILNS1_3genE4ELNS1_11target_archE910ELNS1_3gpuE8ELNS1_3repE0EEENS1_44radix_sort_block_sort_config_static_selectorELNS0_4arch9wavefront6targetE1EEEvSJ_
                                        ; -- End function
	.set _ZN7rocprim17ROCPRIM_400000_NS6detail17trampoline_kernelINS0_13kernel_configILj256ELj4ELj4294967295EEENS1_37radix_sort_block_sort_config_selectorIbiEEZNS1_21radix_sort_block_sortIS4_Lb1EN6thrust23THRUST_200600_302600_NS6detail15normal_iteratorINS9_10device_ptrIbEEEESE_NSB_INSC_IiEEEESG_NS0_19identity_decomposerEEE10hipError_tT1_T2_T3_T4_jRjT5_jjP12ihipStream_tbEUlT_E_NS1_11comp_targetILNS1_3genE4ELNS1_11target_archE910ELNS1_3gpuE8ELNS1_3repE0EEENS1_44radix_sort_block_sort_config_static_selectorELNS0_4arch9wavefront6targetE1EEEvSJ_.num_vgpr, 0
	.set _ZN7rocprim17ROCPRIM_400000_NS6detail17trampoline_kernelINS0_13kernel_configILj256ELj4ELj4294967295EEENS1_37radix_sort_block_sort_config_selectorIbiEEZNS1_21radix_sort_block_sortIS4_Lb1EN6thrust23THRUST_200600_302600_NS6detail15normal_iteratorINS9_10device_ptrIbEEEESE_NSB_INSC_IiEEEESG_NS0_19identity_decomposerEEE10hipError_tT1_T2_T3_T4_jRjT5_jjP12ihipStream_tbEUlT_E_NS1_11comp_targetILNS1_3genE4ELNS1_11target_archE910ELNS1_3gpuE8ELNS1_3repE0EEENS1_44radix_sort_block_sort_config_static_selectorELNS0_4arch9wavefront6targetE1EEEvSJ_.num_agpr, 0
	.set _ZN7rocprim17ROCPRIM_400000_NS6detail17trampoline_kernelINS0_13kernel_configILj256ELj4ELj4294967295EEENS1_37radix_sort_block_sort_config_selectorIbiEEZNS1_21radix_sort_block_sortIS4_Lb1EN6thrust23THRUST_200600_302600_NS6detail15normal_iteratorINS9_10device_ptrIbEEEESE_NSB_INSC_IiEEEESG_NS0_19identity_decomposerEEE10hipError_tT1_T2_T3_T4_jRjT5_jjP12ihipStream_tbEUlT_E_NS1_11comp_targetILNS1_3genE4ELNS1_11target_archE910ELNS1_3gpuE8ELNS1_3repE0EEENS1_44radix_sort_block_sort_config_static_selectorELNS0_4arch9wavefront6targetE1EEEvSJ_.numbered_sgpr, 0
	.set _ZN7rocprim17ROCPRIM_400000_NS6detail17trampoline_kernelINS0_13kernel_configILj256ELj4ELj4294967295EEENS1_37radix_sort_block_sort_config_selectorIbiEEZNS1_21radix_sort_block_sortIS4_Lb1EN6thrust23THRUST_200600_302600_NS6detail15normal_iteratorINS9_10device_ptrIbEEEESE_NSB_INSC_IiEEEESG_NS0_19identity_decomposerEEE10hipError_tT1_T2_T3_T4_jRjT5_jjP12ihipStream_tbEUlT_E_NS1_11comp_targetILNS1_3genE4ELNS1_11target_archE910ELNS1_3gpuE8ELNS1_3repE0EEENS1_44radix_sort_block_sort_config_static_selectorELNS0_4arch9wavefront6targetE1EEEvSJ_.num_named_barrier, 0
	.set _ZN7rocprim17ROCPRIM_400000_NS6detail17trampoline_kernelINS0_13kernel_configILj256ELj4ELj4294967295EEENS1_37radix_sort_block_sort_config_selectorIbiEEZNS1_21radix_sort_block_sortIS4_Lb1EN6thrust23THRUST_200600_302600_NS6detail15normal_iteratorINS9_10device_ptrIbEEEESE_NSB_INSC_IiEEEESG_NS0_19identity_decomposerEEE10hipError_tT1_T2_T3_T4_jRjT5_jjP12ihipStream_tbEUlT_E_NS1_11comp_targetILNS1_3genE4ELNS1_11target_archE910ELNS1_3gpuE8ELNS1_3repE0EEENS1_44radix_sort_block_sort_config_static_selectorELNS0_4arch9wavefront6targetE1EEEvSJ_.private_seg_size, 0
	.set _ZN7rocprim17ROCPRIM_400000_NS6detail17trampoline_kernelINS0_13kernel_configILj256ELj4ELj4294967295EEENS1_37radix_sort_block_sort_config_selectorIbiEEZNS1_21radix_sort_block_sortIS4_Lb1EN6thrust23THRUST_200600_302600_NS6detail15normal_iteratorINS9_10device_ptrIbEEEESE_NSB_INSC_IiEEEESG_NS0_19identity_decomposerEEE10hipError_tT1_T2_T3_T4_jRjT5_jjP12ihipStream_tbEUlT_E_NS1_11comp_targetILNS1_3genE4ELNS1_11target_archE910ELNS1_3gpuE8ELNS1_3repE0EEENS1_44radix_sort_block_sort_config_static_selectorELNS0_4arch9wavefront6targetE1EEEvSJ_.uses_vcc, 0
	.set _ZN7rocprim17ROCPRIM_400000_NS6detail17trampoline_kernelINS0_13kernel_configILj256ELj4ELj4294967295EEENS1_37radix_sort_block_sort_config_selectorIbiEEZNS1_21radix_sort_block_sortIS4_Lb1EN6thrust23THRUST_200600_302600_NS6detail15normal_iteratorINS9_10device_ptrIbEEEESE_NSB_INSC_IiEEEESG_NS0_19identity_decomposerEEE10hipError_tT1_T2_T3_T4_jRjT5_jjP12ihipStream_tbEUlT_E_NS1_11comp_targetILNS1_3genE4ELNS1_11target_archE910ELNS1_3gpuE8ELNS1_3repE0EEENS1_44radix_sort_block_sort_config_static_selectorELNS0_4arch9wavefront6targetE1EEEvSJ_.uses_flat_scratch, 0
	.set _ZN7rocprim17ROCPRIM_400000_NS6detail17trampoline_kernelINS0_13kernel_configILj256ELj4ELj4294967295EEENS1_37radix_sort_block_sort_config_selectorIbiEEZNS1_21radix_sort_block_sortIS4_Lb1EN6thrust23THRUST_200600_302600_NS6detail15normal_iteratorINS9_10device_ptrIbEEEESE_NSB_INSC_IiEEEESG_NS0_19identity_decomposerEEE10hipError_tT1_T2_T3_T4_jRjT5_jjP12ihipStream_tbEUlT_E_NS1_11comp_targetILNS1_3genE4ELNS1_11target_archE910ELNS1_3gpuE8ELNS1_3repE0EEENS1_44radix_sort_block_sort_config_static_selectorELNS0_4arch9wavefront6targetE1EEEvSJ_.has_dyn_sized_stack, 0
	.set _ZN7rocprim17ROCPRIM_400000_NS6detail17trampoline_kernelINS0_13kernel_configILj256ELj4ELj4294967295EEENS1_37radix_sort_block_sort_config_selectorIbiEEZNS1_21radix_sort_block_sortIS4_Lb1EN6thrust23THRUST_200600_302600_NS6detail15normal_iteratorINS9_10device_ptrIbEEEESE_NSB_INSC_IiEEEESG_NS0_19identity_decomposerEEE10hipError_tT1_T2_T3_T4_jRjT5_jjP12ihipStream_tbEUlT_E_NS1_11comp_targetILNS1_3genE4ELNS1_11target_archE910ELNS1_3gpuE8ELNS1_3repE0EEENS1_44radix_sort_block_sort_config_static_selectorELNS0_4arch9wavefront6targetE1EEEvSJ_.has_recursion, 0
	.set _ZN7rocprim17ROCPRIM_400000_NS6detail17trampoline_kernelINS0_13kernel_configILj256ELj4ELj4294967295EEENS1_37radix_sort_block_sort_config_selectorIbiEEZNS1_21radix_sort_block_sortIS4_Lb1EN6thrust23THRUST_200600_302600_NS6detail15normal_iteratorINS9_10device_ptrIbEEEESE_NSB_INSC_IiEEEESG_NS0_19identity_decomposerEEE10hipError_tT1_T2_T3_T4_jRjT5_jjP12ihipStream_tbEUlT_E_NS1_11comp_targetILNS1_3genE4ELNS1_11target_archE910ELNS1_3gpuE8ELNS1_3repE0EEENS1_44radix_sort_block_sort_config_static_selectorELNS0_4arch9wavefront6targetE1EEEvSJ_.has_indirect_call, 0
	.section	.AMDGPU.csdata,"",@progbits
; Kernel info:
; codeLenInByte = 0
; TotalNumSgprs: 6
; NumVgprs: 0
; NumAgprs: 0
; TotalNumVgprs: 0
; ScratchSize: 0
; MemoryBound: 0
; FloatMode: 240
; IeeeMode: 1
; LDSByteSize: 0 bytes/workgroup (compile time only)
; SGPRBlocks: 0
; VGPRBlocks: 0
; NumSGPRsForWavesPerEU: 6
; NumVGPRsForWavesPerEU: 1
; AccumOffset: 4
; Occupancy: 8
; WaveLimiterHint : 0
; COMPUTE_PGM_RSRC2:SCRATCH_EN: 0
; COMPUTE_PGM_RSRC2:USER_SGPR: 2
; COMPUTE_PGM_RSRC2:TRAP_HANDLER: 0
; COMPUTE_PGM_RSRC2:TGID_X_EN: 1
; COMPUTE_PGM_RSRC2:TGID_Y_EN: 0
; COMPUTE_PGM_RSRC2:TGID_Z_EN: 0
; COMPUTE_PGM_RSRC2:TIDIG_COMP_CNT: 0
; COMPUTE_PGM_RSRC3_GFX90A:ACCUM_OFFSET: 0
; COMPUTE_PGM_RSRC3_GFX90A:TG_SPLIT: 0
	.section	.text._ZN7rocprim17ROCPRIM_400000_NS6detail17trampoline_kernelINS0_13kernel_configILj256ELj4ELj4294967295EEENS1_37radix_sort_block_sort_config_selectorIbiEEZNS1_21radix_sort_block_sortIS4_Lb1EN6thrust23THRUST_200600_302600_NS6detail15normal_iteratorINS9_10device_ptrIbEEEESE_NSB_INSC_IiEEEESG_NS0_19identity_decomposerEEE10hipError_tT1_T2_T3_T4_jRjT5_jjP12ihipStream_tbEUlT_E_NS1_11comp_targetILNS1_3genE3ELNS1_11target_archE908ELNS1_3gpuE7ELNS1_3repE0EEENS1_44radix_sort_block_sort_config_static_selectorELNS0_4arch9wavefront6targetE1EEEvSJ_,"axG",@progbits,_ZN7rocprim17ROCPRIM_400000_NS6detail17trampoline_kernelINS0_13kernel_configILj256ELj4ELj4294967295EEENS1_37radix_sort_block_sort_config_selectorIbiEEZNS1_21radix_sort_block_sortIS4_Lb1EN6thrust23THRUST_200600_302600_NS6detail15normal_iteratorINS9_10device_ptrIbEEEESE_NSB_INSC_IiEEEESG_NS0_19identity_decomposerEEE10hipError_tT1_T2_T3_T4_jRjT5_jjP12ihipStream_tbEUlT_E_NS1_11comp_targetILNS1_3genE3ELNS1_11target_archE908ELNS1_3gpuE7ELNS1_3repE0EEENS1_44radix_sort_block_sort_config_static_selectorELNS0_4arch9wavefront6targetE1EEEvSJ_,comdat
	.protected	_ZN7rocprim17ROCPRIM_400000_NS6detail17trampoline_kernelINS0_13kernel_configILj256ELj4ELj4294967295EEENS1_37radix_sort_block_sort_config_selectorIbiEEZNS1_21radix_sort_block_sortIS4_Lb1EN6thrust23THRUST_200600_302600_NS6detail15normal_iteratorINS9_10device_ptrIbEEEESE_NSB_INSC_IiEEEESG_NS0_19identity_decomposerEEE10hipError_tT1_T2_T3_T4_jRjT5_jjP12ihipStream_tbEUlT_E_NS1_11comp_targetILNS1_3genE3ELNS1_11target_archE908ELNS1_3gpuE7ELNS1_3repE0EEENS1_44radix_sort_block_sort_config_static_selectorELNS0_4arch9wavefront6targetE1EEEvSJ_ ; -- Begin function _ZN7rocprim17ROCPRIM_400000_NS6detail17trampoline_kernelINS0_13kernel_configILj256ELj4ELj4294967295EEENS1_37radix_sort_block_sort_config_selectorIbiEEZNS1_21radix_sort_block_sortIS4_Lb1EN6thrust23THRUST_200600_302600_NS6detail15normal_iteratorINS9_10device_ptrIbEEEESE_NSB_INSC_IiEEEESG_NS0_19identity_decomposerEEE10hipError_tT1_T2_T3_T4_jRjT5_jjP12ihipStream_tbEUlT_E_NS1_11comp_targetILNS1_3genE3ELNS1_11target_archE908ELNS1_3gpuE7ELNS1_3repE0EEENS1_44radix_sort_block_sort_config_static_selectorELNS0_4arch9wavefront6targetE1EEEvSJ_
	.globl	_ZN7rocprim17ROCPRIM_400000_NS6detail17trampoline_kernelINS0_13kernel_configILj256ELj4ELj4294967295EEENS1_37radix_sort_block_sort_config_selectorIbiEEZNS1_21radix_sort_block_sortIS4_Lb1EN6thrust23THRUST_200600_302600_NS6detail15normal_iteratorINS9_10device_ptrIbEEEESE_NSB_INSC_IiEEEESG_NS0_19identity_decomposerEEE10hipError_tT1_T2_T3_T4_jRjT5_jjP12ihipStream_tbEUlT_E_NS1_11comp_targetILNS1_3genE3ELNS1_11target_archE908ELNS1_3gpuE7ELNS1_3repE0EEENS1_44radix_sort_block_sort_config_static_selectorELNS0_4arch9wavefront6targetE1EEEvSJ_
	.p2align	8
	.type	_ZN7rocprim17ROCPRIM_400000_NS6detail17trampoline_kernelINS0_13kernel_configILj256ELj4ELj4294967295EEENS1_37radix_sort_block_sort_config_selectorIbiEEZNS1_21radix_sort_block_sortIS4_Lb1EN6thrust23THRUST_200600_302600_NS6detail15normal_iteratorINS9_10device_ptrIbEEEESE_NSB_INSC_IiEEEESG_NS0_19identity_decomposerEEE10hipError_tT1_T2_T3_T4_jRjT5_jjP12ihipStream_tbEUlT_E_NS1_11comp_targetILNS1_3genE3ELNS1_11target_archE908ELNS1_3gpuE7ELNS1_3repE0EEENS1_44radix_sort_block_sort_config_static_selectorELNS0_4arch9wavefront6targetE1EEEvSJ_,@function
_ZN7rocprim17ROCPRIM_400000_NS6detail17trampoline_kernelINS0_13kernel_configILj256ELj4ELj4294967295EEENS1_37radix_sort_block_sort_config_selectorIbiEEZNS1_21radix_sort_block_sortIS4_Lb1EN6thrust23THRUST_200600_302600_NS6detail15normal_iteratorINS9_10device_ptrIbEEEESE_NSB_INSC_IiEEEESG_NS0_19identity_decomposerEEE10hipError_tT1_T2_T3_T4_jRjT5_jjP12ihipStream_tbEUlT_E_NS1_11comp_targetILNS1_3genE3ELNS1_11target_archE908ELNS1_3gpuE7ELNS1_3repE0EEENS1_44radix_sort_block_sort_config_static_selectorELNS0_4arch9wavefront6targetE1EEEvSJ_: ; @_ZN7rocprim17ROCPRIM_400000_NS6detail17trampoline_kernelINS0_13kernel_configILj256ELj4ELj4294967295EEENS1_37radix_sort_block_sort_config_selectorIbiEEZNS1_21radix_sort_block_sortIS4_Lb1EN6thrust23THRUST_200600_302600_NS6detail15normal_iteratorINS9_10device_ptrIbEEEESE_NSB_INSC_IiEEEESG_NS0_19identity_decomposerEEE10hipError_tT1_T2_T3_T4_jRjT5_jjP12ihipStream_tbEUlT_E_NS1_11comp_targetILNS1_3genE3ELNS1_11target_archE908ELNS1_3gpuE7ELNS1_3repE0EEENS1_44radix_sort_block_sort_config_static_selectorELNS0_4arch9wavefront6targetE1EEEvSJ_
; %bb.0:
	.section	.rodata,"a",@progbits
	.p2align	6, 0x0
	.amdhsa_kernel _ZN7rocprim17ROCPRIM_400000_NS6detail17trampoline_kernelINS0_13kernel_configILj256ELj4ELj4294967295EEENS1_37radix_sort_block_sort_config_selectorIbiEEZNS1_21radix_sort_block_sortIS4_Lb1EN6thrust23THRUST_200600_302600_NS6detail15normal_iteratorINS9_10device_ptrIbEEEESE_NSB_INSC_IiEEEESG_NS0_19identity_decomposerEEE10hipError_tT1_T2_T3_T4_jRjT5_jjP12ihipStream_tbEUlT_E_NS1_11comp_targetILNS1_3genE3ELNS1_11target_archE908ELNS1_3gpuE7ELNS1_3repE0EEENS1_44radix_sort_block_sort_config_static_selectorELNS0_4arch9wavefront6targetE1EEEvSJ_
		.amdhsa_group_segment_fixed_size 0
		.amdhsa_private_segment_fixed_size 0
		.amdhsa_kernarg_size 48
		.amdhsa_user_sgpr_count 2
		.amdhsa_user_sgpr_dispatch_ptr 0
		.amdhsa_user_sgpr_queue_ptr 0
		.amdhsa_user_sgpr_kernarg_segment_ptr 1
		.amdhsa_user_sgpr_dispatch_id 0
		.amdhsa_user_sgpr_kernarg_preload_length 0
		.amdhsa_user_sgpr_kernarg_preload_offset 0
		.amdhsa_user_sgpr_private_segment_size 0
		.amdhsa_uses_dynamic_stack 0
		.amdhsa_enable_private_segment 0
		.amdhsa_system_sgpr_workgroup_id_x 1
		.amdhsa_system_sgpr_workgroup_id_y 0
		.amdhsa_system_sgpr_workgroup_id_z 0
		.amdhsa_system_sgpr_workgroup_info 0
		.amdhsa_system_vgpr_workitem_id 0
		.amdhsa_next_free_vgpr 1
		.amdhsa_next_free_sgpr 0
		.amdhsa_accum_offset 4
		.amdhsa_reserve_vcc 0
		.amdhsa_float_round_mode_32 0
		.amdhsa_float_round_mode_16_64 0
		.amdhsa_float_denorm_mode_32 3
		.amdhsa_float_denorm_mode_16_64 3
		.amdhsa_dx10_clamp 1
		.amdhsa_ieee_mode 1
		.amdhsa_fp16_overflow 0
		.amdhsa_tg_split 0
		.amdhsa_exception_fp_ieee_invalid_op 0
		.amdhsa_exception_fp_denorm_src 0
		.amdhsa_exception_fp_ieee_div_zero 0
		.amdhsa_exception_fp_ieee_overflow 0
		.amdhsa_exception_fp_ieee_underflow 0
		.amdhsa_exception_fp_ieee_inexact 0
		.amdhsa_exception_int_div_zero 0
	.end_amdhsa_kernel
	.section	.text._ZN7rocprim17ROCPRIM_400000_NS6detail17trampoline_kernelINS0_13kernel_configILj256ELj4ELj4294967295EEENS1_37radix_sort_block_sort_config_selectorIbiEEZNS1_21radix_sort_block_sortIS4_Lb1EN6thrust23THRUST_200600_302600_NS6detail15normal_iteratorINS9_10device_ptrIbEEEESE_NSB_INSC_IiEEEESG_NS0_19identity_decomposerEEE10hipError_tT1_T2_T3_T4_jRjT5_jjP12ihipStream_tbEUlT_E_NS1_11comp_targetILNS1_3genE3ELNS1_11target_archE908ELNS1_3gpuE7ELNS1_3repE0EEENS1_44radix_sort_block_sort_config_static_selectorELNS0_4arch9wavefront6targetE1EEEvSJ_,"axG",@progbits,_ZN7rocprim17ROCPRIM_400000_NS6detail17trampoline_kernelINS0_13kernel_configILj256ELj4ELj4294967295EEENS1_37radix_sort_block_sort_config_selectorIbiEEZNS1_21radix_sort_block_sortIS4_Lb1EN6thrust23THRUST_200600_302600_NS6detail15normal_iteratorINS9_10device_ptrIbEEEESE_NSB_INSC_IiEEEESG_NS0_19identity_decomposerEEE10hipError_tT1_T2_T3_T4_jRjT5_jjP12ihipStream_tbEUlT_E_NS1_11comp_targetILNS1_3genE3ELNS1_11target_archE908ELNS1_3gpuE7ELNS1_3repE0EEENS1_44radix_sort_block_sort_config_static_selectorELNS0_4arch9wavefront6targetE1EEEvSJ_,comdat
.Lfunc_end2098:
	.size	_ZN7rocprim17ROCPRIM_400000_NS6detail17trampoline_kernelINS0_13kernel_configILj256ELj4ELj4294967295EEENS1_37radix_sort_block_sort_config_selectorIbiEEZNS1_21radix_sort_block_sortIS4_Lb1EN6thrust23THRUST_200600_302600_NS6detail15normal_iteratorINS9_10device_ptrIbEEEESE_NSB_INSC_IiEEEESG_NS0_19identity_decomposerEEE10hipError_tT1_T2_T3_T4_jRjT5_jjP12ihipStream_tbEUlT_E_NS1_11comp_targetILNS1_3genE3ELNS1_11target_archE908ELNS1_3gpuE7ELNS1_3repE0EEENS1_44radix_sort_block_sort_config_static_selectorELNS0_4arch9wavefront6targetE1EEEvSJ_, .Lfunc_end2098-_ZN7rocprim17ROCPRIM_400000_NS6detail17trampoline_kernelINS0_13kernel_configILj256ELj4ELj4294967295EEENS1_37radix_sort_block_sort_config_selectorIbiEEZNS1_21radix_sort_block_sortIS4_Lb1EN6thrust23THRUST_200600_302600_NS6detail15normal_iteratorINS9_10device_ptrIbEEEESE_NSB_INSC_IiEEEESG_NS0_19identity_decomposerEEE10hipError_tT1_T2_T3_T4_jRjT5_jjP12ihipStream_tbEUlT_E_NS1_11comp_targetILNS1_3genE3ELNS1_11target_archE908ELNS1_3gpuE7ELNS1_3repE0EEENS1_44radix_sort_block_sort_config_static_selectorELNS0_4arch9wavefront6targetE1EEEvSJ_
                                        ; -- End function
	.set _ZN7rocprim17ROCPRIM_400000_NS6detail17trampoline_kernelINS0_13kernel_configILj256ELj4ELj4294967295EEENS1_37radix_sort_block_sort_config_selectorIbiEEZNS1_21radix_sort_block_sortIS4_Lb1EN6thrust23THRUST_200600_302600_NS6detail15normal_iteratorINS9_10device_ptrIbEEEESE_NSB_INSC_IiEEEESG_NS0_19identity_decomposerEEE10hipError_tT1_T2_T3_T4_jRjT5_jjP12ihipStream_tbEUlT_E_NS1_11comp_targetILNS1_3genE3ELNS1_11target_archE908ELNS1_3gpuE7ELNS1_3repE0EEENS1_44radix_sort_block_sort_config_static_selectorELNS0_4arch9wavefront6targetE1EEEvSJ_.num_vgpr, 0
	.set _ZN7rocprim17ROCPRIM_400000_NS6detail17trampoline_kernelINS0_13kernel_configILj256ELj4ELj4294967295EEENS1_37radix_sort_block_sort_config_selectorIbiEEZNS1_21radix_sort_block_sortIS4_Lb1EN6thrust23THRUST_200600_302600_NS6detail15normal_iteratorINS9_10device_ptrIbEEEESE_NSB_INSC_IiEEEESG_NS0_19identity_decomposerEEE10hipError_tT1_T2_T3_T4_jRjT5_jjP12ihipStream_tbEUlT_E_NS1_11comp_targetILNS1_3genE3ELNS1_11target_archE908ELNS1_3gpuE7ELNS1_3repE0EEENS1_44radix_sort_block_sort_config_static_selectorELNS0_4arch9wavefront6targetE1EEEvSJ_.num_agpr, 0
	.set _ZN7rocprim17ROCPRIM_400000_NS6detail17trampoline_kernelINS0_13kernel_configILj256ELj4ELj4294967295EEENS1_37radix_sort_block_sort_config_selectorIbiEEZNS1_21radix_sort_block_sortIS4_Lb1EN6thrust23THRUST_200600_302600_NS6detail15normal_iteratorINS9_10device_ptrIbEEEESE_NSB_INSC_IiEEEESG_NS0_19identity_decomposerEEE10hipError_tT1_T2_T3_T4_jRjT5_jjP12ihipStream_tbEUlT_E_NS1_11comp_targetILNS1_3genE3ELNS1_11target_archE908ELNS1_3gpuE7ELNS1_3repE0EEENS1_44radix_sort_block_sort_config_static_selectorELNS0_4arch9wavefront6targetE1EEEvSJ_.numbered_sgpr, 0
	.set _ZN7rocprim17ROCPRIM_400000_NS6detail17trampoline_kernelINS0_13kernel_configILj256ELj4ELj4294967295EEENS1_37radix_sort_block_sort_config_selectorIbiEEZNS1_21radix_sort_block_sortIS4_Lb1EN6thrust23THRUST_200600_302600_NS6detail15normal_iteratorINS9_10device_ptrIbEEEESE_NSB_INSC_IiEEEESG_NS0_19identity_decomposerEEE10hipError_tT1_T2_T3_T4_jRjT5_jjP12ihipStream_tbEUlT_E_NS1_11comp_targetILNS1_3genE3ELNS1_11target_archE908ELNS1_3gpuE7ELNS1_3repE0EEENS1_44radix_sort_block_sort_config_static_selectorELNS0_4arch9wavefront6targetE1EEEvSJ_.num_named_barrier, 0
	.set _ZN7rocprim17ROCPRIM_400000_NS6detail17trampoline_kernelINS0_13kernel_configILj256ELj4ELj4294967295EEENS1_37radix_sort_block_sort_config_selectorIbiEEZNS1_21radix_sort_block_sortIS4_Lb1EN6thrust23THRUST_200600_302600_NS6detail15normal_iteratorINS9_10device_ptrIbEEEESE_NSB_INSC_IiEEEESG_NS0_19identity_decomposerEEE10hipError_tT1_T2_T3_T4_jRjT5_jjP12ihipStream_tbEUlT_E_NS1_11comp_targetILNS1_3genE3ELNS1_11target_archE908ELNS1_3gpuE7ELNS1_3repE0EEENS1_44radix_sort_block_sort_config_static_selectorELNS0_4arch9wavefront6targetE1EEEvSJ_.private_seg_size, 0
	.set _ZN7rocprim17ROCPRIM_400000_NS6detail17trampoline_kernelINS0_13kernel_configILj256ELj4ELj4294967295EEENS1_37radix_sort_block_sort_config_selectorIbiEEZNS1_21radix_sort_block_sortIS4_Lb1EN6thrust23THRUST_200600_302600_NS6detail15normal_iteratorINS9_10device_ptrIbEEEESE_NSB_INSC_IiEEEESG_NS0_19identity_decomposerEEE10hipError_tT1_T2_T3_T4_jRjT5_jjP12ihipStream_tbEUlT_E_NS1_11comp_targetILNS1_3genE3ELNS1_11target_archE908ELNS1_3gpuE7ELNS1_3repE0EEENS1_44radix_sort_block_sort_config_static_selectorELNS0_4arch9wavefront6targetE1EEEvSJ_.uses_vcc, 0
	.set _ZN7rocprim17ROCPRIM_400000_NS6detail17trampoline_kernelINS0_13kernel_configILj256ELj4ELj4294967295EEENS1_37radix_sort_block_sort_config_selectorIbiEEZNS1_21radix_sort_block_sortIS4_Lb1EN6thrust23THRUST_200600_302600_NS6detail15normal_iteratorINS9_10device_ptrIbEEEESE_NSB_INSC_IiEEEESG_NS0_19identity_decomposerEEE10hipError_tT1_T2_T3_T4_jRjT5_jjP12ihipStream_tbEUlT_E_NS1_11comp_targetILNS1_3genE3ELNS1_11target_archE908ELNS1_3gpuE7ELNS1_3repE0EEENS1_44radix_sort_block_sort_config_static_selectorELNS0_4arch9wavefront6targetE1EEEvSJ_.uses_flat_scratch, 0
	.set _ZN7rocprim17ROCPRIM_400000_NS6detail17trampoline_kernelINS0_13kernel_configILj256ELj4ELj4294967295EEENS1_37radix_sort_block_sort_config_selectorIbiEEZNS1_21radix_sort_block_sortIS4_Lb1EN6thrust23THRUST_200600_302600_NS6detail15normal_iteratorINS9_10device_ptrIbEEEESE_NSB_INSC_IiEEEESG_NS0_19identity_decomposerEEE10hipError_tT1_T2_T3_T4_jRjT5_jjP12ihipStream_tbEUlT_E_NS1_11comp_targetILNS1_3genE3ELNS1_11target_archE908ELNS1_3gpuE7ELNS1_3repE0EEENS1_44radix_sort_block_sort_config_static_selectorELNS0_4arch9wavefront6targetE1EEEvSJ_.has_dyn_sized_stack, 0
	.set _ZN7rocprim17ROCPRIM_400000_NS6detail17trampoline_kernelINS0_13kernel_configILj256ELj4ELj4294967295EEENS1_37radix_sort_block_sort_config_selectorIbiEEZNS1_21radix_sort_block_sortIS4_Lb1EN6thrust23THRUST_200600_302600_NS6detail15normal_iteratorINS9_10device_ptrIbEEEESE_NSB_INSC_IiEEEESG_NS0_19identity_decomposerEEE10hipError_tT1_T2_T3_T4_jRjT5_jjP12ihipStream_tbEUlT_E_NS1_11comp_targetILNS1_3genE3ELNS1_11target_archE908ELNS1_3gpuE7ELNS1_3repE0EEENS1_44radix_sort_block_sort_config_static_selectorELNS0_4arch9wavefront6targetE1EEEvSJ_.has_recursion, 0
	.set _ZN7rocprim17ROCPRIM_400000_NS6detail17trampoline_kernelINS0_13kernel_configILj256ELj4ELj4294967295EEENS1_37radix_sort_block_sort_config_selectorIbiEEZNS1_21radix_sort_block_sortIS4_Lb1EN6thrust23THRUST_200600_302600_NS6detail15normal_iteratorINS9_10device_ptrIbEEEESE_NSB_INSC_IiEEEESG_NS0_19identity_decomposerEEE10hipError_tT1_T2_T3_T4_jRjT5_jjP12ihipStream_tbEUlT_E_NS1_11comp_targetILNS1_3genE3ELNS1_11target_archE908ELNS1_3gpuE7ELNS1_3repE0EEENS1_44radix_sort_block_sort_config_static_selectorELNS0_4arch9wavefront6targetE1EEEvSJ_.has_indirect_call, 0
	.section	.AMDGPU.csdata,"",@progbits
; Kernel info:
; codeLenInByte = 0
; TotalNumSgprs: 6
; NumVgprs: 0
; NumAgprs: 0
; TotalNumVgprs: 0
; ScratchSize: 0
; MemoryBound: 0
; FloatMode: 240
; IeeeMode: 1
; LDSByteSize: 0 bytes/workgroup (compile time only)
; SGPRBlocks: 0
; VGPRBlocks: 0
; NumSGPRsForWavesPerEU: 6
; NumVGPRsForWavesPerEU: 1
; AccumOffset: 4
; Occupancy: 8
; WaveLimiterHint : 0
; COMPUTE_PGM_RSRC2:SCRATCH_EN: 0
; COMPUTE_PGM_RSRC2:USER_SGPR: 2
; COMPUTE_PGM_RSRC2:TRAP_HANDLER: 0
; COMPUTE_PGM_RSRC2:TGID_X_EN: 1
; COMPUTE_PGM_RSRC2:TGID_Y_EN: 0
; COMPUTE_PGM_RSRC2:TGID_Z_EN: 0
; COMPUTE_PGM_RSRC2:TIDIG_COMP_CNT: 0
; COMPUTE_PGM_RSRC3_GFX90A:ACCUM_OFFSET: 0
; COMPUTE_PGM_RSRC3_GFX90A:TG_SPLIT: 0
	.section	.text._ZN7rocprim17ROCPRIM_400000_NS6detail17trampoline_kernelINS0_13kernel_configILj256ELj4ELj4294967295EEENS1_37radix_sort_block_sort_config_selectorIbiEEZNS1_21radix_sort_block_sortIS4_Lb1EN6thrust23THRUST_200600_302600_NS6detail15normal_iteratorINS9_10device_ptrIbEEEESE_NSB_INSC_IiEEEESG_NS0_19identity_decomposerEEE10hipError_tT1_T2_T3_T4_jRjT5_jjP12ihipStream_tbEUlT_E_NS1_11comp_targetILNS1_3genE2ELNS1_11target_archE906ELNS1_3gpuE6ELNS1_3repE0EEENS1_44radix_sort_block_sort_config_static_selectorELNS0_4arch9wavefront6targetE1EEEvSJ_,"axG",@progbits,_ZN7rocprim17ROCPRIM_400000_NS6detail17trampoline_kernelINS0_13kernel_configILj256ELj4ELj4294967295EEENS1_37radix_sort_block_sort_config_selectorIbiEEZNS1_21radix_sort_block_sortIS4_Lb1EN6thrust23THRUST_200600_302600_NS6detail15normal_iteratorINS9_10device_ptrIbEEEESE_NSB_INSC_IiEEEESG_NS0_19identity_decomposerEEE10hipError_tT1_T2_T3_T4_jRjT5_jjP12ihipStream_tbEUlT_E_NS1_11comp_targetILNS1_3genE2ELNS1_11target_archE906ELNS1_3gpuE6ELNS1_3repE0EEENS1_44radix_sort_block_sort_config_static_selectorELNS0_4arch9wavefront6targetE1EEEvSJ_,comdat
	.protected	_ZN7rocprim17ROCPRIM_400000_NS6detail17trampoline_kernelINS0_13kernel_configILj256ELj4ELj4294967295EEENS1_37radix_sort_block_sort_config_selectorIbiEEZNS1_21radix_sort_block_sortIS4_Lb1EN6thrust23THRUST_200600_302600_NS6detail15normal_iteratorINS9_10device_ptrIbEEEESE_NSB_INSC_IiEEEESG_NS0_19identity_decomposerEEE10hipError_tT1_T2_T3_T4_jRjT5_jjP12ihipStream_tbEUlT_E_NS1_11comp_targetILNS1_3genE2ELNS1_11target_archE906ELNS1_3gpuE6ELNS1_3repE0EEENS1_44radix_sort_block_sort_config_static_selectorELNS0_4arch9wavefront6targetE1EEEvSJ_ ; -- Begin function _ZN7rocprim17ROCPRIM_400000_NS6detail17trampoline_kernelINS0_13kernel_configILj256ELj4ELj4294967295EEENS1_37radix_sort_block_sort_config_selectorIbiEEZNS1_21radix_sort_block_sortIS4_Lb1EN6thrust23THRUST_200600_302600_NS6detail15normal_iteratorINS9_10device_ptrIbEEEESE_NSB_INSC_IiEEEESG_NS0_19identity_decomposerEEE10hipError_tT1_T2_T3_T4_jRjT5_jjP12ihipStream_tbEUlT_E_NS1_11comp_targetILNS1_3genE2ELNS1_11target_archE906ELNS1_3gpuE6ELNS1_3repE0EEENS1_44radix_sort_block_sort_config_static_selectorELNS0_4arch9wavefront6targetE1EEEvSJ_
	.globl	_ZN7rocprim17ROCPRIM_400000_NS6detail17trampoline_kernelINS0_13kernel_configILj256ELj4ELj4294967295EEENS1_37radix_sort_block_sort_config_selectorIbiEEZNS1_21radix_sort_block_sortIS4_Lb1EN6thrust23THRUST_200600_302600_NS6detail15normal_iteratorINS9_10device_ptrIbEEEESE_NSB_INSC_IiEEEESG_NS0_19identity_decomposerEEE10hipError_tT1_T2_T3_T4_jRjT5_jjP12ihipStream_tbEUlT_E_NS1_11comp_targetILNS1_3genE2ELNS1_11target_archE906ELNS1_3gpuE6ELNS1_3repE0EEENS1_44radix_sort_block_sort_config_static_selectorELNS0_4arch9wavefront6targetE1EEEvSJ_
	.p2align	8
	.type	_ZN7rocprim17ROCPRIM_400000_NS6detail17trampoline_kernelINS0_13kernel_configILj256ELj4ELj4294967295EEENS1_37radix_sort_block_sort_config_selectorIbiEEZNS1_21radix_sort_block_sortIS4_Lb1EN6thrust23THRUST_200600_302600_NS6detail15normal_iteratorINS9_10device_ptrIbEEEESE_NSB_INSC_IiEEEESG_NS0_19identity_decomposerEEE10hipError_tT1_T2_T3_T4_jRjT5_jjP12ihipStream_tbEUlT_E_NS1_11comp_targetILNS1_3genE2ELNS1_11target_archE906ELNS1_3gpuE6ELNS1_3repE0EEENS1_44radix_sort_block_sort_config_static_selectorELNS0_4arch9wavefront6targetE1EEEvSJ_,@function
_ZN7rocprim17ROCPRIM_400000_NS6detail17trampoline_kernelINS0_13kernel_configILj256ELj4ELj4294967295EEENS1_37radix_sort_block_sort_config_selectorIbiEEZNS1_21radix_sort_block_sortIS4_Lb1EN6thrust23THRUST_200600_302600_NS6detail15normal_iteratorINS9_10device_ptrIbEEEESE_NSB_INSC_IiEEEESG_NS0_19identity_decomposerEEE10hipError_tT1_T2_T3_T4_jRjT5_jjP12ihipStream_tbEUlT_E_NS1_11comp_targetILNS1_3genE2ELNS1_11target_archE906ELNS1_3gpuE6ELNS1_3repE0EEENS1_44radix_sort_block_sort_config_static_selectorELNS0_4arch9wavefront6targetE1EEEvSJ_: ; @_ZN7rocprim17ROCPRIM_400000_NS6detail17trampoline_kernelINS0_13kernel_configILj256ELj4ELj4294967295EEENS1_37radix_sort_block_sort_config_selectorIbiEEZNS1_21radix_sort_block_sortIS4_Lb1EN6thrust23THRUST_200600_302600_NS6detail15normal_iteratorINS9_10device_ptrIbEEEESE_NSB_INSC_IiEEEESG_NS0_19identity_decomposerEEE10hipError_tT1_T2_T3_T4_jRjT5_jjP12ihipStream_tbEUlT_E_NS1_11comp_targetILNS1_3genE2ELNS1_11target_archE906ELNS1_3gpuE6ELNS1_3repE0EEENS1_44radix_sort_block_sort_config_static_selectorELNS0_4arch9wavefront6targetE1EEEvSJ_
; %bb.0:
	.section	.rodata,"a",@progbits
	.p2align	6, 0x0
	.amdhsa_kernel _ZN7rocprim17ROCPRIM_400000_NS6detail17trampoline_kernelINS0_13kernel_configILj256ELj4ELj4294967295EEENS1_37radix_sort_block_sort_config_selectorIbiEEZNS1_21radix_sort_block_sortIS4_Lb1EN6thrust23THRUST_200600_302600_NS6detail15normal_iteratorINS9_10device_ptrIbEEEESE_NSB_INSC_IiEEEESG_NS0_19identity_decomposerEEE10hipError_tT1_T2_T3_T4_jRjT5_jjP12ihipStream_tbEUlT_E_NS1_11comp_targetILNS1_3genE2ELNS1_11target_archE906ELNS1_3gpuE6ELNS1_3repE0EEENS1_44radix_sort_block_sort_config_static_selectorELNS0_4arch9wavefront6targetE1EEEvSJ_
		.amdhsa_group_segment_fixed_size 0
		.amdhsa_private_segment_fixed_size 0
		.amdhsa_kernarg_size 48
		.amdhsa_user_sgpr_count 2
		.amdhsa_user_sgpr_dispatch_ptr 0
		.amdhsa_user_sgpr_queue_ptr 0
		.amdhsa_user_sgpr_kernarg_segment_ptr 1
		.amdhsa_user_sgpr_dispatch_id 0
		.amdhsa_user_sgpr_kernarg_preload_length 0
		.amdhsa_user_sgpr_kernarg_preload_offset 0
		.amdhsa_user_sgpr_private_segment_size 0
		.amdhsa_uses_dynamic_stack 0
		.amdhsa_enable_private_segment 0
		.amdhsa_system_sgpr_workgroup_id_x 1
		.amdhsa_system_sgpr_workgroup_id_y 0
		.amdhsa_system_sgpr_workgroup_id_z 0
		.amdhsa_system_sgpr_workgroup_info 0
		.amdhsa_system_vgpr_workitem_id 0
		.amdhsa_next_free_vgpr 1
		.amdhsa_next_free_sgpr 0
		.amdhsa_accum_offset 4
		.amdhsa_reserve_vcc 0
		.amdhsa_float_round_mode_32 0
		.amdhsa_float_round_mode_16_64 0
		.amdhsa_float_denorm_mode_32 3
		.amdhsa_float_denorm_mode_16_64 3
		.amdhsa_dx10_clamp 1
		.amdhsa_ieee_mode 1
		.amdhsa_fp16_overflow 0
		.amdhsa_tg_split 0
		.amdhsa_exception_fp_ieee_invalid_op 0
		.amdhsa_exception_fp_denorm_src 0
		.amdhsa_exception_fp_ieee_div_zero 0
		.amdhsa_exception_fp_ieee_overflow 0
		.amdhsa_exception_fp_ieee_underflow 0
		.amdhsa_exception_fp_ieee_inexact 0
		.amdhsa_exception_int_div_zero 0
	.end_amdhsa_kernel
	.section	.text._ZN7rocprim17ROCPRIM_400000_NS6detail17trampoline_kernelINS0_13kernel_configILj256ELj4ELj4294967295EEENS1_37radix_sort_block_sort_config_selectorIbiEEZNS1_21radix_sort_block_sortIS4_Lb1EN6thrust23THRUST_200600_302600_NS6detail15normal_iteratorINS9_10device_ptrIbEEEESE_NSB_INSC_IiEEEESG_NS0_19identity_decomposerEEE10hipError_tT1_T2_T3_T4_jRjT5_jjP12ihipStream_tbEUlT_E_NS1_11comp_targetILNS1_3genE2ELNS1_11target_archE906ELNS1_3gpuE6ELNS1_3repE0EEENS1_44radix_sort_block_sort_config_static_selectorELNS0_4arch9wavefront6targetE1EEEvSJ_,"axG",@progbits,_ZN7rocprim17ROCPRIM_400000_NS6detail17trampoline_kernelINS0_13kernel_configILj256ELj4ELj4294967295EEENS1_37radix_sort_block_sort_config_selectorIbiEEZNS1_21radix_sort_block_sortIS4_Lb1EN6thrust23THRUST_200600_302600_NS6detail15normal_iteratorINS9_10device_ptrIbEEEESE_NSB_INSC_IiEEEESG_NS0_19identity_decomposerEEE10hipError_tT1_T2_T3_T4_jRjT5_jjP12ihipStream_tbEUlT_E_NS1_11comp_targetILNS1_3genE2ELNS1_11target_archE906ELNS1_3gpuE6ELNS1_3repE0EEENS1_44radix_sort_block_sort_config_static_selectorELNS0_4arch9wavefront6targetE1EEEvSJ_,comdat
.Lfunc_end2099:
	.size	_ZN7rocprim17ROCPRIM_400000_NS6detail17trampoline_kernelINS0_13kernel_configILj256ELj4ELj4294967295EEENS1_37radix_sort_block_sort_config_selectorIbiEEZNS1_21radix_sort_block_sortIS4_Lb1EN6thrust23THRUST_200600_302600_NS6detail15normal_iteratorINS9_10device_ptrIbEEEESE_NSB_INSC_IiEEEESG_NS0_19identity_decomposerEEE10hipError_tT1_T2_T3_T4_jRjT5_jjP12ihipStream_tbEUlT_E_NS1_11comp_targetILNS1_3genE2ELNS1_11target_archE906ELNS1_3gpuE6ELNS1_3repE0EEENS1_44radix_sort_block_sort_config_static_selectorELNS0_4arch9wavefront6targetE1EEEvSJ_, .Lfunc_end2099-_ZN7rocprim17ROCPRIM_400000_NS6detail17trampoline_kernelINS0_13kernel_configILj256ELj4ELj4294967295EEENS1_37radix_sort_block_sort_config_selectorIbiEEZNS1_21radix_sort_block_sortIS4_Lb1EN6thrust23THRUST_200600_302600_NS6detail15normal_iteratorINS9_10device_ptrIbEEEESE_NSB_INSC_IiEEEESG_NS0_19identity_decomposerEEE10hipError_tT1_T2_T3_T4_jRjT5_jjP12ihipStream_tbEUlT_E_NS1_11comp_targetILNS1_3genE2ELNS1_11target_archE906ELNS1_3gpuE6ELNS1_3repE0EEENS1_44radix_sort_block_sort_config_static_selectorELNS0_4arch9wavefront6targetE1EEEvSJ_
                                        ; -- End function
	.set _ZN7rocprim17ROCPRIM_400000_NS6detail17trampoline_kernelINS0_13kernel_configILj256ELj4ELj4294967295EEENS1_37radix_sort_block_sort_config_selectorIbiEEZNS1_21radix_sort_block_sortIS4_Lb1EN6thrust23THRUST_200600_302600_NS6detail15normal_iteratorINS9_10device_ptrIbEEEESE_NSB_INSC_IiEEEESG_NS0_19identity_decomposerEEE10hipError_tT1_T2_T3_T4_jRjT5_jjP12ihipStream_tbEUlT_E_NS1_11comp_targetILNS1_3genE2ELNS1_11target_archE906ELNS1_3gpuE6ELNS1_3repE0EEENS1_44radix_sort_block_sort_config_static_selectorELNS0_4arch9wavefront6targetE1EEEvSJ_.num_vgpr, 0
	.set _ZN7rocprim17ROCPRIM_400000_NS6detail17trampoline_kernelINS0_13kernel_configILj256ELj4ELj4294967295EEENS1_37radix_sort_block_sort_config_selectorIbiEEZNS1_21radix_sort_block_sortIS4_Lb1EN6thrust23THRUST_200600_302600_NS6detail15normal_iteratorINS9_10device_ptrIbEEEESE_NSB_INSC_IiEEEESG_NS0_19identity_decomposerEEE10hipError_tT1_T2_T3_T4_jRjT5_jjP12ihipStream_tbEUlT_E_NS1_11comp_targetILNS1_3genE2ELNS1_11target_archE906ELNS1_3gpuE6ELNS1_3repE0EEENS1_44radix_sort_block_sort_config_static_selectorELNS0_4arch9wavefront6targetE1EEEvSJ_.num_agpr, 0
	.set _ZN7rocprim17ROCPRIM_400000_NS6detail17trampoline_kernelINS0_13kernel_configILj256ELj4ELj4294967295EEENS1_37radix_sort_block_sort_config_selectorIbiEEZNS1_21radix_sort_block_sortIS4_Lb1EN6thrust23THRUST_200600_302600_NS6detail15normal_iteratorINS9_10device_ptrIbEEEESE_NSB_INSC_IiEEEESG_NS0_19identity_decomposerEEE10hipError_tT1_T2_T3_T4_jRjT5_jjP12ihipStream_tbEUlT_E_NS1_11comp_targetILNS1_3genE2ELNS1_11target_archE906ELNS1_3gpuE6ELNS1_3repE0EEENS1_44radix_sort_block_sort_config_static_selectorELNS0_4arch9wavefront6targetE1EEEvSJ_.numbered_sgpr, 0
	.set _ZN7rocprim17ROCPRIM_400000_NS6detail17trampoline_kernelINS0_13kernel_configILj256ELj4ELj4294967295EEENS1_37radix_sort_block_sort_config_selectorIbiEEZNS1_21radix_sort_block_sortIS4_Lb1EN6thrust23THRUST_200600_302600_NS6detail15normal_iteratorINS9_10device_ptrIbEEEESE_NSB_INSC_IiEEEESG_NS0_19identity_decomposerEEE10hipError_tT1_T2_T3_T4_jRjT5_jjP12ihipStream_tbEUlT_E_NS1_11comp_targetILNS1_3genE2ELNS1_11target_archE906ELNS1_3gpuE6ELNS1_3repE0EEENS1_44radix_sort_block_sort_config_static_selectorELNS0_4arch9wavefront6targetE1EEEvSJ_.num_named_barrier, 0
	.set _ZN7rocprim17ROCPRIM_400000_NS6detail17trampoline_kernelINS0_13kernel_configILj256ELj4ELj4294967295EEENS1_37radix_sort_block_sort_config_selectorIbiEEZNS1_21radix_sort_block_sortIS4_Lb1EN6thrust23THRUST_200600_302600_NS6detail15normal_iteratorINS9_10device_ptrIbEEEESE_NSB_INSC_IiEEEESG_NS0_19identity_decomposerEEE10hipError_tT1_T2_T3_T4_jRjT5_jjP12ihipStream_tbEUlT_E_NS1_11comp_targetILNS1_3genE2ELNS1_11target_archE906ELNS1_3gpuE6ELNS1_3repE0EEENS1_44radix_sort_block_sort_config_static_selectorELNS0_4arch9wavefront6targetE1EEEvSJ_.private_seg_size, 0
	.set _ZN7rocprim17ROCPRIM_400000_NS6detail17trampoline_kernelINS0_13kernel_configILj256ELj4ELj4294967295EEENS1_37radix_sort_block_sort_config_selectorIbiEEZNS1_21radix_sort_block_sortIS4_Lb1EN6thrust23THRUST_200600_302600_NS6detail15normal_iteratorINS9_10device_ptrIbEEEESE_NSB_INSC_IiEEEESG_NS0_19identity_decomposerEEE10hipError_tT1_T2_T3_T4_jRjT5_jjP12ihipStream_tbEUlT_E_NS1_11comp_targetILNS1_3genE2ELNS1_11target_archE906ELNS1_3gpuE6ELNS1_3repE0EEENS1_44radix_sort_block_sort_config_static_selectorELNS0_4arch9wavefront6targetE1EEEvSJ_.uses_vcc, 0
	.set _ZN7rocprim17ROCPRIM_400000_NS6detail17trampoline_kernelINS0_13kernel_configILj256ELj4ELj4294967295EEENS1_37radix_sort_block_sort_config_selectorIbiEEZNS1_21radix_sort_block_sortIS4_Lb1EN6thrust23THRUST_200600_302600_NS6detail15normal_iteratorINS9_10device_ptrIbEEEESE_NSB_INSC_IiEEEESG_NS0_19identity_decomposerEEE10hipError_tT1_T2_T3_T4_jRjT5_jjP12ihipStream_tbEUlT_E_NS1_11comp_targetILNS1_3genE2ELNS1_11target_archE906ELNS1_3gpuE6ELNS1_3repE0EEENS1_44radix_sort_block_sort_config_static_selectorELNS0_4arch9wavefront6targetE1EEEvSJ_.uses_flat_scratch, 0
	.set _ZN7rocprim17ROCPRIM_400000_NS6detail17trampoline_kernelINS0_13kernel_configILj256ELj4ELj4294967295EEENS1_37radix_sort_block_sort_config_selectorIbiEEZNS1_21radix_sort_block_sortIS4_Lb1EN6thrust23THRUST_200600_302600_NS6detail15normal_iteratorINS9_10device_ptrIbEEEESE_NSB_INSC_IiEEEESG_NS0_19identity_decomposerEEE10hipError_tT1_T2_T3_T4_jRjT5_jjP12ihipStream_tbEUlT_E_NS1_11comp_targetILNS1_3genE2ELNS1_11target_archE906ELNS1_3gpuE6ELNS1_3repE0EEENS1_44radix_sort_block_sort_config_static_selectorELNS0_4arch9wavefront6targetE1EEEvSJ_.has_dyn_sized_stack, 0
	.set _ZN7rocprim17ROCPRIM_400000_NS6detail17trampoline_kernelINS0_13kernel_configILj256ELj4ELj4294967295EEENS1_37radix_sort_block_sort_config_selectorIbiEEZNS1_21radix_sort_block_sortIS4_Lb1EN6thrust23THRUST_200600_302600_NS6detail15normal_iteratorINS9_10device_ptrIbEEEESE_NSB_INSC_IiEEEESG_NS0_19identity_decomposerEEE10hipError_tT1_T2_T3_T4_jRjT5_jjP12ihipStream_tbEUlT_E_NS1_11comp_targetILNS1_3genE2ELNS1_11target_archE906ELNS1_3gpuE6ELNS1_3repE0EEENS1_44radix_sort_block_sort_config_static_selectorELNS0_4arch9wavefront6targetE1EEEvSJ_.has_recursion, 0
	.set _ZN7rocprim17ROCPRIM_400000_NS6detail17trampoline_kernelINS0_13kernel_configILj256ELj4ELj4294967295EEENS1_37radix_sort_block_sort_config_selectorIbiEEZNS1_21radix_sort_block_sortIS4_Lb1EN6thrust23THRUST_200600_302600_NS6detail15normal_iteratorINS9_10device_ptrIbEEEESE_NSB_INSC_IiEEEESG_NS0_19identity_decomposerEEE10hipError_tT1_T2_T3_T4_jRjT5_jjP12ihipStream_tbEUlT_E_NS1_11comp_targetILNS1_3genE2ELNS1_11target_archE906ELNS1_3gpuE6ELNS1_3repE0EEENS1_44radix_sort_block_sort_config_static_selectorELNS0_4arch9wavefront6targetE1EEEvSJ_.has_indirect_call, 0
	.section	.AMDGPU.csdata,"",@progbits
; Kernel info:
; codeLenInByte = 0
; TotalNumSgprs: 6
; NumVgprs: 0
; NumAgprs: 0
; TotalNumVgprs: 0
; ScratchSize: 0
; MemoryBound: 0
; FloatMode: 240
; IeeeMode: 1
; LDSByteSize: 0 bytes/workgroup (compile time only)
; SGPRBlocks: 0
; VGPRBlocks: 0
; NumSGPRsForWavesPerEU: 6
; NumVGPRsForWavesPerEU: 1
; AccumOffset: 4
; Occupancy: 8
; WaveLimiterHint : 0
; COMPUTE_PGM_RSRC2:SCRATCH_EN: 0
; COMPUTE_PGM_RSRC2:USER_SGPR: 2
; COMPUTE_PGM_RSRC2:TRAP_HANDLER: 0
; COMPUTE_PGM_RSRC2:TGID_X_EN: 1
; COMPUTE_PGM_RSRC2:TGID_Y_EN: 0
; COMPUTE_PGM_RSRC2:TGID_Z_EN: 0
; COMPUTE_PGM_RSRC2:TIDIG_COMP_CNT: 0
; COMPUTE_PGM_RSRC3_GFX90A:ACCUM_OFFSET: 0
; COMPUTE_PGM_RSRC3_GFX90A:TG_SPLIT: 0
	.section	.text._ZN7rocprim17ROCPRIM_400000_NS6detail17trampoline_kernelINS0_13kernel_configILj256ELj4ELj4294967295EEENS1_37radix_sort_block_sort_config_selectorIbiEEZNS1_21radix_sort_block_sortIS4_Lb1EN6thrust23THRUST_200600_302600_NS6detail15normal_iteratorINS9_10device_ptrIbEEEESE_NSB_INSC_IiEEEESG_NS0_19identity_decomposerEEE10hipError_tT1_T2_T3_T4_jRjT5_jjP12ihipStream_tbEUlT_E_NS1_11comp_targetILNS1_3genE10ELNS1_11target_archE1201ELNS1_3gpuE5ELNS1_3repE0EEENS1_44radix_sort_block_sort_config_static_selectorELNS0_4arch9wavefront6targetE1EEEvSJ_,"axG",@progbits,_ZN7rocprim17ROCPRIM_400000_NS6detail17trampoline_kernelINS0_13kernel_configILj256ELj4ELj4294967295EEENS1_37radix_sort_block_sort_config_selectorIbiEEZNS1_21radix_sort_block_sortIS4_Lb1EN6thrust23THRUST_200600_302600_NS6detail15normal_iteratorINS9_10device_ptrIbEEEESE_NSB_INSC_IiEEEESG_NS0_19identity_decomposerEEE10hipError_tT1_T2_T3_T4_jRjT5_jjP12ihipStream_tbEUlT_E_NS1_11comp_targetILNS1_3genE10ELNS1_11target_archE1201ELNS1_3gpuE5ELNS1_3repE0EEENS1_44radix_sort_block_sort_config_static_selectorELNS0_4arch9wavefront6targetE1EEEvSJ_,comdat
	.protected	_ZN7rocprim17ROCPRIM_400000_NS6detail17trampoline_kernelINS0_13kernel_configILj256ELj4ELj4294967295EEENS1_37radix_sort_block_sort_config_selectorIbiEEZNS1_21radix_sort_block_sortIS4_Lb1EN6thrust23THRUST_200600_302600_NS6detail15normal_iteratorINS9_10device_ptrIbEEEESE_NSB_INSC_IiEEEESG_NS0_19identity_decomposerEEE10hipError_tT1_T2_T3_T4_jRjT5_jjP12ihipStream_tbEUlT_E_NS1_11comp_targetILNS1_3genE10ELNS1_11target_archE1201ELNS1_3gpuE5ELNS1_3repE0EEENS1_44radix_sort_block_sort_config_static_selectorELNS0_4arch9wavefront6targetE1EEEvSJ_ ; -- Begin function _ZN7rocprim17ROCPRIM_400000_NS6detail17trampoline_kernelINS0_13kernel_configILj256ELj4ELj4294967295EEENS1_37radix_sort_block_sort_config_selectorIbiEEZNS1_21radix_sort_block_sortIS4_Lb1EN6thrust23THRUST_200600_302600_NS6detail15normal_iteratorINS9_10device_ptrIbEEEESE_NSB_INSC_IiEEEESG_NS0_19identity_decomposerEEE10hipError_tT1_T2_T3_T4_jRjT5_jjP12ihipStream_tbEUlT_E_NS1_11comp_targetILNS1_3genE10ELNS1_11target_archE1201ELNS1_3gpuE5ELNS1_3repE0EEENS1_44radix_sort_block_sort_config_static_selectorELNS0_4arch9wavefront6targetE1EEEvSJ_
	.globl	_ZN7rocprim17ROCPRIM_400000_NS6detail17trampoline_kernelINS0_13kernel_configILj256ELj4ELj4294967295EEENS1_37radix_sort_block_sort_config_selectorIbiEEZNS1_21radix_sort_block_sortIS4_Lb1EN6thrust23THRUST_200600_302600_NS6detail15normal_iteratorINS9_10device_ptrIbEEEESE_NSB_INSC_IiEEEESG_NS0_19identity_decomposerEEE10hipError_tT1_T2_T3_T4_jRjT5_jjP12ihipStream_tbEUlT_E_NS1_11comp_targetILNS1_3genE10ELNS1_11target_archE1201ELNS1_3gpuE5ELNS1_3repE0EEENS1_44radix_sort_block_sort_config_static_selectorELNS0_4arch9wavefront6targetE1EEEvSJ_
	.p2align	8
	.type	_ZN7rocprim17ROCPRIM_400000_NS6detail17trampoline_kernelINS0_13kernel_configILj256ELj4ELj4294967295EEENS1_37radix_sort_block_sort_config_selectorIbiEEZNS1_21radix_sort_block_sortIS4_Lb1EN6thrust23THRUST_200600_302600_NS6detail15normal_iteratorINS9_10device_ptrIbEEEESE_NSB_INSC_IiEEEESG_NS0_19identity_decomposerEEE10hipError_tT1_T2_T3_T4_jRjT5_jjP12ihipStream_tbEUlT_E_NS1_11comp_targetILNS1_3genE10ELNS1_11target_archE1201ELNS1_3gpuE5ELNS1_3repE0EEENS1_44radix_sort_block_sort_config_static_selectorELNS0_4arch9wavefront6targetE1EEEvSJ_,@function
_ZN7rocprim17ROCPRIM_400000_NS6detail17trampoline_kernelINS0_13kernel_configILj256ELj4ELj4294967295EEENS1_37radix_sort_block_sort_config_selectorIbiEEZNS1_21radix_sort_block_sortIS4_Lb1EN6thrust23THRUST_200600_302600_NS6detail15normal_iteratorINS9_10device_ptrIbEEEESE_NSB_INSC_IiEEEESG_NS0_19identity_decomposerEEE10hipError_tT1_T2_T3_T4_jRjT5_jjP12ihipStream_tbEUlT_E_NS1_11comp_targetILNS1_3genE10ELNS1_11target_archE1201ELNS1_3gpuE5ELNS1_3repE0EEENS1_44radix_sort_block_sort_config_static_selectorELNS0_4arch9wavefront6targetE1EEEvSJ_: ; @_ZN7rocprim17ROCPRIM_400000_NS6detail17trampoline_kernelINS0_13kernel_configILj256ELj4ELj4294967295EEENS1_37radix_sort_block_sort_config_selectorIbiEEZNS1_21radix_sort_block_sortIS4_Lb1EN6thrust23THRUST_200600_302600_NS6detail15normal_iteratorINS9_10device_ptrIbEEEESE_NSB_INSC_IiEEEESG_NS0_19identity_decomposerEEE10hipError_tT1_T2_T3_T4_jRjT5_jjP12ihipStream_tbEUlT_E_NS1_11comp_targetILNS1_3genE10ELNS1_11target_archE1201ELNS1_3gpuE5ELNS1_3repE0EEENS1_44radix_sort_block_sort_config_static_selectorELNS0_4arch9wavefront6targetE1EEEvSJ_
; %bb.0:
	.section	.rodata,"a",@progbits
	.p2align	6, 0x0
	.amdhsa_kernel _ZN7rocprim17ROCPRIM_400000_NS6detail17trampoline_kernelINS0_13kernel_configILj256ELj4ELj4294967295EEENS1_37radix_sort_block_sort_config_selectorIbiEEZNS1_21radix_sort_block_sortIS4_Lb1EN6thrust23THRUST_200600_302600_NS6detail15normal_iteratorINS9_10device_ptrIbEEEESE_NSB_INSC_IiEEEESG_NS0_19identity_decomposerEEE10hipError_tT1_T2_T3_T4_jRjT5_jjP12ihipStream_tbEUlT_E_NS1_11comp_targetILNS1_3genE10ELNS1_11target_archE1201ELNS1_3gpuE5ELNS1_3repE0EEENS1_44radix_sort_block_sort_config_static_selectorELNS0_4arch9wavefront6targetE1EEEvSJ_
		.amdhsa_group_segment_fixed_size 0
		.amdhsa_private_segment_fixed_size 0
		.amdhsa_kernarg_size 48
		.amdhsa_user_sgpr_count 2
		.amdhsa_user_sgpr_dispatch_ptr 0
		.amdhsa_user_sgpr_queue_ptr 0
		.amdhsa_user_sgpr_kernarg_segment_ptr 1
		.amdhsa_user_sgpr_dispatch_id 0
		.amdhsa_user_sgpr_kernarg_preload_length 0
		.amdhsa_user_sgpr_kernarg_preload_offset 0
		.amdhsa_user_sgpr_private_segment_size 0
		.amdhsa_uses_dynamic_stack 0
		.amdhsa_enable_private_segment 0
		.amdhsa_system_sgpr_workgroup_id_x 1
		.amdhsa_system_sgpr_workgroup_id_y 0
		.amdhsa_system_sgpr_workgroup_id_z 0
		.amdhsa_system_sgpr_workgroup_info 0
		.amdhsa_system_vgpr_workitem_id 0
		.amdhsa_next_free_vgpr 1
		.amdhsa_next_free_sgpr 0
		.amdhsa_accum_offset 4
		.amdhsa_reserve_vcc 0
		.amdhsa_float_round_mode_32 0
		.amdhsa_float_round_mode_16_64 0
		.amdhsa_float_denorm_mode_32 3
		.amdhsa_float_denorm_mode_16_64 3
		.amdhsa_dx10_clamp 1
		.amdhsa_ieee_mode 1
		.amdhsa_fp16_overflow 0
		.amdhsa_tg_split 0
		.amdhsa_exception_fp_ieee_invalid_op 0
		.amdhsa_exception_fp_denorm_src 0
		.amdhsa_exception_fp_ieee_div_zero 0
		.amdhsa_exception_fp_ieee_overflow 0
		.amdhsa_exception_fp_ieee_underflow 0
		.amdhsa_exception_fp_ieee_inexact 0
		.amdhsa_exception_int_div_zero 0
	.end_amdhsa_kernel
	.section	.text._ZN7rocprim17ROCPRIM_400000_NS6detail17trampoline_kernelINS0_13kernel_configILj256ELj4ELj4294967295EEENS1_37radix_sort_block_sort_config_selectorIbiEEZNS1_21radix_sort_block_sortIS4_Lb1EN6thrust23THRUST_200600_302600_NS6detail15normal_iteratorINS9_10device_ptrIbEEEESE_NSB_INSC_IiEEEESG_NS0_19identity_decomposerEEE10hipError_tT1_T2_T3_T4_jRjT5_jjP12ihipStream_tbEUlT_E_NS1_11comp_targetILNS1_3genE10ELNS1_11target_archE1201ELNS1_3gpuE5ELNS1_3repE0EEENS1_44radix_sort_block_sort_config_static_selectorELNS0_4arch9wavefront6targetE1EEEvSJ_,"axG",@progbits,_ZN7rocprim17ROCPRIM_400000_NS6detail17trampoline_kernelINS0_13kernel_configILj256ELj4ELj4294967295EEENS1_37radix_sort_block_sort_config_selectorIbiEEZNS1_21radix_sort_block_sortIS4_Lb1EN6thrust23THRUST_200600_302600_NS6detail15normal_iteratorINS9_10device_ptrIbEEEESE_NSB_INSC_IiEEEESG_NS0_19identity_decomposerEEE10hipError_tT1_T2_T3_T4_jRjT5_jjP12ihipStream_tbEUlT_E_NS1_11comp_targetILNS1_3genE10ELNS1_11target_archE1201ELNS1_3gpuE5ELNS1_3repE0EEENS1_44radix_sort_block_sort_config_static_selectorELNS0_4arch9wavefront6targetE1EEEvSJ_,comdat
.Lfunc_end2100:
	.size	_ZN7rocprim17ROCPRIM_400000_NS6detail17trampoline_kernelINS0_13kernel_configILj256ELj4ELj4294967295EEENS1_37radix_sort_block_sort_config_selectorIbiEEZNS1_21radix_sort_block_sortIS4_Lb1EN6thrust23THRUST_200600_302600_NS6detail15normal_iteratorINS9_10device_ptrIbEEEESE_NSB_INSC_IiEEEESG_NS0_19identity_decomposerEEE10hipError_tT1_T2_T3_T4_jRjT5_jjP12ihipStream_tbEUlT_E_NS1_11comp_targetILNS1_3genE10ELNS1_11target_archE1201ELNS1_3gpuE5ELNS1_3repE0EEENS1_44radix_sort_block_sort_config_static_selectorELNS0_4arch9wavefront6targetE1EEEvSJ_, .Lfunc_end2100-_ZN7rocprim17ROCPRIM_400000_NS6detail17trampoline_kernelINS0_13kernel_configILj256ELj4ELj4294967295EEENS1_37radix_sort_block_sort_config_selectorIbiEEZNS1_21radix_sort_block_sortIS4_Lb1EN6thrust23THRUST_200600_302600_NS6detail15normal_iteratorINS9_10device_ptrIbEEEESE_NSB_INSC_IiEEEESG_NS0_19identity_decomposerEEE10hipError_tT1_T2_T3_T4_jRjT5_jjP12ihipStream_tbEUlT_E_NS1_11comp_targetILNS1_3genE10ELNS1_11target_archE1201ELNS1_3gpuE5ELNS1_3repE0EEENS1_44radix_sort_block_sort_config_static_selectorELNS0_4arch9wavefront6targetE1EEEvSJ_
                                        ; -- End function
	.set _ZN7rocprim17ROCPRIM_400000_NS6detail17trampoline_kernelINS0_13kernel_configILj256ELj4ELj4294967295EEENS1_37radix_sort_block_sort_config_selectorIbiEEZNS1_21radix_sort_block_sortIS4_Lb1EN6thrust23THRUST_200600_302600_NS6detail15normal_iteratorINS9_10device_ptrIbEEEESE_NSB_INSC_IiEEEESG_NS0_19identity_decomposerEEE10hipError_tT1_T2_T3_T4_jRjT5_jjP12ihipStream_tbEUlT_E_NS1_11comp_targetILNS1_3genE10ELNS1_11target_archE1201ELNS1_3gpuE5ELNS1_3repE0EEENS1_44radix_sort_block_sort_config_static_selectorELNS0_4arch9wavefront6targetE1EEEvSJ_.num_vgpr, 0
	.set _ZN7rocprim17ROCPRIM_400000_NS6detail17trampoline_kernelINS0_13kernel_configILj256ELj4ELj4294967295EEENS1_37radix_sort_block_sort_config_selectorIbiEEZNS1_21radix_sort_block_sortIS4_Lb1EN6thrust23THRUST_200600_302600_NS6detail15normal_iteratorINS9_10device_ptrIbEEEESE_NSB_INSC_IiEEEESG_NS0_19identity_decomposerEEE10hipError_tT1_T2_T3_T4_jRjT5_jjP12ihipStream_tbEUlT_E_NS1_11comp_targetILNS1_3genE10ELNS1_11target_archE1201ELNS1_3gpuE5ELNS1_3repE0EEENS1_44radix_sort_block_sort_config_static_selectorELNS0_4arch9wavefront6targetE1EEEvSJ_.num_agpr, 0
	.set _ZN7rocprim17ROCPRIM_400000_NS6detail17trampoline_kernelINS0_13kernel_configILj256ELj4ELj4294967295EEENS1_37radix_sort_block_sort_config_selectorIbiEEZNS1_21radix_sort_block_sortIS4_Lb1EN6thrust23THRUST_200600_302600_NS6detail15normal_iteratorINS9_10device_ptrIbEEEESE_NSB_INSC_IiEEEESG_NS0_19identity_decomposerEEE10hipError_tT1_T2_T3_T4_jRjT5_jjP12ihipStream_tbEUlT_E_NS1_11comp_targetILNS1_3genE10ELNS1_11target_archE1201ELNS1_3gpuE5ELNS1_3repE0EEENS1_44radix_sort_block_sort_config_static_selectorELNS0_4arch9wavefront6targetE1EEEvSJ_.numbered_sgpr, 0
	.set _ZN7rocprim17ROCPRIM_400000_NS6detail17trampoline_kernelINS0_13kernel_configILj256ELj4ELj4294967295EEENS1_37radix_sort_block_sort_config_selectorIbiEEZNS1_21radix_sort_block_sortIS4_Lb1EN6thrust23THRUST_200600_302600_NS6detail15normal_iteratorINS9_10device_ptrIbEEEESE_NSB_INSC_IiEEEESG_NS0_19identity_decomposerEEE10hipError_tT1_T2_T3_T4_jRjT5_jjP12ihipStream_tbEUlT_E_NS1_11comp_targetILNS1_3genE10ELNS1_11target_archE1201ELNS1_3gpuE5ELNS1_3repE0EEENS1_44radix_sort_block_sort_config_static_selectorELNS0_4arch9wavefront6targetE1EEEvSJ_.num_named_barrier, 0
	.set _ZN7rocprim17ROCPRIM_400000_NS6detail17trampoline_kernelINS0_13kernel_configILj256ELj4ELj4294967295EEENS1_37radix_sort_block_sort_config_selectorIbiEEZNS1_21radix_sort_block_sortIS4_Lb1EN6thrust23THRUST_200600_302600_NS6detail15normal_iteratorINS9_10device_ptrIbEEEESE_NSB_INSC_IiEEEESG_NS0_19identity_decomposerEEE10hipError_tT1_T2_T3_T4_jRjT5_jjP12ihipStream_tbEUlT_E_NS1_11comp_targetILNS1_3genE10ELNS1_11target_archE1201ELNS1_3gpuE5ELNS1_3repE0EEENS1_44radix_sort_block_sort_config_static_selectorELNS0_4arch9wavefront6targetE1EEEvSJ_.private_seg_size, 0
	.set _ZN7rocprim17ROCPRIM_400000_NS6detail17trampoline_kernelINS0_13kernel_configILj256ELj4ELj4294967295EEENS1_37radix_sort_block_sort_config_selectorIbiEEZNS1_21radix_sort_block_sortIS4_Lb1EN6thrust23THRUST_200600_302600_NS6detail15normal_iteratorINS9_10device_ptrIbEEEESE_NSB_INSC_IiEEEESG_NS0_19identity_decomposerEEE10hipError_tT1_T2_T3_T4_jRjT5_jjP12ihipStream_tbEUlT_E_NS1_11comp_targetILNS1_3genE10ELNS1_11target_archE1201ELNS1_3gpuE5ELNS1_3repE0EEENS1_44radix_sort_block_sort_config_static_selectorELNS0_4arch9wavefront6targetE1EEEvSJ_.uses_vcc, 0
	.set _ZN7rocprim17ROCPRIM_400000_NS6detail17trampoline_kernelINS0_13kernel_configILj256ELj4ELj4294967295EEENS1_37radix_sort_block_sort_config_selectorIbiEEZNS1_21radix_sort_block_sortIS4_Lb1EN6thrust23THRUST_200600_302600_NS6detail15normal_iteratorINS9_10device_ptrIbEEEESE_NSB_INSC_IiEEEESG_NS0_19identity_decomposerEEE10hipError_tT1_T2_T3_T4_jRjT5_jjP12ihipStream_tbEUlT_E_NS1_11comp_targetILNS1_3genE10ELNS1_11target_archE1201ELNS1_3gpuE5ELNS1_3repE0EEENS1_44radix_sort_block_sort_config_static_selectorELNS0_4arch9wavefront6targetE1EEEvSJ_.uses_flat_scratch, 0
	.set _ZN7rocprim17ROCPRIM_400000_NS6detail17trampoline_kernelINS0_13kernel_configILj256ELj4ELj4294967295EEENS1_37radix_sort_block_sort_config_selectorIbiEEZNS1_21radix_sort_block_sortIS4_Lb1EN6thrust23THRUST_200600_302600_NS6detail15normal_iteratorINS9_10device_ptrIbEEEESE_NSB_INSC_IiEEEESG_NS0_19identity_decomposerEEE10hipError_tT1_T2_T3_T4_jRjT5_jjP12ihipStream_tbEUlT_E_NS1_11comp_targetILNS1_3genE10ELNS1_11target_archE1201ELNS1_3gpuE5ELNS1_3repE0EEENS1_44radix_sort_block_sort_config_static_selectorELNS0_4arch9wavefront6targetE1EEEvSJ_.has_dyn_sized_stack, 0
	.set _ZN7rocprim17ROCPRIM_400000_NS6detail17trampoline_kernelINS0_13kernel_configILj256ELj4ELj4294967295EEENS1_37radix_sort_block_sort_config_selectorIbiEEZNS1_21radix_sort_block_sortIS4_Lb1EN6thrust23THRUST_200600_302600_NS6detail15normal_iteratorINS9_10device_ptrIbEEEESE_NSB_INSC_IiEEEESG_NS0_19identity_decomposerEEE10hipError_tT1_T2_T3_T4_jRjT5_jjP12ihipStream_tbEUlT_E_NS1_11comp_targetILNS1_3genE10ELNS1_11target_archE1201ELNS1_3gpuE5ELNS1_3repE0EEENS1_44radix_sort_block_sort_config_static_selectorELNS0_4arch9wavefront6targetE1EEEvSJ_.has_recursion, 0
	.set _ZN7rocprim17ROCPRIM_400000_NS6detail17trampoline_kernelINS0_13kernel_configILj256ELj4ELj4294967295EEENS1_37radix_sort_block_sort_config_selectorIbiEEZNS1_21radix_sort_block_sortIS4_Lb1EN6thrust23THRUST_200600_302600_NS6detail15normal_iteratorINS9_10device_ptrIbEEEESE_NSB_INSC_IiEEEESG_NS0_19identity_decomposerEEE10hipError_tT1_T2_T3_T4_jRjT5_jjP12ihipStream_tbEUlT_E_NS1_11comp_targetILNS1_3genE10ELNS1_11target_archE1201ELNS1_3gpuE5ELNS1_3repE0EEENS1_44radix_sort_block_sort_config_static_selectorELNS0_4arch9wavefront6targetE1EEEvSJ_.has_indirect_call, 0
	.section	.AMDGPU.csdata,"",@progbits
; Kernel info:
; codeLenInByte = 0
; TotalNumSgprs: 6
; NumVgprs: 0
; NumAgprs: 0
; TotalNumVgprs: 0
; ScratchSize: 0
; MemoryBound: 0
; FloatMode: 240
; IeeeMode: 1
; LDSByteSize: 0 bytes/workgroup (compile time only)
; SGPRBlocks: 0
; VGPRBlocks: 0
; NumSGPRsForWavesPerEU: 6
; NumVGPRsForWavesPerEU: 1
; AccumOffset: 4
; Occupancy: 8
; WaveLimiterHint : 0
; COMPUTE_PGM_RSRC2:SCRATCH_EN: 0
; COMPUTE_PGM_RSRC2:USER_SGPR: 2
; COMPUTE_PGM_RSRC2:TRAP_HANDLER: 0
; COMPUTE_PGM_RSRC2:TGID_X_EN: 1
; COMPUTE_PGM_RSRC2:TGID_Y_EN: 0
; COMPUTE_PGM_RSRC2:TGID_Z_EN: 0
; COMPUTE_PGM_RSRC2:TIDIG_COMP_CNT: 0
; COMPUTE_PGM_RSRC3_GFX90A:ACCUM_OFFSET: 0
; COMPUTE_PGM_RSRC3_GFX90A:TG_SPLIT: 0
	.section	.text._ZN7rocprim17ROCPRIM_400000_NS6detail17trampoline_kernelINS0_13kernel_configILj256ELj4ELj4294967295EEENS1_37radix_sort_block_sort_config_selectorIbiEEZNS1_21radix_sort_block_sortIS4_Lb1EN6thrust23THRUST_200600_302600_NS6detail15normal_iteratorINS9_10device_ptrIbEEEESE_NSB_INSC_IiEEEESG_NS0_19identity_decomposerEEE10hipError_tT1_T2_T3_T4_jRjT5_jjP12ihipStream_tbEUlT_E_NS1_11comp_targetILNS1_3genE10ELNS1_11target_archE1200ELNS1_3gpuE4ELNS1_3repE0EEENS1_44radix_sort_block_sort_config_static_selectorELNS0_4arch9wavefront6targetE1EEEvSJ_,"axG",@progbits,_ZN7rocprim17ROCPRIM_400000_NS6detail17trampoline_kernelINS0_13kernel_configILj256ELj4ELj4294967295EEENS1_37radix_sort_block_sort_config_selectorIbiEEZNS1_21radix_sort_block_sortIS4_Lb1EN6thrust23THRUST_200600_302600_NS6detail15normal_iteratorINS9_10device_ptrIbEEEESE_NSB_INSC_IiEEEESG_NS0_19identity_decomposerEEE10hipError_tT1_T2_T3_T4_jRjT5_jjP12ihipStream_tbEUlT_E_NS1_11comp_targetILNS1_3genE10ELNS1_11target_archE1200ELNS1_3gpuE4ELNS1_3repE0EEENS1_44radix_sort_block_sort_config_static_selectorELNS0_4arch9wavefront6targetE1EEEvSJ_,comdat
	.protected	_ZN7rocprim17ROCPRIM_400000_NS6detail17trampoline_kernelINS0_13kernel_configILj256ELj4ELj4294967295EEENS1_37radix_sort_block_sort_config_selectorIbiEEZNS1_21radix_sort_block_sortIS4_Lb1EN6thrust23THRUST_200600_302600_NS6detail15normal_iteratorINS9_10device_ptrIbEEEESE_NSB_INSC_IiEEEESG_NS0_19identity_decomposerEEE10hipError_tT1_T2_T3_T4_jRjT5_jjP12ihipStream_tbEUlT_E_NS1_11comp_targetILNS1_3genE10ELNS1_11target_archE1200ELNS1_3gpuE4ELNS1_3repE0EEENS1_44radix_sort_block_sort_config_static_selectorELNS0_4arch9wavefront6targetE1EEEvSJ_ ; -- Begin function _ZN7rocprim17ROCPRIM_400000_NS6detail17trampoline_kernelINS0_13kernel_configILj256ELj4ELj4294967295EEENS1_37radix_sort_block_sort_config_selectorIbiEEZNS1_21radix_sort_block_sortIS4_Lb1EN6thrust23THRUST_200600_302600_NS6detail15normal_iteratorINS9_10device_ptrIbEEEESE_NSB_INSC_IiEEEESG_NS0_19identity_decomposerEEE10hipError_tT1_T2_T3_T4_jRjT5_jjP12ihipStream_tbEUlT_E_NS1_11comp_targetILNS1_3genE10ELNS1_11target_archE1200ELNS1_3gpuE4ELNS1_3repE0EEENS1_44radix_sort_block_sort_config_static_selectorELNS0_4arch9wavefront6targetE1EEEvSJ_
	.globl	_ZN7rocprim17ROCPRIM_400000_NS6detail17trampoline_kernelINS0_13kernel_configILj256ELj4ELj4294967295EEENS1_37radix_sort_block_sort_config_selectorIbiEEZNS1_21radix_sort_block_sortIS4_Lb1EN6thrust23THRUST_200600_302600_NS6detail15normal_iteratorINS9_10device_ptrIbEEEESE_NSB_INSC_IiEEEESG_NS0_19identity_decomposerEEE10hipError_tT1_T2_T3_T4_jRjT5_jjP12ihipStream_tbEUlT_E_NS1_11comp_targetILNS1_3genE10ELNS1_11target_archE1200ELNS1_3gpuE4ELNS1_3repE0EEENS1_44radix_sort_block_sort_config_static_selectorELNS0_4arch9wavefront6targetE1EEEvSJ_
	.p2align	8
	.type	_ZN7rocprim17ROCPRIM_400000_NS6detail17trampoline_kernelINS0_13kernel_configILj256ELj4ELj4294967295EEENS1_37radix_sort_block_sort_config_selectorIbiEEZNS1_21radix_sort_block_sortIS4_Lb1EN6thrust23THRUST_200600_302600_NS6detail15normal_iteratorINS9_10device_ptrIbEEEESE_NSB_INSC_IiEEEESG_NS0_19identity_decomposerEEE10hipError_tT1_T2_T3_T4_jRjT5_jjP12ihipStream_tbEUlT_E_NS1_11comp_targetILNS1_3genE10ELNS1_11target_archE1200ELNS1_3gpuE4ELNS1_3repE0EEENS1_44radix_sort_block_sort_config_static_selectorELNS0_4arch9wavefront6targetE1EEEvSJ_,@function
_ZN7rocprim17ROCPRIM_400000_NS6detail17trampoline_kernelINS0_13kernel_configILj256ELj4ELj4294967295EEENS1_37radix_sort_block_sort_config_selectorIbiEEZNS1_21radix_sort_block_sortIS4_Lb1EN6thrust23THRUST_200600_302600_NS6detail15normal_iteratorINS9_10device_ptrIbEEEESE_NSB_INSC_IiEEEESG_NS0_19identity_decomposerEEE10hipError_tT1_T2_T3_T4_jRjT5_jjP12ihipStream_tbEUlT_E_NS1_11comp_targetILNS1_3genE10ELNS1_11target_archE1200ELNS1_3gpuE4ELNS1_3repE0EEENS1_44radix_sort_block_sort_config_static_selectorELNS0_4arch9wavefront6targetE1EEEvSJ_: ; @_ZN7rocprim17ROCPRIM_400000_NS6detail17trampoline_kernelINS0_13kernel_configILj256ELj4ELj4294967295EEENS1_37radix_sort_block_sort_config_selectorIbiEEZNS1_21radix_sort_block_sortIS4_Lb1EN6thrust23THRUST_200600_302600_NS6detail15normal_iteratorINS9_10device_ptrIbEEEESE_NSB_INSC_IiEEEESG_NS0_19identity_decomposerEEE10hipError_tT1_T2_T3_T4_jRjT5_jjP12ihipStream_tbEUlT_E_NS1_11comp_targetILNS1_3genE10ELNS1_11target_archE1200ELNS1_3gpuE4ELNS1_3repE0EEENS1_44radix_sort_block_sort_config_static_selectorELNS0_4arch9wavefront6targetE1EEEvSJ_
; %bb.0:
	.section	.rodata,"a",@progbits
	.p2align	6, 0x0
	.amdhsa_kernel _ZN7rocprim17ROCPRIM_400000_NS6detail17trampoline_kernelINS0_13kernel_configILj256ELj4ELj4294967295EEENS1_37radix_sort_block_sort_config_selectorIbiEEZNS1_21radix_sort_block_sortIS4_Lb1EN6thrust23THRUST_200600_302600_NS6detail15normal_iteratorINS9_10device_ptrIbEEEESE_NSB_INSC_IiEEEESG_NS0_19identity_decomposerEEE10hipError_tT1_T2_T3_T4_jRjT5_jjP12ihipStream_tbEUlT_E_NS1_11comp_targetILNS1_3genE10ELNS1_11target_archE1200ELNS1_3gpuE4ELNS1_3repE0EEENS1_44radix_sort_block_sort_config_static_selectorELNS0_4arch9wavefront6targetE1EEEvSJ_
		.amdhsa_group_segment_fixed_size 0
		.amdhsa_private_segment_fixed_size 0
		.amdhsa_kernarg_size 48
		.amdhsa_user_sgpr_count 2
		.amdhsa_user_sgpr_dispatch_ptr 0
		.amdhsa_user_sgpr_queue_ptr 0
		.amdhsa_user_sgpr_kernarg_segment_ptr 1
		.amdhsa_user_sgpr_dispatch_id 0
		.amdhsa_user_sgpr_kernarg_preload_length 0
		.amdhsa_user_sgpr_kernarg_preload_offset 0
		.amdhsa_user_sgpr_private_segment_size 0
		.amdhsa_uses_dynamic_stack 0
		.amdhsa_enable_private_segment 0
		.amdhsa_system_sgpr_workgroup_id_x 1
		.amdhsa_system_sgpr_workgroup_id_y 0
		.amdhsa_system_sgpr_workgroup_id_z 0
		.amdhsa_system_sgpr_workgroup_info 0
		.amdhsa_system_vgpr_workitem_id 0
		.amdhsa_next_free_vgpr 1
		.amdhsa_next_free_sgpr 0
		.amdhsa_accum_offset 4
		.amdhsa_reserve_vcc 0
		.amdhsa_float_round_mode_32 0
		.amdhsa_float_round_mode_16_64 0
		.amdhsa_float_denorm_mode_32 3
		.amdhsa_float_denorm_mode_16_64 3
		.amdhsa_dx10_clamp 1
		.amdhsa_ieee_mode 1
		.amdhsa_fp16_overflow 0
		.amdhsa_tg_split 0
		.amdhsa_exception_fp_ieee_invalid_op 0
		.amdhsa_exception_fp_denorm_src 0
		.amdhsa_exception_fp_ieee_div_zero 0
		.amdhsa_exception_fp_ieee_overflow 0
		.amdhsa_exception_fp_ieee_underflow 0
		.amdhsa_exception_fp_ieee_inexact 0
		.amdhsa_exception_int_div_zero 0
	.end_amdhsa_kernel
	.section	.text._ZN7rocprim17ROCPRIM_400000_NS6detail17trampoline_kernelINS0_13kernel_configILj256ELj4ELj4294967295EEENS1_37radix_sort_block_sort_config_selectorIbiEEZNS1_21radix_sort_block_sortIS4_Lb1EN6thrust23THRUST_200600_302600_NS6detail15normal_iteratorINS9_10device_ptrIbEEEESE_NSB_INSC_IiEEEESG_NS0_19identity_decomposerEEE10hipError_tT1_T2_T3_T4_jRjT5_jjP12ihipStream_tbEUlT_E_NS1_11comp_targetILNS1_3genE10ELNS1_11target_archE1200ELNS1_3gpuE4ELNS1_3repE0EEENS1_44radix_sort_block_sort_config_static_selectorELNS0_4arch9wavefront6targetE1EEEvSJ_,"axG",@progbits,_ZN7rocprim17ROCPRIM_400000_NS6detail17trampoline_kernelINS0_13kernel_configILj256ELj4ELj4294967295EEENS1_37radix_sort_block_sort_config_selectorIbiEEZNS1_21radix_sort_block_sortIS4_Lb1EN6thrust23THRUST_200600_302600_NS6detail15normal_iteratorINS9_10device_ptrIbEEEESE_NSB_INSC_IiEEEESG_NS0_19identity_decomposerEEE10hipError_tT1_T2_T3_T4_jRjT5_jjP12ihipStream_tbEUlT_E_NS1_11comp_targetILNS1_3genE10ELNS1_11target_archE1200ELNS1_3gpuE4ELNS1_3repE0EEENS1_44radix_sort_block_sort_config_static_selectorELNS0_4arch9wavefront6targetE1EEEvSJ_,comdat
.Lfunc_end2101:
	.size	_ZN7rocprim17ROCPRIM_400000_NS6detail17trampoline_kernelINS0_13kernel_configILj256ELj4ELj4294967295EEENS1_37radix_sort_block_sort_config_selectorIbiEEZNS1_21radix_sort_block_sortIS4_Lb1EN6thrust23THRUST_200600_302600_NS6detail15normal_iteratorINS9_10device_ptrIbEEEESE_NSB_INSC_IiEEEESG_NS0_19identity_decomposerEEE10hipError_tT1_T2_T3_T4_jRjT5_jjP12ihipStream_tbEUlT_E_NS1_11comp_targetILNS1_3genE10ELNS1_11target_archE1200ELNS1_3gpuE4ELNS1_3repE0EEENS1_44radix_sort_block_sort_config_static_selectorELNS0_4arch9wavefront6targetE1EEEvSJ_, .Lfunc_end2101-_ZN7rocprim17ROCPRIM_400000_NS6detail17trampoline_kernelINS0_13kernel_configILj256ELj4ELj4294967295EEENS1_37radix_sort_block_sort_config_selectorIbiEEZNS1_21radix_sort_block_sortIS4_Lb1EN6thrust23THRUST_200600_302600_NS6detail15normal_iteratorINS9_10device_ptrIbEEEESE_NSB_INSC_IiEEEESG_NS0_19identity_decomposerEEE10hipError_tT1_T2_T3_T4_jRjT5_jjP12ihipStream_tbEUlT_E_NS1_11comp_targetILNS1_3genE10ELNS1_11target_archE1200ELNS1_3gpuE4ELNS1_3repE0EEENS1_44radix_sort_block_sort_config_static_selectorELNS0_4arch9wavefront6targetE1EEEvSJ_
                                        ; -- End function
	.set _ZN7rocprim17ROCPRIM_400000_NS6detail17trampoline_kernelINS0_13kernel_configILj256ELj4ELj4294967295EEENS1_37radix_sort_block_sort_config_selectorIbiEEZNS1_21radix_sort_block_sortIS4_Lb1EN6thrust23THRUST_200600_302600_NS6detail15normal_iteratorINS9_10device_ptrIbEEEESE_NSB_INSC_IiEEEESG_NS0_19identity_decomposerEEE10hipError_tT1_T2_T3_T4_jRjT5_jjP12ihipStream_tbEUlT_E_NS1_11comp_targetILNS1_3genE10ELNS1_11target_archE1200ELNS1_3gpuE4ELNS1_3repE0EEENS1_44radix_sort_block_sort_config_static_selectorELNS0_4arch9wavefront6targetE1EEEvSJ_.num_vgpr, 0
	.set _ZN7rocprim17ROCPRIM_400000_NS6detail17trampoline_kernelINS0_13kernel_configILj256ELj4ELj4294967295EEENS1_37radix_sort_block_sort_config_selectorIbiEEZNS1_21radix_sort_block_sortIS4_Lb1EN6thrust23THRUST_200600_302600_NS6detail15normal_iteratorINS9_10device_ptrIbEEEESE_NSB_INSC_IiEEEESG_NS0_19identity_decomposerEEE10hipError_tT1_T2_T3_T4_jRjT5_jjP12ihipStream_tbEUlT_E_NS1_11comp_targetILNS1_3genE10ELNS1_11target_archE1200ELNS1_3gpuE4ELNS1_3repE0EEENS1_44radix_sort_block_sort_config_static_selectorELNS0_4arch9wavefront6targetE1EEEvSJ_.num_agpr, 0
	.set _ZN7rocprim17ROCPRIM_400000_NS6detail17trampoline_kernelINS0_13kernel_configILj256ELj4ELj4294967295EEENS1_37radix_sort_block_sort_config_selectorIbiEEZNS1_21radix_sort_block_sortIS4_Lb1EN6thrust23THRUST_200600_302600_NS6detail15normal_iteratorINS9_10device_ptrIbEEEESE_NSB_INSC_IiEEEESG_NS0_19identity_decomposerEEE10hipError_tT1_T2_T3_T4_jRjT5_jjP12ihipStream_tbEUlT_E_NS1_11comp_targetILNS1_3genE10ELNS1_11target_archE1200ELNS1_3gpuE4ELNS1_3repE0EEENS1_44radix_sort_block_sort_config_static_selectorELNS0_4arch9wavefront6targetE1EEEvSJ_.numbered_sgpr, 0
	.set _ZN7rocprim17ROCPRIM_400000_NS6detail17trampoline_kernelINS0_13kernel_configILj256ELj4ELj4294967295EEENS1_37radix_sort_block_sort_config_selectorIbiEEZNS1_21radix_sort_block_sortIS4_Lb1EN6thrust23THRUST_200600_302600_NS6detail15normal_iteratorINS9_10device_ptrIbEEEESE_NSB_INSC_IiEEEESG_NS0_19identity_decomposerEEE10hipError_tT1_T2_T3_T4_jRjT5_jjP12ihipStream_tbEUlT_E_NS1_11comp_targetILNS1_3genE10ELNS1_11target_archE1200ELNS1_3gpuE4ELNS1_3repE0EEENS1_44radix_sort_block_sort_config_static_selectorELNS0_4arch9wavefront6targetE1EEEvSJ_.num_named_barrier, 0
	.set _ZN7rocprim17ROCPRIM_400000_NS6detail17trampoline_kernelINS0_13kernel_configILj256ELj4ELj4294967295EEENS1_37radix_sort_block_sort_config_selectorIbiEEZNS1_21radix_sort_block_sortIS4_Lb1EN6thrust23THRUST_200600_302600_NS6detail15normal_iteratorINS9_10device_ptrIbEEEESE_NSB_INSC_IiEEEESG_NS0_19identity_decomposerEEE10hipError_tT1_T2_T3_T4_jRjT5_jjP12ihipStream_tbEUlT_E_NS1_11comp_targetILNS1_3genE10ELNS1_11target_archE1200ELNS1_3gpuE4ELNS1_3repE0EEENS1_44radix_sort_block_sort_config_static_selectorELNS0_4arch9wavefront6targetE1EEEvSJ_.private_seg_size, 0
	.set _ZN7rocprim17ROCPRIM_400000_NS6detail17trampoline_kernelINS0_13kernel_configILj256ELj4ELj4294967295EEENS1_37radix_sort_block_sort_config_selectorIbiEEZNS1_21radix_sort_block_sortIS4_Lb1EN6thrust23THRUST_200600_302600_NS6detail15normal_iteratorINS9_10device_ptrIbEEEESE_NSB_INSC_IiEEEESG_NS0_19identity_decomposerEEE10hipError_tT1_T2_T3_T4_jRjT5_jjP12ihipStream_tbEUlT_E_NS1_11comp_targetILNS1_3genE10ELNS1_11target_archE1200ELNS1_3gpuE4ELNS1_3repE0EEENS1_44radix_sort_block_sort_config_static_selectorELNS0_4arch9wavefront6targetE1EEEvSJ_.uses_vcc, 0
	.set _ZN7rocprim17ROCPRIM_400000_NS6detail17trampoline_kernelINS0_13kernel_configILj256ELj4ELj4294967295EEENS1_37radix_sort_block_sort_config_selectorIbiEEZNS1_21radix_sort_block_sortIS4_Lb1EN6thrust23THRUST_200600_302600_NS6detail15normal_iteratorINS9_10device_ptrIbEEEESE_NSB_INSC_IiEEEESG_NS0_19identity_decomposerEEE10hipError_tT1_T2_T3_T4_jRjT5_jjP12ihipStream_tbEUlT_E_NS1_11comp_targetILNS1_3genE10ELNS1_11target_archE1200ELNS1_3gpuE4ELNS1_3repE0EEENS1_44radix_sort_block_sort_config_static_selectorELNS0_4arch9wavefront6targetE1EEEvSJ_.uses_flat_scratch, 0
	.set _ZN7rocprim17ROCPRIM_400000_NS6detail17trampoline_kernelINS0_13kernel_configILj256ELj4ELj4294967295EEENS1_37radix_sort_block_sort_config_selectorIbiEEZNS1_21radix_sort_block_sortIS4_Lb1EN6thrust23THRUST_200600_302600_NS6detail15normal_iteratorINS9_10device_ptrIbEEEESE_NSB_INSC_IiEEEESG_NS0_19identity_decomposerEEE10hipError_tT1_T2_T3_T4_jRjT5_jjP12ihipStream_tbEUlT_E_NS1_11comp_targetILNS1_3genE10ELNS1_11target_archE1200ELNS1_3gpuE4ELNS1_3repE0EEENS1_44radix_sort_block_sort_config_static_selectorELNS0_4arch9wavefront6targetE1EEEvSJ_.has_dyn_sized_stack, 0
	.set _ZN7rocprim17ROCPRIM_400000_NS6detail17trampoline_kernelINS0_13kernel_configILj256ELj4ELj4294967295EEENS1_37radix_sort_block_sort_config_selectorIbiEEZNS1_21radix_sort_block_sortIS4_Lb1EN6thrust23THRUST_200600_302600_NS6detail15normal_iteratorINS9_10device_ptrIbEEEESE_NSB_INSC_IiEEEESG_NS0_19identity_decomposerEEE10hipError_tT1_T2_T3_T4_jRjT5_jjP12ihipStream_tbEUlT_E_NS1_11comp_targetILNS1_3genE10ELNS1_11target_archE1200ELNS1_3gpuE4ELNS1_3repE0EEENS1_44radix_sort_block_sort_config_static_selectorELNS0_4arch9wavefront6targetE1EEEvSJ_.has_recursion, 0
	.set _ZN7rocprim17ROCPRIM_400000_NS6detail17trampoline_kernelINS0_13kernel_configILj256ELj4ELj4294967295EEENS1_37radix_sort_block_sort_config_selectorIbiEEZNS1_21radix_sort_block_sortIS4_Lb1EN6thrust23THRUST_200600_302600_NS6detail15normal_iteratorINS9_10device_ptrIbEEEESE_NSB_INSC_IiEEEESG_NS0_19identity_decomposerEEE10hipError_tT1_T2_T3_T4_jRjT5_jjP12ihipStream_tbEUlT_E_NS1_11comp_targetILNS1_3genE10ELNS1_11target_archE1200ELNS1_3gpuE4ELNS1_3repE0EEENS1_44radix_sort_block_sort_config_static_selectorELNS0_4arch9wavefront6targetE1EEEvSJ_.has_indirect_call, 0
	.section	.AMDGPU.csdata,"",@progbits
; Kernel info:
; codeLenInByte = 0
; TotalNumSgprs: 6
; NumVgprs: 0
; NumAgprs: 0
; TotalNumVgprs: 0
; ScratchSize: 0
; MemoryBound: 0
; FloatMode: 240
; IeeeMode: 1
; LDSByteSize: 0 bytes/workgroup (compile time only)
; SGPRBlocks: 0
; VGPRBlocks: 0
; NumSGPRsForWavesPerEU: 6
; NumVGPRsForWavesPerEU: 1
; AccumOffset: 4
; Occupancy: 8
; WaveLimiterHint : 0
; COMPUTE_PGM_RSRC2:SCRATCH_EN: 0
; COMPUTE_PGM_RSRC2:USER_SGPR: 2
; COMPUTE_PGM_RSRC2:TRAP_HANDLER: 0
; COMPUTE_PGM_RSRC2:TGID_X_EN: 1
; COMPUTE_PGM_RSRC2:TGID_Y_EN: 0
; COMPUTE_PGM_RSRC2:TGID_Z_EN: 0
; COMPUTE_PGM_RSRC2:TIDIG_COMP_CNT: 0
; COMPUTE_PGM_RSRC3_GFX90A:ACCUM_OFFSET: 0
; COMPUTE_PGM_RSRC3_GFX90A:TG_SPLIT: 0
	.section	.text._ZN7rocprim17ROCPRIM_400000_NS6detail17trampoline_kernelINS0_13kernel_configILj256ELj4ELj4294967295EEENS1_37radix_sort_block_sort_config_selectorIbiEEZNS1_21radix_sort_block_sortIS4_Lb1EN6thrust23THRUST_200600_302600_NS6detail15normal_iteratorINS9_10device_ptrIbEEEESE_NSB_INSC_IiEEEESG_NS0_19identity_decomposerEEE10hipError_tT1_T2_T3_T4_jRjT5_jjP12ihipStream_tbEUlT_E_NS1_11comp_targetILNS1_3genE9ELNS1_11target_archE1100ELNS1_3gpuE3ELNS1_3repE0EEENS1_44radix_sort_block_sort_config_static_selectorELNS0_4arch9wavefront6targetE1EEEvSJ_,"axG",@progbits,_ZN7rocprim17ROCPRIM_400000_NS6detail17trampoline_kernelINS0_13kernel_configILj256ELj4ELj4294967295EEENS1_37radix_sort_block_sort_config_selectorIbiEEZNS1_21radix_sort_block_sortIS4_Lb1EN6thrust23THRUST_200600_302600_NS6detail15normal_iteratorINS9_10device_ptrIbEEEESE_NSB_INSC_IiEEEESG_NS0_19identity_decomposerEEE10hipError_tT1_T2_T3_T4_jRjT5_jjP12ihipStream_tbEUlT_E_NS1_11comp_targetILNS1_3genE9ELNS1_11target_archE1100ELNS1_3gpuE3ELNS1_3repE0EEENS1_44radix_sort_block_sort_config_static_selectorELNS0_4arch9wavefront6targetE1EEEvSJ_,comdat
	.protected	_ZN7rocprim17ROCPRIM_400000_NS6detail17trampoline_kernelINS0_13kernel_configILj256ELj4ELj4294967295EEENS1_37radix_sort_block_sort_config_selectorIbiEEZNS1_21radix_sort_block_sortIS4_Lb1EN6thrust23THRUST_200600_302600_NS6detail15normal_iteratorINS9_10device_ptrIbEEEESE_NSB_INSC_IiEEEESG_NS0_19identity_decomposerEEE10hipError_tT1_T2_T3_T4_jRjT5_jjP12ihipStream_tbEUlT_E_NS1_11comp_targetILNS1_3genE9ELNS1_11target_archE1100ELNS1_3gpuE3ELNS1_3repE0EEENS1_44radix_sort_block_sort_config_static_selectorELNS0_4arch9wavefront6targetE1EEEvSJ_ ; -- Begin function _ZN7rocprim17ROCPRIM_400000_NS6detail17trampoline_kernelINS0_13kernel_configILj256ELj4ELj4294967295EEENS1_37radix_sort_block_sort_config_selectorIbiEEZNS1_21radix_sort_block_sortIS4_Lb1EN6thrust23THRUST_200600_302600_NS6detail15normal_iteratorINS9_10device_ptrIbEEEESE_NSB_INSC_IiEEEESG_NS0_19identity_decomposerEEE10hipError_tT1_T2_T3_T4_jRjT5_jjP12ihipStream_tbEUlT_E_NS1_11comp_targetILNS1_3genE9ELNS1_11target_archE1100ELNS1_3gpuE3ELNS1_3repE0EEENS1_44radix_sort_block_sort_config_static_selectorELNS0_4arch9wavefront6targetE1EEEvSJ_
	.globl	_ZN7rocprim17ROCPRIM_400000_NS6detail17trampoline_kernelINS0_13kernel_configILj256ELj4ELj4294967295EEENS1_37radix_sort_block_sort_config_selectorIbiEEZNS1_21radix_sort_block_sortIS4_Lb1EN6thrust23THRUST_200600_302600_NS6detail15normal_iteratorINS9_10device_ptrIbEEEESE_NSB_INSC_IiEEEESG_NS0_19identity_decomposerEEE10hipError_tT1_T2_T3_T4_jRjT5_jjP12ihipStream_tbEUlT_E_NS1_11comp_targetILNS1_3genE9ELNS1_11target_archE1100ELNS1_3gpuE3ELNS1_3repE0EEENS1_44radix_sort_block_sort_config_static_selectorELNS0_4arch9wavefront6targetE1EEEvSJ_
	.p2align	8
	.type	_ZN7rocprim17ROCPRIM_400000_NS6detail17trampoline_kernelINS0_13kernel_configILj256ELj4ELj4294967295EEENS1_37radix_sort_block_sort_config_selectorIbiEEZNS1_21radix_sort_block_sortIS4_Lb1EN6thrust23THRUST_200600_302600_NS6detail15normal_iteratorINS9_10device_ptrIbEEEESE_NSB_INSC_IiEEEESG_NS0_19identity_decomposerEEE10hipError_tT1_T2_T3_T4_jRjT5_jjP12ihipStream_tbEUlT_E_NS1_11comp_targetILNS1_3genE9ELNS1_11target_archE1100ELNS1_3gpuE3ELNS1_3repE0EEENS1_44radix_sort_block_sort_config_static_selectorELNS0_4arch9wavefront6targetE1EEEvSJ_,@function
_ZN7rocprim17ROCPRIM_400000_NS6detail17trampoline_kernelINS0_13kernel_configILj256ELj4ELj4294967295EEENS1_37radix_sort_block_sort_config_selectorIbiEEZNS1_21radix_sort_block_sortIS4_Lb1EN6thrust23THRUST_200600_302600_NS6detail15normal_iteratorINS9_10device_ptrIbEEEESE_NSB_INSC_IiEEEESG_NS0_19identity_decomposerEEE10hipError_tT1_T2_T3_T4_jRjT5_jjP12ihipStream_tbEUlT_E_NS1_11comp_targetILNS1_3genE9ELNS1_11target_archE1100ELNS1_3gpuE3ELNS1_3repE0EEENS1_44radix_sort_block_sort_config_static_selectorELNS0_4arch9wavefront6targetE1EEEvSJ_: ; @_ZN7rocprim17ROCPRIM_400000_NS6detail17trampoline_kernelINS0_13kernel_configILj256ELj4ELj4294967295EEENS1_37radix_sort_block_sort_config_selectorIbiEEZNS1_21radix_sort_block_sortIS4_Lb1EN6thrust23THRUST_200600_302600_NS6detail15normal_iteratorINS9_10device_ptrIbEEEESE_NSB_INSC_IiEEEESG_NS0_19identity_decomposerEEE10hipError_tT1_T2_T3_T4_jRjT5_jjP12ihipStream_tbEUlT_E_NS1_11comp_targetILNS1_3genE9ELNS1_11target_archE1100ELNS1_3gpuE3ELNS1_3repE0EEENS1_44radix_sort_block_sort_config_static_selectorELNS0_4arch9wavefront6targetE1EEEvSJ_
; %bb.0:
	.section	.rodata,"a",@progbits
	.p2align	6, 0x0
	.amdhsa_kernel _ZN7rocprim17ROCPRIM_400000_NS6detail17trampoline_kernelINS0_13kernel_configILj256ELj4ELj4294967295EEENS1_37radix_sort_block_sort_config_selectorIbiEEZNS1_21radix_sort_block_sortIS4_Lb1EN6thrust23THRUST_200600_302600_NS6detail15normal_iteratorINS9_10device_ptrIbEEEESE_NSB_INSC_IiEEEESG_NS0_19identity_decomposerEEE10hipError_tT1_T2_T3_T4_jRjT5_jjP12ihipStream_tbEUlT_E_NS1_11comp_targetILNS1_3genE9ELNS1_11target_archE1100ELNS1_3gpuE3ELNS1_3repE0EEENS1_44radix_sort_block_sort_config_static_selectorELNS0_4arch9wavefront6targetE1EEEvSJ_
		.amdhsa_group_segment_fixed_size 0
		.amdhsa_private_segment_fixed_size 0
		.amdhsa_kernarg_size 48
		.amdhsa_user_sgpr_count 2
		.amdhsa_user_sgpr_dispatch_ptr 0
		.amdhsa_user_sgpr_queue_ptr 0
		.amdhsa_user_sgpr_kernarg_segment_ptr 1
		.amdhsa_user_sgpr_dispatch_id 0
		.amdhsa_user_sgpr_kernarg_preload_length 0
		.amdhsa_user_sgpr_kernarg_preload_offset 0
		.amdhsa_user_sgpr_private_segment_size 0
		.amdhsa_uses_dynamic_stack 0
		.amdhsa_enable_private_segment 0
		.amdhsa_system_sgpr_workgroup_id_x 1
		.amdhsa_system_sgpr_workgroup_id_y 0
		.amdhsa_system_sgpr_workgroup_id_z 0
		.amdhsa_system_sgpr_workgroup_info 0
		.amdhsa_system_vgpr_workitem_id 0
		.amdhsa_next_free_vgpr 1
		.amdhsa_next_free_sgpr 0
		.amdhsa_accum_offset 4
		.amdhsa_reserve_vcc 0
		.amdhsa_float_round_mode_32 0
		.amdhsa_float_round_mode_16_64 0
		.amdhsa_float_denorm_mode_32 3
		.amdhsa_float_denorm_mode_16_64 3
		.amdhsa_dx10_clamp 1
		.amdhsa_ieee_mode 1
		.amdhsa_fp16_overflow 0
		.amdhsa_tg_split 0
		.amdhsa_exception_fp_ieee_invalid_op 0
		.amdhsa_exception_fp_denorm_src 0
		.amdhsa_exception_fp_ieee_div_zero 0
		.amdhsa_exception_fp_ieee_overflow 0
		.amdhsa_exception_fp_ieee_underflow 0
		.amdhsa_exception_fp_ieee_inexact 0
		.amdhsa_exception_int_div_zero 0
	.end_amdhsa_kernel
	.section	.text._ZN7rocprim17ROCPRIM_400000_NS6detail17trampoline_kernelINS0_13kernel_configILj256ELj4ELj4294967295EEENS1_37radix_sort_block_sort_config_selectorIbiEEZNS1_21radix_sort_block_sortIS4_Lb1EN6thrust23THRUST_200600_302600_NS6detail15normal_iteratorINS9_10device_ptrIbEEEESE_NSB_INSC_IiEEEESG_NS0_19identity_decomposerEEE10hipError_tT1_T2_T3_T4_jRjT5_jjP12ihipStream_tbEUlT_E_NS1_11comp_targetILNS1_3genE9ELNS1_11target_archE1100ELNS1_3gpuE3ELNS1_3repE0EEENS1_44radix_sort_block_sort_config_static_selectorELNS0_4arch9wavefront6targetE1EEEvSJ_,"axG",@progbits,_ZN7rocprim17ROCPRIM_400000_NS6detail17trampoline_kernelINS0_13kernel_configILj256ELj4ELj4294967295EEENS1_37radix_sort_block_sort_config_selectorIbiEEZNS1_21radix_sort_block_sortIS4_Lb1EN6thrust23THRUST_200600_302600_NS6detail15normal_iteratorINS9_10device_ptrIbEEEESE_NSB_INSC_IiEEEESG_NS0_19identity_decomposerEEE10hipError_tT1_T2_T3_T4_jRjT5_jjP12ihipStream_tbEUlT_E_NS1_11comp_targetILNS1_3genE9ELNS1_11target_archE1100ELNS1_3gpuE3ELNS1_3repE0EEENS1_44radix_sort_block_sort_config_static_selectorELNS0_4arch9wavefront6targetE1EEEvSJ_,comdat
.Lfunc_end2102:
	.size	_ZN7rocprim17ROCPRIM_400000_NS6detail17trampoline_kernelINS0_13kernel_configILj256ELj4ELj4294967295EEENS1_37radix_sort_block_sort_config_selectorIbiEEZNS1_21radix_sort_block_sortIS4_Lb1EN6thrust23THRUST_200600_302600_NS6detail15normal_iteratorINS9_10device_ptrIbEEEESE_NSB_INSC_IiEEEESG_NS0_19identity_decomposerEEE10hipError_tT1_T2_T3_T4_jRjT5_jjP12ihipStream_tbEUlT_E_NS1_11comp_targetILNS1_3genE9ELNS1_11target_archE1100ELNS1_3gpuE3ELNS1_3repE0EEENS1_44radix_sort_block_sort_config_static_selectorELNS0_4arch9wavefront6targetE1EEEvSJ_, .Lfunc_end2102-_ZN7rocprim17ROCPRIM_400000_NS6detail17trampoline_kernelINS0_13kernel_configILj256ELj4ELj4294967295EEENS1_37radix_sort_block_sort_config_selectorIbiEEZNS1_21radix_sort_block_sortIS4_Lb1EN6thrust23THRUST_200600_302600_NS6detail15normal_iteratorINS9_10device_ptrIbEEEESE_NSB_INSC_IiEEEESG_NS0_19identity_decomposerEEE10hipError_tT1_T2_T3_T4_jRjT5_jjP12ihipStream_tbEUlT_E_NS1_11comp_targetILNS1_3genE9ELNS1_11target_archE1100ELNS1_3gpuE3ELNS1_3repE0EEENS1_44radix_sort_block_sort_config_static_selectorELNS0_4arch9wavefront6targetE1EEEvSJ_
                                        ; -- End function
	.set _ZN7rocprim17ROCPRIM_400000_NS6detail17trampoline_kernelINS0_13kernel_configILj256ELj4ELj4294967295EEENS1_37radix_sort_block_sort_config_selectorIbiEEZNS1_21radix_sort_block_sortIS4_Lb1EN6thrust23THRUST_200600_302600_NS6detail15normal_iteratorINS9_10device_ptrIbEEEESE_NSB_INSC_IiEEEESG_NS0_19identity_decomposerEEE10hipError_tT1_T2_T3_T4_jRjT5_jjP12ihipStream_tbEUlT_E_NS1_11comp_targetILNS1_3genE9ELNS1_11target_archE1100ELNS1_3gpuE3ELNS1_3repE0EEENS1_44radix_sort_block_sort_config_static_selectorELNS0_4arch9wavefront6targetE1EEEvSJ_.num_vgpr, 0
	.set _ZN7rocprim17ROCPRIM_400000_NS6detail17trampoline_kernelINS0_13kernel_configILj256ELj4ELj4294967295EEENS1_37radix_sort_block_sort_config_selectorIbiEEZNS1_21radix_sort_block_sortIS4_Lb1EN6thrust23THRUST_200600_302600_NS6detail15normal_iteratorINS9_10device_ptrIbEEEESE_NSB_INSC_IiEEEESG_NS0_19identity_decomposerEEE10hipError_tT1_T2_T3_T4_jRjT5_jjP12ihipStream_tbEUlT_E_NS1_11comp_targetILNS1_3genE9ELNS1_11target_archE1100ELNS1_3gpuE3ELNS1_3repE0EEENS1_44radix_sort_block_sort_config_static_selectorELNS0_4arch9wavefront6targetE1EEEvSJ_.num_agpr, 0
	.set _ZN7rocprim17ROCPRIM_400000_NS6detail17trampoline_kernelINS0_13kernel_configILj256ELj4ELj4294967295EEENS1_37radix_sort_block_sort_config_selectorIbiEEZNS1_21radix_sort_block_sortIS4_Lb1EN6thrust23THRUST_200600_302600_NS6detail15normal_iteratorINS9_10device_ptrIbEEEESE_NSB_INSC_IiEEEESG_NS0_19identity_decomposerEEE10hipError_tT1_T2_T3_T4_jRjT5_jjP12ihipStream_tbEUlT_E_NS1_11comp_targetILNS1_3genE9ELNS1_11target_archE1100ELNS1_3gpuE3ELNS1_3repE0EEENS1_44radix_sort_block_sort_config_static_selectorELNS0_4arch9wavefront6targetE1EEEvSJ_.numbered_sgpr, 0
	.set _ZN7rocprim17ROCPRIM_400000_NS6detail17trampoline_kernelINS0_13kernel_configILj256ELj4ELj4294967295EEENS1_37radix_sort_block_sort_config_selectorIbiEEZNS1_21radix_sort_block_sortIS4_Lb1EN6thrust23THRUST_200600_302600_NS6detail15normal_iteratorINS9_10device_ptrIbEEEESE_NSB_INSC_IiEEEESG_NS0_19identity_decomposerEEE10hipError_tT1_T2_T3_T4_jRjT5_jjP12ihipStream_tbEUlT_E_NS1_11comp_targetILNS1_3genE9ELNS1_11target_archE1100ELNS1_3gpuE3ELNS1_3repE0EEENS1_44radix_sort_block_sort_config_static_selectorELNS0_4arch9wavefront6targetE1EEEvSJ_.num_named_barrier, 0
	.set _ZN7rocprim17ROCPRIM_400000_NS6detail17trampoline_kernelINS0_13kernel_configILj256ELj4ELj4294967295EEENS1_37radix_sort_block_sort_config_selectorIbiEEZNS1_21radix_sort_block_sortIS4_Lb1EN6thrust23THRUST_200600_302600_NS6detail15normal_iteratorINS9_10device_ptrIbEEEESE_NSB_INSC_IiEEEESG_NS0_19identity_decomposerEEE10hipError_tT1_T2_T3_T4_jRjT5_jjP12ihipStream_tbEUlT_E_NS1_11comp_targetILNS1_3genE9ELNS1_11target_archE1100ELNS1_3gpuE3ELNS1_3repE0EEENS1_44radix_sort_block_sort_config_static_selectorELNS0_4arch9wavefront6targetE1EEEvSJ_.private_seg_size, 0
	.set _ZN7rocprim17ROCPRIM_400000_NS6detail17trampoline_kernelINS0_13kernel_configILj256ELj4ELj4294967295EEENS1_37radix_sort_block_sort_config_selectorIbiEEZNS1_21radix_sort_block_sortIS4_Lb1EN6thrust23THRUST_200600_302600_NS6detail15normal_iteratorINS9_10device_ptrIbEEEESE_NSB_INSC_IiEEEESG_NS0_19identity_decomposerEEE10hipError_tT1_T2_T3_T4_jRjT5_jjP12ihipStream_tbEUlT_E_NS1_11comp_targetILNS1_3genE9ELNS1_11target_archE1100ELNS1_3gpuE3ELNS1_3repE0EEENS1_44radix_sort_block_sort_config_static_selectorELNS0_4arch9wavefront6targetE1EEEvSJ_.uses_vcc, 0
	.set _ZN7rocprim17ROCPRIM_400000_NS6detail17trampoline_kernelINS0_13kernel_configILj256ELj4ELj4294967295EEENS1_37radix_sort_block_sort_config_selectorIbiEEZNS1_21radix_sort_block_sortIS4_Lb1EN6thrust23THRUST_200600_302600_NS6detail15normal_iteratorINS9_10device_ptrIbEEEESE_NSB_INSC_IiEEEESG_NS0_19identity_decomposerEEE10hipError_tT1_T2_T3_T4_jRjT5_jjP12ihipStream_tbEUlT_E_NS1_11comp_targetILNS1_3genE9ELNS1_11target_archE1100ELNS1_3gpuE3ELNS1_3repE0EEENS1_44radix_sort_block_sort_config_static_selectorELNS0_4arch9wavefront6targetE1EEEvSJ_.uses_flat_scratch, 0
	.set _ZN7rocprim17ROCPRIM_400000_NS6detail17trampoline_kernelINS0_13kernel_configILj256ELj4ELj4294967295EEENS1_37radix_sort_block_sort_config_selectorIbiEEZNS1_21radix_sort_block_sortIS4_Lb1EN6thrust23THRUST_200600_302600_NS6detail15normal_iteratorINS9_10device_ptrIbEEEESE_NSB_INSC_IiEEEESG_NS0_19identity_decomposerEEE10hipError_tT1_T2_T3_T4_jRjT5_jjP12ihipStream_tbEUlT_E_NS1_11comp_targetILNS1_3genE9ELNS1_11target_archE1100ELNS1_3gpuE3ELNS1_3repE0EEENS1_44radix_sort_block_sort_config_static_selectorELNS0_4arch9wavefront6targetE1EEEvSJ_.has_dyn_sized_stack, 0
	.set _ZN7rocprim17ROCPRIM_400000_NS6detail17trampoline_kernelINS0_13kernel_configILj256ELj4ELj4294967295EEENS1_37radix_sort_block_sort_config_selectorIbiEEZNS1_21radix_sort_block_sortIS4_Lb1EN6thrust23THRUST_200600_302600_NS6detail15normal_iteratorINS9_10device_ptrIbEEEESE_NSB_INSC_IiEEEESG_NS0_19identity_decomposerEEE10hipError_tT1_T2_T3_T4_jRjT5_jjP12ihipStream_tbEUlT_E_NS1_11comp_targetILNS1_3genE9ELNS1_11target_archE1100ELNS1_3gpuE3ELNS1_3repE0EEENS1_44radix_sort_block_sort_config_static_selectorELNS0_4arch9wavefront6targetE1EEEvSJ_.has_recursion, 0
	.set _ZN7rocprim17ROCPRIM_400000_NS6detail17trampoline_kernelINS0_13kernel_configILj256ELj4ELj4294967295EEENS1_37radix_sort_block_sort_config_selectorIbiEEZNS1_21radix_sort_block_sortIS4_Lb1EN6thrust23THRUST_200600_302600_NS6detail15normal_iteratorINS9_10device_ptrIbEEEESE_NSB_INSC_IiEEEESG_NS0_19identity_decomposerEEE10hipError_tT1_T2_T3_T4_jRjT5_jjP12ihipStream_tbEUlT_E_NS1_11comp_targetILNS1_3genE9ELNS1_11target_archE1100ELNS1_3gpuE3ELNS1_3repE0EEENS1_44radix_sort_block_sort_config_static_selectorELNS0_4arch9wavefront6targetE1EEEvSJ_.has_indirect_call, 0
	.section	.AMDGPU.csdata,"",@progbits
; Kernel info:
; codeLenInByte = 0
; TotalNumSgprs: 6
; NumVgprs: 0
; NumAgprs: 0
; TotalNumVgprs: 0
; ScratchSize: 0
; MemoryBound: 0
; FloatMode: 240
; IeeeMode: 1
; LDSByteSize: 0 bytes/workgroup (compile time only)
; SGPRBlocks: 0
; VGPRBlocks: 0
; NumSGPRsForWavesPerEU: 6
; NumVGPRsForWavesPerEU: 1
; AccumOffset: 4
; Occupancy: 8
; WaveLimiterHint : 0
; COMPUTE_PGM_RSRC2:SCRATCH_EN: 0
; COMPUTE_PGM_RSRC2:USER_SGPR: 2
; COMPUTE_PGM_RSRC2:TRAP_HANDLER: 0
; COMPUTE_PGM_RSRC2:TGID_X_EN: 1
; COMPUTE_PGM_RSRC2:TGID_Y_EN: 0
; COMPUTE_PGM_RSRC2:TGID_Z_EN: 0
; COMPUTE_PGM_RSRC2:TIDIG_COMP_CNT: 0
; COMPUTE_PGM_RSRC3_GFX90A:ACCUM_OFFSET: 0
; COMPUTE_PGM_RSRC3_GFX90A:TG_SPLIT: 0
	.section	.text._ZN7rocprim17ROCPRIM_400000_NS6detail17trampoline_kernelINS0_13kernel_configILj256ELj4ELj4294967295EEENS1_37radix_sort_block_sort_config_selectorIbiEEZNS1_21radix_sort_block_sortIS4_Lb1EN6thrust23THRUST_200600_302600_NS6detail15normal_iteratorINS9_10device_ptrIbEEEESE_NSB_INSC_IiEEEESG_NS0_19identity_decomposerEEE10hipError_tT1_T2_T3_T4_jRjT5_jjP12ihipStream_tbEUlT_E_NS1_11comp_targetILNS1_3genE8ELNS1_11target_archE1030ELNS1_3gpuE2ELNS1_3repE0EEENS1_44radix_sort_block_sort_config_static_selectorELNS0_4arch9wavefront6targetE1EEEvSJ_,"axG",@progbits,_ZN7rocprim17ROCPRIM_400000_NS6detail17trampoline_kernelINS0_13kernel_configILj256ELj4ELj4294967295EEENS1_37radix_sort_block_sort_config_selectorIbiEEZNS1_21radix_sort_block_sortIS4_Lb1EN6thrust23THRUST_200600_302600_NS6detail15normal_iteratorINS9_10device_ptrIbEEEESE_NSB_INSC_IiEEEESG_NS0_19identity_decomposerEEE10hipError_tT1_T2_T3_T4_jRjT5_jjP12ihipStream_tbEUlT_E_NS1_11comp_targetILNS1_3genE8ELNS1_11target_archE1030ELNS1_3gpuE2ELNS1_3repE0EEENS1_44radix_sort_block_sort_config_static_selectorELNS0_4arch9wavefront6targetE1EEEvSJ_,comdat
	.protected	_ZN7rocprim17ROCPRIM_400000_NS6detail17trampoline_kernelINS0_13kernel_configILj256ELj4ELj4294967295EEENS1_37radix_sort_block_sort_config_selectorIbiEEZNS1_21radix_sort_block_sortIS4_Lb1EN6thrust23THRUST_200600_302600_NS6detail15normal_iteratorINS9_10device_ptrIbEEEESE_NSB_INSC_IiEEEESG_NS0_19identity_decomposerEEE10hipError_tT1_T2_T3_T4_jRjT5_jjP12ihipStream_tbEUlT_E_NS1_11comp_targetILNS1_3genE8ELNS1_11target_archE1030ELNS1_3gpuE2ELNS1_3repE0EEENS1_44radix_sort_block_sort_config_static_selectorELNS0_4arch9wavefront6targetE1EEEvSJ_ ; -- Begin function _ZN7rocprim17ROCPRIM_400000_NS6detail17trampoline_kernelINS0_13kernel_configILj256ELj4ELj4294967295EEENS1_37radix_sort_block_sort_config_selectorIbiEEZNS1_21radix_sort_block_sortIS4_Lb1EN6thrust23THRUST_200600_302600_NS6detail15normal_iteratorINS9_10device_ptrIbEEEESE_NSB_INSC_IiEEEESG_NS0_19identity_decomposerEEE10hipError_tT1_T2_T3_T4_jRjT5_jjP12ihipStream_tbEUlT_E_NS1_11comp_targetILNS1_3genE8ELNS1_11target_archE1030ELNS1_3gpuE2ELNS1_3repE0EEENS1_44radix_sort_block_sort_config_static_selectorELNS0_4arch9wavefront6targetE1EEEvSJ_
	.globl	_ZN7rocprim17ROCPRIM_400000_NS6detail17trampoline_kernelINS0_13kernel_configILj256ELj4ELj4294967295EEENS1_37radix_sort_block_sort_config_selectorIbiEEZNS1_21radix_sort_block_sortIS4_Lb1EN6thrust23THRUST_200600_302600_NS6detail15normal_iteratorINS9_10device_ptrIbEEEESE_NSB_INSC_IiEEEESG_NS0_19identity_decomposerEEE10hipError_tT1_T2_T3_T4_jRjT5_jjP12ihipStream_tbEUlT_E_NS1_11comp_targetILNS1_3genE8ELNS1_11target_archE1030ELNS1_3gpuE2ELNS1_3repE0EEENS1_44radix_sort_block_sort_config_static_selectorELNS0_4arch9wavefront6targetE1EEEvSJ_
	.p2align	8
	.type	_ZN7rocprim17ROCPRIM_400000_NS6detail17trampoline_kernelINS0_13kernel_configILj256ELj4ELj4294967295EEENS1_37radix_sort_block_sort_config_selectorIbiEEZNS1_21radix_sort_block_sortIS4_Lb1EN6thrust23THRUST_200600_302600_NS6detail15normal_iteratorINS9_10device_ptrIbEEEESE_NSB_INSC_IiEEEESG_NS0_19identity_decomposerEEE10hipError_tT1_T2_T3_T4_jRjT5_jjP12ihipStream_tbEUlT_E_NS1_11comp_targetILNS1_3genE8ELNS1_11target_archE1030ELNS1_3gpuE2ELNS1_3repE0EEENS1_44radix_sort_block_sort_config_static_selectorELNS0_4arch9wavefront6targetE1EEEvSJ_,@function
_ZN7rocprim17ROCPRIM_400000_NS6detail17trampoline_kernelINS0_13kernel_configILj256ELj4ELj4294967295EEENS1_37radix_sort_block_sort_config_selectorIbiEEZNS1_21radix_sort_block_sortIS4_Lb1EN6thrust23THRUST_200600_302600_NS6detail15normal_iteratorINS9_10device_ptrIbEEEESE_NSB_INSC_IiEEEESG_NS0_19identity_decomposerEEE10hipError_tT1_T2_T3_T4_jRjT5_jjP12ihipStream_tbEUlT_E_NS1_11comp_targetILNS1_3genE8ELNS1_11target_archE1030ELNS1_3gpuE2ELNS1_3repE0EEENS1_44radix_sort_block_sort_config_static_selectorELNS0_4arch9wavefront6targetE1EEEvSJ_: ; @_ZN7rocprim17ROCPRIM_400000_NS6detail17trampoline_kernelINS0_13kernel_configILj256ELj4ELj4294967295EEENS1_37radix_sort_block_sort_config_selectorIbiEEZNS1_21radix_sort_block_sortIS4_Lb1EN6thrust23THRUST_200600_302600_NS6detail15normal_iteratorINS9_10device_ptrIbEEEESE_NSB_INSC_IiEEEESG_NS0_19identity_decomposerEEE10hipError_tT1_T2_T3_T4_jRjT5_jjP12ihipStream_tbEUlT_E_NS1_11comp_targetILNS1_3genE8ELNS1_11target_archE1030ELNS1_3gpuE2ELNS1_3repE0EEENS1_44radix_sort_block_sort_config_static_selectorELNS0_4arch9wavefront6targetE1EEEvSJ_
; %bb.0:
	.section	.rodata,"a",@progbits
	.p2align	6, 0x0
	.amdhsa_kernel _ZN7rocprim17ROCPRIM_400000_NS6detail17trampoline_kernelINS0_13kernel_configILj256ELj4ELj4294967295EEENS1_37radix_sort_block_sort_config_selectorIbiEEZNS1_21radix_sort_block_sortIS4_Lb1EN6thrust23THRUST_200600_302600_NS6detail15normal_iteratorINS9_10device_ptrIbEEEESE_NSB_INSC_IiEEEESG_NS0_19identity_decomposerEEE10hipError_tT1_T2_T3_T4_jRjT5_jjP12ihipStream_tbEUlT_E_NS1_11comp_targetILNS1_3genE8ELNS1_11target_archE1030ELNS1_3gpuE2ELNS1_3repE0EEENS1_44radix_sort_block_sort_config_static_selectorELNS0_4arch9wavefront6targetE1EEEvSJ_
		.amdhsa_group_segment_fixed_size 0
		.amdhsa_private_segment_fixed_size 0
		.amdhsa_kernarg_size 48
		.amdhsa_user_sgpr_count 2
		.amdhsa_user_sgpr_dispatch_ptr 0
		.amdhsa_user_sgpr_queue_ptr 0
		.amdhsa_user_sgpr_kernarg_segment_ptr 1
		.amdhsa_user_sgpr_dispatch_id 0
		.amdhsa_user_sgpr_kernarg_preload_length 0
		.amdhsa_user_sgpr_kernarg_preload_offset 0
		.amdhsa_user_sgpr_private_segment_size 0
		.amdhsa_uses_dynamic_stack 0
		.amdhsa_enable_private_segment 0
		.amdhsa_system_sgpr_workgroup_id_x 1
		.amdhsa_system_sgpr_workgroup_id_y 0
		.amdhsa_system_sgpr_workgroup_id_z 0
		.amdhsa_system_sgpr_workgroup_info 0
		.amdhsa_system_vgpr_workitem_id 0
		.amdhsa_next_free_vgpr 1
		.amdhsa_next_free_sgpr 0
		.amdhsa_accum_offset 4
		.amdhsa_reserve_vcc 0
		.amdhsa_float_round_mode_32 0
		.amdhsa_float_round_mode_16_64 0
		.amdhsa_float_denorm_mode_32 3
		.amdhsa_float_denorm_mode_16_64 3
		.amdhsa_dx10_clamp 1
		.amdhsa_ieee_mode 1
		.amdhsa_fp16_overflow 0
		.amdhsa_tg_split 0
		.amdhsa_exception_fp_ieee_invalid_op 0
		.amdhsa_exception_fp_denorm_src 0
		.amdhsa_exception_fp_ieee_div_zero 0
		.amdhsa_exception_fp_ieee_overflow 0
		.amdhsa_exception_fp_ieee_underflow 0
		.amdhsa_exception_fp_ieee_inexact 0
		.amdhsa_exception_int_div_zero 0
	.end_amdhsa_kernel
	.section	.text._ZN7rocprim17ROCPRIM_400000_NS6detail17trampoline_kernelINS0_13kernel_configILj256ELj4ELj4294967295EEENS1_37radix_sort_block_sort_config_selectorIbiEEZNS1_21radix_sort_block_sortIS4_Lb1EN6thrust23THRUST_200600_302600_NS6detail15normal_iteratorINS9_10device_ptrIbEEEESE_NSB_INSC_IiEEEESG_NS0_19identity_decomposerEEE10hipError_tT1_T2_T3_T4_jRjT5_jjP12ihipStream_tbEUlT_E_NS1_11comp_targetILNS1_3genE8ELNS1_11target_archE1030ELNS1_3gpuE2ELNS1_3repE0EEENS1_44radix_sort_block_sort_config_static_selectorELNS0_4arch9wavefront6targetE1EEEvSJ_,"axG",@progbits,_ZN7rocprim17ROCPRIM_400000_NS6detail17trampoline_kernelINS0_13kernel_configILj256ELj4ELj4294967295EEENS1_37radix_sort_block_sort_config_selectorIbiEEZNS1_21radix_sort_block_sortIS4_Lb1EN6thrust23THRUST_200600_302600_NS6detail15normal_iteratorINS9_10device_ptrIbEEEESE_NSB_INSC_IiEEEESG_NS0_19identity_decomposerEEE10hipError_tT1_T2_T3_T4_jRjT5_jjP12ihipStream_tbEUlT_E_NS1_11comp_targetILNS1_3genE8ELNS1_11target_archE1030ELNS1_3gpuE2ELNS1_3repE0EEENS1_44radix_sort_block_sort_config_static_selectorELNS0_4arch9wavefront6targetE1EEEvSJ_,comdat
.Lfunc_end2103:
	.size	_ZN7rocprim17ROCPRIM_400000_NS6detail17trampoline_kernelINS0_13kernel_configILj256ELj4ELj4294967295EEENS1_37radix_sort_block_sort_config_selectorIbiEEZNS1_21radix_sort_block_sortIS4_Lb1EN6thrust23THRUST_200600_302600_NS6detail15normal_iteratorINS9_10device_ptrIbEEEESE_NSB_INSC_IiEEEESG_NS0_19identity_decomposerEEE10hipError_tT1_T2_T3_T4_jRjT5_jjP12ihipStream_tbEUlT_E_NS1_11comp_targetILNS1_3genE8ELNS1_11target_archE1030ELNS1_3gpuE2ELNS1_3repE0EEENS1_44radix_sort_block_sort_config_static_selectorELNS0_4arch9wavefront6targetE1EEEvSJ_, .Lfunc_end2103-_ZN7rocprim17ROCPRIM_400000_NS6detail17trampoline_kernelINS0_13kernel_configILj256ELj4ELj4294967295EEENS1_37radix_sort_block_sort_config_selectorIbiEEZNS1_21radix_sort_block_sortIS4_Lb1EN6thrust23THRUST_200600_302600_NS6detail15normal_iteratorINS9_10device_ptrIbEEEESE_NSB_INSC_IiEEEESG_NS0_19identity_decomposerEEE10hipError_tT1_T2_T3_T4_jRjT5_jjP12ihipStream_tbEUlT_E_NS1_11comp_targetILNS1_3genE8ELNS1_11target_archE1030ELNS1_3gpuE2ELNS1_3repE0EEENS1_44radix_sort_block_sort_config_static_selectorELNS0_4arch9wavefront6targetE1EEEvSJ_
                                        ; -- End function
	.set _ZN7rocprim17ROCPRIM_400000_NS6detail17trampoline_kernelINS0_13kernel_configILj256ELj4ELj4294967295EEENS1_37radix_sort_block_sort_config_selectorIbiEEZNS1_21radix_sort_block_sortIS4_Lb1EN6thrust23THRUST_200600_302600_NS6detail15normal_iteratorINS9_10device_ptrIbEEEESE_NSB_INSC_IiEEEESG_NS0_19identity_decomposerEEE10hipError_tT1_T2_T3_T4_jRjT5_jjP12ihipStream_tbEUlT_E_NS1_11comp_targetILNS1_3genE8ELNS1_11target_archE1030ELNS1_3gpuE2ELNS1_3repE0EEENS1_44radix_sort_block_sort_config_static_selectorELNS0_4arch9wavefront6targetE1EEEvSJ_.num_vgpr, 0
	.set _ZN7rocprim17ROCPRIM_400000_NS6detail17trampoline_kernelINS0_13kernel_configILj256ELj4ELj4294967295EEENS1_37radix_sort_block_sort_config_selectorIbiEEZNS1_21radix_sort_block_sortIS4_Lb1EN6thrust23THRUST_200600_302600_NS6detail15normal_iteratorINS9_10device_ptrIbEEEESE_NSB_INSC_IiEEEESG_NS0_19identity_decomposerEEE10hipError_tT1_T2_T3_T4_jRjT5_jjP12ihipStream_tbEUlT_E_NS1_11comp_targetILNS1_3genE8ELNS1_11target_archE1030ELNS1_3gpuE2ELNS1_3repE0EEENS1_44radix_sort_block_sort_config_static_selectorELNS0_4arch9wavefront6targetE1EEEvSJ_.num_agpr, 0
	.set _ZN7rocprim17ROCPRIM_400000_NS6detail17trampoline_kernelINS0_13kernel_configILj256ELj4ELj4294967295EEENS1_37radix_sort_block_sort_config_selectorIbiEEZNS1_21radix_sort_block_sortIS4_Lb1EN6thrust23THRUST_200600_302600_NS6detail15normal_iteratorINS9_10device_ptrIbEEEESE_NSB_INSC_IiEEEESG_NS0_19identity_decomposerEEE10hipError_tT1_T2_T3_T4_jRjT5_jjP12ihipStream_tbEUlT_E_NS1_11comp_targetILNS1_3genE8ELNS1_11target_archE1030ELNS1_3gpuE2ELNS1_3repE0EEENS1_44radix_sort_block_sort_config_static_selectorELNS0_4arch9wavefront6targetE1EEEvSJ_.numbered_sgpr, 0
	.set _ZN7rocprim17ROCPRIM_400000_NS6detail17trampoline_kernelINS0_13kernel_configILj256ELj4ELj4294967295EEENS1_37radix_sort_block_sort_config_selectorIbiEEZNS1_21radix_sort_block_sortIS4_Lb1EN6thrust23THRUST_200600_302600_NS6detail15normal_iteratorINS9_10device_ptrIbEEEESE_NSB_INSC_IiEEEESG_NS0_19identity_decomposerEEE10hipError_tT1_T2_T3_T4_jRjT5_jjP12ihipStream_tbEUlT_E_NS1_11comp_targetILNS1_3genE8ELNS1_11target_archE1030ELNS1_3gpuE2ELNS1_3repE0EEENS1_44radix_sort_block_sort_config_static_selectorELNS0_4arch9wavefront6targetE1EEEvSJ_.num_named_barrier, 0
	.set _ZN7rocprim17ROCPRIM_400000_NS6detail17trampoline_kernelINS0_13kernel_configILj256ELj4ELj4294967295EEENS1_37radix_sort_block_sort_config_selectorIbiEEZNS1_21radix_sort_block_sortIS4_Lb1EN6thrust23THRUST_200600_302600_NS6detail15normal_iteratorINS9_10device_ptrIbEEEESE_NSB_INSC_IiEEEESG_NS0_19identity_decomposerEEE10hipError_tT1_T2_T3_T4_jRjT5_jjP12ihipStream_tbEUlT_E_NS1_11comp_targetILNS1_3genE8ELNS1_11target_archE1030ELNS1_3gpuE2ELNS1_3repE0EEENS1_44radix_sort_block_sort_config_static_selectorELNS0_4arch9wavefront6targetE1EEEvSJ_.private_seg_size, 0
	.set _ZN7rocprim17ROCPRIM_400000_NS6detail17trampoline_kernelINS0_13kernel_configILj256ELj4ELj4294967295EEENS1_37radix_sort_block_sort_config_selectorIbiEEZNS1_21radix_sort_block_sortIS4_Lb1EN6thrust23THRUST_200600_302600_NS6detail15normal_iteratorINS9_10device_ptrIbEEEESE_NSB_INSC_IiEEEESG_NS0_19identity_decomposerEEE10hipError_tT1_T2_T3_T4_jRjT5_jjP12ihipStream_tbEUlT_E_NS1_11comp_targetILNS1_3genE8ELNS1_11target_archE1030ELNS1_3gpuE2ELNS1_3repE0EEENS1_44radix_sort_block_sort_config_static_selectorELNS0_4arch9wavefront6targetE1EEEvSJ_.uses_vcc, 0
	.set _ZN7rocprim17ROCPRIM_400000_NS6detail17trampoline_kernelINS0_13kernel_configILj256ELj4ELj4294967295EEENS1_37radix_sort_block_sort_config_selectorIbiEEZNS1_21radix_sort_block_sortIS4_Lb1EN6thrust23THRUST_200600_302600_NS6detail15normal_iteratorINS9_10device_ptrIbEEEESE_NSB_INSC_IiEEEESG_NS0_19identity_decomposerEEE10hipError_tT1_T2_T3_T4_jRjT5_jjP12ihipStream_tbEUlT_E_NS1_11comp_targetILNS1_3genE8ELNS1_11target_archE1030ELNS1_3gpuE2ELNS1_3repE0EEENS1_44radix_sort_block_sort_config_static_selectorELNS0_4arch9wavefront6targetE1EEEvSJ_.uses_flat_scratch, 0
	.set _ZN7rocprim17ROCPRIM_400000_NS6detail17trampoline_kernelINS0_13kernel_configILj256ELj4ELj4294967295EEENS1_37radix_sort_block_sort_config_selectorIbiEEZNS1_21radix_sort_block_sortIS4_Lb1EN6thrust23THRUST_200600_302600_NS6detail15normal_iteratorINS9_10device_ptrIbEEEESE_NSB_INSC_IiEEEESG_NS0_19identity_decomposerEEE10hipError_tT1_T2_T3_T4_jRjT5_jjP12ihipStream_tbEUlT_E_NS1_11comp_targetILNS1_3genE8ELNS1_11target_archE1030ELNS1_3gpuE2ELNS1_3repE0EEENS1_44radix_sort_block_sort_config_static_selectorELNS0_4arch9wavefront6targetE1EEEvSJ_.has_dyn_sized_stack, 0
	.set _ZN7rocprim17ROCPRIM_400000_NS6detail17trampoline_kernelINS0_13kernel_configILj256ELj4ELj4294967295EEENS1_37radix_sort_block_sort_config_selectorIbiEEZNS1_21radix_sort_block_sortIS4_Lb1EN6thrust23THRUST_200600_302600_NS6detail15normal_iteratorINS9_10device_ptrIbEEEESE_NSB_INSC_IiEEEESG_NS0_19identity_decomposerEEE10hipError_tT1_T2_T3_T4_jRjT5_jjP12ihipStream_tbEUlT_E_NS1_11comp_targetILNS1_3genE8ELNS1_11target_archE1030ELNS1_3gpuE2ELNS1_3repE0EEENS1_44radix_sort_block_sort_config_static_selectorELNS0_4arch9wavefront6targetE1EEEvSJ_.has_recursion, 0
	.set _ZN7rocprim17ROCPRIM_400000_NS6detail17trampoline_kernelINS0_13kernel_configILj256ELj4ELj4294967295EEENS1_37radix_sort_block_sort_config_selectorIbiEEZNS1_21radix_sort_block_sortIS4_Lb1EN6thrust23THRUST_200600_302600_NS6detail15normal_iteratorINS9_10device_ptrIbEEEESE_NSB_INSC_IiEEEESG_NS0_19identity_decomposerEEE10hipError_tT1_T2_T3_T4_jRjT5_jjP12ihipStream_tbEUlT_E_NS1_11comp_targetILNS1_3genE8ELNS1_11target_archE1030ELNS1_3gpuE2ELNS1_3repE0EEENS1_44radix_sort_block_sort_config_static_selectorELNS0_4arch9wavefront6targetE1EEEvSJ_.has_indirect_call, 0
	.section	.AMDGPU.csdata,"",@progbits
; Kernel info:
; codeLenInByte = 0
; TotalNumSgprs: 6
; NumVgprs: 0
; NumAgprs: 0
; TotalNumVgprs: 0
; ScratchSize: 0
; MemoryBound: 0
; FloatMode: 240
; IeeeMode: 1
; LDSByteSize: 0 bytes/workgroup (compile time only)
; SGPRBlocks: 0
; VGPRBlocks: 0
; NumSGPRsForWavesPerEU: 6
; NumVGPRsForWavesPerEU: 1
; AccumOffset: 4
; Occupancy: 8
; WaveLimiterHint : 0
; COMPUTE_PGM_RSRC2:SCRATCH_EN: 0
; COMPUTE_PGM_RSRC2:USER_SGPR: 2
; COMPUTE_PGM_RSRC2:TRAP_HANDLER: 0
; COMPUTE_PGM_RSRC2:TGID_X_EN: 1
; COMPUTE_PGM_RSRC2:TGID_Y_EN: 0
; COMPUTE_PGM_RSRC2:TGID_Z_EN: 0
; COMPUTE_PGM_RSRC2:TIDIG_COMP_CNT: 0
; COMPUTE_PGM_RSRC3_GFX90A:ACCUM_OFFSET: 0
; COMPUTE_PGM_RSRC3_GFX90A:TG_SPLIT: 0
	.section	.text._ZN7rocprim17ROCPRIM_400000_NS6detail17trampoline_kernelINS0_14default_configENS1_38merge_sort_block_merge_config_selectorIbiEEZZNS1_27merge_sort_block_merge_implIS3_N6thrust23THRUST_200600_302600_NS6detail15normal_iteratorINS8_10device_ptrIbEEEENSA_INSB_IiEEEEjNS1_19radix_merge_compareILb1ELb0EbNS0_19identity_decomposerEEEEE10hipError_tT0_T1_T2_jT3_P12ihipStream_tbPNSt15iterator_traitsISK_E10value_typeEPNSQ_ISL_E10value_typeEPSM_NS1_7vsmem_tEENKUlT_SK_SL_SM_E_clIPbSD_PiSF_EESJ_SZ_SK_SL_SM_EUlSZ_E_NS1_11comp_targetILNS1_3genE0ELNS1_11target_archE4294967295ELNS1_3gpuE0ELNS1_3repE0EEENS1_48merge_mergepath_partition_config_static_selectorELNS0_4arch9wavefront6targetE1EEEvSL_,"axG",@progbits,_ZN7rocprim17ROCPRIM_400000_NS6detail17trampoline_kernelINS0_14default_configENS1_38merge_sort_block_merge_config_selectorIbiEEZZNS1_27merge_sort_block_merge_implIS3_N6thrust23THRUST_200600_302600_NS6detail15normal_iteratorINS8_10device_ptrIbEEEENSA_INSB_IiEEEEjNS1_19radix_merge_compareILb1ELb0EbNS0_19identity_decomposerEEEEE10hipError_tT0_T1_T2_jT3_P12ihipStream_tbPNSt15iterator_traitsISK_E10value_typeEPNSQ_ISL_E10value_typeEPSM_NS1_7vsmem_tEENKUlT_SK_SL_SM_E_clIPbSD_PiSF_EESJ_SZ_SK_SL_SM_EUlSZ_E_NS1_11comp_targetILNS1_3genE0ELNS1_11target_archE4294967295ELNS1_3gpuE0ELNS1_3repE0EEENS1_48merge_mergepath_partition_config_static_selectorELNS0_4arch9wavefront6targetE1EEEvSL_,comdat
	.protected	_ZN7rocprim17ROCPRIM_400000_NS6detail17trampoline_kernelINS0_14default_configENS1_38merge_sort_block_merge_config_selectorIbiEEZZNS1_27merge_sort_block_merge_implIS3_N6thrust23THRUST_200600_302600_NS6detail15normal_iteratorINS8_10device_ptrIbEEEENSA_INSB_IiEEEEjNS1_19radix_merge_compareILb1ELb0EbNS0_19identity_decomposerEEEEE10hipError_tT0_T1_T2_jT3_P12ihipStream_tbPNSt15iterator_traitsISK_E10value_typeEPNSQ_ISL_E10value_typeEPSM_NS1_7vsmem_tEENKUlT_SK_SL_SM_E_clIPbSD_PiSF_EESJ_SZ_SK_SL_SM_EUlSZ_E_NS1_11comp_targetILNS1_3genE0ELNS1_11target_archE4294967295ELNS1_3gpuE0ELNS1_3repE0EEENS1_48merge_mergepath_partition_config_static_selectorELNS0_4arch9wavefront6targetE1EEEvSL_ ; -- Begin function _ZN7rocprim17ROCPRIM_400000_NS6detail17trampoline_kernelINS0_14default_configENS1_38merge_sort_block_merge_config_selectorIbiEEZZNS1_27merge_sort_block_merge_implIS3_N6thrust23THRUST_200600_302600_NS6detail15normal_iteratorINS8_10device_ptrIbEEEENSA_INSB_IiEEEEjNS1_19radix_merge_compareILb1ELb0EbNS0_19identity_decomposerEEEEE10hipError_tT0_T1_T2_jT3_P12ihipStream_tbPNSt15iterator_traitsISK_E10value_typeEPNSQ_ISL_E10value_typeEPSM_NS1_7vsmem_tEENKUlT_SK_SL_SM_E_clIPbSD_PiSF_EESJ_SZ_SK_SL_SM_EUlSZ_E_NS1_11comp_targetILNS1_3genE0ELNS1_11target_archE4294967295ELNS1_3gpuE0ELNS1_3repE0EEENS1_48merge_mergepath_partition_config_static_selectorELNS0_4arch9wavefront6targetE1EEEvSL_
	.globl	_ZN7rocprim17ROCPRIM_400000_NS6detail17trampoline_kernelINS0_14default_configENS1_38merge_sort_block_merge_config_selectorIbiEEZZNS1_27merge_sort_block_merge_implIS3_N6thrust23THRUST_200600_302600_NS6detail15normal_iteratorINS8_10device_ptrIbEEEENSA_INSB_IiEEEEjNS1_19radix_merge_compareILb1ELb0EbNS0_19identity_decomposerEEEEE10hipError_tT0_T1_T2_jT3_P12ihipStream_tbPNSt15iterator_traitsISK_E10value_typeEPNSQ_ISL_E10value_typeEPSM_NS1_7vsmem_tEENKUlT_SK_SL_SM_E_clIPbSD_PiSF_EESJ_SZ_SK_SL_SM_EUlSZ_E_NS1_11comp_targetILNS1_3genE0ELNS1_11target_archE4294967295ELNS1_3gpuE0ELNS1_3repE0EEENS1_48merge_mergepath_partition_config_static_selectorELNS0_4arch9wavefront6targetE1EEEvSL_
	.p2align	8
	.type	_ZN7rocprim17ROCPRIM_400000_NS6detail17trampoline_kernelINS0_14default_configENS1_38merge_sort_block_merge_config_selectorIbiEEZZNS1_27merge_sort_block_merge_implIS3_N6thrust23THRUST_200600_302600_NS6detail15normal_iteratorINS8_10device_ptrIbEEEENSA_INSB_IiEEEEjNS1_19radix_merge_compareILb1ELb0EbNS0_19identity_decomposerEEEEE10hipError_tT0_T1_T2_jT3_P12ihipStream_tbPNSt15iterator_traitsISK_E10value_typeEPNSQ_ISL_E10value_typeEPSM_NS1_7vsmem_tEENKUlT_SK_SL_SM_E_clIPbSD_PiSF_EESJ_SZ_SK_SL_SM_EUlSZ_E_NS1_11comp_targetILNS1_3genE0ELNS1_11target_archE4294967295ELNS1_3gpuE0ELNS1_3repE0EEENS1_48merge_mergepath_partition_config_static_selectorELNS0_4arch9wavefront6targetE1EEEvSL_,@function
_ZN7rocprim17ROCPRIM_400000_NS6detail17trampoline_kernelINS0_14default_configENS1_38merge_sort_block_merge_config_selectorIbiEEZZNS1_27merge_sort_block_merge_implIS3_N6thrust23THRUST_200600_302600_NS6detail15normal_iteratorINS8_10device_ptrIbEEEENSA_INSB_IiEEEEjNS1_19radix_merge_compareILb1ELb0EbNS0_19identity_decomposerEEEEE10hipError_tT0_T1_T2_jT3_P12ihipStream_tbPNSt15iterator_traitsISK_E10value_typeEPNSQ_ISL_E10value_typeEPSM_NS1_7vsmem_tEENKUlT_SK_SL_SM_E_clIPbSD_PiSF_EESJ_SZ_SK_SL_SM_EUlSZ_E_NS1_11comp_targetILNS1_3genE0ELNS1_11target_archE4294967295ELNS1_3gpuE0ELNS1_3repE0EEENS1_48merge_mergepath_partition_config_static_selectorELNS0_4arch9wavefront6targetE1EEEvSL_: ; @_ZN7rocprim17ROCPRIM_400000_NS6detail17trampoline_kernelINS0_14default_configENS1_38merge_sort_block_merge_config_selectorIbiEEZZNS1_27merge_sort_block_merge_implIS3_N6thrust23THRUST_200600_302600_NS6detail15normal_iteratorINS8_10device_ptrIbEEEENSA_INSB_IiEEEEjNS1_19radix_merge_compareILb1ELb0EbNS0_19identity_decomposerEEEEE10hipError_tT0_T1_T2_jT3_P12ihipStream_tbPNSt15iterator_traitsISK_E10value_typeEPNSQ_ISL_E10value_typeEPSM_NS1_7vsmem_tEENKUlT_SK_SL_SM_E_clIPbSD_PiSF_EESJ_SZ_SK_SL_SM_EUlSZ_E_NS1_11comp_targetILNS1_3genE0ELNS1_11target_archE4294967295ELNS1_3gpuE0ELNS1_3repE0EEENS1_48merge_mergepath_partition_config_static_selectorELNS0_4arch9wavefront6targetE1EEEvSL_
; %bb.0:
	s_load_dword s3, s[0:1], 0x0
	v_lshl_or_b32 v0, s2, 7, v0
	s_waitcnt lgkmcnt(0)
	v_cmp_gt_u32_e32 vcc, s3, v0
	s_and_saveexec_b64 s[2:3], vcc
	s_cbranch_execz .LBB2104_6
; %bb.1:
	s_load_dwordx2 s[4:5], s[0:1], 0x4
	s_load_dwordx2 s[2:3], s[0:1], 0x20
	s_waitcnt lgkmcnt(0)
	s_lshr_b32 s6, s4, 9
	s_and_b32 s6, s6, 0x7ffffe
	s_add_i32 s7, s6, -1
	s_sub_i32 s6, 0, s6
	v_and_b32_e32 v1, s6, v0
	v_lshlrev_b32_e32 v1, 10, v1
	v_min_u32_e32 v2, s5, v1
	v_add_u32_e32 v1, s4, v1
	v_min_u32_e32 v4, s5, v1
	v_add_u32_e32 v1, s4, v4
	v_and_b32_e32 v3, s7, v0
	v_min_u32_e32 v1, s5, v1
	v_sub_u32_e32 v5, v1, v2
	v_lshlrev_b32_e32 v3, 10, v3
	v_min_u32_e32 v10, v5, v3
	v_sub_u32_e32 v3, v4, v2
	v_sub_u32_e32 v1, v1, v4
	v_sub_u32_e64 v1, v10, v1 clamp
	v_min_u32_e32 v11, v10, v3
	v_cmp_lt_u32_e32 vcc, v1, v11
	s_and_saveexec_b64 s[4:5], vcc
	s_cbranch_execz .LBB2104_5
; %bb.2:
	s_load_dwordx2 s[0:1], s[0:1], 0x10
	v_mov_b32_e32 v5, 0
	v_mov_b32_e32 v3, v5
	s_waitcnt lgkmcnt(0)
	v_lshl_add_u64 v[6:7], s[0:1], 0, v[2:3]
	v_lshl_add_u64 v[8:9], s[0:1], 0, v[4:5]
	s_mov_b64 s[0:1], 0
.LBB2104_3:                             ; =>This Inner Loop Header: Depth=1
	v_add_u32_e32 v3, v11, v1
	v_lshrrev_b32_e32 v4, 1, v3
	v_mov_b32_e32 v13, v5
	v_xad_u32 v12, v4, -1, v10
	v_lshl_add_u64 v[14:15], v[6:7], 0, v[4:5]
	v_lshl_add_u64 v[12:13], v[8:9], 0, v[12:13]
	global_load_ubyte v3, v[14:15], off
	global_load_ubyte v16, v[12:13], off
	v_add_u32_e32 v12, 1, v4
	s_waitcnt vmcnt(0)
	v_cmp_gt_u16_e32 vcc, v16, v3
	s_nop 1
	v_cndmask_b32_e32 v11, v11, v4, vcc
	v_cndmask_b32_e32 v1, v12, v1, vcc
	v_cmp_ge_u32_e32 vcc, v1, v11
	s_or_b64 s[0:1], vcc, s[0:1]
	s_andn2_b64 exec, exec, s[0:1]
	s_cbranch_execnz .LBB2104_3
; %bb.4:
	s_or_b64 exec, exec, s[0:1]
.LBB2104_5:
	s_or_b64 exec, exec, s[4:5]
	v_add_u32_e32 v2, v1, v2
	v_mov_b32_e32 v1, 0
	v_lshl_add_u64 v[0:1], v[0:1], 2, s[2:3]
	global_store_dword v[0:1], v2, off
.LBB2104_6:
	s_endpgm
	.section	.rodata,"a",@progbits
	.p2align	6, 0x0
	.amdhsa_kernel _ZN7rocprim17ROCPRIM_400000_NS6detail17trampoline_kernelINS0_14default_configENS1_38merge_sort_block_merge_config_selectorIbiEEZZNS1_27merge_sort_block_merge_implIS3_N6thrust23THRUST_200600_302600_NS6detail15normal_iteratorINS8_10device_ptrIbEEEENSA_INSB_IiEEEEjNS1_19radix_merge_compareILb1ELb0EbNS0_19identity_decomposerEEEEE10hipError_tT0_T1_T2_jT3_P12ihipStream_tbPNSt15iterator_traitsISK_E10value_typeEPNSQ_ISL_E10value_typeEPSM_NS1_7vsmem_tEENKUlT_SK_SL_SM_E_clIPbSD_PiSF_EESJ_SZ_SK_SL_SM_EUlSZ_E_NS1_11comp_targetILNS1_3genE0ELNS1_11target_archE4294967295ELNS1_3gpuE0ELNS1_3repE0EEENS1_48merge_mergepath_partition_config_static_selectorELNS0_4arch9wavefront6targetE1EEEvSL_
		.amdhsa_group_segment_fixed_size 0
		.amdhsa_private_segment_fixed_size 0
		.amdhsa_kernarg_size 40
		.amdhsa_user_sgpr_count 2
		.amdhsa_user_sgpr_dispatch_ptr 0
		.amdhsa_user_sgpr_queue_ptr 0
		.amdhsa_user_sgpr_kernarg_segment_ptr 1
		.amdhsa_user_sgpr_dispatch_id 0
		.amdhsa_user_sgpr_kernarg_preload_length 0
		.amdhsa_user_sgpr_kernarg_preload_offset 0
		.amdhsa_user_sgpr_private_segment_size 0
		.amdhsa_uses_dynamic_stack 0
		.amdhsa_enable_private_segment 0
		.amdhsa_system_sgpr_workgroup_id_x 1
		.amdhsa_system_sgpr_workgroup_id_y 0
		.amdhsa_system_sgpr_workgroup_id_z 0
		.amdhsa_system_sgpr_workgroup_info 0
		.amdhsa_system_vgpr_workitem_id 0
		.amdhsa_next_free_vgpr 17
		.amdhsa_next_free_sgpr 8
		.amdhsa_accum_offset 20
		.amdhsa_reserve_vcc 1
		.amdhsa_float_round_mode_32 0
		.amdhsa_float_round_mode_16_64 0
		.amdhsa_float_denorm_mode_32 3
		.amdhsa_float_denorm_mode_16_64 3
		.amdhsa_dx10_clamp 1
		.amdhsa_ieee_mode 1
		.amdhsa_fp16_overflow 0
		.amdhsa_tg_split 0
		.amdhsa_exception_fp_ieee_invalid_op 0
		.amdhsa_exception_fp_denorm_src 0
		.amdhsa_exception_fp_ieee_div_zero 0
		.amdhsa_exception_fp_ieee_overflow 0
		.amdhsa_exception_fp_ieee_underflow 0
		.amdhsa_exception_fp_ieee_inexact 0
		.amdhsa_exception_int_div_zero 0
	.end_amdhsa_kernel
	.section	.text._ZN7rocprim17ROCPRIM_400000_NS6detail17trampoline_kernelINS0_14default_configENS1_38merge_sort_block_merge_config_selectorIbiEEZZNS1_27merge_sort_block_merge_implIS3_N6thrust23THRUST_200600_302600_NS6detail15normal_iteratorINS8_10device_ptrIbEEEENSA_INSB_IiEEEEjNS1_19radix_merge_compareILb1ELb0EbNS0_19identity_decomposerEEEEE10hipError_tT0_T1_T2_jT3_P12ihipStream_tbPNSt15iterator_traitsISK_E10value_typeEPNSQ_ISL_E10value_typeEPSM_NS1_7vsmem_tEENKUlT_SK_SL_SM_E_clIPbSD_PiSF_EESJ_SZ_SK_SL_SM_EUlSZ_E_NS1_11comp_targetILNS1_3genE0ELNS1_11target_archE4294967295ELNS1_3gpuE0ELNS1_3repE0EEENS1_48merge_mergepath_partition_config_static_selectorELNS0_4arch9wavefront6targetE1EEEvSL_,"axG",@progbits,_ZN7rocprim17ROCPRIM_400000_NS6detail17trampoline_kernelINS0_14default_configENS1_38merge_sort_block_merge_config_selectorIbiEEZZNS1_27merge_sort_block_merge_implIS3_N6thrust23THRUST_200600_302600_NS6detail15normal_iteratorINS8_10device_ptrIbEEEENSA_INSB_IiEEEEjNS1_19radix_merge_compareILb1ELb0EbNS0_19identity_decomposerEEEEE10hipError_tT0_T1_T2_jT3_P12ihipStream_tbPNSt15iterator_traitsISK_E10value_typeEPNSQ_ISL_E10value_typeEPSM_NS1_7vsmem_tEENKUlT_SK_SL_SM_E_clIPbSD_PiSF_EESJ_SZ_SK_SL_SM_EUlSZ_E_NS1_11comp_targetILNS1_3genE0ELNS1_11target_archE4294967295ELNS1_3gpuE0ELNS1_3repE0EEENS1_48merge_mergepath_partition_config_static_selectorELNS0_4arch9wavefront6targetE1EEEvSL_,comdat
.Lfunc_end2104:
	.size	_ZN7rocprim17ROCPRIM_400000_NS6detail17trampoline_kernelINS0_14default_configENS1_38merge_sort_block_merge_config_selectorIbiEEZZNS1_27merge_sort_block_merge_implIS3_N6thrust23THRUST_200600_302600_NS6detail15normal_iteratorINS8_10device_ptrIbEEEENSA_INSB_IiEEEEjNS1_19radix_merge_compareILb1ELb0EbNS0_19identity_decomposerEEEEE10hipError_tT0_T1_T2_jT3_P12ihipStream_tbPNSt15iterator_traitsISK_E10value_typeEPNSQ_ISL_E10value_typeEPSM_NS1_7vsmem_tEENKUlT_SK_SL_SM_E_clIPbSD_PiSF_EESJ_SZ_SK_SL_SM_EUlSZ_E_NS1_11comp_targetILNS1_3genE0ELNS1_11target_archE4294967295ELNS1_3gpuE0ELNS1_3repE0EEENS1_48merge_mergepath_partition_config_static_selectorELNS0_4arch9wavefront6targetE1EEEvSL_, .Lfunc_end2104-_ZN7rocprim17ROCPRIM_400000_NS6detail17trampoline_kernelINS0_14default_configENS1_38merge_sort_block_merge_config_selectorIbiEEZZNS1_27merge_sort_block_merge_implIS3_N6thrust23THRUST_200600_302600_NS6detail15normal_iteratorINS8_10device_ptrIbEEEENSA_INSB_IiEEEEjNS1_19radix_merge_compareILb1ELb0EbNS0_19identity_decomposerEEEEE10hipError_tT0_T1_T2_jT3_P12ihipStream_tbPNSt15iterator_traitsISK_E10value_typeEPNSQ_ISL_E10value_typeEPSM_NS1_7vsmem_tEENKUlT_SK_SL_SM_E_clIPbSD_PiSF_EESJ_SZ_SK_SL_SM_EUlSZ_E_NS1_11comp_targetILNS1_3genE0ELNS1_11target_archE4294967295ELNS1_3gpuE0ELNS1_3repE0EEENS1_48merge_mergepath_partition_config_static_selectorELNS0_4arch9wavefront6targetE1EEEvSL_
                                        ; -- End function
	.set _ZN7rocprim17ROCPRIM_400000_NS6detail17trampoline_kernelINS0_14default_configENS1_38merge_sort_block_merge_config_selectorIbiEEZZNS1_27merge_sort_block_merge_implIS3_N6thrust23THRUST_200600_302600_NS6detail15normal_iteratorINS8_10device_ptrIbEEEENSA_INSB_IiEEEEjNS1_19radix_merge_compareILb1ELb0EbNS0_19identity_decomposerEEEEE10hipError_tT0_T1_T2_jT3_P12ihipStream_tbPNSt15iterator_traitsISK_E10value_typeEPNSQ_ISL_E10value_typeEPSM_NS1_7vsmem_tEENKUlT_SK_SL_SM_E_clIPbSD_PiSF_EESJ_SZ_SK_SL_SM_EUlSZ_E_NS1_11comp_targetILNS1_3genE0ELNS1_11target_archE4294967295ELNS1_3gpuE0ELNS1_3repE0EEENS1_48merge_mergepath_partition_config_static_selectorELNS0_4arch9wavefront6targetE1EEEvSL_.num_vgpr, 17
	.set _ZN7rocprim17ROCPRIM_400000_NS6detail17trampoline_kernelINS0_14default_configENS1_38merge_sort_block_merge_config_selectorIbiEEZZNS1_27merge_sort_block_merge_implIS3_N6thrust23THRUST_200600_302600_NS6detail15normal_iteratorINS8_10device_ptrIbEEEENSA_INSB_IiEEEEjNS1_19radix_merge_compareILb1ELb0EbNS0_19identity_decomposerEEEEE10hipError_tT0_T1_T2_jT3_P12ihipStream_tbPNSt15iterator_traitsISK_E10value_typeEPNSQ_ISL_E10value_typeEPSM_NS1_7vsmem_tEENKUlT_SK_SL_SM_E_clIPbSD_PiSF_EESJ_SZ_SK_SL_SM_EUlSZ_E_NS1_11comp_targetILNS1_3genE0ELNS1_11target_archE4294967295ELNS1_3gpuE0ELNS1_3repE0EEENS1_48merge_mergepath_partition_config_static_selectorELNS0_4arch9wavefront6targetE1EEEvSL_.num_agpr, 0
	.set _ZN7rocprim17ROCPRIM_400000_NS6detail17trampoline_kernelINS0_14default_configENS1_38merge_sort_block_merge_config_selectorIbiEEZZNS1_27merge_sort_block_merge_implIS3_N6thrust23THRUST_200600_302600_NS6detail15normal_iteratorINS8_10device_ptrIbEEEENSA_INSB_IiEEEEjNS1_19radix_merge_compareILb1ELb0EbNS0_19identity_decomposerEEEEE10hipError_tT0_T1_T2_jT3_P12ihipStream_tbPNSt15iterator_traitsISK_E10value_typeEPNSQ_ISL_E10value_typeEPSM_NS1_7vsmem_tEENKUlT_SK_SL_SM_E_clIPbSD_PiSF_EESJ_SZ_SK_SL_SM_EUlSZ_E_NS1_11comp_targetILNS1_3genE0ELNS1_11target_archE4294967295ELNS1_3gpuE0ELNS1_3repE0EEENS1_48merge_mergepath_partition_config_static_selectorELNS0_4arch9wavefront6targetE1EEEvSL_.numbered_sgpr, 8
	.set _ZN7rocprim17ROCPRIM_400000_NS6detail17trampoline_kernelINS0_14default_configENS1_38merge_sort_block_merge_config_selectorIbiEEZZNS1_27merge_sort_block_merge_implIS3_N6thrust23THRUST_200600_302600_NS6detail15normal_iteratorINS8_10device_ptrIbEEEENSA_INSB_IiEEEEjNS1_19radix_merge_compareILb1ELb0EbNS0_19identity_decomposerEEEEE10hipError_tT0_T1_T2_jT3_P12ihipStream_tbPNSt15iterator_traitsISK_E10value_typeEPNSQ_ISL_E10value_typeEPSM_NS1_7vsmem_tEENKUlT_SK_SL_SM_E_clIPbSD_PiSF_EESJ_SZ_SK_SL_SM_EUlSZ_E_NS1_11comp_targetILNS1_3genE0ELNS1_11target_archE4294967295ELNS1_3gpuE0ELNS1_3repE0EEENS1_48merge_mergepath_partition_config_static_selectorELNS0_4arch9wavefront6targetE1EEEvSL_.num_named_barrier, 0
	.set _ZN7rocprim17ROCPRIM_400000_NS6detail17trampoline_kernelINS0_14default_configENS1_38merge_sort_block_merge_config_selectorIbiEEZZNS1_27merge_sort_block_merge_implIS3_N6thrust23THRUST_200600_302600_NS6detail15normal_iteratorINS8_10device_ptrIbEEEENSA_INSB_IiEEEEjNS1_19radix_merge_compareILb1ELb0EbNS0_19identity_decomposerEEEEE10hipError_tT0_T1_T2_jT3_P12ihipStream_tbPNSt15iterator_traitsISK_E10value_typeEPNSQ_ISL_E10value_typeEPSM_NS1_7vsmem_tEENKUlT_SK_SL_SM_E_clIPbSD_PiSF_EESJ_SZ_SK_SL_SM_EUlSZ_E_NS1_11comp_targetILNS1_3genE0ELNS1_11target_archE4294967295ELNS1_3gpuE0ELNS1_3repE0EEENS1_48merge_mergepath_partition_config_static_selectorELNS0_4arch9wavefront6targetE1EEEvSL_.private_seg_size, 0
	.set _ZN7rocprim17ROCPRIM_400000_NS6detail17trampoline_kernelINS0_14default_configENS1_38merge_sort_block_merge_config_selectorIbiEEZZNS1_27merge_sort_block_merge_implIS3_N6thrust23THRUST_200600_302600_NS6detail15normal_iteratorINS8_10device_ptrIbEEEENSA_INSB_IiEEEEjNS1_19radix_merge_compareILb1ELb0EbNS0_19identity_decomposerEEEEE10hipError_tT0_T1_T2_jT3_P12ihipStream_tbPNSt15iterator_traitsISK_E10value_typeEPNSQ_ISL_E10value_typeEPSM_NS1_7vsmem_tEENKUlT_SK_SL_SM_E_clIPbSD_PiSF_EESJ_SZ_SK_SL_SM_EUlSZ_E_NS1_11comp_targetILNS1_3genE0ELNS1_11target_archE4294967295ELNS1_3gpuE0ELNS1_3repE0EEENS1_48merge_mergepath_partition_config_static_selectorELNS0_4arch9wavefront6targetE1EEEvSL_.uses_vcc, 1
	.set _ZN7rocprim17ROCPRIM_400000_NS6detail17trampoline_kernelINS0_14default_configENS1_38merge_sort_block_merge_config_selectorIbiEEZZNS1_27merge_sort_block_merge_implIS3_N6thrust23THRUST_200600_302600_NS6detail15normal_iteratorINS8_10device_ptrIbEEEENSA_INSB_IiEEEEjNS1_19radix_merge_compareILb1ELb0EbNS0_19identity_decomposerEEEEE10hipError_tT0_T1_T2_jT3_P12ihipStream_tbPNSt15iterator_traitsISK_E10value_typeEPNSQ_ISL_E10value_typeEPSM_NS1_7vsmem_tEENKUlT_SK_SL_SM_E_clIPbSD_PiSF_EESJ_SZ_SK_SL_SM_EUlSZ_E_NS1_11comp_targetILNS1_3genE0ELNS1_11target_archE4294967295ELNS1_3gpuE0ELNS1_3repE0EEENS1_48merge_mergepath_partition_config_static_selectorELNS0_4arch9wavefront6targetE1EEEvSL_.uses_flat_scratch, 0
	.set _ZN7rocprim17ROCPRIM_400000_NS6detail17trampoline_kernelINS0_14default_configENS1_38merge_sort_block_merge_config_selectorIbiEEZZNS1_27merge_sort_block_merge_implIS3_N6thrust23THRUST_200600_302600_NS6detail15normal_iteratorINS8_10device_ptrIbEEEENSA_INSB_IiEEEEjNS1_19radix_merge_compareILb1ELb0EbNS0_19identity_decomposerEEEEE10hipError_tT0_T1_T2_jT3_P12ihipStream_tbPNSt15iterator_traitsISK_E10value_typeEPNSQ_ISL_E10value_typeEPSM_NS1_7vsmem_tEENKUlT_SK_SL_SM_E_clIPbSD_PiSF_EESJ_SZ_SK_SL_SM_EUlSZ_E_NS1_11comp_targetILNS1_3genE0ELNS1_11target_archE4294967295ELNS1_3gpuE0ELNS1_3repE0EEENS1_48merge_mergepath_partition_config_static_selectorELNS0_4arch9wavefront6targetE1EEEvSL_.has_dyn_sized_stack, 0
	.set _ZN7rocprim17ROCPRIM_400000_NS6detail17trampoline_kernelINS0_14default_configENS1_38merge_sort_block_merge_config_selectorIbiEEZZNS1_27merge_sort_block_merge_implIS3_N6thrust23THRUST_200600_302600_NS6detail15normal_iteratorINS8_10device_ptrIbEEEENSA_INSB_IiEEEEjNS1_19radix_merge_compareILb1ELb0EbNS0_19identity_decomposerEEEEE10hipError_tT0_T1_T2_jT3_P12ihipStream_tbPNSt15iterator_traitsISK_E10value_typeEPNSQ_ISL_E10value_typeEPSM_NS1_7vsmem_tEENKUlT_SK_SL_SM_E_clIPbSD_PiSF_EESJ_SZ_SK_SL_SM_EUlSZ_E_NS1_11comp_targetILNS1_3genE0ELNS1_11target_archE4294967295ELNS1_3gpuE0ELNS1_3repE0EEENS1_48merge_mergepath_partition_config_static_selectorELNS0_4arch9wavefront6targetE1EEEvSL_.has_recursion, 0
	.set _ZN7rocprim17ROCPRIM_400000_NS6detail17trampoline_kernelINS0_14default_configENS1_38merge_sort_block_merge_config_selectorIbiEEZZNS1_27merge_sort_block_merge_implIS3_N6thrust23THRUST_200600_302600_NS6detail15normal_iteratorINS8_10device_ptrIbEEEENSA_INSB_IiEEEEjNS1_19radix_merge_compareILb1ELb0EbNS0_19identity_decomposerEEEEE10hipError_tT0_T1_T2_jT3_P12ihipStream_tbPNSt15iterator_traitsISK_E10value_typeEPNSQ_ISL_E10value_typeEPSM_NS1_7vsmem_tEENKUlT_SK_SL_SM_E_clIPbSD_PiSF_EESJ_SZ_SK_SL_SM_EUlSZ_E_NS1_11comp_targetILNS1_3genE0ELNS1_11target_archE4294967295ELNS1_3gpuE0ELNS1_3repE0EEENS1_48merge_mergepath_partition_config_static_selectorELNS0_4arch9wavefront6targetE1EEEvSL_.has_indirect_call, 0
	.section	.AMDGPU.csdata,"",@progbits
; Kernel info:
; codeLenInByte = 316
; TotalNumSgprs: 14
; NumVgprs: 17
; NumAgprs: 0
; TotalNumVgprs: 17
; ScratchSize: 0
; MemoryBound: 0
; FloatMode: 240
; IeeeMode: 1
; LDSByteSize: 0 bytes/workgroup (compile time only)
; SGPRBlocks: 1
; VGPRBlocks: 2
; NumSGPRsForWavesPerEU: 14
; NumVGPRsForWavesPerEU: 17
; AccumOffset: 20
; Occupancy: 8
; WaveLimiterHint : 0
; COMPUTE_PGM_RSRC2:SCRATCH_EN: 0
; COMPUTE_PGM_RSRC2:USER_SGPR: 2
; COMPUTE_PGM_RSRC2:TRAP_HANDLER: 0
; COMPUTE_PGM_RSRC2:TGID_X_EN: 1
; COMPUTE_PGM_RSRC2:TGID_Y_EN: 0
; COMPUTE_PGM_RSRC2:TGID_Z_EN: 0
; COMPUTE_PGM_RSRC2:TIDIG_COMP_CNT: 0
; COMPUTE_PGM_RSRC3_GFX90A:ACCUM_OFFSET: 4
; COMPUTE_PGM_RSRC3_GFX90A:TG_SPLIT: 0
	.section	.text._ZN7rocprim17ROCPRIM_400000_NS6detail17trampoline_kernelINS0_14default_configENS1_38merge_sort_block_merge_config_selectorIbiEEZZNS1_27merge_sort_block_merge_implIS3_N6thrust23THRUST_200600_302600_NS6detail15normal_iteratorINS8_10device_ptrIbEEEENSA_INSB_IiEEEEjNS1_19radix_merge_compareILb1ELb0EbNS0_19identity_decomposerEEEEE10hipError_tT0_T1_T2_jT3_P12ihipStream_tbPNSt15iterator_traitsISK_E10value_typeEPNSQ_ISL_E10value_typeEPSM_NS1_7vsmem_tEENKUlT_SK_SL_SM_E_clIPbSD_PiSF_EESJ_SZ_SK_SL_SM_EUlSZ_E_NS1_11comp_targetILNS1_3genE10ELNS1_11target_archE1201ELNS1_3gpuE5ELNS1_3repE0EEENS1_48merge_mergepath_partition_config_static_selectorELNS0_4arch9wavefront6targetE1EEEvSL_,"axG",@progbits,_ZN7rocprim17ROCPRIM_400000_NS6detail17trampoline_kernelINS0_14default_configENS1_38merge_sort_block_merge_config_selectorIbiEEZZNS1_27merge_sort_block_merge_implIS3_N6thrust23THRUST_200600_302600_NS6detail15normal_iteratorINS8_10device_ptrIbEEEENSA_INSB_IiEEEEjNS1_19radix_merge_compareILb1ELb0EbNS0_19identity_decomposerEEEEE10hipError_tT0_T1_T2_jT3_P12ihipStream_tbPNSt15iterator_traitsISK_E10value_typeEPNSQ_ISL_E10value_typeEPSM_NS1_7vsmem_tEENKUlT_SK_SL_SM_E_clIPbSD_PiSF_EESJ_SZ_SK_SL_SM_EUlSZ_E_NS1_11comp_targetILNS1_3genE10ELNS1_11target_archE1201ELNS1_3gpuE5ELNS1_3repE0EEENS1_48merge_mergepath_partition_config_static_selectorELNS0_4arch9wavefront6targetE1EEEvSL_,comdat
	.protected	_ZN7rocprim17ROCPRIM_400000_NS6detail17trampoline_kernelINS0_14default_configENS1_38merge_sort_block_merge_config_selectorIbiEEZZNS1_27merge_sort_block_merge_implIS3_N6thrust23THRUST_200600_302600_NS6detail15normal_iteratorINS8_10device_ptrIbEEEENSA_INSB_IiEEEEjNS1_19radix_merge_compareILb1ELb0EbNS0_19identity_decomposerEEEEE10hipError_tT0_T1_T2_jT3_P12ihipStream_tbPNSt15iterator_traitsISK_E10value_typeEPNSQ_ISL_E10value_typeEPSM_NS1_7vsmem_tEENKUlT_SK_SL_SM_E_clIPbSD_PiSF_EESJ_SZ_SK_SL_SM_EUlSZ_E_NS1_11comp_targetILNS1_3genE10ELNS1_11target_archE1201ELNS1_3gpuE5ELNS1_3repE0EEENS1_48merge_mergepath_partition_config_static_selectorELNS0_4arch9wavefront6targetE1EEEvSL_ ; -- Begin function _ZN7rocprim17ROCPRIM_400000_NS6detail17trampoline_kernelINS0_14default_configENS1_38merge_sort_block_merge_config_selectorIbiEEZZNS1_27merge_sort_block_merge_implIS3_N6thrust23THRUST_200600_302600_NS6detail15normal_iteratorINS8_10device_ptrIbEEEENSA_INSB_IiEEEEjNS1_19radix_merge_compareILb1ELb0EbNS0_19identity_decomposerEEEEE10hipError_tT0_T1_T2_jT3_P12ihipStream_tbPNSt15iterator_traitsISK_E10value_typeEPNSQ_ISL_E10value_typeEPSM_NS1_7vsmem_tEENKUlT_SK_SL_SM_E_clIPbSD_PiSF_EESJ_SZ_SK_SL_SM_EUlSZ_E_NS1_11comp_targetILNS1_3genE10ELNS1_11target_archE1201ELNS1_3gpuE5ELNS1_3repE0EEENS1_48merge_mergepath_partition_config_static_selectorELNS0_4arch9wavefront6targetE1EEEvSL_
	.globl	_ZN7rocprim17ROCPRIM_400000_NS6detail17trampoline_kernelINS0_14default_configENS1_38merge_sort_block_merge_config_selectorIbiEEZZNS1_27merge_sort_block_merge_implIS3_N6thrust23THRUST_200600_302600_NS6detail15normal_iteratorINS8_10device_ptrIbEEEENSA_INSB_IiEEEEjNS1_19radix_merge_compareILb1ELb0EbNS0_19identity_decomposerEEEEE10hipError_tT0_T1_T2_jT3_P12ihipStream_tbPNSt15iterator_traitsISK_E10value_typeEPNSQ_ISL_E10value_typeEPSM_NS1_7vsmem_tEENKUlT_SK_SL_SM_E_clIPbSD_PiSF_EESJ_SZ_SK_SL_SM_EUlSZ_E_NS1_11comp_targetILNS1_3genE10ELNS1_11target_archE1201ELNS1_3gpuE5ELNS1_3repE0EEENS1_48merge_mergepath_partition_config_static_selectorELNS0_4arch9wavefront6targetE1EEEvSL_
	.p2align	8
	.type	_ZN7rocprim17ROCPRIM_400000_NS6detail17trampoline_kernelINS0_14default_configENS1_38merge_sort_block_merge_config_selectorIbiEEZZNS1_27merge_sort_block_merge_implIS3_N6thrust23THRUST_200600_302600_NS6detail15normal_iteratorINS8_10device_ptrIbEEEENSA_INSB_IiEEEEjNS1_19radix_merge_compareILb1ELb0EbNS0_19identity_decomposerEEEEE10hipError_tT0_T1_T2_jT3_P12ihipStream_tbPNSt15iterator_traitsISK_E10value_typeEPNSQ_ISL_E10value_typeEPSM_NS1_7vsmem_tEENKUlT_SK_SL_SM_E_clIPbSD_PiSF_EESJ_SZ_SK_SL_SM_EUlSZ_E_NS1_11comp_targetILNS1_3genE10ELNS1_11target_archE1201ELNS1_3gpuE5ELNS1_3repE0EEENS1_48merge_mergepath_partition_config_static_selectorELNS0_4arch9wavefront6targetE1EEEvSL_,@function
_ZN7rocprim17ROCPRIM_400000_NS6detail17trampoline_kernelINS0_14default_configENS1_38merge_sort_block_merge_config_selectorIbiEEZZNS1_27merge_sort_block_merge_implIS3_N6thrust23THRUST_200600_302600_NS6detail15normal_iteratorINS8_10device_ptrIbEEEENSA_INSB_IiEEEEjNS1_19radix_merge_compareILb1ELb0EbNS0_19identity_decomposerEEEEE10hipError_tT0_T1_T2_jT3_P12ihipStream_tbPNSt15iterator_traitsISK_E10value_typeEPNSQ_ISL_E10value_typeEPSM_NS1_7vsmem_tEENKUlT_SK_SL_SM_E_clIPbSD_PiSF_EESJ_SZ_SK_SL_SM_EUlSZ_E_NS1_11comp_targetILNS1_3genE10ELNS1_11target_archE1201ELNS1_3gpuE5ELNS1_3repE0EEENS1_48merge_mergepath_partition_config_static_selectorELNS0_4arch9wavefront6targetE1EEEvSL_: ; @_ZN7rocprim17ROCPRIM_400000_NS6detail17trampoline_kernelINS0_14default_configENS1_38merge_sort_block_merge_config_selectorIbiEEZZNS1_27merge_sort_block_merge_implIS3_N6thrust23THRUST_200600_302600_NS6detail15normal_iteratorINS8_10device_ptrIbEEEENSA_INSB_IiEEEEjNS1_19radix_merge_compareILb1ELb0EbNS0_19identity_decomposerEEEEE10hipError_tT0_T1_T2_jT3_P12ihipStream_tbPNSt15iterator_traitsISK_E10value_typeEPNSQ_ISL_E10value_typeEPSM_NS1_7vsmem_tEENKUlT_SK_SL_SM_E_clIPbSD_PiSF_EESJ_SZ_SK_SL_SM_EUlSZ_E_NS1_11comp_targetILNS1_3genE10ELNS1_11target_archE1201ELNS1_3gpuE5ELNS1_3repE0EEENS1_48merge_mergepath_partition_config_static_selectorELNS0_4arch9wavefront6targetE1EEEvSL_
; %bb.0:
	.section	.rodata,"a",@progbits
	.p2align	6, 0x0
	.amdhsa_kernel _ZN7rocprim17ROCPRIM_400000_NS6detail17trampoline_kernelINS0_14default_configENS1_38merge_sort_block_merge_config_selectorIbiEEZZNS1_27merge_sort_block_merge_implIS3_N6thrust23THRUST_200600_302600_NS6detail15normal_iteratorINS8_10device_ptrIbEEEENSA_INSB_IiEEEEjNS1_19radix_merge_compareILb1ELb0EbNS0_19identity_decomposerEEEEE10hipError_tT0_T1_T2_jT3_P12ihipStream_tbPNSt15iterator_traitsISK_E10value_typeEPNSQ_ISL_E10value_typeEPSM_NS1_7vsmem_tEENKUlT_SK_SL_SM_E_clIPbSD_PiSF_EESJ_SZ_SK_SL_SM_EUlSZ_E_NS1_11comp_targetILNS1_3genE10ELNS1_11target_archE1201ELNS1_3gpuE5ELNS1_3repE0EEENS1_48merge_mergepath_partition_config_static_selectorELNS0_4arch9wavefront6targetE1EEEvSL_
		.amdhsa_group_segment_fixed_size 0
		.amdhsa_private_segment_fixed_size 0
		.amdhsa_kernarg_size 40
		.amdhsa_user_sgpr_count 2
		.amdhsa_user_sgpr_dispatch_ptr 0
		.amdhsa_user_sgpr_queue_ptr 0
		.amdhsa_user_sgpr_kernarg_segment_ptr 1
		.amdhsa_user_sgpr_dispatch_id 0
		.amdhsa_user_sgpr_kernarg_preload_length 0
		.amdhsa_user_sgpr_kernarg_preload_offset 0
		.amdhsa_user_sgpr_private_segment_size 0
		.amdhsa_uses_dynamic_stack 0
		.amdhsa_enable_private_segment 0
		.amdhsa_system_sgpr_workgroup_id_x 1
		.amdhsa_system_sgpr_workgroup_id_y 0
		.amdhsa_system_sgpr_workgroup_id_z 0
		.amdhsa_system_sgpr_workgroup_info 0
		.amdhsa_system_vgpr_workitem_id 0
		.amdhsa_next_free_vgpr 1
		.amdhsa_next_free_sgpr 0
		.amdhsa_accum_offset 4
		.amdhsa_reserve_vcc 0
		.amdhsa_float_round_mode_32 0
		.amdhsa_float_round_mode_16_64 0
		.amdhsa_float_denorm_mode_32 3
		.amdhsa_float_denorm_mode_16_64 3
		.amdhsa_dx10_clamp 1
		.amdhsa_ieee_mode 1
		.amdhsa_fp16_overflow 0
		.amdhsa_tg_split 0
		.amdhsa_exception_fp_ieee_invalid_op 0
		.amdhsa_exception_fp_denorm_src 0
		.amdhsa_exception_fp_ieee_div_zero 0
		.amdhsa_exception_fp_ieee_overflow 0
		.amdhsa_exception_fp_ieee_underflow 0
		.amdhsa_exception_fp_ieee_inexact 0
		.amdhsa_exception_int_div_zero 0
	.end_amdhsa_kernel
	.section	.text._ZN7rocprim17ROCPRIM_400000_NS6detail17trampoline_kernelINS0_14default_configENS1_38merge_sort_block_merge_config_selectorIbiEEZZNS1_27merge_sort_block_merge_implIS3_N6thrust23THRUST_200600_302600_NS6detail15normal_iteratorINS8_10device_ptrIbEEEENSA_INSB_IiEEEEjNS1_19radix_merge_compareILb1ELb0EbNS0_19identity_decomposerEEEEE10hipError_tT0_T1_T2_jT3_P12ihipStream_tbPNSt15iterator_traitsISK_E10value_typeEPNSQ_ISL_E10value_typeEPSM_NS1_7vsmem_tEENKUlT_SK_SL_SM_E_clIPbSD_PiSF_EESJ_SZ_SK_SL_SM_EUlSZ_E_NS1_11comp_targetILNS1_3genE10ELNS1_11target_archE1201ELNS1_3gpuE5ELNS1_3repE0EEENS1_48merge_mergepath_partition_config_static_selectorELNS0_4arch9wavefront6targetE1EEEvSL_,"axG",@progbits,_ZN7rocprim17ROCPRIM_400000_NS6detail17trampoline_kernelINS0_14default_configENS1_38merge_sort_block_merge_config_selectorIbiEEZZNS1_27merge_sort_block_merge_implIS3_N6thrust23THRUST_200600_302600_NS6detail15normal_iteratorINS8_10device_ptrIbEEEENSA_INSB_IiEEEEjNS1_19radix_merge_compareILb1ELb0EbNS0_19identity_decomposerEEEEE10hipError_tT0_T1_T2_jT3_P12ihipStream_tbPNSt15iterator_traitsISK_E10value_typeEPNSQ_ISL_E10value_typeEPSM_NS1_7vsmem_tEENKUlT_SK_SL_SM_E_clIPbSD_PiSF_EESJ_SZ_SK_SL_SM_EUlSZ_E_NS1_11comp_targetILNS1_3genE10ELNS1_11target_archE1201ELNS1_3gpuE5ELNS1_3repE0EEENS1_48merge_mergepath_partition_config_static_selectorELNS0_4arch9wavefront6targetE1EEEvSL_,comdat
.Lfunc_end2105:
	.size	_ZN7rocprim17ROCPRIM_400000_NS6detail17trampoline_kernelINS0_14default_configENS1_38merge_sort_block_merge_config_selectorIbiEEZZNS1_27merge_sort_block_merge_implIS3_N6thrust23THRUST_200600_302600_NS6detail15normal_iteratorINS8_10device_ptrIbEEEENSA_INSB_IiEEEEjNS1_19radix_merge_compareILb1ELb0EbNS0_19identity_decomposerEEEEE10hipError_tT0_T1_T2_jT3_P12ihipStream_tbPNSt15iterator_traitsISK_E10value_typeEPNSQ_ISL_E10value_typeEPSM_NS1_7vsmem_tEENKUlT_SK_SL_SM_E_clIPbSD_PiSF_EESJ_SZ_SK_SL_SM_EUlSZ_E_NS1_11comp_targetILNS1_3genE10ELNS1_11target_archE1201ELNS1_3gpuE5ELNS1_3repE0EEENS1_48merge_mergepath_partition_config_static_selectorELNS0_4arch9wavefront6targetE1EEEvSL_, .Lfunc_end2105-_ZN7rocprim17ROCPRIM_400000_NS6detail17trampoline_kernelINS0_14default_configENS1_38merge_sort_block_merge_config_selectorIbiEEZZNS1_27merge_sort_block_merge_implIS3_N6thrust23THRUST_200600_302600_NS6detail15normal_iteratorINS8_10device_ptrIbEEEENSA_INSB_IiEEEEjNS1_19radix_merge_compareILb1ELb0EbNS0_19identity_decomposerEEEEE10hipError_tT0_T1_T2_jT3_P12ihipStream_tbPNSt15iterator_traitsISK_E10value_typeEPNSQ_ISL_E10value_typeEPSM_NS1_7vsmem_tEENKUlT_SK_SL_SM_E_clIPbSD_PiSF_EESJ_SZ_SK_SL_SM_EUlSZ_E_NS1_11comp_targetILNS1_3genE10ELNS1_11target_archE1201ELNS1_3gpuE5ELNS1_3repE0EEENS1_48merge_mergepath_partition_config_static_selectorELNS0_4arch9wavefront6targetE1EEEvSL_
                                        ; -- End function
	.set _ZN7rocprim17ROCPRIM_400000_NS6detail17trampoline_kernelINS0_14default_configENS1_38merge_sort_block_merge_config_selectorIbiEEZZNS1_27merge_sort_block_merge_implIS3_N6thrust23THRUST_200600_302600_NS6detail15normal_iteratorINS8_10device_ptrIbEEEENSA_INSB_IiEEEEjNS1_19radix_merge_compareILb1ELb0EbNS0_19identity_decomposerEEEEE10hipError_tT0_T1_T2_jT3_P12ihipStream_tbPNSt15iterator_traitsISK_E10value_typeEPNSQ_ISL_E10value_typeEPSM_NS1_7vsmem_tEENKUlT_SK_SL_SM_E_clIPbSD_PiSF_EESJ_SZ_SK_SL_SM_EUlSZ_E_NS1_11comp_targetILNS1_3genE10ELNS1_11target_archE1201ELNS1_3gpuE5ELNS1_3repE0EEENS1_48merge_mergepath_partition_config_static_selectorELNS0_4arch9wavefront6targetE1EEEvSL_.num_vgpr, 0
	.set _ZN7rocprim17ROCPRIM_400000_NS6detail17trampoline_kernelINS0_14default_configENS1_38merge_sort_block_merge_config_selectorIbiEEZZNS1_27merge_sort_block_merge_implIS3_N6thrust23THRUST_200600_302600_NS6detail15normal_iteratorINS8_10device_ptrIbEEEENSA_INSB_IiEEEEjNS1_19radix_merge_compareILb1ELb0EbNS0_19identity_decomposerEEEEE10hipError_tT0_T1_T2_jT3_P12ihipStream_tbPNSt15iterator_traitsISK_E10value_typeEPNSQ_ISL_E10value_typeEPSM_NS1_7vsmem_tEENKUlT_SK_SL_SM_E_clIPbSD_PiSF_EESJ_SZ_SK_SL_SM_EUlSZ_E_NS1_11comp_targetILNS1_3genE10ELNS1_11target_archE1201ELNS1_3gpuE5ELNS1_3repE0EEENS1_48merge_mergepath_partition_config_static_selectorELNS0_4arch9wavefront6targetE1EEEvSL_.num_agpr, 0
	.set _ZN7rocprim17ROCPRIM_400000_NS6detail17trampoline_kernelINS0_14default_configENS1_38merge_sort_block_merge_config_selectorIbiEEZZNS1_27merge_sort_block_merge_implIS3_N6thrust23THRUST_200600_302600_NS6detail15normal_iteratorINS8_10device_ptrIbEEEENSA_INSB_IiEEEEjNS1_19radix_merge_compareILb1ELb0EbNS0_19identity_decomposerEEEEE10hipError_tT0_T1_T2_jT3_P12ihipStream_tbPNSt15iterator_traitsISK_E10value_typeEPNSQ_ISL_E10value_typeEPSM_NS1_7vsmem_tEENKUlT_SK_SL_SM_E_clIPbSD_PiSF_EESJ_SZ_SK_SL_SM_EUlSZ_E_NS1_11comp_targetILNS1_3genE10ELNS1_11target_archE1201ELNS1_3gpuE5ELNS1_3repE0EEENS1_48merge_mergepath_partition_config_static_selectorELNS0_4arch9wavefront6targetE1EEEvSL_.numbered_sgpr, 0
	.set _ZN7rocprim17ROCPRIM_400000_NS6detail17trampoline_kernelINS0_14default_configENS1_38merge_sort_block_merge_config_selectorIbiEEZZNS1_27merge_sort_block_merge_implIS3_N6thrust23THRUST_200600_302600_NS6detail15normal_iteratorINS8_10device_ptrIbEEEENSA_INSB_IiEEEEjNS1_19radix_merge_compareILb1ELb0EbNS0_19identity_decomposerEEEEE10hipError_tT0_T1_T2_jT3_P12ihipStream_tbPNSt15iterator_traitsISK_E10value_typeEPNSQ_ISL_E10value_typeEPSM_NS1_7vsmem_tEENKUlT_SK_SL_SM_E_clIPbSD_PiSF_EESJ_SZ_SK_SL_SM_EUlSZ_E_NS1_11comp_targetILNS1_3genE10ELNS1_11target_archE1201ELNS1_3gpuE5ELNS1_3repE0EEENS1_48merge_mergepath_partition_config_static_selectorELNS0_4arch9wavefront6targetE1EEEvSL_.num_named_barrier, 0
	.set _ZN7rocprim17ROCPRIM_400000_NS6detail17trampoline_kernelINS0_14default_configENS1_38merge_sort_block_merge_config_selectorIbiEEZZNS1_27merge_sort_block_merge_implIS3_N6thrust23THRUST_200600_302600_NS6detail15normal_iteratorINS8_10device_ptrIbEEEENSA_INSB_IiEEEEjNS1_19radix_merge_compareILb1ELb0EbNS0_19identity_decomposerEEEEE10hipError_tT0_T1_T2_jT3_P12ihipStream_tbPNSt15iterator_traitsISK_E10value_typeEPNSQ_ISL_E10value_typeEPSM_NS1_7vsmem_tEENKUlT_SK_SL_SM_E_clIPbSD_PiSF_EESJ_SZ_SK_SL_SM_EUlSZ_E_NS1_11comp_targetILNS1_3genE10ELNS1_11target_archE1201ELNS1_3gpuE5ELNS1_3repE0EEENS1_48merge_mergepath_partition_config_static_selectorELNS0_4arch9wavefront6targetE1EEEvSL_.private_seg_size, 0
	.set _ZN7rocprim17ROCPRIM_400000_NS6detail17trampoline_kernelINS0_14default_configENS1_38merge_sort_block_merge_config_selectorIbiEEZZNS1_27merge_sort_block_merge_implIS3_N6thrust23THRUST_200600_302600_NS6detail15normal_iteratorINS8_10device_ptrIbEEEENSA_INSB_IiEEEEjNS1_19radix_merge_compareILb1ELb0EbNS0_19identity_decomposerEEEEE10hipError_tT0_T1_T2_jT3_P12ihipStream_tbPNSt15iterator_traitsISK_E10value_typeEPNSQ_ISL_E10value_typeEPSM_NS1_7vsmem_tEENKUlT_SK_SL_SM_E_clIPbSD_PiSF_EESJ_SZ_SK_SL_SM_EUlSZ_E_NS1_11comp_targetILNS1_3genE10ELNS1_11target_archE1201ELNS1_3gpuE5ELNS1_3repE0EEENS1_48merge_mergepath_partition_config_static_selectorELNS0_4arch9wavefront6targetE1EEEvSL_.uses_vcc, 0
	.set _ZN7rocprim17ROCPRIM_400000_NS6detail17trampoline_kernelINS0_14default_configENS1_38merge_sort_block_merge_config_selectorIbiEEZZNS1_27merge_sort_block_merge_implIS3_N6thrust23THRUST_200600_302600_NS6detail15normal_iteratorINS8_10device_ptrIbEEEENSA_INSB_IiEEEEjNS1_19radix_merge_compareILb1ELb0EbNS0_19identity_decomposerEEEEE10hipError_tT0_T1_T2_jT3_P12ihipStream_tbPNSt15iterator_traitsISK_E10value_typeEPNSQ_ISL_E10value_typeEPSM_NS1_7vsmem_tEENKUlT_SK_SL_SM_E_clIPbSD_PiSF_EESJ_SZ_SK_SL_SM_EUlSZ_E_NS1_11comp_targetILNS1_3genE10ELNS1_11target_archE1201ELNS1_3gpuE5ELNS1_3repE0EEENS1_48merge_mergepath_partition_config_static_selectorELNS0_4arch9wavefront6targetE1EEEvSL_.uses_flat_scratch, 0
	.set _ZN7rocprim17ROCPRIM_400000_NS6detail17trampoline_kernelINS0_14default_configENS1_38merge_sort_block_merge_config_selectorIbiEEZZNS1_27merge_sort_block_merge_implIS3_N6thrust23THRUST_200600_302600_NS6detail15normal_iteratorINS8_10device_ptrIbEEEENSA_INSB_IiEEEEjNS1_19radix_merge_compareILb1ELb0EbNS0_19identity_decomposerEEEEE10hipError_tT0_T1_T2_jT3_P12ihipStream_tbPNSt15iterator_traitsISK_E10value_typeEPNSQ_ISL_E10value_typeEPSM_NS1_7vsmem_tEENKUlT_SK_SL_SM_E_clIPbSD_PiSF_EESJ_SZ_SK_SL_SM_EUlSZ_E_NS1_11comp_targetILNS1_3genE10ELNS1_11target_archE1201ELNS1_3gpuE5ELNS1_3repE0EEENS1_48merge_mergepath_partition_config_static_selectorELNS0_4arch9wavefront6targetE1EEEvSL_.has_dyn_sized_stack, 0
	.set _ZN7rocprim17ROCPRIM_400000_NS6detail17trampoline_kernelINS0_14default_configENS1_38merge_sort_block_merge_config_selectorIbiEEZZNS1_27merge_sort_block_merge_implIS3_N6thrust23THRUST_200600_302600_NS6detail15normal_iteratorINS8_10device_ptrIbEEEENSA_INSB_IiEEEEjNS1_19radix_merge_compareILb1ELb0EbNS0_19identity_decomposerEEEEE10hipError_tT0_T1_T2_jT3_P12ihipStream_tbPNSt15iterator_traitsISK_E10value_typeEPNSQ_ISL_E10value_typeEPSM_NS1_7vsmem_tEENKUlT_SK_SL_SM_E_clIPbSD_PiSF_EESJ_SZ_SK_SL_SM_EUlSZ_E_NS1_11comp_targetILNS1_3genE10ELNS1_11target_archE1201ELNS1_3gpuE5ELNS1_3repE0EEENS1_48merge_mergepath_partition_config_static_selectorELNS0_4arch9wavefront6targetE1EEEvSL_.has_recursion, 0
	.set _ZN7rocprim17ROCPRIM_400000_NS6detail17trampoline_kernelINS0_14default_configENS1_38merge_sort_block_merge_config_selectorIbiEEZZNS1_27merge_sort_block_merge_implIS3_N6thrust23THRUST_200600_302600_NS6detail15normal_iteratorINS8_10device_ptrIbEEEENSA_INSB_IiEEEEjNS1_19radix_merge_compareILb1ELb0EbNS0_19identity_decomposerEEEEE10hipError_tT0_T1_T2_jT3_P12ihipStream_tbPNSt15iterator_traitsISK_E10value_typeEPNSQ_ISL_E10value_typeEPSM_NS1_7vsmem_tEENKUlT_SK_SL_SM_E_clIPbSD_PiSF_EESJ_SZ_SK_SL_SM_EUlSZ_E_NS1_11comp_targetILNS1_3genE10ELNS1_11target_archE1201ELNS1_3gpuE5ELNS1_3repE0EEENS1_48merge_mergepath_partition_config_static_selectorELNS0_4arch9wavefront6targetE1EEEvSL_.has_indirect_call, 0
	.section	.AMDGPU.csdata,"",@progbits
; Kernel info:
; codeLenInByte = 0
; TotalNumSgprs: 6
; NumVgprs: 0
; NumAgprs: 0
; TotalNumVgprs: 0
; ScratchSize: 0
; MemoryBound: 0
; FloatMode: 240
; IeeeMode: 1
; LDSByteSize: 0 bytes/workgroup (compile time only)
; SGPRBlocks: 0
; VGPRBlocks: 0
; NumSGPRsForWavesPerEU: 6
; NumVGPRsForWavesPerEU: 1
; AccumOffset: 4
; Occupancy: 8
; WaveLimiterHint : 0
; COMPUTE_PGM_RSRC2:SCRATCH_EN: 0
; COMPUTE_PGM_RSRC2:USER_SGPR: 2
; COMPUTE_PGM_RSRC2:TRAP_HANDLER: 0
; COMPUTE_PGM_RSRC2:TGID_X_EN: 1
; COMPUTE_PGM_RSRC2:TGID_Y_EN: 0
; COMPUTE_PGM_RSRC2:TGID_Z_EN: 0
; COMPUTE_PGM_RSRC2:TIDIG_COMP_CNT: 0
; COMPUTE_PGM_RSRC3_GFX90A:ACCUM_OFFSET: 0
; COMPUTE_PGM_RSRC3_GFX90A:TG_SPLIT: 0
	.section	.text._ZN7rocprim17ROCPRIM_400000_NS6detail17trampoline_kernelINS0_14default_configENS1_38merge_sort_block_merge_config_selectorIbiEEZZNS1_27merge_sort_block_merge_implIS3_N6thrust23THRUST_200600_302600_NS6detail15normal_iteratorINS8_10device_ptrIbEEEENSA_INSB_IiEEEEjNS1_19radix_merge_compareILb1ELb0EbNS0_19identity_decomposerEEEEE10hipError_tT0_T1_T2_jT3_P12ihipStream_tbPNSt15iterator_traitsISK_E10value_typeEPNSQ_ISL_E10value_typeEPSM_NS1_7vsmem_tEENKUlT_SK_SL_SM_E_clIPbSD_PiSF_EESJ_SZ_SK_SL_SM_EUlSZ_E_NS1_11comp_targetILNS1_3genE5ELNS1_11target_archE942ELNS1_3gpuE9ELNS1_3repE0EEENS1_48merge_mergepath_partition_config_static_selectorELNS0_4arch9wavefront6targetE1EEEvSL_,"axG",@progbits,_ZN7rocprim17ROCPRIM_400000_NS6detail17trampoline_kernelINS0_14default_configENS1_38merge_sort_block_merge_config_selectorIbiEEZZNS1_27merge_sort_block_merge_implIS3_N6thrust23THRUST_200600_302600_NS6detail15normal_iteratorINS8_10device_ptrIbEEEENSA_INSB_IiEEEEjNS1_19radix_merge_compareILb1ELb0EbNS0_19identity_decomposerEEEEE10hipError_tT0_T1_T2_jT3_P12ihipStream_tbPNSt15iterator_traitsISK_E10value_typeEPNSQ_ISL_E10value_typeEPSM_NS1_7vsmem_tEENKUlT_SK_SL_SM_E_clIPbSD_PiSF_EESJ_SZ_SK_SL_SM_EUlSZ_E_NS1_11comp_targetILNS1_3genE5ELNS1_11target_archE942ELNS1_3gpuE9ELNS1_3repE0EEENS1_48merge_mergepath_partition_config_static_selectorELNS0_4arch9wavefront6targetE1EEEvSL_,comdat
	.protected	_ZN7rocprim17ROCPRIM_400000_NS6detail17trampoline_kernelINS0_14default_configENS1_38merge_sort_block_merge_config_selectorIbiEEZZNS1_27merge_sort_block_merge_implIS3_N6thrust23THRUST_200600_302600_NS6detail15normal_iteratorINS8_10device_ptrIbEEEENSA_INSB_IiEEEEjNS1_19radix_merge_compareILb1ELb0EbNS0_19identity_decomposerEEEEE10hipError_tT0_T1_T2_jT3_P12ihipStream_tbPNSt15iterator_traitsISK_E10value_typeEPNSQ_ISL_E10value_typeEPSM_NS1_7vsmem_tEENKUlT_SK_SL_SM_E_clIPbSD_PiSF_EESJ_SZ_SK_SL_SM_EUlSZ_E_NS1_11comp_targetILNS1_3genE5ELNS1_11target_archE942ELNS1_3gpuE9ELNS1_3repE0EEENS1_48merge_mergepath_partition_config_static_selectorELNS0_4arch9wavefront6targetE1EEEvSL_ ; -- Begin function _ZN7rocprim17ROCPRIM_400000_NS6detail17trampoline_kernelINS0_14default_configENS1_38merge_sort_block_merge_config_selectorIbiEEZZNS1_27merge_sort_block_merge_implIS3_N6thrust23THRUST_200600_302600_NS6detail15normal_iteratorINS8_10device_ptrIbEEEENSA_INSB_IiEEEEjNS1_19radix_merge_compareILb1ELb0EbNS0_19identity_decomposerEEEEE10hipError_tT0_T1_T2_jT3_P12ihipStream_tbPNSt15iterator_traitsISK_E10value_typeEPNSQ_ISL_E10value_typeEPSM_NS1_7vsmem_tEENKUlT_SK_SL_SM_E_clIPbSD_PiSF_EESJ_SZ_SK_SL_SM_EUlSZ_E_NS1_11comp_targetILNS1_3genE5ELNS1_11target_archE942ELNS1_3gpuE9ELNS1_3repE0EEENS1_48merge_mergepath_partition_config_static_selectorELNS0_4arch9wavefront6targetE1EEEvSL_
	.globl	_ZN7rocprim17ROCPRIM_400000_NS6detail17trampoline_kernelINS0_14default_configENS1_38merge_sort_block_merge_config_selectorIbiEEZZNS1_27merge_sort_block_merge_implIS3_N6thrust23THRUST_200600_302600_NS6detail15normal_iteratorINS8_10device_ptrIbEEEENSA_INSB_IiEEEEjNS1_19radix_merge_compareILb1ELb0EbNS0_19identity_decomposerEEEEE10hipError_tT0_T1_T2_jT3_P12ihipStream_tbPNSt15iterator_traitsISK_E10value_typeEPNSQ_ISL_E10value_typeEPSM_NS1_7vsmem_tEENKUlT_SK_SL_SM_E_clIPbSD_PiSF_EESJ_SZ_SK_SL_SM_EUlSZ_E_NS1_11comp_targetILNS1_3genE5ELNS1_11target_archE942ELNS1_3gpuE9ELNS1_3repE0EEENS1_48merge_mergepath_partition_config_static_selectorELNS0_4arch9wavefront6targetE1EEEvSL_
	.p2align	8
	.type	_ZN7rocprim17ROCPRIM_400000_NS6detail17trampoline_kernelINS0_14default_configENS1_38merge_sort_block_merge_config_selectorIbiEEZZNS1_27merge_sort_block_merge_implIS3_N6thrust23THRUST_200600_302600_NS6detail15normal_iteratorINS8_10device_ptrIbEEEENSA_INSB_IiEEEEjNS1_19radix_merge_compareILb1ELb0EbNS0_19identity_decomposerEEEEE10hipError_tT0_T1_T2_jT3_P12ihipStream_tbPNSt15iterator_traitsISK_E10value_typeEPNSQ_ISL_E10value_typeEPSM_NS1_7vsmem_tEENKUlT_SK_SL_SM_E_clIPbSD_PiSF_EESJ_SZ_SK_SL_SM_EUlSZ_E_NS1_11comp_targetILNS1_3genE5ELNS1_11target_archE942ELNS1_3gpuE9ELNS1_3repE0EEENS1_48merge_mergepath_partition_config_static_selectorELNS0_4arch9wavefront6targetE1EEEvSL_,@function
_ZN7rocprim17ROCPRIM_400000_NS6detail17trampoline_kernelINS0_14default_configENS1_38merge_sort_block_merge_config_selectorIbiEEZZNS1_27merge_sort_block_merge_implIS3_N6thrust23THRUST_200600_302600_NS6detail15normal_iteratorINS8_10device_ptrIbEEEENSA_INSB_IiEEEEjNS1_19radix_merge_compareILb1ELb0EbNS0_19identity_decomposerEEEEE10hipError_tT0_T1_T2_jT3_P12ihipStream_tbPNSt15iterator_traitsISK_E10value_typeEPNSQ_ISL_E10value_typeEPSM_NS1_7vsmem_tEENKUlT_SK_SL_SM_E_clIPbSD_PiSF_EESJ_SZ_SK_SL_SM_EUlSZ_E_NS1_11comp_targetILNS1_3genE5ELNS1_11target_archE942ELNS1_3gpuE9ELNS1_3repE0EEENS1_48merge_mergepath_partition_config_static_selectorELNS0_4arch9wavefront6targetE1EEEvSL_: ; @_ZN7rocprim17ROCPRIM_400000_NS6detail17trampoline_kernelINS0_14default_configENS1_38merge_sort_block_merge_config_selectorIbiEEZZNS1_27merge_sort_block_merge_implIS3_N6thrust23THRUST_200600_302600_NS6detail15normal_iteratorINS8_10device_ptrIbEEEENSA_INSB_IiEEEEjNS1_19radix_merge_compareILb1ELb0EbNS0_19identity_decomposerEEEEE10hipError_tT0_T1_T2_jT3_P12ihipStream_tbPNSt15iterator_traitsISK_E10value_typeEPNSQ_ISL_E10value_typeEPSM_NS1_7vsmem_tEENKUlT_SK_SL_SM_E_clIPbSD_PiSF_EESJ_SZ_SK_SL_SM_EUlSZ_E_NS1_11comp_targetILNS1_3genE5ELNS1_11target_archE942ELNS1_3gpuE9ELNS1_3repE0EEENS1_48merge_mergepath_partition_config_static_selectorELNS0_4arch9wavefront6targetE1EEEvSL_
; %bb.0:
	.section	.rodata,"a",@progbits
	.p2align	6, 0x0
	.amdhsa_kernel _ZN7rocprim17ROCPRIM_400000_NS6detail17trampoline_kernelINS0_14default_configENS1_38merge_sort_block_merge_config_selectorIbiEEZZNS1_27merge_sort_block_merge_implIS3_N6thrust23THRUST_200600_302600_NS6detail15normal_iteratorINS8_10device_ptrIbEEEENSA_INSB_IiEEEEjNS1_19radix_merge_compareILb1ELb0EbNS0_19identity_decomposerEEEEE10hipError_tT0_T1_T2_jT3_P12ihipStream_tbPNSt15iterator_traitsISK_E10value_typeEPNSQ_ISL_E10value_typeEPSM_NS1_7vsmem_tEENKUlT_SK_SL_SM_E_clIPbSD_PiSF_EESJ_SZ_SK_SL_SM_EUlSZ_E_NS1_11comp_targetILNS1_3genE5ELNS1_11target_archE942ELNS1_3gpuE9ELNS1_3repE0EEENS1_48merge_mergepath_partition_config_static_selectorELNS0_4arch9wavefront6targetE1EEEvSL_
		.amdhsa_group_segment_fixed_size 0
		.amdhsa_private_segment_fixed_size 0
		.amdhsa_kernarg_size 40
		.amdhsa_user_sgpr_count 2
		.amdhsa_user_sgpr_dispatch_ptr 0
		.amdhsa_user_sgpr_queue_ptr 0
		.amdhsa_user_sgpr_kernarg_segment_ptr 1
		.amdhsa_user_sgpr_dispatch_id 0
		.amdhsa_user_sgpr_kernarg_preload_length 0
		.amdhsa_user_sgpr_kernarg_preload_offset 0
		.amdhsa_user_sgpr_private_segment_size 0
		.amdhsa_uses_dynamic_stack 0
		.amdhsa_enable_private_segment 0
		.amdhsa_system_sgpr_workgroup_id_x 1
		.amdhsa_system_sgpr_workgroup_id_y 0
		.amdhsa_system_sgpr_workgroup_id_z 0
		.amdhsa_system_sgpr_workgroup_info 0
		.amdhsa_system_vgpr_workitem_id 0
		.amdhsa_next_free_vgpr 1
		.amdhsa_next_free_sgpr 0
		.amdhsa_accum_offset 4
		.amdhsa_reserve_vcc 0
		.amdhsa_float_round_mode_32 0
		.amdhsa_float_round_mode_16_64 0
		.amdhsa_float_denorm_mode_32 3
		.amdhsa_float_denorm_mode_16_64 3
		.amdhsa_dx10_clamp 1
		.amdhsa_ieee_mode 1
		.amdhsa_fp16_overflow 0
		.amdhsa_tg_split 0
		.amdhsa_exception_fp_ieee_invalid_op 0
		.amdhsa_exception_fp_denorm_src 0
		.amdhsa_exception_fp_ieee_div_zero 0
		.amdhsa_exception_fp_ieee_overflow 0
		.amdhsa_exception_fp_ieee_underflow 0
		.amdhsa_exception_fp_ieee_inexact 0
		.amdhsa_exception_int_div_zero 0
	.end_amdhsa_kernel
	.section	.text._ZN7rocprim17ROCPRIM_400000_NS6detail17trampoline_kernelINS0_14default_configENS1_38merge_sort_block_merge_config_selectorIbiEEZZNS1_27merge_sort_block_merge_implIS3_N6thrust23THRUST_200600_302600_NS6detail15normal_iteratorINS8_10device_ptrIbEEEENSA_INSB_IiEEEEjNS1_19radix_merge_compareILb1ELb0EbNS0_19identity_decomposerEEEEE10hipError_tT0_T1_T2_jT3_P12ihipStream_tbPNSt15iterator_traitsISK_E10value_typeEPNSQ_ISL_E10value_typeEPSM_NS1_7vsmem_tEENKUlT_SK_SL_SM_E_clIPbSD_PiSF_EESJ_SZ_SK_SL_SM_EUlSZ_E_NS1_11comp_targetILNS1_3genE5ELNS1_11target_archE942ELNS1_3gpuE9ELNS1_3repE0EEENS1_48merge_mergepath_partition_config_static_selectorELNS0_4arch9wavefront6targetE1EEEvSL_,"axG",@progbits,_ZN7rocprim17ROCPRIM_400000_NS6detail17trampoline_kernelINS0_14default_configENS1_38merge_sort_block_merge_config_selectorIbiEEZZNS1_27merge_sort_block_merge_implIS3_N6thrust23THRUST_200600_302600_NS6detail15normal_iteratorINS8_10device_ptrIbEEEENSA_INSB_IiEEEEjNS1_19radix_merge_compareILb1ELb0EbNS0_19identity_decomposerEEEEE10hipError_tT0_T1_T2_jT3_P12ihipStream_tbPNSt15iterator_traitsISK_E10value_typeEPNSQ_ISL_E10value_typeEPSM_NS1_7vsmem_tEENKUlT_SK_SL_SM_E_clIPbSD_PiSF_EESJ_SZ_SK_SL_SM_EUlSZ_E_NS1_11comp_targetILNS1_3genE5ELNS1_11target_archE942ELNS1_3gpuE9ELNS1_3repE0EEENS1_48merge_mergepath_partition_config_static_selectorELNS0_4arch9wavefront6targetE1EEEvSL_,comdat
.Lfunc_end2106:
	.size	_ZN7rocprim17ROCPRIM_400000_NS6detail17trampoline_kernelINS0_14default_configENS1_38merge_sort_block_merge_config_selectorIbiEEZZNS1_27merge_sort_block_merge_implIS3_N6thrust23THRUST_200600_302600_NS6detail15normal_iteratorINS8_10device_ptrIbEEEENSA_INSB_IiEEEEjNS1_19radix_merge_compareILb1ELb0EbNS0_19identity_decomposerEEEEE10hipError_tT0_T1_T2_jT3_P12ihipStream_tbPNSt15iterator_traitsISK_E10value_typeEPNSQ_ISL_E10value_typeEPSM_NS1_7vsmem_tEENKUlT_SK_SL_SM_E_clIPbSD_PiSF_EESJ_SZ_SK_SL_SM_EUlSZ_E_NS1_11comp_targetILNS1_3genE5ELNS1_11target_archE942ELNS1_3gpuE9ELNS1_3repE0EEENS1_48merge_mergepath_partition_config_static_selectorELNS0_4arch9wavefront6targetE1EEEvSL_, .Lfunc_end2106-_ZN7rocprim17ROCPRIM_400000_NS6detail17trampoline_kernelINS0_14default_configENS1_38merge_sort_block_merge_config_selectorIbiEEZZNS1_27merge_sort_block_merge_implIS3_N6thrust23THRUST_200600_302600_NS6detail15normal_iteratorINS8_10device_ptrIbEEEENSA_INSB_IiEEEEjNS1_19radix_merge_compareILb1ELb0EbNS0_19identity_decomposerEEEEE10hipError_tT0_T1_T2_jT3_P12ihipStream_tbPNSt15iterator_traitsISK_E10value_typeEPNSQ_ISL_E10value_typeEPSM_NS1_7vsmem_tEENKUlT_SK_SL_SM_E_clIPbSD_PiSF_EESJ_SZ_SK_SL_SM_EUlSZ_E_NS1_11comp_targetILNS1_3genE5ELNS1_11target_archE942ELNS1_3gpuE9ELNS1_3repE0EEENS1_48merge_mergepath_partition_config_static_selectorELNS0_4arch9wavefront6targetE1EEEvSL_
                                        ; -- End function
	.set _ZN7rocprim17ROCPRIM_400000_NS6detail17trampoline_kernelINS0_14default_configENS1_38merge_sort_block_merge_config_selectorIbiEEZZNS1_27merge_sort_block_merge_implIS3_N6thrust23THRUST_200600_302600_NS6detail15normal_iteratorINS8_10device_ptrIbEEEENSA_INSB_IiEEEEjNS1_19radix_merge_compareILb1ELb0EbNS0_19identity_decomposerEEEEE10hipError_tT0_T1_T2_jT3_P12ihipStream_tbPNSt15iterator_traitsISK_E10value_typeEPNSQ_ISL_E10value_typeEPSM_NS1_7vsmem_tEENKUlT_SK_SL_SM_E_clIPbSD_PiSF_EESJ_SZ_SK_SL_SM_EUlSZ_E_NS1_11comp_targetILNS1_3genE5ELNS1_11target_archE942ELNS1_3gpuE9ELNS1_3repE0EEENS1_48merge_mergepath_partition_config_static_selectorELNS0_4arch9wavefront6targetE1EEEvSL_.num_vgpr, 0
	.set _ZN7rocprim17ROCPRIM_400000_NS6detail17trampoline_kernelINS0_14default_configENS1_38merge_sort_block_merge_config_selectorIbiEEZZNS1_27merge_sort_block_merge_implIS3_N6thrust23THRUST_200600_302600_NS6detail15normal_iteratorINS8_10device_ptrIbEEEENSA_INSB_IiEEEEjNS1_19radix_merge_compareILb1ELb0EbNS0_19identity_decomposerEEEEE10hipError_tT0_T1_T2_jT3_P12ihipStream_tbPNSt15iterator_traitsISK_E10value_typeEPNSQ_ISL_E10value_typeEPSM_NS1_7vsmem_tEENKUlT_SK_SL_SM_E_clIPbSD_PiSF_EESJ_SZ_SK_SL_SM_EUlSZ_E_NS1_11comp_targetILNS1_3genE5ELNS1_11target_archE942ELNS1_3gpuE9ELNS1_3repE0EEENS1_48merge_mergepath_partition_config_static_selectorELNS0_4arch9wavefront6targetE1EEEvSL_.num_agpr, 0
	.set _ZN7rocprim17ROCPRIM_400000_NS6detail17trampoline_kernelINS0_14default_configENS1_38merge_sort_block_merge_config_selectorIbiEEZZNS1_27merge_sort_block_merge_implIS3_N6thrust23THRUST_200600_302600_NS6detail15normal_iteratorINS8_10device_ptrIbEEEENSA_INSB_IiEEEEjNS1_19radix_merge_compareILb1ELb0EbNS0_19identity_decomposerEEEEE10hipError_tT0_T1_T2_jT3_P12ihipStream_tbPNSt15iterator_traitsISK_E10value_typeEPNSQ_ISL_E10value_typeEPSM_NS1_7vsmem_tEENKUlT_SK_SL_SM_E_clIPbSD_PiSF_EESJ_SZ_SK_SL_SM_EUlSZ_E_NS1_11comp_targetILNS1_3genE5ELNS1_11target_archE942ELNS1_3gpuE9ELNS1_3repE0EEENS1_48merge_mergepath_partition_config_static_selectorELNS0_4arch9wavefront6targetE1EEEvSL_.numbered_sgpr, 0
	.set _ZN7rocprim17ROCPRIM_400000_NS6detail17trampoline_kernelINS0_14default_configENS1_38merge_sort_block_merge_config_selectorIbiEEZZNS1_27merge_sort_block_merge_implIS3_N6thrust23THRUST_200600_302600_NS6detail15normal_iteratorINS8_10device_ptrIbEEEENSA_INSB_IiEEEEjNS1_19radix_merge_compareILb1ELb0EbNS0_19identity_decomposerEEEEE10hipError_tT0_T1_T2_jT3_P12ihipStream_tbPNSt15iterator_traitsISK_E10value_typeEPNSQ_ISL_E10value_typeEPSM_NS1_7vsmem_tEENKUlT_SK_SL_SM_E_clIPbSD_PiSF_EESJ_SZ_SK_SL_SM_EUlSZ_E_NS1_11comp_targetILNS1_3genE5ELNS1_11target_archE942ELNS1_3gpuE9ELNS1_3repE0EEENS1_48merge_mergepath_partition_config_static_selectorELNS0_4arch9wavefront6targetE1EEEvSL_.num_named_barrier, 0
	.set _ZN7rocprim17ROCPRIM_400000_NS6detail17trampoline_kernelINS0_14default_configENS1_38merge_sort_block_merge_config_selectorIbiEEZZNS1_27merge_sort_block_merge_implIS3_N6thrust23THRUST_200600_302600_NS6detail15normal_iteratorINS8_10device_ptrIbEEEENSA_INSB_IiEEEEjNS1_19radix_merge_compareILb1ELb0EbNS0_19identity_decomposerEEEEE10hipError_tT0_T1_T2_jT3_P12ihipStream_tbPNSt15iterator_traitsISK_E10value_typeEPNSQ_ISL_E10value_typeEPSM_NS1_7vsmem_tEENKUlT_SK_SL_SM_E_clIPbSD_PiSF_EESJ_SZ_SK_SL_SM_EUlSZ_E_NS1_11comp_targetILNS1_3genE5ELNS1_11target_archE942ELNS1_3gpuE9ELNS1_3repE0EEENS1_48merge_mergepath_partition_config_static_selectorELNS0_4arch9wavefront6targetE1EEEvSL_.private_seg_size, 0
	.set _ZN7rocprim17ROCPRIM_400000_NS6detail17trampoline_kernelINS0_14default_configENS1_38merge_sort_block_merge_config_selectorIbiEEZZNS1_27merge_sort_block_merge_implIS3_N6thrust23THRUST_200600_302600_NS6detail15normal_iteratorINS8_10device_ptrIbEEEENSA_INSB_IiEEEEjNS1_19radix_merge_compareILb1ELb0EbNS0_19identity_decomposerEEEEE10hipError_tT0_T1_T2_jT3_P12ihipStream_tbPNSt15iterator_traitsISK_E10value_typeEPNSQ_ISL_E10value_typeEPSM_NS1_7vsmem_tEENKUlT_SK_SL_SM_E_clIPbSD_PiSF_EESJ_SZ_SK_SL_SM_EUlSZ_E_NS1_11comp_targetILNS1_3genE5ELNS1_11target_archE942ELNS1_3gpuE9ELNS1_3repE0EEENS1_48merge_mergepath_partition_config_static_selectorELNS0_4arch9wavefront6targetE1EEEvSL_.uses_vcc, 0
	.set _ZN7rocprim17ROCPRIM_400000_NS6detail17trampoline_kernelINS0_14default_configENS1_38merge_sort_block_merge_config_selectorIbiEEZZNS1_27merge_sort_block_merge_implIS3_N6thrust23THRUST_200600_302600_NS6detail15normal_iteratorINS8_10device_ptrIbEEEENSA_INSB_IiEEEEjNS1_19radix_merge_compareILb1ELb0EbNS0_19identity_decomposerEEEEE10hipError_tT0_T1_T2_jT3_P12ihipStream_tbPNSt15iterator_traitsISK_E10value_typeEPNSQ_ISL_E10value_typeEPSM_NS1_7vsmem_tEENKUlT_SK_SL_SM_E_clIPbSD_PiSF_EESJ_SZ_SK_SL_SM_EUlSZ_E_NS1_11comp_targetILNS1_3genE5ELNS1_11target_archE942ELNS1_3gpuE9ELNS1_3repE0EEENS1_48merge_mergepath_partition_config_static_selectorELNS0_4arch9wavefront6targetE1EEEvSL_.uses_flat_scratch, 0
	.set _ZN7rocprim17ROCPRIM_400000_NS6detail17trampoline_kernelINS0_14default_configENS1_38merge_sort_block_merge_config_selectorIbiEEZZNS1_27merge_sort_block_merge_implIS3_N6thrust23THRUST_200600_302600_NS6detail15normal_iteratorINS8_10device_ptrIbEEEENSA_INSB_IiEEEEjNS1_19radix_merge_compareILb1ELb0EbNS0_19identity_decomposerEEEEE10hipError_tT0_T1_T2_jT3_P12ihipStream_tbPNSt15iterator_traitsISK_E10value_typeEPNSQ_ISL_E10value_typeEPSM_NS1_7vsmem_tEENKUlT_SK_SL_SM_E_clIPbSD_PiSF_EESJ_SZ_SK_SL_SM_EUlSZ_E_NS1_11comp_targetILNS1_3genE5ELNS1_11target_archE942ELNS1_3gpuE9ELNS1_3repE0EEENS1_48merge_mergepath_partition_config_static_selectorELNS0_4arch9wavefront6targetE1EEEvSL_.has_dyn_sized_stack, 0
	.set _ZN7rocprim17ROCPRIM_400000_NS6detail17trampoline_kernelINS0_14default_configENS1_38merge_sort_block_merge_config_selectorIbiEEZZNS1_27merge_sort_block_merge_implIS3_N6thrust23THRUST_200600_302600_NS6detail15normal_iteratorINS8_10device_ptrIbEEEENSA_INSB_IiEEEEjNS1_19radix_merge_compareILb1ELb0EbNS0_19identity_decomposerEEEEE10hipError_tT0_T1_T2_jT3_P12ihipStream_tbPNSt15iterator_traitsISK_E10value_typeEPNSQ_ISL_E10value_typeEPSM_NS1_7vsmem_tEENKUlT_SK_SL_SM_E_clIPbSD_PiSF_EESJ_SZ_SK_SL_SM_EUlSZ_E_NS1_11comp_targetILNS1_3genE5ELNS1_11target_archE942ELNS1_3gpuE9ELNS1_3repE0EEENS1_48merge_mergepath_partition_config_static_selectorELNS0_4arch9wavefront6targetE1EEEvSL_.has_recursion, 0
	.set _ZN7rocprim17ROCPRIM_400000_NS6detail17trampoline_kernelINS0_14default_configENS1_38merge_sort_block_merge_config_selectorIbiEEZZNS1_27merge_sort_block_merge_implIS3_N6thrust23THRUST_200600_302600_NS6detail15normal_iteratorINS8_10device_ptrIbEEEENSA_INSB_IiEEEEjNS1_19radix_merge_compareILb1ELb0EbNS0_19identity_decomposerEEEEE10hipError_tT0_T1_T2_jT3_P12ihipStream_tbPNSt15iterator_traitsISK_E10value_typeEPNSQ_ISL_E10value_typeEPSM_NS1_7vsmem_tEENKUlT_SK_SL_SM_E_clIPbSD_PiSF_EESJ_SZ_SK_SL_SM_EUlSZ_E_NS1_11comp_targetILNS1_3genE5ELNS1_11target_archE942ELNS1_3gpuE9ELNS1_3repE0EEENS1_48merge_mergepath_partition_config_static_selectorELNS0_4arch9wavefront6targetE1EEEvSL_.has_indirect_call, 0
	.section	.AMDGPU.csdata,"",@progbits
; Kernel info:
; codeLenInByte = 0
; TotalNumSgprs: 6
; NumVgprs: 0
; NumAgprs: 0
; TotalNumVgprs: 0
; ScratchSize: 0
; MemoryBound: 0
; FloatMode: 240
; IeeeMode: 1
; LDSByteSize: 0 bytes/workgroup (compile time only)
; SGPRBlocks: 0
; VGPRBlocks: 0
; NumSGPRsForWavesPerEU: 6
; NumVGPRsForWavesPerEU: 1
; AccumOffset: 4
; Occupancy: 8
; WaveLimiterHint : 0
; COMPUTE_PGM_RSRC2:SCRATCH_EN: 0
; COMPUTE_PGM_RSRC2:USER_SGPR: 2
; COMPUTE_PGM_RSRC2:TRAP_HANDLER: 0
; COMPUTE_PGM_RSRC2:TGID_X_EN: 1
; COMPUTE_PGM_RSRC2:TGID_Y_EN: 0
; COMPUTE_PGM_RSRC2:TGID_Z_EN: 0
; COMPUTE_PGM_RSRC2:TIDIG_COMP_CNT: 0
; COMPUTE_PGM_RSRC3_GFX90A:ACCUM_OFFSET: 0
; COMPUTE_PGM_RSRC3_GFX90A:TG_SPLIT: 0
	.section	.text._ZN7rocprim17ROCPRIM_400000_NS6detail17trampoline_kernelINS0_14default_configENS1_38merge_sort_block_merge_config_selectorIbiEEZZNS1_27merge_sort_block_merge_implIS3_N6thrust23THRUST_200600_302600_NS6detail15normal_iteratorINS8_10device_ptrIbEEEENSA_INSB_IiEEEEjNS1_19radix_merge_compareILb1ELb0EbNS0_19identity_decomposerEEEEE10hipError_tT0_T1_T2_jT3_P12ihipStream_tbPNSt15iterator_traitsISK_E10value_typeEPNSQ_ISL_E10value_typeEPSM_NS1_7vsmem_tEENKUlT_SK_SL_SM_E_clIPbSD_PiSF_EESJ_SZ_SK_SL_SM_EUlSZ_E_NS1_11comp_targetILNS1_3genE4ELNS1_11target_archE910ELNS1_3gpuE8ELNS1_3repE0EEENS1_48merge_mergepath_partition_config_static_selectorELNS0_4arch9wavefront6targetE1EEEvSL_,"axG",@progbits,_ZN7rocprim17ROCPRIM_400000_NS6detail17trampoline_kernelINS0_14default_configENS1_38merge_sort_block_merge_config_selectorIbiEEZZNS1_27merge_sort_block_merge_implIS3_N6thrust23THRUST_200600_302600_NS6detail15normal_iteratorINS8_10device_ptrIbEEEENSA_INSB_IiEEEEjNS1_19radix_merge_compareILb1ELb0EbNS0_19identity_decomposerEEEEE10hipError_tT0_T1_T2_jT3_P12ihipStream_tbPNSt15iterator_traitsISK_E10value_typeEPNSQ_ISL_E10value_typeEPSM_NS1_7vsmem_tEENKUlT_SK_SL_SM_E_clIPbSD_PiSF_EESJ_SZ_SK_SL_SM_EUlSZ_E_NS1_11comp_targetILNS1_3genE4ELNS1_11target_archE910ELNS1_3gpuE8ELNS1_3repE0EEENS1_48merge_mergepath_partition_config_static_selectorELNS0_4arch9wavefront6targetE1EEEvSL_,comdat
	.protected	_ZN7rocprim17ROCPRIM_400000_NS6detail17trampoline_kernelINS0_14default_configENS1_38merge_sort_block_merge_config_selectorIbiEEZZNS1_27merge_sort_block_merge_implIS3_N6thrust23THRUST_200600_302600_NS6detail15normal_iteratorINS8_10device_ptrIbEEEENSA_INSB_IiEEEEjNS1_19radix_merge_compareILb1ELb0EbNS0_19identity_decomposerEEEEE10hipError_tT0_T1_T2_jT3_P12ihipStream_tbPNSt15iterator_traitsISK_E10value_typeEPNSQ_ISL_E10value_typeEPSM_NS1_7vsmem_tEENKUlT_SK_SL_SM_E_clIPbSD_PiSF_EESJ_SZ_SK_SL_SM_EUlSZ_E_NS1_11comp_targetILNS1_3genE4ELNS1_11target_archE910ELNS1_3gpuE8ELNS1_3repE0EEENS1_48merge_mergepath_partition_config_static_selectorELNS0_4arch9wavefront6targetE1EEEvSL_ ; -- Begin function _ZN7rocprim17ROCPRIM_400000_NS6detail17trampoline_kernelINS0_14default_configENS1_38merge_sort_block_merge_config_selectorIbiEEZZNS1_27merge_sort_block_merge_implIS3_N6thrust23THRUST_200600_302600_NS6detail15normal_iteratorINS8_10device_ptrIbEEEENSA_INSB_IiEEEEjNS1_19radix_merge_compareILb1ELb0EbNS0_19identity_decomposerEEEEE10hipError_tT0_T1_T2_jT3_P12ihipStream_tbPNSt15iterator_traitsISK_E10value_typeEPNSQ_ISL_E10value_typeEPSM_NS1_7vsmem_tEENKUlT_SK_SL_SM_E_clIPbSD_PiSF_EESJ_SZ_SK_SL_SM_EUlSZ_E_NS1_11comp_targetILNS1_3genE4ELNS1_11target_archE910ELNS1_3gpuE8ELNS1_3repE0EEENS1_48merge_mergepath_partition_config_static_selectorELNS0_4arch9wavefront6targetE1EEEvSL_
	.globl	_ZN7rocprim17ROCPRIM_400000_NS6detail17trampoline_kernelINS0_14default_configENS1_38merge_sort_block_merge_config_selectorIbiEEZZNS1_27merge_sort_block_merge_implIS3_N6thrust23THRUST_200600_302600_NS6detail15normal_iteratorINS8_10device_ptrIbEEEENSA_INSB_IiEEEEjNS1_19radix_merge_compareILb1ELb0EbNS0_19identity_decomposerEEEEE10hipError_tT0_T1_T2_jT3_P12ihipStream_tbPNSt15iterator_traitsISK_E10value_typeEPNSQ_ISL_E10value_typeEPSM_NS1_7vsmem_tEENKUlT_SK_SL_SM_E_clIPbSD_PiSF_EESJ_SZ_SK_SL_SM_EUlSZ_E_NS1_11comp_targetILNS1_3genE4ELNS1_11target_archE910ELNS1_3gpuE8ELNS1_3repE0EEENS1_48merge_mergepath_partition_config_static_selectorELNS0_4arch9wavefront6targetE1EEEvSL_
	.p2align	8
	.type	_ZN7rocprim17ROCPRIM_400000_NS6detail17trampoline_kernelINS0_14default_configENS1_38merge_sort_block_merge_config_selectorIbiEEZZNS1_27merge_sort_block_merge_implIS3_N6thrust23THRUST_200600_302600_NS6detail15normal_iteratorINS8_10device_ptrIbEEEENSA_INSB_IiEEEEjNS1_19radix_merge_compareILb1ELb0EbNS0_19identity_decomposerEEEEE10hipError_tT0_T1_T2_jT3_P12ihipStream_tbPNSt15iterator_traitsISK_E10value_typeEPNSQ_ISL_E10value_typeEPSM_NS1_7vsmem_tEENKUlT_SK_SL_SM_E_clIPbSD_PiSF_EESJ_SZ_SK_SL_SM_EUlSZ_E_NS1_11comp_targetILNS1_3genE4ELNS1_11target_archE910ELNS1_3gpuE8ELNS1_3repE0EEENS1_48merge_mergepath_partition_config_static_selectorELNS0_4arch9wavefront6targetE1EEEvSL_,@function
_ZN7rocprim17ROCPRIM_400000_NS6detail17trampoline_kernelINS0_14default_configENS1_38merge_sort_block_merge_config_selectorIbiEEZZNS1_27merge_sort_block_merge_implIS3_N6thrust23THRUST_200600_302600_NS6detail15normal_iteratorINS8_10device_ptrIbEEEENSA_INSB_IiEEEEjNS1_19radix_merge_compareILb1ELb0EbNS0_19identity_decomposerEEEEE10hipError_tT0_T1_T2_jT3_P12ihipStream_tbPNSt15iterator_traitsISK_E10value_typeEPNSQ_ISL_E10value_typeEPSM_NS1_7vsmem_tEENKUlT_SK_SL_SM_E_clIPbSD_PiSF_EESJ_SZ_SK_SL_SM_EUlSZ_E_NS1_11comp_targetILNS1_3genE4ELNS1_11target_archE910ELNS1_3gpuE8ELNS1_3repE0EEENS1_48merge_mergepath_partition_config_static_selectorELNS0_4arch9wavefront6targetE1EEEvSL_: ; @_ZN7rocprim17ROCPRIM_400000_NS6detail17trampoline_kernelINS0_14default_configENS1_38merge_sort_block_merge_config_selectorIbiEEZZNS1_27merge_sort_block_merge_implIS3_N6thrust23THRUST_200600_302600_NS6detail15normal_iteratorINS8_10device_ptrIbEEEENSA_INSB_IiEEEEjNS1_19radix_merge_compareILb1ELb0EbNS0_19identity_decomposerEEEEE10hipError_tT0_T1_T2_jT3_P12ihipStream_tbPNSt15iterator_traitsISK_E10value_typeEPNSQ_ISL_E10value_typeEPSM_NS1_7vsmem_tEENKUlT_SK_SL_SM_E_clIPbSD_PiSF_EESJ_SZ_SK_SL_SM_EUlSZ_E_NS1_11comp_targetILNS1_3genE4ELNS1_11target_archE910ELNS1_3gpuE8ELNS1_3repE0EEENS1_48merge_mergepath_partition_config_static_selectorELNS0_4arch9wavefront6targetE1EEEvSL_
; %bb.0:
	.section	.rodata,"a",@progbits
	.p2align	6, 0x0
	.amdhsa_kernel _ZN7rocprim17ROCPRIM_400000_NS6detail17trampoline_kernelINS0_14default_configENS1_38merge_sort_block_merge_config_selectorIbiEEZZNS1_27merge_sort_block_merge_implIS3_N6thrust23THRUST_200600_302600_NS6detail15normal_iteratorINS8_10device_ptrIbEEEENSA_INSB_IiEEEEjNS1_19radix_merge_compareILb1ELb0EbNS0_19identity_decomposerEEEEE10hipError_tT0_T1_T2_jT3_P12ihipStream_tbPNSt15iterator_traitsISK_E10value_typeEPNSQ_ISL_E10value_typeEPSM_NS1_7vsmem_tEENKUlT_SK_SL_SM_E_clIPbSD_PiSF_EESJ_SZ_SK_SL_SM_EUlSZ_E_NS1_11comp_targetILNS1_3genE4ELNS1_11target_archE910ELNS1_3gpuE8ELNS1_3repE0EEENS1_48merge_mergepath_partition_config_static_selectorELNS0_4arch9wavefront6targetE1EEEvSL_
		.amdhsa_group_segment_fixed_size 0
		.amdhsa_private_segment_fixed_size 0
		.amdhsa_kernarg_size 40
		.amdhsa_user_sgpr_count 2
		.amdhsa_user_sgpr_dispatch_ptr 0
		.amdhsa_user_sgpr_queue_ptr 0
		.amdhsa_user_sgpr_kernarg_segment_ptr 1
		.amdhsa_user_sgpr_dispatch_id 0
		.amdhsa_user_sgpr_kernarg_preload_length 0
		.amdhsa_user_sgpr_kernarg_preload_offset 0
		.amdhsa_user_sgpr_private_segment_size 0
		.amdhsa_uses_dynamic_stack 0
		.amdhsa_enable_private_segment 0
		.amdhsa_system_sgpr_workgroup_id_x 1
		.amdhsa_system_sgpr_workgroup_id_y 0
		.amdhsa_system_sgpr_workgroup_id_z 0
		.amdhsa_system_sgpr_workgroup_info 0
		.amdhsa_system_vgpr_workitem_id 0
		.amdhsa_next_free_vgpr 1
		.amdhsa_next_free_sgpr 0
		.amdhsa_accum_offset 4
		.amdhsa_reserve_vcc 0
		.amdhsa_float_round_mode_32 0
		.amdhsa_float_round_mode_16_64 0
		.amdhsa_float_denorm_mode_32 3
		.amdhsa_float_denorm_mode_16_64 3
		.amdhsa_dx10_clamp 1
		.amdhsa_ieee_mode 1
		.amdhsa_fp16_overflow 0
		.amdhsa_tg_split 0
		.amdhsa_exception_fp_ieee_invalid_op 0
		.amdhsa_exception_fp_denorm_src 0
		.amdhsa_exception_fp_ieee_div_zero 0
		.amdhsa_exception_fp_ieee_overflow 0
		.amdhsa_exception_fp_ieee_underflow 0
		.amdhsa_exception_fp_ieee_inexact 0
		.amdhsa_exception_int_div_zero 0
	.end_amdhsa_kernel
	.section	.text._ZN7rocprim17ROCPRIM_400000_NS6detail17trampoline_kernelINS0_14default_configENS1_38merge_sort_block_merge_config_selectorIbiEEZZNS1_27merge_sort_block_merge_implIS3_N6thrust23THRUST_200600_302600_NS6detail15normal_iteratorINS8_10device_ptrIbEEEENSA_INSB_IiEEEEjNS1_19radix_merge_compareILb1ELb0EbNS0_19identity_decomposerEEEEE10hipError_tT0_T1_T2_jT3_P12ihipStream_tbPNSt15iterator_traitsISK_E10value_typeEPNSQ_ISL_E10value_typeEPSM_NS1_7vsmem_tEENKUlT_SK_SL_SM_E_clIPbSD_PiSF_EESJ_SZ_SK_SL_SM_EUlSZ_E_NS1_11comp_targetILNS1_3genE4ELNS1_11target_archE910ELNS1_3gpuE8ELNS1_3repE0EEENS1_48merge_mergepath_partition_config_static_selectorELNS0_4arch9wavefront6targetE1EEEvSL_,"axG",@progbits,_ZN7rocprim17ROCPRIM_400000_NS6detail17trampoline_kernelINS0_14default_configENS1_38merge_sort_block_merge_config_selectorIbiEEZZNS1_27merge_sort_block_merge_implIS3_N6thrust23THRUST_200600_302600_NS6detail15normal_iteratorINS8_10device_ptrIbEEEENSA_INSB_IiEEEEjNS1_19radix_merge_compareILb1ELb0EbNS0_19identity_decomposerEEEEE10hipError_tT0_T1_T2_jT3_P12ihipStream_tbPNSt15iterator_traitsISK_E10value_typeEPNSQ_ISL_E10value_typeEPSM_NS1_7vsmem_tEENKUlT_SK_SL_SM_E_clIPbSD_PiSF_EESJ_SZ_SK_SL_SM_EUlSZ_E_NS1_11comp_targetILNS1_3genE4ELNS1_11target_archE910ELNS1_3gpuE8ELNS1_3repE0EEENS1_48merge_mergepath_partition_config_static_selectorELNS0_4arch9wavefront6targetE1EEEvSL_,comdat
.Lfunc_end2107:
	.size	_ZN7rocprim17ROCPRIM_400000_NS6detail17trampoline_kernelINS0_14default_configENS1_38merge_sort_block_merge_config_selectorIbiEEZZNS1_27merge_sort_block_merge_implIS3_N6thrust23THRUST_200600_302600_NS6detail15normal_iteratorINS8_10device_ptrIbEEEENSA_INSB_IiEEEEjNS1_19radix_merge_compareILb1ELb0EbNS0_19identity_decomposerEEEEE10hipError_tT0_T1_T2_jT3_P12ihipStream_tbPNSt15iterator_traitsISK_E10value_typeEPNSQ_ISL_E10value_typeEPSM_NS1_7vsmem_tEENKUlT_SK_SL_SM_E_clIPbSD_PiSF_EESJ_SZ_SK_SL_SM_EUlSZ_E_NS1_11comp_targetILNS1_3genE4ELNS1_11target_archE910ELNS1_3gpuE8ELNS1_3repE0EEENS1_48merge_mergepath_partition_config_static_selectorELNS0_4arch9wavefront6targetE1EEEvSL_, .Lfunc_end2107-_ZN7rocprim17ROCPRIM_400000_NS6detail17trampoline_kernelINS0_14default_configENS1_38merge_sort_block_merge_config_selectorIbiEEZZNS1_27merge_sort_block_merge_implIS3_N6thrust23THRUST_200600_302600_NS6detail15normal_iteratorINS8_10device_ptrIbEEEENSA_INSB_IiEEEEjNS1_19radix_merge_compareILb1ELb0EbNS0_19identity_decomposerEEEEE10hipError_tT0_T1_T2_jT3_P12ihipStream_tbPNSt15iterator_traitsISK_E10value_typeEPNSQ_ISL_E10value_typeEPSM_NS1_7vsmem_tEENKUlT_SK_SL_SM_E_clIPbSD_PiSF_EESJ_SZ_SK_SL_SM_EUlSZ_E_NS1_11comp_targetILNS1_3genE4ELNS1_11target_archE910ELNS1_3gpuE8ELNS1_3repE0EEENS1_48merge_mergepath_partition_config_static_selectorELNS0_4arch9wavefront6targetE1EEEvSL_
                                        ; -- End function
	.set _ZN7rocprim17ROCPRIM_400000_NS6detail17trampoline_kernelINS0_14default_configENS1_38merge_sort_block_merge_config_selectorIbiEEZZNS1_27merge_sort_block_merge_implIS3_N6thrust23THRUST_200600_302600_NS6detail15normal_iteratorINS8_10device_ptrIbEEEENSA_INSB_IiEEEEjNS1_19radix_merge_compareILb1ELb0EbNS0_19identity_decomposerEEEEE10hipError_tT0_T1_T2_jT3_P12ihipStream_tbPNSt15iterator_traitsISK_E10value_typeEPNSQ_ISL_E10value_typeEPSM_NS1_7vsmem_tEENKUlT_SK_SL_SM_E_clIPbSD_PiSF_EESJ_SZ_SK_SL_SM_EUlSZ_E_NS1_11comp_targetILNS1_3genE4ELNS1_11target_archE910ELNS1_3gpuE8ELNS1_3repE0EEENS1_48merge_mergepath_partition_config_static_selectorELNS0_4arch9wavefront6targetE1EEEvSL_.num_vgpr, 0
	.set _ZN7rocprim17ROCPRIM_400000_NS6detail17trampoline_kernelINS0_14default_configENS1_38merge_sort_block_merge_config_selectorIbiEEZZNS1_27merge_sort_block_merge_implIS3_N6thrust23THRUST_200600_302600_NS6detail15normal_iteratorINS8_10device_ptrIbEEEENSA_INSB_IiEEEEjNS1_19radix_merge_compareILb1ELb0EbNS0_19identity_decomposerEEEEE10hipError_tT0_T1_T2_jT3_P12ihipStream_tbPNSt15iterator_traitsISK_E10value_typeEPNSQ_ISL_E10value_typeEPSM_NS1_7vsmem_tEENKUlT_SK_SL_SM_E_clIPbSD_PiSF_EESJ_SZ_SK_SL_SM_EUlSZ_E_NS1_11comp_targetILNS1_3genE4ELNS1_11target_archE910ELNS1_3gpuE8ELNS1_3repE0EEENS1_48merge_mergepath_partition_config_static_selectorELNS0_4arch9wavefront6targetE1EEEvSL_.num_agpr, 0
	.set _ZN7rocprim17ROCPRIM_400000_NS6detail17trampoline_kernelINS0_14default_configENS1_38merge_sort_block_merge_config_selectorIbiEEZZNS1_27merge_sort_block_merge_implIS3_N6thrust23THRUST_200600_302600_NS6detail15normal_iteratorINS8_10device_ptrIbEEEENSA_INSB_IiEEEEjNS1_19radix_merge_compareILb1ELb0EbNS0_19identity_decomposerEEEEE10hipError_tT0_T1_T2_jT3_P12ihipStream_tbPNSt15iterator_traitsISK_E10value_typeEPNSQ_ISL_E10value_typeEPSM_NS1_7vsmem_tEENKUlT_SK_SL_SM_E_clIPbSD_PiSF_EESJ_SZ_SK_SL_SM_EUlSZ_E_NS1_11comp_targetILNS1_3genE4ELNS1_11target_archE910ELNS1_3gpuE8ELNS1_3repE0EEENS1_48merge_mergepath_partition_config_static_selectorELNS0_4arch9wavefront6targetE1EEEvSL_.numbered_sgpr, 0
	.set _ZN7rocprim17ROCPRIM_400000_NS6detail17trampoline_kernelINS0_14default_configENS1_38merge_sort_block_merge_config_selectorIbiEEZZNS1_27merge_sort_block_merge_implIS3_N6thrust23THRUST_200600_302600_NS6detail15normal_iteratorINS8_10device_ptrIbEEEENSA_INSB_IiEEEEjNS1_19radix_merge_compareILb1ELb0EbNS0_19identity_decomposerEEEEE10hipError_tT0_T1_T2_jT3_P12ihipStream_tbPNSt15iterator_traitsISK_E10value_typeEPNSQ_ISL_E10value_typeEPSM_NS1_7vsmem_tEENKUlT_SK_SL_SM_E_clIPbSD_PiSF_EESJ_SZ_SK_SL_SM_EUlSZ_E_NS1_11comp_targetILNS1_3genE4ELNS1_11target_archE910ELNS1_3gpuE8ELNS1_3repE0EEENS1_48merge_mergepath_partition_config_static_selectorELNS0_4arch9wavefront6targetE1EEEvSL_.num_named_barrier, 0
	.set _ZN7rocprim17ROCPRIM_400000_NS6detail17trampoline_kernelINS0_14default_configENS1_38merge_sort_block_merge_config_selectorIbiEEZZNS1_27merge_sort_block_merge_implIS3_N6thrust23THRUST_200600_302600_NS6detail15normal_iteratorINS8_10device_ptrIbEEEENSA_INSB_IiEEEEjNS1_19radix_merge_compareILb1ELb0EbNS0_19identity_decomposerEEEEE10hipError_tT0_T1_T2_jT3_P12ihipStream_tbPNSt15iterator_traitsISK_E10value_typeEPNSQ_ISL_E10value_typeEPSM_NS1_7vsmem_tEENKUlT_SK_SL_SM_E_clIPbSD_PiSF_EESJ_SZ_SK_SL_SM_EUlSZ_E_NS1_11comp_targetILNS1_3genE4ELNS1_11target_archE910ELNS1_3gpuE8ELNS1_3repE0EEENS1_48merge_mergepath_partition_config_static_selectorELNS0_4arch9wavefront6targetE1EEEvSL_.private_seg_size, 0
	.set _ZN7rocprim17ROCPRIM_400000_NS6detail17trampoline_kernelINS0_14default_configENS1_38merge_sort_block_merge_config_selectorIbiEEZZNS1_27merge_sort_block_merge_implIS3_N6thrust23THRUST_200600_302600_NS6detail15normal_iteratorINS8_10device_ptrIbEEEENSA_INSB_IiEEEEjNS1_19radix_merge_compareILb1ELb0EbNS0_19identity_decomposerEEEEE10hipError_tT0_T1_T2_jT3_P12ihipStream_tbPNSt15iterator_traitsISK_E10value_typeEPNSQ_ISL_E10value_typeEPSM_NS1_7vsmem_tEENKUlT_SK_SL_SM_E_clIPbSD_PiSF_EESJ_SZ_SK_SL_SM_EUlSZ_E_NS1_11comp_targetILNS1_3genE4ELNS1_11target_archE910ELNS1_3gpuE8ELNS1_3repE0EEENS1_48merge_mergepath_partition_config_static_selectorELNS0_4arch9wavefront6targetE1EEEvSL_.uses_vcc, 0
	.set _ZN7rocprim17ROCPRIM_400000_NS6detail17trampoline_kernelINS0_14default_configENS1_38merge_sort_block_merge_config_selectorIbiEEZZNS1_27merge_sort_block_merge_implIS3_N6thrust23THRUST_200600_302600_NS6detail15normal_iteratorINS8_10device_ptrIbEEEENSA_INSB_IiEEEEjNS1_19radix_merge_compareILb1ELb0EbNS0_19identity_decomposerEEEEE10hipError_tT0_T1_T2_jT3_P12ihipStream_tbPNSt15iterator_traitsISK_E10value_typeEPNSQ_ISL_E10value_typeEPSM_NS1_7vsmem_tEENKUlT_SK_SL_SM_E_clIPbSD_PiSF_EESJ_SZ_SK_SL_SM_EUlSZ_E_NS1_11comp_targetILNS1_3genE4ELNS1_11target_archE910ELNS1_3gpuE8ELNS1_3repE0EEENS1_48merge_mergepath_partition_config_static_selectorELNS0_4arch9wavefront6targetE1EEEvSL_.uses_flat_scratch, 0
	.set _ZN7rocprim17ROCPRIM_400000_NS6detail17trampoline_kernelINS0_14default_configENS1_38merge_sort_block_merge_config_selectorIbiEEZZNS1_27merge_sort_block_merge_implIS3_N6thrust23THRUST_200600_302600_NS6detail15normal_iteratorINS8_10device_ptrIbEEEENSA_INSB_IiEEEEjNS1_19radix_merge_compareILb1ELb0EbNS0_19identity_decomposerEEEEE10hipError_tT0_T1_T2_jT3_P12ihipStream_tbPNSt15iterator_traitsISK_E10value_typeEPNSQ_ISL_E10value_typeEPSM_NS1_7vsmem_tEENKUlT_SK_SL_SM_E_clIPbSD_PiSF_EESJ_SZ_SK_SL_SM_EUlSZ_E_NS1_11comp_targetILNS1_3genE4ELNS1_11target_archE910ELNS1_3gpuE8ELNS1_3repE0EEENS1_48merge_mergepath_partition_config_static_selectorELNS0_4arch9wavefront6targetE1EEEvSL_.has_dyn_sized_stack, 0
	.set _ZN7rocprim17ROCPRIM_400000_NS6detail17trampoline_kernelINS0_14default_configENS1_38merge_sort_block_merge_config_selectorIbiEEZZNS1_27merge_sort_block_merge_implIS3_N6thrust23THRUST_200600_302600_NS6detail15normal_iteratorINS8_10device_ptrIbEEEENSA_INSB_IiEEEEjNS1_19radix_merge_compareILb1ELb0EbNS0_19identity_decomposerEEEEE10hipError_tT0_T1_T2_jT3_P12ihipStream_tbPNSt15iterator_traitsISK_E10value_typeEPNSQ_ISL_E10value_typeEPSM_NS1_7vsmem_tEENKUlT_SK_SL_SM_E_clIPbSD_PiSF_EESJ_SZ_SK_SL_SM_EUlSZ_E_NS1_11comp_targetILNS1_3genE4ELNS1_11target_archE910ELNS1_3gpuE8ELNS1_3repE0EEENS1_48merge_mergepath_partition_config_static_selectorELNS0_4arch9wavefront6targetE1EEEvSL_.has_recursion, 0
	.set _ZN7rocprim17ROCPRIM_400000_NS6detail17trampoline_kernelINS0_14default_configENS1_38merge_sort_block_merge_config_selectorIbiEEZZNS1_27merge_sort_block_merge_implIS3_N6thrust23THRUST_200600_302600_NS6detail15normal_iteratorINS8_10device_ptrIbEEEENSA_INSB_IiEEEEjNS1_19radix_merge_compareILb1ELb0EbNS0_19identity_decomposerEEEEE10hipError_tT0_T1_T2_jT3_P12ihipStream_tbPNSt15iterator_traitsISK_E10value_typeEPNSQ_ISL_E10value_typeEPSM_NS1_7vsmem_tEENKUlT_SK_SL_SM_E_clIPbSD_PiSF_EESJ_SZ_SK_SL_SM_EUlSZ_E_NS1_11comp_targetILNS1_3genE4ELNS1_11target_archE910ELNS1_3gpuE8ELNS1_3repE0EEENS1_48merge_mergepath_partition_config_static_selectorELNS0_4arch9wavefront6targetE1EEEvSL_.has_indirect_call, 0
	.section	.AMDGPU.csdata,"",@progbits
; Kernel info:
; codeLenInByte = 0
; TotalNumSgprs: 6
; NumVgprs: 0
; NumAgprs: 0
; TotalNumVgprs: 0
; ScratchSize: 0
; MemoryBound: 0
; FloatMode: 240
; IeeeMode: 1
; LDSByteSize: 0 bytes/workgroup (compile time only)
; SGPRBlocks: 0
; VGPRBlocks: 0
; NumSGPRsForWavesPerEU: 6
; NumVGPRsForWavesPerEU: 1
; AccumOffset: 4
; Occupancy: 8
; WaveLimiterHint : 0
; COMPUTE_PGM_RSRC2:SCRATCH_EN: 0
; COMPUTE_PGM_RSRC2:USER_SGPR: 2
; COMPUTE_PGM_RSRC2:TRAP_HANDLER: 0
; COMPUTE_PGM_RSRC2:TGID_X_EN: 1
; COMPUTE_PGM_RSRC2:TGID_Y_EN: 0
; COMPUTE_PGM_RSRC2:TGID_Z_EN: 0
; COMPUTE_PGM_RSRC2:TIDIG_COMP_CNT: 0
; COMPUTE_PGM_RSRC3_GFX90A:ACCUM_OFFSET: 0
; COMPUTE_PGM_RSRC3_GFX90A:TG_SPLIT: 0
	.section	.text._ZN7rocprim17ROCPRIM_400000_NS6detail17trampoline_kernelINS0_14default_configENS1_38merge_sort_block_merge_config_selectorIbiEEZZNS1_27merge_sort_block_merge_implIS3_N6thrust23THRUST_200600_302600_NS6detail15normal_iteratorINS8_10device_ptrIbEEEENSA_INSB_IiEEEEjNS1_19radix_merge_compareILb1ELb0EbNS0_19identity_decomposerEEEEE10hipError_tT0_T1_T2_jT3_P12ihipStream_tbPNSt15iterator_traitsISK_E10value_typeEPNSQ_ISL_E10value_typeEPSM_NS1_7vsmem_tEENKUlT_SK_SL_SM_E_clIPbSD_PiSF_EESJ_SZ_SK_SL_SM_EUlSZ_E_NS1_11comp_targetILNS1_3genE3ELNS1_11target_archE908ELNS1_3gpuE7ELNS1_3repE0EEENS1_48merge_mergepath_partition_config_static_selectorELNS0_4arch9wavefront6targetE1EEEvSL_,"axG",@progbits,_ZN7rocprim17ROCPRIM_400000_NS6detail17trampoline_kernelINS0_14default_configENS1_38merge_sort_block_merge_config_selectorIbiEEZZNS1_27merge_sort_block_merge_implIS3_N6thrust23THRUST_200600_302600_NS6detail15normal_iteratorINS8_10device_ptrIbEEEENSA_INSB_IiEEEEjNS1_19radix_merge_compareILb1ELb0EbNS0_19identity_decomposerEEEEE10hipError_tT0_T1_T2_jT3_P12ihipStream_tbPNSt15iterator_traitsISK_E10value_typeEPNSQ_ISL_E10value_typeEPSM_NS1_7vsmem_tEENKUlT_SK_SL_SM_E_clIPbSD_PiSF_EESJ_SZ_SK_SL_SM_EUlSZ_E_NS1_11comp_targetILNS1_3genE3ELNS1_11target_archE908ELNS1_3gpuE7ELNS1_3repE0EEENS1_48merge_mergepath_partition_config_static_selectorELNS0_4arch9wavefront6targetE1EEEvSL_,comdat
	.protected	_ZN7rocprim17ROCPRIM_400000_NS6detail17trampoline_kernelINS0_14default_configENS1_38merge_sort_block_merge_config_selectorIbiEEZZNS1_27merge_sort_block_merge_implIS3_N6thrust23THRUST_200600_302600_NS6detail15normal_iteratorINS8_10device_ptrIbEEEENSA_INSB_IiEEEEjNS1_19radix_merge_compareILb1ELb0EbNS0_19identity_decomposerEEEEE10hipError_tT0_T1_T2_jT3_P12ihipStream_tbPNSt15iterator_traitsISK_E10value_typeEPNSQ_ISL_E10value_typeEPSM_NS1_7vsmem_tEENKUlT_SK_SL_SM_E_clIPbSD_PiSF_EESJ_SZ_SK_SL_SM_EUlSZ_E_NS1_11comp_targetILNS1_3genE3ELNS1_11target_archE908ELNS1_3gpuE7ELNS1_3repE0EEENS1_48merge_mergepath_partition_config_static_selectorELNS0_4arch9wavefront6targetE1EEEvSL_ ; -- Begin function _ZN7rocprim17ROCPRIM_400000_NS6detail17trampoline_kernelINS0_14default_configENS1_38merge_sort_block_merge_config_selectorIbiEEZZNS1_27merge_sort_block_merge_implIS3_N6thrust23THRUST_200600_302600_NS6detail15normal_iteratorINS8_10device_ptrIbEEEENSA_INSB_IiEEEEjNS1_19radix_merge_compareILb1ELb0EbNS0_19identity_decomposerEEEEE10hipError_tT0_T1_T2_jT3_P12ihipStream_tbPNSt15iterator_traitsISK_E10value_typeEPNSQ_ISL_E10value_typeEPSM_NS1_7vsmem_tEENKUlT_SK_SL_SM_E_clIPbSD_PiSF_EESJ_SZ_SK_SL_SM_EUlSZ_E_NS1_11comp_targetILNS1_3genE3ELNS1_11target_archE908ELNS1_3gpuE7ELNS1_3repE0EEENS1_48merge_mergepath_partition_config_static_selectorELNS0_4arch9wavefront6targetE1EEEvSL_
	.globl	_ZN7rocprim17ROCPRIM_400000_NS6detail17trampoline_kernelINS0_14default_configENS1_38merge_sort_block_merge_config_selectorIbiEEZZNS1_27merge_sort_block_merge_implIS3_N6thrust23THRUST_200600_302600_NS6detail15normal_iteratorINS8_10device_ptrIbEEEENSA_INSB_IiEEEEjNS1_19radix_merge_compareILb1ELb0EbNS0_19identity_decomposerEEEEE10hipError_tT0_T1_T2_jT3_P12ihipStream_tbPNSt15iterator_traitsISK_E10value_typeEPNSQ_ISL_E10value_typeEPSM_NS1_7vsmem_tEENKUlT_SK_SL_SM_E_clIPbSD_PiSF_EESJ_SZ_SK_SL_SM_EUlSZ_E_NS1_11comp_targetILNS1_3genE3ELNS1_11target_archE908ELNS1_3gpuE7ELNS1_3repE0EEENS1_48merge_mergepath_partition_config_static_selectorELNS0_4arch9wavefront6targetE1EEEvSL_
	.p2align	8
	.type	_ZN7rocprim17ROCPRIM_400000_NS6detail17trampoline_kernelINS0_14default_configENS1_38merge_sort_block_merge_config_selectorIbiEEZZNS1_27merge_sort_block_merge_implIS3_N6thrust23THRUST_200600_302600_NS6detail15normal_iteratorINS8_10device_ptrIbEEEENSA_INSB_IiEEEEjNS1_19radix_merge_compareILb1ELb0EbNS0_19identity_decomposerEEEEE10hipError_tT0_T1_T2_jT3_P12ihipStream_tbPNSt15iterator_traitsISK_E10value_typeEPNSQ_ISL_E10value_typeEPSM_NS1_7vsmem_tEENKUlT_SK_SL_SM_E_clIPbSD_PiSF_EESJ_SZ_SK_SL_SM_EUlSZ_E_NS1_11comp_targetILNS1_3genE3ELNS1_11target_archE908ELNS1_3gpuE7ELNS1_3repE0EEENS1_48merge_mergepath_partition_config_static_selectorELNS0_4arch9wavefront6targetE1EEEvSL_,@function
_ZN7rocprim17ROCPRIM_400000_NS6detail17trampoline_kernelINS0_14default_configENS1_38merge_sort_block_merge_config_selectorIbiEEZZNS1_27merge_sort_block_merge_implIS3_N6thrust23THRUST_200600_302600_NS6detail15normal_iteratorINS8_10device_ptrIbEEEENSA_INSB_IiEEEEjNS1_19radix_merge_compareILb1ELb0EbNS0_19identity_decomposerEEEEE10hipError_tT0_T1_T2_jT3_P12ihipStream_tbPNSt15iterator_traitsISK_E10value_typeEPNSQ_ISL_E10value_typeEPSM_NS1_7vsmem_tEENKUlT_SK_SL_SM_E_clIPbSD_PiSF_EESJ_SZ_SK_SL_SM_EUlSZ_E_NS1_11comp_targetILNS1_3genE3ELNS1_11target_archE908ELNS1_3gpuE7ELNS1_3repE0EEENS1_48merge_mergepath_partition_config_static_selectorELNS0_4arch9wavefront6targetE1EEEvSL_: ; @_ZN7rocprim17ROCPRIM_400000_NS6detail17trampoline_kernelINS0_14default_configENS1_38merge_sort_block_merge_config_selectorIbiEEZZNS1_27merge_sort_block_merge_implIS3_N6thrust23THRUST_200600_302600_NS6detail15normal_iteratorINS8_10device_ptrIbEEEENSA_INSB_IiEEEEjNS1_19radix_merge_compareILb1ELb0EbNS0_19identity_decomposerEEEEE10hipError_tT0_T1_T2_jT3_P12ihipStream_tbPNSt15iterator_traitsISK_E10value_typeEPNSQ_ISL_E10value_typeEPSM_NS1_7vsmem_tEENKUlT_SK_SL_SM_E_clIPbSD_PiSF_EESJ_SZ_SK_SL_SM_EUlSZ_E_NS1_11comp_targetILNS1_3genE3ELNS1_11target_archE908ELNS1_3gpuE7ELNS1_3repE0EEENS1_48merge_mergepath_partition_config_static_selectorELNS0_4arch9wavefront6targetE1EEEvSL_
; %bb.0:
	.section	.rodata,"a",@progbits
	.p2align	6, 0x0
	.amdhsa_kernel _ZN7rocprim17ROCPRIM_400000_NS6detail17trampoline_kernelINS0_14default_configENS1_38merge_sort_block_merge_config_selectorIbiEEZZNS1_27merge_sort_block_merge_implIS3_N6thrust23THRUST_200600_302600_NS6detail15normal_iteratorINS8_10device_ptrIbEEEENSA_INSB_IiEEEEjNS1_19radix_merge_compareILb1ELb0EbNS0_19identity_decomposerEEEEE10hipError_tT0_T1_T2_jT3_P12ihipStream_tbPNSt15iterator_traitsISK_E10value_typeEPNSQ_ISL_E10value_typeEPSM_NS1_7vsmem_tEENKUlT_SK_SL_SM_E_clIPbSD_PiSF_EESJ_SZ_SK_SL_SM_EUlSZ_E_NS1_11comp_targetILNS1_3genE3ELNS1_11target_archE908ELNS1_3gpuE7ELNS1_3repE0EEENS1_48merge_mergepath_partition_config_static_selectorELNS0_4arch9wavefront6targetE1EEEvSL_
		.amdhsa_group_segment_fixed_size 0
		.amdhsa_private_segment_fixed_size 0
		.amdhsa_kernarg_size 40
		.amdhsa_user_sgpr_count 2
		.amdhsa_user_sgpr_dispatch_ptr 0
		.amdhsa_user_sgpr_queue_ptr 0
		.amdhsa_user_sgpr_kernarg_segment_ptr 1
		.amdhsa_user_sgpr_dispatch_id 0
		.amdhsa_user_sgpr_kernarg_preload_length 0
		.amdhsa_user_sgpr_kernarg_preload_offset 0
		.amdhsa_user_sgpr_private_segment_size 0
		.amdhsa_uses_dynamic_stack 0
		.amdhsa_enable_private_segment 0
		.amdhsa_system_sgpr_workgroup_id_x 1
		.amdhsa_system_sgpr_workgroup_id_y 0
		.amdhsa_system_sgpr_workgroup_id_z 0
		.amdhsa_system_sgpr_workgroup_info 0
		.amdhsa_system_vgpr_workitem_id 0
		.amdhsa_next_free_vgpr 1
		.amdhsa_next_free_sgpr 0
		.amdhsa_accum_offset 4
		.amdhsa_reserve_vcc 0
		.amdhsa_float_round_mode_32 0
		.amdhsa_float_round_mode_16_64 0
		.amdhsa_float_denorm_mode_32 3
		.amdhsa_float_denorm_mode_16_64 3
		.amdhsa_dx10_clamp 1
		.amdhsa_ieee_mode 1
		.amdhsa_fp16_overflow 0
		.amdhsa_tg_split 0
		.amdhsa_exception_fp_ieee_invalid_op 0
		.amdhsa_exception_fp_denorm_src 0
		.amdhsa_exception_fp_ieee_div_zero 0
		.amdhsa_exception_fp_ieee_overflow 0
		.amdhsa_exception_fp_ieee_underflow 0
		.amdhsa_exception_fp_ieee_inexact 0
		.amdhsa_exception_int_div_zero 0
	.end_amdhsa_kernel
	.section	.text._ZN7rocprim17ROCPRIM_400000_NS6detail17trampoline_kernelINS0_14default_configENS1_38merge_sort_block_merge_config_selectorIbiEEZZNS1_27merge_sort_block_merge_implIS3_N6thrust23THRUST_200600_302600_NS6detail15normal_iteratorINS8_10device_ptrIbEEEENSA_INSB_IiEEEEjNS1_19radix_merge_compareILb1ELb0EbNS0_19identity_decomposerEEEEE10hipError_tT0_T1_T2_jT3_P12ihipStream_tbPNSt15iterator_traitsISK_E10value_typeEPNSQ_ISL_E10value_typeEPSM_NS1_7vsmem_tEENKUlT_SK_SL_SM_E_clIPbSD_PiSF_EESJ_SZ_SK_SL_SM_EUlSZ_E_NS1_11comp_targetILNS1_3genE3ELNS1_11target_archE908ELNS1_3gpuE7ELNS1_3repE0EEENS1_48merge_mergepath_partition_config_static_selectorELNS0_4arch9wavefront6targetE1EEEvSL_,"axG",@progbits,_ZN7rocprim17ROCPRIM_400000_NS6detail17trampoline_kernelINS0_14default_configENS1_38merge_sort_block_merge_config_selectorIbiEEZZNS1_27merge_sort_block_merge_implIS3_N6thrust23THRUST_200600_302600_NS6detail15normal_iteratorINS8_10device_ptrIbEEEENSA_INSB_IiEEEEjNS1_19radix_merge_compareILb1ELb0EbNS0_19identity_decomposerEEEEE10hipError_tT0_T1_T2_jT3_P12ihipStream_tbPNSt15iterator_traitsISK_E10value_typeEPNSQ_ISL_E10value_typeEPSM_NS1_7vsmem_tEENKUlT_SK_SL_SM_E_clIPbSD_PiSF_EESJ_SZ_SK_SL_SM_EUlSZ_E_NS1_11comp_targetILNS1_3genE3ELNS1_11target_archE908ELNS1_3gpuE7ELNS1_3repE0EEENS1_48merge_mergepath_partition_config_static_selectorELNS0_4arch9wavefront6targetE1EEEvSL_,comdat
.Lfunc_end2108:
	.size	_ZN7rocprim17ROCPRIM_400000_NS6detail17trampoline_kernelINS0_14default_configENS1_38merge_sort_block_merge_config_selectorIbiEEZZNS1_27merge_sort_block_merge_implIS3_N6thrust23THRUST_200600_302600_NS6detail15normal_iteratorINS8_10device_ptrIbEEEENSA_INSB_IiEEEEjNS1_19radix_merge_compareILb1ELb0EbNS0_19identity_decomposerEEEEE10hipError_tT0_T1_T2_jT3_P12ihipStream_tbPNSt15iterator_traitsISK_E10value_typeEPNSQ_ISL_E10value_typeEPSM_NS1_7vsmem_tEENKUlT_SK_SL_SM_E_clIPbSD_PiSF_EESJ_SZ_SK_SL_SM_EUlSZ_E_NS1_11comp_targetILNS1_3genE3ELNS1_11target_archE908ELNS1_3gpuE7ELNS1_3repE0EEENS1_48merge_mergepath_partition_config_static_selectorELNS0_4arch9wavefront6targetE1EEEvSL_, .Lfunc_end2108-_ZN7rocprim17ROCPRIM_400000_NS6detail17trampoline_kernelINS0_14default_configENS1_38merge_sort_block_merge_config_selectorIbiEEZZNS1_27merge_sort_block_merge_implIS3_N6thrust23THRUST_200600_302600_NS6detail15normal_iteratorINS8_10device_ptrIbEEEENSA_INSB_IiEEEEjNS1_19radix_merge_compareILb1ELb0EbNS0_19identity_decomposerEEEEE10hipError_tT0_T1_T2_jT3_P12ihipStream_tbPNSt15iterator_traitsISK_E10value_typeEPNSQ_ISL_E10value_typeEPSM_NS1_7vsmem_tEENKUlT_SK_SL_SM_E_clIPbSD_PiSF_EESJ_SZ_SK_SL_SM_EUlSZ_E_NS1_11comp_targetILNS1_3genE3ELNS1_11target_archE908ELNS1_3gpuE7ELNS1_3repE0EEENS1_48merge_mergepath_partition_config_static_selectorELNS0_4arch9wavefront6targetE1EEEvSL_
                                        ; -- End function
	.set _ZN7rocprim17ROCPRIM_400000_NS6detail17trampoline_kernelINS0_14default_configENS1_38merge_sort_block_merge_config_selectorIbiEEZZNS1_27merge_sort_block_merge_implIS3_N6thrust23THRUST_200600_302600_NS6detail15normal_iteratorINS8_10device_ptrIbEEEENSA_INSB_IiEEEEjNS1_19radix_merge_compareILb1ELb0EbNS0_19identity_decomposerEEEEE10hipError_tT0_T1_T2_jT3_P12ihipStream_tbPNSt15iterator_traitsISK_E10value_typeEPNSQ_ISL_E10value_typeEPSM_NS1_7vsmem_tEENKUlT_SK_SL_SM_E_clIPbSD_PiSF_EESJ_SZ_SK_SL_SM_EUlSZ_E_NS1_11comp_targetILNS1_3genE3ELNS1_11target_archE908ELNS1_3gpuE7ELNS1_3repE0EEENS1_48merge_mergepath_partition_config_static_selectorELNS0_4arch9wavefront6targetE1EEEvSL_.num_vgpr, 0
	.set _ZN7rocprim17ROCPRIM_400000_NS6detail17trampoline_kernelINS0_14default_configENS1_38merge_sort_block_merge_config_selectorIbiEEZZNS1_27merge_sort_block_merge_implIS3_N6thrust23THRUST_200600_302600_NS6detail15normal_iteratorINS8_10device_ptrIbEEEENSA_INSB_IiEEEEjNS1_19radix_merge_compareILb1ELb0EbNS0_19identity_decomposerEEEEE10hipError_tT0_T1_T2_jT3_P12ihipStream_tbPNSt15iterator_traitsISK_E10value_typeEPNSQ_ISL_E10value_typeEPSM_NS1_7vsmem_tEENKUlT_SK_SL_SM_E_clIPbSD_PiSF_EESJ_SZ_SK_SL_SM_EUlSZ_E_NS1_11comp_targetILNS1_3genE3ELNS1_11target_archE908ELNS1_3gpuE7ELNS1_3repE0EEENS1_48merge_mergepath_partition_config_static_selectorELNS0_4arch9wavefront6targetE1EEEvSL_.num_agpr, 0
	.set _ZN7rocprim17ROCPRIM_400000_NS6detail17trampoline_kernelINS0_14default_configENS1_38merge_sort_block_merge_config_selectorIbiEEZZNS1_27merge_sort_block_merge_implIS3_N6thrust23THRUST_200600_302600_NS6detail15normal_iteratorINS8_10device_ptrIbEEEENSA_INSB_IiEEEEjNS1_19radix_merge_compareILb1ELb0EbNS0_19identity_decomposerEEEEE10hipError_tT0_T1_T2_jT3_P12ihipStream_tbPNSt15iterator_traitsISK_E10value_typeEPNSQ_ISL_E10value_typeEPSM_NS1_7vsmem_tEENKUlT_SK_SL_SM_E_clIPbSD_PiSF_EESJ_SZ_SK_SL_SM_EUlSZ_E_NS1_11comp_targetILNS1_3genE3ELNS1_11target_archE908ELNS1_3gpuE7ELNS1_3repE0EEENS1_48merge_mergepath_partition_config_static_selectorELNS0_4arch9wavefront6targetE1EEEvSL_.numbered_sgpr, 0
	.set _ZN7rocprim17ROCPRIM_400000_NS6detail17trampoline_kernelINS0_14default_configENS1_38merge_sort_block_merge_config_selectorIbiEEZZNS1_27merge_sort_block_merge_implIS3_N6thrust23THRUST_200600_302600_NS6detail15normal_iteratorINS8_10device_ptrIbEEEENSA_INSB_IiEEEEjNS1_19radix_merge_compareILb1ELb0EbNS0_19identity_decomposerEEEEE10hipError_tT0_T1_T2_jT3_P12ihipStream_tbPNSt15iterator_traitsISK_E10value_typeEPNSQ_ISL_E10value_typeEPSM_NS1_7vsmem_tEENKUlT_SK_SL_SM_E_clIPbSD_PiSF_EESJ_SZ_SK_SL_SM_EUlSZ_E_NS1_11comp_targetILNS1_3genE3ELNS1_11target_archE908ELNS1_3gpuE7ELNS1_3repE0EEENS1_48merge_mergepath_partition_config_static_selectorELNS0_4arch9wavefront6targetE1EEEvSL_.num_named_barrier, 0
	.set _ZN7rocprim17ROCPRIM_400000_NS6detail17trampoline_kernelINS0_14default_configENS1_38merge_sort_block_merge_config_selectorIbiEEZZNS1_27merge_sort_block_merge_implIS3_N6thrust23THRUST_200600_302600_NS6detail15normal_iteratorINS8_10device_ptrIbEEEENSA_INSB_IiEEEEjNS1_19radix_merge_compareILb1ELb0EbNS0_19identity_decomposerEEEEE10hipError_tT0_T1_T2_jT3_P12ihipStream_tbPNSt15iterator_traitsISK_E10value_typeEPNSQ_ISL_E10value_typeEPSM_NS1_7vsmem_tEENKUlT_SK_SL_SM_E_clIPbSD_PiSF_EESJ_SZ_SK_SL_SM_EUlSZ_E_NS1_11comp_targetILNS1_3genE3ELNS1_11target_archE908ELNS1_3gpuE7ELNS1_3repE0EEENS1_48merge_mergepath_partition_config_static_selectorELNS0_4arch9wavefront6targetE1EEEvSL_.private_seg_size, 0
	.set _ZN7rocprim17ROCPRIM_400000_NS6detail17trampoline_kernelINS0_14default_configENS1_38merge_sort_block_merge_config_selectorIbiEEZZNS1_27merge_sort_block_merge_implIS3_N6thrust23THRUST_200600_302600_NS6detail15normal_iteratorINS8_10device_ptrIbEEEENSA_INSB_IiEEEEjNS1_19radix_merge_compareILb1ELb0EbNS0_19identity_decomposerEEEEE10hipError_tT0_T1_T2_jT3_P12ihipStream_tbPNSt15iterator_traitsISK_E10value_typeEPNSQ_ISL_E10value_typeEPSM_NS1_7vsmem_tEENKUlT_SK_SL_SM_E_clIPbSD_PiSF_EESJ_SZ_SK_SL_SM_EUlSZ_E_NS1_11comp_targetILNS1_3genE3ELNS1_11target_archE908ELNS1_3gpuE7ELNS1_3repE0EEENS1_48merge_mergepath_partition_config_static_selectorELNS0_4arch9wavefront6targetE1EEEvSL_.uses_vcc, 0
	.set _ZN7rocprim17ROCPRIM_400000_NS6detail17trampoline_kernelINS0_14default_configENS1_38merge_sort_block_merge_config_selectorIbiEEZZNS1_27merge_sort_block_merge_implIS3_N6thrust23THRUST_200600_302600_NS6detail15normal_iteratorINS8_10device_ptrIbEEEENSA_INSB_IiEEEEjNS1_19radix_merge_compareILb1ELb0EbNS0_19identity_decomposerEEEEE10hipError_tT0_T1_T2_jT3_P12ihipStream_tbPNSt15iterator_traitsISK_E10value_typeEPNSQ_ISL_E10value_typeEPSM_NS1_7vsmem_tEENKUlT_SK_SL_SM_E_clIPbSD_PiSF_EESJ_SZ_SK_SL_SM_EUlSZ_E_NS1_11comp_targetILNS1_3genE3ELNS1_11target_archE908ELNS1_3gpuE7ELNS1_3repE0EEENS1_48merge_mergepath_partition_config_static_selectorELNS0_4arch9wavefront6targetE1EEEvSL_.uses_flat_scratch, 0
	.set _ZN7rocprim17ROCPRIM_400000_NS6detail17trampoline_kernelINS0_14default_configENS1_38merge_sort_block_merge_config_selectorIbiEEZZNS1_27merge_sort_block_merge_implIS3_N6thrust23THRUST_200600_302600_NS6detail15normal_iteratorINS8_10device_ptrIbEEEENSA_INSB_IiEEEEjNS1_19radix_merge_compareILb1ELb0EbNS0_19identity_decomposerEEEEE10hipError_tT0_T1_T2_jT3_P12ihipStream_tbPNSt15iterator_traitsISK_E10value_typeEPNSQ_ISL_E10value_typeEPSM_NS1_7vsmem_tEENKUlT_SK_SL_SM_E_clIPbSD_PiSF_EESJ_SZ_SK_SL_SM_EUlSZ_E_NS1_11comp_targetILNS1_3genE3ELNS1_11target_archE908ELNS1_3gpuE7ELNS1_3repE0EEENS1_48merge_mergepath_partition_config_static_selectorELNS0_4arch9wavefront6targetE1EEEvSL_.has_dyn_sized_stack, 0
	.set _ZN7rocprim17ROCPRIM_400000_NS6detail17trampoline_kernelINS0_14default_configENS1_38merge_sort_block_merge_config_selectorIbiEEZZNS1_27merge_sort_block_merge_implIS3_N6thrust23THRUST_200600_302600_NS6detail15normal_iteratorINS8_10device_ptrIbEEEENSA_INSB_IiEEEEjNS1_19radix_merge_compareILb1ELb0EbNS0_19identity_decomposerEEEEE10hipError_tT0_T1_T2_jT3_P12ihipStream_tbPNSt15iterator_traitsISK_E10value_typeEPNSQ_ISL_E10value_typeEPSM_NS1_7vsmem_tEENKUlT_SK_SL_SM_E_clIPbSD_PiSF_EESJ_SZ_SK_SL_SM_EUlSZ_E_NS1_11comp_targetILNS1_3genE3ELNS1_11target_archE908ELNS1_3gpuE7ELNS1_3repE0EEENS1_48merge_mergepath_partition_config_static_selectorELNS0_4arch9wavefront6targetE1EEEvSL_.has_recursion, 0
	.set _ZN7rocprim17ROCPRIM_400000_NS6detail17trampoline_kernelINS0_14default_configENS1_38merge_sort_block_merge_config_selectorIbiEEZZNS1_27merge_sort_block_merge_implIS3_N6thrust23THRUST_200600_302600_NS6detail15normal_iteratorINS8_10device_ptrIbEEEENSA_INSB_IiEEEEjNS1_19radix_merge_compareILb1ELb0EbNS0_19identity_decomposerEEEEE10hipError_tT0_T1_T2_jT3_P12ihipStream_tbPNSt15iterator_traitsISK_E10value_typeEPNSQ_ISL_E10value_typeEPSM_NS1_7vsmem_tEENKUlT_SK_SL_SM_E_clIPbSD_PiSF_EESJ_SZ_SK_SL_SM_EUlSZ_E_NS1_11comp_targetILNS1_3genE3ELNS1_11target_archE908ELNS1_3gpuE7ELNS1_3repE0EEENS1_48merge_mergepath_partition_config_static_selectorELNS0_4arch9wavefront6targetE1EEEvSL_.has_indirect_call, 0
	.section	.AMDGPU.csdata,"",@progbits
; Kernel info:
; codeLenInByte = 0
; TotalNumSgprs: 6
; NumVgprs: 0
; NumAgprs: 0
; TotalNumVgprs: 0
; ScratchSize: 0
; MemoryBound: 0
; FloatMode: 240
; IeeeMode: 1
; LDSByteSize: 0 bytes/workgroup (compile time only)
; SGPRBlocks: 0
; VGPRBlocks: 0
; NumSGPRsForWavesPerEU: 6
; NumVGPRsForWavesPerEU: 1
; AccumOffset: 4
; Occupancy: 8
; WaveLimiterHint : 0
; COMPUTE_PGM_RSRC2:SCRATCH_EN: 0
; COMPUTE_PGM_RSRC2:USER_SGPR: 2
; COMPUTE_PGM_RSRC2:TRAP_HANDLER: 0
; COMPUTE_PGM_RSRC2:TGID_X_EN: 1
; COMPUTE_PGM_RSRC2:TGID_Y_EN: 0
; COMPUTE_PGM_RSRC2:TGID_Z_EN: 0
; COMPUTE_PGM_RSRC2:TIDIG_COMP_CNT: 0
; COMPUTE_PGM_RSRC3_GFX90A:ACCUM_OFFSET: 0
; COMPUTE_PGM_RSRC3_GFX90A:TG_SPLIT: 0
	.section	.text._ZN7rocprim17ROCPRIM_400000_NS6detail17trampoline_kernelINS0_14default_configENS1_38merge_sort_block_merge_config_selectorIbiEEZZNS1_27merge_sort_block_merge_implIS3_N6thrust23THRUST_200600_302600_NS6detail15normal_iteratorINS8_10device_ptrIbEEEENSA_INSB_IiEEEEjNS1_19radix_merge_compareILb1ELb0EbNS0_19identity_decomposerEEEEE10hipError_tT0_T1_T2_jT3_P12ihipStream_tbPNSt15iterator_traitsISK_E10value_typeEPNSQ_ISL_E10value_typeEPSM_NS1_7vsmem_tEENKUlT_SK_SL_SM_E_clIPbSD_PiSF_EESJ_SZ_SK_SL_SM_EUlSZ_E_NS1_11comp_targetILNS1_3genE2ELNS1_11target_archE906ELNS1_3gpuE6ELNS1_3repE0EEENS1_48merge_mergepath_partition_config_static_selectorELNS0_4arch9wavefront6targetE1EEEvSL_,"axG",@progbits,_ZN7rocprim17ROCPRIM_400000_NS6detail17trampoline_kernelINS0_14default_configENS1_38merge_sort_block_merge_config_selectorIbiEEZZNS1_27merge_sort_block_merge_implIS3_N6thrust23THRUST_200600_302600_NS6detail15normal_iteratorINS8_10device_ptrIbEEEENSA_INSB_IiEEEEjNS1_19radix_merge_compareILb1ELb0EbNS0_19identity_decomposerEEEEE10hipError_tT0_T1_T2_jT3_P12ihipStream_tbPNSt15iterator_traitsISK_E10value_typeEPNSQ_ISL_E10value_typeEPSM_NS1_7vsmem_tEENKUlT_SK_SL_SM_E_clIPbSD_PiSF_EESJ_SZ_SK_SL_SM_EUlSZ_E_NS1_11comp_targetILNS1_3genE2ELNS1_11target_archE906ELNS1_3gpuE6ELNS1_3repE0EEENS1_48merge_mergepath_partition_config_static_selectorELNS0_4arch9wavefront6targetE1EEEvSL_,comdat
	.protected	_ZN7rocprim17ROCPRIM_400000_NS6detail17trampoline_kernelINS0_14default_configENS1_38merge_sort_block_merge_config_selectorIbiEEZZNS1_27merge_sort_block_merge_implIS3_N6thrust23THRUST_200600_302600_NS6detail15normal_iteratorINS8_10device_ptrIbEEEENSA_INSB_IiEEEEjNS1_19radix_merge_compareILb1ELb0EbNS0_19identity_decomposerEEEEE10hipError_tT0_T1_T2_jT3_P12ihipStream_tbPNSt15iterator_traitsISK_E10value_typeEPNSQ_ISL_E10value_typeEPSM_NS1_7vsmem_tEENKUlT_SK_SL_SM_E_clIPbSD_PiSF_EESJ_SZ_SK_SL_SM_EUlSZ_E_NS1_11comp_targetILNS1_3genE2ELNS1_11target_archE906ELNS1_3gpuE6ELNS1_3repE0EEENS1_48merge_mergepath_partition_config_static_selectorELNS0_4arch9wavefront6targetE1EEEvSL_ ; -- Begin function _ZN7rocprim17ROCPRIM_400000_NS6detail17trampoline_kernelINS0_14default_configENS1_38merge_sort_block_merge_config_selectorIbiEEZZNS1_27merge_sort_block_merge_implIS3_N6thrust23THRUST_200600_302600_NS6detail15normal_iteratorINS8_10device_ptrIbEEEENSA_INSB_IiEEEEjNS1_19radix_merge_compareILb1ELb0EbNS0_19identity_decomposerEEEEE10hipError_tT0_T1_T2_jT3_P12ihipStream_tbPNSt15iterator_traitsISK_E10value_typeEPNSQ_ISL_E10value_typeEPSM_NS1_7vsmem_tEENKUlT_SK_SL_SM_E_clIPbSD_PiSF_EESJ_SZ_SK_SL_SM_EUlSZ_E_NS1_11comp_targetILNS1_3genE2ELNS1_11target_archE906ELNS1_3gpuE6ELNS1_3repE0EEENS1_48merge_mergepath_partition_config_static_selectorELNS0_4arch9wavefront6targetE1EEEvSL_
	.globl	_ZN7rocprim17ROCPRIM_400000_NS6detail17trampoline_kernelINS0_14default_configENS1_38merge_sort_block_merge_config_selectorIbiEEZZNS1_27merge_sort_block_merge_implIS3_N6thrust23THRUST_200600_302600_NS6detail15normal_iteratorINS8_10device_ptrIbEEEENSA_INSB_IiEEEEjNS1_19radix_merge_compareILb1ELb0EbNS0_19identity_decomposerEEEEE10hipError_tT0_T1_T2_jT3_P12ihipStream_tbPNSt15iterator_traitsISK_E10value_typeEPNSQ_ISL_E10value_typeEPSM_NS1_7vsmem_tEENKUlT_SK_SL_SM_E_clIPbSD_PiSF_EESJ_SZ_SK_SL_SM_EUlSZ_E_NS1_11comp_targetILNS1_3genE2ELNS1_11target_archE906ELNS1_3gpuE6ELNS1_3repE0EEENS1_48merge_mergepath_partition_config_static_selectorELNS0_4arch9wavefront6targetE1EEEvSL_
	.p2align	8
	.type	_ZN7rocprim17ROCPRIM_400000_NS6detail17trampoline_kernelINS0_14default_configENS1_38merge_sort_block_merge_config_selectorIbiEEZZNS1_27merge_sort_block_merge_implIS3_N6thrust23THRUST_200600_302600_NS6detail15normal_iteratorINS8_10device_ptrIbEEEENSA_INSB_IiEEEEjNS1_19radix_merge_compareILb1ELb0EbNS0_19identity_decomposerEEEEE10hipError_tT0_T1_T2_jT3_P12ihipStream_tbPNSt15iterator_traitsISK_E10value_typeEPNSQ_ISL_E10value_typeEPSM_NS1_7vsmem_tEENKUlT_SK_SL_SM_E_clIPbSD_PiSF_EESJ_SZ_SK_SL_SM_EUlSZ_E_NS1_11comp_targetILNS1_3genE2ELNS1_11target_archE906ELNS1_3gpuE6ELNS1_3repE0EEENS1_48merge_mergepath_partition_config_static_selectorELNS0_4arch9wavefront6targetE1EEEvSL_,@function
_ZN7rocprim17ROCPRIM_400000_NS6detail17trampoline_kernelINS0_14default_configENS1_38merge_sort_block_merge_config_selectorIbiEEZZNS1_27merge_sort_block_merge_implIS3_N6thrust23THRUST_200600_302600_NS6detail15normal_iteratorINS8_10device_ptrIbEEEENSA_INSB_IiEEEEjNS1_19radix_merge_compareILb1ELb0EbNS0_19identity_decomposerEEEEE10hipError_tT0_T1_T2_jT3_P12ihipStream_tbPNSt15iterator_traitsISK_E10value_typeEPNSQ_ISL_E10value_typeEPSM_NS1_7vsmem_tEENKUlT_SK_SL_SM_E_clIPbSD_PiSF_EESJ_SZ_SK_SL_SM_EUlSZ_E_NS1_11comp_targetILNS1_3genE2ELNS1_11target_archE906ELNS1_3gpuE6ELNS1_3repE0EEENS1_48merge_mergepath_partition_config_static_selectorELNS0_4arch9wavefront6targetE1EEEvSL_: ; @_ZN7rocprim17ROCPRIM_400000_NS6detail17trampoline_kernelINS0_14default_configENS1_38merge_sort_block_merge_config_selectorIbiEEZZNS1_27merge_sort_block_merge_implIS3_N6thrust23THRUST_200600_302600_NS6detail15normal_iteratorINS8_10device_ptrIbEEEENSA_INSB_IiEEEEjNS1_19radix_merge_compareILb1ELb0EbNS0_19identity_decomposerEEEEE10hipError_tT0_T1_T2_jT3_P12ihipStream_tbPNSt15iterator_traitsISK_E10value_typeEPNSQ_ISL_E10value_typeEPSM_NS1_7vsmem_tEENKUlT_SK_SL_SM_E_clIPbSD_PiSF_EESJ_SZ_SK_SL_SM_EUlSZ_E_NS1_11comp_targetILNS1_3genE2ELNS1_11target_archE906ELNS1_3gpuE6ELNS1_3repE0EEENS1_48merge_mergepath_partition_config_static_selectorELNS0_4arch9wavefront6targetE1EEEvSL_
; %bb.0:
	.section	.rodata,"a",@progbits
	.p2align	6, 0x0
	.amdhsa_kernel _ZN7rocprim17ROCPRIM_400000_NS6detail17trampoline_kernelINS0_14default_configENS1_38merge_sort_block_merge_config_selectorIbiEEZZNS1_27merge_sort_block_merge_implIS3_N6thrust23THRUST_200600_302600_NS6detail15normal_iteratorINS8_10device_ptrIbEEEENSA_INSB_IiEEEEjNS1_19radix_merge_compareILb1ELb0EbNS0_19identity_decomposerEEEEE10hipError_tT0_T1_T2_jT3_P12ihipStream_tbPNSt15iterator_traitsISK_E10value_typeEPNSQ_ISL_E10value_typeEPSM_NS1_7vsmem_tEENKUlT_SK_SL_SM_E_clIPbSD_PiSF_EESJ_SZ_SK_SL_SM_EUlSZ_E_NS1_11comp_targetILNS1_3genE2ELNS1_11target_archE906ELNS1_3gpuE6ELNS1_3repE0EEENS1_48merge_mergepath_partition_config_static_selectorELNS0_4arch9wavefront6targetE1EEEvSL_
		.amdhsa_group_segment_fixed_size 0
		.amdhsa_private_segment_fixed_size 0
		.amdhsa_kernarg_size 40
		.amdhsa_user_sgpr_count 2
		.amdhsa_user_sgpr_dispatch_ptr 0
		.amdhsa_user_sgpr_queue_ptr 0
		.amdhsa_user_sgpr_kernarg_segment_ptr 1
		.amdhsa_user_sgpr_dispatch_id 0
		.amdhsa_user_sgpr_kernarg_preload_length 0
		.amdhsa_user_sgpr_kernarg_preload_offset 0
		.amdhsa_user_sgpr_private_segment_size 0
		.amdhsa_uses_dynamic_stack 0
		.amdhsa_enable_private_segment 0
		.amdhsa_system_sgpr_workgroup_id_x 1
		.amdhsa_system_sgpr_workgroup_id_y 0
		.amdhsa_system_sgpr_workgroup_id_z 0
		.amdhsa_system_sgpr_workgroup_info 0
		.amdhsa_system_vgpr_workitem_id 0
		.amdhsa_next_free_vgpr 1
		.amdhsa_next_free_sgpr 0
		.amdhsa_accum_offset 4
		.amdhsa_reserve_vcc 0
		.amdhsa_float_round_mode_32 0
		.amdhsa_float_round_mode_16_64 0
		.amdhsa_float_denorm_mode_32 3
		.amdhsa_float_denorm_mode_16_64 3
		.amdhsa_dx10_clamp 1
		.amdhsa_ieee_mode 1
		.amdhsa_fp16_overflow 0
		.amdhsa_tg_split 0
		.amdhsa_exception_fp_ieee_invalid_op 0
		.amdhsa_exception_fp_denorm_src 0
		.amdhsa_exception_fp_ieee_div_zero 0
		.amdhsa_exception_fp_ieee_overflow 0
		.amdhsa_exception_fp_ieee_underflow 0
		.amdhsa_exception_fp_ieee_inexact 0
		.amdhsa_exception_int_div_zero 0
	.end_amdhsa_kernel
	.section	.text._ZN7rocprim17ROCPRIM_400000_NS6detail17trampoline_kernelINS0_14default_configENS1_38merge_sort_block_merge_config_selectorIbiEEZZNS1_27merge_sort_block_merge_implIS3_N6thrust23THRUST_200600_302600_NS6detail15normal_iteratorINS8_10device_ptrIbEEEENSA_INSB_IiEEEEjNS1_19radix_merge_compareILb1ELb0EbNS0_19identity_decomposerEEEEE10hipError_tT0_T1_T2_jT3_P12ihipStream_tbPNSt15iterator_traitsISK_E10value_typeEPNSQ_ISL_E10value_typeEPSM_NS1_7vsmem_tEENKUlT_SK_SL_SM_E_clIPbSD_PiSF_EESJ_SZ_SK_SL_SM_EUlSZ_E_NS1_11comp_targetILNS1_3genE2ELNS1_11target_archE906ELNS1_3gpuE6ELNS1_3repE0EEENS1_48merge_mergepath_partition_config_static_selectorELNS0_4arch9wavefront6targetE1EEEvSL_,"axG",@progbits,_ZN7rocprim17ROCPRIM_400000_NS6detail17trampoline_kernelINS0_14default_configENS1_38merge_sort_block_merge_config_selectorIbiEEZZNS1_27merge_sort_block_merge_implIS3_N6thrust23THRUST_200600_302600_NS6detail15normal_iteratorINS8_10device_ptrIbEEEENSA_INSB_IiEEEEjNS1_19radix_merge_compareILb1ELb0EbNS0_19identity_decomposerEEEEE10hipError_tT0_T1_T2_jT3_P12ihipStream_tbPNSt15iterator_traitsISK_E10value_typeEPNSQ_ISL_E10value_typeEPSM_NS1_7vsmem_tEENKUlT_SK_SL_SM_E_clIPbSD_PiSF_EESJ_SZ_SK_SL_SM_EUlSZ_E_NS1_11comp_targetILNS1_3genE2ELNS1_11target_archE906ELNS1_3gpuE6ELNS1_3repE0EEENS1_48merge_mergepath_partition_config_static_selectorELNS0_4arch9wavefront6targetE1EEEvSL_,comdat
.Lfunc_end2109:
	.size	_ZN7rocprim17ROCPRIM_400000_NS6detail17trampoline_kernelINS0_14default_configENS1_38merge_sort_block_merge_config_selectorIbiEEZZNS1_27merge_sort_block_merge_implIS3_N6thrust23THRUST_200600_302600_NS6detail15normal_iteratorINS8_10device_ptrIbEEEENSA_INSB_IiEEEEjNS1_19radix_merge_compareILb1ELb0EbNS0_19identity_decomposerEEEEE10hipError_tT0_T1_T2_jT3_P12ihipStream_tbPNSt15iterator_traitsISK_E10value_typeEPNSQ_ISL_E10value_typeEPSM_NS1_7vsmem_tEENKUlT_SK_SL_SM_E_clIPbSD_PiSF_EESJ_SZ_SK_SL_SM_EUlSZ_E_NS1_11comp_targetILNS1_3genE2ELNS1_11target_archE906ELNS1_3gpuE6ELNS1_3repE0EEENS1_48merge_mergepath_partition_config_static_selectorELNS0_4arch9wavefront6targetE1EEEvSL_, .Lfunc_end2109-_ZN7rocprim17ROCPRIM_400000_NS6detail17trampoline_kernelINS0_14default_configENS1_38merge_sort_block_merge_config_selectorIbiEEZZNS1_27merge_sort_block_merge_implIS3_N6thrust23THRUST_200600_302600_NS6detail15normal_iteratorINS8_10device_ptrIbEEEENSA_INSB_IiEEEEjNS1_19radix_merge_compareILb1ELb0EbNS0_19identity_decomposerEEEEE10hipError_tT0_T1_T2_jT3_P12ihipStream_tbPNSt15iterator_traitsISK_E10value_typeEPNSQ_ISL_E10value_typeEPSM_NS1_7vsmem_tEENKUlT_SK_SL_SM_E_clIPbSD_PiSF_EESJ_SZ_SK_SL_SM_EUlSZ_E_NS1_11comp_targetILNS1_3genE2ELNS1_11target_archE906ELNS1_3gpuE6ELNS1_3repE0EEENS1_48merge_mergepath_partition_config_static_selectorELNS0_4arch9wavefront6targetE1EEEvSL_
                                        ; -- End function
	.set _ZN7rocprim17ROCPRIM_400000_NS6detail17trampoline_kernelINS0_14default_configENS1_38merge_sort_block_merge_config_selectorIbiEEZZNS1_27merge_sort_block_merge_implIS3_N6thrust23THRUST_200600_302600_NS6detail15normal_iteratorINS8_10device_ptrIbEEEENSA_INSB_IiEEEEjNS1_19radix_merge_compareILb1ELb0EbNS0_19identity_decomposerEEEEE10hipError_tT0_T1_T2_jT3_P12ihipStream_tbPNSt15iterator_traitsISK_E10value_typeEPNSQ_ISL_E10value_typeEPSM_NS1_7vsmem_tEENKUlT_SK_SL_SM_E_clIPbSD_PiSF_EESJ_SZ_SK_SL_SM_EUlSZ_E_NS1_11comp_targetILNS1_3genE2ELNS1_11target_archE906ELNS1_3gpuE6ELNS1_3repE0EEENS1_48merge_mergepath_partition_config_static_selectorELNS0_4arch9wavefront6targetE1EEEvSL_.num_vgpr, 0
	.set _ZN7rocprim17ROCPRIM_400000_NS6detail17trampoline_kernelINS0_14default_configENS1_38merge_sort_block_merge_config_selectorIbiEEZZNS1_27merge_sort_block_merge_implIS3_N6thrust23THRUST_200600_302600_NS6detail15normal_iteratorINS8_10device_ptrIbEEEENSA_INSB_IiEEEEjNS1_19radix_merge_compareILb1ELb0EbNS0_19identity_decomposerEEEEE10hipError_tT0_T1_T2_jT3_P12ihipStream_tbPNSt15iterator_traitsISK_E10value_typeEPNSQ_ISL_E10value_typeEPSM_NS1_7vsmem_tEENKUlT_SK_SL_SM_E_clIPbSD_PiSF_EESJ_SZ_SK_SL_SM_EUlSZ_E_NS1_11comp_targetILNS1_3genE2ELNS1_11target_archE906ELNS1_3gpuE6ELNS1_3repE0EEENS1_48merge_mergepath_partition_config_static_selectorELNS0_4arch9wavefront6targetE1EEEvSL_.num_agpr, 0
	.set _ZN7rocprim17ROCPRIM_400000_NS6detail17trampoline_kernelINS0_14default_configENS1_38merge_sort_block_merge_config_selectorIbiEEZZNS1_27merge_sort_block_merge_implIS3_N6thrust23THRUST_200600_302600_NS6detail15normal_iteratorINS8_10device_ptrIbEEEENSA_INSB_IiEEEEjNS1_19radix_merge_compareILb1ELb0EbNS0_19identity_decomposerEEEEE10hipError_tT0_T1_T2_jT3_P12ihipStream_tbPNSt15iterator_traitsISK_E10value_typeEPNSQ_ISL_E10value_typeEPSM_NS1_7vsmem_tEENKUlT_SK_SL_SM_E_clIPbSD_PiSF_EESJ_SZ_SK_SL_SM_EUlSZ_E_NS1_11comp_targetILNS1_3genE2ELNS1_11target_archE906ELNS1_3gpuE6ELNS1_3repE0EEENS1_48merge_mergepath_partition_config_static_selectorELNS0_4arch9wavefront6targetE1EEEvSL_.numbered_sgpr, 0
	.set _ZN7rocprim17ROCPRIM_400000_NS6detail17trampoline_kernelINS0_14default_configENS1_38merge_sort_block_merge_config_selectorIbiEEZZNS1_27merge_sort_block_merge_implIS3_N6thrust23THRUST_200600_302600_NS6detail15normal_iteratorINS8_10device_ptrIbEEEENSA_INSB_IiEEEEjNS1_19radix_merge_compareILb1ELb0EbNS0_19identity_decomposerEEEEE10hipError_tT0_T1_T2_jT3_P12ihipStream_tbPNSt15iterator_traitsISK_E10value_typeEPNSQ_ISL_E10value_typeEPSM_NS1_7vsmem_tEENKUlT_SK_SL_SM_E_clIPbSD_PiSF_EESJ_SZ_SK_SL_SM_EUlSZ_E_NS1_11comp_targetILNS1_3genE2ELNS1_11target_archE906ELNS1_3gpuE6ELNS1_3repE0EEENS1_48merge_mergepath_partition_config_static_selectorELNS0_4arch9wavefront6targetE1EEEvSL_.num_named_barrier, 0
	.set _ZN7rocprim17ROCPRIM_400000_NS6detail17trampoline_kernelINS0_14default_configENS1_38merge_sort_block_merge_config_selectorIbiEEZZNS1_27merge_sort_block_merge_implIS3_N6thrust23THRUST_200600_302600_NS6detail15normal_iteratorINS8_10device_ptrIbEEEENSA_INSB_IiEEEEjNS1_19radix_merge_compareILb1ELb0EbNS0_19identity_decomposerEEEEE10hipError_tT0_T1_T2_jT3_P12ihipStream_tbPNSt15iterator_traitsISK_E10value_typeEPNSQ_ISL_E10value_typeEPSM_NS1_7vsmem_tEENKUlT_SK_SL_SM_E_clIPbSD_PiSF_EESJ_SZ_SK_SL_SM_EUlSZ_E_NS1_11comp_targetILNS1_3genE2ELNS1_11target_archE906ELNS1_3gpuE6ELNS1_3repE0EEENS1_48merge_mergepath_partition_config_static_selectorELNS0_4arch9wavefront6targetE1EEEvSL_.private_seg_size, 0
	.set _ZN7rocprim17ROCPRIM_400000_NS6detail17trampoline_kernelINS0_14default_configENS1_38merge_sort_block_merge_config_selectorIbiEEZZNS1_27merge_sort_block_merge_implIS3_N6thrust23THRUST_200600_302600_NS6detail15normal_iteratorINS8_10device_ptrIbEEEENSA_INSB_IiEEEEjNS1_19radix_merge_compareILb1ELb0EbNS0_19identity_decomposerEEEEE10hipError_tT0_T1_T2_jT3_P12ihipStream_tbPNSt15iterator_traitsISK_E10value_typeEPNSQ_ISL_E10value_typeEPSM_NS1_7vsmem_tEENKUlT_SK_SL_SM_E_clIPbSD_PiSF_EESJ_SZ_SK_SL_SM_EUlSZ_E_NS1_11comp_targetILNS1_3genE2ELNS1_11target_archE906ELNS1_3gpuE6ELNS1_3repE0EEENS1_48merge_mergepath_partition_config_static_selectorELNS0_4arch9wavefront6targetE1EEEvSL_.uses_vcc, 0
	.set _ZN7rocprim17ROCPRIM_400000_NS6detail17trampoline_kernelINS0_14default_configENS1_38merge_sort_block_merge_config_selectorIbiEEZZNS1_27merge_sort_block_merge_implIS3_N6thrust23THRUST_200600_302600_NS6detail15normal_iteratorINS8_10device_ptrIbEEEENSA_INSB_IiEEEEjNS1_19radix_merge_compareILb1ELb0EbNS0_19identity_decomposerEEEEE10hipError_tT0_T1_T2_jT3_P12ihipStream_tbPNSt15iterator_traitsISK_E10value_typeEPNSQ_ISL_E10value_typeEPSM_NS1_7vsmem_tEENKUlT_SK_SL_SM_E_clIPbSD_PiSF_EESJ_SZ_SK_SL_SM_EUlSZ_E_NS1_11comp_targetILNS1_3genE2ELNS1_11target_archE906ELNS1_3gpuE6ELNS1_3repE0EEENS1_48merge_mergepath_partition_config_static_selectorELNS0_4arch9wavefront6targetE1EEEvSL_.uses_flat_scratch, 0
	.set _ZN7rocprim17ROCPRIM_400000_NS6detail17trampoline_kernelINS0_14default_configENS1_38merge_sort_block_merge_config_selectorIbiEEZZNS1_27merge_sort_block_merge_implIS3_N6thrust23THRUST_200600_302600_NS6detail15normal_iteratorINS8_10device_ptrIbEEEENSA_INSB_IiEEEEjNS1_19radix_merge_compareILb1ELb0EbNS0_19identity_decomposerEEEEE10hipError_tT0_T1_T2_jT3_P12ihipStream_tbPNSt15iterator_traitsISK_E10value_typeEPNSQ_ISL_E10value_typeEPSM_NS1_7vsmem_tEENKUlT_SK_SL_SM_E_clIPbSD_PiSF_EESJ_SZ_SK_SL_SM_EUlSZ_E_NS1_11comp_targetILNS1_3genE2ELNS1_11target_archE906ELNS1_3gpuE6ELNS1_3repE0EEENS1_48merge_mergepath_partition_config_static_selectorELNS0_4arch9wavefront6targetE1EEEvSL_.has_dyn_sized_stack, 0
	.set _ZN7rocprim17ROCPRIM_400000_NS6detail17trampoline_kernelINS0_14default_configENS1_38merge_sort_block_merge_config_selectorIbiEEZZNS1_27merge_sort_block_merge_implIS3_N6thrust23THRUST_200600_302600_NS6detail15normal_iteratorINS8_10device_ptrIbEEEENSA_INSB_IiEEEEjNS1_19radix_merge_compareILb1ELb0EbNS0_19identity_decomposerEEEEE10hipError_tT0_T1_T2_jT3_P12ihipStream_tbPNSt15iterator_traitsISK_E10value_typeEPNSQ_ISL_E10value_typeEPSM_NS1_7vsmem_tEENKUlT_SK_SL_SM_E_clIPbSD_PiSF_EESJ_SZ_SK_SL_SM_EUlSZ_E_NS1_11comp_targetILNS1_3genE2ELNS1_11target_archE906ELNS1_3gpuE6ELNS1_3repE0EEENS1_48merge_mergepath_partition_config_static_selectorELNS0_4arch9wavefront6targetE1EEEvSL_.has_recursion, 0
	.set _ZN7rocprim17ROCPRIM_400000_NS6detail17trampoline_kernelINS0_14default_configENS1_38merge_sort_block_merge_config_selectorIbiEEZZNS1_27merge_sort_block_merge_implIS3_N6thrust23THRUST_200600_302600_NS6detail15normal_iteratorINS8_10device_ptrIbEEEENSA_INSB_IiEEEEjNS1_19radix_merge_compareILb1ELb0EbNS0_19identity_decomposerEEEEE10hipError_tT0_T1_T2_jT3_P12ihipStream_tbPNSt15iterator_traitsISK_E10value_typeEPNSQ_ISL_E10value_typeEPSM_NS1_7vsmem_tEENKUlT_SK_SL_SM_E_clIPbSD_PiSF_EESJ_SZ_SK_SL_SM_EUlSZ_E_NS1_11comp_targetILNS1_3genE2ELNS1_11target_archE906ELNS1_3gpuE6ELNS1_3repE0EEENS1_48merge_mergepath_partition_config_static_selectorELNS0_4arch9wavefront6targetE1EEEvSL_.has_indirect_call, 0
	.section	.AMDGPU.csdata,"",@progbits
; Kernel info:
; codeLenInByte = 0
; TotalNumSgprs: 6
; NumVgprs: 0
; NumAgprs: 0
; TotalNumVgprs: 0
; ScratchSize: 0
; MemoryBound: 0
; FloatMode: 240
; IeeeMode: 1
; LDSByteSize: 0 bytes/workgroup (compile time only)
; SGPRBlocks: 0
; VGPRBlocks: 0
; NumSGPRsForWavesPerEU: 6
; NumVGPRsForWavesPerEU: 1
; AccumOffset: 4
; Occupancy: 8
; WaveLimiterHint : 0
; COMPUTE_PGM_RSRC2:SCRATCH_EN: 0
; COMPUTE_PGM_RSRC2:USER_SGPR: 2
; COMPUTE_PGM_RSRC2:TRAP_HANDLER: 0
; COMPUTE_PGM_RSRC2:TGID_X_EN: 1
; COMPUTE_PGM_RSRC2:TGID_Y_EN: 0
; COMPUTE_PGM_RSRC2:TGID_Z_EN: 0
; COMPUTE_PGM_RSRC2:TIDIG_COMP_CNT: 0
; COMPUTE_PGM_RSRC3_GFX90A:ACCUM_OFFSET: 0
; COMPUTE_PGM_RSRC3_GFX90A:TG_SPLIT: 0
	.section	.text._ZN7rocprim17ROCPRIM_400000_NS6detail17trampoline_kernelINS0_14default_configENS1_38merge_sort_block_merge_config_selectorIbiEEZZNS1_27merge_sort_block_merge_implIS3_N6thrust23THRUST_200600_302600_NS6detail15normal_iteratorINS8_10device_ptrIbEEEENSA_INSB_IiEEEEjNS1_19radix_merge_compareILb1ELb0EbNS0_19identity_decomposerEEEEE10hipError_tT0_T1_T2_jT3_P12ihipStream_tbPNSt15iterator_traitsISK_E10value_typeEPNSQ_ISL_E10value_typeEPSM_NS1_7vsmem_tEENKUlT_SK_SL_SM_E_clIPbSD_PiSF_EESJ_SZ_SK_SL_SM_EUlSZ_E_NS1_11comp_targetILNS1_3genE9ELNS1_11target_archE1100ELNS1_3gpuE3ELNS1_3repE0EEENS1_48merge_mergepath_partition_config_static_selectorELNS0_4arch9wavefront6targetE1EEEvSL_,"axG",@progbits,_ZN7rocprim17ROCPRIM_400000_NS6detail17trampoline_kernelINS0_14default_configENS1_38merge_sort_block_merge_config_selectorIbiEEZZNS1_27merge_sort_block_merge_implIS3_N6thrust23THRUST_200600_302600_NS6detail15normal_iteratorINS8_10device_ptrIbEEEENSA_INSB_IiEEEEjNS1_19radix_merge_compareILb1ELb0EbNS0_19identity_decomposerEEEEE10hipError_tT0_T1_T2_jT3_P12ihipStream_tbPNSt15iterator_traitsISK_E10value_typeEPNSQ_ISL_E10value_typeEPSM_NS1_7vsmem_tEENKUlT_SK_SL_SM_E_clIPbSD_PiSF_EESJ_SZ_SK_SL_SM_EUlSZ_E_NS1_11comp_targetILNS1_3genE9ELNS1_11target_archE1100ELNS1_3gpuE3ELNS1_3repE0EEENS1_48merge_mergepath_partition_config_static_selectorELNS0_4arch9wavefront6targetE1EEEvSL_,comdat
	.protected	_ZN7rocprim17ROCPRIM_400000_NS6detail17trampoline_kernelINS0_14default_configENS1_38merge_sort_block_merge_config_selectorIbiEEZZNS1_27merge_sort_block_merge_implIS3_N6thrust23THRUST_200600_302600_NS6detail15normal_iteratorINS8_10device_ptrIbEEEENSA_INSB_IiEEEEjNS1_19radix_merge_compareILb1ELb0EbNS0_19identity_decomposerEEEEE10hipError_tT0_T1_T2_jT3_P12ihipStream_tbPNSt15iterator_traitsISK_E10value_typeEPNSQ_ISL_E10value_typeEPSM_NS1_7vsmem_tEENKUlT_SK_SL_SM_E_clIPbSD_PiSF_EESJ_SZ_SK_SL_SM_EUlSZ_E_NS1_11comp_targetILNS1_3genE9ELNS1_11target_archE1100ELNS1_3gpuE3ELNS1_3repE0EEENS1_48merge_mergepath_partition_config_static_selectorELNS0_4arch9wavefront6targetE1EEEvSL_ ; -- Begin function _ZN7rocprim17ROCPRIM_400000_NS6detail17trampoline_kernelINS0_14default_configENS1_38merge_sort_block_merge_config_selectorIbiEEZZNS1_27merge_sort_block_merge_implIS3_N6thrust23THRUST_200600_302600_NS6detail15normal_iteratorINS8_10device_ptrIbEEEENSA_INSB_IiEEEEjNS1_19radix_merge_compareILb1ELb0EbNS0_19identity_decomposerEEEEE10hipError_tT0_T1_T2_jT3_P12ihipStream_tbPNSt15iterator_traitsISK_E10value_typeEPNSQ_ISL_E10value_typeEPSM_NS1_7vsmem_tEENKUlT_SK_SL_SM_E_clIPbSD_PiSF_EESJ_SZ_SK_SL_SM_EUlSZ_E_NS1_11comp_targetILNS1_3genE9ELNS1_11target_archE1100ELNS1_3gpuE3ELNS1_3repE0EEENS1_48merge_mergepath_partition_config_static_selectorELNS0_4arch9wavefront6targetE1EEEvSL_
	.globl	_ZN7rocprim17ROCPRIM_400000_NS6detail17trampoline_kernelINS0_14default_configENS1_38merge_sort_block_merge_config_selectorIbiEEZZNS1_27merge_sort_block_merge_implIS3_N6thrust23THRUST_200600_302600_NS6detail15normal_iteratorINS8_10device_ptrIbEEEENSA_INSB_IiEEEEjNS1_19radix_merge_compareILb1ELb0EbNS0_19identity_decomposerEEEEE10hipError_tT0_T1_T2_jT3_P12ihipStream_tbPNSt15iterator_traitsISK_E10value_typeEPNSQ_ISL_E10value_typeEPSM_NS1_7vsmem_tEENKUlT_SK_SL_SM_E_clIPbSD_PiSF_EESJ_SZ_SK_SL_SM_EUlSZ_E_NS1_11comp_targetILNS1_3genE9ELNS1_11target_archE1100ELNS1_3gpuE3ELNS1_3repE0EEENS1_48merge_mergepath_partition_config_static_selectorELNS0_4arch9wavefront6targetE1EEEvSL_
	.p2align	8
	.type	_ZN7rocprim17ROCPRIM_400000_NS6detail17trampoline_kernelINS0_14default_configENS1_38merge_sort_block_merge_config_selectorIbiEEZZNS1_27merge_sort_block_merge_implIS3_N6thrust23THRUST_200600_302600_NS6detail15normal_iteratorINS8_10device_ptrIbEEEENSA_INSB_IiEEEEjNS1_19radix_merge_compareILb1ELb0EbNS0_19identity_decomposerEEEEE10hipError_tT0_T1_T2_jT3_P12ihipStream_tbPNSt15iterator_traitsISK_E10value_typeEPNSQ_ISL_E10value_typeEPSM_NS1_7vsmem_tEENKUlT_SK_SL_SM_E_clIPbSD_PiSF_EESJ_SZ_SK_SL_SM_EUlSZ_E_NS1_11comp_targetILNS1_3genE9ELNS1_11target_archE1100ELNS1_3gpuE3ELNS1_3repE0EEENS1_48merge_mergepath_partition_config_static_selectorELNS0_4arch9wavefront6targetE1EEEvSL_,@function
_ZN7rocprim17ROCPRIM_400000_NS6detail17trampoline_kernelINS0_14default_configENS1_38merge_sort_block_merge_config_selectorIbiEEZZNS1_27merge_sort_block_merge_implIS3_N6thrust23THRUST_200600_302600_NS6detail15normal_iteratorINS8_10device_ptrIbEEEENSA_INSB_IiEEEEjNS1_19radix_merge_compareILb1ELb0EbNS0_19identity_decomposerEEEEE10hipError_tT0_T1_T2_jT3_P12ihipStream_tbPNSt15iterator_traitsISK_E10value_typeEPNSQ_ISL_E10value_typeEPSM_NS1_7vsmem_tEENKUlT_SK_SL_SM_E_clIPbSD_PiSF_EESJ_SZ_SK_SL_SM_EUlSZ_E_NS1_11comp_targetILNS1_3genE9ELNS1_11target_archE1100ELNS1_3gpuE3ELNS1_3repE0EEENS1_48merge_mergepath_partition_config_static_selectorELNS0_4arch9wavefront6targetE1EEEvSL_: ; @_ZN7rocprim17ROCPRIM_400000_NS6detail17trampoline_kernelINS0_14default_configENS1_38merge_sort_block_merge_config_selectorIbiEEZZNS1_27merge_sort_block_merge_implIS3_N6thrust23THRUST_200600_302600_NS6detail15normal_iteratorINS8_10device_ptrIbEEEENSA_INSB_IiEEEEjNS1_19radix_merge_compareILb1ELb0EbNS0_19identity_decomposerEEEEE10hipError_tT0_T1_T2_jT3_P12ihipStream_tbPNSt15iterator_traitsISK_E10value_typeEPNSQ_ISL_E10value_typeEPSM_NS1_7vsmem_tEENKUlT_SK_SL_SM_E_clIPbSD_PiSF_EESJ_SZ_SK_SL_SM_EUlSZ_E_NS1_11comp_targetILNS1_3genE9ELNS1_11target_archE1100ELNS1_3gpuE3ELNS1_3repE0EEENS1_48merge_mergepath_partition_config_static_selectorELNS0_4arch9wavefront6targetE1EEEvSL_
; %bb.0:
	.section	.rodata,"a",@progbits
	.p2align	6, 0x0
	.amdhsa_kernel _ZN7rocprim17ROCPRIM_400000_NS6detail17trampoline_kernelINS0_14default_configENS1_38merge_sort_block_merge_config_selectorIbiEEZZNS1_27merge_sort_block_merge_implIS3_N6thrust23THRUST_200600_302600_NS6detail15normal_iteratorINS8_10device_ptrIbEEEENSA_INSB_IiEEEEjNS1_19radix_merge_compareILb1ELb0EbNS0_19identity_decomposerEEEEE10hipError_tT0_T1_T2_jT3_P12ihipStream_tbPNSt15iterator_traitsISK_E10value_typeEPNSQ_ISL_E10value_typeEPSM_NS1_7vsmem_tEENKUlT_SK_SL_SM_E_clIPbSD_PiSF_EESJ_SZ_SK_SL_SM_EUlSZ_E_NS1_11comp_targetILNS1_3genE9ELNS1_11target_archE1100ELNS1_3gpuE3ELNS1_3repE0EEENS1_48merge_mergepath_partition_config_static_selectorELNS0_4arch9wavefront6targetE1EEEvSL_
		.amdhsa_group_segment_fixed_size 0
		.amdhsa_private_segment_fixed_size 0
		.amdhsa_kernarg_size 40
		.amdhsa_user_sgpr_count 2
		.amdhsa_user_sgpr_dispatch_ptr 0
		.amdhsa_user_sgpr_queue_ptr 0
		.amdhsa_user_sgpr_kernarg_segment_ptr 1
		.amdhsa_user_sgpr_dispatch_id 0
		.amdhsa_user_sgpr_kernarg_preload_length 0
		.amdhsa_user_sgpr_kernarg_preload_offset 0
		.amdhsa_user_sgpr_private_segment_size 0
		.amdhsa_uses_dynamic_stack 0
		.amdhsa_enable_private_segment 0
		.amdhsa_system_sgpr_workgroup_id_x 1
		.amdhsa_system_sgpr_workgroup_id_y 0
		.amdhsa_system_sgpr_workgroup_id_z 0
		.amdhsa_system_sgpr_workgroup_info 0
		.amdhsa_system_vgpr_workitem_id 0
		.amdhsa_next_free_vgpr 1
		.amdhsa_next_free_sgpr 0
		.amdhsa_accum_offset 4
		.amdhsa_reserve_vcc 0
		.amdhsa_float_round_mode_32 0
		.amdhsa_float_round_mode_16_64 0
		.amdhsa_float_denorm_mode_32 3
		.amdhsa_float_denorm_mode_16_64 3
		.amdhsa_dx10_clamp 1
		.amdhsa_ieee_mode 1
		.amdhsa_fp16_overflow 0
		.amdhsa_tg_split 0
		.amdhsa_exception_fp_ieee_invalid_op 0
		.amdhsa_exception_fp_denorm_src 0
		.amdhsa_exception_fp_ieee_div_zero 0
		.amdhsa_exception_fp_ieee_overflow 0
		.amdhsa_exception_fp_ieee_underflow 0
		.amdhsa_exception_fp_ieee_inexact 0
		.amdhsa_exception_int_div_zero 0
	.end_amdhsa_kernel
	.section	.text._ZN7rocprim17ROCPRIM_400000_NS6detail17trampoline_kernelINS0_14default_configENS1_38merge_sort_block_merge_config_selectorIbiEEZZNS1_27merge_sort_block_merge_implIS3_N6thrust23THRUST_200600_302600_NS6detail15normal_iteratorINS8_10device_ptrIbEEEENSA_INSB_IiEEEEjNS1_19radix_merge_compareILb1ELb0EbNS0_19identity_decomposerEEEEE10hipError_tT0_T1_T2_jT3_P12ihipStream_tbPNSt15iterator_traitsISK_E10value_typeEPNSQ_ISL_E10value_typeEPSM_NS1_7vsmem_tEENKUlT_SK_SL_SM_E_clIPbSD_PiSF_EESJ_SZ_SK_SL_SM_EUlSZ_E_NS1_11comp_targetILNS1_3genE9ELNS1_11target_archE1100ELNS1_3gpuE3ELNS1_3repE0EEENS1_48merge_mergepath_partition_config_static_selectorELNS0_4arch9wavefront6targetE1EEEvSL_,"axG",@progbits,_ZN7rocprim17ROCPRIM_400000_NS6detail17trampoline_kernelINS0_14default_configENS1_38merge_sort_block_merge_config_selectorIbiEEZZNS1_27merge_sort_block_merge_implIS3_N6thrust23THRUST_200600_302600_NS6detail15normal_iteratorINS8_10device_ptrIbEEEENSA_INSB_IiEEEEjNS1_19radix_merge_compareILb1ELb0EbNS0_19identity_decomposerEEEEE10hipError_tT0_T1_T2_jT3_P12ihipStream_tbPNSt15iterator_traitsISK_E10value_typeEPNSQ_ISL_E10value_typeEPSM_NS1_7vsmem_tEENKUlT_SK_SL_SM_E_clIPbSD_PiSF_EESJ_SZ_SK_SL_SM_EUlSZ_E_NS1_11comp_targetILNS1_3genE9ELNS1_11target_archE1100ELNS1_3gpuE3ELNS1_3repE0EEENS1_48merge_mergepath_partition_config_static_selectorELNS0_4arch9wavefront6targetE1EEEvSL_,comdat
.Lfunc_end2110:
	.size	_ZN7rocprim17ROCPRIM_400000_NS6detail17trampoline_kernelINS0_14default_configENS1_38merge_sort_block_merge_config_selectorIbiEEZZNS1_27merge_sort_block_merge_implIS3_N6thrust23THRUST_200600_302600_NS6detail15normal_iteratorINS8_10device_ptrIbEEEENSA_INSB_IiEEEEjNS1_19radix_merge_compareILb1ELb0EbNS0_19identity_decomposerEEEEE10hipError_tT0_T1_T2_jT3_P12ihipStream_tbPNSt15iterator_traitsISK_E10value_typeEPNSQ_ISL_E10value_typeEPSM_NS1_7vsmem_tEENKUlT_SK_SL_SM_E_clIPbSD_PiSF_EESJ_SZ_SK_SL_SM_EUlSZ_E_NS1_11comp_targetILNS1_3genE9ELNS1_11target_archE1100ELNS1_3gpuE3ELNS1_3repE0EEENS1_48merge_mergepath_partition_config_static_selectorELNS0_4arch9wavefront6targetE1EEEvSL_, .Lfunc_end2110-_ZN7rocprim17ROCPRIM_400000_NS6detail17trampoline_kernelINS0_14default_configENS1_38merge_sort_block_merge_config_selectorIbiEEZZNS1_27merge_sort_block_merge_implIS3_N6thrust23THRUST_200600_302600_NS6detail15normal_iteratorINS8_10device_ptrIbEEEENSA_INSB_IiEEEEjNS1_19radix_merge_compareILb1ELb0EbNS0_19identity_decomposerEEEEE10hipError_tT0_T1_T2_jT3_P12ihipStream_tbPNSt15iterator_traitsISK_E10value_typeEPNSQ_ISL_E10value_typeEPSM_NS1_7vsmem_tEENKUlT_SK_SL_SM_E_clIPbSD_PiSF_EESJ_SZ_SK_SL_SM_EUlSZ_E_NS1_11comp_targetILNS1_3genE9ELNS1_11target_archE1100ELNS1_3gpuE3ELNS1_3repE0EEENS1_48merge_mergepath_partition_config_static_selectorELNS0_4arch9wavefront6targetE1EEEvSL_
                                        ; -- End function
	.set _ZN7rocprim17ROCPRIM_400000_NS6detail17trampoline_kernelINS0_14default_configENS1_38merge_sort_block_merge_config_selectorIbiEEZZNS1_27merge_sort_block_merge_implIS3_N6thrust23THRUST_200600_302600_NS6detail15normal_iteratorINS8_10device_ptrIbEEEENSA_INSB_IiEEEEjNS1_19radix_merge_compareILb1ELb0EbNS0_19identity_decomposerEEEEE10hipError_tT0_T1_T2_jT3_P12ihipStream_tbPNSt15iterator_traitsISK_E10value_typeEPNSQ_ISL_E10value_typeEPSM_NS1_7vsmem_tEENKUlT_SK_SL_SM_E_clIPbSD_PiSF_EESJ_SZ_SK_SL_SM_EUlSZ_E_NS1_11comp_targetILNS1_3genE9ELNS1_11target_archE1100ELNS1_3gpuE3ELNS1_3repE0EEENS1_48merge_mergepath_partition_config_static_selectorELNS0_4arch9wavefront6targetE1EEEvSL_.num_vgpr, 0
	.set _ZN7rocprim17ROCPRIM_400000_NS6detail17trampoline_kernelINS0_14default_configENS1_38merge_sort_block_merge_config_selectorIbiEEZZNS1_27merge_sort_block_merge_implIS3_N6thrust23THRUST_200600_302600_NS6detail15normal_iteratorINS8_10device_ptrIbEEEENSA_INSB_IiEEEEjNS1_19radix_merge_compareILb1ELb0EbNS0_19identity_decomposerEEEEE10hipError_tT0_T1_T2_jT3_P12ihipStream_tbPNSt15iterator_traitsISK_E10value_typeEPNSQ_ISL_E10value_typeEPSM_NS1_7vsmem_tEENKUlT_SK_SL_SM_E_clIPbSD_PiSF_EESJ_SZ_SK_SL_SM_EUlSZ_E_NS1_11comp_targetILNS1_3genE9ELNS1_11target_archE1100ELNS1_3gpuE3ELNS1_3repE0EEENS1_48merge_mergepath_partition_config_static_selectorELNS0_4arch9wavefront6targetE1EEEvSL_.num_agpr, 0
	.set _ZN7rocprim17ROCPRIM_400000_NS6detail17trampoline_kernelINS0_14default_configENS1_38merge_sort_block_merge_config_selectorIbiEEZZNS1_27merge_sort_block_merge_implIS3_N6thrust23THRUST_200600_302600_NS6detail15normal_iteratorINS8_10device_ptrIbEEEENSA_INSB_IiEEEEjNS1_19radix_merge_compareILb1ELb0EbNS0_19identity_decomposerEEEEE10hipError_tT0_T1_T2_jT3_P12ihipStream_tbPNSt15iterator_traitsISK_E10value_typeEPNSQ_ISL_E10value_typeEPSM_NS1_7vsmem_tEENKUlT_SK_SL_SM_E_clIPbSD_PiSF_EESJ_SZ_SK_SL_SM_EUlSZ_E_NS1_11comp_targetILNS1_3genE9ELNS1_11target_archE1100ELNS1_3gpuE3ELNS1_3repE0EEENS1_48merge_mergepath_partition_config_static_selectorELNS0_4arch9wavefront6targetE1EEEvSL_.numbered_sgpr, 0
	.set _ZN7rocprim17ROCPRIM_400000_NS6detail17trampoline_kernelINS0_14default_configENS1_38merge_sort_block_merge_config_selectorIbiEEZZNS1_27merge_sort_block_merge_implIS3_N6thrust23THRUST_200600_302600_NS6detail15normal_iteratorINS8_10device_ptrIbEEEENSA_INSB_IiEEEEjNS1_19radix_merge_compareILb1ELb0EbNS0_19identity_decomposerEEEEE10hipError_tT0_T1_T2_jT3_P12ihipStream_tbPNSt15iterator_traitsISK_E10value_typeEPNSQ_ISL_E10value_typeEPSM_NS1_7vsmem_tEENKUlT_SK_SL_SM_E_clIPbSD_PiSF_EESJ_SZ_SK_SL_SM_EUlSZ_E_NS1_11comp_targetILNS1_3genE9ELNS1_11target_archE1100ELNS1_3gpuE3ELNS1_3repE0EEENS1_48merge_mergepath_partition_config_static_selectorELNS0_4arch9wavefront6targetE1EEEvSL_.num_named_barrier, 0
	.set _ZN7rocprim17ROCPRIM_400000_NS6detail17trampoline_kernelINS0_14default_configENS1_38merge_sort_block_merge_config_selectorIbiEEZZNS1_27merge_sort_block_merge_implIS3_N6thrust23THRUST_200600_302600_NS6detail15normal_iteratorINS8_10device_ptrIbEEEENSA_INSB_IiEEEEjNS1_19radix_merge_compareILb1ELb0EbNS0_19identity_decomposerEEEEE10hipError_tT0_T1_T2_jT3_P12ihipStream_tbPNSt15iterator_traitsISK_E10value_typeEPNSQ_ISL_E10value_typeEPSM_NS1_7vsmem_tEENKUlT_SK_SL_SM_E_clIPbSD_PiSF_EESJ_SZ_SK_SL_SM_EUlSZ_E_NS1_11comp_targetILNS1_3genE9ELNS1_11target_archE1100ELNS1_3gpuE3ELNS1_3repE0EEENS1_48merge_mergepath_partition_config_static_selectorELNS0_4arch9wavefront6targetE1EEEvSL_.private_seg_size, 0
	.set _ZN7rocprim17ROCPRIM_400000_NS6detail17trampoline_kernelINS0_14default_configENS1_38merge_sort_block_merge_config_selectorIbiEEZZNS1_27merge_sort_block_merge_implIS3_N6thrust23THRUST_200600_302600_NS6detail15normal_iteratorINS8_10device_ptrIbEEEENSA_INSB_IiEEEEjNS1_19radix_merge_compareILb1ELb0EbNS0_19identity_decomposerEEEEE10hipError_tT0_T1_T2_jT3_P12ihipStream_tbPNSt15iterator_traitsISK_E10value_typeEPNSQ_ISL_E10value_typeEPSM_NS1_7vsmem_tEENKUlT_SK_SL_SM_E_clIPbSD_PiSF_EESJ_SZ_SK_SL_SM_EUlSZ_E_NS1_11comp_targetILNS1_3genE9ELNS1_11target_archE1100ELNS1_3gpuE3ELNS1_3repE0EEENS1_48merge_mergepath_partition_config_static_selectorELNS0_4arch9wavefront6targetE1EEEvSL_.uses_vcc, 0
	.set _ZN7rocprim17ROCPRIM_400000_NS6detail17trampoline_kernelINS0_14default_configENS1_38merge_sort_block_merge_config_selectorIbiEEZZNS1_27merge_sort_block_merge_implIS3_N6thrust23THRUST_200600_302600_NS6detail15normal_iteratorINS8_10device_ptrIbEEEENSA_INSB_IiEEEEjNS1_19radix_merge_compareILb1ELb0EbNS0_19identity_decomposerEEEEE10hipError_tT0_T1_T2_jT3_P12ihipStream_tbPNSt15iterator_traitsISK_E10value_typeEPNSQ_ISL_E10value_typeEPSM_NS1_7vsmem_tEENKUlT_SK_SL_SM_E_clIPbSD_PiSF_EESJ_SZ_SK_SL_SM_EUlSZ_E_NS1_11comp_targetILNS1_3genE9ELNS1_11target_archE1100ELNS1_3gpuE3ELNS1_3repE0EEENS1_48merge_mergepath_partition_config_static_selectorELNS0_4arch9wavefront6targetE1EEEvSL_.uses_flat_scratch, 0
	.set _ZN7rocprim17ROCPRIM_400000_NS6detail17trampoline_kernelINS0_14default_configENS1_38merge_sort_block_merge_config_selectorIbiEEZZNS1_27merge_sort_block_merge_implIS3_N6thrust23THRUST_200600_302600_NS6detail15normal_iteratorINS8_10device_ptrIbEEEENSA_INSB_IiEEEEjNS1_19radix_merge_compareILb1ELb0EbNS0_19identity_decomposerEEEEE10hipError_tT0_T1_T2_jT3_P12ihipStream_tbPNSt15iterator_traitsISK_E10value_typeEPNSQ_ISL_E10value_typeEPSM_NS1_7vsmem_tEENKUlT_SK_SL_SM_E_clIPbSD_PiSF_EESJ_SZ_SK_SL_SM_EUlSZ_E_NS1_11comp_targetILNS1_3genE9ELNS1_11target_archE1100ELNS1_3gpuE3ELNS1_3repE0EEENS1_48merge_mergepath_partition_config_static_selectorELNS0_4arch9wavefront6targetE1EEEvSL_.has_dyn_sized_stack, 0
	.set _ZN7rocprim17ROCPRIM_400000_NS6detail17trampoline_kernelINS0_14default_configENS1_38merge_sort_block_merge_config_selectorIbiEEZZNS1_27merge_sort_block_merge_implIS3_N6thrust23THRUST_200600_302600_NS6detail15normal_iteratorINS8_10device_ptrIbEEEENSA_INSB_IiEEEEjNS1_19radix_merge_compareILb1ELb0EbNS0_19identity_decomposerEEEEE10hipError_tT0_T1_T2_jT3_P12ihipStream_tbPNSt15iterator_traitsISK_E10value_typeEPNSQ_ISL_E10value_typeEPSM_NS1_7vsmem_tEENKUlT_SK_SL_SM_E_clIPbSD_PiSF_EESJ_SZ_SK_SL_SM_EUlSZ_E_NS1_11comp_targetILNS1_3genE9ELNS1_11target_archE1100ELNS1_3gpuE3ELNS1_3repE0EEENS1_48merge_mergepath_partition_config_static_selectorELNS0_4arch9wavefront6targetE1EEEvSL_.has_recursion, 0
	.set _ZN7rocprim17ROCPRIM_400000_NS6detail17trampoline_kernelINS0_14default_configENS1_38merge_sort_block_merge_config_selectorIbiEEZZNS1_27merge_sort_block_merge_implIS3_N6thrust23THRUST_200600_302600_NS6detail15normal_iteratorINS8_10device_ptrIbEEEENSA_INSB_IiEEEEjNS1_19radix_merge_compareILb1ELb0EbNS0_19identity_decomposerEEEEE10hipError_tT0_T1_T2_jT3_P12ihipStream_tbPNSt15iterator_traitsISK_E10value_typeEPNSQ_ISL_E10value_typeEPSM_NS1_7vsmem_tEENKUlT_SK_SL_SM_E_clIPbSD_PiSF_EESJ_SZ_SK_SL_SM_EUlSZ_E_NS1_11comp_targetILNS1_3genE9ELNS1_11target_archE1100ELNS1_3gpuE3ELNS1_3repE0EEENS1_48merge_mergepath_partition_config_static_selectorELNS0_4arch9wavefront6targetE1EEEvSL_.has_indirect_call, 0
	.section	.AMDGPU.csdata,"",@progbits
; Kernel info:
; codeLenInByte = 0
; TotalNumSgprs: 6
; NumVgprs: 0
; NumAgprs: 0
; TotalNumVgprs: 0
; ScratchSize: 0
; MemoryBound: 0
; FloatMode: 240
; IeeeMode: 1
; LDSByteSize: 0 bytes/workgroup (compile time only)
; SGPRBlocks: 0
; VGPRBlocks: 0
; NumSGPRsForWavesPerEU: 6
; NumVGPRsForWavesPerEU: 1
; AccumOffset: 4
; Occupancy: 8
; WaveLimiterHint : 0
; COMPUTE_PGM_RSRC2:SCRATCH_EN: 0
; COMPUTE_PGM_RSRC2:USER_SGPR: 2
; COMPUTE_PGM_RSRC2:TRAP_HANDLER: 0
; COMPUTE_PGM_RSRC2:TGID_X_EN: 1
; COMPUTE_PGM_RSRC2:TGID_Y_EN: 0
; COMPUTE_PGM_RSRC2:TGID_Z_EN: 0
; COMPUTE_PGM_RSRC2:TIDIG_COMP_CNT: 0
; COMPUTE_PGM_RSRC3_GFX90A:ACCUM_OFFSET: 0
; COMPUTE_PGM_RSRC3_GFX90A:TG_SPLIT: 0
	.section	.text._ZN7rocprim17ROCPRIM_400000_NS6detail17trampoline_kernelINS0_14default_configENS1_38merge_sort_block_merge_config_selectorIbiEEZZNS1_27merge_sort_block_merge_implIS3_N6thrust23THRUST_200600_302600_NS6detail15normal_iteratorINS8_10device_ptrIbEEEENSA_INSB_IiEEEEjNS1_19radix_merge_compareILb1ELb0EbNS0_19identity_decomposerEEEEE10hipError_tT0_T1_T2_jT3_P12ihipStream_tbPNSt15iterator_traitsISK_E10value_typeEPNSQ_ISL_E10value_typeEPSM_NS1_7vsmem_tEENKUlT_SK_SL_SM_E_clIPbSD_PiSF_EESJ_SZ_SK_SL_SM_EUlSZ_E_NS1_11comp_targetILNS1_3genE8ELNS1_11target_archE1030ELNS1_3gpuE2ELNS1_3repE0EEENS1_48merge_mergepath_partition_config_static_selectorELNS0_4arch9wavefront6targetE1EEEvSL_,"axG",@progbits,_ZN7rocprim17ROCPRIM_400000_NS6detail17trampoline_kernelINS0_14default_configENS1_38merge_sort_block_merge_config_selectorIbiEEZZNS1_27merge_sort_block_merge_implIS3_N6thrust23THRUST_200600_302600_NS6detail15normal_iteratorINS8_10device_ptrIbEEEENSA_INSB_IiEEEEjNS1_19radix_merge_compareILb1ELb0EbNS0_19identity_decomposerEEEEE10hipError_tT0_T1_T2_jT3_P12ihipStream_tbPNSt15iterator_traitsISK_E10value_typeEPNSQ_ISL_E10value_typeEPSM_NS1_7vsmem_tEENKUlT_SK_SL_SM_E_clIPbSD_PiSF_EESJ_SZ_SK_SL_SM_EUlSZ_E_NS1_11comp_targetILNS1_3genE8ELNS1_11target_archE1030ELNS1_3gpuE2ELNS1_3repE0EEENS1_48merge_mergepath_partition_config_static_selectorELNS0_4arch9wavefront6targetE1EEEvSL_,comdat
	.protected	_ZN7rocprim17ROCPRIM_400000_NS6detail17trampoline_kernelINS0_14default_configENS1_38merge_sort_block_merge_config_selectorIbiEEZZNS1_27merge_sort_block_merge_implIS3_N6thrust23THRUST_200600_302600_NS6detail15normal_iteratorINS8_10device_ptrIbEEEENSA_INSB_IiEEEEjNS1_19radix_merge_compareILb1ELb0EbNS0_19identity_decomposerEEEEE10hipError_tT0_T1_T2_jT3_P12ihipStream_tbPNSt15iterator_traitsISK_E10value_typeEPNSQ_ISL_E10value_typeEPSM_NS1_7vsmem_tEENKUlT_SK_SL_SM_E_clIPbSD_PiSF_EESJ_SZ_SK_SL_SM_EUlSZ_E_NS1_11comp_targetILNS1_3genE8ELNS1_11target_archE1030ELNS1_3gpuE2ELNS1_3repE0EEENS1_48merge_mergepath_partition_config_static_selectorELNS0_4arch9wavefront6targetE1EEEvSL_ ; -- Begin function _ZN7rocprim17ROCPRIM_400000_NS6detail17trampoline_kernelINS0_14default_configENS1_38merge_sort_block_merge_config_selectorIbiEEZZNS1_27merge_sort_block_merge_implIS3_N6thrust23THRUST_200600_302600_NS6detail15normal_iteratorINS8_10device_ptrIbEEEENSA_INSB_IiEEEEjNS1_19radix_merge_compareILb1ELb0EbNS0_19identity_decomposerEEEEE10hipError_tT0_T1_T2_jT3_P12ihipStream_tbPNSt15iterator_traitsISK_E10value_typeEPNSQ_ISL_E10value_typeEPSM_NS1_7vsmem_tEENKUlT_SK_SL_SM_E_clIPbSD_PiSF_EESJ_SZ_SK_SL_SM_EUlSZ_E_NS1_11comp_targetILNS1_3genE8ELNS1_11target_archE1030ELNS1_3gpuE2ELNS1_3repE0EEENS1_48merge_mergepath_partition_config_static_selectorELNS0_4arch9wavefront6targetE1EEEvSL_
	.globl	_ZN7rocprim17ROCPRIM_400000_NS6detail17trampoline_kernelINS0_14default_configENS1_38merge_sort_block_merge_config_selectorIbiEEZZNS1_27merge_sort_block_merge_implIS3_N6thrust23THRUST_200600_302600_NS6detail15normal_iteratorINS8_10device_ptrIbEEEENSA_INSB_IiEEEEjNS1_19radix_merge_compareILb1ELb0EbNS0_19identity_decomposerEEEEE10hipError_tT0_T1_T2_jT3_P12ihipStream_tbPNSt15iterator_traitsISK_E10value_typeEPNSQ_ISL_E10value_typeEPSM_NS1_7vsmem_tEENKUlT_SK_SL_SM_E_clIPbSD_PiSF_EESJ_SZ_SK_SL_SM_EUlSZ_E_NS1_11comp_targetILNS1_3genE8ELNS1_11target_archE1030ELNS1_3gpuE2ELNS1_3repE0EEENS1_48merge_mergepath_partition_config_static_selectorELNS0_4arch9wavefront6targetE1EEEvSL_
	.p2align	8
	.type	_ZN7rocprim17ROCPRIM_400000_NS6detail17trampoline_kernelINS0_14default_configENS1_38merge_sort_block_merge_config_selectorIbiEEZZNS1_27merge_sort_block_merge_implIS3_N6thrust23THRUST_200600_302600_NS6detail15normal_iteratorINS8_10device_ptrIbEEEENSA_INSB_IiEEEEjNS1_19radix_merge_compareILb1ELb0EbNS0_19identity_decomposerEEEEE10hipError_tT0_T1_T2_jT3_P12ihipStream_tbPNSt15iterator_traitsISK_E10value_typeEPNSQ_ISL_E10value_typeEPSM_NS1_7vsmem_tEENKUlT_SK_SL_SM_E_clIPbSD_PiSF_EESJ_SZ_SK_SL_SM_EUlSZ_E_NS1_11comp_targetILNS1_3genE8ELNS1_11target_archE1030ELNS1_3gpuE2ELNS1_3repE0EEENS1_48merge_mergepath_partition_config_static_selectorELNS0_4arch9wavefront6targetE1EEEvSL_,@function
_ZN7rocprim17ROCPRIM_400000_NS6detail17trampoline_kernelINS0_14default_configENS1_38merge_sort_block_merge_config_selectorIbiEEZZNS1_27merge_sort_block_merge_implIS3_N6thrust23THRUST_200600_302600_NS6detail15normal_iteratorINS8_10device_ptrIbEEEENSA_INSB_IiEEEEjNS1_19radix_merge_compareILb1ELb0EbNS0_19identity_decomposerEEEEE10hipError_tT0_T1_T2_jT3_P12ihipStream_tbPNSt15iterator_traitsISK_E10value_typeEPNSQ_ISL_E10value_typeEPSM_NS1_7vsmem_tEENKUlT_SK_SL_SM_E_clIPbSD_PiSF_EESJ_SZ_SK_SL_SM_EUlSZ_E_NS1_11comp_targetILNS1_3genE8ELNS1_11target_archE1030ELNS1_3gpuE2ELNS1_3repE0EEENS1_48merge_mergepath_partition_config_static_selectorELNS0_4arch9wavefront6targetE1EEEvSL_: ; @_ZN7rocprim17ROCPRIM_400000_NS6detail17trampoline_kernelINS0_14default_configENS1_38merge_sort_block_merge_config_selectorIbiEEZZNS1_27merge_sort_block_merge_implIS3_N6thrust23THRUST_200600_302600_NS6detail15normal_iteratorINS8_10device_ptrIbEEEENSA_INSB_IiEEEEjNS1_19radix_merge_compareILb1ELb0EbNS0_19identity_decomposerEEEEE10hipError_tT0_T1_T2_jT3_P12ihipStream_tbPNSt15iterator_traitsISK_E10value_typeEPNSQ_ISL_E10value_typeEPSM_NS1_7vsmem_tEENKUlT_SK_SL_SM_E_clIPbSD_PiSF_EESJ_SZ_SK_SL_SM_EUlSZ_E_NS1_11comp_targetILNS1_3genE8ELNS1_11target_archE1030ELNS1_3gpuE2ELNS1_3repE0EEENS1_48merge_mergepath_partition_config_static_selectorELNS0_4arch9wavefront6targetE1EEEvSL_
; %bb.0:
	.section	.rodata,"a",@progbits
	.p2align	6, 0x0
	.amdhsa_kernel _ZN7rocprim17ROCPRIM_400000_NS6detail17trampoline_kernelINS0_14default_configENS1_38merge_sort_block_merge_config_selectorIbiEEZZNS1_27merge_sort_block_merge_implIS3_N6thrust23THRUST_200600_302600_NS6detail15normal_iteratorINS8_10device_ptrIbEEEENSA_INSB_IiEEEEjNS1_19radix_merge_compareILb1ELb0EbNS0_19identity_decomposerEEEEE10hipError_tT0_T1_T2_jT3_P12ihipStream_tbPNSt15iterator_traitsISK_E10value_typeEPNSQ_ISL_E10value_typeEPSM_NS1_7vsmem_tEENKUlT_SK_SL_SM_E_clIPbSD_PiSF_EESJ_SZ_SK_SL_SM_EUlSZ_E_NS1_11comp_targetILNS1_3genE8ELNS1_11target_archE1030ELNS1_3gpuE2ELNS1_3repE0EEENS1_48merge_mergepath_partition_config_static_selectorELNS0_4arch9wavefront6targetE1EEEvSL_
		.amdhsa_group_segment_fixed_size 0
		.amdhsa_private_segment_fixed_size 0
		.amdhsa_kernarg_size 40
		.amdhsa_user_sgpr_count 2
		.amdhsa_user_sgpr_dispatch_ptr 0
		.amdhsa_user_sgpr_queue_ptr 0
		.amdhsa_user_sgpr_kernarg_segment_ptr 1
		.amdhsa_user_sgpr_dispatch_id 0
		.amdhsa_user_sgpr_kernarg_preload_length 0
		.amdhsa_user_sgpr_kernarg_preload_offset 0
		.amdhsa_user_sgpr_private_segment_size 0
		.amdhsa_uses_dynamic_stack 0
		.amdhsa_enable_private_segment 0
		.amdhsa_system_sgpr_workgroup_id_x 1
		.amdhsa_system_sgpr_workgroup_id_y 0
		.amdhsa_system_sgpr_workgroup_id_z 0
		.amdhsa_system_sgpr_workgroup_info 0
		.amdhsa_system_vgpr_workitem_id 0
		.amdhsa_next_free_vgpr 1
		.amdhsa_next_free_sgpr 0
		.amdhsa_accum_offset 4
		.amdhsa_reserve_vcc 0
		.amdhsa_float_round_mode_32 0
		.amdhsa_float_round_mode_16_64 0
		.amdhsa_float_denorm_mode_32 3
		.amdhsa_float_denorm_mode_16_64 3
		.amdhsa_dx10_clamp 1
		.amdhsa_ieee_mode 1
		.amdhsa_fp16_overflow 0
		.amdhsa_tg_split 0
		.amdhsa_exception_fp_ieee_invalid_op 0
		.amdhsa_exception_fp_denorm_src 0
		.amdhsa_exception_fp_ieee_div_zero 0
		.amdhsa_exception_fp_ieee_overflow 0
		.amdhsa_exception_fp_ieee_underflow 0
		.amdhsa_exception_fp_ieee_inexact 0
		.amdhsa_exception_int_div_zero 0
	.end_amdhsa_kernel
	.section	.text._ZN7rocprim17ROCPRIM_400000_NS6detail17trampoline_kernelINS0_14default_configENS1_38merge_sort_block_merge_config_selectorIbiEEZZNS1_27merge_sort_block_merge_implIS3_N6thrust23THRUST_200600_302600_NS6detail15normal_iteratorINS8_10device_ptrIbEEEENSA_INSB_IiEEEEjNS1_19radix_merge_compareILb1ELb0EbNS0_19identity_decomposerEEEEE10hipError_tT0_T1_T2_jT3_P12ihipStream_tbPNSt15iterator_traitsISK_E10value_typeEPNSQ_ISL_E10value_typeEPSM_NS1_7vsmem_tEENKUlT_SK_SL_SM_E_clIPbSD_PiSF_EESJ_SZ_SK_SL_SM_EUlSZ_E_NS1_11comp_targetILNS1_3genE8ELNS1_11target_archE1030ELNS1_3gpuE2ELNS1_3repE0EEENS1_48merge_mergepath_partition_config_static_selectorELNS0_4arch9wavefront6targetE1EEEvSL_,"axG",@progbits,_ZN7rocprim17ROCPRIM_400000_NS6detail17trampoline_kernelINS0_14default_configENS1_38merge_sort_block_merge_config_selectorIbiEEZZNS1_27merge_sort_block_merge_implIS3_N6thrust23THRUST_200600_302600_NS6detail15normal_iteratorINS8_10device_ptrIbEEEENSA_INSB_IiEEEEjNS1_19radix_merge_compareILb1ELb0EbNS0_19identity_decomposerEEEEE10hipError_tT0_T1_T2_jT3_P12ihipStream_tbPNSt15iterator_traitsISK_E10value_typeEPNSQ_ISL_E10value_typeEPSM_NS1_7vsmem_tEENKUlT_SK_SL_SM_E_clIPbSD_PiSF_EESJ_SZ_SK_SL_SM_EUlSZ_E_NS1_11comp_targetILNS1_3genE8ELNS1_11target_archE1030ELNS1_3gpuE2ELNS1_3repE0EEENS1_48merge_mergepath_partition_config_static_selectorELNS0_4arch9wavefront6targetE1EEEvSL_,comdat
.Lfunc_end2111:
	.size	_ZN7rocprim17ROCPRIM_400000_NS6detail17trampoline_kernelINS0_14default_configENS1_38merge_sort_block_merge_config_selectorIbiEEZZNS1_27merge_sort_block_merge_implIS3_N6thrust23THRUST_200600_302600_NS6detail15normal_iteratorINS8_10device_ptrIbEEEENSA_INSB_IiEEEEjNS1_19radix_merge_compareILb1ELb0EbNS0_19identity_decomposerEEEEE10hipError_tT0_T1_T2_jT3_P12ihipStream_tbPNSt15iterator_traitsISK_E10value_typeEPNSQ_ISL_E10value_typeEPSM_NS1_7vsmem_tEENKUlT_SK_SL_SM_E_clIPbSD_PiSF_EESJ_SZ_SK_SL_SM_EUlSZ_E_NS1_11comp_targetILNS1_3genE8ELNS1_11target_archE1030ELNS1_3gpuE2ELNS1_3repE0EEENS1_48merge_mergepath_partition_config_static_selectorELNS0_4arch9wavefront6targetE1EEEvSL_, .Lfunc_end2111-_ZN7rocprim17ROCPRIM_400000_NS6detail17trampoline_kernelINS0_14default_configENS1_38merge_sort_block_merge_config_selectorIbiEEZZNS1_27merge_sort_block_merge_implIS3_N6thrust23THRUST_200600_302600_NS6detail15normal_iteratorINS8_10device_ptrIbEEEENSA_INSB_IiEEEEjNS1_19radix_merge_compareILb1ELb0EbNS0_19identity_decomposerEEEEE10hipError_tT0_T1_T2_jT3_P12ihipStream_tbPNSt15iterator_traitsISK_E10value_typeEPNSQ_ISL_E10value_typeEPSM_NS1_7vsmem_tEENKUlT_SK_SL_SM_E_clIPbSD_PiSF_EESJ_SZ_SK_SL_SM_EUlSZ_E_NS1_11comp_targetILNS1_3genE8ELNS1_11target_archE1030ELNS1_3gpuE2ELNS1_3repE0EEENS1_48merge_mergepath_partition_config_static_selectorELNS0_4arch9wavefront6targetE1EEEvSL_
                                        ; -- End function
	.set _ZN7rocprim17ROCPRIM_400000_NS6detail17trampoline_kernelINS0_14default_configENS1_38merge_sort_block_merge_config_selectorIbiEEZZNS1_27merge_sort_block_merge_implIS3_N6thrust23THRUST_200600_302600_NS6detail15normal_iteratorINS8_10device_ptrIbEEEENSA_INSB_IiEEEEjNS1_19radix_merge_compareILb1ELb0EbNS0_19identity_decomposerEEEEE10hipError_tT0_T1_T2_jT3_P12ihipStream_tbPNSt15iterator_traitsISK_E10value_typeEPNSQ_ISL_E10value_typeEPSM_NS1_7vsmem_tEENKUlT_SK_SL_SM_E_clIPbSD_PiSF_EESJ_SZ_SK_SL_SM_EUlSZ_E_NS1_11comp_targetILNS1_3genE8ELNS1_11target_archE1030ELNS1_3gpuE2ELNS1_3repE0EEENS1_48merge_mergepath_partition_config_static_selectorELNS0_4arch9wavefront6targetE1EEEvSL_.num_vgpr, 0
	.set _ZN7rocprim17ROCPRIM_400000_NS6detail17trampoline_kernelINS0_14default_configENS1_38merge_sort_block_merge_config_selectorIbiEEZZNS1_27merge_sort_block_merge_implIS3_N6thrust23THRUST_200600_302600_NS6detail15normal_iteratorINS8_10device_ptrIbEEEENSA_INSB_IiEEEEjNS1_19radix_merge_compareILb1ELb0EbNS0_19identity_decomposerEEEEE10hipError_tT0_T1_T2_jT3_P12ihipStream_tbPNSt15iterator_traitsISK_E10value_typeEPNSQ_ISL_E10value_typeEPSM_NS1_7vsmem_tEENKUlT_SK_SL_SM_E_clIPbSD_PiSF_EESJ_SZ_SK_SL_SM_EUlSZ_E_NS1_11comp_targetILNS1_3genE8ELNS1_11target_archE1030ELNS1_3gpuE2ELNS1_3repE0EEENS1_48merge_mergepath_partition_config_static_selectorELNS0_4arch9wavefront6targetE1EEEvSL_.num_agpr, 0
	.set _ZN7rocprim17ROCPRIM_400000_NS6detail17trampoline_kernelINS0_14default_configENS1_38merge_sort_block_merge_config_selectorIbiEEZZNS1_27merge_sort_block_merge_implIS3_N6thrust23THRUST_200600_302600_NS6detail15normal_iteratorINS8_10device_ptrIbEEEENSA_INSB_IiEEEEjNS1_19radix_merge_compareILb1ELb0EbNS0_19identity_decomposerEEEEE10hipError_tT0_T1_T2_jT3_P12ihipStream_tbPNSt15iterator_traitsISK_E10value_typeEPNSQ_ISL_E10value_typeEPSM_NS1_7vsmem_tEENKUlT_SK_SL_SM_E_clIPbSD_PiSF_EESJ_SZ_SK_SL_SM_EUlSZ_E_NS1_11comp_targetILNS1_3genE8ELNS1_11target_archE1030ELNS1_3gpuE2ELNS1_3repE0EEENS1_48merge_mergepath_partition_config_static_selectorELNS0_4arch9wavefront6targetE1EEEvSL_.numbered_sgpr, 0
	.set _ZN7rocprim17ROCPRIM_400000_NS6detail17trampoline_kernelINS0_14default_configENS1_38merge_sort_block_merge_config_selectorIbiEEZZNS1_27merge_sort_block_merge_implIS3_N6thrust23THRUST_200600_302600_NS6detail15normal_iteratorINS8_10device_ptrIbEEEENSA_INSB_IiEEEEjNS1_19radix_merge_compareILb1ELb0EbNS0_19identity_decomposerEEEEE10hipError_tT0_T1_T2_jT3_P12ihipStream_tbPNSt15iterator_traitsISK_E10value_typeEPNSQ_ISL_E10value_typeEPSM_NS1_7vsmem_tEENKUlT_SK_SL_SM_E_clIPbSD_PiSF_EESJ_SZ_SK_SL_SM_EUlSZ_E_NS1_11comp_targetILNS1_3genE8ELNS1_11target_archE1030ELNS1_3gpuE2ELNS1_3repE0EEENS1_48merge_mergepath_partition_config_static_selectorELNS0_4arch9wavefront6targetE1EEEvSL_.num_named_barrier, 0
	.set _ZN7rocprim17ROCPRIM_400000_NS6detail17trampoline_kernelINS0_14default_configENS1_38merge_sort_block_merge_config_selectorIbiEEZZNS1_27merge_sort_block_merge_implIS3_N6thrust23THRUST_200600_302600_NS6detail15normal_iteratorINS8_10device_ptrIbEEEENSA_INSB_IiEEEEjNS1_19radix_merge_compareILb1ELb0EbNS0_19identity_decomposerEEEEE10hipError_tT0_T1_T2_jT3_P12ihipStream_tbPNSt15iterator_traitsISK_E10value_typeEPNSQ_ISL_E10value_typeEPSM_NS1_7vsmem_tEENKUlT_SK_SL_SM_E_clIPbSD_PiSF_EESJ_SZ_SK_SL_SM_EUlSZ_E_NS1_11comp_targetILNS1_3genE8ELNS1_11target_archE1030ELNS1_3gpuE2ELNS1_3repE0EEENS1_48merge_mergepath_partition_config_static_selectorELNS0_4arch9wavefront6targetE1EEEvSL_.private_seg_size, 0
	.set _ZN7rocprim17ROCPRIM_400000_NS6detail17trampoline_kernelINS0_14default_configENS1_38merge_sort_block_merge_config_selectorIbiEEZZNS1_27merge_sort_block_merge_implIS3_N6thrust23THRUST_200600_302600_NS6detail15normal_iteratorINS8_10device_ptrIbEEEENSA_INSB_IiEEEEjNS1_19radix_merge_compareILb1ELb0EbNS0_19identity_decomposerEEEEE10hipError_tT0_T1_T2_jT3_P12ihipStream_tbPNSt15iterator_traitsISK_E10value_typeEPNSQ_ISL_E10value_typeEPSM_NS1_7vsmem_tEENKUlT_SK_SL_SM_E_clIPbSD_PiSF_EESJ_SZ_SK_SL_SM_EUlSZ_E_NS1_11comp_targetILNS1_3genE8ELNS1_11target_archE1030ELNS1_3gpuE2ELNS1_3repE0EEENS1_48merge_mergepath_partition_config_static_selectorELNS0_4arch9wavefront6targetE1EEEvSL_.uses_vcc, 0
	.set _ZN7rocprim17ROCPRIM_400000_NS6detail17trampoline_kernelINS0_14default_configENS1_38merge_sort_block_merge_config_selectorIbiEEZZNS1_27merge_sort_block_merge_implIS3_N6thrust23THRUST_200600_302600_NS6detail15normal_iteratorINS8_10device_ptrIbEEEENSA_INSB_IiEEEEjNS1_19radix_merge_compareILb1ELb0EbNS0_19identity_decomposerEEEEE10hipError_tT0_T1_T2_jT3_P12ihipStream_tbPNSt15iterator_traitsISK_E10value_typeEPNSQ_ISL_E10value_typeEPSM_NS1_7vsmem_tEENKUlT_SK_SL_SM_E_clIPbSD_PiSF_EESJ_SZ_SK_SL_SM_EUlSZ_E_NS1_11comp_targetILNS1_3genE8ELNS1_11target_archE1030ELNS1_3gpuE2ELNS1_3repE0EEENS1_48merge_mergepath_partition_config_static_selectorELNS0_4arch9wavefront6targetE1EEEvSL_.uses_flat_scratch, 0
	.set _ZN7rocprim17ROCPRIM_400000_NS6detail17trampoline_kernelINS0_14default_configENS1_38merge_sort_block_merge_config_selectorIbiEEZZNS1_27merge_sort_block_merge_implIS3_N6thrust23THRUST_200600_302600_NS6detail15normal_iteratorINS8_10device_ptrIbEEEENSA_INSB_IiEEEEjNS1_19radix_merge_compareILb1ELb0EbNS0_19identity_decomposerEEEEE10hipError_tT0_T1_T2_jT3_P12ihipStream_tbPNSt15iterator_traitsISK_E10value_typeEPNSQ_ISL_E10value_typeEPSM_NS1_7vsmem_tEENKUlT_SK_SL_SM_E_clIPbSD_PiSF_EESJ_SZ_SK_SL_SM_EUlSZ_E_NS1_11comp_targetILNS1_3genE8ELNS1_11target_archE1030ELNS1_3gpuE2ELNS1_3repE0EEENS1_48merge_mergepath_partition_config_static_selectorELNS0_4arch9wavefront6targetE1EEEvSL_.has_dyn_sized_stack, 0
	.set _ZN7rocprim17ROCPRIM_400000_NS6detail17trampoline_kernelINS0_14default_configENS1_38merge_sort_block_merge_config_selectorIbiEEZZNS1_27merge_sort_block_merge_implIS3_N6thrust23THRUST_200600_302600_NS6detail15normal_iteratorINS8_10device_ptrIbEEEENSA_INSB_IiEEEEjNS1_19radix_merge_compareILb1ELb0EbNS0_19identity_decomposerEEEEE10hipError_tT0_T1_T2_jT3_P12ihipStream_tbPNSt15iterator_traitsISK_E10value_typeEPNSQ_ISL_E10value_typeEPSM_NS1_7vsmem_tEENKUlT_SK_SL_SM_E_clIPbSD_PiSF_EESJ_SZ_SK_SL_SM_EUlSZ_E_NS1_11comp_targetILNS1_3genE8ELNS1_11target_archE1030ELNS1_3gpuE2ELNS1_3repE0EEENS1_48merge_mergepath_partition_config_static_selectorELNS0_4arch9wavefront6targetE1EEEvSL_.has_recursion, 0
	.set _ZN7rocprim17ROCPRIM_400000_NS6detail17trampoline_kernelINS0_14default_configENS1_38merge_sort_block_merge_config_selectorIbiEEZZNS1_27merge_sort_block_merge_implIS3_N6thrust23THRUST_200600_302600_NS6detail15normal_iteratorINS8_10device_ptrIbEEEENSA_INSB_IiEEEEjNS1_19radix_merge_compareILb1ELb0EbNS0_19identity_decomposerEEEEE10hipError_tT0_T1_T2_jT3_P12ihipStream_tbPNSt15iterator_traitsISK_E10value_typeEPNSQ_ISL_E10value_typeEPSM_NS1_7vsmem_tEENKUlT_SK_SL_SM_E_clIPbSD_PiSF_EESJ_SZ_SK_SL_SM_EUlSZ_E_NS1_11comp_targetILNS1_3genE8ELNS1_11target_archE1030ELNS1_3gpuE2ELNS1_3repE0EEENS1_48merge_mergepath_partition_config_static_selectorELNS0_4arch9wavefront6targetE1EEEvSL_.has_indirect_call, 0
	.section	.AMDGPU.csdata,"",@progbits
; Kernel info:
; codeLenInByte = 0
; TotalNumSgprs: 6
; NumVgprs: 0
; NumAgprs: 0
; TotalNumVgprs: 0
; ScratchSize: 0
; MemoryBound: 0
; FloatMode: 240
; IeeeMode: 1
; LDSByteSize: 0 bytes/workgroup (compile time only)
; SGPRBlocks: 0
; VGPRBlocks: 0
; NumSGPRsForWavesPerEU: 6
; NumVGPRsForWavesPerEU: 1
; AccumOffset: 4
; Occupancy: 8
; WaveLimiterHint : 0
; COMPUTE_PGM_RSRC2:SCRATCH_EN: 0
; COMPUTE_PGM_RSRC2:USER_SGPR: 2
; COMPUTE_PGM_RSRC2:TRAP_HANDLER: 0
; COMPUTE_PGM_RSRC2:TGID_X_EN: 1
; COMPUTE_PGM_RSRC2:TGID_Y_EN: 0
; COMPUTE_PGM_RSRC2:TGID_Z_EN: 0
; COMPUTE_PGM_RSRC2:TIDIG_COMP_CNT: 0
; COMPUTE_PGM_RSRC3_GFX90A:ACCUM_OFFSET: 0
; COMPUTE_PGM_RSRC3_GFX90A:TG_SPLIT: 0
	.section	.text._ZN7rocprim17ROCPRIM_400000_NS6detail17trampoline_kernelINS0_14default_configENS1_38merge_sort_block_merge_config_selectorIbiEEZZNS1_27merge_sort_block_merge_implIS3_N6thrust23THRUST_200600_302600_NS6detail15normal_iteratorINS8_10device_ptrIbEEEENSA_INSB_IiEEEEjNS1_19radix_merge_compareILb1ELb0EbNS0_19identity_decomposerEEEEE10hipError_tT0_T1_T2_jT3_P12ihipStream_tbPNSt15iterator_traitsISK_E10value_typeEPNSQ_ISL_E10value_typeEPSM_NS1_7vsmem_tEENKUlT_SK_SL_SM_E_clIPbSD_PiSF_EESJ_SZ_SK_SL_SM_EUlSZ_E0_NS1_11comp_targetILNS1_3genE0ELNS1_11target_archE4294967295ELNS1_3gpuE0ELNS1_3repE0EEENS1_38merge_mergepath_config_static_selectorELNS0_4arch9wavefront6targetE1EEEvSL_,"axG",@progbits,_ZN7rocprim17ROCPRIM_400000_NS6detail17trampoline_kernelINS0_14default_configENS1_38merge_sort_block_merge_config_selectorIbiEEZZNS1_27merge_sort_block_merge_implIS3_N6thrust23THRUST_200600_302600_NS6detail15normal_iteratorINS8_10device_ptrIbEEEENSA_INSB_IiEEEEjNS1_19radix_merge_compareILb1ELb0EbNS0_19identity_decomposerEEEEE10hipError_tT0_T1_T2_jT3_P12ihipStream_tbPNSt15iterator_traitsISK_E10value_typeEPNSQ_ISL_E10value_typeEPSM_NS1_7vsmem_tEENKUlT_SK_SL_SM_E_clIPbSD_PiSF_EESJ_SZ_SK_SL_SM_EUlSZ_E0_NS1_11comp_targetILNS1_3genE0ELNS1_11target_archE4294967295ELNS1_3gpuE0ELNS1_3repE0EEENS1_38merge_mergepath_config_static_selectorELNS0_4arch9wavefront6targetE1EEEvSL_,comdat
	.protected	_ZN7rocprim17ROCPRIM_400000_NS6detail17trampoline_kernelINS0_14default_configENS1_38merge_sort_block_merge_config_selectorIbiEEZZNS1_27merge_sort_block_merge_implIS3_N6thrust23THRUST_200600_302600_NS6detail15normal_iteratorINS8_10device_ptrIbEEEENSA_INSB_IiEEEEjNS1_19radix_merge_compareILb1ELb0EbNS0_19identity_decomposerEEEEE10hipError_tT0_T1_T2_jT3_P12ihipStream_tbPNSt15iterator_traitsISK_E10value_typeEPNSQ_ISL_E10value_typeEPSM_NS1_7vsmem_tEENKUlT_SK_SL_SM_E_clIPbSD_PiSF_EESJ_SZ_SK_SL_SM_EUlSZ_E0_NS1_11comp_targetILNS1_3genE0ELNS1_11target_archE4294967295ELNS1_3gpuE0ELNS1_3repE0EEENS1_38merge_mergepath_config_static_selectorELNS0_4arch9wavefront6targetE1EEEvSL_ ; -- Begin function _ZN7rocprim17ROCPRIM_400000_NS6detail17trampoline_kernelINS0_14default_configENS1_38merge_sort_block_merge_config_selectorIbiEEZZNS1_27merge_sort_block_merge_implIS3_N6thrust23THRUST_200600_302600_NS6detail15normal_iteratorINS8_10device_ptrIbEEEENSA_INSB_IiEEEEjNS1_19radix_merge_compareILb1ELb0EbNS0_19identity_decomposerEEEEE10hipError_tT0_T1_T2_jT3_P12ihipStream_tbPNSt15iterator_traitsISK_E10value_typeEPNSQ_ISL_E10value_typeEPSM_NS1_7vsmem_tEENKUlT_SK_SL_SM_E_clIPbSD_PiSF_EESJ_SZ_SK_SL_SM_EUlSZ_E0_NS1_11comp_targetILNS1_3genE0ELNS1_11target_archE4294967295ELNS1_3gpuE0ELNS1_3repE0EEENS1_38merge_mergepath_config_static_selectorELNS0_4arch9wavefront6targetE1EEEvSL_
	.globl	_ZN7rocprim17ROCPRIM_400000_NS6detail17trampoline_kernelINS0_14default_configENS1_38merge_sort_block_merge_config_selectorIbiEEZZNS1_27merge_sort_block_merge_implIS3_N6thrust23THRUST_200600_302600_NS6detail15normal_iteratorINS8_10device_ptrIbEEEENSA_INSB_IiEEEEjNS1_19radix_merge_compareILb1ELb0EbNS0_19identity_decomposerEEEEE10hipError_tT0_T1_T2_jT3_P12ihipStream_tbPNSt15iterator_traitsISK_E10value_typeEPNSQ_ISL_E10value_typeEPSM_NS1_7vsmem_tEENKUlT_SK_SL_SM_E_clIPbSD_PiSF_EESJ_SZ_SK_SL_SM_EUlSZ_E0_NS1_11comp_targetILNS1_3genE0ELNS1_11target_archE4294967295ELNS1_3gpuE0ELNS1_3repE0EEENS1_38merge_mergepath_config_static_selectorELNS0_4arch9wavefront6targetE1EEEvSL_
	.p2align	8
	.type	_ZN7rocprim17ROCPRIM_400000_NS6detail17trampoline_kernelINS0_14default_configENS1_38merge_sort_block_merge_config_selectorIbiEEZZNS1_27merge_sort_block_merge_implIS3_N6thrust23THRUST_200600_302600_NS6detail15normal_iteratorINS8_10device_ptrIbEEEENSA_INSB_IiEEEEjNS1_19radix_merge_compareILb1ELb0EbNS0_19identity_decomposerEEEEE10hipError_tT0_T1_T2_jT3_P12ihipStream_tbPNSt15iterator_traitsISK_E10value_typeEPNSQ_ISL_E10value_typeEPSM_NS1_7vsmem_tEENKUlT_SK_SL_SM_E_clIPbSD_PiSF_EESJ_SZ_SK_SL_SM_EUlSZ_E0_NS1_11comp_targetILNS1_3genE0ELNS1_11target_archE4294967295ELNS1_3gpuE0ELNS1_3repE0EEENS1_38merge_mergepath_config_static_selectorELNS0_4arch9wavefront6targetE1EEEvSL_,@function
_ZN7rocprim17ROCPRIM_400000_NS6detail17trampoline_kernelINS0_14default_configENS1_38merge_sort_block_merge_config_selectorIbiEEZZNS1_27merge_sort_block_merge_implIS3_N6thrust23THRUST_200600_302600_NS6detail15normal_iteratorINS8_10device_ptrIbEEEENSA_INSB_IiEEEEjNS1_19radix_merge_compareILb1ELb0EbNS0_19identity_decomposerEEEEE10hipError_tT0_T1_T2_jT3_P12ihipStream_tbPNSt15iterator_traitsISK_E10value_typeEPNSQ_ISL_E10value_typeEPSM_NS1_7vsmem_tEENKUlT_SK_SL_SM_E_clIPbSD_PiSF_EESJ_SZ_SK_SL_SM_EUlSZ_E0_NS1_11comp_targetILNS1_3genE0ELNS1_11target_archE4294967295ELNS1_3gpuE0ELNS1_3repE0EEENS1_38merge_mergepath_config_static_selectorELNS0_4arch9wavefront6targetE1EEEvSL_: ; @_ZN7rocprim17ROCPRIM_400000_NS6detail17trampoline_kernelINS0_14default_configENS1_38merge_sort_block_merge_config_selectorIbiEEZZNS1_27merge_sort_block_merge_implIS3_N6thrust23THRUST_200600_302600_NS6detail15normal_iteratorINS8_10device_ptrIbEEEENSA_INSB_IiEEEEjNS1_19radix_merge_compareILb1ELb0EbNS0_19identity_decomposerEEEEE10hipError_tT0_T1_T2_jT3_P12ihipStream_tbPNSt15iterator_traitsISK_E10value_typeEPNSQ_ISL_E10value_typeEPSM_NS1_7vsmem_tEENKUlT_SK_SL_SM_E_clIPbSD_PiSF_EESJ_SZ_SK_SL_SM_EUlSZ_E0_NS1_11comp_targetILNS1_3genE0ELNS1_11target_archE4294967295ELNS1_3gpuE0ELNS1_3repE0EEENS1_38merge_mergepath_config_static_selectorELNS0_4arch9wavefront6targetE1EEEvSL_
; %bb.0:
	s_load_dwordx2 s[22:23], s[0:1], 0x40
	s_load_dword s5, s[0:1], 0x30
	s_add_u32 s20, s0, 64
	s_addc_u32 s21, s1, 0
	s_waitcnt lgkmcnt(0)
	s_mul_i32 s4, s23, s4
	s_add_i32 s3, s4, s3
	s_mul_i32 s3, s3, s22
	s_add_i32 s18, s3, s2
	s_cmp_ge_u32 s18, s5
	s_cbranch_scc1 .LBB2112_48
; %bb.1:
	s_load_dwordx8 s[8:15], s[0:1], 0x10
	s_load_dwordx2 s[26:27], s[0:1], 0x8
	s_load_dwordx2 s[4:5], s[0:1], 0x38
	s_mov_b32 s19, 0
	v_mov_b32_e32 v3, 0
	s_waitcnt lgkmcnt(0)
	s_lshr_b32 s28, s14, 10
	s_cmp_lg_u32 s18, s28
	s_cselect_b64 s[16:17], -1, 0
	s_lshl_b64 s[0:1], s[18:19], 2
	s_add_u32 s4, s4, s0
	s_addc_u32 s5, s5, s1
	s_lshr_b32 s3, s15, 9
	s_and_b32 s3, s3, 0x7ffffe
	s_load_dwordx2 s[0:1], s[4:5], 0x0
	s_sub_i32 s3, 0, s3
	s_and_b32 s4, s18, s3
	s_lshl_b32 s5, s4, 10
	s_lshl_b32 s6, s18, 10
	;; [unrolled: 1-line block ×3, first 2 shown]
	s_sub_i32 s7, s6, s5
	s_add_i32 s23, s4, s15
	s_add_i32 s7, s23, s7
	s_waitcnt lgkmcnt(0)
	s_sub_i32 s4, s7, s0
	s_sub_i32 s7, s7, s1
	;; [unrolled: 1-line block ×3, first 2 shown]
	s_min_u32 s4, s14, s4
	s_addk_i32 s7, 0x400
	s_or_b32 s3, s18, s3
	s_min_u32 s23, s14, s5
	s_add_i32 s5, s5, s15
	s_cmp_eq_u32 s3, -1
	s_cselect_b32 s3, s5, s7
	s_cselect_b32 s1, s23, s1
	s_min_u32 s15, s3, s14
	s_sub_i32 s7, s1, s0
	s_add_u32 s23, s26, s0
	s_addc_u32 s24, s27, 0
	s_add_u32 s25, s26, s4
	s_addc_u32 s26, s27, 0
	s_cmp_lt_u32 s2, s22
	s_cselect_b32 s1, 12, 18
	global_load_dword v1, v3, s[20:21] offset:14
	s_add_u32 s2, s20, s1
	s_addc_u32 s3, s21, 0
	global_load_ushort v2, v3, s[2:3]
	s_mov_b32 s1, s19
	s_mov_b32 s5, s19
	s_cmp_eq_u32 s18, s28
	s_waitcnt vmcnt(1)
	v_lshrrev_b32_e32 v4, 16, v1
	v_and_b32_e32 v1, 0xffff, v1
	v_mul_lo_u32 v1, v1, v4
	s_waitcnt vmcnt(0)
	v_mul_lo_u32 v13, v1, v2
	v_add_u32_e32 v8, v13, v0
	s_cbranch_scc1 .LBB2112_3
; %bb.2:
	v_subrev_u32_e32 v1, s7, v0
	v_min_u32_e32 v2, v0, v1
	v_mov_b32_e32 v1, s26
	v_mov_b32_e32 v9, s24
	v_cmp_gt_u32_e32 vcc, s7, v0
	v_mov_b32_e32 v10, s25
	v_mov_b32_e32 v12, s23
	v_cndmask_b32_e32 v5, v1, v9, vcc
	v_cndmask_b32_e32 v4, v10, v12, vcc
	v_lshl_add_u64 v[4:5], v[4:5], 0, v[2:3]
	v_subrev_u32_e32 v2, s7, v8
	v_cmp_gt_u32_e32 vcc, s7, v8
	v_min_u32_e32 v2, v8, v2
	v_add_u32_e32 v14, v8, v13
	v_cndmask_b32_e32 v7, v1, v9, vcc
	v_cndmask_b32_e32 v6, v10, v12, vcc
	v_lshl_add_u64 v[6:7], v[6:7], 0, v[2:3]
	v_subrev_u32_e32 v2, s7, v14
	v_cmp_gt_u32_e32 vcc, s7, v14
	v_min_u32_e32 v2, v14, v2
	s_mov_b32 s2, 0xc0c0004
	v_cndmask_b32_e32 v11, v1, v9, vcc
	v_cndmask_b32_e32 v10, v10, v12, vcc
	v_lshl_add_u64 v[2:3], v[10:11], 0, v[2:3]
	global_load_ubyte v9, v[6:7], off
	global_load_ubyte v10, v[4:5], off
	global_load_ubyte v11, v[2:3], off
	v_add_u32_e32 v1, v14, v13
	s_waitcnt vmcnt(1)
	v_perm_b32 v2, v10, v9, s2
	s_waitcnt vmcnt(0)
	v_lshl_or_b32 v12, v11, 16, v2
	s_mov_b64 s[2:3], -1
	s_sub_i32 s15, s15, s4
	s_cbranch_execz .LBB2112_4
	s_branch .LBB2112_11
.LBB2112_3:
	s_mov_b64 s[2:3], 0
                                        ; implicit-def: $vgpr1
                                        ; implicit-def: $vgpr12
	s_sub_i32 s15, s15, s4
.LBB2112_4:
	s_add_i32 s18, s15, s7
	v_cmp_gt_u32_e32 vcc, s18, v0
	v_mov_b32_e32 v12, 0
	s_and_saveexec_b64 s[2:3], vcc
	s_cbranch_execz .LBB2112_6
; %bb.5:
	v_mov_b32_e32 v1, s26
	v_mov_b32_e32 v2, s24
	v_cmp_gt_u32_e32 vcc, s7, v0
	v_mov_b32_e32 v5, 0
	s_nop 0
	v_cndmask_b32_e32 v3, v1, v2, vcc
	v_mov_b32_e32 v1, s25
	v_mov_b32_e32 v2, s23
	v_cndmask_b32_e32 v2, v1, v2, vcc
	v_subrev_u32_e32 v1, s7, v0
	v_min_u32_e32 v4, v0, v1
	v_lshl_add_u64 v[2:3], v[2:3], 0, v[4:5]
	global_load_ubyte v12, v[2:3], off
.LBB2112_6:
	s_or_b64 exec, exec, s[2:3]
	v_cmp_gt_u32_e32 vcc, s18, v8
	s_and_saveexec_b64 s[2:3], vcc
	s_cbranch_execz .LBB2112_8
; %bb.7:
	v_mov_b32_e32 v1, s26
	v_mov_b32_e32 v2, s24
	v_cmp_gt_u32_e32 vcc, s7, v8
	v_mov_b32_e32 v5, 0
	s_nop 0
	v_cndmask_b32_e32 v3, v1, v2, vcc
	v_mov_b32_e32 v1, s25
	v_mov_b32_e32 v2, s23
	v_cndmask_b32_e32 v2, v1, v2, vcc
	v_subrev_u32_e32 v1, s7, v8
	v_min_u32_e32 v4, v8, v1
	v_lshl_add_u64 v[2:3], v[2:3], 0, v[4:5]
	global_load_ubyte v1, v[2:3], off
	s_waitcnt vmcnt(0)
	v_lshlrev_b16_e32 v1, 8, v1
	v_or_b32_e32 v1, v12, v1
	v_and_b32_e32 v12, 0xffff, v1
.LBB2112_8:
	s_or_b64 exec, exec, s[2:3]
	v_add_u32_e32 v1, v8, v13
	v_cmp_gt_u32_e32 vcc, s18, v1
	s_and_saveexec_b64 s[2:3], vcc
	s_cbranch_execz .LBB2112_10
; %bb.9:
	v_mov_b32_e32 v2, s26
	v_mov_b32_e32 v3, s24
	v_cmp_gt_u32_e32 vcc, s7, v1
	v_mov_b32_e32 v4, s23
	v_mov_b32_e32 v5, 0
	v_cndmask_b32_e32 v3, v2, v3, vcc
	v_mov_b32_e32 v2, s25
	v_cndmask_b32_e32 v2, v2, v4, vcc
	v_subrev_u32_e32 v4, s7, v1
	v_min_u32_e32 v4, v1, v4
	v_lshl_add_u64 v[2:3], v[2:3], 0, v[4:5]
	global_load_ubyte v2, v[2:3], off
	s_waitcnt vmcnt(0)
	v_lshl_or_b32 v12, v2, 16, v12
.LBB2112_10:
	s_or_b64 exec, exec, s[2:3]
	v_add_u32_e32 v1, v1, v13
	v_cmp_gt_u32_e64 s[2:3], s18, v1
.LBB2112_11:
	s_and_saveexec_b64 s[18:19], s[2:3]
	s_cbranch_execz .LBB2112_13
; %bb.12:
	v_subrev_u32_e32 v2, s7, v1
	v_mov_b32_e32 v3, s26
	v_mov_b32_e32 v4, s24
	v_cmp_gt_u32_e32 vcc, s7, v1
	v_min_u32_e32 v2, v1, v2
	v_mov_b32_e32 v1, s25
	v_cndmask_b32_e32 v5, v3, v4, vcc
	v_mov_b32_e32 v3, s23
	v_cndmask_b32_e32 v4, v1, v3, vcc
	v_mov_b32_e32 v3, 0
	v_lshl_add_u64 v[2:3], v[4:5], 0, v[2:3]
	global_load_ubyte v1, v[2:3], off
	s_mov_b32 s2, 0x60504
	s_waitcnt vmcnt(0)
	v_perm_b32 v12, v12, v1, s2
.LBB2112_13:
	s_or_b64 exec, exec, s[18:19]
	s_lshl_b64 s[0:1], s[0:1], 2
	s_add_u32 s0, s10, s0
	s_addc_u32 s1, s11, s1
	s_lshl_b64 s[2:3], s[4:5], 2
	s_add_u32 s2, s10, s2
	s_waitcnt vmcnt(0)
	v_lshrrev_b32_e32 v14, 16, v12
	v_mov_b32_e32 v1, 0
	v_lshrrev_b32_e32 v15, 8, v12
	v_lshrrev_b32_e32 v16, 24, v12
	s_addc_u32 s3, s11, s3
	s_andn2_b64 vcc, exec, s[16:17]
	v_lshlrev_b32_e32 v6, 2, v0
	v_add_u32_e32 v10, v8, v13
	ds_write_b8 v0, v12
	ds_write_b8 v0, v15 offset:256
	ds_write_b8 v0, v14 offset:512
	ds_write_b8 v0, v16 offset:768
	s_cbranch_vccnz .LBB2112_15
; %bb.14:
	v_mov_b32_e32 v7, v1
	v_subrev_co_u32_e32 v4, vcc, s7, v0
	v_mov_b32_e32 v5, v1
	v_lshl_add_u64 v[2:3], s[0:1], 0, v[6:7]
	v_lshl_add_u64 v[4:5], v[4:5], 2, s[2:3]
	v_cndmask_b32_e32 v3, v5, v3, vcc
	v_cndmask_b32_e32 v2, v4, v2, vcc
	v_mov_b32_e32 v9, v1
	v_subrev_co_u32_e32 v18, vcc, s7, v8
	v_mov_b32_e32 v19, v1
	v_lshl_add_u64 v[4:5], v[8:9], 2, s[0:1]
	v_lshl_add_u64 v[18:19], v[18:19], 2, s[2:3]
	v_cndmask_b32_e32 v5, v19, v5, vcc
	v_cndmask_b32_e32 v4, v18, v4, vcc
	v_mov_b32_e32 v11, v1
	v_subrev_co_u32_e32 v18, vcc, s7, v10
	v_mov_b32_e32 v19, v1
	global_load_dword v2, v[2:3], off
	v_lshl_add_u64 v[18:19], v[18:19], 2, s[2:3]
	global_load_dword v3, v[4:5], off
	v_lshl_add_u64 v[4:5], v[10:11], 2, s[0:1]
	v_cndmask_b32_e32 v5, v19, v5, vcc
	v_cndmask_b32_e32 v4, v18, v4, vcc
	v_add_u32_e32 v18, v10, v13
	v_mov_b32_e32 v19, v1
	v_lshl_add_u64 v[20:21], v[18:19], 2, s[0:1]
	v_subrev_co_u32_e32 v18, vcc, s7, v18
	v_lshl_add_u64 v[18:19], v[18:19], 2, s[2:3]
	s_nop 0
	v_cndmask_b32_e32 v19, v19, v21, vcc
	v_cndmask_b32_e32 v18, v18, v20, vcc
	global_load_dword v4, v[4:5], off
	s_add_i32 s18, s15, s7
	global_load_dword v5, v[18:19], off
	s_cbranch_execz .LBB2112_16
	s_branch .LBB2112_23
.LBB2112_15:
                                        ; implicit-def: $vgpr2_vgpr3_vgpr4_vgpr5
                                        ; implicit-def: $sgpr18
.LBB2112_16:
	s_add_i32 s18, s15, s7
	s_waitcnt vmcnt(3)
	v_mov_b32_e32 v2, 0
	v_cmp_gt_u32_e32 vcc, s18, v0
	s_waitcnt vmcnt(2)
	v_mov_b32_e32 v3, v2
	s_waitcnt vmcnt(1)
	v_mov_b32_e32 v4, v2
	;; [unrolled: 2-line block ×3, first 2 shown]
	s_and_saveexec_b64 s[4:5], vcc
	s_cbranch_execnz .LBB2112_49
; %bb.17:
	s_or_b64 exec, exec, s[4:5]
	v_cmp_gt_u32_e32 vcc, s18, v8
	s_and_saveexec_b64 s[4:5], vcc
	s_cbranch_execnz .LBB2112_50
.LBB2112_18:
	s_or_b64 exec, exec, s[4:5]
	v_cmp_gt_u32_e32 vcc, s18, v10
	s_and_saveexec_b64 s[4:5], vcc
	s_cbranch_execz .LBB2112_20
.LBB2112_19:
	v_mov_b32_e32 v11, 0
	v_subrev_co_u32_e32 v18, vcc, s7, v10
	v_mov_b32_e32 v19, v11
	v_lshl_add_u64 v[8:9], v[10:11], 2, s[0:1]
	v_lshl_add_u64 v[18:19], v[18:19], 2, s[2:3]
	v_cndmask_b32_e32 v9, v19, v9, vcc
	v_cndmask_b32_e32 v8, v18, v8, vcc
	global_load_dword v4, v[8:9], off
.LBB2112_20:
	s_or_b64 exec, exec, s[4:5]
	v_add_u32_e32 v8, v10, v13
	v_cmp_gt_u32_e32 vcc, s18, v8
	s_and_saveexec_b64 s[4:5], vcc
	s_cbranch_execz .LBB2112_22
; %bb.21:
	v_mov_b32_e32 v9, 0
	v_lshl_add_u64 v[10:11], v[8:9], 2, s[0:1]
	v_subrev_co_u32_e32 v8, vcc, s7, v8
	v_lshl_add_u64 v[8:9], v[8:9], 2, s[2:3]
	s_nop 0
	v_cndmask_b32_e32 v9, v9, v11, vcc
	v_cndmask_b32_e32 v8, v8, v10, vcc
	global_load_dword v5, v[8:9], off
.LBB2112_22:
	s_or_b64 exec, exec, s[4:5]
.LBB2112_23:
	v_lshlrev_b32_e32 v7, 2, v0
	v_min_u32_e32 v9, s18, v7
	v_sub_u32_e64 v8, v9, s15 clamp
	v_min_u32_e32 v10, s7, v9
	v_cmp_lt_u32_e32 vcc, v8, v10
	s_waitcnt lgkmcnt(0)
	s_barrier
	s_and_saveexec_b64 s[0:1], vcc
	s_cbranch_execz .LBB2112_27
; %bb.24:
	v_add_u32_e32 v11, s7, v9
	s_mov_b64 s[2:3], 0
.LBB2112_25:                            ; =>This Inner Loop Header: Depth=1
	v_add_u32_e32 v13, v10, v8
	v_lshrrev_b32_e32 v13, 1, v13
	v_xad_u32 v17, v13, -1, v11
	ds_read_u8 v18, v13
	ds_read_u8 v17, v17
	v_add_u32_e32 v19, 1, v13
	s_waitcnt lgkmcnt(0)
	v_cmp_gt_u16_e32 vcc, v17, v18
	s_nop 1
	v_cndmask_b32_e32 v10, v10, v13, vcc
	v_cndmask_b32_e32 v8, v19, v8, vcc
	v_cmp_ge_u32_e32 vcc, v8, v10
	s_or_b64 s[2:3], vcc, s[2:3]
	s_andn2_b64 exec, exec, s[2:3]
	s_cbranch_execnz .LBB2112_25
; %bb.26:
	s_or_b64 exec, exec, s[2:3]
.LBB2112_27:
	s_or_b64 exec, exec, s[0:1]
	v_sub_u32_e32 v9, v9, v8
	v_add_u32_e32 v17, s7, v9
	v_cmp_ge_u32_e32 vcc, s7, v8
	v_cmp_ge_u32_e64 s[0:1], s18, v17
	s_or_b64 s[0:1], vcc, s[0:1]
	v_mov_b32_e32 v11, 0
	v_mov_b32_e32 v13, 0
	;; [unrolled: 1-line block ×4, first 2 shown]
	s_and_saveexec_b64 s[10:11], s[0:1]
	s_cbranch_execz .LBB2112_33
; %bb.28:
	v_cmp_gt_u32_e32 vcc, s7, v8
                                        ; implicit-def: $vgpr11
	s_and_saveexec_b64 s[0:1], vcc
; %bb.29:
	ds_read_u8 v11, v8
; %bb.30:
	s_or_b64 exec, exec, s[0:1]
	v_cmp_le_u32_e64 s[0:1], s18, v17
	v_cmp_gt_u32_e64 s[2:3], s18, v17
                                        ; implicit-def: $vgpr12
	s_and_saveexec_b64 s[4:5], s[2:3]
; %bb.31:
	ds_read_u8 v12, v17
; %bb.32:
	s_or_b64 exec, exec, s[4:5]
	s_waitcnt lgkmcnt(0)
	v_cmp_le_u16_sdwa s[2:3], v12, v11 src0_sel:BYTE_0 src1_sel:BYTE_0
	s_and_b64 s[2:3], vcc, s[2:3]
	s_or_b64 vcc, s[0:1], s[2:3]
	v_mov_b32_e32 v14, s18
	v_mov_b32_e32 v15, s7
	v_cndmask_b32_e32 v9, v17, v8, vcc
	v_cndmask_b32_e32 v10, v14, v15, vcc
	v_add_u32_e32 v13, 1, v9
	v_add_u32_e32 v10, -1, v10
	v_min_u32_e32 v10, v13, v10
	ds_read_u8 v10, v10
	v_cndmask_b32_e32 v8, v8, v13, vcc
	v_cndmask_b32_e32 v17, v13, v17, vcc
	v_cmp_gt_u32_e64 s[2:3], s7, v8
	v_cmp_le_u32_e64 s[0:1], s18, v17
	s_waitcnt lgkmcnt(0)
	v_cndmask_b32_e32 v16, v10, v12, vcc
	v_cndmask_b32_e32 v18, v11, v10, vcc
	v_cmp_le_u16_sdwa s[4:5], v16, v18 src0_sel:BYTE_0 src1_sel:BYTE_0
	s_and_b64 s[2:3], s[2:3], s[4:5]
	s_or_b64 s[0:1], s[0:1], s[2:3]
	v_cndmask_b32_e64 v10, v17, v8, s[0:1]
	v_cndmask_b32_e64 v13, v14, v15, s[0:1]
	v_add_u32_e32 v19, 1, v10
	v_add_u32_e32 v13, -1, v13
	v_min_u32_e32 v13, v19, v13
	ds_read_u8 v13, v13
	v_cndmask_b32_e64 v8, v8, v19, s[0:1]
	v_cndmask_b32_e64 v17, v19, v17, s[0:1]
	v_cmp_gt_u32_e64 s[4:5], s7, v8
	v_cmp_le_u32_e64 s[2:3], s18, v17
	s_waitcnt lgkmcnt(0)
	v_cndmask_b32_e64 v20, v13, v16, s[0:1]
	v_cndmask_b32_e64 v21, v18, v13, s[0:1]
	v_cmp_le_u16_sdwa s[20:21], v20, v21 src0_sel:BYTE_0 src1_sel:BYTE_0
	s_and_b64 s[4:5], s[4:5], s[20:21]
	s_or_b64 s[2:3], s[2:3], s[4:5]
	v_cndmask_b32_e64 v13, v17, v8, s[2:3]
	v_cndmask_b32_e64 v14, v14, v15, s[2:3]
	v_add_u32_e32 v19, 1, v13
	v_add_u32_e32 v14, -1, v14
	v_min_u32_e32 v14, v19, v14
	ds_read_u8 v22, v14
	v_cndmask_b32_e64 v15, v16, v18, s[0:1]
	v_cndmask_b32_e64 v8, v8, v19, s[2:3]
	v_cndmask_b32_e32 v12, v12, v11, vcc
	v_cndmask_b32_e64 v14, v20, v21, s[2:3]
	s_waitcnt lgkmcnt(0)
	v_cndmask_b32_e64 v16, v22, v20, s[2:3]
	v_cndmask_b32_e64 v18, v21, v22, s[2:3]
	;; [unrolled: 1-line block ×3, first 2 shown]
	v_cmp_gt_u32_e64 s[0:1], s7, v8
	v_cmp_le_u16_sdwa s[2:3], v16, v18 src0_sel:BYTE_0 src1_sel:BYTE_0
	v_cmp_le_u32_e32 vcc, s18, v11
	s_and_b64 s[0:1], s[0:1], s[2:3]
	s_or_b64 vcc, vcc, s[0:1]
	v_cndmask_b32_e32 v11, v11, v8, vcc
	v_cndmask_b32_e32 v16, v16, v18, vcc
.LBB2112_33:
	s_or_b64 exec, exec, s[10:11]
	v_mad_u32_u24 v8, v0, 3, v0
	s_barrier
	s_waitcnt vmcnt(0)
	ds_write2st64_b32 v8, v2, v3 offset1:4
	ds_write2st64_b32 v8, v4, v5 offset0:8 offset1:12
	v_lshlrev_b32_e32 v2, 2, v9
	v_lshlrev_b32_e32 v3, 2, v10
	;; [unrolled: 1-line block ×3, first 2 shown]
	s_waitcnt lgkmcnt(0)
	s_barrier
	v_lshlrev_b32_e32 v4, 2, v13
	ds_read_b32 v5, v2
	ds_read_b32 v8, v3
	;; [unrolled: 1-line block ×4, first 2 shown]
	v_lshrrev_b32_e32 v11, 3, v0
	v_and_b32_e32 v2, 28, v11
	s_mov_b32 s2, 0xc0c0004
	v_add_u32_e32 v4, v2, v7
	v_perm_b32 v2, v12, v15, s2
	v_perm_b32 v3, v14, v16, s2
	v_or_b32_e32 v17, 0x100, v0
	v_or_b32_e32 v16, 0x200, v0
	;; [unrolled: 1-line block ×3, first 2 shown]
	s_add_u32 s0, s8, s6
	v_lshrrev_b32_e32 v12, 5, v17
	v_lshrrev_b32_e32 v13, 5, v16
	;; [unrolled: 1-line block ×3, first 2 shown]
	s_addc_u32 s1, s9, 0
	v_lshl_or_b32 v2, v3, 16, v2
	v_lshrrev_b32_e32 v22, 5, v0
	v_and_b32_e32 v19, 12, v12
	v_and_b32_e32 v20, 20, v13
	;; [unrolled: 1-line block ×3, first 2 shown]
	s_waitcnt lgkmcnt(0)
	s_barrier
	s_barrier
	s_mov_b32 s7, 0
	ds_write_b32 v4, v2
	v_and_b32_e32 v18, 4, v22
	v_lshl_add_u64 v[2:3], s[0:1], 0, v[0:1]
	s_and_b64 vcc, exec, s[16:17]
	v_add_u32_e32 v19, v19, v0
	v_add_u32_e32 v20, v20, v0
	;; [unrolled: 1-line block ×3, first 2 shown]
	v_lshlrev_b32_e32 v1, 2, v7
	s_waitcnt lgkmcnt(0)
	s_cbranch_vccz .LBB2112_35
; %bb.34:
	v_add_u32_e32 v23, v18, v0
	s_barrier
	ds_read_u8 v23, v23
	ds_read_u8 v24, v19 offset:256
	ds_read_u8 v25, v20 offset:512
	;; [unrolled: 1-line block ×3, first 2 shown]
	v_lshl_add_u32 v22, v22, 2, v7
	s_lshl_b64 s[0:1], s[6:7], 2
	s_waitcnt lgkmcnt(3)
	global_store_byte v[2:3], v23, off
	s_waitcnt lgkmcnt(2)
	global_store_byte v[2:3], v24, off offset:256
	s_waitcnt lgkmcnt(1)
	global_store_byte v[2:3], v25, off offset:512
	;; [unrolled: 2-line block ×3, first 2 shown]
	v_lshl_add_u32 v23, v11, 2, v1
	s_barrier
	ds_write2_b32 v23, v5, v8 offset1:1
	ds_write2_b32 v23, v9, v10 offset0:2 offset1:3
	v_lshl_add_u32 v23, v12, 2, v7
	v_lshl_add_u32 v24, v13, 2, v7
	s_waitcnt lgkmcnt(0)
	s_barrier
	ds_read_b32 v25, v22
	ds_read_b32 v23, v23 offset:1024
	ds_read_b32 v24, v24 offset:2048
	v_lshl_add_u32 v22, v14, 2, v7
	ds_read_b32 v22, v22 offset:3072
	s_add_u32 s0, s12, s0
	s_addc_u32 s1, s13, s1
	s_waitcnt lgkmcnt(3)
	global_store_dword v6, v25, s[0:1]
	s_waitcnt lgkmcnt(2)
	global_store_dword v6, v23, s[0:1] offset:1024
	s_waitcnt lgkmcnt(1)
	global_store_dword v6, v24, s[0:1] offset:2048
	s_mov_b64 s[4:5], -1
	s_cbranch_execz .LBB2112_36
	s_branch .LBB2112_46
.LBB2112_35:
	s_mov_b64 s[4:5], 0
                                        ; implicit-def: $vgpr22
.LBB2112_36:
	s_barrier
	s_waitcnt lgkmcnt(0)
	ds_read_u8 v22, v19 offset:256
	ds_read_u8 v20, v20 offset:512
	;; [unrolled: 1-line block ×3, first 2 shown]
	s_sub_i32 s8, s14, s6
	v_cmp_gt_u32_e32 vcc, s8, v0
	s_and_saveexec_b64 s[0:1], vcc
	s_cbranch_execnz .LBB2112_51
; %bb.37:
	s_or_b64 exec, exec, s[0:1]
	v_cmp_gt_u32_e64 s[0:1], s8, v17
	s_and_saveexec_b64 s[2:3], s[0:1]
	s_cbranch_execnz .LBB2112_52
.LBB2112_38:
	s_or_b64 exec, exec, s[2:3]
	v_cmp_gt_u32_e64 s[2:3], s8, v16
	s_and_saveexec_b64 s[4:5], s[2:3]
	s_cbranch_execnz .LBB2112_53
.LBB2112_39:
	s_or_b64 exec, exec, s[4:5]
	v_cmp_gt_u32_e64 s[4:5], s8, v15
	s_and_saveexec_b64 s[8:9], s[4:5]
	s_cbranch_execz .LBB2112_41
.LBB2112_40:
	s_waitcnt lgkmcnt(0)
	global_store_byte v[2:3], v19, off offset:768
.LBB2112_41:
	s_or_b64 exec, exec, s[8:9]
	v_lshl_add_u32 v0, v11, 2, v1
	s_waitcnt lgkmcnt(0)
	s_barrier
	ds_write2_b32 v0, v5, v8 offset1:1
	ds_write2_b32 v0, v9, v10 offset0:2 offset1:3
	v_lshl_add_u32 v0, v12, 2, v7
	s_waitcnt lgkmcnt(0)
	s_barrier
	v_lshl_add_u32 v1, v13, 2, v7
	v_lshl_add_u32 v5, v14, 2, v7
	ds_read_b32 v3, v0 offset:1024
	ds_read_b32 v2, v1 offset:2048
	;; [unrolled: 1-line block ×3, first 2 shown]
	s_lshl_b64 s[8:9], s[6:7], 2
	s_add_u32 s8, s12, s8
	s_addc_u32 s9, s13, s9
	v_mov_b32_e32 v7, 0
	v_lshl_add_u64 v[0:1], s[8:9], 0, v[6:7]
	s_and_saveexec_b64 s[8:9], vcc
	s_cbranch_execnz .LBB2112_54
; %bb.42:
	s_or_b64 exec, exec, s[8:9]
	s_and_saveexec_b64 s[8:9], s[0:1]
	s_cbranch_execnz .LBB2112_55
.LBB2112_43:
	s_or_b64 exec, exec, s[8:9]
	s_and_saveexec_b64 s[0:1], s[2:3]
	s_cbranch_execz .LBB2112_45
.LBB2112_44:
	s_waitcnt lgkmcnt(1)
	global_store_dword v[0:1], v2, off offset:2048
.LBB2112_45:
	s_or_b64 exec, exec, s[0:1]
.LBB2112_46:
	s_and_saveexec_b64 s[0:1], s[4:5]
	s_cbranch_execz .LBB2112_48
; %bb.47:
	s_lshl_b64 s[0:1], s[6:7], 2
	s_add_u32 s0, s12, s0
	s_addc_u32 s1, s13, s1
	s_waitcnt lgkmcnt(0)
	global_store_dword v6, v22, s[0:1] offset:3072
.LBB2112_48:
	s_endpgm
.LBB2112_49:
	v_mov_b32_e32 v7, v2
	v_subrev_co_u32_e32 v18, vcc, s7, v0
	v_mov_b32_e32 v19, v2
	v_lshl_add_u64 v[4:5], s[0:1], 0, v[6:7]
	v_lshl_add_u64 v[18:19], v[18:19], 2, s[2:3]
	v_cndmask_b32_e32 v5, v19, v5, vcc
	v_cndmask_b32_e32 v4, v18, v4, vcc
	global_load_dword v18, v[4:5], off
	v_mov_b32_e32 v19, v2
	v_mov_b32_e32 v20, v2
	;; [unrolled: 1-line block ×3, first 2 shown]
	s_waitcnt vmcnt(0)
	v_mov_b64_e32 v[2:3], v[18:19]
	v_mov_b64_e32 v[4:5], v[20:21]
	s_or_b64 exec, exec, s[4:5]
	v_cmp_gt_u32_e32 vcc, s18, v8
	s_and_saveexec_b64 s[4:5], vcc
	s_cbranch_execz .LBB2112_18
.LBB2112_50:
	v_mov_b32_e32 v9, 0
	v_lshl_add_u64 v[18:19], v[8:9], 2, s[0:1]
	v_subrev_co_u32_e32 v8, vcc, s7, v8
	v_lshl_add_u64 v[8:9], v[8:9], 2, s[2:3]
	s_nop 0
	v_cndmask_b32_e32 v9, v9, v19, vcc
	v_cndmask_b32_e32 v8, v8, v18, vcc
	global_load_dword v3, v[8:9], off
	s_or_b64 exec, exec, s[4:5]
	v_cmp_gt_u32_e32 vcc, s18, v10
	s_and_saveexec_b64 s[4:5], vcc
	s_cbranch_execnz .LBB2112_19
	s_branch .LBB2112_20
.LBB2112_51:
	v_add_u32_e32 v0, v18, v0
	ds_read_u8 v0, v0
	s_waitcnt lgkmcnt(0)
	global_store_byte v[2:3], v0, off
	s_or_b64 exec, exec, s[0:1]
	v_cmp_gt_u32_e64 s[0:1], s8, v17
	s_and_saveexec_b64 s[2:3], s[0:1]
	s_cbranch_execz .LBB2112_38
.LBB2112_52:
	s_waitcnt lgkmcnt(2)
	global_store_byte v[2:3], v22, off offset:256
	s_or_b64 exec, exec, s[2:3]
	v_cmp_gt_u32_e64 s[2:3], s8, v16
	s_and_saveexec_b64 s[4:5], s[2:3]
	s_cbranch_execz .LBB2112_39
.LBB2112_53:
	s_waitcnt lgkmcnt(1)
	global_store_byte v[2:3], v20, off offset:512
	s_or_b64 exec, exec, s[4:5]
	v_cmp_gt_u32_e64 s[4:5], s8, v15
	s_and_saveexec_b64 s[8:9], s[4:5]
	s_cbranch_execnz .LBB2112_40
	s_branch .LBB2112_41
.LBB2112_54:
	ds_read_b32 v4, v4
	s_waitcnt lgkmcnt(0)
	global_store_dword v[0:1], v4, off
	s_or_b64 exec, exec, s[8:9]
	s_and_saveexec_b64 s[8:9], s[0:1]
	s_cbranch_execz .LBB2112_43
.LBB2112_55:
	s_waitcnt lgkmcnt(2)
	global_store_dword v[0:1], v3, off offset:1024
	s_or_b64 exec, exec, s[8:9]
	s_and_saveexec_b64 s[0:1], s[2:3]
	s_cbranch_execnz .LBB2112_44
	s_branch .LBB2112_45
	.section	.rodata,"a",@progbits
	.p2align	6, 0x0
	.amdhsa_kernel _ZN7rocprim17ROCPRIM_400000_NS6detail17trampoline_kernelINS0_14default_configENS1_38merge_sort_block_merge_config_selectorIbiEEZZNS1_27merge_sort_block_merge_implIS3_N6thrust23THRUST_200600_302600_NS6detail15normal_iteratorINS8_10device_ptrIbEEEENSA_INSB_IiEEEEjNS1_19radix_merge_compareILb1ELb0EbNS0_19identity_decomposerEEEEE10hipError_tT0_T1_T2_jT3_P12ihipStream_tbPNSt15iterator_traitsISK_E10value_typeEPNSQ_ISL_E10value_typeEPSM_NS1_7vsmem_tEENKUlT_SK_SL_SM_E_clIPbSD_PiSF_EESJ_SZ_SK_SL_SM_EUlSZ_E0_NS1_11comp_targetILNS1_3genE0ELNS1_11target_archE4294967295ELNS1_3gpuE0ELNS1_3repE0EEENS1_38merge_mergepath_config_static_selectorELNS0_4arch9wavefront6targetE1EEEvSL_
		.amdhsa_group_segment_fixed_size 4224
		.amdhsa_private_segment_fixed_size 0
		.amdhsa_kernarg_size 320
		.amdhsa_user_sgpr_count 2
		.amdhsa_user_sgpr_dispatch_ptr 0
		.amdhsa_user_sgpr_queue_ptr 0
		.amdhsa_user_sgpr_kernarg_segment_ptr 1
		.amdhsa_user_sgpr_dispatch_id 0
		.amdhsa_user_sgpr_kernarg_preload_length 0
		.amdhsa_user_sgpr_kernarg_preload_offset 0
		.amdhsa_user_sgpr_private_segment_size 0
		.amdhsa_uses_dynamic_stack 0
		.amdhsa_enable_private_segment 0
		.amdhsa_system_sgpr_workgroup_id_x 1
		.amdhsa_system_sgpr_workgroup_id_y 1
		.amdhsa_system_sgpr_workgroup_id_z 1
		.amdhsa_system_sgpr_workgroup_info 0
		.amdhsa_system_vgpr_workitem_id 0
		.amdhsa_next_free_vgpr 27
		.amdhsa_next_free_sgpr 29
		.amdhsa_accum_offset 28
		.amdhsa_reserve_vcc 1
		.amdhsa_float_round_mode_32 0
		.amdhsa_float_round_mode_16_64 0
		.amdhsa_float_denorm_mode_32 3
		.amdhsa_float_denorm_mode_16_64 3
		.amdhsa_dx10_clamp 1
		.amdhsa_ieee_mode 1
		.amdhsa_fp16_overflow 0
		.amdhsa_tg_split 0
		.amdhsa_exception_fp_ieee_invalid_op 0
		.amdhsa_exception_fp_denorm_src 0
		.amdhsa_exception_fp_ieee_div_zero 0
		.amdhsa_exception_fp_ieee_overflow 0
		.amdhsa_exception_fp_ieee_underflow 0
		.amdhsa_exception_fp_ieee_inexact 0
		.amdhsa_exception_int_div_zero 0
	.end_amdhsa_kernel
	.section	.text._ZN7rocprim17ROCPRIM_400000_NS6detail17trampoline_kernelINS0_14default_configENS1_38merge_sort_block_merge_config_selectorIbiEEZZNS1_27merge_sort_block_merge_implIS3_N6thrust23THRUST_200600_302600_NS6detail15normal_iteratorINS8_10device_ptrIbEEEENSA_INSB_IiEEEEjNS1_19radix_merge_compareILb1ELb0EbNS0_19identity_decomposerEEEEE10hipError_tT0_T1_T2_jT3_P12ihipStream_tbPNSt15iterator_traitsISK_E10value_typeEPNSQ_ISL_E10value_typeEPSM_NS1_7vsmem_tEENKUlT_SK_SL_SM_E_clIPbSD_PiSF_EESJ_SZ_SK_SL_SM_EUlSZ_E0_NS1_11comp_targetILNS1_3genE0ELNS1_11target_archE4294967295ELNS1_3gpuE0ELNS1_3repE0EEENS1_38merge_mergepath_config_static_selectorELNS0_4arch9wavefront6targetE1EEEvSL_,"axG",@progbits,_ZN7rocprim17ROCPRIM_400000_NS6detail17trampoline_kernelINS0_14default_configENS1_38merge_sort_block_merge_config_selectorIbiEEZZNS1_27merge_sort_block_merge_implIS3_N6thrust23THRUST_200600_302600_NS6detail15normal_iteratorINS8_10device_ptrIbEEEENSA_INSB_IiEEEEjNS1_19radix_merge_compareILb1ELb0EbNS0_19identity_decomposerEEEEE10hipError_tT0_T1_T2_jT3_P12ihipStream_tbPNSt15iterator_traitsISK_E10value_typeEPNSQ_ISL_E10value_typeEPSM_NS1_7vsmem_tEENKUlT_SK_SL_SM_E_clIPbSD_PiSF_EESJ_SZ_SK_SL_SM_EUlSZ_E0_NS1_11comp_targetILNS1_3genE0ELNS1_11target_archE4294967295ELNS1_3gpuE0ELNS1_3repE0EEENS1_38merge_mergepath_config_static_selectorELNS0_4arch9wavefront6targetE1EEEvSL_,comdat
.Lfunc_end2112:
	.size	_ZN7rocprim17ROCPRIM_400000_NS6detail17trampoline_kernelINS0_14default_configENS1_38merge_sort_block_merge_config_selectorIbiEEZZNS1_27merge_sort_block_merge_implIS3_N6thrust23THRUST_200600_302600_NS6detail15normal_iteratorINS8_10device_ptrIbEEEENSA_INSB_IiEEEEjNS1_19radix_merge_compareILb1ELb0EbNS0_19identity_decomposerEEEEE10hipError_tT0_T1_T2_jT3_P12ihipStream_tbPNSt15iterator_traitsISK_E10value_typeEPNSQ_ISL_E10value_typeEPSM_NS1_7vsmem_tEENKUlT_SK_SL_SM_E_clIPbSD_PiSF_EESJ_SZ_SK_SL_SM_EUlSZ_E0_NS1_11comp_targetILNS1_3genE0ELNS1_11target_archE4294967295ELNS1_3gpuE0ELNS1_3repE0EEENS1_38merge_mergepath_config_static_selectorELNS0_4arch9wavefront6targetE1EEEvSL_, .Lfunc_end2112-_ZN7rocprim17ROCPRIM_400000_NS6detail17trampoline_kernelINS0_14default_configENS1_38merge_sort_block_merge_config_selectorIbiEEZZNS1_27merge_sort_block_merge_implIS3_N6thrust23THRUST_200600_302600_NS6detail15normal_iteratorINS8_10device_ptrIbEEEENSA_INSB_IiEEEEjNS1_19radix_merge_compareILb1ELb0EbNS0_19identity_decomposerEEEEE10hipError_tT0_T1_T2_jT3_P12ihipStream_tbPNSt15iterator_traitsISK_E10value_typeEPNSQ_ISL_E10value_typeEPSM_NS1_7vsmem_tEENKUlT_SK_SL_SM_E_clIPbSD_PiSF_EESJ_SZ_SK_SL_SM_EUlSZ_E0_NS1_11comp_targetILNS1_3genE0ELNS1_11target_archE4294967295ELNS1_3gpuE0ELNS1_3repE0EEENS1_38merge_mergepath_config_static_selectorELNS0_4arch9wavefront6targetE1EEEvSL_
                                        ; -- End function
	.set _ZN7rocprim17ROCPRIM_400000_NS6detail17trampoline_kernelINS0_14default_configENS1_38merge_sort_block_merge_config_selectorIbiEEZZNS1_27merge_sort_block_merge_implIS3_N6thrust23THRUST_200600_302600_NS6detail15normal_iteratorINS8_10device_ptrIbEEEENSA_INSB_IiEEEEjNS1_19radix_merge_compareILb1ELb0EbNS0_19identity_decomposerEEEEE10hipError_tT0_T1_T2_jT3_P12ihipStream_tbPNSt15iterator_traitsISK_E10value_typeEPNSQ_ISL_E10value_typeEPSM_NS1_7vsmem_tEENKUlT_SK_SL_SM_E_clIPbSD_PiSF_EESJ_SZ_SK_SL_SM_EUlSZ_E0_NS1_11comp_targetILNS1_3genE0ELNS1_11target_archE4294967295ELNS1_3gpuE0ELNS1_3repE0EEENS1_38merge_mergepath_config_static_selectorELNS0_4arch9wavefront6targetE1EEEvSL_.num_vgpr, 27
	.set _ZN7rocprim17ROCPRIM_400000_NS6detail17trampoline_kernelINS0_14default_configENS1_38merge_sort_block_merge_config_selectorIbiEEZZNS1_27merge_sort_block_merge_implIS3_N6thrust23THRUST_200600_302600_NS6detail15normal_iteratorINS8_10device_ptrIbEEEENSA_INSB_IiEEEEjNS1_19radix_merge_compareILb1ELb0EbNS0_19identity_decomposerEEEEE10hipError_tT0_T1_T2_jT3_P12ihipStream_tbPNSt15iterator_traitsISK_E10value_typeEPNSQ_ISL_E10value_typeEPSM_NS1_7vsmem_tEENKUlT_SK_SL_SM_E_clIPbSD_PiSF_EESJ_SZ_SK_SL_SM_EUlSZ_E0_NS1_11comp_targetILNS1_3genE0ELNS1_11target_archE4294967295ELNS1_3gpuE0ELNS1_3repE0EEENS1_38merge_mergepath_config_static_selectorELNS0_4arch9wavefront6targetE1EEEvSL_.num_agpr, 0
	.set _ZN7rocprim17ROCPRIM_400000_NS6detail17trampoline_kernelINS0_14default_configENS1_38merge_sort_block_merge_config_selectorIbiEEZZNS1_27merge_sort_block_merge_implIS3_N6thrust23THRUST_200600_302600_NS6detail15normal_iteratorINS8_10device_ptrIbEEEENSA_INSB_IiEEEEjNS1_19radix_merge_compareILb1ELb0EbNS0_19identity_decomposerEEEEE10hipError_tT0_T1_T2_jT3_P12ihipStream_tbPNSt15iterator_traitsISK_E10value_typeEPNSQ_ISL_E10value_typeEPSM_NS1_7vsmem_tEENKUlT_SK_SL_SM_E_clIPbSD_PiSF_EESJ_SZ_SK_SL_SM_EUlSZ_E0_NS1_11comp_targetILNS1_3genE0ELNS1_11target_archE4294967295ELNS1_3gpuE0ELNS1_3repE0EEENS1_38merge_mergepath_config_static_selectorELNS0_4arch9wavefront6targetE1EEEvSL_.numbered_sgpr, 29
	.set _ZN7rocprim17ROCPRIM_400000_NS6detail17trampoline_kernelINS0_14default_configENS1_38merge_sort_block_merge_config_selectorIbiEEZZNS1_27merge_sort_block_merge_implIS3_N6thrust23THRUST_200600_302600_NS6detail15normal_iteratorINS8_10device_ptrIbEEEENSA_INSB_IiEEEEjNS1_19radix_merge_compareILb1ELb0EbNS0_19identity_decomposerEEEEE10hipError_tT0_T1_T2_jT3_P12ihipStream_tbPNSt15iterator_traitsISK_E10value_typeEPNSQ_ISL_E10value_typeEPSM_NS1_7vsmem_tEENKUlT_SK_SL_SM_E_clIPbSD_PiSF_EESJ_SZ_SK_SL_SM_EUlSZ_E0_NS1_11comp_targetILNS1_3genE0ELNS1_11target_archE4294967295ELNS1_3gpuE0ELNS1_3repE0EEENS1_38merge_mergepath_config_static_selectorELNS0_4arch9wavefront6targetE1EEEvSL_.num_named_barrier, 0
	.set _ZN7rocprim17ROCPRIM_400000_NS6detail17trampoline_kernelINS0_14default_configENS1_38merge_sort_block_merge_config_selectorIbiEEZZNS1_27merge_sort_block_merge_implIS3_N6thrust23THRUST_200600_302600_NS6detail15normal_iteratorINS8_10device_ptrIbEEEENSA_INSB_IiEEEEjNS1_19radix_merge_compareILb1ELb0EbNS0_19identity_decomposerEEEEE10hipError_tT0_T1_T2_jT3_P12ihipStream_tbPNSt15iterator_traitsISK_E10value_typeEPNSQ_ISL_E10value_typeEPSM_NS1_7vsmem_tEENKUlT_SK_SL_SM_E_clIPbSD_PiSF_EESJ_SZ_SK_SL_SM_EUlSZ_E0_NS1_11comp_targetILNS1_3genE0ELNS1_11target_archE4294967295ELNS1_3gpuE0ELNS1_3repE0EEENS1_38merge_mergepath_config_static_selectorELNS0_4arch9wavefront6targetE1EEEvSL_.private_seg_size, 0
	.set _ZN7rocprim17ROCPRIM_400000_NS6detail17trampoline_kernelINS0_14default_configENS1_38merge_sort_block_merge_config_selectorIbiEEZZNS1_27merge_sort_block_merge_implIS3_N6thrust23THRUST_200600_302600_NS6detail15normal_iteratorINS8_10device_ptrIbEEEENSA_INSB_IiEEEEjNS1_19radix_merge_compareILb1ELb0EbNS0_19identity_decomposerEEEEE10hipError_tT0_T1_T2_jT3_P12ihipStream_tbPNSt15iterator_traitsISK_E10value_typeEPNSQ_ISL_E10value_typeEPSM_NS1_7vsmem_tEENKUlT_SK_SL_SM_E_clIPbSD_PiSF_EESJ_SZ_SK_SL_SM_EUlSZ_E0_NS1_11comp_targetILNS1_3genE0ELNS1_11target_archE4294967295ELNS1_3gpuE0ELNS1_3repE0EEENS1_38merge_mergepath_config_static_selectorELNS0_4arch9wavefront6targetE1EEEvSL_.uses_vcc, 1
	.set _ZN7rocprim17ROCPRIM_400000_NS6detail17trampoline_kernelINS0_14default_configENS1_38merge_sort_block_merge_config_selectorIbiEEZZNS1_27merge_sort_block_merge_implIS3_N6thrust23THRUST_200600_302600_NS6detail15normal_iteratorINS8_10device_ptrIbEEEENSA_INSB_IiEEEEjNS1_19radix_merge_compareILb1ELb0EbNS0_19identity_decomposerEEEEE10hipError_tT0_T1_T2_jT3_P12ihipStream_tbPNSt15iterator_traitsISK_E10value_typeEPNSQ_ISL_E10value_typeEPSM_NS1_7vsmem_tEENKUlT_SK_SL_SM_E_clIPbSD_PiSF_EESJ_SZ_SK_SL_SM_EUlSZ_E0_NS1_11comp_targetILNS1_3genE0ELNS1_11target_archE4294967295ELNS1_3gpuE0ELNS1_3repE0EEENS1_38merge_mergepath_config_static_selectorELNS0_4arch9wavefront6targetE1EEEvSL_.uses_flat_scratch, 0
	.set _ZN7rocprim17ROCPRIM_400000_NS6detail17trampoline_kernelINS0_14default_configENS1_38merge_sort_block_merge_config_selectorIbiEEZZNS1_27merge_sort_block_merge_implIS3_N6thrust23THRUST_200600_302600_NS6detail15normal_iteratorINS8_10device_ptrIbEEEENSA_INSB_IiEEEEjNS1_19radix_merge_compareILb1ELb0EbNS0_19identity_decomposerEEEEE10hipError_tT0_T1_T2_jT3_P12ihipStream_tbPNSt15iterator_traitsISK_E10value_typeEPNSQ_ISL_E10value_typeEPSM_NS1_7vsmem_tEENKUlT_SK_SL_SM_E_clIPbSD_PiSF_EESJ_SZ_SK_SL_SM_EUlSZ_E0_NS1_11comp_targetILNS1_3genE0ELNS1_11target_archE4294967295ELNS1_3gpuE0ELNS1_3repE0EEENS1_38merge_mergepath_config_static_selectorELNS0_4arch9wavefront6targetE1EEEvSL_.has_dyn_sized_stack, 0
	.set _ZN7rocprim17ROCPRIM_400000_NS6detail17trampoline_kernelINS0_14default_configENS1_38merge_sort_block_merge_config_selectorIbiEEZZNS1_27merge_sort_block_merge_implIS3_N6thrust23THRUST_200600_302600_NS6detail15normal_iteratorINS8_10device_ptrIbEEEENSA_INSB_IiEEEEjNS1_19radix_merge_compareILb1ELb0EbNS0_19identity_decomposerEEEEE10hipError_tT0_T1_T2_jT3_P12ihipStream_tbPNSt15iterator_traitsISK_E10value_typeEPNSQ_ISL_E10value_typeEPSM_NS1_7vsmem_tEENKUlT_SK_SL_SM_E_clIPbSD_PiSF_EESJ_SZ_SK_SL_SM_EUlSZ_E0_NS1_11comp_targetILNS1_3genE0ELNS1_11target_archE4294967295ELNS1_3gpuE0ELNS1_3repE0EEENS1_38merge_mergepath_config_static_selectorELNS0_4arch9wavefront6targetE1EEEvSL_.has_recursion, 0
	.set _ZN7rocprim17ROCPRIM_400000_NS6detail17trampoline_kernelINS0_14default_configENS1_38merge_sort_block_merge_config_selectorIbiEEZZNS1_27merge_sort_block_merge_implIS3_N6thrust23THRUST_200600_302600_NS6detail15normal_iteratorINS8_10device_ptrIbEEEENSA_INSB_IiEEEEjNS1_19radix_merge_compareILb1ELb0EbNS0_19identity_decomposerEEEEE10hipError_tT0_T1_T2_jT3_P12ihipStream_tbPNSt15iterator_traitsISK_E10value_typeEPNSQ_ISL_E10value_typeEPSM_NS1_7vsmem_tEENKUlT_SK_SL_SM_E_clIPbSD_PiSF_EESJ_SZ_SK_SL_SM_EUlSZ_E0_NS1_11comp_targetILNS1_3genE0ELNS1_11target_archE4294967295ELNS1_3gpuE0ELNS1_3repE0EEENS1_38merge_mergepath_config_static_selectorELNS0_4arch9wavefront6targetE1EEEvSL_.has_indirect_call, 0
	.section	.AMDGPU.csdata,"",@progbits
; Kernel info:
; codeLenInByte = 3076
; TotalNumSgprs: 35
; NumVgprs: 27
; NumAgprs: 0
; TotalNumVgprs: 27
; ScratchSize: 0
; MemoryBound: 0
; FloatMode: 240
; IeeeMode: 1
; LDSByteSize: 4224 bytes/workgroup (compile time only)
; SGPRBlocks: 4
; VGPRBlocks: 3
; NumSGPRsForWavesPerEU: 35
; NumVGPRsForWavesPerEU: 27
; AccumOffset: 28
; Occupancy: 8
; WaveLimiterHint : 1
; COMPUTE_PGM_RSRC2:SCRATCH_EN: 0
; COMPUTE_PGM_RSRC2:USER_SGPR: 2
; COMPUTE_PGM_RSRC2:TRAP_HANDLER: 0
; COMPUTE_PGM_RSRC2:TGID_X_EN: 1
; COMPUTE_PGM_RSRC2:TGID_Y_EN: 1
; COMPUTE_PGM_RSRC2:TGID_Z_EN: 1
; COMPUTE_PGM_RSRC2:TIDIG_COMP_CNT: 0
; COMPUTE_PGM_RSRC3_GFX90A:ACCUM_OFFSET: 6
; COMPUTE_PGM_RSRC3_GFX90A:TG_SPLIT: 0
	.section	.text._ZN7rocprim17ROCPRIM_400000_NS6detail17trampoline_kernelINS0_14default_configENS1_38merge_sort_block_merge_config_selectorIbiEEZZNS1_27merge_sort_block_merge_implIS3_N6thrust23THRUST_200600_302600_NS6detail15normal_iteratorINS8_10device_ptrIbEEEENSA_INSB_IiEEEEjNS1_19radix_merge_compareILb1ELb0EbNS0_19identity_decomposerEEEEE10hipError_tT0_T1_T2_jT3_P12ihipStream_tbPNSt15iterator_traitsISK_E10value_typeEPNSQ_ISL_E10value_typeEPSM_NS1_7vsmem_tEENKUlT_SK_SL_SM_E_clIPbSD_PiSF_EESJ_SZ_SK_SL_SM_EUlSZ_E0_NS1_11comp_targetILNS1_3genE10ELNS1_11target_archE1201ELNS1_3gpuE5ELNS1_3repE0EEENS1_38merge_mergepath_config_static_selectorELNS0_4arch9wavefront6targetE1EEEvSL_,"axG",@progbits,_ZN7rocprim17ROCPRIM_400000_NS6detail17trampoline_kernelINS0_14default_configENS1_38merge_sort_block_merge_config_selectorIbiEEZZNS1_27merge_sort_block_merge_implIS3_N6thrust23THRUST_200600_302600_NS6detail15normal_iteratorINS8_10device_ptrIbEEEENSA_INSB_IiEEEEjNS1_19radix_merge_compareILb1ELb0EbNS0_19identity_decomposerEEEEE10hipError_tT0_T1_T2_jT3_P12ihipStream_tbPNSt15iterator_traitsISK_E10value_typeEPNSQ_ISL_E10value_typeEPSM_NS1_7vsmem_tEENKUlT_SK_SL_SM_E_clIPbSD_PiSF_EESJ_SZ_SK_SL_SM_EUlSZ_E0_NS1_11comp_targetILNS1_3genE10ELNS1_11target_archE1201ELNS1_3gpuE5ELNS1_3repE0EEENS1_38merge_mergepath_config_static_selectorELNS0_4arch9wavefront6targetE1EEEvSL_,comdat
	.protected	_ZN7rocprim17ROCPRIM_400000_NS6detail17trampoline_kernelINS0_14default_configENS1_38merge_sort_block_merge_config_selectorIbiEEZZNS1_27merge_sort_block_merge_implIS3_N6thrust23THRUST_200600_302600_NS6detail15normal_iteratorINS8_10device_ptrIbEEEENSA_INSB_IiEEEEjNS1_19radix_merge_compareILb1ELb0EbNS0_19identity_decomposerEEEEE10hipError_tT0_T1_T2_jT3_P12ihipStream_tbPNSt15iterator_traitsISK_E10value_typeEPNSQ_ISL_E10value_typeEPSM_NS1_7vsmem_tEENKUlT_SK_SL_SM_E_clIPbSD_PiSF_EESJ_SZ_SK_SL_SM_EUlSZ_E0_NS1_11comp_targetILNS1_3genE10ELNS1_11target_archE1201ELNS1_3gpuE5ELNS1_3repE0EEENS1_38merge_mergepath_config_static_selectorELNS0_4arch9wavefront6targetE1EEEvSL_ ; -- Begin function _ZN7rocprim17ROCPRIM_400000_NS6detail17trampoline_kernelINS0_14default_configENS1_38merge_sort_block_merge_config_selectorIbiEEZZNS1_27merge_sort_block_merge_implIS3_N6thrust23THRUST_200600_302600_NS6detail15normal_iteratorINS8_10device_ptrIbEEEENSA_INSB_IiEEEEjNS1_19radix_merge_compareILb1ELb0EbNS0_19identity_decomposerEEEEE10hipError_tT0_T1_T2_jT3_P12ihipStream_tbPNSt15iterator_traitsISK_E10value_typeEPNSQ_ISL_E10value_typeEPSM_NS1_7vsmem_tEENKUlT_SK_SL_SM_E_clIPbSD_PiSF_EESJ_SZ_SK_SL_SM_EUlSZ_E0_NS1_11comp_targetILNS1_3genE10ELNS1_11target_archE1201ELNS1_3gpuE5ELNS1_3repE0EEENS1_38merge_mergepath_config_static_selectorELNS0_4arch9wavefront6targetE1EEEvSL_
	.globl	_ZN7rocprim17ROCPRIM_400000_NS6detail17trampoline_kernelINS0_14default_configENS1_38merge_sort_block_merge_config_selectorIbiEEZZNS1_27merge_sort_block_merge_implIS3_N6thrust23THRUST_200600_302600_NS6detail15normal_iteratorINS8_10device_ptrIbEEEENSA_INSB_IiEEEEjNS1_19radix_merge_compareILb1ELb0EbNS0_19identity_decomposerEEEEE10hipError_tT0_T1_T2_jT3_P12ihipStream_tbPNSt15iterator_traitsISK_E10value_typeEPNSQ_ISL_E10value_typeEPSM_NS1_7vsmem_tEENKUlT_SK_SL_SM_E_clIPbSD_PiSF_EESJ_SZ_SK_SL_SM_EUlSZ_E0_NS1_11comp_targetILNS1_3genE10ELNS1_11target_archE1201ELNS1_3gpuE5ELNS1_3repE0EEENS1_38merge_mergepath_config_static_selectorELNS0_4arch9wavefront6targetE1EEEvSL_
	.p2align	8
	.type	_ZN7rocprim17ROCPRIM_400000_NS6detail17trampoline_kernelINS0_14default_configENS1_38merge_sort_block_merge_config_selectorIbiEEZZNS1_27merge_sort_block_merge_implIS3_N6thrust23THRUST_200600_302600_NS6detail15normal_iteratorINS8_10device_ptrIbEEEENSA_INSB_IiEEEEjNS1_19radix_merge_compareILb1ELb0EbNS0_19identity_decomposerEEEEE10hipError_tT0_T1_T2_jT3_P12ihipStream_tbPNSt15iterator_traitsISK_E10value_typeEPNSQ_ISL_E10value_typeEPSM_NS1_7vsmem_tEENKUlT_SK_SL_SM_E_clIPbSD_PiSF_EESJ_SZ_SK_SL_SM_EUlSZ_E0_NS1_11comp_targetILNS1_3genE10ELNS1_11target_archE1201ELNS1_3gpuE5ELNS1_3repE0EEENS1_38merge_mergepath_config_static_selectorELNS0_4arch9wavefront6targetE1EEEvSL_,@function
_ZN7rocprim17ROCPRIM_400000_NS6detail17trampoline_kernelINS0_14default_configENS1_38merge_sort_block_merge_config_selectorIbiEEZZNS1_27merge_sort_block_merge_implIS3_N6thrust23THRUST_200600_302600_NS6detail15normal_iteratorINS8_10device_ptrIbEEEENSA_INSB_IiEEEEjNS1_19radix_merge_compareILb1ELb0EbNS0_19identity_decomposerEEEEE10hipError_tT0_T1_T2_jT3_P12ihipStream_tbPNSt15iterator_traitsISK_E10value_typeEPNSQ_ISL_E10value_typeEPSM_NS1_7vsmem_tEENKUlT_SK_SL_SM_E_clIPbSD_PiSF_EESJ_SZ_SK_SL_SM_EUlSZ_E0_NS1_11comp_targetILNS1_3genE10ELNS1_11target_archE1201ELNS1_3gpuE5ELNS1_3repE0EEENS1_38merge_mergepath_config_static_selectorELNS0_4arch9wavefront6targetE1EEEvSL_: ; @_ZN7rocprim17ROCPRIM_400000_NS6detail17trampoline_kernelINS0_14default_configENS1_38merge_sort_block_merge_config_selectorIbiEEZZNS1_27merge_sort_block_merge_implIS3_N6thrust23THRUST_200600_302600_NS6detail15normal_iteratorINS8_10device_ptrIbEEEENSA_INSB_IiEEEEjNS1_19radix_merge_compareILb1ELb0EbNS0_19identity_decomposerEEEEE10hipError_tT0_T1_T2_jT3_P12ihipStream_tbPNSt15iterator_traitsISK_E10value_typeEPNSQ_ISL_E10value_typeEPSM_NS1_7vsmem_tEENKUlT_SK_SL_SM_E_clIPbSD_PiSF_EESJ_SZ_SK_SL_SM_EUlSZ_E0_NS1_11comp_targetILNS1_3genE10ELNS1_11target_archE1201ELNS1_3gpuE5ELNS1_3repE0EEENS1_38merge_mergepath_config_static_selectorELNS0_4arch9wavefront6targetE1EEEvSL_
; %bb.0:
	.section	.rodata,"a",@progbits
	.p2align	6, 0x0
	.amdhsa_kernel _ZN7rocprim17ROCPRIM_400000_NS6detail17trampoline_kernelINS0_14default_configENS1_38merge_sort_block_merge_config_selectorIbiEEZZNS1_27merge_sort_block_merge_implIS3_N6thrust23THRUST_200600_302600_NS6detail15normal_iteratorINS8_10device_ptrIbEEEENSA_INSB_IiEEEEjNS1_19radix_merge_compareILb1ELb0EbNS0_19identity_decomposerEEEEE10hipError_tT0_T1_T2_jT3_P12ihipStream_tbPNSt15iterator_traitsISK_E10value_typeEPNSQ_ISL_E10value_typeEPSM_NS1_7vsmem_tEENKUlT_SK_SL_SM_E_clIPbSD_PiSF_EESJ_SZ_SK_SL_SM_EUlSZ_E0_NS1_11comp_targetILNS1_3genE10ELNS1_11target_archE1201ELNS1_3gpuE5ELNS1_3repE0EEENS1_38merge_mergepath_config_static_selectorELNS0_4arch9wavefront6targetE1EEEvSL_
		.amdhsa_group_segment_fixed_size 0
		.amdhsa_private_segment_fixed_size 0
		.amdhsa_kernarg_size 64
		.amdhsa_user_sgpr_count 2
		.amdhsa_user_sgpr_dispatch_ptr 0
		.amdhsa_user_sgpr_queue_ptr 0
		.amdhsa_user_sgpr_kernarg_segment_ptr 1
		.amdhsa_user_sgpr_dispatch_id 0
		.amdhsa_user_sgpr_kernarg_preload_length 0
		.amdhsa_user_sgpr_kernarg_preload_offset 0
		.amdhsa_user_sgpr_private_segment_size 0
		.amdhsa_uses_dynamic_stack 0
		.amdhsa_enable_private_segment 0
		.amdhsa_system_sgpr_workgroup_id_x 1
		.amdhsa_system_sgpr_workgroup_id_y 0
		.amdhsa_system_sgpr_workgroup_id_z 0
		.amdhsa_system_sgpr_workgroup_info 0
		.amdhsa_system_vgpr_workitem_id 0
		.amdhsa_next_free_vgpr 1
		.amdhsa_next_free_sgpr 0
		.amdhsa_accum_offset 4
		.amdhsa_reserve_vcc 0
		.amdhsa_float_round_mode_32 0
		.amdhsa_float_round_mode_16_64 0
		.amdhsa_float_denorm_mode_32 3
		.amdhsa_float_denorm_mode_16_64 3
		.amdhsa_dx10_clamp 1
		.amdhsa_ieee_mode 1
		.amdhsa_fp16_overflow 0
		.amdhsa_tg_split 0
		.amdhsa_exception_fp_ieee_invalid_op 0
		.amdhsa_exception_fp_denorm_src 0
		.amdhsa_exception_fp_ieee_div_zero 0
		.amdhsa_exception_fp_ieee_overflow 0
		.amdhsa_exception_fp_ieee_underflow 0
		.amdhsa_exception_fp_ieee_inexact 0
		.amdhsa_exception_int_div_zero 0
	.end_amdhsa_kernel
	.section	.text._ZN7rocprim17ROCPRIM_400000_NS6detail17trampoline_kernelINS0_14default_configENS1_38merge_sort_block_merge_config_selectorIbiEEZZNS1_27merge_sort_block_merge_implIS3_N6thrust23THRUST_200600_302600_NS6detail15normal_iteratorINS8_10device_ptrIbEEEENSA_INSB_IiEEEEjNS1_19radix_merge_compareILb1ELb0EbNS0_19identity_decomposerEEEEE10hipError_tT0_T1_T2_jT3_P12ihipStream_tbPNSt15iterator_traitsISK_E10value_typeEPNSQ_ISL_E10value_typeEPSM_NS1_7vsmem_tEENKUlT_SK_SL_SM_E_clIPbSD_PiSF_EESJ_SZ_SK_SL_SM_EUlSZ_E0_NS1_11comp_targetILNS1_3genE10ELNS1_11target_archE1201ELNS1_3gpuE5ELNS1_3repE0EEENS1_38merge_mergepath_config_static_selectorELNS0_4arch9wavefront6targetE1EEEvSL_,"axG",@progbits,_ZN7rocprim17ROCPRIM_400000_NS6detail17trampoline_kernelINS0_14default_configENS1_38merge_sort_block_merge_config_selectorIbiEEZZNS1_27merge_sort_block_merge_implIS3_N6thrust23THRUST_200600_302600_NS6detail15normal_iteratorINS8_10device_ptrIbEEEENSA_INSB_IiEEEEjNS1_19radix_merge_compareILb1ELb0EbNS0_19identity_decomposerEEEEE10hipError_tT0_T1_T2_jT3_P12ihipStream_tbPNSt15iterator_traitsISK_E10value_typeEPNSQ_ISL_E10value_typeEPSM_NS1_7vsmem_tEENKUlT_SK_SL_SM_E_clIPbSD_PiSF_EESJ_SZ_SK_SL_SM_EUlSZ_E0_NS1_11comp_targetILNS1_3genE10ELNS1_11target_archE1201ELNS1_3gpuE5ELNS1_3repE0EEENS1_38merge_mergepath_config_static_selectorELNS0_4arch9wavefront6targetE1EEEvSL_,comdat
.Lfunc_end2113:
	.size	_ZN7rocprim17ROCPRIM_400000_NS6detail17trampoline_kernelINS0_14default_configENS1_38merge_sort_block_merge_config_selectorIbiEEZZNS1_27merge_sort_block_merge_implIS3_N6thrust23THRUST_200600_302600_NS6detail15normal_iteratorINS8_10device_ptrIbEEEENSA_INSB_IiEEEEjNS1_19radix_merge_compareILb1ELb0EbNS0_19identity_decomposerEEEEE10hipError_tT0_T1_T2_jT3_P12ihipStream_tbPNSt15iterator_traitsISK_E10value_typeEPNSQ_ISL_E10value_typeEPSM_NS1_7vsmem_tEENKUlT_SK_SL_SM_E_clIPbSD_PiSF_EESJ_SZ_SK_SL_SM_EUlSZ_E0_NS1_11comp_targetILNS1_3genE10ELNS1_11target_archE1201ELNS1_3gpuE5ELNS1_3repE0EEENS1_38merge_mergepath_config_static_selectorELNS0_4arch9wavefront6targetE1EEEvSL_, .Lfunc_end2113-_ZN7rocprim17ROCPRIM_400000_NS6detail17trampoline_kernelINS0_14default_configENS1_38merge_sort_block_merge_config_selectorIbiEEZZNS1_27merge_sort_block_merge_implIS3_N6thrust23THRUST_200600_302600_NS6detail15normal_iteratorINS8_10device_ptrIbEEEENSA_INSB_IiEEEEjNS1_19radix_merge_compareILb1ELb0EbNS0_19identity_decomposerEEEEE10hipError_tT0_T1_T2_jT3_P12ihipStream_tbPNSt15iterator_traitsISK_E10value_typeEPNSQ_ISL_E10value_typeEPSM_NS1_7vsmem_tEENKUlT_SK_SL_SM_E_clIPbSD_PiSF_EESJ_SZ_SK_SL_SM_EUlSZ_E0_NS1_11comp_targetILNS1_3genE10ELNS1_11target_archE1201ELNS1_3gpuE5ELNS1_3repE0EEENS1_38merge_mergepath_config_static_selectorELNS0_4arch9wavefront6targetE1EEEvSL_
                                        ; -- End function
	.set _ZN7rocprim17ROCPRIM_400000_NS6detail17trampoline_kernelINS0_14default_configENS1_38merge_sort_block_merge_config_selectorIbiEEZZNS1_27merge_sort_block_merge_implIS3_N6thrust23THRUST_200600_302600_NS6detail15normal_iteratorINS8_10device_ptrIbEEEENSA_INSB_IiEEEEjNS1_19radix_merge_compareILb1ELb0EbNS0_19identity_decomposerEEEEE10hipError_tT0_T1_T2_jT3_P12ihipStream_tbPNSt15iterator_traitsISK_E10value_typeEPNSQ_ISL_E10value_typeEPSM_NS1_7vsmem_tEENKUlT_SK_SL_SM_E_clIPbSD_PiSF_EESJ_SZ_SK_SL_SM_EUlSZ_E0_NS1_11comp_targetILNS1_3genE10ELNS1_11target_archE1201ELNS1_3gpuE5ELNS1_3repE0EEENS1_38merge_mergepath_config_static_selectorELNS0_4arch9wavefront6targetE1EEEvSL_.num_vgpr, 0
	.set _ZN7rocprim17ROCPRIM_400000_NS6detail17trampoline_kernelINS0_14default_configENS1_38merge_sort_block_merge_config_selectorIbiEEZZNS1_27merge_sort_block_merge_implIS3_N6thrust23THRUST_200600_302600_NS6detail15normal_iteratorINS8_10device_ptrIbEEEENSA_INSB_IiEEEEjNS1_19radix_merge_compareILb1ELb0EbNS0_19identity_decomposerEEEEE10hipError_tT0_T1_T2_jT3_P12ihipStream_tbPNSt15iterator_traitsISK_E10value_typeEPNSQ_ISL_E10value_typeEPSM_NS1_7vsmem_tEENKUlT_SK_SL_SM_E_clIPbSD_PiSF_EESJ_SZ_SK_SL_SM_EUlSZ_E0_NS1_11comp_targetILNS1_3genE10ELNS1_11target_archE1201ELNS1_3gpuE5ELNS1_3repE0EEENS1_38merge_mergepath_config_static_selectorELNS0_4arch9wavefront6targetE1EEEvSL_.num_agpr, 0
	.set _ZN7rocprim17ROCPRIM_400000_NS6detail17trampoline_kernelINS0_14default_configENS1_38merge_sort_block_merge_config_selectorIbiEEZZNS1_27merge_sort_block_merge_implIS3_N6thrust23THRUST_200600_302600_NS6detail15normal_iteratorINS8_10device_ptrIbEEEENSA_INSB_IiEEEEjNS1_19radix_merge_compareILb1ELb0EbNS0_19identity_decomposerEEEEE10hipError_tT0_T1_T2_jT3_P12ihipStream_tbPNSt15iterator_traitsISK_E10value_typeEPNSQ_ISL_E10value_typeEPSM_NS1_7vsmem_tEENKUlT_SK_SL_SM_E_clIPbSD_PiSF_EESJ_SZ_SK_SL_SM_EUlSZ_E0_NS1_11comp_targetILNS1_3genE10ELNS1_11target_archE1201ELNS1_3gpuE5ELNS1_3repE0EEENS1_38merge_mergepath_config_static_selectorELNS0_4arch9wavefront6targetE1EEEvSL_.numbered_sgpr, 0
	.set _ZN7rocprim17ROCPRIM_400000_NS6detail17trampoline_kernelINS0_14default_configENS1_38merge_sort_block_merge_config_selectorIbiEEZZNS1_27merge_sort_block_merge_implIS3_N6thrust23THRUST_200600_302600_NS6detail15normal_iteratorINS8_10device_ptrIbEEEENSA_INSB_IiEEEEjNS1_19radix_merge_compareILb1ELb0EbNS0_19identity_decomposerEEEEE10hipError_tT0_T1_T2_jT3_P12ihipStream_tbPNSt15iterator_traitsISK_E10value_typeEPNSQ_ISL_E10value_typeEPSM_NS1_7vsmem_tEENKUlT_SK_SL_SM_E_clIPbSD_PiSF_EESJ_SZ_SK_SL_SM_EUlSZ_E0_NS1_11comp_targetILNS1_3genE10ELNS1_11target_archE1201ELNS1_3gpuE5ELNS1_3repE0EEENS1_38merge_mergepath_config_static_selectorELNS0_4arch9wavefront6targetE1EEEvSL_.num_named_barrier, 0
	.set _ZN7rocprim17ROCPRIM_400000_NS6detail17trampoline_kernelINS0_14default_configENS1_38merge_sort_block_merge_config_selectorIbiEEZZNS1_27merge_sort_block_merge_implIS3_N6thrust23THRUST_200600_302600_NS6detail15normal_iteratorINS8_10device_ptrIbEEEENSA_INSB_IiEEEEjNS1_19radix_merge_compareILb1ELb0EbNS0_19identity_decomposerEEEEE10hipError_tT0_T1_T2_jT3_P12ihipStream_tbPNSt15iterator_traitsISK_E10value_typeEPNSQ_ISL_E10value_typeEPSM_NS1_7vsmem_tEENKUlT_SK_SL_SM_E_clIPbSD_PiSF_EESJ_SZ_SK_SL_SM_EUlSZ_E0_NS1_11comp_targetILNS1_3genE10ELNS1_11target_archE1201ELNS1_3gpuE5ELNS1_3repE0EEENS1_38merge_mergepath_config_static_selectorELNS0_4arch9wavefront6targetE1EEEvSL_.private_seg_size, 0
	.set _ZN7rocprim17ROCPRIM_400000_NS6detail17trampoline_kernelINS0_14default_configENS1_38merge_sort_block_merge_config_selectorIbiEEZZNS1_27merge_sort_block_merge_implIS3_N6thrust23THRUST_200600_302600_NS6detail15normal_iteratorINS8_10device_ptrIbEEEENSA_INSB_IiEEEEjNS1_19radix_merge_compareILb1ELb0EbNS0_19identity_decomposerEEEEE10hipError_tT0_T1_T2_jT3_P12ihipStream_tbPNSt15iterator_traitsISK_E10value_typeEPNSQ_ISL_E10value_typeEPSM_NS1_7vsmem_tEENKUlT_SK_SL_SM_E_clIPbSD_PiSF_EESJ_SZ_SK_SL_SM_EUlSZ_E0_NS1_11comp_targetILNS1_3genE10ELNS1_11target_archE1201ELNS1_3gpuE5ELNS1_3repE0EEENS1_38merge_mergepath_config_static_selectorELNS0_4arch9wavefront6targetE1EEEvSL_.uses_vcc, 0
	.set _ZN7rocprim17ROCPRIM_400000_NS6detail17trampoline_kernelINS0_14default_configENS1_38merge_sort_block_merge_config_selectorIbiEEZZNS1_27merge_sort_block_merge_implIS3_N6thrust23THRUST_200600_302600_NS6detail15normal_iteratorINS8_10device_ptrIbEEEENSA_INSB_IiEEEEjNS1_19radix_merge_compareILb1ELb0EbNS0_19identity_decomposerEEEEE10hipError_tT0_T1_T2_jT3_P12ihipStream_tbPNSt15iterator_traitsISK_E10value_typeEPNSQ_ISL_E10value_typeEPSM_NS1_7vsmem_tEENKUlT_SK_SL_SM_E_clIPbSD_PiSF_EESJ_SZ_SK_SL_SM_EUlSZ_E0_NS1_11comp_targetILNS1_3genE10ELNS1_11target_archE1201ELNS1_3gpuE5ELNS1_3repE0EEENS1_38merge_mergepath_config_static_selectorELNS0_4arch9wavefront6targetE1EEEvSL_.uses_flat_scratch, 0
	.set _ZN7rocprim17ROCPRIM_400000_NS6detail17trampoline_kernelINS0_14default_configENS1_38merge_sort_block_merge_config_selectorIbiEEZZNS1_27merge_sort_block_merge_implIS3_N6thrust23THRUST_200600_302600_NS6detail15normal_iteratorINS8_10device_ptrIbEEEENSA_INSB_IiEEEEjNS1_19radix_merge_compareILb1ELb0EbNS0_19identity_decomposerEEEEE10hipError_tT0_T1_T2_jT3_P12ihipStream_tbPNSt15iterator_traitsISK_E10value_typeEPNSQ_ISL_E10value_typeEPSM_NS1_7vsmem_tEENKUlT_SK_SL_SM_E_clIPbSD_PiSF_EESJ_SZ_SK_SL_SM_EUlSZ_E0_NS1_11comp_targetILNS1_3genE10ELNS1_11target_archE1201ELNS1_3gpuE5ELNS1_3repE0EEENS1_38merge_mergepath_config_static_selectorELNS0_4arch9wavefront6targetE1EEEvSL_.has_dyn_sized_stack, 0
	.set _ZN7rocprim17ROCPRIM_400000_NS6detail17trampoline_kernelINS0_14default_configENS1_38merge_sort_block_merge_config_selectorIbiEEZZNS1_27merge_sort_block_merge_implIS3_N6thrust23THRUST_200600_302600_NS6detail15normal_iteratorINS8_10device_ptrIbEEEENSA_INSB_IiEEEEjNS1_19radix_merge_compareILb1ELb0EbNS0_19identity_decomposerEEEEE10hipError_tT0_T1_T2_jT3_P12ihipStream_tbPNSt15iterator_traitsISK_E10value_typeEPNSQ_ISL_E10value_typeEPSM_NS1_7vsmem_tEENKUlT_SK_SL_SM_E_clIPbSD_PiSF_EESJ_SZ_SK_SL_SM_EUlSZ_E0_NS1_11comp_targetILNS1_3genE10ELNS1_11target_archE1201ELNS1_3gpuE5ELNS1_3repE0EEENS1_38merge_mergepath_config_static_selectorELNS0_4arch9wavefront6targetE1EEEvSL_.has_recursion, 0
	.set _ZN7rocprim17ROCPRIM_400000_NS6detail17trampoline_kernelINS0_14default_configENS1_38merge_sort_block_merge_config_selectorIbiEEZZNS1_27merge_sort_block_merge_implIS3_N6thrust23THRUST_200600_302600_NS6detail15normal_iteratorINS8_10device_ptrIbEEEENSA_INSB_IiEEEEjNS1_19radix_merge_compareILb1ELb0EbNS0_19identity_decomposerEEEEE10hipError_tT0_T1_T2_jT3_P12ihipStream_tbPNSt15iterator_traitsISK_E10value_typeEPNSQ_ISL_E10value_typeEPSM_NS1_7vsmem_tEENKUlT_SK_SL_SM_E_clIPbSD_PiSF_EESJ_SZ_SK_SL_SM_EUlSZ_E0_NS1_11comp_targetILNS1_3genE10ELNS1_11target_archE1201ELNS1_3gpuE5ELNS1_3repE0EEENS1_38merge_mergepath_config_static_selectorELNS0_4arch9wavefront6targetE1EEEvSL_.has_indirect_call, 0
	.section	.AMDGPU.csdata,"",@progbits
; Kernel info:
; codeLenInByte = 0
; TotalNumSgprs: 6
; NumVgprs: 0
; NumAgprs: 0
; TotalNumVgprs: 0
; ScratchSize: 0
; MemoryBound: 0
; FloatMode: 240
; IeeeMode: 1
; LDSByteSize: 0 bytes/workgroup (compile time only)
; SGPRBlocks: 0
; VGPRBlocks: 0
; NumSGPRsForWavesPerEU: 6
; NumVGPRsForWavesPerEU: 1
; AccumOffset: 4
; Occupancy: 8
; WaveLimiterHint : 0
; COMPUTE_PGM_RSRC2:SCRATCH_EN: 0
; COMPUTE_PGM_RSRC2:USER_SGPR: 2
; COMPUTE_PGM_RSRC2:TRAP_HANDLER: 0
; COMPUTE_PGM_RSRC2:TGID_X_EN: 1
; COMPUTE_PGM_RSRC2:TGID_Y_EN: 0
; COMPUTE_PGM_RSRC2:TGID_Z_EN: 0
; COMPUTE_PGM_RSRC2:TIDIG_COMP_CNT: 0
; COMPUTE_PGM_RSRC3_GFX90A:ACCUM_OFFSET: 0
; COMPUTE_PGM_RSRC3_GFX90A:TG_SPLIT: 0
	.section	.text._ZN7rocprim17ROCPRIM_400000_NS6detail17trampoline_kernelINS0_14default_configENS1_38merge_sort_block_merge_config_selectorIbiEEZZNS1_27merge_sort_block_merge_implIS3_N6thrust23THRUST_200600_302600_NS6detail15normal_iteratorINS8_10device_ptrIbEEEENSA_INSB_IiEEEEjNS1_19radix_merge_compareILb1ELb0EbNS0_19identity_decomposerEEEEE10hipError_tT0_T1_T2_jT3_P12ihipStream_tbPNSt15iterator_traitsISK_E10value_typeEPNSQ_ISL_E10value_typeEPSM_NS1_7vsmem_tEENKUlT_SK_SL_SM_E_clIPbSD_PiSF_EESJ_SZ_SK_SL_SM_EUlSZ_E0_NS1_11comp_targetILNS1_3genE5ELNS1_11target_archE942ELNS1_3gpuE9ELNS1_3repE0EEENS1_38merge_mergepath_config_static_selectorELNS0_4arch9wavefront6targetE1EEEvSL_,"axG",@progbits,_ZN7rocprim17ROCPRIM_400000_NS6detail17trampoline_kernelINS0_14default_configENS1_38merge_sort_block_merge_config_selectorIbiEEZZNS1_27merge_sort_block_merge_implIS3_N6thrust23THRUST_200600_302600_NS6detail15normal_iteratorINS8_10device_ptrIbEEEENSA_INSB_IiEEEEjNS1_19radix_merge_compareILb1ELb0EbNS0_19identity_decomposerEEEEE10hipError_tT0_T1_T2_jT3_P12ihipStream_tbPNSt15iterator_traitsISK_E10value_typeEPNSQ_ISL_E10value_typeEPSM_NS1_7vsmem_tEENKUlT_SK_SL_SM_E_clIPbSD_PiSF_EESJ_SZ_SK_SL_SM_EUlSZ_E0_NS1_11comp_targetILNS1_3genE5ELNS1_11target_archE942ELNS1_3gpuE9ELNS1_3repE0EEENS1_38merge_mergepath_config_static_selectorELNS0_4arch9wavefront6targetE1EEEvSL_,comdat
	.protected	_ZN7rocprim17ROCPRIM_400000_NS6detail17trampoline_kernelINS0_14default_configENS1_38merge_sort_block_merge_config_selectorIbiEEZZNS1_27merge_sort_block_merge_implIS3_N6thrust23THRUST_200600_302600_NS6detail15normal_iteratorINS8_10device_ptrIbEEEENSA_INSB_IiEEEEjNS1_19radix_merge_compareILb1ELb0EbNS0_19identity_decomposerEEEEE10hipError_tT0_T1_T2_jT3_P12ihipStream_tbPNSt15iterator_traitsISK_E10value_typeEPNSQ_ISL_E10value_typeEPSM_NS1_7vsmem_tEENKUlT_SK_SL_SM_E_clIPbSD_PiSF_EESJ_SZ_SK_SL_SM_EUlSZ_E0_NS1_11comp_targetILNS1_3genE5ELNS1_11target_archE942ELNS1_3gpuE9ELNS1_3repE0EEENS1_38merge_mergepath_config_static_selectorELNS0_4arch9wavefront6targetE1EEEvSL_ ; -- Begin function _ZN7rocprim17ROCPRIM_400000_NS6detail17trampoline_kernelINS0_14default_configENS1_38merge_sort_block_merge_config_selectorIbiEEZZNS1_27merge_sort_block_merge_implIS3_N6thrust23THRUST_200600_302600_NS6detail15normal_iteratorINS8_10device_ptrIbEEEENSA_INSB_IiEEEEjNS1_19radix_merge_compareILb1ELb0EbNS0_19identity_decomposerEEEEE10hipError_tT0_T1_T2_jT3_P12ihipStream_tbPNSt15iterator_traitsISK_E10value_typeEPNSQ_ISL_E10value_typeEPSM_NS1_7vsmem_tEENKUlT_SK_SL_SM_E_clIPbSD_PiSF_EESJ_SZ_SK_SL_SM_EUlSZ_E0_NS1_11comp_targetILNS1_3genE5ELNS1_11target_archE942ELNS1_3gpuE9ELNS1_3repE0EEENS1_38merge_mergepath_config_static_selectorELNS0_4arch9wavefront6targetE1EEEvSL_
	.globl	_ZN7rocprim17ROCPRIM_400000_NS6detail17trampoline_kernelINS0_14default_configENS1_38merge_sort_block_merge_config_selectorIbiEEZZNS1_27merge_sort_block_merge_implIS3_N6thrust23THRUST_200600_302600_NS6detail15normal_iteratorINS8_10device_ptrIbEEEENSA_INSB_IiEEEEjNS1_19radix_merge_compareILb1ELb0EbNS0_19identity_decomposerEEEEE10hipError_tT0_T1_T2_jT3_P12ihipStream_tbPNSt15iterator_traitsISK_E10value_typeEPNSQ_ISL_E10value_typeEPSM_NS1_7vsmem_tEENKUlT_SK_SL_SM_E_clIPbSD_PiSF_EESJ_SZ_SK_SL_SM_EUlSZ_E0_NS1_11comp_targetILNS1_3genE5ELNS1_11target_archE942ELNS1_3gpuE9ELNS1_3repE0EEENS1_38merge_mergepath_config_static_selectorELNS0_4arch9wavefront6targetE1EEEvSL_
	.p2align	8
	.type	_ZN7rocprim17ROCPRIM_400000_NS6detail17trampoline_kernelINS0_14default_configENS1_38merge_sort_block_merge_config_selectorIbiEEZZNS1_27merge_sort_block_merge_implIS3_N6thrust23THRUST_200600_302600_NS6detail15normal_iteratorINS8_10device_ptrIbEEEENSA_INSB_IiEEEEjNS1_19radix_merge_compareILb1ELb0EbNS0_19identity_decomposerEEEEE10hipError_tT0_T1_T2_jT3_P12ihipStream_tbPNSt15iterator_traitsISK_E10value_typeEPNSQ_ISL_E10value_typeEPSM_NS1_7vsmem_tEENKUlT_SK_SL_SM_E_clIPbSD_PiSF_EESJ_SZ_SK_SL_SM_EUlSZ_E0_NS1_11comp_targetILNS1_3genE5ELNS1_11target_archE942ELNS1_3gpuE9ELNS1_3repE0EEENS1_38merge_mergepath_config_static_selectorELNS0_4arch9wavefront6targetE1EEEvSL_,@function
_ZN7rocprim17ROCPRIM_400000_NS6detail17trampoline_kernelINS0_14default_configENS1_38merge_sort_block_merge_config_selectorIbiEEZZNS1_27merge_sort_block_merge_implIS3_N6thrust23THRUST_200600_302600_NS6detail15normal_iteratorINS8_10device_ptrIbEEEENSA_INSB_IiEEEEjNS1_19radix_merge_compareILb1ELb0EbNS0_19identity_decomposerEEEEE10hipError_tT0_T1_T2_jT3_P12ihipStream_tbPNSt15iterator_traitsISK_E10value_typeEPNSQ_ISL_E10value_typeEPSM_NS1_7vsmem_tEENKUlT_SK_SL_SM_E_clIPbSD_PiSF_EESJ_SZ_SK_SL_SM_EUlSZ_E0_NS1_11comp_targetILNS1_3genE5ELNS1_11target_archE942ELNS1_3gpuE9ELNS1_3repE0EEENS1_38merge_mergepath_config_static_selectorELNS0_4arch9wavefront6targetE1EEEvSL_: ; @_ZN7rocprim17ROCPRIM_400000_NS6detail17trampoline_kernelINS0_14default_configENS1_38merge_sort_block_merge_config_selectorIbiEEZZNS1_27merge_sort_block_merge_implIS3_N6thrust23THRUST_200600_302600_NS6detail15normal_iteratorINS8_10device_ptrIbEEEENSA_INSB_IiEEEEjNS1_19radix_merge_compareILb1ELb0EbNS0_19identity_decomposerEEEEE10hipError_tT0_T1_T2_jT3_P12ihipStream_tbPNSt15iterator_traitsISK_E10value_typeEPNSQ_ISL_E10value_typeEPSM_NS1_7vsmem_tEENKUlT_SK_SL_SM_E_clIPbSD_PiSF_EESJ_SZ_SK_SL_SM_EUlSZ_E0_NS1_11comp_targetILNS1_3genE5ELNS1_11target_archE942ELNS1_3gpuE9ELNS1_3repE0EEENS1_38merge_mergepath_config_static_selectorELNS0_4arch9wavefront6targetE1EEEvSL_
; %bb.0:
	.section	.rodata,"a",@progbits
	.p2align	6, 0x0
	.amdhsa_kernel _ZN7rocprim17ROCPRIM_400000_NS6detail17trampoline_kernelINS0_14default_configENS1_38merge_sort_block_merge_config_selectorIbiEEZZNS1_27merge_sort_block_merge_implIS3_N6thrust23THRUST_200600_302600_NS6detail15normal_iteratorINS8_10device_ptrIbEEEENSA_INSB_IiEEEEjNS1_19radix_merge_compareILb1ELb0EbNS0_19identity_decomposerEEEEE10hipError_tT0_T1_T2_jT3_P12ihipStream_tbPNSt15iterator_traitsISK_E10value_typeEPNSQ_ISL_E10value_typeEPSM_NS1_7vsmem_tEENKUlT_SK_SL_SM_E_clIPbSD_PiSF_EESJ_SZ_SK_SL_SM_EUlSZ_E0_NS1_11comp_targetILNS1_3genE5ELNS1_11target_archE942ELNS1_3gpuE9ELNS1_3repE0EEENS1_38merge_mergepath_config_static_selectorELNS0_4arch9wavefront6targetE1EEEvSL_
		.amdhsa_group_segment_fixed_size 0
		.amdhsa_private_segment_fixed_size 0
		.amdhsa_kernarg_size 64
		.amdhsa_user_sgpr_count 2
		.amdhsa_user_sgpr_dispatch_ptr 0
		.amdhsa_user_sgpr_queue_ptr 0
		.amdhsa_user_sgpr_kernarg_segment_ptr 1
		.amdhsa_user_sgpr_dispatch_id 0
		.amdhsa_user_sgpr_kernarg_preload_length 0
		.amdhsa_user_sgpr_kernarg_preload_offset 0
		.amdhsa_user_sgpr_private_segment_size 0
		.amdhsa_uses_dynamic_stack 0
		.amdhsa_enable_private_segment 0
		.amdhsa_system_sgpr_workgroup_id_x 1
		.amdhsa_system_sgpr_workgroup_id_y 0
		.amdhsa_system_sgpr_workgroup_id_z 0
		.amdhsa_system_sgpr_workgroup_info 0
		.amdhsa_system_vgpr_workitem_id 0
		.amdhsa_next_free_vgpr 1
		.amdhsa_next_free_sgpr 0
		.amdhsa_accum_offset 4
		.amdhsa_reserve_vcc 0
		.amdhsa_float_round_mode_32 0
		.amdhsa_float_round_mode_16_64 0
		.amdhsa_float_denorm_mode_32 3
		.amdhsa_float_denorm_mode_16_64 3
		.amdhsa_dx10_clamp 1
		.amdhsa_ieee_mode 1
		.amdhsa_fp16_overflow 0
		.amdhsa_tg_split 0
		.amdhsa_exception_fp_ieee_invalid_op 0
		.amdhsa_exception_fp_denorm_src 0
		.amdhsa_exception_fp_ieee_div_zero 0
		.amdhsa_exception_fp_ieee_overflow 0
		.amdhsa_exception_fp_ieee_underflow 0
		.amdhsa_exception_fp_ieee_inexact 0
		.amdhsa_exception_int_div_zero 0
	.end_amdhsa_kernel
	.section	.text._ZN7rocprim17ROCPRIM_400000_NS6detail17trampoline_kernelINS0_14default_configENS1_38merge_sort_block_merge_config_selectorIbiEEZZNS1_27merge_sort_block_merge_implIS3_N6thrust23THRUST_200600_302600_NS6detail15normal_iteratorINS8_10device_ptrIbEEEENSA_INSB_IiEEEEjNS1_19radix_merge_compareILb1ELb0EbNS0_19identity_decomposerEEEEE10hipError_tT0_T1_T2_jT3_P12ihipStream_tbPNSt15iterator_traitsISK_E10value_typeEPNSQ_ISL_E10value_typeEPSM_NS1_7vsmem_tEENKUlT_SK_SL_SM_E_clIPbSD_PiSF_EESJ_SZ_SK_SL_SM_EUlSZ_E0_NS1_11comp_targetILNS1_3genE5ELNS1_11target_archE942ELNS1_3gpuE9ELNS1_3repE0EEENS1_38merge_mergepath_config_static_selectorELNS0_4arch9wavefront6targetE1EEEvSL_,"axG",@progbits,_ZN7rocprim17ROCPRIM_400000_NS6detail17trampoline_kernelINS0_14default_configENS1_38merge_sort_block_merge_config_selectorIbiEEZZNS1_27merge_sort_block_merge_implIS3_N6thrust23THRUST_200600_302600_NS6detail15normal_iteratorINS8_10device_ptrIbEEEENSA_INSB_IiEEEEjNS1_19radix_merge_compareILb1ELb0EbNS0_19identity_decomposerEEEEE10hipError_tT0_T1_T2_jT3_P12ihipStream_tbPNSt15iterator_traitsISK_E10value_typeEPNSQ_ISL_E10value_typeEPSM_NS1_7vsmem_tEENKUlT_SK_SL_SM_E_clIPbSD_PiSF_EESJ_SZ_SK_SL_SM_EUlSZ_E0_NS1_11comp_targetILNS1_3genE5ELNS1_11target_archE942ELNS1_3gpuE9ELNS1_3repE0EEENS1_38merge_mergepath_config_static_selectorELNS0_4arch9wavefront6targetE1EEEvSL_,comdat
.Lfunc_end2114:
	.size	_ZN7rocprim17ROCPRIM_400000_NS6detail17trampoline_kernelINS0_14default_configENS1_38merge_sort_block_merge_config_selectorIbiEEZZNS1_27merge_sort_block_merge_implIS3_N6thrust23THRUST_200600_302600_NS6detail15normal_iteratorINS8_10device_ptrIbEEEENSA_INSB_IiEEEEjNS1_19radix_merge_compareILb1ELb0EbNS0_19identity_decomposerEEEEE10hipError_tT0_T1_T2_jT3_P12ihipStream_tbPNSt15iterator_traitsISK_E10value_typeEPNSQ_ISL_E10value_typeEPSM_NS1_7vsmem_tEENKUlT_SK_SL_SM_E_clIPbSD_PiSF_EESJ_SZ_SK_SL_SM_EUlSZ_E0_NS1_11comp_targetILNS1_3genE5ELNS1_11target_archE942ELNS1_3gpuE9ELNS1_3repE0EEENS1_38merge_mergepath_config_static_selectorELNS0_4arch9wavefront6targetE1EEEvSL_, .Lfunc_end2114-_ZN7rocprim17ROCPRIM_400000_NS6detail17trampoline_kernelINS0_14default_configENS1_38merge_sort_block_merge_config_selectorIbiEEZZNS1_27merge_sort_block_merge_implIS3_N6thrust23THRUST_200600_302600_NS6detail15normal_iteratorINS8_10device_ptrIbEEEENSA_INSB_IiEEEEjNS1_19radix_merge_compareILb1ELb0EbNS0_19identity_decomposerEEEEE10hipError_tT0_T1_T2_jT3_P12ihipStream_tbPNSt15iterator_traitsISK_E10value_typeEPNSQ_ISL_E10value_typeEPSM_NS1_7vsmem_tEENKUlT_SK_SL_SM_E_clIPbSD_PiSF_EESJ_SZ_SK_SL_SM_EUlSZ_E0_NS1_11comp_targetILNS1_3genE5ELNS1_11target_archE942ELNS1_3gpuE9ELNS1_3repE0EEENS1_38merge_mergepath_config_static_selectorELNS0_4arch9wavefront6targetE1EEEvSL_
                                        ; -- End function
	.set _ZN7rocprim17ROCPRIM_400000_NS6detail17trampoline_kernelINS0_14default_configENS1_38merge_sort_block_merge_config_selectorIbiEEZZNS1_27merge_sort_block_merge_implIS3_N6thrust23THRUST_200600_302600_NS6detail15normal_iteratorINS8_10device_ptrIbEEEENSA_INSB_IiEEEEjNS1_19radix_merge_compareILb1ELb0EbNS0_19identity_decomposerEEEEE10hipError_tT0_T1_T2_jT3_P12ihipStream_tbPNSt15iterator_traitsISK_E10value_typeEPNSQ_ISL_E10value_typeEPSM_NS1_7vsmem_tEENKUlT_SK_SL_SM_E_clIPbSD_PiSF_EESJ_SZ_SK_SL_SM_EUlSZ_E0_NS1_11comp_targetILNS1_3genE5ELNS1_11target_archE942ELNS1_3gpuE9ELNS1_3repE0EEENS1_38merge_mergepath_config_static_selectorELNS0_4arch9wavefront6targetE1EEEvSL_.num_vgpr, 0
	.set _ZN7rocprim17ROCPRIM_400000_NS6detail17trampoline_kernelINS0_14default_configENS1_38merge_sort_block_merge_config_selectorIbiEEZZNS1_27merge_sort_block_merge_implIS3_N6thrust23THRUST_200600_302600_NS6detail15normal_iteratorINS8_10device_ptrIbEEEENSA_INSB_IiEEEEjNS1_19radix_merge_compareILb1ELb0EbNS0_19identity_decomposerEEEEE10hipError_tT0_T1_T2_jT3_P12ihipStream_tbPNSt15iterator_traitsISK_E10value_typeEPNSQ_ISL_E10value_typeEPSM_NS1_7vsmem_tEENKUlT_SK_SL_SM_E_clIPbSD_PiSF_EESJ_SZ_SK_SL_SM_EUlSZ_E0_NS1_11comp_targetILNS1_3genE5ELNS1_11target_archE942ELNS1_3gpuE9ELNS1_3repE0EEENS1_38merge_mergepath_config_static_selectorELNS0_4arch9wavefront6targetE1EEEvSL_.num_agpr, 0
	.set _ZN7rocprim17ROCPRIM_400000_NS6detail17trampoline_kernelINS0_14default_configENS1_38merge_sort_block_merge_config_selectorIbiEEZZNS1_27merge_sort_block_merge_implIS3_N6thrust23THRUST_200600_302600_NS6detail15normal_iteratorINS8_10device_ptrIbEEEENSA_INSB_IiEEEEjNS1_19radix_merge_compareILb1ELb0EbNS0_19identity_decomposerEEEEE10hipError_tT0_T1_T2_jT3_P12ihipStream_tbPNSt15iterator_traitsISK_E10value_typeEPNSQ_ISL_E10value_typeEPSM_NS1_7vsmem_tEENKUlT_SK_SL_SM_E_clIPbSD_PiSF_EESJ_SZ_SK_SL_SM_EUlSZ_E0_NS1_11comp_targetILNS1_3genE5ELNS1_11target_archE942ELNS1_3gpuE9ELNS1_3repE0EEENS1_38merge_mergepath_config_static_selectorELNS0_4arch9wavefront6targetE1EEEvSL_.numbered_sgpr, 0
	.set _ZN7rocprim17ROCPRIM_400000_NS6detail17trampoline_kernelINS0_14default_configENS1_38merge_sort_block_merge_config_selectorIbiEEZZNS1_27merge_sort_block_merge_implIS3_N6thrust23THRUST_200600_302600_NS6detail15normal_iteratorINS8_10device_ptrIbEEEENSA_INSB_IiEEEEjNS1_19radix_merge_compareILb1ELb0EbNS0_19identity_decomposerEEEEE10hipError_tT0_T1_T2_jT3_P12ihipStream_tbPNSt15iterator_traitsISK_E10value_typeEPNSQ_ISL_E10value_typeEPSM_NS1_7vsmem_tEENKUlT_SK_SL_SM_E_clIPbSD_PiSF_EESJ_SZ_SK_SL_SM_EUlSZ_E0_NS1_11comp_targetILNS1_3genE5ELNS1_11target_archE942ELNS1_3gpuE9ELNS1_3repE0EEENS1_38merge_mergepath_config_static_selectorELNS0_4arch9wavefront6targetE1EEEvSL_.num_named_barrier, 0
	.set _ZN7rocprim17ROCPRIM_400000_NS6detail17trampoline_kernelINS0_14default_configENS1_38merge_sort_block_merge_config_selectorIbiEEZZNS1_27merge_sort_block_merge_implIS3_N6thrust23THRUST_200600_302600_NS6detail15normal_iteratorINS8_10device_ptrIbEEEENSA_INSB_IiEEEEjNS1_19radix_merge_compareILb1ELb0EbNS0_19identity_decomposerEEEEE10hipError_tT0_T1_T2_jT3_P12ihipStream_tbPNSt15iterator_traitsISK_E10value_typeEPNSQ_ISL_E10value_typeEPSM_NS1_7vsmem_tEENKUlT_SK_SL_SM_E_clIPbSD_PiSF_EESJ_SZ_SK_SL_SM_EUlSZ_E0_NS1_11comp_targetILNS1_3genE5ELNS1_11target_archE942ELNS1_3gpuE9ELNS1_3repE0EEENS1_38merge_mergepath_config_static_selectorELNS0_4arch9wavefront6targetE1EEEvSL_.private_seg_size, 0
	.set _ZN7rocprim17ROCPRIM_400000_NS6detail17trampoline_kernelINS0_14default_configENS1_38merge_sort_block_merge_config_selectorIbiEEZZNS1_27merge_sort_block_merge_implIS3_N6thrust23THRUST_200600_302600_NS6detail15normal_iteratorINS8_10device_ptrIbEEEENSA_INSB_IiEEEEjNS1_19radix_merge_compareILb1ELb0EbNS0_19identity_decomposerEEEEE10hipError_tT0_T1_T2_jT3_P12ihipStream_tbPNSt15iterator_traitsISK_E10value_typeEPNSQ_ISL_E10value_typeEPSM_NS1_7vsmem_tEENKUlT_SK_SL_SM_E_clIPbSD_PiSF_EESJ_SZ_SK_SL_SM_EUlSZ_E0_NS1_11comp_targetILNS1_3genE5ELNS1_11target_archE942ELNS1_3gpuE9ELNS1_3repE0EEENS1_38merge_mergepath_config_static_selectorELNS0_4arch9wavefront6targetE1EEEvSL_.uses_vcc, 0
	.set _ZN7rocprim17ROCPRIM_400000_NS6detail17trampoline_kernelINS0_14default_configENS1_38merge_sort_block_merge_config_selectorIbiEEZZNS1_27merge_sort_block_merge_implIS3_N6thrust23THRUST_200600_302600_NS6detail15normal_iteratorINS8_10device_ptrIbEEEENSA_INSB_IiEEEEjNS1_19radix_merge_compareILb1ELb0EbNS0_19identity_decomposerEEEEE10hipError_tT0_T1_T2_jT3_P12ihipStream_tbPNSt15iterator_traitsISK_E10value_typeEPNSQ_ISL_E10value_typeEPSM_NS1_7vsmem_tEENKUlT_SK_SL_SM_E_clIPbSD_PiSF_EESJ_SZ_SK_SL_SM_EUlSZ_E0_NS1_11comp_targetILNS1_3genE5ELNS1_11target_archE942ELNS1_3gpuE9ELNS1_3repE0EEENS1_38merge_mergepath_config_static_selectorELNS0_4arch9wavefront6targetE1EEEvSL_.uses_flat_scratch, 0
	.set _ZN7rocprim17ROCPRIM_400000_NS6detail17trampoline_kernelINS0_14default_configENS1_38merge_sort_block_merge_config_selectorIbiEEZZNS1_27merge_sort_block_merge_implIS3_N6thrust23THRUST_200600_302600_NS6detail15normal_iteratorINS8_10device_ptrIbEEEENSA_INSB_IiEEEEjNS1_19radix_merge_compareILb1ELb0EbNS0_19identity_decomposerEEEEE10hipError_tT0_T1_T2_jT3_P12ihipStream_tbPNSt15iterator_traitsISK_E10value_typeEPNSQ_ISL_E10value_typeEPSM_NS1_7vsmem_tEENKUlT_SK_SL_SM_E_clIPbSD_PiSF_EESJ_SZ_SK_SL_SM_EUlSZ_E0_NS1_11comp_targetILNS1_3genE5ELNS1_11target_archE942ELNS1_3gpuE9ELNS1_3repE0EEENS1_38merge_mergepath_config_static_selectorELNS0_4arch9wavefront6targetE1EEEvSL_.has_dyn_sized_stack, 0
	.set _ZN7rocprim17ROCPRIM_400000_NS6detail17trampoline_kernelINS0_14default_configENS1_38merge_sort_block_merge_config_selectorIbiEEZZNS1_27merge_sort_block_merge_implIS3_N6thrust23THRUST_200600_302600_NS6detail15normal_iteratorINS8_10device_ptrIbEEEENSA_INSB_IiEEEEjNS1_19radix_merge_compareILb1ELb0EbNS0_19identity_decomposerEEEEE10hipError_tT0_T1_T2_jT3_P12ihipStream_tbPNSt15iterator_traitsISK_E10value_typeEPNSQ_ISL_E10value_typeEPSM_NS1_7vsmem_tEENKUlT_SK_SL_SM_E_clIPbSD_PiSF_EESJ_SZ_SK_SL_SM_EUlSZ_E0_NS1_11comp_targetILNS1_3genE5ELNS1_11target_archE942ELNS1_3gpuE9ELNS1_3repE0EEENS1_38merge_mergepath_config_static_selectorELNS0_4arch9wavefront6targetE1EEEvSL_.has_recursion, 0
	.set _ZN7rocprim17ROCPRIM_400000_NS6detail17trampoline_kernelINS0_14default_configENS1_38merge_sort_block_merge_config_selectorIbiEEZZNS1_27merge_sort_block_merge_implIS3_N6thrust23THRUST_200600_302600_NS6detail15normal_iteratorINS8_10device_ptrIbEEEENSA_INSB_IiEEEEjNS1_19radix_merge_compareILb1ELb0EbNS0_19identity_decomposerEEEEE10hipError_tT0_T1_T2_jT3_P12ihipStream_tbPNSt15iterator_traitsISK_E10value_typeEPNSQ_ISL_E10value_typeEPSM_NS1_7vsmem_tEENKUlT_SK_SL_SM_E_clIPbSD_PiSF_EESJ_SZ_SK_SL_SM_EUlSZ_E0_NS1_11comp_targetILNS1_3genE5ELNS1_11target_archE942ELNS1_3gpuE9ELNS1_3repE0EEENS1_38merge_mergepath_config_static_selectorELNS0_4arch9wavefront6targetE1EEEvSL_.has_indirect_call, 0
	.section	.AMDGPU.csdata,"",@progbits
; Kernel info:
; codeLenInByte = 0
; TotalNumSgprs: 6
; NumVgprs: 0
; NumAgprs: 0
; TotalNumVgprs: 0
; ScratchSize: 0
; MemoryBound: 0
; FloatMode: 240
; IeeeMode: 1
; LDSByteSize: 0 bytes/workgroup (compile time only)
; SGPRBlocks: 0
; VGPRBlocks: 0
; NumSGPRsForWavesPerEU: 6
; NumVGPRsForWavesPerEU: 1
; AccumOffset: 4
; Occupancy: 8
; WaveLimiterHint : 0
; COMPUTE_PGM_RSRC2:SCRATCH_EN: 0
; COMPUTE_PGM_RSRC2:USER_SGPR: 2
; COMPUTE_PGM_RSRC2:TRAP_HANDLER: 0
; COMPUTE_PGM_RSRC2:TGID_X_EN: 1
; COMPUTE_PGM_RSRC2:TGID_Y_EN: 0
; COMPUTE_PGM_RSRC2:TGID_Z_EN: 0
; COMPUTE_PGM_RSRC2:TIDIG_COMP_CNT: 0
; COMPUTE_PGM_RSRC3_GFX90A:ACCUM_OFFSET: 0
; COMPUTE_PGM_RSRC3_GFX90A:TG_SPLIT: 0
	.section	.text._ZN7rocprim17ROCPRIM_400000_NS6detail17trampoline_kernelINS0_14default_configENS1_38merge_sort_block_merge_config_selectorIbiEEZZNS1_27merge_sort_block_merge_implIS3_N6thrust23THRUST_200600_302600_NS6detail15normal_iteratorINS8_10device_ptrIbEEEENSA_INSB_IiEEEEjNS1_19radix_merge_compareILb1ELb0EbNS0_19identity_decomposerEEEEE10hipError_tT0_T1_T2_jT3_P12ihipStream_tbPNSt15iterator_traitsISK_E10value_typeEPNSQ_ISL_E10value_typeEPSM_NS1_7vsmem_tEENKUlT_SK_SL_SM_E_clIPbSD_PiSF_EESJ_SZ_SK_SL_SM_EUlSZ_E0_NS1_11comp_targetILNS1_3genE4ELNS1_11target_archE910ELNS1_3gpuE8ELNS1_3repE0EEENS1_38merge_mergepath_config_static_selectorELNS0_4arch9wavefront6targetE1EEEvSL_,"axG",@progbits,_ZN7rocprim17ROCPRIM_400000_NS6detail17trampoline_kernelINS0_14default_configENS1_38merge_sort_block_merge_config_selectorIbiEEZZNS1_27merge_sort_block_merge_implIS3_N6thrust23THRUST_200600_302600_NS6detail15normal_iteratorINS8_10device_ptrIbEEEENSA_INSB_IiEEEEjNS1_19radix_merge_compareILb1ELb0EbNS0_19identity_decomposerEEEEE10hipError_tT0_T1_T2_jT3_P12ihipStream_tbPNSt15iterator_traitsISK_E10value_typeEPNSQ_ISL_E10value_typeEPSM_NS1_7vsmem_tEENKUlT_SK_SL_SM_E_clIPbSD_PiSF_EESJ_SZ_SK_SL_SM_EUlSZ_E0_NS1_11comp_targetILNS1_3genE4ELNS1_11target_archE910ELNS1_3gpuE8ELNS1_3repE0EEENS1_38merge_mergepath_config_static_selectorELNS0_4arch9wavefront6targetE1EEEvSL_,comdat
	.protected	_ZN7rocprim17ROCPRIM_400000_NS6detail17trampoline_kernelINS0_14default_configENS1_38merge_sort_block_merge_config_selectorIbiEEZZNS1_27merge_sort_block_merge_implIS3_N6thrust23THRUST_200600_302600_NS6detail15normal_iteratorINS8_10device_ptrIbEEEENSA_INSB_IiEEEEjNS1_19radix_merge_compareILb1ELb0EbNS0_19identity_decomposerEEEEE10hipError_tT0_T1_T2_jT3_P12ihipStream_tbPNSt15iterator_traitsISK_E10value_typeEPNSQ_ISL_E10value_typeEPSM_NS1_7vsmem_tEENKUlT_SK_SL_SM_E_clIPbSD_PiSF_EESJ_SZ_SK_SL_SM_EUlSZ_E0_NS1_11comp_targetILNS1_3genE4ELNS1_11target_archE910ELNS1_3gpuE8ELNS1_3repE0EEENS1_38merge_mergepath_config_static_selectorELNS0_4arch9wavefront6targetE1EEEvSL_ ; -- Begin function _ZN7rocprim17ROCPRIM_400000_NS6detail17trampoline_kernelINS0_14default_configENS1_38merge_sort_block_merge_config_selectorIbiEEZZNS1_27merge_sort_block_merge_implIS3_N6thrust23THRUST_200600_302600_NS6detail15normal_iteratorINS8_10device_ptrIbEEEENSA_INSB_IiEEEEjNS1_19radix_merge_compareILb1ELb0EbNS0_19identity_decomposerEEEEE10hipError_tT0_T1_T2_jT3_P12ihipStream_tbPNSt15iterator_traitsISK_E10value_typeEPNSQ_ISL_E10value_typeEPSM_NS1_7vsmem_tEENKUlT_SK_SL_SM_E_clIPbSD_PiSF_EESJ_SZ_SK_SL_SM_EUlSZ_E0_NS1_11comp_targetILNS1_3genE4ELNS1_11target_archE910ELNS1_3gpuE8ELNS1_3repE0EEENS1_38merge_mergepath_config_static_selectorELNS0_4arch9wavefront6targetE1EEEvSL_
	.globl	_ZN7rocprim17ROCPRIM_400000_NS6detail17trampoline_kernelINS0_14default_configENS1_38merge_sort_block_merge_config_selectorIbiEEZZNS1_27merge_sort_block_merge_implIS3_N6thrust23THRUST_200600_302600_NS6detail15normal_iteratorINS8_10device_ptrIbEEEENSA_INSB_IiEEEEjNS1_19radix_merge_compareILb1ELb0EbNS0_19identity_decomposerEEEEE10hipError_tT0_T1_T2_jT3_P12ihipStream_tbPNSt15iterator_traitsISK_E10value_typeEPNSQ_ISL_E10value_typeEPSM_NS1_7vsmem_tEENKUlT_SK_SL_SM_E_clIPbSD_PiSF_EESJ_SZ_SK_SL_SM_EUlSZ_E0_NS1_11comp_targetILNS1_3genE4ELNS1_11target_archE910ELNS1_3gpuE8ELNS1_3repE0EEENS1_38merge_mergepath_config_static_selectorELNS0_4arch9wavefront6targetE1EEEvSL_
	.p2align	8
	.type	_ZN7rocprim17ROCPRIM_400000_NS6detail17trampoline_kernelINS0_14default_configENS1_38merge_sort_block_merge_config_selectorIbiEEZZNS1_27merge_sort_block_merge_implIS3_N6thrust23THRUST_200600_302600_NS6detail15normal_iteratorINS8_10device_ptrIbEEEENSA_INSB_IiEEEEjNS1_19radix_merge_compareILb1ELb0EbNS0_19identity_decomposerEEEEE10hipError_tT0_T1_T2_jT3_P12ihipStream_tbPNSt15iterator_traitsISK_E10value_typeEPNSQ_ISL_E10value_typeEPSM_NS1_7vsmem_tEENKUlT_SK_SL_SM_E_clIPbSD_PiSF_EESJ_SZ_SK_SL_SM_EUlSZ_E0_NS1_11comp_targetILNS1_3genE4ELNS1_11target_archE910ELNS1_3gpuE8ELNS1_3repE0EEENS1_38merge_mergepath_config_static_selectorELNS0_4arch9wavefront6targetE1EEEvSL_,@function
_ZN7rocprim17ROCPRIM_400000_NS6detail17trampoline_kernelINS0_14default_configENS1_38merge_sort_block_merge_config_selectorIbiEEZZNS1_27merge_sort_block_merge_implIS3_N6thrust23THRUST_200600_302600_NS6detail15normal_iteratorINS8_10device_ptrIbEEEENSA_INSB_IiEEEEjNS1_19radix_merge_compareILb1ELb0EbNS0_19identity_decomposerEEEEE10hipError_tT0_T1_T2_jT3_P12ihipStream_tbPNSt15iterator_traitsISK_E10value_typeEPNSQ_ISL_E10value_typeEPSM_NS1_7vsmem_tEENKUlT_SK_SL_SM_E_clIPbSD_PiSF_EESJ_SZ_SK_SL_SM_EUlSZ_E0_NS1_11comp_targetILNS1_3genE4ELNS1_11target_archE910ELNS1_3gpuE8ELNS1_3repE0EEENS1_38merge_mergepath_config_static_selectorELNS0_4arch9wavefront6targetE1EEEvSL_: ; @_ZN7rocprim17ROCPRIM_400000_NS6detail17trampoline_kernelINS0_14default_configENS1_38merge_sort_block_merge_config_selectorIbiEEZZNS1_27merge_sort_block_merge_implIS3_N6thrust23THRUST_200600_302600_NS6detail15normal_iteratorINS8_10device_ptrIbEEEENSA_INSB_IiEEEEjNS1_19radix_merge_compareILb1ELb0EbNS0_19identity_decomposerEEEEE10hipError_tT0_T1_T2_jT3_P12ihipStream_tbPNSt15iterator_traitsISK_E10value_typeEPNSQ_ISL_E10value_typeEPSM_NS1_7vsmem_tEENKUlT_SK_SL_SM_E_clIPbSD_PiSF_EESJ_SZ_SK_SL_SM_EUlSZ_E0_NS1_11comp_targetILNS1_3genE4ELNS1_11target_archE910ELNS1_3gpuE8ELNS1_3repE0EEENS1_38merge_mergepath_config_static_selectorELNS0_4arch9wavefront6targetE1EEEvSL_
; %bb.0:
	.section	.rodata,"a",@progbits
	.p2align	6, 0x0
	.amdhsa_kernel _ZN7rocprim17ROCPRIM_400000_NS6detail17trampoline_kernelINS0_14default_configENS1_38merge_sort_block_merge_config_selectorIbiEEZZNS1_27merge_sort_block_merge_implIS3_N6thrust23THRUST_200600_302600_NS6detail15normal_iteratorINS8_10device_ptrIbEEEENSA_INSB_IiEEEEjNS1_19radix_merge_compareILb1ELb0EbNS0_19identity_decomposerEEEEE10hipError_tT0_T1_T2_jT3_P12ihipStream_tbPNSt15iterator_traitsISK_E10value_typeEPNSQ_ISL_E10value_typeEPSM_NS1_7vsmem_tEENKUlT_SK_SL_SM_E_clIPbSD_PiSF_EESJ_SZ_SK_SL_SM_EUlSZ_E0_NS1_11comp_targetILNS1_3genE4ELNS1_11target_archE910ELNS1_3gpuE8ELNS1_3repE0EEENS1_38merge_mergepath_config_static_selectorELNS0_4arch9wavefront6targetE1EEEvSL_
		.amdhsa_group_segment_fixed_size 0
		.amdhsa_private_segment_fixed_size 0
		.amdhsa_kernarg_size 64
		.amdhsa_user_sgpr_count 2
		.amdhsa_user_sgpr_dispatch_ptr 0
		.amdhsa_user_sgpr_queue_ptr 0
		.amdhsa_user_sgpr_kernarg_segment_ptr 1
		.amdhsa_user_sgpr_dispatch_id 0
		.amdhsa_user_sgpr_kernarg_preload_length 0
		.amdhsa_user_sgpr_kernarg_preload_offset 0
		.amdhsa_user_sgpr_private_segment_size 0
		.amdhsa_uses_dynamic_stack 0
		.amdhsa_enable_private_segment 0
		.amdhsa_system_sgpr_workgroup_id_x 1
		.amdhsa_system_sgpr_workgroup_id_y 0
		.amdhsa_system_sgpr_workgroup_id_z 0
		.amdhsa_system_sgpr_workgroup_info 0
		.amdhsa_system_vgpr_workitem_id 0
		.amdhsa_next_free_vgpr 1
		.amdhsa_next_free_sgpr 0
		.amdhsa_accum_offset 4
		.amdhsa_reserve_vcc 0
		.amdhsa_float_round_mode_32 0
		.amdhsa_float_round_mode_16_64 0
		.amdhsa_float_denorm_mode_32 3
		.amdhsa_float_denorm_mode_16_64 3
		.amdhsa_dx10_clamp 1
		.amdhsa_ieee_mode 1
		.amdhsa_fp16_overflow 0
		.amdhsa_tg_split 0
		.amdhsa_exception_fp_ieee_invalid_op 0
		.amdhsa_exception_fp_denorm_src 0
		.amdhsa_exception_fp_ieee_div_zero 0
		.amdhsa_exception_fp_ieee_overflow 0
		.amdhsa_exception_fp_ieee_underflow 0
		.amdhsa_exception_fp_ieee_inexact 0
		.amdhsa_exception_int_div_zero 0
	.end_amdhsa_kernel
	.section	.text._ZN7rocprim17ROCPRIM_400000_NS6detail17trampoline_kernelINS0_14default_configENS1_38merge_sort_block_merge_config_selectorIbiEEZZNS1_27merge_sort_block_merge_implIS3_N6thrust23THRUST_200600_302600_NS6detail15normal_iteratorINS8_10device_ptrIbEEEENSA_INSB_IiEEEEjNS1_19radix_merge_compareILb1ELb0EbNS0_19identity_decomposerEEEEE10hipError_tT0_T1_T2_jT3_P12ihipStream_tbPNSt15iterator_traitsISK_E10value_typeEPNSQ_ISL_E10value_typeEPSM_NS1_7vsmem_tEENKUlT_SK_SL_SM_E_clIPbSD_PiSF_EESJ_SZ_SK_SL_SM_EUlSZ_E0_NS1_11comp_targetILNS1_3genE4ELNS1_11target_archE910ELNS1_3gpuE8ELNS1_3repE0EEENS1_38merge_mergepath_config_static_selectorELNS0_4arch9wavefront6targetE1EEEvSL_,"axG",@progbits,_ZN7rocprim17ROCPRIM_400000_NS6detail17trampoline_kernelINS0_14default_configENS1_38merge_sort_block_merge_config_selectorIbiEEZZNS1_27merge_sort_block_merge_implIS3_N6thrust23THRUST_200600_302600_NS6detail15normal_iteratorINS8_10device_ptrIbEEEENSA_INSB_IiEEEEjNS1_19radix_merge_compareILb1ELb0EbNS0_19identity_decomposerEEEEE10hipError_tT0_T1_T2_jT3_P12ihipStream_tbPNSt15iterator_traitsISK_E10value_typeEPNSQ_ISL_E10value_typeEPSM_NS1_7vsmem_tEENKUlT_SK_SL_SM_E_clIPbSD_PiSF_EESJ_SZ_SK_SL_SM_EUlSZ_E0_NS1_11comp_targetILNS1_3genE4ELNS1_11target_archE910ELNS1_3gpuE8ELNS1_3repE0EEENS1_38merge_mergepath_config_static_selectorELNS0_4arch9wavefront6targetE1EEEvSL_,comdat
.Lfunc_end2115:
	.size	_ZN7rocprim17ROCPRIM_400000_NS6detail17trampoline_kernelINS0_14default_configENS1_38merge_sort_block_merge_config_selectorIbiEEZZNS1_27merge_sort_block_merge_implIS3_N6thrust23THRUST_200600_302600_NS6detail15normal_iteratorINS8_10device_ptrIbEEEENSA_INSB_IiEEEEjNS1_19radix_merge_compareILb1ELb0EbNS0_19identity_decomposerEEEEE10hipError_tT0_T1_T2_jT3_P12ihipStream_tbPNSt15iterator_traitsISK_E10value_typeEPNSQ_ISL_E10value_typeEPSM_NS1_7vsmem_tEENKUlT_SK_SL_SM_E_clIPbSD_PiSF_EESJ_SZ_SK_SL_SM_EUlSZ_E0_NS1_11comp_targetILNS1_3genE4ELNS1_11target_archE910ELNS1_3gpuE8ELNS1_3repE0EEENS1_38merge_mergepath_config_static_selectorELNS0_4arch9wavefront6targetE1EEEvSL_, .Lfunc_end2115-_ZN7rocprim17ROCPRIM_400000_NS6detail17trampoline_kernelINS0_14default_configENS1_38merge_sort_block_merge_config_selectorIbiEEZZNS1_27merge_sort_block_merge_implIS3_N6thrust23THRUST_200600_302600_NS6detail15normal_iteratorINS8_10device_ptrIbEEEENSA_INSB_IiEEEEjNS1_19radix_merge_compareILb1ELb0EbNS0_19identity_decomposerEEEEE10hipError_tT0_T1_T2_jT3_P12ihipStream_tbPNSt15iterator_traitsISK_E10value_typeEPNSQ_ISL_E10value_typeEPSM_NS1_7vsmem_tEENKUlT_SK_SL_SM_E_clIPbSD_PiSF_EESJ_SZ_SK_SL_SM_EUlSZ_E0_NS1_11comp_targetILNS1_3genE4ELNS1_11target_archE910ELNS1_3gpuE8ELNS1_3repE0EEENS1_38merge_mergepath_config_static_selectorELNS0_4arch9wavefront6targetE1EEEvSL_
                                        ; -- End function
	.set _ZN7rocprim17ROCPRIM_400000_NS6detail17trampoline_kernelINS0_14default_configENS1_38merge_sort_block_merge_config_selectorIbiEEZZNS1_27merge_sort_block_merge_implIS3_N6thrust23THRUST_200600_302600_NS6detail15normal_iteratorINS8_10device_ptrIbEEEENSA_INSB_IiEEEEjNS1_19radix_merge_compareILb1ELb0EbNS0_19identity_decomposerEEEEE10hipError_tT0_T1_T2_jT3_P12ihipStream_tbPNSt15iterator_traitsISK_E10value_typeEPNSQ_ISL_E10value_typeEPSM_NS1_7vsmem_tEENKUlT_SK_SL_SM_E_clIPbSD_PiSF_EESJ_SZ_SK_SL_SM_EUlSZ_E0_NS1_11comp_targetILNS1_3genE4ELNS1_11target_archE910ELNS1_3gpuE8ELNS1_3repE0EEENS1_38merge_mergepath_config_static_selectorELNS0_4arch9wavefront6targetE1EEEvSL_.num_vgpr, 0
	.set _ZN7rocprim17ROCPRIM_400000_NS6detail17trampoline_kernelINS0_14default_configENS1_38merge_sort_block_merge_config_selectorIbiEEZZNS1_27merge_sort_block_merge_implIS3_N6thrust23THRUST_200600_302600_NS6detail15normal_iteratorINS8_10device_ptrIbEEEENSA_INSB_IiEEEEjNS1_19radix_merge_compareILb1ELb0EbNS0_19identity_decomposerEEEEE10hipError_tT0_T1_T2_jT3_P12ihipStream_tbPNSt15iterator_traitsISK_E10value_typeEPNSQ_ISL_E10value_typeEPSM_NS1_7vsmem_tEENKUlT_SK_SL_SM_E_clIPbSD_PiSF_EESJ_SZ_SK_SL_SM_EUlSZ_E0_NS1_11comp_targetILNS1_3genE4ELNS1_11target_archE910ELNS1_3gpuE8ELNS1_3repE0EEENS1_38merge_mergepath_config_static_selectorELNS0_4arch9wavefront6targetE1EEEvSL_.num_agpr, 0
	.set _ZN7rocprim17ROCPRIM_400000_NS6detail17trampoline_kernelINS0_14default_configENS1_38merge_sort_block_merge_config_selectorIbiEEZZNS1_27merge_sort_block_merge_implIS3_N6thrust23THRUST_200600_302600_NS6detail15normal_iteratorINS8_10device_ptrIbEEEENSA_INSB_IiEEEEjNS1_19radix_merge_compareILb1ELb0EbNS0_19identity_decomposerEEEEE10hipError_tT0_T1_T2_jT3_P12ihipStream_tbPNSt15iterator_traitsISK_E10value_typeEPNSQ_ISL_E10value_typeEPSM_NS1_7vsmem_tEENKUlT_SK_SL_SM_E_clIPbSD_PiSF_EESJ_SZ_SK_SL_SM_EUlSZ_E0_NS1_11comp_targetILNS1_3genE4ELNS1_11target_archE910ELNS1_3gpuE8ELNS1_3repE0EEENS1_38merge_mergepath_config_static_selectorELNS0_4arch9wavefront6targetE1EEEvSL_.numbered_sgpr, 0
	.set _ZN7rocprim17ROCPRIM_400000_NS6detail17trampoline_kernelINS0_14default_configENS1_38merge_sort_block_merge_config_selectorIbiEEZZNS1_27merge_sort_block_merge_implIS3_N6thrust23THRUST_200600_302600_NS6detail15normal_iteratorINS8_10device_ptrIbEEEENSA_INSB_IiEEEEjNS1_19radix_merge_compareILb1ELb0EbNS0_19identity_decomposerEEEEE10hipError_tT0_T1_T2_jT3_P12ihipStream_tbPNSt15iterator_traitsISK_E10value_typeEPNSQ_ISL_E10value_typeEPSM_NS1_7vsmem_tEENKUlT_SK_SL_SM_E_clIPbSD_PiSF_EESJ_SZ_SK_SL_SM_EUlSZ_E0_NS1_11comp_targetILNS1_3genE4ELNS1_11target_archE910ELNS1_3gpuE8ELNS1_3repE0EEENS1_38merge_mergepath_config_static_selectorELNS0_4arch9wavefront6targetE1EEEvSL_.num_named_barrier, 0
	.set _ZN7rocprim17ROCPRIM_400000_NS6detail17trampoline_kernelINS0_14default_configENS1_38merge_sort_block_merge_config_selectorIbiEEZZNS1_27merge_sort_block_merge_implIS3_N6thrust23THRUST_200600_302600_NS6detail15normal_iteratorINS8_10device_ptrIbEEEENSA_INSB_IiEEEEjNS1_19radix_merge_compareILb1ELb0EbNS0_19identity_decomposerEEEEE10hipError_tT0_T1_T2_jT3_P12ihipStream_tbPNSt15iterator_traitsISK_E10value_typeEPNSQ_ISL_E10value_typeEPSM_NS1_7vsmem_tEENKUlT_SK_SL_SM_E_clIPbSD_PiSF_EESJ_SZ_SK_SL_SM_EUlSZ_E0_NS1_11comp_targetILNS1_3genE4ELNS1_11target_archE910ELNS1_3gpuE8ELNS1_3repE0EEENS1_38merge_mergepath_config_static_selectorELNS0_4arch9wavefront6targetE1EEEvSL_.private_seg_size, 0
	.set _ZN7rocprim17ROCPRIM_400000_NS6detail17trampoline_kernelINS0_14default_configENS1_38merge_sort_block_merge_config_selectorIbiEEZZNS1_27merge_sort_block_merge_implIS3_N6thrust23THRUST_200600_302600_NS6detail15normal_iteratorINS8_10device_ptrIbEEEENSA_INSB_IiEEEEjNS1_19radix_merge_compareILb1ELb0EbNS0_19identity_decomposerEEEEE10hipError_tT0_T1_T2_jT3_P12ihipStream_tbPNSt15iterator_traitsISK_E10value_typeEPNSQ_ISL_E10value_typeEPSM_NS1_7vsmem_tEENKUlT_SK_SL_SM_E_clIPbSD_PiSF_EESJ_SZ_SK_SL_SM_EUlSZ_E0_NS1_11comp_targetILNS1_3genE4ELNS1_11target_archE910ELNS1_3gpuE8ELNS1_3repE0EEENS1_38merge_mergepath_config_static_selectorELNS0_4arch9wavefront6targetE1EEEvSL_.uses_vcc, 0
	.set _ZN7rocprim17ROCPRIM_400000_NS6detail17trampoline_kernelINS0_14default_configENS1_38merge_sort_block_merge_config_selectorIbiEEZZNS1_27merge_sort_block_merge_implIS3_N6thrust23THRUST_200600_302600_NS6detail15normal_iteratorINS8_10device_ptrIbEEEENSA_INSB_IiEEEEjNS1_19radix_merge_compareILb1ELb0EbNS0_19identity_decomposerEEEEE10hipError_tT0_T1_T2_jT3_P12ihipStream_tbPNSt15iterator_traitsISK_E10value_typeEPNSQ_ISL_E10value_typeEPSM_NS1_7vsmem_tEENKUlT_SK_SL_SM_E_clIPbSD_PiSF_EESJ_SZ_SK_SL_SM_EUlSZ_E0_NS1_11comp_targetILNS1_3genE4ELNS1_11target_archE910ELNS1_3gpuE8ELNS1_3repE0EEENS1_38merge_mergepath_config_static_selectorELNS0_4arch9wavefront6targetE1EEEvSL_.uses_flat_scratch, 0
	.set _ZN7rocprim17ROCPRIM_400000_NS6detail17trampoline_kernelINS0_14default_configENS1_38merge_sort_block_merge_config_selectorIbiEEZZNS1_27merge_sort_block_merge_implIS3_N6thrust23THRUST_200600_302600_NS6detail15normal_iteratorINS8_10device_ptrIbEEEENSA_INSB_IiEEEEjNS1_19radix_merge_compareILb1ELb0EbNS0_19identity_decomposerEEEEE10hipError_tT0_T1_T2_jT3_P12ihipStream_tbPNSt15iterator_traitsISK_E10value_typeEPNSQ_ISL_E10value_typeEPSM_NS1_7vsmem_tEENKUlT_SK_SL_SM_E_clIPbSD_PiSF_EESJ_SZ_SK_SL_SM_EUlSZ_E0_NS1_11comp_targetILNS1_3genE4ELNS1_11target_archE910ELNS1_3gpuE8ELNS1_3repE0EEENS1_38merge_mergepath_config_static_selectorELNS0_4arch9wavefront6targetE1EEEvSL_.has_dyn_sized_stack, 0
	.set _ZN7rocprim17ROCPRIM_400000_NS6detail17trampoline_kernelINS0_14default_configENS1_38merge_sort_block_merge_config_selectorIbiEEZZNS1_27merge_sort_block_merge_implIS3_N6thrust23THRUST_200600_302600_NS6detail15normal_iteratorINS8_10device_ptrIbEEEENSA_INSB_IiEEEEjNS1_19radix_merge_compareILb1ELb0EbNS0_19identity_decomposerEEEEE10hipError_tT0_T1_T2_jT3_P12ihipStream_tbPNSt15iterator_traitsISK_E10value_typeEPNSQ_ISL_E10value_typeEPSM_NS1_7vsmem_tEENKUlT_SK_SL_SM_E_clIPbSD_PiSF_EESJ_SZ_SK_SL_SM_EUlSZ_E0_NS1_11comp_targetILNS1_3genE4ELNS1_11target_archE910ELNS1_3gpuE8ELNS1_3repE0EEENS1_38merge_mergepath_config_static_selectorELNS0_4arch9wavefront6targetE1EEEvSL_.has_recursion, 0
	.set _ZN7rocprim17ROCPRIM_400000_NS6detail17trampoline_kernelINS0_14default_configENS1_38merge_sort_block_merge_config_selectorIbiEEZZNS1_27merge_sort_block_merge_implIS3_N6thrust23THRUST_200600_302600_NS6detail15normal_iteratorINS8_10device_ptrIbEEEENSA_INSB_IiEEEEjNS1_19radix_merge_compareILb1ELb0EbNS0_19identity_decomposerEEEEE10hipError_tT0_T1_T2_jT3_P12ihipStream_tbPNSt15iterator_traitsISK_E10value_typeEPNSQ_ISL_E10value_typeEPSM_NS1_7vsmem_tEENKUlT_SK_SL_SM_E_clIPbSD_PiSF_EESJ_SZ_SK_SL_SM_EUlSZ_E0_NS1_11comp_targetILNS1_3genE4ELNS1_11target_archE910ELNS1_3gpuE8ELNS1_3repE0EEENS1_38merge_mergepath_config_static_selectorELNS0_4arch9wavefront6targetE1EEEvSL_.has_indirect_call, 0
	.section	.AMDGPU.csdata,"",@progbits
; Kernel info:
; codeLenInByte = 0
; TotalNumSgprs: 6
; NumVgprs: 0
; NumAgprs: 0
; TotalNumVgprs: 0
; ScratchSize: 0
; MemoryBound: 0
; FloatMode: 240
; IeeeMode: 1
; LDSByteSize: 0 bytes/workgroup (compile time only)
; SGPRBlocks: 0
; VGPRBlocks: 0
; NumSGPRsForWavesPerEU: 6
; NumVGPRsForWavesPerEU: 1
; AccumOffset: 4
; Occupancy: 8
; WaveLimiterHint : 0
; COMPUTE_PGM_RSRC2:SCRATCH_EN: 0
; COMPUTE_PGM_RSRC2:USER_SGPR: 2
; COMPUTE_PGM_RSRC2:TRAP_HANDLER: 0
; COMPUTE_PGM_RSRC2:TGID_X_EN: 1
; COMPUTE_PGM_RSRC2:TGID_Y_EN: 0
; COMPUTE_PGM_RSRC2:TGID_Z_EN: 0
; COMPUTE_PGM_RSRC2:TIDIG_COMP_CNT: 0
; COMPUTE_PGM_RSRC3_GFX90A:ACCUM_OFFSET: 0
; COMPUTE_PGM_RSRC3_GFX90A:TG_SPLIT: 0
	.section	.text._ZN7rocprim17ROCPRIM_400000_NS6detail17trampoline_kernelINS0_14default_configENS1_38merge_sort_block_merge_config_selectorIbiEEZZNS1_27merge_sort_block_merge_implIS3_N6thrust23THRUST_200600_302600_NS6detail15normal_iteratorINS8_10device_ptrIbEEEENSA_INSB_IiEEEEjNS1_19radix_merge_compareILb1ELb0EbNS0_19identity_decomposerEEEEE10hipError_tT0_T1_T2_jT3_P12ihipStream_tbPNSt15iterator_traitsISK_E10value_typeEPNSQ_ISL_E10value_typeEPSM_NS1_7vsmem_tEENKUlT_SK_SL_SM_E_clIPbSD_PiSF_EESJ_SZ_SK_SL_SM_EUlSZ_E0_NS1_11comp_targetILNS1_3genE3ELNS1_11target_archE908ELNS1_3gpuE7ELNS1_3repE0EEENS1_38merge_mergepath_config_static_selectorELNS0_4arch9wavefront6targetE1EEEvSL_,"axG",@progbits,_ZN7rocprim17ROCPRIM_400000_NS6detail17trampoline_kernelINS0_14default_configENS1_38merge_sort_block_merge_config_selectorIbiEEZZNS1_27merge_sort_block_merge_implIS3_N6thrust23THRUST_200600_302600_NS6detail15normal_iteratorINS8_10device_ptrIbEEEENSA_INSB_IiEEEEjNS1_19radix_merge_compareILb1ELb0EbNS0_19identity_decomposerEEEEE10hipError_tT0_T1_T2_jT3_P12ihipStream_tbPNSt15iterator_traitsISK_E10value_typeEPNSQ_ISL_E10value_typeEPSM_NS1_7vsmem_tEENKUlT_SK_SL_SM_E_clIPbSD_PiSF_EESJ_SZ_SK_SL_SM_EUlSZ_E0_NS1_11comp_targetILNS1_3genE3ELNS1_11target_archE908ELNS1_3gpuE7ELNS1_3repE0EEENS1_38merge_mergepath_config_static_selectorELNS0_4arch9wavefront6targetE1EEEvSL_,comdat
	.protected	_ZN7rocprim17ROCPRIM_400000_NS6detail17trampoline_kernelINS0_14default_configENS1_38merge_sort_block_merge_config_selectorIbiEEZZNS1_27merge_sort_block_merge_implIS3_N6thrust23THRUST_200600_302600_NS6detail15normal_iteratorINS8_10device_ptrIbEEEENSA_INSB_IiEEEEjNS1_19radix_merge_compareILb1ELb0EbNS0_19identity_decomposerEEEEE10hipError_tT0_T1_T2_jT3_P12ihipStream_tbPNSt15iterator_traitsISK_E10value_typeEPNSQ_ISL_E10value_typeEPSM_NS1_7vsmem_tEENKUlT_SK_SL_SM_E_clIPbSD_PiSF_EESJ_SZ_SK_SL_SM_EUlSZ_E0_NS1_11comp_targetILNS1_3genE3ELNS1_11target_archE908ELNS1_3gpuE7ELNS1_3repE0EEENS1_38merge_mergepath_config_static_selectorELNS0_4arch9wavefront6targetE1EEEvSL_ ; -- Begin function _ZN7rocprim17ROCPRIM_400000_NS6detail17trampoline_kernelINS0_14default_configENS1_38merge_sort_block_merge_config_selectorIbiEEZZNS1_27merge_sort_block_merge_implIS3_N6thrust23THRUST_200600_302600_NS6detail15normal_iteratorINS8_10device_ptrIbEEEENSA_INSB_IiEEEEjNS1_19radix_merge_compareILb1ELb0EbNS0_19identity_decomposerEEEEE10hipError_tT0_T1_T2_jT3_P12ihipStream_tbPNSt15iterator_traitsISK_E10value_typeEPNSQ_ISL_E10value_typeEPSM_NS1_7vsmem_tEENKUlT_SK_SL_SM_E_clIPbSD_PiSF_EESJ_SZ_SK_SL_SM_EUlSZ_E0_NS1_11comp_targetILNS1_3genE3ELNS1_11target_archE908ELNS1_3gpuE7ELNS1_3repE0EEENS1_38merge_mergepath_config_static_selectorELNS0_4arch9wavefront6targetE1EEEvSL_
	.globl	_ZN7rocprim17ROCPRIM_400000_NS6detail17trampoline_kernelINS0_14default_configENS1_38merge_sort_block_merge_config_selectorIbiEEZZNS1_27merge_sort_block_merge_implIS3_N6thrust23THRUST_200600_302600_NS6detail15normal_iteratorINS8_10device_ptrIbEEEENSA_INSB_IiEEEEjNS1_19radix_merge_compareILb1ELb0EbNS0_19identity_decomposerEEEEE10hipError_tT0_T1_T2_jT3_P12ihipStream_tbPNSt15iterator_traitsISK_E10value_typeEPNSQ_ISL_E10value_typeEPSM_NS1_7vsmem_tEENKUlT_SK_SL_SM_E_clIPbSD_PiSF_EESJ_SZ_SK_SL_SM_EUlSZ_E0_NS1_11comp_targetILNS1_3genE3ELNS1_11target_archE908ELNS1_3gpuE7ELNS1_3repE0EEENS1_38merge_mergepath_config_static_selectorELNS0_4arch9wavefront6targetE1EEEvSL_
	.p2align	8
	.type	_ZN7rocprim17ROCPRIM_400000_NS6detail17trampoline_kernelINS0_14default_configENS1_38merge_sort_block_merge_config_selectorIbiEEZZNS1_27merge_sort_block_merge_implIS3_N6thrust23THRUST_200600_302600_NS6detail15normal_iteratorINS8_10device_ptrIbEEEENSA_INSB_IiEEEEjNS1_19radix_merge_compareILb1ELb0EbNS0_19identity_decomposerEEEEE10hipError_tT0_T1_T2_jT3_P12ihipStream_tbPNSt15iterator_traitsISK_E10value_typeEPNSQ_ISL_E10value_typeEPSM_NS1_7vsmem_tEENKUlT_SK_SL_SM_E_clIPbSD_PiSF_EESJ_SZ_SK_SL_SM_EUlSZ_E0_NS1_11comp_targetILNS1_3genE3ELNS1_11target_archE908ELNS1_3gpuE7ELNS1_3repE0EEENS1_38merge_mergepath_config_static_selectorELNS0_4arch9wavefront6targetE1EEEvSL_,@function
_ZN7rocprim17ROCPRIM_400000_NS6detail17trampoline_kernelINS0_14default_configENS1_38merge_sort_block_merge_config_selectorIbiEEZZNS1_27merge_sort_block_merge_implIS3_N6thrust23THRUST_200600_302600_NS6detail15normal_iteratorINS8_10device_ptrIbEEEENSA_INSB_IiEEEEjNS1_19radix_merge_compareILb1ELb0EbNS0_19identity_decomposerEEEEE10hipError_tT0_T1_T2_jT3_P12ihipStream_tbPNSt15iterator_traitsISK_E10value_typeEPNSQ_ISL_E10value_typeEPSM_NS1_7vsmem_tEENKUlT_SK_SL_SM_E_clIPbSD_PiSF_EESJ_SZ_SK_SL_SM_EUlSZ_E0_NS1_11comp_targetILNS1_3genE3ELNS1_11target_archE908ELNS1_3gpuE7ELNS1_3repE0EEENS1_38merge_mergepath_config_static_selectorELNS0_4arch9wavefront6targetE1EEEvSL_: ; @_ZN7rocprim17ROCPRIM_400000_NS6detail17trampoline_kernelINS0_14default_configENS1_38merge_sort_block_merge_config_selectorIbiEEZZNS1_27merge_sort_block_merge_implIS3_N6thrust23THRUST_200600_302600_NS6detail15normal_iteratorINS8_10device_ptrIbEEEENSA_INSB_IiEEEEjNS1_19radix_merge_compareILb1ELb0EbNS0_19identity_decomposerEEEEE10hipError_tT0_T1_T2_jT3_P12ihipStream_tbPNSt15iterator_traitsISK_E10value_typeEPNSQ_ISL_E10value_typeEPSM_NS1_7vsmem_tEENKUlT_SK_SL_SM_E_clIPbSD_PiSF_EESJ_SZ_SK_SL_SM_EUlSZ_E0_NS1_11comp_targetILNS1_3genE3ELNS1_11target_archE908ELNS1_3gpuE7ELNS1_3repE0EEENS1_38merge_mergepath_config_static_selectorELNS0_4arch9wavefront6targetE1EEEvSL_
; %bb.0:
	.section	.rodata,"a",@progbits
	.p2align	6, 0x0
	.amdhsa_kernel _ZN7rocprim17ROCPRIM_400000_NS6detail17trampoline_kernelINS0_14default_configENS1_38merge_sort_block_merge_config_selectorIbiEEZZNS1_27merge_sort_block_merge_implIS3_N6thrust23THRUST_200600_302600_NS6detail15normal_iteratorINS8_10device_ptrIbEEEENSA_INSB_IiEEEEjNS1_19radix_merge_compareILb1ELb0EbNS0_19identity_decomposerEEEEE10hipError_tT0_T1_T2_jT3_P12ihipStream_tbPNSt15iterator_traitsISK_E10value_typeEPNSQ_ISL_E10value_typeEPSM_NS1_7vsmem_tEENKUlT_SK_SL_SM_E_clIPbSD_PiSF_EESJ_SZ_SK_SL_SM_EUlSZ_E0_NS1_11comp_targetILNS1_3genE3ELNS1_11target_archE908ELNS1_3gpuE7ELNS1_3repE0EEENS1_38merge_mergepath_config_static_selectorELNS0_4arch9wavefront6targetE1EEEvSL_
		.amdhsa_group_segment_fixed_size 0
		.amdhsa_private_segment_fixed_size 0
		.amdhsa_kernarg_size 64
		.amdhsa_user_sgpr_count 2
		.amdhsa_user_sgpr_dispatch_ptr 0
		.amdhsa_user_sgpr_queue_ptr 0
		.amdhsa_user_sgpr_kernarg_segment_ptr 1
		.amdhsa_user_sgpr_dispatch_id 0
		.amdhsa_user_sgpr_kernarg_preload_length 0
		.amdhsa_user_sgpr_kernarg_preload_offset 0
		.amdhsa_user_sgpr_private_segment_size 0
		.amdhsa_uses_dynamic_stack 0
		.amdhsa_enable_private_segment 0
		.amdhsa_system_sgpr_workgroup_id_x 1
		.amdhsa_system_sgpr_workgroup_id_y 0
		.amdhsa_system_sgpr_workgroup_id_z 0
		.amdhsa_system_sgpr_workgroup_info 0
		.amdhsa_system_vgpr_workitem_id 0
		.amdhsa_next_free_vgpr 1
		.amdhsa_next_free_sgpr 0
		.amdhsa_accum_offset 4
		.amdhsa_reserve_vcc 0
		.amdhsa_float_round_mode_32 0
		.amdhsa_float_round_mode_16_64 0
		.amdhsa_float_denorm_mode_32 3
		.amdhsa_float_denorm_mode_16_64 3
		.amdhsa_dx10_clamp 1
		.amdhsa_ieee_mode 1
		.amdhsa_fp16_overflow 0
		.amdhsa_tg_split 0
		.amdhsa_exception_fp_ieee_invalid_op 0
		.amdhsa_exception_fp_denorm_src 0
		.amdhsa_exception_fp_ieee_div_zero 0
		.amdhsa_exception_fp_ieee_overflow 0
		.amdhsa_exception_fp_ieee_underflow 0
		.amdhsa_exception_fp_ieee_inexact 0
		.amdhsa_exception_int_div_zero 0
	.end_amdhsa_kernel
	.section	.text._ZN7rocprim17ROCPRIM_400000_NS6detail17trampoline_kernelINS0_14default_configENS1_38merge_sort_block_merge_config_selectorIbiEEZZNS1_27merge_sort_block_merge_implIS3_N6thrust23THRUST_200600_302600_NS6detail15normal_iteratorINS8_10device_ptrIbEEEENSA_INSB_IiEEEEjNS1_19radix_merge_compareILb1ELb0EbNS0_19identity_decomposerEEEEE10hipError_tT0_T1_T2_jT3_P12ihipStream_tbPNSt15iterator_traitsISK_E10value_typeEPNSQ_ISL_E10value_typeEPSM_NS1_7vsmem_tEENKUlT_SK_SL_SM_E_clIPbSD_PiSF_EESJ_SZ_SK_SL_SM_EUlSZ_E0_NS1_11comp_targetILNS1_3genE3ELNS1_11target_archE908ELNS1_3gpuE7ELNS1_3repE0EEENS1_38merge_mergepath_config_static_selectorELNS0_4arch9wavefront6targetE1EEEvSL_,"axG",@progbits,_ZN7rocprim17ROCPRIM_400000_NS6detail17trampoline_kernelINS0_14default_configENS1_38merge_sort_block_merge_config_selectorIbiEEZZNS1_27merge_sort_block_merge_implIS3_N6thrust23THRUST_200600_302600_NS6detail15normal_iteratorINS8_10device_ptrIbEEEENSA_INSB_IiEEEEjNS1_19radix_merge_compareILb1ELb0EbNS0_19identity_decomposerEEEEE10hipError_tT0_T1_T2_jT3_P12ihipStream_tbPNSt15iterator_traitsISK_E10value_typeEPNSQ_ISL_E10value_typeEPSM_NS1_7vsmem_tEENKUlT_SK_SL_SM_E_clIPbSD_PiSF_EESJ_SZ_SK_SL_SM_EUlSZ_E0_NS1_11comp_targetILNS1_3genE3ELNS1_11target_archE908ELNS1_3gpuE7ELNS1_3repE0EEENS1_38merge_mergepath_config_static_selectorELNS0_4arch9wavefront6targetE1EEEvSL_,comdat
.Lfunc_end2116:
	.size	_ZN7rocprim17ROCPRIM_400000_NS6detail17trampoline_kernelINS0_14default_configENS1_38merge_sort_block_merge_config_selectorIbiEEZZNS1_27merge_sort_block_merge_implIS3_N6thrust23THRUST_200600_302600_NS6detail15normal_iteratorINS8_10device_ptrIbEEEENSA_INSB_IiEEEEjNS1_19radix_merge_compareILb1ELb0EbNS0_19identity_decomposerEEEEE10hipError_tT0_T1_T2_jT3_P12ihipStream_tbPNSt15iterator_traitsISK_E10value_typeEPNSQ_ISL_E10value_typeEPSM_NS1_7vsmem_tEENKUlT_SK_SL_SM_E_clIPbSD_PiSF_EESJ_SZ_SK_SL_SM_EUlSZ_E0_NS1_11comp_targetILNS1_3genE3ELNS1_11target_archE908ELNS1_3gpuE7ELNS1_3repE0EEENS1_38merge_mergepath_config_static_selectorELNS0_4arch9wavefront6targetE1EEEvSL_, .Lfunc_end2116-_ZN7rocprim17ROCPRIM_400000_NS6detail17trampoline_kernelINS0_14default_configENS1_38merge_sort_block_merge_config_selectorIbiEEZZNS1_27merge_sort_block_merge_implIS3_N6thrust23THRUST_200600_302600_NS6detail15normal_iteratorINS8_10device_ptrIbEEEENSA_INSB_IiEEEEjNS1_19radix_merge_compareILb1ELb0EbNS0_19identity_decomposerEEEEE10hipError_tT0_T1_T2_jT3_P12ihipStream_tbPNSt15iterator_traitsISK_E10value_typeEPNSQ_ISL_E10value_typeEPSM_NS1_7vsmem_tEENKUlT_SK_SL_SM_E_clIPbSD_PiSF_EESJ_SZ_SK_SL_SM_EUlSZ_E0_NS1_11comp_targetILNS1_3genE3ELNS1_11target_archE908ELNS1_3gpuE7ELNS1_3repE0EEENS1_38merge_mergepath_config_static_selectorELNS0_4arch9wavefront6targetE1EEEvSL_
                                        ; -- End function
	.set _ZN7rocprim17ROCPRIM_400000_NS6detail17trampoline_kernelINS0_14default_configENS1_38merge_sort_block_merge_config_selectorIbiEEZZNS1_27merge_sort_block_merge_implIS3_N6thrust23THRUST_200600_302600_NS6detail15normal_iteratorINS8_10device_ptrIbEEEENSA_INSB_IiEEEEjNS1_19radix_merge_compareILb1ELb0EbNS0_19identity_decomposerEEEEE10hipError_tT0_T1_T2_jT3_P12ihipStream_tbPNSt15iterator_traitsISK_E10value_typeEPNSQ_ISL_E10value_typeEPSM_NS1_7vsmem_tEENKUlT_SK_SL_SM_E_clIPbSD_PiSF_EESJ_SZ_SK_SL_SM_EUlSZ_E0_NS1_11comp_targetILNS1_3genE3ELNS1_11target_archE908ELNS1_3gpuE7ELNS1_3repE0EEENS1_38merge_mergepath_config_static_selectorELNS0_4arch9wavefront6targetE1EEEvSL_.num_vgpr, 0
	.set _ZN7rocprim17ROCPRIM_400000_NS6detail17trampoline_kernelINS0_14default_configENS1_38merge_sort_block_merge_config_selectorIbiEEZZNS1_27merge_sort_block_merge_implIS3_N6thrust23THRUST_200600_302600_NS6detail15normal_iteratorINS8_10device_ptrIbEEEENSA_INSB_IiEEEEjNS1_19radix_merge_compareILb1ELb0EbNS0_19identity_decomposerEEEEE10hipError_tT0_T1_T2_jT3_P12ihipStream_tbPNSt15iterator_traitsISK_E10value_typeEPNSQ_ISL_E10value_typeEPSM_NS1_7vsmem_tEENKUlT_SK_SL_SM_E_clIPbSD_PiSF_EESJ_SZ_SK_SL_SM_EUlSZ_E0_NS1_11comp_targetILNS1_3genE3ELNS1_11target_archE908ELNS1_3gpuE7ELNS1_3repE0EEENS1_38merge_mergepath_config_static_selectorELNS0_4arch9wavefront6targetE1EEEvSL_.num_agpr, 0
	.set _ZN7rocprim17ROCPRIM_400000_NS6detail17trampoline_kernelINS0_14default_configENS1_38merge_sort_block_merge_config_selectorIbiEEZZNS1_27merge_sort_block_merge_implIS3_N6thrust23THRUST_200600_302600_NS6detail15normal_iteratorINS8_10device_ptrIbEEEENSA_INSB_IiEEEEjNS1_19radix_merge_compareILb1ELb0EbNS0_19identity_decomposerEEEEE10hipError_tT0_T1_T2_jT3_P12ihipStream_tbPNSt15iterator_traitsISK_E10value_typeEPNSQ_ISL_E10value_typeEPSM_NS1_7vsmem_tEENKUlT_SK_SL_SM_E_clIPbSD_PiSF_EESJ_SZ_SK_SL_SM_EUlSZ_E0_NS1_11comp_targetILNS1_3genE3ELNS1_11target_archE908ELNS1_3gpuE7ELNS1_3repE0EEENS1_38merge_mergepath_config_static_selectorELNS0_4arch9wavefront6targetE1EEEvSL_.numbered_sgpr, 0
	.set _ZN7rocprim17ROCPRIM_400000_NS6detail17trampoline_kernelINS0_14default_configENS1_38merge_sort_block_merge_config_selectorIbiEEZZNS1_27merge_sort_block_merge_implIS3_N6thrust23THRUST_200600_302600_NS6detail15normal_iteratorINS8_10device_ptrIbEEEENSA_INSB_IiEEEEjNS1_19radix_merge_compareILb1ELb0EbNS0_19identity_decomposerEEEEE10hipError_tT0_T1_T2_jT3_P12ihipStream_tbPNSt15iterator_traitsISK_E10value_typeEPNSQ_ISL_E10value_typeEPSM_NS1_7vsmem_tEENKUlT_SK_SL_SM_E_clIPbSD_PiSF_EESJ_SZ_SK_SL_SM_EUlSZ_E0_NS1_11comp_targetILNS1_3genE3ELNS1_11target_archE908ELNS1_3gpuE7ELNS1_3repE0EEENS1_38merge_mergepath_config_static_selectorELNS0_4arch9wavefront6targetE1EEEvSL_.num_named_barrier, 0
	.set _ZN7rocprim17ROCPRIM_400000_NS6detail17trampoline_kernelINS0_14default_configENS1_38merge_sort_block_merge_config_selectorIbiEEZZNS1_27merge_sort_block_merge_implIS3_N6thrust23THRUST_200600_302600_NS6detail15normal_iteratorINS8_10device_ptrIbEEEENSA_INSB_IiEEEEjNS1_19radix_merge_compareILb1ELb0EbNS0_19identity_decomposerEEEEE10hipError_tT0_T1_T2_jT3_P12ihipStream_tbPNSt15iterator_traitsISK_E10value_typeEPNSQ_ISL_E10value_typeEPSM_NS1_7vsmem_tEENKUlT_SK_SL_SM_E_clIPbSD_PiSF_EESJ_SZ_SK_SL_SM_EUlSZ_E0_NS1_11comp_targetILNS1_3genE3ELNS1_11target_archE908ELNS1_3gpuE7ELNS1_3repE0EEENS1_38merge_mergepath_config_static_selectorELNS0_4arch9wavefront6targetE1EEEvSL_.private_seg_size, 0
	.set _ZN7rocprim17ROCPRIM_400000_NS6detail17trampoline_kernelINS0_14default_configENS1_38merge_sort_block_merge_config_selectorIbiEEZZNS1_27merge_sort_block_merge_implIS3_N6thrust23THRUST_200600_302600_NS6detail15normal_iteratorINS8_10device_ptrIbEEEENSA_INSB_IiEEEEjNS1_19radix_merge_compareILb1ELb0EbNS0_19identity_decomposerEEEEE10hipError_tT0_T1_T2_jT3_P12ihipStream_tbPNSt15iterator_traitsISK_E10value_typeEPNSQ_ISL_E10value_typeEPSM_NS1_7vsmem_tEENKUlT_SK_SL_SM_E_clIPbSD_PiSF_EESJ_SZ_SK_SL_SM_EUlSZ_E0_NS1_11comp_targetILNS1_3genE3ELNS1_11target_archE908ELNS1_3gpuE7ELNS1_3repE0EEENS1_38merge_mergepath_config_static_selectorELNS0_4arch9wavefront6targetE1EEEvSL_.uses_vcc, 0
	.set _ZN7rocprim17ROCPRIM_400000_NS6detail17trampoline_kernelINS0_14default_configENS1_38merge_sort_block_merge_config_selectorIbiEEZZNS1_27merge_sort_block_merge_implIS3_N6thrust23THRUST_200600_302600_NS6detail15normal_iteratorINS8_10device_ptrIbEEEENSA_INSB_IiEEEEjNS1_19radix_merge_compareILb1ELb0EbNS0_19identity_decomposerEEEEE10hipError_tT0_T1_T2_jT3_P12ihipStream_tbPNSt15iterator_traitsISK_E10value_typeEPNSQ_ISL_E10value_typeEPSM_NS1_7vsmem_tEENKUlT_SK_SL_SM_E_clIPbSD_PiSF_EESJ_SZ_SK_SL_SM_EUlSZ_E0_NS1_11comp_targetILNS1_3genE3ELNS1_11target_archE908ELNS1_3gpuE7ELNS1_3repE0EEENS1_38merge_mergepath_config_static_selectorELNS0_4arch9wavefront6targetE1EEEvSL_.uses_flat_scratch, 0
	.set _ZN7rocprim17ROCPRIM_400000_NS6detail17trampoline_kernelINS0_14default_configENS1_38merge_sort_block_merge_config_selectorIbiEEZZNS1_27merge_sort_block_merge_implIS3_N6thrust23THRUST_200600_302600_NS6detail15normal_iteratorINS8_10device_ptrIbEEEENSA_INSB_IiEEEEjNS1_19radix_merge_compareILb1ELb0EbNS0_19identity_decomposerEEEEE10hipError_tT0_T1_T2_jT3_P12ihipStream_tbPNSt15iterator_traitsISK_E10value_typeEPNSQ_ISL_E10value_typeEPSM_NS1_7vsmem_tEENKUlT_SK_SL_SM_E_clIPbSD_PiSF_EESJ_SZ_SK_SL_SM_EUlSZ_E0_NS1_11comp_targetILNS1_3genE3ELNS1_11target_archE908ELNS1_3gpuE7ELNS1_3repE0EEENS1_38merge_mergepath_config_static_selectorELNS0_4arch9wavefront6targetE1EEEvSL_.has_dyn_sized_stack, 0
	.set _ZN7rocprim17ROCPRIM_400000_NS6detail17trampoline_kernelINS0_14default_configENS1_38merge_sort_block_merge_config_selectorIbiEEZZNS1_27merge_sort_block_merge_implIS3_N6thrust23THRUST_200600_302600_NS6detail15normal_iteratorINS8_10device_ptrIbEEEENSA_INSB_IiEEEEjNS1_19radix_merge_compareILb1ELb0EbNS0_19identity_decomposerEEEEE10hipError_tT0_T1_T2_jT3_P12ihipStream_tbPNSt15iterator_traitsISK_E10value_typeEPNSQ_ISL_E10value_typeEPSM_NS1_7vsmem_tEENKUlT_SK_SL_SM_E_clIPbSD_PiSF_EESJ_SZ_SK_SL_SM_EUlSZ_E0_NS1_11comp_targetILNS1_3genE3ELNS1_11target_archE908ELNS1_3gpuE7ELNS1_3repE0EEENS1_38merge_mergepath_config_static_selectorELNS0_4arch9wavefront6targetE1EEEvSL_.has_recursion, 0
	.set _ZN7rocprim17ROCPRIM_400000_NS6detail17trampoline_kernelINS0_14default_configENS1_38merge_sort_block_merge_config_selectorIbiEEZZNS1_27merge_sort_block_merge_implIS3_N6thrust23THRUST_200600_302600_NS6detail15normal_iteratorINS8_10device_ptrIbEEEENSA_INSB_IiEEEEjNS1_19radix_merge_compareILb1ELb0EbNS0_19identity_decomposerEEEEE10hipError_tT0_T1_T2_jT3_P12ihipStream_tbPNSt15iterator_traitsISK_E10value_typeEPNSQ_ISL_E10value_typeEPSM_NS1_7vsmem_tEENKUlT_SK_SL_SM_E_clIPbSD_PiSF_EESJ_SZ_SK_SL_SM_EUlSZ_E0_NS1_11comp_targetILNS1_3genE3ELNS1_11target_archE908ELNS1_3gpuE7ELNS1_3repE0EEENS1_38merge_mergepath_config_static_selectorELNS0_4arch9wavefront6targetE1EEEvSL_.has_indirect_call, 0
	.section	.AMDGPU.csdata,"",@progbits
; Kernel info:
; codeLenInByte = 0
; TotalNumSgprs: 6
; NumVgprs: 0
; NumAgprs: 0
; TotalNumVgprs: 0
; ScratchSize: 0
; MemoryBound: 0
; FloatMode: 240
; IeeeMode: 1
; LDSByteSize: 0 bytes/workgroup (compile time only)
; SGPRBlocks: 0
; VGPRBlocks: 0
; NumSGPRsForWavesPerEU: 6
; NumVGPRsForWavesPerEU: 1
; AccumOffset: 4
; Occupancy: 8
; WaveLimiterHint : 0
; COMPUTE_PGM_RSRC2:SCRATCH_EN: 0
; COMPUTE_PGM_RSRC2:USER_SGPR: 2
; COMPUTE_PGM_RSRC2:TRAP_HANDLER: 0
; COMPUTE_PGM_RSRC2:TGID_X_EN: 1
; COMPUTE_PGM_RSRC2:TGID_Y_EN: 0
; COMPUTE_PGM_RSRC2:TGID_Z_EN: 0
; COMPUTE_PGM_RSRC2:TIDIG_COMP_CNT: 0
; COMPUTE_PGM_RSRC3_GFX90A:ACCUM_OFFSET: 0
; COMPUTE_PGM_RSRC3_GFX90A:TG_SPLIT: 0
	.section	.text._ZN7rocprim17ROCPRIM_400000_NS6detail17trampoline_kernelINS0_14default_configENS1_38merge_sort_block_merge_config_selectorIbiEEZZNS1_27merge_sort_block_merge_implIS3_N6thrust23THRUST_200600_302600_NS6detail15normal_iteratorINS8_10device_ptrIbEEEENSA_INSB_IiEEEEjNS1_19radix_merge_compareILb1ELb0EbNS0_19identity_decomposerEEEEE10hipError_tT0_T1_T2_jT3_P12ihipStream_tbPNSt15iterator_traitsISK_E10value_typeEPNSQ_ISL_E10value_typeEPSM_NS1_7vsmem_tEENKUlT_SK_SL_SM_E_clIPbSD_PiSF_EESJ_SZ_SK_SL_SM_EUlSZ_E0_NS1_11comp_targetILNS1_3genE2ELNS1_11target_archE906ELNS1_3gpuE6ELNS1_3repE0EEENS1_38merge_mergepath_config_static_selectorELNS0_4arch9wavefront6targetE1EEEvSL_,"axG",@progbits,_ZN7rocprim17ROCPRIM_400000_NS6detail17trampoline_kernelINS0_14default_configENS1_38merge_sort_block_merge_config_selectorIbiEEZZNS1_27merge_sort_block_merge_implIS3_N6thrust23THRUST_200600_302600_NS6detail15normal_iteratorINS8_10device_ptrIbEEEENSA_INSB_IiEEEEjNS1_19radix_merge_compareILb1ELb0EbNS0_19identity_decomposerEEEEE10hipError_tT0_T1_T2_jT3_P12ihipStream_tbPNSt15iterator_traitsISK_E10value_typeEPNSQ_ISL_E10value_typeEPSM_NS1_7vsmem_tEENKUlT_SK_SL_SM_E_clIPbSD_PiSF_EESJ_SZ_SK_SL_SM_EUlSZ_E0_NS1_11comp_targetILNS1_3genE2ELNS1_11target_archE906ELNS1_3gpuE6ELNS1_3repE0EEENS1_38merge_mergepath_config_static_selectorELNS0_4arch9wavefront6targetE1EEEvSL_,comdat
	.protected	_ZN7rocprim17ROCPRIM_400000_NS6detail17trampoline_kernelINS0_14default_configENS1_38merge_sort_block_merge_config_selectorIbiEEZZNS1_27merge_sort_block_merge_implIS3_N6thrust23THRUST_200600_302600_NS6detail15normal_iteratorINS8_10device_ptrIbEEEENSA_INSB_IiEEEEjNS1_19radix_merge_compareILb1ELb0EbNS0_19identity_decomposerEEEEE10hipError_tT0_T1_T2_jT3_P12ihipStream_tbPNSt15iterator_traitsISK_E10value_typeEPNSQ_ISL_E10value_typeEPSM_NS1_7vsmem_tEENKUlT_SK_SL_SM_E_clIPbSD_PiSF_EESJ_SZ_SK_SL_SM_EUlSZ_E0_NS1_11comp_targetILNS1_3genE2ELNS1_11target_archE906ELNS1_3gpuE6ELNS1_3repE0EEENS1_38merge_mergepath_config_static_selectorELNS0_4arch9wavefront6targetE1EEEvSL_ ; -- Begin function _ZN7rocprim17ROCPRIM_400000_NS6detail17trampoline_kernelINS0_14default_configENS1_38merge_sort_block_merge_config_selectorIbiEEZZNS1_27merge_sort_block_merge_implIS3_N6thrust23THRUST_200600_302600_NS6detail15normal_iteratorINS8_10device_ptrIbEEEENSA_INSB_IiEEEEjNS1_19radix_merge_compareILb1ELb0EbNS0_19identity_decomposerEEEEE10hipError_tT0_T1_T2_jT3_P12ihipStream_tbPNSt15iterator_traitsISK_E10value_typeEPNSQ_ISL_E10value_typeEPSM_NS1_7vsmem_tEENKUlT_SK_SL_SM_E_clIPbSD_PiSF_EESJ_SZ_SK_SL_SM_EUlSZ_E0_NS1_11comp_targetILNS1_3genE2ELNS1_11target_archE906ELNS1_3gpuE6ELNS1_3repE0EEENS1_38merge_mergepath_config_static_selectorELNS0_4arch9wavefront6targetE1EEEvSL_
	.globl	_ZN7rocprim17ROCPRIM_400000_NS6detail17trampoline_kernelINS0_14default_configENS1_38merge_sort_block_merge_config_selectorIbiEEZZNS1_27merge_sort_block_merge_implIS3_N6thrust23THRUST_200600_302600_NS6detail15normal_iteratorINS8_10device_ptrIbEEEENSA_INSB_IiEEEEjNS1_19radix_merge_compareILb1ELb0EbNS0_19identity_decomposerEEEEE10hipError_tT0_T1_T2_jT3_P12ihipStream_tbPNSt15iterator_traitsISK_E10value_typeEPNSQ_ISL_E10value_typeEPSM_NS1_7vsmem_tEENKUlT_SK_SL_SM_E_clIPbSD_PiSF_EESJ_SZ_SK_SL_SM_EUlSZ_E0_NS1_11comp_targetILNS1_3genE2ELNS1_11target_archE906ELNS1_3gpuE6ELNS1_3repE0EEENS1_38merge_mergepath_config_static_selectorELNS0_4arch9wavefront6targetE1EEEvSL_
	.p2align	8
	.type	_ZN7rocprim17ROCPRIM_400000_NS6detail17trampoline_kernelINS0_14default_configENS1_38merge_sort_block_merge_config_selectorIbiEEZZNS1_27merge_sort_block_merge_implIS3_N6thrust23THRUST_200600_302600_NS6detail15normal_iteratorINS8_10device_ptrIbEEEENSA_INSB_IiEEEEjNS1_19radix_merge_compareILb1ELb0EbNS0_19identity_decomposerEEEEE10hipError_tT0_T1_T2_jT3_P12ihipStream_tbPNSt15iterator_traitsISK_E10value_typeEPNSQ_ISL_E10value_typeEPSM_NS1_7vsmem_tEENKUlT_SK_SL_SM_E_clIPbSD_PiSF_EESJ_SZ_SK_SL_SM_EUlSZ_E0_NS1_11comp_targetILNS1_3genE2ELNS1_11target_archE906ELNS1_3gpuE6ELNS1_3repE0EEENS1_38merge_mergepath_config_static_selectorELNS0_4arch9wavefront6targetE1EEEvSL_,@function
_ZN7rocprim17ROCPRIM_400000_NS6detail17trampoline_kernelINS0_14default_configENS1_38merge_sort_block_merge_config_selectorIbiEEZZNS1_27merge_sort_block_merge_implIS3_N6thrust23THRUST_200600_302600_NS6detail15normal_iteratorINS8_10device_ptrIbEEEENSA_INSB_IiEEEEjNS1_19radix_merge_compareILb1ELb0EbNS0_19identity_decomposerEEEEE10hipError_tT0_T1_T2_jT3_P12ihipStream_tbPNSt15iterator_traitsISK_E10value_typeEPNSQ_ISL_E10value_typeEPSM_NS1_7vsmem_tEENKUlT_SK_SL_SM_E_clIPbSD_PiSF_EESJ_SZ_SK_SL_SM_EUlSZ_E0_NS1_11comp_targetILNS1_3genE2ELNS1_11target_archE906ELNS1_3gpuE6ELNS1_3repE0EEENS1_38merge_mergepath_config_static_selectorELNS0_4arch9wavefront6targetE1EEEvSL_: ; @_ZN7rocprim17ROCPRIM_400000_NS6detail17trampoline_kernelINS0_14default_configENS1_38merge_sort_block_merge_config_selectorIbiEEZZNS1_27merge_sort_block_merge_implIS3_N6thrust23THRUST_200600_302600_NS6detail15normal_iteratorINS8_10device_ptrIbEEEENSA_INSB_IiEEEEjNS1_19radix_merge_compareILb1ELb0EbNS0_19identity_decomposerEEEEE10hipError_tT0_T1_T2_jT3_P12ihipStream_tbPNSt15iterator_traitsISK_E10value_typeEPNSQ_ISL_E10value_typeEPSM_NS1_7vsmem_tEENKUlT_SK_SL_SM_E_clIPbSD_PiSF_EESJ_SZ_SK_SL_SM_EUlSZ_E0_NS1_11comp_targetILNS1_3genE2ELNS1_11target_archE906ELNS1_3gpuE6ELNS1_3repE0EEENS1_38merge_mergepath_config_static_selectorELNS0_4arch9wavefront6targetE1EEEvSL_
; %bb.0:
	.section	.rodata,"a",@progbits
	.p2align	6, 0x0
	.amdhsa_kernel _ZN7rocprim17ROCPRIM_400000_NS6detail17trampoline_kernelINS0_14default_configENS1_38merge_sort_block_merge_config_selectorIbiEEZZNS1_27merge_sort_block_merge_implIS3_N6thrust23THRUST_200600_302600_NS6detail15normal_iteratorINS8_10device_ptrIbEEEENSA_INSB_IiEEEEjNS1_19radix_merge_compareILb1ELb0EbNS0_19identity_decomposerEEEEE10hipError_tT0_T1_T2_jT3_P12ihipStream_tbPNSt15iterator_traitsISK_E10value_typeEPNSQ_ISL_E10value_typeEPSM_NS1_7vsmem_tEENKUlT_SK_SL_SM_E_clIPbSD_PiSF_EESJ_SZ_SK_SL_SM_EUlSZ_E0_NS1_11comp_targetILNS1_3genE2ELNS1_11target_archE906ELNS1_3gpuE6ELNS1_3repE0EEENS1_38merge_mergepath_config_static_selectorELNS0_4arch9wavefront6targetE1EEEvSL_
		.amdhsa_group_segment_fixed_size 0
		.amdhsa_private_segment_fixed_size 0
		.amdhsa_kernarg_size 64
		.amdhsa_user_sgpr_count 2
		.amdhsa_user_sgpr_dispatch_ptr 0
		.amdhsa_user_sgpr_queue_ptr 0
		.amdhsa_user_sgpr_kernarg_segment_ptr 1
		.amdhsa_user_sgpr_dispatch_id 0
		.amdhsa_user_sgpr_kernarg_preload_length 0
		.amdhsa_user_sgpr_kernarg_preload_offset 0
		.amdhsa_user_sgpr_private_segment_size 0
		.amdhsa_uses_dynamic_stack 0
		.amdhsa_enable_private_segment 0
		.amdhsa_system_sgpr_workgroup_id_x 1
		.amdhsa_system_sgpr_workgroup_id_y 0
		.amdhsa_system_sgpr_workgroup_id_z 0
		.amdhsa_system_sgpr_workgroup_info 0
		.amdhsa_system_vgpr_workitem_id 0
		.amdhsa_next_free_vgpr 1
		.amdhsa_next_free_sgpr 0
		.amdhsa_accum_offset 4
		.amdhsa_reserve_vcc 0
		.amdhsa_float_round_mode_32 0
		.amdhsa_float_round_mode_16_64 0
		.amdhsa_float_denorm_mode_32 3
		.amdhsa_float_denorm_mode_16_64 3
		.amdhsa_dx10_clamp 1
		.amdhsa_ieee_mode 1
		.amdhsa_fp16_overflow 0
		.amdhsa_tg_split 0
		.amdhsa_exception_fp_ieee_invalid_op 0
		.amdhsa_exception_fp_denorm_src 0
		.amdhsa_exception_fp_ieee_div_zero 0
		.amdhsa_exception_fp_ieee_overflow 0
		.amdhsa_exception_fp_ieee_underflow 0
		.amdhsa_exception_fp_ieee_inexact 0
		.amdhsa_exception_int_div_zero 0
	.end_amdhsa_kernel
	.section	.text._ZN7rocprim17ROCPRIM_400000_NS6detail17trampoline_kernelINS0_14default_configENS1_38merge_sort_block_merge_config_selectorIbiEEZZNS1_27merge_sort_block_merge_implIS3_N6thrust23THRUST_200600_302600_NS6detail15normal_iteratorINS8_10device_ptrIbEEEENSA_INSB_IiEEEEjNS1_19radix_merge_compareILb1ELb0EbNS0_19identity_decomposerEEEEE10hipError_tT0_T1_T2_jT3_P12ihipStream_tbPNSt15iterator_traitsISK_E10value_typeEPNSQ_ISL_E10value_typeEPSM_NS1_7vsmem_tEENKUlT_SK_SL_SM_E_clIPbSD_PiSF_EESJ_SZ_SK_SL_SM_EUlSZ_E0_NS1_11comp_targetILNS1_3genE2ELNS1_11target_archE906ELNS1_3gpuE6ELNS1_3repE0EEENS1_38merge_mergepath_config_static_selectorELNS0_4arch9wavefront6targetE1EEEvSL_,"axG",@progbits,_ZN7rocprim17ROCPRIM_400000_NS6detail17trampoline_kernelINS0_14default_configENS1_38merge_sort_block_merge_config_selectorIbiEEZZNS1_27merge_sort_block_merge_implIS3_N6thrust23THRUST_200600_302600_NS6detail15normal_iteratorINS8_10device_ptrIbEEEENSA_INSB_IiEEEEjNS1_19radix_merge_compareILb1ELb0EbNS0_19identity_decomposerEEEEE10hipError_tT0_T1_T2_jT3_P12ihipStream_tbPNSt15iterator_traitsISK_E10value_typeEPNSQ_ISL_E10value_typeEPSM_NS1_7vsmem_tEENKUlT_SK_SL_SM_E_clIPbSD_PiSF_EESJ_SZ_SK_SL_SM_EUlSZ_E0_NS1_11comp_targetILNS1_3genE2ELNS1_11target_archE906ELNS1_3gpuE6ELNS1_3repE0EEENS1_38merge_mergepath_config_static_selectorELNS0_4arch9wavefront6targetE1EEEvSL_,comdat
.Lfunc_end2117:
	.size	_ZN7rocprim17ROCPRIM_400000_NS6detail17trampoline_kernelINS0_14default_configENS1_38merge_sort_block_merge_config_selectorIbiEEZZNS1_27merge_sort_block_merge_implIS3_N6thrust23THRUST_200600_302600_NS6detail15normal_iteratorINS8_10device_ptrIbEEEENSA_INSB_IiEEEEjNS1_19radix_merge_compareILb1ELb0EbNS0_19identity_decomposerEEEEE10hipError_tT0_T1_T2_jT3_P12ihipStream_tbPNSt15iterator_traitsISK_E10value_typeEPNSQ_ISL_E10value_typeEPSM_NS1_7vsmem_tEENKUlT_SK_SL_SM_E_clIPbSD_PiSF_EESJ_SZ_SK_SL_SM_EUlSZ_E0_NS1_11comp_targetILNS1_3genE2ELNS1_11target_archE906ELNS1_3gpuE6ELNS1_3repE0EEENS1_38merge_mergepath_config_static_selectorELNS0_4arch9wavefront6targetE1EEEvSL_, .Lfunc_end2117-_ZN7rocprim17ROCPRIM_400000_NS6detail17trampoline_kernelINS0_14default_configENS1_38merge_sort_block_merge_config_selectorIbiEEZZNS1_27merge_sort_block_merge_implIS3_N6thrust23THRUST_200600_302600_NS6detail15normal_iteratorINS8_10device_ptrIbEEEENSA_INSB_IiEEEEjNS1_19radix_merge_compareILb1ELb0EbNS0_19identity_decomposerEEEEE10hipError_tT0_T1_T2_jT3_P12ihipStream_tbPNSt15iterator_traitsISK_E10value_typeEPNSQ_ISL_E10value_typeEPSM_NS1_7vsmem_tEENKUlT_SK_SL_SM_E_clIPbSD_PiSF_EESJ_SZ_SK_SL_SM_EUlSZ_E0_NS1_11comp_targetILNS1_3genE2ELNS1_11target_archE906ELNS1_3gpuE6ELNS1_3repE0EEENS1_38merge_mergepath_config_static_selectorELNS0_4arch9wavefront6targetE1EEEvSL_
                                        ; -- End function
	.set _ZN7rocprim17ROCPRIM_400000_NS6detail17trampoline_kernelINS0_14default_configENS1_38merge_sort_block_merge_config_selectorIbiEEZZNS1_27merge_sort_block_merge_implIS3_N6thrust23THRUST_200600_302600_NS6detail15normal_iteratorINS8_10device_ptrIbEEEENSA_INSB_IiEEEEjNS1_19radix_merge_compareILb1ELb0EbNS0_19identity_decomposerEEEEE10hipError_tT0_T1_T2_jT3_P12ihipStream_tbPNSt15iterator_traitsISK_E10value_typeEPNSQ_ISL_E10value_typeEPSM_NS1_7vsmem_tEENKUlT_SK_SL_SM_E_clIPbSD_PiSF_EESJ_SZ_SK_SL_SM_EUlSZ_E0_NS1_11comp_targetILNS1_3genE2ELNS1_11target_archE906ELNS1_3gpuE6ELNS1_3repE0EEENS1_38merge_mergepath_config_static_selectorELNS0_4arch9wavefront6targetE1EEEvSL_.num_vgpr, 0
	.set _ZN7rocprim17ROCPRIM_400000_NS6detail17trampoline_kernelINS0_14default_configENS1_38merge_sort_block_merge_config_selectorIbiEEZZNS1_27merge_sort_block_merge_implIS3_N6thrust23THRUST_200600_302600_NS6detail15normal_iteratorINS8_10device_ptrIbEEEENSA_INSB_IiEEEEjNS1_19radix_merge_compareILb1ELb0EbNS0_19identity_decomposerEEEEE10hipError_tT0_T1_T2_jT3_P12ihipStream_tbPNSt15iterator_traitsISK_E10value_typeEPNSQ_ISL_E10value_typeEPSM_NS1_7vsmem_tEENKUlT_SK_SL_SM_E_clIPbSD_PiSF_EESJ_SZ_SK_SL_SM_EUlSZ_E0_NS1_11comp_targetILNS1_3genE2ELNS1_11target_archE906ELNS1_3gpuE6ELNS1_3repE0EEENS1_38merge_mergepath_config_static_selectorELNS0_4arch9wavefront6targetE1EEEvSL_.num_agpr, 0
	.set _ZN7rocprim17ROCPRIM_400000_NS6detail17trampoline_kernelINS0_14default_configENS1_38merge_sort_block_merge_config_selectorIbiEEZZNS1_27merge_sort_block_merge_implIS3_N6thrust23THRUST_200600_302600_NS6detail15normal_iteratorINS8_10device_ptrIbEEEENSA_INSB_IiEEEEjNS1_19radix_merge_compareILb1ELb0EbNS0_19identity_decomposerEEEEE10hipError_tT0_T1_T2_jT3_P12ihipStream_tbPNSt15iterator_traitsISK_E10value_typeEPNSQ_ISL_E10value_typeEPSM_NS1_7vsmem_tEENKUlT_SK_SL_SM_E_clIPbSD_PiSF_EESJ_SZ_SK_SL_SM_EUlSZ_E0_NS1_11comp_targetILNS1_3genE2ELNS1_11target_archE906ELNS1_3gpuE6ELNS1_3repE0EEENS1_38merge_mergepath_config_static_selectorELNS0_4arch9wavefront6targetE1EEEvSL_.numbered_sgpr, 0
	.set _ZN7rocprim17ROCPRIM_400000_NS6detail17trampoline_kernelINS0_14default_configENS1_38merge_sort_block_merge_config_selectorIbiEEZZNS1_27merge_sort_block_merge_implIS3_N6thrust23THRUST_200600_302600_NS6detail15normal_iteratorINS8_10device_ptrIbEEEENSA_INSB_IiEEEEjNS1_19radix_merge_compareILb1ELb0EbNS0_19identity_decomposerEEEEE10hipError_tT0_T1_T2_jT3_P12ihipStream_tbPNSt15iterator_traitsISK_E10value_typeEPNSQ_ISL_E10value_typeEPSM_NS1_7vsmem_tEENKUlT_SK_SL_SM_E_clIPbSD_PiSF_EESJ_SZ_SK_SL_SM_EUlSZ_E0_NS1_11comp_targetILNS1_3genE2ELNS1_11target_archE906ELNS1_3gpuE6ELNS1_3repE0EEENS1_38merge_mergepath_config_static_selectorELNS0_4arch9wavefront6targetE1EEEvSL_.num_named_barrier, 0
	.set _ZN7rocprim17ROCPRIM_400000_NS6detail17trampoline_kernelINS0_14default_configENS1_38merge_sort_block_merge_config_selectorIbiEEZZNS1_27merge_sort_block_merge_implIS3_N6thrust23THRUST_200600_302600_NS6detail15normal_iteratorINS8_10device_ptrIbEEEENSA_INSB_IiEEEEjNS1_19radix_merge_compareILb1ELb0EbNS0_19identity_decomposerEEEEE10hipError_tT0_T1_T2_jT3_P12ihipStream_tbPNSt15iterator_traitsISK_E10value_typeEPNSQ_ISL_E10value_typeEPSM_NS1_7vsmem_tEENKUlT_SK_SL_SM_E_clIPbSD_PiSF_EESJ_SZ_SK_SL_SM_EUlSZ_E0_NS1_11comp_targetILNS1_3genE2ELNS1_11target_archE906ELNS1_3gpuE6ELNS1_3repE0EEENS1_38merge_mergepath_config_static_selectorELNS0_4arch9wavefront6targetE1EEEvSL_.private_seg_size, 0
	.set _ZN7rocprim17ROCPRIM_400000_NS6detail17trampoline_kernelINS0_14default_configENS1_38merge_sort_block_merge_config_selectorIbiEEZZNS1_27merge_sort_block_merge_implIS3_N6thrust23THRUST_200600_302600_NS6detail15normal_iteratorINS8_10device_ptrIbEEEENSA_INSB_IiEEEEjNS1_19radix_merge_compareILb1ELb0EbNS0_19identity_decomposerEEEEE10hipError_tT0_T1_T2_jT3_P12ihipStream_tbPNSt15iterator_traitsISK_E10value_typeEPNSQ_ISL_E10value_typeEPSM_NS1_7vsmem_tEENKUlT_SK_SL_SM_E_clIPbSD_PiSF_EESJ_SZ_SK_SL_SM_EUlSZ_E0_NS1_11comp_targetILNS1_3genE2ELNS1_11target_archE906ELNS1_3gpuE6ELNS1_3repE0EEENS1_38merge_mergepath_config_static_selectorELNS0_4arch9wavefront6targetE1EEEvSL_.uses_vcc, 0
	.set _ZN7rocprim17ROCPRIM_400000_NS6detail17trampoline_kernelINS0_14default_configENS1_38merge_sort_block_merge_config_selectorIbiEEZZNS1_27merge_sort_block_merge_implIS3_N6thrust23THRUST_200600_302600_NS6detail15normal_iteratorINS8_10device_ptrIbEEEENSA_INSB_IiEEEEjNS1_19radix_merge_compareILb1ELb0EbNS0_19identity_decomposerEEEEE10hipError_tT0_T1_T2_jT3_P12ihipStream_tbPNSt15iterator_traitsISK_E10value_typeEPNSQ_ISL_E10value_typeEPSM_NS1_7vsmem_tEENKUlT_SK_SL_SM_E_clIPbSD_PiSF_EESJ_SZ_SK_SL_SM_EUlSZ_E0_NS1_11comp_targetILNS1_3genE2ELNS1_11target_archE906ELNS1_3gpuE6ELNS1_3repE0EEENS1_38merge_mergepath_config_static_selectorELNS0_4arch9wavefront6targetE1EEEvSL_.uses_flat_scratch, 0
	.set _ZN7rocprim17ROCPRIM_400000_NS6detail17trampoline_kernelINS0_14default_configENS1_38merge_sort_block_merge_config_selectorIbiEEZZNS1_27merge_sort_block_merge_implIS3_N6thrust23THRUST_200600_302600_NS6detail15normal_iteratorINS8_10device_ptrIbEEEENSA_INSB_IiEEEEjNS1_19radix_merge_compareILb1ELb0EbNS0_19identity_decomposerEEEEE10hipError_tT0_T1_T2_jT3_P12ihipStream_tbPNSt15iterator_traitsISK_E10value_typeEPNSQ_ISL_E10value_typeEPSM_NS1_7vsmem_tEENKUlT_SK_SL_SM_E_clIPbSD_PiSF_EESJ_SZ_SK_SL_SM_EUlSZ_E0_NS1_11comp_targetILNS1_3genE2ELNS1_11target_archE906ELNS1_3gpuE6ELNS1_3repE0EEENS1_38merge_mergepath_config_static_selectorELNS0_4arch9wavefront6targetE1EEEvSL_.has_dyn_sized_stack, 0
	.set _ZN7rocprim17ROCPRIM_400000_NS6detail17trampoline_kernelINS0_14default_configENS1_38merge_sort_block_merge_config_selectorIbiEEZZNS1_27merge_sort_block_merge_implIS3_N6thrust23THRUST_200600_302600_NS6detail15normal_iteratorINS8_10device_ptrIbEEEENSA_INSB_IiEEEEjNS1_19radix_merge_compareILb1ELb0EbNS0_19identity_decomposerEEEEE10hipError_tT0_T1_T2_jT3_P12ihipStream_tbPNSt15iterator_traitsISK_E10value_typeEPNSQ_ISL_E10value_typeEPSM_NS1_7vsmem_tEENKUlT_SK_SL_SM_E_clIPbSD_PiSF_EESJ_SZ_SK_SL_SM_EUlSZ_E0_NS1_11comp_targetILNS1_3genE2ELNS1_11target_archE906ELNS1_3gpuE6ELNS1_3repE0EEENS1_38merge_mergepath_config_static_selectorELNS0_4arch9wavefront6targetE1EEEvSL_.has_recursion, 0
	.set _ZN7rocprim17ROCPRIM_400000_NS6detail17trampoline_kernelINS0_14default_configENS1_38merge_sort_block_merge_config_selectorIbiEEZZNS1_27merge_sort_block_merge_implIS3_N6thrust23THRUST_200600_302600_NS6detail15normal_iteratorINS8_10device_ptrIbEEEENSA_INSB_IiEEEEjNS1_19radix_merge_compareILb1ELb0EbNS0_19identity_decomposerEEEEE10hipError_tT0_T1_T2_jT3_P12ihipStream_tbPNSt15iterator_traitsISK_E10value_typeEPNSQ_ISL_E10value_typeEPSM_NS1_7vsmem_tEENKUlT_SK_SL_SM_E_clIPbSD_PiSF_EESJ_SZ_SK_SL_SM_EUlSZ_E0_NS1_11comp_targetILNS1_3genE2ELNS1_11target_archE906ELNS1_3gpuE6ELNS1_3repE0EEENS1_38merge_mergepath_config_static_selectorELNS0_4arch9wavefront6targetE1EEEvSL_.has_indirect_call, 0
	.section	.AMDGPU.csdata,"",@progbits
; Kernel info:
; codeLenInByte = 0
; TotalNumSgprs: 6
; NumVgprs: 0
; NumAgprs: 0
; TotalNumVgprs: 0
; ScratchSize: 0
; MemoryBound: 0
; FloatMode: 240
; IeeeMode: 1
; LDSByteSize: 0 bytes/workgroup (compile time only)
; SGPRBlocks: 0
; VGPRBlocks: 0
; NumSGPRsForWavesPerEU: 6
; NumVGPRsForWavesPerEU: 1
; AccumOffset: 4
; Occupancy: 8
; WaveLimiterHint : 0
; COMPUTE_PGM_RSRC2:SCRATCH_EN: 0
; COMPUTE_PGM_RSRC2:USER_SGPR: 2
; COMPUTE_PGM_RSRC2:TRAP_HANDLER: 0
; COMPUTE_PGM_RSRC2:TGID_X_EN: 1
; COMPUTE_PGM_RSRC2:TGID_Y_EN: 0
; COMPUTE_PGM_RSRC2:TGID_Z_EN: 0
; COMPUTE_PGM_RSRC2:TIDIG_COMP_CNT: 0
; COMPUTE_PGM_RSRC3_GFX90A:ACCUM_OFFSET: 0
; COMPUTE_PGM_RSRC3_GFX90A:TG_SPLIT: 0
	.section	.text._ZN7rocprim17ROCPRIM_400000_NS6detail17trampoline_kernelINS0_14default_configENS1_38merge_sort_block_merge_config_selectorIbiEEZZNS1_27merge_sort_block_merge_implIS3_N6thrust23THRUST_200600_302600_NS6detail15normal_iteratorINS8_10device_ptrIbEEEENSA_INSB_IiEEEEjNS1_19radix_merge_compareILb1ELb0EbNS0_19identity_decomposerEEEEE10hipError_tT0_T1_T2_jT3_P12ihipStream_tbPNSt15iterator_traitsISK_E10value_typeEPNSQ_ISL_E10value_typeEPSM_NS1_7vsmem_tEENKUlT_SK_SL_SM_E_clIPbSD_PiSF_EESJ_SZ_SK_SL_SM_EUlSZ_E0_NS1_11comp_targetILNS1_3genE9ELNS1_11target_archE1100ELNS1_3gpuE3ELNS1_3repE0EEENS1_38merge_mergepath_config_static_selectorELNS0_4arch9wavefront6targetE1EEEvSL_,"axG",@progbits,_ZN7rocprim17ROCPRIM_400000_NS6detail17trampoline_kernelINS0_14default_configENS1_38merge_sort_block_merge_config_selectorIbiEEZZNS1_27merge_sort_block_merge_implIS3_N6thrust23THRUST_200600_302600_NS6detail15normal_iteratorINS8_10device_ptrIbEEEENSA_INSB_IiEEEEjNS1_19radix_merge_compareILb1ELb0EbNS0_19identity_decomposerEEEEE10hipError_tT0_T1_T2_jT3_P12ihipStream_tbPNSt15iterator_traitsISK_E10value_typeEPNSQ_ISL_E10value_typeEPSM_NS1_7vsmem_tEENKUlT_SK_SL_SM_E_clIPbSD_PiSF_EESJ_SZ_SK_SL_SM_EUlSZ_E0_NS1_11comp_targetILNS1_3genE9ELNS1_11target_archE1100ELNS1_3gpuE3ELNS1_3repE0EEENS1_38merge_mergepath_config_static_selectorELNS0_4arch9wavefront6targetE1EEEvSL_,comdat
	.protected	_ZN7rocprim17ROCPRIM_400000_NS6detail17trampoline_kernelINS0_14default_configENS1_38merge_sort_block_merge_config_selectorIbiEEZZNS1_27merge_sort_block_merge_implIS3_N6thrust23THRUST_200600_302600_NS6detail15normal_iteratorINS8_10device_ptrIbEEEENSA_INSB_IiEEEEjNS1_19radix_merge_compareILb1ELb0EbNS0_19identity_decomposerEEEEE10hipError_tT0_T1_T2_jT3_P12ihipStream_tbPNSt15iterator_traitsISK_E10value_typeEPNSQ_ISL_E10value_typeEPSM_NS1_7vsmem_tEENKUlT_SK_SL_SM_E_clIPbSD_PiSF_EESJ_SZ_SK_SL_SM_EUlSZ_E0_NS1_11comp_targetILNS1_3genE9ELNS1_11target_archE1100ELNS1_3gpuE3ELNS1_3repE0EEENS1_38merge_mergepath_config_static_selectorELNS0_4arch9wavefront6targetE1EEEvSL_ ; -- Begin function _ZN7rocprim17ROCPRIM_400000_NS6detail17trampoline_kernelINS0_14default_configENS1_38merge_sort_block_merge_config_selectorIbiEEZZNS1_27merge_sort_block_merge_implIS3_N6thrust23THRUST_200600_302600_NS6detail15normal_iteratorINS8_10device_ptrIbEEEENSA_INSB_IiEEEEjNS1_19radix_merge_compareILb1ELb0EbNS0_19identity_decomposerEEEEE10hipError_tT0_T1_T2_jT3_P12ihipStream_tbPNSt15iterator_traitsISK_E10value_typeEPNSQ_ISL_E10value_typeEPSM_NS1_7vsmem_tEENKUlT_SK_SL_SM_E_clIPbSD_PiSF_EESJ_SZ_SK_SL_SM_EUlSZ_E0_NS1_11comp_targetILNS1_3genE9ELNS1_11target_archE1100ELNS1_3gpuE3ELNS1_3repE0EEENS1_38merge_mergepath_config_static_selectorELNS0_4arch9wavefront6targetE1EEEvSL_
	.globl	_ZN7rocprim17ROCPRIM_400000_NS6detail17trampoline_kernelINS0_14default_configENS1_38merge_sort_block_merge_config_selectorIbiEEZZNS1_27merge_sort_block_merge_implIS3_N6thrust23THRUST_200600_302600_NS6detail15normal_iteratorINS8_10device_ptrIbEEEENSA_INSB_IiEEEEjNS1_19radix_merge_compareILb1ELb0EbNS0_19identity_decomposerEEEEE10hipError_tT0_T1_T2_jT3_P12ihipStream_tbPNSt15iterator_traitsISK_E10value_typeEPNSQ_ISL_E10value_typeEPSM_NS1_7vsmem_tEENKUlT_SK_SL_SM_E_clIPbSD_PiSF_EESJ_SZ_SK_SL_SM_EUlSZ_E0_NS1_11comp_targetILNS1_3genE9ELNS1_11target_archE1100ELNS1_3gpuE3ELNS1_3repE0EEENS1_38merge_mergepath_config_static_selectorELNS0_4arch9wavefront6targetE1EEEvSL_
	.p2align	8
	.type	_ZN7rocprim17ROCPRIM_400000_NS6detail17trampoline_kernelINS0_14default_configENS1_38merge_sort_block_merge_config_selectorIbiEEZZNS1_27merge_sort_block_merge_implIS3_N6thrust23THRUST_200600_302600_NS6detail15normal_iteratorINS8_10device_ptrIbEEEENSA_INSB_IiEEEEjNS1_19radix_merge_compareILb1ELb0EbNS0_19identity_decomposerEEEEE10hipError_tT0_T1_T2_jT3_P12ihipStream_tbPNSt15iterator_traitsISK_E10value_typeEPNSQ_ISL_E10value_typeEPSM_NS1_7vsmem_tEENKUlT_SK_SL_SM_E_clIPbSD_PiSF_EESJ_SZ_SK_SL_SM_EUlSZ_E0_NS1_11comp_targetILNS1_3genE9ELNS1_11target_archE1100ELNS1_3gpuE3ELNS1_3repE0EEENS1_38merge_mergepath_config_static_selectorELNS0_4arch9wavefront6targetE1EEEvSL_,@function
_ZN7rocprim17ROCPRIM_400000_NS6detail17trampoline_kernelINS0_14default_configENS1_38merge_sort_block_merge_config_selectorIbiEEZZNS1_27merge_sort_block_merge_implIS3_N6thrust23THRUST_200600_302600_NS6detail15normal_iteratorINS8_10device_ptrIbEEEENSA_INSB_IiEEEEjNS1_19radix_merge_compareILb1ELb0EbNS0_19identity_decomposerEEEEE10hipError_tT0_T1_T2_jT3_P12ihipStream_tbPNSt15iterator_traitsISK_E10value_typeEPNSQ_ISL_E10value_typeEPSM_NS1_7vsmem_tEENKUlT_SK_SL_SM_E_clIPbSD_PiSF_EESJ_SZ_SK_SL_SM_EUlSZ_E0_NS1_11comp_targetILNS1_3genE9ELNS1_11target_archE1100ELNS1_3gpuE3ELNS1_3repE0EEENS1_38merge_mergepath_config_static_selectorELNS0_4arch9wavefront6targetE1EEEvSL_: ; @_ZN7rocprim17ROCPRIM_400000_NS6detail17trampoline_kernelINS0_14default_configENS1_38merge_sort_block_merge_config_selectorIbiEEZZNS1_27merge_sort_block_merge_implIS3_N6thrust23THRUST_200600_302600_NS6detail15normal_iteratorINS8_10device_ptrIbEEEENSA_INSB_IiEEEEjNS1_19radix_merge_compareILb1ELb0EbNS0_19identity_decomposerEEEEE10hipError_tT0_T1_T2_jT3_P12ihipStream_tbPNSt15iterator_traitsISK_E10value_typeEPNSQ_ISL_E10value_typeEPSM_NS1_7vsmem_tEENKUlT_SK_SL_SM_E_clIPbSD_PiSF_EESJ_SZ_SK_SL_SM_EUlSZ_E0_NS1_11comp_targetILNS1_3genE9ELNS1_11target_archE1100ELNS1_3gpuE3ELNS1_3repE0EEENS1_38merge_mergepath_config_static_selectorELNS0_4arch9wavefront6targetE1EEEvSL_
; %bb.0:
	.section	.rodata,"a",@progbits
	.p2align	6, 0x0
	.amdhsa_kernel _ZN7rocprim17ROCPRIM_400000_NS6detail17trampoline_kernelINS0_14default_configENS1_38merge_sort_block_merge_config_selectorIbiEEZZNS1_27merge_sort_block_merge_implIS3_N6thrust23THRUST_200600_302600_NS6detail15normal_iteratorINS8_10device_ptrIbEEEENSA_INSB_IiEEEEjNS1_19radix_merge_compareILb1ELb0EbNS0_19identity_decomposerEEEEE10hipError_tT0_T1_T2_jT3_P12ihipStream_tbPNSt15iterator_traitsISK_E10value_typeEPNSQ_ISL_E10value_typeEPSM_NS1_7vsmem_tEENKUlT_SK_SL_SM_E_clIPbSD_PiSF_EESJ_SZ_SK_SL_SM_EUlSZ_E0_NS1_11comp_targetILNS1_3genE9ELNS1_11target_archE1100ELNS1_3gpuE3ELNS1_3repE0EEENS1_38merge_mergepath_config_static_selectorELNS0_4arch9wavefront6targetE1EEEvSL_
		.amdhsa_group_segment_fixed_size 0
		.amdhsa_private_segment_fixed_size 0
		.amdhsa_kernarg_size 64
		.amdhsa_user_sgpr_count 2
		.amdhsa_user_sgpr_dispatch_ptr 0
		.amdhsa_user_sgpr_queue_ptr 0
		.amdhsa_user_sgpr_kernarg_segment_ptr 1
		.amdhsa_user_sgpr_dispatch_id 0
		.amdhsa_user_sgpr_kernarg_preload_length 0
		.amdhsa_user_sgpr_kernarg_preload_offset 0
		.amdhsa_user_sgpr_private_segment_size 0
		.amdhsa_uses_dynamic_stack 0
		.amdhsa_enable_private_segment 0
		.amdhsa_system_sgpr_workgroup_id_x 1
		.amdhsa_system_sgpr_workgroup_id_y 0
		.amdhsa_system_sgpr_workgroup_id_z 0
		.amdhsa_system_sgpr_workgroup_info 0
		.amdhsa_system_vgpr_workitem_id 0
		.amdhsa_next_free_vgpr 1
		.amdhsa_next_free_sgpr 0
		.amdhsa_accum_offset 4
		.amdhsa_reserve_vcc 0
		.amdhsa_float_round_mode_32 0
		.amdhsa_float_round_mode_16_64 0
		.amdhsa_float_denorm_mode_32 3
		.amdhsa_float_denorm_mode_16_64 3
		.amdhsa_dx10_clamp 1
		.amdhsa_ieee_mode 1
		.amdhsa_fp16_overflow 0
		.amdhsa_tg_split 0
		.amdhsa_exception_fp_ieee_invalid_op 0
		.amdhsa_exception_fp_denorm_src 0
		.amdhsa_exception_fp_ieee_div_zero 0
		.amdhsa_exception_fp_ieee_overflow 0
		.amdhsa_exception_fp_ieee_underflow 0
		.amdhsa_exception_fp_ieee_inexact 0
		.amdhsa_exception_int_div_zero 0
	.end_amdhsa_kernel
	.section	.text._ZN7rocprim17ROCPRIM_400000_NS6detail17trampoline_kernelINS0_14default_configENS1_38merge_sort_block_merge_config_selectorIbiEEZZNS1_27merge_sort_block_merge_implIS3_N6thrust23THRUST_200600_302600_NS6detail15normal_iteratorINS8_10device_ptrIbEEEENSA_INSB_IiEEEEjNS1_19radix_merge_compareILb1ELb0EbNS0_19identity_decomposerEEEEE10hipError_tT0_T1_T2_jT3_P12ihipStream_tbPNSt15iterator_traitsISK_E10value_typeEPNSQ_ISL_E10value_typeEPSM_NS1_7vsmem_tEENKUlT_SK_SL_SM_E_clIPbSD_PiSF_EESJ_SZ_SK_SL_SM_EUlSZ_E0_NS1_11comp_targetILNS1_3genE9ELNS1_11target_archE1100ELNS1_3gpuE3ELNS1_3repE0EEENS1_38merge_mergepath_config_static_selectorELNS0_4arch9wavefront6targetE1EEEvSL_,"axG",@progbits,_ZN7rocprim17ROCPRIM_400000_NS6detail17trampoline_kernelINS0_14default_configENS1_38merge_sort_block_merge_config_selectorIbiEEZZNS1_27merge_sort_block_merge_implIS3_N6thrust23THRUST_200600_302600_NS6detail15normal_iteratorINS8_10device_ptrIbEEEENSA_INSB_IiEEEEjNS1_19radix_merge_compareILb1ELb0EbNS0_19identity_decomposerEEEEE10hipError_tT0_T1_T2_jT3_P12ihipStream_tbPNSt15iterator_traitsISK_E10value_typeEPNSQ_ISL_E10value_typeEPSM_NS1_7vsmem_tEENKUlT_SK_SL_SM_E_clIPbSD_PiSF_EESJ_SZ_SK_SL_SM_EUlSZ_E0_NS1_11comp_targetILNS1_3genE9ELNS1_11target_archE1100ELNS1_3gpuE3ELNS1_3repE0EEENS1_38merge_mergepath_config_static_selectorELNS0_4arch9wavefront6targetE1EEEvSL_,comdat
.Lfunc_end2118:
	.size	_ZN7rocprim17ROCPRIM_400000_NS6detail17trampoline_kernelINS0_14default_configENS1_38merge_sort_block_merge_config_selectorIbiEEZZNS1_27merge_sort_block_merge_implIS3_N6thrust23THRUST_200600_302600_NS6detail15normal_iteratorINS8_10device_ptrIbEEEENSA_INSB_IiEEEEjNS1_19radix_merge_compareILb1ELb0EbNS0_19identity_decomposerEEEEE10hipError_tT0_T1_T2_jT3_P12ihipStream_tbPNSt15iterator_traitsISK_E10value_typeEPNSQ_ISL_E10value_typeEPSM_NS1_7vsmem_tEENKUlT_SK_SL_SM_E_clIPbSD_PiSF_EESJ_SZ_SK_SL_SM_EUlSZ_E0_NS1_11comp_targetILNS1_3genE9ELNS1_11target_archE1100ELNS1_3gpuE3ELNS1_3repE0EEENS1_38merge_mergepath_config_static_selectorELNS0_4arch9wavefront6targetE1EEEvSL_, .Lfunc_end2118-_ZN7rocprim17ROCPRIM_400000_NS6detail17trampoline_kernelINS0_14default_configENS1_38merge_sort_block_merge_config_selectorIbiEEZZNS1_27merge_sort_block_merge_implIS3_N6thrust23THRUST_200600_302600_NS6detail15normal_iteratorINS8_10device_ptrIbEEEENSA_INSB_IiEEEEjNS1_19radix_merge_compareILb1ELb0EbNS0_19identity_decomposerEEEEE10hipError_tT0_T1_T2_jT3_P12ihipStream_tbPNSt15iterator_traitsISK_E10value_typeEPNSQ_ISL_E10value_typeEPSM_NS1_7vsmem_tEENKUlT_SK_SL_SM_E_clIPbSD_PiSF_EESJ_SZ_SK_SL_SM_EUlSZ_E0_NS1_11comp_targetILNS1_3genE9ELNS1_11target_archE1100ELNS1_3gpuE3ELNS1_3repE0EEENS1_38merge_mergepath_config_static_selectorELNS0_4arch9wavefront6targetE1EEEvSL_
                                        ; -- End function
	.set _ZN7rocprim17ROCPRIM_400000_NS6detail17trampoline_kernelINS0_14default_configENS1_38merge_sort_block_merge_config_selectorIbiEEZZNS1_27merge_sort_block_merge_implIS3_N6thrust23THRUST_200600_302600_NS6detail15normal_iteratorINS8_10device_ptrIbEEEENSA_INSB_IiEEEEjNS1_19radix_merge_compareILb1ELb0EbNS0_19identity_decomposerEEEEE10hipError_tT0_T1_T2_jT3_P12ihipStream_tbPNSt15iterator_traitsISK_E10value_typeEPNSQ_ISL_E10value_typeEPSM_NS1_7vsmem_tEENKUlT_SK_SL_SM_E_clIPbSD_PiSF_EESJ_SZ_SK_SL_SM_EUlSZ_E0_NS1_11comp_targetILNS1_3genE9ELNS1_11target_archE1100ELNS1_3gpuE3ELNS1_3repE0EEENS1_38merge_mergepath_config_static_selectorELNS0_4arch9wavefront6targetE1EEEvSL_.num_vgpr, 0
	.set _ZN7rocprim17ROCPRIM_400000_NS6detail17trampoline_kernelINS0_14default_configENS1_38merge_sort_block_merge_config_selectorIbiEEZZNS1_27merge_sort_block_merge_implIS3_N6thrust23THRUST_200600_302600_NS6detail15normal_iteratorINS8_10device_ptrIbEEEENSA_INSB_IiEEEEjNS1_19radix_merge_compareILb1ELb0EbNS0_19identity_decomposerEEEEE10hipError_tT0_T1_T2_jT3_P12ihipStream_tbPNSt15iterator_traitsISK_E10value_typeEPNSQ_ISL_E10value_typeEPSM_NS1_7vsmem_tEENKUlT_SK_SL_SM_E_clIPbSD_PiSF_EESJ_SZ_SK_SL_SM_EUlSZ_E0_NS1_11comp_targetILNS1_3genE9ELNS1_11target_archE1100ELNS1_3gpuE3ELNS1_3repE0EEENS1_38merge_mergepath_config_static_selectorELNS0_4arch9wavefront6targetE1EEEvSL_.num_agpr, 0
	.set _ZN7rocprim17ROCPRIM_400000_NS6detail17trampoline_kernelINS0_14default_configENS1_38merge_sort_block_merge_config_selectorIbiEEZZNS1_27merge_sort_block_merge_implIS3_N6thrust23THRUST_200600_302600_NS6detail15normal_iteratorINS8_10device_ptrIbEEEENSA_INSB_IiEEEEjNS1_19radix_merge_compareILb1ELb0EbNS0_19identity_decomposerEEEEE10hipError_tT0_T1_T2_jT3_P12ihipStream_tbPNSt15iterator_traitsISK_E10value_typeEPNSQ_ISL_E10value_typeEPSM_NS1_7vsmem_tEENKUlT_SK_SL_SM_E_clIPbSD_PiSF_EESJ_SZ_SK_SL_SM_EUlSZ_E0_NS1_11comp_targetILNS1_3genE9ELNS1_11target_archE1100ELNS1_3gpuE3ELNS1_3repE0EEENS1_38merge_mergepath_config_static_selectorELNS0_4arch9wavefront6targetE1EEEvSL_.numbered_sgpr, 0
	.set _ZN7rocprim17ROCPRIM_400000_NS6detail17trampoline_kernelINS0_14default_configENS1_38merge_sort_block_merge_config_selectorIbiEEZZNS1_27merge_sort_block_merge_implIS3_N6thrust23THRUST_200600_302600_NS6detail15normal_iteratorINS8_10device_ptrIbEEEENSA_INSB_IiEEEEjNS1_19radix_merge_compareILb1ELb0EbNS0_19identity_decomposerEEEEE10hipError_tT0_T1_T2_jT3_P12ihipStream_tbPNSt15iterator_traitsISK_E10value_typeEPNSQ_ISL_E10value_typeEPSM_NS1_7vsmem_tEENKUlT_SK_SL_SM_E_clIPbSD_PiSF_EESJ_SZ_SK_SL_SM_EUlSZ_E0_NS1_11comp_targetILNS1_3genE9ELNS1_11target_archE1100ELNS1_3gpuE3ELNS1_3repE0EEENS1_38merge_mergepath_config_static_selectorELNS0_4arch9wavefront6targetE1EEEvSL_.num_named_barrier, 0
	.set _ZN7rocprim17ROCPRIM_400000_NS6detail17trampoline_kernelINS0_14default_configENS1_38merge_sort_block_merge_config_selectorIbiEEZZNS1_27merge_sort_block_merge_implIS3_N6thrust23THRUST_200600_302600_NS6detail15normal_iteratorINS8_10device_ptrIbEEEENSA_INSB_IiEEEEjNS1_19radix_merge_compareILb1ELb0EbNS0_19identity_decomposerEEEEE10hipError_tT0_T1_T2_jT3_P12ihipStream_tbPNSt15iterator_traitsISK_E10value_typeEPNSQ_ISL_E10value_typeEPSM_NS1_7vsmem_tEENKUlT_SK_SL_SM_E_clIPbSD_PiSF_EESJ_SZ_SK_SL_SM_EUlSZ_E0_NS1_11comp_targetILNS1_3genE9ELNS1_11target_archE1100ELNS1_3gpuE3ELNS1_3repE0EEENS1_38merge_mergepath_config_static_selectorELNS0_4arch9wavefront6targetE1EEEvSL_.private_seg_size, 0
	.set _ZN7rocprim17ROCPRIM_400000_NS6detail17trampoline_kernelINS0_14default_configENS1_38merge_sort_block_merge_config_selectorIbiEEZZNS1_27merge_sort_block_merge_implIS3_N6thrust23THRUST_200600_302600_NS6detail15normal_iteratorINS8_10device_ptrIbEEEENSA_INSB_IiEEEEjNS1_19radix_merge_compareILb1ELb0EbNS0_19identity_decomposerEEEEE10hipError_tT0_T1_T2_jT3_P12ihipStream_tbPNSt15iterator_traitsISK_E10value_typeEPNSQ_ISL_E10value_typeEPSM_NS1_7vsmem_tEENKUlT_SK_SL_SM_E_clIPbSD_PiSF_EESJ_SZ_SK_SL_SM_EUlSZ_E0_NS1_11comp_targetILNS1_3genE9ELNS1_11target_archE1100ELNS1_3gpuE3ELNS1_3repE0EEENS1_38merge_mergepath_config_static_selectorELNS0_4arch9wavefront6targetE1EEEvSL_.uses_vcc, 0
	.set _ZN7rocprim17ROCPRIM_400000_NS6detail17trampoline_kernelINS0_14default_configENS1_38merge_sort_block_merge_config_selectorIbiEEZZNS1_27merge_sort_block_merge_implIS3_N6thrust23THRUST_200600_302600_NS6detail15normal_iteratorINS8_10device_ptrIbEEEENSA_INSB_IiEEEEjNS1_19radix_merge_compareILb1ELb0EbNS0_19identity_decomposerEEEEE10hipError_tT0_T1_T2_jT3_P12ihipStream_tbPNSt15iterator_traitsISK_E10value_typeEPNSQ_ISL_E10value_typeEPSM_NS1_7vsmem_tEENKUlT_SK_SL_SM_E_clIPbSD_PiSF_EESJ_SZ_SK_SL_SM_EUlSZ_E0_NS1_11comp_targetILNS1_3genE9ELNS1_11target_archE1100ELNS1_3gpuE3ELNS1_3repE0EEENS1_38merge_mergepath_config_static_selectorELNS0_4arch9wavefront6targetE1EEEvSL_.uses_flat_scratch, 0
	.set _ZN7rocprim17ROCPRIM_400000_NS6detail17trampoline_kernelINS0_14default_configENS1_38merge_sort_block_merge_config_selectorIbiEEZZNS1_27merge_sort_block_merge_implIS3_N6thrust23THRUST_200600_302600_NS6detail15normal_iteratorINS8_10device_ptrIbEEEENSA_INSB_IiEEEEjNS1_19radix_merge_compareILb1ELb0EbNS0_19identity_decomposerEEEEE10hipError_tT0_T1_T2_jT3_P12ihipStream_tbPNSt15iterator_traitsISK_E10value_typeEPNSQ_ISL_E10value_typeEPSM_NS1_7vsmem_tEENKUlT_SK_SL_SM_E_clIPbSD_PiSF_EESJ_SZ_SK_SL_SM_EUlSZ_E0_NS1_11comp_targetILNS1_3genE9ELNS1_11target_archE1100ELNS1_3gpuE3ELNS1_3repE0EEENS1_38merge_mergepath_config_static_selectorELNS0_4arch9wavefront6targetE1EEEvSL_.has_dyn_sized_stack, 0
	.set _ZN7rocprim17ROCPRIM_400000_NS6detail17trampoline_kernelINS0_14default_configENS1_38merge_sort_block_merge_config_selectorIbiEEZZNS1_27merge_sort_block_merge_implIS3_N6thrust23THRUST_200600_302600_NS6detail15normal_iteratorINS8_10device_ptrIbEEEENSA_INSB_IiEEEEjNS1_19radix_merge_compareILb1ELb0EbNS0_19identity_decomposerEEEEE10hipError_tT0_T1_T2_jT3_P12ihipStream_tbPNSt15iterator_traitsISK_E10value_typeEPNSQ_ISL_E10value_typeEPSM_NS1_7vsmem_tEENKUlT_SK_SL_SM_E_clIPbSD_PiSF_EESJ_SZ_SK_SL_SM_EUlSZ_E0_NS1_11comp_targetILNS1_3genE9ELNS1_11target_archE1100ELNS1_3gpuE3ELNS1_3repE0EEENS1_38merge_mergepath_config_static_selectorELNS0_4arch9wavefront6targetE1EEEvSL_.has_recursion, 0
	.set _ZN7rocprim17ROCPRIM_400000_NS6detail17trampoline_kernelINS0_14default_configENS1_38merge_sort_block_merge_config_selectorIbiEEZZNS1_27merge_sort_block_merge_implIS3_N6thrust23THRUST_200600_302600_NS6detail15normal_iteratorINS8_10device_ptrIbEEEENSA_INSB_IiEEEEjNS1_19radix_merge_compareILb1ELb0EbNS0_19identity_decomposerEEEEE10hipError_tT0_T1_T2_jT3_P12ihipStream_tbPNSt15iterator_traitsISK_E10value_typeEPNSQ_ISL_E10value_typeEPSM_NS1_7vsmem_tEENKUlT_SK_SL_SM_E_clIPbSD_PiSF_EESJ_SZ_SK_SL_SM_EUlSZ_E0_NS1_11comp_targetILNS1_3genE9ELNS1_11target_archE1100ELNS1_3gpuE3ELNS1_3repE0EEENS1_38merge_mergepath_config_static_selectorELNS0_4arch9wavefront6targetE1EEEvSL_.has_indirect_call, 0
	.section	.AMDGPU.csdata,"",@progbits
; Kernel info:
; codeLenInByte = 0
; TotalNumSgprs: 6
; NumVgprs: 0
; NumAgprs: 0
; TotalNumVgprs: 0
; ScratchSize: 0
; MemoryBound: 0
; FloatMode: 240
; IeeeMode: 1
; LDSByteSize: 0 bytes/workgroup (compile time only)
; SGPRBlocks: 0
; VGPRBlocks: 0
; NumSGPRsForWavesPerEU: 6
; NumVGPRsForWavesPerEU: 1
; AccumOffset: 4
; Occupancy: 8
; WaveLimiterHint : 0
; COMPUTE_PGM_RSRC2:SCRATCH_EN: 0
; COMPUTE_PGM_RSRC2:USER_SGPR: 2
; COMPUTE_PGM_RSRC2:TRAP_HANDLER: 0
; COMPUTE_PGM_RSRC2:TGID_X_EN: 1
; COMPUTE_PGM_RSRC2:TGID_Y_EN: 0
; COMPUTE_PGM_RSRC2:TGID_Z_EN: 0
; COMPUTE_PGM_RSRC2:TIDIG_COMP_CNT: 0
; COMPUTE_PGM_RSRC3_GFX90A:ACCUM_OFFSET: 0
; COMPUTE_PGM_RSRC3_GFX90A:TG_SPLIT: 0
	.section	.text._ZN7rocprim17ROCPRIM_400000_NS6detail17trampoline_kernelINS0_14default_configENS1_38merge_sort_block_merge_config_selectorIbiEEZZNS1_27merge_sort_block_merge_implIS3_N6thrust23THRUST_200600_302600_NS6detail15normal_iteratorINS8_10device_ptrIbEEEENSA_INSB_IiEEEEjNS1_19radix_merge_compareILb1ELb0EbNS0_19identity_decomposerEEEEE10hipError_tT0_T1_T2_jT3_P12ihipStream_tbPNSt15iterator_traitsISK_E10value_typeEPNSQ_ISL_E10value_typeEPSM_NS1_7vsmem_tEENKUlT_SK_SL_SM_E_clIPbSD_PiSF_EESJ_SZ_SK_SL_SM_EUlSZ_E0_NS1_11comp_targetILNS1_3genE8ELNS1_11target_archE1030ELNS1_3gpuE2ELNS1_3repE0EEENS1_38merge_mergepath_config_static_selectorELNS0_4arch9wavefront6targetE1EEEvSL_,"axG",@progbits,_ZN7rocprim17ROCPRIM_400000_NS6detail17trampoline_kernelINS0_14default_configENS1_38merge_sort_block_merge_config_selectorIbiEEZZNS1_27merge_sort_block_merge_implIS3_N6thrust23THRUST_200600_302600_NS6detail15normal_iteratorINS8_10device_ptrIbEEEENSA_INSB_IiEEEEjNS1_19radix_merge_compareILb1ELb0EbNS0_19identity_decomposerEEEEE10hipError_tT0_T1_T2_jT3_P12ihipStream_tbPNSt15iterator_traitsISK_E10value_typeEPNSQ_ISL_E10value_typeEPSM_NS1_7vsmem_tEENKUlT_SK_SL_SM_E_clIPbSD_PiSF_EESJ_SZ_SK_SL_SM_EUlSZ_E0_NS1_11comp_targetILNS1_3genE8ELNS1_11target_archE1030ELNS1_3gpuE2ELNS1_3repE0EEENS1_38merge_mergepath_config_static_selectorELNS0_4arch9wavefront6targetE1EEEvSL_,comdat
	.protected	_ZN7rocprim17ROCPRIM_400000_NS6detail17trampoline_kernelINS0_14default_configENS1_38merge_sort_block_merge_config_selectorIbiEEZZNS1_27merge_sort_block_merge_implIS3_N6thrust23THRUST_200600_302600_NS6detail15normal_iteratorINS8_10device_ptrIbEEEENSA_INSB_IiEEEEjNS1_19radix_merge_compareILb1ELb0EbNS0_19identity_decomposerEEEEE10hipError_tT0_T1_T2_jT3_P12ihipStream_tbPNSt15iterator_traitsISK_E10value_typeEPNSQ_ISL_E10value_typeEPSM_NS1_7vsmem_tEENKUlT_SK_SL_SM_E_clIPbSD_PiSF_EESJ_SZ_SK_SL_SM_EUlSZ_E0_NS1_11comp_targetILNS1_3genE8ELNS1_11target_archE1030ELNS1_3gpuE2ELNS1_3repE0EEENS1_38merge_mergepath_config_static_selectorELNS0_4arch9wavefront6targetE1EEEvSL_ ; -- Begin function _ZN7rocprim17ROCPRIM_400000_NS6detail17trampoline_kernelINS0_14default_configENS1_38merge_sort_block_merge_config_selectorIbiEEZZNS1_27merge_sort_block_merge_implIS3_N6thrust23THRUST_200600_302600_NS6detail15normal_iteratorINS8_10device_ptrIbEEEENSA_INSB_IiEEEEjNS1_19radix_merge_compareILb1ELb0EbNS0_19identity_decomposerEEEEE10hipError_tT0_T1_T2_jT3_P12ihipStream_tbPNSt15iterator_traitsISK_E10value_typeEPNSQ_ISL_E10value_typeEPSM_NS1_7vsmem_tEENKUlT_SK_SL_SM_E_clIPbSD_PiSF_EESJ_SZ_SK_SL_SM_EUlSZ_E0_NS1_11comp_targetILNS1_3genE8ELNS1_11target_archE1030ELNS1_3gpuE2ELNS1_3repE0EEENS1_38merge_mergepath_config_static_selectorELNS0_4arch9wavefront6targetE1EEEvSL_
	.globl	_ZN7rocprim17ROCPRIM_400000_NS6detail17trampoline_kernelINS0_14default_configENS1_38merge_sort_block_merge_config_selectorIbiEEZZNS1_27merge_sort_block_merge_implIS3_N6thrust23THRUST_200600_302600_NS6detail15normal_iteratorINS8_10device_ptrIbEEEENSA_INSB_IiEEEEjNS1_19radix_merge_compareILb1ELb0EbNS0_19identity_decomposerEEEEE10hipError_tT0_T1_T2_jT3_P12ihipStream_tbPNSt15iterator_traitsISK_E10value_typeEPNSQ_ISL_E10value_typeEPSM_NS1_7vsmem_tEENKUlT_SK_SL_SM_E_clIPbSD_PiSF_EESJ_SZ_SK_SL_SM_EUlSZ_E0_NS1_11comp_targetILNS1_3genE8ELNS1_11target_archE1030ELNS1_3gpuE2ELNS1_3repE0EEENS1_38merge_mergepath_config_static_selectorELNS0_4arch9wavefront6targetE1EEEvSL_
	.p2align	8
	.type	_ZN7rocprim17ROCPRIM_400000_NS6detail17trampoline_kernelINS0_14default_configENS1_38merge_sort_block_merge_config_selectorIbiEEZZNS1_27merge_sort_block_merge_implIS3_N6thrust23THRUST_200600_302600_NS6detail15normal_iteratorINS8_10device_ptrIbEEEENSA_INSB_IiEEEEjNS1_19radix_merge_compareILb1ELb0EbNS0_19identity_decomposerEEEEE10hipError_tT0_T1_T2_jT3_P12ihipStream_tbPNSt15iterator_traitsISK_E10value_typeEPNSQ_ISL_E10value_typeEPSM_NS1_7vsmem_tEENKUlT_SK_SL_SM_E_clIPbSD_PiSF_EESJ_SZ_SK_SL_SM_EUlSZ_E0_NS1_11comp_targetILNS1_3genE8ELNS1_11target_archE1030ELNS1_3gpuE2ELNS1_3repE0EEENS1_38merge_mergepath_config_static_selectorELNS0_4arch9wavefront6targetE1EEEvSL_,@function
_ZN7rocprim17ROCPRIM_400000_NS6detail17trampoline_kernelINS0_14default_configENS1_38merge_sort_block_merge_config_selectorIbiEEZZNS1_27merge_sort_block_merge_implIS3_N6thrust23THRUST_200600_302600_NS6detail15normal_iteratorINS8_10device_ptrIbEEEENSA_INSB_IiEEEEjNS1_19radix_merge_compareILb1ELb0EbNS0_19identity_decomposerEEEEE10hipError_tT0_T1_T2_jT3_P12ihipStream_tbPNSt15iterator_traitsISK_E10value_typeEPNSQ_ISL_E10value_typeEPSM_NS1_7vsmem_tEENKUlT_SK_SL_SM_E_clIPbSD_PiSF_EESJ_SZ_SK_SL_SM_EUlSZ_E0_NS1_11comp_targetILNS1_3genE8ELNS1_11target_archE1030ELNS1_3gpuE2ELNS1_3repE0EEENS1_38merge_mergepath_config_static_selectorELNS0_4arch9wavefront6targetE1EEEvSL_: ; @_ZN7rocprim17ROCPRIM_400000_NS6detail17trampoline_kernelINS0_14default_configENS1_38merge_sort_block_merge_config_selectorIbiEEZZNS1_27merge_sort_block_merge_implIS3_N6thrust23THRUST_200600_302600_NS6detail15normal_iteratorINS8_10device_ptrIbEEEENSA_INSB_IiEEEEjNS1_19radix_merge_compareILb1ELb0EbNS0_19identity_decomposerEEEEE10hipError_tT0_T1_T2_jT3_P12ihipStream_tbPNSt15iterator_traitsISK_E10value_typeEPNSQ_ISL_E10value_typeEPSM_NS1_7vsmem_tEENKUlT_SK_SL_SM_E_clIPbSD_PiSF_EESJ_SZ_SK_SL_SM_EUlSZ_E0_NS1_11comp_targetILNS1_3genE8ELNS1_11target_archE1030ELNS1_3gpuE2ELNS1_3repE0EEENS1_38merge_mergepath_config_static_selectorELNS0_4arch9wavefront6targetE1EEEvSL_
; %bb.0:
	.section	.rodata,"a",@progbits
	.p2align	6, 0x0
	.amdhsa_kernel _ZN7rocprim17ROCPRIM_400000_NS6detail17trampoline_kernelINS0_14default_configENS1_38merge_sort_block_merge_config_selectorIbiEEZZNS1_27merge_sort_block_merge_implIS3_N6thrust23THRUST_200600_302600_NS6detail15normal_iteratorINS8_10device_ptrIbEEEENSA_INSB_IiEEEEjNS1_19radix_merge_compareILb1ELb0EbNS0_19identity_decomposerEEEEE10hipError_tT0_T1_T2_jT3_P12ihipStream_tbPNSt15iterator_traitsISK_E10value_typeEPNSQ_ISL_E10value_typeEPSM_NS1_7vsmem_tEENKUlT_SK_SL_SM_E_clIPbSD_PiSF_EESJ_SZ_SK_SL_SM_EUlSZ_E0_NS1_11comp_targetILNS1_3genE8ELNS1_11target_archE1030ELNS1_3gpuE2ELNS1_3repE0EEENS1_38merge_mergepath_config_static_selectorELNS0_4arch9wavefront6targetE1EEEvSL_
		.amdhsa_group_segment_fixed_size 0
		.amdhsa_private_segment_fixed_size 0
		.amdhsa_kernarg_size 64
		.amdhsa_user_sgpr_count 2
		.amdhsa_user_sgpr_dispatch_ptr 0
		.amdhsa_user_sgpr_queue_ptr 0
		.amdhsa_user_sgpr_kernarg_segment_ptr 1
		.amdhsa_user_sgpr_dispatch_id 0
		.amdhsa_user_sgpr_kernarg_preload_length 0
		.amdhsa_user_sgpr_kernarg_preload_offset 0
		.amdhsa_user_sgpr_private_segment_size 0
		.amdhsa_uses_dynamic_stack 0
		.amdhsa_enable_private_segment 0
		.amdhsa_system_sgpr_workgroup_id_x 1
		.amdhsa_system_sgpr_workgroup_id_y 0
		.amdhsa_system_sgpr_workgroup_id_z 0
		.amdhsa_system_sgpr_workgroup_info 0
		.amdhsa_system_vgpr_workitem_id 0
		.amdhsa_next_free_vgpr 1
		.amdhsa_next_free_sgpr 0
		.amdhsa_accum_offset 4
		.amdhsa_reserve_vcc 0
		.amdhsa_float_round_mode_32 0
		.amdhsa_float_round_mode_16_64 0
		.amdhsa_float_denorm_mode_32 3
		.amdhsa_float_denorm_mode_16_64 3
		.amdhsa_dx10_clamp 1
		.amdhsa_ieee_mode 1
		.amdhsa_fp16_overflow 0
		.amdhsa_tg_split 0
		.amdhsa_exception_fp_ieee_invalid_op 0
		.amdhsa_exception_fp_denorm_src 0
		.amdhsa_exception_fp_ieee_div_zero 0
		.amdhsa_exception_fp_ieee_overflow 0
		.amdhsa_exception_fp_ieee_underflow 0
		.amdhsa_exception_fp_ieee_inexact 0
		.amdhsa_exception_int_div_zero 0
	.end_amdhsa_kernel
	.section	.text._ZN7rocprim17ROCPRIM_400000_NS6detail17trampoline_kernelINS0_14default_configENS1_38merge_sort_block_merge_config_selectorIbiEEZZNS1_27merge_sort_block_merge_implIS3_N6thrust23THRUST_200600_302600_NS6detail15normal_iteratorINS8_10device_ptrIbEEEENSA_INSB_IiEEEEjNS1_19radix_merge_compareILb1ELb0EbNS0_19identity_decomposerEEEEE10hipError_tT0_T1_T2_jT3_P12ihipStream_tbPNSt15iterator_traitsISK_E10value_typeEPNSQ_ISL_E10value_typeEPSM_NS1_7vsmem_tEENKUlT_SK_SL_SM_E_clIPbSD_PiSF_EESJ_SZ_SK_SL_SM_EUlSZ_E0_NS1_11comp_targetILNS1_3genE8ELNS1_11target_archE1030ELNS1_3gpuE2ELNS1_3repE0EEENS1_38merge_mergepath_config_static_selectorELNS0_4arch9wavefront6targetE1EEEvSL_,"axG",@progbits,_ZN7rocprim17ROCPRIM_400000_NS6detail17trampoline_kernelINS0_14default_configENS1_38merge_sort_block_merge_config_selectorIbiEEZZNS1_27merge_sort_block_merge_implIS3_N6thrust23THRUST_200600_302600_NS6detail15normal_iteratorINS8_10device_ptrIbEEEENSA_INSB_IiEEEEjNS1_19radix_merge_compareILb1ELb0EbNS0_19identity_decomposerEEEEE10hipError_tT0_T1_T2_jT3_P12ihipStream_tbPNSt15iterator_traitsISK_E10value_typeEPNSQ_ISL_E10value_typeEPSM_NS1_7vsmem_tEENKUlT_SK_SL_SM_E_clIPbSD_PiSF_EESJ_SZ_SK_SL_SM_EUlSZ_E0_NS1_11comp_targetILNS1_3genE8ELNS1_11target_archE1030ELNS1_3gpuE2ELNS1_3repE0EEENS1_38merge_mergepath_config_static_selectorELNS0_4arch9wavefront6targetE1EEEvSL_,comdat
.Lfunc_end2119:
	.size	_ZN7rocprim17ROCPRIM_400000_NS6detail17trampoline_kernelINS0_14default_configENS1_38merge_sort_block_merge_config_selectorIbiEEZZNS1_27merge_sort_block_merge_implIS3_N6thrust23THRUST_200600_302600_NS6detail15normal_iteratorINS8_10device_ptrIbEEEENSA_INSB_IiEEEEjNS1_19radix_merge_compareILb1ELb0EbNS0_19identity_decomposerEEEEE10hipError_tT0_T1_T2_jT3_P12ihipStream_tbPNSt15iterator_traitsISK_E10value_typeEPNSQ_ISL_E10value_typeEPSM_NS1_7vsmem_tEENKUlT_SK_SL_SM_E_clIPbSD_PiSF_EESJ_SZ_SK_SL_SM_EUlSZ_E0_NS1_11comp_targetILNS1_3genE8ELNS1_11target_archE1030ELNS1_3gpuE2ELNS1_3repE0EEENS1_38merge_mergepath_config_static_selectorELNS0_4arch9wavefront6targetE1EEEvSL_, .Lfunc_end2119-_ZN7rocprim17ROCPRIM_400000_NS6detail17trampoline_kernelINS0_14default_configENS1_38merge_sort_block_merge_config_selectorIbiEEZZNS1_27merge_sort_block_merge_implIS3_N6thrust23THRUST_200600_302600_NS6detail15normal_iteratorINS8_10device_ptrIbEEEENSA_INSB_IiEEEEjNS1_19radix_merge_compareILb1ELb0EbNS0_19identity_decomposerEEEEE10hipError_tT0_T1_T2_jT3_P12ihipStream_tbPNSt15iterator_traitsISK_E10value_typeEPNSQ_ISL_E10value_typeEPSM_NS1_7vsmem_tEENKUlT_SK_SL_SM_E_clIPbSD_PiSF_EESJ_SZ_SK_SL_SM_EUlSZ_E0_NS1_11comp_targetILNS1_3genE8ELNS1_11target_archE1030ELNS1_3gpuE2ELNS1_3repE0EEENS1_38merge_mergepath_config_static_selectorELNS0_4arch9wavefront6targetE1EEEvSL_
                                        ; -- End function
	.set _ZN7rocprim17ROCPRIM_400000_NS6detail17trampoline_kernelINS0_14default_configENS1_38merge_sort_block_merge_config_selectorIbiEEZZNS1_27merge_sort_block_merge_implIS3_N6thrust23THRUST_200600_302600_NS6detail15normal_iteratorINS8_10device_ptrIbEEEENSA_INSB_IiEEEEjNS1_19radix_merge_compareILb1ELb0EbNS0_19identity_decomposerEEEEE10hipError_tT0_T1_T2_jT3_P12ihipStream_tbPNSt15iterator_traitsISK_E10value_typeEPNSQ_ISL_E10value_typeEPSM_NS1_7vsmem_tEENKUlT_SK_SL_SM_E_clIPbSD_PiSF_EESJ_SZ_SK_SL_SM_EUlSZ_E0_NS1_11comp_targetILNS1_3genE8ELNS1_11target_archE1030ELNS1_3gpuE2ELNS1_3repE0EEENS1_38merge_mergepath_config_static_selectorELNS0_4arch9wavefront6targetE1EEEvSL_.num_vgpr, 0
	.set _ZN7rocprim17ROCPRIM_400000_NS6detail17trampoline_kernelINS0_14default_configENS1_38merge_sort_block_merge_config_selectorIbiEEZZNS1_27merge_sort_block_merge_implIS3_N6thrust23THRUST_200600_302600_NS6detail15normal_iteratorINS8_10device_ptrIbEEEENSA_INSB_IiEEEEjNS1_19radix_merge_compareILb1ELb0EbNS0_19identity_decomposerEEEEE10hipError_tT0_T1_T2_jT3_P12ihipStream_tbPNSt15iterator_traitsISK_E10value_typeEPNSQ_ISL_E10value_typeEPSM_NS1_7vsmem_tEENKUlT_SK_SL_SM_E_clIPbSD_PiSF_EESJ_SZ_SK_SL_SM_EUlSZ_E0_NS1_11comp_targetILNS1_3genE8ELNS1_11target_archE1030ELNS1_3gpuE2ELNS1_3repE0EEENS1_38merge_mergepath_config_static_selectorELNS0_4arch9wavefront6targetE1EEEvSL_.num_agpr, 0
	.set _ZN7rocprim17ROCPRIM_400000_NS6detail17trampoline_kernelINS0_14default_configENS1_38merge_sort_block_merge_config_selectorIbiEEZZNS1_27merge_sort_block_merge_implIS3_N6thrust23THRUST_200600_302600_NS6detail15normal_iteratorINS8_10device_ptrIbEEEENSA_INSB_IiEEEEjNS1_19radix_merge_compareILb1ELb0EbNS0_19identity_decomposerEEEEE10hipError_tT0_T1_T2_jT3_P12ihipStream_tbPNSt15iterator_traitsISK_E10value_typeEPNSQ_ISL_E10value_typeEPSM_NS1_7vsmem_tEENKUlT_SK_SL_SM_E_clIPbSD_PiSF_EESJ_SZ_SK_SL_SM_EUlSZ_E0_NS1_11comp_targetILNS1_3genE8ELNS1_11target_archE1030ELNS1_3gpuE2ELNS1_3repE0EEENS1_38merge_mergepath_config_static_selectorELNS0_4arch9wavefront6targetE1EEEvSL_.numbered_sgpr, 0
	.set _ZN7rocprim17ROCPRIM_400000_NS6detail17trampoline_kernelINS0_14default_configENS1_38merge_sort_block_merge_config_selectorIbiEEZZNS1_27merge_sort_block_merge_implIS3_N6thrust23THRUST_200600_302600_NS6detail15normal_iteratorINS8_10device_ptrIbEEEENSA_INSB_IiEEEEjNS1_19radix_merge_compareILb1ELb0EbNS0_19identity_decomposerEEEEE10hipError_tT0_T1_T2_jT3_P12ihipStream_tbPNSt15iterator_traitsISK_E10value_typeEPNSQ_ISL_E10value_typeEPSM_NS1_7vsmem_tEENKUlT_SK_SL_SM_E_clIPbSD_PiSF_EESJ_SZ_SK_SL_SM_EUlSZ_E0_NS1_11comp_targetILNS1_3genE8ELNS1_11target_archE1030ELNS1_3gpuE2ELNS1_3repE0EEENS1_38merge_mergepath_config_static_selectorELNS0_4arch9wavefront6targetE1EEEvSL_.num_named_barrier, 0
	.set _ZN7rocprim17ROCPRIM_400000_NS6detail17trampoline_kernelINS0_14default_configENS1_38merge_sort_block_merge_config_selectorIbiEEZZNS1_27merge_sort_block_merge_implIS3_N6thrust23THRUST_200600_302600_NS6detail15normal_iteratorINS8_10device_ptrIbEEEENSA_INSB_IiEEEEjNS1_19radix_merge_compareILb1ELb0EbNS0_19identity_decomposerEEEEE10hipError_tT0_T1_T2_jT3_P12ihipStream_tbPNSt15iterator_traitsISK_E10value_typeEPNSQ_ISL_E10value_typeEPSM_NS1_7vsmem_tEENKUlT_SK_SL_SM_E_clIPbSD_PiSF_EESJ_SZ_SK_SL_SM_EUlSZ_E0_NS1_11comp_targetILNS1_3genE8ELNS1_11target_archE1030ELNS1_3gpuE2ELNS1_3repE0EEENS1_38merge_mergepath_config_static_selectorELNS0_4arch9wavefront6targetE1EEEvSL_.private_seg_size, 0
	.set _ZN7rocprim17ROCPRIM_400000_NS6detail17trampoline_kernelINS0_14default_configENS1_38merge_sort_block_merge_config_selectorIbiEEZZNS1_27merge_sort_block_merge_implIS3_N6thrust23THRUST_200600_302600_NS6detail15normal_iteratorINS8_10device_ptrIbEEEENSA_INSB_IiEEEEjNS1_19radix_merge_compareILb1ELb0EbNS0_19identity_decomposerEEEEE10hipError_tT0_T1_T2_jT3_P12ihipStream_tbPNSt15iterator_traitsISK_E10value_typeEPNSQ_ISL_E10value_typeEPSM_NS1_7vsmem_tEENKUlT_SK_SL_SM_E_clIPbSD_PiSF_EESJ_SZ_SK_SL_SM_EUlSZ_E0_NS1_11comp_targetILNS1_3genE8ELNS1_11target_archE1030ELNS1_3gpuE2ELNS1_3repE0EEENS1_38merge_mergepath_config_static_selectorELNS0_4arch9wavefront6targetE1EEEvSL_.uses_vcc, 0
	.set _ZN7rocprim17ROCPRIM_400000_NS6detail17trampoline_kernelINS0_14default_configENS1_38merge_sort_block_merge_config_selectorIbiEEZZNS1_27merge_sort_block_merge_implIS3_N6thrust23THRUST_200600_302600_NS6detail15normal_iteratorINS8_10device_ptrIbEEEENSA_INSB_IiEEEEjNS1_19radix_merge_compareILb1ELb0EbNS0_19identity_decomposerEEEEE10hipError_tT0_T1_T2_jT3_P12ihipStream_tbPNSt15iterator_traitsISK_E10value_typeEPNSQ_ISL_E10value_typeEPSM_NS1_7vsmem_tEENKUlT_SK_SL_SM_E_clIPbSD_PiSF_EESJ_SZ_SK_SL_SM_EUlSZ_E0_NS1_11comp_targetILNS1_3genE8ELNS1_11target_archE1030ELNS1_3gpuE2ELNS1_3repE0EEENS1_38merge_mergepath_config_static_selectorELNS0_4arch9wavefront6targetE1EEEvSL_.uses_flat_scratch, 0
	.set _ZN7rocprim17ROCPRIM_400000_NS6detail17trampoline_kernelINS0_14default_configENS1_38merge_sort_block_merge_config_selectorIbiEEZZNS1_27merge_sort_block_merge_implIS3_N6thrust23THRUST_200600_302600_NS6detail15normal_iteratorINS8_10device_ptrIbEEEENSA_INSB_IiEEEEjNS1_19radix_merge_compareILb1ELb0EbNS0_19identity_decomposerEEEEE10hipError_tT0_T1_T2_jT3_P12ihipStream_tbPNSt15iterator_traitsISK_E10value_typeEPNSQ_ISL_E10value_typeEPSM_NS1_7vsmem_tEENKUlT_SK_SL_SM_E_clIPbSD_PiSF_EESJ_SZ_SK_SL_SM_EUlSZ_E0_NS1_11comp_targetILNS1_3genE8ELNS1_11target_archE1030ELNS1_3gpuE2ELNS1_3repE0EEENS1_38merge_mergepath_config_static_selectorELNS0_4arch9wavefront6targetE1EEEvSL_.has_dyn_sized_stack, 0
	.set _ZN7rocprim17ROCPRIM_400000_NS6detail17trampoline_kernelINS0_14default_configENS1_38merge_sort_block_merge_config_selectorIbiEEZZNS1_27merge_sort_block_merge_implIS3_N6thrust23THRUST_200600_302600_NS6detail15normal_iteratorINS8_10device_ptrIbEEEENSA_INSB_IiEEEEjNS1_19radix_merge_compareILb1ELb0EbNS0_19identity_decomposerEEEEE10hipError_tT0_T1_T2_jT3_P12ihipStream_tbPNSt15iterator_traitsISK_E10value_typeEPNSQ_ISL_E10value_typeEPSM_NS1_7vsmem_tEENKUlT_SK_SL_SM_E_clIPbSD_PiSF_EESJ_SZ_SK_SL_SM_EUlSZ_E0_NS1_11comp_targetILNS1_3genE8ELNS1_11target_archE1030ELNS1_3gpuE2ELNS1_3repE0EEENS1_38merge_mergepath_config_static_selectorELNS0_4arch9wavefront6targetE1EEEvSL_.has_recursion, 0
	.set _ZN7rocprim17ROCPRIM_400000_NS6detail17trampoline_kernelINS0_14default_configENS1_38merge_sort_block_merge_config_selectorIbiEEZZNS1_27merge_sort_block_merge_implIS3_N6thrust23THRUST_200600_302600_NS6detail15normal_iteratorINS8_10device_ptrIbEEEENSA_INSB_IiEEEEjNS1_19radix_merge_compareILb1ELb0EbNS0_19identity_decomposerEEEEE10hipError_tT0_T1_T2_jT3_P12ihipStream_tbPNSt15iterator_traitsISK_E10value_typeEPNSQ_ISL_E10value_typeEPSM_NS1_7vsmem_tEENKUlT_SK_SL_SM_E_clIPbSD_PiSF_EESJ_SZ_SK_SL_SM_EUlSZ_E0_NS1_11comp_targetILNS1_3genE8ELNS1_11target_archE1030ELNS1_3gpuE2ELNS1_3repE0EEENS1_38merge_mergepath_config_static_selectorELNS0_4arch9wavefront6targetE1EEEvSL_.has_indirect_call, 0
	.section	.AMDGPU.csdata,"",@progbits
; Kernel info:
; codeLenInByte = 0
; TotalNumSgprs: 6
; NumVgprs: 0
; NumAgprs: 0
; TotalNumVgprs: 0
; ScratchSize: 0
; MemoryBound: 0
; FloatMode: 240
; IeeeMode: 1
; LDSByteSize: 0 bytes/workgroup (compile time only)
; SGPRBlocks: 0
; VGPRBlocks: 0
; NumSGPRsForWavesPerEU: 6
; NumVGPRsForWavesPerEU: 1
; AccumOffset: 4
; Occupancy: 8
; WaveLimiterHint : 0
; COMPUTE_PGM_RSRC2:SCRATCH_EN: 0
; COMPUTE_PGM_RSRC2:USER_SGPR: 2
; COMPUTE_PGM_RSRC2:TRAP_HANDLER: 0
; COMPUTE_PGM_RSRC2:TGID_X_EN: 1
; COMPUTE_PGM_RSRC2:TGID_Y_EN: 0
; COMPUTE_PGM_RSRC2:TGID_Z_EN: 0
; COMPUTE_PGM_RSRC2:TIDIG_COMP_CNT: 0
; COMPUTE_PGM_RSRC3_GFX90A:ACCUM_OFFSET: 0
; COMPUTE_PGM_RSRC3_GFX90A:TG_SPLIT: 0
	.section	.text._ZN7rocprim17ROCPRIM_400000_NS6detail17trampoline_kernelINS0_14default_configENS1_38merge_sort_block_merge_config_selectorIbiEEZZNS1_27merge_sort_block_merge_implIS3_N6thrust23THRUST_200600_302600_NS6detail15normal_iteratorINS8_10device_ptrIbEEEENSA_INSB_IiEEEEjNS1_19radix_merge_compareILb1ELb0EbNS0_19identity_decomposerEEEEE10hipError_tT0_T1_T2_jT3_P12ihipStream_tbPNSt15iterator_traitsISK_E10value_typeEPNSQ_ISL_E10value_typeEPSM_NS1_7vsmem_tEENKUlT_SK_SL_SM_E_clIPbSD_PiSF_EESJ_SZ_SK_SL_SM_EUlSZ_E1_NS1_11comp_targetILNS1_3genE0ELNS1_11target_archE4294967295ELNS1_3gpuE0ELNS1_3repE0EEENS1_36merge_oddeven_config_static_selectorELNS0_4arch9wavefront6targetE1EEEvSL_,"axG",@progbits,_ZN7rocprim17ROCPRIM_400000_NS6detail17trampoline_kernelINS0_14default_configENS1_38merge_sort_block_merge_config_selectorIbiEEZZNS1_27merge_sort_block_merge_implIS3_N6thrust23THRUST_200600_302600_NS6detail15normal_iteratorINS8_10device_ptrIbEEEENSA_INSB_IiEEEEjNS1_19radix_merge_compareILb1ELb0EbNS0_19identity_decomposerEEEEE10hipError_tT0_T1_T2_jT3_P12ihipStream_tbPNSt15iterator_traitsISK_E10value_typeEPNSQ_ISL_E10value_typeEPSM_NS1_7vsmem_tEENKUlT_SK_SL_SM_E_clIPbSD_PiSF_EESJ_SZ_SK_SL_SM_EUlSZ_E1_NS1_11comp_targetILNS1_3genE0ELNS1_11target_archE4294967295ELNS1_3gpuE0ELNS1_3repE0EEENS1_36merge_oddeven_config_static_selectorELNS0_4arch9wavefront6targetE1EEEvSL_,comdat
	.protected	_ZN7rocprim17ROCPRIM_400000_NS6detail17trampoline_kernelINS0_14default_configENS1_38merge_sort_block_merge_config_selectorIbiEEZZNS1_27merge_sort_block_merge_implIS3_N6thrust23THRUST_200600_302600_NS6detail15normal_iteratorINS8_10device_ptrIbEEEENSA_INSB_IiEEEEjNS1_19radix_merge_compareILb1ELb0EbNS0_19identity_decomposerEEEEE10hipError_tT0_T1_T2_jT3_P12ihipStream_tbPNSt15iterator_traitsISK_E10value_typeEPNSQ_ISL_E10value_typeEPSM_NS1_7vsmem_tEENKUlT_SK_SL_SM_E_clIPbSD_PiSF_EESJ_SZ_SK_SL_SM_EUlSZ_E1_NS1_11comp_targetILNS1_3genE0ELNS1_11target_archE4294967295ELNS1_3gpuE0ELNS1_3repE0EEENS1_36merge_oddeven_config_static_selectorELNS0_4arch9wavefront6targetE1EEEvSL_ ; -- Begin function _ZN7rocprim17ROCPRIM_400000_NS6detail17trampoline_kernelINS0_14default_configENS1_38merge_sort_block_merge_config_selectorIbiEEZZNS1_27merge_sort_block_merge_implIS3_N6thrust23THRUST_200600_302600_NS6detail15normal_iteratorINS8_10device_ptrIbEEEENSA_INSB_IiEEEEjNS1_19radix_merge_compareILb1ELb0EbNS0_19identity_decomposerEEEEE10hipError_tT0_T1_T2_jT3_P12ihipStream_tbPNSt15iterator_traitsISK_E10value_typeEPNSQ_ISL_E10value_typeEPSM_NS1_7vsmem_tEENKUlT_SK_SL_SM_E_clIPbSD_PiSF_EESJ_SZ_SK_SL_SM_EUlSZ_E1_NS1_11comp_targetILNS1_3genE0ELNS1_11target_archE4294967295ELNS1_3gpuE0ELNS1_3repE0EEENS1_36merge_oddeven_config_static_selectorELNS0_4arch9wavefront6targetE1EEEvSL_
	.globl	_ZN7rocprim17ROCPRIM_400000_NS6detail17trampoline_kernelINS0_14default_configENS1_38merge_sort_block_merge_config_selectorIbiEEZZNS1_27merge_sort_block_merge_implIS3_N6thrust23THRUST_200600_302600_NS6detail15normal_iteratorINS8_10device_ptrIbEEEENSA_INSB_IiEEEEjNS1_19radix_merge_compareILb1ELb0EbNS0_19identity_decomposerEEEEE10hipError_tT0_T1_T2_jT3_P12ihipStream_tbPNSt15iterator_traitsISK_E10value_typeEPNSQ_ISL_E10value_typeEPSM_NS1_7vsmem_tEENKUlT_SK_SL_SM_E_clIPbSD_PiSF_EESJ_SZ_SK_SL_SM_EUlSZ_E1_NS1_11comp_targetILNS1_3genE0ELNS1_11target_archE4294967295ELNS1_3gpuE0ELNS1_3repE0EEENS1_36merge_oddeven_config_static_selectorELNS0_4arch9wavefront6targetE1EEEvSL_
	.p2align	8
	.type	_ZN7rocprim17ROCPRIM_400000_NS6detail17trampoline_kernelINS0_14default_configENS1_38merge_sort_block_merge_config_selectorIbiEEZZNS1_27merge_sort_block_merge_implIS3_N6thrust23THRUST_200600_302600_NS6detail15normal_iteratorINS8_10device_ptrIbEEEENSA_INSB_IiEEEEjNS1_19radix_merge_compareILb1ELb0EbNS0_19identity_decomposerEEEEE10hipError_tT0_T1_T2_jT3_P12ihipStream_tbPNSt15iterator_traitsISK_E10value_typeEPNSQ_ISL_E10value_typeEPSM_NS1_7vsmem_tEENKUlT_SK_SL_SM_E_clIPbSD_PiSF_EESJ_SZ_SK_SL_SM_EUlSZ_E1_NS1_11comp_targetILNS1_3genE0ELNS1_11target_archE4294967295ELNS1_3gpuE0ELNS1_3repE0EEENS1_36merge_oddeven_config_static_selectorELNS0_4arch9wavefront6targetE1EEEvSL_,@function
_ZN7rocprim17ROCPRIM_400000_NS6detail17trampoline_kernelINS0_14default_configENS1_38merge_sort_block_merge_config_selectorIbiEEZZNS1_27merge_sort_block_merge_implIS3_N6thrust23THRUST_200600_302600_NS6detail15normal_iteratorINS8_10device_ptrIbEEEENSA_INSB_IiEEEEjNS1_19radix_merge_compareILb1ELb0EbNS0_19identity_decomposerEEEEE10hipError_tT0_T1_T2_jT3_P12ihipStream_tbPNSt15iterator_traitsISK_E10value_typeEPNSQ_ISL_E10value_typeEPSM_NS1_7vsmem_tEENKUlT_SK_SL_SM_E_clIPbSD_PiSF_EESJ_SZ_SK_SL_SM_EUlSZ_E1_NS1_11comp_targetILNS1_3genE0ELNS1_11target_archE4294967295ELNS1_3gpuE0ELNS1_3repE0EEENS1_36merge_oddeven_config_static_selectorELNS0_4arch9wavefront6targetE1EEEvSL_: ; @_ZN7rocprim17ROCPRIM_400000_NS6detail17trampoline_kernelINS0_14default_configENS1_38merge_sort_block_merge_config_selectorIbiEEZZNS1_27merge_sort_block_merge_implIS3_N6thrust23THRUST_200600_302600_NS6detail15normal_iteratorINS8_10device_ptrIbEEEENSA_INSB_IiEEEEjNS1_19radix_merge_compareILb1ELb0EbNS0_19identity_decomposerEEEEE10hipError_tT0_T1_T2_jT3_P12ihipStream_tbPNSt15iterator_traitsISK_E10value_typeEPNSQ_ISL_E10value_typeEPSM_NS1_7vsmem_tEENKUlT_SK_SL_SM_E_clIPbSD_PiSF_EESJ_SZ_SK_SL_SM_EUlSZ_E1_NS1_11comp_targetILNS1_3genE0ELNS1_11target_archE4294967295ELNS1_3gpuE0ELNS1_3repE0EEENS1_36merge_oddeven_config_static_selectorELNS0_4arch9wavefront6targetE1EEEvSL_
; %bb.0:
	s_load_dword s18, s[0:1], 0x20
	s_waitcnt lgkmcnt(0)
	s_lshr_b32 s3, s18, 8
	s_cmp_eq_u32 s2, s3
	s_cselect_b64 s[6:7], -1, 0
	s_cmp_lg_u32 s2, s3
	s_cselect_b64 s[8:9], -1, 0
	s_lshl_b32 s16, s2, 8
	s_sub_i32 s3, s18, s16
	v_cmp_gt_u32_e64 s[4:5], s3, v0
	s_or_b64 s[8:9], s[8:9], s[4:5]
	s_and_saveexec_b64 s[10:11], s[8:9]
	s_cbranch_execz .LBB2120_24
; %bb.1:
	s_load_dwordx8 s[8:15], s[0:1], 0x0
	s_mov_b32 s17, 0
	v_lshlrev_b32_e32 v1, 2, v0
	s_waitcnt lgkmcnt(0)
	s_add_u32 s20, s8, s16
	s_addc_u32 s21, s9, 0
	s_lshl_b64 s[22:23], s[16:17], 2
	s_add_u32 s12, s12, s22
	s_addc_u32 s13, s13, s23
	global_load_dword v2, v1, s[12:13]
	global_load_ubyte v3, v0, s[20:21]
	s_load_dword s17, s[0:1], 0x24
	v_add_u32_e32 v0, s16, v0
	s_waitcnt lgkmcnt(0)
	s_lshr_b32 s0, s17, 8
	s_sub_i32 s1, 0, s0
	s_and_b32 s1, s2, s1
	s_and_b32 s0, s1, s0
	s_lshl_b32 s19, s1, 8
	s_sub_i32 s12, 0, s17
	s_cmp_eq_u32 s0, 0
	s_cselect_b64 s[0:1], -1, 0
	s_and_b64 s[2:3], s[0:1], exec
	s_cselect_b32 s12, s17, s12
	s_add_i32 s12, s12, s19
	s_mov_b64 s[2:3], -1
	s_cmp_gt_u32 s18, s12
	s_cbranch_scc1 .LBB2120_9
; %bb.2:
	s_and_b64 vcc, exec, s[6:7]
	s_cbranch_vccz .LBB2120_6
; %bb.3:
	v_cmp_gt_u32_e32 vcc, s18, v0
	s_and_saveexec_b64 s[2:3], vcc
	s_cbranch_execz .LBB2120_5
; %bb.4:
	v_mov_b32_e32 v1, 0
	v_lshl_add_u64 v[4:5], v[0:1], 2, s[14:15]
	s_waitcnt vmcnt(0)
	global_store_byte v0, v3, s[10:11]
	global_store_dword v[4:5], v2, off
.LBB2120_5:
	s_or_b64 exec, exec, s[2:3]
	s_mov_b64 s[2:3], 0
.LBB2120_6:
	s_andn2_b64 vcc, exec, s[2:3]
	s_cbranch_vccnz .LBB2120_8
; %bb.7:
	v_mov_b32_e32 v1, 0
	v_lshl_add_u64 v[4:5], v[0:1], 2, s[14:15]
	s_waitcnt vmcnt(0)
	global_store_byte v0, v3, s[10:11]
	global_store_dword v[4:5], v2, off
.LBB2120_8:
	s_mov_b64 s[2:3], 0
.LBB2120_9:
	s_andn2_b64 vcc, exec, s[2:3]
	s_cbranch_vccnz .LBB2120_24
; %bb.10:
	s_min_u32 s13, s12, s18
	s_add_i32 s2, s13, s17
	s_min_u32 s16, s2, s18
	s_min_u32 s2, s19, s13
	s_add_i32 s19, s19, s13
	v_subrev_u32_e32 v0, s19, v0
	v_add_u32_e32 v0, s2, v0
	s_andn2_b64 vcc, exec, s[6:7]
	s_mov_b64 s[2:3], -1
	s_cbranch_vccnz .LBB2120_18
; %bb.11:
	s_and_saveexec_b64 s[2:3], s[4:5]
	s_cbranch_execz .LBB2120_17
; %bb.12:
	s_cmp_ge_u32 s12, s16
	v_mov_b32_e32 v1, s13
	s_cbranch_scc1 .LBB2120_16
; %bb.13:
	s_mov_b64 s[4:5], 0
	v_mov_b32_e32 v4, s16
	v_mov_b32_e32 v1, s13
.LBB2120_14:                            ; =>This Inner Loop Header: Depth=1
	v_add_u32_e32 v5, v1, v4
	v_lshrrev_b32_e32 v5, 1, v5
	global_load_ubyte v6, v5, s[8:9]
	v_add_u32_e32 v7, 1, v5
	s_waitcnt vmcnt(0)
	v_cmp_gt_u16_sdwa s[6:7], v6, v3 src0_sel:DWORD src1_sel:BYTE_0
	s_nop 1
	v_cndmask_b32_e64 v8, 0, 1, s[6:7]
	v_cmp_le_u16_sdwa s[6:7], v3, v6 src0_sel:BYTE_0 src1_sel:DWORD
	s_nop 1
	v_cndmask_b32_e64 v6, 0, 1, s[6:7]
	v_cndmask_b32_e64 v6, v6, v8, s[0:1]
	v_and_b32_e32 v6, 1, v6
	v_cmp_eq_u32_e32 vcc, 1, v6
	s_nop 1
	v_cndmask_b32_e32 v4, v5, v4, vcc
	v_cndmask_b32_e32 v1, v1, v7, vcc
	v_cmp_ge_u32_e32 vcc, v1, v4
	s_or_b64 s[4:5], vcc, s[4:5]
	s_andn2_b64 exec, exec, s[4:5]
	s_cbranch_execnz .LBB2120_14
; %bb.15:
	s_or_b64 exec, exec, s[4:5]
.LBB2120_16:
	v_add_u32_e32 v4, v1, v0
	v_mov_b32_e32 v5, 0
	s_waitcnt vmcnt(0)
	global_store_byte v4, v3, s[10:11]
	v_lshl_add_u64 v[4:5], v[4:5], 2, s[14:15]
	global_store_dword v[4:5], v2, off
.LBB2120_17:
	s_or_b64 exec, exec, s[2:3]
	s_mov_b64 s[2:3], 0
.LBB2120_18:
	s_andn2_b64 vcc, exec, s[2:3]
	s_cbranch_vccnz .LBB2120_24
; %bb.19:
	s_cmp_ge_u32 s12, s16
	v_mov_b32_e32 v1, s13
	s_cbranch_scc1 .LBB2120_23
; %bb.20:
	s_mov_b64 s[2:3], 0
	v_mov_b32_e32 v4, s16
	v_mov_b32_e32 v1, s13
.LBB2120_21:                            ; =>This Inner Loop Header: Depth=1
	v_add_u32_e32 v5, v1, v4
	v_lshrrev_b32_e32 v5, 1, v5
	global_load_ubyte v6, v5, s[8:9]
	v_add_u32_e32 v7, 1, v5
	s_waitcnt vmcnt(0)
	v_cmp_gt_u16_sdwa s[4:5], v6, v3 src0_sel:DWORD src1_sel:BYTE_0
	s_nop 1
	v_cndmask_b32_e64 v8, 0, 1, s[4:5]
	v_cmp_le_u16_sdwa s[4:5], v3, v6 src0_sel:BYTE_0 src1_sel:DWORD
	s_nop 1
	v_cndmask_b32_e64 v6, 0, 1, s[4:5]
	v_cndmask_b32_e64 v6, v6, v8, s[0:1]
	v_and_b32_e32 v6, 1, v6
	v_cmp_eq_u32_e32 vcc, 1, v6
	s_nop 1
	v_cndmask_b32_e32 v4, v5, v4, vcc
	v_cndmask_b32_e32 v1, v1, v7, vcc
	v_cmp_ge_u32_e32 vcc, v1, v4
	s_or_b64 s[2:3], vcc, s[2:3]
	s_andn2_b64 exec, exec, s[2:3]
	s_cbranch_execnz .LBB2120_21
; %bb.22:
	s_or_b64 exec, exec, s[2:3]
.LBB2120_23:
	v_add_u32_e32 v0, v1, v0
	v_mov_b32_e32 v1, 0
	s_waitcnt vmcnt(0)
	global_store_byte v0, v3, s[10:11]
	v_lshl_add_u64 v[0:1], v[0:1], 2, s[14:15]
	global_store_dword v[0:1], v2, off
.LBB2120_24:
	s_endpgm
	.section	.rodata,"a",@progbits
	.p2align	6, 0x0
	.amdhsa_kernel _ZN7rocprim17ROCPRIM_400000_NS6detail17trampoline_kernelINS0_14default_configENS1_38merge_sort_block_merge_config_selectorIbiEEZZNS1_27merge_sort_block_merge_implIS3_N6thrust23THRUST_200600_302600_NS6detail15normal_iteratorINS8_10device_ptrIbEEEENSA_INSB_IiEEEEjNS1_19radix_merge_compareILb1ELb0EbNS0_19identity_decomposerEEEEE10hipError_tT0_T1_T2_jT3_P12ihipStream_tbPNSt15iterator_traitsISK_E10value_typeEPNSQ_ISL_E10value_typeEPSM_NS1_7vsmem_tEENKUlT_SK_SL_SM_E_clIPbSD_PiSF_EESJ_SZ_SK_SL_SM_EUlSZ_E1_NS1_11comp_targetILNS1_3genE0ELNS1_11target_archE4294967295ELNS1_3gpuE0ELNS1_3repE0EEENS1_36merge_oddeven_config_static_selectorELNS0_4arch9wavefront6targetE1EEEvSL_
		.amdhsa_group_segment_fixed_size 0
		.amdhsa_private_segment_fixed_size 0
		.amdhsa_kernarg_size 48
		.amdhsa_user_sgpr_count 2
		.amdhsa_user_sgpr_dispatch_ptr 0
		.amdhsa_user_sgpr_queue_ptr 0
		.amdhsa_user_sgpr_kernarg_segment_ptr 1
		.amdhsa_user_sgpr_dispatch_id 0
		.amdhsa_user_sgpr_kernarg_preload_length 0
		.amdhsa_user_sgpr_kernarg_preload_offset 0
		.amdhsa_user_sgpr_private_segment_size 0
		.amdhsa_uses_dynamic_stack 0
		.amdhsa_enable_private_segment 0
		.amdhsa_system_sgpr_workgroup_id_x 1
		.amdhsa_system_sgpr_workgroup_id_y 0
		.amdhsa_system_sgpr_workgroup_id_z 0
		.amdhsa_system_sgpr_workgroup_info 0
		.amdhsa_system_vgpr_workitem_id 0
		.amdhsa_next_free_vgpr 9
		.amdhsa_next_free_sgpr 24
		.amdhsa_accum_offset 12
		.amdhsa_reserve_vcc 1
		.amdhsa_float_round_mode_32 0
		.amdhsa_float_round_mode_16_64 0
		.amdhsa_float_denorm_mode_32 3
		.amdhsa_float_denorm_mode_16_64 3
		.amdhsa_dx10_clamp 1
		.amdhsa_ieee_mode 1
		.amdhsa_fp16_overflow 0
		.amdhsa_tg_split 0
		.amdhsa_exception_fp_ieee_invalid_op 0
		.amdhsa_exception_fp_denorm_src 0
		.amdhsa_exception_fp_ieee_div_zero 0
		.amdhsa_exception_fp_ieee_overflow 0
		.amdhsa_exception_fp_ieee_underflow 0
		.amdhsa_exception_fp_ieee_inexact 0
		.amdhsa_exception_int_div_zero 0
	.end_amdhsa_kernel
	.section	.text._ZN7rocprim17ROCPRIM_400000_NS6detail17trampoline_kernelINS0_14default_configENS1_38merge_sort_block_merge_config_selectorIbiEEZZNS1_27merge_sort_block_merge_implIS3_N6thrust23THRUST_200600_302600_NS6detail15normal_iteratorINS8_10device_ptrIbEEEENSA_INSB_IiEEEEjNS1_19radix_merge_compareILb1ELb0EbNS0_19identity_decomposerEEEEE10hipError_tT0_T1_T2_jT3_P12ihipStream_tbPNSt15iterator_traitsISK_E10value_typeEPNSQ_ISL_E10value_typeEPSM_NS1_7vsmem_tEENKUlT_SK_SL_SM_E_clIPbSD_PiSF_EESJ_SZ_SK_SL_SM_EUlSZ_E1_NS1_11comp_targetILNS1_3genE0ELNS1_11target_archE4294967295ELNS1_3gpuE0ELNS1_3repE0EEENS1_36merge_oddeven_config_static_selectorELNS0_4arch9wavefront6targetE1EEEvSL_,"axG",@progbits,_ZN7rocprim17ROCPRIM_400000_NS6detail17trampoline_kernelINS0_14default_configENS1_38merge_sort_block_merge_config_selectorIbiEEZZNS1_27merge_sort_block_merge_implIS3_N6thrust23THRUST_200600_302600_NS6detail15normal_iteratorINS8_10device_ptrIbEEEENSA_INSB_IiEEEEjNS1_19radix_merge_compareILb1ELb0EbNS0_19identity_decomposerEEEEE10hipError_tT0_T1_T2_jT3_P12ihipStream_tbPNSt15iterator_traitsISK_E10value_typeEPNSQ_ISL_E10value_typeEPSM_NS1_7vsmem_tEENKUlT_SK_SL_SM_E_clIPbSD_PiSF_EESJ_SZ_SK_SL_SM_EUlSZ_E1_NS1_11comp_targetILNS1_3genE0ELNS1_11target_archE4294967295ELNS1_3gpuE0ELNS1_3repE0EEENS1_36merge_oddeven_config_static_selectorELNS0_4arch9wavefront6targetE1EEEvSL_,comdat
.Lfunc_end2120:
	.size	_ZN7rocprim17ROCPRIM_400000_NS6detail17trampoline_kernelINS0_14default_configENS1_38merge_sort_block_merge_config_selectorIbiEEZZNS1_27merge_sort_block_merge_implIS3_N6thrust23THRUST_200600_302600_NS6detail15normal_iteratorINS8_10device_ptrIbEEEENSA_INSB_IiEEEEjNS1_19radix_merge_compareILb1ELb0EbNS0_19identity_decomposerEEEEE10hipError_tT0_T1_T2_jT3_P12ihipStream_tbPNSt15iterator_traitsISK_E10value_typeEPNSQ_ISL_E10value_typeEPSM_NS1_7vsmem_tEENKUlT_SK_SL_SM_E_clIPbSD_PiSF_EESJ_SZ_SK_SL_SM_EUlSZ_E1_NS1_11comp_targetILNS1_3genE0ELNS1_11target_archE4294967295ELNS1_3gpuE0ELNS1_3repE0EEENS1_36merge_oddeven_config_static_selectorELNS0_4arch9wavefront6targetE1EEEvSL_, .Lfunc_end2120-_ZN7rocprim17ROCPRIM_400000_NS6detail17trampoline_kernelINS0_14default_configENS1_38merge_sort_block_merge_config_selectorIbiEEZZNS1_27merge_sort_block_merge_implIS3_N6thrust23THRUST_200600_302600_NS6detail15normal_iteratorINS8_10device_ptrIbEEEENSA_INSB_IiEEEEjNS1_19radix_merge_compareILb1ELb0EbNS0_19identity_decomposerEEEEE10hipError_tT0_T1_T2_jT3_P12ihipStream_tbPNSt15iterator_traitsISK_E10value_typeEPNSQ_ISL_E10value_typeEPSM_NS1_7vsmem_tEENKUlT_SK_SL_SM_E_clIPbSD_PiSF_EESJ_SZ_SK_SL_SM_EUlSZ_E1_NS1_11comp_targetILNS1_3genE0ELNS1_11target_archE4294967295ELNS1_3gpuE0ELNS1_3repE0EEENS1_36merge_oddeven_config_static_selectorELNS0_4arch9wavefront6targetE1EEEvSL_
                                        ; -- End function
	.set _ZN7rocprim17ROCPRIM_400000_NS6detail17trampoline_kernelINS0_14default_configENS1_38merge_sort_block_merge_config_selectorIbiEEZZNS1_27merge_sort_block_merge_implIS3_N6thrust23THRUST_200600_302600_NS6detail15normal_iteratorINS8_10device_ptrIbEEEENSA_INSB_IiEEEEjNS1_19radix_merge_compareILb1ELb0EbNS0_19identity_decomposerEEEEE10hipError_tT0_T1_T2_jT3_P12ihipStream_tbPNSt15iterator_traitsISK_E10value_typeEPNSQ_ISL_E10value_typeEPSM_NS1_7vsmem_tEENKUlT_SK_SL_SM_E_clIPbSD_PiSF_EESJ_SZ_SK_SL_SM_EUlSZ_E1_NS1_11comp_targetILNS1_3genE0ELNS1_11target_archE4294967295ELNS1_3gpuE0ELNS1_3repE0EEENS1_36merge_oddeven_config_static_selectorELNS0_4arch9wavefront6targetE1EEEvSL_.num_vgpr, 9
	.set _ZN7rocprim17ROCPRIM_400000_NS6detail17trampoline_kernelINS0_14default_configENS1_38merge_sort_block_merge_config_selectorIbiEEZZNS1_27merge_sort_block_merge_implIS3_N6thrust23THRUST_200600_302600_NS6detail15normal_iteratorINS8_10device_ptrIbEEEENSA_INSB_IiEEEEjNS1_19radix_merge_compareILb1ELb0EbNS0_19identity_decomposerEEEEE10hipError_tT0_T1_T2_jT3_P12ihipStream_tbPNSt15iterator_traitsISK_E10value_typeEPNSQ_ISL_E10value_typeEPSM_NS1_7vsmem_tEENKUlT_SK_SL_SM_E_clIPbSD_PiSF_EESJ_SZ_SK_SL_SM_EUlSZ_E1_NS1_11comp_targetILNS1_3genE0ELNS1_11target_archE4294967295ELNS1_3gpuE0ELNS1_3repE0EEENS1_36merge_oddeven_config_static_selectorELNS0_4arch9wavefront6targetE1EEEvSL_.num_agpr, 0
	.set _ZN7rocprim17ROCPRIM_400000_NS6detail17trampoline_kernelINS0_14default_configENS1_38merge_sort_block_merge_config_selectorIbiEEZZNS1_27merge_sort_block_merge_implIS3_N6thrust23THRUST_200600_302600_NS6detail15normal_iteratorINS8_10device_ptrIbEEEENSA_INSB_IiEEEEjNS1_19radix_merge_compareILb1ELb0EbNS0_19identity_decomposerEEEEE10hipError_tT0_T1_T2_jT3_P12ihipStream_tbPNSt15iterator_traitsISK_E10value_typeEPNSQ_ISL_E10value_typeEPSM_NS1_7vsmem_tEENKUlT_SK_SL_SM_E_clIPbSD_PiSF_EESJ_SZ_SK_SL_SM_EUlSZ_E1_NS1_11comp_targetILNS1_3genE0ELNS1_11target_archE4294967295ELNS1_3gpuE0ELNS1_3repE0EEENS1_36merge_oddeven_config_static_selectorELNS0_4arch9wavefront6targetE1EEEvSL_.numbered_sgpr, 24
	.set _ZN7rocprim17ROCPRIM_400000_NS6detail17trampoline_kernelINS0_14default_configENS1_38merge_sort_block_merge_config_selectorIbiEEZZNS1_27merge_sort_block_merge_implIS3_N6thrust23THRUST_200600_302600_NS6detail15normal_iteratorINS8_10device_ptrIbEEEENSA_INSB_IiEEEEjNS1_19radix_merge_compareILb1ELb0EbNS0_19identity_decomposerEEEEE10hipError_tT0_T1_T2_jT3_P12ihipStream_tbPNSt15iterator_traitsISK_E10value_typeEPNSQ_ISL_E10value_typeEPSM_NS1_7vsmem_tEENKUlT_SK_SL_SM_E_clIPbSD_PiSF_EESJ_SZ_SK_SL_SM_EUlSZ_E1_NS1_11comp_targetILNS1_3genE0ELNS1_11target_archE4294967295ELNS1_3gpuE0ELNS1_3repE0EEENS1_36merge_oddeven_config_static_selectorELNS0_4arch9wavefront6targetE1EEEvSL_.num_named_barrier, 0
	.set _ZN7rocprim17ROCPRIM_400000_NS6detail17trampoline_kernelINS0_14default_configENS1_38merge_sort_block_merge_config_selectorIbiEEZZNS1_27merge_sort_block_merge_implIS3_N6thrust23THRUST_200600_302600_NS6detail15normal_iteratorINS8_10device_ptrIbEEEENSA_INSB_IiEEEEjNS1_19radix_merge_compareILb1ELb0EbNS0_19identity_decomposerEEEEE10hipError_tT0_T1_T2_jT3_P12ihipStream_tbPNSt15iterator_traitsISK_E10value_typeEPNSQ_ISL_E10value_typeEPSM_NS1_7vsmem_tEENKUlT_SK_SL_SM_E_clIPbSD_PiSF_EESJ_SZ_SK_SL_SM_EUlSZ_E1_NS1_11comp_targetILNS1_3genE0ELNS1_11target_archE4294967295ELNS1_3gpuE0ELNS1_3repE0EEENS1_36merge_oddeven_config_static_selectorELNS0_4arch9wavefront6targetE1EEEvSL_.private_seg_size, 0
	.set _ZN7rocprim17ROCPRIM_400000_NS6detail17trampoline_kernelINS0_14default_configENS1_38merge_sort_block_merge_config_selectorIbiEEZZNS1_27merge_sort_block_merge_implIS3_N6thrust23THRUST_200600_302600_NS6detail15normal_iteratorINS8_10device_ptrIbEEEENSA_INSB_IiEEEEjNS1_19radix_merge_compareILb1ELb0EbNS0_19identity_decomposerEEEEE10hipError_tT0_T1_T2_jT3_P12ihipStream_tbPNSt15iterator_traitsISK_E10value_typeEPNSQ_ISL_E10value_typeEPSM_NS1_7vsmem_tEENKUlT_SK_SL_SM_E_clIPbSD_PiSF_EESJ_SZ_SK_SL_SM_EUlSZ_E1_NS1_11comp_targetILNS1_3genE0ELNS1_11target_archE4294967295ELNS1_3gpuE0ELNS1_3repE0EEENS1_36merge_oddeven_config_static_selectorELNS0_4arch9wavefront6targetE1EEEvSL_.uses_vcc, 1
	.set _ZN7rocprim17ROCPRIM_400000_NS6detail17trampoline_kernelINS0_14default_configENS1_38merge_sort_block_merge_config_selectorIbiEEZZNS1_27merge_sort_block_merge_implIS3_N6thrust23THRUST_200600_302600_NS6detail15normal_iteratorINS8_10device_ptrIbEEEENSA_INSB_IiEEEEjNS1_19radix_merge_compareILb1ELb0EbNS0_19identity_decomposerEEEEE10hipError_tT0_T1_T2_jT3_P12ihipStream_tbPNSt15iterator_traitsISK_E10value_typeEPNSQ_ISL_E10value_typeEPSM_NS1_7vsmem_tEENKUlT_SK_SL_SM_E_clIPbSD_PiSF_EESJ_SZ_SK_SL_SM_EUlSZ_E1_NS1_11comp_targetILNS1_3genE0ELNS1_11target_archE4294967295ELNS1_3gpuE0ELNS1_3repE0EEENS1_36merge_oddeven_config_static_selectorELNS0_4arch9wavefront6targetE1EEEvSL_.uses_flat_scratch, 0
	.set _ZN7rocprim17ROCPRIM_400000_NS6detail17trampoline_kernelINS0_14default_configENS1_38merge_sort_block_merge_config_selectorIbiEEZZNS1_27merge_sort_block_merge_implIS3_N6thrust23THRUST_200600_302600_NS6detail15normal_iteratorINS8_10device_ptrIbEEEENSA_INSB_IiEEEEjNS1_19radix_merge_compareILb1ELb0EbNS0_19identity_decomposerEEEEE10hipError_tT0_T1_T2_jT3_P12ihipStream_tbPNSt15iterator_traitsISK_E10value_typeEPNSQ_ISL_E10value_typeEPSM_NS1_7vsmem_tEENKUlT_SK_SL_SM_E_clIPbSD_PiSF_EESJ_SZ_SK_SL_SM_EUlSZ_E1_NS1_11comp_targetILNS1_3genE0ELNS1_11target_archE4294967295ELNS1_3gpuE0ELNS1_3repE0EEENS1_36merge_oddeven_config_static_selectorELNS0_4arch9wavefront6targetE1EEEvSL_.has_dyn_sized_stack, 0
	.set _ZN7rocprim17ROCPRIM_400000_NS6detail17trampoline_kernelINS0_14default_configENS1_38merge_sort_block_merge_config_selectorIbiEEZZNS1_27merge_sort_block_merge_implIS3_N6thrust23THRUST_200600_302600_NS6detail15normal_iteratorINS8_10device_ptrIbEEEENSA_INSB_IiEEEEjNS1_19radix_merge_compareILb1ELb0EbNS0_19identity_decomposerEEEEE10hipError_tT0_T1_T2_jT3_P12ihipStream_tbPNSt15iterator_traitsISK_E10value_typeEPNSQ_ISL_E10value_typeEPSM_NS1_7vsmem_tEENKUlT_SK_SL_SM_E_clIPbSD_PiSF_EESJ_SZ_SK_SL_SM_EUlSZ_E1_NS1_11comp_targetILNS1_3genE0ELNS1_11target_archE4294967295ELNS1_3gpuE0ELNS1_3repE0EEENS1_36merge_oddeven_config_static_selectorELNS0_4arch9wavefront6targetE1EEEvSL_.has_recursion, 0
	.set _ZN7rocprim17ROCPRIM_400000_NS6detail17trampoline_kernelINS0_14default_configENS1_38merge_sort_block_merge_config_selectorIbiEEZZNS1_27merge_sort_block_merge_implIS3_N6thrust23THRUST_200600_302600_NS6detail15normal_iteratorINS8_10device_ptrIbEEEENSA_INSB_IiEEEEjNS1_19radix_merge_compareILb1ELb0EbNS0_19identity_decomposerEEEEE10hipError_tT0_T1_T2_jT3_P12ihipStream_tbPNSt15iterator_traitsISK_E10value_typeEPNSQ_ISL_E10value_typeEPSM_NS1_7vsmem_tEENKUlT_SK_SL_SM_E_clIPbSD_PiSF_EESJ_SZ_SK_SL_SM_EUlSZ_E1_NS1_11comp_targetILNS1_3genE0ELNS1_11target_archE4294967295ELNS1_3gpuE0ELNS1_3repE0EEENS1_36merge_oddeven_config_static_selectorELNS0_4arch9wavefront6targetE1EEEvSL_.has_indirect_call, 0
	.section	.AMDGPU.csdata,"",@progbits
; Kernel info:
; codeLenInByte = 712
; TotalNumSgprs: 30
; NumVgprs: 9
; NumAgprs: 0
; TotalNumVgprs: 9
; ScratchSize: 0
; MemoryBound: 0
; FloatMode: 240
; IeeeMode: 1
; LDSByteSize: 0 bytes/workgroup (compile time only)
; SGPRBlocks: 3
; VGPRBlocks: 1
; NumSGPRsForWavesPerEU: 30
; NumVGPRsForWavesPerEU: 9
; AccumOffset: 12
; Occupancy: 8
; WaveLimiterHint : 0
; COMPUTE_PGM_RSRC2:SCRATCH_EN: 0
; COMPUTE_PGM_RSRC2:USER_SGPR: 2
; COMPUTE_PGM_RSRC2:TRAP_HANDLER: 0
; COMPUTE_PGM_RSRC2:TGID_X_EN: 1
; COMPUTE_PGM_RSRC2:TGID_Y_EN: 0
; COMPUTE_PGM_RSRC2:TGID_Z_EN: 0
; COMPUTE_PGM_RSRC2:TIDIG_COMP_CNT: 0
; COMPUTE_PGM_RSRC3_GFX90A:ACCUM_OFFSET: 2
; COMPUTE_PGM_RSRC3_GFX90A:TG_SPLIT: 0
	.section	.text._ZN7rocprim17ROCPRIM_400000_NS6detail17trampoline_kernelINS0_14default_configENS1_38merge_sort_block_merge_config_selectorIbiEEZZNS1_27merge_sort_block_merge_implIS3_N6thrust23THRUST_200600_302600_NS6detail15normal_iteratorINS8_10device_ptrIbEEEENSA_INSB_IiEEEEjNS1_19radix_merge_compareILb1ELb0EbNS0_19identity_decomposerEEEEE10hipError_tT0_T1_T2_jT3_P12ihipStream_tbPNSt15iterator_traitsISK_E10value_typeEPNSQ_ISL_E10value_typeEPSM_NS1_7vsmem_tEENKUlT_SK_SL_SM_E_clIPbSD_PiSF_EESJ_SZ_SK_SL_SM_EUlSZ_E1_NS1_11comp_targetILNS1_3genE10ELNS1_11target_archE1201ELNS1_3gpuE5ELNS1_3repE0EEENS1_36merge_oddeven_config_static_selectorELNS0_4arch9wavefront6targetE1EEEvSL_,"axG",@progbits,_ZN7rocprim17ROCPRIM_400000_NS6detail17trampoline_kernelINS0_14default_configENS1_38merge_sort_block_merge_config_selectorIbiEEZZNS1_27merge_sort_block_merge_implIS3_N6thrust23THRUST_200600_302600_NS6detail15normal_iteratorINS8_10device_ptrIbEEEENSA_INSB_IiEEEEjNS1_19radix_merge_compareILb1ELb0EbNS0_19identity_decomposerEEEEE10hipError_tT0_T1_T2_jT3_P12ihipStream_tbPNSt15iterator_traitsISK_E10value_typeEPNSQ_ISL_E10value_typeEPSM_NS1_7vsmem_tEENKUlT_SK_SL_SM_E_clIPbSD_PiSF_EESJ_SZ_SK_SL_SM_EUlSZ_E1_NS1_11comp_targetILNS1_3genE10ELNS1_11target_archE1201ELNS1_3gpuE5ELNS1_3repE0EEENS1_36merge_oddeven_config_static_selectorELNS0_4arch9wavefront6targetE1EEEvSL_,comdat
	.protected	_ZN7rocprim17ROCPRIM_400000_NS6detail17trampoline_kernelINS0_14default_configENS1_38merge_sort_block_merge_config_selectorIbiEEZZNS1_27merge_sort_block_merge_implIS3_N6thrust23THRUST_200600_302600_NS6detail15normal_iteratorINS8_10device_ptrIbEEEENSA_INSB_IiEEEEjNS1_19radix_merge_compareILb1ELb0EbNS0_19identity_decomposerEEEEE10hipError_tT0_T1_T2_jT3_P12ihipStream_tbPNSt15iterator_traitsISK_E10value_typeEPNSQ_ISL_E10value_typeEPSM_NS1_7vsmem_tEENKUlT_SK_SL_SM_E_clIPbSD_PiSF_EESJ_SZ_SK_SL_SM_EUlSZ_E1_NS1_11comp_targetILNS1_3genE10ELNS1_11target_archE1201ELNS1_3gpuE5ELNS1_3repE0EEENS1_36merge_oddeven_config_static_selectorELNS0_4arch9wavefront6targetE1EEEvSL_ ; -- Begin function _ZN7rocprim17ROCPRIM_400000_NS6detail17trampoline_kernelINS0_14default_configENS1_38merge_sort_block_merge_config_selectorIbiEEZZNS1_27merge_sort_block_merge_implIS3_N6thrust23THRUST_200600_302600_NS6detail15normal_iteratorINS8_10device_ptrIbEEEENSA_INSB_IiEEEEjNS1_19radix_merge_compareILb1ELb0EbNS0_19identity_decomposerEEEEE10hipError_tT0_T1_T2_jT3_P12ihipStream_tbPNSt15iterator_traitsISK_E10value_typeEPNSQ_ISL_E10value_typeEPSM_NS1_7vsmem_tEENKUlT_SK_SL_SM_E_clIPbSD_PiSF_EESJ_SZ_SK_SL_SM_EUlSZ_E1_NS1_11comp_targetILNS1_3genE10ELNS1_11target_archE1201ELNS1_3gpuE5ELNS1_3repE0EEENS1_36merge_oddeven_config_static_selectorELNS0_4arch9wavefront6targetE1EEEvSL_
	.globl	_ZN7rocprim17ROCPRIM_400000_NS6detail17trampoline_kernelINS0_14default_configENS1_38merge_sort_block_merge_config_selectorIbiEEZZNS1_27merge_sort_block_merge_implIS3_N6thrust23THRUST_200600_302600_NS6detail15normal_iteratorINS8_10device_ptrIbEEEENSA_INSB_IiEEEEjNS1_19radix_merge_compareILb1ELb0EbNS0_19identity_decomposerEEEEE10hipError_tT0_T1_T2_jT3_P12ihipStream_tbPNSt15iterator_traitsISK_E10value_typeEPNSQ_ISL_E10value_typeEPSM_NS1_7vsmem_tEENKUlT_SK_SL_SM_E_clIPbSD_PiSF_EESJ_SZ_SK_SL_SM_EUlSZ_E1_NS1_11comp_targetILNS1_3genE10ELNS1_11target_archE1201ELNS1_3gpuE5ELNS1_3repE0EEENS1_36merge_oddeven_config_static_selectorELNS0_4arch9wavefront6targetE1EEEvSL_
	.p2align	8
	.type	_ZN7rocprim17ROCPRIM_400000_NS6detail17trampoline_kernelINS0_14default_configENS1_38merge_sort_block_merge_config_selectorIbiEEZZNS1_27merge_sort_block_merge_implIS3_N6thrust23THRUST_200600_302600_NS6detail15normal_iteratorINS8_10device_ptrIbEEEENSA_INSB_IiEEEEjNS1_19radix_merge_compareILb1ELb0EbNS0_19identity_decomposerEEEEE10hipError_tT0_T1_T2_jT3_P12ihipStream_tbPNSt15iterator_traitsISK_E10value_typeEPNSQ_ISL_E10value_typeEPSM_NS1_7vsmem_tEENKUlT_SK_SL_SM_E_clIPbSD_PiSF_EESJ_SZ_SK_SL_SM_EUlSZ_E1_NS1_11comp_targetILNS1_3genE10ELNS1_11target_archE1201ELNS1_3gpuE5ELNS1_3repE0EEENS1_36merge_oddeven_config_static_selectorELNS0_4arch9wavefront6targetE1EEEvSL_,@function
_ZN7rocprim17ROCPRIM_400000_NS6detail17trampoline_kernelINS0_14default_configENS1_38merge_sort_block_merge_config_selectorIbiEEZZNS1_27merge_sort_block_merge_implIS3_N6thrust23THRUST_200600_302600_NS6detail15normal_iteratorINS8_10device_ptrIbEEEENSA_INSB_IiEEEEjNS1_19radix_merge_compareILb1ELb0EbNS0_19identity_decomposerEEEEE10hipError_tT0_T1_T2_jT3_P12ihipStream_tbPNSt15iterator_traitsISK_E10value_typeEPNSQ_ISL_E10value_typeEPSM_NS1_7vsmem_tEENKUlT_SK_SL_SM_E_clIPbSD_PiSF_EESJ_SZ_SK_SL_SM_EUlSZ_E1_NS1_11comp_targetILNS1_3genE10ELNS1_11target_archE1201ELNS1_3gpuE5ELNS1_3repE0EEENS1_36merge_oddeven_config_static_selectorELNS0_4arch9wavefront6targetE1EEEvSL_: ; @_ZN7rocprim17ROCPRIM_400000_NS6detail17trampoline_kernelINS0_14default_configENS1_38merge_sort_block_merge_config_selectorIbiEEZZNS1_27merge_sort_block_merge_implIS3_N6thrust23THRUST_200600_302600_NS6detail15normal_iteratorINS8_10device_ptrIbEEEENSA_INSB_IiEEEEjNS1_19radix_merge_compareILb1ELb0EbNS0_19identity_decomposerEEEEE10hipError_tT0_T1_T2_jT3_P12ihipStream_tbPNSt15iterator_traitsISK_E10value_typeEPNSQ_ISL_E10value_typeEPSM_NS1_7vsmem_tEENKUlT_SK_SL_SM_E_clIPbSD_PiSF_EESJ_SZ_SK_SL_SM_EUlSZ_E1_NS1_11comp_targetILNS1_3genE10ELNS1_11target_archE1201ELNS1_3gpuE5ELNS1_3repE0EEENS1_36merge_oddeven_config_static_selectorELNS0_4arch9wavefront6targetE1EEEvSL_
; %bb.0:
	.section	.rodata,"a",@progbits
	.p2align	6, 0x0
	.amdhsa_kernel _ZN7rocprim17ROCPRIM_400000_NS6detail17trampoline_kernelINS0_14default_configENS1_38merge_sort_block_merge_config_selectorIbiEEZZNS1_27merge_sort_block_merge_implIS3_N6thrust23THRUST_200600_302600_NS6detail15normal_iteratorINS8_10device_ptrIbEEEENSA_INSB_IiEEEEjNS1_19radix_merge_compareILb1ELb0EbNS0_19identity_decomposerEEEEE10hipError_tT0_T1_T2_jT3_P12ihipStream_tbPNSt15iterator_traitsISK_E10value_typeEPNSQ_ISL_E10value_typeEPSM_NS1_7vsmem_tEENKUlT_SK_SL_SM_E_clIPbSD_PiSF_EESJ_SZ_SK_SL_SM_EUlSZ_E1_NS1_11comp_targetILNS1_3genE10ELNS1_11target_archE1201ELNS1_3gpuE5ELNS1_3repE0EEENS1_36merge_oddeven_config_static_selectorELNS0_4arch9wavefront6targetE1EEEvSL_
		.amdhsa_group_segment_fixed_size 0
		.amdhsa_private_segment_fixed_size 0
		.amdhsa_kernarg_size 48
		.amdhsa_user_sgpr_count 2
		.amdhsa_user_sgpr_dispatch_ptr 0
		.amdhsa_user_sgpr_queue_ptr 0
		.amdhsa_user_sgpr_kernarg_segment_ptr 1
		.amdhsa_user_sgpr_dispatch_id 0
		.amdhsa_user_sgpr_kernarg_preload_length 0
		.amdhsa_user_sgpr_kernarg_preload_offset 0
		.amdhsa_user_sgpr_private_segment_size 0
		.amdhsa_uses_dynamic_stack 0
		.amdhsa_enable_private_segment 0
		.amdhsa_system_sgpr_workgroup_id_x 1
		.amdhsa_system_sgpr_workgroup_id_y 0
		.amdhsa_system_sgpr_workgroup_id_z 0
		.amdhsa_system_sgpr_workgroup_info 0
		.amdhsa_system_vgpr_workitem_id 0
		.amdhsa_next_free_vgpr 1
		.amdhsa_next_free_sgpr 0
		.amdhsa_accum_offset 4
		.amdhsa_reserve_vcc 0
		.amdhsa_float_round_mode_32 0
		.amdhsa_float_round_mode_16_64 0
		.amdhsa_float_denorm_mode_32 3
		.amdhsa_float_denorm_mode_16_64 3
		.amdhsa_dx10_clamp 1
		.amdhsa_ieee_mode 1
		.amdhsa_fp16_overflow 0
		.amdhsa_tg_split 0
		.amdhsa_exception_fp_ieee_invalid_op 0
		.amdhsa_exception_fp_denorm_src 0
		.amdhsa_exception_fp_ieee_div_zero 0
		.amdhsa_exception_fp_ieee_overflow 0
		.amdhsa_exception_fp_ieee_underflow 0
		.amdhsa_exception_fp_ieee_inexact 0
		.amdhsa_exception_int_div_zero 0
	.end_amdhsa_kernel
	.section	.text._ZN7rocprim17ROCPRIM_400000_NS6detail17trampoline_kernelINS0_14default_configENS1_38merge_sort_block_merge_config_selectorIbiEEZZNS1_27merge_sort_block_merge_implIS3_N6thrust23THRUST_200600_302600_NS6detail15normal_iteratorINS8_10device_ptrIbEEEENSA_INSB_IiEEEEjNS1_19radix_merge_compareILb1ELb0EbNS0_19identity_decomposerEEEEE10hipError_tT0_T1_T2_jT3_P12ihipStream_tbPNSt15iterator_traitsISK_E10value_typeEPNSQ_ISL_E10value_typeEPSM_NS1_7vsmem_tEENKUlT_SK_SL_SM_E_clIPbSD_PiSF_EESJ_SZ_SK_SL_SM_EUlSZ_E1_NS1_11comp_targetILNS1_3genE10ELNS1_11target_archE1201ELNS1_3gpuE5ELNS1_3repE0EEENS1_36merge_oddeven_config_static_selectorELNS0_4arch9wavefront6targetE1EEEvSL_,"axG",@progbits,_ZN7rocprim17ROCPRIM_400000_NS6detail17trampoline_kernelINS0_14default_configENS1_38merge_sort_block_merge_config_selectorIbiEEZZNS1_27merge_sort_block_merge_implIS3_N6thrust23THRUST_200600_302600_NS6detail15normal_iteratorINS8_10device_ptrIbEEEENSA_INSB_IiEEEEjNS1_19radix_merge_compareILb1ELb0EbNS0_19identity_decomposerEEEEE10hipError_tT0_T1_T2_jT3_P12ihipStream_tbPNSt15iterator_traitsISK_E10value_typeEPNSQ_ISL_E10value_typeEPSM_NS1_7vsmem_tEENKUlT_SK_SL_SM_E_clIPbSD_PiSF_EESJ_SZ_SK_SL_SM_EUlSZ_E1_NS1_11comp_targetILNS1_3genE10ELNS1_11target_archE1201ELNS1_3gpuE5ELNS1_3repE0EEENS1_36merge_oddeven_config_static_selectorELNS0_4arch9wavefront6targetE1EEEvSL_,comdat
.Lfunc_end2121:
	.size	_ZN7rocprim17ROCPRIM_400000_NS6detail17trampoline_kernelINS0_14default_configENS1_38merge_sort_block_merge_config_selectorIbiEEZZNS1_27merge_sort_block_merge_implIS3_N6thrust23THRUST_200600_302600_NS6detail15normal_iteratorINS8_10device_ptrIbEEEENSA_INSB_IiEEEEjNS1_19radix_merge_compareILb1ELb0EbNS0_19identity_decomposerEEEEE10hipError_tT0_T1_T2_jT3_P12ihipStream_tbPNSt15iterator_traitsISK_E10value_typeEPNSQ_ISL_E10value_typeEPSM_NS1_7vsmem_tEENKUlT_SK_SL_SM_E_clIPbSD_PiSF_EESJ_SZ_SK_SL_SM_EUlSZ_E1_NS1_11comp_targetILNS1_3genE10ELNS1_11target_archE1201ELNS1_3gpuE5ELNS1_3repE0EEENS1_36merge_oddeven_config_static_selectorELNS0_4arch9wavefront6targetE1EEEvSL_, .Lfunc_end2121-_ZN7rocprim17ROCPRIM_400000_NS6detail17trampoline_kernelINS0_14default_configENS1_38merge_sort_block_merge_config_selectorIbiEEZZNS1_27merge_sort_block_merge_implIS3_N6thrust23THRUST_200600_302600_NS6detail15normal_iteratorINS8_10device_ptrIbEEEENSA_INSB_IiEEEEjNS1_19radix_merge_compareILb1ELb0EbNS0_19identity_decomposerEEEEE10hipError_tT0_T1_T2_jT3_P12ihipStream_tbPNSt15iterator_traitsISK_E10value_typeEPNSQ_ISL_E10value_typeEPSM_NS1_7vsmem_tEENKUlT_SK_SL_SM_E_clIPbSD_PiSF_EESJ_SZ_SK_SL_SM_EUlSZ_E1_NS1_11comp_targetILNS1_3genE10ELNS1_11target_archE1201ELNS1_3gpuE5ELNS1_3repE0EEENS1_36merge_oddeven_config_static_selectorELNS0_4arch9wavefront6targetE1EEEvSL_
                                        ; -- End function
	.set _ZN7rocprim17ROCPRIM_400000_NS6detail17trampoline_kernelINS0_14default_configENS1_38merge_sort_block_merge_config_selectorIbiEEZZNS1_27merge_sort_block_merge_implIS3_N6thrust23THRUST_200600_302600_NS6detail15normal_iteratorINS8_10device_ptrIbEEEENSA_INSB_IiEEEEjNS1_19radix_merge_compareILb1ELb0EbNS0_19identity_decomposerEEEEE10hipError_tT0_T1_T2_jT3_P12ihipStream_tbPNSt15iterator_traitsISK_E10value_typeEPNSQ_ISL_E10value_typeEPSM_NS1_7vsmem_tEENKUlT_SK_SL_SM_E_clIPbSD_PiSF_EESJ_SZ_SK_SL_SM_EUlSZ_E1_NS1_11comp_targetILNS1_3genE10ELNS1_11target_archE1201ELNS1_3gpuE5ELNS1_3repE0EEENS1_36merge_oddeven_config_static_selectorELNS0_4arch9wavefront6targetE1EEEvSL_.num_vgpr, 0
	.set _ZN7rocprim17ROCPRIM_400000_NS6detail17trampoline_kernelINS0_14default_configENS1_38merge_sort_block_merge_config_selectorIbiEEZZNS1_27merge_sort_block_merge_implIS3_N6thrust23THRUST_200600_302600_NS6detail15normal_iteratorINS8_10device_ptrIbEEEENSA_INSB_IiEEEEjNS1_19radix_merge_compareILb1ELb0EbNS0_19identity_decomposerEEEEE10hipError_tT0_T1_T2_jT3_P12ihipStream_tbPNSt15iterator_traitsISK_E10value_typeEPNSQ_ISL_E10value_typeEPSM_NS1_7vsmem_tEENKUlT_SK_SL_SM_E_clIPbSD_PiSF_EESJ_SZ_SK_SL_SM_EUlSZ_E1_NS1_11comp_targetILNS1_3genE10ELNS1_11target_archE1201ELNS1_3gpuE5ELNS1_3repE0EEENS1_36merge_oddeven_config_static_selectorELNS0_4arch9wavefront6targetE1EEEvSL_.num_agpr, 0
	.set _ZN7rocprim17ROCPRIM_400000_NS6detail17trampoline_kernelINS0_14default_configENS1_38merge_sort_block_merge_config_selectorIbiEEZZNS1_27merge_sort_block_merge_implIS3_N6thrust23THRUST_200600_302600_NS6detail15normal_iteratorINS8_10device_ptrIbEEEENSA_INSB_IiEEEEjNS1_19radix_merge_compareILb1ELb0EbNS0_19identity_decomposerEEEEE10hipError_tT0_T1_T2_jT3_P12ihipStream_tbPNSt15iterator_traitsISK_E10value_typeEPNSQ_ISL_E10value_typeEPSM_NS1_7vsmem_tEENKUlT_SK_SL_SM_E_clIPbSD_PiSF_EESJ_SZ_SK_SL_SM_EUlSZ_E1_NS1_11comp_targetILNS1_3genE10ELNS1_11target_archE1201ELNS1_3gpuE5ELNS1_3repE0EEENS1_36merge_oddeven_config_static_selectorELNS0_4arch9wavefront6targetE1EEEvSL_.numbered_sgpr, 0
	.set _ZN7rocprim17ROCPRIM_400000_NS6detail17trampoline_kernelINS0_14default_configENS1_38merge_sort_block_merge_config_selectorIbiEEZZNS1_27merge_sort_block_merge_implIS3_N6thrust23THRUST_200600_302600_NS6detail15normal_iteratorINS8_10device_ptrIbEEEENSA_INSB_IiEEEEjNS1_19radix_merge_compareILb1ELb0EbNS0_19identity_decomposerEEEEE10hipError_tT0_T1_T2_jT3_P12ihipStream_tbPNSt15iterator_traitsISK_E10value_typeEPNSQ_ISL_E10value_typeEPSM_NS1_7vsmem_tEENKUlT_SK_SL_SM_E_clIPbSD_PiSF_EESJ_SZ_SK_SL_SM_EUlSZ_E1_NS1_11comp_targetILNS1_3genE10ELNS1_11target_archE1201ELNS1_3gpuE5ELNS1_3repE0EEENS1_36merge_oddeven_config_static_selectorELNS0_4arch9wavefront6targetE1EEEvSL_.num_named_barrier, 0
	.set _ZN7rocprim17ROCPRIM_400000_NS6detail17trampoline_kernelINS0_14default_configENS1_38merge_sort_block_merge_config_selectorIbiEEZZNS1_27merge_sort_block_merge_implIS3_N6thrust23THRUST_200600_302600_NS6detail15normal_iteratorINS8_10device_ptrIbEEEENSA_INSB_IiEEEEjNS1_19radix_merge_compareILb1ELb0EbNS0_19identity_decomposerEEEEE10hipError_tT0_T1_T2_jT3_P12ihipStream_tbPNSt15iterator_traitsISK_E10value_typeEPNSQ_ISL_E10value_typeEPSM_NS1_7vsmem_tEENKUlT_SK_SL_SM_E_clIPbSD_PiSF_EESJ_SZ_SK_SL_SM_EUlSZ_E1_NS1_11comp_targetILNS1_3genE10ELNS1_11target_archE1201ELNS1_3gpuE5ELNS1_3repE0EEENS1_36merge_oddeven_config_static_selectorELNS0_4arch9wavefront6targetE1EEEvSL_.private_seg_size, 0
	.set _ZN7rocprim17ROCPRIM_400000_NS6detail17trampoline_kernelINS0_14default_configENS1_38merge_sort_block_merge_config_selectorIbiEEZZNS1_27merge_sort_block_merge_implIS3_N6thrust23THRUST_200600_302600_NS6detail15normal_iteratorINS8_10device_ptrIbEEEENSA_INSB_IiEEEEjNS1_19radix_merge_compareILb1ELb0EbNS0_19identity_decomposerEEEEE10hipError_tT0_T1_T2_jT3_P12ihipStream_tbPNSt15iterator_traitsISK_E10value_typeEPNSQ_ISL_E10value_typeEPSM_NS1_7vsmem_tEENKUlT_SK_SL_SM_E_clIPbSD_PiSF_EESJ_SZ_SK_SL_SM_EUlSZ_E1_NS1_11comp_targetILNS1_3genE10ELNS1_11target_archE1201ELNS1_3gpuE5ELNS1_3repE0EEENS1_36merge_oddeven_config_static_selectorELNS0_4arch9wavefront6targetE1EEEvSL_.uses_vcc, 0
	.set _ZN7rocprim17ROCPRIM_400000_NS6detail17trampoline_kernelINS0_14default_configENS1_38merge_sort_block_merge_config_selectorIbiEEZZNS1_27merge_sort_block_merge_implIS3_N6thrust23THRUST_200600_302600_NS6detail15normal_iteratorINS8_10device_ptrIbEEEENSA_INSB_IiEEEEjNS1_19radix_merge_compareILb1ELb0EbNS0_19identity_decomposerEEEEE10hipError_tT0_T1_T2_jT3_P12ihipStream_tbPNSt15iterator_traitsISK_E10value_typeEPNSQ_ISL_E10value_typeEPSM_NS1_7vsmem_tEENKUlT_SK_SL_SM_E_clIPbSD_PiSF_EESJ_SZ_SK_SL_SM_EUlSZ_E1_NS1_11comp_targetILNS1_3genE10ELNS1_11target_archE1201ELNS1_3gpuE5ELNS1_3repE0EEENS1_36merge_oddeven_config_static_selectorELNS0_4arch9wavefront6targetE1EEEvSL_.uses_flat_scratch, 0
	.set _ZN7rocprim17ROCPRIM_400000_NS6detail17trampoline_kernelINS0_14default_configENS1_38merge_sort_block_merge_config_selectorIbiEEZZNS1_27merge_sort_block_merge_implIS3_N6thrust23THRUST_200600_302600_NS6detail15normal_iteratorINS8_10device_ptrIbEEEENSA_INSB_IiEEEEjNS1_19radix_merge_compareILb1ELb0EbNS0_19identity_decomposerEEEEE10hipError_tT0_T1_T2_jT3_P12ihipStream_tbPNSt15iterator_traitsISK_E10value_typeEPNSQ_ISL_E10value_typeEPSM_NS1_7vsmem_tEENKUlT_SK_SL_SM_E_clIPbSD_PiSF_EESJ_SZ_SK_SL_SM_EUlSZ_E1_NS1_11comp_targetILNS1_3genE10ELNS1_11target_archE1201ELNS1_3gpuE5ELNS1_3repE0EEENS1_36merge_oddeven_config_static_selectorELNS0_4arch9wavefront6targetE1EEEvSL_.has_dyn_sized_stack, 0
	.set _ZN7rocprim17ROCPRIM_400000_NS6detail17trampoline_kernelINS0_14default_configENS1_38merge_sort_block_merge_config_selectorIbiEEZZNS1_27merge_sort_block_merge_implIS3_N6thrust23THRUST_200600_302600_NS6detail15normal_iteratorINS8_10device_ptrIbEEEENSA_INSB_IiEEEEjNS1_19radix_merge_compareILb1ELb0EbNS0_19identity_decomposerEEEEE10hipError_tT0_T1_T2_jT3_P12ihipStream_tbPNSt15iterator_traitsISK_E10value_typeEPNSQ_ISL_E10value_typeEPSM_NS1_7vsmem_tEENKUlT_SK_SL_SM_E_clIPbSD_PiSF_EESJ_SZ_SK_SL_SM_EUlSZ_E1_NS1_11comp_targetILNS1_3genE10ELNS1_11target_archE1201ELNS1_3gpuE5ELNS1_3repE0EEENS1_36merge_oddeven_config_static_selectorELNS0_4arch9wavefront6targetE1EEEvSL_.has_recursion, 0
	.set _ZN7rocprim17ROCPRIM_400000_NS6detail17trampoline_kernelINS0_14default_configENS1_38merge_sort_block_merge_config_selectorIbiEEZZNS1_27merge_sort_block_merge_implIS3_N6thrust23THRUST_200600_302600_NS6detail15normal_iteratorINS8_10device_ptrIbEEEENSA_INSB_IiEEEEjNS1_19radix_merge_compareILb1ELb0EbNS0_19identity_decomposerEEEEE10hipError_tT0_T1_T2_jT3_P12ihipStream_tbPNSt15iterator_traitsISK_E10value_typeEPNSQ_ISL_E10value_typeEPSM_NS1_7vsmem_tEENKUlT_SK_SL_SM_E_clIPbSD_PiSF_EESJ_SZ_SK_SL_SM_EUlSZ_E1_NS1_11comp_targetILNS1_3genE10ELNS1_11target_archE1201ELNS1_3gpuE5ELNS1_3repE0EEENS1_36merge_oddeven_config_static_selectorELNS0_4arch9wavefront6targetE1EEEvSL_.has_indirect_call, 0
	.section	.AMDGPU.csdata,"",@progbits
; Kernel info:
; codeLenInByte = 0
; TotalNumSgprs: 6
; NumVgprs: 0
; NumAgprs: 0
; TotalNumVgprs: 0
; ScratchSize: 0
; MemoryBound: 0
; FloatMode: 240
; IeeeMode: 1
; LDSByteSize: 0 bytes/workgroup (compile time only)
; SGPRBlocks: 0
; VGPRBlocks: 0
; NumSGPRsForWavesPerEU: 6
; NumVGPRsForWavesPerEU: 1
; AccumOffset: 4
; Occupancy: 8
; WaveLimiterHint : 0
; COMPUTE_PGM_RSRC2:SCRATCH_EN: 0
; COMPUTE_PGM_RSRC2:USER_SGPR: 2
; COMPUTE_PGM_RSRC2:TRAP_HANDLER: 0
; COMPUTE_PGM_RSRC2:TGID_X_EN: 1
; COMPUTE_PGM_RSRC2:TGID_Y_EN: 0
; COMPUTE_PGM_RSRC2:TGID_Z_EN: 0
; COMPUTE_PGM_RSRC2:TIDIG_COMP_CNT: 0
; COMPUTE_PGM_RSRC3_GFX90A:ACCUM_OFFSET: 0
; COMPUTE_PGM_RSRC3_GFX90A:TG_SPLIT: 0
	.section	.text._ZN7rocprim17ROCPRIM_400000_NS6detail17trampoline_kernelINS0_14default_configENS1_38merge_sort_block_merge_config_selectorIbiEEZZNS1_27merge_sort_block_merge_implIS3_N6thrust23THRUST_200600_302600_NS6detail15normal_iteratorINS8_10device_ptrIbEEEENSA_INSB_IiEEEEjNS1_19radix_merge_compareILb1ELb0EbNS0_19identity_decomposerEEEEE10hipError_tT0_T1_T2_jT3_P12ihipStream_tbPNSt15iterator_traitsISK_E10value_typeEPNSQ_ISL_E10value_typeEPSM_NS1_7vsmem_tEENKUlT_SK_SL_SM_E_clIPbSD_PiSF_EESJ_SZ_SK_SL_SM_EUlSZ_E1_NS1_11comp_targetILNS1_3genE5ELNS1_11target_archE942ELNS1_3gpuE9ELNS1_3repE0EEENS1_36merge_oddeven_config_static_selectorELNS0_4arch9wavefront6targetE1EEEvSL_,"axG",@progbits,_ZN7rocprim17ROCPRIM_400000_NS6detail17trampoline_kernelINS0_14default_configENS1_38merge_sort_block_merge_config_selectorIbiEEZZNS1_27merge_sort_block_merge_implIS3_N6thrust23THRUST_200600_302600_NS6detail15normal_iteratorINS8_10device_ptrIbEEEENSA_INSB_IiEEEEjNS1_19radix_merge_compareILb1ELb0EbNS0_19identity_decomposerEEEEE10hipError_tT0_T1_T2_jT3_P12ihipStream_tbPNSt15iterator_traitsISK_E10value_typeEPNSQ_ISL_E10value_typeEPSM_NS1_7vsmem_tEENKUlT_SK_SL_SM_E_clIPbSD_PiSF_EESJ_SZ_SK_SL_SM_EUlSZ_E1_NS1_11comp_targetILNS1_3genE5ELNS1_11target_archE942ELNS1_3gpuE9ELNS1_3repE0EEENS1_36merge_oddeven_config_static_selectorELNS0_4arch9wavefront6targetE1EEEvSL_,comdat
	.protected	_ZN7rocprim17ROCPRIM_400000_NS6detail17trampoline_kernelINS0_14default_configENS1_38merge_sort_block_merge_config_selectorIbiEEZZNS1_27merge_sort_block_merge_implIS3_N6thrust23THRUST_200600_302600_NS6detail15normal_iteratorINS8_10device_ptrIbEEEENSA_INSB_IiEEEEjNS1_19radix_merge_compareILb1ELb0EbNS0_19identity_decomposerEEEEE10hipError_tT0_T1_T2_jT3_P12ihipStream_tbPNSt15iterator_traitsISK_E10value_typeEPNSQ_ISL_E10value_typeEPSM_NS1_7vsmem_tEENKUlT_SK_SL_SM_E_clIPbSD_PiSF_EESJ_SZ_SK_SL_SM_EUlSZ_E1_NS1_11comp_targetILNS1_3genE5ELNS1_11target_archE942ELNS1_3gpuE9ELNS1_3repE0EEENS1_36merge_oddeven_config_static_selectorELNS0_4arch9wavefront6targetE1EEEvSL_ ; -- Begin function _ZN7rocprim17ROCPRIM_400000_NS6detail17trampoline_kernelINS0_14default_configENS1_38merge_sort_block_merge_config_selectorIbiEEZZNS1_27merge_sort_block_merge_implIS3_N6thrust23THRUST_200600_302600_NS6detail15normal_iteratorINS8_10device_ptrIbEEEENSA_INSB_IiEEEEjNS1_19radix_merge_compareILb1ELb0EbNS0_19identity_decomposerEEEEE10hipError_tT0_T1_T2_jT3_P12ihipStream_tbPNSt15iterator_traitsISK_E10value_typeEPNSQ_ISL_E10value_typeEPSM_NS1_7vsmem_tEENKUlT_SK_SL_SM_E_clIPbSD_PiSF_EESJ_SZ_SK_SL_SM_EUlSZ_E1_NS1_11comp_targetILNS1_3genE5ELNS1_11target_archE942ELNS1_3gpuE9ELNS1_3repE0EEENS1_36merge_oddeven_config_static_selectorELNS0_4arch9wavefront6targetE1EEEvSL_
	.globl	_ZN7rocprim17ROCPRIM_400000_NS6detail17trampoline_kernelINS0_14default_configENS1_38merge_sort_block_merge_config_selectorIbiEEZZNS1_27merge_sort_block_merge_implIS3_N6thrust23THRUST_200600_302600_NS6detail15normal_iteratorINS8_10device_ptrIbEEEENSA_INSB_IiEEEEjNS1_19radix_merge_compareILb1ELb0EbNS0_19identity_decomposerEEEEE10hipError_tT0_T1_T2_jT3_P12ihipStream_tbPNSt15iterator_traitsISK_E10value_typeEPNSQ_ISL_E10value_typeEPSM_NS1_7vsmem_tEENKUlT_SK_SL_SM_E_clIPbSD_PiSF_EESJ_SZ_SK_SL_SM_EUlSZ_E1_NS1_11comp_targetILNS1_3genE5ELNS1_11target_archE942ELNS1_3gpuE9ELNS1_3repE0EEENS1_36merge_oddeven_config_static_selectorELNS0_4arch9wavefront6targetE1EEEvSL_
	.p2align	8
	.type	_ZN7rocprim17ROCPRIM_400000_NS6detail17trampoline_kernelINS0_14default_configENS1_38merge_sort_block_merge_config_selectorIbiEEZZNS1_27merge_sort_block_merge_implIS3_N6thrust23THRUST_200600_302600_NS6detail15normal_iteratorINS8_10device_ptrIbEEEENSA_INSB_IiEEEEjNS1_19radix_merge_compareILb1ELb0EbNS0_19identity_decomposerEEEEE10hipError_tT0_T1_T2_jT3_P12ihipStream_tbPNSt15iterator_traitsISK_E10value_typeEPNSQ_ISL_E10value_typeEPSM_NS1_7vsmem_tEENKUlT_SK_SL_SM_E_clIPbSD_PiSF_EESJ_SZ_SK_SL_SM_EUlSZ_E1_NS1_11comp_targetILNS1_3genE5ELNS1_11target_archE942ELNS1_3gpuE9ELNS1_3repE0EEENS1_36merge_oddeven_config_static_selectorELNS0_4arch9wavefront6targetE1EEEvSL_,@function
_ZN7rocprim17ROCPRIM_400000_NS6detail17trampoline_kernelINS0_14default_configENS1_38merge_sort_block_merge_config_selectorIbiEEZZNS1_27merge_sort_block_merge_implIS3_N6thrust23THRUST_200600_302600_NS6detail15normal_iteratorINS8_10device_ptrIbEEEENSA_INSB_IiEEEEjNS1_19radix_merge_compareILb1ELb0EbNS0_19identity_decomposerEEEEE10hipError_tT0_T1_T2_jT3_P12ihipStream_tbPNSt15iterator_traitsISK_E10value_typeEPNSQ_ISL_E10value_typeEPSM_NS1_7vsmem_tEENKUlT_SK_SL_SM_E_clIPbSD_PiSF_EESJ_SZ_SK_SL_SM_EUlSZ_E1_NS1_11comp_targetILNS1_3genE5ELNS1_11target_archE942ELNS1_3gpuE9ELNS1_3repE0EEENS1_36merge_oddeven_config_static_selectorELNS0_4arch9wavefront6targetE1EEEvSL_: ; @_ZN7rocprim17ROCPRIM_400000_NS6detail17trampoline_kernelINS0_14default_configENS1_38merge_sort_block_merge_config_selectorIbiEEZZNS1_27merge_sort_block_merge_implIS3_N6thrust23THRUST_200600_302600_NS6detail15normal_iteratorINS8_10device_ptrIbEEEENSA_INSB_IiEEEEjNS1_19radix_merge_compareILb1ELb0EbNS0_19identity_decomposerEEEEE10hipError_tT0_T1_T2_jT3_P12ihipStream_tbPNSt15iterator_traitsISK_E10value_typeEPNSQ_ISL_E10value_typeEPSM_NS1_7vsmem_tEENKUlT_SK_SL_SM_E_clIPbSD_PiSF_EESJ_SZ_SK_SL_SM_EUlSZ_E1_NS1_11comp_targetILNS1_3genE5ELNS1_11target_archE942ELNS1_3gpuE9ELNS1_3repE0EEENS1_36merge_oddeven_config_static_selectorELNS0_4arch9wavefront6targetE1EEEvSL_
; %bb.0:
	.section	.rodata,"a",@progbits
	.p2align	6, 0x0
	.amdhsa_kernel _ZN7rocprim17ROCPRIM_400000_NS6detail17trampoline_kernelINS0_14default_configENS1_38merge_sort_block_merge_config_selectorIbiEEZZNS1_27merge_sort_block_merge_implIS3_N6thrust23THRUST_200600_302600_NS6detail15normal_iteratorINS8_10device_ptrIbEEEENSA_INSB_IiEEEEjNS1_19radix_merge_compareILb1ELb0EbNS0_19identity_decomposerEEEEE10hipError_tT0_T1_T2_jT3_P12ihipStream_tbPNSt15iterator_traitsISK_E10value_typeEPNSQ_ISL_E10value_typeEPSM_NS1_7vsmem_tEENKUlT_SK_SL_SM_E_clIPbSD_PiSF_EESJ_SZ_SK_SL_SM_EUlSZ_E1_NS1_11comp_targetILNS1_3genE5ELNS1_11target_archE942ELNS1_3gpuE9ELNS1_3repE0EEENS1_36merge_oddeven_config_static_selectorELNS0_4arch9wavefront6targetE1EEEvSL_
		.amdhsa_group_segment_fixed_size 0
		.amdhsa_private_segment_fixed_size 0
		.amdhsa_kernarg_size 48
		.amdhsa_user_sgpr_count 2
		.amdhsa_user_sgpr_dispatch_ptr 0
		.amdhsa_user_sgpr_queue_ptr 0
		.amdhsa_user_sgpr_kernarg_segment_ptr 1
		.amdhsa_user_sgpr_dispatch_id 0
		.amdhsa_user_sgpr_kernarg_preload_length 0
		.amdhsa_user_sgpr_kernarg_preload_offset 0
		.amdhsa_user_sgpr_private_segment_size 0
		.amdhsa_uses_dynamic_stack 0
		.amdhsa_enable_private_segment 0
		.amdhsa_system_sgpr_workgroup_id_x 1
		.amdhsa_system_sgpr_workgroup_id_y 0
		.amdhsa_system_sgpr_workgroup_id_z 0
		.amdhsa_system_sgpr_workgroup_info 0
		.amdhsa_system_vgpr_workitem_id 0
		.amdhsa_next_free_vgpr 1
		.amdhsa_next_free_sgpr 0
		.amdhsa_accum_offset 4
		.amdhsa_reserve_vcc 0
		.amdhsa_float_round_mode_32 0
		.amdhsa_float_round_mode_16_64 0
		.amdhsa_float_denorm_mode_32 3
		.amdhsa_float_denorm_mode_16_64 3
		.amdhsa_dx10_clamp 1
		.amdhsa_ieee_mode 1
		.amdhsa_fp16_overflow 0
		.amdhsa_tg_split 0
		.amdhsa_exception_fp_ieee_invalid_op 0
		.amdhsa_exception_fp_denorm_src 0
		.amdhsa_exception_fp_ieee_div_zero 0
		.amdhsa_exception_fp_ieee_overflow 0
		.amdhsa_exception_fp_ieee_underflow 0
		.amdhsa_exception_fp_ieee_inexact 0
		.amdhsa_exception_int_div_zero 0
	.end_amdhsa_kernel
	.section	.text._ZN7rocprim17ROCPRIM_400000_NS6detail17trampoline_kernelINS0_14default_configENS1_38merge_sort_block_merge_config_selectorIbiEEZZNS1_27merge_sort_block_merge_implIS3_N6thrust23THRUST_200600_302600_NS6detail15normal_iteratorINS8_10device_ptrIbEEEENSA_INSB_IiEEEEjNS1_19radix_merge_compareILb1ELb0EbNS0_19identity_decomposerEEEEE10hipError_tT0_T1_T2_jT3_P12ihipStream_tbPNSt15iterator_traitsISK_E10value_typeEPNSQ_ISL_E10value_typeEPSM_NS1_7vsmem_tEENKUlT_SK_SL_SM_E_clIPbSD_PiSF_EESJ_SZ_SK_SL_SM_EUlSZ_E1_NS1_11comp_targetILNS1_3genE5ELNS1_11target_archE942ELNS1_3gpuE9ELNS1_3repE0EEENS1_36merge_oddeven_config_static_selectorELNS0_4arch9wavefront6targetE1EEEvSL_,"axG",@progbits,_ZN7rocprim17ROCPRIM_400000_NS6detail17trampoline_kernelINS0_14default_configENS1_38merge_sort_block_merge_config_selectorIbiEEZZNS1_27merge_sort_block_merge_implIS3_N6thrust23THRUST_200600_302600_NS6detail15normal_iteratorINS8_10device_ptrIbEEEENSA_INSB_IiEEEEjNS1_19radix_merge_compareILb1ELb0EbNS0_19identity_decomposerEEEEE10hipError_tT0_T1_T2_jT3_P12ihipStream_tbPNSt15iterator_traitsISK_E10value_typeEPNSQ_ISL_E10value_typeEPSM_NS1_7vsmem_tEENKUlT_SK_SL_SM_E_clIPbSD_PiSF_EESJ_SZ_SK_SL_SM_EUlSZ_E1_NS1_11comp_targetILNS1_3genE5ELNS1_11target_archE942ELNS1_3gpuE9ELNS1_3repE0EEENS1_36merge_oddeven_config_static_selectorELNS0_4arch9wavefront6targetE1EEEvSL_,comdat
.Lfunc_end2122:
	.size	_ZN7rocprim17ROCPRIM_400000_NS6detail17trampoline_kernelINS0_14default_configENS1_38merge_sort_block_merge_config_selectorIbiEEZZNS1_27merge_sort_block_merge_implIS3_N6thrust23THRUST_200600_302600_NS6detail15normal_iteratorINS8_10device_ptrIbEEEENSA_INSB_IiEEEEjNS1_19radix_merge_compareILb1ELb0EbNS0_19identity_decomposerEEEEE10hipError_tT0_T1_T2_jT3_P12ihipStream_tbPNSt15iterator_traitsISK_E10value_typeEPNSQ_ISL_E10value_typeEPSM_NS1_7vsmem_tEENKUlT_SK_SL_SM_E_clIPbSD_PiSF_EESJ_SZ_SK_SL_SM_EUlSZ_E1_NS1_11comp_targetILNS1_3genE5ELNS1_11target_archE942ELNS1_3gpuE9ELNS1_3repE0EEENS1_36merge_oddeven_config_static_selectorELNS0_4arch9wavefront6targetE1EEEvSL_, .Lfunc_end2122-_ZN7rocprim17ROCPRIM_400000_NS6detail17trampoline_kernelINS0_14default_configENS1_38merge_sort_block_merge_config_selectorIbiEEZZNS1_27merge_sort_block_merge_implIS3_N6thrust23THRUST_200600_302600_NS6detail15normal_iteratorINS8_10device_ptrIbEEEENSA_INSB_IiEEEEjNS1_19radix_merge_compareILb1ELb0EbNS0_19identity_decomposerEEEEE10hipError_tT0_T1_T2_jT3_P12ihipStream_tbPNSt15iterator_traitsISK_E10value_typeEPNSQ_ISL_E10value_typeEPSM_NS1_7vsmem_tEENKUlT_SK_SL_SM_E_clIPbSD_PiSF_EESJ_SZ_SK_SL_SM_EUlSZ_E1_NS1_11comp_targetILNS1_3genE5ELNS1_11target_archE942ELNS1_3gpuE9ELNS1_3repE0EEENS1_36merge_oddeven_config_static_selectorELNS0_4arch9wavefront6targetE1EEEvSL_
                                        ; -- End function
	.set _ZN7rocprim17ROCPRIM_400000_NS6detail17trampoline_kernelINS0_14default_configENS1_38merge_sort_block_merge_config_selectorIbiEEZZNS1_27merge_sort_block_merge_implIS3_N6thrust23THRUST_200600_302600_NS6detail15normal_iteratorINS8_10device_ptrIbEEEENSA_INSB_IiEEEEjNS1_19radix_merge_compareILb1ELb0EbNS0_19identity_decomposerEEEEE10hipError_tT0_T1_T2_jT3_P12ihipStream_tbPNSt15iterator_traitsISK_E10value_typeEPNSQ_ISL_E10value_typeEPSM_NS1_7vsmem_tEENKUlT_SK_SL_SM_E_clIPbSD_PiSF_EESJ_SZ_SK_SL_SM_EUlSZ_E1_NS1_11comp_targetILNS1_3genE5ELNS1_11target_archE942ELNS1_3gpuE9ELNS1_3repE0EEENS1_36merge_oddeven_config_static_selectorELNS0_4arch9wavefront6targetE1EEEvSL_.num_vgpr, 0
	.set _ZN7rocprim17ROCPRIM_400000_NS6detail17trampoline_kernelINS0_14default_configENS1_38merge_sort_block_merge_config_selectorIbiEEZZNS1_27merge_sort_block_merge_implIS3_N6thrust23THRUST_200600_302600_NS6detail15normal_iteratorINS8_10device_ptrIbEEEENSA_INSB_IiEEEEjNS1_19radix_merge_compareILb1ELb0EbNS0_19identity_decomposerEEEEE10hipError_tT0_T1_T2_jT3_P12ihipStream_tbPNSt15iterator_traitsISK_E10value_typeEPNSQ_ISL_E10value_typeEPSM_NS1_7vsmem_tEENKUlT_SK_SL_SM_E_clIPbSD_PiSF_EESJ_SZ_SK_SL_SM_EUlSZ_E1_NS1_11comp_targetILNS1_3genE5ELNS1_11target_archE942ELNS1_3gpuE9ELNS1_3repE0EEENS1_36merge_oddeven_config_static_selectorELNS0_4arch9wavefront6targetE1EEEvSL_.num_agpr, 0
	.set _ZN7rocprim17ROCPRIM_400000_NS6detail17trampoline_kernelINS0_14default_configENS1_38merge_sort_block_merge_config_selectorIbiEEZZNS1_27merge_sort_block_merge_implIS3_N6thrust23THRUST_200600_302600_NS6detail15normal_iteratorINS8_10device_ptrIbEEEENSA_INSB_IiEEEEjNS1_19radix_merge_compareILb1ELb0EbNS0_19identity_decomposerEEEEE10hipError_tT0_T1_T2_jT3_P12ihipStream_tbPNSt15iterator_traitsISK_E10value_typeEPNSQ_ISL_E10value_typeEPSM_NS1_7vsmem_tEENKUlT_SK_SL_SM_E_clIPbSD_PiSF_EESJ_SZ_SK_SL_SM_EUlSZ_E1_NS1_11comp_targetILNS1_3genE5ELNS1_11target_archE942ELNS1_3gpuE9ELNS1_3repE0EEENS1_36merge_oddeven_config_static_selectorELNS0_4arch9wavefront6targetE1EEEvSL_.numbered_sgpr, 0
	.set _ZN7rocprim17ROCPRIM_400000_NS6detail17trampoline_kernelINS0_14default_configENS1_38merge_sort_block_merge_config_selectorIbiEEZZNS1_27merge_sort_block_merge_implIS3_N6thrust23THRUST_200600_302600_NS6detail15normal_iteratorINS8_10device_ptrIbEEEENSA_INSB_IiEEEEjNS1_19radix_merge_compareILb1ELb0EbNS0_19identity_decomposerEEEEE10hipError_tT0_T1_T2_jT3_P12ihipStream_tbPNSt15iterator_traitsISK_E10value_typeEPNSQ_ISL_E10value_typeEPSM_NS1_7vsmem_tEENKUlT_SK_SL_SM_E_clIPbSD_PiSF_EESJ_SZ_SK_SL_SM_EUlSZ_E1_NS1_11comp_targetILNS1_3genE5ELNS1_11target_archE942ELNS1_3gpuE9ELNS1_3repE0EEENS1_36merge_oddeven_config_static_selectorELNS0_4arch9wavefront6targetE1EEEvSL_.num_named_barrier, 0
	.set _ZN7rocprim17ROCPRIM_400000_NS6detail17trampoline_kernelINS0_14default_configENS1_38merge_sort_block_merge_config_selectorIbiEEZZNS1_27merge_sort_block_merge_implIS3_N6thrust23THRUST_200600_302600_NS6detail15normal_iteratorINS8_10device_ptrIbEEEENSA_INSB_IiEEEEjNS1_19radix_merge_compareILb1ELb0EbNS0_19identity_decomposerEEEEE10hipError_tT0_T1_T2_jT3_P12ihipStream_tbPNSt15iterator_traitsISK_E10value_typeEPNSQ_ISL_E10value_typeEPSM_NS1_7vsmem_tEENKUlT_SK_SL_SM_E_clIPbSD_PiSF_EESJ_SZ_SK_SL_SM_EUlSZ_E1_NS1_11comp_targetILNS1_3genE5ELNS1_11target_archE942ELNS1_3gpuE9ELNS1_3repE0EEENS1_36merge_oddeven_config_static_selectorELNS0_4arch9wavefront6targetE1EEEvSL_.private_seg_size, 0
	.set _ZN7rocprim17ROCPRIM_400000_NS6detail17trampoline_kernelINS0_14default_configENS1_38merge_sort_block_merge_config_selectorIbiEEZZNS1_27merge_sort_block_merge_implIS3_N6thrust23THRUST_200600_302600_NS6detail15normal_iteratorINS8_10device_ptrIbEEEENSA_INSB_IiEEEEjNS1_19radix_merge_compareILb1ELb0EbNS0_19identity_decomposerEEEEE10hipError_tT0_T1_T2_jT3_P12ihipStream_tbPNSt15iterator_traitsISK_E10value_typeEPNSQ_ISL_E10value_typeEPSM_NS1_7vsmem_tEENKUlT_SK_SL_SM_E_clIPbSD_PiSF_EESJ_SZ_SK_SL_SM_EUlSZ_E1_NS1_11comp_targetILNS1_3genE5ELNS1_11target_archE942ELNS1_3gpuE9ELNS1_3repE0EEENS1_36merge_oddeven_config_static_selectorELNS0_4arch9wavefront6targetE1EEEvSL_.uses_vcc, 0
	.set _ZN7rocprim17ROCPRIM_400000_NS6detail17trampoline_kernelINS0_14default_configENS1_38merge_sort_block_merge_config_selectorIbiEEZZNS1_27merge_sort_block_merge_implIS3_N6thrust23THRUST_200600_302600_NS6detail15normal_iteratorINS8_10device_ptrIbEEEENSA_INSB_IiEEEEjNS1_19radix_merge_compareILb1ELb0EbNS0_19identity_decomposerEEEEE10hipError_tT0_T1_T2_jT3_P12ihipStream_tbPNSt15iterator_traitsISK_E10value_typeEPNSQ_ISL_E10value_typeEPSM_NS1_7vsmem_tEENKUlT_SK_SL_SM_E_clIPbSD_PiSF_EESJ_SZ_SK_SL_SM_EUlSZ_E1_NS1_11comp_targetILNS1_3genE5ELNS1_11target_archE942ELNS1_3gpuE9ELNS1_3repE0EEENS1_36merge_oddeven_config_static_selectorELNS0_4arch9wavefront6targetE1EEEvSL_.uses_flat_scratch, 0
	.set _ZN7rocprim17ROCPRIM_400000_NS6detail17trampoline_kernelINS0_14default_configENS1_38merge_sort_block_merge_config_selectorIbiEEZZNS1_27merge_sort_block_merge_implIS3_N6thrust23THRUST_200600_302600_NS6detail15normal_iteratorINS8_10device_ptrIbEEEENSA_INSB_IiEEEEjNS1_19radix_merge_compareILb1ELb0EbNS0_19identity_decomposerEEEEE10hipError_tT0_T1_T2_jT3_P12ihipStream_tbPNSt15iterator_traitsISK_E10value_typeEPNSQ_ISL_E10value_typeEPSM_NS1_7vsmem_tEENKUlT_SK_SL_SM_E_clIPbSD_PiSF_EESJ_SZ_SK_SL_SM_EUlSZ_E1_NS1_11comp_targetILNS1_3genE5ELNS1_11target_archE942ELNS1_3gpuE9ELNS1_3repE0EEENS1_36merge_oddeven_config_static_selectorELNS0_4arch9wavefront6targetE1EEEvSL_.has_dyn_sized_stack, 0
	.set _ZN7rocprim17ROCPRIM_400000_NS6detail17trampoline_kernelINS0_14default_configENS1_38merge_sort_block_merge_config_selectorIbiEEZZNS1_27merge_sort_block_merge_implIS3_N6thrust23THRUST_200600_302600_NS6detail15normal_iteratorINS8_10device_ptrIbEEEENSA_INSB_IiEEEEjNS1_19radix_merge_compareILb1ELb0EbNS0_19identity_decomposerEEEEE10hipError_tT0_T1_T2_jT3_P12ihipStream_tbPNSt15iterator_traitsISK_E10value_typeEPNSQ_ISL_E10value_typeEPSM_NS1_7vsmem_tEENKUlT_SK_SL_SM_E_clIPbSD_PiSF_EESJ_SZ_SK_SL_SM_EUlSZ_E1_NS1_11comp_targetILNS1_3genE5ELNS1_11target_archE942ELNS1_3gpuE9ELNS1_3repE0EEENS1_36merge_oddeven_config_static_selectorELNS0_4arch9wavefront6targetE1EEEvSL_.has_recursion, 0
	.set _ZN7rocprim17ROCPRIM_400000_NS6detail17trampoline_kernelINS0_14default_configENS1_38merge_sort_block_merge_config_selectorIbiEEZZNS1_27merge_sort_block_merge_implIS3_N6thrust23THRUST_200600_302600_NS6detail15normal_iteratorINS8_10device_ptrIbEEEENSA_INSB_IiEEEEjNS1_19radix_merge_compareILb1ELb0EbNS0_19identity_decomposerEEEEE10hipError_tT0_T1_T2_jT3_P12ihipStream_tbPNSt15iterator_traitsISK_E10value_typeEPNSQ_ISL_E10value_typeEPSM_NS1_7vsmem_tEENKUlT_SK_SL_SM_E_clIPbSD_PiSF_EESJ_SZ_SK_SL_SM_EUlSZ_E1_NS1_11comp_targetILNS1_3genE5ELNS1_11target_archE942ELNS1_3gpuE9ELNS1_3repE0EEENS1_36merge_oddeven_config_static_selectorELNS0_4arch9wavefront6targetE1EEEvSL_.has_indirect_call, 0
	.section	.AMDGPU.csdata,"",@progbits
; Kernel info:
; codeLenInByte = 0
; TotalNumSgprs: 6
; NumVgprs: 0
; NumAgprs: 0
; TotalNumVgprs: 0
; ScratchSize: 0
; MemoryBound: 0
; FloatMode: 240
; IeeeMode: 1
; LDSByteSize: 0 bytes/workgroup (compile time only)
; SGPRBlocks: 0
; VGPRBlocks: 0
; NumSGPRsForWavesPerEU: 6
; NumVGPRsForWavesPerEU: 1
; AccumOffset: 4
; Occupancy: 8
; WaveLimiterHint : 0
; COMPUTE_PGM_RSRC2:SCRATCH_EN: 0
; COMPUTE_PGM_RSRC2:USER_SGPR: 2
; COMPUTE_PGM_RSRC2:TRAP_HANDLER: 0
; COMPUTE_PGM_RSRC2:TGID_X_EN: 1
; COMPUTE_PGM_RSRC2:TGID_Y_EN: 0
; COMPUTE_PGM_RSRC2:TGID_Z_EN: 0
; COMPUTE_PGM_RSRC2:TIDIG_COMP_CNT: 0
; COMPUTE_PGM_RSRC3_GFX90A:ACCUM_OFFSET: 0
; COMPUTE_PGM_RSRC3_GFX90A:TG_SPLIT: 0
	.section	.text._ZN7rocprim17ROCPRIM_400000_NS6detail17trampoline_kernelINS0_14default_configENS1_38merge_sort_block_merge_config_selectorIbiEEZZNS1_27merge_sort_block_merge_implIS3_N6thrust23THRUST_200600_302600_NS6detail15normal_iteratorINS8_10device_ptrIbEEEENSA_INSB_IiEEEEjNS1_19radix_merge_compareILb1ELb0EbNS0_19identity_decomposerEEEEE10hipError_tT0_T1_T2_jT3_P12ihipStream_tbPNSt15iterator_traitsISK_E10value_typeEPNSQ_ISL_E10value_typeEPSM_NS1_7vsmem_tEENKUlT_SK_SL_SM_E_clIPbSD_PiSF_EESJ_SZ_SK_SL_SM_EUlSZ_E1_NS1_11comp_targetILNS1_3genE4ELNS1_11target_archE910ELNS1_3gpuE8ELNS1_3repE0EEENS1_36merge_oddeven_config_static_selectorELNS0_4arch9wavefront6targetE1EEEvSL_,"axG",@progbits,_ZN7rocprim17ROCPRIM_400000_NS6detail17trampoline_kernelINS0_14default_configENS1_38merge_sort_block_merge_config_selectorIbiEEZZNS1_27merge_sort_block_merge_implIS3_N6thrust23THRUST_200600_302600_NS6detail15normal_iteratorINS8_10device_ptrIbEEEENSA_INSB_IiEEEEjNS1_19radix_merge_compareILb1ELb0EbNS0_19identity_decomposerEEEEE10hipError_tT0_T1_T2_jT3_P12ihipStream_tbPNSt15iterator_traitsISK_E10value_typeEPNSQ_ISL_E10value_typeEPSM_NS1_7vsmem_tEENKUlT_SK_SL_SM_E_clIPbSD_PiSF_EESJ_SZ_SK_SL_SM_EUlSZ_E1_NS1_11comp_targetILNS1_3genE4ELNS1_11target_archE910ELNS1_3gpuE8ELNS1_3repE0EEENS1_36merge_oddeven_config_static_selectorELNS0_4arch9wavefront6targetE1EEEvSL_,comdat
	.protected	_ZN7rocprim17ROCPRIM_400000_NS6detail17trampoline_kernelINS0_14default_configENS1_38merge_sort_block_merge_config_selectorIbiEEZZNS1_27merge_sort_block_merge_implIS3_N6thrust23THRUST_200600_302600_NS6detail15normal_iteratorINS8_10device_ptrIbEEEENSA_INSB_IiEEEEjNS1_19radix_merge_compareILb1ELb0EbNS0_19identity_decomposerEEEEE10hipError_tT0_T1_T2_jT3_P12ihipStream_tbPNSt15iterator_traitsISK_E10value_typeEPNSQ_ISL_E10value_typeEPSM_NS1_7vsmem_tEENKUlT_SK_SL_SM_E_clIPbSD_PiSF_EESJ_SZ_SK_SL_SM_EUlSZ_E1_NS1_11comp_targetILNS1_3genE4ELNS1_11target_archE910ELNS1_3gpuE8ELNS1_3repE0EEENS1_36merge_oddeven_config_static_selectorELNS0_4arch9wavefront6targetE1EEEvSL_ ; -- Begin function _ZN7rocprim17ROCPRIM_400000_NS6detail17trampoline_kernelINS0_14default_configENS1_38merge_sort_block_merge_config_selectorIbiEEZZNS1_27merge_sort_block_merge_implIS3_N6thrust23THRUST_200600_302600_NS6detail15normal_iteratorINS8_10device_ptrIbEEEENSA_INSB_IiEEEEjNS1_19radix_merge_compareILb1ELb0EbNS0_19identity_decomposerEEEEE10hipError_tT0_T1_T2_jT3_P12ihipStream_tbPNSt15iterator_traitsISK_E10value_typeEPNSQ_ISL_E10value_typeEPSM_NS1_7vsmem_tEENKUlT_SK_SL_SM_E_clIPbSD_PiSF_EESJ_SZ_SK_SL_SM_EUlSZ_E1_NS1_11comp_targetILNS1_3genE4ELNS1_11target_archE910ELNS1_3gpuE8ELNS1_3repE0EEENS1_36merge_oddeven_config_static_selectorELNS0_4arch9wavefront6targetE1EEEvSL_
	.globl	_ZN7rocprim17ROCPRIM_400000_NS6detail17trampoline_kernelINS0_14default_configENS1_38merge_sort_block_merge_config_selectorIbiEEZZNS1_27merge_sort_block_merge_implIS3_N6thrust23THRUST_200600_302600_NS6detail15normal_iteratorINS8_10device_ptrIbEEEENSA_INSB_IiEEEEjNS1_19radix_merge_compareILb1ELb0EbNS0_19identity_decomposerEEEEE10hipError_tT0_T1_T2_jT3_P12ihipStream_tbPNSt15iterator_traitsISK_E10value_typeEPNSQ_ISL_E10value_typeEPSM_NS1_7vsmem_tEENKUlT_SK_SL_SM_E_clIPbSD_PiSF_EESJ_SZ_SK_SL_SM_EUlSZ_E1_NS1_11comp_targetILNS1_3genE4ELNS1_11target_archE910ELNS1_3gpuE8ELNS1_3repE0EEENS1_36merge_oddeven_config_static_selectorELNS0_4arch9wavefront6targetE1EEEvSL_
	.p2align	8
	.type	_ZN7rocprim17ROCPRIM_400000_NS6detail17trampoline_kernelINS0_14default_configENS1_38merge_sort_block_merge_config_selectorIbiEEZZNS1_27merge_sort_block_merge_implIS3_N6thrust23THRUST_200600_302600_NS6detail15normal_iteratorINS8_10device_ptrIbEEEENSA_INSB_IiEEEEjNS1_19radix_merge_compareILb1ELb0EbNS0_19identity_decomposerEEEEE10hipError_tT0_T1_T2_jT3_P12ihipStream_tbPNSt15iterator_traitsISK_E10value_typeEPNSQ_ISL_E10value_typeEPSM_NS1_7vsmem_tEENKUlT_SK_SL_SM_E_clIPbSD_PiSF_EESJ_SZ_SK_SL_SM_EUlSZ_E1_NS1_11comp_targetILNS1_3genE4ELNS1_11target_archE910ELNS1_3gpuE8ELNS1_3repE0EEENS1_36merge_oddeven_config_static_selectorELNS0_4arch9wavefront6targetE1EEEvSL_,@function
_ZN7rocprim17ROCPRIM_400000_NS6detail17trampoline_kernelINS0_14default_configENS1_38merge_sort_block_merge_config_selectorIbiEEZZNS1_27merge_sort_block_merge_implIS3_N6thrust23THRUST_200600_302600_NS6detail15normal_iteratorINS8_10device_ptrIbEEEENSA_INSB_IiEEEEjNS1_19radix_merge_compareILb1ELb0EbNS0_19identity_decomposerEEEEE10hipError_tT0_T1_T2_jT3_P12ihipStream_tbPNSt15iterator_traitsISK_E10value_typeEPNSQ_ISL_E10value_typeEPSM_NS1_7vsmem_tEENKUlT_SK_SL_SM_E_clIPbSD_PiSF_EESJ_SZ_SK_SL_SM_EUlSZ_E1_NS1_11comp_targetILNS1_3genE4ELNS1_11target_archE910ELNS1_3gpuE8ELNS1_3repE0EEENS1_36merge_oddeven_config_static_selectorELNS0_4arch9wavefront6targetE1EEEvSL_: ; @_ZN7rocprim17ROCPRIM_400000_NS6detail17trampoline_kernelINS0_14default_configENS1_38merge_sort_block_merge_config_selectorIbiEEZZNS1_27merge_sort_block_merge_implIS3_N6thrust23THRUST_200600_302600_NS6detail15normal_iteratorINS8_10device_ptrIbEEEENSA_INSB_IiEEEEjNS1_19radix_merge_compareILb1ELb0EbNS0_19identity_decomposerEEEEE10hipError_tT0_T1_T2_jT3_P12ihipStream_tbPNSt15iterator_traitsISK_E10value_typeEPNSQ_ISL_E10value_typeEPSM_NS1_7vsmem_tEENKUlT_SK_SL_SM_E_clIPbSD_PiSF_EESJ_SZ_SK_SL_SM_EUlSZ_E1_NS1_11comp_targetILNS1_3genE4ELNS1_11target_archE910ELNS1_3gpuE8ELNS1_3repE0EEENS1_36merge_oddeven_config_static_selectorELNS0_4arch9wavefront6targetE1EEEvSL_
; %bb.0:
	.section	.rodata,"a",@progbits
	.p2align	6, 0x0
	.amdhsa_kernel _ZN7rocprim17ROCPRIM_400000_NS6detail17trampoline_kernelINS0_14default_configENS1_38merge_sort_block_merge_config_selectorIbiEEZZNS1_27merge_sort_block_merge_implIS3_N6thrust23THRUST_200600_302600_NS6detail15normal_iteratorINS8_10device_ptrIbEEEENSA_INSB_IiEEEEjNS1_19radix_merge_compareILb1ELb0EbNS0_19identity_decomposerEEEEE10hipError_tT0_T1_T2_jT3_P12ihipStream_tbPNSt15iterator_traitsISK_E10value_typeEPNSQ_ISL_E10value_typeEPSM_NS1_7vsmem_tEENKUlT_SK_SL_SM_E_clIPbSD_PiSF_EESJ_SZ_SK_SL_SM_EUlSZ_E1_NS1_11comp_targetILNS1_3genE4ELNS1_11target_archE910ELNS1_3gpuE8ELNS1_3repE0EEENS1_36merge_oddeven_config_static_selectorELNS0_4arch9wavefront6targetE1EEEvSL_
		.amdhsa_group_segment_fixed_size 0
		.amdhsa_private_segment_fixed_size 0
		.amdhsa_kernarg_size 48
		.amdhsa_user_sgpr_count 2
		.amdhsa_user_sgpr_dispatch_ptr 0
		.amdhsa_user_sgpr_queue_ptr 0
		.amdhsa_user_sgpr_kernarg_segment_ptr 1
		.amdhsa_user_sgpr_dispatch_id 0
		.amdhsa_user_sgpr_kernarg_preload_length 0
		.amdhsa_user_sgpr_kernarg_preload_offset 0
		.amdhsa_user_sgpr_private_segment_size 0
		.amdhsa_uses_dynamic_stack 0
		.amdhsa_enable_private_segment 0
		.amdhsa_system_sgpr_workgroup_id_x 1
		.amdhsa_system_sgpr_workgroup_id_y 0
		.amdhsa_system_sgpr_workgroup_id_z 0
		.amdhsa_system_sgpr_workgroup_info 0
		.amdhsa_system_vgpr_workitem_id 0
		.amdhsa_next_free_vgpr 1
		.amdhsa_next_free_sgpr 0
		.amdhsa_accum_offset 4
		.amdhsa_reserve_vcc 0
		.amdhsa_float_round_mode_32 0
		.amdhsa_float_round_mode_16_64 0
		.amdhsa_float_denorm_mode_32 3
		.amdhsa_float_denorm_mode_16_64 3
		.amdhsa_dx10_clamp 1
		.amdhsa_ieee_mode 1
		.amdhsa_fp16_overflow 0
		.amdhsa_tg_split 0
		.amdhsa_exception_fp_ieee_invalid_op 0
		.amdhsa_exception_fp_denorm_src 0
		.amdhsa_exception_fp_ieee_div_zero 0
		.amdhsa_exception_fp_ieee_overflow 0
		.amdhsa_exception_fp_ieee_underflow 0
		.amdhsa_exception_fp_ieee_inexact 0
		.amdhsa_exception_int_div_zero 0
	.end_amdhsa_kernel
	.section	.text._ZN7rocprim17ROCPRIM_400000_NS6detail17trampoline_kernelINS0_14default_configENS1_38merge_sort_block_merge_config_selectorIbiEEZZNS1_27merge_sort_block_merge_implIS3_N6thrust23THRUST_200600_302600_NS6detail15normal_iteratorINS8_10device_ptrIbEEEENSA_INSB_IiEEEEjNS1_19radix_merge_compareILb1ELb0EbNS0_19identity_decomposerEEEEE10hipError_tT0_T1_T2_jT3_P12ihipStream_tbPNSt15iterator_traitsISK_E10value_typeEPNSQ_ISL_E10value_typeEPSM_NS1_7vsmem_tEENKUlT_SK_SL_SM_E_clIPbSD_PiSF_EESJ_SZ_SK_SL_SM_EUlSZ_E1_NS1_11comp_targetILNS1_3genE4ELNS1_11target_archE910ELNS1_3gpuE8ELNS1_3repE0EEENS1_36merge_oddeven_config_static_selectorELNS0_4arch9wavefront6targetE1EEEvSL_,"axG",@progbits,_ZN7rocprim17ROCPRIM_400000_NS6detail17trampoline_kernelINS0_14default_configENS1_38merge_sort_block_merge_config_selectorIbiEEZZNS1_27merge_sort_block_merge_implIS3_N6thrust23THRUST_200600_302600_NS6detail15normal_iteratorINS8_10device_ptrIbEEEENSA_INSB_IiEEEEjNS1_19radix_merge_compareILb1ELb0EbNS0_19identity_decomposerEEEEE10hipError_tT0_T1_T2_jT3_P12ihipStream_tbPNSt15iterator_traitsISK_E10value_typeEPNSQ_ISL_E10value_typeEPSM_NS1_7vsmem_tEENKUlT_SK_SL_SM_E_clIPbSD_PiSF_EESJ_SZ_SK_SL_SM_EUlSZ_E1_NS1_11comp_targetILNS1_3genE4ELNS1_11target_archE910ELNS1_3gpuE8ELNS1_3repE0EEENS1_36merge_oddeven_config_static_selectorELNS0_4arch9wavefront6targetE1EEEvSL_,comdat
.Lfunc_end2123:
	.size	_ZN7rocprim17ROCPRIM_400000_NS6detail17trampoline_kernelINS0_14default_configENS1_38merge_sort_block_merge_config_selectorIbiEEZZNS1_27merge_sort_block_merge_implIS3_N6thrust23THRUST_200600_302600_NS6detail15normal_iteratorINS8_10device_ptrIbEEEENSA_INSB_IiEEEEjNS1_19radix_merge_compareILb1ELb0EbNS0_19identity_decomposerEEEEE10hipError_tT0_T1_T2_jT3_P12ihipStream_tbPNSt15iterator_traitsISK_E10value_typeEPNSQ_ISL_E10value_typeEPSM_NS1_7vsmem_tEENKUlT_SK_SL_SM_E_clIPbSD_PiSF_EESJ_SZ_SK_SL_SM_EUlSZ_E1_NS1_11comp_targetILNS1_3genE4ELNS1_11target_archE910ELNS1_3gpuE8ELNS1_3repE0EEENS1_36merge_oddeven_config_static_selectorELNS0_4arch9wavefront6targetE1EEEvSL_, .Lfunc_end2123-_ZN7rocprim17ROCPRIM_400000_NS6detail17trampoline_kernelINS0_14default_configENS1_38merge_sort_block_merge_config_selectorIbiEEZZNS1_27merge_sort_block_merge_implIS3_N6thrust23THRUST_200600_302600_NS6detail15normal_iteratorINS8_10device_ptrIbEEEENSA_INSB_IiEEEEjNS1_19radix_merge_compareILb1ELb0EbNS0_19identity_decomposerEEEEE10hipError_tT0_T1_T2_jT3_P12ihipStream_tbPNSt15iterator_traitsISK_E10value_typeEPNSQ_ISL_E10value_typeEPSM_NS1_7vsmem_tEENKUlT_SK_SL_SM_E_clIPbSD_PiSF_EESJ_SZ_SK_SL_SM_EUlSZ_E1_NS1_11comp_targetILNS1_3genE4ELNS1_11target_archE910ELNS1_3gpuE8ELNS1_3repE0EEENS1_36merge_oddeven_config_static_selectorELNS0_4arch9wavefront6targetE1EEEvSL_
                                        ; -- End function
	.set _ZN7rocprim17ROCPRIM_400000_NS6detail17trampoline_kernelINS0_14default_configENS1_38merge_sort_block_merge_config_selectorIbiEEZZNS1_27merge_sort_block_merge_implIS3_N6thrust23THRUST_200600_302600_NS6detail15normal_iteratorINS8_10device_ptrIbEEEENSA_INSB_IiEEEEjNS1_19radix_merge_compareILb1ELb0EbNS0_19identity_decomposerEEEEE10hipError_tT0_T1_T2_jT3_P12ihipStream_tbPNSt15iterator_traitsISK_E10value_typeEPNSQ_ISL_E10value_typeEPSM_NS1_7vsmem_tEENKUlT_SK_SL_SM_E_clIPbSD_PiSF_EESJ_SZ_SK_SL_SM_EUlSZ_E1_NS1_11comp_targetILNS1_3genE4ELNS1_11target_archE910ELNS1_3gpuE8ELNS1_3repE0EEENS1_36merge_oddeven_config_static_selectorELNS0_4arch9wavefront6targetE1EEEvSL_.num_vgpr, 0
	.set _ZN7rocprim17ROCPRIM_400000_NS6detail17trampoline_kernelINS0_14default_configENS1_38merge_sort_block_merge_config_selectorIbiEEZZNS1_27merge_sort_block_merge_implIS3_N6thrust23THRUST_200600_302600_NS6detail15normal_iteratorINS8_10device_ptrIbEEEENSA_INSB_IiEEEEjNS1_19radix_merge_compareILb1ELb0EbNS0_19identity_decomposerEEEEE10hipError_tT0_T1_T2_jT3_P12ihipStream_tbPNSt15iterator_traitsISK_E10value_typeEPNSQ_ISL_E10value_typeEPSM_NS1_7vsmem_tEENKUlT_SK_SL_SM_E_clIPbSD_PiSF_EESJ_SZ_SK_SL_SM_EUlSZ_E1_NS1_11comp_targetILNS1_3genE4ELNS1_11target_archE910ELNS1_3gpuE8ELNS1_3repE0EEENS1_36merge_oddeven_config_static_selectorELNS0_4arch9wavefront6targetE1EEEvSL_.num_agpr, 0
	.set _ZN7rocprim17ROCPRIM_400000_NS6detail17trampoline_kernelINS0_14default_configENS1_38merge_sort_block_merge_config_selectorIbiEEZZNS1_27merge_sort_block_merge_implIS3_N6thrust23THRUST_200600_302600_NS6detail15normal_iteratorINS8_10device_ptrIbEEEENSA_INSB_IiEEEEjNS1_19radix_merge_compareILb1ELb0EbNS0_19identity_decomposerEEEEE10hipError_tT0_T1_T2_jT3_P12ihipStream_tbPNSt15iterator_traitsISK_E10value_typeEPNSQ_ISL_E10value_typeEPSM_NS1_7vsmem_tEENKUlT_SK_SL_SM_E_clIPbSD_PiSF_EESJ_SZ_SK_SL_SM_EUlSZ_E1_NS1_11comp_targetILNS1_3genE4ELNS1_11target_archE910ELNS1_3gpuE8ELNS1_3repE0EEENS1_36merge_oddeven_config_static_selectorELNS0_4arch9wavefront6targetE1EEEvSL_.numbered_sgpr, 0
	.set _ZN7rocprim17ROCPRIM_400000_NS6detail17trampoline_kernelINS0_14default_configENS1_38merge_sort_block_merge_config_selectorIbiEEZZNS1_27merge_sort_block_merge_implIS3_N6thrust23THRUST_200600_302600_NS6detail15normal_iteratorINS8_10device_ptrIbEEEENSA_INSB_IiEEEEjNS1_19radix_merge_compareILb1ELb0EbNS0_19identity_decomposerEEEEE10hipError_tT0_T1_T2_jT3_P12ihipStream_tbPNSt15iterator_traitsISK_E10value_typeEPNSQ_ISL_E10value_typeEPSM_NS1_7vsmem_tEENKUlT_SK_SL_SM_E_clIPbSD_PiSF_EESJ_SZ_SK_SL_SM_EUlSZ_E1_NS1_11comp_targetILNS1_3genE4ELNS1_11target_archE910ELNS1_3gpuE8ELNS1_3repE0EEENS1_36merge_oddeven_config_static_selectorELNS0_4arch9wavefront6targetE1EEEvSL_.num_named_barrier, 0
	.set _ZN7rocprim17ROCPRIM_400000_NS6detail17trampoline_kernelINS0_14default_configENS1_38merge_sort_block_merge_config_selectorIbiEEZZNS1_27merge_sort_block_merge_implIS3_N6thrust23THRUST_200600_302600_NS6detail15normal_iteratorINS8_10device_ptrIbEEEENSA_INSB_IiEEEEjNS1_19radix_merge_compareILb1ELb0EbNS0_19identity_decomposerEEEEE10hipError_tT0_T1_T2_jT3_P12ihipStream_tbPNSt15iterator_traitsISK_E10value_typeEPNSQ_ISL_E10value_typeEPSM_NS1_7vsmem_tEENKUlT_SK_SL_SM_E_clIPbSD_PiSF_EESJ_SZ_SK_SL_SM_EUlSZ_E1_NS1_11comp_targetILNS1_3genE4ELNS1_11target_archE910ELNS1_3gpuE8ELNS1_3repE0EEENS1_36merge_oddeven_config_static_selectorELNS0_4arch9wavefront6targetE1EEEvSL_.private_seg_size, 0
	.set _ZN7rocprim17ROCPRIM_400000_NS6detail17trampoline_kernelINS0_14default_configENS1_38merge_sort_block_merge_config_selectorIbiEEZZNS1_27merge_sort_block_merge_implIS3_N6thrust23THRUST_200600_302600_NS6detail15normal_iteratorINS8_10device_ptrIbEEEENSA_INSB_IiEEEEjNS1_19radix_merge_compareILb1ELb0EbNS0_19identity_decomposerEEEEE10hipError_tT0_T1_T2_jT3_P12ihipStream_tbPNSt15iterator_traitsISK_E10value_typeEPNSQ_ISL_E10value_typeEPSM_NS1_7vsmem_tEENKUlT_SK_SL_SM_E_clIPbSD_PiSF_EESJ_SZ_SK_SL_SM_EUlSZ_E1_NS1_11comp_targetILNS1_3genE4ELNS1_11target_archE910ELNS1_3gpuE8ELNS1_3repE0EEENS1_36merge_oddeven_config_static_selectorELNS0_4arch9wavefront6targetE1EEEvSL_.uses_vcc, 0
	.set _ZN7rocprim17ROCPRIM_400000_NS6detail17trampoline_kernelINS0_14default_configENS1_38merge_sort_block_merge_config_selectorIbiEEZZNS1_27merge_sort_block_merge_implIS3_N6thrust23THRUST_200600_302600_NS6detail15normal_iteratorINS8_10device_ptrIbEEEENSA_INSB_IiEEEEjNS1_19radix_merge_compareILb1ELb0EbNS0_19identity_decomposerEEEEE10hipError_tT0_T1_T2_jT3_P12ihipStream_tbPNSt15iterator_traitsISK_E10value_typeEPNSQ_ISL_E10value_typeEPSM_NS1_7vsmem_tEENKUlT_SK_SL_SM_E_clIPbSD_PiSF_EESJ_SZ_SK_SL_SM_EUlSZ_E1_NS1_11comp_targetILNS1_3genE4ELNS1_11target_archE910ELNS1_3gpuE8ELNS1_3repE0EEENS1_36merge_oddeven_config_static_selectorELNS0_4arch9wavefront6targetE1EEEvSL_.uses_flat_scratch, 0
	.set _ZN7rocprim17ROCPRIM_400000_NS6detail17trampoline_kernelINS0_14default_configENS1_38merge_sort_block_merge_config_selectorIbiEEZZNS1_27merge_sort_block_merge_implIS3_N6thrust23THRUST_200600_302600_NS6detail15normal_iteratorINS8_10device_ptrIbEEEENSA_INSB_IiEEEEjNS1_19radix_merge_compareILb1ELb0EbNS0_19identity_decomposerEEEEE10hipError_tT0_T1_T2_jT3_P12ihipStream_tbPNSt15iterator_traitsISK_E10value_typeEPNSQ_ISL_E10value_typeEPSM_NS1_7vsmem_tEENKUlT_SK_SL_SM_E_clIPbSD_PiSF_EESJ_SZ_SK_SL_SM_EUlSZ_E1_NS1_11comp_targetILNS1_3genE4ELNS1_11target_archE910ELNS1_3gpuE8ELNS1_3repE0EEENS1_36merge_oddeven_config_static_selectorELNS0_4arch9wavefront6targetE1EEEvSL_.has_dyn_sized_stack, 0
	.set _ZN7rocprim17ROCPRIM_400000_NS6detail17trampoline_kernelINS0_14default_configENS1_38merge_sort_block_merge_config_selectorIbiEEZZNS1_27merge_sort_block_merge_implIS3_N6thrust23THRUST_200600_302600_NS6detail15normal_iteratorINS8_10device_ptrIbEEEENSA_INSB_IiEEEEjNS1_19radix_merge_compareILb1ELb0EbNS0_19identity_decomposerEEEEE10hipError_tT0_T1_T2_jT3_P12ihipStream_tbPNSt15iterator_traitsISK_E10value_typeEPNSQ_ISL_E10value_typeEPSM_NS1_7vsmem_tEENKUlT_SK_SL_SM_E_clIPbSD_PiSF_EESJ_SZ_SK_SL_SM_EUlSZ_E1_NS1_11comp_targetILNS1_3genE4ELNS1_11target_archE910ELNS1_3gpuE8ELNS1_3repE0EEENS1_36merge_oddeven_config_static_selectorELNS0_4arch9wavefront6targetE1EEEvSL_.has_recursion, 0
	.set _ZN7rocprim17ROCPRIM_400000_NS6detail17trampoline_kernelINS0_14default_configENS1_38merge_sort_block_merge_config_selectorIbiEEZZNS1_27merge_sort_block_merge_implIS3_N6thrust23THRUST_200600_302600_NS6detail15normal_iteratorINS8_10device_ptrIbEEEENSA_INSB_IiEEEEjNS1_19radix_merge_compareILb1ELb0EbNS0_19identity_decomposerEEEEE10hipError_tT0_T1_T2_jT3_P12ihipStream_tbPNSt15iterator_traitsISK_E10value_typeEPNSQ_ISL_E10value_typeEPSM_NS1_7vsmem_tEENKUlT_SK_SL_SM_E_clIPbSD_PiSF_EESJ_SZ_SK_SL_SM_EUlSZ_E1_NS1_11comp_targetILNS1_3genE4ELNS1_11target_archE910ELNS1_3gpuE8ELNS1_3repE0EEENS1_36merge_oddeven_config_static_selectorELNS0_4arch9wavefront6targetE1EEEvSL_.has_indirect_call, 0
	.section	.AMDGPU.csdata,"",@progbits
; Kernel info:
; codeLenInByte = 0
; TotalNumSgprs: 6
; NumVgprs: 0
; NumAgprs: 0
; TotalNumVgprs: 0
; ScratchSize: 0
; MemoryBound: 0
; FloatMode: 240
; IeeeMode: 1
; LDSByteSize: 0 bytes/workgroup (compile time only)
; SGPRBlocks: 0
; VGPRBlocks: 0
; NumSGPRsForWavesPerEU: 6
; NumVGPRsForWavesPerEU: 1
; AccumOffset: 4
; Occupancy: 8
; WaveLimiterHint : 0
; COMPUTE_PGM_RSRC2:SCRATCH_EN: 0
; COMPUTE_PGM_RSRC2:USER_SGPR: 2
; COMPUTE_PGM_RSRC2:TRAP_HANDLER: 0
; COMPUTE_PGM_RSRC2:TGID_X_EN: 1
; COMPUTE_PGM_RSRC2:TGID_Y_EN: 0
; COMPUTE_PGM_RSRC2:TGID_Z_EN: 0
; COMPUTE_PGM_RSRC2:TIDIG_COMP_CNT: 0
; COMPUTE_PGM_RSRC3_GFX90A:ACCUM_OFFSET: 0
; COMPUTE_PGM_RSRC3_GFX90A:TG_SPLIT: 0
	.section	.text._ZN7rocprim17ROCPRIM_400000_NS6detail17trampoline_kernelINS0_14default_configENS1_38merge_sort_block_merge_config_selectorIbiEEZZNS1_27merge_sort_block_merge_implIS3_N6thrust23THRUST_200600_302600_NS6detail15normal_iteratorINS8_10device_ptrIbEEEENSA_INSB_IiEEEEjNS1_19radix_merge_compareILb1ELb0EbNS0_19identity_decomposerEEEEE10hipError_tT0_T1_T2_jT3_P12ihipStream_tbPNSt15iterator_traitsISK_E10value_typeEPNSQ_ISL_E10value_typeEPSM_NS1_7vsmem_tEENKUlT_SK_SL_SM_E_clIPbSD_PiSF_EESJ_SZ_SK_SL_SM_EUlSZ_E1_NS1_11comp_targetILNS1_3genE3ELNS1_11target_archE908ELNS1_3gpuE7ELNS1_3repE0EEENS1_36merge_oddeven_config_static_selectorELNS0_4arch9wavefront6targetE1EEEvSL_,"axG",@progbits,_ZN7rocprim17ROCPRIM_400000_NS6detail17trampoline_kernelINS0_14default_configENS1_38merge_sort_block_merge_config_selectorIbiEEZZNS1_27merge_sort_block_merge_implIS3_N6thrust23THRUST_200600_302600_NS6detail15normal_iteratorINS8_10device_ptrIbEEEENSA_INSB_IiEEEEjNS1_19radix_merge_compareILb1ELb0EbNS0_19identity_decomposerEEEEE10hipError_tT0_T1_T2_jT3_P12ihipStream_tbPNSt15iterator_traitsISK_E10value_typeEPNSQ_ISL_E10value_typeEPSM_NS1_7vsmem_tEENKUlT_SK_SL_SM_E_clIPbSD_PiSF_EESJ_SZ_SK_SL_SM_EUlSZ_E1_NS1_11comp_targetILNS1_3genE3ELNS1_11target_archE908ELNS1_3gpuE7ELNS1_3repE0EEENS1_36merge_oddeven_config_static_selectorELNS0_4arch9wavefront6targetE1EEEvSL_,comdat
	.protected	_ZN7rocprim17ROCPRIM_400000_NS6detail17trampoline_kernelINS0_14default_configENS1_38merge_sort_block_merge_config_selectorIbiEEZZNS1_27merge_sort_block_merge_implIS3_N6thrust23THRUST_200600_302600_NS6detail15normal_iteratorINS8_10device_ptrIbEEEENSA_INSB_IiEEEEjNS1_19radix_merge_compareILb1ELb0EbNS0_19identity_decomposerEEEEE10hipError_tT0_T1_T2_jT3_P12ihipStream_tbPNSt15iterator_traitsISK_E10value_typeEPNSQ_ISL_E10value_typeEPSM_NS1_7vsmem_tEENKUlT_SK_SL_SM_E_clIPbSD_PiSF_EESJ_SZ_SK_SL_SM_EUlSZ_E1_NS1_11comp_targetILNS1_3genE3ELNS1_11target_archE908ELNS1_3gpuE7ELNS1_3repE0EEENS1_36merge_oddeven_config_static_selectorELNS0_4arch9wavefront6targetE1EEEvSL_ ; -- Begin function _ZN7rocprim17ROCPRIM_400000_NS6detail17trampoline_kernelINS0_14default_configENS1_38merge_sort_block_merge_config_selectorIbiEEZZNS1_27merge_sort_block_merge_implIS3_N6thrust23THRUST_200600_302600_NS6detail15normal_iteratorINS8_10device_ptrIbEEEENSA_INSB_IiEEEEjNS1_19radix_merge_compareILb1ELb0EbNS0_19identity_decomposerEEEEE10hipError_tT0_T1_T2_jT3_P12ihipStream_tbPNSt15iterator_traitsISK_E10value_typeEPNSQ_ISL_E10value_typeEPSM_NS1_7vsmem_tEENKUlT_SK_SL_SM_E_clIPbSD_PiSF_EESJ_SZ_SK_SL_SM_EUlSZ_E1_NS1_11comp_targetILNS1_3genE3ELNS1_11target_archE908ELNS1_3gpuE7ELNS1_3repE0EEENS1_36merge_oddeven_config_static_selectorELNS0_4arch9wavefront6targetE1EEEvSL_
	.globl	_ZN7rocprim17ROCPRIM_400000_NS6detail17trampoline_kernelINS0_14default_configENS1_38merge_sort_block_merge_config_selectorIbiEEZZNS1_27merge_sort_block_merge_implIS3_N6thrust23THRUST_200600_302600_NS6detail15normal_iteratorINS8_10device_ptrIbEEEENSA_INSB_IiEEEEjNS1_19radix_merge_compareILb1ELb0EbNS0_19identity_decomposerEEEEE10hipError_tT0_T1_T2_jT3_P12ihipStream_tbPNSt15iterator_traitsISK_E10value_typeEPNSQ_ISL_E10value_typeEPSM_NS1_7vsmem_tEENKUlT_SK_SL_SM_E_clIPbSD_PiSF_EESJ_SZ_SK_SL_SM_EUlSZ_E1_NS1_11comp_targetILNS1_3genE3ELNS1_11target_archE908ELNS1_3gpuE7ELNS1_3repE0EEENS1_36merge_oddeven_config_static_selectorELNS0_4arch9wavefront6targetE1EEEvSL_
	.p2align	8
	.type	_ZN7rocprim17ROCPRIM_400000_NS6detail17trampoline_kernelINS0_14default_configENS1_38merge_sort_block_merge_config_selectorIbiEEZZNS1_27merge_sort_block_merge_implIS3_N6thrust23THRUST_200600_302600_NS6detail15normal_iteratorINS8_10device_ptrIbEEEENSA_INSB_IiEEEEjNS1_19radix_merge_compareILb1ELb0EbNS0_19identity_decomposerEEEEE10hipError_tT0_T1_T2_jT3_P12ihipStream_tbPNSt15iterator_traitsISK_E10value_typeEPNSQ_ISL_E10value_typeEPSM_NS1_7vsmem_tEENKUlT_SK_SL_SM_E_clIPbSD_PiSF_EESJ_SZ_SK_SL_SM_EUlSZ_E1_NS1_11comp_targetILNS1_3genE3ELNS1_11target_archE908ELNS1_3gpuE7ELNS1_3repE0EEENS1_36merge_oddeven_config_static_selectorELNS0_4arch9wavefront6targetE1EEEvSL_,@function
_ZN7rocprim17ROCPRIM_400000_NS6detail17trampoline_kernelINS0_14default_configENS1_38merge_sort_block_merge_config_selectorIbiEEZZNS1_27merge_sort_block_merge_implIS3_N6thrust23THRUST_200600_302600_NS6detail15normal_iteratorINS8_10device_ptrIbEEEENSA_INSB_IiEEEEjNS1_19radix_merge_compareILb1ELb0EbNS0_19identity_decomposerEEEEE10hipError_tT0_T1_T2_jT3_P12ihipStream_tbPNSt15iterator_traitsISK_E10value_typeEPNSQ_ISL_E10value_typeEPSM_NS1_7vsmem_tEENKUlT_SK_SL_SM_E_clIPbSD_PiSF_EESJ_SZ_SK_SL_SM_EUlSZ_E1_NS1_11comp_targetILNS1_3genE3ELNS1_11target_archE908ELNS1_3gpuE7ELNS1_3repE0EEENS1_36merge_oddeven_config_static_selectorELNS0_4arch9wavefront6targetE1EEEvSL_: ; @_ZN7rocprim17ROCPRIM_400000_NS6detail17trampoline_kernelINS0_14default_configENS1_38merge_sort_block_merge_config_selectorIbiEEZZNS1_27merge_sort_block_merge_implIS3_N6thrust23THRUST_200600_302600_NS6detail15normal_iteratorINS8_10device_ptrIbEEEENSA_INSB_IiEEEEjNS1_19radix_merge_compareILb1ELb0EbNS0_19identity_decomposerEEEEE10hipError_tT0_T1_T2_jT3_P12ihipStream_tbPNSt15iterator_traitsISK_E10value_typeEPNSQ_ISL_E10value_typeEPSM_NS1_7vsmem_tEENKUlT_SK_SL_SM_E_clIPbSD_PiSF_EESJ_SZ_SK_SL_SM_EUlSZ_E1_NS1_11comp_targetILNS1_3genE3ELNS1_11target_archE908ELNS1_3gpuE7ELNS1_3repE0EEENS1_36merge_oddeven_config_static_selectorELNS0_4arch9wavefront6targetE1EEEvSL_
; %bb.0:
	.section	.rodata,"a",@progbits
	.p2align	6, 0x0
	.amdhsa_kernel _ZN7rocprim17ROCPRIM_400000_NS6detail17trampoline_kernelINS0_14default_configENS1_38merge_sort_block_merge_config_selectorIbiEEZZNS1_27merge_sort_block_merge_implIS3_N6thrust23THRUST_200600_302600_NS6detail15normal_iteratorINS8_10device_ptrIbEEEENSA_INSB_IiEEEEjNS1_19radix_merge_compareILb1ELb0EbNS0_19identity_decomposerEEEEE10hipError_tT0_T1_T2_jT3_P12ihipStream_tbPNSt15iterator_traitsISK_E10value_typeEPNSQ_ISL_E10value_typeEPSM_NS1_7vsmem_tEENKUlT_SK_SL_SM_E_clIPbSD_PiSF_EESJ_SZ_SK_SL_SM_EUlSZ_E1_NS1_11comp_targetILNS1_3genE3ELNS1_11target_archE908ELNS1_3gpuE7ELNS1_3repE0EEENS1_36merge_oddeven_config_static_selectorELNS0_4arch9wavefront6targetE1EEEvSL_
		.amdhsa_group_segment_fixed_size 0
		.amdhsa_private_segment_fixed_size 0
		.amdhsa_kernarg_size 48
		.amdhsa_user_sgpr_count 2
		.amdhsa_user_sgpr_dispatch_ptr 0
		.amdhsa_user_sgpr_queue_ptr 0
		.amdhsa_user_sgpr_kernarg_segment_ptr 1
		.amdhsa_user_sgpr_dispatch_id 0
		.amdhsa_user_sgpr_kernarg_preload_length 0
		.amdhsa_user_sgpr_kernarg_preload_offset 0
		.amdhsa_user_sgpr_private_segment_size 0
		.amdhsa_uses_dynamic_stack 0
		.amdhsa_enable_private_segment 0
		.amdhsa_system_sgpr_workgroup_id_x 1
		.amdhsa_system_sgpr_workgroup_id_y 0
		.amdhsa_system_sgpr_workgroup_id_z 0
		.amdhsa_system_sgpr_workgroup_info 0
		.amdhsa_system_vgpr_workitem_id 0
		.amdhsa_next_free_vgpr 1
		.amdhsa_next_free_sgpr 0
		.amdhsa_accum_offset 4
		.amdhsa_reserve_vcc 0
		.amdhsa_float_round_mode_32 0
		.amdhsa_float_round_mode_16_64 0
		.amdhsa_float_denorm_mode_32 3
		.amdhsa_float_denorm_mode_16_64 3
		.amdhsa_dx10_clamp 1
		.amdhsa_ieee_mode 1
		.amdhsa_fp16_overflow 0
		.amdhsa_tg_split 0
		.amdhsa_exception_fp_ieee_invalid_op 0
		.amdhsa_exception_fp_denorm_src 0
		.amdhsa_exception_fp_ieee_div_zero 0
		.amdhsa_exception_fp_ieee_overflow 0
		.amdhsa_exception_fp_ieee_underflow 0
		.amdhsa_exception_fp_ieee_inexact 0
		.amdhsa_exception_int_div_zero 0
	.end_amdhsa_kernel
	.section	.text._ZN7rocprim17ROCPRIM_400000_NS6detail17trampoline_kernelINS0_14default_configENS1_38merge_sort_block_merge_config_selectorIbiEEZZNS1_27merge_sort_block_merge_implIS3_N6thrust23THRUST_200600_302600_NS6detail15normal_iteratorINS8_10device_ptrIbEEEENSA_INSB_IiEEEEjNS1_19radix_merge_compareILb1ELb0EbNS0_19identity_decomposerEEEEE10hipError_tT0_T1_T2_jT3_P12ihipStream_tbPNSt15iterator_traitsISK_E10value_typeEPNSQ_ISL_E10value_typeEPSM_NS1_7vsmem_tEENKUlT_SK_SL_SM_E_clIPbSD_PiSF_EESJ_SZ_SK_SL_SM_EUlSZ_E1_NS1_11comp_targetILNS1_3genE3ELNS1_11target_archE908ELNS1_3gpuE7ELNS1_3repE0EEENS1_36merge_oddeven_config_static_selectorELNS0_4arch9wavefront6targetE1EEEvSL_,"axG",@progbits,_ZN7rocprim17ROCPRIM_400000_NS6detail17trampoline_kernelINS0_14default_configENS1_38merge_sort_block_merge_config_selectorIbiEEZZNS1_27merge_sort_block_merge_implIS3_N6thrust23THRUST_200600_302600_NS6detail15normal_iteratorINS8_10device_ptrIbEEEENSA_INSB_IiEEEEjNS1_19radix_merge_compareILb1ELb0EbNS0_19identity_decomposerEEEEE10hipError_tT0_T1_T2_jT3_P12ihipStream_tbPNSt15iterator_traitsISK_E10value_typeEPNSQ_ISL_E10value_typeEPSM_NS1_7vsmem_tEENKUlT_SK_SL_SM_E_clIPbSD_PiSF_EESJ_SZ_SK_SL_SM_EUlSZ_E1_NS1_11comp_targetILNS1_3genE3ELNS1_11target_archE908ELNS1_3gpuE7ELNS1_3repE0EEENS1_36merge_oddeven_config_static_selectorELNS0_4arch9wavefront6targetE1EEEvSL_,comdat
.Lfunc_end2124:
	.size	_ZN7rocprim17ROCPRIM_400000_NS6detail17trampoline_kernelINS0_14default_configENS1_38merge_sort_block_merge_config_selectorIbiEEZZNS1_27merge_sort_block_merge_implIS3_N6thrust23THRUST_200600_302600_NS6detail15normal_iteratorINS8_10device_ptrIbEEEENSA_INSB_IiEEEEjNS1_19radix_merge_compareILb1ELb0EbNS0_19identity_decomposerEEEEE10hipError_tT0_T1_T2_jT3_P12ihipStream_tbPNSt15iterator_traitsISK_E10value_typeEPNSQ_ISL_E10value_typeEPSM_NS1_7vsmem_tEENKUlT_SK_SL_SM_E_clIPbSD_PiSF_EESJ_SZ_SK_SL_SM_EUlSZ_E1_NS1_11comp_targetILNS1_3genE3ELNS1_11target_archE908ELNS1_3gpuE7ELNS1_3repE0EEENS1_36merge_oddeven_config_static_selectorELNS0_4arch9wavefront6targetE1EEEvSL_, .Lfunc_end2124-_ZN7rocprim17ROCPRIM_400000_NS6detail17trampoline_kernelINS0_14default_configENS1_38merge_sort_block_merge_config_selectorIbiEEZZNS1_27merge_sort_block_merge_implIS3_N6thrust23THRUST_200600_302600_NS6detail15normal_iteratorINS8_10device_ptrIbEEEENSA_INSB_IiEEEEjNS1_19radix_merge_compareILb1ELb0EbNS0_19identity_decomposerEEEEE10hipError_tT0_T1_T2_jT3_P12ihipStream_tbPNSt15iterator_traitsISK_E10value_typeEPNSQ_ISL_E10value_typeEPSM_NS1_7vsmem_tEENKUlT_SK_SL_SM_E_clIPbSD_PiSF_EESJ_SZ_SK_SL_SM_EUlSZ_E1_NS1_11comp_targetILNS1_3genE3ELNS1_11target_archE908ELNS1_3gpuE7ELNS1_3repE0EEENS1_36merge_oddeven_config_static_selectorELNS0_4arch9wavefront6targetE1EEEvSL_
                                        ; -- End function
	.set _ZN7rocprim17ROCPRIM_400000_NS6detail17trampoline_kernelINS0_14default_configENS1_38merge_sort_block_merge_config_selectorIbiEEZZNS1_27merge_sort_block_merge_implIS3_N6thrust23THRUST_200600_302600_NS6detail15normal_iteratorINS8_10device_ptrIbEEEENSA_INSB_IiEEEEjNS1_19radix_merge_compareILb1ELb0EbNS0_19identity_decomposerEEEEE10hipError_tT0_T1_T2_jT3_P12ihipStream_tbPNSt15iterator_traitsISK_E10value_typeEPNSQ_ISL_E10value_typeEPSM_NS1_7vsmem_tEENKUlT_SK_SL_SM_E_clIPbSD_PiSF_EESJ_SZ_SK_SL_SM_EUlSZ_E1_NS1_11comp_targetILNS1_3genE3ELNS1_11target_archE908ELNS1_3gpuE7ELNS1_3repE0EEENS1_36merge_oddeven_config_static_selectorELNS0_4arch9wavefront6targetE1EEEvSL_.num_vgpr, 0
	.set _ZN7rocprim17ROCPRIM_400000_NS6detail17trampoline_kernelINS0_14default_configENS1_38merge_sort_block_merge_config_selectorIbiEEZZNS1_27merge_sort_block_merge_implIS3_N6thrust23THRUST_200600_302600_NS6detail15normal_iteratorINS8_10device_ptrIbEEEENSA_INSB_IiEEEEjNS1_19radix_merge_compareILb1ELb0EbNS0_19identity_decomposerEEEEE10hipError_tT0_T1_T2_jT3_P12ihipStream_tbPNSt15iterator_traitsISK_E10value_typeEPNSQ_ISL_E10value_typeEPSM_NS1_7vsmem_tEENKUlT_SK_SL_SM_E_clIPbSD_PiSF_EESJ_SZ_SK_SL_SM_EUlSZ_E1_NS1_11comp_targetILNS1_3genE3ELNS1_11target_archE908ELNS1_3gpuE7ELNS1_3repE0EEENS1_36merge_oddeven_config_static_selectorELNS0_4arch9wavefront6targetE1EEEvSL_.num_agpr, 0
	.set _ZN7rocprim17ROCPRIM_400000_NS6detail17trampoline_kernelINS0_14default_configENS1_38merge_sort_block_merge_config_selectorIbiEEZZNS1_27merge_sort_block_merge_implIS3_N6thrust23THRUST_200600_302600_NS6detail15normal_iteratorINS8_10device_ptrIbEEEENSA_INSB_IiEEEEjNS1_19radix_merge_compareILb1ELb0EbNS0_19identity_decomposerEEEEE10hipError_tT0_T1_T2_jT3_P12ihipStream_tbPNSt15iterator_traitsISK_E10value_typeEPNSQ_ISL_E10value_typeEPSM_NS1_7vsmem_tEENKUlT_SK_SL_SM_E_clIPbSD_PiSF_EESJ_SZ_SK_SL_SM_EUlSZ_E1_NS1_11comp_targetILNS1_3genE3ELNS1_11target_archE908ELNS1_3gpuE7ELNS1_3repE0EEENS1_36merge_oddeven_config_static_selectorELNS0_4arch9wavefront6targetE1EEEvSL_.numbered_sgpr, 0
	.set _ZN7rocprim17ROCPRIM_400000_NS6detail17trampoline_kernelINS0_14default_configENS1_38merge_sort_block_merge_config_selectorIbiEEZZNS1_27merge_sort_block_merge_implIS3_N6thrust23THRUST_200600_302600_NS6detail15normal_iteratorINS8_10device_ptrIbEEEENSA_INSB_IiEEEEjNS1_19radix_merge_compareILb1ELb0EbNS0_19identity_decomposerEEEEE10hipError_tT0_T1_T2_jT3_P12ihipStream_tbPNSt15iterator_traitsISK_E10value_typeEPNSQ_ISL_E10value_typeEPSM_NS1_7vsmem_tEENKUlT_SK_SL_SM_E_clIPbSD_PiSF_EESJ_SZ_SK_SL_SM_EUlSZ_E1_NS1_11comp_targetILNS1_3genE3ELNS1_11target_archE908ELNS1_3gpuE7ELNS1_3repE0EEENS1_36merge_oddeven_config_static_selectorELNS0_4arch9wavefront6targetE1EEEvSL_.num_named_barrier, 0
	.set _ZN7rocprim17ROCPRIM_400000_NS6detail17trampoline_kernelINS0_14default_configENS1_38merge_sort_block_merge_config_selectorIbiEEZZNS1_27merge_sort_block_merge_implIS3_N6thrust23THRUST_200600_302600_NS6detail15normal_iteratorINS8_10device_ptrIbEEEENSA_INSB_IiEEEEjNS1_19radix_merge_compareILb1ELb0EbNS0_19identity_decomposerEEEEE10hipError_tT0_T1_T2_jT3_P12ihipStream_tbPNSt15iterator_traitsISK_E10value_typeEPNSQ_ISL_E10value_typeEPSM_NS1_7vsmem_tEENKUlT_SK_SL_SM_E_clIPbSD_PiSF_EESJ_SZ_SK_SL_SM_EUlSZ_E1_NS1_11comp_targetILNS1_3genE3ELNS1_11target_archE908ELNS1_3gpuE7ELNS1_3repE0EEENS1_36merge_oddeven_config_static_selectorELNS0_4arch9wavefront6targetE1EEEvSL_.private_seg_size, 0
	.set _ZN7rocprim17ROCPRIM_400000_NS6detail17trampoline_kernelINS0_14default_configENS1_38merge_sort_block_merge_config_selectorIbiEEZZNS1_27merge_sort_block_merge_implIS3_N6thrust23THRUST_200600_302600_NS6detail15normal_iteratorINS8_10device_ptrIbEEEENSA_INSB_IiEEEEjNS1_19radix_merge_compareILb1ELb0EbNS0_19identity_decomposerEEEEE10hipError_tT0_T1_T2_jT3_P12ihipStream_tbPNSt15iterator_traitsISK_E10value_typeEPNSQ_ISL_E10value_typeEPSM_NS1_7vsmem_tEENKUlT_SK_SL_SM_E_clIPbSD_PiSF_EESJ_SZ_SK_SL_SM_EUlSZ_E1_NS1_11comp_targetILNS1_3genE3ELNS1_11target_archE908ELNS1_3gpuE7ELNS1_3repE0EEENS1_36merge_oddeven_config_static_selectorELNS0_4arch9wavefront6targetE1EEEvSL_.uses_vcc, 0
	.set _ZN7rocprim17ROCPRIM_400000_NS6detail17trampoline_kernelINS0_14default_configENS1_38merge_sort_block_merge_config_selectorIbiEEZZNS1_27merge_sort_block_merge_implIS3_N6thrust23THRUST_200600_302600_NS6detail15normal_iteratorINS8_10device_ptrIbEEEENSA_INSB_IiEEEEjNS1_19radix_merge_compareILb1ELb0EbNS0_19identity_decomposerEEEEE10hipError_tT0_T1_T2_jT3_P12ihipStream_tbPNSt15iterator_traitsISK_E10value_typeEPNSQ_ISL_E10value_typeEPSM_NS1_7vsmem_tEENKUlT_SK_SL_SM_E_clIPbSD_PiSF_EESJ_SZ_SK_SL_SM_EUlSZ_E1_NS1_11comp_targetILNS1_3genE3ELNS1_11target_archE908ELNS1_3gpuE7ELNS1_3repE0EEENS1_36merge_oddeven_config_static_selectorELNS0_4arch9wavefront6targetE1EEEvSL_.uses_flat_scratch, 0
	.set _ZN7rocprim17ROCPRIM_400000_NS6detail17trampoline_kernelINS0_14default_configENS1_38merge_sort_block_merge_config_selectorIbiEEZZNS1_27merge_sort_block_merge_implIS3_N6thrust23THRUST_200600_302600_NS6detail15normal_iteratorINS8_10device_ptrIbEEEENSA_INSB_IiEEEEjNS1_19radix_merge_compareILb1ELb0EbNS0_19identity_decomposerEEEEE10hipError_tT0_T1_T2_jT3_P12ihipStream_tbPNSt15iterator_traitsISK_E10value_typeEPNSQ_ISL_E10value_typeEPSM_NS1_7vsmem_tEENKUlT_SK_SL_SM_E_clIPbSD_PiSF_EESJ_SZ_SK_SL_SM_EUlSZ_E1_NS1_11comp_targetILNS1_3genE3ELNS1_11target_archE908ELNS1_3gpuE7ELNS1_3repE0EEENS1_36merge_oddeven_config_static_selectorELNS0_4arch9wavefront6targetE1EEEvSL_.has_dyn_sized_stack, 0
	.set _ZN7rocprim17ROCPRIM_400000_NS6detail17trampoline_kernelINS0_14default_configENS1_38merge_sort_block_merge_config_selectorIbiEEZZNS1_27merge_sort_block_merge_implIS3_N6thrust23THRUST_200600_302600_NS6detail15normal_iteratorINS8_10device_ptrIbEEEENSA_INSB_IiEEEEjNS1_19radix_merge_compareILb1ELb0EbNS0_19identity_decomposerEEEEE10hipError_tT0_T1_T2_jT3_P12ihipStream_tbPNSt15iterator_traitsISK_E10value_typeEPNSQ_ISL_E10value_typeEPSM_NS1_7vsmem_tEENKUlT_SK_SL_SM_E_clIPbSD_PiSF_EESJ_SZ_SK_SL_SM_EUlSZ_E1_NS1_11comp_targetILNS1_3genE3ELNS1_11target_archE908ELNS1_3gpuE7ELNS1_3repE0EEENS1_36merge_oddeven_config_static_selectorELNS0_4arch9wavefront6targetE1EEEvSL_.has_recursion, 0
	.set _ZN7rocprim17ROCPRIM_400000_NS6detail17trampoline_kernelINS0_14default_configENS1_38merge_sort_block_merge_config_selectorIbiEEZZNS1_27merge_sort_block_merge_implIS3_N6thrust23THRUST_200600_302600_NS6detail15normal_iteratorINS8_10device_ptrIbEEEENSA_INSB_IiEEEEjNS1_19radix_merge_compareILb1ELb0EbNS0_19identity_decomposerEEEEE10hipError_tT0_T1_T2_jT3_P12ihipStream_tbPNSt15iterator_traitsISK_E10value_typeEPNSQ_ISL_E10value_typeEPSM_NS1_7vsmem_tEENKUlT_SK_SL_SM_E_clIPbSD_PiSF_EESJ_SZ_SK_SL_SM_EUlSZ_E1_NS1_11comp_targetILNS1_3genE3ELNS1_11target_archE908ELNS1_3gpuE7ELNS1_3repE0EEENS1_36merge_oddeven_config_static_selectorELNS0_4arch9wavefront6targetE1EEEvSL_.has_indirect_call, 0
	.section	.AMDGPU.csdata,"",@progbits
; Kernel info:
; codeLenInByte = 0
; TotalNumSgprs: 6
; NumVgprs: 0
; NumAgprs: 0
; TotalNumVgprs: 0
; ScratchSize: 0
; MemoryBound: 0
; FloatMode: 240
; IeeeMode: 1
; LDSByteSize: 0 bytes/workgroup (compile time only)
; SGPRBlocks: 0
; VGPRBlocks: 0
; NumSGPRsForWavesPerEU: 6
; NumVGPRsForWavesPerEU: 1
; AccumOffset: 4
; Occupancy: 8
; WaveLimiterHint : 0
; COMPUTE_PGM_RSRC2:SCRATCH_EN: 0
; COMPUTE_PGM_RSRC2:USER_SGPR: 2
; COMPUTE_PGM_RSRC2:TRAP_HANDLER: 0
; COMPUTE_PGM_RSRC2:TGID_X_EN: 1
; COMPUTE_PGM_RSRC2:TGID_Y_EN: 0
; COMPUTE_PGM_RSRC2:TGID_Z_EN: 0
; COMPUTE_PGM_RSRC2:TIDIG_COMP_CNT: 0
; COMPUTE_PGM_RSRC3_GFX90A:ACCUM_OFFSET: 0
; COMPUTE_PGM_RSRC3_GFX90A:TG_SPLIT: 0
	.section	.text._ZN7rocprim17ROCPRIM_400000_NS6detail17trampoline_kernelINS0_14default_configENS1_38merge_sort_block_merge_config_selectorIbiEEZZNS1_27merge_sort_block_merge_implIS3_N6thrust23THRUST_200600_302600_NS6detail15normal_iteratorINS8_10device_ptrIbEEEENSA_INSB_IiEEEEjNS1_19radix_merge_compareILb1ELb0EbNS0_19identity_decomposerEEEEE10hipError_tT0_T1_T2_jT3_P12ihipStream_tbPNSt15iterator_traitsISK_E10value_typeEPNSQ_ISL_E10value_typeEPSM_NS1_7vsmem_tEENKUlT_SK_SL_SM_E_clIPbSD_PiSF_EESJ_SZ_SK_SL_SM_EUlSZ_E1_NS1_11comp_targetILNS1_3genE2ELNS1_11target_archE906ELNS1_3gpuE6ELNS1_3repE0EEENS1_36merge_oddeven_config_static_selectorELNS0_4arch9wavefront6targetE1EEEvSL_,"axG",@progbits,_ZN7rocprim17ROCPRIM_400000_NS6detail17trampoline_kernelINS0_14default_configENS1_38merge_sort_block_merge_config_selectorIbiEEZZNS1_27merge_sort_block_merge_implIS3_N6thrust23THRUST_200600_302600_NS6detail15normal_iteratorINS8_10device_ptrIbEEEENSA_INSB_IiEEEEjNS1_19radix_merge_compareILb1ELb0EbNS0_19identity_decomposerEEEEE10hipError_tT0_T1_T2_jT3_P12ihipStream_tbPNSt15iterator_traitsISK_E10value_typeEPNSQ_ISL_E10value_typeEPSM_NS1_7vsmem_tEENKUlT_SK_SL_SM_E_clIPbSD_PiSF_EESJ_SZ_SK_SL_SM_EUlSZ_E1_NS1_11comp_targetILNS1_3genE2ELNS1_11target_archE906ELNS1_3gpuE6ELNS1_3repE0EEENS1_36merge_oddeven_config_static_selectorELNS0_4arch9wavefront6targetE1EEEvSL_,comdat
	.protected	_ZN7rocprim17ROCPRIM_400000_NS6detail17trampoline_kernelINS0_14default_configENS1_38merge_sort_block_merge_config_selectorIbiEEZZNS1_27merge_sort_block_merge_implIS3_N6thrust23THRUST_200600_302600_NS6detail15normal_iteratorINS8_10device_ptrIbEEEENSA_INSB_IiEEEEjNS1_19radix_merge_compareILb1ELb0EbNS0_19identity_decomposerEEEEE10hipError_tT0_T1_T2_jT3_P12ihipStream_tbPNSt15iterator_traitsISK_E10value_typeEPNSQ_ISL_E10value_typeEPSM_NS1_7vsmem_tEENKUlT_SK_SL_SM_E_clIPbSD_PiSF_EESJ_SZ_SK_SL_SM_EUlSZ_E1_NS1_11comp_targetILNS1_3genE2ELNS1_11target_archE906ELNS1_3gpuE6ELNS1_3repE0EEENS1_36merge_oddeven_config_static_selectorELNS0_4arch9wavefront6targetE1EEEvSL_ ; -- Begin function _ZN7rocprim17ROCPRIM_400000_NS6detail17trampoline_kernelINS0_14default_configENS1_38merge_sort_block_merge_config_selectorIbiEEZZNS1_27merge_sort_block_merge_implIS3_N6thrust23THRUST_200600_302600_NS6detail15normal_iteratorINS8_10device_ptrIbEEEENSA_INSB_IiEEEEjNS1_19radix_merge_compareILb1ELb0EbNS0_19identity_decomposerEEEEE10hipError_tT0_T1_T2_jT3_P12ihipStream_tbPNSt15iterator_traitsISK_E10value_typeEPNSQ_ISL_E10value_typeEPSM_NS1_7vsmem_tEENKUlT_SK_SL_SM_E_clIPbSD_PiSF_EESJ_SZ_SK_SL_SM_EUlSZ_E1_NS1_11comp_targetILNS1_3genE2ELNS1_11target_archE906ELNS1_3gpuE6ELNS1_3repE0EEENS1_36merge_oddeven_config_static_selectorELNS0_4arch9wavefront6targetE1EEEvSL_
	.globl	_ZN7rocprim17ROCPRIM_400000_NS6detail17trampoline_kernelINS0_14default_configENS1_38merge_sort_block_merge_config_selectorIbiEEZZNS1_27merge_sort_block_merge_implIS3_N6thrust23THRUST_200600_302600_NS6detail15normal_iteratorINS8_10device_ptrIbEEEENSA_INSB_IiEEEEjNS1_19radix_merge_compareILb1ELb0EbNS0_19identity_decomposerEEEEE10hipError_tT0_T1_T2_jT3_P12ihipStream_tbPNSt15iterator_traitsISK_E10value_typeEPNSQ_ISL_E10value_typeEPSM_NS1_7vsmem_tEENKUlT_SK_SL_SM_E_clIPbSD_PiSF_EESJ_SZ_SK_SL_SM_EUlSZ_E1_NS1_11comp_targetILNS1_3genE2ELNS1_11target_archE906ELNS1_3gpuE6ELNS1_3repE0EEENS1_36merge_oddeven_config_static_selectorELNS0_4arch9wavefront6targetE1EEEvSL_
	.p2align	8
	.type	_ZN7rocprim17ROCPRIM_400000_NS6detail17trampoline_kernelINS0_14default_configENS1_38merge_sort_block_merge_config_selectorIbiEEZZNS1_27merge_sort_block_merge_implIS3_N6thrust23THRUST_200600_302600_NS6detail15normal_iteratorINS8_10device_ptrIbEEEENSA_INSB_IiEEEEjNS1_19radix_merge_compareILb1ELb0EbNS0_19identity_decomposerEEEEE10hipError_tT0_T1_T2_jT3_P12ihipStream_tbPNSt15iterator_traitsISK_E10value_typeEPNSQ_ISL_E10value_typeEPSM_NS1_7vsmem_tEENKUlT_SK_SL_SM_E_clIPbSD_PiSF_EESJ_SZ_SK_SL_SM_EUlSZ_E1_NS1_11comp_targetILNS1_3genE2ELNS1_11target_archE906ELNS1_3gpuE6ELNS1_3repE0EEENS1_36merge_oddeven_config_static_selectorELNS0_4arch9wavefront6targetE1EEEvSL_,@function
_ZN7rocprim17ROCPRIM_400000_NS6detail17trampoline_kernelINS0_14default_configENS1_38merge_sort_block_merge_config_selectorIbiEEZZNS1_27merge_sort_block_merge_implIS3_N6thrust23THRUST_200600_302600_NS6detail15normal_iteratorINS8_10device_ptrIbEEEENSA_INSB_IiEEEEjNS1_19radix_merge_compareILb1ELb0EbNS0_19identity_decomposerEEEEE10hipError_tT0_T1_T2_jT3_P12ihipStream_tbPNSt15iterator_traitsISK_E10value_typeEPNSQ_ISL_E10value_typeEPSM_NS1_7vsmem_tEENKUlT_SK_SL_SM_E_clIPbSD_PiSF_EESJ_SZ_SK_SL_SM_EUlSZ_E1_NS1_11comp_targetILNS1_3genE2ELNS1_11target_archE906ELNS1_3gpuE6ELNS1_3repE0EEENS1_36merge_oddeven_config_static_selectorELNS0_4arch9wavefront6targetE1EEEvSL_: ; @_ZN7rocprim17ROCPRIM_400000_NS6detail17trampoline_kernelINS0_14default_configENS1_38merge_sort_block_merge_config_selectorIbiEEZZNS1_27merge_sort_block_merge_implIS3_N6thrust23THRUST_200600_302600_NS6detail15normal_iteratorINS8_10device_ptrIbEEEENSA_INSB_IiEEEEjNS1_19radix_merge_compareILb1ELb0EbNS0_19identity_decomposerEEEEE10hipError_tT0_T1_T2_jT3_P12ihipStream_tbPNSt15iterator_traitsISK_E10value_typeEPNSQ_ISL_E10value_typeEPSM_NS1_7vsmem_tEENKUlT_SK_SL_SM_E_clIPbSD_PiSF_EESJ_SZ_SK_SL_SM_EUlSZ_E1_NS1_11comp_targetILNS1_3genE2ELNS1_11target_archE906ELNS1_3gpuE6ELNS1_3repE0EEENS1_36merge_oddeven_config_static_selectorELNS0_4arch9wavefront6targetE1EEEvSL_
; %bb.0:
	.section	.rodata,"a",@progbits
	.p2align	6, 0x0
	.amdhsa_kernel _ZN7rocprim17ROCPRIM_400000_NS6detail17trampoline_kernelINS0_14default_configENS1_38merge_sort_block_merge_config_selectorIbiEEZZNS1_27merge_sort_block_merge_implIS3_N6thrust23THRUST_200600_302600_NS6detail15normal_iteratorINS8_10device_ptrIbEEEENSA_INSB_IiEEEEjNS1_19radix_merge_compareILb1ELb0EbNS0_19identity_decomposerEEEEE10hipError_tT0_T1_T2_jT3_P12ihipStream_tbPNSt15iterator_traitsISK_E10value_typeEPNSQ_ISL_E10value_typeEPSM_NS1_7vsmem_tEENKUlT_SK_SL_SM_E_clIPbSD_PiSF_EESJ_SZ_SK_SL_SM_EUlSZ_E1_NS1_11comp_targetILNS1_3genE2ELNS1_11target_archE906ELNS1_3gpuE6ELNS1_3repE0EEENS1_36merge_oddeven_config_static_selectorELNS0_4arch9wavefront6targetE1EEEvSL_
		.amdhsa_group_segment_fixed_size 0
		.amdhsa_private_segment_fixed_size 0
		.amdhsa_kernarg_size 48
		.amdhsa_user_sgpr_count 2
		.amdhsa_user_sgpr_dispatch_ptr 0
		.amdhsa_user_sgpr_queue_ptr 0
		.amdhsa_user_sgpr_kernarg_segment_ptr 1
		.amdhsa_user_sgpr_dispatch_id 0
		.amdhsa_user_sgpr_kernarg_preload_length 0
		.amdhsa_user_sgpr_kernarg_preload_offset 0
		.amdhsa_user_sgpr_private_segment_size 0
		.amdhsa_uses_dynamic_stack 0
		.amdhsa_enable_private_segment 0
		.amdhsa_system_sgpr_workgroup_id_x 1
		.amdhsa_system_sgpr_workgroup_id_y 0
		.amdhsa_system_sgpr_workgroup_id_z 0
		.amdhsa_system_sgpr_workgroup_info 0
		.amdhsa_system_vgpr_workitem_id 0
		.amdhsa_next_free_vgpr 1
		.amdhsa_next_free_sgpr 0
		.amdhsa_accum_offset 4
		.amdhsa_reserve_vcc 0
		.amdhsa_float_round_mode_32 0
		.amdhsa_float_round_mode_16_64 0
		.amdhsa_float_denorm_mode_32 3
		.amdhsa_float_denorm_mode_16_64 3
		.amdhsa_dx10_clamp 1
		.amdhsa_ieee_mode 1
		.amdhsa_fp16_overflow 0
		.amdhsa_tg_split 0
		.amdhsa_exception_fp_ieee_invalid_op 0
		.amdhsa_exception_fp_denorm_src 0
		.amdhsa_exception_fp_ieee_div_zero 0
		.amdhsa_exception_fp_ieee_overflow 0
		.amdhsa_exception_fp_ieee_underflow 0
		.amdhsa_exception_fp_ieee_inexact 0
		.amdhsa_exception_int_div_zero 0
	.end_amdhsa_kernel
	.section	.text._ZN7rocprim17ROCPRIM_400000_NS6detail17trampoline_kernelINS0_14default_configENS1_38merge_sort_block_merge_config_selectorIbiEEZZNS1_27merge_sort_block_merge_implIS3_N6thrust23THRUST_200600_302600_NS6detail15normal_iteratorINS8_10device_ptrIbEEEENSA_INSB_IiEEEEjNS1_19radix_merge_compareILb1ELb0EbNS0_19identity_decomposerEEEEE10hipError_tT0_T1_T2_jT3_P12ihipStream_tbPNSt15iterator_traitsISK_E10value_typeEPNSQ_ISL_E10value_typeEPSM_NS1_7vsmem_tEENKUlT_SK_SL_SM_E_clIPbSD_PiSF_EESJ_SZ_SK_SL_SM_EUlSZ_E1_NS1_11comp_targetILNS1_3genE2ELNS1_11target_archE906ELNS1_3gpuE6ELNS1_3repE0EEENS1_36merge_oddeven_config_static_selectorELNS0_4arch9wavefront6targetE1EEEvSL_,"axG",@progbits,_ZN7rocprim17ROCPRIM_400000_NS6detail17trampoline_kernelINS0_14default_configENS1_38merge_sort_block_merge_config_selectorIbiEEZZNS1_27merge_sort_block_merge_implIS3_N6thrust23THRUST_200600_302600_NS6detail15normal_iteratorINS8_10device_ptrIbEEEENSA_INSB_IiEEEEjNS1_19radix_merge_compareILb1ELb0EbNS0_19identity_decomposerEEEEE10hipError_tT0_T1_T2_jT3_P12ihipStream_tbPNSt15iterator_traitsISK_E10value_typeEPNSQ_ISL_E10value_typeEPSM_NS1_7vsmem_tEENKUlT_SK_SL_SM_E_clIPbSD_PiSF_EESJ_SZ_SK_SL_SM_EUlSZ_E1_NS1_11comp_targetILNS1_3genE2ELNS1_11target_archE906ELNS1_3gpuE6ELNS1_3repE0EEENS1_36merge_oddeven_config_static_selectorELNS0_4arch9wavefront6targetE1EEEvSL_,comdat
.Lfunc_end2125:
	.size	_ZN7rocprim17ROCPRIM_400000_NS6detail17trampoline_kernelINS0_14default_configENS1_38merge_sort_block_merge_config_selectorIbiEEZZNS1_27merge_sort_block_merge_implIS3_N6thrust23THRUST_200600_302600_NS6detail15normal_iteratorINS8_10device_ptrIbEEEENSA_INSB_IiEEEEjNS1_19radix_merge_compareILb1ELb0EbNS0_19identity_decomposerEEEEE10hipError_tT0_T1_T2_jT3_P12ihipStream_tbPNSt15iterator_traitsISK_E10value_typeEPNSQ_ISL_E10value_typeEPSM_NS1_7vsmem_tEENKUlT_SK_SL_SM_E_clIPbSD_PiSF_EESJ_SZ_SK_SL_SM_EUlSZ_E1_NS1_11comp_targetILNS1_3genE2ELNS1_11target_archE906ELNS1_3gpuE6ELNS1_3repE0EEENS1_36merge_oddeven_config_static_selectorELNS0_4arch9wavefront6targetE1EEEvSL_, .Lfunc_end2125-_ZN7rocprim17ROCPRIM_400000_NS6detail17trampoline_kernelINS0_14default_configENS1_38merge_sort_block_merge_config_selectorIbiEEZZNS1_27merge_sort_block_merge_implIS3_N6thrust23THRUST_200600_302600_NS6detail15normal_iteratorINS8_10device_ptrIbEEEENSA_INSB_IiEEEEjNS1_19radix_merge_compareILb1ELb0EbNS0_19identity_decomposerEEEEE10hipError_tT0_T1_T2_jT3_P12ihipStream_tbPNSt15iterator_traitsISK_E10value_typeEPNSQ_ISL_E10value_typeEPSM_NS1_7vsmem_tEENKUlT_SK_SL_SM_E_clIPbSD_PiSF_EESJ_SZ_SK_SL_SM_EUlSZ_E1_NS1_11comp_targetILNS1_3genE2ELNS1_11target_archE906ELNS1_3gpuE6ELNS1_3repE0EEENS1_36merge_oddeven_config_static_selectorELNS0_4arch9wavefront6targetE1EEEvSL_
                                        ; -- End function
	.set _ZN7rocprim17ROCPRIM_400000_NS6detail17trampoline_kernelINS0_14default_configENS1_38merge_sort_block_merge_config_selectorIbiEEZZNS1_27merge_sort_block_merge_implIS3_N6thrust23THRUST_200600_302600_NS6detail15normal_iteratorINS8_10device_ptrIbEEEENSA_INSB_IiEEEEjNS1_19radix_merge_compareILb1ELb0EbNS0_19identity_decomposerEEEEE10hipError_tT0_T1_T2_jT3_P12ihipStream_tbPNSt15iterator_traitsISK_E10value_typeEPNSQ_ISL_E10value_typeEPSM_NS1_7vsmem_tEENKUlT_SK_SL_SM_E_clIPbSD_PiSF_EESJ_SZ_SK_SL_SM_EUlSZ_E1_NS1_11comp_targetILNS1_3genE2ELNS1_11target_archE906ELNS1_3gpuE6ELNS1_3repE0EEENS1_36merge_oddeven_config_static_selectorELNS0_4arch9wavefront6targetE1EEEvSL_.num_vgpr, 0
	.set _ZN7rocprim17ROCPRIM_400000_NS6detail17trampoline_kernelINS0_14default_configENS1_38merge_sort_block_merge_config_selectorIbiEEZZNS1_27merge_sort_block_merge_implIS3_N6thrust23THRUST_200600_302600_NS6detail15normal_iteratorINS8_10device_ptrIbEEEENSA_INSB_IiEEEEjNS1_19radix_merge_compareILb1ELb0EbNS0_19identity_decomposerEEEEE10hipError_tT0_T1_T2_jT3_P12ihipStream_tbPNSt15iterator_traitsISK_E10value_typeEPNSQ_ISL_E10value_typeEPSM_NS1_7vsmem_tEENKUlT_SK_SL_SM_E_clIPbSD_PiSF_EESJ_SZ_SK_SL_SM_EUlSZ_E1_NS1_11comp_targetILNS1_3genE2ELNS1_11target_archE906ELNS1_3gpuE6ELNS1_3repE0EEENS1_36merge_oddeven_config_static_selectorELNS0_4arch9wavefront6targetE1EEEvSL_.num_agpr, 0
	.set _ZN7rocprim17ROCPRIM_400000_NS6detail17trampoline_kernelINS0_14default_configENS1_38merge_sort_block_merge_config_selectorIbiEEZZNS1_27merge_sort_block_merge_implIS3_N6thrust23THRUST_200600_302600_NS6detail15normal_iteratorINS8_10device_ptrIbEEEENSA_INSB_IiEEEEjNS1_19radix_merge_compareILb1ELb0EbNS0_19identity_decomposerEEEEE10hipError_tT0_T1_T2_jT3_P12ihipStream_tbPNSt15iterator_traitsISK_E10value_typeEPNSQ_ISL_E10value_typeEPSM_NS1_7vsmem_tEENKUlT_SK_SL_SM_E_clIPbSD_PiSF_EESJ_SZ_SK_SL_SM_EUlSZ_E1_NS1_11comp_targetILNS1_3genE2ELNS1_11target_archE906ELNS1_3gpuE6ELNS1_3repE0EEENS1_36merge_oddeven_config_static_selectorELNS0_4arch9wavefront6targetE1EEEvSL_.numbered_sgpr, 0
	.set _ZN7rocprim17ROCPRIM_400000_NS6detail17trampoline_kernelINS0_14default_configENS1_38merge_sort_block_merge_config_selectorIbiEEZZNS1_27merge_sort_block_merge_implIS3_N6thrust23THRUST_200600_302600_NS6detail15normal_iteratorINS8_10device_ptrIbEEEENSA_INSB_IiEEEEjNS1_19radix_merge_compareILb1ELb0EbNS0_19identity_decomposerEEEEE10hipError_tT0_T1_T2_jT3_P12ihipStream_tbPNSt15iterator_traitsISK_E10value_typeEPNSQ_ISL_E10value_typeEPSM_NS1_7vsmem_tEENKUlT_SK_SL_SM_E_clIPbSD_PiSF_EESJ_SZ_SK_SL_SM_EUlSZ_E1_NS1_11comp_targetILNS1_3genE2ELNS1_11target_archE906ELNS1_3gpuE6ELNS1_3repE0EEENS1_36merge_oddeven_config_static_selectorELNS0_4arch9wavefront6targetE1EEEvSL_.num_named_barrier, 0
	.set _ZN7rocprim17ROCPRIM_400000_NS6detail17trampoline_kernelINS0_14default_configENS1_38merge_sort_block_merge_config_selectorIbiEEZZNS1_27merge_sort_block_merge_implIS3_N6thrust23THRUST_200600_302600_NS6detail15normal_iteratorINS8_10device_ptrIbEEEENSA_INSB_IiEEEEjNS1_19radix_merge_compareILb1ELb0EbNS0_19identity_decomposerEEEEE10hipError_tT0_T1_T2_jT3_P12ihipStream_tbPNSt15iterator_traitsISK_E10value_typeEPNSQ_ISL_E10value_typeEPSM_NS1_7vsmem_tEENKUlT_SK_SL_SM_E_clIPbSD_PiSF_EESJ_SZ_SK_SL_SM_EUlSZ_E1_NS1_11comp_targetILNS1_3genE2ELNS1_11target_archE906ELNS1_3gpuE6ELNS1_3repE0EEENS1_36merge_oddeven_config_static_selectorELNS0_4arch9wavefront6targetE1EEEvSL_.private_seg_size, 0
	.set _ZN7rocprim17ROCPRIM_400000_NS6detail17trampoline_kernelINS0_14default_configENS1_38merge_sort_block_merge_config_selectorIbiEEZZNS1_27merge_sort_block_merge_implIS3_N6thrust23THRUST_200600_302600_NS6detail15normal_iteratorINS8_10device_ptrIbEEEENSA_INSB_IiEEEEjNS1_19radix_merge_compareILb1ELb0EbNS0_19identity_decomposerEEEEE10hipError_tT0_T1_T2_jT3_P12ihipStream_tbPNSt15iterator_traitsISK_E10value_typeEPNSQ_ISL_E10value_typeEPSM_NS1_7vsmem_tEENKUlT_SK_SL_SM_E_clIPbSD_PiSF_EESJ_SZ_SK_SL_SM_EUlSZ_E1_NS1_11comp_targetILNS1_3genE2ELNS1_11target_archE906ELNS1_3gpuE6ELNS1_3repE0EEENS1_36merge_oddeven_config_static_selectorELNS0_4arch9wavefront6targetE1EEEvSL_.uses_vcc, 0
	.set _ZN7rocprim17ROCPRIM_400000_NS6detail17trampoline_kernelINS0_14default_configENS1_38merge_sort_block_merge_config_selectorIbiEEZZNS1_27merge_sort_block_merge_implIS3_N6thrust23THRUST_200600_302600_NS6detail15normal_iteratorINS8_10device_ptrIbEEEENSA_INSB_IiEEEEjNS1_19radix_merge_compareILb1ELb0EbNS0_19identity_decomposerEEEEE10hipError_tT0_T1_T2_jT3_P12ihipStream_tbPNSt15iterator_traitsISK_E10value_typeEPNSQ_ISL_E10value_typeEPSM_NS1_7vsmem_tEENKUlT_SK_SL_SM_E_clIPbSD_PiSF_EESJ_SZ_SK_SL_SM_EUlSZ_E1_NS1_11comp_targetILNS1_3genE2ELNS1_11target_archE906ELNS1_3gpuE6ELNS1_3repE0EEENS1_36merge_oddeven_config_static_selectorELNS0_4arch9wavefront6targetE1EEEvSL_.uses_flat_scratch, 0
	.set _ZN7rocprim17ROCPRIM_400000_NS6detail17trampoline_kernelINS0_14default_configENS1_38merge_sort_block_merge_config_selectorIbiEEZZNS1_27merge_sort_block_merge_implIS3_N6thrust23THRUST_200600_302600_NS6detail15normal_iteratorINS8_10device_ptrIbEEEENSA_INSB_IiEEEEjNS1_19radix_merge_compareILb1ELb0EbNS0_19identity_decomposerEEEEE10hipError_tT0_T1_T2_jT3_P12ihipStream_tbPNSt15iterator_traitsISK_E10value_typeEPNSQ_ISL_E10value_typeEPSM_NS1_7vsmem_tEENKUlT_SK_SL_SM_E_clIPbSD_PiSF_EESJ_SZ_SK_SL_SM_EUlSZ_E1_NS1_11comp_targetILNS1_3genE2ELNS1_11target_archE906ELNS1_3gpuE6ELNS1_3repE0EEENS1_36merge_oddeven_config_static_selectorELNS0_4arch9wavefront6targetE1EEEvSL_.has_dyn_sized_stack, 0
	.set _ZN7rocprim17ROCPRIM_400000_NS6detail17trampoline_kernelINS0_14default_configENS1_38merge_sort_block_merge_config_selectorIbiEEZZNS1_27merge_sort_block_merge_implIS3_N6thrust23THRUST_200600_302600_NS6detail15normal_iteratorINS8_10device_ptrIbEEEENSA_INSB_IiEEEEjNS1_19radix_merge_compareILb1ELb0EbNS0_19identity_decomposerEEEEE10hipError_tT0_T1_T2_jT3_P12ihipStream_tbPNSt15iterator_traitsISK_E10value_typeEPNSQ_ISL_E10value_typeEPSM_NS1_7vsmem_tEENKUlT_SK_SL_SM_E_clIPbSD_PiSF_EESJ_SZ_SK_SL_SM_EUlSZ_E1_NS1_11comp_targetILNS1_3genE2ELNS1_11target_archE906ELNS1_3gpuE6ELNS1_3repE0EEENS1_36merge_oddeven_config_static_selectorELNS0_4arch9wavefront6targetE1EEEvSL_.has_recursion, 0
	.set _ZN7rocprim17ROCPRIM_400000_NS6detail17trampoline_kernelINS0_14default_configENS1_38merge_sort_block_merge_config_selectorIbiEEZZNS1_27merge_sort_block_merge_implIS3_N6thrust23THRUST_200600_302600_NS6detail15normal_iteratorINS8_10device_ptrIbEEEENSA_INSB_IiEEEEjNS1_19radix_merge_compareILb1ELb0EbNS0_19identity_decomposerEEEEE10hipError_tT0_T1_T2_jT3_P12ihipStream_tbPNSt15iterator_traitsISK_E10value_typeEPNSQ_ISL_E10value_typeEPSM_NS1_7vsmem_tEENKUlT_SK_SL_SM_E_clIPbSD_PiSF_EESJ_SZ_SK_SL_SM_EUlSZ_E1_NS1_11comp_targetILNS1_3genE2ELNS1_11target_archE906ELNS1_3gpuE6ELNS1_3repE0EEENS1_36merge_oddeven_config_static_selectorELNS0_4arch9wavefront6targetE1EEEvSL_.has_indirect_call, 0
	.section	.AMDGPU.csdata,"",@progbits
; Kernel info:
; codeLenInByte = 0
; TotalNumSgprs: 6
; NumVgprs: 0
; NumAgprs: 0
; TotalNumVgprs: 0
; ScratchSize: 0
; MemoryBound: 0
; FloatMode: 240
; IeeeMode: 1
; LDSByteSize: 0 bytes/workgroup (compile time only)
; SGPRBlocks: 0
; VGPRBlocks: 0
; NumSGPRsForWavesPerEU: 6
; NumVGPRsForWavesPerEU: 1
; AccumOffset: 4
; Occupancy: 8
; WaveLimiterHint : 0
; COMPUTE_PGM_RSRC2:SCRATCH_EN: 0
; COMPUTE_PGM_RSRC2:USER_SGPR: 2
; COMPUTE_PGM_RSRC2:TRAP_HANDLER: 0
; COMPUTE_PGM_RSRC2:TGID_X_EN: 1
; COMPUTE_PGM_RSRC2:TGID_Y_EN: 0
; COMPUTE_PGM_RSRC2:TGID_Z_EN: 0
; COMPUTE_PGM_RSRC2:TIDIG_COMP_CNT: 0
; COMPUTE_PGM_RSRC3_GFX90A:ACCUM_OFFSET: 0
; COMPUTE_PGM_RSRC3_GFX90A:TG_SPLIT: 0
	.section	.text._ZN7rocprim17ROCPRIM_400000_NS6detail17trampoline_kernelINS0_14default_configENS1_38merge_sort_block_merge_config_selectorIbiEEZZNS1_27merge_sort_block_merge_implIS3_N6thrust23THRUST_200600_302600_NS6detail15normal_iteratorINS8_10device_ptrIbEEEENSA_INSB_IiEEEEjNS1_19radix_merge_compareILb1ELb0EbNS0_19identity_decomposerEEEEE10hipError_tT0_T1_T2_jT3_P12ihipStream_tbPNSt15iterator_traitsISK_E10value_typeEPNSQ_ISL_E10value_typeEPSM_NS1_7vsmem_tEENKUlT_SK_SL_SM_E_clIPbSD_PiSF_EESJ_SZ_SK_SL_SM_EUlSZ_E1_NS1_11comp_targetILNS1_3genE9ELNS1_11target_archE1100ELNS1_3gpuE3ELNS1_3repE0EEENS1_36merge_oddeven_config_static_selectorELNS0_4arch9wavefront6targetE1EEEvSL_,"axG",@progbits,_ZN7rocprim17ROCPRIM_400000_NS6detail17trampoline_kernelINS0_14default_configENS1_38merge_sort_block_merge_config_selectorIbiEEZZNS1_27merge_sort_block_merge_implIS3_N6thrust23THRUST_200600_302600_NS6detail15normal_iteratorINS8_10device_ptrIbEEEENSA_INSB_IiEEEEjNS1_19radix_merge_compareILb1ELb0EbNS0_19identity_decomposerEEEEE10hipError_tT0_T1_T2_jT3_P12ihipStream_tbPNSt15iterator_traitsISK_E10value_typeEPNSQ_ISL_E10value_typeEPSM_NS1_7vsmem_tEENKUlT_SK_SL_SM_E_clIPbSD_PiSF_EESJ_SZ_SK_SL_SM_EUlSZ_E1_NS1_11comp_targetILNS1_3genE9ELNS1_11target_archE1100ELNS1_3gpuE3ELNS1_3repE0EEENS1_36merge_oddeven_config_static_selectorELNS0_4arch9wavefront6targetE1EEEvSL_,comdat
	.protected	_ZN7rocprim17ROCPRIM_400000_NS6detail17trampoline_kernelINS0_14default_configENS1_38merge_sort_block_merge_config_selectorIbiEEZZNS1_27merge_sort_block_merge_implIS3_N6thrust23THRUST_200600_302600_NS6detail15normal_iteratorINS8_10device_ptrIbEEEENSA_INSB_IiEEEEjNS1_19radix_merge_compareILb1ELb0EbNS0_19identity_decomposerEEEEE10hipError_tT0_T1_T2_jT3_P12ihipStream_tbPNSt15iterator_traitsISK_E10value_typeEPNSQ_ISL_E10value_typeEPSM_NS1_7vsmem_tEENKUlT_SK_SL_SM_E_clIPbSD_PiSF_EESJ_SZ_SK_SL_SM_EUlSZ_E1_NS1_11comp_targetILNS1_3genE9ELNS1_11target_archE1100ELNS1_3gpuE3ELNS1_3repE0EEENS1_36merge_oddeven_config_static_selectorELNS0_4arch9wavefront6targetE1EEEvSL_ ; -- Begin function _ZN7rocprim17ROCPRIM_400000_NS6detail17trampoline_kernelINS0_14default_configENS1_38merge_sort_block_merge_config_selectorIbiEEZZNS1_27merge_sort_block_merge_implIS3_N6thrust23THRUST_200600_302600_NS6detail15normal_iteratorINS8_10device_ptrIbEEEENSA_INSB_IiEEEEjNS1_19radix_merge_compareILb1ELb0EbNS0_19identity_decomposerEEEEE10hipError_tT0_T1_T2_jT3_P12ihipStream_tbPNSt15iterator_traitsISK_E10value_typeEPNSQ_ISL_E10value_typeEPSM_NS1_7vsmem_tEENKUlT_SK_SL_SM_E_clIPbSD_PiSF_EESJ_SZ_SK_SL_SM_EUlSZ_E1_NS1_11comp_targetILNS1_3genE9ELNS1_11target_archE1100ELNS1_3gpuE3ELNS1_3repE0EEENS1_36merge_oddeven_config_static_selectorELNS0_4arch9wavefront6targetE1EEEvSL_
	.globl	_ZN7rocprim17ROCPRIM_400000_NS6detail17trampoline_kernelINS0_14default_configENS1_38merge_sort_block_merge_config_selectorIbiEEZZNS1_27merge_sort_block_merge_implIS3_N6thrust23THRUST_200600_302600_NS6detail15normal_iteratorINS8_10device_ptrIbEEEENSA_INSB_IiEEEEjNS1_19radix_merge_compareILb1ELb0EbNS0_19identity_decomposerEEEEE10hipError_tT0_T1_T2_jT3_P12ihipStream_tbPNSt15iterator_traitsISK_E10value_typeEPNSQ_ISL_E10value_typeEPSM_NS1_7vsmem_tEENKUlT_SK_SL_SM_E_clIPbSD_PiSF_EESJ_SZ_SK_SL_SM_EUlSZ_E1_NS1_11comp_targetILNS1_3genE9ELNS1_11target_archE1100ELNS1_3gpuE3ELNS1_3repE0EEENS1_36merge_oddeven_config_static_selectorELNS0_4arch9wavefront6targetE1EEEvSL_
	.p2align	8
	.type	_ZN7rocprim17ROCPRIM_400000_NS6detail17trampoline_kernelINS0_14default_configENS1_38merge_sort_block_merge_config_selectorIbiEEZZNS1_27merge_sort_block_merge_implIS3_N6thrust23THRUST_200600_302600_NS6detail15normal_iteratorINS8_10device_ptrIbEEEENSA_INSB_IiEEEEjNS1_19radix_merge_compareILb1ELb0EbNS0_19identity_decomposerEEEEE10hipError_tT0_T1_T2_jT3_P12ihipStream_tbPNSt15iterator_traitsISK_E10value_typeEPNSQ_ISL_E10value_typeEPSM_NS1_7vsmem_tEENKUlT_SK_SL_SM_E_clIPbSD_PiSF_EESJ_SZ_SK_SL_SM_EUlSZ_E1_NS1_11comp_targetILNS1_3genE9ELNS1_11target_archE1100ELNS1_3gpuE3ELNS1_3repE0EEENS1_36merge_oddeven_config_static_selectorELNS0_4arch9wavefront6targetE1EEEvSL_,@function
_ZN7rocprim17ROCPRIM_400000_NS6detail17trampoline_kernelINS0_14default_configENS1_38merge_sort_block_merge_config_selectorIbiEEZZNS1_27merge_sort_block_merge_implIS3_N6thrust23THRUST_200600_302600_NS6detail15normal_iteratorINS8_10device_ptrIbEEEENSA_INSB_IiEEEEjNS1_19radix_merge_compareILb1ELb0EbNS0_19identity_decomposerEEEEE10hipError_tT0_T1_T2_jT3_P12ihipStream_tbPNSt15iterator_traitsISK_E10value_typeEPNSQ_ISL_E10value_typeEPSM_NS1_7vsmem_tEENKUlT_SK_SL_SM_E_clIPbSD_PiSF_EESJ_SZ_SK_SL_SM_EUlSZ_E1_NS1_11comp_targetILNS1_3genE9ELNS1_11target_archE1100ELNS1_3gpuE3ELNS1_3repE0EEENS1_36merge_oddeven_config_static_selectorELNS0_4arch9wavefront6targetE1EEEvSL_: ; @_ZN7rocprim17ROCPRIM_400000_NS6detail17trampoline_kernelINS0_14default_configENS1_38merge_sort_block_merge_config_selectorIbiEEZZNS1_27merge_sort_block_merge_implIS3_N6thrust23THRUST_200600_302600_NS6detail15normal_iteratorINS8_10device_ptrIbEEEENSA_INSB_IiEEEEjNS1_19radix_merge_compareILb1ELb0EbNS0_19identity_decomposerEEEEE10hipError_tT0_T1_T2_jT3_P12ihipStream_tbPNSt15iterator_traitsISK_E10value_typeEPNSQ_ISL_E10value_typeEPSM_NS1_7vsmem_tEENKUlT_SK_SL_SM_E_clIPbSD_PiSF_EESJ_SZ_SK_SL_SM_EUlSZ_E1_NS1_11comp_targetILNS1_3genE9ELNS1_11target_archE1100ELNS1_3gpuE3ELNS1_3repE0EEENS1_36merge_oddeven_config_static_selectorELNS0_4arch9wavefront6targetE1EEEvSL_
; %bb.0:
	.section	.rodata,"a",@progbits
	.p2align	6, 0x0
	.amdhsa_kernel _ZN7rocprim17ROCPRIM_400000_NS6detail17trampoline_kernelINS0_14default_configENS1_38merge_sort_block_merge_config_selectorIbiEEZZNS1_27merge_sort_block_merge_implIS3_N6thrust23THRUST_200600_302600_NS6detail15normal_iteratorINS8_10device_ptrIbEEEENSA_INSB_IiEEEEjNS1_19radix_merge_compareILb1ELb0EbNS0_19identity_decomposerEEEEE10hipError_tT0_T1_T2_jT3_P12ihipStream_tbPNSt15iterator_traitsISK_E10value_typeEPNSQ_ISL_E10value_typeEPSM_NS1_7vsmem_tEENKUlT_SK_SL_SM_E_clIPbSD_PiSF_EESJ_SZ_SK_SL_SM_EUlSZ_E1_NS1_11comp_targetILNS1_3genE9ELNS1_11target_archE1100ELNS1_3gpuE3ELNS1_3repE0EEENS1_36merge_oddeven_config_static_selectorELNS0_4arch9wavefront6targetE1EEEvSL_
		.amdhsa_group_segment_fixed_size 0
		.amdhsa_private_segment_fixed_size 0
		.amdhsa_kernarg_size 48
		.amdhsa_user_sgpr_count 2
		.amdhsa_user_sgpr_dispatch_ptr 0
		.amdhsa_user_sgpr_queue_ptr 0
		.amdhsa_user_sgpr_kernarg_segment_ptr 1
		.amdhsa_user_sgpr_dispatch_id 0
		.amdhsa_user_sgpr_kernarg_preload_length 0
		.amdhsa_user_sgpr_kernarg_preload_offset 0
		.amdhsa_user_sgpr_private_segment_size 0
		.amdhsa_uses_dynamic_stack 0
		.amdhsa_enable_private_segment 0
		.amdhsa_system_sgpr_workgroup_id_x 1
		.amdhsa_system_sgpr_workgroup_id_y 0
		.amdhsa_system_sgpr_workgroup_id_z 0
		.amdhsa_system_sgpr_workgroup_info 0
		.amdhsa_system_vgpr_workitem_id 0
		.amdhsa_next_free_vgpr 1
		.amdhsa_next_free_sgpr 0
		.amdhsa_accum_offset 4
		.amdhsa_reserve_vcc 0
		.amdhsa_float_round_mode_32 0
		.amdhsa_float_round_mode_16_64 0
		.amdhsa_float_denorm_mode_32 3
		.amdhsa_float_denorm_mode_16_64 3
		.amdhsa_dx10_clamp 1
		.amdhsa_ieee_mode 1
		.amdhsa_fp16_overflow 0
		.amdhsa_tg_split 0
		.amdhsa_exception_fp_ieee_invalid_op 0
		.amdhsa_exception_fp_denorm_src 0
		.amdhsa_exception_fp_ieee_div_zero 0
		.amdhsa_exception_fp_ieee_overflow 0
		.amdhsa_exception_fp_ieee_underflow 0
		.amdhsa_exception_fp_ieee_inexact 0
		.amdhsa_exception_int_div_zero 0
	.end_amdhsa_kernel
	.section	.text._ZN7rocprim17ROCPRIM_400000_NS6detail17trampoline_kernelINS0_14default_configENS1_38merge_sort_block_merge_config_selectorIbiEEZZNS1_27merge_sort_block_merge_implIS3_N6thrust23THRUST_200600_302600_NS6detail15normal_iteratorINS8_10device_ptrIbEEEENSA_INSB_IiEEEEjNS1_19radix_merge_compareILb1ELb0EbNS0_19identity_decomposerEEEEE10hipError_tT0_T1_T2_jT3_P12ihipStream_tbPNSt15iterator_traitsISK_E10value_typeEPNSQ_ISL_E10value_typeEPSM_NS1_7vsmem_tEENKUlT_SK_SL_SM_E_clIPbSD_PiSF_EESJ_SZ_SK_SL_SM_EUlSZ_E1_NS1_11comp_targetILNS1_3genE9ELNS1_11target_archE1100ELNS1_3gpuE3ELNS1_3repE0EEENS1_36merge_oddeven_config_static_selectorELNS0_4arch9wavefront6targetE1EEEvSL_,"axG",@progbits,_ZN7rocprim17ROCPRIM_400000_NS6detail17trampoline_kernelINS0_14default_configENS1_38merge_sort_block_merge_config_selectorIbiEEZZNS1_27merge_sort_block_merge_implIS3_N6thrust23THRUST_200600_302600_NS6detail15normal_iteratorINS8_10device_ptrIbEEEENSA_INSB_IiEEEEjNS1_19radix_merge_compareILb1ELb0EbNS0_19identity_decomposerEEEEE10hipError_tT0_T1_T2_jT3_P12ihipStream_tbPNSt15iterator_traitsISK_E10value_typeEPNSQ_ISL_E10value_typeEPSM_NS1_7vsmem_tEENKUlT_SK_SL_SM_E_clIPbSD_PiSF_EESJ_SZ_SK_SL_SM_EUlSZ_E1_NS1_11comp_targetILNS1_3genE9ELNS1_11target_archE1100ELNS1_3gpuE3ELNS1_3repE0EEENS1_36merge_oddeven_config_static_selectorELNS0_4arch9wavefront6targetE1EEEvSL_,comdat
.Lfunc_end2126:
	.size	_ZN7rocprim17ROCPRIM_400000_NS6detail17trampoline_kernelINS0_14default_configENS1_38merge_sort_block_merge_config_selectorIbiEEZZNS1_27merge_sort_block_merge_implIS3_N6thrust23THRUST_200600_302600_NS6detail15normal_iteratorINS8_10device_ptrIbEEEENSA_INSB_IiEEEEjNS1_19radix_merge_compareILb1ELb0EbNS0_19identity_decomposerEEEEE10hipError_tT0_T1_T2_jT3_P12ihipStream_tbPNSt15iterator_traitsISK_E10value_typeEPNSQ_ISL_E10value_typeEPSM_NS1_7vsmem_tEENKUlT_SK_SL_SM_E_clIPbSD_PiSF_EESJ_SZ_SK_SL_SM_EUlSZ_E1_NS1_11comp_targetILNS1_3genE9ELNS1_11target_archE1100ELNS1_3gpuE3ELNS1_3repE0EEENS1_36merge_oddeven_config_static_selectorELNS0_4arch9wavefront6targetE1EEEvSL_, .Lfunc_end2126-_ZN7rocprim17ROCPRIM_400000_NS6detail17trampoline_kernelINS0_14default_configENS1_38merge_sort_block_merge_config_selectorIbiEEZZNS1_27merge_sort_block_merge_implIS3_N6thrust23THRUST_200600_302600_NS6detail15normal_iteratorINS8_10device_ptrIbEEEENSA_INSB_IiEEEEjNS1_19radix_merge_compareILb1ELb0EbNS0_19identity_decomposerEEEEE10hipError_tT0_T1_T2_jT3_P12ihipStream_tbPNSt15iterator_traitsISK_E10value_typeEPNSQ_ISL_E10value_typeEPSM_NS1_7vsmem_tEENKUlT_SK_SL_SM_E_clIPbSD_PiSF_EESJ_SZ_SK_SL_SM_EUlSZ_E1_NS1_11comp_targetILNS1_3genE9ELNS1_11target_archE1100ELNS1_3gpuE3ELNS1_3repE0EEENS1_36merge_oddeven_config_static_selectorELNS0_4arch9wavefront6targetE1EEEvSL_
                                        ; -- End function
	.set _ZN7rocprim17ROCPRIM_400000_NS6detail17trampoline_kernelINS0_14default_configENS1_38merge_sort_block_merge_config_selectorIbiEEZZNS1_27merge_sort_block_merge_implIS3_N6thrust23THRUST_200600_302600_NS6detail15normal_iteratorINS8_10device_ptrIbEEEENSA_INSB_IiEEEEjNS1_19radix_merge_compareILb1ELb0EbNS0_19identity_decomposerEEEEE10hipError_tT0_T1_T2_jT3_P12ihipStream_tbPNSt15iterator_traitsISK_E10value_typeEPNSQ_ISL_E10value_typeEPSM_NS1_7vsmem_tEENKUlT_SK_SL_SM_E_clIPbSD_PiSF_EESJ_SZ_SK_SL_SM_EUlSZ_E1_NS1_11comp_targetILNS1_3genE9ELNS1_11target_archE1100ELNS1_3gpuE3ELNS1_3repE0EEENS1_36merge_oddeven_config_static_selectorELNS0_4arch9wavefront6targetE1EEEvSL_.num_vgpr, 0
	.set _ZN7rocprim17ROCPRIM_400000_NS6detail17trampoline_kernelINS0_14default_configENS1_38merge_sort_block_merge_config_selectorIbiEEZZNS1_27merge_sort_block_merge_implIS3_N6thrust23THRUST_200600_302600_NS6detail15normal_iteratorINS8_10device_ptrIbEEEENSA_INSB_IiEEEEjNS1_19radix_merge_compareILb1ELb0EbNS0_19identity_decomposerEEEEE10hipError_tT0_T1_T2_jT3_P12ihipStream_tbPNSt15iterator_traitsISK_E10value_typeEPNSQ_ISL_E10value_typeEPSM_NS1_7vsmem_tEENKUlT_SK_SL_SM_E_clIPbSD_PiSF_EESJ_SZ_SK_SL_SM_EUlSZ_E1_NS1_11comp_targetILNS1_3genE9ELNS1_11target_archE1100ELNS1_3gpuE3ELNS1_3repE0EEENS1_36merge_oddeven_config_static_selectorELNS0_4arch9wavefront6targetE1EEEvSL_.num_agpr, 0
	.set _ZN7rocprim17ROCPRIM_400000_NS6detail17trampoline_kernelINS0_14default_configENS1_38merge_sort_block_merge_config_selectorIbiEEZZNS1_27merge_sort_block_merge_implIS3_N6thrust23THRUST_200600_302600_NS6detail15normal_iteratorINS8_10device_ptrIbEEEENSA_INSB_IiEEEEjNS1_19radix_merge_compareILb1ELb0EbNS0_19identity_decomposerEEEEE10hipError_tT0_T1_T2_jT3_P12ihipStream_tbPNSt15iterator_traitsISK_E10value_typeEPNSQ_ISL_E10value_typeEPSM_NS1_7vsmem_tEENKUlT_SK_SL_SM_E_clIPbSD_PiSF_EESJ_SZ_SK_SL_SM_EUlSZ_E1_NS1_11comp_targetILNS1_3genE9ELNS1_11target_archE1100ELNS1_3gpuE3ELNS1_3repE0EEENS1_36merge_oddeven_config_static_selectorELNS0_4arch9wavefront6targetE1EEEvSL_.numbered_sgpr, 0
	.set _ZN7rocprim17ROCPRIM_400000_NS6detail17trampoline_kernelINS0_14default_configENS1_38merge_sort_block_merge_config_selectorIbiEEZZNS1_27merge_sort_block_merge_implIS3_N6thrust23THRUST_200600_302600_NS6detail15normal_iteratorINS8_10device_ptrIbEEEENSA_INSB_IiEEEEjNS1_19radix_merge_compareILb1ELb0EbNS0_19identity_decomposerEEEEE10hipError_tT0_T1_T2_jT3_P12ihipStream_tbPNSt15iterator_traitsISK_E10value_typeEPNSQ_ISL_E10value_typeEPSM_NS1_7vsmem_tEENKUlT_SK_SL_SM_E_clIPbSD_PiSF_EESJ_SZ_SK_SL_SM_EUlSZ_E1_NS1_11comp_targetILNS1_3genE9ELNS1_11target_archE1100ELNS1_3gpuE3ELNS1_3repE0EEENS1_36merge_oddeven_config_static_selectorELNS0_4arch9wavefront6targetE1EEEvSL_.num_named_barrier, 0
	.set _ZN7rocprim17ROCPRIM_400000_NS6detail17trampoline_kernelINS0_14default_configENS1_38merge_sort_block_merge_config_selectorIbiEEZZNS1_27merge_sort_block_merge_implIS3_N6thrust23THRUST_200600_302600_NS6detail15normal_iteratorINS8_10device_ptrIbEEEENSA_INSB_IiEEEEjNS1_19radix_merge_compareILb1ELb0EbNS0_19identity_decomposerEEEEE10hipError_tT0_T1_T2_jT3_P12ihipStream_tbPNSt15iterator_traitsISK_E10value_typeEPNSQ_ISL_E10value_typeEPSM_NS1_7vsmem_tEENKUlT_SK_SL_SM_E_clIPbSD_PiSF_EESJ_SZ_SK_SL_SM_EUlSZ_E1_NS1_11comp_targetILNS1_3genE9ELNS1_11target_archE1100ELNS1_3gpuE3ELNS1_3repE0EEENS1_36merge_oddeven_config_static_selectorELNS0_4arch9wavefront6targetE1EEEvSL_.private_seg_size, 0
	.set _ZN7rocprim17ROCPRIM_400000_NS6detail17trampoline_kernelINS0_14default_configENS1_38merge_sort_block_merge_config_selectorIbiEEZZNS1_27merge_sort_block_merge_implIS3_N6thrust23THRUST_200600_302600_NS6detail15normal_iteratorINS8_10device_ptrIbEEEENSA_INSB_IiEEEEjNS1_19radix_merge_compareILb1ELb0EbNS0_19identity_decomposerEEEEE10hipError_tT0_T1_T2_jT3_P12ihipStream_tbPNSt15iterator_traitsISK_E10value_typeEPNSQ_ISL_E10value_typeEPSM_NS1_7vsmem_tEENKUlT_SK_SL_SM_E_clIPbSD_PiSF_EESJ_SZ_SK_SL_SM_EUlSZ_E1_NS1_11comp_targetILNS1_3genE9ELNS1_11target_archE1100ELNS1_3gpuE3ELNS1_3repE0EEENS1_36merge_oddeven_config_static_selectorELNS0_4arch9wavefront6targetE1EEEvSL_.uses_vcc, 0
	.set _ZN7rocprim17ROCPRIM_400000_NS6detail17trampoline_kernelINS0_14default_configENS1_38merge_sort_block_merge_config_selectorIbiEEZZNS1_27merge_sort_block_merge_implIS3_N6thrust23THRUST_200600_302600_NS6detail15normal_iteratorINS8_10device_ptrIbEEEENSA_INSB_IiEEEEjNS1_19radix_merge_compareILb1ELb0EbNS0_19identity_decomposerEEEEE10hipError_tT0_T1_T2_jT3_P12ihipStream_tbPNSt15iterator_traitsISK_E10value_typeEPNSQ_ISL_E10value_typeEPSM_NS1_7vsmem_tEENKUlT_SK_SL_SM_E_clIPbSD_PiSF_EESJ_SZ_SK_SL_SM_EUlSZ_E1_NS1_11comp_targetILNS1_3genE9ELNS1_11target_archE1100ELNS1_3gpuE3ELNS1_3repE0EEENS1_36merge_oddeven_config_static_selectorELNS0_4arch9wavefront6targetE1EEEvSL_.uses_flat_scratch, 0
	.set _ZN7rocprim17ROCPRIM_400000_NS6detail17trampoline_kernelINS0_14default_configENS1_38merge_sort_block_merge_config_selectorIbiEEZZNS1_27merge_sort_block_merge_implIS3_N6thrust23THRUST_200600_302600_NS6detail15normal_iteratorINS8_10device_ptrIbEEEENSA_INSB_IiEEEEjNS1_19radix_merge_compareILb1ELb0EbNS0_19identity_decomposerEEEEE10hipError_tT0_T1_T2_jT3_P12ihipStream_tbPNSt15iterator_traitsISK_E10value_typeEPNSQ_ISL_E10value_typeEPSM_NS1_7vsmem_tEENKUlT_SK_SL_SM_E_clIPbSD_PiSF_EESJ_SZ_SK_SL_SM_EUlSZ_E1_NS1_11comp_targetILNS1_3genE9ELNS1_11target_archE1100ELNS1_3gpuE3ELNS1_3repE0EEENS1_36merge_oddeven_config_static_selectorELNS0_4arch9wavefront6targetE1EEEvSL_.has_dyn_sized_stack, 0
	.set _ZN7rocprim17ROCPRIM_400000_NS6detail17trampoline_kernelINS0_14default_configENS1_38merge_sort_block_merge_config_selectorIbiEEZZNS1_27merge_sort_block_merge_implIS3_N6thrust23THRUST_200600_302600_NS6detail15normal_iteratorINS8_10device_ptrIbEEEENSA_INSB_IiEEEEjNS1_19radix_merge_compareILb1ELb0EbNS0_19identity_decomposerEEEEE10hipError_tT0_T1_T2_jT3_P12ihipStream_tbPNSt15iterator_traitsISK_E10value_typeEPNSQ_ISL_E10value_typeEPSM_NS1_7vsmem_tEENKUlT_SK_SL_SM_E_clIPbSD_PiSF_EESJ_SZ_SK_SL_SM_EUlSZ_E1_NS1_11comp_targetILNS1_3genE9ELNS1_11target_archE1100ELNS1_3gpuE3ELNS1_3repE0EEENS1_36merge_oddeven_config_static_selectorELNS0_4arch9wavefront6targetE1EEEvSL_.has_recursion, 0
	.set _ZN7rocprim17ROCPRIM_400000_NS6detail17trampoline_kernelINS0_14default_configENS1_38merge_sort_block_merge_config_selectorIbiEEZZNS1_27merge_sort_block_merge_implIS3_N6thrust23THRUST_200600_302600_NS6detail15normal_iteratorINS8_10device_ptrIbEEEENSA_INSB_IiEEEEjNS1_19radix_merge_compareILb1ELb0EbNS0_19identity_decomposerEEEEE10hipError_tT0_T1_T2_jT3_P12ihipStream_tbPNSt15iterator_traitsISK_E10value_typeEPNSQ_ISL_E10value_typeEPSM_NS1_7vsmem_tEENKUlT_SK_SL_SM_E_clIPbSD_PiSF_EESJ_SZ_SK_SL_SM_EUlSZ_E1_NS1_11comp_targetILNS1_3genE9ELNS1_11target_archE1100ELNS1_3gpuE3ELNS1_3repE0EEENS1_36merge_oddeven_config_static_selectorELNS0_4arch9wavefront6targetE1EEEvSL_.has_indirect_call, 0
	.section	.AMDGPU.csdata,"",@progbits
; Kernel info:
; codeLenInByte = 0
; TotalNumSgprs: 6
; NumVgprs: 0
; NumAgprs: 0
; TotalNumVgprs: 0
; ScratchSize: 0
; MemoryBound: 0
; FloatMode: 240
; IeeeMode: 1
; LDSByteSize: 0 bytes/workgroup (compile time only)
; SGPRBlocks: 0
; VGPRBlocks: 0
; NumSGPRsForWavesPerEU: 6
; NumVGPRsForWavesPerEU: 1
; AccumOffset: 4
; Occupancy: 8
; WaveLimiterHint : 0
; COMPUTE_PGM_RSRC2:SCRATCH_EN: 0
; COMPUTE_PGM_RSRC2:USER_SGPR: 2
; COMPUTE_PGM_RSRC2:TRAP_HANDLER: 0
; COMPUTE_PGM_RSRC2:TGID_X_EN: 1
; COMPUTE_PGM_RSRC2:TGID_Y_EN: 0
; COMPUTE_PGM_RSRC2:TGID_Z_EN: 0
; COMPUTE_PGM_RSRC2:TIDIG_COMP_CNT: 0
; COMPUTE_PGM_RSRC3_GFX90A:ACCUM_OFFSET: 0
; COMPUTE_PGM_RSRC3_GFX90A:TG_SPLIT: 0
	.section	.text._ZN7rocprim17ROCPRIM_400000_NS6detail17trampoline_kernelINS0_14default_configENS1_38merge_sort_block_merge_config_selectorIbiEEZZNS1_27merge_sort_block_merge_implIS3_N6thrust23THRUST_200600_302600_NS6detail15normal_iteratorINS8_10device_ptrIbEEEENSA_INSB_IiEEEEjNS1_19radix_merge_compareILb1ELb0EbNS0_19identity_decomposerEEEEE10hipError_tT0_T1_T2_jT3_P12ihipStream_tbPNSt15iterator_traitsISK_E10value_typeEPNSQ_ISL_E10value_typeEPSM_NS1_7vsmem_tEENKUlT_SK_SL_SM_E_clIPbSD_PiSF_EESJ_SZ_SK_SL_SM_EUlSZ_E1_NS1_11comp_targetILNS1_3genE8ELNS1_11target_archE1030ELNS1_3gpuE2ELNS1_3repE0EEENS1_36merge_oddeven_config_static_selectorELNS0_4arch9wavefront6targetE1EEEvSL_,"axG",@progbits,_ZN7rocprim17ROCPRIM_400000_NS6detail17trampoline_kernelINS0_14default_configENS1_38merge_sort_block_merge_config_selectorIbiEEZZNS1_27merge_sort_block_merge_implIS3_N6thrust23THRUST_200600_302600_NS6detail15normal_iteratorINS8_10device_ptrIbEEEENSA_INSB_IiEEEEjNS1_19radix_merge_compareILb1ELb0EbNS0_19identity_decomposerEEEEE10hipError_tT0_T1_T2_jT3_P12ihipStream_tbPNSt15iterator_traitsISK_E10value_typeEPNSQ_ISL_E10value_typeEPSM_NS1_7vsmem_tEENKUlT_SK_SL_SM_E_clIPbSD_PiSF_EESJ_SZ_SK_SL_SM_EUlSZ_E1_NS1_11comp_targetILNS1_3genE8ELNS1_11target_archE1030ELNS1_3gpuE2ELNS1_3repE0EEENS1_36merge_oddeven_config_static_selectorELNS0_4arch9wavefront6targetE1EEEvSL_,comdat
	.protected	_ZN7rocprim17ROCPRIM_400000_NS6detail17trampoline_kernelINS0_14default_configENS1_38merge_sort_block_merge_config_selectorIbiEEZZNS1_27merge_sort_block_merge_implIS3_N6thrust23THRUST_200600_302600_NS6detail15normal_iteratorINS8_10device_ptrIbEEEENSA_INSB_IiEEEEjNS1_19radix_merge_compareILb1ELb0EbNS0_19identity_decomposerEEEEE10hipError_tT0_T1_T2_jT3_P12ihipStream_tbPNSt15iterator_traitsISK_E10value_typeEPNSQ_ISL_E10value_typeEPSM_NS1_7vsmem_tEENKUlT_SK_SL_SM_E_clIPbSD_PiSF_EESJ_SZ_SK_SL_SM_EUlSZ_E1_NS1_11comp_targetILNS1_3genE8ELNS1_11target_archE1030ELNS1_3gpuE2ELNS1_3repE0EEENS1_36merge_oddeven_config_static_selectorELNS0_4arch9wavefront6targetE1EEEvSL_ ; -- Begin function _ZN7rocprim17ROCPRIM_400000_NS6detail17trampoline_kernelINS0_14default_configENS1_38merge_sort_block_merge_config_selectorIbiEEZZNS1_27merge_sort_block_merge_implIS3_N6thrust23THRUST_200600_302600_NS6detail15normal_iteratorINS8_10device_ptrIbEEEENSA_INSB_IiEEEEjNS1_19radix_merge_compareILb1ELb0EbNS0_19identity_decomposerEEEEE10hipError_tT0_T1_T2_jT3_P12ihipStream_tbPNSt15iterator_traitsISK_E10value_typeEPNSQ_ISL_E10value_typeEPSM_NS1_7vsmem_tEENKUlT_SK_SL_SM_E_clIPbSD_PiSF_EESJ_SZ_SK_SL_SM_EUlSZ_E1_NS1_11comp_targetILNS1_3genE8ELNS1_11target_archE1030ELNS1_3gpuE2ELNS1_3repE0EEENS1_36merge_oddeven_config_static_selectorELNS0_4arch9wavefront6targetE1EEEvSL_
	.globl	_ZN7rocprim17ROCPRIM_400000_NS6detail17trampoline_kernelINS0_14default_configENS1_38merge_sort_block_merge_config_selectorIbiEEZZNS1_27merge_sort_block_merge_implIS3_N6thrust23THRUST_200600_302600_NS6detail15normal_iteratorINS8_10device_ptrIbEEEENSA_INSB_IiEEEEjNS1_19radix_merge_compareILb1ELb0EbNS0_19identity_decomposerEEEEE10hipError_tT0_T1_T2_jT3_P12ihipStream_tbPNSt15iterator_traitsISK_E10value_typeEPNSQ_ISL_E10value_typeEPSM_NS1_7vsmem_tEENKUlT_SK_SL_SM_E_clIPbSD_PiSF_EESJ_SZ_SK_SL_SM_EUlSZ_E1_NS1_11comp_targetILNS1_3genE8ELNS1_11target_archE1030ELNS1_3gpuE2ELNS1_3repE0EEENS1_36merge_oddeven_config_static_selectorELNS0_4arch9wavefront6targetE1EEEvSL_
	.p2align	8
	.type	_ZN7rocprim17ROCPRIM_400000_NS6detail17trampoline_kernelINS0_14default_configENS1_38merge_sort_block_merge_config_selectorIbiEEZZNS1_27merge_sort_block_merge_implIS3_N6thrust23THRUST_200600_302600_NS6detail15normal_iteratorINS8_10device_ptrIbEEEENSA_INSB_IiEEEEjNS1_19radix_merge_compareILb1ELb0EbNS0_19identity_decomposerEEEEE10hipError_tT0_T1_T2_jT3_P12ihipStream_tbPNSt15iterator_traitsISK_E10value_typeEPNSQ_ISL_E10value_typeEPSM_NS1_7vsmem_tEENKUlT_SK_SL_SM_E_clIPbSD_PiSF_EESJ_SZ_SK_SL_SM_EUlSZ_E1_NS1_11comp_targetILNS1_3genE8ELNS1_11target_archE1030ELNS1_3gpuE2ELNS1_3repE0EEENS1_36merge_oddeven_config_static_selectorELNS0_4arch9wavefront6targetE1EEEvSL_,@function
_ZN7rocprim17ROCPRIM_400000_NS6detail17trampoline_kernelINS0_14default_configENS1_38merge_sort_block_merge_config_selectorIbiEEZZNS1_27merge_sort_block_merge_implIS3_N6thrust23THRUST_200600_302600_NS6detail15normal_iteratorINS8_10device_ptrIbEEEENSA_INSB_IiEEEEjNS1_19radix_merge_compareILb1ELb0EbNS0_19identity_decomposerEEEEE10hipError_tT0_T1_T2_jT3_P12ihipStream_tbPNSt15iterator_traitsISK_E10value_typeEPNSQ_ISL_E10value_typeEPSM_NS1_7vsmem_tEENKUlT_SK_SL_SM_E_clIPbSD_PiSF_EESJ_SZ_SK_SL_SM_EUlSZ_E1_NS1_11comp_targetILNS1_3genE8ELNS1_11target_archE1030ELNS1_3gpuE2ELNS1_3repE0EEENS1_36merge_oddeven_config_static_selectorELNS0_4arch9wavefront6targetE1EEEvSL_: ; @_ZN7rocprim17ROCPRIM_400000_NS6detail17trampoline_kernelINS0_14default_configENS1_38merge_sort_block_merge_config_selectorIbiEEZZNS1_27merge_sort_block_merge_implIS3_N6thrust23THRUST_200600_302600_NS6detail15normal_iteratorINS8_10device_ptrIbEEEENSA_INSB_IiEEEEjNS1_19radix_merge_compareILb1ELb0EbNS0_19identity_decomposerEEEEE10hipError_tT0_T1_T2_jT3_P12ihipStream_tbPNSt15iterator_traitsISK_E10value_typeEPNSQ_ISL_E10value_typeEPSM_NS1_7vsmem_tEENKUlT_SK_SL_SM_E_clIPbSD_PiSF_EESJ_SZ_SK_SL_SM_EUlSZ_E1_NS1_11comp_targetILNS1_3genE8ELNS1_11target_archE1030ELNS1_3gpuE2ELNS1_3repE0EEENS1_36merge_oddeven_config_static_selectorELNS0_4arch9wavefront6targetE1EEEvSL_
; %bb.0:
	.section	.rodata,"a",@progbits
	.p2align	6, 0x0
	.amdhsa_kernel _ZN7rocprim17ROCPRIM_400000_NS6detail17trampoline_kernelINS0_14default_configENS1_38merge_sort_block_merge_config_selectorIbiEEZZNS1_27merge_sort_block_merge_implIS3_N6thrust23THRUST_200600_302600_NS6detail15normal_iteratorINS8_10device_ptrIbEEEENSA_INSB_IiEEEEjNS1_19radix_merge_compareILb1ELb0EbNS0_19identity_decomposerEEEEE10hipError_tT0_T1_T2_jT3_P12ihipStream_tbPNSt15iterator_traitsISK_E10value_typeEPNSQ_ISL_E10value_typeEPSM_NS1_7vsmem_tEENKUlT_SK_SL_SM_E_clIPbSD_PiSF_EESJ_SZ_SK_SL_SM_EUlSZ_E1_NS1_11comp_targetILNS1_3genE8ELNS1_11target_archE1030ELNS1_3gpuE2ELNS1_3repE0EEENS1_36merge_oddeven_config_static_selectorELNS0_4arch9wavefront6targetE1EEEvSL_
		.amdhsa_group_segment_fixed_size 0
		.amdhsa_private_segment_fixed_size 0
		.amdhsa_kernarg_size 48
		.amdhsa_user_sgpr_count 2
		.amdhsa_user_sgpr_dispatch_ptr 0
		.amdhsa_user_sgpr_queue_ptr 0
		.amdhsa_user_sgpr_kernarg_segment_ptr 1
		.amdhsa_user_sgpr_dispatch_id 0
		.amdhsa_user_sgpr_kernarg_preload_length 0
		.amdhsa_user_sgpr_kernarg_preload_offset 0
		.amdhsa_user_sgpr_private_segment_size 0
		.amdhsa_uses_dynamic_stack 0
		.amdhsa_enable_private_segment 0
		.amdhsa_system_sgpr_workgroup_id_x 1
		.amdhsa_system_sgpr_workgroup_id_y 0
		.amdhsa_system_sgpr_workgroup_id_z 0
		.amdhsa_system_sgpr_workgroup_info 0
		.amdhsa_system_vgpr_workitem_id 0
		.amdhsa_next_free_vgpr 1
		.amdhsa_next_free_sgpr 0
		.amdhsa_accum_offset 4
		.amdhsa_reserve_vcc 0
		.amdhsa_float_round_mode_32 0
		.amdhsa_float_round_mode_16_64 0
		.amdhsa_float_denorm_mode_32 3
		.amdhsa_float_denorm_mode_16_64 3
		.amdhsa_dx10_clamp 1
		.amdhsa_ieee_mode 1
		.amdhsa_fp16_overflow 0
		.amdhsa_tg_split 0
		.amdhsa_exception_fp_ieee_invalid_op 0
		.amdhsa_exception_fp_denorm_src 0
		.amdhsa_exception_fp_ieee_div_zero 0
		.amdhsa_exception_fp_ieee_overflow 0
		.amdhsa_exception_fp_ieee_underflow 0
		.amdhsa_exception_fp_ieee_inexact 0
		.amdhsa_exception_int_div_zero 0
	.end_amdhsa_kernel
	.section	.text._ZN7rocprim17ROCPRIM_400000_NS6detail17trampoline_kernelINS0_14default_configENS1_38merge_sort_block_merge_config_selectorIbiEEZZNS1_27merge_sort_block_merge_implIS3_N6thrust23THRUST_200600_302600_NS6detail15normal_iteratorINS8_10device_ptrIbEEEENSA_INSB_IiEEEEjNS1_19radix_merge_compareILb1ELb0EbNS0_19identity_decomposerEEEEE10hipError_tT0_T1_T2_jT3_P12ihipStream_tbPNSt15iterator_traitsISK_E10value_typeEPNSQ_ISL_E10value_typeEPSM_NS1_7vsmem_tEENKUlT_SK_SL_SM_E_clIPbSD_PiSF_EESJ_SZ_SK_SL_SM_EUlSZ_E1_NS1_11comp_targetILNS1_3genE8ELNS1_11target_archE1030ELNS1_3gpuE2ELNS1_3repE0EEENS1_36merge_oddeven_config_static_selectorELNS0_4arch9wavefront6targetE1EEEvSL_,"axG",@progbits,_ZN7rocprim17ROCPRIM_400000_NS6detail17trampoline_kernelINS0_14default_configENS1_38merge_sort_block_merge_config_selectorIbiEEZZNS1_27merge_sort_block_merge_implIS3_N6thrust23THRUST_200600_302600_NS6detail15normal_iteratorINS8_10device_ptrIbEEEENSA_INSB_IiEEEEjNS1_19radix_merge_compareILb1ELb0EbNS0_19identity_decomposerEEEEE10hipError_tT0_T1_T2_jT3_P12ihipStream_tbPNSt15iterator_traitsISK_E10value_typeEPNSQ_ISL_E10value_typeEPSM_NS1_7vsmem_tEENKUlT_SK_SL_SM_E_clIPbSD_PiSF_EESJ_SZ_SK_SL_SM_EUlSZ_E1_NS1_11comp_targetILNS1_3genE8ELNS1_11target_archE1030ELNS1_3gpuE2ELNS1_3repE0EEENS1_36merge_oddeven_config_static_selectorELNS0_4arch9wavefront6targetE1EEEvSL_,comdat
.Lfunc_end2127:
	.size	_ZN7rocprim17ROCPRIM_400000_NS6detail17trampoline_kernelINS0_14default_configENS1_38merge_sort_block_merge_config_selectorIbiEEZZNS1_27merge_sort_block_merge_implIS3_N6thrust23THRUST_200600_302600_NS6detail15normal_iteratorINS8_10device_ptrIbEEEENSA_INSB_IiEEEEjNS1_19radix_merge_compareILb1ELb0EbNS0_19identity_decomposerEEEEE10hipError_tT0_T1_T2_jT3_P12ihipStream_tbPNSt15iterator_traitsISK_E10value_typeEPNSQ_ISL_E10value_typeEPSM_NS1_7vsmem_tEENKUlT_SK_SL_SM_E_clIPbSD_PiSF_EESJ_SZ_SK_SL_SM_EUlSZ_E1_NS1_11comp_targetILNS1_3genE8ELNS1_11target_archE1030ELNS1_3gpuE2ELNS1_3repE0EEENS1_36merge_oddeven_config_static_selectorELNS0_4arch9wavefront6targetE1EEEvSL_, .Lfunc_end2127-_ZN7rocprim17ROCPRIM_400000_NS6detail17trampoline_kernelINS0_14default_configENS1_38merge_sort_block_merge_config_selectorIbiEEZZNS1_27merge_sort_block_merge_implIS3_N6thrust23THRUST_200600_302600_NS6detail15normal_iteratorINS8_10device_ptrIbEEEENSA_INSB_IiEEEEjNS1_19radix_merge_compareILb1ELb0EbNS0_19identity_decomposerEEEEE10hipError_tT0_T1_T2_jT3_P12ihipStream_tbPNSt15iterator_traitsISK_E10value_typeEPNSQ_ISL_E10value_typeEPSM_NS1_7vsmem_tEENKUlT_SK_SL_SM_E_clIPbSD_PiSF_EESJ_SZ_SK_SL_SM_EUlSZ_E1_NS1_11comp_targetILNS1_3genE8ELNS1_11target_archE1030ELNS1_3gpuE2ELNS1_3repE0EEENS1_36merge_oddeven_config_static_selectorELNS0_4arch9wavefront6targetE1EEEvSL_
                                        ; -- End function
	.set _ZN7rocprim17ROCPRIM_400000_NS6detail17trampoline_kernelINS0_14default_configENS1_38merge_sort_block_merge_config_selectorIbiEEZZNS1_27merge_sort_block_merge_implIS3_N6thrust23THRUST_200600_302600_NS6detail15normal_iteratorINS8_10device_ptrIbEEEENSA_INSB_IiEEEEjNS1_19radix_merge_compareILb1ELb0EbNS0_19identity_decomposerEEEEE10hipError_tT0_T1_T2_jT3_P12ihipStream_tbPNSt15iterator_traitsISK_E10value_typeEPNSQ_ISL_E10value_typeEPSM_NS1_7vsmem_tEENKUlT_SK_SL_SM_E_clIPbSD_PiSF_EESJ_SZ_SK_SL_SM_EUlSZ_E1_NS1_11comp_targetILNS1_3genE8ELNS1_11target_archE1030ELNS1_3gpuE2ELNS1_3repE0EEENS1_36merge_oddeven_config_static_selectorELNS0_4arch9wavefront6targetE1EEEvSL_.num_vgpr, 0
	.set _ZN7rocprim17ROCPRIM_400000_NS6detail17trampoline_kernelINS0_14default_configENS1_38merge_sort_block_merge_config_selectorIbiEEZZNS1_27merge_sort_block_merge_implIS3_N6thrust23THRUST_200600_302600_NS6detail15normal_iteratorINS8_10device_ptrIbEEEENSA_INSB_IiEEEEjNS1_19radix_merge_compareILb1ELb0EbNS0_19identity_decomposerEEEEE10hipError_tT0_T1_T2_jT3_P12ihipStream_tbPNSt15iterator_traitsISK_E10value_typeEPNSQ_ISL_E10value_typeEPSM_NS1_7vsmem_tEENKUlT_SK_SL_SM_E_clIPbSD_PiSF_EESJ_SZ_SK_SL_SM_EUlSZ_E1_NS1_11comp_targetILNS1_3genE8ELNS1_11target_archE1030ELNS1_3gpuE2ELNS1_3repE0EEENS1_36merge_oddeven_config_static_selectorELNS0_4arch9wavefront6targetE1EEEvSL_.num_agpr, 0
	.set _ZN7rocprim17ROCPRIM_400000_NS6detail17trampoline_kernelINS0_14default_configENS1_38merge_sort_block_merge_config_selectorIbiEEZZNS1_27merge_sort_block_merge_implIS3_N6thrust23THRUST_200600_302600_NS6detail15normal_iteratorINS8_10device_ptrIbEEEENSA_INSB_IiEEEEjNS1_19radix_merge_compareILb1ELb0EbNS0_19identity_decomposerEEEEE10hipError_tT0_T1_T2_jT3_P12ihipStream_tbPNSt15iterator_traitsISK_E10value_typeEPNSQ_ISL_E10value_typeEPSM_NS1_7vsmem_tEENKUlT_SK_SL_SM_E_clIPbSD_PiSF_EESJ_SZ_SK_SL_SM_EUlSZ_E1_NS1_11comp_targetILNS1_3genE8ELNS1_11target_archE1030ELNS1_3gpuE2ELNS1_3repE0EEENS1_36merge_oddeven_config_static_selectorELNS0_4arch9wavefront6targetE1EEEvSL_.numbered_sgpr, 0
	.set _ZN7rocprim17ROCPRIM_400000_NS6detail17trampoline_kernelINS0_14default_configENS1_38merge_sort_block_merge_config_selectorIbiEEZZNS1_27merge_sort_block_merge_implIS3_N6thrust23THRUST_200600_302600_NS6detail15normal_iteratorINS8_10device_ptrIbEEEENSA_INSB_IiEEEEjNS1_19radix_merge_compareILb1ELb0EbNS0_19identity_decomposerEEEEE10hipError_tT0_T1_T2_jT3_P12ihipStream_tbPNSt15iterator_traitsISK_E10value_typeEPNSQ_ISL_E10value_typeEPSM_NS1_7vsmem_tEENKUlT_SK_SL_SM_E_clIPbSD_PiSF_EESJ_SZ_SK_SL_SM_EUlSZ_E1_NS1_11comp_targetILNS1_3genE8ELNS1_11target_archE1030ELNS1_3gpuE2ELNS1_3repE0EEENS1_36merge_oddeven_config_static_selectorELNS0_4arch9wavefront6targetE1EEEvSL_.num_named_barrier, 0
	.set _ZN7rocprim17ROCPRIM_400000_NS6detail17trampoline_kernelINS0_14default_configENS1_38merge_sort_block_merge_config_selectorIbiEEZZNS1_27merge_sort_block_merge_implIS3_N6thrust23THRUST_200600_302600_NS6detail15normal_iteratorINS8_10device_ptrIbEEEENSA_INSB_IiEEEEjNS1_19radix_merge_compareILb1ELb0EbNS0_19identity_decomposerEEEEE10hipError_tT0_T1_T2_jT3_P12ihipStream_tbPNSt15iterator_traitsISK_E10value_typeEPNSQ_ISL_E10value_typeEPSM_NS1_7vsmem_tEENKUlT_SK_SL_SM_E_clIPbSD_PiSF_EESJ_SZ_SK_SL_SM_EUlSZ_E1_NS1_11comp_targetILNS1_3genE8ELNS1_11target_archE1030ELNS1_3gpuE2ELNS1_3repE0EEENS1_36merge_oddeven_config_static_selectorELNS0_4arch9wavefront6targetE1EEEvSL_.private_seg_size, 0
	.set _ZN7rocprim17ROCPRIM_400000_NS6detail17trampoline_kernelINS0_14default_configENS1_38merge_sort_block_merge_config_selectorIbiEEZZNS1_27merge_sort_block_merge_implIS3_N6thrust23THRUST_200600_302600_NS6detail15normal_iteratorINS8_10device_ptrIbEEEENSA_INSB_IiEEEEjNS1_19radix_merge_compareILb1ELb0EbNS0_19identity_decomposerEEEEE10hipError_tT0_T1_T2_jT3_P12ihipStream_tbPNSt15iterator_traitsISK_E10value_typeEPNSQ_ISL_E10value_typeEPSM_NS1_7vsmem_tEENKUlT_SK_SL_SM_E_clIPbSD_PiSF_EESJ_SZ_SK_SL_SM_EUlSZ_E1_NS1_11comp_targetILNS1_3genE8ELNS1_11target_archE1030ELNS1_3gpuE2ELNS1_3repE0EEENS1_36merge_oddeven_config_static_selectorELNS0_4arch9wavefront6targetE1EEEvSL_.uses_vcc, 0
	.set _ZN7rocprim17ROCPRIM_400000_NS6detail17trampoline_kernelINS0_14default_configENS1_38merge_sort_block_merge_config_selectorIbiEEZZNS1_27merge_sort_block_merge_implIS3_N6thrust23THRUST_200600_302600_NS6detail15normal_iteratorINS8_10device_ptrIbEEEENSA_INSB_IiEEEEjNS1_19radix_merge_compareILb1ELb0EbNS0_19identity_decomposerEEEEE10hipError_tT0_T1_T2_jT3_P12ihipStream_tbPNSt15iterator_traitsISK_E10value_typeEPNSQ_ISL_E10value_typeEPSM_NS1_7vsmem_tEENKUlT_SK_SL_SM_E_clIPbSD_PiSF_EESJ_SZ_SK_SL_SM_EUlSZ_E1_NS1_11comp_targetILNS1_3genE8ELNS1_11target_archE1030ELNS1_3gpuE2ELNS1_3repE0EEENS1_36merge_oddeven_config_static_selectorELNS0_4arch9wavefront6targetE1EEEvSL_.uses_flat_scratch, 0
	.set _ZN7rocprim17ROCPRIM_400000_NS6detail17trampoline_kernelINS0_14default_configENS1_38merge_sort_block_merge_config_selectorIbiEEZZNS1_27merge_sort_block_merge_implIS3_N6thrust23THRUST_200600_302600_NS6detail15normal_iteratorINS8_10device_ptrIbEEEENSA_INSB_IiEEEEjNS1_19radix_merge_compareILb1ELb0EbNS0_19identity_decomposerEEEEE10hipError_tT0_T1_T2_jT3_P12ihipStream_tbPNSt15iterator_traitsISK_E10value_typeEPNSQ_ISL_E10value_typeEPSM_NS1_7vsmem_tEENKUlT_SK_SL_SM_E_clIPbSD_PiSF_EESJ_SZ_SK_SL_SM_EUlSZ_E1_NS1_11comp_targetILNS1_3genE8ELNS1_11target_archE1030ELNS1_3gpuE2ELNS1_3repE0EEENS1_36merge_oddeven_config_static_selectorELNS0_4arch9wavefront6targetE1EEEvSL_.has_dyn_sized_stack, 0
	.set _ZN7rocprim17ROCPRIM_400000_NS6detail17trampoline_kernelINS0_14default_configENS1_38merge_sort_block_merge_config_selectorIbiEEZZNS1_27merge_sort_block_merge_implIS3_N6thrust23THRUST_200600_302600_NS6detail15normal_iteratorINS8_10device_ptrIbEEEENSA_INSB_IiEEEEjNS1_19radix_merge_compareILb1ELb0EbNS0_19identity_decomposerEEEEE10hipError_tT0_T1_T2_jT3_P12ihipStream_tbPNSt15iterator_traitsISK_E10value_typeEPNSQ_ISL_E10value_typeEPSM_NS1_7vsmem_tEENKUlT_SK_SL_SM_E_clIPbSD_PiSF_EESJ_SZ_SK_SL_SM_EUlSZ_E1_NS1_11comp_targetILNS1_3genE8ELNS1_11target_archE1030ELNS1_3gpuE2ELNS1_3repE0EEENS1_36merge_oddeven_config_static_selectorELNS0_4arch9wavefront6targetE1EEEvSL_.has_recursion, 0
	.set _ZN7rocprim17ROCPRIM_400000_NS6detail17trampoline_kernelINS0_14default_configENS1_38merge_sort_block_merge_config_selectorIbiEEZZNS1_27merge_sort_block_merge_implIS3_N6thrust23THRUST_200600_302600_NS6detail15normal_iteratorINS8_10device_ptrIbEEEENSA_INSB_IiEEEEjNS1_19radix_merge_compareILb1ELb0EbNS0_19identity_decomposerEEEEE10hipError_tT0_T1_T2_jT3_P12ihipStream_tbPNSt15iterator_traitsISK_E10value_typeEPNSQ_ISL_E10value_typeEPSM_NS1_7vsmem_tEENKUlT_SK_SL_SM_E_clIPbSD_PiSF_EESJ_SZ_SK_SL_SM_EUlSZ_E1_NS1_11comp_targetILNS1_3genE8ELNS1_11target_archE1030ELNS1_3gpuE2ELNS1_3repE0EEENS1_36merge_oddeven_config_static_selectorELNS0_4arch9wavefront6targetE1EEEvSL_.has_indirect_call, 0
	.section	.AMDGPU.csdata,"",@progbits
; Kernel info:
; codeLenInByte = 0
; TotalNumSgprs: 6
; NumVgprs: 0
; NumAgprs: 0
; TotalNumVgprs: 0
; ScratchSize: 0
; MemoryBound: 0
; FloatMode: 240
; IeeeMode: 1
; LDSByteSize: 0 bytes/workgroup (compile time only)
; SGPRBlocks: 0
; VGPRBlocks: 0
; NumSGPRsForWavesPerEU: 6
; NumVGPRsForWavesPerEU: 1
; AccumOffset: 4
; Occupancy: 8
; WaveLimiterHint : 0
; COMPUTE_PGM_RSRC2:SCRATCH_EN: 0
; COMPUTE_PGM_RSRC2:USER_SGPR: 2
; COMPUTE_PGM_RSRC2:TRAP_HANDLER: 0
; COMPUTE_PGM_RSRC2:TGID_X_EN: 1
; COMPUTE_PGM_RSRC2:TGID_Y_EN: 0
; COMPUTE_PGM_RSRC2:TGID_Z_EN: 0
; COMPUTE_PGM_RSRC2:TIDIG_COMP_CNT: 0
; COMPUTE_PGM_RSRC3_GFX90A:ACCUM_OFFSET: 0
; COMPUTE_PGM_RSRC3_GFX90A:TG_SPLIT: 0
	.section	.text._ZN7rocprim17ROCPRIM_400000_NS6detail17trampoline_kernelINS0_14default_configENS1_38merge_sort_block_merge_config_selectorIbiEEZZNS1_27merge_sort_block_merge_implIS3_N6thrust23THRUST_200600_302600_NS6detail15normal_iteratorINS8_10device_ptrIbEEEENSA_INSB_IiEEEEjNS1_19radix_merge_compareILb1ELb0EbNS0_19identity_decomposerEEEEE10hipError_tT0_T1_T2_jT3_P12ihipStream_tbPNSt15iterator_traitsISK_E10value_typeEPNSQ_ISL_E10value_typeEPSM_NS1_7vsmem_tEENKUlT_SK_SL_SM_E_clISD_PbSF_PiEESJ_SZ_SK_SL_SM_EUlSZ_E_NS1_11comp_targetILNS1_3genE0ELNS1_11target_archE4294967295ELNS1_3gpuE0ELNS1_3repE0EEENS1_48merge_mergepath_partition_config_static_selectorELNS0_4arch9wavefront6targetE1EEEvSL_,"axG",@progbits,_ZN7rocprim17ROCPRIM_400000_NS6detail17trampoline_kernelINS0_14default_configENS1_38merge_sort_block_merge_config_selectorIbiEEZZNS1_27merge_sort_block_merge_implIS3_N6thrust23THRUST_200600_302600_NS6detail15normal_iteratorINS8_10device_ptrIbEEEENSA_INSB_IiEEEEjNS1_19radix_merge_compareILb1ELb0EbNS0_19identity_decomposerEEEEE10hipError_tT0_T1_T2_jT3_P12ihipStream_tbPNSt15iterator_traitsISK_E10value_typeEPNSQ_ISL_E10value_typeEPSM_NS1_7vsmem_tEENKUlT_SK_SL_SM_E_clISD_PbSF_PiEESJ_SZ_SK_SL_SM_EUlSZ_E_NS1_11comp_targetILNS1_3genE0ELNS1_11target_archE4294967295ELNS1_3gpuE0ELNS1_3repE0EEENS1_48merge_mergepath_partition_config_static_selectorELNS0_4arch9wavefront6targetE1EEEvSL_,comdat
	.protected	_ZN7rocprim17ROCPRIM_400000_NS6detail17trampoline_kernelINS0_14default_configENS1_38merge_sort_block_merge_config_selectorIbiEEZZNS1_27merge_sort_block_merge_implIS3_N6thrust23THRUST_200600_302600_NS6detail15normal_iteratorINS8_10device_ptrIbEEEENSA_INSB_IiEEEEjNS1_19radix_merge_compareILb1ELb0EbNS0_19identity_decomposerEEEEE10hipError_tT0_T1_T2_jT3_P12ihipStream_tbPNSt15iterator_traitsISK_E10value_typeEPNSQ_ISL_E10value_typeEPSM_NS1_7vsmem_tEENKUlT_SK_SL_SM_E_clISD_PbSF_PiEESJ_SZ_SK_SL_SM_EUlSZ_E_NS1_11comp_targetILNS1_3genE0ELNS1_11target_archE4294967295ELNS1_3gpuE0ELNS1_3repE0EEENS1_48merge_mergepath_partition_config_static_selectorELNS0_4arch9wavefront6targetE1EEEvSL_ ; -- Begin function _ZN7rocprim17ROCPRIM_400000_NS6detail17trampoline_kernelINS0_14default_configENS1_38merge_sort_block_merge_config_selectorIbiEEZZNS1_27merge_sort_block_merge_implIS3_N6thrust23THRUST_200600_302600_NS6detail15normal_iteratorINS8_10device_ptrIbEEEENSA_INSB_IiEEEEjNS1_19radix_merge_compareILb1ELb0EbNS0_19identity_decomposerEEEEE10hipError_tT0_T1_T2_jT3_P12ihipStream_tbPNSt15iterator_traitsISK_E10value_typeEPNSQ_ISL_E10value_typeEPSM_NS1_7vsmem_tEENKUlT_SK_SL_SM_E_clISD_PbSF_PiEESJ_SZ_SK_SL_SM_EUlSZ_E_NS1_11comp_targetILNS1_3genE0ELNS1_11target_archE4294967295ELNS1_3gpuE0ELNS1_3repE0EEENS1_48merge_mergepath_partition_config_static_selectorELNS0_4arch9wavefront6targetE1EEEvSL_
	.globl	_ZN7rocprim17ROCPRIM_400000_NS6detail17trampoline_kernelINS0_14default_configENS1_38merge_sort_block_merge_config_selectorIbiEEZZNS1_27merge_sort_block_merge_implIS3_N6thrust23THRUST_200600_302600_NS6detail15normal_iteratorINS8_10device_ptrIbEEEENSA_INSB_IiEEEEjNS1_19radix_merge_compareILb1ELb0EbNS0_19identity_decomposerEEEEE10hipError_tT0_T1_T2_jT3_P12ihipStream_tbPNSt15iterator_traitsISK_E10value_typeEPNSQ_ISL_E10value_typeEPSM_NS1_7vsmem_tEENKUlT_SK_SL_SM_E_clISD_PbSF_PiEESJ_SZ_SK_SL_SM_EUlSZ_E_NS1_11comp_targetILNS1_3genE0ELNS1_11target_archE4294967295ELNS1_3gpuE0ELNS1_3repE0EEENS1_48merge_mergepath_partition_config_static_selectorELNS0_4arch9wavefront6targetE1EEEvSL_
	.p2align	8
	.type	_ZN7rocprim17ROCPRIM_400000_NS6detail17trampoline_kernelINS0_14default_configENS1_38merge_sort_block_merge_config_selectorIbiEEZZNS1_27merge_sort_block_merge_implIS3_N6thrust23THRUST_200600_302600_NS6detail15normal_iteratorINS8_10device_ptrIbEEEENSA_INSB_IiEEEEjNS1_19radix_merge_compareILb1ELb0EbNS0_19identity_decomposerEEEEE10hipError_tT0_T1_T2_jT3_P12ihipStream_tbPNSt15iterator_traitsISK_E10value_typeEPNSQ_ISL_E10value_typeEPSM_NS1_7vsmem_tEENKUlT_SK_SL_SM_E_clISD_PbSF_PiEESJ_SZ_SK_SL_SM_EUlSZ_E_NS1_11comp_targetILNS1_3genE0ELNS1_11target_archE4294967295ELNS1_3gpuE0ELNS1_3repE0EEENS1_48merge_mergepath_partition_config_static_selectorELNS0_4arch9wavefront6targetE1EEEvSL_,@function
_ZN7rocprim17ROCPRIM_400000_NS6detail17trampoline_kernelINS0_14default_configENS1_38merge_sort_block_merge_config_selectorIbiEEZZNS1_27merge_sort_block_merge_implIS3_N6thrust23THRUST_200600_302600_NS6detail15normal_iteratorINS8_10device_ptrIbEEEENSA_INSB_IiEEEEjNS1_19radix_merge_compareILb1ELb0EbNS0_19identity_decomposerEEEEE10hipError_tT0_T1_T2_jT3_P12ihipStream_tbPNSt15iterator_traitsISK_E10value_typeEPNSQ_ISL_E10value_typeEPSM_NS1_7vsmem_tEENKUlT_SK_SL_SM_E_clISD_PbSF_PiEESJ_SZ_SK_SL_SM_EUlSZ_E_NS1_11comp_targetILNS1_3genE0ELNS1_11target_archE4294967295ELNS1_3gpuE0ELNS1_3repE0EEENS1_48merge_mergepath_partition_config_static_selectorELNS0_4arch9wavefront6targetE1EEEvSL_: ; @_ZN7rocprim17ROCPRIM_400000_NS6detail17trampoline_kernelINS0_14default_configENS1_38merge_sort_block_merge_config_selectorIbiEEZZNS1_27merge_sort_block_merge_implIS3_N6thrust23THRUST_200600_302600_NS6detail15normal_iteratorINS8_10device_ptrIbEEEENSA_INSB_IiEEEEjNS1_19radix_merge_compareILb1ELb0EbNS0_19identity_decomposerEEEEE10hipError_tT0_T1_T2_jT3_P12ihipStream_tbPNSt15iterator_traitsISK_E10value_typeEPNSQ_ISL_E10value_typeEPSM_NS1_7vsmem_tEENKUlT_SK_SL_SM_E_clISD_PbSF_PiEESJ_SZ_SK_SL_SM_EUlSZ_E_NS1_11comp_targetILNS1_3genE0ELNS1_11target_archE4294967295ELNS1_3gpuE0ELNS1_3repE0EEENS1_48merge_mergepath_partition_config_static_selectorELNS0_4arch9wavefront6targetE1EEEvSL_
; %bb.0:
	s_load_dword s3, s[0:1], 0x0
	v_lshl_or_b32 v0, s2, 7, v0
	s_waitcnt lgkmcnt(0)
	v_cmp_gt_u32_e32 vcc, s3, v0
	s_and_saveexec_b64 s[2:3], vcc
	s_cbranch_execz .LBB2128_6
; %bb.1:
	s_load_dwordx2 s[4:5], s[0:1], 0x4
	s_load_dwordx2 s[2:3], s[0:1], 0x20
	s_waitcnt lgkmcnt(0)
	s_lshr_b32 s6, s4, 9
	s_and_b32 s6, s6, 0x7ffffe
	s_add_i32 s7, s6, -1
	s_sub_i32 s6, 0, s6
	v_and_b32_e32 v1, s6, v0
	v_lshlrev_b32_e32 v1, 10, v1
	v_min_u32_e32 v2, s5, v1
	v_add_u32_e32 v1, s4, v1
	v_min_u32_e32 v4, s5, v1
	v_add_u32_e32 v1, s4, v4
	v_and_b32_e32 v3, s7, v0
	v_min_u32_e32 v1, s5, v1
	v_sub_u32_e32 v5, v1, v2
	v_lshlrev_b32_e32 v3, 10, v3
	v_min_u32_e32 v10, v5, v3
	v_sub_u32_e32 v3, v4, v2
	v_sub_u32_e32 v1, v1, v4
	v_sub_u32_e64 v1, v10, v1 clamp
	v_min_u32_e32 v11, v10, v3
	v_cmp_lt_u32_e32 vcc, v1, v11
	s_and_saveexec_b64 s[4:5], vcc
	s_cbranch_execz .LBB2128_5
; %bb.2:
	s_load_dwordx2 s[0:1], s[0:1], 0x10
	v_mov_b32_e32 v5, 0
	v_mov_b32_e32 v3, v5
	s_waitcnt lgkmcnt(0)
	v_lshl_add_u64 v[6:7], s[0:1], 0, v[2:3]
	v_lshl_add_u64 v[8:9], s[0:1], 0, v[4:5]
	s_mov_b64 s[0:1], 0
.LBB2128_3:                             ; =>This Inner Loop Header: Depth=1
	v_add_u32_e32 v3, v11, v1
	v_lshrrev_b32_e32 v4, 1, v3
	v_mov_b32_e32 v13, v5
	v_xad_u32 v12, v4, -1, v10
	v_lshl_add_u64 v[14:15], v[6:7], 0, v[4:5]
	v_lshl_add_u64 v[12:13], v[8:9], 0, v[12:13]
	flat_load_ubyte v3, v[14:15]
	flat_load_ubyte v16, v[12:13]
	v_add_u32_e32 v12, 1, v4
	s_waitcnt vmcnt(0) lgkmcnt(0)
	v_cmp_gt_u16_e32 vcc, v16, v3
	s_nop 1
	v_cndmask_b32_e32 v11, v11, v4, vcc
	v_cndmask_b32_e32 v1, v12, v1, vcc
	v_cmp_ge_u32_e32 vcc, v1, v11
	s_or_b64 s[0:1], vcc, s[0:1]
	s_andn2_b64 exec, exec, s[0:1]
	s_cbranch_execnz .LBB2128_3
; %bb.4:
	s_or_b64 exec, exec, s[0:1]
.LBB2128_5:
	s_or_b64 exec, exec, s[4:5]
	v_add_u32_e32 v2, v1, v2
	v_mov_b32_e32 v1, 0
	v_lshl_add_u64 v[0:1], v[0:1], 2, s[2:3]
	global_store_dword v[0:1], v2, off
.LBB2128_6:
	s_endpgm
	.section	.rodata,"a",@progbits
	.p2align	6, 0x0
	.amdhsa_kernel _ZN7rocprim17ROCPRIM_400000_NS6detail17trampoline_kernelINS0_14default_configENS1_38merge_sort_block_merge_config_selectorIbiEEZZNS1_27merge_sort_block_merge_implIS3_N6thrust23THRUST_200600_302600_NS6detail15normal_iteratorINS8_10device_ptrIbEEEENSA_INSB_IiEEEEjNS1_19radix_merge_compareILb1ELb0EbNS0_19identity_decomposerEEEEE10hipError_tT0_T1_T2_jT3_P12ihipStream_tbPNSt15iterator_traitsISK_E10value_typeEPNSQ_ISL_E10value_typeEPSM_NS1_7vsmem_tEENKUlT_SK_SL_SM_E_clISD_PbSF_PiEESJ_SZ_SK_SL_SM_EUlSZ_E_NS1_11comp_targetILNS1_3genE0ELNS1_11target_archE4294967295ELNS1_3gpuE0ELNS1_3repE0EEENS1_48merge_mergepath_partition_config_static_selectorELNS0_4arch9wavefront6targetE1EEEvSL_
		.amdhsa_group_segment_fixed_size 0
		.amdhsa_private_segment_fixed_size 0
		.amdhsa_kernarg_size 40
		.amdhsa_user_sgpr_count 2
		.amdhsa_user_sgpr_dispatch_ptr 0
		.amdhsa_user_sgpr_queue_ptr 0
		.amdhsa_user_sgpr_kernarg_segment_ptr 1
		.amdhsa_user_sgpr_dispatch_id 0
		.amdhsa_user_sgpr_kernarg_preload_length 0
		.amdhsa_user_sgpr_kernarg_preload_offset 0
		.amdhsa_user_sgpr_private_segment_size 0
		.amdhsa_uses_dynamic_stack 0
		.amdhsa_enable_private_segment 0
		.amdhsa_system_sgpr_workgroup_id_x 1
		.amdhsa_system_sgpr_workgroup_id_y 0
		.amdhsa_system_sgpr_workgroup_id_z 0
		.amdhsa_system_sgpr_workgroup_info 0
		.amdhsa_system_vgpr_workitem_id 0
		.amdhsa_next_free_vgpr 17
		.amdhsa_next_free_sgpr 8
		.amdhsa_accum_offset 20
		.amdhsa_reserve_vcc 1
		.amdhsa_float_round_mode_32 0
		.amdhsa_float_round_mode_16_64 0
		.amdhsa_float_denorm_mode_32 3
		.amdhsa_float_denorm_mode_16_64 3
		.amdhsa_dx10_clamp 1
		.amdhsa_ieee_mode 1
		.amdhsa_fp16_overflow 0
		.amdhsa_tg_split 0
		.amdhsa_exception_fp_ieee_invalid_op 0
		.amdhsa_exception_fp_denorm_src 0
		.amdhsa_exception_fp_ieee_div_zero 0
		.amdhsa_exception_fp_ieee_overflow 0
		.amdhsa_exception_fp_ieee_underflow 0
		.amdhsa_exception_fp_ieee_inexact 0
		.amdhsa_exception_int_div_zero 0
	.end_amdhsa_kernel
	.section	.text._ZN7rocprim17ROCPRIM_400000_NS6detail17trampoline_kernelINS0_14default_configENS1_38merge_sort_block_merge_config_selectorIbiEEZZNS1_27merge_sort_block_merge_implIS3_N6thrust23THRUST_200600_302600_NS6detail15normal_iteratorINS8_10device_ptrIbEEEENSA_INSB_IiEEEEjNS1_19radix_merge_compareILb1ELb0EbNS0_19identity_decomposerEEEEE10hipError_tT0_T1_T2_jT3_P12ihipStream_tbPNSt15iterator_traitsISK_E10value_typeEPNSQ_ISL_E10value_typeEPSM_NS1_7vsmem_tEENKUlT_SK_SL_SM_E_clISD_PbSF_PiEESJ_SZ_SK_SL_SM_EUlSZ_E_NS1_11comp_targetILNS1_3genE0ELNS1_11target_archE4294967295ELNS1_3gpuE0ELNS1_3repE0EEENS1_48merge_mergepath_partition_config_static_selectorELNS0_4arch9wavefront6targetE1EEEvSL_,"axG",@progbits,_ZN7rocprim17ROCPRIM_400000_NS6detail17trampoline_kernelINS0_14default_configENS1_38merge_sort_block_merge_config_selectorIbiEEZZNS1_27merge_sort_block_merge_implIS3_N6thrust23THRUST_200600_302600_NS6detail15normal_iteratorINS8_10device_ptrIbEEEENSA_INSB_IiEEEEjNS1_19radix_merge_compareILb1ELb0EbNS0_19identity_decomposerEEEEE10hipError_tT0_T1_T2_jT3_P12ihipStream_tbPNSt15iterator_traitsISK_E10value_typeEPNSQ_ISL_E10value_typeEPSM_NS1_7vsmem_tEENKUlT_SK_SL_SM_E_clISD_PbSF_PiEESJ_SZ_SK_SL_SM_EUlSZ_E_NS1_11comp_targetILNS1_3genE0ELNS1_11target_archE4294967295ELNS1_3gpuE0ELNS1_3repE0EEENS1_48merge_mergepath_partition_config_static_selectorELNS0_4arch9wavefront6targetE1EEEvSL_,comdat
.Lfunc_end2128:
	.size	_ZN7rocprim17ROCPRIM_400000_NS6detail17trampoline_kernelINS0_14default_configENS1_38merge_sort_block_merge_config_selectorIbiEEZZNS1_27merge_sort_block_merge_implIS3_N6thrust23THRUST_200600_302600_NS6detail15normal_iteratorINS8_10device_ptrIbEEEENSA_INSB_IiEEEEjNS1_19radix_merge_compareILb1ELb0EbNS0_19identity_decomposerEEEEE10hipError_tT0_T1_T2_jT3_P12ihipStream_tbPNSt15iterator_traitsISK_E10value_typeEPNSQ_ISL_E10value_typeEPSM_NS1_7vsmem_tEENKUlT_SK_SL_SM_E_clISD_PbSF_PiEESJ_SZ_SK_SL_SM_EUlSZ_E_NS1_11comp_targetILNS1_3genE0ELNS1_11target_archE4294967295ELNS1_3gpuE0ELNS1_3repE0EEENS1_48merge_mergepath_partition_config_static_selectorELNS0_4arch9wavefront6targetE1EEEvSL_, .Lfunc_end2128-_ZN7rocprim17ROCPRIM_400000_NS6detail17trampoline_kernelINS0_14default_configENS1_38merge_sort_block_merge_config_selectorIbiEEZZNS1_27merge_sort_block_merge_implIS3_N6thrust23THRUST_200600_302600_NS6detail15normal_iteratorINS8_10device_ptrIbEEEENSA_INSB_IiEEEEjNS1_19radix_merge_compareILb1ELb0EbNS0_19identity_decomposerEEEEE10hipError_tT0_T1_T2_jT3_P12ihipStream_tbPNSt15iterator_traitsISK_E10value_typeEPNSQ_ISL_E10value_typeEPSM_NS1_7vsmem_tEENKUlT_SK_SL_SM_E_clISD_PbSF_PiEESJ_SZ_SK_SL_SM_EUlSZ_E_NS1_11comp_targetILNS1_3genE0ELNS1_11target_archE4294967295ELNS1_3gpuE0ELNS1_3repE0EEENS1_48merge_mergepath_partition_config_static_selectorELNS0_4arch9wavefront6targetE1EEEvSL_
                                        ; -- End function
	.set _ZN7rocprim17ROCPRIM_400000_NS6detail17trampoline_kernelINS0_14default_configENS1_38merge_sort_block_merge_config_selectorIbiEEZZNS1_27merge_sort_block_merge_implIS3_N6thrust23THRUST_200600_302600_NS6detail15normal_iteratorINS8_10device_ptrIbEEEENSA_INSB_IiEEEEjNS1_19radix_merge_compareILb1ELb0EbNS0_19identity_decomposerEEEEE10hipError_tT0_T1_T2_jT3_P12ihipStream_tbPNSt15iterator_traitsISK_E10value_typeEPNSQ_ISL_E10value_typeEPSM_NS1_7vsmem_tEENKUlT_SK_SL_SM_E_clISD_PbSF_PiEESJ_SZ_SK_SL_SM_EUlSZ_E_NS1_11comp_targetILNS1_3genE0ELNS1_11target_archE4294967295ELNS1_3gpuE0ELNS1_3repE0EEENS1_48merge_mergepath_partition_config_static_selectorELNS0_4arch9wavefront6targetE1EEEvSL_.num_vgpr, 17
	.set _ZN7rocprim17ROCPRIM_400000_NS6detail17trampoline_kernelINS0_14default_configENS1_38merge_sort_block_merge_config_selectorIbiEEZZNS1_27merge_sort_block_merge_implIS3_N6thrust23THRUST_200600_302600_NS6detail15normal_iteratorINS8_10device_ptrIbEEEENSA_INSB_IiEEEEjNS1_19radix_merge_compareILb1ELb0EbNS0_19identity_decomposerEEEEE10hipError_tT0_T1_T2_jT3_P12ihipStream_tbPNSt15iterator_traitsISK_E10value_typeEPNSQ_ISL_E10value_typeEPSM_NS1_7vsmem_tEENKUlT_SK_SL_SM_E_clISD_PbSF_PiEESJ_SZ_SK_SL_SM_EUlSZ_E_NS1_11comp_targetILNS1_3genE0ELNS1_11target_archE4294967295ELNS1_3gpuE0ELNS1_3repE0EEENS1_48merge_mergepath_partition_config_static_selectorELNS0_4arch9wavefront6targetE1EEEvSL_.num_agpr, 0
	.set _ZN7rocprim17ROCPRIM_400000_NS6detail17trampoline_kernelINS0_14default_configENS1_38merge_sort_block_merge_config_selectorIbiEEZZNS1_27merge_sort_block_merge_implIS3_N6thrust23THRUST_200600_302600_NS6detail15normal_iteratorINS8_10device_ptrIbEEEENSA_INSB_IiEEEEjNS1_19radix_merge_compareILb1ELb0EbNS0_19identity_decomposerEEEEE10hipError_tT0_T1_T2_jT3_P12ihipStream_tbPNSt15iterator_traitsISK_E10value_typeEPNSQ_ISL_E10value_typeEPSM_NS1_7vsmem_tEENKUlT_SK_SL_SM_E_clISD_PbSF_PiEESJ_SZ_SK_SL_SM_EUlSZ_E_NS1_11comp_targetILNS1_3genE0ELNS1_11target_archE4294967295ELNS1_3gpuE0ELNS1_3repE0EEENS1_48merge_mergepath_partition_config_static_selectorELNS0_4arch9wavefront6targetE1EEEvSL_.numbered_sgpr, 8
	.set _ZN7rocprim17ROCPRIM_400000_NS6detail17trampoline_kernelINS0_14default_configENS1_38merge_sort_block_merge_config_selectorIbiEEZZNS1_27merge_sort_block_merge_implIS3_N6thrust23THRUST_200600_302600_NS6detail15normal_iteratorINS8_10device_ptrIbEEEENSA_INSB_IiEEEEjNS1_19radix_merge_compareILb1ELb0EbNS0_19identity_decomposerEEEEE10hipError_tT0_T1_T2_jT3_P12ihipStream_tbPNSt15iterator_traitsISK_E10value_typeEPNSQ_ISL_E10value_typeEPSM_NS1_7vsmem_tEENKUlT_SK_SL_SM_E_clISD_PbSF_PiEESJ_SZ_SK_SL_SM_EUlSZ_E_NS1_11comp_targetILNS1_3genE0ELNS1_11target_archE4294967295ELNS1_3gpuE0ELNS1_3repE0EEENS1_48merge_mergepath_partition_config_static_selectorELNS0_4arch9wavefront6targetE1EEEvSL_.num_named_barrier, 0
	.set _ZN7rocprim17ROCPRIM_400000_NS6detail17trampoline_kernelINS0_14default_configENS1_38merge_sort_block_merge_config_selectorIbiEEZZNS1_27merge_sort_block_merge_implIS3_N6thrust23THRUST_200600_302600_NS6detail15normal_iteratorINS8_10device_ptrIbEEEENSA_INSB_IiEEEEjNS1_19radix_merge_compareILb1ELb0EbNS0_19identity_decomposerEEEEE10hipError_tT0_T1_T2_jT3_P12ihipStream_tbPNSt15iterator_traitsISK_E10value_typeEPNSQ_ISL_E10value_typeEPSM_NS1_7vsmem_tEENKUlT_SK_SL_SM_E_clISD_PbSF_PiEESJ_SZ_SK_SL_SM_EUlSZ_E_NS1_11comp_targetILNS1_3genE0ELNS1_11target_archE4294967295ELNS1_3gpuE0ELNS1_3repE0EEENS1_48merge_mergepath_partition_config_static_selectorELNS0_4arch9wavefront6targetE1EEEvSL_.private_seg_size, 0
	.set _ZN7rocprim17ROCPRIM_400000_NS6detail17trampoline_kernelINS0_14default_configENS1_38merge_sort_block_merge_config_selectorIbiEEZZNS1_27merge_sort_block_merge_implIS3_N6thrust23THRUST_200600_302600_NS6detail15normal_iteratorINS8_10device_ptrIbEEEENSA_INSB_IiEEEEjNS1_19radix_merge_compareILb1ELb0EbNS0_19identity_decomposerEEEEE10hipError_tT0_T1_T2_jT3_P12ihipStream_tbPNSt15iterator_traitsISK_E10value_typeEPNSQ_ISL_E10value_typeEPSM_NS1_7vsmem_tEENKUlT_SK_SL_SM_E_clISD_PbSF_PiEESJ_SZ_SK_SL_SM_EUlSZ_E_NS1_11comp_targetILNS1_3genE0ELNS1_11target_archE4294967295ELNS1_3gpuE0ELNS1_3repE0EEENS1_48merge_mergepath_partition_config_static_selectorELNS0_4arch9wavefront6targetE1EEEvSL_.uses_vcc, 1
	.set _ZN7rocprim17ROCPRIM_400000_NS6detail17trampoline_kernelINS0_14default_configENS1_38merge_sort_block_merge_config_selectorIbiEEZZNS1_27merge_sort_block_merge_implIS3_N6thrust23THRUST_200600_302600_NS6detail15normal_iteratorINS8_10device_ptrIbEEEENSA_INSB_IiEEEEjNS1_19radix_merge_compareILb1ELb0EbNS0_19identity_decomposerEEEEE10hipError_tT0_T1_T2_jT3_P12ihipStream_tbPNSt15iterator_traitsISK_E10value_typeEPNSQ_ISL_E10value_typeEPSM_NS1_7vsmem_tEENKUlT_SK_SL_SM_E_clISD_PbSF_PiEESJ_SZ_SK_SL_SM_EUlSZ_E_NS1_11comp_targetILNS1_3genE0ELNS1_11target_archE4294967295ELNS1_3gpuE0ELNS1_3repE0EEENS1_48merge_mergepath_partition_config_static_selectorELNS0_4arch9wavefront6targetE1EEEvSL_.uses_flat_scratch, 0
	.set _ZN7rocprim17ROCPRIM_400000_NS6detail17trampoline_kernelINS0_14default_configENS1_38merge_sort_block_merge_config_selectorIbiEEZZNS1_27merge_sort_block_merge_implIS3_N6thrust23THRUST_200600_302600_NS6detail15normal_iteratorINS8_10device_ptrIbEEEENSA_INSB_IiEEEEjNS1_19radix_merge_compareILb1ELb0EbNS0_19identity_decomposerEEEEE10hipError_tT0_T1_T2_jT3_P12ihipStream_tbPNSt15iterator_traitsISK_E10value_typeEPNSQ_ISL_E10value_typeEPSM_NS1_7vsmem_tEENKUlT_SK_SL_SM_E_clISD_PbSF_PiEESJ_SZ_SK_SL_SM_EUlSZ_E_NS1_11comp_targetILNS1_3genE0ELNS1_11target_archE4294967295ELNS1_3gpuE0ELNS1_3repE0EEENS1_48merge_mergepath_partition_config_static_selectorELNS0_4arch9wavefront6targetE1EEEvSL_.has_dyn_sized_stack, 0
	.set _ZN7rocprim17ROCPRIM_400000_NS6detail17trampoline_kernelINS0_14default_configENS1_38merge_sort_block_merge_config_selectorIbiEEZZNS1_27merge_sort_block_merge_implIS3_N6thrust23THRUST_200600_302600_NS6detail15normal_iteratorINS8_10device_ptrIbEEEENSA_INSB_IiEEEEjNS1_19radix_merge_compareILb1ELb0EbNS0_19identity_decomposerEEEEE10hipError_tT0_T1_T2_jT3_P12ihipStream_tbPNSt15iterator_traitsISK_E10value_typeEPNSQ_ISL_E10value_typeEPSM_NS1_7vsmem_tEENKUlT_SK_SL_SM_E_clISD_PbSF_PiEESJ_SZ_SK_SL_SM_EUlSZ_E_NS1_11comp_targetILNS1_3genE0ELNS1_11target_archE4294967295ELNS1_3gpuE0ELNS1_3repE0EEENS1_48merge_mergepath_partition_config_static_selectorELNS0_4arch9wavefront6targetE1EEEvSL_.has_recursion, 0
	.set _ZN7rocprim17ROCPRIM_400000_NS6detail17trampoline_kernelINS0_14default_configENS1_38merge_sort_block_merge_config_selectorIbiEEZZNS1_27merge_sort_block_merge_implIS3_N6thrust23THRUST_200600_302600_NS6detail15normal_iteratorINS8_10device_ptrIbEEEENSA_INSB_IiEEEEjNS1_19radix_merge_compareILb1ELb0EbNS0_19identity_decomposerEEEEE10hipError_tT0_T1_T2_jT3_P12ihipStream_tbPNSt15iterator_traitsISK_E10value_typeEPNSQ_ISL_E10value_typeEPSM_NS1_7vsmem_tEENKUlT_SK_SL_SM_E_clISD_PbSF_PiEESJ_SZ_SK_SL_SM_EUlSZ_E_NS1_11comp_targetILNS1_3genE0ELNS1_11target_archE4294967295ELNS1_3gpuE0ELNS1_3repE0EEENS1_48merge_mergepath_partition_config_static_selectorELNS0_4arch9wavefront6targetE1EEEvSL_.has_indirect_call, 0
	.section	.AMDGPU.csdata,"",@progbits
; Kernel info:
; codeLenInByte = 316
; TotalNumSgprs: 14
; NumVgprs: 17
; NumAgprs: 0
; TotalNumVgprs: 17
; ScratchSize: 0
; MemoryBound: 0
; FloatMode: 240
; IeeeMode: 1
; LDSByteSize: 0 bytes/workgroup (compile time only)
; SGPRBlocks: 1
; VGPRBlocks: 2
; NumSGPRsForWavesPerEU: 14
; NumVGPRsForWavesPerEU: 17
; AccumOffset: 20
; Occupancy: 8
; WaveLimiterHint : 0
; COMPUTE_PGM_RSRC2:SCRATCH_EN: 0
; COMPUTE_PGM_RSRC2:USER_SGPR: 2
; COMPUTE_PGM_RSRC2:TRAP_HANDLER: 0
; COMPUTE_PGM_RSRC2:TGID_X_EN: 1
; COMPUTE_PGM_RSRC2:TGID_Y_EN: 0
; COMPUTE_PGM_RSRC2:TGID_Z_EN: 0
; COMPUTE_PGM_RSRC2:TIDIG_COMP_CNT: 0
; COMPUTE_PGM_RSRC3_GFX90A:ACCUM_OFFSET: 4
; COMPUTE_PGM_RSRC3_GFX90A:TG_SPLIT: 0
	.section	.text._ZN7rocprim17ROCPRIM_400000_NS6detail17trampoline_kernelINS0_14default_configENS1_38merge_sort_block_merge_config_selectorIbiEEZZNS1_27merge_sort_block_merge_implIS3_N6thrust23THRUST_200600_302600_NS6detail15normal_iteratorINS8_10device_ptrIbEEEENSA_INSB_IiEEEEjNS1_19radix_merge_compareILb1ELb0EbNS0_19identity_decomposerEEEEE10hipError_tT0_T1_T2_jT3_P12ihipStream_tbPNSt15iterator_traitsISK_E10value_typeEPNSQ_ISL_E10value_typeEPSM_NS1_7vsmem_tEENKUlT_SK_SL_SM_E_clISD_PbSF_PiEESJ_SZ_SK_SL_SM_EUlSZ_E_NS1_11comp_targetILNS1_3genE10ELNS1_11target_archE1201ELNS1_3gpuE5ELNS1_3repE0EEENS1_48merge_mergepath_partition_config_static_selectorELNS0_4arch9wavefront6targetE1EEEvSL_,"axG",@progbits,_ZN7rocprim17ROCPRIM_400000_NS6detail17trampoline_kernelINS0_14default_configENS1_38merge_sort_block_merge_config_selectorIbiEEZZNS1_27merge_sort_block_merge_implIS3_N6thrust23THRUST_200600_302600_NS6detail15normal_iteratorINS8_10device_ptrIbEEEENSA_INSB_IiEEEEjNS1_19radix_merge_compareILb1ELb0EbNS0_19identity_decomposerEEEEE10hipError_tT0_T1_T2_jT3_P12ihipStream_tbPNSt15iterator_traitsISK_E10value_typeEPNSQ_ISL_E10value_typeEPSM_NS1_7vsmem_tEENKUlT_SK_SL_SM_E_clISD_PbSF_PiEESJ_SZ_SK_SL_SM_EUlSZ_E_NS1_11comp_targetILNS1_3genE10ELNS1_11target_archE1201ELNS1_3gpuE5ELNS1_3repE0EEENS1_48merge_mergepath_partition_config_static_selectorELNS0_4arch9wavefront6targetE1EEEvSL_,comdat
	.protected	_ZN7rocprim17ROCPRIM_400000_NS6detail17trampoline_kernelINS0_14default_configENS1_38merge_sort_block_merge_config_selectorIbiEEZZNS1_27merge_sort_block_merge_implIS3_N6thrust23THRUST_200600_302600_NS6detail15normal_iteratorINS8_10device_ptrIbEEEENSA_INSB_IiEEEEjNS1_19radix_merge_compareILb1ELb0EbNS0_19identity_decomposerEEEEE10hipError_tT0_T1_T2_jT3_P12ihipStream_tbPNSt15iterator_traitsISK_E10value_typeEPNSQ_ISL_E10value_typeEPSM_NS1_7vsmem_tEENKUlT_SK_SL_SM_E_clISD_PbSF_PiEESJ_SZ_SK_SL_SM_EUlSZ_E_NS1_11comp_targetILNS1_3genE10ELNS1_11target_archE1201ELNS1_3gpuE5ELNS1_3repE0EEENS1_48merge_mergepath_partition_config_static_selectorELNS0_4arch9wavefront6targetE1EEEvSL_ ; -- Begin function _ZN7rocprim17ROCPRIM_400000_NS6detail17trampoline_kernelINS0_14default_configENS1_38merge_sort_block_merge_config_selectorIbiEEZZNS1_27merge_sort_block_merge_implIS3_N6thrust23THRUST_200600_302600_NS6detail15normal_iteratorINS8_10device_ptrIbEEEENSA_INSB_IiEEEEjNS1_19radix_merge_compareILb1ELb0EbNS0_19identity_decomposerEEEEE10hipError_tT0_T1_T2_jT3_P12ihipStream_tbPNSt15iterator_traitsISK_E10value_typeEPNSQ_ISL_E10value_typeEPSM_NS1_7vsmem_tEENKUlT_SK_SL_SM_E_clISD_PbSF_PiEESJ_SZ_SK_SL_SM_EUlSZ_E_NS1_11comp_targetILNS1_3genE10ELNS1_11target_archE1201ELNS1_3gpuE5ELNS1_3repE0EEENS1_48merge_mergepath_partition_config_static_selectorELNS0_4arch9wavefront6targetE1EEEvSL_
	.globl	_ZN7rocprim17ROCPRIM_400000_NS6detail17trampoline_kernelINS0_14default_configENS1_38merge_sort_block_merge_config_selectorIbiEEZZNS1_27merge_sort_block_merge_implIS3_N6thrust23THRUST_200600_302600_NS6detail15normal_iteratorINS8_10device_ptrIbEEEENSA_INSB_IiEEEEjNS1_19radix_merge_compareILb1ELb0EbNS0_19identity_decomposerEEEEE10hipError_tT0_T1_T2_jT3_P12ihipStream_tbPNSt15iterator_traitsISK_E10value_typeEPNSQ_ISL_E10value_typeEPSM_NS1_7vsmem_tEENKUlT_SK_SL_SM_E_clISD_PbSF_PiEESJ_SZ_SK_SL_SM_EUlSZ_E_NS1_11comp_targetILNS1_3genE10ELNS1_11target_archE1201ELNS1_3gpuE5ELNS1_3repE0EEENS1_48merge_mergepath_partition_config_static_selectorELNS0_4arch9wavefront6targetE1EEEvSL_
	.p2align	8
	.type	_ZN7rocprim17ROCPRIM_400000_NS6detail17trampoline_kernelINS0_14default_configENS1_38merge_sort_block_merge_config_selectorIbiEEZZNS1_27merge_sort_block_merge_implIS3_N6thrust23THRUST_200600_302600_NS6detail15normal_iteratorINS8_10device_ptrIbEEEENSA_INSB_IiEEEEjNS1_19radix_merge_compareILb1ELb0EbNS0_19identity_decomposerEEEEE10hipError_tT0_T1_T2_jT3_P12ihipStream_tbPNSt15iterator_traitsISK_E10value_typeEPNSQ_ISL_E10value_typeEPSM_NS1_7vsmem_tEENKUlT_SK_SL_SM_E_clISD_PbSF_PiEESJ_SZ_SK_SL_SM_EUlSZ_E_NS1_11comp_targetILNS1_3genE10ELNS1_11target_archE1201ELNS1_3gpuE5ELNS1_3repE0EEENS1_48merge_mergepath_partition_config_static_selectorELNS0_4arch9wavefront6targetE1EEEvSL_,@function
_ZN7rocprim17ROCPRIM_400000_NS6detail17trampoline_kernelINS0_14default_configENS1_38merge_sort_block_merge_config_selectorIbiEEZZNS1_27merge_sort_block_merge_implIS3_N6thrust23THRUST_200600_302600_NS6detail15normal_iteratorINS8_10device_ptrIbEEEENSA_INSB_IiEEEEjNS1_19radix_merge_compareILb1ELb0EbNS0_19identity_decomposerEEEEE10hipError_tT0_T1_T2_jT3_P12ihipStream_tbPNSt15iterator_traitsISK_E10value_typeEPNSQ_ISL_E10value_typeEPSM_NS1_7vsmem_tEENKUlT_SK_SL_SM_E_clISD_PbSF_PiEESJ_SZ_SK_SL_SM_EUlSZ_E_NS1_11comp_targetILNS1_3genE10ELNS1_11target_archE1201ELNS1_3gpuE5ELNS1_3repE0EEENS1_48merge_mergepath_partition_config_static_selectorELNS0_4arch9wavefront6targetE1EEEvSL_: ; @_ZN7rocprim17ROCPRIM_400000_NS6detail17trampoline_kernelINS0_14default_configENS1_38merge_sort_block_merge_config_selectorIbiEEZZNS1_27merge_sort_block_merge_implIS3_N6thrust23THRUST_200600_302600_NS6detail15normal_iteratorINS8_10device_ptrIbEEEENSA_INSB_IiEEEEjNS1_19radix_merge_compareILb1ELb0EbNS0_19identity_decomposerEEEEE10hipError_tT0_T1_T2_jT3_P12ihipStream_tbPNSt15iterator_traitsISK_E10value_typeEPNSQ_ISL_E10value_typeEPSM_NS1_7vsmem_tEENKUlT_SK_SL_SM_E_clISD_PbSF_PiEESJ_SZ_SK_SL_SM_EUlSZ_E_NS1_11comp_targetILNS1_3genE10ELNS1_11target_archE1201ELNS1_3gpuE5ELNS1_3repE0EEENS1_48merge_mergepath_partition_config_static_selectorELNS0_4arch9wavefront6targetE1EEEvSL_
; %bb.0:
	.section	.rodata,"a",@progbits
	.p2align	6, 0x0
	.amdhsa_kernel _ZN7rocprim17ROCPRIM_400000_NS6detail17trampoline_kernelINS0_14default_configENS1_38merge_sort_block_merge_config_selectorIbiEEZZNS1_27merge_sort_block_merge_implIS3_N6thrust23THRUST_200600_302600_NS6detail15normal_iteratorINS8_10device_ptrIbEEEENSA_INSB_IiEEEEjNS1_19radix_merge_compareILb1ELb0EbNS0_19identity_decomposerEEEEE10hipError_tT0_T1_T2_jT3_P12ihipStream_tbPNSt15iterator_traitsISK_E10value_typeEPNSQ_ISL_E10value_typeEPSM_NS1_7vsmem_tEENKUlT_SK_SL_SM_E_clISD_PbSF_PiEESJ_SZ_SK_SL_SM_EUlSZ_E_NS1_11comp_targetILNS1_3genE10ELNS1_11target_archE1201ELNS1_3gpuE5ELNS1_3repE0EEENS1_48merge_mergepath_partition_config_static_selectorELNS0_4arch9wavefront6targetE1EEEvSL_
		.amdhsa_group_segment_fixed_size 0
		.amdhsa_private_segment_fixed_size 0
		.amdhsa_kernarg_size 40
		.amdhsa_user_sgpr_count 2
		.amdhsa_user_sgpr_dispatch_ptr 0
		.amdhsa_user_sgpr_queue_ptr 0
		.amdhsa_user_sgpr_kernarg_segment_ptr 1
		.amdhsa_user_sgpr_dispatch_id 0
		.amdhsa_user_sgpr_kernarg_preload_length 0
		.amdhsa_user_sgpr_kernarg_preload_offset 0
		.amdhsa_user_sgpr_private_segment_size 0
		.amdhsa_uses_dynamic_stack 0
		.amdhsa_enable_private_segment 0
		.amdhsa_system_sgpr_workgroup_id_x 1
		.amdhsa_system_sgpr_workgroup_id_y 0
		.amdhsa_system_sgpr_workgroup_id_z 0
		.amdhsa_system_sgpr_workgroup_info 0
		.amdhsa_system_vgpr_workitem_id 0
		.amdhsa_next_free_vgpr 1
		.amdhsa_next_free_sgpr 0
		.amdhsa_accum_offset 4
		.amdhsa_reserve_vcc 0
		.amdhsa_float_round_mode_32 0
		.amdhsa_float_round_mode_16_64 0
		.amdhsa_float_denorm_mode_32 3
		.amdhsa_float_denorm_mode_16_64 3
		.amdhsa_dx10_clamp 1
		.amdhsa_ieee_mode 1
		.amdhsa_fp16_overflow 0
		.amdhsa_tg_split 0
		.amdhsa_exception_fp_ieee_invalid_op 0
		.amdhsa_exception_fp_denorm_src 0
		.amdhsa_exception_fp_ieee_div_zero 0
		.amdhsa_exception_fp_ieee_overflow 0
		.amdhsa_exception_fp_ieee_underflow 0
		.amdhsa_exception_fp_ieee_inexact 0
		.amdhsa_exception_int_div_zero 0
	.end_amdhsa_kernel
	.section	.text._ZN7rocprim17ROCPRIM_400000_NS6detail17trampoline_kernelINS0_14default_configENS1_38merge_sort_block_merge_config_selectorIbiEEZZNS1_27merge_sort_block_merge_implIS3_N6thrust23THRUST_200600_302600_NS6detail15normal_iteratorINS8_10device_ptrIbEEEENSA_INSB_IiEEEEjNS1_19radix_merge_compareILb1ELb0EbNS0_19identity_decomposerEEEEE10hipError_tT0_T1_T2_jT3_P12ihipStream_tbPNSt15iterator_traitsISK_E10value_typeEPNSQ_ISL_E10value_typeEPSM_NS1_7vsmem_tEENKUlT_SK_SL_SM_E_clISD_PbSF_PiEESJ_SZ_SK_SL_SM_EUlSZ_E_NS1_11comp_targetILNS1_3genE10ELNS1_11target_archE1201ELNS1_3gpuE5ELNS1_3repE0EEENS1_48merge_mergepath_partition_config_static_selectorELNS0_4arch9wavefront6targetE1EEEvSL_,"axG",@progbits,_ZN7rocprim17ROCPRIM_400000_NS6detail17trampoline_kernelINS0_14default_configENS1_38merge_sort_block_merge_config_selectorIbiEEZZNS1_27merge_sort_block_merge_implIS3_N6thrust23THRUST_200600_302600_NS6detail15normal_iteratorINS8_10device_ptrIbEEEENSA_INSB_IiEEEEjNS1_19radix_merge_compareILb1ELb0EbNS0_19identity_decomposerEEEEE10hipError_tT0_T1_T2_jT3_P12ihipStream_tbPNSt15iterator_traitsISK_E10value_typeEPNSQ_ISL_E10value_typeEPSM_NS1_7vsmem_tEENKUlT_SK_SL_SM_E_clISD_PbSF_PiEESJ_SZ_SK_SL_SM_EUlSZ_E_NS1_11comp_targetILNS1_3genE10ELNS1_11target_archE1201ELNS1_3gpuE5ELNS1_3repE0EEENS1_48merge_mergepath_partition_config_static_selectorELNS0_4arch9wavefront6targetE1EEEvSL_,comdat
.Lfunc_end2129:
	.size	_ZN7rocprim17ROCPRIM_400000_NS6detail17trampoline_kernelINS0_14default_configENS1_38merge_sort_block_merge_config_selectorIbiEEZZNS1_27merge_sort_block_merge_implIS3_N6thrust23THRUST_200600_302600_NS6detail15normal_iteratorINS8_10device_ptrIbEEEENSA_INSB_IiEEEEjNS1_19radix_merge_compareILb1ELb0EbNS0_19identity_decomposerEEEEE10hipError_tT0_T1_T2_jT3_P12ihipStream_tbPNSt15iterator_traitsISK_E10value_typeEPNSQ_ISL_E10value_typeEPSM_NS1_7vsmem_tEENKUlT_SK_SL_SM_E_clISD_PbSF_PiEESJ_SZ_SK_SL_SM_EUlSZ_E_NS1_11comp_targetILNS1_3genE10ELNS1_11target_archE1201ELNS1_3gpuE5ELNS1_3repE0EEENS1_48merge_mergepath_partition_config_static_selectorELNS0_4arch9wavefront6targetE1EEEvSL_, .Lfunc_end2129-_ZN7rocprim17ROCPRIM_400000_NS6detail17trampoline_kernelINS0_14default_configENS1_38merge_sort_block_merge_config_selectorIbiEEZZNS1_27merge_sort_block_merge_implIS3_N6thrust23THRUST_200600_302600_NS6detail15normal_iteratorINS8_10device_ptrIbEEEENSA_INSB_IiEEEEjNS1_19radix_merge_compareILb1ELb0EbNS0_19identity_decomposerEEEEE10hipError_tT0_T1_T2_jT3_P12ihipStream_tbPNSt15iterator_traitsISK_E10value_typeEPNSQ_ISL_E10value_typeEPSM_NS1_7vsmem_tEENKUlT_SK_SL_SM_E_clISD_PbSF_PiEESJ_SZ_SK_SL_SM_EUlSZ_E_NS1_11comp_targetILNS1_3genE10ELNS1_11target_archE1201ELNS1_3gpuE5ELNS1_3repE0EEENS1_48merge_mergepath_partition_config_static_selectorELNS0_4arch9wavefront6targetE1EEEvSL_
                                        ; -- End function
	.set _ZN7rocprim17ROCPRIM_400000_NS6detail17trampoline_kernelINS0_14default_configENS1_38merge_sort_block_merge_config_selectorIbiEEZZNS1_27merge_sort_block_merge_implIS3_N6thrust23THRUST_200600_302600_NS6detail15normal_iteratorINS8_10device_ptrIbEEEENSA_INSB_IiEEEEjNS1_19radix_merge_compareILb1ELb0EbNS0_19identity_decomposerEEEEE10hipError_tT0_T1_T2_jT3_P12ihipStream_tbPNSt15iterator_traitsISK_E10value_typeEPNSQ_ISL_E10value_typeEPSM_NS1_7vsmem_tEENKUlT_SK_SL_SM_E_clISD_PbSF_PiEESJ_SZ_SK_SL_SM_EUlSZ_E_NS1_11comp_targetILNS1_3genE10ELNS1_11target_archE1201ELNS1_3gpuE5ELNS1_3repE0EEENS1_48merge_mergepath_partition_config_static_selectorELNS0_4arch9wavefront6targetE1EEEvSL_.num_vgpr, 0
	.set _ZN7rocprim17ROCPRIM_400000_NS6detail17trampoline_kernelINS0_14default_configENS1_38merge_sort_block_merge_config_selectorIbiEEZZNS1_27merge_sort_block_merge_implIS3_N6thrust23THRUST_200600_302600_NS6detail15normal_iteratorINS8_10device_ptrIbEEEENSA_INSB_IiEEEEjNS1_19radix_merge_compareILb1ELb0EbNS0_19identity_decomposerEEEEE10hipError_tT0_T1_T2_jT3_P12ihipStream_tbPNSt15iterator_traitsISK_E10value_typeEPNSQ_ISL_E10value_typeEPSM_NS1_7vsmem_tEENKUlT_SK_SL_SM_E_clISD_PbSF_PiEESJ_SZ_SK_SL_SM_EUlSZ_E_NS1_11comp_targetILNS1_3genE10ELNS1_11target_archE1201ELNS1_3gpuE5ELNS1_3repE0EEENS1_48merge_mergepath_partition_config_static_selectorELNS0_4arch9wavefront6targetE1EEEvSL_.num_agpr, 0
	.set _ZN7rocprim17ROCPRIM_400000_NS6detail17trampoline_kernelINS0_14default_configENS1_38merge_sort_block_merge_config_selectorIbiEEZZNS1_27merge_sort_block_merge_implIS3_N6thrust23THRUST_200600_302600_NS6detail15normal_iteratorINS8_10device_ptrIbEEEENSA_INSB_IiEEEEjNS1_19radix_merge_compareILb1ELb0EbNS0_19identity_decomposerEEEEE10hipError_tT0_T1_T2_jT3_P12ihipStream_tbPNSt15iterator_traitsISK_E10value_typeEPNSQ_ISL_E10value_typeEPSM_NS1_7vsmem_tEENKUlT_SK_SL_SM_E_clISD_PbSF_PiEESJ_SZ_SK_SL_SM_EUlSZ_E_NS1_11comp_targetILNS1_3genE10ELNS1_11target_archE1201ELNS1_3gpuE5ELNS1_3repE0EEENS1_48merge_mergepath_partition_config_static_selectorELNS0_4arch9wavefront6targetE1EEEvSL_.numbered_sgpr, 0
	.set _ZN7rocprim17ROCPRIM_400000_NS6detail17trampoline_kernelINS0_14default_configENS1_38merge_sort_block_merge_config_selectorIbiEEZZNS1_27merge_sort_block_merge_implIS3_N6thrust23THRUST_200600_302600_NS6detail15normal_iteratorINS8_10device_ptrIbEEEENSA_INSB_IiEEEEjNS1_19radix_merge_compareILb1ELb0EbNS0_19identity_decomposerEEEEE10hipError_tT0_T1_T2_jT3_P12ihipStream_tbPNSt15iterator_traitsISK_E10value_typeEPNSQ_ISL_E10value_typeEPSM_NS1_7vsmem_tEENKUlT_SK_SL_SM_E_clISD_PbSF_PiEESJ_SZ_SK_SL_SM_EUlSZ_E_NS1_11comp_targetILNS1_3genE10ELNS1_11target_archE1201ELNS1_3gpuE5ELNS1_3repE0EEENS1_48merge_mergepath_partition_config_static_selectorELNS0_4arch9wavefront6targetE1EEEvSL_.num_named_barrier, 0
	.set _ZN7rocprim17ROCPRIM_400000_NS6detail17trampoline_kernelINS0_14default_configENS1_38merge_sort_block_merge_config_selectorIbiEEZZNS1_27merge_sort_block_merge_implIS3_N6thrust23THRUST_200600_302600_NS6detail15normal_iteratorINS8_10device_ptrIbEEEENSA_INSB_IiEEEEjNS1_19radix_merge_compareILb1ELb0EbNS0_19identity_decomposerEEEEE10hipError_tT0_T1_T2_jT3_P12ihipStream_tbPNSt15iterator_traitsISK_E10value_typeEPNSQ_ISL_E10value_typeEPSM_NS1_7vsmem_tEENKUlT_SK_SL_SM_E_clISD_PbSF_PiEESJ_SZ_SK_SL_SM_EUlSZ_E_NS1_11comp_targetILNS1_3genE10ELNS1_11target_archE1201ELNS1_3gpuE5ELNS1_3repE0EEENS1_48merge_mergepath_partition_config_static_selectorELNS0_4arch9wavefront6targetE1EEEvSL_.private_seg_size, 0
	.set _ZN7rocprim17ROCPRIM_400000_NS6detail17trampoline_kernelINS0_14default_configENS1_38merge_sort_block_merge_config_selectorIbiEEZZNS1_27merge_sort_block_merge_implIS3_N6thrust23THRUST_200600_302600_NS6detail15normal_iteratorINS8_10device_ptrIbEEEENSA_INSB_IiEEEEjNS1_19radix_merge_compareILb1ELb0EbNS0_19identity_decomposerEEEEE10hipError_tT0_T1_T2_jT3_P12ihipStream_tbPNSt15iterator_traitsISK_E10value_typeEPNSQ_ISL_E10value_typeEPSM_NS1_7vsmem_tEENKUlT_SK_SL_SM_E_clISD_PbSF_PiEESJ_SZ_SK_SL_SM_EUlSZ_E_NS1_11comp_targetILNS1_3genE10ELNS1_11target_archE1201ELNS1_3gpuE5ELNS1_3repE0EEENS1_48merge_mergepath_partition_config_static_selectorELNS0_4arch9wavefront6targetE1EEEvSL_.uses_vcc, 0
	.set _ZN7rocprim17ROCPRIM_400000_NS6detail17trampoline_kernelINS0_14default_configENS1_38merge_sort_block_merge_config_selectorIbiEEZZNS1_27merge_sort_block_merge_implIS3_N6thrust23THRUST_200600_302600_NS6detail15normal_iteratorINS8_10device_ptrIbEEEENSA_INSB_IiEEEEjNS1_19radix_merge_compareILb1ELb0EbNS0_19identity_decomposerEEEEE10hipError_tT0_T1_T2_jT3_P12ihipStream_tbPNSt15iterator_traitsISK_E10value_typeEPNSQ_ISL_E10value_typeEPSM_NS1_7vsmem_tEENKUlT_SK_SL_SM_E_clISD_PbSF_PiEESJ_SZ_SK_SL_SM_EUlSZ_E_NS1_11comp_targetILNS1_3genE10ELNS1_11target_archE1201ELNS1_3gpuE5ELNS1_3repE0EEENS1_48merge_mergepath_partition_config_static_selectorELNS0_4arch9wavefront6targetE1EEEvSL_.uses_flat_scratch, 0
	.set _ZN7rocprim17ROCPRIM_400000_NS6detail17trampoline_kernelINS0_14default_configENS1_38merge_sort_block_merge_config_selectorIbiEEZZNS1_27merge_sort_block_merge_implIS3_N6thrust23THRUST_200600_302600_NS6detail15normal_iteratorINS8_10device_ptrIbEEEENSA_INSB_IiEEEEjNS1_19radix_merge_compareILb1ELb0EbNS0_19identity_decomposerEEEEE10hipError_tT0_T1_T2_jT3_P12ihipStream_tbPNSt15iterator_traitsISK_E10value_typeEPNSQ_ISL_E10value_typeEPSM_NS1_7vsmem_tEENKUlT_SK_SL_SM_E_clISD_PbSF_PiEESJ_SZ_SK_SL_SM_EUlSZ_E_NS1_11comp_targetILNS1_3genE10ELNS1_11target_archE1201ELNS1_3gpuE5ELNS1_3repE0EEENS1_48merge_mergepath_partition_config_static_selectorELNS0_4arch9wavefront6targetE1EEEvSL_.has_dyn_sized_stack, 0
	.set _ZN7rocprim17ROCPRIM_400000_NS6detail17trampoline_kernelINS0_14default_configENS1_38merge_sort_block_merge_config_selectorIbiEEZZNS1_27merge_sort_block_merge_implIS3_N6thrust23THRUST_200600_302600_NS6detail15normal_iteratorINS8_10device_ptrIbEEEENSA_INSB_IiEEEEjNS1_19radix_merge_compareILb1ELb0EbNS0_19identity_decomposerEEEEE10hipError_tT0_T1_T2_jT3_P12ihipStream_tbPNSt15iterator_traitsISK_E10value_typeEPNSQ_ISL_E10value_typeEPSM_NS1_7vsmem_tEENKUlT_SK_SL_SM_E_clISD_PbSF_PiEESJ_SZ_SK_SL_SM_EUlSZ_E_NS1_11comp_targetILNS1_3genE10ELNS1_11target_archE1201ELNS1_3gpuE5ELNS1_3repE0EEENS1_48merge_mergepath_partition_config_static_selectorELNS0_4arch9wavefront6targetE1EEEvSL_.has_recursion, 0
	.set _ZN7rocprim17ROCPRIM_400000_NS6detail17trampoline_kernelINS0_14default_configENS1_38merge_sort_block_merge_config_selectorIbiEEZZNS1_27merge_sort_block_merge_implIS3_N6thrust23THRUST_200600_302600_NS6detail15normal_iteratorINS8_10device_ptrIbEEEENSA_INSB_IiEEEEjNS1_19radix_merge_compareILb1ELb0EbNS0_19identity_decomposerEEEEE10hipError_tT0_T1_T2_jT3_P12ihipStream_tbPNSt15iterator_traitsISK_E10value_typeEPNSQ_ISL_E10value_typeEPSM_NS1_7vsmem_tEENKUlT_SK_SL_SM_E_clISD_PbSF_PiEESJ_SZ_SK_SL_SM_EUlSZ_E_NS1_11comp_targetILNS1_3genE10ELNS1_11target_archE1201ELNS1_3gpuE5ELNS1_3repE0EEENS1_48merge_mergepath_partition_config_static_selectorELNS0_4arch9wavefront6targetE1EEEvSL_.has_indirect_call, 0
	.section	.AMDGPU.csdata,"",@progbits
; Kernel info:
; codeLenInByte = 0
; TotalNumSgprs: 6
; NumVgprs: 0
; NumAgprs: 0
; TotalNumVgprs: 0
; ScratchSize: 0
; MemoryBound: 0
; FloatMode: 240
; IeeeMode: 1
; LDSByteSize: 0 bytes/workgroup (compile time only)
; SGPRBlocks: 0
; VGPRBlocks: 0
; NumSGPRsForWavesPerEU: 6
; NumVGPRsForWavesPerEU: 1
; AccumOffset: 4
; Occupancy: 8
; WaveLimiterHint : 0
; COMPUTE_PGM_RSRC2:SCRATCH_EN: 0
; COMPUTE_PGM_RSRC2:USER_SGPR: 2
; COMPUTE_PGM_RSRC2:TRAP_HANDLER: 0
; COMPUTE_PGM_RSRC2:TGID_X_EN: 1
; COMPUTE_PGM_RSRC2:TGID_Y_EN: 0
; COMPUTE_PGM_RSRC2:TGID_Z_EN: 0
; COMPUTE_PGM_RSRC2:TIDIG_COMP_CNT: 0
; COMPUTE_PGM_RSRC3_GFX90A:ACCUM_OFFSET: 0
; COMPUTE_PGM_RSRC3_GFX90A:TG_SPLIT: 0
	.section	.text._ZN7rocprim17ROCPRIM_400000_NS6detail17trampoline_kernelINS0_14default_configENS1_38merge_sort_block_merge_config_selectorIbiEEZZNS1_27merge_sort_block_merge_implIS3_N6thrust23THRUST_200600_302600_NS6detail15normal_iteratorINS8_10device_ptrIbEEEENSA_INSB_IiEEEEjNS1_19radix_merge_compareILb1ELb0EbNS0_19identity_decomposerEEEEE10hipError_tT0_T1_T2_jT3_P12ihipStream_tbPNSt15iterator_traitsISK_E10value_typeEPNSQ_ISL_E10value_typeEPSM_NS1_7vsmem_tEENKUlT_SK_SL_SM_E_clISD_PbSF_PiEESJ_SZ_SK_SL_SM_EUlSZ_E_NS1_11comp_targetILNS1_3genE5ELNS1_11target_archE942ELNS1_3gpuE9ELNS1_3repE0EEENS1_48merge_mergepath_partition_config_static_selectorELNS0_4arch9wavefront6targetE1EEEvSL_,"axG",@progbits,_ZN7rocprim17ROCPRIM_400000_NS6detail17trampoline_kernelINS0_14default_configENS1_38merge_sort_block_merge_config_selectorIbiEEZZNS1_27merge_sort_block_merge_implIS3_N6thrust23THRUST_200600_302600_NS6detail15normal_iteratorINS8_10device_ptrIbEEEENSA_INSB_IiEEEEjNS1_19radix_merge_compareILb1ELb0EbNS0_19identity_decomposerEEEEE10hipError_tT0_T1_T2_jT3_P12ihipStream_tbPNSt15iterator_traitsISK_E10value_typeEPNSQ_ISL_E10value_typeEPSM_NS1_7vsmem_tEENKUlT_SK_SL_SM_E_clISD_PbSF_PiEESJ_SZ_SK_SL_SM_EUlSZ_E_NS1_11comp_targetILNS1_3genE5ELNS1_11target_archE942ELNS1_3gpuE9ELNS1_3repE0EEENS1_48merge_mergepath_partition_config_static_selectorELNS0_4arch9wavefront6targetE1EEEvSL_,comdat
	.protected	_ZN7rocprim17ROCPRIM_400000_NS6detail17trampoline_kernelINS0_14default_configENS1_38merge_sort_block_merge_config_selectorIbiEEZZNS1_27merge_sort_block_merge_implIS3_N6thrust23THRUST_200600_302600_NS6detail15normal_iteratorINS8_10device_ptrIbEEEENSA_INSB_IiEEEEjNS1_19radix_merge_compareILb1ELb0EbNS0_19identity_decomposerEEEEE10hipError_tT0_T1_T2_jT3_P12ihipStream_tbPNSt15iterator_traitsISK_E10value_typeEPNSQ_ISL_E10value_typeEPSM_NS1_7vsmem_tEENKUlT_SK_SL_SM_E_clISD_PbSF_PiEESJ_SZ_SK_SL_SM_EUlSZ_E_NS1_11comp_targetILNS1_3genE5ELNS1_11target_archE942ELNS1_3gpuE9ELNS1_3repE0EEENS1_48merge_mergepath_partition_config_static_selectorELNS0_4arch9wavefront6targetE1EEEvSL_ ; -- Begin function _ZN7rocprim17ROCPRIM_400000_NS6detail17trampoline_kernelINS0_14default_configENS1_38merge_sort_block_merge_config_selectorIbiEEZZNS1_27merge_sort_block_merge_implIS3_N6thrust23THRUST_200600_302600_NS6detail15normal_iteratorINS8_10device_ptrIbEEEENSA_INSB_IiEEEEjNS1_19radix_merge_compareILb1ELb0EbNS0_19identity_decomposerEEEEE10hipError_tT0_T1_T2_jT3_P12ihipStream_tbPNSt15iterator_traitsISK_E10value_typeEPNSQ_ISL_E10value_typeEPSM_NS1_7vsmem_tEENKUlT_SK_SL_SM_E_clISD_PbSF_PiEESJ_SZ_SK_SL_SM_EUlSZ_E_NS1_11comp_targetILNS1_3genE5ELNS1_11target_archE942ELNS1_3gpuE9ELNS1_3repE0EEENS1_48merge_mergepath_partition_config_static_selectorELNS0_4arch9wavefront6targetE1EEEvSL_
	.globl	_ZN7rocprim17ROCPRIM_400000_NS6detail17trampoline_kernelINS0_14default_configENS1_38merge_sort_block_merge_config_selectorIbiEEZZNS1_27merge_sort_block_merge_implIS3_N6thrust23THRUST_200600_302600_NS6detail15normal_iteratorINS8_10device_ptrIbEEEENSA_INSB_IiEEEEjNS1_19radix_merge_compareILb1ELb0EbNS0_19identity_decomposerEEEEE10hipError_tT0_T1_T2_jT3_P12ihipStream_tbPNSt15iterator_traitsISK_E10value_typeEPNSQ_ISL_E10value_typeEPSM_NS1_7vsmem_tEENKUlT_SK_SL_SM_E_clISD_PbSF_PiEESJ_SZ_SK_SL_SM_EUlSZ_E_NS1_11comp_targetILNS1_3genE5ELNS1_11target_archE942ELNS1_3gpuE9ELNS1_3repE0EEENS1_48merge_mergepath_partition_config_static_selectorELNS0_4arch9wavefront6targetE1EEEvSL_
	.p2align	8
	.type	_ZN7rocprim17ROCPRIM_400000_NS6detail17trampoline_kernelINS0_14default_configENS1_38merge_sort_block_merge_config_selectorIbiEEZZNS1_27merge_sort_block_merge_implIS3_N6thrust23THRUST_200600_302600_NS6detail15normal_iteratorINS8_10device_ptrIbEEEENSA_INSB_IiEEEEjNS1_19radix_merge_compareILb1ELb0EbNS0_19identity_decomposerEEEEE10hipError_tT0_T1_T2_jT3_P12ihipStream_tbPNSt15iterator_traitsISK_E10value_typeEPNSQ_ISL_E10value_typeEPSM_NS1_7vsmem_tEENKUlT_SK_SL_SM_E_clISD_PbSF_PiEESJ_SZ_SK_SL_SM_EUlSZ_E_NS1_11comp_targetILNS1_3genE5ELNS1_11target_archE942ELNS1_3gpuE9ELNS1_3repE0EEENS1_48merge_mergepath_partition_config_static_selectorELNS0_4arch9wavefront6targetE1EEEvSL_,@function
_ZN7rocprim17ROCPRIM_400000_NS6detail17trampoline_kernelINS0_14default_configENS1_38merge_sort_block_merge_config_selectorIbiEEZZNS1_27merge_sort_block_merge_implIS3_N6thrust23THRUST_200600_302600_NS6detail15normal_iteratorINS8_10device_ptrIbEEEENSA_INSB_IiEEEEjNS1_19radix_merge_compareILb1ELb0EbNS0_19identity_decomposerEEEEE10hipError_tT0_T1_T2_jT3_P12ihipStream_tbPNSt15iterator_traitsISK_E10value_typeEPNSQ_ISL_E10value_typeEPSM_NS1_7vsmem_tEENKUlT_SK_SL_SM_E_clISD_PbSF_PiEESJ_SZ_SK_SL_SM_EUlSZ_E_NS1_11comp_targetILNS1_3genE5ELNS1_11target_archE942ELNS1_3gpuE9ELNS1_3repE0EEENS1_48merge_mergepath_partition_config_static_selectorELNS0_4arch9wavefront6targetE1EEEvSL_: ; @_ZN7rocprim17ROCPRIM_400000_NS6detail17trampoline_kernelINS0_14default_configENS1_38merge_sort_block_merge_config_selectorIbiEEZZNS1_27merge_sort_block_merge_implIS3_N6thrust23THRUST_200600_302600_NS6detail15normal_iteratorINS8_10device_ptrIbEEEENSA_INSB_IiEEEEjNS1_19radix_merge_compareILb1ELb0EbNS0_19identity_decomposerEEEEE10hipError_tT0_T1_T2_jT3_P12ihipStream_tbPNSt15iterator_traitsISK_E10value_typeEPNSQ_ISL_E10value_typeEPSM_NS1_7vsmem_tEENKUlT_SK_SL_SM_E_clISD_PbSF_PiEESJ_SZ_SK_SL_SM_EUlSZ_E_NS1_11comp_targetILNS1_3genE5ELNS1_11target_archE942ELNS1_3gpuE9ELNS1_3repE0EEENS1_48merge_mergepath_partition_config_static_selectorELNS0_4arch9wavefront6targetE1EEEvSL_
; %bb.0:
	.section	.rodata,"a",@progbits
	.p2align	6, 0x0
	.amdhsa_kernel _ZN7rocprim17ROCPRIM_400000_NS6detail17trampoline_kernelINS0_14default_configENS1_38merge_sort_block_merge_config_selectorIbiEEZZNS1_27merge_sort_block_merge_implIS3_N6thrust23THRUST_200600_302600_NS6detail15normal_iteratorINS8_10device_ptrIbEEEENSA_INSB_IiEEEEjNS1_19radix_merge_compareILb1ELb0EbNS0_19identity_decomposerEEEEE10hipError_tT0_T1_T2_jT3_P12ihipStream_tbPNSt15iterator_traitsISK_E10value_typeEPNSQ_ISL_E10value_typeEPSM_NS1_7vsmem_tEENKUlT_SK_SL_SM_E_clISD_PbSF_PiEESJ_SZ_SK_SL_SM_EUlSZ_E_NS1_11comp_targetILNS1_3genE5ELNS1_11target_archE942ELNS1_3gpuE9ELNS1_3repE0EEENS1_48merge_mergepath_partition_config_static_selectorELNS0_4arch9wavefront6targetE1EEEvSL_
		.amdhsa_group_segment_fixed_size 0
		.amdhsa_private_segment_fixed_size 0
		.amdhsa_kernarg_size 40
		.amdhsa_user_sgpr_count 2
		.amdhsa_user_sgpr_dispatch_ptr 0
		.amdhsa_user_sgpr_queue_ptr 0
		.amdhsa_user_sgpr_kernarg_segment_ptr 1
		.amdhsa_user_sgpr_dispatch_id 0
		.amdhsa_user_sgpr_kernarg_preload_length 0
		.amdhsa_user_sgpr_kernarg_preload_offset 0
		.amdhsa_user_sgpr_private_segment_size 0
		.amdhsa_uses_dynamic_stack 0
		.amdhsa_enable_private_segment 0
		.amdhsa_system_sgpr_workgroup_id_x 1
		.amdhsa_system_sgpr_workgroup_id_y 0
		.amdhsa_system_sgpr_workgroup_id_z 0
		.amdhsa_system_sgpr_workgroup_info 0
		.amdhsa_system_vgpr_workitem_id 0
		.amdhsa_next_free_vgpr 1
		.amdhsa_next_free_sgpr 0
		.amdhsa_accum_offset 4
		.amdhsa_reserve_vcc 0
		.amdhsa_float_round_mode_32 0
		.amdhsa_float_round_mode_16_64 0
		.amdhsa_float_denorm_mode_32 3
		.amdhsa_float_denorm_mode_16_64 3
		.amdhsa_dx10_clamp 1
		.amdhsa_ieee_mode 1
		.amdhsa_fp16_overflow 0
		.amdhsa_tg_split 0
		.amdhsa_exception_fp_ieee_invalid_op 0
		.amdhsa_exception_fp_denorm_src 0
		.amdhsa_exception_fp_ieee_div_zero 0
		.amdhsa_exception_fp_ieee_overflow 0
		.amdhsa_exception_fp_ieee_underflow 0
		.amdhsa_exception_fp_ieee_inexact 0
		.amdhsa_exception_int_div_zero 0
	.end_amdhsa_kernel
	.section	.text._ZN7rocprim17ROCPRIM_400000_NS6detail17trampoline_kernelINS0_14default_configENS1_38merge_sort_block_merge_config_selectorIbiEEZZNS1_27merge_sort_block_merge_implIS3_N6thrust23THRUST_200600_302600_NS6detail15normal_iteratorINS8_10device_ptrIbEEEENSA_INSB_IiEEEEjNS1_19radix_merge_compareILb1ELb0EbNS0_19identity_decomposerEEEEE10hipError_tT0_T1_T2_jT3_P12ihipStream_tbPNSt15iterator_traitsISK_E10value_typeEPNSQ_ISL_E10value_typeEPSM_NS1_7vsmem_tEENKUlT_SK_SL_SM_E_clISD_PbSF_PiEESJ_SZ_SK_SL_SM_EUlSZ_E_NS1_11comp_targetILNS1_3genE5ELNS1_11target_archE942ELNS1_3gpuE9ELNS1_3repE0EEENS1_48merge_mergepath_partition_config_static_selectorELNS0_4arch9wavefront6targetE1EEEvSL_,"axG",@progbits,_ZN7rocprim17ROCPRIM_400000_NS6detail17trampoline_kernelINS0_14default_configENS1_38merge_sort_block_merge_config_selectorIbiEEZZNS1_27merge_sort_block_merge_implIS3_N6thrust23THRUST_200600_302600_NS6detail15normal_iteratorINS8_10device_ptrIbEEEENSA_INSB_IiEEEEjNS1_19radix_merge_compareILb1ELb0EbNS0_19identity_decomposerEEEEE10hipError_tT0_T1_T2_jT3_P12ihipStream_tbPNSt15iterator_traitsISK_E10value_typeEPNSQ_ISL_E10value_typeEPSM_NS1_7vsmem_tEENKUlT_SK_SL_SM_E_clISD_PbSF_PiEESJ_SZ_SK_SL_SM_EUlSZ_E_NS1_11comp_targetILNS1_3genE5ELNS1_11target_archE942ELNS1_3gpuE9ELNS1_3repE0EEENS1_48merge_mergepath_partition_config_static_selectorELNS0_4arch9wavefront6targetE1EEEvSL_,comdat
.Lfunc_end2130:
	.size	_ZN7rocprim17ROCPRIM_400000_NS6detail17trampoline_kernelINS0_14default_configENS1_38merge_sort_block_merge_config_selectorIbiEEZZNS1_27merge_sort_block_merge_implIS3_N6thrust23THRUST_200600_302600_NS6detail15normal_iteratorINS8_10device_ptrIbEEEENSA_INSB_IiEEEEjNS1_19radix_merge_compareILb1ELb0EbNS0_19identity_decomposerEEEEE10hipError_tT0_T1_T2_jT3_P12ihipStream_tbPNSt15iterator_traitsISK_E10value_typeEPNSQ_ISL_E10value_typeEPSM_NS1_7vsmem_tEENKUlT_SK_SL_SM_E_clISD_PbSF_PiEESJ_SZ_SK_SL_SM_EUlSZ_E_NS1_11comp_targetILNS1_3genE5ELNS1_11target_archE942ELNS1_3gpuE9ELNS1_3repE0EEENS1_48merge_mergepath_partition_config_static_selectorELNS0_4arch9wavefront6targetE1EEEvSL_, .Lfunc_end2130-_ZN7rocprim17ROCPRIM_400000_NS6detail17trampoline_kernelINS0_14default_configENS1_38merge_sort_block_merge_config_selectorIbiEEZZNS1_27merge_sort_block_merge_implIS3_N6thrust23THRUST_200600_302600_NS6detail15normal_iteratorINS8_10device_ptrIbEEEENSA_INSB_IiEEEEjNS1_19radix_merge_compareILb1ELb0EbNS0_19identity_decomposerEEEEE10hipError_tT0_T1_T2_jT3_P12ihipStream_tbPNSt15iterator_traitsISK_E10value_typeEPNSQ_ISL_E10value_typeEPSM_NS1_7vsmem_tEENKUlT_SK_SL_SM_E_clISD_PbSF_PiEESJ_SZ_SK_SL_SM_EUlSZ_E_NS1_11comp_targetILNS1_3genE5ELNS1_11target_archE942ELNS1_3gpuE9ELNS1_3repE0EEENS1_48merge_mergepath_partition_config_static_selectorELNS0_4arch9wavefront6targetE1EEEvSL_
                                        ; -- End function
	.set _ZN7rocprim17ROCPRIM_400000_NS6detail17trampoline_kernelINS0_14default_configENS1_38merge_sort_block_merge_config_selectorIbiEEZZNS1_27merge_sort_block_merge_implIS3_N6thrust23THRUST_200600_302600_NS6detail15normal_iteratorINS8_10device_ptrIbEEEENSA_INSB_IiEEEEjNS1_19radix_merge_compareILb1ELb0EbNS0_19identity_decomposerEEEEE10hipError_tT0_T1_T2_jT3_P12ihipStream_tbPNSt15iterator_traitsISK_E10value_typeEPNSQ_ISL_E10value_typeEPSM_NS1_7vsmem_tEENKUlT_SK_SL_SM_E_clISD_PbSF_PiEESJ_SZ_SK_SL_SM_EUlSZ_E_NS1_11comp_targetILNS1_3genE5ELNS1_11target_archE942ELNS1_3gpuE9ELNS1_3repE0EEENS1_48merge_mergepath_partition_config_static_selectorELNS0_4arch9wavefront6targetE1EEEvSL_.num_vgpr, 0
	.set _ZN7rocprim17ROCPRIM_400000_NS6detail17trampoline_kernelINS0_14default_configENS1_38merge_sort_block_merge_config_selectorIbiEEZZNS1_27merge_sort_block_merge_implIS3_N6thrust23THRUST_200600_302600_NS6detail15normal_iteratorINS8_10device_ptrIbEEEENSA_INSB_IiEEEEjNS1_19radix_merge_compareILb1ELb0EbNS0_19identity_decomposerEEEEE10hipError_tT0_T1_T2_jT3_P12ihipStream_tbPNSt15iterator_traitsISK_E10value_typeEPNSQ_ISL_E10value_typeEPSM_NS1_7vsmem_tEENKUlT_SK_SL_SM_E_clISD_PbSF_PiEESJ_SZ_SK_SL_SM_EUlSZ_E_NS1_11comp_targetILNS1_3genE5ELNS1_11target_archE942ELNS1_3gpuE9ELNS1_3repE0EEENS1_48merge_mergepath_partition_config_static_selectorELNS0_4arch9wavefront6targetE1EEEvSL_.num_agpr, 0
	.set _ZN7rocprim17ROCPRIM_400000_NS6detail17trampoline_kernelINS0_14default_configENS1_38merge_sort_block_merge_config_selectorIbiEEZZNS1_27merge_sort_block_merge_implIS3_N6thrust23THRUST_200600_302600_NS6detail15normal_iteratorINS8_10device_ptrIbEEEENSA_INSB_IiEEEEjNS1_19radix_merge_compareILb1ELb0EbNS0_19identity_decomposerEEEEE10hipError_tT0_T1_T2_jT3_P12ihipStream_tbPNSt15iterator_traitsISK_E10value_typeEPNSQ_ISL_E10value_typeEPSM_NS1_7vsmem_tEENKUlT_SK_SL_SM_E_clISD_PbSF_PiEESJ_SZ_SK_SL_SM_EUlSZ_E_NS1_11comp_targetILNS1_3genE5ELNS1_11target_archE942ELNS1_3gpuE9ELNS1_3repE0EEENS1_48merge_mergepath_partition_config_static_selectorELNS0_4arch9wavefront6targetE1EEEvSL_.numbered_sgpr, 0
	.set _ZN7rocprim17ROCPRIM_400000_NS6detail17trampoline_kernelINS0_14default_configENS1_38merge_sort_block_merge_config_selectorIbiEEZZNS1_27merge_sort_block_merge_implIS3_N6thrust23THRUST_200600_302600_NS6detail15normal_iteratorINS8_10device_ptrIbEEEENSA_INSB_IiEEEEjNS1_19radix_merge_compareILb1ELb0EbNS0_19identity_decomposerEEEEE10hipError_tT0_T1_T2_jT3_P12ihipStream_tbPNSt15iterator_traitsISK_E10value_typeEPNSQ_ISL_E10value_typeEPSM_NS1_7vsmem_tEENKUlT_SK_SL_SM_E_clISD_PbSF_PiEESJ_SZ_SK_SL_SM_EUlSZ_E_NS1_11comp_targetILNS1_3genE5ELNS1_11target_archE942ELNS1_3gpuE9ELNS1_3repE0EEENS1_48merge_mergepath_partition_config_static_selectorELNS0_4arch9wavefront6targetE1EEEvSL_.num_named_barrier, 0
	.set _ZN7rocprim17ROCPRIM_400000_NS6detail17trampoline_kernelINS0_14default_configENS1_38merge_sort_block_merge_config_selectorIbiEEZZNS1_27merge_sort_block_merge_implIS3_N6thrust23THRUST_200600_302600_NS6detail15normal_iteratorINS8_10device_ptrIbEEEENSA_INSB_IiEEEEjNS1_19radix_merge_compareILb1ELb0EbNS0_19identity_decomposerEEEEE10hipError_tT0_T1_T2_jT3_P12ihipStream_tbPNSt15iterator_traitsISK_E10value_typeEPNSQ_ISL_E10value_typeEPSM_NS1_7vsmem_tEENKUlT_SK_SL_SM_E_clISD_PbSF_PiEESJ_SZ_SK_SL_SM_EUlSZ_E_NS1_11comp_targetILNS1_3genE5ELNS1_11target_archE942ELNS1_3gpuE9ELNS1_3repE0EEENS1_48merge_mergepath_partition_config_static_selectorELNS0_4arch9wavefront6targetE1EEEvSL_.private_seg_size, 0
	.set _ZN7rocprim17ROCPRIM_400000_NS6detail17trampoline_kernelINS0_14default_configENS1_38merge_sort_block_merge_config_selectorIbiEEZZNS1_27merge_sort_block_merge_implIS3_N6thrust23THRUST_200600_302600_NS6detail15normal_iteratorINS8_10device_ptrIbEEEENSA_INSB_IiEEEEjNS1_19radix_merge_compareILb1ELb0EbNS0_19identity_decomposerEEEEE10hipError_tT0_T1_T2_jT3_P12ihipStream_tbPNSt15iterator_traitsISK_E10value_typeEPNSQ_ISL_E10value_typeEPSM_NS1_7vsmem_tEENKUlT_SK_SL_SM_E_clISD_PbSF_PiEESJ_SZ_SK_SL_SM_EUlSZ_E_NS1_11comp_targetILNS1_3genE5ELNS1_11target_archE942ELNS1_3gpuE9ELNS1_3repE0EEENS1_48merge_mergepath_partition_config_static_selectorELNS0_4arch9wavefront6targetE1EEEvSL_.uses_vcc, 0
	.set _ZN7rocprim17ROCPRIM_400000_NS6detail17trampoline_kernelINS0_14default_configENS1_38merge_sort_block_merge_config_selectorIbiEEZZNS1_27merge_sort_block_merge_implIS3_N6thrust23THRUST_200600_302600_NS6detail15normal_iteratorINS8_10device_ptrIbEEEENSA_INSB_IiEEEEjNS1_19radix_merge_compareILb1ELb0EbNS0_19identity_decomposerEEEEE10hipError_tT0_T1_T2_jT3_P12ihipStream_tbPNSt15iterator_traitsISK_E10value_typeEPNSQ_ISL_E10value_typeEPSM_NS1_7vsmem_tEENKUlT_SK_SL_SM_E_clISD_PbSF_PiEESJ_SZ_SK_SL_SM_EUlSZ_E_NS1_11comp_targetILNS1_3genE5ELNS1_11target_archE942ELNS1_3gpuE9ELNS1_3repE0EEENS1_48merge_mergepath_partition_config_static_selectorELNS0_4arch9wavefront6targetE1EEEvSL_.uses_flat_scratch, 0
	.set _ZN7rocprim17ROCPRIM_400000_NS6detail17trampoline_kernelINS0_14default_configENS1_38merge_sort_block_merge_config_selectorIbiEEZZNS1_27merge_sort_block_merge_implIS3_N6thrust23THRUST_200600_302600_NS6detail15normal_iteratorINS8_10device_ptrIbEEEENSA_INSB_IiEEEEjNS1_19radix_merge_compareILb1ELb0EbNS0_19identity_decomposerEEEEE10hipError_tT0_T1_T2_jT3_P12ihipStream_tbPNSt15iterator_traitsISK_E10value_typeEPNSQ_ISL_E10value_typeEPSM_NS1_7vsmem_tEENKUlT_SK_SL_SM_E_clISD_PbSF_PiEESJ_SZ_SK_SL_SM_EUlSZ_E_NS1_11comp_targetILNS1_3genE5ELNS1_11target_archE942ELNS1_3gpuE9ELNS1_3repE0EEENS1_48merge_mergepath_partition_config_static_selectorELNS0_4arch9wavefront6targetE1EEEvSL_.has_dyn_sized_stack, 0
	.set _ZN7rocprim17ROCPRIM_400000_NS6detail17trampoline_kernelINS0_14default_configENS1_38merge_sort_block_merge_config_selectorIbiEEZZNS1_27merge_sort_block_merge_implIS3_N6thrust23THRUST_200600_302600_NS6detail15normal_iteratorINS8_10device_ptrIbEEEENSA_INSB_IiEEEEjNS1_19radix_merge_compareILb1ELb0EbNS0_19identity_decomposerEEEEE10hipError_tT0_T1_T2_jT3_P12ihipStream_tbPNSt15iterator_traitsISK_E10value_typeEPNSQ_ISL_E10value_typeEPSM_NS1_7vsmem_tEENKUlT_SK_SL_SM_E_clISD_PbSF_PiEESJ_SZ_SK_SL_SM_EUlSZ_E_NS1_11comp_targetILNS1_3genE5ELNS1_11target_archE942ELNS1_3gpuE9ELNS1_3repE0EEENS1_48merge_mergepath_partition_config_static_selectorELNS0_4arch9wavefront6targetE1EEEvSL_.has_recursion, 0
	.set _ZN7rocprim17ROCPRIM_400000_NS6detail17trampoline_kernelINS0_14default_configENS1_38merge_sort_block_merge_config_selectorIbiEEZZNS1_27merge_sort_block_merge_implIS3_N6thrust23THRUST_200600_302600_NS6detail15normal_iteratorINS8_10device_ptrIbEEEENSA_INSB_IiEEEEjNS1_19radix_merge_compareILb1ELb0EbNS0_19identity_decomposerEEEEE10hipError_tT0_T1_T2_jT3_P12ihipStream_tbPNSt15iterator_traitsISK_E10value_typeEPNSQ_ISL_E10value_typeEPSM_NS1_7vsmem_tEENKUlT_SK_SL_SM_E_clISD_PbSF_PiEESJ_SZ_SK_SL_SM_EUlSZ_E_NS1_11comp_targetILNS1_3genE5ELNS1_11target_archE942ELNS1_3gpuE9ELNS1_3repE0EEENS1_48merge_mergepath_partition_config_static_selectorELNS0_4arch9wavefront6targetE1EEEvSL_.has_indirect_call, 0
	.section	.AMDGPU.csdata,"",@progbits
; Kernel info:
; codeLenInByte = 0
; TotalNumSgprs: 6
; NumVgprs: 0
; NumAgprs: 0
; TotalNumVgprs: 0
; ScratchSize: 0
; MemoryBound: 0
; FloatMode: 240
; IeeeMode: 1
; LDSByteSize: 0 bytes/workgroup (compile time only)
; SGPRBlocks: 0
; VGPRBlocks: 0
; NumSGPRsForWavesPerEU: 6
; NumVGPRsForWavesPerEU: 1
; AccumOffset: 4
; Occupancy: 8
; WaveLimiterHint : 0
; COMPUTE_PGM_RSRC2:SCRATCH_EN: 0
; COMPUTE_PGM_RSRC2:USER_SGPR: 2
; COMPUTE_PGM_RSRC2:TRAP_HANDLER: 0
; COMPUTE_PGM_RSRC2:TGID_X_EN: 1
; COMPUTE_PGM_RSRC2:TGID_Y_EN: 0
; COMPUTE_PGM_RSRC2:TGID_Z_EN: 0
; COMPUTE_PGM_RSRC2:TIDIG_COMP_CNT: 0
; COMPUTE_PGM_RSRC3_GFX90A:ACCUM_OFFSET: 0
; COMPUTE_PGM_RSRC3_GFX90A:TG_SPLIT: 0
	.section	.text._ZN7rocprim17ROCPRIM_400000_NS6detail17trampoline_kernelINS0_14default_configENS1_38merge_sort_block_merge_config_selectorIbiEEZZNS1_27merge_sort_block_merge_implIS3_N6thrust23THRUST_200600_302600_NS6detail15normal_iteratorINS8_10device_ptrIbEEEENSA_INSB_IiEEEEjNS1_19radix_merge_compareILb1ELb0EbNS0_19identity_decomposerEEEEE10hipError_tT0_T1_T2_jT3_P12ihipStream_tbPNSt15iterator_traitsISK_E10value_typeEPNSQ_ISL_E10value_typeEPSM_NS1_7vsmem_tEENKUlT_SK_SL_SM_E_clISD_PbSF_PiEESJ_SZ_SK_SL_SM_EUlSZ_E_NS1_11comp_targetILNS1_3genE4ELNS1_11target_archE910ELNS1_3gpuE8ELNS1_3repE0EEENS1_48merge_mergepath_partition_config_static_selectorELNS0_4arch9wavefront6targetE1EEEvSL_,"axG",@progbits,_ZN7rocprim17ROCPRIM_400000_NS6detail17trampoline_kernelINS0_14default_configENS1_38merge_sort_block_merge_config_selectorIbiEEZZNS1_27merge_sort_block_merge_implIS3_N6thrust23THRUST_200600_302600_NS6detail15normal_iteratorINS8_10device_ptrIbEEEENSA_INSB_IiEEEEjNS1_19radix_merge_compareILb1ELb0EbNS0_19identity_decomposerEEEEE10hipError_tT0_T1_T2_jT3_P12ihipStream_tbPNSt15iterator_traitsISK_E10value_typeEPNSQ_ISL_E10value_typeEPSM_NS1_7vsmem_tEENKUlT_SK_SL_SM_E_clISD_PbSF_PiEESJ_SZ_SK_SL_SM_EUlSZ_E_NS1_11comp_targetILNS1_3genE4ELNS1_11target_archE910ELNS1_3gpuE8ELNS1_3repE0EEENS1_48merge_mergepath_partition_config_static_selectorELNS0_4arch9wavefront6targetE1EEEvSL_,comdat
	.protected	_ZN7rocprim17ROCPRIM_400000_NS6detail17trampoline_kernelINS0_14default_configENS1_38merge_sort_block_merge_config_selectorIbiEEZZNS1_27merge_sort_block_merge_implIS3_N6thrust23THRUST_200600_302600_NS6detail15normal_iteratorINS8_10device_ptrIbEEEENSA_INSB_IiEEEEjNS1_19radix_merge_compareILb1ELb0EbNS0_19identity_decomposerEEEEE10hipError_tT0_T1_T2_jT3_P12ihipStream_tbPNSt15iterator_traitsISK_E10value_typeEPNSQ_ISL_E10value_typeEPSM_NS1_7vsmem_tEENKUlT_SK_SL_SM_E_clISD_PbSF_PiEESJ_SZ_SK_SL_SM_EUlSZ_E_NS1_11comp_targetILNS1_3genE4ELNS1_11target_archE910ELNS1_3gpuE8ELNS1_3repE0EEENS1_48merge_mergepath_partition_config_static_selectorELNS0_4arch9wavefront6targetE1EEEvSL_ ; -- Begin function _ZN7rocprim17ROCPRIM_400000_NS6detail17trampoline_kernelINS0_14default_configENS1_38merge_sort_block_merge_config_selectorIbiEEZZNS1_27merge_sort_block_merge_implIS3_N6thrust23THRUST_200600_302600_NS6detail15normal_iteratorINS8_10device_ptrIbEEEENSA_INSB_IiEEEEjNS1_19radix_merge_compareILb1ELb0EbNS0_19identity_decomposerEEEEE10hipError_tT0_T1_T2_jT3_P12ihipStream_tbPNSt15iterator_traitsISK_E10value_typeEPNSQ_ISL_E10value_typeEPSM_NS1_7vsmem_tEENKUlT_SK_SL_SM_E_clISD_PbSF_PiEESJ_SZ_SK_SL_SM_EUlSZ_E_NS1_11comp_targetILNS1_3genE4ELNS1_11target_archE910ELNS1_3gpuE8ELNS1_3repE0EEENS1_48merge_mergepath_partition_config_static_selectorELNS0_4arch9wavefront6targetE1EEEvSL_
	.globl	_ZN7rocprim17ROCPRIM_400000_NS6detail17trampoline_kernelINS0_14default_configENS1_38merge_sort_block_merge_config_selectorIbiEEZZNS1_27merge_sort_block_merge_implIS3_N6thrust23THRUST_200600_302600_NS6detail15normal_iteratorINS8_10device_ptrIbEEEENSA_INSB_IiEEEEjNS1_19radix_merge_compareILb1ELb0EbNS0_19identity_decomposerEEEEE10hipError_tT0_T1_T2_jT3_P12ihipStream_tbPNSt15iterator_traitsISK_E10value_typeEPNSQ_ISL_E10value_typeEPSM_NS1_7vsmem_tEENKUlT_SK_SL_SM_E_clISD_PbSF_PiEESJ_SZ_SK_SL_SM_EUlSZ_E_NS1_11comp_targetILNS1_3genE4ELNS1_11target_archE910ELNS1_3gpuE8ELNS1_3repE0EEENS1_48merge_mergepath_partition_config_static_selectorELNS0_4arch9wavefront6targetE1EEEvSL_
	.p2align	8
	.type	_ZN7rocprim17ROCPRIM_400000_NS6detail17trampoline_kernelINS0_14default_configENS1_38merge_sort_block_merge_config_selectorIbiEEZZNS1_27merge_sort_block_merge_implIS3_N6thrust23THRUST_200600_302600_NS6detail15normal_iteratorINS8_10device_ptrIbEEEENSA_INSB_IiEEEEjNS1_19radix_merge_compareILb1ELb0EbNS0_19identity_decomposerEEEEE10hipError_tT0_T1_T2_jT3_P12ihipStream_tbPNSt15iterator_traitsISK_E10value_typeEPNSQ_ISL_E10value_typeEPSM_NS1_7vsmem_tEENKUlT_SK_SL_SM_E_clISD_PbSF_PiEESJ_SZ_SK_SL_SM_EUlSZ_E_NS1_11comp_targetILNS1_3genE4ELNS1_11target_archE910ELNS1_3gpuE8ELNS1_3repE0EEENS1_48merge_mergepath_partition_config_static_selectorELNS0_4arch9wavefront6targetE1EEEvSL_,@function
_ZN7rocprim17ROCPRIM_400000_NS6detail17trampoline_kernelINS0_14default_configENS1_38merge_sort_block_merge_config_selectorIbiEEZZNS1_27merge_sort_block_merge_implIS3_N6thrust23THRUST_200600_302600_NS6detail15normal_iteratorINS8_10device_ptrIbEEEENSA_INSB_IiEEEEjNS1_19radix_merge_compareILb1ELb0EbNS0_19identity_decomposerEEEEE10hipError_tT0_T1_T2_jT3_P12ihipStream_tbPNSt15iterator_traitsISK_E10value_typeEPNSQ_ISL_E10value_typeEPSM_NS1_7vsmem_tEENKUlT_SK_SL_SM_E_clISD_PbSF_PiEESJ_SZ_SK_SL_SM_EUlSZ_E_NS1_11comp_targetILNS1_3genE4ELNS1_11target_archE910ELNS1_3gpuE8ELNS1_3repE0EEENS1_48merge_mergepath_partition_config_static_selectorELNS0_4arch9wavefront6targetE1EEEvSL_: ; @_ZN7rocprim17ROCPRIM_400000_NS6detail17trampoline_kernelINS0_14default_configENS1_38merge_sort_block_merge_config_selectorIbiEEZZNS1_27merge_sort_block_merge_implIS3_N6thrust23THRUST_200600_302600_NS6detail15normal_iteratorINS8_10device_ptrIbEEEENSA_INSB_IiEEEEjNS1_19radix_merge_compareILb1ELb0EbNS0_19identity_decomposerEEEEE10hipError_tT0_T1_T2_jT3_P12ihipStream_tbPNSt15iterator_traitsISK_E10value_typeEPNSQ_ISL_E10value_typeEPSM_NS1_7vsmem_tEENKUlT_SK_SL_SM_E_clISD_PbSF_PiEESJ_SZ_SK_SL_SM_EUlSZ_E_NS1_11comp_targetILNS1_3genE4ELNS1_11target_archE910ELNS1_3gpuE8ELNS1_3repE0EEENS1_48merge_mergepath_partition_config_static_selectorELNS0_4arch9wavefront6targetE1EEEvSL_
; %bb.0:
	.section	.rodata,"a",@progbits
	.p2align	6, 0x0
	.amdhsa_kernel _ZN7rocprim17ROCPRIM_400000_NS6detail17trampoline_kernelINS0_14default_configENS1_38merge_sort_block_merge_config_selectorIbiEEZZNS1_27merge_sort_block_merge_implIS3_N6thrust23THRUST_200600_302600_NS6detail15normal_iteratorINS8_10device_ptrIbEEEENSA_INSB_IiEEEEjNS1_19radix_merge_compareILb1ELb0EbNS0_19identity_decomposerEEEEE10hipError_tT0_T1_T2_jT3_P12ihipStream_tbPNSt15iterator_traitsISK_E10value_typeEPNSQ_ISL_E10value_typeEPSM_NS1_7vsmem_tEENKUlT_SK_SL_SM_E_clISD_PbSF_PiEESJ_SZ_SK_SL_SM_EUlSZ_E_NS1_11comp_targetILNS1_3genE4ELNS1_11target_archE910ELNS1_3gpuE8ELNS1_3repE0EEENS1_48merge_mergepath_partition_config_static_selectorELNS0_4arch9wavefront6targetE1EEEvSL_
		.amdhsa_group_segment_fixed_size 0
		.amdhsa_private_segment_fixed_size 0
		.amdhsa_kernarg_size 40
		.amdhsa_user_sgpr_count 2
		.amdhsa_user_sgpr_dispatch_ptr 0
		.amdhsa_user_sgpr_queue_ptr 0
		.amdhsa_user_sgpr_kernarg_segment_ptr 1
		.amdhsa_user_sgpr_dispatch_id 0
		.amdhsa_user_sgpr_kernarg_preload_length 0
		.amdhsa_user_sgpr_kernarg_preload_offset 0
		.amdhsa_user_sgpr_private_segment_size 0
		.amdhsa_uses_dynamic_stack 0
		.amdhsa_enable_private_segment 0
		.amdhsa_system_sgpr_workgroup_id_x 1
		.amdhsa_system_sgpr_workgroup_id_y 0
		.amdhsa_system_sgpr_workgroup_id_z 0
		.amdhsa_system_sgpr_workgroup_info 0
		.amdhsa_system_vgpr_workitem_id 0
		.amdhsa_next_free_vgpr 1
		.amdhsa_next_free_sgpr 0
		.amdhsa_accum_offset 4
		.amdhsa_reserve_vcc 0
		.amdhsa_float_round_mode_32 0
		.amdhsa_float_round_mode_16_64 0
		.amdhsa_float_denorm_mode_32 3
		.amdhsa_float_denorm_mode_16_64 3
		.amdhsa_dx10_clamp 1
		.amdhsa_ieee_mode 1
		.amdhsa_fp16_overflow 0
		.amdhsa_tg_split 0
		.amdhsa_exception_fp_ieee_invalid_op 0
		.amdhsa_exception_fp_denorm_src 0
		.amdhsa_exception_fp_ieee_div_zero 0
		.amdhsa_exception_fp_ieee_overflow 0
		.amdhsa_exception_fp_ieee_underflow 0
		.amdhsa_exception_fp_ieee_inexact 0
		.amdhsa_exception_int_div_zero 0
	.end_amdhsa_kernel
	.section	.text._ZN7rocprim17ROCPRIM_400000_NS6detail17trampoline_kernelINS0_14default_configENS1_38merge_sort_block_merge_config_selectorIbiEEZZNS1_27merge_sort_block_merge_implIS3_N6thrust23THRUST_200600_302600_NS6detail15normal_iteratorINS8_10device_ptrIbEEEENSA_INSB_IiEEEEjNS1_19radix_merge_compareILb1ELb0EbNS0_19identity_decomposerEEEEE10hipError_tT0_T1_T2_jT3_P12ihipStream_tbPNSt15iterator_traitsISK_E10value_typeEPNSQ_ISL_E10value_typeEPSM_NS1_7vsmem_tEENKUlT_SK_SL_SM_E_clISD_PbSF_PiEESJ_SZ_SK_SL_SM_EUlSZ_E_NS1_11comp_targetILNS1_3genE4ELNS1_11target_archE910ELNS1_3gpuE8ELNS1_3repE0EEENS1_48merge_mergepath_partition_config_static_selectorELNS0_4arch9wavefront6targetE1EEEvSL_,"axG",@progbits,_ZN7rocprim17ROCPRIM_400000_NS6detail17trampoline_kernelINS0_14default_configENS1_38merge_sort_block_merge_config_selectorIbiEEZZNS1_27merge_sort_block_merge_implIS3_N6thrust23THRUST_200600_302600_NS6detail15normal_iteratorINS8_10device_ptrIbEEEENSA_INSB_IiEEEEjNS1_19radix_merge_compareILb1ELb0EbNS0_19identity_decomposerEEEEE10hipError_tT0_T1_T2_jT3_P12ihipStream_tbPNSt15iterator_traitsISK_E10value_typeEPNSQ_ISL_E10value_typeEPSM_NS1_7vsmem_tEENKUlT_SK_SL_SM_E_clISD_PbSF_PiEESJ_SZ_SK_SL_SM_EUlSZ_E_NS1_11comp_targetILNS1_3genE4ELNS1_11target_archE910ELNS1_3gpuE8ELNS1_3repE0EEENS1_48merge_mergepath_partition_config_static_selectorELNS0_4arch9wavefront6targetE1EEEvSL_,comdat
.Lfunc_end2131:
	.size	_ZN7rocprim17ROCPRIM_400000_NS6detail17trampoline_kernelINS0_14default_configENS1_38merge_sort_block_merge_config_selectorIbiEEZZNS1_27merge_sort_block_merge_implIS3_N6thrust23THRUST_200600_302600_NS6detail15normal_iteratorINS8_10device_ptrIbEEEENSA_INSB_IiEEEEjNS1_19radix_merge_compareILb1ELb0EbNS0_19identity_decomposerEEEEE10hipError_tT0_T1_T2_jT3_P12ihipStream_tbPNSt15iterator_traitsISK_E10value_typeEPNSQ_ISL_E10value_typeEPSM_NS1_7vsmem_tEENKUlT_SK_SL_SM_E_clISD_PbSF_PiEESJ_SZ_SK_SL_SM_EUlSZ_E_NS1_11comp_targetILNS1_3genE4ELNS1_11target_archE910ELNS1_3gpuE8ELNS1_3repE0EEENS1_48merge_mergepath_partition_config_static_selectorELNS0_4arch9wavefront6targetE1EEEvSL_, .Lfunc_end2131-_ZN7rocprim17ROCPRIM_400000_NS6detail17trampoline_kernelINS0_14default_configENS1_38merge_sort_block_merge_config_selectorIbiEEZZNS1_27merge_sort_block_merge_implIS3_N6thrust23THRUST_200600_302600_NS6detail15normal_iteratorINS8_10device_ptrIbEEEENSA_INSB_IiEEEEjNS1_19radix_merge_compareILb1ELb0EbNS0_19identity_decomposerEEEEE10hipError_tT0_T1_T2_jT3_P12ihipStream_tbPNSt15iterator_traitsISK_E10value_typeEPNSQ_ISL_E10value_typeEPSM_NS1_7vsmem_tEENKUlT_SK_SL_SM_E_clISD_PbSF_PiEESJ_SZ_SK_SL_SM_EUlSZ_E_NS1_11comp_targetILNS1_3genE4ELNS1_11target_archE910ELNS1_3gpuE8ELNS1_3repE0EEENS1_48merge_mergepath_partition_config_static_selectorELNS0_4arch9wavefront6targetE1EEEvSL_
                                        ; -- End function
	.set _ZN7rocprim17ROCPRIM_400000_NS6detail17trampoline_kernelINS0_14default_configENS1_38merge_sort_block_merge_config_selectorIbiEEZZNS1_27merge_sort_block_merge_implIS3_N6thrust23THRUST_200600_302600_NS6detail15normal_iteratorINS8_10device_ptrIbEEEENSA_INSB_IiEEEEjNS1_19radix_merge_compareILb1ELb0EbNS0_19identity_decomposerEEEEE10hipError_tT0_T1_T2_jT3_P12ihipStream_tbPNSt15iterator_traitsISK_E10value_typeEPNSQ_ISL_E10value_typeEPSM_NS1_7vsmem_tEENKUlT_SK_SL_SM_E_clISD_PbSF_PiEESJ_SZ_SK_SL_SM_EUlSZ_E_NS1_11comp_targetILNS1_3genE4ELNS1_11target_archE910ELNS1_3gpuE8ELNS1_3repE0EEENS1_48merge_mergepath_partition_config_static_selectorELNS0_4arch9wavefront6targetE1EEEvSL_.num_vgpr, 0
	.set _ZN7rocprim17ROCPRIM_400000_NS6detail17trampoline_kernelINS0_14default_configENS1_38merge_sort_block_merge_config_selectorIbiEEZZNS1_27merge_sort_block_merge_implIS3_N6thrust23THRUST_200600_302600_NS6detail15normal_iteratorINS8_10device_ptrIbEEEENSA_INSB_IiEEEEjNS1_19radix_merge_compareILb1ELb0EbNS0_19identity_decomposerEEEEE10hipError_tT0_T1_T2_jT3_P12ihipStream_tbPNSt15iterator_traitsISK_E10value_typeEPNSQ_ISL_E10value_typeEPSM_NS1_7vsmem_tEENKUlT_SK_SL_SM_E_clISD_PbSF_PiEESJ_SZ_SK_SL_SM_EUlSZ_E_NS1_11comp_targetILNS1_3genE4ELNS1_11target_archE910ELNS1_3gpuE8ELNS1_3repE0EEENS1_48merge_mergepath_partition_config_static_selectorELNS0_4arch9wavefront6targetE1EEEvSL_.num_agpr, 0
	.set _ZN7rocprim17ROCPRIM_400000_NS6detail17trampoline_kernelINS0_14default_configENS1_38merge_sort_block_merge_config_selectorIbiEEZZNS1_27merge_sort_block_merge_implIS3_N6thrust23THRUST_200600_302600_NS6detail15normal_iteratorINS8_10device_ptrIbEEEENSA_INSB_IiEEEEjNS1_19radix_merge_compareILb1ELb0EbNS0_19identity_decomposerEEEEE10hipError_tT0_T1_T2_jT3_P12ihipStream_tbPNSt15iterator_traitsISK_E10value_typeEPNSQ_ISL_E10value_typeEPSM_NS1_7vsmem_tEENKUlT_SK_SL_SM_E_clISD_PbSF_PiEESJ_SZ_SK_SL_SM_EUlSZ_E_NS1_11comp_targetILNS1_3genE4ELNS1_11target_archE910ELNS1_3gpuE8ELNS1_3repE0EEENS1_48merge_mergepath_partition_config_static_selectorELNS0_4arch9wavefront6targetE1EEEvSL_.numbered_sgpr, 0
	.set _ZN7rocprim17ROCPRIM_400000_NS6detail17trampoline_kernelINS0_14default_configENS1_38merge_sort_block_merge_config_selectorIbiEEZZNS1_27merge_sort_block_merge_implIS3_N6thrust23THRUST_200600_302600_NS6detail15normal_iteratorINS8_10device_ptrIbEEEENSA_INSB_IiEEEEjNS1_19radix_merge_compareILb1ELb0EbNS0_19identity_decomposerEEEEE10hipError_tT0_T1_T2_jT3_P12ihipStream_tbPNSt15iterator_traitsISK_E10value_typeEPNSQ_ISL_E10value_typeEPSM_NS1_7vsmem_tEENKUlT_SK_SL_SM_E_clISD_PbSF_PiEESJ_SZ_SK_SL_SM_EUlSZ_E_NS1_11comp_targetILNS1_3genE4ELNS1_11target_archE910ELNS1_3gpuE8ELNS1_3repE0EEENS1_48merge_mergepath_partition_config_static_selectorELNS0_4arch9wavefront6targetE1EEEvSL_.num_named_barrier, 0
	.set _ZN7rocprim17ROCPRIM_400000_NS6detail17trampoline_kernelINS0_14default_configENS1_38merge_sort_block_merge_config_selectorIbiEEZZNS1_27merge_sort_block_merge_implIS3_N6thrust23THRUST_200600_302600_NS6detail15normal_iteratorINS8_10device_ptrIbEEEENSA_INSB_IiEEEEjNS1_19radix_merge_compareILb1ELb0EbNS0_19identity_decomposerEEEEE10hipError_tT0_T1_T2_jT3_P12ihipStream_tbPNSt15iterator_traitsISK_E10value_typeEPNSQ_ISL_E10value_typeEPSM_NS1_7vsmem_tEENKUlT_SK_SL_SM_E_clISD_PbSF_PiEESJ_SZ_SK_SL_SM_EUlSZ_E_NS1_11comp_targetILNS1_3genE4ELNS1_11target_archE910ELNS1_3gpuE8ELNS1_3repE0EEENS1_48merge_mergepath_partition_config_static_selectorELNS0_4arch9wavefront6targetE1EEEvSL_.private_seg_size, 0
	.set _ZN7rocprim17ROCPRIM_400000_NS6detail17trampoline_kernelINS0_14default_configENS1_38merge_sort_block_merge_config_selectorIbiEEZZNS1_27merge_sort_block_merge_implIS3_N6thrust23THRUST_200600_302600_NS6detail15normal_iteratorINS8_10device_ptrIbEEEENSA_INSB_IiEEEEjNS1_19radix_merge_compareILb1ELb0EbNS0_19identity_decomposerEEEEE10hipError_tT0_T1_T2_jT3_P12ihipStream_tbPNSt15iterator_traitsISK_E10value_typeEPNSQ_ISL_E10value_typeEPSM_NS1_7vsmem_tEENKUlT_SK_SL_SM_E_clISD_PbSF_PiEESJ_SZ_SK_SL_SM_EUlSZ_E_NS1_11comp_targetILNS1_3genE4ELNS1_11target_archE910ELNS1_3gpuE8ELNS1_3repE0EEENS1_48merge_mergepath_partition_config_static_selectorELNS0_4arch9wavefront6targetE1EEEvSL_.uses_vcc, 0
	.set _ZN7rocprim17ROCPRIM_400000_NS6detail17trampoline_kernelINS0_14default_configENS1_38merge_sort_block_merge_config_selectorIbiEEZZNS1_27merge_sort_block_merge_implIS3_N6thrust23THRUST_200600_302600_NS6detail15normal_iteratorINS8_10device_ptrIbEEEENSA_INSB_IiEEEEjNS1_19radix_merge_compareILb1ELb0EbNS0_19identity_decomposerEEEEE10hipError_tT0_T1_T2_jT3_P12ihipStream_tbPNSt15iterator_traitsISK_E10value_typeEPNSQ_ISL_E10value_typeEPSM_NS1_7vsmem_tEENKUlT_SK_SL_SM_E_clISD_PbSF_PiEESJ_SZ_SK_SL_SM_EUlSZ_E_NS1_11comp_targetILNS1_3genE4ELNS1_11target_archE910ELNS1_3gpuE8ELNS1_3repE0EEENS1_48merge_mergepath_partition_config_static_selectorELNS0_4arch9wavefront6targetE1EEEvSL_.uses_flat_scratch, 0
	.set _ZN7rocprim17ROCPRIM_400000_NS6detail17trampoline_kernelINS0_14default_configENS1_38merge_sort_block_merge_config_selectorIbiEEZZNS1_27merge_sort_block_merge_implIS3_N6thrust23THRUST_200600_302600_NS6detail15normal_iteratorINS8_10device_ptrIbEEEENSA_INSB_IiEEEEjNS1_19radix_merge_compareILb1ELb0EbNS0_19identity_decomposerEEEEE10hipError_tT0_T1_T2_jT3_P12ihipStream_tbPNSt15iterator_traitsISK_E10value_typeEPNSQ_ISL_E10value_typeEPSM_NS1_7vsmem_tEENKUlT_SK_SL_SM_E_clISD_PbSF_PiEESJ_SZ_SK_SL_SM_EUlSZ_E_NS1_11comp_targetILNS1_3genE4ELNS1_11target_archE910ELNS1_3gpuE8ELNS1_3repE0EEENS1_48merge_mergepath_partition_config_static_selectorELNS0_4arch9wavefront6targetE1EEEvSL_.has_dyn_sized_stack, 0
	.set _ZN7rocprim17ROCPRIM_400000_NS6detail17trampoline_kernelINS0_14default_configENS1_38merge_sort_block_merge_config_selectorIbiEEZZNS1_27merge_sort_block_merge_implIS3_N6thrust23THRUST_200600_302600_NS6detail15normal_iteratorINS8_10device_ptrIbEEEENSA_INSB_IiEEEEjNS1_19radix_merge_compareILb1ELb0EbNS0_19identity_decomposerEEEEE10hipError_tT0_T1_T2_jT3_P12ihipStream_tbPNSt15iterator_traitsISK_E10value_typeEPNSQ_ISL_E10value_typeEPSM_NS1_7vsmem_tEENKUlT_SK_SL_SM_E_clISD_PbSF_PiEESJ_SZ_SK_SL_SM_EUlSZ_E_NS1_11comp_targetILNS1_3genE4ELNS1_11target_archE910ELNS1_3gpuE8ELNS1_3repE0EEENS1_48merge_mergepath_partition_config_static_selectorELNS0_4arch9wavefront6targetE1EEEvSL_.has_recursion, 0
	.set _ZN7rocprim17ROCPRIM_400000_NS6detail17trampoline_kernelINS0_14default_configENS1_38merge_sort_block_merge_config_selectorIbiEEZZNS1_27merge_sort_block_merge_implIS3_N6thrust23THRUST_200600_302600_NS6detail15normal_iteratorINS8_10device_ptrIbEEEENSA_INSB_IiEEEEjNS1_19radix_merge_compareILb1ELb0EbNS0_19identity_decomposerEEEEE10hipError_tT0_T1_T2_jT3_P12ihipStream_tbPNSt15iterator_traitsISK_E10value_typeEPNSQ_ISL_E10value_typeEPSM_NS1_7vsmem_tEENKUlT_SK_SL_SM_E_clISD_PbSF_PiEESJ_SZ_SK_SL_SM_EUlSZ_E_NS1_11comp_targetILNS1_3genE4ELNS1_11target_archE910ELNS1_3gpuE8ELNS1_3repE0EEENS1_48merge_mergepath_partition_config_static_selectorELNS0_4arch9wavefront6targetE1EEEvSL_.has_indirect_call, 0
	.section	.AMDGPU.csdata,"",@progbits
; Kernel info:
; codeLenInByte = 0
; TotalNumSgprs: 6
; NumVgprs: 0
; NumAgprs: 0
; TotalNumVgprs: 0
; ScratchSize: 0
; MemoryBound: 0
; FloatMode: 240
; IeeeMode: 1
; LDSByteSize: 0 bytes/workgroup (compile time only)
; SGPRBlocks: 0
; VGPRBlocks: 0
; NumSGPRsForWavesPerEU: 6
; NumVGPRsForWavesPerEU: 1
; AccumOffset: 4
; Occupancy: 8
; WaveLimiterHint : 0
; COMPUTE_PGM_RSRC2:SCRATCH_EN: 0
; COMPUTE_PGM_RSRC2:USER_SGPR: 2
; COMPUTE_PGM_RSRC2:TRAP_HANDLER: 0
; COMPUTE_PGM_RSRC2:TGID_X_EN: 1
; COMPUTE_PGM_RSRC2:TGID_Y_EN: 0
; COMPUTE_PGM_RSRC2:TGID_Z_EN: 0
; COMPUTE_PGM_RSRC2:TIDIG_COMP_CNT: 0
; COMPUTE_PGM_RSRC3_GFX90A:ACCUM_OFFSET: 0
; COMPUTE_PGM_RSRC3_GFX90A:TG_SPLIT: 0
	.section	.text._ZN7rocprim17ROCPRIM_400000_NS6detail17trampoline_kernelINS0_14default_configENS1_38merge_sort_block_merge_config_selectorIbiEEZZNS1_27merge_sort_block_merge_implIS3_N6thrust23THRUST_200600_302600_NS6detail15normal_iteratorINS8_10device_ptrIbEEEENSA_INSB_IiEEEEjNS1_19radix_merge_compareILb1ELb0EbNS0_19identity_decomposerEEEEE10hipError_tT0_T1_T2_jT3_P12ihipStream_tbPNSt15iterator_traitsISK_E10value_typeEPNSQ_ISL_E10value_typeEPSM_NS1_7vsmem_tEENKUlT_SK_SL_SM_E_clISD_PbSF_PiEESJ_SZ_SK_SL_SM_EUlSZ_E_NS1_11comp_targetILNS1_3genE3ELNS1_11target_archE908ELNS1_3gpuE7ELNS1_3repE0EEENS1_48merge_mergepath_partition_config_static_selectorELNS0_4arch9wavefront6targetE1EEEvSL_,"axG",@progbits,_ZN7rocprim17ROCPRIM_400000_NS6detail17trampoline_kernelINS0_14default_configENS1_38merge_sort_block_merge_config_selectorIbiEEZZNS1_27merge_sort_block_merge_implIS3_N6thrust23THRUST_200600_302600_NS6detail15normal_iteratorINS8_10device_ptrIbEEEENSA_INSB_IiEEEEjNS1_19radix_merge_compareILb1ELb0EbNS0_19identity_decomposerEEEEE10hipError_tT0_T1_T2_jT3_P12ihipStream_tbPNSt15iterator_traitsISK_E10value_typeEPNSQ_ISL_E10value_typeEPSM_NS1_7vsmem_tEENKUlT_SK_SL_SM_E_clISD_PbSF_PiEESJ_SZ_SK_SL_SM_EUlSZ_E_NS1_11comp_targetILNS1_3genE3ELNS1_11target_archE908ELNS1_3gpuE7ELNS1_3repE0EEENS1_48merge_mergepath_partition_config_static_selectorELNS0_4arch9wavefront6targetE1EEEvSL_,comdat
	.protected	_ZN7rocprim17ROCPRIM_400000_NS6detail17trampoline_kernelINS0_14default_configENS1_38merge_sort_block_merge_config_selectorIbiEEZZNS1_27merge_sort_block_merge_implIS3_N6thrust23THRUST_200600_302600_NS6detail15normal_iteratorINS8_10device_ptrIbEEEENSA_INSB_IiEEEEjNS1_19radix_merge_compareILb1ELb0EbNS0_19identity_decomposerEEEEE10hipError_tT0_T1_T2_jT3_P12ihipStream_tbPNSt15iterator_traitsISK_E10value_typeEPNSQ_ISL_E10value_typeEPSM_NS1_7vsmem_tEENKUlT_SK_SL_SM_E_clISD_PbSF_PiEESJ_SZ_SK_SL_SM_EUlSZ_E_NS1_11comp_targetILNS1_3genE3ELNS1_11target_archE908ELNS1_3gpuE7ELNS1_3repE0EEENS1_48merge_mergepath_partition_config_static_selectorELNS0_4arch9wavefront6targetE1EEEvSL_ ; -- Begin function _ZN7rocprim17ROCPRIM_400000_NS6detail17trampoline_kernelINS0_14default_configENS1_38merge_sort_block_merge_config_selectorIbiEEZZNS1_27merge_sort_block_merge_implIS3_N6thrust23THRUST_200600_302600_NS6detail15normal_iteratorINS8_10device_ptrIbEEEENSA_INSB_IiEEEEjNS1_19radix_merge_compareILb1ELb0EbNS0_19identity_decomposerEEEEE10hipError_tT0_T1_T2_jT3_P12ihipStream_tbPNSt15iterator_traitsISK_E10value_typeEPNSQ_ISL_E10value_typeEPSM_NS1_7vsmem_tEENKUlT_SK_SL_SM_E_clISD_PbSF_PiEESJ_SZ_SK_SL_SM_EUlSZ_E_NS1_11comp_targetILNS1_3genE3ELNS1_11target_archE908ELNS1_3gpuE7ELNS1_3repE0EEENS1_48merge_mergepath_partition_config_static_selectorELNS0_4arch9wavefront6targetE1EEEvSL_
	.globl	_ZN7rocprim17ROCPRIM_400000_NS6detail17trampoline_kernelINS0_14default_configENS1_38merge_sort_block_merge_config_selectorIbiEEZZNS1_27merge_sort_block_merge_implIS3_N6thrust23THRUST_200600_302600_NS6detail15normal_iteratorINS8_10device_ptrIbEEEENSA_INSB_IiEEEEjNS1_19radix_merge_compareILb1ELb0EbNS0_19identity_decomposerEEEEE10hipError_tT0_T1_T2_jT3_P12ihipStream_tbPNSt15iterator_traitsISK_E10value_typeEPNSQ_ISL_E10value_typeEPSM_NS1_7vsmem_tEENKUlT_SK_SL_SM_E_clISD_PbSF_PiEESJ_SZ_SK_SL_SM_EUlSZ_E_NS1_11comp_targetILNS1_3genE3ELNS1_11target_archE908ELNS1_3gpuE7ELNS1_3repE0EEENS1_48merge_mergepath_partition_config_static_selectorELNS0_4arch9wavefront6targetE1EEEvSL_
	.p2align	8
	.type	_ZN7rocprim17ROCPRIM_400000_NS6detail17trampoline_kernelINS0_14default_configENS1_38merge_sort_block_merge_config_selectorIbiEEZZNS1_27merge_sort_block_merge_implIS3_N6thrust23THRUST_200600_302600_NS6detail15normal_iteratorINS8_10device_ptrIbEEEENSA_INSB_IiEEEEjNS1_19radix_merge_compareILb1ELb0EbNS0_19identity_decomposerEEEEE10hipError_tT0_T1_T2_jT3_P12ihipStream_tbPNSt15iterator_traitsISK_E10value_typeEPNSQ_ISL_E10value_typeEPSM_NS1_7vsmem_tEENKUlT_SK_SL_SM_E_clISD_PbSF_PiEESJ_SZ_SK_SL_SM_EUlSZ_E_NS1_11comp_targetILNS1_3genE3ELNS1_11target_archE908ELNS1_3gpuE7ELNS1_3repE0EEENS1_48merge_mergepath_partition_config_static_selectorELNS0_4arch9wavefront6targetE1EEEvSL_,@function
_ZN7rocprim17ROCPRIM_400000_NS6detail17trampoline_kernelINS0_14default_configENS1_38merge_sort_block_merge_config_selectorIbiEEZZNS1_27merge_sort_block_merge_implIS3_N6thrust23THRUST_200600_302600_NS6detail15normal_iteratorINS8_10device_ptrIbEEEENSA_INSB_IiEEEEjNS1_19radix_merge_compareILb1ELb0EbNS0_19identity_decomposerEEEEE10hipError_tT0_T1_T2_jT3_P12ihipStream_tbPNSt15iterator_traitsISK_E10value_typeEPNSQ_ISL_E10value_typeEPSM_NS1_7vsmem_tEENKUlT_SK_SL_SM_E_clISD_PbSF_PiEESJ_SZ_SK_SL_SM_EUlSZ_E_NS1_11comp_targetILNS1_3genE3ELNS1_11target_archE908ELNS1_3gpuE7ELNS1_3repE0EEENS1_48merge_mergepath_partition_config_static_selectorELNS0_4arch9wavefront6targetE1EEEvSL_: ; @_ZN7rocprim17ROCPRIM_400000_NS6detail17trampoline_kernelINS0_14default_configENS1_38merge_sort_block_merge_config_selectorIbiEEZZNS1_27merge_sort_block_merge_implIS3_N6thrust23THRUST_200600_302600_NS6detail15normal_iteratorINS8_10device_ptrIbEEEENSA_INSB_IiEEEEjNS1_19radix_merge_compareILb1ELb0EbNS0_19identity_decomposerEEEEE10hipError_tT0_T1_T2_jT3_P12ihipStream_tbPNSt15iterator_traitsISK_E10value_typeEPNSQ_ISL_E10value_typeEPSM_NS1_7vsmem_tEENKUlT_SK_SL_SM_E_clISD_PbSF_PiEESJ_SZ_SK_SL_SM_EUlSZ_E_NS1_11comp_targetILNS1_3genE3ELNS1_11target_archE908ELNS1_3gpuE7ELNS1_3repE0EEENS1_48merge_mergepath_partition_config_static_selectorELNS0_4arch9wavefront6targetE1EEEvSL_
; %bb.0:
	.section	.rodata,"a",@progbits
	.p2align	6, 0x0
	.amdhsa_kernel _ZN7rocprim17ROCPRIM_400000_NS6detail17trampoline_kernelINS0_14default_configENS1_38merge_sort_block_merge_config_selectorIbiEEZZNS1_27merge_sort_block_merge_implIS3_N6thrust23THRUST_200600_302600_NS6detail15normal_iteratorINS8_10device_ptrIbEEEENSA_INSB_IiEEEEjNS1_19radix_merge_compareILb1ELb0EbNS0_19identity_decomposerEEEEE10hipError_tT0_T1_T2_jT3_P12ihipStream_tbPNSt15iterator_traitsISK_E10value_typeEPNSQ_ISL_E10value_typeEPSM_NS1_7vsmem_tEENKUlT_SK_SL_SM_E_clISD_PbSF_PiEESJ_SZ_SK_SL_SM_EUlSZ_E_NS1_11comp_targetILNS1_3genE3ELNS1_11target_archE908ELNS1_3gpuE7ELNS1_3repE0EEENS1_48merge_mergepath_partition_config_static_selectorELNS0_4arch9wavefront6targetE1EEEvSL_
		.amdhsa_group_segment_fixed_size 0
		.amdhsa_private_segment_fixed_size 0
		.amdhsa_kernarg_size 40
		.amdhsa_user_sgpr_count 2
		.amdhsa_user_sgpr_dispatch_ptr 0
		.amdhsa_user_sgpr_queue_ptr 0
		.amdhsa_user_sgpr_kernarg_segment_ptr 1
		.amdhsa_user_sgpr_dispatch_id 0
		.amdhsa_user_sgpr_kernarg_preload_length 0
		.amdhsa_user_sgpr_kernarg_preload_offset 0
		.amdhsa_user_sgpr_private_segment_size 0
		.amdhsa_uses_dynamic_stack 0
		.amdhsa_enable_private_segment 0
		.amdhsa_system_sgpr_workgroup_id_x 1
		.amdhsa_system_sgpr_workgroup_id_y 0
		.amdhsa_system_sgpr_workgroup_id_z 0
		.amdhsa_system_sgpr_workgroup_info 0
		.amdhsa_system_vgpr_workitem_id 0
		.amdhsa_next_free_vgpr 1
		.amdhsa_next_free_sgpr 0
		.amdhsa_accum_offset 4
		.amdhsa_reserve_vcc 0
		.amdhsa_float_round_mode_32 0
		.amdhsa_float_round_mode_16_64 0
		.amdhsa_float_denorm_mode_32 3
		.amdhsa_float_denorm_mode_16_64 3
		.amdhsa_dx10_clamp 1
		.amdhsa_ieee_mode 1
		.amdhsa_fp16_overflow 0
		.amdhsa_tg_split 0
		.amdhsa_exception_fp_ieee_invalid_op 0
		.amdhsa_exception_fp_denorm_src 0
		.amdhsa_exception_fp_ieee_div_zero 0
		.amdhsa_exception_fp_ieee_overflow 0
		.amdhsa_exception_fp_ieee_underflow 0
		.amdhsa_exception_fp_ieee_inexact 0
		.amdhsa_exception_int_div_zero 0
	.end_amdhsa_kernel
	.section	.text._ZN7rocprim17ROCPRIM_400000_NS6detail17trampoline_kernelINS0_14default_configENS1_38merge_sort_block_merge_config_selectorIbiEEZZNS1_27merge_sort_block_merge_implIS3_N6thrust23THRUST_200600_302600_NS6detail15normal_iteratorINS8_10device_ptrIbEEEENSA_INSB_IiEEEEjNS1_19radix_merge_compareILb1ELb0EbNS0_19identity_decomposerEEEEE10hipError_tT0_T1_T2_jT3_P12ihipStream_tbPNSt15iterator_traitsISK_E10value_typeEPNSQ_ISL_E10value_typeEPSM_NS1_7vsmem_tEENKUlT_SK_SL_SM_E_clISD_PbSF_PiEESJ_SZ_SK_SL_SM_EUlSZ_E_NS1_11comp_targetILNS1_3genE3ELNS1_11target_archE908ELNS1_3gpuE7ELNS1_3repE0EEENS1_48merge_mergepath_partition_config_static_selectorELNS0_4arch9wavefront6targetE1EEEvSL_,"axG",@progbits,_ZN7rocprim17ROCPRIM_400000_NS6detail17trampoline_kernelINS0_14default_configENS1_38merge_sort_block_merge_config_selectorIbiEEZZNS1_27merge_sort_block_merge_implIS3_N6thrust23THRUST_200600_302600_NS6detail15normal_iteratorINS8_10device_ptrIbEEEENSA_INSB_IiEEEEjNS1_19radix_merge_compareILb1ELb0EbNS0_19identity_decomposerEEEEE10hipError_tT0_T1_T2_jT3_P12ihipStream_tbPNSt15iterator_traitsISK_E10value_typeEPNSQ_ISL_E10value_typeEPSM_NS1_7vsmem_tEENKUlT_SK_SL_SM_E_clISD_PbSF_PiEESJ_SZ_SK_SL_SM_EUlSZ_E_NS1_11comp_targetILNS1_3genE3ELNS1_11target_archE908ELNS1_3gpuE7ELNS1_3repE0EEENS1_48merge_mergepath_partition_config_static_selectorELNS0_4arch9wavefront6targetE1EEEvSL_,comdat
.Lfunc_end2132:
	.size	_ZN7rocprim17ROCPRIM_400000_NS6detail17trampoline_kernelINS0_14default_configENS1_38merge_sort_block_merge_config_selectorIbiEEZZNS1_27merge_sort_block_merge_implIS3_N6thrust23THRUST_200600_302600_NS6detail15normal_iteratorINS8_10device_ptrIbEEEENSA_INSB_IiEEEEjNS1_19radix_merge_compareILb1ELb0EbNS0_19identity_decomposerEEEEE10hipError_tT0_T1_T2_jT3_P12ihipStream_tbPNSt15iterator_traitsISK_E10value_typeEPNSQ_ISL_E10value_typeEPSM_NS1_7vsmem_tEENKUlT_SK_SL_SM_E_clISD_PbSF_PiEESJ_SZ_SK_SL_SM_EUlSZ_E_NS1_11comp_targetILNS1_3genE3ELNS1_11target_archE908ELNS1_3gpuE7ELNS1_3repE0EEENS1_48merge_mergepath_partition_config_static_selectorELNS0_4arch9wavefront6targetE1EEEvSL_, .Lfunc_end2132-_ZN7rocprim17ROCPRIM_400000_NS6detail17trampoline_kernelINS0_14default_configENS1_38merge_sort_block_merge_config_selectorIbiEEZZNS1_27merge_sort_block_merge_implIS3_N6thrust23THRUST_200600_302600_NS6detail15normal_iteratorINS8_10device_ptrIbEEEENSA_INSB_IiEEEEjNS1_19radix_merge_compareILb1ELb0EbNS0_19identity_decomposerEEEEE10hipError_tT0_T1_T2_jT3_P12ihipStream_tbPNSt15iterator_traitsISK_E10value_typeEPNSQ_ISL_E10value_typeEPSM_NS1_7vsmem_tEENKUlT_SK_SL_SM_E_clISD_PbSF_PiEESJ_SZ_SK_SL_SM_EUlSZ_E_NS1_11comp_targetILNS1_3genE3ELNS1_11target_archE908ELNS1_3gpuE7ELNS1_3repE0EEENS1_48merge_mergepath_partition_config_static_selectorELNS0_4arch9wavefront6targetE1EEEvSL_
                                        ; -- End function
	.set _ZN7rocprim17ROCPRIM_400000_NS6detail17trampoline_kernelINS0_14default_configENS1_38merge_sort_block_merge_config_selectorIbiEEZZNS1_27merge_sort_block_merge_implIS3_N6thrust23THRUST_200600_302600_NS6detail15normal_iteratorINS8_10device_ptrIbEEEENSA_INSB_IiEEEEjNS1_19radix_merge_compareILb1ELb0EbNS0_19identity_decomposerEEEEE10hipError_tT0_T1_T2_jT3_P12ihipStream_tbPNSt15iterator_traitsISK_E10value_typeEPNSQ_ISL_E10value_typeEPSM_NS1_7vsmem_tEENKUlT_SK_SL_SM_E_clISD_PbSF_PiEESJ_SZ_SK_SL_SM_EUlSZ_E_NS1_11comp_targetILNS1_3genE3ELNS1_11target_archE908ELNS1_3gpuE7ELNS1_3repE0EEENS1_48merge_mergepath_partition_config_static_selectorELNS0_4arch9wavefront6targetE1EEEvSL_.num_vgpr, 0
	.set _ZN7rocprim17ROCPRIM_400000_NS6detail17trampoline_kernelINS0_14default_configENS1_38merge_sort_block_merge_config_selectorIbiEEZZNS1_27merge_sort_block_merge_implIS3_N6thrust23THRUST_200600_302600_NS6detail15normal_iteratorINS8_10device_ptrIbEEEENSA_INSB_IiEEEEjNS1_19radix_merge_compareILb1ELb0EbNS0_19identity_decomposerEEEEE10hipError_tT0_T1_T2_jT3_P12ihipStream_tbPNSt15iterator_traitsISK_E10value_typeEPNSQ_ISL_E10value_typeEPSM_NS1_7vsmem_tEENKUlT_SK_SL_SM_E_clISD_PbSF_PiEESJ_SZ_SK_SL_SM_EUlSZ_E_NS1_11comp_targetILNS1_3genE3ELNS1_11target_archE908ELNS1_3gpuE7ELNS1_3repE0EEENS1_48merge_mergepath_partition_config_static_selectorELNS0_4arch9wavefront6targetE1EEEvSL_.num_agpr, 0
	.set _ZN7rocprim17ROCPRIM_400000_NS6detail17trampoline_kernelINS0_14default_configENS1_38merge_sort_block_merge_config_selectorIbiEEZZNS1_27merge_sort_block_merge_implIS3_N6thrust23THRUST_200600_302600_NS6detail15normal_iteratorINS8_10device_ptrIbEEEENSA_INSB_IiEEEEjNS1_19radix_merge_compareILb1ELb0EbNS0_19identity_decomposerEEEEE10hipError_tT0_T1_T2_jT3_P12ihipStream_tbPNSt15iterator_traitsISK_E10value_typeEPNSQ_ISL_E10value_typeEPSM_NS1_7vsmem_tEENKUlT_SK_SL_SM_E_clISD_PbSF_PiEESJ_SZ_SK_SL_SM_EUlSZ_E_NS1_11comp_targetILNS1_3genE3ELNS1_11target_archE908ELNS1_3gpuE7ELNS1_3repE0EEENS1_48merge_mergepath_partition_config_static_selectorELNS0_4arch9wavefront6targetE1EEEvSL_.numbered_sgpr, 0
	.set _ZN7rocprim17ROCPRIM_400000_NS6detail17trampoline_kernelINS0_14default_configENS1_38merge_sort_block_merge_config_selectorIbiEEZZNS1_27merge_sort_block_merge_implIS3_N6thrust23THRUST_200600_302600_NS6detail15normal_iteratorINS8_10device_ptrIbEEEENSA_INSB_IiEEEEjNS1_19radix_merge_compareILb1ELb0EbNS0_19identity_decomposerEEEEE10hipError_tT0_T1_T2_jT3_P12ihipStream_tbPNSt15iterator_traitsISK_E10value_typeEPNSQ_ISL_E10value_typeEPSM_NS1_7vsmem_tEENKUlT_SK_SL_SM_E_clISD_PbSF_PiEESJ_SZ_SK_SL_SM_EUlSZ_E_NS1_11comp_targetILNS1_3genE3ELNS1_11target_archE908ELNS1_3gpuE7ELNS1_3repE0EEENS1_48merge_mergepath_partition_config_static_selectorELNS0_4arch9wavefront6targetE1EEEvSL_.num_named_barrier, 0
	.set _ZN7rocprim17ROCPRIM_400000_NS6detail17trampoline_kernelINS0_14default_configENS1_38merge_sort_block_merge_config_selectorIbiEEZZNS1_27merge_sort_block_merge_implIS3_N6thrust23THRUST_200600_302600_NS6detail15normal_iteratorINS8_10device_ptrIbEEEENSA_INSB_IiEEEEjNS1_19radix_merge_compareILb1ELb0EbNS0_19identity_decomposerEEEEE10hipError_tT0_T1_T2_jT3_P12ihipStream_tbPNSt15iterator_traitsISK_E10value_typeEPNSQ_ISL_E10value_typeEPSM_NS1_7vsmem_tEENKUlT_SK_SL_SM_E_clISD_PbSF_PiEESJ_SZ_SK_SL_SM_EUlSZ_E_NS1_11comp_targetILNS1_3genE3ELNS1_11target_archE908ELNS1_3gpuE7ELNS1_3repE0EEENS1_48merge_mergepath_partition_config_static_selectorELNS0_4arch9wavefront6targetE1EEEvSL_.private_seg_size, 0
	.set _ZN7rocprim17ROCPRIM_400000_NS6detail17trampoline_kernelINS0_14default_configENS1_38merge_sort_block_merge_config_selectorIbiEEZZNS1_27merge_sort_block_merge_implIS3_N6thrust23THRUST_200600_302600_NS6detail15normal_iteratorINS8_10device_ptrIbEEEENSA_INSB_IiEEEEjNS1_19radix_merge_compareILb1ELb0EbNS0_19identity_decomposerEEEEE10hipError_tT0_T1_T2_jT3_P12ihipStream_tbPNSt15iterator_traitsISK_E10value_typeEPNSQ_ISL_E10value_typeEPSM_NS1_7vsmem_tEENKUlT_SK_SL_SM_E_clISD_PbSF_PiEESJ_SZ_SK_SL_SM_EUlSZ_E_NS1_11comp_targetILNS1_3genE3ELNS1_11target_archE908ELNS1_3gpuE7ELNS1_3repE0EEENS1_48merge_mergepath_partition_config_static_selectorELNS0_4arch9wavefront6targetE1EEEvSL_.uses_vcc, 0
	.set _ZN7rocprim17ROCPRIM_400000_NS6detail17trampoline_kernelINS0_14default_configENS1_38merge_sort_block_merge_config_selectorIbiEEZZNS1_27merge_sort_block_merge_implIS3_N6thrust23THRUST_200600_302600_NS6detail15normal_iteratorINS8_10device_ptrIbEEEENSA_INSB_IiEEEEjNS1_19radix_merge_compareILb1ELb0EbNS0_19identity_decomposerEEEEE10hipError_tT0_T1_T2_jT3_P12ihipStream_tbPNSt15iterator_traitsISK_E10value_typeEPNSQ_ISL_E10value_typeEPSM_NS1_7vsmem_tEENKUlT_SK_SL_SM_E_clISD_PbSF_PiEESJ_SZ_SK_SL_SM_EUlSZ_E_NS1_11comp_targetILNS1_3genE3ELNS1_11target_archE908ELNS1_3gpuE7ELNS1_3repE0EEENS1_48merge_mergepath_partition_config_static_selectorELNS0_4arch9wavefront6targetE1EEEvSL_.uses_flat_scratch, 0
	.set _ZN7rocprim17ROCPRIM_400000_NS6detail17trampoline_kernelINS0_14default_configENS1_38merge_sort_block_merge_config_selectorIbiEEZZNS1_27merge_sort_block_merge_implIS3_N6thrust23THRUST_200600_302600_NS6detail15normal_iteratorINS8_10device_ptrIbEEEENSA_INSB_IiEEEEjNS1_19radix_merge_compareILb1ELb0EbNS0_19identity_decomposerEEEEE10hipError_tT0_T1_T2_jT3_P12ihipStream_tbPNSt15iterator_traitsISK_E10value_typeEPNSQ_ISL_E10value_typeEPSM_NS1_7vsmem_tEENKUlT_SK_SL_SM_E_clISD_PbSF_PiEESJ_SZ_SK_SL_SM_EUlSZ_E_NS1_11comp_targetILNS1_3genE3ELNS1_11target_archE908ELNS1_3gpuE7ELNS1_3repE0EEENS1_48merge_mergepath_partition_config_static_selectorELNS0_4arch9wavefront6targetE1EEEvSL_.has_dyn_sized_stack, 0
	.set _ZN7rocprim17ROCPRIM_400000_NS6detail17trampoline_kernelINS0_14default_configENS1_38merge_sort_block_merge_config_selectorIbiEEZZNS1_27merge_sort_block_merge_implIS3_N6thrust23THRUST_200600_302600_NS6detail15normal_iteratorINS8_10device_ptrIbEEEENSA_INSB_IiEEEEjNS1_19radix_merge_compareILb1ELb0EbNS0_19identity_decomposerEEEEE10hipError_tT0_T1_T2_jT3_P12ihipStream_tbPNSt15iterator_traitsISK_E10value_typeEPNSQ_ISL_E10value_typeEPSM_NS1_7vsmem_tEENKUlT_SK_SL_SM_E_clISD_PbSF_PiEESJ_SZ_SK_SL_SM_EUlSZ_E_NS1_11comp_targetILNS1_3genE3ELNS1_11target_archE908ELNS1_3gpuE7ELNS1_3repE0EEENS1_48merge_mergepath_partition_config_static_selectorELNS0_4arch9wavefront6targetE1EEEvSL_.has_recursion, 0
	.set _ZN7rocprim17ROCPRIM_400000_NS6detail17trampoline_kernelINS0_14default_configENS1_38merge_sort_block_merge_config_selectorIbiEEZZNS1_27merge_sort_block_merge_implIS3_N6thrust23THRUST_200600_302600_NS6detail15normal_iteratorINS8_10device_ptrIbEEEENSA_INSB_IiEEEEjNS1_19radix_merge_compareILb1ELb0EbNS0_19identity_decomposerEEEEE10hipError_tT0_T1_T2_jT3_P12ihipStream_tbPNSt15iterator_traitsISK_E10value_typeEPNSQ_ISL_E10value_typeEPSM_NS1_7vsmem_tEENKUlT_SK_SL_SM_E_clISD_PbSF_PiEESJ_SZ_SK_SL_SM_EUlSZ_E_NS1_11comp_targetILNS1_3genE3ELNS1_11target_archE908ELNS1_3gpuE7ELNS1_3repE0EEENS1_48merge_mergepath_partition_config_static_selectorELNS0_4arch9wavefront6targetE1EEEvSL_.has_indirect_call, 0
	.section	.AMDGPU.csdata,"",@progbits
; Kernel info:
; codeLenInByte = 0
; TotalNumSgprs: 6
; NumVgprs: 0
; NumAgprs: 0
; TotalNumVgprs: 0
; ScratchSize: 0
; MemoryBound: 0
; FloatMode: 240
; IeeeMode: 1
; LDSByteSize: 0 bytes/workgroup (compile time only)
; SGPRBlocks: 0
; VGPRBlocks: 0
; NumSGPRsForWavesPerEU: 6
; NumVGPRsForWavesPerEU: 1
; AccumOffset: 4
; Occupancy: 8
; WaveLimiterHint : 0
; COMPUTE_PGM_RSRC2:SCRATCH_EN: 0
; COMPUTE_PGM_RSRC2:USER_SGPR: 2
; COMPUTE_PGM_RSRC2:TRAP_HANDLER: 0
; COMPUTE_PGM_RSRC2:TGID_X_EN: 1
; COMPUTE_PGM_RSRC2:TGID_Y_EN: 0
; COMPUTE_PGM_RSRC2:TGID_Z_EN: 0
; COMPUTE_PGM_RSRC2:TIDIG_COMP_CNT: 0
; COMPUTE_PGM_RSRC3_GFX90A:ACCUM_OFFSET: 0
; COMPUTE_PGM_RSRC3_GFX90A:TG_SPLIT: 0
	.section	.text._ZN7rocprim17ROCPRIM_400000_NS6detail17trampoline_kernelINS0_14default_configENS1_38merge_sort_block_merge_config_selectorIbiEEZZNS1_27merge_sort_block_merge_implIS3_N6thrust23THRUST_200600_302600_NS6detail15normal_iteratorINS8_10device_ptrIbEEEENSA_INSB_IiEEEEjNS1_19radix_merge_compareILb1ELb0EbNS0_19identity_decomposerEEEEE10hipError_tT0_T1_T2_jT3_P12ihipStream_tbPNSt15iterator_traitsISK_E10value_typeEPNSQ_ISL_E10value_typeEPSM_NS1_7vsmem_tEENKUlT_SK_SL_SM_E_clISD_PbSF_PiEESJ_SZ_SK_SL_SM_EUlSZ_E_NS1_11comp_targetILNS1_3genE2ELNS1_11target_archE906ELNS1_3gpuE6ELNS1_3repE0EEENS1_48merge_mergepath_partition_config_static_selectorELNS0_4arch9wavefront6targetE1EEEvSL_,"axG",@progbits,_ZN7rocprim17ROCPRIM_400000_NS6detail17trampoline_kernelINS0_14default_configENS1_38merge_sort_block_merge_config_selectorIbiEEZZNS1_27merge_sort_block_merge_implIS3_N6thrust23THRUST_200600_302600_NS6detail15normal_iteratorINS8_10device_ptrIbEEEENSA_INSB_IiEEEEjNS1_19radix_merge_compareILb1ELb0EbNS0_19identity_decomposerEEEEE10hipError_tT0_T1_T2_jT3_P12ihipStream_tbPNSt15iterator_traitsISK_E10value_typeEPNSQ_ISL_E10value_typeEPSM_NS1_7vsmem_tEENKUlT_SK_SL_SM_E_clISD_PbSF_PiEESJ_SZ_SK_SL_SM_EUlSZ_E_NS1_11comp_targetILNS1_3genE2ELNS1_11target_archE906ELNS1_3gpuE6ELNS1_3repE0EEENS1_48merge_mergepath_partition_config_static_selectorELNS0_4arch9wavefront6targetE1EEEvSL_,comdat
	.protected	_ZN7rocprim17ROCPRIM_400000_NS6detail17trampoline_kernelINS0_14default_configENS1_38merge_sort_block_merge_config_selectorIbiEEZZNS1_27merge_sort_block_merge_implIS3_N6thrust23THRUST_200600_302600_NS6detail15normal_iteratorINS8_10device_ptrIbEEEENSA_INSB_IiEEEEjNS1_19radix_merge_compareILb1ELb0EbNS0_19identity_decomposerEEEEE10hipError_tT0_T1_T2_jT3_P12ihipStream_tbPNSt15iterator_traitsISK_E10value_typeEPNSQ_ISL_E10value_typeEPSM_NS1_7vsmem_tEENKUlT_SK_SL_SM_E_clISD_PbSF_PiEESJ_SZ_SK_SL_SM_EUlSZ_E_NS1_11comp_targetILNS1_3genE2ELNS1_11target_archE906ELNS1_3gpuE6ELNS1_3repE0EEENS1_48merge_mergepath_partition_config_static_selectorELNS0_4arch9wavefront6targetE1EEEvSL_ ; -- Begin function _ZN7rocprim17ROCPRIM_400000_NS6detail17trampoline_kernelINS0_14default_configENS1_38merge_sort_block_merge_config_selectorIbiEEZZNS1_27merge_sort_block_merge_implIS3_N6thrust23THRUST_200600_302600_NS6detail15normal_iteratorINS8_10device_ptrIbEEEENSA_INSB_IiEEEEjNS1_19radix_merge_compareILb1ELb0EbNS0_19identity_decomposerEEEEE10hipError_tT0_T1_T2_jT3_P12ihipStream_tbPNSt15iterator_traitsISK_E10value_typeEPNSQ_ISL_E10value_typeEPSM_NS1_7vsmem_tEENKUlT_SK_SL_SM_E_clISD_PbSF_PiEESJ_SZ_SK_SL_SM_EUlSZ_E_NS1_11comp_targetILNS1_3genE2ELNS1_11target_archE906ELNS1_3gpuE6ELNS1_3repE0EEENS1_48merge_mergepath_partition_config_static_selectorELNS0_4arch9wavefront6targetE1EEEvSL_
	.globl	_ZN7rocprim17ROCPRIM_400000_NS6detail17trampoline_kernelINS0_14default_configENS1_38merge_sort_block_merge_config_selectorIbiEEZZNS1_27merge_sort_block_merge_implIS3_N6thrust23THRUST_200600_302600_NS6detail15normal_iteratorINS8_10device_ptrIbEEEENSA_INSB_IiEEEEjNS1_19radix_merge_compareILb1ELb0EbNS0_19identity_decomposerEEEEE10hipError_tT0_T1_T2_jT3_P12ihipStream_tbPNSt15iterator_traitsISK_E10value_typeEPNSQ_ISL_E10value_typeEPSM_NS1_7vsmem_tEENKUlT_SK_SL_SM_E_clISD_PbSF_PiEESJ_SZ_SK_SL_SM_EUlSZ_E_NS1_11comp_targetILNS1_3genE2ELNS1_11target_archE906ELNS1_3gpuE6ELNS1_3repE0EEENS1_48merge_mergepath_partition_config_static_selectorELNS0_4arch9wavefront6targetE1EEEvSL_
	.p2align	8
	.type	_ZN7rocprim17ROCPRIM_400000_NS6detail17trampoline_kernelINS0_14default_configENS1_38merge_sort_block_merge_config_selectorIbiEEZZNS1_27merge_sort_block_merge_implIS3_N6thrust23THRUST_200600_302600_NS6detail15normal_iteratorINS8_10device_ptrIbEEEENSA_INSB_IiEEEEjNS1_19radix_merge_compareILb1ELb0EbNS0_19identity_decomposerEEEEE10hipError_tT0_T1_T2_jT3_P12ihipStream_tbPNSt15iterator_traitsISK_E10value_typeEPNSQ_ISL_E10value_typeEPSM_NS1_7vsmem_tEENKUlT_SK_SL_SM_E_clISD_PbSF_PiEESJ_SZ_SK_SL_SM_EUlSZ_E_NS1_11comp_targetILNS1_3genE2ELNS1_11target_archE906ELNS1_3gpuE6ELNS1_3repE0EEENS1_48merge_mergepath_partition_config_static_selectorELNS0_4arch9wavefront6targetE1EEEvSL_,@function
_ZN7rocprim17ROCPRIM_400000_NS6detail17trampoline_kernelINS0_14default_configENS1_38merge_sort_block_merge_config_selectorIbiEEZZNS1_27merge_sort_block_merge_implIS3_N6thrust23THRUST_200600_302600_NS6detail15normal_iteratorINS8_10device_ptrIbEEEENSA_INSB_IiEEEEjNS1_19radix_merge_compareILb1ELb0EbNS0_19identity_decomposerEEEEE10hipError_tT0_T1_T2_jT3_P12ihipStream_tbPNSt15iterator_traitsISK_E10value_typeEPNSQ_ISL_E10value_typeEPSM_NS1_7vsmem_tEENKUlT_SK_SL_SM_E_clISD_PbSF_PiEESJ_SZ_SK_SL_SM_EUlSZ_E_NS1_11comp_targetILNS1_3genE2ELNS1_11target_archE906ELNS1_3gpuE6ELNS1_3repE0EEENS1_48merge_mergepath_partition_config_static_selectorELNS0_4arch9wavefront6targetE1EEEvSL_: ; @_ZN7rocprim17ROCPRIM_400000_NS6detail17trampoline_kernelINS0_14default_configENS1_38merge_sort_block_merge_config_selectorIbiEEZZNS1_27merge_sort_block_merge_implIS3_N6thrust23THRUST_200600_302600_NS6detail15normal_iteratorINS8_10device_ptrIbEEEENSA_INSB_IiEEEEjNS1_19radix_merge_compareILb1ELb0EbNS0_19identity_decomposerEEEEE10hipError_tT0_T1_T2_jT3_P12ihipStream_tbPNSt15iterator_traitsISK_E10value_typeEPNSQ_ISL_E10value_typeEPSM_NS1_7vsmem_tEENKUlT_SK_SL_SM_E_clISD_PbSF_PiEESJ_SZ_SK_SL_SM_EUlSZ_E_NS1_11comp_targetILNS1_3genE2ELNS1_11target_archE906ELNS1_3gpuE6ELNS1_3repE0EEENS1_48merge_mergepath_partition_config_static_selectorELNS0_4arch9wavefront6targetE1EEEvSL_
; %bb.0:
	.section	.rodata,"a",@progbits
	.p2align	6, 0x0
	.amdhsa_kernel _ZN7rocprim17ROCPRIM_400000_NS6detail17trampoline_kernelINS0_14default_configENS1_38merge_sort_block_merge_config_selectorIbiEEZZNS1_27merge_sort_block_merge_implIS3_N6thrust23THRUST_200600_302600_NS6detail15normal_iteratorINS8_10device_ptrIbEEEENSA_INSB_IiEEEEjNS1_19radix_merge_compareILb1ELb0EbNS0_19identity_decomposerEEEEE10hipError_tT0_T1_T2_jT3_P12ihipStream_tbPNSt15iterator_traitsISK_E10value_typeEPNSQ_ISL_E10value_typeEPSM_NS1_7vsmem_tEENKUlT_SK_SL_SM_E_clISD_PbSF_PiEESJ_SZ_SK_SL_SM_EUlSZ_E_NS1_11comp_targetILNS1_3genE2ELNS1_11target_archE906ELNS1_3gpuE6ELNS1_3repE0EEENS1_48merge_mergepath_partition_config_static_selectorELNS0_4arch9wavefront6targetE1EEEvSL_
		.amdhsa_group_segment_fixed_size 0
		.amdhsa_private_segment_fixed_size 0
		.amdhsa_kernarg_size 40
		.amdhsa_user_sgpr_count 2
		.amdhsa_user_sgpr_dispatch_ptr 0
		.amdhsa_user_sgpr_queue_ptr 0
		.amdhsa_user_sgpr_kernarg_segment_ptr 1
		.amdhsa_user_sgpr_dispatch_id 0
		.amdhsa_user_sgpr_kernarg_preload_length 0
		.amdhsa_user_sgpr_kernarg_preload_offset 0
		.amdhsa_user_sgpr_private_segment_size 0
		.amdhsa_uses_dynamic_stack 0
		.amdhsa_enable_private_segment 0
		.amdhsa_system_sgpr_workgroup_id_x 1
		.amdhsa_system_sgpr_workgroup_id_y 0
		.amdhsa_system_sgpr_workgroup_id_z 0
		.amdhsa_system_sgpr_workgroup_info 0
		.amdhsa_system_vgpr_workitem_id 0
		.amdhsa_next_free_vgpr 1
		.amdhsa_next_free_sgpr 0
		.amdhsa_accum_offset 4
		.amdhsa_reserve_vcc 0
		.amdhsa_float_round_mode_32 0
		.amdhsa_float_round_mode_16_64 0
		.amdhsa_float_denorm_mode_32 3
		.amdhsa_float_denorm_mode_16_64 3
		.amdhsa_dx10_clamp 1
		.amdhsa_ieee_mode 1
		.amdhsa_fp16_overflow 0
		.amdhsa_tg_split 0
		.amdhsa_exception_fp_ieee_invalid_op 0
		.amdhsa_exception_fp_denorm_src 0
		.amdhsa_exception_fp_ieee_div_zero 0
		.amdhsa_exception_fp_ieee_overflow 0
		.amdhsa_exception_fp_ieee_underflow 0
		.amdhsa_exception_fp_ieee_inexact 0
		.amdhsa_exception_int_div_zero 0
	.end_amdhsa_kernel
	.section	.text._ZN7rocprim17ROCPRIM_400000_NS6detail17trampoline_kernelINS0_14default_configENS1_38merge_sort_block_merge_config_selectorIbiEEZZNS1_27merge_sort_block_merge_implIS3_N6thrust23THRUST_200600_302600_NS6detail15normal_iteratorINS8_10device_ptrIbEEEENSA_INSB_IiEEEEjNS1_19radix_merge_compareILb1ELb0EbNS0_19identity_decomposerEEEEE10hipError_tT0_T1_T2_jT3_P12ihipStream_tbPNSt15iterator_traitsISK_E10value_typeEPNSQ_ISL_E10value_typeEPSM_NS1_7vsmem_tEENKUlT_SK_SL_SM_E_clISD_PbSF_PiEESJ_SZ_SK_SL_SM_EUlSZ_E_NS1_11comp_targetILNS1_3genE2ELNS1_11target_archE906ELNS1_3gpuE6ELNS1_3repE0EEENS1_48merge_mergepath_partition_config_static_selectorELNS0_4arch9wavefront6targetE1EEEvSL_,"axG",@progbits,_ZN7rocprim17ROCPRIM_400000_NS6detail17trampoline_kernelINS0_14default_configENS1_38merge_sort_block_merge_config_selectorIbiEEZZNS1_27merge_sort_block_merge_implIS3_N6thrust23THRUST_200600_302600_NS6detail15normal_iteratorINS8_10device_ptrIbEEEENSA_INSB_IiEEEEjNS1_19radix_merge_compareILb1ELb0EbNS0_19identity_decomposerEEEEE10hipError_tT0_T1_T2_jT3_P12ihipStream_tbPNSt15iterator_traitsISK_E10value_typeEPNSQ_ISL_E10value_typeEPSM_NS1_7vsmem_tEENKUlT_SK_SL_SM_E_clISD_PbSF_PiEESJ_SZ_SK_SL_SM_EUlSZ_E_NS1_11comp_targetILNS1_3genE2ELNS1_11target_archE906ELNS1_3gpuE6ELNS1_3repE0EEENS1_48merge_mergepath_partition_config_static_selectorELNS0_4arch9wavefront6targetE1EEEvSL_,comdat
.Lfunc_end2133:
	.size	_ZN7rocprim17ROCPRIM_400000_NS6detail17trampoline_kernelINS0_14default_configENS1_38merge_sort_block_merge_config_selectorIbiEEZZNS1_27merge_sort_block_merge_implIS3_N6thrust23THRUST_200600_302600_NS6detail15normal_iteratorINS8_10device_ptrIbEEEENSA_INSB_IiEEEEjNS1_19radix_merge_compareILb1ELb0EbNS0_19identity_decomposerEEEEE10hipError_tT0_T1_T2_jT3_P12ihipStream_tbPNSt15iterator_traitsISK_E10value_typeEPNSQ_ISL_E10value_typeEPSM_NS1_7vsmem_tEENKUlT_SK_SL_SM_E_clISD_PbSF_PiEESJ_SZ_SK_SL_SM_EUlSZ_E_NS1_11comp_targetILNS1_3genE2ELNS1_11target_archE906ELNS1_3gpuE6ELNS1_3repE0EEENS1_48merge_mergepath_partition_config_static_selectorELNS0_4arch9wavefront6targetE1EEEvSL_, .Lfunc_end2133-_ZN7rocprim17ROCPRIM_400000_NS6detail17trampoline_kernelINS0_14default_configENS1_38merge_sort_block_merge_config_selectorIbiEEZZNS1_27merge_sort_block_merge_implIS3_N6thrust23THRUST_200600_302600_NS6detail15normal_iteratorINS8_10device_ptrIbEEEENSA_INSB_IiEEEEjNS1_19radix_merge_compareILb1ELb0EbNS0_19identity_decomposerEEEEE10hipError_tT0_T1_T2_jT3_P12ihipStream_tbPNSt15iterator_traitsISK_E10value_typeEPNSQ_ISL_E10value_typeEPSM_NS1_7vsmem_tEENKUlT_SK_SL_SM_E_clISD_PbSF_PiEESJ_SZ_SK_SL_SM_EUlSZ_E_NS1_11comp_targetILNS1_3genE2ELNS1_11target_archE906ELNS1_3gpuE6ELNS1_3repE0EEENS1_48merge_mergepath_partition_config_static_selectorELNS0_4arch9wavefront6targetE1EEEvSL_
                                        ; -- End function
	.set _ZN7rocprim17ROCPRIM_400000_NS6detail17trampoline_kernelINS0_14default_configENS1_38merge_sort_block_merge_config_selectorIbiEEZZNS1_27merge_sort_block_merge_implIS3_N6thrust23THRUST_200600_302600_NS6detail15normal_iteratorINS8_10device_ptrIbEEEENSA_INSB_IiEEEEjNS1_19radix_merge_compareILb1ELb0EbNS0_19identity_decomposerEEEEE10hipError_tT0_T1_T2_jT3_P12ihipStream_tbPNSt15iterator_traitsISK_E10value_typeEPNSQ_ISL_E10value_typeEPSM_NS1_7vsmem_tEENKUlT_SK_SL_SM_E_clISD_PbSF_PiEESJ_SZ_SK_SL_SM_EUlSZ_E_NS1_11comp_targetILNS1_3genE2ELNS1_11target_archE906ELNS1_3gpuE6ELNS1_3repE0EEENS1_48merge_mergepath_partition_config_static_selectorELNS0_4arch9wavefront6targetE1EEEvSL_.num_vgpr, 0
	.set _ZN7rocprim17ROCPRIM_400000_NS6detail17trampoline_kernelINS0_14default_configENS1_38merge_sort_block_merge_config_selectorIbiEEZZNS1_27merge_sort_block_merge_implIS3_N6thrust23THRUST_200600_302600_NS6detail15normal_iteratorINS8_10device_ptrIbEEEENSA_INSB_IiEEEEjNS1_19radix_merge_compareILb1ELb0EbNS0_19identity_decomposerEEEEE10hipError_tT0_T1_T2_jT3_P12ihipStream_tbPNSt15iterator_traitsISK_E10value_typeEPNSQ_ISL_E10value_typeEPSM_NS1_7vsmem_tEENKUlT_SK_SL_SM_E_clISD_PbSF_PiEESJ_SZ_SK_SL_SM_EUlSZ_E_NS1_11comp_targetILNS1_3genE2ELNS1_11target_archE906ELNS1_3gpuE6ELNS1_3repE0EEENS1_48merge_mergepath_partition_config_static_selectorELNS0_4arch9wavefront6targetE1EEEvSL_.num_agpr, 0
	.set _ZN7rocprim17ROCPRIM_400000_NS6detail17trampoline_kernelINS0_14default_configENS1_38merge_sort_block_merge_config_selectorIbiEEZZNS1_27merge_sort_block_merge_implIS3_N6thrust23THRUST_200600_302600_NS6detail15normal_iteratorINS8_10device_ptrIbEEEENSA_INSB_IiEEEEjNS1_19radix_merge_compareILb1ELb0EbNS0_19identity_decomposerEEEEE10hipError_tT0_T1_T2_jT3_P12ihipStream_tbPNSt15iterator_traitsISK_E10value_typeEPNSQ_ISL_E10value_typeEPSM_NS1_7vsmem_tEENKUlT_SK_SL_SM_E_clISD_PbSF_PiEESJ_SZ_SK_SL_SM_EUlSZ_E_NS1_11comp_targetILNS1_3genE2ELNS1_11target_archE906ELNS1_3gpuE6ELNS1_3repE0EEENS1_48merge_mergepath_partition_config_static_selectorELNS0_4arch9wavefront6targetE1EEEvSL_.numbered_sgpr, 0
	.set _ZN7rocprim17ROCPRIM_400000_NS6detail17trampoline_kernelINS0_14default_configENS1_38merge_sort_block_merge_config_selectorIbiEEZZNS1_27merge_sort_block_merge_implIS3_N6thrust23THRUST_200600_302600_NS6detail15normal_iteratorINS8_10device_ptrIbEEEENSA_INSB_IiEEEEjNS1_19radix_merge_compareILb1ELb0EbNS0_19identity_decomposerEEEEE10hipError_tT0_T1_T2_jT3_P12ihipStream_tbPNSt15iterator_traitsISK_E10value_typeEPNSQ_ISL_E10value_typeEPSM_NS1_7vsmem_tEENKUlT_SK_SL_SM_E_clISD_PbSF_PiEESJ_SZ_SK_SL_SM_EUlSZ_E_NS1_11comp_targetILNS1_3genE2ELNS1_11target_archE906ELNS1_3gpuE6ELNS1_3repE0EEENS1_48merge_mergepath_partition_config_static_selectorELNS0_4arch9wavefront6targetE1EEEvSL_.num_named_barrier, 0
	.set _ZN7rocprim17ROCPRIM_400000_NS6detail17trampoline_kernelINS0_14default_configENS1_38merge_sort_block_merge_config_selectorIbiEEZZNS1_27merge_sort_block_merge_implIS3_N6thrust23THRUST_200600_302600_NS6detail15normal_iteratorINS8_10device_ptrIbEEEENSA_INSB_IiEEEEjNS1_19radix_merge_compareILb1ELb0EbNS0_19identity_decomposerEEEEE10hipError_tT0_T1_T2_jT3_P12ihipStream_tbPNSt15iterator_traitsISK_E10value_typeEPNSQ_ISL_E10value_typeEPSM_NS1_7vsmem_tEENKUlT_SK_SL_SM_E_clISD_PbSF_PiEESJ_SZ_SK_SL_SM_EUlSZ_E_NS1_11comp_targetILNS1_3genE2ELNS1_11target_archE906ELNS1_3gpuE6ELNS1_3repE0EEENS1_48merge_mergepath_partition_config_static_selectorELNS0_4arch9wavefront6targetE1EEEvSL_.private_seg_size, 0
	.set _ZN7rocprim17ROCPRIM_400000_NS6detail17trampoline_kernelINS0_14default_configENS1_38merge_sort_block_merge_config_selectorIbiEEZZNS1_27merge_sort_block_merge_implIS3_N6thrust23THRUST_200600_302600_NS6detail15normal_iteratorINS8_10device_ptrIbEEEENSA_INSB_IiEEEEjNS1_19radix_merge_compareILb1ELb0EbNS0_19identity_decomposerEEEEE10hipError_tT0_T1_T2_jT3_P12ihipStream_tbPNSt15iterator_traitsISK_E10value_typeEPNSQ_ISL_E10value_typeEPSM_NS1_7vsmem_tEENKUlT_SK_SL_SM_E_clISD_PbSF_PiEESJ_SZ_SK_SL_SM_EUlSZ_E_NS1_11comp_targetILNS1_3genE2ELNS1_11target_archE906ELNS1_3gpuE6ELNS1_3repE0EEENS1_48merge_mergepath_partition_config_static_selectorELNS0_4arch9wavefront6targetE1EEEvSL_.uses_vcc, 0
	.set _ZN7rocprim17ROCPRIM_400000_NS6detail17trampoline_kernelINS0_14default_configENS1_38merge_sort_block_merge_config_selectorIbiEEZZNS1_27merge_sort_block_merge_implIS3_N6thrust23THRUST_200600_302600_NS6detail15normal_iteratorINS8_10device_ptrIbEEEENSA_INSB_IiEEEEjNS1_19radix_merge_compareILb1ELb0EbNS0_19identity_decomposerEEEEE10hipError_tT0_T1_T2_jT3_P12ihipStream_tbPNSt15iterator_traitsISK_E10value_typeEPNSQ_ISL_E10value_typeEPSM_NS1_7vsmem_tEENKUlT_SK_SL_SM_E_clISD_PbSF_PiEESJ_SZ_SK_SL_SM_EUlSZ_E_NS1_11comp_targetILNS1_3genE2ELNS1_11target_archE906ELNS1_3gpuE6ELNS1_3repE0EEENS1_48merge_mergepath_partition_config_static_selectorELNS0_4arch9wavefront6targetE1EEEvSL_.uses_flat_scratch, 0
	.set _ZN7rocprim17ROCPRIM_400000_NS6detail17trampoline_kernelINS0_14default_configENS1_38merge_sort_block_merge_config_selectorIbiEEZZNS1_27merge_sort_block_merge_implIS3_N6thrust23THRUST_200600_302600_NS6detail15normal_iteratorINS8_10device_ptrIbEEEENSA_INSB_IiEEEEjNS1_19radix_merge_compareILb1ELb0EbNS0_19identity_decomposerEEEEE10hipError_tT0_T1_T2_jT3_P12ihipStream_tbPNSt15iterator_traitsISK_E10value_typeEPNSQ_ISL_E10value_typeEPSM_NS1_7vsmem_tEENKUlT_SK_SL_SM_E_clISD_PbSF_PiEESJ_SZ_SK_SL_SM_EUlSZ_E_NS1_11comp_targetILNS1_3genE2ELNS1_11target_archE906ELNS1_3gpuE6ELNS1_3repE0EEENS1_48merge_mergepath_partition_config_static_selectorELNS0_4arch9wavefront6targetE1EEEvSL_.has_dyn_sized_stack, 0
	.set _ZN7rocprim17ROCPRIM_400000_NS6detail17trampoline_kernelINS0_14default_configENS1_38merge_sort_block_merge_config_selectorIbiEEZZNS1_27merge_sort_block_merge_implIS3_N6thrust23THRUST_200600_302600_NS6detail15normal_iteratorINS8_10device_ptrIbEEEENSA_INSB_IiEEEEjNS1_19radix_merge_compareILb1ELb0EbNS0_19identity_decomposerEEEEE10hipError_tT0_T1_T2_jT3_P12ihipStream_tbPNSt15iterator_traitsISK_E10value_typeEPNSQ_ISL_E10value_typeEPSM_NS1_7vsmem_tEENKUlT_SK_SL_SM_E_clISD_PbSF_PiEESJ_SZ_SK_SL_SM_EUlSZ_E_NS1_11comp_targetILNS1_3genE2ELNS1_11target_archE906ELNS1_3gpuE6ELNS1_3repE0EEENS1_48merge_mergepath_partition_config_static_selectorELNS0_4arch9wavefront6targetE1EEEvSL_.has_recursion, 0
	.set _ZN7rocprim17ROCPRIM_400000_NS6detail17trampoline_kernelINS0_14default_configENS1_38merge_sort_block_merge_config_selectorIbiEEZZNS1_27merge_sort_block_merge_implIS3_N6thrust23THRUST_200600_302600_NS6detail15normal_iteratorINS8_10device_ptrIbEEEENSA_INSB_IiEEEEjNS1_19radix_merge_compareILb1ELb0EbNS0_19identity_decomposerEEEEE10hipError_tT0_T1_T2_jT3_P12ihipStream_tbPNSt15iterator_traitsISK_E10value_typeEPNSQ_ISL_E10value_typeEPSM_NS1_7vsmem_tEENKUlT_SK_SL_SM_E_clISD_PbSF_PiEESJ_SZ_SK_SL_SM_EUlSZ_E_NS1_11comp_targetILNS1_3genE2ELNS1_11target_archE906ELNS1_3gpuE6ELNS1_3repE0EEENS1_48merge_mergepath_partition_config_static_selectorELNS0_4arch9wavefront6targetE1EEEvSL_.has_indirect_call, 0
	.section	.AMDGPU.csdata,"",@progbits
; Kernel info:
; codeLenInByte = 0
; TotalNumSgprs: 6
; NumVgprs: 0
; NumAgprs: 0
; TotalNumVgprs: 0
; ScratchSize: 0
; MemoryBound: 0
; FloatMode: 240
; IeeeMode: 1
; LDSByteSize: 0 bytes/workgroup (compile time only)
; SGPRBlocks: 0
; VGPRBlocks: 0
; NumSGPRsForWavesPerEU: 6
; NumVGPRsForWavesPerEU: 1
; AccumOffset: 4
; Occupancy: 8
; WaveLimiterHint : 0
; COMPUTE_PGM_RSRC2:SCRATCH_EN: 0
; COMPUTE_PGM_RSRC2:USER_SGPR: 2
; COMPUTE_PGM_RSRC2:TRAP_HANDLER: 0
; COMPUTE_PGM_RSRC2:TGID_X_EN: 1
; COMPUTE_PGM_RSRC2:TGID_Y_EN: 0
; COMPUTE_PGM_RSRC2:TGID_Z_EN: 0
; COMPUTE_PGM_RSRC2:TIDIG_COMP_CNT: 0
; COMPUTE_PGM_RSRC3_GFX90A:ACCUM_OFFSET: 0
; COMPUTE_PGM_RSRC3_GFX90A:TG_SPLIT: 0
	.section	.text._ZN7rocprim17ROCPRIM_400000_NS6detail17trampoline_kernelINS0_14default_configENS1_38merge_sort_block_merge_config_selectorIbiEEZZNS1_27merge_sort_block_merge_implIS3_N6thrust23THRUST_200600_302600_NS6detail15normal_iteratorINS8_10device_ptrIbEEEENSA_INSB_IiEEEEjNS1_19radix_merge_compareILb1ELb0EbNS0_19identity_decomposerEEEEE10hipError_tT0_T1_T2_jT3_P12ihipStream_tbPNSt15iterator_traitsISK_E10value_typeEPNSQ_ISL_E10value_typeEPSM_NS1_7vsmem_tEENKUlT_SK_SL_SM_E_clISD_PbSF_PiEESJ_SZ_SK_SL_SM_EUlSZ_E_NS1_11comp_targetILNS1_3genE9ELNS1_11target_archE1100ELNS1_3gpuE3ELNS1_3repE0EEENS1_48merge_mergepath_partition_config_static_selectorELNS0_4arch9wavefront6targetE1EEEvSL_,"axG",@progbits,_ZN7rocprim17ROCPRIM_400000_NS6detail17trampoline_kernelINS0_14default_configENS1_38merge_sort_block_merge_config_selectorIbiEEZZNS1_27merge_sort_block_merge_implIS3_N6thrust23THRUST_200600_302600_NS6detail15normal_iteratorINS8_10device_ptrIbEEEENSA_INSB_IiEEEEjNS1_19radix_merge_compareILb1ELb0EbNS0_19identity_decomposerEEEEE10hipError_tT0_T1_T2_jT3_P12ihipStream_tbPNSt15iterator_traitsISK_E10value_typeEPNSQ_ISL_E10value_typeEPSM_NS1_7vsmem_tEENKUlT_SK_SL_SM_E_clISD_PbSF_PiEESJ_SZ_SK_SL_SM_EUlSZ_E_NS1_11comp_targetILNS1_3genE9ELNS1_11target_archE1100ELNS1_3gpuE3ELNS1_3repE0EEENS1_48merge_mergepath_partition_config_static_selectorELNS0_4arch9wavefront6targetE1EEEvSL_,comdat
	.protected	_ZN7rocprim17ROCPRIM_400000_NS6detail17trampoline_kernelINS0_14default_configENS1_38merge_sort_block_merge_config_selectorIbiEEZZNS1_27merge_sort_block_merge_implIS3_N6thrust23THRUST_200600_302600_NS6detail15normal_iteratorINS8_10device_ptrIbEEEENSA_INSB_IiEEEEjNS1_19radix_merge_compareILb1ELb0EbNS0_19identity_decomposerEEEEE10hipError_tT0_T1_T2_jT3_P12ihipStream_tbPNSt15iterator_traitsISK_E10value_typeEPNSQ_ISL_E10value_typeEPSM_NS1_7vsmem_tEENKUlT_SK_SL_SM_E_clISD_PbSF_PiEESJ_SZ_SK_SL_SM_EUlSZ_E_NS1_11comp_targetILNS1_3genE9ELNS1_11target_archE1100ELNS1_3gpuE3ELNS1_3repE0EEENS1_48merge_mergepath_partition_config_static_selectorELNS0_4arch9wavefront6targetE1EEEvSL_ ; -- Begin function _ZN7rocprim17ROCPRIM_400000_NS6detail17trampoline_kernelINS0_14default_configENS1_38merge_sort_block_merge_config_selectorIbiEEZZNS1_27merge_sort_block_merge_implIS3_N6thrust23THRUST_200600_302600_NS6detail15normal_iteratorINS8_10device_ptrIbEEEENSA_INSB_IiEEEEjNS1_19radix_merge_compareILb1ELb0EbNS0_19identity_decomposerEEEEE10hipError_tT0_T1_T2_jT3_P12ihipStream_tbPNSt15iterator_traitsISK_E10value_typeEPNSQ_ISL_E10value_typeEPSM_NS1_7vsmem_tEENKUlT_SK_SL_SM_E_clISD_PbSF_PiEESJ_SZ_SK_SL_SM_EUlSZ_E_NS1_11comp_targetILNS1_3genE9ELNS1_11target_archE1100ELNS1_3gpuE3ELNS1_3repE0EEENS1_48merge_mergepath_partition_config_static_selectorELNS0_4arch9wavefront6targetE1EEEvSL_
	.globl	_ZN7rocprim17ROCPRIM_400000_NS6detail17trampoline_kernelINS0_14default_configENS1_38merge_sort_block_merge_config_selectorIbiEEZZNS1_27merge_sort_block_merge_implIS3_N6thrust23THRUST_200600_302600_NS6detail15normal_iteratorINS8_10device_ptrIbEEEENSA_INSB_IiEEEEjNS1_19radix_merge_compareILb1ELb0EbNS0_19identity_decomposerEEEEE10hipError_tT0_T1_T2_jT3_P12ihipStream_tbPNSt15iterator_traitsISK_E10value_typeEPNSQ_ISL_E10value_typeEPSM_NS1_7vsmem_tEENKUlT_SK_SL_SM_E_clISD_PbSF_PiEESJ_SZ_SK_SL_SM_EUlSZ_E_NS1_11comp_targetILNS1_3genE9ELNS1_11target_archE1100ELNS1_3gpuE3ELNS1_3repE0EEENS1_48merge_mergepath_partition_config_static_selectorELNS0_4arch9wavefront6targetE1EEEvSL_
	.p2align	8
	.type	_ZN7rocprim17ROCPRIM_400000_NS6detail17trampoline_kernelINS0_14default_configENS1_38merge_sort_block_merge_config_selectorIbiEEZZNS1_27merge_sort_block_merge_implIS3_N6thrust23THRUST_200600_302600_NS6detail15normal_iteratorINS8_10device_ptrIbEEEENSA_INSB_IiEEEEjNS1_19radix_merge_compareILb1ELb0EbNS0_19identity_decomposerEEEEE10hipError_tT0_T1_T2_jT3_P12ihipStream_tbPNSt15iterator_traitsISK_E10value_typeEPNSQ_ISL_E10value_typeEPSM_NS1_7vsmem_tEENKUlT_SK_SL_SM_E_clISD_PbSF_PiEESJ_SZ_SK_SL_SM_EUlSZ_E_NS1_11comp_targetILNS1_3genE9ELNS1_11target_archE1100ELNS1_3gpuE3ELNS1_3repE0EEENS1_48merge_mergepath_partition_config_static_selectorELNS0_4arch9wavefront6targetE1EEEvSL_,@function
_ZN7rocprim17ROCPRIM_400000_NS6detail17trampoline_kernelINS0_14default_configENS1_38merge_sort_block_merge_config_selectorIbiEEZZNS1_27merge_sort_block_merge_implIS3_N6thrust23THRUST_200600_302600_NS6detail15normal_iteratorINS8_10device_ptrIbEEEENSA_INSB_IiEEEEjNS1_19radix_merge_compareILb1ELb0EbNS0_19identity_decomposerEEEEE10hipError_tT0_T1_T2_jT3_P12ihipStream_tbPNSt15iterator_traitsISK_E10value_typeEPNSQ_ISL_E10value_typeEPSM_NS1_7vsmem_tEENKUlT_SK_SL_SM_E_clISD_PbSF_PiEESJ_SZ_SK_SL_SM_EUlSZ_E_NS1_11comp_targetILNS1_3genE9ELNS1_11target_archE1100ELNS1_3gpuE3ELNS1_3repE0EEENS1_48merge_mergepath_partition_config_static_selectorELNS0_4arch9wavefront6targetE1EEEvSL_: ; @_ZN7rocprim17ROCPRIM_400000_NS6detail17trampoline_kernelINS0_14default_configENS1_38merge_sort_block_merge_config_selectorIbiEEZZNS1_27merge_sort_block_merge_implIS3_N6thrust23THRUST_200600_302600_NS6detail15normal_iteratorINS8_10device_ptrIbEEEENSA_INSB_IiEEEEjNS1_19radix_merge_compareILb1ELb0EbNS0_19identity_decomposerEEEEE10hipError_tT0_T1_T2_jT3_P12ihipStream_tbPNSt15iterator_traitsISK_E10value_typeEPNSQ_ISL_E10value_typeEPSM_NS1_7vsmem_tEENKUlT_SK_SL_SM_E_clISD_PbSF_PiEESJ_SZ_SK_SL_SM_EUlSZ_E_NS1_11comp_targetILNS1_3genE9ELNS1_11target_archE1100ELNS1_3gpuE3ELNS1_3repE0EEENS1_48merge_mergepath_partition_config_static_selectorELNS0_4arch9wavefront6targetE1EEEvSL_
; %bb.0:
	.section	.rodata,"a",@progbits
	.p2align	6, 0x0
	.amdhsa_kernel _ZN7rocprim17ROCPRIM_400000_NS6detail17trampoline_kernelINS0_14default_configENS1_38merge_sort_block_merge_config_selectorIbiEEZZNS1_27merge_sort_block_merge_implIS3_N6thrust23THRUST_200600_302600_NS6detail15normal_iteratorINS8_10device_ptrIbEEEENSA_INSB_IiEEEEjNS1_19radix_merge_compareILb1ELb0EbNS0_19identity_decomposerEEEEE10hipError_tT0_T1_T2_jT3_P12ihipStream_tbPNSt15iterator_traitsISK_E10value_typeEPNSQ_ISL_E10value_typeEPSM_NS1_7vsmem_tEENKUlT_SK_SL_SM_E_clISD_PbSF_PiEESJ_SZ_SK_SL_SM_EUlSZ_E_NS1_11comp_targetILNS1_3genE9ELNS1_11target_archE1100ELNS1_3gpuE3ELNS1_3repE0EEENS1_48merge_mergepath_partition_config_static_selectorELNS0_4arch9wavefront6targetE1EEEvSL_
		.amdhsa_group_segment_fixed_size 0
		.amdhsa_private_segment_fixed_size 0
		.amdhsa_kernarg_size 40
		.amdhsa_user_sgpr_count 2
		.amdhsa_user_sgpr_dispatch_ptr 0
		.amdhsa_user_sgpr_queue_ptr 0
		.amdhsa_user_sgpr_kernarg_segment_ptr 1
		.amdhsa_user_sgpr_dispatch_id 0
		.amdhsa_user_sgpr_kernarg_preload_length 0
		.amdhsa_user_sgpr_kernarg_preload_offset 0
		.amdhsa_user_sgpr_private_segment_size 0
		.amdhsa_uses_dynamic_stack 0
		.amdhsa_enable_private_segment 0
		.amdhsa_system_sgpr_workgroup_id_x 1
		.amdhsa_system_sgpr_workgroup_id_y 0
		.amdhsa_system_sgpr_workgroup_id_z 0
		.amdhsa_system_sgpr_workgroup_info 0
		.amdhsa_system_vgpr_workitem_id 0
		.amdhsa_next_free_vgpr 1
		.amdhsa_next_free_sgpr 0
		.amdhsa_accum_offset 4
		.amdhsa_reserve_vcc 0
		.amdhsa_float_round_mode_32 0
		.amdhsa_float_round_mode_16_64 0
		.amdhsa_float_denorm_mode_32 3
		.amdhsa_float_denorm_mode_16_64 3
		.amdhsa_dx10_clamp 1
		.amdhsa_ieee_mode 1
		.amdhsa_fp16_overflow 0
		.amdhsa_tg_split 0
		.amdhsa_exception_fp_ieee_invalid_op 0
		.amdhsa_exception_fp_denorm_src 0
		.amdhsa_exception_fp_ieee_div_zero 0
		.amdhsa_exception_fp_ieee_overflow 0
		.amdhsa_exception_fp_ieee_underflow 0
		.amdhsa_exception_fp_ieee_inexact 0
		.amdhsa_exception_int_div_zero 0
	.end_amdhsa_kernel
	.section	.text._ZN7rocprim17ROCPRIM_400000_NS6detail17trampoline_kernelINS0_14default_configENS1_38merge_sort_block_merge_config_selectorIbiEEZZNS1_27merge_sort_block_merge_implIS3_N6thrust23THRUST_200600_302600_NS6detail15normal_iteratorINS8_10device_ptrIbEEEENSA_INSB_IiEEEEjNS1_19radix_merge_compareILb1ELb0EbNS0_19identity_decomposerEEEEE10hipError_tT0_T1_T2_jT3_P12ihipStream_tbPNSt15iterator_traitsISK_E10value_typeEPNSQ_ISL_E10value_typeEPSM_NS1_7vsmem_tEENKUlT_SK_SL_SM_E_clISD_PbSF_PiEESJ_SZ_SK_SL_SM_EUlSZ_E_NS1_11comp_targetILNS1_3genE9ELNS1_11target_archE1100ELNS1_3gpuE3ELNS1_3repE0EEENS1_48merge_mergepath_partition_config_static_selectorELNS0_4arch9wavefront6targetE1EEEvSL_,"axG",@progbits,_ZN7rocprim17ROCPRIM_400000_NS6detail17trampoline_kernelINS0_14default_configENS1_38merge_sort_block_merge_config_selectorIbiEEZZNS1_27merge_sort_block_merge_implIS3_N6thrust23THRUST_200600_302600_NS6detail15normal_iteratorINS8_10device_ptrIbEEEENSA_INSB_IiEEEEjNS1_19radix_merge_compareILb1ELb0EbNS0_19identity_decomposerEEEEE10hipError_tT0_T1_T2_jT3_P12ihipStream_tbPNSt15iterator_traitsISK_E10value_typeEPNSQ_ISL_E10value_typeEPSM_NS1_7vsmem_tEENKUlT_SK_SL_SM_E_clISD_PbSF_PiEESJ_SZ_SK_SL_SM_EUlSZ_E_NS1_11comp_targetILNS1_3genE9ELNS1_11target_archE1100ELNS1_3gpuE3ELNS1_3repE0EEENS1_48merge_mergepath_partition_config_static_selectorELNS0_4arch9wavefront6targetE1EEEvSL_,comdat
.Lfunc_end2134:
	.size	_ZN7rocprim17ROCPRIM_400000_NS6detail17trampoline_kernelINS0_14default_configENS1_38merge_sort_block_merge_config_selectorIbiEEZZNS1_27merge_sort_block_merge_implIS3_N6thrust23THRUST_200600_302600_NS6detail15normal_iteratorINS8_10device_ptrIbEEEENSA_INSB_IiEEEEjNS1_19radix_merge_compareILb1ELb0EbNS0_19identity_decomposerEEEEE10hipError_tT0_T1_T2_jT3_P12ihipStream_tbPNSt15iterator_traitsISK_E10value_typeEPNSQ_ISL_E10value_typeEPSM_NS1_7vsmem_tEENKUlT_SK_SL_SM_E_clISD_PbSF_PiEESJ_SZ_SK_SL_SM_EUlSZ_E_NS1_11comp_targetILNS1_3genE9ELNS1_11target_archE1100ELNS1_3gpuE3ELNS1_3repE0EEENS1_48merge_mergepath_partition_config_static_selectorELNS0_4arch9wavefront6targetE1EEEvSL_, .Lfunc_end2134-_ZN7rocprim17ROCPRIM_400000_NS6detail17trampoline_kernelINS0_14default_configENS1_38merge_sort_block_merge_config_selectorIbiEEZZNS1_27merge_sort_block_merge_implIS3_N6thrust23THRUST_200600_302600_NS6detail15normal_iteratorINS8_10device_ptrIbEEEENSA_INSB_IiEEEEjNS1_19radix_merge_compareILb1ELb0EbNS0_19identity_decomposerEEEEE10hipError_tT0_T1_T2_jT3_P12ihipStream_tbPNSt15iterator_traitsISK_E10value_typeEPNSQ_ISL_E10value_typeEPSM_NS1_7vsmem_tEENKUlT_SK_SL_SM_E_clISD_PbSF_PiEESJ_SZ_SK_SL_SM_EUlSZ_E_NS1_11comp_targetILNS1_3genE9ELNS1_11target_archE1100ELNS1_3gpuE3ELNS1_3repE0EEENS1_48merge_mergepath_partition_config_static_selectorELNS0_4arch9wavefront6targetE1EEEvSL_
                                        ; -- End function
	.set _ZN7rocprim17ROCPRIM_400000_NS6detail17trampoline_kernelINS0_14default_configENS1_38merge_sort_block_merge_config_selectorIbiEEZZNS1_27merge_sort_block_merge_implIS3_N6thrust23THRUST_200600_302600_NS6detail15normal_iteratorINS8_10device_ptrIbEEEENSA_INSB_IiEEEEjNS1_19radix_merge_compareILb1ELb0EbNS0_19identity_decomposerEEEEE10hipError_tT0_T1_T2_jT3_P12ihipStream_tbPNSt15iterator_traitsISK_E10value_typeEPNSQ_ISL_E10value_typeEPSM_NS1_7vsmem_tEENKUlT_SK_SL_SM_E_clISD_PbSF_PiEESJ_SZ_SK_SL_SM_EUlSZ_E_NS1_11comp_targetILNS1_3genE9ELNS1_11target_archE1100ELNS1_3gpuE3ELNS1_3repE0EEENS1_48merge_mergepath_partition_config_static_selectorELNS0_4arch9wavefront6targetE1EEEvSL_.num_vgpr, 0
	.set _ZN7rocprim17ROCPRIM_400000_NS6detail17trampoline_kernelINS0_14default_configENS1_38merge_sort_block_merge_config_selectorIbiEEZZNS1_27merge_sort_block_merge_implIS3_N6thrust23THRUST_200600_302600_NS6detail15normal_iteratorINS8_10device_ptrIbEEEENSA_INSB_IiEEEEjNS1_19radix_merge_compareILb1ELb0EbNS0_19identity_decomposerEEEEE10hipError_tT0_T1_T2_jT3_P12ihipStream_tbPNSt15iterator_traitsISK_E10value_typeEPNSQ_ISL_E10value_typeEPSM_NS1_7vsmem_tEENKUlT_SK_SL_SM_E_clISD_PbSF_PiEESJ_SZ_SK_SL_SM_EUlSZ_E_NS1_11comp_targetILNS1_3genE9ELNS1_11target_archE1100ELNS1_3gpuE3ELNS1_3repE0EEENS1_48merge_mergepath_partition_config_static_selectorELNS0_4arch9wavefront6targetE1EEEvSL_.num_agpr, 0
	.set _ZN7rocprim17ROCPRIM_400000_NS6detail17trampoline_kernelINS0_14default_configENS1_38merge_sort_block_merge_config_selectorIbiEEZZNS1_27merge_sort_block_merge_implIS3_N6thrust23THRUST_200600_302600_NS6detail15normal_iteratorINS8_10device_ptrIbEEEENSA_INSB_IiEEEEjNS1_19radix_merge_compareILb1ELb0EbNS0_19identity_decomposerEEEEE10hipError_tT0_T1_T2_jT3_P12ihipStream_tbPNSt15iterator_traitsISK_E10value_typeEPNSQ_ISL_E10value_typeEPSM_NS1_7vsmem_tEENKUlT_SK_SL_SM_E_clISD_PbSF_PiEESJ_SZ_SK_SL_SM_EUlSZ_E_NS1_11comp_targetILNS1_3genE9ELNS1_11target_archE1100ELNS1_3gpuE3ELNS1_3repE0EEENS1_48merge_mergepath_partition_config_static_selectorELNS0_4arch9wavefront6targetE1EEEvSL_.numbered_sgpr, 0
	.set _ZN7rocprim17ROCPRIM_400000_NS6detail17trampoline_kernelINS0_14default_configENS1_38merge_sort_block_merge_config_selectorIbiEEZZNS1_27merge_sort_block_merge_implIS3_N6thrust23THRUST_200600_302600_NS6detail15normal_iteratorINS8_10device_ptrIbEEEENSA_INSB_IiEEEEjNS1_19radix_merge_compareILb1ELb0EbNS0_19identity_decomposerEEEEE10hipError_tT0_T1_T2_jT3_P12ihipStream_tbPNSt15iterator_traitsISK_E10value_typeEPNSQ_ISL_E10value_typeEPSM_NS1_7vsmem_tEENKUlT_SK_SL_SM_E_clISD_PbSF_PiEESJ_SZ_SK_SL_SM_EUlSZ_E_NS1_11comp_targetILNS1_3genE9ELNS1_11target_archE1100ELNS1_3gpuE3ELNS1_3repE0EEENS1_48merge_mergepath_partition_config_static_selectorELNS0_4arch9wavefront6targetE1EEEvSL_.num_named_barrier, 0
	.set _ZN7rocprim17ROCPRIM_400000_NS6detail17trampoline_kernelINS0_14default_configENS1_38merge_sort_block_merge_config_selectorIbiEEZZNS1_27merge_sort_block_merge_implIS3_N6thrust23THRUST_200600_302600_NS6detail15normal_iteratorINS8_10device_ptrIbEEEENSA_INSB_IiEEEEjNS1_19radix_merge_compareILb1ELb0EbNS0_19identity_decomposerEEEEE10hipError_tT0_T1_T2_jT3_P12ihipStream_tbPNSt15iterator_traitsISK_E10value_typeEPNSQ_ISL_E10value_typeEPSM_NS1_7vsmem_tEENKUlT_SK_SL_SM_E_clISD_PbSF_PiEESJ_SZ_SK_SL_SM_EUlSZ_E_NS1_11comp_targetILNS1_3genE9ELNS1_11target_archE1100ELNS1_3gpuE3ELNS1_3repE0EEENS1_48merge_mergepath_partition_config_static_selectorELNS0_4arch9wavefront6targetE1EEEvSL_.private_seg_size, 0
	.set _ZN7rocprim17ROCPRIM_400000_NS6detail17trampoline_kernelINS0_14default_configENS1_38merge_sort_block_merge_config_selectorIbiEEZZNS1_27merge_sort_block_merge_implIS3_N6thrust23THRUST_200600_302600_NS6detail15normal_iteratorINS8_10device_ptrIbEEEENSA_INSB_IiEEEEjNS1_19radix_merge_compareILb1ELb0EbNS0_19identity_decomposerEEEEE10hipError_tT0_T1_T2_jT3_P12ihipStream_tbPNSt15iterator_traitsISK_E10value_typeEPNSQ_ISL_E10value_typeEPSM_NS1_7vsmem_tEENKUlT_SK_SL_SM_E_clISD_PbSF_PiEESJ_SZ_SK_SL_SM_EUlSZ_E_NS1_11comp_targetILNS1_3genE9ELNS1_11target_archE1100ELNS1_3gpuE3ELNS1_3repE0EEENS1_48merge_mergepath_partition_config_static_selectorELNS0_4arch9wavefront6targetE1EEEvSL_.uses_vcc, 0
	.set _ZN7rocprim17ROCPRIM_400000_NS6detail17trampoline_kernelINS0_14default_configENS1_38merge_sort_block_merge_config_selectorIbiEEZZNS1_27merge_sort_block_merge_implIS3_N6thrust23THRUST_200600_302600_NS6detail15normal_iteratorINS8_10device_ptrIbEEEENSA_INSB_IiEEEEjNS1_19radix_merge_compareILb1ELb0EbNS0_19identity_decomposerEEEEE10hipError_tT0_T1_T2_jT3_P12ihipStream_tbPNSt15iterator_traitsISK_E10value_typeEPNSQ_ISL_E10value_typeEPSM_NS1_7vsmem_tEENKUlT_SK_SL_SM_E_clISD_PbSF_PiEESJ_SZ_SK_SL_SM_EUlSZ_E_NS1_11comp_targetILNS1_3genE9ELNS1_11target_archE1100ELNS1_3gpuE3ELNS1_3repE0EEENS1_48merge_mergepath_partition_config_static_selectorELNS0_4arch9wavefront6targetE1EEEvSL_.uses_flat_scratch, 0
	.set _ZN7rocprim17ROCPRIM_400000_NS6detail17trampoline_kernelINS0_14default_configENS1_38merge_sort_block_merge_config_selectorIbiEEZZNS1_27merge_sort_block_merge_implIS3_N6thrust23THRUST_200600_302600_NS6detail15normal_iteratorINS8_10device_ptrIbEEEENSA_INSB_IiEEEEjNS1_19radix_merge_compareILb1ELb0EbNS0_19identity_decomposerEEEEE10hipError_tT0_T1_T2_jT3_P12ihipStream_tbPNSt15iterator_traitsISK_E10value_typeEPNSQ_ISL_E10value_typeEPSM_NS1_7vsmem_tEENKUlT_SK_SL_SM_E_clISD_PbSF_PiEESJ_SZ_SK_SL_SM_EUlSZ_E_NS1_11comp_targetILNS1_3genE9ELNS1_11target_archE1100ELNS1_3gpuE3ELNS1_3repE0EEENS1_48merge_mergepath_partition_config_static_selectorELNS0_4arch9wavefront6targetE1EEEvSL_.has_dyn_sized_stack, 0
	.set _ZN7rocprim17ROCPRIM_400000_NS6detail17trampoline_kernelINS0_14default_configENS1_38merge_sort_block_merge_config_selectorIbiEEZZNS1_27merge_sort_block_merge_implIS3_N6thrust23THRUST_200600_302600_NS6detail15normal_iteratorINS8_10device_ptrIbEEEENSA_INSB_IiEEEEjNS1_19radix_merge_compareILb1ELb0EbNS0_19identity_decomposerEEEEE10hipError_tT0_T1_T2_jT3_P12ihipStream_tbPNSt15iterator_traitsISK_E10value_typeEPNSQ_ISL_E10value_typeEPSM_NS1_7vsmem_tEENKUlT_SK_SL_SM_E_clISD_PbSF_PiEESJ_SZ_SK_SL_SM_EUlSZ_E_NS1_11comp_targetILNS1_3genE9ELNS1_11target_archE1100ELNS1_3gpuE3ELNS1_3repE0EEENS1_48merge_mergepath_partition_config_static_selectorELNS0_4arch9wavefront6targetE1EEEvSL_.has_recursion, 0
	.set _ZN7rocprim17ROCPRIM_400000_NS6detail17trampoline_kernelINS0_14default_configENS1_38merge_sort_block_merge_config_selectorIbiEEZZNS1_27merge_sort_block_merge_implIS3_N6thrust23THRUST_200600_302600_NS6detail15normal_iteratorINS8_10device_ptrIbEEEENSA_INSB_IiEEEEjNS1_19radix_merge_compareILb1ELb0EbNS0_19identity_decomposerEEEEE10hipError_tT0_T1_T2_jT3_P12ihipStream_tbPNSt15iterator_traitsISK_E10value_typeEPNSQ_ISL_E10value_typeEPSM_NS1_7vsmem_tEENKUlT_SK_SL_SM_E_clISD_PbSF_PiEESJ_SZ_SK_SL_SM_EUlSZ_E_NS1_11comp_targetILNS1_3genE9ELNS1_11target_archE1100ELNS1_3gpuE3ELNS1_3repE0EEENS1_48merge_mergepath_partition_config_static_selectorELNS0_4arch9wavefront6targetE1EEEvSL_.has_indirect_call, 0
	.section	.AMDGPU.csdata,"",@progbits
; Kernel info:
; codeLenInByte = 0
; TotalNumSgprs: 6
; NumVgprs: 0
; NumAgprs: 0
; TotalNumVgprs: 0
; ScratchSize: 0
; MemoryBound: 0
; FloatMode: 240
; IeeeMode: 1
; LDSByteSize: 0 bytes/workgroup (compile time only)
; SGPRBlocks: 0
; VGPRBlocks: 0
; NumSGPRsForWavesPerEU: 6
; NumVGPRsForWavesPerEU: 1
; AccumOffset: 4
; Occupancy: 8
; WaveLimiterHint : 0
; COMPUTE_PGM_RSRC2:SCRATCH_EN: 0
; COMPUTE_PGM_RSRC2:USER_SGPR: 2
; COMPUTE_PGM_RSRC2:TRAP_HANDLER: 0
; COMPUTE_PGM_RSRC2:TGID_X_EN: 1
; COMPUTE_PGM_RSRC2:TGID_Y_EN: 0
; COMPUTE_PGM_RSRC2:TGID_Z_EN: 0
; COMPUTE_PGM_RSRC2:TIDIG_COMP_CNT: 0
; COMPUTE_PGM_RSRC3_GFX90A:ACCUM_OFFSET: 0
; COMPUTE_PGM_RSRC3_GFX90A:TG_SPLIT: 0
	.section	.text._ZN7rocprim17ROCPRIM_400000_NS6detail17trampoline_kernelINS0_14default_configENS1_38merge_sort_block_merge_config_selectorIbiEEZZNS1_27merge_sort_block_merge_implIS3_N6thrust23THRUST_200600_302600_NS6detail15normal_iteratorINS8_10device_ptrIbEEEENSA_INSB_IiEEEEjNS1_19radix_merge_compareILb1ELb0EbNS0_19identity_decomposerEEEEE10hipError_tT0_T1_T2_jT3_P12ihipStream_tbPNSt15iterator_traitsISK_E10value_typeEPNSQ_ISL_E10value_typeEPSM_NS1_7vsmem_tEENKUlT_SK_SL_SM_E_clISD_PbSF_PiEESJ_SZ_SK_SL_SM_EUlSZ_E_NS1_11comp_targetILNS1_3genE8ELNS1_11target_archE1030ELNS1_3gpuE2ELNS1_3repE0EEENS1_48merge_mergepath_partition_config_static_selectorELNS0_4arch9wavefront6targetE1EEEvSL_,"axG",@progbits,_ZN7rocprim17ROCPRIM_400000_NS6detail17trampoline_kernelINS0_14default_configENS1_38merge_sort_block_merge_config_selectorIbiEEZZNS1_27merge_sort_block_merge_implIS3_N6thrust23THRUST_200600_302600_NS6detail15normal_iteratorINS8_10device_ptrIbEEEENSA_INSB_IiEEEEjNS1_19radix_merge_compareILb1ELb0EbNS0_19identity_decomposerEEEEE10hipError_tT0_T1_T2_jT3_P12ihipStream_tbPNSt15iterator_traitsISK_E10value_typeEPNSQ_ISL_E10value_typeEPSM_NS1_7vsmem_tEENKUlT_SK_SL_SM_E_clISD_PbSF_PiEESJ_SZ_SK_SL_SM_EUlSZ_E_NS1_11comp_targetILNS1_3genE8ELNS1_11target_archE1030ELNS1_3gpuE2ELNS1_3repE0EEENS1_48merge_mergepath_partition_config_static_selectorELNS0_4arch9wavefront6targetE1EEEvSL_,comdat
	.protected	_ZN7rocprim17ROCPRIM_400000_NS6detail17trampoline_kernelINS0_14default_configENS1_38merge_sort_block_merge_config_selectorIbiEEZZNS1_27merge_sort_block_merge_implIS3_N6thrust23THRUST_200600_302600_NS6detail15normal_iteratorINS8_10device_ptrIbEEEENSA_INSB_IiEEEEjNS1_19radix_merge_compareILb1ELb0EbNS0_19identity_decomposerEEEEE10hipError_tT0_T1_T2_jT3_P12ihipStream_tbPNSt15iterator_traitsISK_E10value_typeEPNSQ_ISL_E10value_typeEPSM_NS1_7vsmem_tEENKUlT_SK_SL_SM_E_clISD_PbSF_PiEESJ_SZ_SK_SL_SM_EUlSZ_E_NS1_11comp_targetILNS1_3genE8ELNS1_11target_archE1030ELNS1_3gpuE2ELNS1_3repE0EEENS1_48merge_mergepath_partition_config_static_selectorELNS0_4arch9wavefront6targetE1EEEvSL_ ; -- Begin function _ZN7rocprim17ROCPRIM_400000_NS6detail17trampoline_kernelINS0_14default_configENS1_38merge_sort_block_merge_config_selectorIbiEEZZNS1_27merge_sort_block_merge_implIS3_N6thrust23THRUST_200600_302600_NS6detail15normal_iteratorINS8_10device_ptrIbEEEENSA_INSB_IiEEEEjNS1_19radix_merge_compareILb1ELb0EbNS0_19identity_decomposerEEEEE10hipError_tT0_T1_T2_jT3_P12ihipStream_tbPNSt15iterator_traitsISK_E10value_typeEPNSQ_ISL_E10value_typeEPSM_NS1_7vsmem_tEENKUlT_SK_SL_SM_E_clISD_PbSF_PiEESJ_SZ_SK_SL_SM_EUlSZ_E_NS1_11comp_targetILNS1_3genE8ELNS1_11target_archE1030ELNS1_3gpuE2ELNS1_3repE0EEENS1_48merge_mergepath_partition_config_static_selectorELNS0_4arch9wavefront6targetE1EEEvSL_
	.globl	_ZN7rocprim17ROCPRIM_400000_NS6detail17trampoline_kernelINS0_14default_configENS1_38merge_sort_block_merge_config_selectorIbiEEZZNS1_27merge_sort_block_merge_implIS3_N6thrust23THRUST_200600_302600_NS6detail15normal_iteratorINS8_10device_ptrIbEEEENSA_INSB_IiEEEEjNS1_19radix_merge_compareILb1ELb0EbNS0_19identity_decomposerEEEEE10hipError_tT0_T1_T2_jT3_P12ihipStream_tbPNSt15iterator_traitsISK_E10value_typeEPNSQ_ISL_E10value_typeEPSM_NS1_7vsmem_tEENKUlT_SK_SL_SM_E_clISD_PbSF_PiEESJ_SZ_SK_SL_SM_EUlSZ_E_NS1_11comp_targetILNS1_3genE8ELNS1_11target_archE1030ELNS1_3gpuE2ELNS1_3repE0EEENS1_48merge_mergepath_partition_config_static_selectorELNS0_4arch9wavefront6targetE1EEEvSL_
	.p2align	8
	.type	_ZN7rocprim17ROCPRIM_400000_NS6detail17trampoline_kernelINS0_14default_configENS1_38merge_sort_block_merge_config_selectorIbiEEZZNS1_27merge_sort_block_merge_implIS3_N6thrust23THRUST_200600_302600_NS6detail15normal_iteratorINS8_10device_ptrIbEEEENSA_INSB_IiEEEEjNS1_19radix_merge_compareILb1ELb0EbNS0_19identity_decomposerEEEEE10hipError_tT0_T1_T2_jT3_P12ihipStream_tbPNSt15iterator_traitsISK_E10value_typeEPNSQ_ISL_E10value_typeEPSM_NS1_7vsmem_tEENKUlT_SK_SL_SM_E_clISD_PbSF_PiEESJ_SZ_SK_SL_SM_EUlSZ_E_NS1_11comp_targetILNS1_3genE8ELNS1_11target_archE1030ELNS1_3gpuE2ELNS1_3repE0EEENS1_48merge_mergepath_partition_config_static_selectorELNS0_4arch9wavefront6targetE1EEEvSL_,@function
_ZN7rocprim17ROCPRIM_400000_NS6detail17trampoline_kernelINS0_14default_configENS1_38merge_sort_block_merge_config_selectorIbiEEZZNS1_27merge_sort_block_merge_implIS3_N6thrust23THRUST_200600_302600_NS6detail15normal_iteratorINS8_10device_ptrIbEEEENSA_INSB_IiEEEEjNS1_19radix_merge_compareILb1ELb0EbNS0_19identity_decomposerEEEEE10hipError_tT0_T1_T2_jT3_P12ihipStream_tbPNSt15iterator_traitsISK_E10value_typeEPNSQ_ISL_E10value_typeEPSM_NS1_7vsmem_tEENKUlT_SK_SL_SM_E_clISD_PbSF_PiEESJ_SZ_SK_SL_SM_EUlSZ_E_NS1_11comp_targetILNS1_3genE8ELNS1_11target_archE1030ELNS1_3gpuE2ELNS1_3repE0EEENS1_48merge_mergepath_partition_config_static_selectorELNS0_4arch9wavefront6targetE1EEEvSL_: ; @_ZN7rocprim17ROCPRIM_400000_NS6detail17trampoline_kernelINS0_14default_configENS1_38merge_sort_block_merge_config_selectorIbiEEZZNS1_27merge_sort_block_merge_implIS3_N6thrust23THRUST_200600_302600_NS6detail15normal_iteratorINS8_10device_ptrIbEEEENSA_INSB_IiEEEEjNS1_19radix_merge_compareILb1ELb0EbNS0_19identity_decomposerEEEEE10hipError_tT0_T1_T2_jT3_P12ihipStream_tbPNSt15iterator_traitsISK_E10value_typeEPNSQ_ISL_E10value_typeEPSM_NS1_7vsmem_tEENKUlT_SK_SL_SM_E_clISD_PbSF_PiEESJ_SZ_SK_SL_SM_EUlSZ_E_NS1_11comp_targetILNS1_3genE8ELNS1_11target_archE1030ELNS1_3gpuE2ELNS1_3repE0EEENS1_48merge_mergepath_partition_config_static_selectorELNS0_4arch9wavefront6targetE1EEEvSL_
; %bb.0:
	.section	.rodata,"a",@progbits
	.p2align	6, 0x0
	.amdhsa_kernel _ZN7rocprim17ROCPRIM_400000_NS6detail17trampoline_kernelINS0_14default_configENS1_38merge_sort_block_merge_config_selectorIbiEEZZNS1_27merge_sort_block_merge_implIS3_N6thrust23THRUST_200600_302600_NS6detail15normal_iteratorINS8_10device_ptrIbEEEENSA_INSB_IiEEEEjNS1_19radix_merge_compareILb1ELb0EbNS0_19identity_decomposerEEEEE10hipError_tT0_T1_T2_jT3_P12ihipStream_tbPNSt15iterator_traitsISK_E10value_typeEPNSQ_ISL_E10value_typeEPSM_NS1_7vsmem_tEENKUlT_SK_SL_SM_E_clISD_PbSF_PiEESJ_SZ_SK_SL_SM_EUlSZ_E_NS1_11comp_targetILNS1_3genE8ELNS1_11target_archE1030ELNS1_3gpuE2ELNS1_3repE0EEENS1_48merge_mergepath_partition_config_static_selectorELNS0_4arch9wavefront6targetE1EEEvSL_
		.amdhsa_group_segment_fixed_size 0
		.amdhsa_private_segment_fixed_size 0
		.amdhsa_kernarg_size 40
		.amdhsa_user_sgpr_count 2
		.amdhsa_user_sgpr_dispatch_ptr 0
		.amdhsa_user_sgpr_queue_ptr 0
		.amdhsa_user_sgpr_kernarg_segment_ptr 1
		.amdhsa_user_sgpr_dispatch_id 0
		.amdhsa_user_sgpr_kernarg_preload_length 0
		.amdhsa_user_sgpr_kernarg_preload_offset 0
		.amdhsa_user_sgpr_private_segment_size 0
		.amdhsa_uses_dynamic_stack 0
		.amdhsa_enable_private_segment 0
		.amdhsa_system_sgpr_workgroup_id_x 1
		.amdhsa_system_sgpr_workgroup_id_y 0
		.amdhsa_system_sgpr_workgroup_id_z 0
		.amdhsa_system_sgpr_workgroup_info 0
		.amdhsa_system_vgpr_workitem_id 0
		.amdhsa_next_free_vgpr 1
		.amdhsa_next_free_sgpr 0
		.amdhsa_accum_offset 4
		.amdhsa_reserve_vcc 0
		.amdhsa_float_round_mode_32 0
		.amdhsa_float_round_mode_16_64 0
		.amdhsa_float_denorm_mode_32 3
		.amdhsa_float_denorm_mode_16_64 3
		.amdhsa_dx10_clamp 1
		.amdhsa_ieee_mode 1
		.amdhsa_fp16_overflow 0
		.amdhsa_tg_split 0
		.amdhsa_exception_fp_ieee_invalid_op 0
		.amdhsa_exception_fp_denorm_src 0
		.amdhsa_exception_fp_ieee_div_zero 0
		.amdhsa_exception_fp_ieee_overflow 0
		.amdhsa_exception_fp_ieee_underflow 0
		.amdhsa_exception_fp_ieee_inexact 0
		.amdhsa_exception_int_div_zero 0
	.end_amdhsa_kernel
	.section	.text._ZN7rocprim17ROCPRIM_400000_NS6detail17trampoline_kernelINS0_14default_configENS1_38merge_sort_block_merge_config_selectorIbiEEZZNS1_27merge_sort_block_merge_implIS3_N6thrust23THRUST_200600_302600_NS6detail15normal_iteratorINS8_10device_ptrIbEEEENSA_INSB_IiEEEEjNS1_19radix_merge_compareILb1ELb0EbNS0_19identity_decomposerEEEEE10hipError_tT0_T1_T2_jT3_P12ihipStream_tbPNSt15iterator_traitsISK_E10value_typeEPNSQ_ISL_E10value_typeEPSM_NS1_7vsmem_tEENKUlT_SK_SL_SM_E_clISD_PbSF_PiEESJ_SZ_SK_SL_SM_EUlSZ_E_NS1_11comp_targetILNS1_3genE8ELNS1_11target_archE1030ELNS1_3gpuE2ELNS1_3repE0EEENS1_48merge_mergepath_partition_config_static_selectorELNS0_4arch9wavefront6targetE1EEEvSL_,"axG",@progbits,_ZN7rocprim17ROCPRIM_400000_NS6detail17trampoline_kernelINS0_14default_configENS1_38merge_sort_block_merge_config_selectorIbiEEZZNS1_27merge_sort_block_merge_implIS3_N6thrust23THRUST_200600_302600_NS6detail15normal_iteratorINS8_10device_ptrIbEEEENSA_INSB_IiEEEEjNS1_19radix_merge_compareILb1ELb0EbNS0_19identity_decomposerEEEEE10hipError_tT0_T1_T2_jT3_P12ihipStream_tbPNSt15iterator_traitsISK_E10value_typeEPNSQ_ISL_E10value_typeEPSM_NS1_7vsmem_tEENKUlT_SK_SL_SM_E_clISD_PbSF_PiEESJ_SZ_SK_SL_SM_EUlSZ_E_NS1_11comp_targetILNS1_3genE8ELNS1_11target_archE1030ELNS1_3gpuE2ELNS1_3repE0EEENS1_48merge_mergepath_partition_config_static_selectorELNS0_4arch9wavefront6targetE1EEEvSL_,comdat
.Lfunc_end2135:
	.size	_ZN7rocprim17ROCPRIM_400000_NS6detail17trampoline_kernelINS0_14default_configENS1_38merge_sort_block_merge_config_selectorIbiEEZZNS1_27merge_sort_block_merge_implIS3_N6thrust23THRUST_200600_302600_NS6detail15normal_iteratorINS8_10device_ptrIbEEEENSA_INSB_IiEEEEjNS1_19radix_merge_compareILb1ELb0EbNS0_19identity_decomposerEEEEE10hipError_tT0_T1_T2_jT3_P12ihipStream_tbPNSt15iterator_traitsISK_E10value_typeEPNSQ_ISL_E10value_typeEPSM_NS1_7vsmem_tEENKUlT_SK_SL_SM_E_clISD_PbSF_PiEESJ_SZ_SK_SL_SM_EUlSZ_E_NS1_11comp_targetILNS1_3genE8ELNS1_11target_archE1030ELNS1_3gpuE2ELNS1_3repE0EEENS1_48merge_mergepath_partition_config_static_selectorELNS0_4arch9wavefront6targetE1EEEvSL_, .Lfunc_end2135-_ZN7rocprim17ROCPRIM_400000_NS6detail17trampoline_kernelINS0_14default_configENS1_38merge_sort_block_merge_config_selectorIbiEEZZNS1_27merge_sort_block_merge_implIS3_N6thrust23THRUST_200600_302600_NS6detail15normal_iteratorINS8_10device_ptrIbEEEENSA_INSB_IiEEEEjNS1_19radix_merge_compareILb1ELb0EbNS0_19identity_decomposerEEEEE10hipError_tT0_T1_T2_jT3_P12ihipStream_tbPNSt15iterator_traitsISK_E10value_typeEPNSQ_ISL_E10value_typeEPSM_NS1_7vsmem_tEENKUlT_SK_SL_SM_E_clISD_PbSF_PiEESJ_SZ_SK_SL_SM_EUlSZ_E_NS1_11comp_targetILNS1_3genE8ELNS1_11target_archE1030ELNS1_3gpuE2ELNS1_3repE0EEENS1_48merge_mergepath_partition_config_static_selectorELNS0_4arch9wavefront6targetE1EEEvSL_
                                        ; -- End function
	.set _ZN7rocprim17ROCPRIM_400000_NS6detail17trampoline_kernelINS0_14default_configENS1_38merge_sort_block_merge_config_selectorIbiEEZZNS1_27merge_sort_block_merge_implIS3_N6thrust23THRUST_200600_302600_NS6detail15normal_iteratorINS8_10device_ptrIbEEEENSA_INSB_IiEEEEjNS1_19radix_merge_compareILb1ELb0EbNS0_19identity_decomposerEEEEE10hipError_tT0_T1_T2_jT3_P12ihipStream_tbPNSt15iterator_traitsISK_E10value_typeEPNSQ_ISL_E10value_typeEPSM_NS1_7vsmem_tEENKUlT_SK_SL_SM_E_clISD_PbSF_PiEESJ_SZ_SK_SL_SM_EUlSZ_E_NS1_11comp_targetILNS1_3genE8ELNS1_11target_archE1030ELNS1_3gpuE2ELNS1_3repE0EEENS1_48merge_mergepath_partition_config_static_selectorELNS0_4arch9wavefront6targetE1EEEvSL_.num_vgpr, 0
	.set _ZN7rocprim17ROCPRIM_400000_NS6detail17trampoline_kernelINS0_14default_configENS1_38merge_sort_block_merge_config_selectorIbiEEZZNS1_27merge_sort_block_merge_implIS3_N6thrust23THRUST_200600_302600_NS6detail15normal_iteratorINS8_10device_ptrIbEEEENSA_INSB_IiEEEEjNS1_19radix_merge_compareILb1ELb0EbNS0_19identity_decomposerEEEEE10hipError_tT0_T1_T2_jT3_P12ihipStream_tbPNSt15iterator_traitsISK_E10value_typeEPNSQ_ISL_E10value_typeEPSM_NS1_7vsmem_tEENKUlT_SK_SL_SM_E_clISD_PbSF_PiEESJ_SZ_SK_SL_SM_EUlSZ_E_NS1_11comp_targetILNS1_3genE8ELNS1_11target_archE1030ELNS1_3gpuE2ELNS1_3repE0EEENS1_48merge_mergepath_partition_config_static_selectorELNS0_4arch9wavefront6targetE1EEEvSL_.num_agpr, 0
	.set _ZN7rocprim17ROCPRIM_400000_NS6detail17trampoline_kernelINS0_14default_configENS1_38merge_sort_block_merge_config_selectorIbiEEZZNS1_27merge_sort_block_merge_implIS3_N6thrust23THRUST_200600_302600_NS6detail15normal_iteratorINS8_10device_ptrIbEEEENSA_INSB_IiEEEEjNS1_19radix_merge_compareILb1ELb0EbNS0_19identity_decomposerEEEEE10hipError_tT0_T1_T2_jT3_P12ihipStream_tbPNSt15iterator_traitsISK_E10value_typeEPNSQ_ISL_E10value_typeEPSM_NS1_7vsmem_tEENKUlT_SK_SL_SM_E_clISD_PbSF_PiEESJ_SZ_SK_SL_SM_EUlSZ_E_NS1_11comp_targetILNS1_3genE8ELNS1_11target_archE1030ELNS1_3gpuE2ELNS1_3repE0EEENS1_48merge_mergepath_partition_config_static_selectorELNS0_4arch9wavefront6targetE1EEEvSL_.numbered_sgpr, 0
	.set _ZN7rocprim17ROCPRIM_400000_NS6detail17trampoline_kernelINS0_14default_configENS1_38merge_sort_block_merge_config_selectorIbiEEZZNS1_27merge_sort_block_merge_implIS3_N6thrust23THRUST_200600_302600_NS6detail15normal_iteratorINS8_10device_ptrIbEEEENSA_INSB_IiEEEEjNS1_19radix_merge_compareILb1ELb0EbNS0_19identity_decomposerEEEEE10hipError_tT0_T1_T2_jT3_P12ihipStream_tbPNSt15iterator_traitsISK_E10value_typeEPNSQ_ISL_E10value_typeEPSM_NS1_7vsmem_tEENKUlT_SK_SL_SM_E_clISD_PbSF_PiEESJ_SZ_SK_SL_SM_EUlSZ_E_NS1_11comp_targetILNS1_3genE8ELNS1_11target_archE1030ELNS1_3gpuE2ELNS1_3repE0EEENS1_48merge_mergepath_partition_config_static_selectorELNS0_4arch9wavefront6targetE1EEEvSL_.num_named_barrier, 0
	.set _ZN7rocprim17ROCPRIM_400000_NS6detail17trampoline_kernelINS0_14default_configENS1_38merge_sort_block_merge_config_selectorIbiEEZZNS1_27merge_sort_block_merge_implIS3_N6thrust23THRUST_200600_302600_NS6detail15normal_iteratorINS8_10device_ptrIbEEEENSA_INSB_IiEEEEjNS1_19radix_merge_compareILb1ELb0EbNS0_19identity_decomposerEEEEE10hipError_tT0_T1_T2_jT3_P12ihipStream_tbPNSt15iterator_traitsISK_E10value_typeEPNSQ_ISL_E10value_typeEPSM_NS1_7vsmem_tEENKUlT_SK_SL_SM_E_clISD_PbSF_PiEESJ_SZ_SK_SL_SM_EUlSZ_E_NS1_11comp_targetILNS1_3genE8ELNS1_11target_archE1030ELNS1_3gpuE2ELNS1_3repE0EEENS1_48merge_mergepath_partition_config_static_selectorELNS0_4arch9wavefront6targetE1EEEvSL_.private_seg_size, 0
	.set _ZN7rocprim17ROCPRIM_400000_NS6detail17trampoline_kernelINS0_14default_configENS1_38merge_sort_block_merge_config_selectorIbiEEZZNS1_27merge_sort_block_merge_implIS3_N6thrust23THRUST_200600_302600_NS6detail15normal_iteratorINS8_10device_ptrIbEEEENSA_INSB_IiEEEEjNS1_19radix_merge_compareILb1ELb0EbNS0_19identity_decomposerEEEEE10hipError_tT0_T1_T2_jT3_P12ihipStream_tbPNSt15iterator_traitsISK_E10value_typeEPNSQ_ISL_E10value_typeEPSM_NS1_7vsmem_tEENKUlT_SK_SL_SM_E_clISD_PbSF_PiEESJ_SZ_SK_SL_SM_EUlSZ_E_NS1_11comp_targetILNS1_3genE8ELNS1_11target_archE1030ELNS1_3gpuE2ELNS1_3repE0EEENS1_48merge_mergepath_partition_config_static_selectorELNS0_4arch9wavefront6targetE1EEEvSL_.uses_vcc, 0
	.set _ZN7rocprim17ROCPRIM_400000_NS6detail17trampoline_kernelINS0_14default_configENS1_38merge_sort_block_merge_config_selectorIbiEEZZNS1_27merge_sort_block_merge_implIS3_N6thrust23THRUST_200600_302600_NS6detail15normal_iteratorINS8_10device_ptrIbEEEENSA_INSB_IiEEEEjNS1_19radix_merge_compareILb1ELb0EbNS0_19identity_decomposerEEEEE10hipError_tT0_T1_T2_jT3_P12ihipStream_tbPNSt15iterator_traitsISK_E10value_typeEPNSQ_ISL_E10value_typeEPSM_NS1_7vsmem_tEENKUlT_SK_SL_SM_E_clISD_PbSF_PiEESJ_SZ_SK_SL_SM_EUlSZ_E_NS1_11comp_targetILNS1_3genE8ELNS1_11target_archE1030ELNS1_3gpuE2ELNS1_3repE0EEENS1_48merge_mergepath_partition_config_static_selectorELNS0_4arch9wavefront6targetE1EEEvSL_.uses_flat_scratch, 0
	.set _ZN7rocprim17ROCPRIM_400000_NS6detail17trampoline_kernelINS0_14default_configENS1_38merge_sort_block_merge_config_selectorIbiEEZZNS1_27merge_sort_block_merge_implIS3_N6thrust23THRUST_200600_302600_NS6detail15normal_iteratorINS8_10device_ptrIbEEEENSA_INSB_IiEEEEjNS1_19radix_merge_compareILb1ELb0EbNS0_19identity_decomposerEEEEE10hipError_tT0_T1_T2_jT3_P12ihipStream_tbPNSt15iterator_traitsISK_E10value_typeEPNSQ_ISL_E10value_typeEPSM_NS1_7vsmem_tEENKUlT_SK_SL_SM_E_clISD_PbSF_PiEESJ_SZ_SK_SL_SM_EUlSZ_E_NS1_11comp_targetILNS1_3genE8ELNS1_11target_archE1030ELNS1_3gpuE2ELNS1_3repE0EEENS1_48merge_mergepath_partition_config_static_selectorELNS0_4arch9wavefront6targetE1EEEvSL_.has_dyn_sized_stack, 0
	.set _ZN7rocprim17ROCPRIM_400000_NS6detail17trampoline_kernelINS0_14default_configENS1_38merge_sort_block_merge_config_selectorIbiEEZZNS1_27merge_sort_block_merge_implIS3_N6thrust23THRUST_200600_302600_NS6detail15normal_iteratorINS8_10device_ptrIbEEEENSA_INSB_IiEEEEjNS1_19radix_merge_compareILb1ELb0EbNS0_19identity_decomposerEEEEE10hipError_tT0_T1_T2_jT3_P12ihipStream_tbPNSt15iterator_traitsISK_E10value_typeEPNSQ_ISL_E10value_typeEPSM_NS1_7vsmem_tEENKUlT_SK_SL_SM_E_clISD_PbSF_PiEESJ_SZ_SK_SL_SM_EUlSZ_E_NS1_11comp_targetILNS1_3genE8ELNS1_11target_archE1030ELNS1_3gpuE2ELNS1_3repE0EEENS1_48merge_mergepath_partition_config_static_selectorELNS0_4arch9wavefront6targetE1EEEvSL_.has_recursion, 0
	.set _ZN7rocprim17ROCPRIM_400000_NS6detail17trampoline_kernelINS0_14default_configENS1_38merge_sort_block_merge_config_selectorIbiEEZZNS1_27merge_sort_block_merge_implIS3_N6thrust23THRUST_200600_302600_NS6detail15normal_iteratorINS8_10device_ptrIbEEEENSA_INSB_IiEEEEjNS1_19radix_merge_compareILb1ELb0EbNS0_19identity_decomposerEEEEE10hipError_tT0_T1_T2_jT3_P12ihipStream_tbPNSt15iterator_traitsISK_E10value_typeEPNSQ_ISL_E10value_typeEPSM_NS1_7vsmem_tEENKUlT_SK_SL_SM_E_clISD_PbSF_PiEESJ_SZ_SK_SL_SM_EUlSZ_E_NS1_11comp_targetILNS1_3genE8ELNS1_11target_archE1030ELNS1_3gpuE2ELNS1_3repE0EEENS1_48merge_mergepath_partition_config_static_selectorELNS0_4arch9wavefront6targetE1EEEvSL_.has_indirect_call, 0
	.section	.AMDGPU.csdata,"",@progbits
; Kernel info:
; codeLenInByte = 0
; TotalNumSgprs: 6
; NumVgprs: 0
; NumAgprs: 0
; TotalNumVgprs: 0
; ScratchSize: 0
; MemoryBound: 0
; FloatMode: 240
; IeeeMode: 1
; LDSByteSize: 0 bytes/workgroup (compile time only)
; SGPRBlocks: 0
; VGPRBlocks: 0
; NumSGPRsForWavesPerEU: 6
; NumVGPRsForWavesPerEU: 1
; AccumOffset: 4
; Occupancy: 8
; WaveLimiterHint : 0
; COMPUTE_PGM_RSRC2:SCRATCH_EN: 0
; COMPUTE_PGM_RSRC2:USER_SGPR: 2
; COMPUTE_PGM_RSRC2:TRAP_HANDLER: 0
; COMPUTE_PGM_RSRC2:TGID_X_EN: 1
; COMPUTE_PGM_RSRC2:TGID_Y_EN: 0
; COMPUTE_PGM_RSRC2:TGID_Z_EN: 0
; COMPUTE_PGM_RSRC2:TIDIG_COMP_CNT: 0
; COMPUTE_PGM_RSRC3_GFX90A:ACCUM_OFFSET: 0
; COMPUTE_PGM_RSRC3_GFX90A:TG_SPLIT: 0
	.section	.text._ZN7rocprim17ROCPRIM_400000_NS6detail17trampoline_kernelINS0_14default_configENS1_38merge_sort_block_merge_config_selectorIbiEEZZNS1_27merge_sort_block_merge_implIS3_N6thrust23THRUST_200600_302600_NS6detail15normal_iteratorINS8_10device_ptrIbEEEENSA_INSB_IiEEEEjNS1_19radix_merge_compareILb1ELb0EbNS0_19identity_decomposerEEEEE10hipError_tT0_T1_T2_jT3_P12ihipStream_tbPNSt15iterator_traitsISK_E10value_typeEPNSQ_ISL_E10value_typeEPSM_NS1_7vsmem_tEENKUlT_SK_SL_SM_E_clISD_PbSF_PiEESJ_SZ_SK_SL_SM_EUlSZ_E0_NS1_11comp_targetILNS1_3genE0ELNS1_11target_archE4294967295ELNS1_3gpuE0ELNS1_3repE0EEENS1_38merge_mergepath_config_static_selectorELNS0_4arch9wavefront6targetE1EEEvSL_,"axG",@progbits,_ZN7rocprim17ROCPRIM_400000_NS6detail17trampoline_kernelINS0_14default_configENS1_38merge_sort_block_merge_config_selectorIbiEEZZNS1_27merge_sort_block_merge_implIS3_N6thrust23THRUST_200600_302600_NS6detail15normal_iteratorINS8_10device_ptrIbEEEENSA_INSB_IiEEEEjNS1_19radix_merge_compareILb1ELb0EbNS0_19identity_decomposerEEEEE10hipError_tT0_T1_T2_jT3_P12ihipStream_tbPNSt15iterator_traitsISK_E10value_typeEPNSQ_ISL_E10value_typeEPSM_NS1_7vsmem_tEENKUlT_SK_SL_SM_E_clISD_PbSF_PiEESJ_SZ_SK_SL_SM_EUlSZ_E0_NS1_11comp_targetILNS1_3genE0ELNS1_11target_archE4294967295ELNS1_3gpuE0ELNS1_3repE0EEENS1_38merge_mergepath_config_static_selectorELNS0_4arch9wavefront6targetE1EEEvSL_,comdat
	.protected	_ZN7rocprim17ROCPRIM_400000_NS6detail17trampoline_kernelINS0_14default_configENS1_38merge_sort_block_merge_config_selectorIbiEEZZNS1_27merge_sort_block_merge_implIS3_N6thrust23THRUST_200600_302600_NS6detail15normal_iteratorINS8_10device_ptrIbEEEENSA_INSB_IiEEEEjNS1_19radix_merge_compareILb1ELb0EbNS0_19identity_decomposerEEEEE10hipError_tT0_T1_T2_jT3_P12ihipStream_tbPNSt15iterator_traitsISK_E10value_typeEPNSQ_ISL_E10value_typeEPSM_NS1_7vsmem_tEENKUlT_SK_SL_SM_E_clISD_PbSF_PiEESJ_SZ_SK_SL_SM_EUlSZ_E0_NS1_11comp_targetILNS1_3genE0ELNS1_11target_archE4294967295ELNS1_3gpuE0ELNS1_3repE0EEENS1_38merge_mergepath_config_static_selectorELNS0_4arch9wavefront6targetE1EEEvSL_ ; -- Begin function _ZN7rocprim17ROCPRIM_400000_NS6detail17trampoline_kernelINS0_14default_configENS1_38merge_sort_block_merge_config_selectorIbiEEZZNS1_27merge_sort_block_merge_implIS3_N6thrust23THRUST_200600_302600_NS6detail15normal_iteratorINS8_10device_ptrIbEEEENSA_INSB_IiEEEEjNS1_19radix_merge_compareILb1ELb0EbNS0_19identity_decomposerEEEEE10hipError_tT0_T1_T2_jT3_P12ihipStream_tbPNSt15iterator_traitsISK_E10value_typeEPNSQ_ISL_E10value_typeEPSM_NS1_7vsmem_tEENKUlT_SK_SL_SM_E_clISD_PbSF_PiEESJ_SZ_SK_SL_SM_EUlSZ_E0_NS1_11comp_targetILNS1_3genE0ELNS1_11target_archE4294967295ELNS1_3gpuE0ELNS1_3repE0EEENS1_38merge_mergepath_config_static_selectorELNS0_4arch9wavefront6targetE1EEEvSL_
	.globl	_ZN7rocprim17ROCPRIM_400000_NS6detail17trampoline_kernelINS0_14default_configENS1_38merge_sort_block_merge_config_selectorIbiEEZZNS1_27merge_sort_block_merge_implIS3_N6thrust23THRUST_200600_302600_NS6detail15normal_iteratorINS8_10device_ptrIbEEEENSA_INSB_IiEEEEjNS1_19radix_merge_compareILb1ELb0EbNS0_19identity_decomposerEEEEE10hipError_tT0_T1_T2_jT3_P12ihipStream_tbPNSt15iterator_traitsISK_E10value_typeEPNSQ_ISL_E10value_typeEPSM_NS1_7vsmem_tEENKUlT_SK_SL_SM_E_clISD_PbSF_PiEESJ_SZ_SK_SL_SM_EUlSZ_E0_NS1_11comp_targetILNS1_3genE0ELNS1_11target_archE4294967295ELNS1_3gpuE0ELNS1_3repE0EEENS1_38merge_mergepath_config_static_selectorELNS0_4arch9wavefront6targetE1EEEvSL_
	.p2align	8
	.type	_ZN7rocprim17ROCPRIM_400000_NS6detail17trampoline_kernelINS0_14default_configENS1_38merge_sort_block_merge_config_selectorIbiEEZZNS1_27merge_sort_block_merge_implIS3_N6thrust23THRUST_200600_302600_NS6detail15normal_iteratorINS8_10device_ptrIbEEEENSA_INSB_IiEEEEjNS1_19radix_merge_compareILb1ELb0EbNS0_19identity_decomposerEEEEE10hipError_tT0_T1_T2_jT3_P12ihipStream_tbPNSt15iterator_traitsISK_E10value_typeEPNSQ_ISL_E10value_typeEPSM_NS1_7vsmem_tEENKUlT_SK_SL_SM_E_clISD_PbSF_PiEESJ_SZ_SK_SL_SM_EUlSZ_E0_NS1_11comp_targetILNS1_3genE0ELNS1_11target_archE4294967295ELNS1_3gpuE0ELNS1_3repE0EEENS1_38merge_mergepath_config_static_selectorELNS0_4arch9wavefront6targetE1EEEvSL_,@function
_ZN7rocprim17ROCPRIM_400000_NS6detail17trampoline_kernelINS0_14default_configENS1_38merge_sort_block_merge_config_selectorIbiEEZZNS1_27merge_sort_block_merge_implIS3_N6thrust23THRUST_200600_302600_NS6detail15normal_iteratorINS8_10device_ptrIbEEEENSA_INSB_IiEEEEjNS1_19radix_merge_compareILb1ELb0EbNS0_19identity_decomposerEEEEE10hipError_tT0_T1_T2_jT3_P12ihipStream_tbPNSt15iterator_traitsISK_E10value_typeEPNSQ_ISL_E10value_typeEPSM_NS1_7vsmem_tEENKUlT_SK_SL_SM_E_clISD_PbSF_PiEESJ_SZ_SK_SL_SM_EUlSZ_E0_NS1_11comp_targetILNS1_3genE0ELNS1_11target_archE4294967295ELNS1_3gpuE0ELNS1_3repE0EEENS1_38merge_mergepath_config_static_selectorELNS0_4arch9wavefront6targetE1EEEvSL_: ; @_ZN7rocprim17ROCPRIM_400000_NS6detail17trampoline_kernelINS0_14default_configENS1_38merge_sort_block_merge_config_selectorIbiEEZZNS1_27merge_sort_block_merge_implIS3_N6thrust23THRUST_200600_302600_NS6detail15normal_iteratorINS8_10device_ptrIbEEEENSA_INSB_IiEEEEjNS1_19radix_merge_compareILb1ELb0EbNS0_19identity_decomposerEEEEE10hipError_tT0_T1_T2_jT3_P12ihipStream_tbPNSt15iterator_traitsISK_E10value_typeEPNSQ_ISL_E10value_typeEPSM_NS1_7vsmem_tEENKUlT_SK_SL_SM_E_clISD_PbSF_PiEESJ_SZ_SK_SL_SM_EUlSZ_E0_NS1_11comp_targetILNS1_3genE0ELNS1_11target_archE4294967295ELNS1_3gpuE0ELNS1_3repE0EEENS1_38merge_mergepath_config_static_selectorELNS0_4arch9wavefront6targetE1EEEvSL_
; %bb.0:
	s_load_dwordx2 s[26:27], s[0:1], 0x40
	s_load_dword s5, s[0:1], 0x30
	s_add_u32 s24, s0, 64
	s_addc_u32 s25, s1, 0
	s_waitcnt lgkmcnt(0)
	s_mul_i32 s4, s27, s4
	s_add_i32 s3, s4, s3
	s_mul_i32 s3, s3, s26
	s_add_i32 s22, s3, s2
	s_cmp_ge_u32 s22, s5
	s_cbranch_scc1 .LBB2136_46
; %bb.1:
	s_load_dwordx8 s[8:15], s[0:1], 0x10
	s_load_dwordx2 s[20:21], s[0:1], 0x8
	s_load_dwordx2 s[4:5], s[0:1], 0x38
	s_mov_b32 s23, 0
	v_mov_b32_e32 v3, 0
	s_waitcnt lgkmcnt(0)
	s_lshr_b32 s27, s14, 10
	s_cmp_lg_u32 s22, s27
	s_cselect_b64 s[16:17], -1, 0
	s_lshl_b64 s[0:1], s[22:23], 2
	s_add_u32 s4, s4, s0
	s_addc_u32 s5, s5, s1
	s_lshr_b32 s3, s15, 9
	s_and_b32 s3, s3, 0x7ffffe
	s_load_dwordx2 s[0:1], s[4:5], 0x0
	s_sub_i32 s3, 0, s3
	s_and_b32 s4, s22, s3
	s_lshl_b32 s5, s4, 10
	s_lshl_b32 s6, s22, 10
	s_lshl_b32 s4, s4, 11
	s_sub_i32 s7, s6, s5
	s_add_i32 s18, s4, s15
	s_add_i32 s7, s18, s7
	s_waitcnt lgkmcnt(0)
	s_sub_i32 s4, s7, s0
	s_sub_i32 s7, s7, s1
	;; [unrolled: 1-line block ×3, first 2 shown]
	s_min_u32 s4, s14, s4
	s_addk_i32 s7, 0x400
	s_or_b32 s3, s22, s3
	s_min_u32 s18, s14, s5
	s_add_i32 s5, s5, s15
	s_cmp_eq_u32 s3, -1
	s_cselect_b32 s3, s5, s7
	s_cselect_b32 s1, s18, s1
	s_min_u32 s15, s3, s14
	s_sub_i32 s7, s1, s0
	s_add_u32 s18, s20, s0
	s_addc_u32 s19, s21, 0
	s_add_u32 s20, s20, s4
	s_addc_u32 s21, s21, 0
	s_cmp_lt_u32 s2, s26
	s_cselect_b32 s1, 12, 18
	global_load_dword v1, v3, s[24:25] offset:14
	s_add_u32 s2, s24, s1
	s_addc_u32 s3, s25, 0
	global_load_ushort v2, v3, s[2:3]
	s_mov_b32 s1, s23
	s_mov_b32 s5, s23
	s_cmp_eq_u32 s22, s27
	s_waitcnt vmcnt(1)
	v_lshrrev_b32_e32 v4, 16, v1
	v_and_b32_e32 v1, 0xffff, v1
	v_mul_lo_u32 v1, v1, v4
	s_waitcnt vmcnt(0)
	v_mul_lo_u32 v13, v1, v2
	v_add_u32_e32 v10, v13, v0
	v_add_u32_e32 v8, v10, v13
	s_cbranch_scc1 .LBB2136_3
; %bb.2:
	v_mov_b32_e32 v1, v3
	v_subrev_co_u32_e32 v2, vcc, s7, v0
	v_lshl_add_u64 v[4:5], s[18:19], 0, v[0:1]
	v_lshl_add_u64 v[6:7], s[20:21], 0, v[2:3]
	v_cndmask_b32_e32 v5, v7, v5, vcc
	v_cndmask_b32_e32 v4, v6, v4, vcc
	v_mov_b32_e32 v11, v3
	v_subrev_co_u32_e32 v2, vcc, s7, v10
	v_lshl_add_u64 v[6:7], s[18:19], 0, v[10:11]
	v_lshl_add_u64 v[14:15], s[20:21], 0, v[2:3]
	v_cndmask_b32_e32 v7, v15, v7, vcc
	v_cndmask_b32_e32 v6, v14, v6, vcc
	;; [unrolled: 6-line block ×3, first 2 shown]
	global_load_ubyte v1, v[4:5], off
	global_load_ubyte v9, v[6:7], off
	;; [unrolled: 1-line block ×3, first 2 shown]
	s_mov_b32 s2, 0xc0c0004
	v_add_u32_e32 v2, v8, v13
	s_waitcnt vmcnt(1)
	v_perm_b32 v1, v1, v9, s2
	s_waitcnt vmcnt(0)
	v_lshl_or_b32 v14, v11, 16, v1
	s_mov_b64 s[2:3], -1
	s_sub_i32 s15, s15, s4
	s_cbranch_execz .LBB2136_4
	s_branch .LBB2136_9
.LBB2136_3:
	s_mov_b64 s[2:3], 0
                                        ; implicit-def: $vgpr2
                                        ; implicit-def: $vgpr14
	s_sub_i32 s15, s15, s4
.LBB2136_4:
	s_add_i32 s22, s15, s7
	v_cmp_gt_u32_e32 vcc, s22, v0
	v_mov_b32_e32 v14, 0
	s_and_saveexec_b64 s[2:3], vcc
	s_cbranch_execnz .LBB2136_47
; %bb.5:
	s_or_b64 exec, exec, s[2:3]
	v_cmp_gt_u32_e32 vcc, s22, v10
	s_and_saveexec_b64 s[2:3], vcc
	s_cbranch_execnz .LBB2136_48
.LBB2136_6:
	s_or_b64 exec, exec, s[2:3]
	v_cmp_gt_u32_e32 vcc, s22, v8
	s_and_saveexec_b64 s[2:3], vcc
	s_cbranch_execz .LBB2136_8
.LBB2136_7:
	v_mov_b32_e32 v9, 0
	v_subrev_co_u32_e32 v4, vcc, s7, v8
	v_mov_b32_e32 v5, v9
	v_lshl_add_u64 v[2:3], s[18:19], 0, v[8:9]
	v_lshl_add_u64 v[4:5], s[20:21], 0, v[4:5]
	v_cndmask_b32_e32 v3, v5, v3, vcc
	v_cndmask_b32_e32 v2, v4, v2, vcc
	global_load_ubyte v1, v[2:3], off
	s_waitcnt vmcnt(0)
	v_lshl_or_b32 v14, v1, 16, v14
.LBB2136_8:
	s_or_b64 exec, exec, s[2:3]
	v_add_u32_e32 v2, v8, v13
	v_cmp_gt_u32_e64 s[2:3], s22, v2
.LBB2136_9:
	s_and_saveexec_b64 s[22:23], s[2:3]
	s_cbranch_execz .LBB2136_11
; %bb.10:
	v_mov_b32_e32 v5, 0
	v_mov_b32_e32 v3, v5
	v_subrev_co_u32_e32 v4, vcc, s7, v2
	v_lshl_add_u64 v[6:7], s[18:19], 0, v[2:3]
	v_lshl_add_u64 v[2:3], s[20:21], 0, v[4:5]
	v_cndmask_b32_e32 v3, v3, v7, vcc
	v_cndmask_b32_e32 v2, v2, v6, vcc
	global_load_ubyte v1, v[2:3], off
	s_mov_b32 s2, 0x60504
	s_waitcnt vmcnt(0)
	v_perm_b32 v14, v14, v1, s2
.LBB2136_11:
	s_or_b64 exec, exec, s[22:23]
	s_lshl_b64 s[0:1], s[0:1], 2
	s_add_u32 s0, s10, s0
	s_addc_u32 s1, s11, s1
	s_lshl_b64 s[2:3], s[4:5], 2
	s_add_u32 s2, s10, s2
	s_waitcnt vmcnt(0)
	v_lshrrev_b32_e32 v15, 16, v14
	v_mov_b32_e32 v1, 0
	v_lshrrev_b32_e32 v16, 8, v14
	v_lshrrev_b32_e32 v17, 24, v14
	s_addc_u32 s3, s11, s3
	s_andn2_b64 vcc, exec, s[16:17]
	v_lshlrev_b32_e32 v6, 2, v0
	ds_write_b8 v0, v14
	ds_write_b8 v0, v16 offset:256
	ds_write_b8 v0, v15 offset:512
	;; [unrolled: 1-line block ×3, first 2 shown]
	s_cbranch_vccnz .LBB2136_13
; %bb.12:
	v_mov_b32_e32 v7, v1
	v_subrev_co_u32_e32 v4, vcc, s7, v0
	v_mov_b32_e32 v5, v1
	v_lshl_add_u64 v[2:3], s[0:1], 0, v[6:7]
	v_lshl_add_u64 v[4:5], v[4:5], 2, s[2:3]
	v_cndmask_b32_e32 v3, v5, v3, vcc
	v_cndmask_b32_e32 v2, v4, v2, vcc
	v_mov_b32_e32 v11, v1
	v_subrev_co_u32_e32 v18, vcc, s7, v10
	v_mov_b32_e32 v19, v1
	v_lshl_add_u64 v[4:5], v[10:11], 2, s[0:1]
	v_lshl_add_u64 v[18:19], v[18:19], 2, s[2:3]
	v_cndmask_b32_e32 v5, v19, v5, vcc
	v_cndmask_b32_e32 v4, v18, v4, vcc
	v_mov_b32_e32 v9, v1
	v_subrev_co_u32_e32 v18, vcc, s7, v8
	v_mov_b32_e32 v19, v1
	global_load_dword v2, v[2:3], off
	v_lshl_add_u64 v[18:19], v[18:19], 2, s[2:3]
	global_load_dword v3, v[4:5], off
	v_lshl_add_u64 v[4:5], v[8:9], 2, s[0:1]
	v_cndmask_b32_e32 v5, v19, v5, vcc
	v_cndmask_b32_e32 v4, v18, v4, vcc
	global_load_dword v4, v[4:5], off
	s_add_i32 s18, s15, s7
	v_mov_b32_e32 v5, v1
	v_add_u32_e32 v12, v8, v13
	s_mov_b64 s[4:5], -1
	v_mov_b32_e32 v9, s18
	s_cbranch_execz .LBB2136_14
	s_branch .LBB2136_19
.LBB2136_13:
	s_mov_b64 s[4:5], 0
                                        ; implicit-def: $vgpr12
                                        ; implicit-def: $vgpr2_vgpr3_vgpr4_vgpr5
                                        ; implicit-def: $vgpr9
.LBB2136_14:
	s_add_i32 s10, s15, s7
	s_waitcnt vmcnt(2)
	v_mov_b32_e32 v2, 0
	v_cmp_gt_u32_e32 vcc, s10, v0
	s_waitcnt vmcnt(1)
	v_mov_b32_e32 v3, v2
	s_waitcnt vmcnt(0)
	v_mov_b32_e32 v4, v2
	v_mov_b32_e32 v5, v2
	s_and_saveexec_b64 s[4:5], vcc
	s_cbranch_execnz .LBB2136_49
; %bb.15:
	s_or_b64 exec, exec, s[4:5]
	v_cmp_gt_u32_e32 vcc, s10, v10
	s_and_saveexec_b64 s[4:5], vcc
	s_cbranch_execnz .LBB2136_50
.LBB2136_16:
	s_or_b64 exec, exec, s[4:5]
	v_cmp_gt_u32_e32 vcc, s10, v8
	s_and_saveexec_b64 s[4:5], vcc
	s_cbranch_execz .LBB2136_18
.LBB2136_17:
	v_mov_b32_e32 v9, 0
	v_subrev_co_u32_e32 v18, vcc, s7, v8
	v_mov_b32_e32 v19, v9
	v_lshl_add_u64 v[10:11], v[8:9], 2, s[0:1]
	v_lshl_add_u64 v[18:19], v[18:19], 2, s[2:3]
	v_cndmask_b32_e32 v11, v19, v11, vcc
	v_cndmask_b32_e32 v10, v18, v10, vcc
	global_load_dword v4, v[10:11], off
.LBB2136_18:
	s_or_b64 exec, exec, s[4:5]
	v_add_u32_e32 v12, v8, v13
	v_cmp_gt_u32_e64 s[4:5], s10, v12
	v_mov_b32_e32 v9, s10
.LBB2136_19:
	s_and_saveexec_b64 s[10:11], s[4:5]
	s_cbranch_execz .LBB2136_21
; %bb.20:
	v_mov_b32_e32 v11, 0
	v_mov_b32_e32 v13, v11
	v_subrev_co_u32_e32 v10, vcc, s7, v12
	v_lshl_add_u64 v[18:19], v[12:13], 2, s[0:1]
	v_lshl_add_u64 v[10:11], v[10:11], 2, s[2:3]
	v_cndmask_b32_e32 v11, v11, v19, vcc
	v_cndmask_b32_e32 v10, v10, v18, vcc
	global_load_dword v5, v[10:11], off
.LBB2136_21:
	s_or_b64 exec, exec, s[10:11]
	v_lshlrev_b32_e32 v7, 2, v0
	v_min_u32_e32 v10, v9, v7
	v_sub_u32_e64 v8, v10, s15 clamp
	v_min_u32_e32 v11, s7, v10
	v_cmp_lt_u32_e32 vcc, v8, v11
	s_waitcnt lgkmcnt(0)
	s_barrier
	s_and_saveexec_b64 s[0:1], vcc
	s_cbranch_execz .LBB2136_25
; %bb.22:
	v_add_u32_e32 v12, s7, v10
	s_mov_b64 s[2:3], 0
.LBB2136_23:                            ; =>This Inner Loop Header: Depth=1
	v_add_u32_e32 v13, v11, v8
	v_lshrrev_b32_e32 v13, 1, v13
	v_xad_u32 v18, v13, -1, v12
	ds_read_u8 v19, v13
	ds_read_u8 v18, v18
	v_add_u32_e32 v20, 1, v13
	s_waitcnt lgkmcnt(0)
	v_cmp_gt_u16_e32 vcc, v18, v19
	s_nop 1
	v_cndmask_b32_e32 v11, v11, v13, vcc
	v_cndmask_b32_e32 v8, v20, v8, vcc
	v_cmp_ge_u32_e32 vcc, v8, v11
	s_or_b64 s[2:3], vcc, s[2:3]
	s_andn2_b64 exec, exec, s[2:3]
	s_cbranch_execnz .LBB2136_23
; %bb.24:
	s_or_b64 exec, exec, s[2:3]
.LBB2136_25:
	s_or_b64 exec, exec, s[0:1]
	v_sub_u32_e32 v10, v10, v8
	v_add_u32_e32 v18, s7, v10
	v_cmp_ge_u32_e32 vcc, s7, v8
	v_cmp_le_u32_e64 s[0:1], v18, v9
	s_or_b64 s[0:1], vcc, s[0:1]
	v_mov_b32_e32 v12, 0
	v_mov_b32_e32 v13, 0
	;; [unrolled: 1-line block ×4, first 2 shown]
	s_and_saveexec_b64 s[10:11], s[0:1]
	s_cbranch_execz .LBB2136_31
; %bb.26:
	v_cmp_gt_u32_e32 vcc, s7, v8
                                        ; implicit-def: $vgpr12
	s_and_saveexec_b64 s[0:1], vcc
; %bb.27:
	ds_read_u8 v12, v8
; %bb.28:
	s_or_b64 exec, exec, s[0:1]
	v_cmp_ge_u32_e64 s[0:1], v18, v9
	v_cmp_lt_u32_e64 s[2:3], v18, v9
                                        ; implicit-def: $vgpr14
	s_and_saveexec_b64 s[4:5], s[2:3]
; %bb.29:
	ds_read_u8 v14, v18
; %bb.30:
	s_or_b64 exec, exec, s[4:5]
	s_waitcnt lgkmcnt(0)
	v_cmp_le_u16_sdwa s[2:3], v14, v12 src0_sel:BYTE_0 src1_sel:BYTE_0
	s_and_b64 s[2:3], vcc, s[2:3]
	s_or_b64 vcc, s[0:1], s[2:3]
	v_mov_b32_e32 v15, s7
	v_cndmask_b32_e32 v10, v18, v8, vcc
	v_cndmask_b32_e32 v11, v9, v15, vcc
	v_add_u32_e32 v13, 1, v10
	v_add_u32_e32 v11, -1, v11
	v_min_u32_e32 v11, v13, v11
	ds_read_u8 v11, v11
	v_cndmask_b32_e32 v8, v8, v13, vcc
	v_cndmask_b32_e32 v18, v13, v18, vcc
	v_cmp_gt_u32_e64 s[2:3], s7, v8
	v_cmp_ge_u32_e64 s[0:1], v18, v9
	s_waitcnt lgkmcnt(0)
	v_cndmask_b32_e32 v16, v11, v14, vcc
	v_cndmask_b32_e32 v17, v12, v11, vcc
	v_cmp_le_u16_sdwa s[4:5], v16, v17 src0_sel:BYTE_0 src1_sel:BYTE_0
	s_and_b64 s[2:3], s[2:3], s[4:5]
	s_or_b64 s[0:1], s[0:1], s[2:3]
	v_cndmask_b32_e64 v11, v18, v8, s[0:1]
	v_cndmask_b32_e64 v13, v9, v15, s[0:1]
	v_add_u32_e32 v19, 1, v11
	v_add_u32_e32 v13, -1, v13
	v_min_u32_e32 v13, v19, v13
	ds_read_u8 v13, v13
	v_cndmask_b32_e64 v8, v8, v19, s[0:1]
	v_cndmask_b32_e64 v18, v19, v18, s[0:1]
	v_cmp_gt_u32_e64 s[4:5], s7, v8
	v_cmp_ge_u32_e64 s[2:3], v18, v9
	s_waitcnt lgkmcnt(0)
	v_cndmask_b32_e64 v20, v13, v16, s[0:1]
	v_cndmask_b32_e64 v21, v17, v13, s[0:1]
	v_cmp_le_u16_sdwa s[18:19], v20, v21 src0_sel:BYTE_0 src1_sel:BYTE_0
	s_and_b64 s[4:5], s[4:5], s[18:19]
	s_or_b64 s[2:3], s[2:3], s[4:5]
	v_cndmask_b32_e64 v13, v18, v8, s[2:3]
	v_cndmask_b32_e64 v15, v9, v15, s[2:3]
	v_add_u32_e32 v19, 1, v13
	v_add_u32_e32 v15, -1, v15
	v_min_u32_e32 v15, v19, v15
	ds_read_u8 v22, v15
	v_cndmask_b32_e64 v16, v16, v17, s[0:1]
	v_cndmask_b32_e64 v15, v20, v21, s[2:3]
	;; [unrolled: 1-line block ×3, first 2 shown]
	v_cndmask_b32_e32 v14, v14, v12, vcc
	s_waitcnt lgkmcnt(0)
	v_cndmask_b32_e64 v17, v22, v20, s[2:3]
	v_cndmask_b32_e64 v20, v21, v22, s[2:3]
	;; [unrolled: 1-line block ×3, first 2 shown]
	v_cmp_gt_u32_e64 s[0:1], s7, v8
	v_cmp_le_u16_sdwa s[2:3], v17, v20 src0_sel:BYTE_0 src1_sel:BYTE_0
	v_cmp_ge_u32_e32 vcc, v12, v9
	s_and_b64 s[0:1], s[0:1], s[2:3]
	s_or_b64 vcc, vcc, s[0:1]
	v_cndmask_b32_e32 v12, v12, v8, vcc
	v_cndmask_b32_e32 v17, v17, v20, vcc
.LBB2136_31:
	s_or_b64 exec, exec, s[10:11]
	v_mad_u32_u24 v8, v0, 3, v0
	s_barrier
	s_waitcnt vmcnt(0)
	ds_write2st64_b32 v8, v2, v3 offset1:4
	ds_write2st64_b32 v8, v4, v5 offset0:8 offset1:12
	v_lshlrev_b32_e32 v2, 2, v10
	v_lshlrev_b32_e32 v10, 2, v12
	s_waitcnt lgkmcnt(0)
	s_barrier
	v_lshlrev_b32_e32 v3, 2, v11
	v_lshlrev_b32_e32 v4, 2, v13
	ds_read_b32 v5, v2
	ds_read_b32 v8, v3
	;; [unrolled: 1-line block ×4, first 2 shown]
	v_lshrrev_b32_e32 v11, 3, v0
	v_and_b32_e32 v2, 28, v11
	s_mov_b32 s2, 0xc0c0004
	v_add_u32_e32 v4, v2, v7
	v_perm_b32 v2, v14, v16, s2
	v_perm_b32 v3, v15, v17, s2
	v_or_b32_e32 v17, 0x100, v0
	v_or_b32_e32 v16, 0x200, v0
	;; [unrolled: 1-line block ×3, first 2 shown]
	s_add_u32 s0, s8, s6
	v_lshrrev_b32_e32 v12, 5, v17
	v_lshrrev_b32_e32 v13, 5, v16
	;; [unrolled: 1-line block ×3, first 2 shown]
	s_addc_u32 s1, s9, 0
	v_lshl_or_b32 v2, v3, 16, v2
	v_lshrrev_b32_e32 v22, 5, v0
	v_and_b32_e32 v19, 12, v12
	v_and_b32_e32 v20, 20, v13
	;; [unrolled: 1-line block ×3, first 2 shown]
	s_waitcnt lgkmcnt(0)
	s_barrier
	s_barrier
	s_mov_b32 s7, 0
	ds_write_b32 v4, v2
	v_and_b32_e32 v18, 4, v22
	v_lshl_add_u64 v[2:3], s[0:1], 0, v[0:1]
	s_and_b64 vcc, exec, s[16:17]
	v_add_u32_e32 v19, v19, v0
	v_add_u32_e32 v20, v20, v0
	;; [unrolled: 1-line block ×3, first 2 shown]
	v_lshlrev_b32_e32 v1, 2, v7
	s_waitcnt lgkmcnt(0)
	s_cbranch_vccz .LBB2136_33
; %bb.32:
	v_add_u32_e32 v23, v18, v0
	s_barrier
	ds_read_u8 v23, v23
	ds_read_u8 v24, v19 offset:256
	ds_read_u8 v25, v20 offset:512
	;; [unrolled: 1-line block ×3, first 2 shown]
	v_lshl_add_u32 v22, v22, 2, v7
	s_lshl_b64 s[0:1], s[6:7], 2
	s_waitcnt lgkmcnt(3)
	global_store_byte v[2:3], v23, off
	s_waitcnt lgkmcnt(2)
	global_store_byte v[2:3], v24, off offset:256
	s_waitcnt lgkmcnt(1)
	global_store_byte v[2:3], v25, off offset:512
	;; [unrolled: 2-line block ×3, first 2 shown]
	v_lshl_add_u32 v23, v11, 2, v1
	s_barrier
	ds_write2_b32 v23, v5, v8 offset1:1
	ds_write2_b32 v23, v9, v10 offset0:2 offset1:3
	v_lshl_add_u32 v23, v12, 2, v7
	v_lshl_add_u32 v24, v13, 2, v7
	s_waitcnt lgkmcnt(0)
	s_barrier
	ds_read_b32 v25, v22
	ds_read_b32 v23, v23 offset:1024
	ds_read_b32 v24, v24 offset:2048
	v_lshl_add_u32 v22, v14, 2, v7
	ds_read_b32 v22, v22 offset:3072
	s_add_u32 s0, s12, s0
	s_addc_u32 s1, s13, s1
	s_waitcnt lgkmcnt(3)
	global_store_dword v6, v25, s[0:1]
	s_waitcnt lgkmcnt(2)
	global_store_dword v6, v23, s[0:1] offset:1024
	s_waitcnt lgkmcnt(1)
	global_store_dword v6, v24, s[0:1] offset:2048
	s_mov_b64 s[4:5], -1
	s_cbranch_execz .LBB2136_34
	s_branch .LBB2136_44
.LBB2136_33:
	s_mov_b64 s[4:5], 0
                                        ; implicit-def: $vgpr22
.LBB2136_34:
	s_barrier
	s_waitcnt lgkmcnt(0)
	ds_read_u8 v22, v19 offset:256
	ds_read_u8 v20, v20 offset:512
	ds_read_u8 v19, v21 offset:768
	s_sub_i32 s8, s14, s6
	v_cmp_gt_u32_e32 vcc, s8, v0
	s_and_saveexec_b64 s[0:1], vcc
	s_cbranch_execnz .LBB2136_51
; %bb.35:
	s_or_b64 exec, exec, s[0:1]
	v_cmp_gt_u32_e64 s[0:1], s8, v17
	s_and_saveexec_b64 s[2:3], s[0:1]
	s_cbranch_execnz .LBB2136_52
.LBB2136_36:
	s_or_b64 exec, exec, s[2:3]
	v_cmp_gt_u32_e64 s[2:3], s8, v16
	s_and_saveexec_b64 s[4:5], s[2:3]
	s_cbranch_execnz .LBB2136_53
.LBB2136_37:
	s_or_b64 exec, exec, s[4:5]
	v_cmp_gt_u32_e64 s[4:5], s8, v15
	s_and_saveexec_b64 s[8:9], s[4:5]
	s_cbranch_execz .LBB2136_39
.LBB2136_38:
	s_waitcnt lgkmcnt(0)
	global_store_byte v[2:3], v19, off offset:768
.LBB2136_39:
	s_or_b64 exec, exec, s[8:9]
	v_lshl_add_u32 v0, v11, 2, v1
	s_waitcnt lgkmcnt(0)
	s_barrier
	ds_write2_b32 v0, v5, v8 offset1:1
	ds_write2_b32 v0, v9, v10 offset0:2 offset1:3
	v_lshl_add_u32 v0, v12, 2, v7
	s_waitcnt lgkmcnt(0)
	s_barrier
	v_lshl_add_u32 v1, v13, 2, v7
	v_lshl_add_u32 v5, v14, 2, v7
	ds_read_b32 v3, v0 offset:1024
	ds_read_b32 v2, v1 offset:2048
	;; [unrolled: 1-line block ×3, first 2 shown]
	s_lshl_b64 s[8:9], s[6:7], 2
	s_add_u32 s8, s12, s8
	s_addc_u32 s9, s13, s9
	v_mov_b32_e32 v7, 0
	v_lshl_add_u64 v[0:1], s[8:9], 0, v[6:7]
	s_and_saveexec_b64 s[8:9], vcc
	s_cbranch_execnz .LBB2136_54
; %bb.40:
	s_or_b64 exec, exec, s[8:9]
	s_and_saveexec_b64 s[8:9], s[0:1]
	s_cbranch_execnz .LBB2136_55
.LBB2136_41:
	s_or_b64 exec, exec, s[8:9]
	s_and_saveexec_b64 s[0:1], s[2:3]
	s_cbranch_execz .LBB2136_43
.LBB2136_42:
	s_waitcnt lgkmcnt(1)
	global_store_dword v[0:1], v2, off offset:2048
.LBB2136_43:
	s_or_b64 exec, exec, s[0:1]
.LBB2136_44:
	s_and_saveexec_b64 s[0:1], s[4:5]
	s_cbranch_execz .LBB2136_46
; %bb.45:
	s_lshl_b64 s[0:1], s[6:7], 2
	s_add_u32 s0, s12, s0
	s_addc_u32 s1, s13, s1
	s_waitcnt lgkmcnt(0)
	global_store_dword v6, v22, s[0:1] offset:3072
.LBB2136_46:
	s_endpgm
.LBB2136_47:
	v_mov_b32_e32 v1, 0
	v_subrev_co_u32_e32 v4, vcc, s7, v0
	v_mov_b32_e32 v5, v1
	v_lshl_add_u64 v[2:3], s[18:19], 0, v[0:1]
	v_lshl_add_u64 v[4:5], s[20:21], 0, v[4:5]
	v_cndmask_b32_e32 v3, v5, v3, vcc
	v_cndmask_b32_e32 v2, v4, v2, vcc
	global_load_ubyte v14, v[2:3], off
	s_or_b64 exec, exec, s[2:3]
	v_cmp_gt_u32_e32 vcc, s22, v10
	s_and_saveexec_b64 s[2:3], vcc
	s_cbranch_execz .LBB2136_6
.LBB2136_48:
	v_mov_b32_e32 v11, 0
	v_subrev_co_u32_e32 v4, vcc, s7, v10
	v_mov_b32_e32 v5, v11
	v_lshl_add_u64 v[2:3], s[18:19], 0, v[10:11]
	v_lshl_add_u64 v[4:5], s[20:21], 0, v[4:5]
	v_cndmask_b32_e32 v3, v5, v3, vcc
	v_cndmask_b32_e32 v2, v4, v2, vcc
	global_load_ubyte v1, v[2:3], off
	s_waitcnt vmcnt(0)
	v_lshlrev_b16_e32 v1, 8, v1
	v_or_b32_e32 v1, v14, v1
	v_and_b32_e32 v14, 0xffff, v1
	s_or_b64 exec, exec, s[2:3]
	v_cmp_gt_u32_e32 vcc, s22, v8
	s_and_saveexec_b64 s[2:3], vcc
	s_cbranch_execnz .LBB2136_7
	s_branch .LBB2136_8
.LBB2136_49:
	v_mov_b32_e32 v7, v2
	v_subrev_co_u32_e32 v18, vcc, s7, v0
	v_mov_b32_e32 v19, v2
	v_lshl_add_u64 v[4:5], s[0:1], 0, v[6:7]
	v_lshl_add_u64 v[18:19], v[18:19], 2, s[2:3]
	v_cndmask_b32_e32 v5, v19, v5, vcc
	v_cndmask_b32_e32 v4, v18, v4, vcc
	global_load_dword v18, v[4:5], off
	v_mov_b32_e32 v19, v2
	v_mov_b32_e32 v20, v2
	;; [unrolled: 1-line block ×3, first 2 shown]
	s_waitcnt vmcnt(0)
	v_mov_b64_e32 v[2:3], v[18:19]
	v_mov_b64_e32 v[4:5], v[20:21]
	s_or_b64 exec, exec, s[4:5]
	v_cmp_gt_u32_e32 vcc, s10, v10
	s_and_saveexec_b64 s[4:5], vcc
	s_cbranch_execz .LBB2136_16
.LBB2136_50:
	v_mov_b32_e32 v11, 0
	v_lshl_add_u64 v[18:19], v[10:11], 2, s[0:1]
	v_subrev_co_u32_e32 v10, vcc, s7, v10
	v_lshl_add_u64 v[10:11], v[10:11], 2, s[2:3]
	s_nop 0
	v_cndmask_b32_e32 v11, v11, v19, vcc
	v_cndmask_b32_e32 v10, v10, v18, vcc
	global_load_dword v3, v[10:11], off
	s_or_b64 exec, exec, s[4:5]
	v_cmp_gt_u32_e32 vcc, s10, v8
	s_and_saveexec_b64 s[4:5], vcc
	s_cbranch_execnz .LBB2136_17
	s_branch .LBB2136_18
.LBB2136_51:
	v_add_u32_e32 v0, v18, v0
	ds_read_u8 v0, v0
	s_waitcnt lgkmcnt(0)
	global_store_byte v[2:3], v0, off
	s_or_b64 exec, exec, s[0:1]
	v_cmp_gt_u32_e64 s[0:1], s8, v17
	s_and_saveexec_b64 s[2:3], s[0:1]
	s_cbranch_execz .LBB2136_36
.LBB2136_52:
	s_waitcnt lgkmcnt(2)
	global_store_byte v[2:3], v22, off offset:256
	s_or_b64 exec, exec, s[2:3]
	v_cmp_gt_u32_e64 s[2:3], s8, v16
	s_and_saveexec_b64 s[4:5], s[2:3]
	s_cbranch_execz .LBB2136_37
.LBB2136_53:
	s_waitcnt lgkmcnt(1)
	global_store_byte v[2:3], v20, off offset:512
	s_or_b64 exec, exec, s[4:5]
	v_cmp_gt_u32_e64 s[4:5], s8, v15
	s_and_saveexec_b64 s[8:9], s[4:5]
	s_cbranch_execnz .LBB2136_38
	s_branch .LBB2136_39
.LBB2136_54:
	ds_read_b32 v4, v4
	s_waitcnt lgkmcnt(0)
	global_store_dword v[0:1], v4, off
	s_or_b64 exec, exec, s[8:9]
	s_and_saveexec_b64 s[8:9], s[0:1]
	s_cbranch_execz .LBB2136_41
.LBB2136_55:
	s_waitcnt lgkmcnt(2)
	global_store_dword v[0:1], v3, off offset:1024
	s_or_b64 exec, exec, s[8:9]
	s_and_saveexec_b64 s[0:1], s[2:3]
	s_cbranch_execnz .LBB2136_42
	s_branch .LBB2136_43
	.section	.rodata,"a",@progbits
	.p2align	6, 0x0
	.amdhsa_kernel _ZN7rocprim17ROCPRIM_400000_NS6detail17trampoline_kernelINS0_14default_configENS1_38merge_sort_block_merge_config_selectorIbiEEZZNS1_27merge_sort_block_merge_implIS3_N6thrust23THRUST_200600_302600_NS6detail15normal_iteratorINS8_10device_ptrIbEEEENSA_INSB_IiEEEEjNS1_19radix_merge_compareILb1ELb0EbNS0_19identity_decomposerEEEEE10hipError_tT0_T1_T2_jT3_P12ihipStream_tbPNSt15iterator_traitsISK_E10value_typeEPNSQ_ISL_E10value_typeEPSM_NS1_7vsmem_tEENKUlT_SK_SL_SM_E_clISD_PbSF_PiEESJ_SZ_SK_SL_SM_EUlSZ_E0_NS1_11comp_targetILNS1_3genE0ELNS1_11target_archE4294967295ELNS1_3gpuE0ELNS1_3repE0EEENS1_38merge_mergepath_config_static_selectorELNS0_4arch9wavefront6targetE1EEEvSL_
		.amdhsa_group_segment_fixed_size 4224
		.amdhsa_private_segment_fixed_size 0
		.amdhsa_kernarg_size 320
		.amdhsa_user_sgpr_count 2
		.amdhsa_user_sgpr_dispatch_ptr 0
		.amdhsa_user_sgpr_queue_ptr 0
		.amdhsa_user_sgpr_kernarg_segment_ptr 1
		.amdhsa_user_sgpr_dispatch_id 0
		.amdhsa_user_sgpr_kernarg_preload_length 0
		.amdhsa_user_sgpr_kernarg_preload_offset 0
		.amdhsa_user_sgpr_private_segment_size 0
		.amdhsa_uses_dynamic_stack 0
		.amdhsa_enable_private_segment 0
		.amdhsa_system_sgpr_workgroup_id_x 1
		.amdhsa_system_sgpr_workgroup_id_y 1
		.amdhsa_system_sgpr_workgroup_id_z 1
		.amdhsa_system_sgpr_workgroup_info 0
		.amdhsa_system_vgpr_workitem_id 0
		.amdhsa_next_free_vgpr 27
		.amdhsa_next_free_sgpr 28
		.amdhsa_accum_offset 28
		.amdhsa_reserve_vcc 1
		.amdhsa_float_round_mode_32 0
		.amdhsa_float_round_mode_16_64 0
		.amdhsa_float_denorm_mode_32 3
		.amdhsa_float_denorm_mode_16_64 3
		.amdhsa_dx10_clamp 1
		.amdhsa_ieee_mode 1
		.amdhsa_fp16_overflow 0
		.amdhsa_tg_split 0
		.amdhsa_exception_fp_ieee_invalid_op 0
		.amdhsa_exception_fp_denorm_src 0
		.amdhsa_exception_fp_ieee_div_zero 0
		.amdhsa_exception_fp_ieee_overflow 0
		.amdhsa_exception_fp_ieee_underflow 0
		.amdhsa_exception_fp_ieee_inexact 0
		.amdhsa_exception_int_div_zero 0
	.end_amdhsa_kernel
	.section	.text._ZN7rocprim17ROCPRIM_400000_NS6detail17trampoline_kernelINS0_14default_configENS1_38merge_sort_block_merge_config_selectorIbiEEZZNS1_27merge_sort_block_merge_implIS3_N6thrust23THRUST_200600_302600_NS6detail15normal_iteratorINS8_10device_ptrIbEEEENSA_INSB_IiEEEEjNS1_19radix_merge_compareILb1ELb0EbNS0_19identity_decomposerEEEEE10hipError_tT0_T1_T2_jT3_P12ihipStream_tbPNSt15iterator_traitsISK_E10value_typeEPNSQ_ISL_E10value_typeEPSM_NS1_7vsmem_tEENKUlT_SK_SL_SM_E_clISD_PbSF_PiEESJ_SZ_SK_SL_SM_EUlSZ_E0_NS1_11comp_targetILNS1_3genE0ELNS1_11target_archE4294967295ELNS1_3gpuE0ELNS1_3repE0EEENS1_38merge_mergepath_config_static_selectorELNS0_4arch9wavefront6targetE1EEEvSL_,"axG",@progbits,_ZN7rocprim17ROCPRIM_400000_NS6detail17trampoline_kernelINS0_14default_configENS1_38merge_sort_block_merge_config_selectorIbiEEZZNS1_27merge_sort_block_merge_implIS3_N6thrust23THRUST_200600_302600_NS6detail15normal_iteratorINS8_10device_ptrIbEEEENSA_INSB_IiEEEEjNS1_19radix_merge_compareILb1ELb0EbNS0_19identity_decomposerEEEEE10hipError_tT0_T1_T2_jT3_P12ihipStream_tbPNSt15iterator_traitsISK_E10value_typeEPNSQ_ISL_E10value_typeEPSM_NS1_7vsmem_tEENKUlT_SK_SL_SM_E_clISD_PbSF_PiEESJ_SZ_SK_SL_SM_EUlSZ_E0_NS1_11comp_targetILNS1_3genE0ELNS1_11target_archE4294967295ELNS1_3gpuE0ELNS1_3repE0EEENS1_38merge_mergepath_config_static_selectorELNS0_4arch9wavefront6targetE1EEEvSL_,comdat
.Lfunc_end2136:
	.size	_ZN7rocprim17ROCPRIM_400000_NS6detail17trampoline_kernelINS0_14default_configENS1_38merge_sort_block_merge_config_selectorIbiEEZZNS1_27merge_sort_block_merge_implIS3_N6thrust23THRUST_200600_302600_NS6detail15normal_iteratorINS8_10device_ptrIbEEEENSA_INSB_IiEEEEjNS1_19radix_merge_compareILb1ELb0EbNS0_19identity_decomposerEEEEE10hipError_tT0_T1_T2_jT3_P12ihipStream_tbPNSt15iterator_traitsISK_E10value_typeEPNSQ_ISL_E10value_typeEPSM_NS1_7vsmem_tEENKUlT_SK_SL_SM_E_clISD_PbSF_PiEESJ_SZ_SK_SL_SM_EUlSZ_E0_NS1_11comp_targetILNS1_3genE0ELNS1_11target_archE4294967295ELNS1_3gpuE0ELNS1_3repE0EEENS1_38merge_mergepath_config_static_selectorELNS0_4arch9wavefront6targetE1EEEvSL_, .Lfunc_end2136-_ZN7rocprim17ROCPRIM_400000_NS6detail17trampoline_kernelINS0_14default_configENS1_38merge_sort_block_merge_config_selectorIbiEEZZNS1_27merge_sort_block_merge_implIS3_N6thrust23THRUST_200600_302600_NS6detail15normal_iteratorINS8_10device_ptrIbEEEENSA_INSB_IiEEEEjNS1_19radix_merge_compareILb1ELb0EbNS0_19identity_decomposerEEEEE10hipError_tT0_T1_T2_jT3_P12ihipStream_tbPNSt15iterator_traitsISK_E10value_typeEPNSQ_ISL_E10value_typeEPSM_NS1_7vsmem_tEENKUlT_SK_SL_SM_E_clISD_PbSF_PiEESJ_SZ_SK_SL_SM_EUlSZ_E0_NS1_11comp_targetILNS1_3genE0ELNS1_11target_archE4294967295ELNS1_3gpuE0ELNS1_3repE0EEENS1_38merge_mergepath_config_static_selectorELNS0_4arch9wavefront6targetE1EEEvSL_
                                        ; -- End function
	.set _ZN7rocprim17ROCPRIM_400000_NS6detail17trampoline_kernelINS0_14default_configENS1_38merge_sort_block_merge_config_selectorIbiEEZZNS1_27merge_sort_block_merge_implIS3_N6thrust23THRUST_200600_302600_NS6detail15normal_iteratorINS8_10device_ptrIbEEEENSA_INSB_IiEEEEjNS1_19radix_merge_compareILb1ELb0EbNS0_19identity_decomposerEEEEE10hipError_tT0_T1_T2_jT3_P12ihipStream_tbPNSt15iterator_traitsISK_E10value_typeEPNSQ_ISL_E10value_typeEPSM_NS1_7vsmem_tEENKUlT_SK_SL_SM_E_clISD_PbSF_PiEESJ_SZ_SK_SL_SM_EUlSZ_E0_NS1_11comp_targetILNS1_3genE0ELNS1_11target_archE4294967295ELNS1_3gpuE0ELNS1_3repE0EEENS1_38merge_mergepath_config_static_selectorELNS0_4arch9wavefront6targetE1EEEvSL_.num_vgpr, 27
	.set _ZN7rocprim17ROCPRIM_400000_NS6detail17trampoline_kernelINS0_14default_configENS1_38merge_sort_block_merge_config_selectorIbiEEZZNS1_27merge_sort_block_merge_implIS3_N6thrust23THRUST_200600_302600_NS6detail15normal_iteratorINS8_10device_ptrIbEEEENSA_INSB_IiEEEEjNS1_19radix_merge_compareILb1ELb0EbNS0_19identity_decomposerEEEEE10hipError_tT0_T1_T2_jT3_P12ihipStream_tbPNSt15iterator_traitsISK_E10value_typeEPNSQ_ISL_E10value_typeEPSM_NS1_7vsmem_tEENKUlT_SK_SL_SM_E_clISD_PbSF_PiEESJ_SZ_SK_SL_SM_EUlSZ_E0_NS1_11comp_targetILNS1_3genE0ELNS1_11target_archE4294967295ELNS1_3gpuE0ELNS1_3repE0EEENS1_38merge_mergepath_config_static_selectorELNS0_4arch9wavefront6targetE1EEEvSL_.num_agpr, 0
	.set _ZN7rocprim17ROCPRIM_400000_NS6detail17trampoline_kernelINS0_14default_configENS1_38merge_sort_block_merge_config_selectorIbiEEZZNS1_27merge_sort_block_merge_implIS3_N6thrust23THRUST_200600_302600_NS6detail15normal_iteratorINS8_10device_ptrIbEEEENSA_INSB_IiEEEEjNS1_19radix_merge_compareILb1ELb0EbNS0_19identity_decomposerEEEEE10hipError_tT0_T1_T2_jT3_P12ihipStream_tbPNSt15iterator_traitsISK_E10value_typeEPNSQ_ISL_E10value_typeEPSM_NS1_7vsmem_tEENKUlT_SK_SL_SM_E_clISD_PbSF_PiEESJ_SZ_SK_SL_SM_EUlSZ_E0_NS1_11comp_targetILNS1_3genE0ELNS1_11target_archE4294967295ELNS1_3gpuE0ELNS1_3repE0EEENS1_38merge_mergepath_config_static_selectorELNS0_4arch9wavefront6targetE1EEEvSL_.numbered_sgpr, 28
	.set _ZN7rocprim17ROCPRIM_400000_NS6detail17trampoline_kernelINS0_14default_configENS1_38merge_sort_block_merge_config_selectorIbiEEZZNS1_27merge_sort_block_merge_implIS3_N6thrust23THRUST_200600_302600_NS6detail15normal_iteratorINS8_10device_ptrIbEEEENSA_INSB_IiEEEEjNS1_19radix_merge_compareILb1ELb0EbNS0_19identity_decomposerEEEEE10hipError_tT0_T1_T2_jT3_P12ihipStream_tbPNSt15iterator_traitsISK_E10value_typeEPNSQ_ISL_E10value_typeEPSM_NS1_7vsmem_tEENKUlT_SK_SL_SM_E_clISD_PbSF_PiEESJ_SZ_SK_SL_SM_EUlSZ_E0_NS1_11comp_targetILNS1_3genE0ELNS1_11target_archE4294967295ELNS1_3gpuE0ELNS1_3repE0EEENS1_38merge_mergepath_config_static_selectorELNS0_4arch9wavefront6targetE1EEEvSL_.num_named_barrier, 0
	.set _ZN7rocprim17ROCPRIM_400000_NS6detail17trampoline_kernelINS0_14default_configENS1_38merge_sort_block_merge_config_selectorIbiEEZZNS1_27merge_sort_block_merge_implIS3_N6thrust23THRUST_200600_302600_NS6detail15normal_iteratorINS8_10device_ptrIbEEEENSA_INSB_IiEEEEjNS1_19radix_merge_compareILb1ELb0EbNS0_19identity_decomposerEEEEE10hipError_tT0_T1_T2_jT3_P12ihipStream_tbPNSt15iterator_traitsISK_E10value_typeEPNSQ_ISL_E10value_typeEPSM_NS1_7vsmem_tEENKUlT_SK_SL_SM_E_clISD_PbSF_PiEESJ_SZ_SK_SL_SM_EUlSZ_E0_NS1_11comp_targetILNS1_3genE0ELNS1_11target_archE4294967295ELNS1_3gpuE0ELNS1_3repE0EEENS1_38merge_mergepath_config_static_selectorELNS0_4arch9wavefront6targetE1EEEvSL_.private_seg_size, 0
	.set _ZN7rocprim17ROCPRIM_400000_NS6detail17trampoline_kernelINS0_14default_configENS1_38merge_sort_block_merge_config_selectorIbiEEZZNS1_27merge_sort_block_merge_implIS3_N6thrust23THRUST_200600_302600_NS6detail15normal_iteratorINS8_10device_ptrIbEEEENSA_INSB_IiEEEEjNS1_19radix_merge_compareILb1ELb0EbNS0_19identity_decomposerEEEEE10hipError_tT0_T1_T2_jT3_P12ihipStream_tbPNSt15iterator_traitsISK_E10value_typeEPNSQ_ISL_E10value_typeEPSM_NS1_7vsmem_tEENKUlT_SK_SL_SM_E_clISD_PbSF_PiEESJ_SZ_SK_SL_SM_EUlSZ_E0_NS1_11comp_targetILNS1_3genE0ELNS1_11target_archE4294967295ELNS1_3gpuE0ELNS1_3repE0EEENS1_38merge_mergepath_config_static_selectorELNS0_4arch9wavefront6targetE1EEEvSL_.uses_vcc, 1
	.set _ZN7rocprim17ROCPRIM_400000_NS6detail17trampoline_kernelINS0_14default_configENS1_38merge_sort_block_merge_config_selectorIbiEEZZNS1_27merge_sort_block_merge_implIS3_N6thrust23THRUST_200600_302600_NS6detail15normal_iteratorINS8_10device_ptrIbEEEENSA_INSB_IiEEEEjNS1_19radix_merge_compareILb1ELb0EbNS0_19identity_decomposerEEEEE10hipError_tT0_T1_T2_jT3_P12ihipStream_tbPNSt15iterator_traitsISK_E10value_typeEPNSQ_ISL_E10value_typeEPSM_NS1_7vsmem_tEENKUlT_SK_SL_SM_E_clISD_PbSF_PiEESJ_SZ_SK_SL_SM_EUlSZ_E0_NS1_11comp_targetILNS1_3genE0ELNS1_11target_archE4294967295ELNS1_3gpuE0ELNS1_3repE0EEENS1_38merge_mergepath_config_static_selectorELNS0_4arch9wavefront6targetE1EEEvSL_.uses_flat_scratch, 0
	.set _ZN7rocprim17ROCPRIM_400000_NS6detail17trampoline_kernelINS0_14default_configENS1_38merge_sort_block_merge_config_selectorIbiEEZZNS1_27merge_sort_block_merge_implIS3_N6thrust23THRUST_200600_302600_NS6detail15normal_iteratorINS8_10device_ptrIbEEEENSA_INSB_IiEEEEjNS1_19radix_merge_compareILb1ELb0EbNS0_19identity_decomposerEEEEE10hipError_tT0_T1_T2_jT3_P12ihipStream_tbPNSt15iterator_traitsISK_E10value_typeEPNSQ_ISL_E10value_typeEPSM_NS1_7vsmem_tEENKUlT_SK_SL_SM_E_clISD_PbSF_PiEESJ_SZ_SK_SL_SM_EUlSZ_E0_NS1_11comp_targetILNS1_3genE0ELNS1_11target_archE4294967295ELNS1_3gpuE0ELNS1_3repE0EEENS1_38merge_mergepath_config_static_selectorELNS0_4arch9wavefront6targetE1EEEvSL_.has_dyn_sized_stack, 0
	.set _ZN7rocprim17ROCPRIM_400000_NS6detail17trampoline_kernelINS0_14default_configENS1_38merge_sort_block_merge_config_selectorIbiEEZZNS1_27merge_sort_block_merge_implIS3_N6thrust23THRUST_200600_302600_NS6detail15normal_iteratorINS8_10device_ptrIbEEEENSA_INSB_IiEEEEjNS1_19radix_merge_compareILb1ELb0EbNS0_19identity_decomposerEEEEE10hipError_tT0_T1_T2_jT3_P12ihipStream_tbPNSt15iterator_traitsISK_E10value_typeEPNSQ_ISL_E10value_typeEPSM_NS1_7vsmem_tEENKUlT_SK_SL_SM_E_clISD_PbSF_PiEESJ_SZ_SK_SL_SM_EUlSZ_E0_NS1_11comp_targetILNS1_3genE0ELNS1_11target_archE4294967295ELNS1_3gpuE0ELNS1_3repE0EEENS1_38merge_mergepath_config_static_selectorELNS0_4arch9wavefront6targetE1EEEvSL_.has_recursion, 0
	.set _ZN7rocprim17ROCPRIM_400000_NS6detail17trampoline_kernelINS0_14default_configENS1_38merge_sort_block_merge_config_selectorIbiEEZZNS1_27merge_sort_block_merge_implIS3_N6thrust23THRUST_200600_302600_NS6detail15normal_iteratorINS8_10device_ptrIbEEEENSA_INSB_IiEEEEjNS1_19radix_merge_compareILb1ELb0EbNS0_19identity_decomposerEEEEE10hipError_tT0_T1_T2_jT3_P12ihipStream_tbPNSt15iterator_traitsISK_E10value_typeEPNSQ_ISL_E10value_typeEPSM_NS1_7vsmem_tEENKUlT_SK_SL_SM_E_clISD_PbSF_PiEESJ_SZ_SK_SL_SM_EUlSZ_E0_NS1_11comp_targetILNS1_3genE0ELNS1_11target_archE4294967295ELNS1_3gpuE0ELNS1_3repE0EEENS1_38merge_mergepath_config_static_selectorELNS0_4arch9wavefront6targetE1EEEvSL_.has_indirect_call, 0
	.section	.AMDGPU.csdata,"",@progbits
; Kernel info:
; codeLenInByte = 3016
; TotalNumSgprs: 34
; NumVgprs: 27
; NumAgprs: 0
; TotalNumVgprs: 27
; ScratchSize: 0
; MemoryBound: 0
; FloatMode: 240
; IeeeMode: 1
; LDSByteSize: 4224 bytes/workgroup (compile time only)
; SGPRBlocks: 4
; VGPRBlocks: 3
; NumSGPRsForWavesPerEU: 34
; NumVGPRsForWavesPerEU: 27
; AccumOffset: 28
; Occupancy: 8
; WaveLimiterHint : 1
; COMPUTE_PGM_RSRC2:SCRATCH_EN: 0
; COMPUTE_PGM_RSRC2:USER_SGPR: 2
; COMPUTE_PGM_RSRC2:TRAP_HANDLER: 0
; COMPUTE_PGM_RSRC2:TGID_X_EN: 1
; COMPUTE_PGM_RSRC2:TGID_Y_EN: 1
; COMPUTE_PGM_RSRC2:TGID_Z_EN: 1
; COMPUTE_PGM_RSRC2:TIDIG_COMP_CNT: 0
; COMPUTE_PGM_RSRC3_GFX90A:ACCUM_OFFSET: 6
; COMPUTE_PGM_RSRC3_GFX90A:TG_SPLIT: 0
	.section	.text._ZN7rocprim17ROCPRIM_400000_NS6detail17trampoline_kernelINS0_14default_configENS1_38merge_sort_block_merge_config_selectorIbiEEZZNS1_27merge_sort_block_merge_implIS3_N6thrust23THRUST_200600_302600_NS6detail15normal_iteratorINS8_10device_ptrIbEEEENSA_INSB_IiEEEEjNS1_19radix_merge_compareILb1ELb0EbNS0_19identity_decomposerEEEEE10hipError_tT0_T1_T2_jT3_P12ihipStream_tbPNSt15iterator_traitsISK_E10value_typeEPNSQ_ISL_E10value_typeEPSM_NS1_7vsmem_tEENKUlT_SK_SL_SM_E_clISD_PbSF_PiEESJ_SZ_SK_SL_SM_EUlSZ_E0_NS1_11comp_targetILNS1_3genE10ELNS1_11target_archE1201ELNS1_3gpuE5ELNS1_3repE0EEENS1_38merge_mergepath_config_static_selectorELNS0_4arch9wavefront6targetE1EEEvSL_,"axG",@progbits,_ZN7rocprim17ROCPRIM_400000_NS6detail17trampoline_kernelINS0_14default_configENS1_38merge_sort_block_merge_config_selectorIbiEEZZNS1_27merge_sort_block_merge_implIS3_N6thrust23THRUST_200600_302600_NS6detail15normal_iteratorINS8_10device_ptrIbEEEENSA_INSB_IiEEEEjNS1_19radix_merge_compareILb1ELb0EbNS0_19identity_decomposerEEEEE10hipError_tT0_T1_T2_jT3_P12ihipStream_tbPNSt15iterator_traitsISK_E10value_typeEPNSQ_ISL_E10value_typeEPSM_NS1_7vsmem_tEENKUlT_SK_SL_SM_E_clISD_PbSF_PiEESJ_SZ_SK_SL_SM_EUlSZ_E0_NS1_11comp_targetILNS1_3genE10ELNS1_11target_archE1201ELNS1_3gpuE5ELNS1_3repE0EEENS1_38merge_mergepath_config_static_selectorELNS0_4arch9wavefront6targetE1EEEvSL_,comdat
	.protected	_ZN7rocprim17ROCPRIM_400000_NS6detail17trampoline_kernelINS0_14default_configENS1_38merge_sort_block_merge_config_selectorIbiEEZZNS1_27merge_sort_block_merge_implIS3_N6thrust23THRUST_200600_302600_NS6detail15normal_iteratorINS8_10device_ptrIbEEEENSA_INSB_IiEEEEjNS1_19radix_merge_compareILb1ELb0EbNS0_19identity_decomposerEEEEE10hipError_tT0_T1_T2_jT3_P12ihipStream_tbPNSt15iterator_traitsISK_E10value_typeEPNSQ_ISL_E10value_typeEPSM_NS1_7vsmem_tEENKUlT_SK_SL_SM_E_clISD_PbSF_PiEESJ_SZ_SK_SL_SM_EUlSZ_E0_NS1_11comp_targetILNS1_3genE10ELNS1_11target_archE1201ELNS1_3gpuE5ELNS1_3repE0EEENS1_38merge_mergepath_config_static_selectorELNS0_4arch9wavefront6targetE1EEEvSL_ ; -- Begin function _ZN7rocprim17ROCPRIM_400000_NS6detail17trampoline_kernelINS0_14default_configENS1_38merge_sort_block_merge_config_selectorIbiEEZZNS1_27merge_sort_block_merge_implIS3_N6thrust23THRUST_200600_302600_NS6detail15normal_iteratorINS8_10device_ptrIbEEEENSA_INSB_IiEEEEjNS1_19radix_merge_compareILb1ELb0EbNS0_19identity_decomposerEEEEE10hipError_tT0_T1_T2_jT3_P12ihipStream_tbPNSt15iterator_traitsISK_E10value_typeEPNSQ_ISL_E10value_typeEPSM_NS1_7vsmem_tEENKUlT_SK_SL_SM_E_clISD_PbSF_PiEESJ_SZ_SK_SL_SM_EUlSZ_E0_NS1_11comp_targetILNS1_3genE10ELNS1_11target_archE1201ELNS1_3gpuE5ELNS1_3repE0EEENS1_38merge_mergepath_config_static_selectorELNS0_4arch9wavefront6targetE1EEEvSL_
	.globl	_ZN7rocprim17ROCPRIM_400000_NS6detail17trampoline_kernelINS0_14default_configENS1_38merge_sort_block_merge_config_selectorIbiEEZZNS1_27merge_sort_block_merge_implIS3_N6thrust23THRUST_200600_302600_NS6detail15normal_iteratorINS8_10device_ptrIbEEEENSA_INSB_IiEEEEjNS1_19radix_merge_compareILb1ELb0EbNS0_19identity_decomposerEEEEE10hipError_tT0_T1_T2_jT3_P12ihipStream_tbPNSt15iterator_traitsISK_E10value_typeEPNSQ_ISL_E10value_typeEPSM_NS1_7vsmem_tEENKUlT_SK_SL_SM_E_clISD_PbSF_PiEESJ_SZ_SK_SL_SM_EUlSZ_E0_NS1_11comp_targetILNS1_3genE10ELNS1_11target_archE1201ELNS1_3gpuE5ELNS1_3repE0EEENS1_38merge_mergepath_config_static_selectorELNS0_4arch9wavefront6targetE1EEEvSL_
	.p2align	8
	.type	_ZN7rocprim17ROCPRIM_400000_NS6detail17trampoline_kernelINS0_14default_configENS1_38merge_sort_block_merge_config_selectorIbiEEZZNS1_27merge_sort_block_merge_implIS3_N6thrust23THRUST_200600_302600_NS6detail15normal_iteratorINS8_10device_ptrIbEEEENSA_INSB_IiEEEEjNS1_19radix_merge_compareILb1ELb0EbNS0_19identity_decomposerEEEEE10hipError_tT0_T1_T2_jT3_P12ihipStream_tbPNSt15iterator_traitsISK_E10value_typeEPNSQ_ISL_E10value_typeEPSM_NS1_7vsmem_tEENKUlT_SK_SL_SM_E_clISD_PbSF_PiEESJ_SZ_SK_SL_SM_EUlSZ_E0_NS1_11comp_targetILNS1_3genE10ELNS1_11target_archE1201ELNS1_3gpuE5ELNS1_3repE0EEENS1_38merge_mergepath_config_static_selectorELNS0_4arch9wavefront6targetE1EEEvSL_,@function
_ZN7rocprim17ROCPRIM_400000_NS6detail17trampoline_kernelINS0_14default_configENS1_38merge_sort_block_merge_config_selectorIbiEEZZNS1_27merge_sort_block_merge_implIS3_N6thrust23THRUST_200600_302600_NS6detail15normal_iteratorINS8_10device_ptrIbEEEENSA_INSB_IiEEEEjNS1_19radix_merge_compareILb1ELb0EbNS0_19identity_decomposerEEEEE10hipError_tT0_T1_T2_jT3_P12ihipStream_tbPNSt15iterator_traitsISK_E10value_typeEPNSQ_ISL_E10value_typeEPSM_NS1_7vsmem_tEENKUlT_SK_SL_SM_E_clISD_PbSF_PiEESJ_SZ_SK_SL_SM_EUlSZ_E0_NS1_11comp_targetILNS1_3genE10ELNS1_11target_archE1201ELNS1_3gpuE5ELNS1_3repE0EEENS1_38merge_mergepath_config_static_selectorELNS0_4arch9wavefront6targetE1EEEvSL_: ; @_ZN7rocprim17ROCPRIM_400000_NS6detail17trampoline_kernelINS0_14default_configENS1_38merge_sort_block_merge_config_selectorIbiEEZZNS1_27merge_sort_block_merge_implIS3_N6thrust23THRUST_200600_302600_NS6detail15normal_iteratorINS8_10device_ptrIbEEEENSA_INSB_IiEEEEjNS1_19radix_merge_compareILb1ELb0EbNS0_19identity_decomposerEEEEE10hipError_tT0_T1_T2_jT3_P12ihipStream_tbPNSt15iterator_traitsISK_E10value_typeEPNSQ_ISL_E10value_typeEPSM_NS1_7vsmem_tEENKUlT_SK_SL_SM_E_clISD_PbSF_PiEESJ_SZ_SK_SL_SM_EUlSZ_E0_NS1_11comp_targetILNS1_3genE10ELNS1_11target_archE1201ELNS1_3gpuE5ELNS1_3repE0EEENS1_38merge_mergepath_config_static_selectorELNS0_4arch9wavefront6targetE1EEEvSL_
; %bb.0:
	.section	.rodata,"a",@progbits
	.p2align	6, 0x0
	.amdhsa_kernel _ZN7rocprim17ROCPRIM_400000_NS6detail17trampoline_kernelINS0_14default_configENS1_38merge_sort_block_merge_config_selectorIbiEEZZNS1_27merge_sort_block_merge_implIS3_N6thrust23THRUST_200600_302600_NS6detail15normal_iteratorINS8_10device_ptrIbEEEENSA_INSB_IiEEEEjNS1_19radix_merge_compareILb1ELb0EbNS0_19identity_decomposerEEEEE10hipError_tT0_T1_T2_jT3_P12ihipStream_tbPNSt15iterator_traitsISK_E10value_typeEPNSQ_ISL_E10value_typeEPSM_NS1_7vsmem_tEENKUlT_SK_SL_SM_E_clISD_PbSF_PiEESJ_SZ_SK_SL_SM_EUlSZ_E0_NS1_11comp_targetILNS1_3genE10ELNS1_11target_archE1201ELNS1_3gpuE5ELNS1_3repE0EEENS1_38merge_mergepath_config_static_selectorELNS0_4arch9wavefront6targetE1EEEvSL_
		.amdhsa_group_segment_fixed_size 0
		.amdhsa_private_segment_fixed_size 0
		.amdhsa_kernarg_size 64
		.amdhsa_user_sgpr_count 2
		.amdhsa_user_sgpr_dispatch_ptr 0
		.amdhsa_user_sgpr_queue_ptr 0
		.amdhsa_user_sgpr_kernarg_segment_ptr 1
		.amdhsa_user_sgpr_dispatch_id 0
		.amdhsa_user_sgpr_kernarg_preload_length 0
		.amdhsa_user_sgpr_kernarg_preload_offset 0
		.amdhsa_user_sgpr_private_segment_size 0
		.amdhsa_uses_dynamic_stack 0
		.amdhsa_enable_private_segment 0
		.amdhsa_system_sgpr_workgroup_id_x 1
		.amdhsa_system_sgpr_workgroup_id_y 0
		.amdhsa_system_sgpr_workgroup_id_z 0
		.amdhsa_system_sgpr_workgroup_info 0
		.amdhsa_system_vgpr_workitem_id 0
		.amdhsa_next_free_vgpr 1
		.amdhsa_next_free_sgpr 0
		.amdhsa_accum_offset 4
		.amdhsa_reserve_vcc 0
		.amdhsa_float_round_mode_32 0
		.amdhsa_float_round_mode_16_64 0
		.amdhsa_float_denorm_mode_32 3
		.amdhsa_float_denorm_mode_16_64 3
		.amdhsa_dx10_clamp 1
		.amdhsa_ieee_mode 1
		.amdhsa_fp16_overflow 0
		.amdhsa_tg_split 0
		.amdhsa_exception_fp_ieee_invalid_op 0
		.amdhsa_exception_fp_denorm_src 0
		.amdhsa_exception_fp_ieee_div_zero 0
		.amdhsa_exception_fp_ieee_overflow 0
		.amdhsa_exception_fp_ieee_underflow 0
		.amdhsa_exception_fp_ieee_inexact 0
		.amdhsa_exception_int_div_zero 0
	.end_amdhsa_kernel
	.section	.text._ZN7rocprim17ROCPRIM_400000_NS6detail17trampoline_kernelINS0_14default_configENS1_38merge_sort_block_merge_config_selectorIbiEEZZNS1_27merge_sort_block_merge_implIS3_N6thrust23THRUST_200600_302600_NS6detail15normal_iteratorINS8_10device_ptrIbEEEENSA_INSB_IiEEEEjNS1_19radix_merge_compareILb1ELb0EbNS0_19identity_decomposerEEEEE10hipError_tT0_T1_T2_jT3_P12ihipStream_tbPNSt15iterator_traitsISK_E10value_typeEPNSQ_ISL_E10value_typeEPSM_NS1_7vsmem_tEENKUlT_SK_SL_SM_E_clISD_PbSF_PiEESJ_SZ_SK_SL_SM_EUlSZ_E0_NS1_11comp_targetILNS1_3genE10ELNS1_11target_archE1201ELNS1_3gpuE5ELNS1_3repE0EEENS1_38merge_mergepath_config_static_selectorELNS0_4arch9wavefront6targetE1EEEvSL_,"axG",@progbits,_ZN7rocprim17ROCPRIM_400000_NS6detail17trampoline_kernelINS0_14default_configENS1_38merge_sort_block_merge_config_selectorIbiEEZZNS1_27merge_sort_block_merge_implIS3_N6thrust23THRUST_200600_302600_NS6detail15normal_iteratorINS8_10device_ptrIbEEEENSA_INSB_IiEEEEjNS1_19radix_merge_compareILb1ELb0EbNS0_19identity_decomposerEEEEE10hipError_tT0_T1_T2_jT3_P12ihipStream_tbPNSt15iterator_traitsISK_E10value_typeEPNSQ_ISL_E10value_typeEPSM_NS1_7vsmem_tEENKUlT_SK_SL_SM_E_clISD_PbSF_PiEESJ_SZ_SK_SL_SM_EUlSZ_E0_NS1_11comp_targetILNS1_3genE10ELNS1_11target_archE1201ELNS1_3gpuE5ELNS1_3repE0EEENS1_38merge_mergepath_config_static_selectorELNS0_4arch9wavefront6targetE1EEEvSL_,comdat
.Lfunc_end2137:
	.size	_ZN7rocprim17ROCPRIM_400000_NS6detail17trampoline_kernelINS0_14default_configENS1_38merge_sort_block_merge_config_selectorIbiEEZZNS1_27merge_sort_block_merge_implIS3_N6thrust23THRUST_200600_302600_NS6detail15normal_iteratorINS8_10device_ptrIbEEEENSA_INSB_IiEEEEjNS1_19radix_merge_compareILb1ELb0EbNS0_19identity_decomposerEEEEE10hipError_tT0_T1_T2_jT3_P12ihipStream_tbPNSt15iterator_traitsISK_E10value_typeEPNSQ_ISL_E10value_typeEPSM_NS1_7vsmem_tEENKUlT_SK_SL_SM_E_clISD_PbSF_PiEESJ_SZ_SK_SL_SM_EUlSZ_E0_NS1_11comp_targetILNS1_3genE10ELNS1_11target_archE1201ELNS1_3gpuE5ELNS1_3repE0EEENS1_38merge_mergepath_config_static_selectorELNS0_4arch9wavefront6targetE1EEEvSL_, .Lfunc_end2137-_ZN7rocprim17ROCPRIM_400000_NS6detail17trampoline_kernelINS0_14default_configENS1_38merge_sort_block_merge_config_selectorIbiEEZZNS1_27merge_sort_block_merge_implIS3_N6thrust23THRUST_200600_302600_NS6detail15normal_iteratorINS8_10device_ptrIbEEEENSA_INSB_IiEEEEjNS1_19radix_merge_compareILb1ELb0EbNS0_19identity_decomposerEEEEE10hipError_tT0_T1_T2_jT3_P12ihipStream_tbPNSt15iterator_traitsISK_E10value_typeEPNSQ_ISL_E10value_typeEPSM_NS1_7vsmem_tEENKUlT_SK_SL_SM_E_clISD_PbSF_PiEESJ_SZ_SK_SL_SM_EUlSZ_E0_NS1_11comp_targetILNS1_3genE10ELNS1_11target_archE1201ELNS1_3gpuE5ELNS1_3repE0EEENS1_38merge_mergepath_config_static_selectorELNS0_4arch9wavefront6targetE1EEEvSL_
                                        ; -- End function
	.set _ZN7rocprim17ROCPRIM_400000_NS6detail17trampoline_kernelINS0_14default_configENS1_38merge_sort_block_merge_config_selectorIbiEEZZNS1_27merge_sort_block_merge_implIS3_N6thrust23THRUST_200600_302600_NS6detail15normal_iteratorINS8_10device_ptrIbEEEENSA_INSB_IiEEEEjNS1_19radix_merge_compareILb1ELb0EbNS0_19identity_decomposerEEEEE10hipError_tT0_T1_T2_jT3_P12ihipStream_tbPNSt15iterator_traitsISK_E10value_typeEPNSQ_ISL_E10value_typeEPSM_NS1_7vsmem_tEENKUlT_SK_SL_SM_E_clISD_PbSF_PiEESJ_SZ_SK_SL_SM_EUlSZ_E0_NS1_11comp_targetILNS1_3genE10ELNS1_11target_archE1201ELNS1_3gpuE5ELNS1_3repE0EEENS1_38merge_mergepath_config_static_selectorELNS0_4arch9wavefront6targetE1EEEvSL_.num_vgpr, 0
	.set _ZN7rocprim17ROCPRIM_400000_NS6detail17trampoline_kernelINS0_14default_configENS1_38merge_sort_block_merge_config_selectorIbiEEZZNS1_27merge_sort_block_merge_implIS3_N6thrust23THRUST_200600_302600_NS6detail15normal_iteratorINS8_10device_ptrIbEEEENSA_INSB_IiEEEEjNS1_19radix_merge_compareILb1ELb0EbNS0_19identity_decomposerEEEEE10hipError_tT0_T1_T2_jT3_P12ihipStream_tbPNSt15iterator_traitsISK_E10value_typeEPNSQ_ISL_E10value_typeEPSM_NS1_7vsmem_tEENKUlT_SK_SL_SM_E_clISD_PbSF_PiEESJ_SZ_SK_SL_SM_EUlSZ_E0_NS1_11comp_targetILNS1_3genE10ELNS1_11target_archE1201ELNS1_3gpuE5ELNS1_3repE0EEENS1_38merge_mergepath_config_static_selectorELNS0_4arch9wavefront6targetE1EEEvSL_.num_agpr, 0
	.set _ZN7rocprim17ROCPRIM_400000_NS6detail17trampoline_kernelINS0_14default_configENS1_38merge_sort_block_merge_config_selectorIbiEEZZNS1_27merge_sort_block_merge_implIS3_N6thrust23THRUST_200600_302600_NS6detail15normal_iteratorINS8_10device_ptrIbEEEENSA_INSB_IiEEEEjNS1_19radix_merge_compareILb1ELb0EbNS0_19identity_decomposerEEEEE10hipError_tT0_T1_T2_jT3_P12ihipStream_tbPNSt15iterator_traitsISK_E10value_typeEPNSQ_ISL_E10value_typeEPSM_NS1_7vsmem_tEENKUlT_SK_SL_SM_E_clISD_PbSF_PiEESJ_SZ_SK_SL_SM_EUlSZ_E0_NS1_11comp_targetILNS1_3genE10ELNS1_11target_archE1201ELNS1_3gpuE5ELNS1_3repE0EEENS1_38merge_mergepath_config_static_selectorELNS0_4arch9wavefront6targetE1EEEvSL_.numbered_sgpr, 0
	.set _ZN7rocprim17ROCPRIM_400000_NS6detail17trampoline_kernelINS0_14default_configENS1_38merge_sort_block_merge_config_selectorIbiEEZZNS1_27merge_sort_block_merge_implIS3_N6thrust23THRUST_200600_302600_NS6detail15normal_iteratorINS8_10device_ptrIbEEEENSA_INSB_IiEEEEjNS1_19radix_merge_compareILb1ELb0EbNS0_19identity_decomposerEEEEE10hipError_tT0_T1_T2_jT3_P12ihipStream_tbPNSt15iterator_traitsISK_E10value_typeEPNSQ_ISL_E10value_typeEPSM_NS1_7vsmem_tEENKUlT_SK_SL_SM_E_clISD_PbSF_PiEESJ_SZ_SK_SL_SM_EUlSZ_E0_NS1_11comp_targetILNS1_3genE10ELNS1_11target_archE1201ELNS1_3gpuE5ELNS1_3repE0EEENS1_38merge_mergepath_config_static_selectorELNS0_4arch9wavefront6targetE1EEEvSL_.num_named_barrier, 0
	.set _ZN7rocprim17ROCPRIM_400000_NS6detail17trampoline_kernelINS0_14default_configENS1_38merge_sort_block_merge_config_selectorIbiEEZZNS1_27merge_sort_block_merge_implIS3_N6thrust23THRUST_200600_302600_NS6detail15normal_iteratorINS8_10device_ptrIbEEEENSA_INSB_IiEEEEjNS1_19radix_merge_compareILb1ELb0EbNS0_19identity_decomposerEEEEE10hipError_tT0_T1_T2_jT3_P12ihipStream_tbPNSt15iterator_traitsISK_E10value_typeEPNSQ_ISL_E10value_typeEPSM_NS1_7vsmem_tEENKUlT_SK_SL_SM_E_clISD_PbSF_PiEESJ_SZ_SK_SL_SM_EUlSZ_E0_NS1_11comp_targetILNS1_3genE10ELNS1_11target_archE1201ELNS1_3gpuE5ELNS1_3repE0EEENS1_38merge_mergepath_config_static_selectorELNS0_4arch9wavefront6targetE1EEEvSL_.private_seg_size, 0
	.set _ZN7rocprim17ROCPRIM_400000_NS6detail17trampoline_kernelINS0_14default_configENS1_38merge_sort_block_merge_config_selectorIbiEEZZNS1_27merge_sort_block_merge_implIS3_N6thrust23THRUST_200600_302600_NS6detail15normal_iteratorINS8_10device_ptrIbEEEENSA_INSB_IiEEEEjNS1_19radix_merge_compareILb1ELb0EbNS0_19identity_decomposerEEEEE10hipError_tT0_T1_T2_jT3_P12ihipStream_tbPNSt15iterator_traitsISK_E10value_typeEPNSQ_ISL_E10value_typeEPSM_NS1_7vsmem_tEENKUlT_SK_SL_SM_E_clISD_PbSF_PiEESJ_SZ_SK_SL_SM_EUlSZ_E0_NS1_11comp_targetILNS1_3genE10ELNS1_11target_archE1201ELNS1_3gpuE5ELNS1_3repE0EEENS1_38merge_mergepath_config_static_selectorELNS0_4arch9wavefront6targetE1EEEvSL_.uses_vcc, 0
	.set _ZN7rocprim17ROCPRIM_400000_NS6detail17trampoline_kernelINS0_14default_configENS1_38merge_sort_block_merge_config_selectorIbiEEZZNS1_27merge_sort_block_merge_implIS3_N6thrust23THRUST_200600_302600_NS6detail15normal_iteratorINS8_10device_ptrIbEEEENSA_INSB_IiEEEEjNS1_19radix_merge_compareILb1ELb0EbNS0_19identity_decomposerEEEEE10hipError_tT0_T1_T2_jT3_P12ihipStream_tbPNSt15iterator_traitsISK_E10value_typeEPNSQ_ISL_E10value_typeEPSM_NS1_7vsmem_tEENKUlT_SK_SL_SM_E_clISD_PbSF_PiEESJ_SZ_SK_SL_SM_EUlSZ_E0_NS1_11comp_targetILNS1_3genE10ELNS1_11target_archE1201ELNS1_3gpuE5ELNS1_3repE0EEENS1_38merge_mergepath_config_static_selectorELNS0_4arch9wavefront6targetE1EEEvSL_.uses_flat_scratch, 0
	.set _ZN7rocprim17ROCPRIM_400000_NS6detail17trampoline_kernelINS0_14default_configENS1_38merge_sort_block_merge_config_selectorIbiEEZZNS1_27merge_sort_block_merge_implIS3_N6thrust23THRUST_200600_302600_NS6detail15normal_iteratorINS8_10device_ptrIbEEEENSA_INSB_IiEEEEjNS1_19radix_merge_compareILb1ELb0EbNS0_19identity_decomposerEEEEE10hipError_tT0_T1_T2_jT3_P12ihipStream_tbPNSt15iterator_traitsISK_E10value_typeEPNSQ_ISL_E10value_typeEPSM_NS1_7vsmem_tEENKUlT_SK_SL_SM_E_clISD_PbSF_PiEESJ_SZ_SK_SL_SM_EUlSZ_E0_NS1_11comp_targetILNS1_3genE10ELNS1_11target_archE1201ELNS1_3gpuE5ELNS1_3repE0EEENS1_38merge_mergepath_config_static_selectorELNS0_4arch9wavefront6targetE1EEEvSL_.has_dyn_sized_stack, 0
	.set _ZN7rocprim17ROCPRIM_400000_NS6detail17trampoline_kernelINS0_14default_configENS1_38merge_sort_block_merge_config_selectorIbiEEZZNS1_27merge_sort_block_merge_implIS3_N6thrust23THRUST_200600_302600_NS6detail15normal_iteratorINS8_10device_ptrIbEEEENSA_INSB_IiEEEEjNS1_19radix_merge_compareILb1ELb0EbNS0_19identity_decomposerEEEEE10hipError_tT0_T1_T2_jT3_P12ihipStream_tbPNSt15iterator_traitsISK_E10value_typeEPNSQ_ISL_E10value_typeEPSM_NS1_7vsmem_tEENKUlT_SK_SL_SM_E_clISD_PbSF_PiEESJ_SZ_SK_SL_SM_EUlSZ_E0_NS1_11comp_targetILNS1_3genE10ELNS1_11target_archE1201ELNS1_3gpuE5ELNS1_3repE0EEENS1_38merge_mergepath_config_static_selectorELNS0_4arch9wavefront6targetE1EEEvSL_.has_recursion, 0
	.set _ZN7rocprim17ROCPRIM_400000_NS6detail17trampoline_kernelINS0_14default_configENS1_38merge_sort_block_merge_config_selectorIbiEEZZNS1_27merge_sort_block_merge_implIS3_N6thrust23THRUST_200600_302600_NS6detail15normal_iteratorINS8_10device_ptrIbEEEENSA_INSB_IiEEEEjNS1_19radix_merge_compareILb1ELb0EbNS0_19identity_decomposerEEEEE10hipError_tT0_T1_T2_jT3_P12ihipStream_tbPNSt15iterator_traitsISK_E10value_typeEPNSQ_ISL_E10value_typeEPSM_NS1_7vsmem_tEENKUlT_SK_SL_SM_E_clISD_PbSF_PiEESJ_SZ_SK_SL_SM_EUlSZ_E0_NS1_11comp_targetILNS1_3genE10ELNS1_11target_archE1201ELNS1_3gpuE5ELNS1_3repE0EEENS1_38merge_mergepath_config_static_selectorELNS0_4arch9wavefront6targetE1EEEvSL_.has_indirect_call, 0
	.section	.AMDGPU.csdata,"",@progbits
; Kernel info:
; codeLenInByte = 0
; TotalNumSgprs: 6
; NumVgprs: 0
; NumAgprs: 0
; TotalNumVgprs: 0
; ScratchSize: 0
; MemoryBound: 0
; FloatMode: 240
; IeeeMode: 1
; LDSByteSize: 0 bytes/workgroup (compile time only)
; SGPRBlocks: 0
; VGPRBlocks: 0
; NumSGPRsForWavesPerEU: 6
; NumVGPRsForWavesPerEU: 1
; AccumOffset: 4
; Occupancy: 8
; WaveLimiterHint : 0
; COMPUTE_PGM_RSRC2:SCRATCH_EN: 0
; COMPUTE_PGM_RSRC2:USER_SGPR: 2
; COMPUTE_PGM_RSRC2:TRAP_HANDLER: 0
; COMPUTE_PGM_RSRC2:TGID_X_EN: 1
; COMPUTE_PGM_RSRC2:TGID_Y_EN: 0
; COMPUTE_PGM_RSRC2:TGID_Z_EN: 0
; COMPUTE_PGM_RSRC2:TIDIG_COMP_CNT: 0
; COMPUTE_PGM_RSRC3_GFX90A:ACCUM_OFFSET: 0
; COMPUTE_PGM_RSRC3_GFX90A:TG_SPLIT: 0
	.section	.text._ZN7rocprim17ROCPRIM_400000_NS6detail17trampoline_kernelINS0_14default_configENS1_38merge_sort_block_merge_config_selectorIbiEEZZNS1_27merge_sort_block_merge_implIS3_N6thrust23THRUST_200600_302600_NS6detail15normal_iteratorINS8_10device_ptrIbEEEENSA_INSB_IiEEEEjNS1_19radix_merge_compareILb1ELb0EbNS0_19identity_decomposerEEEEE10hipError_tT0_T1_T2_jT3_P12ihipStream_tbPNSt15iterator_traitsISK_E10value_typeEPNSQ_ISL_E10value_typeEPSM_NS1_7vsmem_tEENKUlT_SK_SL_SM_E_clISD_PbSF_PiEESJ_SZ_SK_SL_SM_EUlSZ_E0_NS1_11comp_targetILNS1_3genE5ELNS1_11target_archE942ELNS1_3gpuE9ELNS1_3repE0EEENS1_38merge_mergepath_config_static_selectorELNS0_4arch9wavefront6targetE1EEEvSL_,"axG",@progbits,_ZN7rocprim17ROCPRIM_400000_NS6detail17trampoline_kernelINS0_14default_configENS1_38merge_sort_block_merge_config_selectorIbiEEZZNS1_27merge_sort_block_merge_implIS3_N6thrust23THRUST_200600_302600_NS6detail15normal_iteratorINS8_10device_ptrIbEEEENSA_INSB_IiEEEEjNS1_19radix_merge_compareILb1ELb0EbNS0_19identity_decomposerEEEEE10hipError_tT0_T1_T2_jT3_P12ihipStream_tbPNSt15iterator_traitsISK_E10value_typeEPNSQ_ISL_E10value_typeEPSM_NS1_7vsmem_tEENKUlT_SK_SL_SM_E_clISD_PbSF_PiEESJ_SZ_SK_SL_SM_EUlSZ_E0_NS1_11comp_targetILNS1_3genE5ELNS1_11target_archE942ELNS1_3gpuE9ELNS1_3repE0EEENS1_38merge_mergepath_config_static_selectorELNS0_4arch9wavefront6targetE1EEEvSL_,comdat
	.protected	_ZN7rocprim17ROCPRIM_400000_NS6detail17trampoline_kernelINS0_14default_configENS1_38merge_sort_block_merge_config_selectorIbiEEZZNS1_27merge_sort_block_merge_implIS3_N6thrust23THRUST_200600_302600_NS6detail15normal_iteratorINS8_10device_ptrIbEEEENSA_INSB_IiEEEEjNS1_19radix_merge_compareILb1ELb0EbNS0_19identity_decomposerEEEEE10hipError_tT0_T1_T2_jT3_P12ihipStream_tbPNSt15iterator_traitsISK_E10value_typeEPNSQ_ISL_E10value_typeEPSM_NS1_7vsmem_tEENKUlT_SK_SL_SM_E_clISD_PbSF_PiEESJ_SZ_SK_SL_SM_EUlSZ_E0_NS1_11comp_targetILNS1_3genE5ELNS1_11target_archE942ELNS1_3gpuE9ELNS1_3repE0EEENS1_38merge_mergepath_config_static_selectorELNS0_4arch9wavefront6targetE1EEEvSL_ ; -- Begin function _ZN7rocprim17ROCPRIM_400000_NS6detail17trampoline_kernelINS0_14default_configENS1_38merge_sort_block_merge_config_selectorIbiEEZZNS1_27merge_sort_block_merge_implIS3_N6thrust23THRUST_200600_302600_NS6detail15normal_iteratorINS8_10device_ptrIbEEEENSA_INSB_IiEEEEjNS1_19radix_merge_compareILb1ELb0EbNS0_19identity_decomposerEEEEE10hipError_tT0_T1_T2_jT3_P12ihipStream_tbPNSt15iterator_traitsISK_E10value_typeEPNSQ_ISL_E10value_typeEPSM_NS1_7vsmem_tEENKUlT_SK_SL_SM_E_clISD_PbSF_PiEESJ_SZ_SK_SL_SM_EUlSZ_E0_NS1_11comp_targetILNS1_3genE5ELNS1_11target_archE942ELNS1_3gpuE9ELNS1_3repE0EEENS1_38merge_mergepath_config_static_selectorELNS0_4arch9wavefront6targetE1EEEvSL_
	.globl	_ZN7rocprim17ROCPRIM_400000_NS6detail17trampoline_kernelINS0_14default_configENS1_38merge_sort_block_merge_config_selectorIbiEEZZNS1_27merge_sort_block_merge_implIS3_N6thrust23THRUST_200600_302600_NS6detail15normal_iteratorINS8_10device_ptrIbEEEENSA_INSB_IiEEEEjNS1_19radix_merge_compareILb1ELb0EbNS0_19identity_decomposerEEEEE10hipError_tT0_T1_T2_jT3_P12ihipStream_tbPNSt15iterator_traitsISK_E10value_typeEPNSQ_ISL_E10value_typeEPSM_NS1_7vsmem_tEENKUlT_SK_SL_SM_E_clISD_PbSF_PiEESJ_SZ_SK_SL_SM_EUlSZ_E0_NS1_11comp_targetILNS1_3genE5ELNS1_11target_archE942ELNS1_3gpuE9ELNS1_3repE0EEENS1_38merge_mergepath_config_static_selectorELNS0_4arch9wavefront6targetE1EEEvSL_
	.p2align	8
	.type	_ZN7rocprim17ROCPRIM_400000_NS6detail17trampoline_kernelINS0_14default_configENS1_38merge_sort_block_merge_config_selectorIbiEEZZNS1_27merge_sort_block_merge_implIS3_N6thrust23THRUST_200600_302600_NS6detail15normal_iteratorINS8_10device_ptrIbEEEENSA_INSB_IiEEEEjNS1_19radix_merge_compareILb1ELb0EbNS0_19identity_decomposerEEEEE10hipError_tT0_T1_T2_jT3_P12ihipStream_tbPNSt15iterator_traitsISK_E10value_typeEPNSQ_ISL_E10value_typeEPSM_NS1_7vsmem_tEENKUlT_SK_SL_SM_E_clISD_PbSF_PiEESJ_SZ_SK_SL_SM_EUlSZ_E0_NS1_11comp_targetILNS1_3genE5ELNS1_11target_archE942ELNS1_3gpuE9ELNS1_3repE0EEENS1_38merge_mergepath_config_static_selectorELNS0_4arch9wavefront6targetE1EEEvSL_,@function
_ZN7rocprim17ROCPRIM_400000_NS6detail17trampoline_kernelINS0_14default_configENS1_38merge_sort_block_merge_config_selectorIbiEEZZNS1_27merge_sort_block_merge_implIS3_N6thrust23THRUST_200600_302600_NS6detail15normal_iteratorINS8_10device_ptrIbEEEENSA_INSB_IiEEEEjNS1_19radix_merge_compareILb1ELb0EbNS0_19identity_decomposerEEEEE10hipError_tT0_T1_T2_jT3_P12ihipStream_tbPNSt15iterator_traitsISK_E10value_typeEPNSQ_ISL_E10value_typeEPSM_NS1_7vsmem_tEENKUlT_SK_SL_SM_E_clISD_PbSF_PiEESJ_SZ_SK_SL_SM_EUlSZ_E0_NS1_11comp_targetILNS1_3genE5ELNS1_11target_archE942ELNS1_3gpuE9ELNS1_3repE0EEENS1_38merge_mergepath_config_static_selectorELNS0_4arch9wavefront6targetE1EEEvSL_: ; @_ZN7rocprim17ROCPRIM_400000_NS6detail17trampoline_kernelINS0_14default_configENS1_38merge_sort_block_merge_config_selectorIbiEEZZNS1_27merge_sort_block_merge_implIS3_N6thrust23THRUST_200600_302600_NS6detail15normal_iteratorINS8_10device_ptrIbEEEENSA_INSB_IiEEEEjNS1_19radix_merge_compareILb1ELb0EbNS0_19identity_decomposerEEEEE10hipError_tT0_T1_T2_jT3_P12ihipStream_tbPNSt15iterator_traitsISK_E10value_typeEPNSQ_ISL_E10value_typeEPSM_NS1_7vsmem_tEENKUlT_SK_SL_SM_E_clISD_PbSF_PiEESJ_SZ_SK_SL_SM_EUlSZ_E0_NS1_11comp_targetILNS1_3genE5ELNS1_11target_archE942ELNS1_3gpuE9ELNS1_3repE0EEENS1_38merge_mergepath_config_static_selectorELNS0_4arch9wavefront6targetE1EEEvSL_
; %bb.0:
	.section	.rodata,"a",@progbits
	.p2align	6, 0x0
	.amdhsa_kernel _ZN7rocprim17ROCPRIM_400000_NS6detail17trampoline_kernelINS0_14default_configENS1_38merge_sort_block_merge_config_selectorIbiEEZZNS1_27merge_sort_block_merge_implIS3_N6thrust23THRUST_200600_302600_NS6detail15normal_iteratorINS8_10device_ptrIbEEEENSA_INSB_IiEEEEjNS1_19radix_merge_compareILb1ELb0EbNS0_19identity_decomposerEEEEE10hipError_tT0_T1_T2_jT3_P12ihipStream_tbPNSt15iterator_traitsISK_E10value_typeEPNSQ_ISL_E10value_typeEPSM_NS1_7vsmem_tEENKUlT_SK_SL_SM_E_clISD_PbSF_PiEESJ_SZ_SK_SL_SM_EUlSZ_E0_NS1_11comp_targetILNS1_3genE5ELNS1_11target_archE942ELNS1_3gpuE9ELNS1_3repE0EEENS1_38merge_mergepath_config_static_selectorELNS0_4arch9wavefront6targetE1EEEvSL_
		.amdhsa_group_segment_fixed_size 0
		.amdhsa_private_segment_fixed_size 0
		.amdhsa_kernarg_size 64
		.amdhsa_user_sgpr_count 2
		.amdhsa_user_sgpr_dispatch_ptr 0
		.amdhsa_user_sgpr_queue_ptr 0
		.amdhsa_user_sgpr_kernarg_segment_ptr 1
		.amdhsa_user_sgpr_dispatch_id 0
		.amdhsa_user_sgpr_kernarg_preload_length 0
		.amdhsa_user_sgpr_kernarg_preload_offset 0
		.amdhsa_user_sgpr_private_segment_size 0
		.amdhsa_uses_dynamic_stack 0
		.amdhsa_enable_private_segment 0
		.amdhsa_system_sgpr_workgroup_id_x 1
		.amdhsa_system_sgpr_workgroup_id_y 0
		.amdhsa_system_sgpr_workgroup_id_z 0
		.amdhsa_system_sgpr_workgroup_info 0
		.amdhsa_system_vgpr_workitem_id 0
		.amdhsa_next_free_vgpr 1
		.amdhsa_next_free_sgpr 0
		.amdhsa_accum_offset 4
		.amdhsa_reserve_vcc 0
		.amdhsa_float_round_mode_32 0
		.amdhsa_float_round_mode_16_64 0
		.amdhsa_float_denorm_mode_32 3
		.amdhsa_float_denorm_mode_16_64 3
		.amdhsa_dx10_clamp 1
		.amdhsa_ieee_mode 1
		.amdhsa_fp16_overflow 0
		.amdhsa_tg_split 0
		.amdhsa_exception_fp_ieee_invalid_op 0
		.amdhsa_exception_fp_denorm_src 0
		.amdhsa_exception_fp_ieee_div_zero 0
		.amdhsa_exception_fp_ieee_overflow 0
		.amdhsa_exception_fp_ieee_underflow 0
		.amdhsa_exception_fp_ieee_inexact 0
		.amdhsa_exception_int_div_zero 0
	.end_amdhsa_kernel
	.section	.text._ZN7rocprim17ROCPRIM_400000_NS6detail17trampoline_kernelINS0_14default_configENS1_38merge_sort_block_merge_config_selectorIbiEEZZNS1_27merge_sort_block_merge_implIS3_N6thrust23THRUST_200600_302600_NS6detail15normal_iteratorINS8_10device_ptrIbEEEENSA_INSB_IiEEEEjNS1_19radix_merge_compareILb1ELb0EbNS0_19identity_decomposerEEEEE10hipError_tT0_T1_T2_jT3_P12ihipStream_tbPNSt15iterator_traitsISK_E10value_typeEPNSQ_ISL_E10value_typeEPSM_NS1_7vsmem_tEENKUlT_SK_SL_SM_E_clISD_PbSF_PiEESJ_SZ_SK_SL_SM_EUlSZ_E0_NS1_11comp_targetILNS1_3genE5ELNS1_11target_archE942ELNS1_3gpuE9ELNS1_3repE0EEENS1_38merge_mergepath_config_static_selectorELNS0_4arch9wavefront6targetE1EEEvSL_,"axG",@progbits,_ZN7rocprim17ROCPRIM_400000_NS6detail17trampoline_kernelINS0_14default_configENS1_38merge_sort_block_merge_config_selectorIbiEEZZNS1_27merge_sort_block_merge_implIS3_N6thrust23THRUST_200600_302600_NS6detail15normal_iteratorINS8_10device_ptrIbEEEENSA_INSB_IiEEEEjNS1_19radix_merge_compareILb1ELb0EbNS0_19identity_decomposerEEEEE10hipError_tT0_T1_T2_jT3_P12ihipStream_tbPNSt15iterator_traitsISK_E10value_typeEPNSQ_ISL_E10value_typeEPSM_NS1_7vsmem_tEENKUlT_SK_SL_SM_E_clISD_PbSF_PiEESJ_SZ_SK_SL_SM_EUlSZ_E0_NS1_11comp_targetILNS1_3genE5ELNS1_11target_archE942ELNS1_3gpuE9ELNS1_3repE0EEENS1_38merge_mergepath_config_static_selectorELNS0_4arch9wavefront6targetE1EEEvSL_,comdat
.Lfunc_end2138:
	.size	_ZN7rocprim17ROCPRIM_400000_NS6detail17trampoline_kernelINS0_14default_configENS1_38merge_sort_block_merge_config_selectorIbiEEZZNS1_27merge_sort_block_merge_implIS3_N6thrust23THRUST_200600_302600_NS6detail15normal_iteratorINS8_10device_ptrIbEEEENSA_INSB_IiEEEEjNS1_19radix_merge_compareILb1ELb0EbNS0_19identity_decomposerEEEEE10hipError_tT0_T1_T2_jT3_P12ihipStream_tbPNSt15iterator_traitsISK_E10value_typeEPNSQ_ISL_E10value_typeEPSM_NS1_7vsmem_tEENKUlT_SK_SL_SM_E_clISD_PbSF_PiEESJ_SZ_SK_SL_SM_EUlSZ_E0_NS1_11comp_targetILNS1_3genE5ELNS1_11target_archE942ELNS1_3gpuE9ELNS1_3repE0EEENS1_38merge_mergepath_config_static_selectorELNS0_4arch9wavefront6targetE1EEEvSL_, .Lfunc_end2138-_ZN7rocprim17ROCPRIM_400000_NS6detail17trampoline_kernelINS0_14default_configENS1_38merge_sort_block_merge_config_selectorIbiEEZZNS1_27merge_sort_block_merge_implIS3_N6thrust23THRUST_200600_302600_NS6detail15normal_iteratorINS8_10device_ptrIbEEEENSA_INSB_IiEEEEjNS1_19radix_merge_compareILb1ELb0EbNS0_19identity_decomposerEEEEE10hipError_tT0_T1_T2_jT3_P12ihipStream_tbPNSt15iterator_traitsISK_E10value_typeEPNSQ_ISL_E10value_typeEPSM_NS1_7vsmem_tEENKUlT_SK_SL_SM_E_clISD_PbSF_PiEESJ_SZ_SK_SL_SM_EUlSZ_E0_NS1_11comp_targetILNS1_3genE5ELNS1_11target_archE942ELNS1_3gpuE9ELNS1_3repE0EEENS1_38merge_mergepath_config_static_selectorELNS0_4arch9wavefront6targetE1EEEvSL_
                                        ; -- End function
	.set _ZN7rocprim17ROCPRIM_400000_NS6detail17trampoline_kernelINS0_14default_configENS1_38merge_sort_block_merge_config_selectorIbiEEZZNS1_27merge_sort_block_merge_implIS3_N6thrust23THRUST_200600_302600_NS6detail15normal_iteratorINS8_10device_ptrIbEEEENSA_INSB_IiEEEEjNS1_19radix_merge_compareILb1ELb0EbNS0_19identity_decomposerEEEEE10hipError_tT0_T1_T2_jT3_P12ihipStream_tbPNSt15iterator_traitsISK_E10value_typeEPNSQ_ISL_E10value_typeEPSM_NS1_7vsmem_tEENKUlT_SK_SL_SM_E_clISD_PbSF_PiEESJ_SZ_SK_SL_SM_EUlSZ_E0_NS1_11comp_targetILNS1_3genE5ELNS1_11target_archE942ELNS1_3gpuE9ELNS1_3repE0EEENS1_38merge_mergepath_config_static_selectorELNS0_4arch9wavefront6targetE1EEEvSL_.num_vgpr, 0
	.set _ZN7rocprim17ROCPRIM_400000_NS6detail17trampoline_kernelINS0_14default_configENS1_38merge_sort_block_merge_config_selectorIbiEEZZNS1_27merge_sort_block_merge_implIS3_N6thrust23THRUST_200600_302600_NS6detail15normal_iteratorINS8_10device_ptrIbEEEENSA_INSB_IiEEEEjNS1_19radix_merge_compareILb1ELb0EbNS0_19identity_decomposerEEEEE10hipError_tT0_T1_T2_jT3_P12ihipStream_tbPNSt15iterator_traitsISK_E10value_typeEPNSQ_ISL_E10value_typeEPSM_NS1_7vsmem_tEENKUlT_SK_SL_SM_E_clISD_PbSF_PiEESJ_SZ_SK_SL_SM_EUlSZ_E0_NS1_11comp_targetILNS1_3genE5ELNS1_11target_archE942ELNS1_3gpuE9ELNS1_3repE0EEENS1_38merge_mergepath_config_static_selectorELNS0_4arch9wavefront6targetE1EEEvSL_.num_agpr, 0
	.set _ZN7rocprim17ROCPRIM_400000_NS6detail17trampoline_kernelINS0_14default_configENS1_38merge_sort_block_merge_config_selectorIbiEEZZNS1_27merge_sort_block_merge_implIS3_N6thrust23THRUST_200600_302600_NS6detail15normal_iteratorINS8_10device_ptrIbEEEENSA_INSB_IiEEEEjNS1_19radix_merge_compareILb1ELb0EbNS0_19identity_decomposerEEEEE10hipError_tT0_T1_T2_jT3_P12ihipStream_tbPNSt15iterator_traitsISK_E10value_typeEPNSQ_ISL_E10value_typeEPSM_NS1_7vsmem_tEENKUlT_SK_SL_SM_E_clISD_PbSF_PiEESJ_SZ_SK_SL_SM_EUlSZ_E0_NS1_11comp_targetILNS1_3genE5ELNS1_11target_archE942ELNS1_3gpuE9ELNS1_3repE0EEENS1_38merge_mergepath_config_static_selectorELNS0_4arch9wavefront6targetE1EEEvSL_.numbered_sgpr, 0
	.set _ZN7rocprim17ROCPRIM_400000_NS6detail17trampoline_kernelINS0_14default_configENS1_38merge_sort_block_merge_config_selectorIbiEEZZNS1_27merge_sort_block_merge_implIS3_N6thrust23THRUST_200600_302600_NS6detail15normal_iteratorINS8_10device_ptrIbEEEENSA_INSB_IiEEEEjNS1_19radix_merge_compareILb1ELb0EbNS0_19identity_decomposerEEEEE10hipError_tT0_T1_T2_jT3_P12ihipStream_tbPNSt15iterator_traitsISK_E10value_typeEPNSQ_ISL_E10value_typeEPSM_NS1_7vsmem_tEENKUlT_SK_SL_SM_E_clISD_PbSF_PiEESJ_SZ_SK_SL_SM_EUlSZ_E0_NS1_11comp_targetILNS1_3genE5ELNS1_11target_archE942ELNS1_3gpuE9ELNS1_3repE0EEENS1_38merge_mergepath_config_static_selectorELNS0_4arch9wavefront6targetE1EEEvSL_.num_named_barrier, 0
	.set _ZN7rocprim17ROCPRIM_400000_NS6detail17trampoline_kernelINS0_14default_configENS1_38merge_sort_block_merge_config_selectorIbiEEZZNS1_27merge_sort_block_merge_implIS3_N6thrust23THRUST_200600_302600_NS6detail15normal_iteratorINS8_10device_ptrIbEEEENSA_INSB_IiEEEEjNS1_19radix_merge_compareILb1ELb0EbNS0_19identity_decomposerEEEEE10hipError_tT0_T1_T2_jT3_P12ihipStream_tbPNSt15iterator_traitsISK_E10value_typeEPNSQ_ISL_E10value_typeEPSM_NS1_7vsmem_tEENKUlT_SK_SL_SM_E_clISD_PbSF_PiEESJ_SZ_SK_SL_SM_EUlSZ_E0_NS1_11comp_targetILNS1_3genE5ELNS1_11target_archE942ELNS1_3gpuE9ELNS1_3repE0EEENS1_38merge_mergepath_config_static_selectorELNS0_4arch9wavefront6targetE1EEEvSL_.private_seg_size, 0
	.set _ZN7rocprim17ROCPRIM_400000_NS6detail17trampoline_kernelINS0_14default_configENS1_38merge_sort_block_merge_config_selectorIbiEEZZNS1_27merge_sort_block_merge_implIS3_N6thrust23THRUST_200600_302600_NS6detail15normal_iteratorINS8_10device_ptrIbEEEENSA_INSB_IiEEEEjNS1_19radix_merge_compareILb1ELb0EbNS0_19identity_decomposerEEEEE10hipError_tT0_T1_T2_jT3_P12ihipStream_tbPNSt15iterator_traitsISK_E10value_typeEPNSQ_ISL_E10value_typeEPSM_NS1_7vsmem_tEENKUlT_SK_SL_SM_E_clISD_PbSF_PiEESJ_SZ_SK_SL_SM_EUlSZ_E0_NS1_11comp_targetILNS1_3genE5ELNS1_11target_archE942ELNS1_3gpuE9ELNS1_3repE0EEENS1_38merge_mergepath_config_static_selectorELNS0_4arch9wavefront6targetE1EEEvSL_.uses_vcc, 0
	.set _ZN7rocprim17ROCPRIM_400000_NS6detail17trampoline_kernelINS0_14default_configENS1_38merge_sort_block_merge_config_selectorIbiEEZZNS1_27merge_sort_block_merge_implIS3_N6thrust23THRUST_200600_302600_NS6detail15normal_iteratorINS8_10device_ptrIbEEEENSA_INSB_IiEEEEjNS1_19radix_merge_compareILb1ELb0EbNS0_19identity_decomposerEEEEE10hipError_tT0_T1_T2_jT3_P12ihipStream_tbPNSt15iterator_traitsISK_E10value_typeEPNSQ_ISL_E10value_typeEPSM_NS1_7vsmem_tEENKUlT_SK_SL_SM_E_clISD_PbSF_PiEESJ_SZ_SK_SL_SM_EUlSZ_E0_NS1_11comp_targetILNS1_3genE5ELNS1_11target_archE942ELNS1_3gpuE9ELNS1_3repE0EEENS1_38merge_mergepath_config_static_selectorELNS0_4arch9wavefront6targetE1EEEvSL_.uses_flat_scratch, 0
	.set _ZN7rocprim17ROCPRIM_400000_NS6detail17trampoline_kernelINS0_14default_configENS1_38merge_sort_block_merge_config_selectorIbiEEZZNS1_27merge_sort_block_merge_implIS3_N6thrust23THRUST_200600_302600_NS6detail15normal_iteratorINS8_10device_ptrIbEEEENSA_INSB_IiEEEEjNS1_19radix_merge_compareILb1ELb0EbNS0_19identity_decomposerEEEEE10hipError_tT0_T1_T2_jT3_P12ihipStream_tbPNSt15iterator_traitsISK_E10value_typeEPNSQ_ISL_E10value_typeEPSM_NS1_7vsmem_tEENKUlT_SK_SL_SM_E_clISD_PbSF_PiEESJ_SZ_SK_SL_SM_EUlSZ_E0_NS1_11comp_targetILNS1_3genE5ELNS1_11target_archE942ELNS1_3gpuE9ELNS1_3repE0EEENS1_38merge_mergepath_config_static_selectorELNS0_4arch9wavefront6targetE1EEEvSL_.has_dyn_sized_stack, 0
	.set _ZN7rocprim17ROCPRIM_400000_NS6detail17trampoline_kernelINS0_14default_configENS1_38merge_sort_block_merge_config_selectorIbiEEZZNS1_27merge_sort_block_merge_implIS3_N6thrust23THRUST_200600_302600_NS6detail15normal_iteratorINS8_10device_ptrIbEEEENSA_INSB_IiEEEEjNS1_19radix_merge_compareILb1ELb0EbNS0_19identity_decomposerEEEEE10hipError_tT0_T1_T2_jT3_P12ihipStream_tbPNSt15iterator_traitsISK_E10value_typeEPNSQ_ISL_E10value_typeEPSM_NS1_7vsmem_tEENKUlT_SK_SL_SM_E_clISD_PbSF_PiEESJ_SZ_SK_SL_SM_EUlSZ_E0_NS1_11comp_targetILNS1_3genE5ELNS1_11target_archE942ELNS1_3gpuE9ELNS1_3repE0EEENS1_38merge_mergepath_config_static_selectorELNS0_4arch9wavefront6targetE1EEEvSL_.has_recursion, 0
	.set _ZN7rocprim17ROCPRIM_400000_NS6detail17trampoline_kernelINS0_14default_configENS1_38merge_sort_block_merge_config_selectorIbiEEZZNS1_27merge_sort_block_merge_implIS3_N6thrust23THRUST_200600_302600_NS6detail15normal_iteratorINS8_10device_ptrIbEEEENSA_INSB_IiEEEEjNS1_19radix_merge_compareILb1ELb0EbNS0_19identity_decomposerEEEEE10hipError_tT0_T1_T2_jT3_P12ihipStream_tbPNSt15iterator_traitsISK_E10value_typeEPNSQ_ISL_E10value_typeEPSM_NS1_7vsmem_tEENKUlT_SK_SL_SM_E_clISD_PbSF_PiEESJ_SZ_SK_SL_SM_EUlSZ_E0_NS1_11comp_targetILNS1_3genE5ELNS1_11target_archE942ELNS1_3gpuE9ELNS1_3repE0EEENS1_38merge_mergepath_config_static_selectorELNS0_4arch9wavefront6targetE1EEEvSL_.has_indirect_call, 0
	.section	.AMDGPU.csdata,"",@progbits
; Kernel info:
; codeLenInByte = 0
; TotalNumSgprs: 6
; NumVgprs: 0
; NumAgprs: 0
; TotalNumVgprs: 0
; ScratchSize: 0
; MemoryBound: 0
; FloatMode: 240
; IeeeMode: 1
; LDSByteSize: 0 bytes/workgroup (compile time only)
; SGPRBlocks: 0
; VGPRBlocks: 0
; NumSGPRsForWavesPerEU: 6
; NumVGPRsForWavesPerEU: 1
; AccumOffset: 4
; Occupancy: 8
; WaveLimiterHint : 0
; COMPUTE_PGM_RSRC2:SCRATCH_EN: 0
; COMPUTE_PGM_RSRC2:USER_SGPR: 2
; COMPUTE_PGM_RSRC2:TRAP_HANDLER: 0
; COMPUTE_PGM_RSRC2:TGID_X_EN: 1
; COMPUTE_PGM_RSRC2:TGID_Y_EN: 0
; COMPUTE_PGM_RSRC2:TGID_Z_EN: 0
; COMPUTE_PGM_RSRC2:TIDIG_COMP_CNT: 0
; COMPUTE_PGM_RSRC3_GFX90A:ACCUM_OFFSET: 0
; COMPUTE_PGM_RSRC3_GFX90A:TG_SPLIT: 0
	.section	.text._ZN7rocprim17ROCPRIM_400000_NS6detail17trampoline_kernelINS0_14default_configENS1_38merge_sort_block_merge_config_selectorIbiEEZZNS1_27merge_sort_block_merge_implIS3_N6thrust23THRUST_200600_302600_NS6detail15normal_iteratorINS8_10device_ptrIbEEEENSA_INSB_IiEEEEjNS1_19radix_merge_compareILb1ELb0EbNS0_19identity_decomposerEEEEE10hipError_tT0_T1_T2_jT3_P12ihipStream_tbPNSt15iterator_traitsISK_E10value_typeEPNSQ_ISL_E10value_typeEPSM_NS1_7vsmem_tEENKUlT_SK_SL_SM_E_clISD_PbSF_PiEESJ_SZ_SK_SL_SM_EUlSZ_E0_NS1_11comp_targetILNS1_3genE4ELNS1_11target_archE910ELNS1_3gpuE8ELNS1_3repE0EEENS1_38merge_mergepath_config_static_selectorELNS0_4arch9wavefront6targetE1EEEvSL_,"axG",@progbits,_ZN7rocprim17ROCPRIM_400000_NS6detail17trampoline_kernelINS0_14default_configENS1_38merge_sort_block_merge_config_selectorIbiEEZZNS1_27merge_sort_block_merge_implIS3_N6thrust23THRUST_200600_302600_NS6detail15normal_iteratorINS8_10device_ptrIbEEEENSA_INSB_IiEEEEjNS1_19radix_merge_compareILb1ELb0EbNS0_19identity_decomposerEEEEE10hipError_tT0_T1_T2_jT3_P12ihipStream_tbPNSt15iterator_traitsISK_E10value_typeEPNSQ_ISL_E10value_typeEPSM_NS1_7vsmem_tEENKUlT_SK_SL_SM_E_clISD_PbSF_PiEESJ_SZ_SK_SL_SM_EUlSZ_E0_NS1_11comp_targetILNS1_3genE4ELNS1_11target_archE910ELNS1_3gpuE8ELNS1_3repE0EEENS1_38merge_mergepath_config_static_selectorELNS0_4arch9wavefront6targetE1EEEvSL_,comdat
	.protected	_ZN7rocprim17ROCPRIM_400000_NS6detail17trampoline_kernelINS0_14default_configENS1_38merge_sort_block_merge_config_selectorIbiEEZZNS1_27merge_sort_block_merge_implIS3_N6thrust23THRUST_200600_302600_NS6detail15normal_iteratorINS8_10device_ptrIbEEEENSA_INSB_IiEEEEjNS1_19radix_merge_compareILb1ELb0EbNS0_19identity_decomposerEEEEE10hipError_tT0_T1_T2_jT3_P12ihipStream_tbPNSt15iterator_traitsISK_E10value_typeEPNSQ_ISL_E10value_typeEPSM_NS1_7vsmem_tEENKUlT_SK_SL_SM_E_clISD_PbSF_PiEESJ_SZ_SK_SL_SM_EUlSZ_E0_NS1_11comp_targetILNS1_3genE4ELNS1_11target_archE910ELNS1_3gpuE8ELNS1_3repE0EEENS1_38merge_mergepath_config_static_selectorELNS0_4arch9wavefront6targetE1EEEvSL_ ; -- Begin function _ZN7rocprim17ROCPRIM_400000_NS6detail17trampoline_kernelINS0_14default_configENS1_38merge_sort_block_merge_config_selectorIbiEEZZNS1_27merge_sort_block_merge_implIS3_N6thrust23THRUST_200600_302600_NS6detail15normal_iteratorINS8_10device_ptrIbEEEENSA_INSB_IiEEEEjNS1_19radix_merge_compareILb1ELb0EbNS0_19identity_decomposerEEEEE10hipError_tT0_T1_T2_jT3_P12ihipStream_tbPNSt15iterator_traitsISK_E10value_typeEPNSQ_ISL_E10value_typeEPSM_NS1_7vsmem_tEENKUlT_SK_SL_SM_E_clISD_PbSF_PiEESJ_SZ_SK_SL_SM_EUlSZ_E0_NS1_11comp_targetILNS1_3genE4ELNS1_11target_archE910ELNS1_3gpuE8ELNS1_3repE0EEENS1_38merge_mergepath_config_static_selectorELNS0_4arch9wavefront6targetE1EEEvSL_
	.globl	_ZN7rocprim17ROCPRIM_400000_NS6detail17trampoline_kernelINS0_14default_configENS1_38merge_sort_block_merge_config_selectorIbiEEZZNS1_27merge_sort_block_merge_implIS3_N6thrust23THRUST_200600_302600_NS6detail15normal_iteratorINS8_10device_ptrIbEEEENSA_INSB_IiEEEEjNS1_19radix_merge_compareILb1ELb0EbNS0_19identity_decomposerEEEEE10hipError_tT0_T1_T2_jT3_P12ihipStream_tbPNSt15iterator_traitsISK_E10value_typeEPNSQ_ISL_E10value_typeEPSM_NS1_7vsmem_tEENKUlT_SK_SL_SM_E_clISD_PbSF_PiEESJ_SZ_SK_SL_SM_EUlSZ_E0_NS1_11comp_targetILNS1_3genE4ELNS1_11target_archE910ELNS1_3gpuE8ELNS1_3repE0EEENS1_38merge_mergepath_config_static_selectorELNS0_4arch9wavefront6targetE1EEEvSL_
	.p2align	8
	.type	_ZN7rocprim17ROCPRIM_400000_NS6detail17trampoline_kernelINS0_14default_configENS1_38merge_sort_block_merge_config_selectorIbiEEZZNS1_27merge_sort_block_merge_implIS3_N6thrust23THRUST_200600_302600_NS6detail15normal_iteratorINS8_10device_ptrIbEEEENSA_INSB_IiEEEEjNS1_19radix_merge_compareILb1ELb0EbNS0_19identity_decomposerEEEEE10hipError_tT0_T1_T2_jT3_P12ihipStream_tbPNSt15iterator_traitsISK_E10value_typeEPNSQ_ISL_E10value_typeEPSM_NS1_7vsmem_tEENKUlT_SK_SL_SM_E_clISD_PbSF_PiEESJ_SZ_SK_SL_SM_EUlSZ_E0_NS1_11comp_targetILNS1_3genE4ELNS1_11target_archE910ELNS1_3gpuE8ELNS1_3repE0EEENS1_38merge_mergepath_config_static_selectorELNS0_4arch9wavefront6targetE1EEEvSL_,@function
_ZN7rocprim17ROCPRIM_400000_NS6detail17trampoline_kernelINS0_14default_configENS1_38merge_sort_block_merge_config_selectorIbiEEZZNS1_27merge_sort_block_merge_implIS3_N6thrust23THRUST_200600_302600_NS6detail15normal_iteratorINS8_10device_ptrIbEEEENSA_INSB_IiEEEEjNS1_19radix_merge_compareILb1ELb0EbNS0_19identity_decomposerEEEEE10hipError_tT0_T1_T2_jT3_P12ihipStream_tbPNSt15iterator_traitsISK_E10value_typeEPNSQ_ISL_E10value_typeEPSM_NS1_7vsmem_tEENKUlT_SK_SL_SM_E_clISD_PbSF_PiEESJ_SZ_SK_SL_SM_EUlSZ_E0_NS1_11comp_targetILNS1_3genE4ELNS1_11target_archE910ELNS1_3gpuE8ELNS1_3repE0EEENS1_38merge_mergepath_config_static_selectorELNS0_4arch9wavefront6targetE1EEEvSL_: ; @_ZN7rocprim17ROCPRIM_400000_NS6detail17trampoline_kernelINS0_14default_configENS1_38merge_sort_block_merge_config_selectorIbiEEZZNS1_27merge_sort_block_merge_implIS3_N6thrust23THRUST_200600_302600_NS6detail15normal_iteratorINS8_10device_ptrIbEEEENSA_INSB_IiEEEEjNS1_19radix_merge_compareILb1ELb0EbNS0_19identity_decomposerEEEEE10hipError_tT0_T1_T2_jT3_P12ihipStream_tbPNSt15iterator_traitsISK_E10value_typeEPNSQ_ISL_E10value_typeEPSM_NS1_7vsmem_tEENKUlT_SK_SL_SM_E_clISD_PbSF_PiEESJ_SZ_SK_SL_SM_EUlSZ_E0_NS1_11comp_targetILNS1_3genE4ELNS1_11target_archE910ELNS1_3gpuE8ELNS1_3repE0EEENS1_38merge_mergepath_config_static_selectorELNS0_4arch9wavefront6targetE1EEEvSL_
; %bb.0:
	.section	.rodata,"a",@progbits
	.p2align	6, 0x0
	.amdhsa_kernel _ZN7rocprim17ROCPRIM_400000_NS6detail17trampoline_kernelINS0_14default_configENS1_38merge_sort_block_merge_config_selectorIbiEEZZNS1_27merge_sort_block_merge_implIS3_N6thrust23THRUST_200600_302600_NS6detail15normal_iteratorINS8_10device_ptrIbEEEENSA_INSB_IiEEEEjNS1_19radix_merge_compareILb1ELb0EbNS0_19identity_decomposerEEEEE10hipError_tT0_T1_T2_jT3_P12ihipStream_tbPNSt15iterator_traitsISK_E10value_typeEPNSQ_ISL_E10value_typeEPSM_NS1_7vsmem_tEENKUlT_SK_SL_SM_E_clISD_PbSF_PiEESJ_SZ_SK_SL_SM_EUlSZ_E0_NS1_11comp_targetILNS1_3genE4ELNS1_11target_archE910ELNS1_3gpuE8ELNS1_3repE0EEENS1_38merge_mergepath_config_static_selectorELNS0_4arch9wavefront6targetE1EEEvSL_
		.amdhsa_group_segment_fixed_size 0
		.amdhsa_private_segment_fixed_size 0
		.amdhsa_kernarg_size 64
		.amdhsa_user_sgpr_count 2
		.amdhsa_user_sgpr_dispatch_ptr 0
		.amdhsa_user_sgpr_queue_ptr 0
		.amdhsa_user_sgpr_kernarg_segment_ptr 1
		.amdhsa_user_sgpr_dispatch_id 0
		.amdhsa_user_sgpr_kernarg_preload_length 0
		.amdhsa_user_sgpr_kernarg_preload_offset 0
		.amdhsa_user_sgpr_private_segment_size 0
		.amdhsa_uses_dynamic_stack 0
		.amdhsa_enable_private_segment 0
		.amdhsa_system_sgpr_workgroup_id_x 1
		.amdhsa_system_sgpr_workgroup_id_y 0
		.amdhsa_system_sgpr_workgroup_id_z 0
		.amdhsa_system_sgpr_workgroup_info 0
		.amdhsa_system_vgpr_workitem_id 0
		.amdhsa_next_free_vgpr 1
		.amdhsa_next_free_sgpr 0
		.amdhsa_accum_offset 4
		.amdhsa_reserve_vcc 0
		.amdhsa_float_round_mode_32 0
		.amdhsa_float_round_mode_16_64 0
		.amdhsa_float_denorm_mode_32 3
		.amdhsa_float_denorm_mode_16_64 3
		.amdhsa_dx10_clamp 1
		.amdhsa_ieee_mode 1
		.amdhsa_fp16_overflow 0
		.amdhsa_tg_split 0
		.amdhsa_exception_fp_ieee_invalid_op 0
		.amdhsa_exception_fp_denorm_src 0
		.amdhsa_exception_fp_ieee_div_zero 0
		.amdhsa_exception_fp_ieee_overflow 0
		.amdhsa_exception_fp_ieee_underflow 0
		.amdhsa_exception_fp_ieee_inexact 0
		.amdhsa_exception_int_div_zero 0
	.end_amdhsa_kernel
	.section	.text._ZN7rocprim17ROCPRIM_400000_NS6detail17trampoline_kernelINS0_14default_configENS1_38merge_sort_block_merge_config_selectorIbiEEZZNS1_27merge_sort_block_merge_implIS3_N6thrust23THRUST_200600_302600_NS6detail15normal_iteratorINS8_10device_ptrIbEEEENSA_INSB_IiEEEEjNS1_19radix_merge_compareILb1ELb0EbNS0_19identity_decomposerEEEEE10hipError_tT0_T1_T2_jT3_P12ihipStream_tbPNSt15iterator_traitsISK_E10value_typeEPNSQ_ISL_E10value_typeEPSM_NS1_7vsmem_tEENKUlT_SK_SL_SM_E_clISD_PbSF_PiEESJ_SZ_SK_SL_SM_EUlSZ_E0_NS1_11comp_targetILNS1_3genE4ELNS1_11target_archE910ELNS1_3gpuE8ELNS1_3repE0EEENS1_38merge_mergepath_config_static_selectorELNS0_4arch9wavefront6targetE1EEEvSL_,"axG",@progbits,_ZN7rocprim17ROCPRIM_400000_NS6detail17trampoline_kernelINS0_14default_configENS1_38merge_sort_block_merge_config_selectorIbiEEZZNS1_27merge_sort_block_merge_implIS3_N6thrust23THRUST_200600_302600_NS6detail15normal_iteratorINS8_10device_ptrIbEEEENSA_INSB_IiEEEEjNS1_19radix_merge_compareILb1ELb0EbNS0_19identity_decomposerEEEEE10hipError_tT0_T1_T2_jT3_P12ihipStream_tbPNSt15iterator_traitsISK_E10value_typeEPNSQ_ISL_E10value_typeEPSM_NS1_7vsmem_tEENKUlT_SK_SL_SM_E_clISD_PbSF_PiEESJ_SZ_SK_SL_SM_EUlSZ_E0_NS1_11comp_targetILNS1_3genE4ELNS1_11target_archE910ELNS1_3gpuE8ELNS1_3repE0EEENS1_38merge_mergepath_config_static_selectorELNS0_4arch9wavefront6targetE1EEEvSL_,comdat
.Lfunc_end2139:
	.size	_ZN7rocprim17ROCPRIM_400000_NS6detail17trampoline_kernelINS0_14default_configENS1_38merge_sort_block_merge_config_selectorIbiEEZZNS1_27merge_sort_block_merge_implIS3_N6thrust23THRUST_200600_302600_NS6detail15normal_iteratorINS8_10device_ptrIbEEEENSA_INSB_IiEEEEjNS1_19radix_merge_compareILb1ELb0EbNS0_19identity_decomposerEEEEE10hipError_tT0_T1_T2_jT3_P12ihipStream_tbPNSt15iterator_traitsISK_E10value_typeEPNSQ_ISL_E10value_typeEPSM_NS1_7vsmem_tEENKUlT_SK_SL_SM_E_clISD_PbSF_PiEESJ_SZ_SK_SL_SM_EUlSZ_E0_NS1_11comp_targetILNS1_3genE4ELNS1_11target_archE910ELNS1_3gpuE8ELNS1_3repE0EEENS1_38merge_mergepath_config_static_selectorELNS0_4arch9wavefront6targetE1EEEvSL_, .Lfunc_end2139-_ZN7rocprim17ROCPRIM_400000_NS6detail17trampoline_kernelINS0_14default_configENS1_38merge_sort_block_merge_config_selectorIbiEEZZNS1_27merge_sort_block_merge_implIS3_N6thrust23THRUST_200600_302600_NS6detail15normal_iteratorINS8_10device_ptrIbEEEENSA_INSB_IiEEEEjNS1_19radix_merge_compareILb1ELb0EbNS0_19identity_decomposerEEEEE10hipError_tT0_T1_T2_jT3_P12ihipStream_tbPNSt15iterator_traitsISK_E10value_typeEPNSQ_ISL_E10value_typeEPSM_NS1_7vsmem_tEENKUlT_SK_SL_SM_E_clISD_PbSF_PiEESJ_SZ_SK_SL_SM_EUlSZ_E0_NS1_11comp_targetILNS1_3genE4ELNS1_11target_archE910ELNS1_3gpuE8ELNS1_3repE0EEENS1_38merge_mergepath_config_static_selectorELNS0_4arch9wavefront6targetE1EEEvSL_
                                        ; -- End function
	.set _ZN7rocprim17ROCPRIM_400000_NS6detail17trampoline_kernelINS0_14default_configENS1_38merge_sort_block_merge_config_selectorIbiEEZZNS1_27merge_sort_block_merge_implIS3_N6thrust23THRUST_200600_302600_NS6detail15normal_iteratorINS8_10device_ptrIbEEEENSA_INSB_IiEEEEjNS1_19radix_merge_compareILb1ELb0EbNS0_19identity_decomposerEEEEE10hipError_tT0_T1_T2_jT3_P12ihipStream_tbPNSt15iterator_traitsISK_E10value_typeEPNSQ_ISL_E10value_typeEPSM_NS1_7vsmem_tEENKUlT_SK_SL_SM_E_clISD_PbSF_PiEESJ_SZ_SK_SL_SM_EUlSZ_E0_NS1_11comp_targetILNS1_3genE4ELNS1_11target_archE910ELNS1_3gpuE8ELNS1_3repE0EEENS1_38merge_mergepath_config_static_selectorELNS0_4arch9wavefront6targetE1EEEvSL_.num_vgpr, 0
	.set _ZN7rocprim17ROCPRIM_400000_NS6detail17trampoline_kernelINS0_14default_configENS1_38merge_sort_block_merge_config_selectorIbiEEZZNS1_27merge_sort_block_merge_implIS3_N6thrust23THRUST_200600_302600_NS6detail15normal_iteratorINS8_10device_ptrIbEEEENSA_INSB_IiEEEEjNS1_19radix_merge_compareILb1ELb0EbNS0_19identity_decomposerEEEEE10hipError_tT0_T1_T2_jT3_P12ihipStream_tbPNSt15iterator_traitsISK_E10value_typeEPNSQ_ISL_E10value_typeEPSM_NS1_7vsmem_tEENKUlT_SK_SL_SM_E_clISD_PbSF_PiEESJ_SZ_SK_SL_SM_EUlSZ_E0_NS1_11comp_targetILNS1_3genE4ELNS1_11target_archE910ELNS1_3gpuE8ELNS1_3repE0EEENS1_38merge_mergepath_config_static_selectorELNS0_4arch9wavefront6targetE1EEEvSL_.num_agpr, 0
	.set _ZN7rocprim17ROCPRIM_400000_NS6detail17trampoline_kernelINS0_14default_configENS1_38merge_sort_block_merge_config_selectorIbiEEZZNS1_27merge_sort_block_merge_implIS3_N6thrust23THRUST_200600_302600_NS6detail15normal_iteratorINS8_10device_ptrIbEEEENSA_INSB_IiEEEEjNS1_19radix_merge_compareILb1ELb0EbNS0_19identity_decomposerEEEEE10hipError_tT0_T1_T2_jT3_P12ihipStream_tbPNSt15iterator_traitsISK_E10value_typeEPNSQ_ISL_E10value_typeEPSM_NS1_7vsmem_tEENKUlT_SK_SL_SM_E_clISD_PbSF_PiEESJ_SZ_SK_SL_SM_EUlSZ_E0_NS1_11comp_targetILNS1_3genE4ELNS1_11target_archE910ELNS1_3gpuE8ELNS1_3repE0EEENS1_38merge_mergepath_config_static_selectorELNS0_4arch9wavefront6targetE1EEEvSL_.numbered_sgpr, 0
	.set _ZN7rocprim17ROCPRIM_400000_NS6detail17trampoline_kernelINS0_14default_configENS1_38merge_sort_block_merge_config_selectorIbiEEZZNS1_27merge_sort_block_merge_implIS3_N6thrust23THRUST_200600_302600_NS6detail15normal_iteratorINS8_10device_ptrIbEEEENSA_INSB_IiEEEEjNS1_19radix_merge_compareILb1ELb0EbNS0_19identity_decomposerEEEEE10hipError_tT0_T1_T2_jT3_P12ihipStream_tbPNSt15iterator_traitsISK_E10value_typeEPNSQ_ISL_E10value_typeEPSM_NS1_7vsmem_tEENKUlT_SK_SL_SM_E_clISD_PbSF_PiEESJ_SZ_SK_SL_SM_EUlSZ_E0_NS1_11comp_targetILNS1_3genE4ELNS1_11target_archE910ELNS1_3gpuE8ELNS1_3repE0EEENS1_38merge_mergepath_config_static_selectorELNS0_4arch9wavefront6targetE1EEEvSL_.num_named_barrier, 0
	.set _ZN7rocprim17ROCPRIM_400000_NS6detail17trampoline_kernelINS0_14default_configENS1_38merge_sort_block_merge_config_selectorIbiEEZZNS1_27merge_sort_block_merge_implIS3_N6thrust23THRUST_200600_302600_NS6detail15normal_iteratorINS8_10device_ptrIbEEEENSA_INSB_IiEEEEjNS1_19radix_merge_compareILb1ELb0EbNS0_19identity_decomposerEEEEE10hipError_tT0_T1_T2_jT3_P12ihipStream_tbPNSt15iterator_traitsISK_E10value_typeEPNSQ_ISL_E10value_typeEPSM_NS1_7vsmem_tEENKUlT_SK_SL_SM_E_clISD_PbSF_PiEESJ_SZ_SK_SL_SM_EUlSZ_E0_NS1_11comp_targetILNS1_3genE4ELNS1_11target_archE910ELNS1_3gpuE8ELNS1_3repE0EEENS1_38merge_mergepath_config_static_selectorELNS0_4arch9wavefront6targetE1EEEvSL_.private_seg_size, 0
	.set _ZN7rocprim17ROCPRIM_400000_NS6detail17trampoline_kernelINS0_14default_configENS1_38merge_sort_block_merge_config_selectorIbiEEZZNS1_27merge_sort_block_merge_implIS3_N6thrust23THRUST_200600_302600_NS6detail15normal_iteratorINS8_10device_ptrIbEEEENSA_INSB_IiEEEEjNS1_19radix_merge_compareILb1ELb0EbNS0_19identity_decomposerEEEEE10hipError_tT0_T1_T2_jT3_P12ihipStream_tbPNSt15iterator_traitsISK_E10value_typeEPNSQ_ISL_E10value_typeEPSM_NS1_7vsmem_tEENKUlT_SK_SL_SM_E_clISD_PbSF_PiEESJ_SZ_SK_SL_SM_EUlSZ_E0_NS1_11comp_targetILNS1_3genE4ELNS1_11target_archE910ELNS1_3gpuE8ELNS1_3repE0EEENS1_38merge_mergepath_config_static_selectorELNS0_4arch9wavefront6targetE1EEEvSL_.uses_vcc, 0
	.set _ZN7rocprim17ROCPRIM_400000_NS6detail17trampoline_kernelINS0_14default_configENS1_38merge_sort_block_merge_config_selectorIbiEEZZNS1_27merge_sort_block_merge_implIS3_N6thrust23THRUST_200600_302600_NS6detail15normal_iteratorINS8_10device_ptrIbEEEENSA_INSB_IiEEEEjNS1_19radix_merge_compareILb1ELb0EbNS0_19identity_decomposerEEEEE10hipError_tT0_T1_T2_jT3_P12ihipStream_tbPNSt15iterator_traitsISK_E10value_typeEPNSQ_ISL_E10value_typeEPSM_NS1_7vsmem_tEENKUlT_SK_SL_SM_E_clISD_PbSF_PiEESJ_SZ_SK_SL_SM_EUlSZ_E0_NS1_11comp_targetILNS1_3genE4ELNS1_11target_archE910ELNS1_3gpuE8ELNS1_3repE0EEENS1_38merge_mergepath_config_static_selectorELNS0_4arch9wavefront6targetE1EEEvSL_.uses_flat_scratch, 0
	.set _ZN7rocprim17ROCPRIM_400000_NS6detail17trampoline_kernelINS0_14default_configENS1_38merge_sort_block_merge_config_selectorIbiEEZZNS1_27merge_sort_block_merge_implIS3_N6thrust23THRUST_200600_302600_NS6detail15normal_iteratorINS8_10device_ptrIbEEEENSA_INSB_IiEEEEjNS1_19radix_merge_compareILb1ELb0EbNS0_19identity_decomposerEEEEE10hipError_tT0_T1_T2_jT3_P12ihipStream_tbPNSt15iterator_traitsISK_E10value_typeEPNSQ_ISL_E10value_typeEPSM_NS1_7vsmem_tEENKUlT_SK_SL_SM_E_clISD_PbSF_PiEESJ_SZ_SK_SL_SM_EUlSZ_E0_NS1_11comp_targetILNS1_3genE4ELNS1_11target_archE910ELNS1_3gpuE8ELNS1_3repE0EEENS1_38merge_mergepath_config_static_selectorELNS0_4arch9wavefront6targetE1EEEvSL_.has_dyn_sized_stack, 0
	.set _ZN7rocprim17ROCPRIM_400000_NS6detail17trampoline_kernelINS0_14default_configENS1_38merge_sort_block_merge_config_selectorIbiEEZZNS1_27merge_sort_block_merge_implIS3_N6thrust23THRUST_200600_302600_NS6detail15normal_iteratorINS8_10device_ptrIbEEEENSA_INSB_IiEEEEjNS1_19radix_merge_compareILb1ELb0EbNS0_19identity_decomposerEEEEE10hipError_tT0_T1_T2_jT3_P12ihipStream_tbPNSt15iterator_traitsISK_E10value_typeEPNSQ_ISL_E10value_typeEPSM_NS1_7vsmem_tEENKUlT_SK_SL_SM_E_clISD_PbSF_PiEESJ_SZ_SK_SL_SM_EUlSZ_E0_NS1_11comp_targetILNS1_3genE4ELNS1_11target_archE910ELNS1_3gpuE8ELNS1_3repE0EEENS1_38merge_mergepath_config_static_selectorELNS0_4arch9wavefront6targetE1EEEvSL_.has_recursion, 0
	.set _ZN7rocprim17ROCPRIM_400000_NS6detail17trampoline_kernelINS0_14default_configENS1_38merge_sort_block_merge_config_selectorIbiEEZZNS1_27merge_sort_block_merge_implIS3_N6thrust23THRUST_200600_302600_NS6detail15normal_iteratorINS8_10device_ptrIbEEEENSA_INSB_IiEEEEjNS1_19radix_merge_compareILb1ELb0EbNS0_19identity_decomposerEEEEE10hipError_tT0_T1_T2_jT3_P12ihipStream_tbPNSt15iterator_traitsISK_E10value_typeEPNSQ_ISL_E10value_typeEPSM_NS1_7vsmem_tEENKUlT_SK_SL_SM_E_clISD_PbSF_PiEESJ_SZ_SK_SL_SM_EUlSZ_E0_NS1_11comp_targetILNS1_3genE4ELNS1_11target_archE910ELNS1_3gpuE8ELNS1_3repE0EEENS1_38merge_mergepath_config_static_selectorELNS0_4arch9wavefront6targetE1EEEvSL_.has_indirect_call, 0
	.section	.AMDGPU.csdata,"",@progbits
; Kernel info:
; codeLenInByte = 0
; TotalNumSgprs: 6
; NumVgprs: 0
; NumAgprs: 0
; TotalNumVgprs: 0
; ScratchSize: 0
; MemoryBound: 0
; FloatMode: 240
; IeeeMode: 1
; LDSByteSize: 0 bytes/workgroup (compile time only)
; SGPRBlocks: 0
; VGPRBlocks: 0
; NumSGPRsForWavesPerEU: 6
; NumVGPRsForWavesPerEU: 1
; AccumOffset: 4
; Occupancy: 8
; WaveLimiterHint : 0
; COMPUTE_PGM_RSRC2:SCRATCH_EN: 0
; COMPUTE_PGM_RSRC2:USER_SGPR: 2
; COMPUTE_PGM_RSRC2:TRAP_HANDLER: 0
; COMPUTE_PGM_RSRC2:TGID_X_EN: 1
; COMPUTE_PGM_RSRC2:TGID_Y_EN: 0
; COMPUTE_PGM_RSRC2:TGID_Z_EN: 0
; COMPUTE_PGM_RSRC2:TIDIG_COMP_CNT: 0
; COMPUTE_PGM_RSRC3_GFX90A:ACCUM_OFFSET: 0
; COMPUTE_PGM_RSRC3_GFX90A:TG_SPLIT: 0
	.section	.text._ZN7rocprim17ROCPRIM_400000_NS6detail17trampoline_kernelINS0_14default_configENS1_38merge_sort_block_merge_config_selectorIbiEEZZNS1_27merge_sort_block_merge_implIS3_N6thrust23THRUST_200600_302600_NS6detail15normal_iteratorINS8_10device_ptrIbEEEENSA_INSB_IiEEEEjNS1_19radix_merge_compareILb1ELb0EbNS0_19identity_decomposerEEEEE10hipError_tT0_T1_T2_jT3_P12ihipStream_tbPNSt15iterator_traitsISK_E10value_typeEPNSQ_ISL_E10value_typeEPSM_NS1_7vsmem_tEENKUlT_SK_SL_SM_E_clISD_PbSF_PiEESJ_SZ_SK_SL_SM_EUlSZ_E0_NS1_11comp_targetILNS1_3genE3ELNS1_11target_archE908ELNS1_3gpuE7ELNS1_3repE0EEENS1_38merge_mergepath_config_static_selectorELNS0_4arch9wavefront6targetE1EEEvSL_,"axG",@progbits,_ZN7rocprim17ROCPRIM_400000_NS6detail17trampoline_kernelINS0_14default_configENS1_38merge_sort_block_merge_config_selectorIbiEEZZNS1_27merge_sort_block_merge_implIS3_N6thrust23THRUST_200600_302600_NS6detail15normal_iteratorINS8_10device_ptrIbEEEENSA_INSB_IiEEEEjNS1_19radix_merge_compareILb1ELb0EbNS0_19identity_decomposerEEEEE10hipError_tT0_T1_T2_jT3_P12ihipStream_tbPNSt15iterator_traitsISK_E10value_typeEPNSQ_ISL_E10value_typeEPSM_NS1_7vsmem_tEENKUlT_SK_SL_SM_E_clISD_PbSF_PiEESJ_SZ_SK_SL_SM_EUlSZ_E0_NS1_11comp_targetILNS1_3genE3ELNS1_11target_archE908ELNS1_3gpuE7ELNS1_3repE0EEENS1_38merge_mergepath_config_static_selectorELNS0_4arch9wavefront6targetE1EEEvSL_,comdat
	.protected	_ZN7rocprim17ROCPRIM_400000_NS6detail17trampoline_kernelINS0_14default_configENS1_38merge_sort_block_merge_config_selectorIbiEEZZNS1_27merge_sort_block_merge_implIS3_N6thrust23THRUST_200600_302600_NS6detail15normal_iteratorINS8_10device_ptrIbEEEENSA_INSB_IiEEEEjNS1_19radix_merge_compareILb1ELb0EbNS0_19identity_decomposerEEEEE10hipError_tT0_T1_T2_jT3_P12ihipStream_tbPNSt15iterator_traitsISK_E10value_typeEPNSQ_ISL_E10value_typeEPSM_NS1_7vsmem_tEENKUlT_SK_SL_SM_E_clISD_PbSF_PiEESJ_SZ_SK_SL_SM_EUlSZ_E0_NS1_11comp_targetILNS1_3genE3ELNS1_11target_archE908ELNS1_3gpuE7ELNS1_3repE0EEENS1_38merge_mergepath_config_static_selectorELNS0_4arch9wavefront6targetE1EEEvSL_ ; -- Begin function _ZN7rocprim17ROCPRIM_400000_NS6detail17trampoline_kernelINS0_14default_configENS1_38merge_sort_block_merge_config_selectorIbiEEZZNS1_27merge_sort_block_merge_implIS3_N6thrust23THRUST_200600_302600_NS6detail15normal_iteratorINS8_10device_ptrIbEEEENSA_INSB_IiEEEEjNS1_19radix_merge_compareILb1ELb0EbNS0_19identity_decomposerEEEEE10hipError_tT0_T1_T2_jT3_P12ihipStream_tbPNSt15iterator_traitsISK_E10value_typeEPNSQ_ISL_E10value_typeEPSM_NS1_7vsmem_tEENKUlT_SK_SL_SM_E_clISD_PbSF_PiEESJ_SZ_SK_SL_SM_EUlSZ_E0_NS1_11comp_targetILNS1_3genE3ELNS1_11target_archE908ELNS1_3gpuE7ELNS1_3repE0EEENS1_38merge_mergepath_config_static_selectorELNS0_4arch9wavefront6targetE1EEEvSL_
	.globl	_ZN7rocprim17ROCPRIM_400000_NS6detail17trampoline_kernelINS0_14default_configENS1_38merge_sort_block_merge_config_selectorIbiEEZZNS1_27merge_sort_block_merge_implIS3_N6thrust23THRUST_200600_302600_NS6detail15normal_iteratorINS8_10device_ptrIbEEEENSA_INSB_IiEEEEjNS1_19radix_merge_compareILb1ELb0EbNS0_19identity_decomposerEEEEE10hipError_tT0_T1_T2_jT3_P12ihipStream_tbPNSt15iterator_traitsISK_E10value_typeEPNSQ_ISL_E10value_typeEPSM_NS1_7vsmem_tEENKUlT_SK_SL_SM_E_clISD_PbSF_PiEESJ_SZ_SK_SL_SM_EUlSZ_E0_NS1_11comp_targetILNS1_3genE3ELNS1_11target_archE908ELNS1_3gpuE7ELNS1_3repE0EEENS1_38merge_mergepath_config_static_selectorELNS0_4arch9wavefront6targetE1EEEvSL_
	.p2align	8
	.type	_ZN7rocprim17ROCPRIM_400000_NS6detail17trampoline_kernelINS0_14default_configENS1_38merge_sort_block_merge_config_selectorIbiEEZZNS1_27merge_sort_block_merge_implIS3_N6thrust23THRUST_200600_302600_NS6detail15normal_iteratorINS8_10device_ptrIbEEEENSA_INSB_IiEEEEjNS1_19radix_merge_compareILb1ELb0EbNS0_19identity_decomposerEEEEE10hipError_tT0_T1_T2_jT3_P12ihipStream_tbPNSt15iterator_traitsISK_E10value_typeEPNSQ_ISL_E10value_typeEPSM_NS1_7vsmem_tEENKUlT_SK_SL_SM_E_clISD_PbSF_PiEESJ_SZ_SK_SL_SM_EUlSZ_E0_NS1_11comp_targetILNS1_3genE3ELNS1_11target_archE908ELNS1_3gpuE7ELNS1_3repE0EEENS1_38merge_mergepath_config_static_selectorELNS0_4arch9wavefront6targetE1EEEvSL_,@function
_ZN7rocprim17ROCPRIM_400000_NS6detail17trampoline_kernelINS0_14default_configENS1_38merge_sort_block_merge_config_selectorIbiEEZZNS1_27merge_sort_block_merge_implIS3_N6thrust23THRUST_200600_302600_NS6detail15normal_iteratorINS8_10device_ptrIbEEEENSA_INSB_IiEEEEjNS1_19radix_merge_compareILb1ELb0EbNS0_19identity_decomposerEEEEE10hipError_tT0_T1_T2_jT3_P12ihipStream_tbPNSt15iterator_traitsISK_E10value_typeEPNSQ_ISL_E10value_typeEPSM_NS1_7vsmem_tEENKUlT_SK_SL_SM_E_clISD_PbSF_PiEESJ_SZ_SK_SL_SM_EUlSZ_E0_NS1_11comp_targetILNS1_3genE3ELNS1_11target_archE908ELNS1_3gpuE7ELNS1_3repE0EEENS1_38merge_mergepath_config_static_selectorELNS0_4arch9wavefront6targetE1EEEvSL_: ; @_ZN7rocprim17ROCPRIM_400000_NS6detail17trampoline_kernelINS0_14default_configENS1_38merge_sort_block_merge_config_selectorIbiEEZZNS1_27merge_sort_block_merge_implIS3_N6thrust23THRUST_200600_302600_NS6detail15normal_iteratorINS8_10device_ptrIbEEEENSA_INSB_IiEEEEjNS1_19radix_merge_compareILb1ELb0EbNS0_19identity_decomposerEEEEE10hipError_tT0_T1_T2_jT3_P12ihipStream_tbPNSt15iterator_traitsISK_E10value_typeEPNSQ_ISL_E10value_typeEPSM_NS1_7vsmem_tEENKUlT_SK_SL_SM_E_clISD_PbSF_PiEESJ_SZ_SK_SL_SM_EUlSZ_E0_NS1_11comp_targetILNS1_3genE3ELNS1_11target_archE908ELNS1_3gpuE7ELNS1_3repE0EEENS1_38merge_mergepath_config_static_selectorELNS0_4arch9wavefront6targetE1EEEvSL_
; %bb.0:
	.section	.rodata,"a",@progbits
	.p2align	6, 0x0
	.amdhsa_kernel _ZN7rocprim17ROCPRIM_400000_NS6detail17trampoline_kernelINS0_14default_configENS1_38merge_sort_block_merge_config_selectorIbiEEZZNS1_27merge_sort_block_merge_implIS3_N6thrust23THRUST_200600_302600_NS6detail15normal_iteratorINS8_10device_ptrIbEEEENSA_INSB_IiEEEEjNS1_19radix_merge_compareILb1ELb0EbNS0_19identity_decomposerEEEEE10hipError_tT0_T1_T2_jT3_P12ihipStream_tbPNSt15iterator_traitsISK_E10value_typeEPNSQ_ISL_E10value_typeEPSM_NS1_7vsmem_tEENKUlT_SK_SL_SM_E_clISD_PbSF_PiEESJ_SZ_SK_SL_SM_EUlSZ_E0_NS1_11comp_targetILNS1_3genE3ELNS1_11target_archE908ELNS1_3gpuE7ELNS1_3repE0EEENS1_38merge_mergepath_config_static_selectorELNS0_4arch9wavefront6targetE1EEEvSL_
		.amdhsa_group_segment_fixed_size 0
		.amdhsa_private_segment_fixed_size 0
		.amdhsa_kernarg_size 64
		.amdhsa_user_sgpr_count 2
		.amdhsa_user_sgpr_dispatch_ptr 0
		.amdhsa_user_sgpr_queue_ptr 0
		.amdhsa_user_sgpr_kernarg_segment_ptr 1
		.amdhsa_user_sgpr_dispatch_id 0
		.amdhsa_user_sgpr_kernarg_preload_length 0
		.amdhsa_user_sgpr_kernarg_preload_offset 0
		.amdhsa_user_sgpr_private_segment_size 0
		.amdhsa_uses_dynamic_stack 0
		.amdhsa_enable_private_segment 0
		.amdhsa_system_sgpr_workgroup_id_x 1
		.amdhsa_system_sgpr_workgroup_id_y 0
		.amdhsa_system_sgpr_workgroup_id_z 0
		.amdhsa_system_sgpr_workgroup_info 0
		.amdhsa_system_vgpr_workitem_id 0
		.amdhsa_next_free_vgpr 1
		.amdhsa_next_free_sgpr 0
		.amdhsa_accum_offset 4
		.amdhsa_reserve_vcc 0
		.amdhsa_float_round_mode_32 0
		.amdhsa_float_round_mode_16_64 0
		.amdhsa_float_denorm_mode_32 3
		.amdhsa_float_denorm_mode_16_64 3
		.amdhsa_dx10_clamp 1
		.amdhsa_ieee_mode 1
		.amdhsa_fp16_overflow 0
		.amdhsa_tg_split 0
		.amdhsa_exception_fp_ieee_invalid_op 0
		.amdhsa_exception_fp_denorm_src 0
		.amdhsa_exception_fp_ieee_div_zero 0
		.amdhsa_exception_fp_ieee_overflow 0
		.amdhsa_exception_fp_ieee_underflow 0
		.amdhsa_exception_fp_ieee_inexact 0
		.amdhsa_exception_int_div_zero 0
	.end_amdhsa_kernel
	.section	.text._ZN7rocprim17ROCPRIM_400000_NS6detail17trampoline_kernelINS0_14default_configENS1_38merge_sort_block_merge_config_selectorIbiEEZZNS1_27merge_sort_block_merge_implIS3_N6thrust23THRUST_200600_302600_NS6detail15normal_iteratorINS8_10device_ptrIbEEEENSA_INSB_IiEEEEjNS1_19radix_merge_compareILb1ELb0EbNS0_19identity_decomposerEEEEE10hipError_tT0_T1_T2_jT3_P12ihipStream_tbPNSt15iterator_traitsISK_E10value_typeEPNSQ_ISL_E10value_typeEPSM_NS1_7vsmem_tEENKUlT_SK_SL_SM_E_clISD_PbSF_PiEESJ_SZ_SK_SL_SM_EUlSZ_E0_NS1_11comp_targetILNS1_3genE3ELNS1_11target_archE908ELNS1_3gpuE7ELNS1_3repE0EEENS1_38merge_mergepath_config_static_selectorELNS0_4arch9wavefront6targetE1EEEvSL_,"axG",@progbits,_ZN7rocprim17ROCPRIM_400000_NS6detail17trampoline_kernelINS0_14default_configENS1_38merge_sort_block_merge_config_selectorIbiEEZZNS1_27merge_sort_block_merge_implIS3_N6thrust23THRUST_200600_302600_NS6detail15normal_iteratorINS8_10device_ptrIbEEEENSA_INSB_IiEEEEjNS1_19radix_merge_compareILb1ELb0EbNS0_19identity_decomposerEEEEE10hipError_tT0_T1_T2_jT3_P12ihipStream_tbPNSt15iterator_traitsISK_E10value_typeEPNSQ_ISL_E10value_typeEPSM_NS1_7vsmem_tEENKUlT_SK_SL_SM_E_clISD_PbSF_PiEESJ_SZ_SK_SL_SM_EUlSZ_E0_NS1_11comp_targetILNS1_3genE3ELNS1_11target_archE908ELNS1_3gpuE7ELNS1_3repE0EEENS1_38merge_mergepath_config_static_selectorELNS0_4arch9wavefront6targetE1EEEvSL_,comdat
.Lfunc_end2140:
	.size	_ZN7rocprim17ROCPRIM_400000_NS6detail17trampoline_kernelINS0_14default_configENS1_38merge_sort_block_merge_config_selectorIbiEEZZNS1_27merge_sort_block_merge_implIS3_N6thrust23THRUST_200600_302600_NS6detail15normal_iteratorINS8_10device_ptrIbEEEENSA_INSB_IiEEEEjNS1_19radix_merge_compareILb1ELb0EbNS0_19identity_decomposerEEEEE10hipError_tT0_T1_T2_jT3_P12ihipStream_tbPNSt15iterator_traitsISK_E10value_typeEPNSQ_ISL_E10value_typeEPSM_NS1_7vsmem_tEENKUlT_SK_SL_SM_E_clISD_PbSF_PiEESJ_SZ_SK_SL_SM_EUlSZ_E0_NS1_11comp_targetILNS1_3genE3ELNS1_11target_archE908ELNS1_3gpuE7ELNS1_3repE0EEENS1_38merge_mergepath_config_static_selectorELNS0_4arch9wavefront6targetE1EEEvSL_, .Lfunc_end2140-_ZN7rocprim17ROCPRIM_400000_NS6detail17trampoline_kernelINS0_14default_configENS1_38merge_sort_block_merge_config_selectorIbiEEZZNS1_27merge_sort_block_merge_implIS3_N6thrust23THRUST_200600_302600_NS6detail15normal_iteratorINS8_10device_ptrIbEEEENSA_INSB_IiEEEEjNS1_19radix_merge_compareILb1ELb0EbNS0_19identity_decomposerEEEEE10hipError_tT0_T1_T2_jT3_P12ihipStream_tbPNSt15iterator_traitsISK_E10value_typeEPNSQ_ISL_E10value_typeEPSM_NS1_7vsmem_tEENKUlT_SK_SL_SM_E_clISD_PbSF_PiEESJ_SZ_SK_SL_SM_EUlSZ_E0_NS1_11comp_targetILNS1_3genE3ELNS1_11target_archE908ELNS1_3gpuE7ELNS1_3repE0EEENS1_38merge_mergepath_config_static_selectorELNS0_4arch9wavefront6targetE1EEEvSL_
                                        ; -- End function
	.set _ZN7rocprim17ROCPRIM_400000_NS6detail17trampoline_kernelINS0_14default_configENS1_38merge_sort_block_merge_config_selectorIbiEEZZNS1_27merge_sort_block_merge_implIS3_N6thrust23THRUST_200600_302600_NS6detail15normal_iteratorINS8_10device_ptrIbEEEENSA_INSB_IiEEEEjNS1_19radix_merge_compareILb1ELb0EbNS0_19identity_decomposerEEEEE10hipError_tT0_T1_T2_jT3_P12ihipStream_tbPNSt15iterator_traitsISK_E10value_typeEPNSQ_ISL_E10value_typeEPSM_NS1_7vsmem_tEENKUlT_SK_SL_SM_E_clISD_PbSF_PiEESJ_SZ_SK_SL_SM_EUlSZ_E0_NS1_11comp_targetILNS1_3genE3ELNS1_11target_archE908ELNS1_3gpuE7ELNS1_3repE0EEENS1_38merge_mergepath_config_static_selectorELNS0_4arch9wavefront6targetE1EEEvSL_.num_vgpr, 0
	.set _ZN7rocprim17ROCPRIM_400000_NS6detail17trampoline_kernelINS0_14default_configENS1_38merge_sort_block_merge_config_selectorIbiEEZZNS1_27merge_sort_block_merge_implIS3_N6thrust23THRUST_200600_302600_NS6detail15normal_iteratorINS8_10device_ptrIbEEEENSA_INSB_IiEEEEjNS1_19radix_merge_compareILb1ELb0EbNS0_19identity_decomposerEEEEE10hipError_tT0_T1_T2_jT3_P12ihipStream_tbPNSt15iterator_traitsISK_E10value_typeEPNSQ_ISL_E10value_typeEPSM_NS1_7vsmem_tEENKUlT_SK_SL_SM_E_clISD_PbSF_PiEESJ_SZ_SK_SL_SM_EUlSZ_E0_NS1_11comp_targetILNS1_3genE3ELNS1_11target_archE908ELNS1_3gpuE7ELNS1_3repE0EEENS1_38merge_mergepath_config_static_selectorELNS0_4arch9wavefront6targetE1EEEvSL_.num_agpr, 0
	.set _ZN7rocprim17ROCPRIM_400000_NS6detail17trampoline_kernelINS0_14default_configENS1_38merge_sort_block_merge_config_selectorIbiEEZZNS1_27merge_sort_block_merge_implIS3_N6thrust23THRUST_200600_302600_NS6detail15normal_iteratorINS8_10device_ptrIbEEEENSA_INSB_IiEEEEjNS1_19radix_merge_compareILb1ELb0EbNS0_19identity_decomposerEEEEE10hipError_tT0_T1_T2_jT3_P12ihipStream_tbPNSt15iterator_traitsISK_E10value_typeEPNSQ_ISL_E10value_typeEPSM_NS1_7vsmem_tEENKUlT_SK_SL_SM_E_clISD_PbSF_PiEESJ_SZ_SK_SL_SM_EUlSZ_E0_NS1_11comp_targetILNS1_3genE3ELNS1_11target_archE908ELNS1_3gpuE7ELNS1_3repE0EEENS1_38merge_mergepath_config_static_selectorELNS0_4arch9wavefront6targetE1EEEvSL_.numbered_sgpr, 0
	.set _ZN7rocprim17ROCPRIM_400000_NS6detail17trampoline_kernelINS0_14default_configENS1_38merge_sort_block_merge_config_selectorIbiEEZZNS1_27merge_sort_block_merge_implIS3_N6thrust23THRUST_200600_302600_NS6detail15normal_iteratorINS8_10device_ptrIbEEEENSA_INSB_IiEEEEjNS1_19radix_merge_compareILb1ELb0EbNS0_19identity_decomposerEEEEE10hipError_tT0_T1_T2_jT3_P12ihipStream_tbPNSt15iterator_traitsISK_E10value_typeEPNSQ_ISL_E10value_typeEPSM_NS1_7vsmem_tEENKUlT_SK_SL_SM_E_clISD_PbSF_PiEESJ_SZ_SK_SL_SM_EUlSZ_E0_NS1_11comp_targetILNS1_3genE3ELNS1_11target_archE908ELNS1_3gpuE7ELNS1_3repE0EEENS1_38merge_mergepath_config_static_selectorELNS0_4arch9wavefront6targetE1EEEvSL_.num_named_barrier, 0
	.set _ZN7rocprim17ROCPRIM_400000_NS6detail17trampoline_kernelINS0_14default_configENS1_38merge_sort_block_merge_config_selectorIbiEEZZNS1_27merge_sort_block_merge_implIS3_N6thrust23THRUST_200600_302600_NS6detail15normal_iteratorINS8_10device_ptrIbEEEENSA_INSB_IiEEEEjNS1_19radix_merge_compareILb1ELb0EbNS0_19identity_decomposerEEEEE10hipError_tT0_T1_T2_jT3_P12ihipStream_tbPNSt15iterator_traitsISK_E10value_typeEPNSQ_ISL_E10value_typeEPSM_NS1_7vsmem_tEENKUlT_SK_SL_SM_E_clISD_PbSF_PiEESJ_SZ_SK_SL_SM_EUlSZ_E0_NS1_11comp_targetILNS1_3genE3ELNS1_11target_archE908ELNS1_3gpuE7ELNS1_3repE0EEENS1_38merge_mergepath_config_static_selectorELNS0_4arch9wavefront6targetE1EEEvSL_.private_seg_size, 0
	.set _ZN7rocprim17ROCPRIM_400000_NS6detail17trampoline_kernelINS0_14default_configENS1_38merge_sort_block_merge_config_selectorIbiEEZZNS1_27merge_sort_block_merge_implIS3_N6thrust23THRUST_200600_302600_NS6detail15normal_iteratorINS8_10device_ptrIbEEEENSA_INSB_IiEEEEjNS1_19radix_merge_compareILb1ELb0EbNS0_19identity_decomposerEEEEE10hipError_tT0_T1_T2_jT3_P12ihipStream_tbPNSt15iterator_traitsISK_E10value_typeEPNSQ_ISL_E10value_typeEPSM_NS1_7vsmem_tEENKUlT_SK_SL_SM_E_clISD_PbSF_PiEESJ_SZ_SK_SL_SM_EUlSZ_E0_NS1_11comp_targetILNS1_3genE3ELNS1_11target_archE908ELNS1_3gpuE7ELNS1_3repE0EEENS1_38merge_mergepath_config_static_selectorELNS0_4arch9wavefront6targetE1EEEvSL_.uses_vcc, 0
	.set _ZN7rocprim17ROCPRIM_400000_NS6detail17trampoline_kernelINS0_14default_configENS1_38merge_sort_block_merge_config_selectorIbiEEZZNS1_27merge_sort_block_merge_implIS3_N6thrust23THRUST_200600_302600_NS6detail15normal_iteratorINS8_10device_ptrIbEEEENSA_INSB_IiEEEEjNS1_19radix_merge_compareILb1ELb0EbNS0_19identity_decomposerEEEEE10hipError_tT0_T1_T2_jT3_P12ihipStream_tbPNSt15iterator_traitsISK_E10value_typeEPNSQ_ISL_E10value_typeEPSM_NS1_7vsmem_tEENKUlT_SK_SL_SM_E_clISD_PbSF_PiEESJ_SZ_SK_SL_SM_EUlSZ_E0_NS1_11comp_targetILNS1_3genE3ELNS1_11target_archE908ELNS1_3gpuE7ELNS1_3repE0EEENS1_38merge_mergepath_config_static_selectorELNS0_4arch9wavefront6targetE1EEEvSL_.uses_flat_scratch, 0
	.set _ZN7rocprim17ROCPRIM_400000_NS6detail17trampoline_kernelINS0_14default_configENS1_38merge_sort_block_merge_config_selectorIbiEEZZNS1_27merge_sort_block_merge_implIS3_N6thrust23THRUST_200600_302600_NS6detail15normal_iteratorINS8_10device_ptrIbEEEENSA_INSB_IiEEEEjNS1_19radix_merge_compareILb1ELb0EbNS0_19identity_decomposerEEEEE10hipError_tT0_T1_T2_jT3_P12ihipStream_tbPNSt15iterator_traitsISK_E10value_typeEPNSQ_ISL_E10value_typeEPSM_NS1_7vsmem_tEENKUlT_SK_SL_SM_E_clISD_PbSF_PiEESJ_SZ_SK_SL_SM_EUlSZ_E0_NS1_11comp_targetILNS1_3genE3ELNS1_11target_archE908ELNS1_3gpuE7ELNS1_3repE0EEENS1_38merge_mergepath_config_static_selectorELNS0_4arch9wavefront6targetE1EEEvSL_.has_dyn_sized_stack, 0
	.set _ZN7rocprim17ROCPRIM_400000_NS6detail17trampoline_kernelINS0_14default_configENS1_38merge_sort_block_merge_config_selectorIbiEEZZNS1_27merge_sort_block_merge_implIS3_N6thrust23THRUST_200600_302600_NS6detail15normal_iteratorINS8_10device_ptrIbEEEENSA_INSB_IiEEEEjNS1_19radix_merge_compareILb1ELb0EbNS0_19identity_decomposerEEEEE10hipError_tT0_T1_T2_jT3_P12ihipStream_tbPNSt15iterator_traitsISK_E10value_typeEPNSQ_ISL_E10value_typeEPSM_NS1_7vsmem_tEENKUlT_SK_SL_SM_E_clISD_PbSF_PiEESJ_SZ_SK_SL_SM_EUlSZ_E0_NS1_11comp_targetILNS1_3genE3ELNS1_11target_archE908ELNS1_3gpuE7ELNS1_3repE0EEENS1_38merge_mergepath_config_static_selectorELNS0_4arch9wavefront6targetE1EEEvSL_.has_recursion, 0
	.set _ZN7rocprim17ROCPRIM_400000_NS6detail17trampoline_kernelINS0_14default_configENS1_38merge_sort_block_merge_config_selectorIbiEEZZNS1_27merge_sort_block_merge_implIS3_N6thrust23THRUST_200600_302600_NS6detail15normal_iteratorINS8_10device_ptrIbEEEENSA_INSB_IiEEEEjNS1_19radix_merge_compareILb1ELb0EbNS0_19identity_decomposerEEEEE10hipError_tT0_T1_T2_jT3_P12ihipStream_tbPNSt15iterator_traitsISK_E10value_typeEPNSQ_ISL_E10value_typeEPSM_NS1_7vsmem_tEENKUlT_SK_SL_SM_E_clISD_PbSF_PiEESJ_SZ_SK_SL_SM_EUlSZ_E0_NS1_11comp_targetILNS1_3genE3ELNS1_11target_archE908ELNS1_3gpuE7ELNS1_3repE0EEENS1_38merge_mergepath_config_static_selectorELNS0_4arch9wavefront6targetE1EEEvSL_.has_indirect_call, 0
	.section	.AMDGPU.csdata,"",@progbits
; Kernel info:
; codeLenInByte = 0
; TotalNumSgprs: 6
; NumVgprs: 0
; NumAgprs: 0
; TotalNumVgprs: 0
; ScratchSize: 0
; MemoryBound: 0
; FloatMode: 240
; IeeeMode: 1
; LDSByteSize: 0 bytes/workgroup (compile time only)
; SGPRBlocks: 0
; VGPRBlocks: 0
; NumSGPRsForWavesPerEU: 6
; NumVGPRsForWavesPerEU: 1
; AccumOffset: 4
; Occupancy: 8
; WaveLimiterHint : 0
; COMPUTE_PGM_RSRC2:SCRATCH_EN: 0
; COMPUTE_PGM_RSRC2:USER_SGPR: 2
; COMPUTE_PGM_RSRC2:TRAP_HANDLER: 0
; COMPUTE_PGM_RSRC2:TGID_X_EN: 1
; COMPUTE_PGM_RSRC2:TGID_Y_EN: 0
; COMPUTE_PGM_RSRC2:TGID_Z_EN: 0
; COMPUTE_PGM_RSRC2:TIDIG_COMP_CNT: 0
; COMPUTE_PGM_RSRC3_GFX90A:ACCUM_OFFSET: 0
; COMPUTE_PGM_RSRC3_GFX90A:TG_SPLIT: 0
	.section	.text._ZN7rocprim17ROCPRIM_400000_NS6detail17trampoline_kernelINS0_14default_configENS1_38merge_sort_block_merge_config_selectorIbiEEZZNS1_27merge_sort_block_merge_implIS3_N6thrust23THRUST_200600_302600_NS6detail15normal_iteratorINS8_10device_ptrIbEEEENSA_INSB_IiEEEEjNS1_19radix_merge_compareILb1ELb0EbNS0_19identity_decomposerEEEEE10hipError_tT0_T1_T2_jT3_P12ihipStream_tbPNSt15iterator_traitsISK_E10value_typeEPNSQ_ISL_E10value_typeEPSM_NS1_7vsmem_tEENKUlT_SK_SL_SM_E_clISD_PbSF_PiEESJ_SZ_SK_SL_SM_EUlSZ_E0_NS1_11comp_targetILNS1_3genE2ELNS1_11target_archE906ELNS1_3gpuE6ELNS1_3repE0EEENS1_38merge_mergepath_config_static_selectorELNS0_4arch9wavefront6targetE1EEEvSL_,"axG",@progbits,_ZN7rocprim17ROCPRIM_400000_NS6detail17trampoline_kernelINS0_14default_configENS1_38merge_sort_block_merge_config_selectorIbiEEZZNS1_27merge_sort_block_merge_implIS3_N6thrust23THRUST_200600_302600_NS6detail15normal_iteratorINS8_10device_ptrIbEEEENSA_INSB_IiEEEEjNS1_19radix_merge_compareILb1ELb0EbNS0_19identity_decomposerEEEEE10hipError_tT0_T1_T2_jT3_P12ihipStream_tbPNSt15iterator_traitsISK_E10value_typeEPNSQ_ISL_E10value_typeEPSM_NS1_7vsmem_tEENKUlT_SK_SL_SM_E_clISD_PbSF_PiEESJ_SZ_SK_SL_SM_EUlSZ_E0_NS1_11comp_targetILNS1_3genE2ELNS1_11target_archE906ELNS1_3gpuE6ELNS1_3repE0EEENS1_38merge_mergepath_config_static_selectorELNS0_4arch9wavefront6targetE1EEEvSL_,comdat
	.protected	_ZN7rocprim17ROCPRIM_400000_NS6detail17trampoline_kernelINS0_14default_configENS1_38merge_sort_block_merge_config_selectorIbiEEZZNS1_27merge_sort_block_merge_implIS3_N6thrust23THRUST_200600_302600_NS6detail15normal_iteratorINS8_10device_ptrIbEEEENSA_INSB_IiEEEEjNS1_19radix_merge_compareILb1ELb0EbNS0_19identity_decomposerEEEEE10hipError_tT0_T1_T2_jT3_P12ihipStream_tbPNSt15iterator_traitsISK_E10value_typeEPNSQ_ISL_E10value_typeEPSM_NS1_7vsmem_tEENKUlT_SK_SL_SM_E_clISD_PbSF_PiEESJ_SZ_SK_SL_SM_EUlSZ_E0_NS1_11comp_targetILNS1_3genE2ELNS1_11target_archE906ELNS1_3gpuE6ELNS1_3repE0EEENS1_38merge_mergepath_config_static_selectorELNS0_4arch9wavefront6targetE1EEEvSL_ ; -- Begin function _ZN7rocprim17ROCPRIM_400000_NS6detail17trampoline_kernelINS0_14default_configENS1_38merge_sort_block_merge_config_selectorIbiEEZZNS1_27merge_sort_block_merge_implIS3_N6thrust23THRUST_200600_302600_NS6detail15normal_iteratorINS8_10device_ptrIbEEEENSA_INSB_IiEEEEjNS1_19radix_merge_compareILb1ELb0EbNS0_19identity_decomposerEEEEE10hipError_tT0_T1_T2_jT3_P12ihipStream_tbPNSt15iterator_traitsISK_E10value_typeEPNSQ_ISL_E10value_typeEPSM_NS1_7vsmem_tEENKUlT_SK_SL_SM_E_clISD_PbSF_PiEESJ_SZ_SK_SL_SM_EUlSZ_E0_NS1_11comp_targetILNS1_3genE2ELNS1_11target_archE906ELNS1_3gpuE6ELNS1_3repE0EEENS1_38merge_mergepath_config_static_selectorELNS0_4arch9wavefront6targetE1EEEvSL_
	.globl	_ZN7rocprim17ROCPRIM_400000_NS6detail17trampoline_kernelINS0_14default_configENS1_38merge_sort_block_merge_config_selectorIbiEEZZNS1_27merge_sort_block_merge_implIS3_N6thrust23THRUST_200600_302600_NS6detail15normal_iteratorINS8_10device_ptrIbEEEENSA_INSB_IiEEEEjNS1_19radix_merge_compareILb1ELb0EbNS0_19identity_decomposerEEEEE10hipError_tT0_T1_T2_jT3_P12ihipStream_tbPNSt15iterator_traitsISK_E10value_typeEPNSQ_ISL_E10value_typeEPSM_NS1_7vsmem_tEENKUlT_SK_SL_SM_E_clISD_PbSF_PiEESJ_SZ_SK_SL_SM_EUlSZ_E0_NS1_11comp_targetILNS1_3genE2ELNS1_11target_archE906ELNS1_3gpuE6ELNS1_3repE0EEENS1_38merge_mergepath_config_static_selectorELNS0_4arch9wavefront6targetE1EEEvSL_
	.p2align	8
	.type	_ZN7rocprim17ROCPRIM_400000_NS6detail17trampoline_kernelINS0_14default_configENS1_38merge_sort_block_merge_config_selectorIbiEEZZNS1_27merge_sort_block_merge_implIS3_N6thrust23THRUST_200600_302600_NS6detail15normal_iteratorINS8_10device_ptrIbEEEENSA_INSB_IiEEEEjNS1_19radix_merge_compareILb1ELb0EbNS0_19identity_decomposerEEEEE10hipError_tT0_T1_T2_jT3_P12ihipStream_tbPNSt15iterator_traitsISK_E10value_typeEPNSQ_ISL_E10value_typeEPSM_NS1_7vsmem_tEENKUlT_SK_SL_SM_E_clISD_PbSF_PiEESJ_SZ_SK_SL_SM_EUlSZ_E0_NS1_11comp_targetILNS1_3genE2ELNS1_11target_archE906ELNS1_3gpuE6ELNS1_3repE0EEENS1_38merge_mergepath_config_static_selectorELNS0_4arch9wavefront6targetE1EEEvSL_,@function
_ZN7rocprim17ROCPRIM_400000_NS6detail17trampoline_kernelINS0_14default_configENS1_38merge_sort_block_merge_config_selectorIbiEEZZNS1_27merge_sort_block_merge_implIS3_N6thrust23THRUST_200600_302600_NS6detail15normal_iteratorINS8_10device_ptrIbEEEENSA_INSB_IiEEEEjNS1_19radix_merge_compareILb1ELb0EbNS0_19identity_decomposerEEEEE10hipError_tT0_T1_T2_jT3_P12ihipStream_tbPNSt15iterator_traitsISK_E10value_typeEPNSQ_ISL_E10value_typeEPSM_NS1_7vsmem_tEENKUlT_SK_SL_SM_E_clISD_PbSF_PiEESJ_SZ_SK_SL_SM_EUlSZ_E0_NS1_11comp_targetILNS1_3genE2ELNS1_11target_archE906ELNS1_3gpuE6ELNS1_3repE0EEENS1_38merge_mergepath_config_static_selectorELNS0_4arch9wavefront6targetE1EEEvSL_: ; @_ZN7rocprim17ROCPRIM_400000_NS6detail17trampoline_kernelINS0_14default_configENS1_38merge_sort_block_merge_config_selectorIbiEEZZNS1_27merge_sort_block_merge_implIS3_N6thrust23THRUST_200600_302600_NS6detail15normal_iteratorINS8_10device_ptrIbEEEENSA_INSB_IiEEEEjNS1_19radix_merge_compareILb1ELb0EbNS0_19identity_decomposerEEEEE10hipError_tT0_T1_T2_jT3_P12ihipStream_tbPNSt15iterator_traitsISK_E10value_typeEPNSQ_ISL_E10value_typeEPSM_NS1_7vsmem_tEENKUlT_SK_SL_SM_E_clISD_PbSF_PiEESJ_SZ_SK_SL_SM_EUlSZ_E0_NS1_11comp_targetILNS1_3genE2ELNS1_11target_archE906ELNS1_3gpuE6ELNS1_3repE0EEENS1_38merge_mergepath_config_static_selectorELNS0_4arch9wavefront6targetE1EEEvSL_
; %bb.0:
	.section	.rodata,"a",@progbits
	.p2align	6, 0x0
	.amdhsa_kernel _ZN7rocprim17ROCPRIM_400000_NS6detail17trampoline_kernelINS0_14default_configENS1_38merge_sort_block_merge_config_selectorIbiEEZZNS1_27merge_sort_block_merge_implIS3_N6thrust23THRUST_200600_302600_NS6detail15normal_iteratorINS8_10device_ptrIbEEEENSA_INSB_IiEEEEjNS1_19radix_merge_compareILb1ELb0EbNS0_19identity_decomposerEEEEE10hipError_tT0_T1_T2_jT3_P12ihipStream_tbPNSt15iterator_traitsISK_E10value_typeEPNSQ_ISL_E10value_typeEPSM_NS1_7vsmem_tEENKUlT_SK_SL_SM_E_clISD_PbSF_PiEESJ_SZ_SK_SL_SM_EUlSZ_E0_NS1_11comp_targetILNS1_3genE2ELNS1_11target_archE906ELNS1_3gpuE6ELNS1_3repE0EEENS1_38merge_mergepath_config_static_selectorELNS0_4arch9wavefront6targetE1EEEvSL_
		.amdhsa_group_segment_fixed_size 0
		.amdhsa_private_segment_fixed_size 0
		.amdhsa_kernarg_size 64
		.amdhsa_user_sgpr_count 2
		.amdhsa_user_sgpr_dispatch_ptr 0
		.amdhsa_user_sgpr_queue_ptr 0
		.amdhsa_user_sgpr_kernarg_segment_ptr 1
		.amdhsa_user_sgpr_dispatch_id 0
		.amdhsa_user_sgpr_kernarg_preload_length 0
		.amdhsa_user_sgpr_kernarg_preload_offset 0
		.amdhsa_user_sgpr_private_segment_size 0
		.amdhsa_uses_dynamic_stack 0
		.amdhsa_enable_private_segment 0
		.amdhsa_system_sgpr_workgroup_id_x 1
		.amdhsa_system_sgpr_workgroup_id_y 0
		.amdhsa_system_sgpr_workgroup_id_z 0
		.amdhsa_system_sgpr_workgroup_info 0
		.amdhsa_system_vgpr_workitem_id 0
		.amdhsa_next_free_vgpr 1
		.amdhsa_next_free_sgpr 0
		.amdhsa_accum_offset 4
		.amdhsa_reserve_vcc 0
		.amdhsa_float_round_mode_32 0
		.amdhsa_float_round_mode_16_64 0
		.amdhsa_float_denorm_mode_32 3
		.amdhsa_float_denorm_mode_16_64 3
		.amdhsa_dx10_clamp 1
		.amdhsa_ieee_mode 1
		.amdhsa_fp16_overflow 0
		.amdhsa_tg_split 0
		.amdhsa_exception_fp_ieee_invalid_op 0
		.amdhsa_exception_fp_denorm_src 0
		.amdhsa_exception_fp_ieee_div_zero 0
		.amdhsa_exception_fp_ieee_overflow 0
		.amdhsa_exception_fp_ieee_underflow 0
		.amdhsa_exception_fp_ieee_inexact 0
		.amdhsa_exception_int_div_zero 0
	.end_amdhsa_kernel
	.section	.text._ZN7rocprim17ROCPRIM_400000_NS6detail17trampoline_kernelINS0_14default_configENS1_38merge_sort_block_merge_config_selectorIbiEEZZNS1_27merge_sort_block_merge_implIS3_N6thrust23THRUST_200600_302600_NS6detail15normal_iteratorINS8_10device_ptrIbEEEENSA_INSB_IiEEEEjNS1_19radix_merge_compareILb1ELb0EbNS0_19identity_decomposerEEEEE10hipError_tT0_T1_T2_jT3_P12ihipStream_tbPNSt15iterator_traitsISK_E10value_typeEPNSQ_ISL_E10value_typeEPSM_NS1_7vsmem_tEENKUlT_SK_SL_SM_E_clISD_PbSF_PiEESJ_SZ_SK_SL_SM_EUlSZ_E0_NS1_11comp_targetILNS1_3genE2ELNS1_11target_archE906ELNS1_3gpuE6ELNS1_3repE0EEENS1_38merge_mergepath_config_static_selectorELNS0_4arch9wavefront6targetE1EEEvSL_,"axG",@progbits,_ZN7rocprim17ROCPRIM_400000_NS6detail17trampoline_kernelINS0_14default_configENS1_38merge_sort_block_merge_config_selectorIbiEEZZNS1_27merge_sort_block_merge_implIS3_N6thrust23THRUST_200600_302600_NS6detail15normal_iteratorINS8_10device_ptrIbEEEENSA_INSB_IiEEEEjNS1_19radix_merge_compareILb1ELb0EbNS0_19identity_decomposerEEEEE10hipError_tT0_T1_T2_jT3_P12ihipStream_tbPNSt15iterator_traitsISK_E10value_typeEPNSQ_ISL_E10value_typeEPSM_NS1_7vsmem_tEENKUlT_SK_SL_SM_E_clISD_PbSF_PiEESJ_SZ_SK_SL_SM_EUlSZ_E0_NS1_11comp_targetILNS1_3genE2ELNS1_11target_archE906ELNS1_3gpuE6ELNS1_3repE0EEENS1_38merge_mergepath_config_static_selectorELNS0_4arch9wavefront6targetE1EEEvSL_,comdat
.Lfunc_end2141:
	.size	_ZN7rocprim17ROCPRIM_400000_NS6detail17trampoline_kernelINS0_14default_configENS1_38merge_sort_block_merge_config_selectorIbiEEZZNS1_27merge_sort_block_merge_implIS3_N6thrust23THRUST_200600_302600_NS6detail15normal_iteratorINS8_10device_ptrIbEEEENSA_INSB_IiEEEEjNS1_19radix_merge_compareILb1ELb0EbNS0_19identity_decomposerEEEEE10hipError_tT0_T1_T2_jT3_P12ihipStream_tbPNSt15iterator_traitsISK_E10value_typeEPNSQ_ISL_E10value_typeEPSM_NS1_7vsmem_tEENKUlT_SK_SL_SM_E_clISD_PbSF_PiEESJ_SZ_SK_SL_SM_EUlSZ_E0_NS1_11comp_targetILNS1_3genE2ELNS1_11target_archE906ELNS1_3gpuE6ELNS1_3repE0EEENS1_38merge_mergepath_config_static_selectorELNS0_4arch9wavefront6targetE1EEEvSL_, .Lfunc_end2141-_ZN7rocprim17ROCPRIM_400000_NS6detail17trampoline_kernelINS0_14default_configENS1_38merge_sort_block_merge_config_selectorIbiEEZZNS1_27merge_sort_block_merge_implIS3_N6thrust23THRUST_200600_302600_NS6detail15normal_iteratorINS8_10device_ptrIbEEEENSA_INSB_IiEEEEjNS1_19radix_merge_compareILb1ELb0EbNS0_19identity_decomposerEEEEE10hipError_tT0_T1_T2_jT3_P12ihipStream_tbPNSt15iterator_traitsISK_E10value_typeEPNSQ_ISL_E10value_typeEPSM_NS1_7vsmem_tEENKUlT_SK_SL_SM_E_clISD_PbSF_PiEESJ_SZ_SK_SL_SM_EUlSZ_E0_NS1_11comp_targetILNS1_3genE2ELNS1_11target_archE906ELNS1_3gpuE6ELNS1_3repE0EEENS1_38merge_mergepath_config_static_selectorELNS0_4arch9wavefront6targetE1EEEvSL_
                                        ; -- End function
	.set _ZN7rocprim17ROCPRIM_400000_NS6detail17trampoline_kernelINS0_14default_configENS1_38merge_sort_block_merge_config_selectorIbiEEZZNS1_27merge_sort_block_merge_implIS3_N6thrust23THRUST_200600_302600_NS6detail15normal_iteratorINS8_10device_ptrIbEEEENSA_INSB_IiEEEEjNS1_19radix_merge_compareILb1ELb0EbNS0_19identity_decomposerEEEEE10hipError_tT0_T1_T2_jT3_P12ihipStream_tbPNSt15iterator_traitsISK_E10value_typeEPNSQ_ISL_E10value_typeEPSM_NS1_7vsmem_tEENKUlT_SK_SL_SM_E_clISD_PbSF_PiEESJ_SZ_SK_SL_SM_EUlSZ_E0_NS1_11comp_targetILNS1_3genE2ELNS1_11target_archE906ELNS1_3gpuE6ELNS1_3repE0EEENS1_38merge_mergepath_config_static_selectorELNS0_4arch9wavefront6targetE1EEEvSL_.num_vgpr, 0
	.set _ZN7rocprim17ROCPRIM_400000_NS6detail17trampoline_kernelINS0_14default_configENS1_38merge_sort_block_merge_config_selectorIbiEEZZNS1_27merge_sort_block_merge_implIS3_N6thrust23THRUST_200600_302600_NS6detail15normal_iteratorINS8_10device_ptrIbEEEENSA_INSB_IiEEEEjNS1_19radix_merge_compareILb1ELb0EbNS0_19identity_decomposerEEEEE10hipError_tT0_T1_T2_jT3_P12ihipStream_tbPNSt15iterator_traitsISK_E10value_typeEPNSQ_ISL_E10value_typeEPSM_NS1_7vsmem_tEENKUlT_SK_SL_SM_E_clISD_PbSF_PiEESJ_SZ_SK_SL_SM_EUlSZ_E0_NS1_11comp_targetILNS1_3genE2ELNS1_11target_archE906ELNS1_3gpuE6ELNS1_3repE0EEENS1_38merge_mergepath_config_static_selectorELNS0_4arch9wavefront6targetE1EEEvSL_.num_agpr, 0
	.set _ZN7rocprim17ROCPRIM_400000_NS6detail17trampoline_kernelINS0_14default_configENS1_38merge_sort_block_merge_config_selectorIbiEEZZNS1_27merge_sort_block_merge_implIS3_N6thrust23THRUST_200600_302600_NS6detail15normal_iteratorINS8_10device_ptrIbEEEENSA_INSB_IiEEEEjNS1_19radix_merge_compareILb1ELb0EbNS0_19identity_decomposerEEEEE10hipError_tT0_T1_T2_jT3_P12ihipStream_tbPNSt15iterator_traitsISK_E10value_typeEPNSQ_ISL_E10value_typeEPSM_NS1_7vsmem_tEENKUlT_SK_SL_SM_E_clISD_PbSF_PiEESJ_SZ_SK_SL_SM_EUlSZ_E0_NS1_11comp_targetILNS1_3genE2ELNS1_11target_archE906ELNS1_3gpuE6ELNS1_3repE0EEENS1_38merge_mergepath_config_static_selectorELNS0_4arch9wavefront6targetE1EEEvSL_.numbered_sgpr, 0
	.set _ZN7rocprim17ROCPRIM_400000_NS6detail17trampoline_kernelINS0_14default_configENS1_38merge_sort_block_merge_config_selectorIbiEEZZNS1_27merge_sort_block_merge_implIS3_N6thrust23THRUST_200600_302600_NS6detail15normal_iteratorINS8_10device_ptrIbEEEENSA_INSB_IiEEEEjNS1_19radix_merge_compareILb1ELb0EbNS0_19identity_decomposerEEEEE10hipError_tT0_T1_T2_jT3_P12ihipStream_tbPNSt15iterator_traitsISK_E10value_typeEPNSQ_ISL_E10value_typeEPSM_NS1_7vsmem_tEENKUlT_SK_SL_SM_E_clISD_PbSF_PiEESJ_SZ_SK_SL_SM_EUlSZ_E0_NS1_11comp_targetILNS1_3genE2ELNS1_11target_archE906ELNS1_3gpuE6ELNS1_3repE0EEENS1_38merge_mergepath_config_static_selectorELNS0_4arch9wavefront6targetE1EEEvSL_.num_named_barrier, 0
	.set _ZN7rocprim17ROCPRIM_400000_NS6detail17trampoline_kernelINS0_14default_configENS1_38merge_sort_block_merge_config_selectorIbiEEZZNS1_27merge_sort_block_merge_implIS3_N6thrust23THRUST_200600_302600_NS6detail15normal_iteratorINS8_10device_ptrIbEEEENSA_INSB_IiEEEEjNS1_19radix_merge_compareILb1ELb0EbNS0_19identity_decomposerEEEEE10hipError_tT0_T1_T2_jT3_P12ihipStream_tbPNSt15iterator_traitsISK_E10value_typeEPNSQ_ISL_E10value_typeEPSM_NS1_7vsmem_tEENKUlT_SK_SL_SM_E_clISD_PbSF_PiEESJ_SZ_SK_SL_SM_EUlSZ_E0_NS1_11comp_targetILNS1_3genE2ELNS1_11target_archE906ELNS1_3gpuE6ELNS1_3repE0EEENS1_38merge_mergepath_config_static_selectorELNS0_4arch9wavefront6targetE1EEEvSL_.private_seg_size, 0
	.set _ZN7rocprim17ROCPRIM_400000_NS6detail17trampoline_kernelINS0_14default_configENS1_38merge_sort_block_merge_config_selectorIbiEEZZNS1_27merge_sort_block_merge_implIS3_N6thrust23THRUST_200600_302600_NS6detail15normal_iteratorINS8_10device_ptrIbEEEENSA_INSB_IiEEEEjNS1_19radix_merge_compareILb1ELb0EbNS0_19identity_decomposerEEEEE10hipError_tT0_T1_T2_jT3_P12ihipStream_tbPNSt15iterator_traitsISK_E10value_typeEPNSQ_ISL_E10value_typeEPSM_NS1_7vsmem_tEENKUlT_SK_SL_SM_E_clISD_PbSF_PiEESJ_SZ_SK_SL_SM_EUlSZ_E0_NS1_11comp_targetILNS1_3genE2ELNS1_11target_archE906ELNS1_3gpuE6ELNS1_3repE0EEENS1_38merge_mergepath_config_static_selectorELNS0_4arch9wavefront6targetE1EEEvSL_.uses_vcc, 0
	.set _ZN7rocprim17ROCPRIM_400000_NS6detail17trampoline_kernelINS0_14default_configENS1_38merge_sort_block_merge_config_selectorIbiEEZZNS1_27merge_sort_block_merge_implIS3_N6thrust23THRUST_200600_302600_NS6detail15normal_iteratorINS8_10device_ptrIbEEEENSA_INSB_IiEEEEjNS1_19radix_merge_compareILb1ELb0EbNS0_19identity_decomposerEEEEE10hipError_tT0_T1_T2_jT3_P12ihipStream_tbPNSt15iterator_traitsISK_E10value_typeEPNSQ_ISL_E10value_typeEPSM_NS1_7vsmem_tEENKUlT_SK_SL_SM_E_clISD_PbSF_PiEESJ_SZ_SK_SL_SM_EUlSZ_E0_NS1_11comp_targetILNS1_3genE2ELNS1_11target_archE906ELNS1_3gpuE6ELNS1_3repE0EEENS1_38merge_mergepath_config_static_selectorELNS0_4arch9wavefront6targetE1EEEvSL_.uses_flat_scratch, 0
	.set _ZN7rocprim17ROCPRIM_400000_NS6detail17trampoline_kernelINS0_14default_configENS1_38merge_sort_block_merge_config_selectorIbiEEZZNS1_27merge_sort_block_merge_implIS3_N6thrust23THRUST_200600_302600_NS6detail15normal_iteratorINS8_10device_ptrIbEEEENSA_INSB_IiEEEEjNS1_19radix_merge_compareILb1ELb0EbNS0_19identity_decomposerEEEEE10hipError_tT0_T1_T2_jT3_P12ihipStream_tbPNSt15iterator_traitsISK_E10value_typeEPNSQ_ISL_E10value_typeEPSM_NS1_7vsmem_tEENKUlT_SK_SL_SM_E_clISD_PbSF_PiEESJ_SZ_SK_SL_SM_EUlSZ_E0_NS1_11comp_targetILNS1_3genE2ELNS1_11target_archE906ELNS1_3gpuE6ELNS1_3repE0EEENS1_38merge_mergepath_config_static_selectorELNS0_4arch9wavefront6targetE1EEEvSL_.has_dyn_sized_stack, 0
	.set _ZN7rocprim17ROCPRIM_400000_NS6detail17trampoline_kernelINS0_14default_configENS1_38merge_sort_block_merge_config_selectorIbiEEZZNS1_27merge_sort_block_merge_implIS3_N6thrust23THRUST_200600_302600_NS6detail15normal_iteratorINS8_10device_ptrIbEEEENSA_INSB_IiEEEEjNS1_19radix_merge_compareILb1ELb0EbNS0_19identity_decomposerEEEEE10hipError_tT0_T1_T2_jT3_P12ihipStream_tbPNSt15iterator_traitsISK_E10value_typeEPNSQ_ISL_E10value_typeEPSM_NS1_7vsmem_tEENKUlT_SK_SL_SM_E_clISD_PbSF_PiEESJ_SZ_SK_SL_SM_EUlSZ_E0_NS1_11comp_targetILNS1_3genE2ELNS1_11target_archE906ELNS1_3gpuE6ELNS1_3repE0EEENS1_38merge_mergepath_config_static_selectorELNS0_4arch9wavefront6targetE1EEEvSL_.has_recursion, 0
	.set _ZN7rocprim17ROCPRIM_400000_NS6detail17trampoline_kernelINS0_14default_configENS1_38merge_sort_block_merge_config_selectorIbiEEZZNS1_27merge_sort_block_merge_implIS3_N6thrust23THRUST_200600_302600_NS6detail15normal_iteratorINS8_10device_ptrIbEEEENSA_INSB_IiEEEEjNS1_19radix_merge_compareILb1ELb0EbNS0_19identity_decomposerEEEEE10hipError_tT0_T1_T2_jT3_P12ihipStream_tbPNSt15iterator_traitsISK_E10value_typeEPNSQ_ISL_E10value_typeEPSM_NS1_7vsmem_tEENKUlT_SK_SL_SM_E_clISD_PbSF_PiEESJ_SZ_SK_SL_SM_EUlSZ_E0_NS1_11comp_targetILNS1_3genE2ELNS1_11target_archE906ELNS1_3gpuE6ELNS1_3repE0EEENS1_38merge_mergepath_config_static_selectorELNS0_4arch9wavefront6targetE1EEEvSL_.has_indirect_call, 0
	.section	.AMDGPU.csdata,"",@progbits
; Kernel info:
; codeLenInByte = 0
; TotalNumSgprs: 6
; NumVgprs: 0
; NumAgprs: 0
; TotalNumVgprs: 0
; ScratchSize: 0
; MemoryBound: 0
; FloatMode: 240
; IeeeMode: 1
; LDSByteSize: 0 bytes/workgroup (compile time only)
; SGPRBlocks: 0
; VGPRBlocks: 0
; NumSGPRsForWavesPerEU: 6
; NumVGPRsForWavesPerEU: 1
; AccumOffset: 4
; Occupancy: 8
; WaveLimiterHint : 0
; COMPUTE_PGM_RSRC2:SCRATCH_EN: 0
; COMPUTE_PGM_RSRC2:USER_SGPR: 2
; COMPUTE_PGM_RSRC2:TRAP_HANDLER: 0
; COMPUTE_PGM_RSRC2:TGID_X_EN: 1
; COMPUTE_PGM_RSRC2:TGID_Y_EN: 0
; COMPUTE_PGM_RSRC2:TGID_Z_EN: 0
; COMPUTE_PGM_RSRC2:TIDIG_COMP_CNT: 0
; COMPUTE_PGM_RSRC3_GFX90A:ACCUM_OFFSET: 0
; COMPUTE_PGM_RSRC3_GFX90A:TG_SPLIT: 0
	.section	.text._ZN7rocprim17ROCPRIM_400000_NS6detail17trampoline_kernelINS0_14default_configENS1_38merge_sort_block_merge_config_selectorIbiEEZZNS1_27merge_sort_block_merge_implIS3_N6thrust23THRUST_200600_302600_NS6detail15normal_iteratorINS8_10device_ptrIbEEEENSA_INSB_IiEEEEjNS1_19radix_merge_compareILb1ELb0EbNS0_19identity_decomposerEEEEE10hipError_tT0_T1_T2_jT3_P12ihipStream_tbPNSt15iterator_traitsISK_E10value_typeEPNSQ_ISL_E10value_typeEPSM_NS1_7vsmem_tEENKUlT_SK_SL_SM_E_clISD_PbSF_PiEESJ_SZ_SK_SL_SM_EUlSZ_E0_NS1_11comp_targetILNS1_3genE9ELNS1_11target_archE1100ELNS1_3gpuE3ELNS1_3repE0EEENS1_38merge_mergepath_config_static_selectorELNS0_4arch9wavefront6targetE1EEEvSL_,"axG",@progbits,_ZN7rocprim17ROCPRIM_400000_NS6detail17trampoline_kernelINS0_14default_configENS1_38merge_sort_block_merge_config_selectorIbiEEZZNS1_27merge_sort_block_merge_implIS3_N6thrust23THRUST_200600_302600_NS6detail15normal_iteratorINS8_10device_ptrIbEEEENSA_INSB_IiEEEEjNS1_19radix_merge_compareILb1ELb0EbNS0_19identity_decomposerEEEEE10hipError_tT0_T1_T2_jT3_P12ihipStream_tbPNSt15iterator_traitsISK_E10value_typeEPNSQ_ISL_E10value_typeEPSM_NS1_7vsmem_tEENKUlT_SK_SL_SM_E_clISD_PbSF_PiEESJ_SZ_SK_SL_SM_EUlSZ_E0_NS1_11comp_targetILNS1_3genE9ELNS1_11target_archE1100ELNS1_3gpuE3ELNS1_3repE0EEENS1_38merge_mergepath_config_static_selectorELNS0_4arch9wavefront6targetE1EEEvSL_,comdat
	.protected	_ZN7rocprim17ROCPRIM_400000_NS6detail17trampoline_kernelINS0_14default_configENS1_38merge_sort_block_merge_config_selectorIbiEEZZNS1_27merge_sort_block_merge_implIS3_N6thrust23THRUST_200600_302600_NS6detail15normal_iteratorINS8_10device_ptrIbEEEENSA_INSB_IiEEEEjNS1_19radix_merge_compareILb1ELb0EbNS0_19identity_decomposerEEEEE10hipError_tT0_T1_T2_jT3_P12ihipStream_tbPNSt15iterator_traitsISK_E10value_typeEPNSQ_ISL_E10value_typeEPSM_NS1_7vsmem_tEENKUlT_SK_SL_SM_E_clISD_PbSF_PiEESJ_SZ_SK_SL_SM_EUlSZ_E0_NS1_11comp_targetILNS1_3genE9ELNS1_11target_archE1100ELNS1_3gpuE3ELNS1_3repE0EEENS1_38merge_mergepath_config_static_selectorELNS0_4arch9wavefront6targetE1EEEvSL_ ; -- Begin function _ZN7rocprim17ROCPRIM_400000_NS6detail17trampoline_kernelINS0_14default_configENS1_38merge_sort_block_merge_config_selectorIbiEEZZNS1_27merge_sort_block_merge_implIS3_N6thrust23THRUST_200600_302600_NS6detail15normal_iteratorINS8_10device_ptrIbEEEENSA_INSB_IiEEEEjNS1_19radix_merge_compareILb1ELb0EbNS0_19identity_decomposerEEEEE10hipError_tT0_T1_T2_jT3_P12ihipStream_tbPNSt15iterator_traitsISK_E10value_typeEPNSQ_ISL_E10value_typeEPSM_NS1_7vsmem_tEENKUlT_SK_SL_SM_E_clISD_PbSF_PiEESJ_SZ_SK_SL_SM_EUlSZ_E0_NS1_11comp_targetILNS1_3genE9ELNS1_11target_archE1100ELNS1_3gpuE3ELNS1_3repE0EEENS1_38merge_mergepath_config_static_selectorELNS0_4arch9wavefront6targetE1EEEvSL_
	.globl	_ZN7rocprim17ROCPRIM_400000_NS6detail17trampoline_kernelINS0_14default_configENS1_38merge_sort_block_merge_config_selectorIbiEEZZNS1_27merge_sort_block_merge_implIS3_N6thrust23THRUST_200600_302600_NS6detail15normal_iteratorINS8_10device_ptrIbEEEENSA_INSB_IiEEEEjNS1_19radix_merge_compareILb1ELb0EbNS0_19identity_decomposerEEEEE10hipError_tT0_T1_T2_jT3_P12ihipStream_tbPNSt15iterator_traitsISK_E10value_typeEPNSQ_ISL_E10value_typeEPSM_NS1_7vsmem_tEENKUlT_SK_SL_SM_E_clISD_PbSF_PiEESJ_SZ_SK_SL_SM_EUlSZ_E0_NS1_11comp_targetILNS1_3genE9ELNS1_11target_archE1100ELNS1_3gpuE3ELNS1_3repE0EEENS1_38merge_mergepath_config_static_selectorELNS0_4arch9wavefront6targetE1EEEvSL_
	.p2align	8
	.type	_ZN7rocprim17ROCPRIM_400000_NS6detail17trampoline_kernelINS0_14default_configENS1_38merge_sort_block_merge_config_selectorIbiEEZZNS1_27merge_sort_block_merge_implIS3_N6thrust23THRUST_200600_302600_NS6detail15normal_iteratorINS8_10device_ptrIbEEEENSA_INSB_IiEEEEjNS1_19radix_merge_compareILb1ELb0EbNS0_19identity_decomposerEEEEE10hipError_tT0_T1_T2_jT3_P12ihipStream_tbPNSt15iterator_traitsISK_E10value_typeEPNSQ_ISL_E10value_typeEPSM_NS1_7vsmem_tEENKUlT_SK_SL_SM_E_clISD_PbSF_PiEESJ_SZ_SK_SL_SM_EUlSZ_E0_NS1_11comp_targetILNS1_3genE9ELNS1_11target_archE1100ELNS1_3gpuE3ELNS1_3repE0EEENS1_38merge_mergepath_config_static_selectorELNS0_4arch9wavefront6targetE1EEEvSL_,@function
_ZN7rocprim17ROCPRIM_400000_NS6detail17trampoline_kernelINS0_14default_configENS1_38merge_sort_block_merge_config_selectorIbiEEZZNS1_27merge_sort_block_merge_implIS3_N6thrust23THRUST_200600_302600_NS6detail15normal_iteratorINS8_10device_ptrIbEEEENSA_INSB_IiEEEEjNS1_19radix_merge_compareILb1ELb0EbNS0_19identity_decomposerEEEEE10hipError_tT0_T1_T2_jT3_P12ihipStream_tbPNSt15iterator_traitsISK_E10value_typeEPNSQ_ISL_E10value_typeEPSM_NS1_7vsmem_tEENKUlT_SK_SL_SM_E_clISD_PbSF_PiEESJ_SZ_SK_SL_SM_EUlSZ_E0_NS1_11comp_targetILNS1_3genE9ELNS1_11target_archE1100ELNS1_3gpuE3ELNS1_3repE0EEENS1_38merge_mergepath_config_static_selectorELNS0_4arch9wavefront6targetE1EEEvSL_: ; @_ZN7rocprim17ROCPRIM_400000_NS6detail17trampoline_kernelINS0_14default_configENS1_38merge_sort_block_merge_config_selectorIbiEEZZNS1_27merge_sort_block_merge_implIS3_N6thrust23THRUST_200600_302600_NS6detail15normal_iteratorINS8_10device_ptrIbEEEENSA_INSB_IiEEEEjNS1_19radix_merge_compareILb1ELb0EbNS0_19identity_decomposerEEEEE10hipError_tT0_T1_T2_jT3_P12ihipStream_tbPNSt15iterator_traitsISK_E10value_typeEPNSQ_ISL_E10value_typeEPSM_NS1_7vsmem_tEENKUlT_SK_SL_SM_E_clISD_PbSF_PiEESJ_SZ_SK_SL_SM_EUlSZ_E0_NS1_11comp_targetILNS1_3genE9ELNS1_11target_archE1100ELNS1_3gpuE3ELNS1_3repE0EEENS1_38merge_mergepath_config_static_selectorELNS0_4arch9wavefront6targetE1EEEvSL_
; %bb.0:
	.section	.rodata,"a",@progbits
	.p2align	6, 0x0
	.amdhsa_kernel _ZN7rocprim17ROCPRIM_400000_NS6detail17trampoline_kernelINS0_14default_configENS1_38merge_sort_block_merge_config_selectorIbiEEZZNS1_27merge_sort_block_merge_implIS3_N6thrust23THRUST_200600_302600_NS6detail15normal_iteratorINS8_10device_ptrIbEEEENSA_INSB_IiEEEEjNS1_19radix_merge_compareILb1ELb0EbNS0_19identity_decomposerEEEEE10hipError_tT0_T1_T2_jT3_P12ihipStream_tbPNSt15iterator_traitsISK_E10value_typeEPNSQ_ISL_E10value_typeEPSM_NS1_7vsmem_tEENKUlT_SK_SL_SM_E_clISD_PbSF_PiEESJ_SZ_SK_SL_SM_EUlSZ_E0_NS1_11comp_targetILNS1_3genE9ELNS1_11target_archE1100ELNS1_3gpuE3ELNS1_3repE0EEENS1_38merge_mergepath_config_static_selectorELNS0_4arch9wavefront6targetE1EEEvSL_
		.amdhsa_group_segment_fixed_size 0
		.amdhsa_private_segment_fixed_size 0
		.amdhsa_kernarg_size 64
		.amdhsa_user_sgpr_count 2
		.amdhsa_user_sgpr_dispatch_ptr 0
		.amdhsa_user_sgpr_queue_ptr 0
		.amdhsa_user_sgpr_kernarg_segment_ptr 1
		.amdhsa_user_sgpr_dispatch_id 0
		.amdhsa_user_sgpr_kernarg_preload_length 0
		.amdhsa_user_sgpr_kernarg_preload_offset 0
		.amdhsa_user_sgpr_private_segment_size 0
		.amdhsa_uses_dynamic_stack 0
		.amdhsa_enable_private_segment 0
		.amdhsa_system_sgpr_workgroup_id_x 1
		.amdhsa_system_sgpr_workgroup_id_y 0
		.amdhsa_system_sgpr_workgroup_id_z 0
		.amdhsa_system_sgpr_workgroup_info 0
		.amdhsa_system_vgpr_workitem_id 0
		.amdhsa_next_free_vgpr 1
		.amdhsa_next_free_sgpr 0
		.amdhsa_accum_offset 4
		.amdhsa_reserve_vcc 0
		.amdhsa_float_round_mode_32 0
		.amdhsa_float_round_mode_16_64 0
		.amdhsa_float_denorm_mode_32 3
		.amdhsa_float_denorm_mode_16_64 3
		.amdhsa_dx10_clamp 1
		.amdhsa_ieee_mode 1
		.amdhsa_fp16_overflow 0
		.amdhsa_tg_split 0
		.amdhsa_exception_fp_ieee_invalid_op 0
		.amdhsa_exception_fp_denorm_src 0
		.amdhsa_exception_fp_ieee_div_zero 0
		.amdhsa_exception_fp_ieee_overflow 0
		.amdhsa_exception_fp_ieee_underflow 0
		.amdhsa_exception_fp_ieee_inexact 0
		.amdhsa_exception_int_div_zero 0
	.end_amdhsa_kernel
	.section	.text._ZN7rocprim17ROCPRIM_400000_NS6detail17trampoline_kernelINS0_14default_configENS1_38merge_sort_block_merge_config_selectorIbiEEZZNS1_27merge_sort_block_merge_implIS3_N6thrust23THRUST_200600_302600_NS6detail15normal_iteratorINS8_10device_ptrIbEEEENSA_INSB_IiEEEEjNS1_19radix_merge_compareILb1ELb0EbNS0_19identity_decomposerEEEEE10hipError_tT0_T1_T2_jT3_P12ihipStream_tbPNSt15iterator_traitsISK_E10value_typeEPNSQ_ISL_E10value_typeEPSM_NS1_7vsmem_tEENKUlT_SK_SL_SM_E_clISD_PbSF_PiEESJ_SZ_SK_SL_SM_EUlSZ_E0_NS1_11comp_targetILNS1_3genE9ELNS1_11target_archE1100ELNS1_3gpuE3ELNS1_3repE0EEENS1_38merge_mergepath_config_static_selectorELNS0_4arch9wavefront6targetE1EEEvSL_,"axG",@progbits,_ZN7rocprim17ROCPRIM_400000_NS6detail17trampoline_kernelINS0_14default_configENS1_38merge_sort_block_merge_config_selectorIbiEEZZNS1_27merge_sort_block_merge_implIS3_N6thrust23THRUST_200600_302600_NS6detail15normal_iteratorINS8_10device_ptrIbEEEENSA_INSB_IiEEEEjNS1_19radix_merge_compareILb1ELb0EbNS0_19identity_decomposerEEEEE10hipError_tT0_T1_T2_jT3_P12ihipStream_tbPNSt15iterator_traitsISK_E10value_typeEPNSQ_ISL_E10value_typeEPSM_NS1_7vsmem_tEENKUlT_SK_SL_SM_E_clISD_PbSF_PiEESJ_SZ_SK_SL_SM_EUlSZ_E0_NS1_11comp_targetILNS1_3genE9ELNS1_11target_archE1100ELNS1_3gpuE3ELNS1_3repE0EEENS1_38merge_mergepath_config_static_selectorELNS0_4arch9wavefront6targetE1EEEvSL_,comdat
.Lfunc_end2142:
	.size	_ZN7rocprim17ROCPRIM_400000_NS6detail17trampoline_kernelINS0_14default_configENS1_38merge_sort_block_merge_config_selectorIbiEEZZNS1_27merge_sort_block_merge_implIS3_N6thrust23THRUST_200600_302600_NS6detail15normal_iteratorINS8_10device_ptrIbEEEENSA_INSB_IiEEEEjNS1_19radix_merge_compareILb1ELb0EbNS0_19identity_decomposerEEEEE10hipError_tT0_T1_T2_jT3_P12ihipStream_tbPNSt15iterator_traitsISK_E10value_typeEPNSQ_ISL_E10value_typeEPSM_NS1_7vsmem_tEENKUlT_SK_SL_SM_E_clISD_PbSF_PiEESJ_SZ_SK_SL_SM_EUlSZ_E0_NS1_11comp_targetILNS1_3genE9ELNS1_11target_archE1100ELNS1_3gpuE3ELNS1_3repE0EEENS1_38merge_mergepath_config_static_selectorELNS0_4arch9wavefront6targetE1EEEvSL_, .Lfunc_end2142-_ZN7rocprim17ROCPRIM_400000_NS6detail17trampoline_kernelINS0_14default_configENS1_38merge_sort_block_merge_config_selectorIbiEEZZNS1_27merge_sort_block_merge_implIS3_N6thrust23THRUST_200600_302600_NS6detail15normal_iteratorINS8_10device_ptrIbEEEENSA_INSB_IiEEEEjNS1_19radix_merge_compareILb1ELb0EbNS0_19identity_decomposerEEEEE10hipError_tT0_T1_T2_jT3_P12ihipStream_tbPNSt15iterator_traitsISK_E10value_typeEPNSQ_ISL_E10value_typeEPSM_NS1_7vsmem_tEENKUlT_SK_SL_SM_E_clISD_PbSF_PiEESJ_SZ_SK_SL_SM_EUlSZ_E0_NS1_11comp_targetILNS1_3genE9ELNS1_11target_archE1100ELNS1_3gpuE3ELNS1_3repE0EEENS1_38merge_mergepath_config_static_selectorELNS0_4arch9wavefront6targetE1EEEvSL_
                                        ; -- End function
	.set _ZN7rocprim17ROCPRIM_400000_NS6detail17trampoline_kernelINS0_14default_configENS1_38merge_sort_block_merge_config_selectorIbiEEZZNS1_27merge_sort_block_merge_implIS3_N6thrust23THRUST_200600_302600_NS6detail15normal_iteratorINS8_10device_ptrIbEEEENSA_INSB_IiEEEEjNS1_19radix_merge_compareILb1ELb0EbNS0_19identity_decomposerEEEEE10hipError_tT0_T1_T2_jT3_P12ihipStream_tbPNSt15iterator_traitsISK_E10value_typeEPNSQ_ISL_E10value_typeEPSM_NS1_7vsmem_tEENKUlT_SK_SL_SM_E_clISD_PbSF_PiEESJ_SZ_SK_SL_SM_EUlSZ_E0_NS1_11comp_targetILNS1_3genE9ELNS1_11target_archE1100ELNS1_3gpuE3ELNS1_3repE0EEENS1_38merge_mergepath_config_static_selectorELNS0_4arch9wavefront6targetE1EEEvSL_.num_vgpr, 0
	.set _ZN7rocprim17ROCPRIM_400000_NS6detail17trampoline_kernelINS0_14default_configENS1_38merge_sort_block_merge_config_selectorIbiEEZZNS1_27merge_sort_block_merge_implIS3_N6thrust23THRUST_200600_302600_NS6detail15normal_iteratorINS8_10device_ptrIbEEEENSA_INSB_IiEEEEjNS1_19radix_merge_compareILb1ELb0EbNS0_19identity_decomposerEEEEE10hipError_tT0_T1_T2_jT3_P12ihipStream_tbPNSt15iterator_traitsISK_E10value_typeEPNSQ_ISL_E10value_typeEPSM_NS1_7vsmem_tEENKUlT_SK_SL_SM_E_clISD_PbSF_PiEESJ_SZ_SK_SL_SM_EUlSZ_E0_NS1_11comp_targetILNS1_3genE9ELNS1_11target_archE1100ELNS1_3gpuE3ELNS1_3repE0EEENS1_38merge_mergepath_config_static_selectorELNS0_4arch9wavefront6targetE1EEEvSL_.num_agpr, 0
	.set _ZN7rocprim17ROCPRIM_400000_NS6detail17trampoline_kernelINS0_14default_configENS1_38merge_sort_block_merge_config_selectorIbiEEZZNS1_27merge_sort_block_merge_implIS3_N6thrust23THRUST_200600_302600_NS6detail15normal_iteratorINS8_10device_ptrIbEEEENSA_INSB_IiEEEEjNS1_19radix_merge_compareILb1ELb0EbNS0_19identity_decomposerEEEEE10hipError_tT0_T1_T2_jT3_P12ihipStream_tbPNSt15iterator_traitsISK_E10value_typeEPNSQ_ISL_E10value_typeEPSM_NS1_7vsmem_tEENKUlT_SK_SL_SM_E_clISD_PbSF_PiEESJ_SZ_SK_SL_SM_EUlSZ_E0_NS1_11comp_targetILNS1_3genE9ELNS1_11target_archE1100ELNS1_3gpuE3ELNS1_3repE0EEENS1_38merge_mergepath_config_static_selectorELNS0_4arch9wavefront6targetE1EEEvSL_.numbered_sgpr, 0
	.set _ZN7rocprim17ROCPRIM_400000_NS6detail17trampoline_kernelINS0_14default_configENS1_38merge_sort_block_merge_config_selectorIbiEEZZNS1_27merge_sort_block_merge_implIS3_N6thrust23THRUST_200600_302600_NS6detail15normal_iteratorINS8_10device_ptrIbEEEENSA_INSB_IiEEEEjNS1_19radix_merge_compareILb1ELb0EbNS0_19identity_decomposerEEEEE10hipError_tT0_T1_T2_jT3_P12ihipStream_tbPNSt15iterator_traitsISK_E10value_typeEPNSQ_ISL_E10value_typeEPSM_NS1_7vsmem_tEENKUlT_SK_SL_SM_E_clISD_PbSF_PiEESJ_SZ_SK_SL_SM_EUlSZ_E0_NS1_11comp_targetILNS1_3genE9ELNS1_11target_archE1100ELNS1_3gpuE3ELNS1_3repE0EEENS1_38merge_mergepath_config_static_selectorELNS0_4arch9wavefront6targetE1EEEvSL_.num_named_barrier, 0
	.set _ZN7rocprim17ROCPRIM_400000_NS6detail17trampoline_kernelINS0_14default_configENS1_38merge_sort_block_merge_config_selectorIbiEEZZNS1_27merge_sort_block_merge_implIS3_N6thrust23THRUST_200600_302600_NS6detail15normal_iteratorINS8_10device_ptrIbEEEENSA_INSB_IiEEEEjNS1_19radix_merge_compareILb1ELb0EbNS0_19identity_decomposerEEEEE10hipError_tT0_T1_T2_jT3_P12ihipStream_tbPNSt15iterator_traitsISK_E10value_typeEPNSQ_ISL_E10value_typeEPSM_NS1_7vsmem_tEENKUlT_SK_SL_SM_E_clISD_PbSF_PiEESJ_SZ_SK_SL_SM_EUlSZ_E0_NS1_11comp_targetILNS1_3genE9ELNS1_11target_archE1100ELNS1_3gpuE3ELNS1_3repE0EEENS1_38merge_mergepath_config_static_selectorELNS0_4arch9wavefront6targetE1EEEvSL_.private_seg_size, 0
	.set _ZN7rocprim17ROCPRIM_400000_NS6detail17trampoline_kernelINS0_14default_configENS1_38merge_sort_block_merge_config_selectorIbiEEZZNS1_27merge_sort_block_merge_implIS3_N6thrust23THRUST_200600_302600_NS6detail15normal_iteratorINS8_10device_ptrIbEEEENSA_INSB_IiEEEEjNS1_19radix_merge_compareILb1ELb0EbNS0_19identity_decomposerEEEEE10hipError_tT0_T1_T2_jT3_P12ihipStream_tbPNSt15iterator_traitsISK_E10value_typeEPNSQ_ISL_E10value_typeEPSM_NS1_7vsmem_tEENKUlT_SK_SL_SM_E_clISD_PbSF_PiEESJ_SZ_SK_SL_SM_EUlSZ_E0_NS1_11comp_targetILNS1_3genE9ELNS1_11target_archE1100ELNS1_3gpuE3ELNS1_3repE0EEENS1_38merge_mergepath_config_static_selectorELNS0_4arch9wavefront6targetE1EEEvSL_.uses_vcc, 0
	.set _ZN7rocprim17ROCPRIM_400000_NS6detail17trampoline_kernelINS0_14default_configENS1_38merge_sort_block_merge_config_selectorIbiEEZZNS1_27merge_sort_block_merge_implIS3_N6thrust23THRUST_200600_302600_NS6detail15normal_iteratorINS8_10device_ptrIbEEEENSA_INSB_IiEEEEjNS1_19radix_merge_compareILb1ELb0EbNS0_19identity_decomposerEEEEE10hipError_tT0_T1_T2_jT3_P12ihipStream_tbPNSt15iterator_traitsISK_E10value_typeEPNSQ_ISL_E10value_typeEPSM_NS1_7vsmem_tEENKUlT_SK_SL_SM_E_clISD_PbSF_PiEESJ_SZ_SK_SL_SM_EUlSZ_E0_NS1_11comp_targetILNS1_3genE9ELNS1_11target_archE1100ELNS1_3gpuE3ELNS1_3repE0EEENS1_38merge_mergepath_config_static_selectorELNS0_4arch9wavefront6targetE1EEEvSL_.uses_flat_scratch, 0
	.set _ZN7rocprim17ROCPRIM_400000_NS6detail17trampoline_kernelINS0_14default_configENS1_38merge_sort_block_merge_config_selectorIbiEEZZNS1_27merge_sort_block_merge_implIS3_N6thrust23THRUST_200600_302600_NS6detail15normal_iteratorINS8_10device_ptrIbEEEENSA_INSB_IiEEEEjNS1_19radix_merge_compareILb1ELb0EbNS0_19identity_decomposerEEEEE10hipError_tT0_T1_T2_jT3_P12ihipStream_tbPNSt15iterator_traitsISK_E10value_typeEPNSQ_ISL_E10value_typeEPSM_NS1_7vsmem_tEENKUlT_SK_SL_SM_E_clISD_PbSF_PiEESJ_SZ_SK_SL_SM_EUlSZ_E0_NS1_11comp_targetILNS1_3genE9ELNS1_11target_archE1100ELNS1_3gpuE3ELNS1_3repE0EEENS1_38merge_mergepath_config_static_selectorELNS0_4arch9wavefront6targetE1EEEvSL_.has_dyn_sized_stack, 0
	.set _ZN7rocprim17ROCPRIM_400000_NS6detail17trampoline_kernelINS0_14default_configENS1_38merge_sort_block_merge_config_selectorIbiEEZZNS1_27merge_sort_block_merge_implIS3_N6thrust23THRUST_200600_302600_NS6detail15normal_iteratorINS8_10device_ptrIbEEEENSA_INSB_IiEEEEjNS1_19radix_merge_compareILb1ELb0EbNS0_19identity_decomposerEEEEE10hipError_tT0_T1_T2_jT3_P12ihipStream_tbPNSt15iterator_traitsISK_E10value_typeEPNSQ_ISL_E10value_typeEPSM_NS1_7vsmem_tEENKUlT_SK_SL_SM_E_clISD_PbSF_PiEESJ_SZ_SK_SL_SM_EUlSZ_E0_NS1_11comp_targetILNS1_3genE9ELNS1_11target_archE1100ELNS1_3gpuE3ELNS1_3repE0EEENS1_38merge_mergepath_config_static_selectorELNS0_4arch9wavefront6targetE1EEEvSL_.has_recursion, 0
	.set _ZN7rocprim17ROCPRIM_400000_NS6detail17trampoline_kernelINS0_14default_configENS1_38merge_sort_block_merge_config_selectorIbiEEZZNS1_27merge_sort_block_merge_implIS3_N6thrust23THRUST_200600_302600_NS6detail15normal_iteratorINS8_10device_ptrIbEEEENSA_INSB_IiEEEEjNS1_19radix_merge_compareILb1ELb0EbNS0_19identity_decomposerEEEEE10hipError_tT0_T1_T2_jT3_P12ihipStream_tbPNSt15iterator_traitsISK_E10value_typeEPNSQ_ISL_E10value_typeEPSM_NS1_7vsmem_tEENKUlT_SK_SL_SM_E_clISD_PbSF_PiEESJ_SZ_SK_SL_SM_EUlSZ_E0_NS1_11comp_targetILNS1_3genE9ELNS1_11target_archE1100ELNS1_3gpuE3ELNS1_3repE0EEENS1_38merge_mergepath_config_static_selectorELNS0_4arch9wavefront6targetE1EEEvSL_.has_indirect_call, 0
	.section	.AMDGPU.csdata,"",@progbits
; Kernel info:
; codeLenInByte = 0
; TotalNumSgprs: 6
; NumVgprs: 0
; NumAgprs: 0
; TotalNumVgprs: 0
; ScratchSize: 0
; MemoryBound: 0
; FloatMode: 240
; IeeeMode: 1
; LDSByteSize: 0 bytes/workgroup (compile time only)
; SGPRBlocks: 0
; VGPRBlocks: 0
; NumSGPRsForWavesPerEU: 6
; NumVGPRsForWavesPerEU: 1
; AccumOffset: 4
; Occupancy: 8
; WaveLimiterHint : 0
; COMPUTE_PGM_RSRC2:SCRATCH_EN: 0
; COMPUTE_PGM_RSRC2:USER_SGPR: 2
; COMPUTE_PGM_RSRC2:TRAP_HANDLER: 0
; COMPUTE_PGM_RSRC2:TGID_X_EN: 1
; COMPUTE_PGM_RSRC2:TGID_Y_EN: 0
; COMPUTE_PGM_RSRC2:TGID_Z_EN: 0
; COMPUTE_PGM_RSRC2:TIDIG_COMP_CNT: 0
; COMPUTE_PGM_RSRC3_GFX90A:ACCUM_OFFSET: 0
; COMPUTE_PGM_RSRC3_GFX90A:TG_SPLIT: 0
	.section	.text._ZN7rocprim17ROCPRIM_400000_NS6detail17trampoline_kernelINS0_14default_configENS1_38merge_sort_block_merge_config_selectorIbiEEZZNS1_27merge_sort_block_merge_implIS3_N6thrust23THRUST_200600_302600_NS6detail15normal_iteratorINS8_10device_ptrIbEEEENSA_INSB_IiEEEEjNS1_19radix_merge_compareILb1ELb0EbNS0_19identity_decomposerEEEEE10hipError_tT0_T1_T2_jT3_P12ihipStream_tbPNSt15iterator_traitsISK_E10value_typeEPNSQ_ISL_E10value_typeEPSM_NS1_7vsmem_tEENKUlT_SK_SL_SM_E_clISD_PbSF_PiEESJ_SZ_SK_SL_SM_EUlSZ_E0_NS1_11comp_targetILNS1_3genE8ELNS1_11target_archE1030ELNS1_3gpuE2ELNS1_3repE0EEENS1_38merge_mergepath_config_static_selectorELNS0_4arch9wavefront6targetE1EEEvSL_,"axG",@progbits,_ZN7rocprim17ROCPRIM_400000_NS6detail17trampoline_kernelINS0_14default_configENS1_38merge_sort_block_merge_config_selectorIbiEEZZNS1_27merge_sort_block_merge_implIS3_N6thrust23THRUST_200600_302600_NS6detail15normal_iteratorINS8_10device_ptrIbEEEENSA_INSB_IiEEEEjNS1_19radix_merge_compareILb1ELb0EbNS0_19identity_decomposerEEEEE10hipError_tT0_T1_T2_jT3_P12ihipStream_tbPNSt15iterator_traitsISK_E10value_typeEPNSQ_ISL_E10value_typeEPSM_NS1_7vsmem_tEENKUlT_SK_SL_SM_E_clISD_PbSF_PiEESJ_SZ_SK_SL_SM_EUlSZ_E0_NS1_11comp_targetILNS1_3genE8ELNS1_11target_archE1030ELNS1_3gpuE2ELNS1_3repE0EEENS1_38merge_mergepath_config_static_selectorELNS0_4arch9wavefront6targetE1EEEvSL_,comdat
	.protected	_ZN7rocprim17ROCPRIM_400000_NS6detail17trampoline_kernelINS0_14default_configENS1_38merge_sort_block_merge_config_selectorIbiEEZZNS1_27merge_sort_block_merge_implIS3_N6thrust23THRUST_200600_302600_NS6detail15normal_iteratorINS8_10device_ptrIbEEEENSA_INSB_IiEEEEjNS1_19radix_merge_compareILb1ELb0EbNS0_19identity_decomposerEEEEE10hipError_tT0_T1_T2_jT3_P12ihipStream_tbPNSt15iterator_traitsISK_E10value_typeEPNSQ_ISL_E10value_typeEPSM_NS1_7vsmem_tEENKUlT_SK_SL_SM_E_clISD_PbSF_PiEESJ_SZ_SK_SL_SM_EUlSZ_E0_NS1_11comp_targetILNS1_3genE8ELNS1_11target_archE1030ELNS1_3gpuE2ELNS1_3repE0EEENS1_38merge_mergepath_config_static_selectorELNS0_4arch9wavefront6targetE1EEEvSL_ ; -- Begin function _ZN7rocprim17ROCPRIM_400000_NS6detail17trampoline_kernelINS0_14default_configENS1_38merge_sort_block_merge_config_selectorIbiEEZZNS1_27merge_sort_block_merge_implIS3_N6thrust23THRUST_200600_302600_NS6detail15normal_iteratorINS8_10device_ptrIbEEEENSA_INSB_IiEEEEjNS1_19radix_merge_compareILb1ELb0EbNS0_19identity_decomposerEEEEE10hipError_tT0_T1_T2_jT3_P12ihipStream_tbPNSt15iterator_traitsISK_E10value_typeEPNSQ_ISL_E10value_typeEPSM_NS1_7vsmem_tEENKUlT_SK_SL_SM_E_clISD_PbSF_PiEESJ_SZ_SK_SL_SM_EUlSZ_E0_NS1_11comp_targetILNS1_3genE8ELNS1_11target_archE1030ELNS1_3gpuE2ELNS1_3repE0EEENS1_38merge_mergepath_config_static_selectorELNS0_4arch9wavefront6targetE1EEEvSL_
	.globl	_ZN7rocprim17ROCPRIM_400000_NS6detail17trampoline_kernelINS0_14default_configENS1_38merge_sort_block_merge_config_selectorIbiEEZZNS1_27merge_sort_block_merge_implIS3_N6thrust23THRUST_200600_302600_NS6detail15normal_iteratorINS8_10device_ptrIbEEEENSA_INSB_IiEEEEjNS1_19radix_merge_compareILb1ELb0EbNS0_19identity_decomposerEEEEE10hipError_tT0_T1_T2_jT3_P12ihipStream_tbPNSt15iterator_traitsISK_E10value_typeEPNSQ_ISL_E10value_typeEPSM_NS1_7vsmem_tEENKUlT_SK_SL_SM_E_clISD_PbSF_PiEESJ_SZ_SK_SL_SM_EUlSZ_E0_NS1_11comp_targetILNS1_3genE8ELNS1_11target_archE1030ELNS1_3gpuE2ELNS1_3repE0EEENS1_38merge_mergepath_config_static_selectorELNS0_4arch9wavefront6targetE1EEEvSL_
	.p2align	8
	.type	_ZN7rocprim17ROCPRIM_400000_NS6detail17trampoline_kernelINS0_14default_configENS1_38merge_sort_block_merge_config_selectorIbiEEZZNS1_27merge_sort_block_merge_implIS3_N6thrust23THRUST_200600_302600_NS6detail15normal_iteratorINS8_10device_ptrIbEEEENSA_INSB_IiEEEEjNS1_19radix_merge_compareILb1ELb0EbNS0_19identity_decomposerEEEEE10hipError_tT0_T1_T2_jT3_P12ihipStream_tbPNSt15iterator_traitsISK_E10value_typeEPNSQ_ISL_E10value_typeEPSM_NS1_7vsmem_tEENKUlT_SK_SL_SM_E_clISD_PbSF_PiEESJ_SZ_SK_SL_SM_EUlSZ_E0_NS1_11comp_targetILNS1_3genE8ELNS1_11target_archE1030ELNS1_3gpuE2ELNS1_3repE0EEENS1_38merge_mergepath_config_static_selectorELNS0_4arch9wavefront6targetE1EEEvSL_,@function
_ZN7rocprim17ROCPRIM_400000_NS6detail17trampoline_kernelINS0_14default_configENS1_38merge_sort_block_merge_config_selectorIbiEEZZNS1_27merge_sort_block_merge_implIS3_N6thrust23THRUST_200600_302600_NS6detail15normal_iteratorINS8_10device_ptrIbEEEENSA_INSB_IiEEEEjNS1_19radix_merge_compareILb1ELb0EbNS0_19identity_decomposerEEEEE10hipError_tT0_T1_T2_jT3_P12ihipStream_tbPNSt15iterator_traitsISK_E10value_typeEPNSQ_ISL_E10value_typeEPSM_NS1_7vsmem_tEENKUlT_SK_SL_SM_E_clISD_PbSF_PiEESJ_SZ_SK_SL_SM_EUlSZ_E0_NS1_11comp_targetILNS1_3genE8ELNS1_11target_archE1030ELNS1_3gpuE2ELNS1_3repE0EEENS1_38merge_mergepath_config_static_selectorELNS0_4arch9wavefront6targetE1EEEvSL_: ; @_ZN7rocprim17ROCPRIM_400000_NS6detail17trampoline_kernelINS0_14default_configENS1_38merge_sort_block_merge_config_selectorIbiEEZZNS1_27merge_sort_block_merge_implIS3_N6thrust23THRUST_200600_302600_NS6detail15normal_iteratorINS8_10device_ptrIbEEEENSA_INSB_IiEEEEjNS1_19radix_merge_compareILb1ELb0EbNS0_19identity_decomposerEEEEE10hipError_tT0_T1_T2_jT3_P12ihipStream_tbPNSt15iterator_traitsISK_E10value_typeEPNSQ_ISL_E10value_typeEPSM_NS1_7vsmem_tEENKUlT_SK_SL_SM_E_clISD_PbSF_PiEESJ_SZ_SK_SL_SM_EUlSZ_E0_NS1_11comp_targetILNS1_3genE8ELNS1_11target_archE1030ELNS1_3gpuE2ELNS1_3repE0EEENS1_38merge_mergepath_config_static_selectorELNS0_4arch9wavefront6targetE1EEEvSL_
; %bb.0:
	.section	.rodata,"a",@progbits
	.p2align	6, 0x0
	.amdhsa_kernel _ZN7rocprim17ROCPRIM_400000_NS6detail17trampoline_kernelINS0_14default_configENS1_38merge_sort_block_merge_config_selectorIbiEEZZNS1_27merge_sort_block_merge_implIS3_N6thrust23THRUST_200600_302600_NS6detail15normal_iteratorINS8_10device_ptrIbEEEENSA_INSB_IiEEEEjNS1_19radix_merge_compareILb1ELb0EbNS0_19identity_decomposerEEEEE10hipError_tT0_T1_T2_jT3_P12ihipStream_tbPNSt15iterator_traitsISK_E10value_typeEPNSQ_ISL_E10value_typeEPSM_NS1_7vsmem_tEENKUlT_SK_SL_SM_E_clISD_PbSF_PiEESJ_SZ_SK_SL_SM_EUlSZ_E0_NS1_11comp_targetILNS1_3genE8ELNS1_11target_archE1030ELNS1_3gpuE2ELNS1_3repE0EEENS1_38merge_mergepath_config_static_selectorELNS0_4arch9wavefront6targetE1EEEvSL_
		.amdhsa_group_segment_fixed_size 0
		.amdhsa_private_segment_fixed_size 0
		.amdhsa_kernarg_size 64
		.amdhsa_user_sgpr_count 2
		.amdhsa_user_sgpr_dispatch_ptr 0
		.amdhsa_user_sgpr_queue_ptr 0
		.amdhsa_user_sgpr_kernarg_segment_ptr 1
		.amdhsa_user_sgpr_dispatch_id 0
		.amdhsa_user_sgpr_kernarg_preload_length 0
		.amdhsa_user_sgpr_kernarg_preload_offset 0
		.amdhsa_user_sgpr_private_segment_size 0
		.amdhsa_uses_dynamic_stack 0
		.amdhsa_enable_private_segment 0
		.amdhsa_system_sgpr_workgroup_id_x 1
		.amdhsa_system_sgpr_workgroup_id_y 0
		.amdhsa_system_sgpr_workgroup_id_z 0
		.amdhsa_system_sgpr_workgroup_info 0
		.amdhsa_system_vgpr_workitem_id 0
		.amdhsa_next_free_vgpr 1
		.amdhsa_next_free_sgpr 0
		.amdhsa_accum_offset 4
		.amdhsa_reserve_vcc 0
		.amdhsa_float_round_mode_32 0
		.amdhsa_float_round_mode_16_64 0
		.amdhsa_float_denorm_mode_32 3
		.amdhsa_float_denorm_mode_16_64 3
		.amdhsa_dx10_clamp 1
		.amdhsa_ieee_mode 1
		.amdhsa_fp16_overflow 0
		.amdhsa_tg_split 0
		.amdhsa_exception_fp_ieee_invalid_op 0
		.amdhsa_exception_fp_denorm_src 0
		.amdhsa_exception_fp_ieee_div_zero 0
		.amdhsa_exception_fp_ieee_overflow 0
		.amdhsa_exception_fp_ieee_underflow 0
		.amdhsa_exception_fp_ieee_inexact 0
		.amdhsa_exception_int_div_zero 0
	.end_amdhsa_kernel
	.section	.text._ZN7rocprim17ROCPRIM_400000_NS6detail17trampoline_kernelINS0_14default_configENS1_38merge_sort_block_merge_config_selectorIbiEEZZNS1_27merge_sort_block_merge_implIS3_N6thrust23THRUST_200600_302600_NS6detail15normal_iteratorINS8_10device_ptrIbEEEENSA_INSB_IiEEEEjNS1_19radix_merge_compareILb1ELb0EbNS0_19identity_decomposerEEEEE10hipError_tT0_T1_T2_jT3_P12ihipStream_tbPNSt15iterator_traitsISK_E10value_typeEPNSQ_ISL_E10value_typeEPSM_NS1_7vsmem_tEENKUlT_SK_SL_SM_E_clISD_PbSF_PiEESJ_SZ_SK_SL_SM_EUlSZ_E0_NS1_11comp_targetILNS1_3genE8ELNS1_11target_archE1030ELNS1_3gpuE2ELNS1_3repE0EEENS1_38merge_mergepath_config_static_selectorELNS0_4arch9wavefront6targetE1EEEvSL_,"axG",@progbits,_ZN7rocprim17ROCPRIM_400000_NS6detail17trampoline_kernelINS0_14default_configENS1_38merge_sort_block_merge_config_selectorIbiEEZZNS1_27merge_sort_block_merge_implIS3_N6thrust23THRUST_200600_302600_NS6detail15normal_iteratorINS8_10device_ptrIbEEEENSA_INSB_IiEEEEjNS1_19radix_merge_compareILb1ELb0EbNS0_19identity_decomposerEEEEE10hipError_tT0_T1_T2_jT3_P12ihipStream_tbPNSt15iterator_traitsISK_E10value_typeEPNSQ_ISL_E10value_typeEPSM_NS1_7vsmem_tEENKUlT_SK_SL_SM_E_clISD_PbSF_PiEESJ_SZ_SK_SL_SM_EUlSZ_E0_NS1_11comp_targetILNS1_3genE8ELNS1_11target_archE1030ELNS1_3gpuE2ELNS1_3repE0EEENS1_38merge_mergepath_config_static_selectorELNS0_4arch9wavefront6targetE1EEEvSL_,comdat
.Lfunc_end2143:
	.size	_ZN7rocprim17ROCPRIM_400000_NS6detail17trampoline_kernelINS0_14default_configENS1_38merge_sort_block_merge_config_selectorIbiEEZZNS1_27merge_sort_block_merge_implIS3_N6thrust23THRUST_200600_302600_NS6detail15normal_iteratorINS8_10device_ptrIbEEEENSA_INSB_IiEEEEjNS1_19radix_merge_compareILb1ELb0EbNS0_19identity_decomposerEEEEE10hipError_tT0_T1_T2_jT3_P12ihipStream_tbPNSt15iterator_traitsISK_E10value_typeEPNSQ_ISL_E10value_typeEPSM_NS1_7vsmem_tEENKUlT_SK_SL_SM_E_clISD_PbSF_PiEESJ_SZ_SK_SL_SM_EUlSZ_E0_NS1_11comp_targetILNS1_3genE8ELNS1_11target_archE1030ELNS1_3gpuE2ELNS1_3repE0EEENS1_38merge_mergepath_config_static_selectorELNS0_4arch9wavefront6targetE1EEEvSL_, .Lfunc_end2143-_ZN7rocprim17ROCPRIM_400000_NS6detail17trampoline_kernelINS0_14default_configENS1_38merge_sort_block_merge_config_selectorIbiEEZZNS1_27merge_sort_block_merge_implIS3_N6thrust23THRUST_200600_302600_NS6detail15normal_iteratorINS8_10device_ptrIbEEEENSA_INSB_IiEEEEjNS1_19radix_merge_compareILb1ELb0EbNS0_19identity_decomposerEEEEE10hipError_tT0_T1_T2_jT3_P12ihipStream_tbPNSt15iterator_traitsISK_E10value_typeEPNSQ_ISL_E10value_typeEPSM_NS1_7vsmem_tEENKUlT_SK_SL_SM_E_clISD_PbSF_PiEESJ_SZ_SK_SL_SM_EUlSZ_E0_NS1_11comp_targetILNS1_3genE8ELNS1_11target_archE1030ELNS1_3gpuE2ELNS1_3repE0EEENS1_38merge_mergepath_config_static_selectorELNS0_4arch9wavefront6targetE1EEEvSL_
                                        ; -- End function
	.set _ZN7rocprim17ROCPRIM_400000_NS6detail17trampoline_kernelINS0_14default_configENS1_38merge_sort_block_merge_config_selectorIbiEEZZNS1_27merge_sort_block_merge_implIS3_N6thrust23THRUST_200600_302600_NS6detail15normal_iteratorINS8_10device_ptrIbEEEENSA_INSB_IiEEEEjNS1_19radix_merge_compareILb1ELb0EbNS0_19identity_decomposerEEEEE10hipError_tT0_T1_T2_jT3_P12ihipStream_tbPNSt15iterator_traitsISK_E10value_typeEPNSQ_ISL_E10value_typeEPSM_NS1_7vsmem_tEENKUlT_SK_SL_SM_E_clISD_PbSF_PiEESJ_SZ_SK_SL_SM_EUlSZ_E0_NS1_11comp_targetILNS1_3genE8ELNS1_11target_archE1030ELNS1_3gpuE2ELNS1_3repE0EEENS1_38merge_mergepath_config_static_selectorELNS0_4arch9wavefront6targetE1EEEvSL_.num_vgpr, 0
	.set _ZN7rocprim17ROCPRIM_400000_NS6detail17trampoline_kernelINS0_14default_configENS1_38merge_sort_block_merge_config_selectorIbiEEZZNS1_27merge_sort_block_merge_implIS3_N6thrust23THRUST_200600_302600_NS6detail15normal_iteratorINS8_10device_ptrIbEEEENSA_INSB_IiEEEEjNS1_19radix_merge_compareILb1ELb0EbNS0_19identity_decomposerEEEEE10hipError_tT0_T1_T2_jT3_P12ihipStream_tbPNSt15iterator_traitsISK_E10value_typeEPNSQ_ISL_E10value_typeEPSM_NS1_7vsmem_tEENKUlT_SK_SL_SM_E_clISD_PbSF_PiEESJ_SZ_SK_SL_SM_EUlSZ_E0_NS1_11comp_targetILNS1_3genE8ELNS1_11target_archE1030ELNS1_3gpuE2ELNS1_3repE0EEENS1_38merge_mergepath_config_static_selectorELNS0_4arch9wavefront6targetE1EEEvSL_.num_agpr, 0
	.set _ZN7rocprim17ROCPRIM_400000_NS6detail17trampoline_kernelINS0_14default_configENS1_38merge_sort_block_merge_config_selectorIbiEEZZNS1_27merge_sort_block_merge_implIS3_N6thrust23THRUST_200600_302600_NS6detail15normal_iteratorINS8_10device_ptrIbEEEENSA_INSB_IiEEEEjNS1_19radix_merge_compareILb1ELb0EbNS0_19identity_decomposerEEEEE10hipError_tT0_T1_T2_jT3_P12ihipStream_tbPNSt15iterator_traitsISK_E10value_typeEPNSQ_ISL_E10value_typeEPSM_NS1_7vsmem_tEENKUlT_SK_SL_SM_E_clISD_PbSF_PiEESJ_SZ_SK_SL_SM_EUlSZ_E0_NS1_11comp_targetILNS1_3genE8ELNS1_11target_archE1030ELNS1_3gpuE2ELNS1_3repE0EEENS1_38merge_mergepath_config_static_selectorELNS0_4arch9wavefront6targetE1EEEvSL_.numbered_sgpr, 0
	.set _ZN7rocprim17ROCPRIM_400000_NS6detail17trampoline_kernelINS0_14default_configENS1_38merge_sort_block_merge_config_selectorIbiEEZZNS1_27merge_sort_block_merge_implIS3_N6thrust23THRUST_200600_302600_NS6detail15normal_iteratorINS8_10device_ptrIbEEEENSA_INSB_IiEEEEjNS1_19radix_merge_compareILb1ELb0EbNS0_19identity_decomposerEEEEE10hipError_tT0_T1_T2_jT3_P12ihipStream_tbPNSt15iterator_traitsISK_E10value_typeEPNSQ_ISL_E10value_typeEPSM_NS1_7vsmem_tEENKUlT_SK_SL_SM_E_clISD_PbSF_PiEESJ_SZ_SK_SL_SM_EUlSZ_E0_NS1_11comp_targetILNS1_3genE8ELNS1_11target_archE1030ELNS1_3gpuE2ELNS1_3repE0EEENS1_38merge_mergepath_config_static_selectorELNS0_4arch9wavefront6targetE1EEEvSL_.num_named_barrier, 0
	.set _ZN7rocprim17ROCPRIM_400000_NS6detail17trampoline_kernelINS0_14default_configENS1_38merge_sort_block_merge_config_selectorIbiEEZZNS1_27merge_sort_block_merge_implIS3_N6thrust23THRUST_200600_302600_NS6detail15normal_iteratorINS8_10device_ptrIbEEEENSA_INSB_IiEEEEjNS1_19radix_merge_compareILb1ELb0EbNS0_19identity_decomposerEEEEE10hipError_tT0_T1_T2_jT3_P12ihipStream_tbPNSt15iterator_traitsISK_E10value_typeEPNSQ_ISL_E10value_typeEPSM_NS1_7vsmem_tEENKUlT_SK_SL_SM_E_clISD_PbSF_PiEESJ_SZ_SK_SL_SM_EUlSZ_E0_NS1_11comp_targetILNS1_3genE8ELNS1_11target_archE1030ELNS1_3gpuE2ELNS1_3repE0EEENS1_38merge_mergepath_config_static_selectorELNS0_4arch9wavefront6targetE1EEEvSL_.private_seg_size, 0
	.set _ZN7rocprim17ROCPRIM_400000_NS6detail17trampoline_kernelINS0_14default_configENS1_38merge_sort_block_merge_config_selectorIbiEEZZNS1_27merge_sort_block_merge_implIS3_N6thrust23THRUST_200600_302600_NS6detail15normal_iteratorINS8_10device_ptrIbEEEENSA_INSB_IiEEEEjNS1_19radix_merge_compareILb1ELb0EbNS0_19identity_decomposerEEEEE10hipError_tT0_T1_T2_jT3_P12ihipStream_tbPNSt15iterator_traitsISK_E10value_typeEPNSQ_ISL_E10value_typeEPSM_NS1_7vsmem_tEENKUlT_SK_SL_SM_E_clISD_PbSF_PiEESJ_SZ_SK_SL_SM_EUlSZ_E0_NS1_11comp_targetILNS1_3genE8ELNS1_11target_archE1030ELNS1_3gpuE2ELNS1_3repE0EEENS1_38merge_mergepath_config_static_selectorELNS0_4arch9wavefront6targetE1EEEvSL_.uses_vcc, 0
	.set _ZN7rocprim17ROCPRIM_400000_NS6detail17trampoline_kernelINS0_14default_configENS1_38merge_sort_block_merge_config_selectorIbiEEZZNS1_27merge_sort_block_merge_implIS3_N6thrust23THRUST_200600_302600_NS6detail15normal_iteratorINS8_10device_ptrIbEEEENSA_INSB_IiEEEEjNS1_19radix_merge_compareILb1ELb0EbNS0_19identity_decomposerEEEEE10hipError_tT0_T1_T2_jT3_P12ihipStream_tbPNSt15iterator_traitsISK_E10value_typeEPNSQ_ISL_E10value_typeEPSM_NS1_7vsmem_tEENKUlT_SK_SL_SM_E_clISD_PbSF_PiEESJ_SZ_SK_SL_SM_EUlSZ_E0_NS1_11comp_targetILNS1_3genE8ELNS1_11target_archE1030ELNS1_3gpuE2ELNS1_3repE0EEENS1_38merge_mergepath_config_static_selectorELNS0_4arch9wavefront6targetE1EEEvSL_.uses_flat_scratch, 0
	.set _ZN7rocprim17ROCPRIM_400000_NS6detail17trampoline_kernelINS0_14default_configENS1_38merge_sort_block_merge_config_selectorIbiEEZZNS1_27merge_sort_block_merge_implIS3_N6thrust23THRUST_200600_302600_NS6detail15normal_iteratorINS8_10device_ptrIbEEEENSA_INSB_IiEEEEjNS1_19radix_merge_compareILb1ELb0EbNS0_19identity_decomposerEEEEE10hipError_tT0_T1_T2_jT3_P12ihipStream_tbPNSt15iterator_traitsISK_E10value_typeEPNSQ_ISL_E10value_typeEPSM_NS1_7vsmem_tEENKUlT_SK_SL_SM_E_clISD_PbSF_PiEESJ_SZ_SK_SL_SM_EUlSZ_E0_NS1_11comp_targetILNS1_3genE8ELNS1_11target_archE1030ELNS1_3gpuE2ELNS1_3repE0EEENS1_38merge_mergepath_config_static_selectorELNS0_4arch9wavefront6targetE1EEEvSL_.has_dyn_sized_stack, 0
	.set _ZN7rocprim17ROCPRIM_400000_NS6detail17trampoline_kernelINS0_14default_configENS1_38merge_sort_block_merge_config_selectorIbiEEZZNS1_27merge_sort_block_merge_implIS3_N6thrust23THRUST_200600_302600_NS6detail15normal_iteratorINS8_10device_ptrIbEEEENSA_INSB_IiEEEEjNS1_19radix_merge_compareILb1ELb0EbNS0_19identity_decomposerEEEEE10hipError_tT0_T1_T2_jT3_P12ihipStream_tbPNSt15iterator_traitsISK_E10value_typeEPNSQ_ISL_E10value_typeEPSM_NS1_7vsmem_tEENKUlT_SK_SL_SM_E_clISD_PbSF_PiEESJ_SZ_SK_SL_SM_EUlSZ_E0_NS1_11comp_targetILNS1_3genE8ELNS1_11target_archE1030ELNS1_3gpuE2ELNS1_3repE0EEENS1_38merge_mergepath_config_static_selectorELNS0_4arch9wavefront6targetE1EEEvSL_.has_recursion, 0
	.set _ZN7rocprim17ROCPRIM_400000_NS6detail17trampoline_kernelINS0_14default_configENS1_38merge_sort_block_merge_config_selectorIbiEEZZNS1_27merge_sort_block_merge_implIS3_N6thrust23THRUST_200600_302600_NS6detail15normal_iteratorINS8_10device_ptrIbEEEENSA_INSB_IiEEEEjNS1_19radix_merge_compareILb1ELb0EbNS0_19identity_decomposerEEEEE10hipError_tT0_T1_T2_jT3_P12ihipStream_tbPNSt15iterator_traitsISK_E10value_typeEPNSQ_ISL_E10value_typeEPSM_NS1_7vsmem_tEENKUlT_SK_SL_SM_E_clISD_PbSF_PiEESJ_SZ_SK_SL_SM_EUlSZ_E0_NS1_11comp_targetILNS1_3genE8ELNS1_11target_archE1030ELNS1_3gpuE2ELNS1_3repE0EEENS1_38merge_mergepath_config_static_selectorELNS0_4arch9wavefront6targetE1EEEvSL_.has_indirect_call, 0
	.section	.AMDGPU.csdata,"",@progbits
; Kernel info:
; codeLenInByte = 0
; TotalNumSgprs: 6
; NumVgprs: 0
; NumAgprs: 0
; TotalNumVgprs: 0
; ScratchSize: 0
; MemoryBound: 0
; FloatMode: 240
; IeeeMode: 1
; LDSByteSize: 0 bytes/workgroup (compile time only)
; SGPRBlocks: 0
; VGPRBlocks: 0
; NumSGPRsForWavesPerEU: 6
; NumVGPRsForWavesPerEU: 1
; AccumOffset: 4
; Occupancy: 8
; WaveLimiterHint : 0
; COMPUTE_PGM_RSRC2:SCRATCH_EN: 0
; COMPUTE_PGM_RSRC2:USER_SGPR: 2
; COMPUTE_PGM_RSRC2:TRAP_HANDLER: 0
; COMPUTE_PGM_RSRC2:TGID_X_EN: 1
; COMPUTE_PGM_RSRC2:TGID_Y_EN: 0
; COMPUTE_PGM_RSRC2:TGID_Z_EN: 0
; COMPUTE_PGM_RSRC2:TIDIG_COMP_CNT: 0
; COMPUTE_PGM_RSRC3_GFX90A:ACCUM_OFFSET: 0
; COMPUTE_PGM_RSRC3_GFX90A:TG_SPLIT: 0
	.section	.text._ZN7rocprim17ROCPRIM_400000_NS6detail17trampoline_kernelINS0_14default_configENS1_38merge_sort_block_merge_config_selectorIbiEEZZNS1_27merge_sort_block_merge_implIS3_N6thrust23THRUST_200600_302600_NS6detail15normal_iteratorINS8_10device_ptrIbEEEENSA_INSB_IiEEEEjNS1_19radix_merge_compareILb1ELb0EbNS0_19identity_decomposerEEEEE10hipError_tT0_T1_T2_jT3_P12ihipStream_tbPNSt15iterator_traitsISK_E10value_typeEPNSQ_ISL_E10value_typeEPSM_NS1_7vsmem_tEENKUlT_SK_SL_SM_E_clISD_PbSF_PiEESJ_SZ_SK_SL_SM_EUlSZ_E1_NS1_11comp_targetILNS1_3genE0ELNS1_11target_archE4294967295ELNS1_3gpuE0ELNS1_3repE0EEENS1_36merge_oddeven_config_static_selectorELNS0_4arch9wavefront6targetE1EEEvSL_,"axG",@progbits,_ZN7rocprim17ROCPRIM_400000_NS6detail17trampoline_kernelINS0_14default_configENS1_38merge_sort_block_merge_config_selectorIbiEEZZNS1_27merge_sort_block_merge_implIS3_N6thrust23THRUST_200600_302600_NS6detail15normal_iteratorINS8_10device_ptrIbEEEENSA_INSB_IiEEEEjNS1_19radix_merge_compareILb1ELb0EbNS0_19identity_decomposerEEEEE10hipError_tT0_T1_T2_jT3_P12ihipStream_tbPNSt15iterator_traitsISK_E10value_typeEPNSQ_ISL_E10value_typeEPSM_NS1_7vsmem_tEENKUlT_SK_SL_SM_E_clISD_PbSF_PiEESJ_SZ_SK_SL_SM_EUlSZ_E1_NS1_11comp_targetILNS1_3genE0ELNS1_11target_archE4294967295ELNS1_3gpuE0ELNS1_3repE0EEENS1_36merge_oddeven_config_static_selectorELNS0_4arch9wavefront6targetE1EEEvSL_,comdat
	.protected	_ZN7rocprim17ROCPRIM_400000_NS6detail17trampoline_kernelINS0_14default_configENS1_38merge_sort_block_merge_config_selectorIbiEEZZNS1_27merge_sort_block_merge_implIS3_N6thrust23THRUST_200600_302600_NS6detail15normal_iteratorINS8_10device_ptrIbEEEENSA_INSB_IiEEEEjNS1_19radix_merge_compareILb1ELb0EbNS0_19identity_decomposerEEEEE10hipError_tT0_T1_T2_jT3_P12ihipStream_tbPNSt15iterator_traitsISK_E10value_typeEPNSQ_ISL_E10value_typeEPSM_NS1_7vsmem_tEENKUlT_SK_SL_SM_E_clISD_PbSF_PiEESJ_SZ_SK_SL_SM_EUlSZ_E1_NS1_11comp_targetILNS1_3genE0ELNS1_11target_archE4294967295ELNS1_3gpuE0ELNS1_3repE0EEENS1_36merge_oddeven_config_static_selectorELNS0_4arch9wavefront6targetE1EEEvSL_ ; -- Begin function _ZN7rocprim17ROCPRIM_400000_NS6detail17trampoline_kernelINS0_14default_configENS1_38merge_sort_block_merge_config_selectorIbiEEZZNS1_27merge_sort_block_merge_implIS3_N6thrust23THRUST_200600_302600_NS6detail15normal_iteratorINS8_10device_ptrIbEEEENSA_INSB_IiEEEEjNS1_19radix_merge_compareILb1ELb0EbNS0_19identity_decomposerEEEEE10hipError_tT0_T1_T2_jT3_P12ihipStream_tbPNSt15iterator_traitsISK_E10value_typeEPNSQ_ISL_E10value_typeEPSM_NS1_7vsmem_tEENKUlT_SK_SL_SM_E_clISD_PbSF_PiEESJ_SZ_SK_SL_SM_EUlSZ_E1_NS1_11comp_targetILNS1_3genE0ELNS1_11target_archE4294967295ELNS1_3gpuE0ELNS1_3repE0EEENS1_36merge_oddeven_config_static_selectorELNS0_4arch9wavefront6targetE1EEEvSL_
	.globl	_ZN7rocprim17ROCPRIM_400000_NS6detail17trampoline_kernelINS0_14default_configENS1_38merge_sort_block_merge_config_selectorIbiEEZZNS1_27merge_sort_block_merge_implIS3_N6thrust23THRUST_200600_302600_NS6detail15normal_iteratorINS8_10device_ptrIbEEEENSA_INSB_IiEEEEjNS1_19radix_merge_compareILb1ELb0EbNS0_19identity_decomposerEEEEE10hipError_tT0_T1_T2_jT3_P12ihipStream_tbPNSt15iterator_traitsISK_E10value_typeEPNSQ_ISL_E10value_typeEPSM_NS1_7vsmem_tEENKUlT_SK_SL_SM_E_clISD_PbSF_PiEESJ_SZ_SK_SL_SM_EUlSZ_E1_NS1_11comp_targetILNS1_3genE0ELNS1_11target_archE4294967295ELNS1_3gpuE0ELNS1_3repE0EEENS1_36merge_oddeven_config_static_selectorELNS0_4arch9wavefront6targetE1EEEvSL_
	.p2align	8
	.type	_ZN7rocprim17ROCPRIM_400000_NS6detail17trampoline_kernelINS0_14default_configENS1_38merge_sort_block_merge_config_selectorIbiEEZZNS1_27merge_sort_block_merge_implIS3_N6thrust23THRUST_200600_302600_NS6detail15normal_iteratorINS8_10device_ptrIbEEEENSA_INSB_IiEEEEjNS1_19radix_merge_compareILb1ELb0EbNS0_19identity_decomposerEEEEE10hipError_tT0_T1_T2_jT3_P12ihipStream_tbPNSt15iterator_traitsISK_E10value_typeEPNSQ_ISL_E10value_typeEPSM_NS1_7vsmem_tEENKUlT_SK_SL_SM_E_clISD_PbSF_PiEESJ_SZ_SK_SL_SM_EUlSZ_E1_NS1_11comp_targetILNS1_3genE0ELNS1_11target_archE4294967295ELNS1_3gpuE0ELNS1_3repE0EEENS1_36merge_oddeven_config_static_selectorELNS0_4arch9wavefront6targetE1EEEvSL_,@function
_ZN7rocprim17ROCPRIM_400000_NS6detail17trampoline_kernelINS0_14default_configENS1_38merge_sort_block_merge_config_selectorIbiEEZZNS1_27merge_sort_block_merge_implIS3_N6thrust23THRUST_200600_302600_NS6detail15normal_iteratorINS8_10device_ptrIbEEEENSA_INSB_IiEEEEjNS1_19radix_merge_compareILb1ELb0EbNS0_19identity_decomposerEEEEE10hipError_tT0_T1_T2_jT3_P12ihipStream_tbPNSt15iterator_traitsISK_E10value_typeEPNSQ_ISL_E10value_typeEPSM_NS1_7vsmem_tEENKUlT_SK_SL_SM_E_clISD_PbSF_PiEESJ_SZ_SK_SL_SM_EUlSZ_E1_NS1_11comp_targetILNS1_3genE0ELNS1_11target_archE4294967295ELNS1_3gpuE0ELNS1_3repE0EEENS1_36merge_oddeven_config_static_selectorELNS0_4arch9wavefront6targetE1EEEvSL_: ; @_ZN7rocprim17ROCPRIM_400000_NS6detail17trampoline_kernelINS0_14default_configENS1_38merge_sort_block_merge_config_selectorIbiEEZZNS1_27merge_sort_block_merge_implIS3_N6thrust23THRUST_200600_302600_NS6detail15normal_iteratorINS8_10device_ptrIbEEEENSA_INSB_IiEEEEjNS1_19radix_merge_compareILb1ELb0EbNS0_19identity_decomposerEEEEE10hipError_tT0_T1_T2_jT3_P12ihipStream_tbPNSt15iterator_traitsISK_E10value_typeEPNSQ_ISL_E10value_typeEPSM_NS1_7vsmem_tEENKUlT_SK_SL_SM_E_clISD_PbSF_PiEESJ_SZ_SK_SL_SM_EUlSZ_E1_NS1_11comp_targetILNS1_3genE0ELNS1_11target_archE4294967295ELNS1_3gpuE0ELNS1_3repE0EEENS1_36merge_oddeven_config_static_selectorELNS0_4arch9wavefront6targetE1EEEvSL_
; %bb.0:
	s_load_dword s18, s[0:1], 0x20
	s_waitcnt lgkmcnt(0)
	s_lshr_b32 s3, s18, 8
	s_cmp_eq_u32 s2, s3
	s_cselect_b64 s[6:7], -1, 0
	s_cmp_lg_u32 s2, s3
	s_cselect_b64 s[8:9], -1, 0
	s_lshl_b32 s16, s2, 8
	s_sub_i32 s3, s18, s16
	v_cmp_gt_u32_e64 s[4:5], s3, v0
	s_or_b64 s[8:9], s[8:9], s[4:5]
	s_and_saveexec_b64 s[10:11], s[8:9]
	s_cbranch_execz .LBB2144_24
; %bb.1:
	s_load_dwordx8 s[8:15], s[0:1], 0x0
	s_mov_b32 s17, 0
	v_lshlrev_b32_e32 v1, 2, v0
	s_waitcnt lgkmcnt(0)
	s_add_u32 s20, s8, s16
	s_addc_u32 s21, s9, 0
	s_lshl_b64 s[22:23], s[16:17], 2
	s_add_u32 s12, s12, s22
	s_addc_u32 s13, s13, s23
	global_load_dword v2, v1, s[12:13]
	global_load_ubyte v3, v0, s[20:21]
	s_load_dword s17, s[0:1], 0x24
	v_add_u32_e32 v0, s16, v0
	s_waitcnt lgkmcnt(0)
	s_lshr_b32 s0, s17, 8
	s_sub_i32 s1, 0, s0
	s_and_b32 s1, s2, s1
	s_and_b32 s0, s1, s0
	s_lshl_b32 s19, s1, 8
	s_sub_i32 s12, 0, s17
	s_cmp_eq_u32 s0, 0
	s_cselect_b64 s[0:1], -1, 0
	s_and_b64 s[2:3], s[0:1], exec
	s_cselect_b32 s12, s17, s12
	s_add_i32 s12, s12, s19
	s_mov_b64 s[2:3], -1
	s_cmp_gt_u32 s18, s12
	s_cbranch_scc1 .LBB2144_9
; %bb.2:
	s_and_b64 vcc, exec, s[6:7]
	s_cbranch_vccz .LBB2144_6
; %bb.3:
	v_cmp_gt_u32_e32 vcc, s18, v0
	s_and_saveexec_b64 s[2:3], vcc
	s_cbranch_execz .LBB2144_5
; %bb.4:
	v_mov_b32_e32 v1, 0
	v_lshl_add_u64 v[4:5], v[0:1], 2, s[14:15]
	s_waitcnt vmcnt(0)
	global_store_byte v0, v3, s[10:11]
	global_store_dword v[4:5], v2, off
.LBB2144_5:
	s_or_b64 exec, exec, s[2:3]
	s_mov_b64 s[2:3], 0
.LBB2144_6:
	s_andn2_b64 vcc, exec, s[2:3]
	s_cbranch_vccnz .LBB2144_8
; %bb.7:
	v_mov_b32_e32 v1, 0
	v_lshl_add_u64 v[4:5], v[0:1], 2, s[14:15]
	s_waitcnt vmcnt(0)
	global_store_byte v0, v3, s[10:11]
	global_store_dword v[4:5], v2, off
.LBB2144_8:
	s_mov_b64 s[2:3], 0
.LBB2144_9:
	s_andn2_b64 vcc, exec, s[2:3]
	s_cbranch_vccnz .LBB2144_24
; %bb.10:
	s_min_u32 s13, s12, s18
	s_add_i32 s2, s13, s17
	s_min_u32 s16, s2, s18
	s_min_u32 s2, s19, s13
	s_add_i32 s19, s19, s13
	v_subrev_u32_e32 v0, s19, v0
	v_add_u32_e32 v0, s2, v0
	s_andn2_b64 vcc, exec, s[6:7]
	s_mov_b64 s[2:3], -1
	s_cbranch_vccnz .LBB2144_18
; %bb.11:
	s_and_saveexec_b64 s[2:3], s[4:5]
	s_cbranch_execz .LBB2144_17
; %bb.12:
	s_cmp_ge_u32 s12, s16
	v_mov_b32_e32 v1, s13
	s_cbranch_scc1 .LBB2144_16
; %bb.13:
	s_mov_b64 s[4:5], 0
	v_mov_b32_e32 v4, s16
	v_mov_b32_e32 v1, s13
.LBB2144_14:                            ; =>This Inner Loop Header: Depth=1
	v_add_u32_e32 v5, v1, v4
	v_lshrrev_b32_e32 v5, 1, v5
	global_load_ubyte v6, v5, s[8:9]
	v_add_u32_e32 v7, 1, v5
	s_waitcnt vmcnt(0)
	v_cmp_gt_u16_sdwa s[6:7], v6, v3 src0_sel:DWORD src1_sel:BYTE_0
	s_nop 1
	v_cndmask_b32_e64 v8, 0, 1, s[6:7]
	v_cmp_le_u16_sdwa s[6:7], v3, v6 src0_sel:BYTE_0 src1_sel:DWORD
	s_nop 1
	v_cndmask_b32_e64 v6, 0, 1, s[6:7]
	v_cndmask_b32_e64 v6, v6, v8, s[0:1]
	v_and_b32_e32 v6, 1, v6
	v_cmp_eq_u32_e32 vcc, 1, v6
	s_nop 1
	v_cndmask_b32_e32 v4, v5, v4, vcc
	v_cndmask_b32_e32 v1, v1, v7, vcc
	v_cmp_ge_u32_e32 vcc, v1, v4
	s_or_b64 s[4:5], vcc, s[4:5]
	s_andn2_b64 exec, exec, s[4:5]
	s_cbranch_execnz .LBB2144_14
; %bb.15:
	s_or_b64 exec, exec, s[4:5]
.LBB2144_16:
	v_add_u32_e32 v4, v1, v0
	v_mov_b32_e32 v5, 0
	s_waitcnt vmcnt(0)
	global_store_byte v4, v3, s[10:11]
	v_lshl_add_u64 v[4:5], v[4:5], 2, s[14:15]
	global_store_dword v[4:5], v2, off
.LBB2144_17:
	s_or_b64 exec, exec, s[2:3]
	s_mov_b64 s[2:3], 0
.LBB2144_18:
	s_andn2_b64 vcc, exec, s[2:3]
	s_cbranch_vccnz .LBB2144_24
; %bb.19:
	s_cmp_ge_u32 s12, s16
	v_mov_b32_e32 v1, s13
	s_cbranch_scc1 .LBB2144_23
; %bb.20:
	s_mov_b64 s[2:3], 0
	v_mov_b32_e32 v4, s16
	v_mov_b32_e32 v1, s13
.LBB2144_21:                            ; =>This Inner Loop Header: Depth=1
	v_add_u32_e32 v5, v1, v4
	v_lshrrev_b32_e32 v5, 1, v5
	global_load_ubyte v6, v5, s[8:9]
	v_add_u32_e32 v7, 1, v5
	s_waitcnt vmcnt(0)
	v_cmp_gt_u16_sdwa s[4:5], v6, v3 src0_sel:DWORD src1_sel:BYTE_0
	s_nop 1
	v_cndmask_b32_e64 v8, 0, 1, s[4:5]
	v_cmp_le_u16_sdwa s[4:5], v3, v6 src0_sel:BYTE_0 src1_sel:DWORD
	s_nop 1
	v_cndmask_b32_e64 v6, 0, 1, s[4:5]
	v_cndmask_b32_e64 v6, v6, v8, s[0:1]
	v_and_b32_e32 v6, 1, v6
	v_cmp_eq_u32_e32 vcc, 1, v6
	s_nop 1
	v_cndmask_b32_e32 v4, v5, v4, vcc
	v_cndmask_b32_e32 v1, v1, v7, vcc
	v_cmp_ge_u32_e32 vcc, v1, v4
	s_or_b64 s[2:3], vcc, s[2:3]
	s_andn2_b64 exec, exec, s[2:3]
	s_cbranch_execnz .LBB2144_21
; %bb.22:
	s_or_b64 exec, exec, s[2:3]
.LBB2144_23:
	v_add_u32_e32 v0, v1, v0
	v_mov_b32_e32 v1, 0
	s_waitcnt vmcnt(0)
	global_store_byte v0, v3, s[10:11]
	v_lshl_add_u64 v[0:1], v[0:1], 2, s[14:15]
	global_store_dword v[0:1], v2, off
.LBB2144_24:
	s_endpgm
	.section	.rodata,"a",@progbits
	.p2align	6, 0x0
	.amdhsa_kernel _ZN7rocprim17ROCPRIM_400000_NS6detail17trampoline_kernelINS0_14default_configENS1_38merge_sort_block_merge_config_selectorIbiEEZZNS1_27merge_sort_block_merge_implIS3_N6thrust23THRUST_200600_302600_NS6detail15normal_iteratorINS8_10device_ptrIbEEEENSA_INSB_IiEEEEjNS1_19radix_merge_compareILb1ELb0EbNS0_19identity_decomposerEEEEE10hipError_tT0_T1_T2_jT3_P12ihipStream_tbPNSt15iterator_traitsISK_E10value_typeEPNSQ_ISL_E10value_typeEPSM_NS1_7vsmem_tEENKUlT_SK_SL_SM_E_clISD_PbSF_PiEESJ_SZ_SK_SL_SM_EUlSZ_E1_NS1_11comp_targetILNS1_3genE0ELNS1_11target_archE4294967295ELNS1_3gpuE0ELNS1_3repE0EEENS1_36merge_oddeven_config_static_selectorELNS0_4arch9wavefront6targetE1EEEvSL_
		.amdhsa_group_segment_fixed_size 0
		.amdhsa_private_segment_fixed_size 0
		.amdhsa_kernarg_size 48
		.amdhsa_user_sgpr_count 2
		.amdhsa_user_sgpr_dispatch_ptr 0
		.amdhsa_user_sgpr_queue_ptr 0
		.amdhsa_user_sgpr_kernarg_segment_ptr 1
		.amdhsa_user_sgpr_dispatch_id 0
		.amdhsa_user_sgpr_kernarg_preload_length 0
		.amdhsa_user_sgpr_kernarg_preload_offset 0
		.amdhsa_user_sgpr_private_segment_size 0
		.amdhsa_uses_dynamic_stack 0
		.amdhsa_enable_private_segment 0
		.amdhsa_system_sgpr_workgroup_id_x 1
		.amdhsa_system_sgpr_workgroup_id_y 0
		.amdhsa_system_sgpr_workgroup_id_z 0
		.amdhsa_system_sgpr_workgroup_info 0
		.amdhsa_system_vgpr_workitem_id 0
		.amdhsa_next_free_vgpr 9
		.amdhsa_next_free_sgpr 24
		.amdhsa_accum_offset 12
		.amdhsa_reserve_vcc 1
		.amdhsa_float_round_mode_32 0
		.amdhsa_float_round_mode_16_64 0
		.amdhsa_float_denorm_mode_32 3
		.amdhsa_float_denorm_mode_16_64 3
		.amdhsa_dx10_clamp 1
		.amdhsa_ieee_mode 1
		.amdhsa_fp16_overflow 0
		.amdhsa_tg_split 0
		.amdhsa_exception_fp_ieee_invalid_op 0
		.amdhsa_exception_fp_denorm_src 0
		.amdhsa_exception_fp_ieee_div_zero 0
		.amdhsa_exception_fp_ieee_overflow 0
		.amdhsa_exception_fp_ieee_underflow 0
		.amdhsa_exception_fp_ieee_inexact 0
		.amdhsa_exception_int_div_zero 0
	.end_amdhsa_kernel
	.section	.text._ZN7rocprim17ROCPRIM_400000_NS6detail17trampoline_kernelINS0_14default_configENS1_38merge_sort_block_merge_config_selectorIbiEEZZNS1_27merge_sort_block_merge_implIS3_N6thrust23THRUST_200600_302600_NS6detail15normal_iteratorINS8_10device_ptrIbEEEENSA_INSB_IiEEEEjNS1_19radix_merge_compareILb1ELb0EbNS0_19identity_decomposerEEEEE10hipError_tT0_T1_T2_jT3_P12ihipStream_tbPNSt15iterator_traitsISK_E10value_typeEPNSQ_ISL_E10value_typeEPSM_NS1_7vsmem_tEENKUlT_SK_SL_SM_E_clISD_PbSF_PiEESJ_SZ_SK_SL_SM_EUlSZ_E1_NS1_11comp_targetILNS1_3genE0ELNS1_11target_archE4294967295ELNS1_3gpuE0ELNS1_3repE0EEENS1_36merge_oddeven_config_static_selectorELNS0_4arch9wavefront6targetE1EEEvSL_,"axG",@progbits,_ZN7rocprim17ROCPRIM_400000_NS6detail17trampoline_kernelINS0_14default_configENS1_38merge_sort_block_merge_config_selectorIbiEEZZNS1_27merge_sort_block_merge_implIS3_N6thrust23THRUST_200600_302600_NS6detail15normal_iteratorINS8_10device_ptrIbEEEENSA_INSB_IiEEEEjNS1_19radix_merge_compareILb1ELb0EbNS0_19identity_decomposerEEEEE10hipError_tT0_T1_T2_jT3_P12ihipStream_tbPNSt15iterator_traitsISK_E10value_typeEPNSQ_ISL_E10value_typeEPSM_NS1_7vsmem_tEENKUlT_SK_SL_SM_E_clISD_PbSF_PiEESJ_SZ_SK_SL_SM_EUlSZ_E1_NS1_11comp_targetILNS1_3genE0ELNS1_11target_archE4294967295ELNS1_3gpuE0ELNS1_3repE0EEENS1_36merge_oddeven_config_static_selectorELNS0_4arch9wavefront6targetE1EEEvSL_,comdat
.Lfunc_end2144:
	.size	_ZN7rocprim17ROCPRIM_400000_NS6detail17trampoline_kernelINS0_14default_configENS1_38merge_sort_block_merge_config_selectorIbiEEZZNS1_27merge_sort_block_merge_implIS3_N6thrust23THRUST_200600_302600_NS6detail15normal_iteratorINS8_10device_ptrIbEEEENSA_INSB_IiEEEEjNS1_19radix_merge_compareILb1ELb0EbNS0_19identity_decomposerEEEEE10hipError_tT0_T1_T2_jT3_P12ihipStream_tbPNSt15iterator_traitsISK_E10value_typeEPNSQ_ISL_E10value_typeEPSM_NS1_7vsmem_tEENKUlT_SK_SL_SM_E_clISD_PbSF_PiEESJ_SZ_SK_SL_SM_EUlSZ_E1_NS1_11comp_targetILNS1_3genE0ELNS1_11target_archE4294967295ELNS1_3gpuE0ELNS1_3repE0EEENS1_36merge_oddeven_config_static_selectorELNS0_4arch9wavefront6targetE1EEEvSL_, .Lfunc_end2144-_ZN7rocprim17ROCPRIM_400000_NS6detail17trampoline_kernelINS0_14default_configENS1_38merge_sort_block_merge_config_selectorIbiEEZZNS1_27merge_sort_block_merge_implIS3_N6thrust23THRUST_200600_302600_NS6detail15normal_iteratorINS8_10device_ptrIbEEEENSA_INSB_IiEEEEjNS1_19radix_merge_compareILb1ELb0EbNS0_19identity_decomposerEEEEE10hipError_tT0_T1_T2_jT3_P12ihipStream_tbPNSt15iterator_traitsISK_E10value_typeEPNSQ_ISL_E10value_typeEPSM_NS1_7vsmem_tEENKUlT_SK_SL_SM_E_clISD_PbSF_PiEESJ_SZ_SK_SL_SM_EUlSZ_E1_NS1_11comp_targetILNS1_3genE0ELNS1_11target_archE4294967295ELNS1_3gpuE0ELNS1_3repE0EEENS1_36merge_oddeven_config_static_selectorELNS0_4arch9wavefront6targetE1EEEvSL_
                                        ; -- End function
	.set _ZN7rocprim17ROCPRIM_400000_NS6detail17trampoline_kernelINS0_14default_configENS1_38merge_sort_block_merge_config_selectorIbiEEZZNS1_27merge_sort_block_merge_implIS3_N6thrust23THRUST_200600_302600_NS6detail15normal_iteratorINS8_10device_ptrIbEEEENSA_INSB_IiEEEEjNS1_19radix_merge_compareILb1ELb0EbNS0_19identity_decomposerEEEEE10hipError_tT0_T1_T2_jT3_P12ihipStream_tbPNSt15iterator_traitsISK_E10value_typeEPNSQ_ISL_E10value_typeEPSM_NS1_7vsmem_tEENKUlT_SK_SL_SM_E_clISD_PbSF_PiEESJ_SZ_SK_SL_SM_EUlSZ_E1_NS1_11comp_targetILNS1_3genE0ELNS1_11target_archE4294967295ELNS1_3gpuE0ELNS1_3repE0EEENS1_36merge_oddeven_config_static_selectorELNS0_4arch9wavefront6targetE1EEEvSL_.num_vgpr, 9
	.set _ZN7rocprim17ROCPRIM_400000_NS6detail17trampoline_kernelINS0_14default_configENS1_38merge_sort_block_merge_config_selectorIbiEEZZNS1_27merge_sort_block_merge_implIS3_N6thrust23THRUST_200600_302600_NS6detail15normal_iteratorINS8_10device_ptrIbEEEENSA_INSB_IiEEEEjNS1_19radix_merge_compareILb1ELb0EbNS0_19identity_decomposerEEEEE10hipError_tT0_T1_T2_jT3_P12ihipStream_tbPNSt15iterator_traitsISK_E10value_typeEPNSQ_ISL_E10value_typeEPSM_NS1_7vsmem_tEENKUlT_SK_SL_SM_E_clISD_PbSF_PiEESJ_SZ_SK_SL_SM_EUlSZ_E1_NS1_11comp_targetILNS1_3genE0ELNS1_11target_archE4294967295ELNS1_3gpuE0ELNS1_3repE0EEENS1_36merge_oddeven_config_static_selectorELNS0_4arch9wavefront6targetE1EEEvSL_.num_agpr, 0
	.set _ZN7rocprim17ROCPRIM_400000_NS6detail17trampoline_kernelINS0_14default_configENS1_38merge_sort_block_merge_config_selectorIbiEEZZNS1_27merge_sort_block_merge_implIS3_N6thrust23THRUST_200600_302600_NS6detail15normal_iteratorINS8_10device_ptrIbEEEENSA_INSB_IiEEEEjNS1_19radix_merge_compareILb1ELb0EbNS0_19identity_decomposerEEEEE10hipError_tT0_T1_T2_jT3_P12ihipStream_tbPNSt15iterator_traitsISK_E10value_typeEPNSQ_ISL_E10value_typeEPSM_NS1_7vsmem_tEENKUlT_SK_SL_SM_E_clISD_PbSF_PiEESJ_SZ_SK_SL_SM_EUlSZ_E1_NS1_11comp_targetILNS1_3genE0ELNS1_11target_archE4294967295ELNS1_3gpuE0ELNS1_3repE0EEENS1_36merge_oddeven_config_static_selectorELNS0_4arch9wavefront6targetE1EEEvSL_.numbered_sgpr, 24
	.set _ZN7rocprim17ROCPRIM_400000_NS6detail17trampoline_kernelINS0_14default_configENS1_38merge_sort_block_merge_config_selectorIbiEEZZNS1_27merge_sort_block_merge_implIS3_N6thrust23THRUST_200600_302600_NS6detail15normal_iteratorINS8_10device_ptrIbEEEENSA_INSB_IiEEEEjNS1_19radix_merge_compareILb1ELb0EbNS0_19identity_decomposerEEEEE10hipError_tT0_T1_T2_jT3_P12ihipStream_tbPNSt15iterator_traitsISK_E10value_typeEPNSQ_ISL_E10value_typeEPSM_NS1_7vsmem_tEENKUlT_SK_SL_SM_E_clISD_PbSF_PiEESJ_SZ_SK_SL_SM_EUlSZ_E1_NS1_11comp_targetILNS1_3genE0ELNS1_11target_archE4294967295ELNS1_3gpuE0ELNS1_3repE0EEENS1_36merge_oddeven_config_static_selectorELNS0_4arch9wavefront6targetE1EEEvSL_.num_named_barrier, 0
	.set _ZN7rocprim17ROCPRIM_400000_NS6detail17trampoline_kernelINS0_14default_configENS1_38merge_sort_block_merge_config_selectorIbiEEZZNS1_27merge_sort_block_merge_implIS3_N6thrust23THRUST_200600_302600_NS6detail15normal_iteratorINS8_10device_ptrIbEEEENSA_INSB_IiEEEEjNS1_19radix_merge_compareILb1ELb0EbNS0_19identity_decomposerEEEEE10hipError_tT0_T1_T2_jT3_P12ihipStream_tbPNSt15iterator_traitsISK_E10value_typeEPNSQ_ISL_E10value_typeEPSM_NS1_7vsmem_tEENKUlT_SK_SL_SM_E_clISD_PbSF_PiEESJ_SZ_SK_SL_SM_EUlSZ_E1_NS1_11comp_targetILNS1_3genE0ELNS1_11target_archE4294967295ELNS1_3gpuE0ELNS1_3repE0EEENS1_36merge_oddeven_config_static_selectorELNS0_4arch9wavefront6targetE1EEEvSL_.private_seg_size, 0
	.set _ZN7rocprim17ROCPRIM_400000_NS6detail17trampoline_kernelINS0_14default_configENS1_38merge_sort_block_merge_config_selectorIbiEEZZNS1_27merge_sort_block_merge_implIS3_N6thrust23THRUST_200600_302600_NS6detail15normal_iteratorINS8_10device_ptrIbEEEENSA_INSB_IiEEEEjNS1_19radix_merge_compareILb1ELb0EbNS0_19identity_decomposerEEEEE10hipError_tT0_T1_T2_jT3_P12ihipStream_tbPNSt15iterator_traitsISK_E10value_typeEPNSQ_ISL_E10value_typeEPSM_NS1_7vsmem_tEENKUlT_SK_SL_SM_E_clISD_PbSF_PiEESJ_SZ_SK_SL_SM_EUlSZ_E1_NS1_11comp_targetILNS1_3genE0ELNS1_11target_archE4294967295ELNS1_3gpuE0ELNS1_3repE0EEENS1_36merge_oddeven_config_static_selectorELNS0_4arch9wavefront6targetE1EEEvSL_.uses_vcc, 1
	.set _ZN7rocprim17ROCPRIM_400000_NS6detail17trampoline_kernelINS0_14default_configENS1_38merge_sort_block_merge_config_selectorIbiEEZZNS1_27merge_sort_block_merge_implIS3_N6thrust23THRUST_200600_302600_NS6detail15normal_iteratorINS8_10device_ptrIbEEEENSA_INSB_IiEEEEjNS1_19radix_merge_compareILb1ELb0EbNS0_19identity_decomposerEEEEE10hipError_tT0_T1_T2_jT3_P12ihipStream_tbPNSt15iterator_traitsISK_E10value_typeEPNSQ_ISL_E10value_typeEPSM_NS1_7vsmem_tEENKUlT_SK_SL_SM_E_clISD_PbSF_PiEESJ_SZ_SK_SL_SM_EUlSZ_E1_NS1_11comp_targetILNS1_3genE0ELNS1_11target_archE4294967295ELNS1_3gpuE0ELNS1_3repE0EEENS1_36merge_oddeven_config_static_selectorELNS0_4arch9wavefront6targetE1EEEvSL_.uses_flat_scratch, 0
	.set _ZN7rocprim17ROCPRIM_400000_NS6detail17trampoline_kernelINS0_14default_configENS1_38merge_sort_block_merge_config_selectorIbiEEZZNS1_27merge_sort_block_merge_implIS3_N6thrust23THRUST_200600_302600_NS6detail15normal_iteratorINS8_10device_ptrIbEEEENSA_INSB_IiEEEEjNS1_19radix_merge_compareILb1ELb0EbNS0_19identity_decomposerEEEEE10hipError_tT0_T1_T2_jT3_P12ihipStream_tbPNSt15iterator_traitsISK_E10value_typeEPNSQ_ISL_E10value_typeEPSM_NS1_7vsmem_tEENKUlT_SK_SL_SM_E_clISD_PbSF_PiEESJ_SZ_SK_SL_SM_EUlSZ_E1_NS1_11comp_targetILNS1_3genE0ELNS1_11target_archE4294967295ELNS1_3gpuE0ELNS1_3repE0EEENS1_36merge_oddeven_config_static_selectorELNS0_4arch9wavefront6targetE1EEEvSL_.has_dyn_sized_stack, 0
	.set _ZN7rocprim17ROCPRIM_400000_NS6detail17trampoline_kernelINS0_14default_configENS1_38merge_sort_block_merge_config_selectorIbiEEZZNS1_27merge_sort_block_merge_implIS3_N6thrust23THRUST_200600_302600_NS6detail15normal_iteratorINS8_10device_ptrIbEEEENSA_INSB_IiEEEEjNS1_19radix_merge_compareILb1ELb0EbNS0_19identity_decomposerEEEEE10hipError_tT0_T1_T2_jT3_P12ihipStream_tbPNSt15iterator_traitsISK_E10value_typeEPNSQ_ISL_E10value_typeEPSM_NS1_7vsmem_tEENKUlT_SK_SL_SM_E_clISD_PbSF_PiEESJ_SZ_SK_SL_SM_EUlSZ_E1_NS1_11comp_targetILNS1_3genE0ELNS1_11target_archE4294967295ELNS1_3gpuE0ELNS1_3repE0EEENS1_36merge_oddeven_config_static_selectorELNS0_4arch9wavefront6targetE1EEEvSL_.has_recursion, 0
	.set _ZN7rocprim17ROCPRIM_400000_NS6detail17trampoline_kernelINS0_14default_configENS1_38merge_sort_block_merge_config_selectorIbiEEZZNS1_27merge_sort_block_merge_implIS3_N6thrust23THRUST_200600_302600_NS6detail15normal_iteratorINS8_10device_ptrIbEEEENSA_INSB_IiEEEEjNS1_19radix_merge_compareILb1ELb0EbNS0_19identity_decomposerEEEEE10hipError_tT0_T1_T2_jT3_P12ihipStream_tbPNSt15iterator_traitsISK_E10value_typeEPNSQ_ISL_E10value_typeEPSM_NS1_7vsmem_tEENKUlT_SK_SL_SM_E_clISD_PbSF_PiEESJ_SZ_SK_SL_SM_EUlSZ_E1_NS1_11comp_targetILNS1_3genE0ELNS1_11target_archE4294967295ELNS1_3gpuE0ELNS1_3repE0EEENS1_36merge_oddeven_config_static_selectorELNS0_4arch9wavefront6targetE1EEEvSL_.has_indirect_call, 0
	.section	.AMDGPU.csdata,"",@progbits
; Kernel info:
; codeLenInByte = 712
; TotalNumSgprs: 30
; NumVgprs: 9
; NumAgprs: 0
; TotalNumVgprs: 9
; ScratchSize: 0
; MemoryBound: 0
; FloatMode: 240
; IeeeMode: 1
; LDSByteSize: 0 bytes/workgroup (compile time only)
; SGPRBlocks: 3
; VGPRBlocks: 1
; NumSGPRsForWavesPerEU: 30
; NumVGPRsForWavesPerEU: 9
; AccumOffset: 12
; Occupancy: 8
; WaveLimiterHint : 0
; COMPUTE_PGM_RSRC2:SCRATCH_EN: 0
; COMPUTE_PGM_RSRC2:USER_SGPR: 2
; COMPUTE_PGM_RSRC2:TRAP_HANDLER: 0
; COMPUTE_PGM_RSRC2:TGID_X_EN: 1
; COMPUTE_PGM_RSRC2:TGID_Y_EN: 0
; COMPUTE_PGM_RSRC2:TGID_Z_EN: 0
; COMPUTE_PGM_RSRC2:TIDIG_COMP_CNT: 0
; COMPUTE_PGM_RSRC3_GFX90A:ACCUM_OFFSET: 2
; COMPUTE_PGM_RSRC3_GFX90A:TG_SPLIT: 0
	.section	.text._ZN7rocprim17ROCPRIM_400000_NS6detail17trampoline_kernelINS0_14default_configENS1_38merge_sort_block_merge_config_selectorIbiEEZZNS1_27merge_sort_block_merge_implIS3_N6thrust23THRUST_200600_302600_NS6detail15normal_iteratorINS8_10device_ptrIbEEEENSA_INSB_IiEEEEjNS1_19radix_merge_compareILb1ELb0EbNS0_19identity_decomposerEEEEE10hipError_tT0_T1_T2_jT3_P12ihipStream_tbPNSt15iterator_traitsISK_E10value_typeEPNSQ_ISL_E10value_typeEPSM_NS1_7vsmem_tEENKUlT_SK_SL_SM_E_clISD_PbSF_PiEESJ_SZ_SK_SL_SM_EUlSZ_E1_NS1_11comp_targetILNS1_3genE10ELNS1_11target_archE1201ELNS1_3gpuE5ELNS1_3repE0EEENS1_36merge_oddeven_config_static_selectorELNS0_4arch9wavefront6targetE1EEEvSL_,"axG",@progbits,_ZN7rocprim17ROCPRIM_400000_NS6detail17trampoline_kernelINS0_14default_configENS1_38merge_sort_block_merge_config_selectorIbiEEZZNS1_27merge_sort_block_merge_implIS3_N6thrust23THRUST_200600_302600_NS6detail15normal_iteratorINS8_10device_ptrIbEEEENSA_INSB_IiEEEEjNS1_19radix_merge_compareILb1ELb0EbNS0_19identity_decomposerEEEEE10hipError_tT0_T1_T2_jT3_P12ihipStream_tbPNSt15iterator_traitsISK_E10value_typeEPNSQ_ISL_E10value_typeEPSM_NS1_7vsmem_tEENKUlT_SK_SL_SM_E_clISD_PbSF_PiEESJ_SZ_SK_SL_SM_EUlSZ_E1_NS1_11comp_targetILNS1_3genE10ELNS1_11target_archE1201ELNS1_3gpuE5ELNS1_3repE0EEENS1_36merge_oddeven_config_static_selectorELNS0_4arch9wavefront6targetE1EEEvSL_,comdat
	.protected	_ZN7rocprim17ROCPRIM_400000_NS6detail17trampoline_kernelINS0_14default_configENS1_38merge_sort_block_merge_config_selectorIbiEEZZNS1_27merge_sort_block_merge_implIS3_N6thrust23THRUST_200600_302600_NS6detail15normal_iteratorINS8_10device_ptrIbEEEENSA_INSB_IiEEEEjNS1_19radix_merge_compareILb1ELb0EbNS0_19identity_decomposerEEEEE10hipError_tT0_T1_T2_jT3_P12ihipStream_tbPNSt15iterator_traitsISK_E10value_typeEPNSQ_ISL_E10value_typeEPSM_NS1_7vsmem_tEENKUlT_SK_SL_SM_E_clISD_PbSF_PiEESJ_SZ_SK_SL_SM_EUlSZ_E1_NS1_11comp_targetILNS1_3genE10ELNS1_11target_archE1201ELNS1_3gpuE5ELNS1_3repE0EEENS1_36merge_oddeven_config_static_selectorELNS0_4arch9wavefront6targetE1EEEvSL_ ; -- Begin function _ZN7rocprim17ROCPRIM_400000_NS6detail17trampoline_kernelINS0_14default_configENS1_38merge_sort_block_merge_config_selectorIbiEEZZNS1_27merge_sort_block_merge_implIS3_N6thrust23THRUST_200600_302600_NS6detail15normal_iteratorINS8_10device_ptrIbEEEENSA_INSB_IiEEEEjNS1_19radix_merge_compareILb1ELb0EbNS0_19identity_decomposerEEEEE10hipError_tT0_T1_T2_jT3_P12ihipStream_tbPNSt15iterator_traitsISK_E10value_typeEPNSQ_ISL_E10value_typeEPSM_NS1_7vsmem_tEENKUlT_SK_SL_SM_E_clISD_PbSF_PiEESJ_SZ_SK_SL_SM_EUlSZ_E1_NS1_11comp_targetILNS1_3genE10ELNS1_11target_archE1201ELNS1_3gpuE5ELNS1_3repE0EEENS1_36merge_oddeven_config_static_selectorELNS0_4arch9wavefront6targetE1EEEvSL_
	.globl	_ZN7rocprim17ROCPRIM_400000_NS6detail17trampoline_kernelINS0_14default_configENS1_38merge_sort_block_merge_config_selectorIbiEEZZNS1_27merge_sort_block_merge_implIS3_N6thrust23THRUST_200600_302600_NS6detail15normal_iteratorINS8_10device_ptrIbEEEENSA_INSB_IiEEEEjNS1_19radix_merge_compareILb1ELb0EbNS0_19identity_decomposerEEEEE10hipError_tT0_T1_T2_jT3_P12ihipStream_tbPNSt15iterator_traitsISK_E10value_typeEPNSQ_ISL_E10value_typeEPSM_NS1_7vsmem_tEENKUlT_SK_SL_SM_E_clISD_PbSF_PiEESJ_SZ_SK_SL_SM_EUlSZ_E1_NS1_11comp_targetILNS1_3genE10ELNS1_11target_archE1201ELNS1_3gpuE5ELNS1_3repE0EEENS1_36merge_oddeven_config_static_selectorELNS0_4arch9wavefront6targetE1EEEvSL_
	.p2align	8
	.type	_ZN7rocprim17ROCPRIM_400000_NS6detail17trampoline_kernelINS0_14default_configENS1_38merge_sort_block_merge_config_selectorIbiEEZZNS1_27merge_sort_block_merge_implIS3_N6thrust23THRUST_200600_302600_NS6detail15normal_iteratorINS8_10device_ptrIbEEEENSA_INSB_IiEEEEjNS1_19radix_merge_compareILb1ELb0EbNS0_19identity_decomposerEEEEE10hipError_tT0_T1_T2_jT3_P12ihipStream_tbPNSt15iterator_traitsISK_E10value_typeEPNSQ_ISL_E10value_typeEPSM_NS1_7vsmem_tEENKUlT_SK_SL_SM_E_clISD_PbSF_PiEESJ_SZ_SK_SL_SM_EUlSZ_E1_NS1_11comp_targetILNS1_3genE10ELNS1_11target_archE1201ELNS1_3gpuE5ELNS1_3repE0EEENS1_36merge_oddeven_config_static_selectorELNS0_4arch9wavefront6targetE1EEEvSL_,@function
_ZN7rocprim17ROCPRIM_400000_NS6detail17trampoline_kernelINS0_14default_configENS1_38merge_sort_block_merge_config_selectorIbiEEZZNS1_27merge_sort_block_merge_implIS3_N6thrust23THRUST_200600_302600_NS6detail15normal_iteratorINS8_10device_ptrIbEEEENSA_INSB_IiEEEEjNS1_19radix_merge_compareILb1ELb0EbNS0_19identity_decomposerEEEEE10hipError_tT0_T1_T2_jT3_P12ihipStream_tbPNSt15iterator_traitsISK_E10value_typeEPNSQ_ISL_E10value_typeEPSM_NS1_7vsmem_tEENKUlT_SK_SL_SM_E_clISD_PbSF_PiEESJ_SZ_SK_SL_SM_EUlSZ_E1_NS1_11comp_targetILNS1_3genE10ELNS1_11target_archE1201ELNS1_3gpuE5ELNS1_3repE0EEENS1_36merge_oddeven_config_static_selectorELNS0_4arch9wavefront6targetE1EEEvSL_: ; @_ZN7rocprim17ROCPRIM_400000_NS6detail17trampoline_kernelINS0_14default_configENS1_38merge_sort_block_merge_config_selectorIbiEEZZNS1_27merge_sort_block_merge_implIS3_N6thrust23THRUST_200600_302600_NS6detail15normal_iteratorINS8_10device_ptrIbEEEENSA_INSB_IiEEEEjNS1_19radix_merge_compareILb1ELb0EbNS0_19identity_decomposerEEEEE10hipError_tT0_T1_T2_jT3_P12ihipStream_tbPNSt15iterator_traitsISK_E10value_typeEPNSQ_ISL_E10value_typeEPSM_NS1_7vsmem_tEENKUlT_SK_SL_SM_E_clISD_PbSF_PiEESJ_SZ_SK_SL_SM_EUlSZ_E1_NS1_11comp_targetILNS1_3genE10ELNS1_11target_archE1201ELNS1_3gpuE5ELNS1_3repE0EEENS1_36merge_oddeven_config_static_selectorELNS0_4arch9wavefront6targetE1EEEvSL_
; %bb.0:
	.section	.rodata,"a",@progbits
	.p2align	6, 0x0
	.amdhsa_kernel _ZN7rocprim17ROCPRIM_400000_NS6detail17trampoline_kernelINS0_14default_configENS1_38merge_sort_block_merge_config_selectorIbiEEZZNS1_27merge_sort_block_merge_implIS3_N6thrust23THRUST_200600_302600_NS6detail15normal_iteratorINS8_10device_ptrIbEEEENSA_INSB_IiEEEEjNS1_19radix_merge_compareILb1ELb0EbNS0_19identity_decomposerEEEEE10hipError_tT0_T1_T2_jT3_P12ihipStream_tbPNSt15iterator_traitsISK_E10value_typeEPNSQ_ISL_E10value_typeEPSM_NS1_7vsmem_tEENKUlT_SK_SL_SM_E_clISD_PbSF_PiEESJ_SZ_SK_SL_SM_EUlSZ_E1_NS1_11comp_targetILNS1_3genE10ELNS1_11target_archE1201ELNS1_3gpuE5ELNS1_3repE0EEENS1_36merge_oddeven_config_static_selectorELNS0_4arch9wavefront6targetE1EEEvSL_
		.amdhsa_group_segment_fixed_size 0
		.amdhsa_private_segment_fixed_size 0
		.amdhsa_kernarg_size 48
		.amdhsa_user_sgpr_count 2
		.amdhsa_user_sgpr_dispatch_ptr 0
		.amdhsa_user_sgpr_queue_ptr 0
		.amdhsa_user_sgpr_kernarg_segment_ptr 1
		.amdhsa_user_sgpr_dispatch_id 0
		.amdhsa_user_sgpr_kernarg_preload_length 0
		.amdhsa_user_sgpr_kernarg_preload_offset 0
		.amdhsa_user_sgpr_private_segment_size 0
		.amdhsa_uses_dynamic_stack 0
		.amdhsa_enable_private_segment 0
		.amdhsa_system_sgpr_workgroup_id_x 1
		.amdhsa_system_sgpr_workgroup_id_y 0
		.amdhsa_system_sgpr_workgroup_id_z 0
		.amdhsa_system_sgpr_workgroup_info 0
		.amdhsa_system_vgpr_workitem_id 0
		.amdhsa_next_free_vgpr 1
		.amdhsa_next_free_sgpr 0
		.amdhsa_accum_offset 4
		.amdhsa_reserve_vcc 0
		.amdhsa_float_round_mode_32 0
		.amdhsa_float_round_mode_16_64 0
		.amdhsa_float_denorm_mode_32 3
		.amdhsa_float_denorm_mode_16_64 3
		.amdhsa_dx10_clamp 1
		.amdhsa_ieee_mode 1
		.amdhsa_fp16_overflow 0
		.amdhsa_tg_split 0
		.amdhsa_exception_fp_ieee_invalid_op 0
		.amdhsa_exception_fp_denorm_src 0
		.amdhsa_exception_fp_ieee_div_zero 0
		.amdhsa_exception_fp_ieee_overflow 0
		.amdhsa_exception_fp_ieee_underflow 0
		.amdhsa_exception_fp_ieee_inexact 0
		.amdhsa_exception_int_div_zero 0
	.end_amdhsa_kernel
	.section	.text._ZN7rocprim17ROCPRIM_400000_NS6detail17trampoline_kernelINS0_14default_configENS1_38merge_sort_block_merge_config_selectorIbiEEZZNS1_27merge_sort_block_merge_implIS3_N6thrust23THRUST_200600_302600_NS6detail15normal_iteratorINS8_10device_ptrIbEEEENSA_INSB_IiEEEEjNS1_19radix_merge_compareILb1ELb0EbNS0_19identity_decomposerEEEEE10hipError_tT0_T1_T2_jT3_P12ihipStream_tbPNSt15iterator_traitsISK_E10value_typeEPNSQ_ISL_E10value_typeEPSM_NS1_7vsmem_tEENKUlT_SK_SL_SM_E_clISD_PbSF_PiEESJ_SZ_SK_SL_SM_EUlSZ_E1_NS1_11comp_targetILNS1_3genE10ELNS1_11target_archE1201ELNS1_3gpuE5ELNS1_3repE0EEENS1_36merge_oddeven_config_static_selectorELNS0_4arch9wavefront6targetE1EEEvSL_,"axG",@progbits,_ZN7rocprim17ROCPRIM_400000_NS6detail17trampoline_kernelINS0_14default_configENS1_38merge_sort_block_merge_config_selectorIbiEEZZNS1_27merge_sort_block_merge_implIS3_N6thrust23THRUST_200600_302600_NS6detail15normal_iteratorINS8_10device_ptrIbEEEENSA_INSB_IiEEEEjNS1_19radix_merge_compareILb1ELb0EbNS0_19identity_decomposerEEEEE10hipError_tT0_T1_T2_jT3_P12ihipStream_tbPNSt15iterator_traitsISK_E10value_typeEPNSQ_ISL_E10value_typeEPSM_NS1_7vsmem_tEENKUlT_SK_SL_SM_E_clISD_PbSF_PiEESJ_SZ_SK_SL_SM_EUlSZ_E1_NS1_11comp_targetILNS1_3genE10ELNS1_11target_archE1201ELNS1_3gpuE5ELNS1_3repE0EEENS1_36merge_oddeven_config_static_selectorELNS0_4arch9wavefront6targetE1EEEvSL_,comdat
.Lfunc_end2145:
	.size	_ZN7rocprim17ROCPRIM_400000_NS6detail17trampoline_kernelINS0_14default_configENS1_38merge_sort_block_merge_config_selectorIbiEEZZNS1_27merge_sort_block_merge_implIS3_N6thrust23THRUST_200600_302600_NS6detail15normal_iteratorINS8_10device_ptrIbEEEENSA_INSB_IiEEEEjNS1_19radix_merge_compareILb1ELb0EbNS0_19identity_decomposerEEEEE10hipError_tT0_T1_T2_jT3_P12ihipStream_tbPNSt15iterator_traitsISK_E10value_typeEPNSQ_ISL_E10value_typeEPSM_NS1_7vsmem_tEENKUlT_SK_SL_SM_E_clISD_PbSF_PiEESJ_SZ_SK_SL_SM_EUlSZ_E1_NS1_11comp_targetILNS1_3genE10ELNS1_11target_archE1201ELNS1_3gpuE5ELNS1_3repE0EEENS1_36merge_oddeven_config_static_selectorELNS0_4arch9wavefront6targetE1EEEvSL_, .Lfunc_end2145-_ZN7rocprim17ROCPRIM_400000_NS6detail17trampoline_kernelINS0_14default_configENS1_38merge_sort_block_merge_config_selectorIbiEEZZNS1_27merge_sort_block_merge_implIS3_N6thrust23THRUST_200600_302600_NS6detail15normal_iteratorINS8_10device_ptrIbEEEENSA_INSB_IiEEEEjNS1_19radix_merge_compareILb1ELb0EbNS0_19identity_decomposerEEEEE10hipError_tT0_T1_T2_jT3_P12ihipStream_tbPNSt15iterator_traitsISK_E10value_typeEPNSQ_ISL_E10value_typeEPSM_NS1_7vsmem_tEENKUlT_SK_SL_SM_E_clISD_PbSF_PiEESJ_SZ_SK_SL_SM_EUlSZ_E1_NS1_11comp_targetILNS1_3genE10ELNS1_11target_archE1201ELNS1_3gpuE5ELNS1_3repE0EEENS1_36merge_oddeven_config_static_selectorELNS0_4arch9wavefront6targetE1EEEvSL_
                                        ; -- End function
	.set _ZN7rocprim17ROCPRIM_400000_NS6detail17trampoline_kernelINS0_14default_configENS1_38merge_sort_block_merge_config_selectorIbiEEZZNS1_27merge_sort_block_merge_implIS3_N6thrust23THRUST_200600_302600_NS6detail15normal_iteratorINS8_10device_ptrIbEEEENSA_INSB_IiEEEEjNS1_19radix_merge_compareILb1ELb0EbNS0_19identity_decomposerEEEEE10hipError_tT0_T1_T2_jT3_P12ihipStream_tbPNSt15iterator_traitsISK_E10value_typeEPNSQ_ISL_E10value_typeEPSM_NS1_7vsmem_tEENKUlT_SK_SL_SM_E_clISD_PbSF_PiEESJ_SZ_SK_SL_SM_EUlSZ_E1_NS1_11comp_targetILNS1_3genE10ELNS1_11target_archE1201ELNS1_3gpuE5ELNS1_3repE0EEENS1_36merge_oddeven_config_static_selectorELNS0_4arch9wavefront6targetE1EEEvSL_.num_vgpr, 0
	.set _ZN7rocprim17ROCPRIM_400000_NS6detail17trampoline_kernelINS0_14default_configENS1_38merge_sort_block_merge_config_selectorIbiEEZZNS1_27merge_sort_block_merge_implIS3_N6thrust23THRUST_200600_302600_NS6detail15normal_iteratorINS8_10device_ptrIbEEEENSA_INSB_IiEEEEjNS1_19radix_merge_compareILb1ELb0EbNS0_19identity_decomposerEEEEE10hipError_tT0_T1_T2_jT3_P12ihipStream_tbPNSt15iterator_traitsISK_E10value_typeEPNSQ_ISL_E10value_typeEPSM_NS1_7vsmem_tEENKUlT_SK_SL_SM_E_clISD_PbSF_PiEESJ_SZ_SK_SL_SM_EUlSZ_E1_NS1_11comp_targetILNS1_3genE10ELNS1_11target_archE1201ELNS1_3gpuE5ELNS1_3repE0EEENS1_36merge_oddeven_config_static_selectorELNS0_4arch9wavefront6targetE1EEEvSL_.num_agpr, 0
	.set _ZN7rocprim17ROCPRIM_400000_NS6detail17trampoline_kernelINS0_14default_configENS1_38merge_sort_block_merge_config_selectorIbiEEZZNS1_27merge_sort_block_merge_implIS3_N6thrust23THRUST_200600_302600_NS6detail15normal_iteratorINS8_10device_ptrIbEEEENSA_INSB_IiEEEEjNS1_19radix_merge_compareILb1ELb0EbNS0_19identity_decomposerEEEEE10hipError_tT0_T1_T2_jT3_P12ihipStream_tbPNSt15iterator_traitsISK_E10value_typeEPNSQ_ISL_E10value_typeEPSM_NS1_7vsmem_tEENKUlT_SK_SL_SM_E_clISD_PbSF_PiEESJ_SZ_SK_SL_SM_EUlSZ_E1_NS1_11comp_targetILNS1_3genE10ELNS1_11target_archE1201ELNS1_3gpuE5ELNS1_3repE0EEENS1_36merge_oddeven_config_static_selectorELNS0_4arch9wavefront6targetE1EEEvSL_.numbered_sgpr, 0
	.set _ZN7rocprim17ROCPRIM_400000_NS6detail17trampoline_kernelINS0_14default_configENS1_38merge_sort_block_merge_config_selectorIbiEEZZNS1_27merge_sort_block_merge_implIS3_N6thrust23THRUST_200600_302600_NS6detail15normal_iteratorINS8_10device_ptrIbEEEENSA_INSB_IiEEEEjNS1_19radix_merge_compareILb1ELb0EbNS0_19identity_decomposerEEEEE10hipError_tT0_T1_T2_jT3_P12ihipStream_tbPNSt15iterator_traitsISK_E10value_typeEPNSQ_ISL_E10value_typeEPSM_NS1_7vsmem_tEENKUlT_SK_SL_SM_E_clISD_PbSF_PiEESJ_SZ_SK_SL_SM_EUlSZ_E1_NS1_11comp_targetILNS1_3genE10ELNS1_11target_archE1201ELNS1_3gpuE5ELNS1_3repE0EEENS1_36merge_oddeven_config_static_selectorELNS0_4arch9wavefront6targetE1EEEvSL_.num_named_barrier, 0
	.set _ZN7rocprim17ROCPRIM_400000_NS6detail17trampoline_kernelINS0_14default_configENS1_38merge_sort_block_merge_config_selectorIbiEEZZNS1_27merge_sort_block_merge_implIS3_N6thrust23THRUST_200600_302600_NS6detail15normal_iteratorINS8_10device_ptrIbEEEENSA_INSB_IiEEEEjNS1_19radix_merge_compareILb1ELb0EbNS0_19identity_decomposerEEEEE10hipError_tT0_T1_T2_jT3_P12ihipStream_tbPNSt15iterator_traitsISK_E10value_typeEPNSQ_ISL_E10value_typeEPSM_NS1_7vsmem_tEENKUlT_SK_SL_SM_E_clISD_PbSF_PiEESJ_SZ_SK_SL_SM_EUlSZ_E1_NS1_11comp_targetILNS1_3genE10ELNS1_11target_archE1201ELNS1_3gpuE5ELNS1_3repE0EEENS1_36merge_oddeven_config_static_selectorELNS0_4arch9wavefront6targetE1EEEvSL_.private_seg_size, 0
	.set _ZN7rocprim17ROCPRIM_400000_NS6detail17trampoline_kernelINS0_14default_configENS1_38merge_sort_block_merge_config_selectorIbiEEZZNS1_27merge_sort_block_merge_implIS3_N6thrust23THRUST_200600_302600_NS6detail15normal_iteratorINS8_10device_ptrIbEEEENSA_INSB_IiEEEEjNS1_19radix_merge_compareILb1ELb0EbNS0_19identity_decomposerEEEEE10hipError_tT0_T1_T2_jT3_P12ihipStream_tbPNSt15iterator_traitsISK_E10value_typeEPNSQ_ISL_E10value_typeEPSM_NS1_7vsmem_tEENKUlT_SK_SL_SM_E_clISD_PbSF_PiEESJ_SZ_SK_SL_SM_EUlSZ_E1_NS1_11comp_targetILNS1_3genE10ELNS1_11target_archE1201ELNS1_3gpuE5ELNS1_3repE0EEENS1_36merge_oddeven_config_static_selectorELNS0_4arch9wavefront6targetE1EEEvSL_.uses_vcc, 0
	.set _ZN7rocprim17ROCPRIM_400000_NS6detail17trampoline_kernelINS0_14default_configENS1_38merge_sort_block_merge_config_selectorIbiEEZZNS1_27merge_sort_block_merge_implIS3_N6thrust23THRUST_200600_302600_NS6detail15normal_iteratorINS8_10device_ptrIbEEEENSA_INSB_IiEEEEjNS1_19radix_merge_compareILb1ELb0EbNS0_19identity_decomposerEEEEE10hipError_tT0_T1_T2_jT3_P12ihipStream_tbPNSt15iterator_traitsISK_E10value_typeEPNSQ_ISL_E10value_typeEPSM_NS1_7vsmem_tEENKUlT_SK_SL_SM_E_clISD_PbSF_PiEESJ_SZ_SK_SL_SM_EUlSZ_E1_NS1_11comp_targetILNS1_3genE10ELNS1_11target_archE1201ELNS1_3gpuE5ELNS1_3repE0EEENS1_36merge_oddeven_config_static_selectorELNS0_4arch9wavefront6targetE1EEEvSL_.uses_flat_scratch, 0
	.set _ZN7rocprim17ROCPRIM_400000_NS6detail17trampoline_kernelINS0_14default_configENS1_38merge_sort_block_merge_config_selectorIbiEEZZNS1_27merge_sort_block_merge_implIS3_N6thrust23THRUST_200600_302600_NS6detail15normal_iteratorINS8_10device_ptrIbEEEENSA_INSB_IiEEEEjNS1_19radix_merge_compareILb1ELb0EbNS0_19identity_decomposerEEEEE10hipError_tT0_T1_T2_jT3_P12ihipStream_tbPNSt15iterator_traitsISK_E10value_typeEPNSQ_ISL_E10value_typeEPSM_NS1_7vsmem_tEENKUlT_SK_SL_SM_E_clISD_PbSF_PiEESJ_SZ_SK_SL_SM_EUlSZ_E1_NS1_11comp_targetILNS1_3genE10ELNS1_11target_archE1201ELNS1_3gpuE5ELNS1_3repE0EEENS1_36merge_oddeven_config_static_selectorELNS0_4arch9wavefront6targetE1EEEvSL_.has_dyn_sized_stack, 0
	.set _ZN7rocprim17ROCPRIM_400000_NS6detail17trampoline_kernelINS0_14default_configENS1_38merge_sort_block_merge_config_selectorIbiEEZZNS1_27merge_sort_block_merge_implIS3_N6thrust23THRUST_200600_302600_NS6detail15normal_iteratorINS8_10device_ptrIbEEEENSA_INSB_IiEEEEjNS1_19radix_merge_compareILb1ELb0EbNS0_19identity_decomposerEEEEE10hipError_tT0_T1_T2_jT3_P12ihipStream_tbPNSt15iterator_traitsISK_E10value_typeEPNSQ_ISL_E10value_typeEPSM_NS1_7vsmem_tEENKUlT_SK_SL_SM_E_clISD_PbSF_PiEESJ_SZ_SK_SL_SM_EUlSZ_E1_NS1_11comp_targetILNS1_3genE10ELNS1_11target_archE1201ELNS1_3gpuE5ELNS1_3repE0EEENS1_36merge_oddeven_config_static_selectorELNS0_4arch9wavefront6targetE1EEEvSL_.has_recursion, 0
	.set _ZN7rocprim17ROCPRIM_400000_NS6detail17trampoline_kernelINS0_14default_configENS1_38merge_sort_block_merge_config_selectorIbiEEZZNS1_27merge_sort_block_merge_implIS3_N6thrust23THRUST_200600_302600_NS6detail15normal_iteratorINS8_10device_ptrIbEEEENSA_INSB_IiEEEEjNS1_19radix_merge_compareILb1ELb0EbNS0_19identity_decomposerEEEEE10hipError_tT0_T1_T2_jT3_P12ihipStream_tbPNSt15iterator_traitsISK_E10value_typeEPNSQ_ISL_E10value_typeEPSM_NS1_7vsmem_tEENKUlT_SK_SL_SM_E_clISD_PbSF_PiEESJ_SZ_SK_SL_SM_EUlSZ_E1_NS1_11comp_targetILNS1_3genE10ELNS1_11target_archE1201ELNS1_3gpuE5ELNS1_3repE0EEENS1_36merge_oddeven_config_static_selectorELNS0_4arch9wavefront6targetE1EEEvSL_.has_indirect_call, 0
	.section	.AMDGPU.csdata,"",@progbits
; Kernel info:
; codeLenInByte = 0
; TotalNumSgprs: 6
; NumVgprs: 0
; NumAgprs: 0
; TotalNumVgprs: 0
; ScratchSize: 0
; MemoryBound: 0
; FloatMode: 240
; IeeeMode: 1
; LDSByteSize: 0 bytes/workgroup (compile time only)
; SGPRBlocks: 0
; VGPRBlocks: 0
; NumSGPRsForWavesPerEU: 6
; NumVGPRsForWavesPerEU: 1
; AccumOffset: 4
; Occupancy: 8
; WaveLimiterHint : 0
; COMPUTE_PGM_RSRC2:SCRATCH_EN: 0
; COMPUTE_PGM_RSRC2:USER_SGPR: 2
; COMPUTE_PGM_RSRC2:TRAP_HANDLER: 0
; COMPUTE_PGM_RSRC2:TGID_X_EN: 1
; COMPUTE_PGM_RSRC2:TGID_Y_EN: 0
; COMPUTE_PGM_RSRC2:TGID_Z_EN: 0
; COMPUTE_PGM_RSRC2:TIDIG_COMP_CNT: 0
; COMPUTE_PGM_RSRC3_GFX90A:ACCUM_OFFSET: 0
; COMPUTE_PGM_RSRC3_GFX90A:TG_SPLIT: 0
	.section	.text._ZN7rocprim17ROCPRIM_400000_NS6detail17trampoline_kernelINS0_14default_configENS1_38merge_sort_block_merge_config_selectorIbiEEZZNS1_27merge_sort_block_merge_implIS3_N6thrust23THRUST_200600_302600_NS6detail15normal_iteratorINS8_10device_ptrIbEEEENSA_INSB_IiEEEEjNS1_19radix_merge_compareILb1ELb0EbNS0_19identity_decomposerEEEEE10hipError_tT0_T1_T2_jT3_P12ihipStream_tbPNSt15iterator_traitsISK_E10value_typeEPNSQ_ISL_E10value_typeEPSM_NS1_7vsmem_tEENKUlT_SK_SL_SM_E_clISD_PbSF_PiEESJ_SZ_SK_SL_SM_EUlSZ_E1_NS1_11comp_targetILNS1_3genE5ELNS1_11target_archE942ELNS1_3gpuE9ELNS1_3repE0EEENS1_36merge_oddeven_config_static_selectorELNS0_4arch9wavefront6targetE1EEEvSL_,"axG",@progbits,_ZN7rocprim17ROCPRIM_400000_NS6detail17trampoline_kernelINS0_14default_configENS1_38merge_sort_block_merge_config_selectorIbiEEZZNS1_27merge_sort_block_merge_implIS3_N6thrust23THRUST_200600_302600_NS6detail15normal_iteratorINS8_10device_ptrIbEEEENSA_INSB_IiEEEEjNS1_19radix_merge_compareILb1ELb0EbNS0_19identity_decomposerEEEEE10hipError_tT0_T1_T2_jT3_P12ihipStream_tbPNSt15iterator_traitsISK_E10value_typeEPNSQ_ISL_E10value_typeEPSM_NS1_7vsmem_tEENKUlT_SK_SL_SM_E_clISD_PbSF_PiEESJ_SZ_SK_SL_SM_EUlSZ_E1_NS1_11comp_targetILNS1_3genE5ELNS1_11target_archE942ELNS1_3gpuE9ELNS1_3repE0EEENS1_36merge_oddeven_config_static_selectorELNS0_4arch9wavefront6targetE1EEEvSL_,comdat
	.protected	_ZN7rocprim17ROCPRIM_400000_NS6detail17trampoline_kernelINS0_14default_configENS1_38merge_sort_block_merge_config_selectorIbiEEZZNS1_27merge_sort_block_merge_implIS3_N6thrust23THRUST_200600_302600_NS6detail15normal_iteratorINS8_10device_ptrIbEEEENSA_INSB_IiEEEEjNS1_19radix_merge_compareILb1ELb0EbNS0_19identity_decomposerEEEEE10hipError_tT0_T1_T2_jT3_P12ihipStream_tbPNSt15iterator_traitsISK_E10value_typeEPNSQ_ISL_E10value_typeEPSM_NS1_7vsmem_tEENKUlT_SK_SL_SM_E_clISD_PbSF_PiEESJ_SZ_SK_SL_SM_EUlSZ_E1_NS1_11comp_targetILNS1_3genE5ELNS1_11target_archE942ELNS1_3gpuE9ELNS1_3repE0EEENS1_36merge_oddeven_config_static_selectorELNS0_4arch9wavefront6targetE1EEEvSL_ ; -- Begin function _ZN7rocprim17ROCPRIM_400000_NS6detail17trampoline_kernelINS0_14default_configENS1_38merge_sort_block_merge_config_selectorIbiEEZZNS1_27merge_sort_block_merge_implIS3_N6thrust23THRUST_200600_302600_NS6detail15normal_iteratorINS8_10device_ptrIbEEEENSA_INSB_IiEEEEjNS1_19radix_merge_compareILb1ELb0EbNS0_19identity_decomposerEEEEE10hipError_tT0_T1_T2_jT3_P12ihipStream_tbPNSt15iterator_traitsISK_E10value_typeEPNSQ_ISL_E10value_typeEPSM_NS1_7vsmem_tEENKUlT_SK_SL_SM_E_clISD_PbSF_PiEESJ_SZ_SK_SL_SM_EUlSZ_E1_NS1_11comp_targetILNS1_3genE5ELNS1_11target_archE942ELNS1_3gpuE9ELNS1_3repE0EEENS1_36merge_oddeven_config_static_selectorELNS0_4arch9wavefront6targetE1EEEvSL_
	.globl	_ZN7rocprim17ROCPRIM_400000_NS6detail17trampoline_kernelINS0_14default_configENS1_38merge_sort_block_merge_config_selectorIbiEEZZNS1_27merge_sort_block_merge_implIS3_N6thrust23THRUST_200600_302600_NS6detail15normal_iteratorINS8_10device_ptrIbEEEENSA_INSB_IiEEEEjNS1_19radix_merge_compareILb1ELb0EbNS0_19identity_decomposerEEEEE10hipError_tT0_T1_T2_jT3_P12ihipStream_tbPNSt15iterator_traitsISK_E10value_typeEPNSQ_ISL_E10value_typeEPSM_NS1_7vsmem_tEENKUlT_SK_SL_SM_E_clISD_PbSF_PiEESJ_SZ_SK_SL_SM_EUlSZ_E1_NS1_11comp_targetILNS1_3genE5ELNS1_11target_archE942ELNS1_3gpuE9ELNS1_3repE0EEENS1_36merge_oddeven_config_static_selectorELNS0_4arch9wavefront6targetE1EEEvSL_
	.p2align	8
	.type	_ZN7rocprim17ROCPRIM_400000_NS6detail17trampoline_kernelINS0_14default_configENS1_38merge_sort_block_merge_config_selectorIbiEEZZNS1_27merge_sort_block_merge_implIS3_N6thrust23THRUST_200600_302600_NS6detail15normal_iteratorINS8_10device_ptrIbEEEENSA_INSB_IiEEEEjNS1_19radix_merge_compareILb1ELb0EbNS0_19identity_decomposerEEEEE10hipError_tT0_T1_T2_jT3_P12ihipStream_tbPNSt15iterator_traitsISK_E10value_typeEPNSQ_ISL_E10value_typeEPSM_NS1_7vsmem_tEENKUlT_SK_SL_SM_E_clISD_PbSF_PiEESJ_SZ_SK_SL_SM_EUlSZ_E1_NS1_11comp_targetILNS1_3genE5ELNS1_11target_archE942ELNS1_3gpuE9ELNS1_3repE0EEENS1_36merge_oddeven_config_static_selectorELNS0_4arch9wavefront6targetE1EEEvSL_,@function
_ZN7rocprim17ROCPRIM_400000_NS6detail17trampoline_kernelINS0_14default_configENS1_38merge_sort_block_merge_config_selectorIbiEEZZNS1_27merge_sort_block_merge_implIS3_N6thrust23THRUST_200600_302600_NS6detail15normal_iteratorINS8_10device_ptrIbEEEENSA_INSB_IiEEEEjNS1_19radix_merge_compareILb1ELb0EbNS0_19identity_decomposerEEEEE10hipError_tT0_T1_T2_jT3_P12ihipStream_tbPNSt15iterator_traitsISK_E10value_typeEPNSQ_ISL_E10value_typeEPSM_NS1_7vsmem_tEENKUlT_SK_SL_SM_E_clISD_PbSF_PiEESJ_SZ_SK_SL_SM_EUlSZ_E1_NS1_11comp_targetILNS1_3genE5ELNS1_11target_archE942ELNS1_3gpuE9ELNS1_3repE0EEENS1_36merge_oddeven_config_static_selectorELNS0_4arch9wavefront6targetE1EEEvSL_: ; @_ZN7rocprim17ROCPRIM_400000_NS6detail17trampoline_kernelINS0_14default_configENS1_38merge_sort_block_merge_config_selectorIbiEEZZNS1_27merge_sort_block_merge_implIS3_N6thrust23THRUST_200600_302600_NS6detail15normal_iteratorINS8_10device_ptrIbEEEENSA_INSB_IiEEEEjNS1_19radix_merge_compareILb1ELb0EbNS0_19identity_decomposerEEEEE10hipError_tT0_T1_T2_jT3_P12ihipStream_tbPNSt15iterator_traitsISK_E10value_typeEPNSQ_ISL_E10value_typeEPSM_NS1_7vsmem_tEENKUlT_SK_SL_SM_E_clISD_PbSF_PiEESJ_SZ_SK_SL_SM_EUlSZ_E1_NS1_11comp_targetILNS1_3genE5ELNS1_11target_archE942ELNS1_3gpuE9ELNS1_3repE0EEENS1_36merge_oddeven_config_static_selectorELNS0_4arch9wavefront6targetE1EEEvSL_
; %bb.0:
	.section	.rodata,"a",@progbits
	.p2align	6, 0x0
	.amdhsa_kernel _ZN7rocprim17ROCPRIM_400000_NS6detail17trampoline_kernelINS0_14default_configENS1_38merge_sort_block_merge_config_selectorIbiEEZZNS1_27merge_sort_block_merge_implIS3_N6thrust23THRUST_200600_302600_NS6detail15normal_iteratorINS8_10device_ptrIbEEEENSA_INSB_IiEEEEjNS1_19radix_merge_compareILb1ELb0EbNS0_19identity_decomposerEEEEE10hipError_tT0_T1_T2_jT3_P12ihipStream_tbPNSt15iterator_traitsISK_E10value_typeEPNSQ_ISL_E10value_typeEPSM_NS1_7vsmem_tEENKUlT_SK_SL_SM_E_clISD_PbSF_PiEESJ_SZ_SK_SL_SM_EUlSZ_E1_NS1_11comp_targetILNS1_3genE5ELNS1_11target_archE942ELNS1_3gpuE9ELNS1_3repE0EEENS1_36merge_oddeven_config_static_selectorELNS0_4arch9wavefront6targetE1EEEvSL_
		.amdhsa_group_segment_fixed_size 0
		.amdhsa_private_segment_fixed_size 0
		.amdhsa_kernarg_size 48
		.amdhsa_user_sgpr_count 2
		.amdhsa_user_sgpr_dispatch_ptr 0
		.amdhsa_user_sgpr_queue_ptr 0
		.amdhsa_user_sgpr_kernarg_segment_ptr 1
		.amdhsa_user_sgpr_dispatch_id 0
		.amdhsa_user_sgpr_kernarg_preload_length 0
		.amdhsa_user_sgpr_kernarg_preload_offset 0
		.amdhsa_user_sgpr_private_segment_size 0
		.amdhsa_uses_dynamic_stack 0
		.amdhsa_enable_private_segment 0
		.amdhsa_system_sgpr_workgroup_id_x 1
		.amdhsa_system_sgpr_workgroup_id_y 0
		.amdhsa_system_sgpr_workgroup_id_z 0
		.amdhsa_system_sgpr_workgroup_info 0
		.amdhsa_system_vgpr_workitem_id 0
		.amdhsa_next_free_vgpr 1
		.amdhsa_next_free_sgpr 0
		.amdhsa_accum_offset 4
		.amdhsa_reserve_vcc 0
		.amdhsa_float_round_mode_32 0
		.amdhsa_float_round_mode_16_64 0
		.amdhsa_float_denorm_mode_32 3
		.amdhsa_float_denorm_mode_16_64 3
		.amdhsa_dx10_clamp 1
		.amdhsa_ieee_mode 1
		.amdhsa_fp16_overflow 0
		.amdhsa_tg_split 0
		.amdhsa_exception_fp_ieee_invalid_op 0
		.amdhsa_exception_fp_denorm_src 0
		.amdhsa_exception_fp_ieee_div_zero 0
		.amdhsa_exception_fp_ieee_overflow 0
		.amdhsa_exception_fp_ieee_underflow 0
		.amdhsa_exception_fp_ieee_inexact 0
		.amdhsa_exception_int_div_zero 0
	.end_amdhsa_kernel
	.section	.text._ZN7rocprim17ROCPRIM_400000_NS6detail17trampoline_kernelINS0_14default_configENS1_38merge_sort_block_merge_config_selectorIbiEEZZNS1_27merge_sort_block_merge_implIS3_N6thrust23THRUST_200600_302600_NS6detail15normal_iteratorINS8_10device_ptrIbEEEENSA_INSB_IiEEEEjNS1_19radix_merge_compareILb1ELb0EbNS0_19identity_decomposerEEEEE10hipError_tT0_T1_T2_jT3_P12ihipStream_tbPNSt15iterator_traitsISK_E10value_typeEPNSQ_ISL_E10value_typeEPSM_NS1_7vsmem_tEENKUlT_SK_SL_SM_E_clISD_PbSF_PiEESJ_SZ_SK_SL_SM_EUlSZ_E1_NS1_11comp_targetILNS1_3genE5ELNS1_11target_archE942ELNS1_3gpuE9ELNS1_3repE0EEENS1_36merge_oddeven_config_static_selectorELNS0_4arch9wavefront6targetE1EEEvSL_,"axG",@progbits,_ZN7rocprim17ROCPRIM_400000_NS6detail17trampoline_kernelINS0_14default_configENS1_38merge_sort_block_merge_config_selectorIbiEEZZNS1_27merge_sort_block_merge_implIS3_N6thrust23THRUST_200600_302600_NS6detail15normal_iteratorINS8_10device_ptrIbEEEENSA_INSB_IiEEEEjNS1_19radix_merge_compareILb1ELb0EbNS0_19identity_decomposerEEEEE10hipError_tT0_T1_T2_jT3_P12ihipStream_tbPNSt15iterator_traitsISK_E10value_typeEPNSQ_ISL_E10value_typeEPSM_NS1_7vsmem_tEENKUlT_SK_SL_SM_E_clISD_PbSF_PiEESJ_SZ_SK_SL_SM_EUlSZ_E1_NS1_11comp_targetILNS1_3genE5ELNS1_11target_archE942ELNS1_3gpuE9ELNS1_3repE0EEENS1_36merge_oddeven_config_static_selectorELNS0_4arch9wavefront6targetE1EEEvSL_,comdat
.Lfunc_end2146:
	.size	_ZN7rocprim17ROCPRIM_400000_NS6detail17trampoline_kernelINS0_14default_configENS1_38merge_sort_block_merge_config_selectorIbiEEZZNS1_27merge_sort_block_merge_implIS3_N6thrust23THRUST_200600_302600_NS6detail15normal_iteratorINS8_10device_ptrIbEEEENSA_INSB_IiEEEEjNS1_19radix_merge_compareILb1ELb0EbNS0_19identity_decomposerEEEEE10hipError_tT0_T1_T2_jT3_P12ihipStream_tbPNSt15iterator_traitsISK_E10value_typeEPNSQ_ISL_E10value_typeEPSM_NS1_7vsmem_tEENKUlT_SK_SL_SM_E_clISD_PbSF_PiEESJ_SZ_SK_SL_SM_EUlSZ_E1_NS1_11comp_targetILNS1_3genE5ELNS1_11target_archE942ELNS1_3gpuE9ELNS1_3repE0EEENS1_36merge_oddeven_config_static_selectorELNS0_4arch9wavefront6targetE1EEEvSL_, .Lfunc_end2146-_ZN7rocprim17ROCPRIM_400000_NS6detail17trampoline_kernelINS0_14default_configENS1_38merge_sort_block_merge_config_selectorIbiEEZZNS1_27merge_sort_block_merge_implIS3_N6thrust23THRUST_200600_302600_NS6detail15normal_iteratorINS8_10device_ptrIbEEEENSA_INSB_IiEEEEjNS1_19radix_merge_compareILb1ELb0EbNS0_19identity_decomposerEEEEE10hipError_tT0_T1_T2_jT3_P12ihipStream_tbPNSt15iterator_traitsISK_E10value_typeEPNSQ_ISL_E10value_typeEPSM_NS1_7vsmem_tEENKUlT_SK_SL_SM_E_clISD_PbSF_PiEESJ_SZ_SK_SL_SM_EUlSZ_E1_NS1_11comp_targetILNS1_3genE5ELNS1_11target_archE942ELNS1_3gpuE9ELNS1_3repE0EEENS1_36merge_oddeven_config_static_selectorELNS0_4arch9wavefront6targetE1EEEvSL_
                                        ; -- End function
	.set _ZN7rocprim17ROCPRIM_400000_NS6detail17trampoline_kernelINS0_14default_configENS1_38merge_sort_block_merge_config_selectorIbiEEZZNS1_27merge_sort_block_merge_implIS3_N6thrust23THRUST_200600_302600_NS6detail15normal_iteratorINS8_10device_ptrIbEEEENSA_INSB_IiEEEEjNS1_19radix_merge_compareILb1ELb0EbNS0_19identity_decomposerEEEEE10hipError_tT0_T1_T2_jT3_P12ihipStream_tbPNSt15iterator_traitsISK_E10value_typeEPNSQ_ISL_E10value_typeEPSM_NS1_7vsmem_tEENKUlT_SK_SL_SM_E_clISD_PbSF_PiEESJ_SZ_SK_SL_SM_EUlSZ_E1_NS1_11comp_targetILNS1_3genE5ELNS1_11target_archE942ELNS1_3gpuE9ELNS1_3repE0EEENS1_36merge_oddeven_config_static_selectorELNS0_4arch9wavefront6targetE1EEEvSL_.num_vgpr, 0
	.set _ZN7rocprim17ROCPRIM_400000_NS6detail17trampoline_kernelINS0_14default_configENS1_38merge_sort_block_merge_config_selectorIbiEEZZNS1_27merge_sort_block_merge_implIS3_N6thrust23THRUST_200600_302600_NS6detail15normal_iteratorINS8_10device_ptrIbEEEENSA_INSB_IiEEEEjNS1_19radix_merge_compareILb1ELb0EbNS0_19identity_decomposerEEEEE10hipError_tT0_T1_T2_jT3_P12ihipStream_tbPNSt15iterator_traitsISK_E10value_typeEPNSQ_ISL_E10value_typeEPSM_NS1_7vsmem_tEENKUlT_SK_SL_SM_E_clISD_PbSF_PiEESJ_SZ_SK_SL_SM_EUlSZ_E1_NS1_11comp_targetILNS1_3genE5ELNS1_11target_archE942ELNS1_3gpuE9ELNS1_3repE0EEENS1_36merge_oddeven_config_static_selectorELNS0_4arch9wavefront6targetE1EEEvSL_.num_agpr, 0
	.set _ZN7rocprim17ROCPRIM_400000_NS6detail17trampoline_kernelINS0_14default_configENS1_38merge_sort_block_merge_config_selectorIbiEEZZNS1_27merge_sort_block_merge_implIS3_N6thrust23THRUST_200600_302600_NS6detail15normal_iteratorINS8_10device_ptrIbEEEENSA_INSB_IiEEEEjNS1_19radix_merge_compareILb1ELb0EbNS0_19identity_decomposerEEEEE10hipError_tT0_T1_T2_jT3_P12ihipStream_tbPNSt15iterator_traitsISK_E10value_typeEPNSQ_ISL_E10value_typeEPSM_NS1_7vsmem_tEENKUlT_SK_SL_SM_E_clISD_PbSF_PiEESJ_SZ_SK_SL_SM_EUlSZ_E1_NS1_11comp_targetILNS1_3genE5ELNS1_11target_archE942ELNS1_3gpuE9ELNS1_3repE0EEENS1_36merge_oddeven_config_static_selectorELNS0_4arch9wavefront6targetE1EEEvSL_.numbered_sgpr, 0
	.set _ZN7rocprim17ROCPRIM_400000_NS6detail17trampoline_kernelINS0_14default_configENS1_38merge_sort_block_merge_config_selectorIbiEEZZNS1_27merge_sort_block_merge_implIS3_N6thrust23THRUST_200600_302600_NS6detail15normal_iteratorINS8_10device_ptrIbEEEENSA_INSB_IiEEEEjNS1_19radix_merge_compareILb1ELb0EbNS0_19identity_decomposerEEEEE10hipError_tT0_T1_T2_jT3_P12ihipStream_tbPNSt15iterator_traitsISK_E10value_typeEPNSQ_ISL_E10value_typeEPSM_NS1_7vsmem_tEENKUlT_SK_SL_SM_E_clISD_PbSF_PiEESJ_SZ_SK_SL_SM_EUlSZ_E1_NS1_11comp_targetILNS1_3genE5ELNS1_11target_archE942ELNS1_3gpuE9ELNS1_3repE0EEENS1_36merge_oddeven_config_static_selectorELNS0_4arch9wavefront6targetE1EEEvSL_.num_named_barrier, 0
	.set _ZN7rocprim17ROCPRIM_400000_NS6detail17trampoline_kernelINS0_14default_configENS1_38merge_sort_block_merge_config_selectorIbiEEZZNS1_27merge_sort_block_merge_implIS3_N6thrust23THRUST_200600_302600_NS6detail15normal_iteratorINS8_10device_ptrIbEEEENSA_INSB_IiEEEEjNS1_19radix_merge_compareILb1ELb0EbNS0_19identity_decomposerEEEEE10hipError_tT0_T1_T2_jT3_P12ihipStream_tbPNSt15iterator_traitsISK_E10value_typeEPNSQ_ISL_E10value_typeEPSM_NS1_7vsmem_tEENKUlT_SK_SL_SM_E_clISD_PbSF_PiEESJ_SZ_SK_SL_SM_EUlSZ_E1_NS1_11comp_targetILNS1_3genE5ELNS1_11target_archE942ELNS1_3gpuE9ELNS1_3repE0EEENS1_36merge_oddeven_config_static_selectorELNS0_4arch9wavefront6targetE1EEEvSL_.private_seg_size, 0
	.set _ZN7rocprim17ROCPRIM_400000_NS6detail17trampoline_kernelINS0_14default_configENS1_38merge_sort_block_merge_config_selectorIbiEEZZNS1_27merge_sort_block_merge_implIS3_N6thrust23THRUST_200600_302600_NS6detail15normal_iteratorINS8_10device_ptrIbEEEENSA_INSB_IiEEEEjNS1_19radix_merge_compareILb1ELb0EbNS0_19identity_decomposerEEEEE10hipError_tT0_T1_T2_jT3_P12ihipStream_tbPNSt15iterator_traitsISK_E10value_typeEPNSQ_ISL_E10value_typeEPSM_NS1_7vsmem_tEENKUlT_SK_SL_SM_E_clISD_PbSF_PiEESJ_SZ_SK_SL_SM_EUlSZ_E1_NS1_11comp_targetILNS1_3genE5ELNS1_11target_archE942ELNS1_3gpuE9ELNS1_3repE0EEENS1_36merge_oddeven_config_static_selectorELNS0_4arch9wavefront6targetE1EEEvSL_.uses_vcc, 0
	.set _ZN7rocprim17ROCPRIM_400000_NS6detail17trampoline_kernelINS0_14default_configENS1_38merge_sort_block_merge_config_selectorIbiEEZZNS1_27merge_sort_block_merge_implIS3_N6thrust23THRUST_200600_302600_NS6detail15normal_iteratorINS8_10device_ptrIbEEEENSA_INSB_IiEEEEjNS1_19radix_merge_compareILb1ELb0EbNS0_19identity_decomposerEEEEE10hipError_tT0_T1_T2_jT3_P12ihipStream_tbPNSt15iterator_traitsISK_E10value_typeEPNSQ_ISL_E10value_typeEPSM_NS1_7vsmem_tEENKUlT_SK_SL_SM_E_clISD_PbSF_PiEESJ_SZ_SK_SL_SM_EUlSZ_E1_NS1_11comp_targetILNS1_3genE5ELNS1_11target_archE942ELNS1_3gpuE9ELNS1_3repE0EEENS1_36merge_oddeven_config_static_selectorELNS0_4arch9wavefront6targetE1EEEvSL_.uses_flat_scratch, 0
	.set _ZN7rocprim17ROCPRIM_400000_NS6detail17trampoline_kernelINS0_14default_configENS1_38merge_sort_block_merge_config_selectorIbiEEZZNS1_27merge_sort_block_merge_implIS3_N6thrust23THRUST_200600_302600_NS6detail15normal_iteratorINS8_10device_ptrIbEEEENSA_INSB_IiEEEEjNS1_19radix_merge_compareILb1ELb0EbNS0_19identity_decomposerEEEEE10hipError_tT0_T1_T2_jT3_P12ihipStream_tbPNSt15iterator_traitsISK_E10value_typeEPNSQ_ISL_E10value_typeEPSM_NS1_7vsmem_tEENKUlT_SK_SL_SM_E_clISD_PbSF_PiEESJ_SZ_SK_SL_SM_EUlSZ_E1_NS1_11comp_targetILNS1_3genE5ELNS1_11target_archE942ELNS1_3gpuE9ELNS1_3repE0EEENS1_36merge_oddeven_config_static_selectorELNS0_4arch9wavefront6targetE1EEEvSL_.has_dyn_sized_stack, 0
	.set _ZN7rocprim17ROCPRIM_400000_NS6detail17trampoline_kernelINS0_14default_configENS1_38merge_sort_block_merge_config_selectorIbiEEZZNS1_27merge_sort_block_merge_implIS3_N6thrust23THRUST_200600_302600_NS6detail15normal_iteratorINS8_10device_ptrIbEEEENSA_INSB_IiEEEEjNS1_19radix_merge_compareILb1ELb0EbNS0_19identity_decomposerEEEEE10hipError_tT0_T1_T2_jT3_P12ihipStream_tbPNSt15iterator_traitsISK_E10value_typeEPNSQ_ISL_E10value_typeEPSM_NS1_7vsmem_tEENKUlT_SK_SL_SM_E_clISD_PbSF_PiEESJ_SZ_SK_SL_SM_EUlSZ_E1_NS1_11comp_targetILNS1_3genE5ELNS1_11target_archE942ELNS1_3gpuE9ELNS1_3repE0EEENS1_36merge_oddeven_config_static_selectorELNS0_4arch9wavefront6targetE1EEEvSL_.has_recursion, 0
	.set _ZN7rocprim17ROCPRIM_400000_NS6detail17trampoline_kernelINS0_14default_configENS1_38merge_sort_block_merge_config_selectorIbiEEZZNS1_27merge_sort_block_merge_implIS3_N6thrust23THRUST_200600_302600_NS6detail15normal_iteratorINS8_10device_ptrIbEEEENSA_INSB_IiEEEEjNS1_19radix_merge_compareILb1ELb0EbNS0_19identity_decomposerEEEEE10hipError_tT0_T1_T2_jT3_P12ihipStream_tbPNSt15iterator_traitsISK_E10value_typeEPNSQ_ISL_E10value_typeEPSM_NS1_7vsmem_tEENKUlT_SK_SL_SM_E_clISD_PbSF_PiEESJ_SZ_SK_SL_SM_EUlSZ_E1_NS1_11comp_targetILNS1_3genE5ELNS1_11target_archE942ELNS1_3gpuE9ELNS1_3repE0EEENS1_36merge_oddeven_config_static_selectorELNS0_4arch9wavefront6targetE1EEEvSL_.has_indirect_call, 0
	.section	.AMDGPU.csdata,"",@progbits
; Kernel info:
; codeLenInByte = 0
; TotalNumSgprs: 6
; NumVgprs: 0
; NumAgprs: 0
; TotalNumVgprs: 0
; ScratchSize: 0
; MemoryBound: 0
; FloatMode: 240
; IeeeMode: 1
; LDSByteSize: 0 bytes/workgroup (compile time only)
; SGPRBlocks: 0
; VGPRBlocks: 0
; NumSGPRsForWavesPerEU: 6
; NumVGPRsForWavesPerEU: 1
; AccumOffset: 4
; Occupancy: 8
; WaveLimiterHint : 0
; COMPUTE_PGM_RSRC2:SCRATCH_EN: 0
; COMPUTE_PGM_RSRC2:USER_SGPR: 2
; COMPUTE_PGM_RSRC2:TRAP_HANDLER: 0
; COMPUTE_PGM_RSRC2:TGID_X_EN: 1
; COMPUTE_PGM_RSRC2:TGID_Y_EN: 0
; COMPUTE_PGM_RSRC2:TGID_Z_EN: 0
; COMPUTE_PGM_RSRC2:TIDIG_COMP_CNT: 0
; COMPUTE_PGM_RSRC3_GFX90A:ACCUM_OFFSET: 0
; COMPUTE_PGM_RSRC3_GFX90A:TG_SPLIT: 0
	.section	.text._ZN7rocprim17ROCPRIM_400000_NS6detail17trampoline_kernelINS0_14default_configENS1_38merge_sort_block_merge_config_selectorIbiEEZZNS1_27merge_sort_block_merge_implIS3_N6thrust23THRUST_200600_302600_NS6detail15normal_iteratorINS8_10device_ptrIbEEEENSA_INSB_IiEEEEjNS1_19radix_merge_compareILb1ELb0EbNS0_19identity_decomposerEEEEE10hipError_tT0_T1_T2_jT3_P12ihipStream_tbPNSt15iterator_traitsISK_E10value_typeEPNSQ_ISL_E10value_typeEPSM_NS1_7vsmem_tEENKUlT_SK_SL_SM_E_clISD_PbSF_PiEESJ_SZ_SK_SL_SM_EUlSZ_E1_NS1_11comp_targetILNS1_3genE4ELNS1_11target_archE910ELNS1_3gpuE8ELNS1_3repE0EEENS1_36merge_oddeven_config_static_selectorELNS0_4arch9wavefront6targetE1EEEvSL_,"axG",@progbits,_ZN7rocprim17ROCPRIM_400000_NS6detail17trampoline_kernelINS0_14default_configENS1_38merge_sort_block_merge_config_selectorIbiEEZZNS1_27merge_sort_block_merge_implIS3_N6thrust23THRUST_200600_302600_NS6detail15normal_iteratorINS8_10device_ptrIbEEEENSA_INSB_IiEEEEjNS1_19radix_merge_compareILb1ELb0EbNS0_19identity_decomposerEEEEE10hipError_tT0_T1_T2_jT3_P12ihipStream_tbPNSt15iterator_traitsISK_E10value_typeEPNSQ_ISL_E10value_typeEPSM_NS1_7vsmem_tEENKUlT_SK_SL_SM_E_clISD_PbSF_PiEESJ_SZ_SK_SL_SM_EUlSZ_E1_NS1_11comp_targetILNS1_3genE4ELNS1_11target_archE910ELNS1_3gpuE8ELNS1_3repE0EEENS1_36merge_oddeven_config_static_selectorELNS0_4arch9wavefront6targetE1EEEvSL_,comdat
	.protected	_ZN7rocprim17ROCPRIM_400000_NS6detail17trampoline_kernelINS0_14default_configENS1_38merge_sort_block_merge_config_selectorIbiEEZZNS1_27merge_sort_block_merge_implIS3_N6thrust23THRUST_200600_302600_NS6detail15normal_iteratorINS8_10device_ptrIbEEEENSA_INSB_IiEEEEjNS1_19radix_merge_compareILb1ELb0EbNS0_19identity_decomposerEEEEE10hipError_tT0_T1_T2_jT3_P12ihipStream_tbPNSt15iterator_traitsISK_E10value_typeEPNSQ_ISL_E10value_typeEPSM_NS1_7vsmem_tEENKUlT_SK_SL_SM_E_clISD_PbSF_PiEESJ_SZ_SK_SL_SM_EUlSZ_E1_NS1_11comp_targetILNS1_3genE4ELNS1_11target_archE910ELNS1_3gpuE8ELNS1_3repE0EEENS1_36merge_oddeven_config_static_selectorELNS0_4arch9wavefront6targetE1EEEvSL_ ; -- Begin function _ZN7rocprim17ROCPRIM_400000_NS6detail17trampoline_kernelINS0_14default_configENS1_38merge_sort_block_merge_config_selectorIbiEEZZNS1_27merge_sort_block_merge_implIS3_N6thrust23THRUST_200600_302600_NS6detail15normal_iteratorINS8_10device_ptrIbEEEENSA_INSB_IiEEEEjNS1_19radix_merge_compareILb1ELb0EbNS0_19identity_decomposerEEEEE10hipError_tT0_T1_T2_jT3_P12ihipStream_tbPNSt15iterator_traitsISK_E10value_typeEPNSQ_ISL_E10value_typeEPSM_NS1_7vsmem_tEENKUlT_SK_SL_SM_E_clISD_PbSF_PiEESJ_SZ_SK_SL_SM_EUlSZ_E1_NS1_11comp_targetILNS1_3genE4ELNS1_11target_archE910ELNS1_3gpuE8ELNS1_3repE0EEENS1_36merge_oddeven_config_static_selectorELNS0_4arch9wavefront6targetE1EEEvSL_
	.globl	_ZN7rocprim17ROCPRIM_400000_NS6detail17trampoline_kernelINS0_14default_configENS1_38merge_sort_block_merge_config_selectorIbiEEZZNS1_27merge_sort_block_merge_implIS3_N6thrust23THRUST_200600_302600_NS6detail15normal_iteratorINS8_10device_ptrIbEEEENSA_INSB_IiEEEEjNS1_19radix_merge_compareILb1ELb0EbNS0_19identity_decomposerEEEEE10hipError_tT0_T1_T2_jT3_P12ihipStream_tbPNSt15iterator_traitsISK_E10value_typeEPNSQ_ISL_E10value_typeEPSM_NS1_7vsmem_tEENKUlT_SK_SL_SM_E_clISD_PbSF_PiEESJ_SZ_SK_SL_SM_EUlSZ_E1_NS1_11comp_targetILNS1_3genE4ELNS1_11target_archE910ELNS1_3gpuE8ELNS1_3repE0EEENS1_36merge_oddeven_config_static_selectorELNS0_4arch9wavefront6targetE1EEEvSL_
	.p2align	8
	.type	_ZN7rocprim17ROCPRIM_400000_NS6detail17trampoline_kernelINS0_14default_configENS1_38merge_sort_block_merge_config_selectorIbiEEZZNS1_27merge_sort_block_merge_implIS3_N6thrust23THRUST_200600_302600_NS6detail15normal_iteratorINS8_10device_ptrIbEEEENSA_INSB_IiEEEEjNS1_19radix_merge_compareILb1ELb0EbNS0_19identity_decomposerEEEEE10hipError_tT0_T1_T2_jT3_P12ihipStream_tbPNSt15iterator_traitsISK_E10value_typeEPNSQ_ISL_E10value_typeEPSM_NS1_7vsmem_tEENKUlT_SK_SL_SM_E_clISD_PbSF_PiEESJ_SZ_SK_SL_SM_EUlSZ_E1_NS1_11comp_targetILNS1_3genE4ELNS1_11target_archE910ELNS1_3gpuE8ELNS1_3repE0EEENS1_36merge_oddeven_config_static_selectorELNS0_4arch9wavefront6targetE1EEEvSL_,@function
_ZN7rocprim17ROCPRIM_400000_NS6detail17trampoline_kernelINS0_14default_configENS1_38merge_sort_block_merge_config_selectorIbiEEZZNS1_27merge_sort_block_merge_implIS3_N6thrust23THRUST_200600_302600_NS6detail15normal_iteratorINS8_10device_ptrIbEEEENSA_INSB_IiEEEEjNS1_19radix_merge_compareILb1ELb0EbNS0_19identity_decomposerEEEEE10hipError_tT0_T1_T2_jT3_P12ihipStream_tbPNSt15iterator_traitsISK_E10value_typeEPNSQ_ISL_E10value_typeEPSM_NS1_7vsmem_tEENKUlT_SK_SL_SM_E_clISD_PbSF_PiEESJ_SZ_SK_SL_SM_EUlSZ_E1_NS1_11comp_targetILNS1_3genE4ELNS1_11target_archE910ELNS1_3gpuE8ELNS1_3repE0EEENS1_36merge_oddeven_config_static_selectorELNS0_4arch9wavefront6targetE1EEEvSL_: ; @_ZN7rocprim17ROCPRIM_400000_NS6detail17trampoline_kernelINS0_14default_configENS1_38merge_sort_block_merge_config_selectorIbiEEZZNS1_27merge_sort_block_merge_implIS3_N6thrust23THRUST_200600_302600_NS6detail15normal_iteratorINS8_10device_ptrIbEEEENSA_INSB_IiEEEEjNS1_19radix_merge_compareILb1ELb0EbNS0_19identity_decomposerEEEEE10hipError_tT0_T1_T2_jT3_P12ihipStream_tbPNSt15iterator_traitsISK_E10value_typeEPNSQ_ISL_E10value_typeEPSM_NS1_7vsmem_tEENKUlT_SK_SL_SM_E_clISD_PbSF_PiEESJ_SZ_SK_SL_SM_EUlSZ_E1_NS1_11comp_targetILNS1_3genE4ELNS1_11target_archE910ELNS1_3gpuE8ELNS1_3repE0EEENS1_36merge_oddeven_config_static_selectorELNS0_4arch9wavefront6targetE1EEEvSL_
; %bb.0:
	.section	.rodata,"a",@progbits
	.p2align	6, 0x0
	.amdhsa_kernel _ZN7rocprim17ROCPRIM_400000_NS6detail17trampoline_kernelINS0_14default_configENS1_38merge_sort_block_merge_config_selectorIbiEEZZNS1_27merge_sort_block_merge_implIS3_N6thrust23THRUST_200600_302600_NS6detail15normal_iteratorINS8_10device_ptrIbEEEENSA_INSB_IiEEEEjNS1_19radix_merge_compareILb1ELb0EbNS0_19identity_decomposerEEEEE10hipError_tT0_T1_T2_jT3_P12ihipStream_tbPNSt15iterator_traitsISK_E10value_typeEPNSQ_ISL_E10value_typeEPSM_NS1_7vsmem_tEENKUlT_SK_SL_SM_E_clISD_PbSF_PiEESJ_SZ_SK_SL_SM_EUlSZ_E1_NS1_11comp_targetILNS1_3genE4ELNS1_11target_archE910ELNS1_3gpuE8ELNS1_3repE0EEENS1_36merge_oddeven_config_static_selectorELNS0_4arch9wavefront6targetE1EEEvSL_
		.amdhsa_group_segment_fixed_size 0
		.amdhsa_private_segment_fixed_size 0
		.amdhsa_kernarg_size 48
		.amdhsa_user_sgpr_count 2
		.amdhsa_user_sgpr_dispatch_ptr 0
		.amdhsa_user_sgpr_queue_ptr 0
		.amdhsa_user_sgpr_kernarg_segment_ptr 1
		.amdhsa_user_sgpr_dispatch_id 0
		.amdhsa_user_sgpr_kernarg_preload_length 0
		.amdhsa_user_sgpr_kernarg_preload_offset 0
		.amdhsa_user_sgpr_private_segment_size 0
		.amdhsa_uses_dynamic_stack 0
		.amdhsa_enable_private_segment 0
		.amdhsa_system_sgpr_workgroup_id_x 1
		.amdhsa_system_sgpr_workgroup_id_y 0
		.amdhsa_system_sgpr_workgroup_id_z 0
		.amdhsa_system_sgpr_workgroup_info 0
		.amdhsa_system_vgpr_workitem_id 0
		.amdhsa_next_free_vgpr 1
		.amdhsa_next_free_sgpr 0
		.amdhsa_accum_offset 4
		.amdhsa_reserve_vcc 0
		.amdhsa_float_round_mode_32 0
		.amdhsa_float_round_mode_16_64 0
		.amdhsa_float_denorm_mode_32 3
		.amdhsa_float_denorm_mode_16_64 3
		.amdhsa_dx10_clamp 1
		.amdhsa_ieee_mode 1
		.amdhsa_fp16_overflow 0
		.amdhsa_tg_split 0
		.amdhsa_exception_fp_ieee_invalid_op 0
		.amdhsa_exception_fp_denorm_src 0
		.amdhsa_exception_fp_ieee_div_zero 0
		.amdhsa_exception_fp_ieee_overflow 0
		.amdhsa_exception_fp_ieee_underflow 0
		.amdhsa_exception_fp_ieee_inexact 0
		.amdhsa_exception_int_div_zero 0
	.end_amdhsa_kernel
	.section	.text._ZN7rocprim17ROCPRIM_400000_NS6detail17trampoline_kernelINS0_14default_configENS1_38merge_sort_block_merge_config_selectorIbiEEZZNS1_27merge_sort_block_merge_implIS3_N6thrust23THRUST_200600_302600_NS6detail15normal_iteratorINS8_10device_ptrIbEEEENSA_INSB_IiEEEEjNS1_19radix_merge_compareILb1ELb0EbNS0_19identity_decomposerEEEEE10hipError_tT0_T1_T2_jT3_P12ihipStream_tbPNSt15iterator_traitsISK_E10value_typeEPNSQ_ISL_E10value_typeEPSM_NS1_7vsmem_tEENKUlT_SK_SL_SM_E_clISD_PbSF_PiEESJ_SZ_SK_SL_SM_EUlSZ_E1_NS1_11comp_targetILNS1_3genE4ELNS1_11target_archE910ELNS1_3gpuE8ELNS1_3repE0EEENS1_36merge_oddeven_config_static_selectorELNS0_4arch9wavefront6targetE1EEEvSL_,"axG",@progbits,_ZN7rocprim17ROCPRIM_400000_NS6detail17trampoline_kernelINS0_14default_configENS1_38merge_sort_block_merge_config_selectorIbiEEZZNS1_27merge_sort_block_merge_implIS3_N6thrust23THRUST_200600_302600_NS6detail15normal_iteratorINS8_10device_ptrIbEEEENSA_INSB_IiEEEEjNS1_19radix_merge_compareILb1ELb0EbNS0_19identity_decomposerEEEEE10hipError_tT0_T1_T2_jT3_P12ihipStream_tbPNSt15iterator_traitsISK_E10value_typeEPNSQ_ISL_E10value_typeEPSM_NS1_7vsmem_tEENKUlT_SK_SL_SM_E_clISD_PbSF_PiEESJ_SZ_SK_SL_SM_EUlSZ_E1_NS1_11comp_targetILNS1_3genE4ELNS1_11target_archE910ELNS1_3gpuE8ELNS1_3repE0EEENS1_36merge_oddeven_config_static_selectorELNS0_4arch9wavefront6targetE1EEEvSL_,comdat
.Lfunc_end2147:
	.size	_ZN7rocprim17ROCPRIM_400000_NS6detail17trampoline_kernelINS0_14default_configENS1_38merge_sort_block_merge_config_selectorIbiEEZZNS1_27merge_sort_block_merge_implIS3_N6thrust23THRUST_200600_302600_NS6detail15normal_iteratorINS8_10device_ptrIbEEEENSA_INSB_IiEEEEjNS1_19radix_merge_compareILb1ELb0EbNS0_19identity_decomposerEEEEE10hipError_tT0_T1_T2_jT3_P12ihipStream_tbPNSt15iterator_traitsISK_E10value_typeEPNSQ_ISL_E10value_typeEPSM_NS1_7vsmem_tEENKUlT_SK_SL_SM_E_clISD_PbSF_PiEESJ_SZ_SK_SL_SM_EUlSZ_E1_NS1_11comp_targetILNS1_3genE4ELNS1_11target_archE910ELNS1_3gpuE8ELNS1_3repE0EEENS1_36merge_oddeven_config_static_selectorELNS0_4arch9wavefront6targetE1EEEvSL_, .Lfunc_end2147-_ZN7rocprim17ROCPRIM_400000_NS6detail17trampoline_kernelINS0_14default_configENS1_38merge_sort_block_merge_config_selectorIbiEEZZNS1_27merge_sort_block_merge_implIS3_N6thrust23THRUST_200600_302600_NS6detail15normal_iteratorINS8_10device_ptrIbEEEENSA_INSB_IiEEEEjNS1_19radix_merge_compareILb1ELb0EbNS0_19identity_decomposerEEEEE10hipError_tT0_T1_T2_jT3_P12ihipStream_tbPNSt15iterator_traitsISK_E10value_typeEPNSQ_ISL_E10value_typeEPSM_NS1_7vsmem_tEENKUlT_SK_SL_SM_E_clISD_PbSF_PiEESJ_SZ_SK_SL_SM_EUlSZ_E1_NS1_11comp_targetILNS1_3genE4ELNS1_11target_archE910ELNS1_3gpuE8ELNS1_3repE0EEENS1_36merge_oddeven_config_static_selectorELNS0_4arch9wavefront6targetE1EEEvSL_
                                        ; -- End function
	.set _ZN7rocprim17ROCPRIM_400000_NS6detail17trampoline_kernelINS0_14default_configENS1_38merge_sort_block_merge_config_selectorIbiEEZZNS1_27merge_sort_block_merge_implIS3_N6thrust23THRUST_200600_302600_NS6detail15normal_iteratorINS8_10device_ptrIbEEEENSA_INSB_IiEEEEjNS1_19radix_merge_compareILb1ELb0EbNS0_19identity_decomposerEEEEE10hipError_tT0_T1_T2_jT3_P12ihipStream_tbPNSt15iterator_traitsISK_E10value_typeEPNSQ_ISL_E10value_typeEPSM_NS1_7vsmem_tEENKUlT_SK_SL_SM_E_clISD_PbSF_PiEESJ_SZ_SK_SL_SM_EUlSZ_E1_NS1_11comp_targetILNS1_3genE4ELNS1_11target_archE910ELNS1_3gpuE8ELNS1_3repE0EEENS1_36merge_oddeven_config_static_selectorELNS0_4arch9wavefront6targetE1EEEvSL_.num_vgpr, 0
	.set _ZN7rocprim17ROCPRIM_400000_NS6detail17trampoline_kernelINS0_14default_configENS1_38merge_sort_block_merge_config_selectorIbiEEZZNS1_27merge_sort_block_merge_implIS3_N6thrust23THRUST_200600_302600_NS6detail15normal_iteratorINS8_10device_ptrIbEEEENSA_INSB_IiEEEEjNS1_19radix_merge_compareILb1ELb0EbNS0_19identity_decomposerEEEEE10hipError_tT0_T1_T2_jT3_P12ihipStream_tbPNSt15iterator_traitsISK_E10value_typeEPNSQ_ISL_E10value_typeEPSM_NS1_7vsmem_tEENKUlT_SK_SL_SM_E_clISD_PbSF_PiEESJ_SZ_SK_SL_SM_EUlSZ_E1_NS1_11comp_targetILNS1_3genE4ELNS1_11target_archE910ELNS1_3gpuE8ELNS1_3repE0EEENS1_36merge_oddeven_config_static_selectorELNS0_4arch9wavefront6targetE1EEEvSL_.num_agpr, 0
	.set _ZN7rocprim17ROCPRIM_400000_NS6detail17trampoline_kernelINS0_14default_configENS1_38merge_sort_block_merge_config_selectorIbiEEZZNS1_27merge_sort_block_merge_implIS3_N6thrust23THRUST_200600_302600_NS6detail15normal_iteratorINS8_10device_ptrIbEEEENSA_INSB_IiEEEEjNS1_19radix_merge_compareILb1ELb0EbNS0_19identity_decomposerEEEEE10hipError_tT0_T1_T2_jT3_P12ihipStream_tbPNSt15iterator_traitsISK_E10value_typeEPNSQ_ISL_E10value_typeEPSM_NS1_7vsmem_tEENKUlT_SK_SL_SM_E_clISD_PbSF_PiEESJ_SZ_SK_SL_SM_EUlSZ_E1_NS1_11comp_targetILNS1_3genE4ELNS1_11target_archE910ELNS1_3gpuE8ELNS1_3repE0EEENS1_36merge_oddeven_config_static_selectorELNS0_4arch9wavefront6targetE1EEEvSL_.numbered_sgpr, 0
	.set _ZN7rocprim17ROCPRIM_400000_NS6detail17trampoline_kernelINS0_14default_configENS1_38merge_sort_block_merge_config_selectorIbiEEZZNS1_27merge_sort_block_merge_implIS3_N6thrust23THRUST_200600_302600_NS6detail15normal_iteratorINS8_10device_ptrIbEEEENSA_INSB_IiEEEEjNS1_19radix_merge_compareILb1ELb0EbNS0_19identity_decomposerEEEEE10hipError_tT0_T1_T2_jT3_P12ihipStream_tbPNSt15iterator_traitsISK_E10value_typeEPNSQ_ISL_E10value_typeEPSM_NS1_7vsmem_tEENKUlT_SK_SL_SM_E_clISD_PbSF_PiEESJ_SZ_SK_SL_SM_EUlSZ_E1_NS1_11comp_targetILNS1_3genE4ELNS1_11target_archE910ELNS1_3gpuE8ELNS1_3repE0EEENS1_36merge_oddeven_config_static_selectorELNS0_4arch9wavefront6targetE1EEEvSL_.num_named_barrier, 0
	.set _ZN7rocprim17ROCPRIM_400000_NS6detail17trampoline_kernelINS0_14default_configENS1_38merge_sort_block_merge_config_selectorIbiEEZZNS1_27merge_sort_block_merge_implIS3_N6thrust23THRUST_200600_302600_NS6detail15normal_iteratorINS8_10device_ptrIbEEEENSA_INSB_IiEEEEjNS1_19radix_merge_compareILb1ELb0EbNS0_19identity_decomposerEEEEE10hipError_tT0_T1_T2_jT3_P12ihipStream_tbPNSt15iterator_traitsISK_E10value_typeEPNSQ_ISL_E10value_typeEPSM_NS1_7vsmem_tEENKUlT_SK_SL_SM_E_clISD_PbSF_PiEESJ_SZ_SK_SL_SM_EUlSZ_E1_NS1_11comp_targetILNS1_3genE4ELNS1_11target_archE910ELNS1_3gpuE8ELNS1_3repE0EEENS1_36merge_oddeven_config_static_selectorELNS0_4arch9wavefront6targetE1EEEvSL_.private_seg_size, 0
	.set _ZN7rocprim17ROCPRIM_400000_NS6detail17trampoline_kernelINS0_14default_configENS1_38merge_sort_block_merge_config_selectorIbiEEZZNS1_27merge_sort_block_merge_implIS3_N6thrust23THRUST_200600_302600_NS6detail15normal_iteratorINS8_10device_ptrIbEEEENSA_INSB_IiEEEEjNS1_19radix_merge_compareILb1ELb0EbNS0_19identity_decomposerEEEEE10hipError_tT0_T1_T2_jT3_P12ihipStream_tbPNSt15iterator_traitsISK_E10value_typeEPNSQ_ISL_E10value_typeEPSM_NS1_7vsmem_tEENKUlT_SK_SL_SM_E_clISD_PbSF_PiEESJ_SZ_SK_SL_SM_EUlSZ_E1_NS1_11comp_targetILNS1_3genE4ELNS1_11target_archE910ELNS1_3gpuE8ELNS1_3repE0EEENS1_36merge_oddeven_config_static_selectorELNS0_4arch9wavefront6targetE1EEEvSL_.uses_vcc, 0
	.set _ZN7rocprim17ROCPRIM_400000_NS6detail17trampoline_kernelINS0_14default_configENS1_38merge_sort_block_merge_config_selectorIbiEEZZNS1_27merge_sort_block_merge_implIS3_N6thrust23THRUST_200600_302600_NS6detail15normal_iteratorINS8_10device_ptrIbEEEENSA_INSB_IiEEEEjNS1_19radix_merge_compareILb1ELb0EbNS0_19identity_decomposerEEEEE10hipError_tT0_T1_T2_jT3_P12ihipStream_tbPNSt15iterator_traitsISK_E10value_typeEPNSQ_ISL_E10value_typeEPSM_NS1_7vsmem_tEENKUlT_SK_SL_SM_E_clISD_PbSF_PiEESJ_SZ_SK_SL_SM_EUlSZ_E1_NS1_11comp_targetILNS1_3genE4ELNS1_11target_archE910ELNS1_3gpuE8ELNS1_3repE0EEENS1_36merge_oddeven_config_static_selectorELNS0_4arch9wavefront6targetE1EEEvSL_.uses_flat_scratch, 0
	.set _ZN7rocprim17ROCPRIM_400000_NS6detail17trampoline_kernelINS0_14default_configENS1_38merge_sort_block_merge_config_selectorIbiEEZZNS1_27merge_sort_block_merge_implIS3_N6thrust23THRUST_200600_302600_NS6detail15normal_iteratorINS8_10device_ptrIbEEEENSA_INSB_IiEEEEjNS1_19radix_merge_compareILb1ELb0EbNS0_19identity_decomposerEEEEE10hipError_tT0_T1_T2_jT3_P12ihipStream_tbPNSt15iterator_traitsISK_E10value_typeEPNSQ_ISL_E10value_typeEPSM_NS1_7vsmem_tEENKUlT_SK_SL_SM_E_clISD_PbSF_PiEESJ_SZ_SK_SL_SM_EUlSZ_E1_NS1_11comp_targetILNS1_3genE4ELNS1_11target_archE910ELNS1_3gpuE8ELNS1_3repE0EEENS1_36merge_oddeven_config_static_selectorELNS0_4arch9wavefront6targetE1EEEvSL_.has_dyn_sized_stack, 0
	.set _ZN7rocprim17ROCPRIM_400000_NS6detail17trampoline_kernelINS0_14default_configENS1_38merge_sort_block_merge_config_selectorIbiEEZZNS1_27merge_sort_block_merge_implIS3_N6thrust23THRUST_200600_302600_NS6detail15normal_iteratorINS8_10device_ptrIbEEEENSA_INSB_IiEEEEjNS1_19radix_merge_compareILb1ELb0EbNS0_19identity_decomposerEEEEE10hipError_tT0_T1_T2_jT3_P12ihipStream_tbPNSt15iterator_traitsISK_E10value_typeEPNSQ_ISL_E10value_typeEPSM_NS1_7vsmem_tEENKUlT_SK_SL_SM_E_clISD_PbSF_PiEESJ_SZ_SK_SL_SM_EUlSZ_E1_NS1_11comp_targetILNS1_3genE4ELNS1_11target_archE910ELNS1_3gpuE8ELNS1_3repE0EEENS1_36merge_oddeven_config_static_selectorELNS0_4arch9wavefront6targetE1EEEvSL_.has_recursion, 0
	.set _ZN7rocprim17ROCPRIM_400000_NS6detail17trampoline_kernelINS0_14default_configENS1_38merge_sort_block_merge_config_selectorIbiEEZZNS1_27merge_sort_block_merge_implIS3_N6thrust23THRUST_200600_302600_NS6detail15normal_iteratorINS8_10device_ptrIbEEEENSA_INSB_IiEEEEjNS1_19radix_merge_compareILb1ELb0EbNS0_19identity_decomposerEEEEE10hipError_tT0_T1_T2_jT3_P12ihipStream_tbPNSt15iterator_traitsISK_E10value_typeEPNSQ_ISL_E10value_typeEPSM_NS1_7vsmem_tEENKUlT_SK_SL_SM_E_clISD_PbSF_PiEESJ_SZ_SK_SL_SM_EUlSZ_E1_NS1_11comp_targetILNS1_3genE4ELNS1_11target_archE910ELNS1_3gpuE8ELNS1_3repE0EEENS1_36merge_oddeven_config_static_selectorELNS0_4arch9wavefront6targetE1EEEvSL_.has_indirect_call, 0
	.section	.AMDGPU.csdata,"",@progbits
; Kernel info:
; codeLenInByte = 0
; TotalNumSgprs: 6
; NumVgprs: 0
; NumAgprs: 0
; TotalNumVgprs: 0
; ScratchSize: 0
; MemoryBound: 0
; FloatMode: 240
; IeeeMode: 1
; LDSByteSize: 0 bytes/workgroup (compile time only)
; SGPRBlocks: 0
; VGPRBlocks: 0
; NumSGPRsForWavesPerEU: 6
; NumVGPRsForWavesPerEU: 1
; AccumOffset: 4
; Occupancy: 8
; WaveLimiterHint : 0
; COMPUTE_PGM_RSRC2:SCRATCH_EN: 0
; COMPUTE_PGM_RSRC2:USER_SGPR: 2
; COMPUTE_PGM_RSRC2:TRAP_HANDLER: 0
; COMPUTE_PGM_RSRC2:TGID_X_EN: 1
; COMPUTE_PGM_RSRC2:TGID_Y_EN: 0
; COMPUTE_PGM_RSRC2:TGID_Z_EN: 0
; COMPUTE_PGM_RSRC2:TIDIG_COMP_CNT: 0
; COMPUTE_PGM_RSRC3_GFX90A:ACCUM_OFFSET: 0
; COMPUTE_PGM_RSRC3_GFX90A:TG_SPLIT: 0
	.section	.text._ZN7rocprim17ROCPRIM_400000_NS6detail17trampoline_kernelINS0_14default_configENS1_38merge_sort_block_merge_config_selectorIbiEEZZNS1_27merge_sort_block_merge_implIS3_N6thrust23THRUST_200600_302600_NS6detail15normal_iteratorINS8_10device_ptrIbEEEENSA_INSB_IiEEEEjNS1_19radix_merge_compareILb1ELb0EbNS0_19identity_decomposerEEEEE10hipError_tT0_T1_T2_jT3_P12ihipStream_tbPNSt15iterator_traitsISK_E10value_typeEPNSQ_ISL_E10value_typeEPSM_NS1_7vsmem_tEENKUlT_SK_SL_SM_E_clISD_PbSF_PiEESJ_SZ_SK_SL_SM_EUlSZ_E1_NS1_11comp_targetILNS1_3genE3ELNS1_11target_archE908ELNS1_3gpuE7ELNS1_3repE0EEENS1_36merge_oddeven_config_static_selectorELNS0_4arch9wavefront6targetE1EEEvSL_,"axG",@progbits,_ZN7rocprim17ROCPRIM_400000_NS6detail17trampoline_kernelINS0_14default_configENS1_38merge_sort_block_merge_config_selectorIbiEEZZNS1_27merge_sort_block_merge_implIS3_N6thrust23THRUST_200600_302600_NS6detail15normal_iteratorINS8_10device_ptrIbEEEENSA_INSB_IiEEEEjNS1_19radix_merge_compareILb1ELb0EbNS0_19identity_decomposerEEEEE10hipError_tT0_T1_T2_jT3_P12ihipStream_tbPNSt15iterator_traitsISK_E10value_typeEPNSQ_ISL_E10value_typeEPSM_NS1_7vsmem_tEENKUlT_SK_SL_SM_E_clISD_PbSF_PiEESJ_SZ_SK_SL_SM_EUlSZ_E1_NS1_11comp_targetILNS1_3genE3ELNS1_11target_archE908ELNS1_3gpuE7ELNS1_3repE0EEENS1_36merge_oddeven_config_static_selectorELNS0_4arch9wavefront6targetE1EEEvSL_,comdat
	.protected	_ZN7rocprim17ROCPRIM_400000_NS6detail17trampoline_kernelINS0_14default_configENS1_38merge_sort_block_merge_config_selectorIbiEEZZNS1_27merge_sort_block_merge_implIS3_N6thrust23THRUST_200600_302600_NS6detail15normal_iteratorINS8_10device_ptrIbEEEENSA_INSB_IiEEEEjNS1_19radix_merge_compareILb1ELb0EbNS0_19identity_decomposerEEEEE10hipError_tT0_T1_T2_jT3_P12ihipStream_tbPNSt15iterator_traitsISK_E10value_typeEPNSQ_ISL_E10value_typeEPSM_NS1_7vsmem_tEENKUlT_SK_SL_SM_E_clISD_PbSF_PiEESJ_SZ_SK_SL_SM_EUlSZ_E1_NS1_11comp_targetILNS1_3genE3ELNS1_11target_archE908ELNS1_3gpuE7ELNS1_3repE0EEENS1_36merge_oddeven_config_static_selectorELNS0_4arch9wavefront6targetE1EEEvSL_ ; -- Begin function _ZN7rocprim17ROCPRIM_400000_NS6detail17trampoline_kernelINS0_14default_configENS1_38merge_sort_block_merge_config_selectorIbiEEZZNS1_27merge_sort_block_merge_implIS3_N6thrust23THRUST_200600_302600_NS6detail15normal_iteratorINS8_10device_ptrIbEEEENSA_INSB_IiEEEEjNS1_19radix_merge_compareILb1ELb0EbNS0_19identity_decomposerEEEEE10hipError_tT0_T1_T2_jT3_P12ihipStream_tbPNSt15iterator_traitsISK_E10value_typeEPNSQ_ISL_E10value_typeEPSM_NS1_7vsmem_tEENKUlT_SK_SL_SM_E_clISD_PbSF_PiEESJ_SZ_SK_SL_SM_EUlSZ_E1_NS1_11comp_targetILNS1_3genE3ELNS1_11target_archE908ELNS1_3gpuE7ELNS1_3repE0EEENS1_36merge_oddeven_config_static_selectorELNS0_4arch9wavefront6targetE1EEEvSL_
	.globl	_ZN7rocprim17ROCPRIM_400000_NS6detail17trampoline_kernelINS0_14default_configENS1_38merge_sort_block_merge_config_selectorIbiEEZZNS1_27merge_sort_block_merge_implIS3_N6thrust23THRUST_200600_302600_NS6detail15normal_iteratorINS8_10device_ptrIbEEEENSA_INSB_IiEEEEjNS1_19radix_merge_compareILb1ELb0EbNS0_19identity_decomposerEEEEE10hipError_tT0_T1_T2_jT3_P12ihipStream_tbPNSt15iterator_traitsISK_E10value_typeEPNSQ_ISL_E10value_typeEPSM_NS1_7vsmem_tEENKUlT_SK_SL_SM_E_clISD_PbSF_PiEESJ_SZ_SK_SL_SM_EUlSZ_E1_NS1_11comp_targetILNS1_3genE3ELNS1_11target_archE908ELNS1_3gpuE7ELNS1_3repE0EEENS1_36merge_oddeven_config_static_selectorELNS0_4arch9wavefront6targetE1EEEvSL_
	.p2align	8
	.type	_ZN7rocprim17ROCPRIM_400000_NS6detail17trampoline_kernelINS0_14default_configENS1_38merge_sort_block_merge_config_selectorIbiEEZZNS1_27merge_sort_block_merge_implIS3_N6thrust23THRUST_200600_302600_NS6detail15normal_iteratorINS8_10device_ptrIbEEEENSA_INSB_IiEEEEjNS1_19radix_merge_compareILb1ELb0EbNS0_19identity_decomposerEEEEE10hipError_tT0_T1_T2_jT3_P12ihipStream_tbPNSt15iterator_traitsISK_E10value_typeEPNSQ_ISL_E10value_typeEPSM_NS1_7vsmem_tEENKUlT_SK_SL_SM_E_clISD_PbSF_PiEESJ_SZ_SK_SL_SM_EUlSZ_E1_NS1_11comp_targetILNS1_3genE3ELNS1_11target_archE908ELNS1_3gpuE7ELNS1_3repE0EEENS1_36merge_oddeven_config_static_selectorELNS0_4arch9wavefront6targetE1EEEvSL_,@function
_ZN7rocprim17ROCPRIM_400000_NS6detail17trampoline_kernelINS0_14default_configENS1_38merge_sort_block_merge_config_selectorIbiEEZZNS1_27merge_sort_block_merge_implIS3_N6thrust23THRUST_200600_302600_NS6detail15normal_iteratorINS8_10device_ptrIbEEEENSA_INSB_IiEEEEjNS1_19radix_merge_compareILb1ELb0EbNS0_19identity_decomposerEEEEE10hipError_tT0_T1_T2_jT3_P12ihipStream_tbPNSt15iterator_traitsISK_E10value_typeEPNSQ_ISL_E10value_typeEPSM_NS1_7vsmem_tEENKUlT_SK_SL_SM_E_clISD_PbSF_PiEESJ_SZ_SK_SL_SM_EUlSZ_E1_NS1_11comp_targetILNS1_3genE3ELNS1_11target_archE908ELNS1_3gpuE7ELNS1_3repE0EEENS1_36merge_oddeven_config_static_selectorELNS0_4arch9wavefront6targetE1EEEvSL_: ; @_ZN7rocprim17ROCPRIM_400000_NS6detail17trampoline_kernelINS0_14default_configENS1_38merge_sort_block_merge_config_selectorIbiEEZZNS1_27merge_sort_block_merge_implIS3_N6thrust23THRUST_200600_302600_NS6detail15normal_iteratorINS8_10device_ptrIbEEEENSA_INSB_IiEEEEjNS1_19radix_merge_compareILb1ELb0EbNS0_19identity_decomposerEEEEE10hipError_tT0_T1_T2_jT3_P12ihipStream_tbPNSt15iterator_traitsISK_E10value_typeEPNSQ_ISL_E10value_typeEPSM_NS1_7vsmem_tEENKUlT_SK_SL_SM_E_clISD_PbSF_PiEESJ_SZ_SK_SL_SM_EUlSZ_E1_NS1_11comp_targetILNS1_3genE3ELNS1_11target_archE908ELNS1_3gpuE7ELNS1_3repE0EEENS1_36merge_oddeven_config_static_selectorELNS0_4arch9wavefront6targetE1EEEvSL_
; %bb.0:
	.section	.rodata,"a",@progbits
	.p2align	6, 0x0
	.amdhsa_kernel _ZN7rocprim17ROCPRIM_400000_NS6detail17trampoline_kernelINS0_14default_configENS1_38merge_sort_block_merge_config_selectorIbiEEZZNS1_27merge_sort_block_merge_implIS3_N6thrust23THRUST_200600_302600_NS6detail15normal_iteratorINS8_10device_ptrIbEEEENSA_INSB_IiEEEEjNS1_19radix_merge_compareILb1ELb0EbNS0_19identity_decomposerEEEEE10hipError_tT0_T1_T2_jT3_P12ihipStream_tbPNSt15iterator_traitsISK_E10value_typeEPNSQ_ISL_E10value_typeEPSM_NS1_7vsmem_tEENKUlT_SK_SL_SM_E_clISD_PbSF_PiEESJ_SZ_SK_SL_SM_EUlSZ_E1_NS1_11comp_targetILNS1_3genE3ELNS1_11target_archE908ELNS1_3gpuE7ELNS1_3repE0EEENS1_36merge_oddeven_config_static_selectorELNS0_4arch9wavefront6targetE1EEEvSL_
		.amdhsa_group_segment_fixed_size 0
		.amdhsa_private_segment_fixed_size 0
		.amdhsa_kernarg_size 48
		.amdhsa_user_sgpr_count 2
		.amdhsa_user_sgpr_dispatch_ptr 0
		.amdhsa_user_sgpr_queue_ptr 0
		.amdhsa_user_sgpr_kernarg_segment_ptr 1
		.amdhsa_user_sgpr_dispatch_id 0
		.amdhsa_user_sgpr_kernarg_preload_length 0
		.amdhsa_user_sgpr_kernarg_preload_offset 0
		.amdhsa_user_sgpr_private_segment_size 0
		.amdhsa_uses_dynamic_stack 0
		.amdhsa_enable_private_segment 0
		.amdhsa_system_sgpr_workgroup_id_x 1
		.amdhsa_system_sgpr_workgroup_id_y 0
		.amdhsa_system_sgpr_workgroup_id_z 0
		.amdhsa_system_sgpr_workgroup_info 0
		.amdhsa_system_vgpr_workitem_id 0
		.amdhsa_next_free_vgpr 1
		.amdhsa_next_free_sgpr 0
		.amdhsa_accum_offset 4
		.amdhsa_reserve_vcc 0
		.amdhsa_float_round_mode_32 0
		.amdhsa_float_round_mode_16_64 0
		.amdhsa_float_denorm_mode_32 3
		.amdhsa_float_denorm_mode_16_64 3
		.amdhsa_dx10_clamp 1
		.amdhsa_ieee_mode 1
		.amdhsa_fp16_overflow 0
		.amdhsa_tg_split 0
		.amdhsa_exception_fp_ieee_invalid_op 0
		.amdhsa_exception_fp_denorm_src 0
		.amdhsa_exception_fp_ieee_div_zero 0
		.amdhsa_exception_fp_ieee_overflow 0
		.amdhsa_exception_fp_ieee_underflow 0
		.amdhsa_exception_fp_ieee_inexact 0
		.amdhsa_exception_int_div_zero 0
	.end_amdhsa_kernel
	.section	.text._ZN7rocprim17ROCPRIM_400000_NS6detail17trampoline_kernelINS0_14default_configENS1_38merge_sort_block_merge_config_selectorIbiEEZZNS1_27merge_sort_block_merge_implIS3_N6thrust23THRUST_200600_302600_NS6detail15normal_iteratorINS8_10device_ptrIbEEEENSA_INSB_IiEEEEjNS1_19radix_merge_compareILb1ELb0EbNS0_19identity_decomposerEEEEE10hipError_tT0_T1_T2_jT3_P12ihipStream_tbPNSt15iterator_traitsISK_E10value_typeEPNSQ_ISL_E10value_typeEPSM_NS1_7vsmem_tEENKUlT_SK_SL_SM_E_clISD_PbSF_PiEESJ_SZ_SK_SL_SM_EUlSZ_E1_NS1_11comp_targetILNS1_3genE3ELNS1_11target_archE908ELNS1_3gpuE7ELNS1_3repE0EEENS1_36merge_oddeven_config_static_selectorELNS0_4arch9wavefront6targetE1EEEvSL_,"axG",@progbits,_ZN7rocprim17ROCPRIM_400000_NS6detail17trampoline_kernelINS0_14default_configENS1_38merge_sort_block_merge_config_selectorIbiEEZZNS1_27merge_sort_block_merge_implIS3_N6thrust23THRUST_200600_302600_NS6detail15normal_iteratorINS8_10device_ptrIbEEEENSA_INSB_IiEEEEjNS1_19radix_merge_compareILb1ELb0EbNS0_19identity_decomposerEEEEE10hipError_tT0_T1_T2_jT3_P12ihipStream_tbPNSt15iterator_traitsISK_E10value_typeEPNSQ_ISL_E10value_typeEPSM_NS1_7vsmem_tEENKUlT_SK_SL_SM_E_clISD_PbSF_PiEESJ_SZ_SK_SL_SM_EUlSZ_E1_NS1_11comp_targetILNS1_3genE3ELNS1_11target_archE908ELNS1_3gpuE7ELNS1_3repE0EEENS1_36merge_oddeven_config_static_selectorELNS0_4arch9wavefront6targetE1EEEvSL_,comdat
.Lfunc_end2148:
	.size	_ZN7rocprim17ROCPRIM_400000_NS6detail17trampoline_kernelINS0_14default_configENS1_38merge_sort_block_merge_config_selectorIbiEEZZNS1_27merge_sort_block_merge_implIS3_N6thrust23THRUST_200600_302600_NS6detail15normal_iteratorINS8_10device_ptrIbEEEENSA_INSB_IiEEEEjNS1_19radix_merge_compareILb1ELb0EbNS0_19identity_decomposerEEEEE10hipError_tT0_T1_T2_jT3_P12ihipStream_tbPNSt15iterator_traitsISK_E10value_typeEPNSQ_ISL_E10value_typeEPSM_NS1_7vsmem_tEENKUlT_SK_SL_SM_E_clISD_PbSF_PiEESJ_SZ_SK_SL_SM_EUlSZ_E1_NS1_11comp_targetILNS1_3genE3ELNS1_11target_archE908ELNS1_3gpuE7ELNS1_3repE0EEENS1_36merge_oddeven_config_static_selectorELNS0_4arch9wavefront6targetE1EEEvSL_, .Lfunc_end2148-_ZN7rocprim17ROCPRIM_400000_NS6detail17trampoline_kernelINS0_14default_configENS1_38merge_sort_block_merge_config_selectorIbiEEZZNS1_27merge_sort_block_merge_implIS3_N6thrust23THRUST_200600_302600_NS6detail15normal_iteratorINS8_10device_ptrIbEEEENSA_INSB_IiEEEEjNS1_19radix_merge_compareILb1ELb0EbNS0_19identity_decomposerEEEEE10hipError_tT0_T1_T2_jT3_P12ihipStream_tbPNSt15iterator_traitsISK_E10value_typeEPNSQ_ISL_E10value_typeEPSM_NS1_7vsmem_tEENKUlT_SK_SL_SM_E_clISD_PbSF_PiEESJ_SZ_SK_SL_SM_EUlSZ_E1_NS1_11comp_targetILNS1_3genE3ELNS1_11target_archE908ELNS1_3gpuE7ELNS1_3repE0EEENS1_36merge_oddeven_config_static_selectorELNS0_4arch9wavefront6targetE1EEEvSL_
                                        ; -- End function
	.set _ZN7rocprim17ROCPRIM_400000_NS6detail17trampoline_kernelINS0_14default_configENS1_38merge_sort_block_merge_config_selectorIbiEEZZNS1_27merge_sort_block_merge_implIS3_N6thrust23THRUST_200600_302600_NS6detail15normal_iteratorINS8_10device_ptrIbEEEENSA_INSB_IiEEEEjNS1_19radix_merge_compareILb1ELb0EbNS0_19identity_decomposerEEEEE10hipError_tT0_T1_T2_jT3_P12ihipStream_tbPNSt15iterator_traitsISK_E10value_typeEPNSQ_ISL_E10value_typeEPSM_NS1_7vsmem_tEENKUlT_SK_SL_SM_E_clISD_PbSF_PiEESJ_SZ_SK_SL_SM_EUlSZ_E1_NS1_11comp_targetILNS1_3genE3ELNS1_11target_archE908ELNS1_3gpuE7ELNS1_3repE0EEENS1_36merge_oddeven_config_static_selectorELNS0_4arch9wavefront6targetE1EEEvSL_.num_vgpr, 0
	.set _ZN7rocprim17ROCPRIM_400000_NS6detail17trampoline_kernelINS0_14default_configENS1_38merge_sort_block_merge_config_selectorIbiEEZZNS1_27merge_sort_block_merge_implIS3_N6thrust23THRUST_200600_302600_NS6detail15normal_iteratorINS8_10device_ptrIbEEEENSA_INSB_IiEEEEjNS1_19radix_merge_compareILb1ELb0EbNS0_19identity_decomposerEEEEE10hipError_tT0_T1_T2_jT3_P12ihipStream_tbPNSt15iterator_traitsISK_E10value_typeEPNSQ_ISL_E10value_typeEPSM_NS1_7vsmem_tEENKUlT_SK_SL_SM_E_clISD_PbSF_PiEESJ_SZ_SK_SL_SM_EUlSZ_E1_NS1_11comp_targetILNS1_3genE3ELNS1_11target_archE908ELNS1_3gpuE7ELNS1_3repE0EEENS1_36merge_oddeven_config_static_selectorELNS0_4arch9wavefront6targetE1EEEvSL_.num_agpr, 0
	.set _ZN7rocprim17ROCPRIM_400000_NS6detail17trampoline_kernelINS0_14default_configENS1_38merge_sort_block_merge_config_selectorIbiEEZZNS1_27merge_sort_block_merge_implIS3_N6thrust23THRUST_200600_302600_NS6detail15normal_iteratorINS8_10device_ptrIbEEEENSA_INSB_IiEEEEjNS1_19radix_merge_compareILb1ELb0EbNS0_19identity_decomposerEEEEE10hipError_tT0_T1_T2_jT3_P12ihipStream_tbPNSt15iterator_traitsISK_E10value_typeEPNSQ_ISL_E10value_typeEPSM_NS1_7vsmem_tEENKUlT_SK_SL_SM_E_clISD_PbSF_PiEESJ_SZ_SK_SL_SM_EUlSZ_E1_NS1_11comp_targetILNS1_3genE3ELNS1_11target_archE908ELNS1_3gpuE7ELNS1_3repE0EEENS1_36merge_oddeven_config_static_selectorELNS0_4arch9wavefront6targetE1EEEvSL_.numbered_sgpr, 0
	.set _ZN7rocprim17ROCPRIM_400000_NS6detail17trampoline_kernelINS0_14default_configENS1_38merge_sort_block_merge_config_selectorIbiEEZZNS1_27merge_sort_block_merge_implIS3_N6thrust23THRUST_200600_302600_NS6detail15normal_iteratorINS8_10device_ptrIbEEEENSA_INSB_IiEEEEjNS1_19radix_merge_compareILb1ELb0EbNS0_19identity_decomposerEEEEE10hipError_tT0_T1_T2_jT3_P12ihipStream_tbPNSt15iterator_traitsISK_E10value_typeEPNSQ_ISL_E10value_typeEPSM_NS1_7vsmem_tEENKUlT_SK_SL_SM_E_clISD_PbSF_PiEESJ_SZ_SK_SL_SM_EUlSZ_E1_NS1_11comp_targetILNS1_3genE3ELNS1_11target_archE908ELNS1_3gpuE7ELNS1_3repE0EEENS1_36merge_oddeven_config_static_selectorELNS0_4arch9wavefront6targetE1EEEvSL_.num_named_barrier, 0
	.set _ZN7rocprim17ROCPRIM_400000_NS6detail17trampoline_kernelINS0_14default_configENS1_38merge_sort_block_merge_config_selectorIbiEEZZNS1_27merge_sort_block_merge_implIS3_N6thrust23THRUST_200600_302600_NS6detail15normal_iteratorINS8_10device_ptrIbEEEENSA_INSB_IiEEEEjNS1_19radix_merge_compareILb1ELb0EbNS0_19identity_decomposerEEEEE10hipError_tT0_T1_T2_jT3_P12ihipStream_tbPNSt15iterator_traitsISK_E10value_typeEPNSQ_ISL_E10value_typeEPSM_NS1_7vsmem_tEENKUlT_SK_SL_SM_E_clISD_PbSF_PiEESJ_SZ_SK_SL_SM_EUlSZ_E1_NS1_11comp_targetILNS1_3genE3ELNS1_11target_archE908ELNS1_3gpuE7ELNS1_3repE0EEENS1_36merge_oddeven_config_static_selectorELNS0_4arch9wavefront6targetE1EEEvSL_.private_seg_size, 0
	.set _ZN7rocprim17ROCPRIM_400000_NS6detail17trampoline_kernelINS0_14default_configENS1_38merge_sort_block_merge_config_selectorIbiEEZZNS1_27merge_sort_block_merge_implIS3_N6thrust23THRUST_200600_302600_NS6detail15normal_iteratorINS8_10device_ptrIbEEEENSA_INSB_IiEEEEjNS1_19radix_merge_compareILb1ELb0EbNS0_19identity_decomposerEEEEE10hipError_tT0_T1_T2_jT3_P12ihipStream_tbPNSt15iterator_traitsISK_E10value_typeEPNSQ_ISL_E10value_typeEPSM_NS1_7vsmem_tEENKUlT_SK_SL_SM_E_clISD_PbSF_PiEESJ_SZ_SK_SL_SM_EUlSZ_E1_NS1_11comp_targetILNS1_3genE3ELNS1_11target_archE908ELNS1_3gpuE7ELNS1_3repE0EEENS1_36merge_oddeven_config_static_selectorELNS0_4arch9wavefront6targetE1EEEvSL_.uses_vcc, 0
	.set _ZN7rocprim17ROCPRIM_400000_NS6detail17trampoline_kernelINS0_14default_configENS1_38merge_sort_block_merge_config_selectorIbiEEZZNS1_27merge_sort_block_merge_implIS3_N6thrust23THRUST_200600_302600_NS6detail15normal_iteratorINS8_10device_ptrIbEEEENSA_INSB_IiEEEEjNS1_19radix_merge_compareILb1ELb0EbNS0_19identity_decomposerEEEEE10hipError_tT0_T1_T2_jT3_P12ihipStream_tbPNSt15iterator_traitsISK_E10value_typeEPNSQ_ISL_E10value_typeEPSM_NS1_7vsmem_tEENKUlT_SK_SL_SM_E_clISD_PbSF_PiEESJ_SZ_SK_SL_SM_EUlSZ_E1_NS1_11comp_targetILNS1_3genE3ELNS1_11target_archE908ELNS1_3gpuE7ELNS1_3repE0EEENS1_36merge_oddeven_config_static_selectorELNS0_4arch9wavefront6targetE1EEEvSL_.uses_flat_scratch, 0
	.set _ZN7rocprim17ROCPRIM_400000_NS6detail17trampoline_kernelINS0_14default_configENS1_38merge_sort_block_merge_config_selectorIbiEEZZNS1_27merge_sort_block_merge_implIS3_N6thrust23THRUST_200600_302600_NS6detail15normal_iteratorINS8_10device_ptrIbEEEENSA_INSB_IiEEEEjNS1_19radix_merge_compareILb1ELb0EbNS0_19identity_decomposerEEEEE10hipError_tT0_T1_T2_jT3_P12ihipStream_tbPNSt15iterator_traitsISK_E10value_typeEPNSQ_ISL_E10value_typeEPSM_NS1_7vsmem_tEENKUlT_SK_SL_SM_E_clISD_PbSF_PiEESJ_SZ_SK_SL_SM_EUlSZ_E1_NS1_11comp_targetILNS1_3genE3ELNS1_11target_archE908ELNS1_3gpuE7ELNS1_3repE0EEENS1_36merge_oddeven_config_static_selectorELNS0_4arch9wavefront6targetE1EEEvSL_.has_dyn_sized_stack, 0
	.set _ZN7rocprim17ROCPRIM_400000_NS6detail17trampoline_kernelINS0_14default_configENS1_38merge_sort_block_merge_config_selectorIbiEEZZNS1_27merge_sort_block_merge_implIS3_N6thrust23THRUST_200600_302600_NS6detail15normal_iteratorINS8_10device_ptrIbEEEENSA_INSB_IiEEEEjNS1_19radix_merge_compareILb1ELb0EbNS0_19identity_decomposerEEEEE10hipError_tT0_T1_T2_jT3_P12ihipStream_tbPNSt15iterator_traitsISK_E10value_typeEPNSQ_ISL_E10value_typeEPSM_NS1_7vsmem_tEENKUlT_SK_SL_SM_E_clISD_PbSF_PiEESJ_SZ_SK_SL_SM_EUlSZ_E1_NS1_11comp_targetILNS1_3genE3ELNS1_11target_archE908ELNS1_3gpuE7ELNS1_3repE0EEENS1_36merge_oddeven_config_static_selectorELNS0_4arch9wavefront6targetE1EEEvSL_.has_recursion, 0
	.set _ZN7rocprim17ROCPRIM_400000_NS6detail17trampoline_kernelINS0_14default_configENS1_38merge_sort_block_merge_config_selectorIbiEEZZNS1_27merge_sort_block_merge_implIS3_N6thrust23THRUST_200600_302600_NS6detail15normal_iteratorINS8_10device_ptrIbEEEENSA_INSB_IiEEEEjNS1_19radix_merge_compareILb1ELb0EbNS0_19identity_decomposerEEEEE10hipError_tT0_T1_T2_jT3_P12ihipStream_tbPNSt15iterator_traitsISK_E10value_typeEPNSQ_ISL_E10value_typeEPSM_NS1_7vsmem_tEENKUlT_SK_SL_SM_E_clISD_PbSF_PiEESJ_SZ_SK_SL_SM_EUlSZ_E1_NS1_11comp_targetILNS1_3genE3ELNS1_11target_archE908ELNS1_3gpuE7ELNS1_3repE0EEENS1_36merge_oddeven_config_static_selectorELNS0_4arch9wavefront6targetE1EEEvSL_.has_indirect_call, 0
	.section	.AMDGPU.csdata,"",@progbits
; Kernel info:
; codeLenInByte = 0
; TotalNumSgprs: 6
; NumVgprs: 0
; NumAgprs: 0
; TotalNumVgprs: 0
; ScratchSize: 0
; MemoryBound: 0
; FloatMode: 240
; IeeeMode: 1
; LDSByteSize: 0 bytes/workgroup (compile time only)
; SGPRBlocks: 0
; VGPRBlocks: 0
; NumSGPRsForWavesPerEU: 6
; NumVGPRsForWavesPerEU: 1
; AccumOffset: 4
; Occupancy: 8
; WaveLimiterHint : 0
; COMPUTE_PGM_RSRC2:SCRATCH_EN: 0
; COMPUTE_PGM_RSRC2:USER_SGPR: 2
; COMPUTE_PGM_RSRC2:TRAP_HANDLER: 0
; COMPUTE_PGM_RSRC2:TGID_X_EN: 1
; COMPUTE_PGM_RSRC2:TGID_Y_EN: 0
; COMPUTE_PGM_RSRC2:TGID_Z_EN: 0
; COMPUTE_PGM_RSRC2:TIDIG_COMP_CNT: 0
; COMPUTE_PGM_RSRC3_GFX90A:ACCUM_OFFSET: 0
; COMPUTE_PGM_RSRC3_GFX90A:TG_SPLIT: 0
	.section	.text._ZN7rocprim17ROCPRIM_400000_NS6detail17trampoline_kernelINS0_14default_configENS1_38merge_sort_block_merge_config_selectorIbiEEZZNS1_27merge_sort_block_merge_implIS3_N6thrust23THRUST_200600_302600_NS6detail15normal_iteratorINS8_10device_ptrIbEEEENSA_INSB_IiEEEEjNS1_19radix_merge_compareILb1ELb0EbNS0_19identity_decomposerEEEEE10hipError_tT0_T1_T2_jT3_P12ihipStream_tbPNSt15iterator_traitsISK_E10value_typeEPNSQ_ISL_E10value_typeEPSM_NS1_7vsmem_tEENKUlT_SK_SL_SM_E_clISD_PbSF_PiEESJ_SZ_SK_SL_SM_EUlSZ_E1_NS1_11comp_targetILNS1_3genE2ELNS1_11target_archE906ELNS1_3gpuE6ELNS1_3repE0EEENS1_36merge_oddeven_config_static_selectorELNS0_4arch9wavefront6targetE1EEEvSL_,"axG",@progbits,_ZN7rocprim17ROCPRIM_400000_NS6detail17trampoline_kernelINS0_14default_configENS1_38merge_sort_block_merge_config_selectorIbiEEZZNS1_27merge_sort_block_merge_implIS3_N6thrust23THRUST_200600_302600_NS6detail15normal_iteratorINS8_10device_ptrIbEEEENSA_INSB_IiEEEEjNS1_19radix_merge_compareILb1ELb0EbNS0_19identity_decomposerEEEEE10hipError_tT0_T1_T2_jT3_P12ihipStream_tbPNSt15iterator_traitsISK_E10value_typeEPNSQ_ISL_E10value_typeEPSM_NS1_7vsmem_tEENKUlT_SK_SL_SM_E_clISD_PbSF_PiEESJ_SZ_SK_SL_SM_EUlSZ_E1_NS1_11comp_targetILNS1_3genE2ELNS1_11target_archE906ELNS1_3gpuE6ELNS1_3repE0EEENS1_36merge_oddeven_config_static_selectorELNS0_4arch9wavefront6targetE1EEEvSL_,comdat
	.protected	_ZN7rocprim17ROCPRIM_400000_NS6detail17trampoline_kernelINS0_14default_configENS1_38merge_sort_block_merge_config_selectorIbiEEZZNS1_27merge_sort_block_merge_implIS3_N6thrust23THRUST_200600_302600_NS6detail15normal_iteratorINS8_10device_ptrIbEEEENSA_INSB_IiEEEEjNS1_19radix_merge_compareILb1ELb0EbNS0_19identity_decomposerEEEEE10hipError_tT0_T1_T2_jT3_P12ihipStream_tbPNSt15iterator_traitsISK_E10value_typeEPNSQ_ISL_E10value_typeEPSM_NS1_7vsmem_tEENKUlT_SK_SL_SM_E_clISD_PbSF_PiEESJ_SZ_SK_SL_SM_EUlSZ_E1_NS1_11comp_targetILNS1_3genE2ELNS1_11target_archE906ELNS1_3gpuE6ELNS1_3repE0EEENS1_36merge_oddeven_config_static_selectorELNS0_4arch9wavefront6targetE1EEEvSL_ ; -- Begin function _ZN7rocprim17ROCPRIM_400000_NS6detail17trampoline_kernelINS0_14default_configENS1_38merge_sort_block_merge_config_selectorIbiEEZZNS1_27merge_sort_block_merge_implIS3_N6thrust23THRUST_200600_302600_NS6detail15normal_iteratorINS8_10device_ptrIbEEEENSA_INSB_IiEEEEjNS1_19radix_merge_compareILb1ELb0EbNS0_19identity_decomposerEEEEE10hipError_tT0_T1_T2_jT3_P12ihipStream_tbPNSt15iterator_traitsISK_E10value_typeEPNSQ_ISL_E10value_typeEPSM_NS1_7vsmem_tEENKUlT_SK_SL_SM_E_clISD_PbSF_PiEESJ_SZ_SK_SL_SM_EUlSZ_E1_NS1_11comp_targetILNS1_3genE2ELNS1_11target_archE906ELNS1_3gpuE6ELNS1_3repE0EEENS1_36merge_oddeven_config_static_selectorELNS0_4arch9wavefront6targetE1EEEvSL_
	.globl	_ZN7rocprim17ROCPRIM_400000_NS6detail17trampoline_kernelINS0_14default_configENS1_38merge_sort_block_merge_config_selectorIbiEEZZNS1_27merge_sort_block_merge_implIS3_N6thrust23THRUST_200600_302600_NS6detail15normal_iteratorINS8_10device_ptrIbEEEENSA_INSB_IiEEEEjNS1_19radix_merge_compareILb1ELb0EbNS0_19identity_decomposerEEEEE10hipError_tT0_T1_T2_jT3_P12ihipStream_tbPNSt15iterator_traitsISK_E10value_typeEPNSQ_ISL_E10value_typeEPSM_NS1_7vsmem_tEENKUlT_SK_SL_SM_E_clISD_PbSF_PiEESJ_SZ_SK_SL_SM_EUlSZ_E1_NS1_11comp_targetILNS1_3genE2ELNS1_11target_archE906ELNS1_3gpuE6ELNS1_3repE0EEENS1_36merge_oddeven_config_static_selectorELNS0_4arch9wavefront6targetE1EEEvSL_
	.p2align	8
	.type	_ZN7rocprim17ROCPRIM_400000_NS6detail17trampoline_kernelINS0_14default_configENS1_38merge_sort_block_merge_config_selectorIbiEEZZNS1_27merge_sort_block_merge_implIS3_N6thrust23THRUST_200600_302600_NS6detail15normal_iteratorINS8_10device_ptrIbEEEENSA_INSB_IiEEEEjNS1_19radix_merge_compareILb1ELb0EbNS0_19identity_decomposerEEEEE10hipError_tT0_T1_T2_jT3_P12ihipStream_tbPNSt15iterator_traitsISK_E10value_typeEPNSQ_ISL_E10value_typeEPSM_NS1_7vsmem_tEENKUlT_SK_SL_SM_E_clISD_PbSF_PiEESJ_SZ_SK_SL_SM_EUlSZ_E1_NS1_11comp_targetILNS1_3genE2ELNS1_11target_archE906ELNS1_3gpuE6ELNS1_3repE0EEENS1_36merge_oddeven_config_static_selectorELNS0_4arch9wavefront6targetE1EEEvSL_,@function
_ZN7rocprim17ROCPRIM_400000_NS6detail17trampoline_kernelINS0_14default_configENS1_38merge_sort_block_merge_config_selectorIbiEEZZNS1_27merge_sort_block_merge_implIS3_N6thrust23THRUST_200600_302600_NS6detail15normal_iteratorINS8_10device_ptrIbEEEENSA_INSB_IiEEEEjNS1_19radix_merge_compareILb1ELb0EbNS0_19identity_decomposerEEEEE10hipError_tT0_T1_T2_jT3_P12ihipStream_tbPNSt15iterator_traitsISK_E10value_typeEPNSQ_ISL_E10value_typeEPSM_NS1_7vsmem_tEENKUlT_SK_SL_SM_E_clISD_PbSF_PiEESJ_SZ_SK_SL_SM_EUlSZ_E1_NS1_11comp_targetILNS1_3genE2ELNS1_11target_archE906ELNS1_3gpuE6ELNS1_3repE0EEENS1_36merge_oddeven_config_static_selectorELNS0_4arch9wavefront6targetE1EEEvSL_: ; @_ZN7rocprim17ROCPRIM_400000_NS6detail17trampoline_kernelINS0_14default_configENS1_38merge_sort_block_merge_config_selectorIbiEEZZNS1_27merge_sort_block_merge_implIS3_N6thrust23THRUST_200600_302600_NS6detail15normal_iteratorINS8_10device_ptrIbEEEENSA_INSB_IiEEEEjNS1_19radix_merge_compareILb1ELb0EbNS0_19identity_decomposerEEEEE10hipError_tT0_T1_T2_jT3_P12ihipStream_tbPNSt15iterator_traitsISK_E10value_typeEPNSQ_ISL_E10value_typeEPSM_NS1_7vsmem_tEENKUlT_SK_SL_SM_E_clISD_PbSF_PiEESJ_SZ_SK_SL_SM_EUlSZ_E1_NS1_11comp_targetILNS1_3genE2ELNS1_11target_archE906ELNS1_3gpuE6ELNS1_3repE0EEENS1_36merge_oddeven_config_static_selectorELNS0_4arch9wavefront6targetE1EEEvSL_
; %bb.0:
	.section	.rodata,"a",@progbits
	.p2align	6, 0x0
	.amdhsa_kernel _ZN7rocprim17ROCPRIM_400000_NS6detail17trampoline_kernelINS0_14default_configENS1_38merge_sort_block_merge_config_selectorIbiEEZZNS1_27merge_sort_block_merge_implIS3_N6thrust23THRUST_200600_302600_NS6detail15normal_iteratorINS8_10device_ptrIbEEEENSA_INSB_IiEEEEjNS1_19radix_merge_compareILb1ELb0EbNS0_19identity_decomposerEEEEE10hipError_tT0_T1_T2_jT3_P12ihipStream_tbPNSt15iterator_traitsISK_E10value_typeEPNSQ_ISL_E10value_typeEPSM_NS1_7vsmem_tEENKUlT_SK_SL_SM_E_clISD_PbSF_PiEESJ_SZ_SK_SL_SM_EUlSZ_E1_NS1_11comp_targetILNS1_3genE2ELNS1_11target_archE906ELNS1_3gpuE6ELNS1_3repE0EEENS1_36merge_oddeven_config_static_selectorELNS0_4arch9wavefront6targetE1EEEvSL_
		.amdhsa_group_segment_fixed_size 0
		.amdhsa_private_segment_fixed_size 0
		.amdhsa_kernarg_size 48
		.amdhsa_user_sgpr_count 2
		.amdhsa_user_sgpr_dispatch_ptr 0
		.amdhsa_user_sgpr_queue_ptr 0
		.amdhsa_user_sgpr_kernarg_segment_ptr 1
		.amdhsa_user_sgpr_dispatch_id 0
		.amdhsa_user_sgpr_kernarg_preload_length 0
		.amdhsa_user_sgpr_kernarg_preload_offset 0
		.amdhsa_user_sgpr_private_segment_size 0
		.amdhsa_uses_dynamic_stack 0
		.amdhsa_enable_private_segment 0
		.amdhsa_system_sgpr_workgroup_id_x 1
		.amdhsa_system_sgpr_workgroup_id_y 0
		.amdhsa_system_sgpr_workgroup_id_z 0
		.amdhsa_system_sgpr_workgroup_info 0
		.amdhsa_system_vgpr_workitem_id 0
		.amdhsa_next_free_vgpr 1
		.amdhsa_next_free_sgpr 0
		.amdhsa_accum_offset 4
		.amdhsa_reserve_vcc 0
		.amdhsa_float_round_mode_32 0
		.amdhsa_float_round_mode_16_64 0
		.amdhsa_float_denorm_mode_32 3
		.amdhsa_float_denorm_mode_16_64 3
		.amdhsa_dx10_clamp 1
		.amdhsa_ieee_mode 1
		.amdhsa_fp16_overflow 0
		.amdhsa_tg_split 0
		.amdhsa_exception_fp_ieee_invalid_op 0
		.amdhsa_exception_fp_denorm_src 0
		.amdhsa_exception_fp_ieee_div_zero 0
		.amdhsa_exception_fp_ieee_overflow 0
		.amdhsa_exception_fp_ieee_underflow 0
		.amdhsa_exception_fp_ieee_inexact 0
		.amdhsa_exception_int_div_zero 0
	.end_amdhsa_kernel
	.section	.text._ZN7rocprim17ROCPRIM_400000_NS6detail17trampoline_kernelINS0_14default_configENS1_38merge_sort_block_merge_config_selectorIbiEEZZNS1_27merge_sort_block_merge_implIS3_N6thrust23THRUST_200600_302600_NS6detail15normal_iteratorINS8_10device_ptrIbEEEENSA_INSB_IiEEEEjNS1_19radix_merge_compareILb1ELb0EbNS0_19identity_decomposerEEEEE10hipError_tT0_T1_T2_jT3_P12ihipStream_tbPNSt15iterator_traitsISK_E10value_typeEPNSQ_ISL_E10value_typeEPSM_NS1_7vsmem_tEENKUlT_SK_SL_SM_E_clISD_PbSF_PiEESJ_SZ_SK_SL_SM_EUlSZ_E1_NS1_11comp_targetILNS1_3genE2ELNS1_11target_archE906ELNS1_3gpuE6ELNS1_3repE0EEENS1_36merge_oddeven_config_static_selectorELNS0_4arch9wavefront6targetE1EEEvSL_,"axG",@progbits,_ZN7rocprim17ROCPRIM_400000_NS6detail17trampoline_kernelINS0_14default_configENS1_38merge_sort_block_merge_config_selectorIbiEEZZNS1_27merge_sort_block_merge_implIS3_N6thrust23THRUST_200600_302600_NS6detail15normal_iteratorINS8_10device_ptrIbEEEENSA_INSB_IiEEEEjNS1_19radix_merge_compareILb1ELb0EbNS0_19identity_decomposerEEEEE10hipError_tT0_T1_T2_jT3_P12ihipStream_tbPNSt15iterator_traitsISK_E10value_typeEPNSQ_ISL_E10value_typeEPSM_NS1_7vsmem_tEENKUlT_SK_SL_SM_E_clISD_PbSF_PiEESJ_SZ_SK_SL_SM_EUlSZ_E1_NS1_11comp_targetILNS1_3genE2ELNS1_11target_archE906ELNS1_3gpuE6ELNS1_3repE0EEENS1_36merge_oddeven_config_static_selectorELNS0_4arch9wavefront6targetE1EEEvSL_,comdat
.Lfunc_end2149:
	.size	_ZN7rocprim17ROCPRIM_400000_NS6detail17trampoline_kernelINS0_14default_configENS1_38merge_sort_block_merge_config_selectorIbiEEZZNS1_27merge_sort_block_merge_implIS3_N6thrust23THRUST_200600_302600_NS6detail15normal_iteratorINS8_10device_ptrIbEEEENSA_INSB_IiEEEEjNS1_19radix_merge_compareILb1ELb0EbNS0_19identity_decomposerEEEEE10hipError_tT0_T1_T2_jT3_P12ihipStream_tbPNSt15iterator_traitsISK_E10value_typeEPNSQ_ISL_E10value_typeEPSM_NS1_7vsmem_tEENKUlT_SK_SL_SM_E_clISD_PbSF_PiEESJ_SZ_SK_SL_SM_EUlSZ_E1_NS1_11comp_targetILNS1_3genE2ELNS1_11target_archE906ELNS1_3gpuE6ELNS1_3repE0EEENS1_36merge_oddeven_config_static_selectorELNS0_4arch9wavefront6targetE1EEEvSL_, .Lfunc_end2149-_ZN7rocprim17ROCPRIM_400000_NS6detail17trampoline_kernelINS0_14default_configENS1_38merge_sort_block_merge_config_selectorIbiEEZZNS1_27merge_sort_block_merge_implIS3_N6thrust23THRUST_200600_302600_NS6detail15normal_iteratorINS8_10device_ptrIbEEEENSA_INSB_IiEEEEjNS1_19radix_merge_compareILb1ELb0EbNS0_19identity_decomposerEEEEE10hipError_tT0_T1_T2_jT3_P12ihipStream_tbPNSt15iterator_traitsISK_E10value_typeEPNSQ_ISL_E10value_typeEPSM_NS1_7vsmem_tEENKUlT_SK_SL_SM_E_clISD_PbSF_PiEESJ_SZ_SK_SL_SM_EUlSZ_E1_NS1_11comp_targetILNS1_3genE2ELNS1_11target_archE906ELNS1_3gpuE6ELNS1_3repE0EEENS1_36merge_oddeven_config_static_selectorELNS0_4arch9wavefront6targetE1EEEvSL_
                                        ; -- End function
	.set _ZN7rocprim17ROCPRIM_400000_NS6detail17trampoline_kernelINS0_14default_configENS1_38merge_sort_block_merge_config_selectorIbiEEZZNS1_27merge_sort_block_merge_implIS3_N6thrust23THRUST_200600_302600_NS6detail15normal_iteratorINS8_10device_ptrIbEEEENSA_INSB_IiEEEEjNS1_19radix_merge_compareILb1ELb0EbNS0_19identity_decomposerEEEEE10hipError_tT0_T1_T2_jT3_P12ihipStream_tbPNSt15iterator_traitsISK_E10value_typeEPNSQ_ISL_E10value_typeEPSM_NS1_7vsmem_tEENKUlT_SK_SL_SM_E_clISD_PbSF_PiEESJ_SZ_SK_SL_SM_EUlSZ_E1_NS1_11comp_targetILNS1_3genE2ELNS1_11target_archE906ELNS1_3gpuE6ELNS1_3repE0EEENS1_36merge_oddeven_config_static_selectorELNS0_4arch9wavefront6targetE1EEEvSL_.num_vgpr, 0
	.set _ZN7rocprim17ROCPRIM_400000_NS6detail17trampoline_kernelINS0_14default_configENS1_38merge_sort_block_merge_config_selectorIbiEEZZNS1_27merge_sort_block_merge_implIS3_N6thrust23THRUST_200600_302600_NS6detail15normal_iteratorINS8_10device_ptrIbEEEENSA_INSB_IiEEEEjNS1_19radix_merge_compareILb1ELb0EbNS0_19identity_decomposerEEEEE10hipError_tT0_T1_T2_jT3_P12ihipStream_tbPNSt15iterator_traitsISK_E10value_typeEPNSQ_ISL_E10value_typeEPSM_NS1_7vsmem_tEENKUlT_SK_SL_SM_E_clISD_PbSF_PiEESJ_SZ_SK_SL_SM_EUlSZ_E1_NS1_11comp_targetILNS1_3genE2ELNS1_11target_archE906ELNS1_3gpuE6ELNS1_3repE0EEENS1_36merge_oddeven_config_static_selectorELNS0_4arch9wavefront6targetE1EEEvSL_.num_agpr, 0
	.set _ZN7rocprim17ROCPRIM_400000_NS6detail17trampoline_kernelINS0_14default_configENS1_38merge_sort_block_merge_config_selectorIbiEEZZNS1_27merge_sort_block_merge_implIS3_N6thrust23THRUST_200600_302600_NS6detail15normal_iteratorINS8_10device_ptrIbEEEENSA_INSB_IiEEEEjNS1_19radix_merge_compareILb1ELb0EbNS0_19identity_decomposerEEEEE10hipError_tT0_T1_T2_jT3_P12ihipStream_tbPNSt15iterator_traitsISK_E10value_typeEPNSQ_ISL_E10value_typeEPSM_NS1_7vsmem_tEENKUlT_SK_SL_SM_E_clISD_PbSF_PiEESJ_SZ_SK_SL_SM_EUlSZ_E1_NS1_11comp_targetILNS1_3genE2ELNS1_11target_archE906ELNS1_3gpuE6ELNS1_3repE0EEENS1_36merge_oddeven_config_static_selectorELNS0_4arch9wavefront6targetE1EEEvSL_.numbered_sgpr, 0
	.set _ZN7rocprim17ROCPRIM_400000_NS6detail17trampoline_kernelINS0_14default_configENS1_38merge_sort_block_merge_config_selectorIbiEEZZNS1_27merge_sort_block_merge_implIS3_N6thrust23THRUST_200600_302600_NS6detail15normal_iteratorINS8_10device_ptrIbEEEENSA_INSB_IiEEEEjNS1_19radix_merge_compareILb1ELb0EbNS0_19identity_decomposerEEEEE10hipError_tT0_T1_T2_jT3_P12ihipStream_tbPNSt15iterator_traitsISK_E10value_typeEPNSQ_ISL_E10value_typeEPSM_NS1_7vsmem_tEENKUlT_SK_SL_SM_E_clISD_PbSF_PiEESJ_SZ_SK_SL_SM_EUlSZ_E1_NS1_11comp_targetILNS1_3genE2ELNS1_11target_archE906ELNS1_3gpuE6ELNS1_3repE0EEENS1_36merge_oddeven_config_static_selectorELNS0_4arch9wavefront6targetE1EEEvSL_.num_named_barrier, 0
	.set _ZN7rocprim17ROCPRIM_400000_NS6detail17trampoline_kernelINS0_14default_configENS1_38merge_sort_block_merge_config_selectorIbiEEZZNS1_27merge_sort_block_merge_implIS3_N6thrust23THRUST_200600_302600_NS6detail15normal_iteratorINS8_10device_ptrIbEEEENSA_INSB_IiEEEEjNS1_19radix_merge_compareILb1ELb0EbNS0_19identity_decomposerEEEEE10hipError_tT0_T1_T2_jT3_P12ihipStream_tbPNSt15iterator_traitsISK_E10value_typeEPNSQ_ISL_E10value_typeEPSM_NS1_7vsmem_tEENKUlT_SK_SL_SM_E_clISD_PbSF_PiEESJ_SZ_SK_SL_SM_EUlSZ_E1_NS1_11comp_targetILNS1_3genE2ELNS1_11target_archE906ELNS1_3gpuE6ELNS1_3repE0EEENS1_36merge_oddeven_config_static_selectorELNS0_4arch9wavefront6targetE1EEEvSL_.private_seg_size, 0
	.set _ZN7rocprim17ROCPRIM_400000_NS6detail17trampoline_kernelINS0_14default_configENS1_38merge_sort_block_merge_config_selectorIbiEEZZNS1_27merge_sort_block_merge_implIS3_N6thrust23THRUST_200600_302600_NS6detail15normal_iteratorINS8_10device_ptrIbEEEENSA_INSB_IiEEEEjNS1_19radix_merge_compareILb1ELb0EbNS0_19identity_decomposerEEEEE10hipError_tT0_T1_T2_jT3_P12ihipStream_tbPNSt15iterator_traitsISK_E10value_typeEPNSQ_ISL_E10value_typeEPSM_NS1_7vsmem_tEENKUlT_SK_SL_SM_E_clISD_PbSF_PiEESJ_SZ_SK_SL_SM_EUlSZ_E1_NS1_11comp_targetILNS1_3genE2ELNS1_11target_archE906ELNS1_3gpuE6ELNS1_3repE0EEENS1_36merge_oddeven_config_static_selectorELNS0_4arch9wavefront6targetE1EEEvSL_.uses_vcc, 0
	.set _ZN7rocprim17ROCPRIM_400000_NS6detail17trampoline_kernelINS0_14default_configENS1_38merge_sort_block_merge_config_selectorIbiEEZZNS1_27merge_sort_block_merge_implIS3_N6thrust23THRUST_200600_302600_NS6detail15normal_iteratorINS8_10device_ptrIbEEEENSA_INSB_IiEEEEjNS1_19radix_merge_compareILb1ELb0EbNS0_19identity_decomposerEEEEE10hipError_tT0_T1_T2_jT3_P12ihipStream_tbPNSt15iterator_traitsISK_E10value_typeEPNSQ_ISL_E10value_typeEPSM_NS1_7vsmem_tEENKUlT_SK_SL_SM_E_clISD_PbSF_PiEESJ_SZ_SK_SL_SM_EUlSZ_E1_NS1_11comp_targetILNS1_3genE2ELNS1_11target_archE906ELNS1_3gpuE6ELNS1_3repE0EEENS1_36merge_oddeven_config_static_selectorELNS0_4arch9wavefront6targetE1EEEvSL_.uses_flat_scratch, 0
	.set _ZN7rocprim17ROCPRIM_400000_NS6detail17trampoline_kernelINS0_14default_configENS1_38merge_sort_block_merge_config_selectorIbiEEZZNS1_27merge_sort_block_merge_implIS3_N6thrust23THRUST_200600_302600_NS6detail15normal_iteratorINS8_10device_ptrIbEEEENSA_INSB_IiEEEEjNS1_19radix_merge_compareILb1ELb0EbNS0_19identity_decomposerEEEEE10hipError_tT0_T1_T2_jT3_P12ihipStream_tbPNSt15iterator_traitsISK_E10value_typeEPNSQ_ISL_E10value_typeEPSM_NS1_7vsmem_tEENKUlT_SK_SL_SM_E_clISD_PbSF_PiEESJ_SZ_SK_SL_SM_EUlSZ_E1_NS1_11comp_targetILNS1_3genE2ELNS1_11target_archE906ELNS1_3gpuE6ELNS1_3repE0EEENS1_36merge_oddeven_config_static_selectorELNS0_4arch9wavefront6targetE1EEEvSL_.has_dyn_sized_stack, 0
	.set _ZN7rocprim17ROCPRIM_400000_NS6detail17trampoline_kernelINS0_14default_configENS1_38merge_sort_block_merge_config_selectorIbiEEZZNS1_27merge_sort_block_merge_implIS3_N6thrust23THRUST_200600_302600_NS6detail15normal_iteratorINS8_10device_ptrIbEEEENSA_INSB_IiEEEEjNS1_19radix_merge_compareILb1ELb0EbNS0_19identity_decomposerEEEEE10hipError_tT0_T1_T2_jT3_P12ihipStream_tbPNSt15iterator_traitsISK_E10value_typeEPNSQ_ISL_E10value_typeEPSM_NS1_7vsmem_tEENKUlT_SK_SL_SM_E_clISD_PbSF_PiEESJ_SZ_SK_SL_SM_EUlSZ_E1_NS1_11comp_targetILNS1_3genE2ELNS1_11target_archE906ELNS1_3gpuE6ELNS1_3repE0EEENS1_36merge_oddeven_config_static_selectorELNS0_4arch9wavefront6targetE1EEEvSL_.has_recursion, 0
	.set _ZN7rocprim17ROCPRIM_400000_NS6detail17trampoline_kernelINS0_14default_configENS1_38merge_sort_block_merge_config_selectorIbiEEZZNS1_27merge_sort_block_merge_implIS3_N6thrust23THRUST_200600_302600_NS6detail15normal_iteratorINS8_10device_ptrIbEEEENSA_INSB_IiEEEEjNS1_19radix_merge_compareILb1ELb0EbNS0_19identity_decomposerEEEEE10hipError_tT0_T1_T2_jT3_P12ihipStream_tbPNSt15iterator_traitsISK_E10value_typeEPNSQ_ISL_E10value_typeEPSM_NS1_7vsmem_tEENKUlT_SK_SL_SM_E_clISD_PbSF_PiEESJ_SZ_SK_SL_SM_EUlSZ_E1_NS1_11comp_targetILNS1_3genE2ELNS1_11target_archE906ELNS1_3gpuE6ELNS1_3repE0EEENS1_36merge_oddeven_config_static_selectorELNS0_4arch9wavefront6targetE1EEEvSL_.has_indirect_call, 0
	.section	.AMDGPU.csdata,"",@progbits
; Kernel info:
; codeLenInByte = 0
; TotalNumSgprs: 6
; NumVgprs: 0
; NumAgprs: 0
; TotalNumVgprs: 0
; ScratchSize: 0
; MemoryBound: 0
; FloatMode: 240
; IeeeMode: 1
; LDSByteSize: 0 bytes/workgroup (compile time only)
; SGPRBlocks: 0
; VGPRBlocks: 0
; NumSGPRsForWavesPerEU: 6
; NumVGPRsForWavesPerEU: 1
; AccumOffset: 4
; Occupancy: 8
; WaveLimiterHint : 0
; COMPUTE_PGM_RSRC2:SCRATCH_EN: 0
; COMPUTE_PGM_RSRC2:USER_SGPR: 2
; COMPUTE_PGM_RSRC2:TRAP_HANDLER: 0
; COMPUTE_PGM_RSRC2:TGID_X_EN: 1
; COMPUTE_PGM_RSRC2:TGID_Y_EN: 0
; COMPUTE_PGM_RSRC2:TGID_Z_EN: 0
; COMPUTE_PGM_RSRC2:TIDIG_COMP_CNT: 0
; COMPUTE_PGM_RSRC3_GFX90A:ACCUM_OFFSET: 0
; COMPUTE_PGM_RSRC3_GFX90A:TG_SPLIT: 0
	.section	.text._ZN7rocprim17ROCPRIM_400000_NS6detail17trampoline_kernelINS0_14default_configENS1_38merge_sort_block_merge_config_selectorIbiEEZZNS1_27merge_sort_block_merge_implIS3_N6thrust23THRUST_200600_302600_NS6detail15normal_iteratorINS8_10device_ptrIbEEEENSA_INSB_IiEEEEjNS1_19radix_merge_compareILb1ELb0EbNS0_19identity_decomposerEEEEE10hipError_tT0_T1_T2_jT3_P12ihipStream_tbPNSt15iterator_traitsISK_E10value_typeEPNSQ_ISL_E10value_typeEPSM_NS1_7vsmem_tEENKUlT_SK_SL_SM_E_clISD_PbSF_PiEESJ_SZ_SK_SL_SM_EUlSZ_E1_NS1_11comp_targetILNS1_3genE9ELNS1_11target_archE1100ELNS1_3gpuE3ELNS1_3repE0EEENS1_36merge_oddeven_config_static_selectorELNS0_4arch9wavefront6targetE1EEEvSL_,"axG",@progbits,_ZN7rocprim17ROCPRIM_400000_NS6detail17trampoline_kernelINS0_14default_configENS1_38merge_sort_block_merge_config_selectorIbiEEZZNS1_27merge_sort_block_merge_implIS3_N6thrust23THRUST_200600_302600_NS6detail15normal_iteratorINS8_10device_ptrIbEEEENSA_INSB_IiEEEEjNS1_19radix_merge_compareILb1ELb0EbNS0_19identity_decomposerEEEEE10hipError_tT0_T1_T2_jT3_P12ihipStream_tbPNSt15iterator_traitsISK_E10value_typeEPNSQ_ISL_E10value_typeEPSM_NS1_7vsmem_tEENKUlT_SK_SL_SM_E_clISD_PbSF_PiEESJ_SZ_SK_SL_SM_EUlSZ_E1_NS1_11comp_targetILNS1_3genE9ELNS1_11target_archE1100ELNS1_3gpuE3ELNS1_3repE0EEENS1_36merge_oddeven_config_static_selectorELNS0_4arch9wavefront6targetE1EEEvSL_,comdat
	.protected	_ZN7rocprim17ROCPRIM_400000_NS6detail17trampoline_kernelINS0_14default_configENS1_38merge_sort_block_merge_config_selectorIbiEEZZNS1_27merge_sort_block_merge_implIS3_N6thrust23THRUST_200600_302600_NS6detail15normal_iteratorINS8_10device_ptrIbEEEENSA_INSB_IiEEEEjNS1_19radix_merge_compareILb1ELb0EbNS0_19identity_decomposerEEEEE10hipError_tT0_T1_T2_jT3_P12ihipStream_tbPNSt15iterator_traitsISK_E10value_typeEPNSQ_ISL_E10value_typeEPSM_NS1_7vsmem_tEENKUlT_SK_SL_SM_E_clISD_PbSF_PiEESJ_SZ_SK_SL_SM_EUlSZ_E1_NS1_11comp_targetILNS1_3genE9ELNS1_11target_archE1100ELNS1_3gpuE3ELNS1_3repE0EEENS1_36merge_oddeven_config_static_selectorELNS0_4arch9wavefront6targetE1EEEvSL_ ; -- Begin function _ZN7rocprim17ROCPRIM_400000_NS6detail17trampoline_kernelINS0_14default_configENS1_38merge_sort_block_merge_config_selectorIbiEEZZNS1_27merge_sort_block_merge_implIS3_N6thrust23THRUST_200600_302600_NS6detail15normal_iteratorINS8_10device_ptrIbEEEENSA_INSB_IiEEEEjNS1_19radix_merge_compareILb1ELb0EbNS0_19identity_decomposerEEEEE10hipError_tT0_T1_T2_jT3_P12ihipStream_tbPNSt15iterator_traitsISK_E10value_typeEPNSQ_ISL_E10value_typeEPSM_NS1_7vsmem_tEENKUlT_SK_SL_SM_E_clISD_PbSF_PiEESJ_SZ_SK_SL_SM_EUlSZ_E1_NS1_11comp_targetILNS1_3genE9ELNS1_11target_archE1100ELNS1_3gpuE3ELNS1_3repE0EEENS1_36merge_oddeven_config_static_selectorELNS0_4arch9wavefront6targetE1EEEvSL_
	.globl	_ZN7rocprim17ROCPRIM_400000_NS6detail17trampoline_kernelINS0_14default_configENS1_38merge_sort_block_merge_config_selectorIbiEEZZNS1_27merge_sort_block_merge_implIS3_N6thrust23THRUST_200600_302600_NS6detail15normal_iteratorINS8_10device_ptrIbEEEENSA_INSB_IiEEEEjNS1_19radix_merge_compareILb1ELb0EbNS0_19identity_decomposerEEEEE10hipError_tT0_T1_T2_jT3_P12ihipStream_tbPNSt15iterator_traitsISK_E10value_typeEPNSQ_ISL_E10value_typeEPSM_NS1_7vsmem_tEENKUlT_SK_SL_SM_E_clISD_PbSF_PiEESJ_SZ_SK_SL_SM_EUlSZ_E1_NS1_11comp_targetILNS1_3genE9ELNS1_11target_archE1100ELNS1_3gpuE3ELNS1_3repE0EEENS1_36merge_oddeven_config_static_selectorELNS0_4arch9wavefront6targetE1EEEvSL_
	.p2align	8
	.type	_ZN7rocprim17ROCPRIM_400000_NS6detail17trampoline_kernelINS0_14default_configENS1_38merge_sort_block_merge_config_selectorIbiEEZZNS1_27merge_sort_block_merge_implIS3_N6thrust23THRUST_200600_302600_NS6detail15normal_iteratorINS8_10device_ptrIbEEEENSA_INSB_IiEEEEjNS1_19radix_merge_compareILb1ELb0EbNS0_19identity_decomposerEEEEE10hipError_tT0_T1_T2_jT3_P12ihipStream_tbPNSt15iterator_traitsISK_E10value_typeEPNSQ_ISL_E10value_typeEPSM_NS1_7vsmem_tEENKUlT_SK_SL_SM_E_clISD_PbSF_PiEESJ_SZ_SK_SL_SM_EUlSZ_E1_NS1_11comp_targetILNS1_3genE9ELNS1_11target_archE1100ELNS1_3gpuE3ELNS1_3repE0EEENS1_36merge_oddeven_config_static_selectorELNS0_4arch9wavefront6targetE1EEEvSL_,@function
_ZN7rocprim17ROCPRIM_400000_NS6detail17trampoline_kernelINS0_14default_configENS1_38merge_sort_block_merge_config_selectorIbiEEZZNS1_27merge_sort_block_merge_implIS3_N6thrust23THRUST_200600_302600_NS6detail15normal_iteratorINS8_10device_ptrIbEEEENSA_INSB_IiEEEEjNS1_19radix_merge_compareILb1ELb0EbNS0_19identity_decomposerEEEEE10hipError_tT0_T1_T2_jT3_P12ihipStream_tbPNSt15iterator_traitsISK_E10value_typeEPNSQ_ISL_E10value_typeEPSM_NS1_7vsmem_tEENKUlT_SK_SL_SM_E_clISD_PbSF_PiEESJ_SZ_SK_SL_SM_EUlSZ_E1_NS1_11comp_targetILNS1_3genE9ELNS1_11target_archE1100ELNS1_3gpuE3ELNS1_3repE0EEENS1_36merge_oddeven_config_static_selectorELNS0_4arch9wavefront6targetE1EEEvSL_: ; @_ZN7rocprim17ROCPRIM_400000_NS6detail17trampoline_kernelINS0_14default_configENS1_38merge_sort_block_merge_config_selectorIbiEEZZNS1_27merge_sort_block_merge_implIS3_N6thrust23THRUST_200600_302600_NS6detail15normal_iteratorINS8_10device_ptrIbEEEENSA_INSB_IiEEEEjNS1_19radix_merge_compareILb1ELb0EbNS0_19identity_decomposerEEEEE10hipError_tT0_T1_T2_jT3_P12ihipStream_tbPNSt15iterator_traitsISK_E10value_typeEPNSQ_ISL_E10value_typeEPSM_NS1_7vsmem_tEENKUlT_SK_SL_SM_E_clISD_PbSF_PiEESJ_SZ_SK_SL_SM_EUlSZ_E1_NS1_11comp_targetILNS1_3genE9ELNS1_11target_archE1100ELNS1_3gpuE3ELNS1_3repE0EEENS1_36merge_oddeven_config_static_selectorELNS0_4arch9wavefront6targetE1EEEvSL_
; %bb.0:
	.section	.rodata,"a",@progbits
	.p2align	6, 0x0
	.amdhsa_kernel _ZN7rocprim17ROCPRIM_400000_NS6detail17trampoline_kernelINS0_14default_configENS1_38merge_sort_block_merge_config_selectorIbiEEZZNS1_27merge_sort_block_merge_implIS3_N6thrust23THRUST_200600_302600_NS6detail15normal_iteratorINS8_10device_ptrIbEEEENSA_INSB_IiEEEEjNS1_19radix_merge_compareILb1ELb0EbNS0_19identity_decomposerEEEEE10hipError_tT0_T1_T2_jT3_P12ihipStream_tbPNSt15iterator_traitsISK_E10value_typeEPNSQ_ISL_E10value_typeEPSM_NS1_7vsmem_tEENKUlT_SK_SL_SM_E_clISD_PbSF_PiEESJ_SZ_SK_SL_SM_EUlSZ_E1_NS1_11comp_targetILNS1_3genE9ELNS1_11target_archE1100ELNS1_3gpuE3ELNS1_3repE0EEENS1_36merge_oddeven_config_static_selectorELNS0_4arch9wavefront6targetE1EEEvSL_
		.amdhsa_group_segment_fixed_size 0
		.amdhsa_private_segment_fixed_size 0
		.amdhsa_kernarg_size 48
		.amdhsa_user_sgpr_count 2
		.amdhsa_user_sgpr_dispatch_ptr 0
		.amdhsa_user_sgpr_queue_ptr 0
		.amdhsa_user_sgpr_kernarg_segment_ptr 1
		.amdhsa_user_sgpr_dispatch_id 0
		.amdhsa_user_sgpr_kernarg_preload_length 0
		.amdhsa_user_sgpr_kernarg_preload_offset 0
		.amdhsa_user_sgpr_private_segment_size 0
		.amdhsa_uses_dynamic_stack 0
		.amdhsa_enable_private_segment 0
		.amdhsa_system_sgpr_workgroup_id_x 1
		.amdhsa_system_sgpr_workgroup_id_y 0
		.amdhsa_system_sgpr_workgroup_id_z 0
		.amdhsa_system_sgpr_workgroup_info 0
		.amdhsa_system_vgpr_workitem_id 0
		.amdhsa_next_free_vgpr 1
		.amdhsa_next_free_sgpr 0
		.amdhsa_accum_offset 4
		.amdhsa_reserve_vcc 0
		.amdhsa_float_round_mode_32 0
		.amdhsa_float_round_mode_16_64 0
		.amdhsa_float_denorm_mode_32 3
		.amdhsa_float_denorm_mode_16_64 3
		.amdhsa_dx10_clamp 1
		.amdhsa_ieee_mode 1
		.amdhsa_fp16_overflow 0
		.amdhsa_tg_split 0
		.amdhsa_exception_fp_ieee_invalid_op 0
		.amdhsa_exception_fp_denorm_src 0
		.amdhsa_exception_fp_ieee_div_zero 0
		.amdhsa_exception_fp_ieee_overflow 0
		.amdhsa_exception_fp_ieee_underflow 0
		.amdhsa_exception_fp_ieee_inexact 0
		.amdhsa_exception_int_div_zero 0
	.end_amdhsa_kernel
	.section	.text._ZN7rocprim17ROCPRIM_400000_NS6detail17trampoline_kernelINS0_14default_configENS1_38merge_sort_block_merge_config_selectorIbiEEZZNS1_27merge_sort_block_merge_implIS3_N6thrust23THRUST_200600_302600_NS6detail15normal_iteratorINS8_10device_ptrIbEEEENSA_INSB_IiEEEEjNS1_19radix_merge_compareILb1ELb0EbNS0_19identity_decomposerEEEEE10hipError_tT0_T1_T2_jT3_P12ihipStream_tbPNSt15iterator_traitsISK_E10value_typeEPNSQ_ISL_E10value_typeEPSM_NS1_7vsmem_tEENKUlT_SK_SL_SM_E_clISD_PbSF_PiEESJ_SZ_SK_SL_SM_EUlSZ_E1_NS1_11comp_targetILNS1_3genE9ELNS1_11target_archE1100ELNS1_3gpuE3ELNS1_3repE0EEENS1_36merge_oddeven_config_static_selectorELNS0_4arch9wavefront6targetE1EEEvSL_,"axG",@progbits,_ZN7rocprim17ROCPRIM_400000_NS6detail17trampoline_kernelINS0_14default_configENS1_38merge_sort_block_merge_config_selectorIbiEEZZNS1_27merge_sort_block_merge_implIS3_N6thrust23THRUST_200600_302600_NS6detail15normal_iteratorINS8_10device_ptrIbEEEENSA_INSB_IiEEEEjNS1_19radix_merge_compareILb1ELb0EbNS0_19identity_decomposerEEEEE10hipError_tT0_T1_T2_jT3_P12ihipStream_tbPNSt15iterator_traitsISK_E10value_typeEPNSQ_ISL_E10value_typeEPSM_NS1_7vsmem_tEENKUlT_SK_SL_SM_E_clISD_PbSF_PiEESJ_SZ_SK_SL_SM_EUlSZ_E1_NS1_11comp_targetILNS1_3genE9ELNS1_11target_archE1100ELNS1_3gpuE3ELNS1_3repE0EEENS1_36merge_oddeven_config_static_selectorELNS0_4arch9wavefront6targetE1EEEvSL_,comdat
.Lfunc_end2150:
	.size	_ZN7rocprim17ROCPRIM_400000_NS6detail17trampoline_kernelINS0_14default_configENS1_38merge_sort_block_merge_config_selectorIbiEEZZNS1_27merge_sort_block_merge_implIS3_N6thrust23THRUST_200600_302600_NS6detail15normal_iteratorINS8_10device_ptrIbEEEENSA_INSB_IiEEEEjNS1_19radix_merge_compareILb1ELb0EbNS0_19identity_decomposerEEEEE10hipError_tT0_T1_T2_jT3_P12ihipStream_tbPNSt15iterator_traitsISK_E10value_typeEPNSQ_ISL_E10value_typeEPSM_NS1_7vsmem_tEENKUlT_SK_SL_SM_E_clISD_PbSF_PiEESJ_SZ_SK_SL_SM_EUlSZ_E1_NS1_11comp_targetILNS1_3genE9ELNS1_11target_archE1100ELNS1_3gpuE3ELNS1_3repE0EEENS1_36merge_oddeven_config_static_selectorELNS0_4arch9wavefront6targetE1EEEvSL_, .Lfunc_end2150-_ZN7rocprim17ROCPRIM_400000_NS6detail17trampoline_kernelINS0_14default_configENS1_38merge_sort_block_merge_config_selectorIbiEEZZNS1_27merge_sort_block_merge_implIS3_N6thrust23THRUST_200600_302600_NS6detail15normal_iteratorINS8_10device_ptrIbEEEENSA_INSB_IiEEEEjNS1_19radix_merge_compareILb1ELb0EbNS0_19identity_decomposerEEEEE10hipError_tT0_T1_T2_jT3_P12ihipStream_tbPNSt15iterator_traitsISK_E10value_typeEPNSQ_ISL_E10value_typeEPSM_NS1_7vsmem_tEENKUlT_SK_SL_SM_E_clISD_PbSF_PiEESJ_SZ_SK_SL_SM_EUlSZ_E1_NS1_11comp_targetILNS1_3genE9ELNS1_11target_archE1100ELNS1_3gpuE3ELNS1_3repE0EEENS1_36merge_oddeven_config_static_selectorELNS0_4arch9wavefront6targetE1EEEvSL_
                                        ; -- End function
	.set _ZN7rocprim17ROCPRIM_400000_NS6detail17trampoline_kernelINS0_14default_configENS1_38merge_sort_block_merge_config_selectorIbiEEZZNS1_27merge_sort_block_merge_implIS3_N6thrust23THRUST_200600_302600_NS6detail15normal_iteratorINS8_10device_ptrIbEEEENSA_INSB_IiEEEEjNS1_19radix_merge_compareILb1ELb0EbNS0_19identity_decomposerEEEEE10hipError_tT0_T1_T2_jT3_P12ihipStream_tbPNSt15iterator_traitsISK_E10value_typeEPNSQ_ISL_E10value_typeEPSM_NS1_7vsmem_tEENKUlT_SK_SL_SM_E_clISD_PbSF_PiEESJ_SZ_SK_SL_SM_EUlSZ_E1_NS1_11comp_targetILNS1_3genE9ELNS1_11target_archE1100ELNS1_3gpuE3ELNS1_3repE0EEENS1_36merge_oddeven_config_static_selectorELNS0_4arch9wavefront6targetE1EEEvSL_.num_vgpr, 0
	.set _ZN7rocprim17ROCPRIM_400000_NS6detail17trampoline_kernelINS0_14default_configENS1_38merge_sort_block_merge_config_selectorIbiEEZZNS1_27merge_sort_block_merge_implIS3_N6thrust23THRUST_200600_302600_NS6detail15normal_iteratorINS8_10device_ptrIbEEEENSA_INSB_IiEEEEjNS1_19radix_merge_compareILb1ELb0EbNS0_19identity_decomposerEEEEE10hipError_tT0_T1_T2_jT3_P12ihipStream_tbPNSt15iterator_traitsISK_E10value_typeEPNSQ_ISL_E10value_typeEPSM_NS1_7vsmem_tEENKUlT_SK_SL_SM_E_clISD_PbSF_PiEESJ_SZ_SK_SL_SM_EUlSZ_E1_NS1_11comp_targetILNS1_3genE9ELNS1_11target_archE1100ELNS1_3gpuE3ELNS1_3repE0EEENS1_36merge_oddeven_config_static_selectorELNS0_4arch9wavefront6targetE1EEEvSL_.num_agpr, 0
	.set _ZN7rocprim17ROCPRIM_400000_NS6detail17trampoline_kernelINS0_14default_configENS1_38merge_sort_block_merge_config_selectorIbiEEZZNS1_27merge_sort_block_merge_implIS3_N6thrust23THRUST_200600_302600_NS6detail15normal_iteratorINS8_10device_ptrIbEEEENSA_INSB_IiEEEEjNS1_19radix_merge_compareILb1ELb0EbNS0_19identity_decomposerEEEEE10hipError_tT0_T1_T2_jT3_P12ihipStream_tbPNSt15iterator_traitsISK_E10value_typeEPNSQ_ISL_E10value_typeEPSM_NS1_7vsmem_tEENKUlT_SK_SL_SM_E_clISD_PbSF_PiEESJ_SZ_SK_SL_SM_EUlSZ_E1_NS1_11comp_targetILNS1_3genE9ELNS1_11target_archE1100ELNS1_3gpuE3ELNS1_3repE0EEENS1_36merge_oddeven_config_static_selectorELNS0_4arch9wavefront6targetE1EEEvSL_.numbered_sgpr, 0
	.set _ZN7rocprim17ROCPRIM_400000_NS6detail17trampoline_kernelINS0_14default_configENS1_38merge_sort_block_merge_config_selectorIbiEEZZNS1_27merge_sort_block_merge_implIS3_N6thrust23THRUST_200600_302600_NS6detail15normal_iteratorINS8_10device_ptrIbEEEENSA_INSB_IiEEEEjNS1_19radix_merge_compareILb1ELb0EbNS0_19identity_decomposerEEEEE10hipError_tT0_T1_T2_jT3_P12ihipStream_tbPNSt15iterator_traitsISK_E10value_typeEPNSQ_ISL_E10value_typeEPSM_NS1_7vsmem_tEENKUlT_SK_SL_SM_E_clISD_PbSF_PiEESJ_SZ_SK_SL_SM_EUlSZ_E1_NS1_11comp_targetILNS1_3genE9ELNS1_11target_archE1100ELNS1_3gpuE3ELNS1_3repE0EEENS1_36merge_oddeven_config_static_selectorELNS0_4arch9wavefront6targetE1EEEvSL_.num_named_barrier, 0
	.set _ZN7rocprim17ROCPRIM_400000_NS6detail17trampoline_kernelINS0_14default_configENS1_38merge_sort_block_merge_config_selectorIbiEEZZNS1_27merge_sort_block_merge_implIS3_N6thrust23THRUST_200600_302600_NS6detail15normal_iteratorINS8_10device_ptrIbEEEENSA_INSB_IiEEEEjNS1_19radix_merge_compareILb1ELb0EbNS0_19identity_decomposerEEEEE10hipError_tT0_T1_T2_jT3_P12ihipStream_tbPNSt15iterator_traitsISK_E10value_typeEPNSQ_ISL_E10value_typeEPSM_NS1_7vsmem_tEENKUlT_SK_SL_SM_E_clISD_PbSF_PiEESJ_SZ_SK_SL_SM_EUlSZ_E1_NS1_11comp_targetILNS1_3genE9ELNS1_11target_archE1100ELNS1_3gpuE3ELNS1_3repE0EEENS1_36merge_oddeven_config_static_selectorELNS0_4arch9wavefront6targetE1EEEvSL_.private_seg_size, 0
	.set _ZN7rocprim17ROCPRIM_400000_NS6detail17trampoline_kernelINS0_14default_configENS1_38merge_sort_block_merge_config_selectorIbiEEZZNS1_27merge_sort_block_merge_implIS3_N6thrust23THRUST_200600_302600_NS6detail15normal_iteratorINS8_10device_ptrIbEEEENSA_INSB_IiEEEEjNS1_19radix_merge_compareILb1ELb0EbNS0_19identity_decomposerEEEEE10hipError_tT0_T1_T2_jT3_P12ihipStream_tbPNSt15iterator_traitsISK_E10value_typeEPNSQ_ISL_E10value_typeEPSM_NS1_7vsmem_tEENKUlT_SK_SL_SM_E_clISD_PbSF_PiEESJ_SZ_SK_SL_SM_EUlSZ_E1_NS1_11comp_targetILNS1_3genE9ELNS1_11target_archE1100ELNS1_3gpuE3ELNS1_3repE0EEENS1_36merge_oddeven_config_static_selectorELNS0_4arch9wavefront6targetE1EEEvSL_.uses_vcc, 0
	.set _ZN7rocprim17ROCPRIM_400000_NS6detail17trampoline_kernelINS0_14default_configENS1_38merge_sort_block_merge_config_selectorIbiEEZZNS1_27merge_sort_block_merge_implIS3_N6thrust23THRUST_200600_302600_NS6detail15normal_iteratorINS8_10device_ptrIbEEEENSA_INSB_IiEEEEjNS1_19radix_merge_compareILb1ELb0EbNS0_19identity_decomposerEEEEE10hipError_tT0_T1_T2_jT3_P12ihipStream_tbPNSt15iterator_traitsISK_E10value_typeEPNSQ_ISL_E10value_typeEPSM_NS1_7vsmem_tEENKUlT_SK_SL_SM_E_clISD_PbSF_PiEESJ_SZ_SK_SL_SM_EUlSZ_E1_NS1_11comp_targetILNS1_3genE9ELNS1_11target_archE1100ELNS1_3gpuE3ELNS1_3repE0EEENS1_36merge_oddeven_config_static_selectorELNS0_4arch9wavefront6targetE1EEEvSL_.uses_flat_scratch, 0
	.set _ZN7rocprim17ROCPRIM_400000_NS6detail17trampoline_kernelINS0_14default_configENS1_38merge_sort_block_merge_config_selectorIbiEEZZNS1_27merge_sort_block_merge_implIS3_N6thrust23THRUST_200600_302600_NS6detail15normal_iteratorINS8_10device_ptrIbEEEENSA_INSB_IiEEEEjNS1_19radix_merge_compareILb1ELb0EbNS0_19identity_decomposerEEEEE10hipError_tT0_T1_T2_jT3_P12ihipStream_tbPNSt15iterator_traitsISK_E10value_typeEPNSQ_ISL_E10value_typeEPSM_NS1_7vsmem_tEENKUlT_SK_SL_SM_E_clISD_PbSF_PiEESJ_SZ_SK_SL_SM_EUlSZ_E1_NS1_11comp_targetILNS1_3genE9ELNS1_11target_archE1100ELNS1_3gpuE3ELNS1_3repE0EEENS1_36merge_oddeven_config_static_selectorELNS0_4arch9wavefront6targetE1EEEvSL_.has_dyn_sized_stack, 0
	.set _ZN7rocprim17ROCPRIM_400000_NS6detail17trampoline_kernelINS0_14default_configENS1_38merge_sort_block_merge_config_selectorIbiEEZZNS1_27merge_sort_block_merge_implIS3_N6thrust23THRUST_200600_302600_NS6detail15normal_iteratorINS8_10device_ptrIbEEEENSA_INSB_IiEEEEjNS1_19radix_merge_compareILb1ELb0EbNS0_19identity_decomposerEEEEE10hipError_tT0_T1_T2_jT3_P12ihipStream_tbPNSt15iterator_traitsISK_E10value_typeEPNSQ_ISL_E10value_typeEPSM_NS1_7vsmem_tEENKUlT_SK_SL_SM_E_clISD_PbSF_PiEESJ_SZ_SK_SL_SM_EUlSZ_E1_NS1_11comp_targetILNS1_3genE9ELNS1_11target_archE1100ELNS1_3gpuE3ELNS1_3repE0EEENS1_36merge_oddeven_config_static_selectorELNS0_4arch9wavefront6targetE1EEEvSL_.has_recursion, 0
	.set _ZN7rocprim17ROCPRIM_400000_NS6detail17trampoline_kernelINS0_14default_configENS1_38merge_sort_block_merge_config_selectorIbiEEZZNS1_27merge_sort_block_merge_implIS3_N6thrust23THRUST_200600_302600_NS6detail15normal_iteratorINS8_10device_ptrIbEEEENSA_INSB_IiEEEEjNS1_19radix_merge_compareILb1ELb0EbNS0_19identity_decomposerEEEEE10hipError_tT0_T1_T2_jT3_P12ihipStream_tbPNSt15iterator_traitsISK_E10value_typeEPNSQ_ISL_E10value_typeEPSM_NS1_7vsmem_tEENKUlT_SK_SL_SM_E_clISD_PbSF_PiEESJ_SZ_SK_SL_SM_EUlSZ_E1_NS1_11comp_targetILNS1_3genE9ELNS1_11target_archE1100ELNS1_3gpuE3ELNS1_3repE0EEENS1_36merge_oddeven_config_static_selectorELNS0_4arch9wavefront6targetE1EEEvSL_.has_indirect_call, 0
	.section	.AMDGPU.csdata,"",@progbits
; Kernel info:
; codeLenInByte = 0
; TotalNumSgprs: 6
; NumVgprs: 0
; NumAgprs: 0
; TotalNumVgprs: 0
; ScratchSize: 0
; MemoryBound: 0
; FloatMode: 240
; IeeeMode: 1
; LDSByteSize: 0 bytes/workgroup (compile time only)
; SGPRBlocks: 0
; VGPRBlocks: 0
; NumSGPRsForWavesPerEU: 6
; NumVGPRsForWavesPerEU: 1
; AccumOffset: 4
; Occupancy: 8
; WaveLimiterHint : 0
; COMPUTE_PGM_RSRC2:SCRATCH_EN: 0
; COMPUTE_PGM_RSRC2:USER_SGPR: 2
; COMPUTE_PGM_RSRC2:TRAP_HANDLER: 0
; COMPUTE_PGM_RSRC2:TGID_X_EN: 1
; COMPUTE_PGM_RSRC2:TGID_Y_EN: 0
; COMPUTE_PGM_RSRC2:TGID_Z_EN: 0
; COMPUTE_PGM_RSRC2:TIDIG_COMP_CNT: 0
; COMPUTE_PGM_RSRC3_GFX90A:ACCUM_OFFSET: 0
; COMPUTE_PGM_RSRC3_GFX90A:TG_SPLIT: 0
	.section	.text._ZN7rocprim17ROCPRIM_400000_NS6detail17trampoline_kernelINS0_14default_configENS1_38merge_sort_block_merge_config_selectorIbiEEZZNS1_27merge_sort_block_merge_implIS3_N6thrust23THRUST_200600_302600_NS6detail15normal_iteratorINS8_10device_ptrIbEEEENSA_INSB_IiEEEEjNS1_19radix_merge_compareILb1ELb0EbNS0_19identity_decomposerEEEEE10hipError_tT0_T1_T2_jT3_P12ihipStream_tbPNSt15iterator_traitsISK_E10value_typeEPNSQ_ISL_E10value_typeEPSM_NS1_7vsmem_tEENKUlT_SK_SL_SM_E_clISD_PbSF_PiEESJ_SZ_SK_SL_SM_EUlSZ_E1_NS1_11comp_targetILNS1_3genE8ELNS1_11target_archE1030ELNS1_3gpuE2ELNS1_3repE0EEENS1_36merge_oddeven_config_static_selectorELNS0_4arch9wavefront6targetE1EEEvSL_,"axG",@progbits,_ZN7rocprim17ROCPRIM_400000_NS6detail17trampoline_kernelINS0_14default_configENS1_38merge_sort_block_merge_config_selectorIbiEEZZNS1_27merge_sort_block_merge_implIS3_N6thrust23THRUST_200600_302600_NS6detail15normal_iteratorINS8_10device_ptrIbEEEENSA_INSB_IiEEEEjNS1_19radix_merge_compareILb1ELb0EbNS0_19identity_decomposerEEEEE10hipError_tT0_T1_T2_jT3_P12ihipStream_tbPNSt15iterator_traitsISK_E10value_typeEPNSQ_ISL_E10value_typeEPSM_NS1_7vsmem_tEENKUlT_SK_SL_SM_E_clISD_PbSF_PiEESJ_SZ_SK_SL_SM_EUlSZ_E1_NS1_11comp_targetILNS1_3genE8ELNS1_11target_archE1030ELNS1_3gpuE2ELNS1_3repE0EEENS1_36merge_oddeven_config_static_selectorELNS0_4arch9wavefront6targetE1EEEvSL_,comdat
	.protected	_ZN7rocprim17ROCPRIM_400000_NS6detail17trampoline_kernelINS0_14default_configENS1_38merge_sort_block_merge_config_selectorIbiEEZZNS1_27merge_sort_block_merge_implIS3_N6thrust23THRUST_200600_302600_NS6detail15normal_iteratorINS8_10device_ptrIbEEEENSA_INSB_IiEEEEjNS1_19radix_merge_compareILb1ELb0EbNS0_19identity_decomposerEEEEE10hipError_tT0_T1_T2_jT3_P12ihipStream_tbPNSt15iterator_traitsISK_E10value_typeEPNSQ_ISL_E10value_typeEPSM_NS1_7vsmem_tEENKUlT_SK_SL_SM_E_clISD_PbSF_PiEESJ_SZ_SK_SL_SM_EUlSZ_E1_NS1_11comp_targetILNS1_3genE8ELNS1_11target_archE1030ELNS1_3gpuE2ELNS1_3repE0EEENS1_36merge_oddeven_config_static_selectorELNS0_4arch9wavefront6targetE1EEEvSL_ ; -- Begin function _ZN7rocprim17ROCPRIM_400000_NS6detail17trampoline_kernelINS0_14default_configENS1_38merge_sort_block_merge_config_selectorIbiEEZZNS1_27merge_sort_block_merge_implIS3_N6thrust23THRUST_200600_302600_NS6detail15normal_iteratorINS8_10device_ptrIbEEEENSA_INSB_IiEEEEjNS1_19radix_merge_compareILb1ELb0EbNS0_19identity_decomposerEEEEE10hipError_tT0_T1_T2_jT3_P12ihipStream_tbPNSt15iterator_traitsISK_E10value_typeEPNSQ_ISL_E10value_typeEPSM_NS1_7vsmem_tEENKUlT_SK_SL_SM_E_clISD_PbSF_PiEESJ_SZ_SK_SL_SM_EUlSZ_E1_NS1_11comp_targetILNS1_3genE8ELNS1_11target_archE1030ELNS1_3gpuE2ELNS1_3repE0EEENS1_36merge_oddeven_config_static_selectorELNS0_4arch9wavefront6targetE1EEEvSL_
	.globl	_ZN7rocprim17ROCPRIM_400000_NS6detail17trampoline_kernelINS0_14default_configENS1_38merge_sort_block_merge_config_selectorIbiEEZZNS1_27merge_sort_block_merge_implIS3_N6thrust23THRUST_200600_302600_NS6detail15normal_iteratorINS8_10device_ptrIbEEEENSA_INSB_IiEEEEjNS1_19radix_merge_compareILb1ELb0EbNS0_19identity_decomposerEEEEE10hipError_tT0_T1_T2_jT3_P12ihipStream_tbPNSt15iterator_traitsISK_E10value_typeEPNSQ_ISL_E10value_typeEPSM_NS1_7vsmem_tEENKUlT_SK_SL_SM_E_clISD_PbSF_PiEESJ_SZ_SK_SL_SM_EUlSZ_E1_NS1_11comp_targetILNS1_3genE8ELNS1_11target_archE1030ELNS1_3gpuE2ELNS1_3repE0EEENS1_36merge_oddeven_config_static_selectorELNS0_4arch9wavefront6targetE1EEEvSL_
	.p2align	8
	.type	_ZN7rocprim17ROCPRIM_400000_NS6detail17trampoline_kernelINS0_14default_configENS1_38merge_sort_block_merge_config_selectorIbiEEZZNS1_27merge_sort_block_merge_implIS3_N6thrust23THRUST_200600_302600_NS6detail15normal_iteratorINS8_10device_ptrIbEEEENSA_INSB_IiEEEEjNS1_19radix_merge_compareILb1ELb0EbNS0_19identity_decomposerEEEEE10hipError_tT0_T1_T2_jT3_P12ihipStream_tbPNSt15iterator_traitsISK_E10value_typeEPNSQ_ISL_E10value_typeEPSM_NS1_7vsmem_tEENKUlT_SK_SL_SM_E_clISD_PbSF_PiEESJ_SZ_SK_SL_SM_EUlSZ_E1_NS1_11comp_targetILNS1_3genE8ELNS1_11target_archE1030ELNS1_3gpuE2ELNS1_3repE0EEENS1_36merge_oddeven_config_static_selectorELNS0_4arch9wavefront6targetE1EEEvSL_,@function
_ZN7rocprim17ROCPRIM_400000_NS6detail17trampoline_kernelINS0_14default_configENS1_38merge_sort_block_merge_config_selectorIbiEEZZNS1_27merge_sort_block_merge_implIS3_N6thrust23THRUST_200600_302600_NS6detail15normal_iteratorINS8_10device_ptrIbEEEENSA_INSB_IiEEEEjNS1_19radix_merge_compareILb1ELb0EbNS0_19identity_decomposerEEEEE10hipError_tT0_T1_T2_jT3_P12ihipStream_tbPNSt15iterator_traitsISK_E10value_typeEPNSQ_ISL_E10value_typeEPSM_NS1_7vsmem_tEENKUlT_SK_SL_SM_E_clISD_PbSF_PiEESJ_SZ_SK_SL_SM_EUlSZ_E1_NS1_11comp_targetILNS1_3genE8ELNS1_11target_archE1030ELNS1_3gpuE2ELNS1_3repE0EEENS1_36merge_oddeven_config_static_selectorELNS0_4arch9wavefront6targetE1EEEvSL_: ; @_ZN7rocprim17ROCPRIM_400000_NS6detail17trampoline_kernelINS0_14default_configENS1_38merge_sort_block_merge_config_selectorIbiEEZZNS1_27merge_sort_block_merge_implIS3_N6thrust23THRUST_200600_302600_NS6detail15normal_iteratorINS8_10device_ptrIbEEEENSA_INSB_IiEEEEjNS1_19radix_merge_compareILb1ELb0EbNS0_19identity_decomposerEEEEE10hipError_tT0_T1_T2_jT3_P12ihipStream_tbPNSt15iterator_traitsISK_E10value_typeEPNSQ_ISL_E10value_typeEPSM_NS1_7vsmem_tEENKUlT_SK_SL_SM_E_clISD_PbSF_PiEESJ_SZ_SK_SL_SM_EUlSZ_E1_NS1_11comp_targetILNS1_3genE8ELNS1_11target_archE1030ELNS1_3gpuE2ELNS1_3repE0EEENS1_36merge_oddeven_config_static_selectorELNS0_4arch9wavefront6targetE1EEEvSL_
; %bb.0:
	.section	.rodata,"a",@progbits
	.p2align	6, 0x0
	.amdhsa_kernel _ZN7rocprim17ROCPRIM_400000_NS6detail17trampoline_kernelINS0_14default_configENS1_38merge_sort_block_merge_config_selectorIbiEEZZNS1_27merge_sort_block_merge_implIS3_N6thrust23THRUST_200600_302600_NS6detail15normal_iteratorINS8_10device_ptrIbEEEENSA_INSB_IiEEEEjNS1_19radix_merge_compareILb1ELb0EbNS0_19identity_decomposerEEEEE10hipError_tT0_T1_T2_jT3_P12ihipStream_tbPNSt15iterator_traitsISK_E10value_typeEPNSQ_ISL_E10value_typeEPSM_NS1_7vsmem_tEENKUlT_SK_SL_SM_E_clISD_PbSF_PiEESJ_SZ_SK_SL_SM_EUlSZ_E1_NS1_11comp_targetILNS1_3genE8ELNS1_11target_archE1030ELNS1_3gpuE2ELNS1_3repE0EEENS1_36merge_oddeven_config_static_selectorELNS0_4arch9wavefront6targetE1EEEvSL_
		.amdhsa_group_segment_fixed_size 0
		.amdhsa_private_segment_fixed_size 0
		.amdhsa_kernarg_size 48
		.amdhsa_user_sgpr_count 2
		.amdhsa_user_sgpr_dispatch_ptr 0
		.amdhsa_user_sgpr_queue_ptr 0
		.amdhsa_user_sgpr_kernarg_segment_ptr 1
		.amdhsa_user_sgpr_dispatch_id 0
		.amdhsa_user_sgpr_kernarg_preload_length 0
		.amdhsa_user_sgpr_kernarg_preload_offset 0
		.amdhsa_user_sgpr_private_segment_size 0
		.amdhsa_uses_dynamic_stack 0
		.amdhsa_enable_private_segment 0
		.amdhsa_system_sgpr_workgroup_id_x 1
		.amdhsa_system_sgpr_workgroup_id_y 0
		.amdhsa_system_sgpr_workgroup_id_z 0
		.amdhsa_system_sgpr_workgroup_info 0
		.amdhsa_system_vgpr_workitem_id 0
		.amdhsa_next_free_vgpr 1
		.amdhsa_next_free_sgpr 0
		.amdhsa_accum_offset 4
		.amdhsa_reserve_vcc 0
		.amdhsa_float_round_mode_32 0
		.amdhsa_float_round_mode_16_64 0
		.amdhsa_float_denorm_mode_32 3
		.amdhsa_float_denorm_mode_16_64 3
		.amdhsa_dx10_clamp 1
		.amdhsa_ieee_mode 1
		.amdhsa_fp16_overflow 0
		.amdhsa_tg_split 0
		.amdhsa_exception_fp_ieee_invalid_op 0
		.amdhsa_exception_fp_denorm_src 0
		.amdhsa_exception_fp_ieee_div_zero 0
		.amdhsa_exception_fp_ieee_overflow 0
		.amdhsa_exception_fp_ieee_underflow 0
		.amdhsa_exception_fp_ieee_inexact 0
		.amdhsa_exception_int_div_zero 0
	.end_amdhsa_kernel
	.section	.text._ZN7rocprim17ROCPRIM_400000_NS6detail17trampoline_kernelINS0_14default_configENS1_38merge_sort_block_merge_config_selectorIbiEEZZNS1_27merge_sort_block_merge_implIS3_N6thrust23THRUST_200600_302600_NS6detail15normal_iteratorINS8_10device_ptrIbEEEENSA_INSB_IiEEEEjNS1_19radix_merge_compareILb1ELb0EbNS0_19identity_decomposerEEEEE10hipError_tT0_T1_T2_jT3_P12ihipStream_tbPNSt15iterator_traitsISK_E10value_typeEPNSQ_ISL_E10value_typeEPSM_NS1_7vsmem_tEENKUlT_SK_SL_SM_E_clISD_PbSF_PiEESJ_SZ_SK_SL_SM_EUlSZ_E1_NS1_11comp_targetILNS1_3genE8ELNS1_11target_archE1030ELNS1_3gpuE2ELNS1_3repE0EEENS1_36merge_oddeven_config_static_selectorELNS0_4arch9wavefront6targetE1EEEvSL_,"axG",@progbits,_ZN7rocprim17ROCPRIM_400000_NS6detail17trampoline_kernelINS0_14default_configENS1_38merge_sort_block_merge_config_selectorIbiEEZZNS1_27merge_sort_block_merge_implIS3_N6thrust23THRUST_200600_302600_NS6detail15normal_iteratorINS8_10device_ptrIbEEEENSA_INSB_IiEEEEjNS1_19radix_merge_compareILb1ELb0EbNS0_19identity_decomposerEEEEE10hipError_tT0_T1_T2_jT3_P12ihipStream_tbPNSt15iterator_traitsISK_E10value_typeEPNSQ_ISL_E10value_typeEPSM_NS1_7vsmem_tEENKUlT_SK_SL_SM_E_clISD_PbSF_PiEESJ_SZ_SK_SL_SM_EUlSZ_E1_NS1_11comp_targetILNS1_3genE8ELNS1_11target_archE1030ELNS1_3gpuE2ELNS1_3repE0EEENS1_36merge_oddeven_config_static_selectorELNS0_4arch9wavefront6targetE1EEEvSL_,comdat
.Lfunc_end2151:
	.size	_ZN7rocprim17ROCPRIM_400000_NS6detail17trampoline_kernelINS0_14default_configENS1_38merge_sort_block_merge_config_selectorIbiEEZZNS1_27merge_sort_block_merge_implIS3_N6thrust23THRUST_200600_302600_NS6detail15normal_iteratorINS8_10device_ptrIbEEEENSA_INSB_IiEEEEjNS1_19radix_merge_compareILb1ELb0EbNS0_19identity_decomposerEEEEE10hipError_tT0_T1_T2_jT3_P12ihipStream_tbPNSt15iterator_traitsISK_E10value_typeEPNSQ_ISL_E10value_typeEPSM_NS1_7vsmem_tEENKUlT_SK_SL_SM_E_clISD_PbSF_PiEESJ_SZ_SK_SL_SM_EUlSZ_E1_NS1_11comp_targetILNS1_3genE8ELNS1_11target_archE1030ELNS1_3gpuE2ELNS1_3repE0EEENS1_36merge_oddeven_config_static_selectorELNS0_4arch9wavefront6targetE1EEEvSL_, .Lfunc_end2151-_ZN7rocprim17ROCPRIM_400000_NS6detail17trampoline_kernelINS0_14default_configENS1_38merge_sort_block_merge_config_selectorIbiEEZZNS1_27merge_sort_block_merge_implIS3_N6thrust23THRUST_200600_302600_NS6detail15normal_iteratorINS8_10device_ptrIbEEEENSA_INSB_IiEEEEjNS1_19radix_merge_compareILb1ELb0EbNS0_19identity_decomposerEEEEE10hipError_tT0_T1_T2_jT3_P12ihipStream_tbPNSt15iterator_traitsISK_E10value_typeEPNSQ_ISL_E10value_typeEPSM_NS1_7vsmem_tEENKUlT_SK_SL_SM_E_clISD_PbSF_PiEESJ_SZ_SK_SL_SM_EUlSZ_E1_NS1_11comp_targetILNS1_3genE8ELNS1_11target_archE1030ELNS1_3gpuE2ELNS1_3repE0EEENS1_36merge_oddeven_config_static_selectorELNS0_4arch9wavefront6targetE1EEEvSL_
                                        ; -- End function
	.set _ZN7rocprim17ROCPRIM_400000_NS6detail17trampoline_kernelINS0_14default_configENS1_38merge_sort_block_merge_config_selectorIbiEEZZNS1_27merge_sort_block_merge_implIS3_N6thrust23THRUST_200600_302600_NS6detail15normal_iteratorINS8_10device_ptrIbEEEENSA_INSB_IiEEEEjNS1_19radix_merge_compareILb1ELb0EbNS0_19identity_decomposerEEEEE10hipError_tT0_T1_T2_jT3_P12ihipStream_tbPNSt15iterator_traitsISK_E10value_typeEPNSQ_ISL_E10value_typeEPSM_NS1_7vsmem_tEENKUlT_SK_SL_SM_E_clISD_PbSF_PiEESJ_SZ_SK_SL_SM_EUlSZ_E1_NS1_11comp_targetILNS1_3genE8ELNS1_11target_archE1030ELNS1_3gpuE2ELNS1_3repE0EEENS1_36merge_oddeven_config_static_selectorELNS0_4arch9wavefront6targetE1EEEvSL_.num_vgpr, 0
	.set _ZN7rocprim17ROCPRIM_400000_NS6detail17trampoline_kernelINS0_14default_configENS1_38merge_sort_block_merge_config_selectorIbiEEZZNS1_27merge_sort_block_merge_implIS3_N6thrust23THRUST_200600_302600_NS6detail15normal_iteratorINS8_10device_ptrIbEEEENSA_INSB_IiEEEEjNS1_19radix_merge_compareILb1ELb0EbNS0_19identity_decomposerEEEEE10hipError_tT0_T1_T2_jT3_P12ihipStream_tbPNSt15iterator_traitsISK_E10value_typeEPNSQ_ISL_E10value_typeEPSM_NS1_7vsmem_tEENKUlT_SK_SL_SM_E_clISD_PbSF_PiEESJ_SZ_SK_SL_SM_EUlSZ_E1_NS1_11comp_targetILNS1_3genE8ELNS1_11target_archE1030ELNS1_3gpuE2ELNS1_3repE0EEENS1_36merge_oddeven_config_static_selectorELNS0_4arch9wavefront6targetE1EEEvSL_.num_agpr, 0
	.set _ZN7rocprim17ROCPRIM_400000_NS6detail17trampoline_kernelINS0_14default_configENS1_38merge_sort_block_merge_config_selectorIbiEEZZNS1_27merge_sort_block_merge_implIS3_N6thrust23THRUST_200600_302600_NS6detail15normal_iteratorINS8_10device_ptrIbEEEENSA_INSB_IiEEEEjNS1_19radix_merge_compareILb1ELb0EbNS0_19identity_decomposerEEEEE10hipError_tT0_T1_T2_jT3_P12ihipStream_tbPNSt15iterator_traitsISK_E10value_typeEPNSQ_ISL_E10value_typeEPSM_NS1_7vsmem_tEENKUlT_SK_SL_SM_E_clISD_PbSF_PiEESJ_SZ_SK_SL_SM_EUlSZ_E1_NS1_11comp_targetILNS1_3genE8ELNS1_11target_archE1030ELNS1_3gpuE2ELNS1_3repE0EEENS1_36merge_oddeven_config_static_selectorELNS0_4arch9wavefront6targetE1EEEvSL_.numbered_sgpr, 0
	.set _ZN7rocprim17ROCPRIM_400000_NS6detail17trampoline_kernelINS0_14default_configENS1_38merge_sort_block_merge_config_selectorIbiEEZZNS1_27merge_sort_block_merge_implIS3_N6thrust23THRUST_200600_302600_NS6detail15normal_iteratorINS8_10device_ptrIbEEEENSA_INSB_IiEEEEjNS1_19radix_merge_compareILb1ELb0EbNS0_19identity_decomposerEEEEE10hipError_tT0_T1_T2_jT3_P12ihipStream_tbPNSt15iterator_traitsISK_E10value_typeEPNSQ_ISL_E10value_typeEPSM_NS1_7vsmem_tEENKUlT_SK_SL_SM_E_clISD_PbSF_PiEESJ_SZ_SK_SL_SM_EUlSZ_E1_NS1_11comp_targetILNS1_3genE8ELNS1_11target_archE1030ELNS1_3gpuE2ELNS1_3repE0EEENS1_36merge_oddeven_config_static_selectorELNS0_4arch9wavefront6targetE1EEEvSL_.num_named_barrier, 0
	.set _ZN7rocprim17ROCPRIM_400000_NS6detail17trampoline_kernelINS0_14default_configENS1_38merge_sort_block_merge_config_selectorIbiEEZZNS1_27merge_sort_block_merge_implIS3_N6thrust23THRUST_200600_302600_NS6detail15normal_iteratorINS8_10device_ptrIbEEEENSA_INSB_IiEEEEjNS1_19radix_merge_compareILb1ELb0EbNS0_19identity_decomposerEEEEE10hipError_tT0_T1_T2_jT3_P12ihipStream_tbPNSt15iterator_traitsISK_E10value_typeEPNSQ_ISL_E10value_typeEPSM_NS1_7vsmem_tEENKUlT_SK_SL_SM_E_clISD_PbSF_PiEESJ_SZ_SK_SL_SM_EUlSZ_E1_NS1_11comp_targetILNS1_3genE8ELNS1_11target_archE1030ELNS1_3gpuE2ELNS1_3repE0EEENS1_36merge_oddeven_config_static_selectorELNS0_4arch9wavefront6targetE1EEEvSL_.private_seg_size, 0
	.set _ZN7rocprim17ROCPRIM_400000_NS6detail17trampoline_kernelINS0_14default_configENS1_38merge_sort_block_merge_config_selectorIbiEEZZNS1_27merge_sort_block_merge_implIS3_N6thrust23THRUST_200600_302600_NS6detail15normal_iteratorINS8_10device_ptrIbEEEENSA_INSB_IiEEEEjNS1_19radix_merge_compareILb1ELb0EbNS0_19identity_decomposerEEEEE10hipError_tT0_T1_T2_jT3_P12ihipStream_tbPNSt15iterator_traitsISK_E10value_typeEPNSQ_ISL_E10value_typeEPSM_NS1_7vsmem_tEENKUlT_SK_SL_SM_E_clISD_PbSF_PiEESJ_SZ_SK_SL_SM_EUlSZ_E1_NS1_11comp_targetILNS1_3genE8ELNS1_11target_archE1030ELNS1_3gpuE2ELNS1_3repE0EEENS1_36merge_oddeven_config_static_selectorELNS0_4arch9wavefront6targetE1EEEvSL_.uses_vcc, 0
	.set _ZN7rocprim17ROCPRIM_400000_NS6detail17trampoline_kernelINS0_14default_configENS1_38merge_sort_block_merge_config_selectorIbiEEZZNS1_27merge_sort_block_merge_implIS3_N6thrust23THRUST_200600_302600_NS6detail15normal_iteratorINS8_10device_ptrIbEEEENSA_INSB_IiEEEEjNS1_19radix_merge_compareILb1ELb0EbNS0_19identity_decomposerEEEEE10hipError_tT0_T1_T2_jT3_P12ihipStream_tbPNSt15iterator_traitsISK_E10value_typeEPNSQ_ISL_E10value_typeEPSM_NS1_7vsmem_tEENKUlT_SK_SL_SM_E_clISD_PbSF_PiEESJ_SZ_SK_SL_SM_EUlSZ_E1_NS1_11comp_targetILNS1_3genE8ELNS1_11target_archE1030ELNS1_3gpuE2ELNS1_3repE0EEENS1_36merge_oddeven_config_static_selectorELNS0_4arch9wavefront6targetE1EEEvSL_.uses_flat_scratch, 0
	.set _ZN7rocprim17ROCPRIM_400000_NS6detail17trampoline_kernelINS0_14default_configENS1_38merge_sort_block_merge_config_selectorIbiEEZZNS1_27merge_sort_block_merge_implIS3_N6thrust23THRUST_200600_302600_NS6detail15normal_iteratorINS8_10device_ptrIbEEEENSA_INSB_IiEEEEjNS1_19radix_merge_compareILb1ELb0EbNS0_19identity_decomposerEEEEE10hipError_tT0_T1_T2_jT3_P12ihipStream_tbPNSt15iterator_traitsISK_E10value_typeEPNSQ_ISL_E10value_typeEPSM_NS1_7vsmem_tEENKUlT_SK_SL_SM_E_clISD_PbSF_PiEESJ_SZ_SK_SL_SM_EUlSZ_E1_NS1_11comp_targetILNS1_3genE8ELNS1_11target_archE1030ELNS1_3gpuE2ELNS1_3repE0EEENS1_36merge_oddeven_config_static_selectorELNS0_4arch9wavefront6targetE1EEEvSL_.has_dyn_sized_stack, 0
	.set _ZN7rocprim17ROCPRIM_400000_NS6detail17trampoline_kernelINS0_14default_configENS1_38merge_sort_block_merge_config_selectorIbiEEZZNS1_27merge_sort_block_merge_implIS3_N6thrust23THRUST_200600_302600_NS6detail15normal_iteratorINS8_10device_ptrIbEEEENSA_INSB_IiEEEEjNS1_19radix_merge_compareILb1ELb0EbNS0_19identity_decomposerEEEEE10hipError_tT0_T1_T2_jT3_P12ihipStream_tbPNSt15iterator_traitsISK_E10value_typeEPNSQ_ISL_E10value_typeEPSM_NS1_7vsmem_tEENKUlT_SK_SL_SM_E_clISD_PbSF_PiEESJ_SZ_SK_SL_SM_EUlSZ_E1_NS1_11comp_targetILNS1_3genE8ELNS1_11target_archE1030ELNS1_3gpuE2ELNS1_3repE0EEENS1_36merge_oddeven_config_static_selectorELNS0_4arch9wavefront6targetE1EEEvSL_.has_recursion, 0
	.set _ZN7rocprim17ROCPRIM_400000_NS6detail17trampoline_kernelINS0_14default_configENS1_38merge_sort_block_merge_config_selectorIbiEEZZNS1_27merge_sort_block_merge_implIS3_N6thrust23THRUST_200600_302600_NS6detail15normal_iteratorINS8_10device_ptrIbEEEENSA_INSB_IiEEEEjNS1_19radix_merge_compareILb1ELb0EbNS0_19identity_decomposerEEEEE10hipError_tT0_T1_T2_jT3_P12ihipStream_tbPNSt15iterator_traitsISK_E10value_typeEPNSQ_ISL_E10value_typeEPSM_NS1_7vsmem_tEENKUlT_SK_SL_SM_E_clISD_PbSF_PiEESJ_SZ_SK_SL_SM_EUlSZ_E1_NS1_11comp_targetILNS1_3genE8ELNS1_11target_archE1030ELNS1_3gpuE2ELNS1_3repE0EEENS1_36merge_oddeven_config_static_selectorELNS0_4arch9wavefront6targetE1EEEvSL_.has_indirect_call, 0
	.section	.AMDGPU.csdata,"",@progbits
; Kernel info:
; codeLenInByte = 0
; TotalNumSgprs: 6
; NumVgprs: 0
; NumAgprs: 0
; TotalNumVgprs: 0
; ScratchSize: 0
; MemoryBound: 0
; FloatMode: 240
; IeeeMode: 1
; LDSByteSize: 0 bytes/workgroup (compile time only)
; SGPRBlocks: 0
; VGPRBlocks: 0
; NumSGPRsForWavesPerEU: 6
; NumVGPRsForWavesPerEU: 1
; AccumOffset: 4
; Occupancy: 8
; WaveLimiterHint : 0
; COMPUTE_PGM_RSRC2:SCRATCH_EN: 0
; COMPUTE_PGM_RSRC2:USER_SGPR: 2
; COMPUTE_PGM_RSRC2:TRAP_HANDLER: 0
; COMPUTE_PGM_RSRC2:TGID_X_EN: 1
; COMPUTE_PGM_RSRC2:TGID_Y_EN: 0
; COMPUTE_PGM_RSRC2:TGID_Z_EN: 0
; COMPUTE_PGM_RSRC2:TIDIG_COMP_CNT: 0
; COMPUTE_PGM_RSRC3_GFX90A:ACCUM_OFFSET: 0
; COMPUTE_PGM_RSRC3_GFX90A:TG_SPLIT: 0
	.section	.text._ZN7rocprim17ROCPRIM_400000_NS6detail17trampoline_kernelINS0_14default_configENS1_38merge_sort_block_merge_config_selectorIbiEEZZNS1_27merge_sort_block_merge_implIS3_N6thrust23THRUST_200600_302600_NS6detail15normal_iteratorINS8_10device_ptrIbEEEENSA_INSB_IiEEEEjNS1_19radix_merge_compareILb1ELb1EbNS0_19identity_decomposerEEEEE10hipError_tT0_T1_T2_jT3_P12ihipStream_tbPNSt15iterator_traitsISK_E10value_typeEPNSQ_ISL_E10value_typeEPSM_NS1_7vsmem_tEENKUlT_SK_SL_SM_E_clIPbSD_PiSF_EESJ_SZ_SK_SL_SM_EUlSZ_E_NS1_11comp_targetILNS1_3genE0ELNS1_11target_archE4294967295ELNS1_3gpuE0ELNS1_3repE0EEENS1_48merge_mergepath_partition_config_static_selectorELNS0_4arch9wavefront6targetE1EEEvSL_,"axG",@progbits,_ZN7rocprim17ROCPRIM_400000_NS6detail17trampoline_kernelINS0_14default_configENS1_38merge_sort_block_merge_config_selectorIbiEEZZNS1_27merge_sort_block_merge_implIS3_N6thrust23THRUST_200600_302600_NS6detail15normal_iteratorINS8_10device_ptrIbEEEENSA_INSB_IiEEEEjNS1_19radix_merge_compareILb1ELb1EbNS0_19identity_decomposerEEEEE10hipError_tT0_T1_T2_jT3_P12ihipStream_tbPNSt15iterator_traitsISK_E10value_typeEPNSQ_ISL_E10value_typeEPSM_NS1_7vsmem_tEENKUlT_SK_SL_SM_E_clIPbSD_PiSF_EESJ_SZ_SK_SL_SM_EUlSZ_E_NS1_11comp_targetILNS1_3genE0ELNS1_11target_archE4294967295ELNS1_3gpuE0ELNS1_3repE0EEENS1_48merge_mergepath_partition_config_static_selectorELNS0_4arch9wavefront6targetE1EEEvSL_,comdat
	.protected	_ZN7rocprim17ROCPRIM_400000_NS6detail17trampoline_kernelINS0_14default_configENS1_38merge_sort_block_merge_config_selectorIbiEEZZNS1_27merge_sort_block_merge_implIS3_N6thrust23THRUST_200600_302600_NS6detail15normal_iteratorINS8_10device_ptrIbEEEENSA_INSB_IiEEEEjNS1_19radix_merge_compareILb1ELb1EbNS0_19identity_decomposerEEEEE10hipError_tT0_T1_T2_jT3_P12ihipStream_tbPNSt15iterator_traitsISK_E10value_typeEPNSQ_ISL_E10value_typeEPSM_NS1_7vsmem_tEENKUlT_SK_SL_SM_E_clIPbSD_PiSF_EESJ_SZ_SK_SL_SM_EUlSZ_E_NS1_11comp_targetILNS1_3genE0ELNS1_11target_archE4294967295ELNS1_3gpuE0ELNS1_3repE0EEENS1_48merge_mergepath_partition_config_static_selectorELNS0_4arch9wavefront6targetE1EEEvSL_ ; -- Begin function _ZN7rocprim17ROCPRIM_400000_NS6detail17trampoline_kernelINS0_14default_configENS1_38merge_sort_block_merge_config_selectorIbiEEZZNS1_27merge_sort_block_merge_implIS3_N6thrust23THRUST_200600_302600_NS6detail15normal_iteratorINS8_10device_ptrIbEEEENSA_INSB_IiEEEEjNS1_19radix_merge_compareILb1ELb1EbNS0_19identity_decomposerEEEEE10hipError_tT0_T1_T2_jT3_P12ihipStream_tbPNSt15iterator_traitsISK_E10value_typeEPNSQ_ISL_E10value_typeEPSM_NS1_7vsmem_tEENKUlT_SK_SL_SM_E_clIPbSD_PiSF_EESJ_SZ_SK_SL_SM_EUlSZ_E_NS1_11comp_targetILNS1_3genE0ELNS1_11target_archE4294967295ELNS1_3gpuE0ELNS1_3repE0EEENS1_48merge_mergepath_partition_config_static_selectorELNS0_4arch9wavefront6targetE1EEEvSL_
	.globl	_ZN7rocprim17ROCPRIM_400000_NS6detail17trampoline_kernelINS0_14default_configENS1_38merge_sort_block_merge_config_selectorIbiEEZZNS1_27merge_sort_block_merge_implIS3_N6thrust23THRUST_200600_302600_NS6detail15normal_iteratorINS8_10device_ptrIbEEEENSA_INSB_IiEEEEjNS1_19radix_merge_compareILb1ELb1EbNS0_19identity_decomposerEEEEE10hipError_tT0_T1_T2_jT3_P12ihipStream_tbPNSt15iterator_traitsISK_E10value_typeEPNSQ_ISL_E10value_typeEPSM_NS1_7vsmem_tEENKUlT_SK_SL_SM_E_clIPbSD_PiSF_EESJ_SZ_SK_SL_SM_EUlSZ_E_NS1_11comp_targetILNS1_3genE0ELNS1_11target_archE4294967295ELNS1_3gpuE0ELNS1_3repE0EEENS1_48merge_mergepath_partition_config_static_selectorELNS0_4arch9wavefront6targetE1EEEvSL_
	.p2align	8
	.type	_ZN7rocprim17ROCPRIM_400000_NS6detail17trampoline_kernelINS0_14default_configENS1_38merge_sort_block_merge_config_selectorIbiEEZZNS1_27merge_sort_block_merge_implIS3_N6thrust23THRUST_200600_302600_NS6detail15normal_iteratorINS8_10device_ptrIbEEEENSA_INSB_IiEEEEjNS1_19radix_merge_compareILb1ELb1EbNS0_19identity_decomposerEEEEE10hipError_tT0_T1_T2_jT3_P12ihipStream_tbPNSt15iterator_traitsISK_E10value_typeEPNSQ_ISL_E10value_typeEPSM_NS1_7vsmem_tEENKUlT_SK_SL_SM_E_clIPbSD_PiSF_EESJ_SZ_SK_SL_SM_EUlSZ_E_NS1_11comp_targetILNS1_3genE0ELNS1_11target_archE4294967295ELNS1_3gpuE0ELNS1_3repE0EEENS1_48merge_mergepath_partition_config_static_selectorELNS0_4arch9wavefront6targetE1EEEvSL_,@function
_ZN7rocprim17ROCPRIM_400000_NS6detail17trampoline_kernelINS0_14default_configENS1_38merge_sort_block_merge_config_selectorIbiEEZZNS1_27merge_sort_block_merge_implIS3_N6thrust23THRUST_200600_302600_NS6detail15normal_iteratorINS8_10device_ptrIbEEEENSA_INSB_IiEEEEjNS1_19radix_merge_compareILb1ELb1EbNS0_19identity_decomposerEEEEE10hipError_tT0_T1_T2_jT3_P12ihipStream_tbPNSt15iterator_traitsISK_E10value_typeEPNSQ_ISL_E10value_typeEPSM_NS1_7vsmem_tEENKUlT_SK_SL_SM_E_clIPbSD_PiSF_EESJ_SZ_SK_SL_SM_EUlSZ_E_NS1_11comp_targetILNS1_3genE0ELNS1_11target_archE4294967295ELNS1_3gpuE0ELNS1_3repE0EEENS1_48merge_mergepath_partition_config_static_selectorELNS0_4arch9wavefront6targetE1EEEvSL_: ; @_ZN7rocprim17ROCPRIM_400000_NS6detail17trampoline_kernelINS0_14default_configENS1_38merge_sort_block_merge_config_selectorIbiEEZZNS1_27merge_sort_block_merge_implIS3_N6thrust23THRUST_200600_302600_NS6detail15normal_iteratorINS8_10device_ptrIbEEEENSA_INSB_IiEEEEjNS1_19radix_merge_compareILb1ELb1EbNS0_19identity_decomposerEEEEE10hipError_tT0_T1_T2_jT3_P12ihipStream_tbPNSt15iterator_traitsISK_E10value_typeEPNSQ_ISL_E10value_typeEPSM_NS1_7vsmem_tEENKUlT_SK_SL_SM_E_clIPbSD_PiSF_EESJ_SZ_SK_SL_SM_EUlSZ_E_NS1_11comp_targetILNS1_3genE0ELNS1_11target_archE4294967295ELNS1_3gpuE0ELNS1_3repE0EEENS1_48merge_mergepath_partition_config_static_selectorELNS0_4arch9wavefront6targetE1EEEvSL_
; %bb.0:
	s_load_dword s5, s[2:3], 0x0
	v_and_b32_e32 v1, 0x3ff, v0
	v_lshl_or_b32 v2, s4, 7, v1
	s_waitcnt lgkmcnt(0)
	v_cmp_gt_u32_e32 vcc, s5, v2
	s_and_saveexec_b64 s[4:5], vcc
	s_cbranch_execz .LBB2152_6
; %bb.1:
	s_load_dwordx2 s[4:5], s[0:1], 0x4
	s_load_dwordx2 s[6:7], s[2:3], 0x4
	v_bfe_u32 v3, v0, 10, 10
	v_bfe_u32 v0, v0, 20, 10
	s_waitcnt lgkmcnt(0)
	s_lshr_b32 s0, s4, 16
	v_mul_u32_u24_e32 v3, s5, v3
	s_mul_i32 s0, s0, s5
	s_lshr_b32 s5, s6, 9
	s_and_b32 s5, s5, 0x7ffffe
	v_mul_u32_u24_e32 v1, s0, v1
	s_add_i32 s8, s5, -1
	s_sub_i32 s5, 0, s5
	v_add3_u32 v1, v1, v3, v0
	v_and_b32_e32 v0, s5, v2
	v_lshlrev_b32_e32 v4, 10, v0
	v_min_u32_e32 v0, s7, v4
	v_add_u32_e32 v4, s6, v4
	s_load_dwordx2 s[0:1], s[2:3], 0x20
	s_load_dword s4, s[2:3], 0x18
	v_min_u32_e32 v4, s7, v4
	v_add_u32_e32 v5, s6, v4
	v_and_b32_e32 v3, s8, v2
	v_min_u32_e32 v5, s7, v5
	v_sub_u32_e32 v6, v5, v0
	v_lshlrev_b32_e32 v3, 10, v3
	v_min_u32_e32 v10, v6, v3
	v_sub_u32_e32 v6, v4, v0
	v_sub_u32_e32 v3, v5, v4
	s_waitcnt lgkmcnt(0)
	s_and_b32 s4, s4, 1
	v_sub_u32_e64 v3, v10, v3 clamp
	v_min_u32_e32 v11, v10, v6
	v_mov_b32_e32 v5, s4
	v_cmp_lt_u32_e32 vcc, v3, v11
	ds_write_b8 v1, v5
	s_and_saveexec_b64 s[4:5], vcc
	s_cbranch_execz .LBB2152_5
; %bb.2:
	s_load_dwordx2 s[2:3], s[2:3], 0x10
	ds_read_u8 v12, v1
	v_mov_b32_e32 v5, 0
	v_mov_b32_e32 v1, v5
	s_waitcnt lgkmcnt(0)
	v_lshl_add_u64 v[6:7], s[2:3], 0, v[0:1]
	v_lshl_add_u64 v[8:9], s[2:3], 0, v[4:5]
	s_mov_b64 s[2:3], 0
.LBB2152_3:                             ; =>This Inner Loop Header: Depth=1
	v_add_u32_e32 v1, v11, v3
	v_lshrrev_b32_e32 v4, 1, v1
	v_mov_b32_e32 v15, v5
	v_xad_u32 v14, v4, -1, v10
	v_lshl_add_u64 v[16:17], v[6:7], 0, v[4:5]
	v_lshl_add_u64 v[14:15], v[8:9], 0, v[14:15]
	global_load_ubyte v1, v[16:17], off
	global_load_ubyte v13, v[14:15], off
	v_add_u32_e32 v14, 1, v4
	s_waitcnt vmcnt(1)
	v_bitop3_b16 v1, v1, 1, v12 bitop3:0x80
	s_waitcnt vmcnt(0)
	v_bitop3_b16 v13, v13, 1, v12 bitop3:0x80
	v_cmp_gt_u16_e32 vcc, v13, v1
	s_nop 1
	v_cndmask_b32_e32 v11, v11, v4, vcc
	v_cndmask_b32_e32 v3, v14, v3, vcc
	v_cmp_ge_u32_e32 vcc, v3, v11
	s_or_b64 s[2:3], vcc, s[2:3]
	s_andn2_b64 exec, exec, s[2:3]
	s_cbranch_execnz .LBB2152_3
; %bb.4:
	s_or_b64 exec, exec, s[2:3]
.LBB2152_5:
	s_or_b64 exec, exec, s[4:5]
	v_add_u32_e32 v4, v3, v0
	v_mov_b32_e32 v3, 0
	v_lshl_add_u64 v[0:1], v[2:3], 2, s[0:1]
	global_store_dword v[0:1], v4, off
.LBB2152_6:
	s_endpgm
	.section	.rodata,"a",@progbits
	.p2align	6, 0x0
	.amdhsa_kernel _ZN7rocprim17ROCPRIM_400000_NS6detail17trampoline_kernelINS0_14default_configENS1_38merge_sort_block_merge_config_selectorIbiEEZZNS1_27merge_sort_block_merge_implIS3_N6thrust23THRUST_200600_302600_NS6detail15normal_iteratorINS8_10device_ptrIbEEEENSA_INSB_IiEEEEjNS1_19radix_merge_compareILb1ELb1EbNS0_19identity_decomposerEEEEE10hipError_tT0_T1_T2_jT3_P12ihipStream_tbPNSt15iterator_traitsISK_E10value_typeEPNSQ_ISL_E10value_typeEPSM_NS1_7vsmem_tEENKUlT_SK_SL_SM_E_clIPbSD_PiSF_EESJ_SZ_SK_SL_SM_EUlSZ_E_NS1_11comp_targetILNS1_3genE0ELNS1_11target_archE4294967295ELNS1_3gpuE0ELNS1_3repE0EEENS1_48merge_mergepath_partition_config_static_selectorELNS0_4arch9wavefront6targetE1EEEvSL_
		.amdhsa_group_segment_fixed_size 128
		.amdhsa_private_segment_fixed_size 0
		.amdhsa_kernarg_size 40
		.amdhsa_user_sgpr_count 4
		.amdhsa_user_sgpr_dispatch_ptr 1
		.amdhsa_user_sgpr_queue_ptr 0
		.amdhsa_user_sgpr_kernarg_segment_ptr 1
		.amdhsa_user_sgpr_dispatch_id 0
		.amdhsa_user_sgpr_kernarg_preload_length 0
		.amdhsa_user_sgpr_kernarg_preload_offset 0
		.amdhsa_user_sgpr_private_segment_size 0
		.amdhsa_uses_dynamic_stack 0
		.amdhsa_enable_private_segment 0
		.amdhsa_system_sgpr_workgroup_id_x 1
		.amdhsa_system_sgpr_workgroup_id_y 0
		.amdhsa_system_sgpr_workgroup_id_z 0
		.amdhsa_system_sgpr_workgroup_info 0
		.amdhsa_system_vgpr_workitem_id 2
		.amdhsa_next_free_vgpr 18
		.amdhsa_next_free_sgpr 9
		.amdhsa_accum_offset 20
		.amdhsa_reserve_vcc 1
		.amdhsa_float_round_mode_32 0
		.amdhsa_float_round_mode_16_64 0
		.amdhsa_float_denorm_mode_32 3
		.amdhsa_float_denorm_mode_16_64 3
		.amdhsa_dx10_clamp 1
		.amdhsa_ieee_mode 1
		.amdhsa_fp16_overflow 0
		.amdhsa_tg_split 0
		.amdhsa_exception_fp_ieee_invalid_op 0
		.amdhsa_exception_fp_denorm_src 0
		.amdhsa_exception_fp_ieee_div_zero 0
		.amdhsa_exception_fp_ieee_overflow 0
		.amdhsa_exception_fp_ieee_underflow 0
		.amdhsa_exception_fp_ieee_inexact 0
		.amdhsa_exception_int_div_zero 0
	.end_amdhsa_kernel
	.section	.text._ZN7rocprim17ROCPRIM_400000_NS6detail17trampoline_kernelINS0_14default_configENS1_38merge_sort_block_merge_config_selectorIbiEEZZNS1_27merge_sort_block_merge_implIS3_N6thrust23THRUST_200600_302600_NS6detail15normal_iteratorINS8_10device_ptrIbEEEENSA_INSB_IiEEEEjNS1_19radix_merge_compareILb1ELb1EbNS0_19identity_decomposerEEEEE10hipError_tT0_T1_T2_jT3_P12ihipStream_tbPNSt15iterator_traitsISK_E10value_typeEPNSQ_ISL_E10value_typeEPSM_NS1_7vsmem_tEENKUlT_SK_SL_SM_E_clIPbSD_PiSF_EESJ_SZ_SK_SL_SM_EUlSZ_E_NS1_11comp_targetILNS1_3genE0ELNS1_11target_archE4294967295ELNS1_3gpuE0ELNS1_3repE0EEENS1_48merge_mergepath_partition_config_static_selectorELNS0_4arch9wavefront6targetE1EEEvSL_,"axG",@progbits,_ZN7rocprim17ROCPRIM_400000_NS6detail17trampoline_kernelINS0_14default_configENS1_38merge_sort_block_merge_config_selectorIbiEEZZNS1_27merge_sort_block_merge_implIS3_N6thrust23THRUST_200600_302600_NS6detail15normal_iteratorINS8_10device_ptrIbEEEENSA_INSB_IiEEEEjNS1_19radix_merge_compareILb1ELb1EbNS0_19identity_decomposerEEEEE10hipError_tT0_T1_T2_jT3_P12ihipStream_tbPNSt15iterator_traitsISK_E10value_typeEPNSQ_ISL_E10value_typeEPSM_NS1_7vsmem_tEENKUlT_SK_SL_SM_E_clIPbSD_PiSF_EESJ_SZ_SK_SL_SM_EUlSZ_E_NS1_11comp_targetILNS1_3genE0ELNS1_11target_archE4294967295ELNS1_3gpuE0ELNS1_3repE0EEENS1_48merge_mergepath_partition_config_static_selectorELNS0_4arch9wavefront6targetE1EEEvSL_,comdat
.Lfunc_end2152:
	.size	_ZN7rocprim17ROCPRIM_400000_NS6detail17trampoline_kernelINS0_14default_configENS1_38merge_sort_block_merge_config_selectorIbiEEZZNS1_27merge_sort_block_merge_implIS3_N6thrust23THRUST_200600_302600_NS6detail15normal_iteratorINS8_10device_ptrIbEEEENSA_INSB_IiEEEEjNS1_19radix_merge_compareILb1ELb1EbNS0_19identity_decomposerEEEEE10hipError_tT0_T1_T2_jT3_P12ihipStream_tbPNSt15iterator_traitsISK_E10value_typeEPNSQ_ISL_E10value_typeEPSM_NS1_7vsmem_tEENKUlT_SK_SL_SM_E_clIPbSD_PiSF_EESJ_SZ_SK_SL_SM_EUlSZ_E_NS1_11comp_targetILNS1_3genE0ELNS1_11target_archE4294967295ELNS1_3gpuE0ELNS1_3repE0EEENS1_48merge_mergepath_partition_config_static_selectorELNS0_4arch9wavefront6targetE1EEEvSL_, .Lfunc_end2152-_ZN7rocprim17ROCPRIM_400000_NS6detail17trampoline_kernelINS0_14default_configENS1_38merge_sort_block_merge_config_selectorIbiEEZZNS1_27merge_sort_block_merge_implIS3_N6thrust23THRUST_200600_302600_NS6detail15normal_iteratorINS8_10device_ptrIbEEEENSA_INSB_IiEEEEjNS1_19radix_merge_compareILb1ELb1EbNS0_19identity_decomposerEEEEE10hipError_tT0_T1_T2_jT3_P12ihipStream_tbPNSt15iterator_traitsISK_E10value_typeEPNSQ_ISL_E10value_typeEPSM_NS1_7vsmem_tEENKUlT_SK_SL_SM_E_clIPbSD_PiSF_EESJ_SZ_SK_SL_SM_EUlSZ_E_NS1_11comp_targetILNS1_3genE0ELNS1_11target_archE4294967295ELNS1_3gpuE0ELNS1_3repE0EEENS1_48merge_mergepath_partition_config_static_selectorELNS0_4arch9wavefront6targetE1EEEvSL_
                                        ; -- End function
	.set _ZN7rocprim17ROCPRIM_400000_NS6detail17trampoline_kernelINS0_14default_configENS1_38merge_sort_block_merge_config_selectorIbiEEZZNS1_27merge_sort_block_merge_implIS3_N6thrust23THRUST_200600_302600_NS6detail15normal_iteratorINS8_10device_ptrIbEEEENSA_INSB_IiEEEEjNS1_19radix_merge_compareILb1ELb1EbNS0_19identity_decomposerEEEEE10hipError_tT0_T1_T2_jT3_P12ihipStream_tbPNSt15iterator_traitsISK_E10value_typeEPNSQ_ISL_E10value_typeEPSM_NS1_7vsmem_tEENKUlT_SK_SL_SM_E_clIPbSD_PiSF_EESJ_SZ_SK_SL_SM_EUlSZ_E_NS1_11comp_targetILNS1_3genE0ELNS1_11target_archE4294967295ELNS1_3gpuE0ELNS1_3repE0EEENS1_48merge_mergepath_partition_config_static_selectorELNS0_4arch9wavefront6targetE1EEEvSL_.num_vgpr, 18
	.set _ZN7rocprim17ROCPRIM_400000_NS6detail17trampoline_kernelINS0_14default_configENS1_38merge_sort_block_merge_config_selectorIbiEEZZNS1_27merge_sort_block_merge_implIS3_N6thrust23THRUST_200600_302600_NS6detail15normal_iteratorINS8_10device_ptrIbEEEENSA_INSB_IiEEEEjNS1_19radix_merge_compareILb1ELb1EbNS0_19identity_decomposerEEEEE10hipError_tT0_T1_T2_jT3_P12ihipStream_tbPNSt15iterator_traitsISK_E10value_typeEPNSQ_ISL_E10value_typeEPSM_NS1_7vsmem_tEENKUlT_SK_SL_SM_E_clIPbSD_PiSF_EESJ_SZ_SK_SL_SM_EUlSZ_E_NS1_11comp_targetILNS1_3genE0ELNS1_11target_archE4294967295ELNS1_3gpuE0ELNS1_3repE0EEENS1_48merge_mergepath_partition_config_static_selectorELNS0_4arch9wavefront6targetE1EEEvSL_.num_agpr, 0
	.set _ZN7rocprim17ROCPRIM_400000_NS6detail17trampoline_kernelINS0_14default_configENS1_38merge_sort_block_merge_config_selectorIbiEEZZNS1_27merge_sort_block_merge_implIS3_N6thrust23THRUST_200600_302600_NS6detail15normal_iteratorINS8_10device_ptrIbEEEENSA_INSB_IiEEEEjNS1_19radix_merge_compareILb1ELb1EbNS0_19identity_decomposerEEEEE10hipError_tT0_T1_T2_jT3_P12ihipStream_tbPNSt15iterator_traitsISK_E10value_typeEPNSQ_ISL_E10value_typeEPSM_NS1_7vsmem_tEENKUlT_SK_SL_SM_E_clIPbSD_PiSF_EESJ_SZ_SK_SL_SM_EUlSZ_E_NS1_11comp_targetILNS1_3genE0ELNS1_11target_archE4294967295ELNS1_3gpuE0ELNS1_3repE0EEENS1_48merge_mergepath_partition_config_static_selectorELNS0_4arch9wavefront6targetE1EEEvSL_.numbered_sgpr, 9
	.set _ZN7rocprim17ROCPRIM_400000_NS6detail17trampoline_kernelINS0_14default_configENS1_38merge_sort_block_merge_config_selectorIbiEEZZNS1_27merge_sort_block_merge_implIS3_N6thrust23THRUST_200600_302600_NS6detail15normal_iteratorINS8_10device_ptrIbEEEENSA_INSB_IiEEEEjNS1_19radix_merge_compareILb1ELb1EbNS0_19identity_decomposerEEEEE10hipError_tT0_T1_T2_jT3_P12ihipStream_tbPNSt15iterator_traitsISK_E10value_typeEPNSQ_ISL_E10value_typeEPSM_NS1_7vsmem_tEENKUlT_SK_SL_SM_E_clIPbSD_PiSF_EESJ_SZ_SK_SL_SM_EUlSZ_E_NS1_11comp_targetILNS1_3genE0ELNS1_11target_archE4294967295ELNS1_3gpuE0ELNS1_3repE0EEENS1_48merge_mergepath_partition_config_static_selectorELNS0_4arch9wavefront6targetE1EEEvSL_.num_named_barrier, 0
	.set _ZN7rocprim17ROCPRIM_400000_NS6detail17trampoline_kernelINS0_14default_configENS1_38merge_sort_block_merge_config_selectorIbiEEZZNS1_27merge_sort_block_merge_implIS3_N6thrust23THRUST_200600_302600_NS6detail15normal_iteratorINS8_10device_ptrIbEEEENSA_INSB_IiEEEEjNS1_19radix_merge_compareILb1ELb1EbNS0_19identity_decomposerEEEEE10hipError_tT0_T1_T2_jT3_P12ihipStream_tbPNSt15iterator_traitsISK_E10value_typeEPNSQ_ISL_E10value_typeEPSM_NS1_7vsmem_tEENKUlT_SK_SL_SM_E_clIPbSD_PiSF_EESJ_SZ_SK_SL_SM_EUlSZ_E_NS1_11comp_targetILNS1_3genE0ELNS1_11target_archE4294967295ELNS1_3gpuE0ELNS1_3repE0EEENS1_48merge_mergepath_partition_config_static_selectorELNS0_4arch9wavefront6targetE1EEEvSL_.private_seg_size, 0
	.set _ZN7rocprim17ROCPRIM_400000_NS6detail17trampoline_kernelINS0_14default_configENS1_38merge_sort_block_merge_config_selectorIbiEEZZNS1_27merge_sort_block_merge_implIS3_N6thrust23THRUST_200600_302600_NS6detail15normal_iteratorINS8_10device_ptrIbEEEENSA_INSB_IiEEEEjNS1_19radix_merge_compareILb1ELb1EbNS0_19identity_decomposerEEEEE10hipError_tT0_T1_T2_jT3_P12ihipStream_tbPNSt15iterator_traitsISK_E10value_typeEPNSQ_ISL_E10value_typeEPSM_NS1_7vsmem_tEENKUlT_SK_SL_SM_E_clIPbSD_PiSF_EESJ_SZ_SK_SL_SM_EUlSZ_E_NS1_11comp_targetILNS1_3genE0ELNS1_11target_archE4294967295ELNS1_3gpuE0ELNS1_3repE0EEENS1_48merge_mergepath_partition_config_static_selectorELNS0_4arch9wavefront6targetE1EEEvSL_.uses_vcc, 1
	.set _ZN7rocprim17ROCPRIM_400000_NS6detail17trampoline_kernelINS0_14default_configENS1_38merge_sort_block_merge_config_selectorIbiEEZZNS1_27merge_sort_block_merge_implIS3_N6thrust23THRUST_200600_302600_NS6detail15normal_iteratorINS8_10device_ptrIbEEEENSA_INSB_IiEEEEjNS1_19radix_merge_compareILb1ELb1EbNS0_19identity_decomposerEEEEE10hipError_tT0_T1_T2_jT3_P12ihipStream_tbPNSt15iterator_traitsISK_E10value_typeEPNSQ_ISL_E10value_typeEPSM_NS1_7vsmem_tEENKUlT_SK_SL_SM_E_clIPbSD_PiSF_EESJ_SZ_SK_SL_SM_EUlSZ_E_NS1_11comp_targetILNS1_3genE0ELNS1_11target_archE4294967295ELNS1_3gpuE0ELNS1_3repE0EEENS1_48merge_mergepath_partition_config_static_selectorELNS0_4arch9wavefront6targetE1EEEvSL_.uses_flat_scratch, 0
	.set _ZN7rocprim17ROCPRIM_400000_NS6detail17trampoline_kernelINS0_14default_configENS1_38merge_sort_block_merge_config_selectorIbiEEZZNS1_27merge_sort_block_merge_implIS3_N6thrust23THRUST_200600_302600_NS6detail15normal_iteratorINS8_10device_ptrIbEEEENSA_INSB_IiEEEEjNS1_19radix_merge_compareILb1ELb1EbNS0_19identity_decomposerEEEEE10hipError_tT0_T1_T2_jT3_P12ihipStream_tbPNSt15iterator_traitsISK_E10value_typeEPNSQ_ISL_E10value_typeEPSM_NS1_7vsmem_tEENKUlT_SK_SL_SM_E_clIPbSD_PiSF_EESJ_SZ_SK_SL_SM_EUlSZ_E_NS1_11comp_targetILNS1_3genE0ELNS1_11target_archE4294967295ELNS1_3gpuE0ELNS1_3repE0EEENS1_48merge_mergepath_partition_config_static_selectorELNS0_4arch9wavefront6targetE1EEEvSL_.has_dyn_sized_stack, 0
	.set _ZN7rocprim17ROCPRIM_400000_NS6detail17trampoline_kernelINS0_14default_configENS1_38merge_sort_block_merge_config_selectorIbiEEZZNS1_27merge_sort_block_merge_implIS3_N6thrust23THRUST_200600_302600_NS6detail15normal_iteratorINS8_10device_ptrIbEEEENSA_INSB_IiEEEEjNS1_19radix_merge_compareILb1ELb1EbNS0_19identity_decomposerEEEEE10hipError_tT0_T1_T2_jT3_P12ihipStream_tbPNSt15iterator_traitsISK_E10value_typeEPNSQ_ISL_E10value_typeEPSM_NS1_7vsmem_tEENKUlT_SK_SL_SM_E_clIPbSD_PiSF_EESJ_SZ_SK_SL_SM_EUlSZ_E_NS1_11comp_targetILNS1_3genE0ELNS1_11target_archE4294967295ELNS1_3gpuE0ELNS1_3repE0EEENS1_48merge_mergepath_partition_config_static_selectorELNS0_4arch9wavefront6targetE1EEEvSL_.has_recursion, 0
	.set _ZN7rocprim17ROCPRIM_400000_NS6detail17trampoline_kernelINS0_14default_configENS1_38merge_sort_block_merge_config_selectorIbiEEZZNS1_27merge_sort_block_merge_implIS3_N6thrust23THRUST_200600_302600_NS6detail15normal_iteratorINS8_10device_ptrIbEEEENSA_INSB_IiEEEEjNS1_19radix_merge_compareILb1ELb1EbNS0_19identity_decomposerEEEEE10hipError_tT0_T1_T2_jT3_P12ihipStream_tbPNSt15iterator_traitsISK_E10value_typeEPNSQ_ISL_E10value_typeEPSM_NS1_7vsmem_tEENKUlT_SK_SL_SM_E_clIPbSD_PiSF_EESJ_SZ_SK_SL_SM_EUlSZ_E_NS1_11comp_targetILNS1_3genE0ELNS1_11target_archE4294967295ELNS1_3gpuE0ELNS1_3repE0EEENS1_48merge_mergepath_partition_config_static_selectorELNS0_4arch9wavefront6targetE1EEEvSL_.has_indirect_call, 0
	.section	.AMDGPU.csdata,"",@progbits
; Kernel info:
; codeLenInByte = 428
; TotalNumSgprs: 15
; NumVgprs: 18
; NumAgprs: 0
; TotalNumVgprs: 18
; ScratchSize: 0
; MemoryBound: 0
; FloatMode: 240
; IeeeMode: 1
; LDSByteSize: 128 bytes/workgroup (compile time only)
; SGPRBlocks: 1
; VGPRBlocks: 2
; NumSGPRsForWavesPerEU: 15
; NumVGPRsForWavesPerEU: 18
; AccumOffset: 20
; Occupancy: 8
; WaveLimiterHint : 0
; COMPUTE_PGM_RSRC2:SCRATCH_EN: 0
; COMPUTE_PGM_RSRC2:USER_SGPR: 4
; COMPUTE_PGM_RSRC2:TRAP_HANDLER: 0
; COMPUTE_PGM_RSRC2:TGID_X_EN: 1
; COMPUTE_PGM_RSRC2:TGID_Y_EN: 0
; COMPUTE_PGM_RSRC2:TGID_Z_EN: 0
; COMPUTE_PGM_RSRC2:TIDIG_COMP_CNT: 2
; COMPUTE_PGM_RSRC3_GFX90A:ACCUM_OFFSET: 4
; COMPUTE_PGM_RSRC3_GFX90A:TG_SPLIT: 0
	.section	.text._ZN7rocprim17ROCPRIM_400000_NS6detail17trampoline_kernelINS0_14default_configENS1_38merge_sort_block_merge_config_selectorIbiEEZZNS1_27merge_sort_block_merge_implIS3_N6thrust23THRUST_200600_302600_NS6detail15normal_iteratorINS8_10device_ptrIbEEEENSA_INSB_IiEEEEjNS1_19radix_merge_compareILb1ELb1EbNS0_19identity_decomposerEEEEE10hipError_tT0_T1_T2_jT3_P12ihipStream_tbPNSt15iterator_traitsISK_E10value_typeEPNSQ_ISL_E10value_typeEPSM_NS1_7vsmem_tEENKUlT_SK_SL_SM_E_clIPbSD_PiSF_EESJ_SZ_SK_SL_SM_EUlSZ_E_NS1_11comp_targetILNS1_3genE10ELNS1_11target_archE1201ELNS1_3gpuE5ELNS1_3repE0EEENS1_48merge_mergepath_partition_config_static_selectorELNS0_4arch9wavefront6targetE1EEEvSL_,"axG",@progbits,_ZN7rocprim17ROCPRIM_400000_NS6detail17trampoline_kernelINS0_14default_configENS1_38merge_sort_block_merge_config_selectorIbiEEZZNS1_27merge_sort_block_merge_implIS3_N6thrust23THRUST_200600_302600_NS6detail15normal_iteratorINS8_10device_ptrIbEEEENSA_INSB_IiEEEEjNS1_19radix_merge_compareILb1ELb1EbNS0_19identity_decomposerEEEEE10hipError_tT0_T1_T2_jT3_P12ihipStream_tbPNSt15iterator_traitsISK_E10value_typeEPNSQ_ISL_E10value_typeEPSM_NS1_7vsmem_tEENKUlT_SK_SL_SM_E_clIPbSD_PiSF_EESJ_SZ_SK_SL_SM_EUlSZ_E_NS1_11comp_targetILNS1_3genE10ELNS1_11target_archE1201ELNS1_3gpuE5ELNS1_3repE0EEENS1_48merge_mergepath_partition_config_static_selectorELNS0_4arch9wavefront6targetE1EEEvSL_,comdat
	.protected	_ZN7rocprim17ROCPRIM_400000_NS6detail17trampoline_kernelINS0_14default_configENS1_38merge_sort_block_merge_config_selectorIbiEEZZNS1_27merge_sort_block_merge_implIS3_N6thrust23THRUST_200600_302600_NS6detail15normal_iteratorINS8_10device_ptrIbEEEENSA_INSB_IiEEEEjNS1_19radix_merge_compareILb1ELb1EbNS0_19identity_decomposerEEEEE10hipError_tT0_T1_T2_jT3_P12ihipStream_tbPNSt15iterator_traitsISK_E10value_typeEPNSQ_ISL_E10value_typeEPSM_NS1_7vsmem_tEENKUlT_SK_SL_SM_E_clIPbSD_PiSF_EESJ_SZ_SK_SL_SM_EUlSZ_E_NS1_11comp_targetILNS1_3genE10ELNS1_11target_archE1201ELNS1_3gpuE5ELNS1_3repE0EEENS1_48merge_mergepath_partition_config_static_selectorELNS0_4arch9wavefront6targetE1EEEvSL_ ; -- Begin function _ZN7rocprim17ROCPRIM_400000_NS6detail17trampoline_kernelINS0_14default_configENS1_38merge_sort_block_merge_config_selectorIbiEEZZNS1_27merge_sort_block_merge_implIS3_N6thrust23THRUST_200600_302600_NS6detail15normal_iteratorINS8_10device_ptrIbEEEENSA_INSB_IiEEEEjNS1_19radix_merge_compareILb1ELb1EbNS0_19identity_decomposerEEEEE10hipError_tT0_T1_T2_jT3_P12ihipStream_tbPNSt15iterator_traitsISK_E10value_typeEPNSQ_ISL_E10value_typeEPSM_NS1_7vsmem_tEENKUlT_SK_SL_SM_E_clIPbSD_PiSF_EESJ_SZ_SK_SL_SM_EUlSZ_E_NS1_11comp_targetILNS1_3genE10ELNS1_11target_archE1201ELNS1_3gpuE5ELNS1_3repE0EEENS1_48merge_mergepath_partition_config_static_selectorELNS0_4arch9wavefront6targetE1EEEvSL_
	.globl	_ZN7rocprim17ROCPRIM_400000_NS6detail17trampoline_kernelINS0_14default_configENS1_38merge_sort_block_merge_config_selectorIbiEEZZNS1_27merge_sort_block_merge_implIS3_N6thrust23THRUST_200600_302600_NS6detail15normal_iteratorINS8_10device_ptrIbEEEENSA_INSB_IiEEEEjNS1_19radix_merge_compareILb1ELb1EbNS0_19identity_decomposerEEEEE10hipError_tT0_T1_T2_jT3_P12ihipStream_tbPNSt15iterator_traitsISK_E10value_typeEPNSQ_ISL_E10value_typeEPSM_NS1_7vsmem_tEENKUlT_SK_SL_SM_E_clIPbSD_PiSF_EESJ_SZ_SK_SL_SM_EUlSZ_E_NS1_11comp_targetILNS1_3genE10ELNS1_11target_archE1201ELNS1_3gpuE5ELNS1_3repE0EEENS1_48merge_mergepath_partition_config_static_selectorELNS0_4arch9wavefront6targetE1EEEvSL_
	.p2align	8
	.type	_ZN7rocprim17ROCPRIM_400000_NS6detail17trampoline_kernelINS0_14default_configENS1_38merge_sort_block_merge_config_selectorIbiEEZZNS1_27merge_sort_block_merge_implIS3_N6thrust23THRUST_200600_302600_NS6detail15normal_iteratorINS8_10device_ptrIbEEEENSA_INSB_IiEEEEjNS1_19radix_merge_compareILb1ELb1EbNS0_19identity_decomposerEEEEE10hipError_tT0_T1_T2_jT3_P12ihipStream_tbPNSt15iterator_traitsISK_E10value_typeEPNSQ_ISL_E10value_typeEPSM_NS1_7vsmem_tEENKUlT_SK_SL_SM_E_clIPbSD_PiSF_EESJ_SZ_SK_SL_SM_EUlSZ_E_NS1_11comp_targetILNS1_3genE10ELNS1_11target_archE1201ELNS1_3gpuE5ELNS1_3repE0EEENS1_48merge_mergepath_partition_config_static_selectorELNS0_4arch9wavefront6targetE1EEEvSL_,@function
_ZN7rocprim17ROCPRIM_400000_NS6detail17trampoline_kernelINS0_14default_configENS1_38merge_sort_block_merge_config_selectorIbiEEZZNS1_27merge_sort_block_merge_implIS3_N6thrust23THRUST_200600_302600_NS6detail15normal_iteratorINS8_10device_ptrIbEEEENSA_INSB_IiEEEEjNS1_19radix_merge_compareILb1ELb1EbNS0_19identity_decomposerEEEEE10hipError_tT0_T1_T2_jT3_P12ihipStream_tbPNSt15iterator_traitsISK_E10value_typeEPNSQ_ISL_E10value_typeEPSM_NS1_7vsmem_tEENKUlT_SK_SL_SM_E_clIPbSD_PiSF_EESJ_SZ_SK_SL_SM_EUlSZ_E_NS1_11comp_targetILNS1_3genE10ELNS1_11target_archE1201ELNS1_3gpuE5ELNS1_3repE0EEENS1_48merge_mergepath_partition_config_static_selectorELNS0_4arch9wavefront6targetE1EEEvSL_: ; @_ZN7rocprim17ROCPRIM_400000_NS6detail17trampoline_kernelINS0_14default_configENS1_38merge_sort_block_merge_config_selectorIbiEEZZNS1_27merge_sort_block_merge_implIS3_N6thrust23THRUST_200600_302600_NS6detail15normal_iteratorINS8_10device_ptrIbEEEENSA_INSB_IiEEEEjNS1_19radix_merge_compareILb1ELb1EbNS0_19identity_decomposerEEEEE10hipError_tT0_T1_T2_jT3_P12ihipStream_tbPNSt15iterator_traitsISK_E10value_typeEPNSQ_ISL_E10value_typeEPSM_NS1_7vsmem_tEENKUlT_SK_SL_SM_E_clIPbSD_PiSF_EESJ_SZ_SK_SL_SM_EUlSZ_E_NS1_11comp_targetILNS1_3genE10ELNS1_11target_archE1201ELNS1_3gpuE5ELNS1_3repE0EEENS1_48merge_mergepath_partition_config_static_selectorELNS0_4arch9wavefront6targetE1EEEvSL_
; %bb.0:
	.section	.rodata,"a",@progbits
	.p2align	6, 0x0
	.amdhsa_kernel _ZN7rocprim17ROCPRIM_400000_NS6detail17trampoline_kernelINS0_14default_configENS1_38merge_sort_block_merge_config_selectorIbiEEZZNS1_27merge_sort_block_merge_implIS3_N6thrust23THRUST_200600_302600_NS6detail15normal_iteratorINS8_10device_ptrIbEEEENSA_INSB_IiEEEEjNS1_19radix_merge_compareILb1ELb1EbNS0_19identity_decomposerEEEEE10hipError_tT0_T1_T2_jT3_P12ihipStream_tbPNSt15iterator_traitsISK_E10value_typeEPNSQ_ISL_E10value_typeEPSM_NS1_7vsmem_tEENKUlT_SK_SL_SM_E_clIPbSD_PiSF_EESJ_SZ_SK_SL_SM_EUlSZ_E_NS1_11comp_targetILNS1_3genE10ELNS1_11target_archE1201ELNS1_3gpuE5ELNS1_3repE0EEENS1_48merge_mergepath_partition_config_static_selectorELNS0_4arch9wavefront6targetE1EEEvSL_
		.amdhsa_group_segment_fixed_size 0
		.amdhsa_private_segment_fixed_size 0
		.amdhsa_kernarg_size 40
		.amdhsa_user_sgpr_count 2
		.amdhsa_user_sgpr_dispatch_ptr 0
		.amdhsa_user_sgpr_queue_ptr 0
		.amdhsa_user_sgpr_kernarg_segment_ptr 1
		.amdhsa_user_sgpr_dispatch_id 0
		.amdhsa_user_sgpr_kernarg_preload_length 0
		.amdhsa_user_sgpr_kernarg_preload_offset 0
		.amdhsa_user_sgpr_private_segment_size 0
		.amdhsa_uses_dynamic_stack 0
		.amdhsa_enable_private_segment 0
		.amdhsa_system_sgpr_workgroup_id_x 1
		.amdhsa_system_sgpr_workgroup_id_y 0
		.amdhsa_system_sgpr_workgroup_id_z 0
		.amdhsa_system_sgpr_workgroup_info 0
		.amdhsa_system_vgpr_workitem_id 0
		.amdhsa_next_free_vgpr 1
		.amdhsa_next_free_sgpr 0
		.amdhsa_accum_offset 4
		.amdhsa_reserve_vcc 0
		.amdhsa_float_round_mode_32 0
		.amdhsa_float_round_mode_16_64 0
		.amdhsa_float_denorm_mode_32 3
		.amdhsa_float_denorm_mode_16_64 3
		.amdhsa_dx10_clamp 1
		.amdhsa_ieee_mode 1
		.amdhsa_fp16_overflow 0
		.amdhsa_tg_split 0
		.amdhsa_exception_fp_ieee_invalid_op 0
		.amdhsa_exception_fp_denorm_src 0
		.amdhsa_exception_fp_ieee_div_zero 0
		.amdhsa_exception_fp_ieee_overflow 0
		.amdhsa_exception_fp_ieee_underflow 0
		.amdhsa_exception_fp_ieee_inexact 0
		.amdhsa_exception_int_div_zero 0
	.end_amdhsa_kernel
	.section	.text._ZN7rocprim17ROCPRIM_400000_NS6detail17trampoline_kernelINS0_14default_configENS1_38merge_sort_block_merge_config_selectorIbiEEZZNS1_27merge_sort_block_merge_implIS3_N6thrust23THRUST_200600_302600_NS6detail15normal_iteratorINS8_10device_ptrIbEEEENSA_INSB_IiEEEEjNS1_19radix_merge_compareILb1ELb1EbNS0_19identity_decomposerEEEEE10hipError_tT0_T1_T2_jT3_P12ihipStream_tbPNSt15iterator_traitsISK_E10value_typeEPNSQ_ISL_E10value_typeEPSM_NS1_7vsmem_tEENKUlT_SK_SL_SM_E_clIPbSD_PiSF_EESJ_SZ_SK_SL_SM_EUlSZ_E_NS1_11comp_targetILNS1_3genE10ELNS1_11target_archE1201ELNS1_3gpuE5ELNS1_3repE0EEENS1_48merge_mergepath_partition_config_static_selectorELNS0_4arch9wavefront6targetE1EEEvSL_,"axG",@progbits,_ZN7rocprim17ROCPRIM_400000_NS6detail17trampoline_kernelINS0_14default_configENS1_38merge_sort_block_merge_config_selectorIbiEEZZNS1_27merge_sort_block_merge_implIS3_N6thrust23THRUST_200600_302600_NS6detail15normal_iteratorINS8_10device_ptrIbEEEENSA_INSB_IiEEEEjNS1_19radix_merge_compareILb1ELb1EbNS0_19identity_decomposerEEEEE10hipError_tT0_T1_T2_jT3_P12ihipStream_tbPNSt15iterator_traitsISK_E10value_typeEPNSQ_ISL_E10value_typeEPSM_NS1_7vsmem_tEENKUlT_SK_SL_SM_E_clIPbSD_PiSF_EESJ_SZ_SK_SL_SM_EUlSZ_E_NS1_11comp_targetILNS1_3genE10ELNS1_11target_archE1201ELNS1_3gpuE5ELNS1_3repE0EEENS1_48merge_mergepath_partition_config_static_selectorELNS0_4arch9wavefront6targetE1EEEvSL_,comdat
.Lfunc_end2153:
	.size	_ZN7rocprim17ROCPRIM_400000_NS6detail17trampoline_kernelINS0_14default_configENS1_38merge_sort_block_merge_config_selectorIbiEEZZNS1_27merge_sort_block_merge_implIS3_N6thrust23THRUST_200600_302600_NS6detail15normal_iteratorINS8_10device_ptrIbEEEENSA_INSB_IiEEEEjNS1_19radix_merge_compareILb1ELb1EbNS0_19identity_decomposerEEEEE10hipError_tT0_T1_T2_jT3_P12ihipStream_tbPNSt15iterator_traitsISK_E10value_typeEPNSQ_ISL_E10value_typeEPSM_NS1_7vsmem_tEENKUlT_SK_SL_SM_E_clIPbSD_PiSF_EESJ_SZ_SK_SL_SM_EUlSZ_E_NS1_11comp_targetILNS1_3genE10ELNS1_11target_archE1201ELNS1_3gpuE5ELNS1_3repE0EEENS1_48merge_mergepath_partition_config_static_selectorELNS0_4arch9wavefront6targetE1EEEvSL_, .Lfunc_end2153-_ZN7rocprim17ROCPRIM_400000_NS6detail17trampoline_kernelINS0_14default_configENS1_38merge_sort_block_merge_config_selectorIbiEEZZNS1_27merge_sort_block_merge_implIS3_N6thrust23THRUST_200600_302600_NS6detail15normal_iteratorINS8_10device_ptrIbEEEENSA_INSB_IiEEEEjNS1_19radix_merge_compareILb1ELb1EbNS0_19identity_decomposerEEEEE10hipError_tT0_T1_T2_jT3_P12ihipStream_tbPNSt15iterator_traitsISK_E10value_typeEPNSQ_ISL_E10value_typeEPSM_NS1_7vsmem_tEENKUlT_SK_SL_SM_E_clIPbSD_PiSF_EESJ_SZ_SK_SL_SM_EUlSZ_E_NS1_11comp_targetILNS1_3genE10ELNS1_11target_archE1201ELNS1_3gpuE5ELNS1_3repE0EEENS1_48merge_mergepath_partition_config_static_selectorELNS0_4arch9wavefront6targetE1EEEvSL_
                                        ; -- End function
	.set _ZN7rocprim17ROCPRIM_400000_NS6detail17trampoline_kernelINS0_14default_configENS1_38merge_sort_block_merge_config_selectorIbiEEZZNS1_27merge_sort_block_merge_implIS3_N6thrust23THRUST_200600_302600_NS6detail15normal_iteratorINS8_10device_ptrIbEEEENSA_INSB_IiEEEEjNS1_19radix_merge_compareILb1ELb1EbNS0_19identity_decomposerEEEEE10hipError_tT0_T1_T2_jT3_P12ihipStream_tbPNSt15iterator_traitsISK_E10value_typeEPNSQ_ISL_E10value_typeEPSM_NS1_7vsmem_tEENKUlT_SK_SL_SM_E_clIPbSD_PiSF_EESJ_SZ_SK_SL_SM_EUlSZ_E_NS1_11comp_targetILNS1_3genE10ELNS1_11target_archE1201ELNS1_3gpuE5ELNS1_3repE0EEENS1_48merge_mergepath_partition_config_static_selectorELNS0_4arch9wavefront6targetE1EEEvSL_.num_vgpr, 0
	.set _ZN7rocprim17ROCPRIM_400000_NS6detail17trampoline_kernelINS0_14default_configENS1_38merge_sort_block_merge_config_selectorIbiEEZZNS1_27merge_sort_block_merge_implIS3_N6thrust23THRUST_200600_302600_NS6detail15normal_iteratorINS8_10device_ptrIbEEEENSA_INSB_IiEEEEjNS1_19radix_merge_compareILb1ELb1EbNS0_19identity_decomposerEEEEE10hipError_tT0_T1_T2_jT3_P12ihipStream_tbPNSt15iterator_traitsISK_E10value_typeEPNSQ_ISL_E10value_typeEPSM_NS1_7vsmem_tEENKUlT_SK_SL_SM_E_clIPbSD_PiSF_EESJ_SZ_SK_SL_SM_EUlSZ_E_NS1_11comp_targetILNS1_3genE10ELNS1_11target_archE1201ELNS1_3gpuE5ELNS1_3repE0EEENS1_48merge_mergepath_partition_config_static_selectorELNS0_4arch9wavefront6targetE1EEEvSL_.num_agpr, 0
	.set _ZN7rocprim17ROCPRIM_400000_NS6detail17trampoline_kernelINS0_14default_configENS1_38merge_sort_block_merge_config_selectorIbiEEZZNS1_27merge_sort_block_merge_implIS3_N6thrust23THRUST_200600_302600_NS6detail15normal_iteratorINS8_10device_ptrIbEEEENSA_INSB_IiEEEEjNS1_19radix_merge_compareILb1ELb1EbNS0_19identity_decomposerEEEEE10hipError_tT0_T1_T2_jT3_P12ihipStream_tbPNSt15iterator_traitsISK_E10value_typeEPNSQ_ISL_E10value_typeEPSM_NS1_7vsmem_tEENKUlT_SK_SL_SM_E_clIPbSD_PiSF_EESJ_SZ_SK_SL_SM_EUlSZ_E_NS1_11comp_targetILNS1_3genE10ELNS1_11target_archE1201ELNS1_3gpuE5ELNS1_3repE0EEENS1_48merge_mergepath_partition_config_static_selectorELNS0_4arch9wavefront6targetE1EEEvSL_.numbered_sgpr, 0
	.set _ZN7rocprim17ROCPRIM_400000_NS6detail17trampoline_kernelINS0_14default_configENS1_38merge_sort_block_merge_config_selectorIbiEEZZNS1_27merge_sort_block_merge_implIS3_N6thrust23THRUST_200600_302600_NS6detail15normal_iteratorINS8_10device_ptrIbEEEENSA_INSB_IiEEEEjNS1_19radix_merge_compareILb1ELb1EbNS0_19identity_decomposerEEEEE10hipError_tT0_T1_T2_jT3_P12ihipStream_tbPNSt15iterator_traitsISK_E10value_typeEPNSQ_ISL_E10value_typeEPSM_NS1_7vsmem_tEENKUlT_SK_SL_SM_E_clIPbSD_PiSF_EESJ_SZ_SK_SL_SM_EUlSZ_E_NS1_11comp_targetILNS1_3genE10ELNS1_11target_archE1201ELNS1_3gpuE5ELNS1_3repE0EEENS1_48merge_mergepath_partition_config_static_selectorELNS0_4arch9wavefront6targetE1EEEvSL_.num_named_barrier, 0
	.set _ZN7rocprim17ROCPRIM_400000_NS6detail17trampoline_kernelINS0_14default_configENS1_38merge_sort_block_merge_config_selectorIbiEEZZNS1_27merge_sort_block_merge_implIS3_N6thrust23THRUST_200600_302600_NS6detail15normal_iteratorINS8_10device_ptrIbEEEENSA_INSB_IiEEEEjNS1_19radix_merge_compareILb1ELb1EbNS0_19identity_decomposerEEEEE10hipError_tT0_T1_T2_jT3_P12ihipStream_tbPNSt15iterator_traitsISK_E10value_typeEPNSQ_ISL_E10value_typeEPSM_NS1_7vsmem_tEENKUlT_SK_SL_SM_E_clIPbSD_PiSF_EESJ_SZ_SK_SL_SM_EUlSZ_E_NS1_11comp_targetILNS1_3genE10ELNS1_11target_archE1201ELNS1_3gpuE5ELNS1_3repE0EEENS1_48merge_mergepath_partition_config_static_selectorELNS0_4arch9wavefront6targetE1EEEvSL_.private_seg_size, 0
	.set _ZN7rocprim17ROCPRIM_400000_NS6detail17trampoline_kernelINS0_14default_configENS1_38merge_sort_block_merge_config_selectorIbiEEZZNS1_27merge_sort_block_merge_implIS3_N6thrust23THRUST_200600_302600_NS6detail15normal_iteratorINS8_10device_ptrIbEEEENSA_INSB_IiEEEEjNS1_19radix_merge_compareILb1ELb1EbNS0_19identity_decomposerEEEEE10hipError_tT0_T1_T2_jT3_P12ihipStream_tbPNSt15iterator_traitsISK_E10value_typeEPNSQ_ISL_E10value_typeEPSM_NS1_7vsmem_tEENKUlT_SK_SL_SM_E_clIPbSD_PiSF_EESJ_SZ_SK_SL_SM_EUlSZ_E_NS1_11comp_targetILNS1_3genE10ELNS1_11target_archE1201ELNS1_3gpuE5ELNS1_3repE0EEENS1_48merge_mergepath_partition_config_static_selectorELNS0_4arch9wavefront6targetE1EEEvSL_.uses_vcc, 0
	.set _ZN7rocprim17ROCPRIM_400000_NS6detail17trampoline_kernelINS0_14default_configENS1_38merge_sort_block_merge_config_selectorIbiEEZZNS1_27merge_sort_block_merge_implIS3_N6thrust23THRUST_200600_302600_NS6detail15normal_iteratorINS8_10device_ptrIbEEEENSA_INSB_IiEEEEjNS1_19radix_merge_compareILb1ELb1EbNS0_19identity_decomposerEEEEE10hipError_tT0_T1_T2_jT3_P12ihipStream_tbPNSt15iterator_traitsISK_E10value_typeEPNSQ_ISL_E10value_typeEPSM_NS1_7vsmem_tEENKUlT_SK_SL_SM_E_clIPbSD_PiSF_EESJ_SZ_SK_SL_SM_EUlSZ_E_NS1_11comp_targetILNS1_3genE10ELNS1_11target_archE1201ELNS1_3gpuE5ELNS1_3repE0EEENS1_48merge_mergepath_partition_config_static_selectorELNS0_4arch9wavefront6targetE1EEEvSL_.uses_flat_scratch, 0
	.set _ZN7rocprim17ROCPRIM_400000_NS6detail17trampoline_kernelINS0_14default_configENS1_38merge_sort_block_merge_config_selectorIbiEEZZNS1_27merge_sort_block_merge_implIS3_N6thrust23THRUST_200600_302600_NS6detail15normal_iteratorINS8_10device_ptrIbEEEENSA_INSB_IiEEEEjNS1_19radix_merge_compareILb1ELb1EbNS0_19identity_decomposerEEEEE10hipError_tT0_T1_T2_jT3_P12ihipStream_tbPNSt15iterator_traitsISK_E10value_typeEPNSQ_ISL_E10value_typeEPSM_NS1_7vsmem_tEENKUlT_SK_SL_SM_E_clIPbSD_PiSF_EESJ_SZ_SK_SL_SM_EUlSZ_E_NS1_11comp_targetILNS1_3genE10ELNS1_11target_archE1201ELNS1_3gpuE5ELNS1_3repE0EEENS1_48merge_mergepath_partition_config_static_selectorELNS0_4arch9wavefront6targetE1EEEvSL_.has_dyn_sized_stack, 0
	.set _ZN7rocprim17ROCPRIM_400000_NS6detail17trampoline_kernelINS0_14default_configENS1_38merge_sort_block_merge_config_selectorIbiEEZZNS1_27merge_sort_block_merge_implIS3_N6thrust23THRUST_200600_302600_NS6detail15normal_iteratorINS8_10device_ptrIbEEEENSA_INSB_IiEEEEjNS1_19radix_merge_compareILb1ELb1EbNS0_19identity_decomposerEEEEE10hipError_tT0_T1_T2_jT3_P12ihipStream_tbPNSt15iterator_traitsISK_E10value_typeEPNSQ_ISL_E10value_typeEPSM_NS1_7vsmem_tEENKUlT_SK_SL_SM_E_clIPbSD_PiSF_EESJ_SZ_SK_SL_SM_EUlSZ_E_NS1_11comp_targetILNS1_3genE10ELNS1_11target_archE1201ELNS1_3gpuE5ELNS1_3repE0EEENS1_48merge_mergepath_partition_config_static_selectorELNS0_4arch9wavefront6targetE1EEEvSL_.has_recursion, 0
	.set _ZN7rocprim17ROCPRIM_400000_NS6detail17trampoline_kernelINS0_14default_configENS1_38merge_sort_block_merge_config_selectorIbiEEZZNS1_27merge_sort_block_merge_implIS3_N6thrust23THRUST_200600_302600_NS6detail15normal_iteratorINS8_10device_ptrIbEEEENSA_INSB_IiEEEEjNS1_19radix_merge_compareILb1ELb1EbNS0_19identity_decomposerEEEEE10hipError_tT0_T1_T2_jT3_P12ihipStream_tbPNSt15iterator_traitsISK_E10value_typeEPNSQ_ISL_E10value_typeEPSM_NS1_7vsmem_tEENKUlT_SK_SL_SM_E_clIPbSD_PiSF_EESJ_SZ_SK_SL_SM_EUlSZ_E_NS1_11comp_targetILNS1_3genE10ELNS1_11target_archE1201ELNS1_3gpuE5ELNS1_3repE0EEENS1_48merge_mergepath_partition_config_static_selectorELNS0_4arch9wavefront6targetE1EEEvSL_.has_indirect_call, 0
	.section	.AMDGPU.csdata,"",@progbits
; Kernel info:
; codeLenInByte = 0
; TotalNumSgprs: 6
; NumVgprs: 0
; NumAgprs: 0
; TotalNumVgprs: 0
; ScratchSize: 0
; MemoryBound: 0
; FloatMode: 240
; IeeeMode: 1
; LDSByteSize: 0 bytes/workgroup (compile time only)
; SGPRBlocks: 0
; VGPRBlocks: 0
; NumSGPRsForWavesPerEU: 6
; NumVGPRsForWavesPerEU: 1
; AccumOffset: 4
; Occupancy: 8
; WaveLimiterHint : 0
; COMPUTE_PGM_RSRC2:SCRATCH_EN: 0
; COMPUTE_PGM_RSRC2:USER_SGPR: 2
; COMPUTE_PGM_RSRC2:TRAP_HANDLER: 0
; COMPUTE_PGM_RSRC2:TGID_X_EN: 1
; COMPUTE_PGM_RSRC2:TGID_Y_EN: 0
; COMPUTE_PGM_RSRC2:TGID_Z_EN: 0
; COMPUTE_PGM_RSRC2:TIDIG_COMP_CNT: 0
; COMPUTE_PGM_RSRC3_GFX90A:ACCUM_OFFSET: 0
; COMPUTE_PGM_RSRC3_GFX90A:TG_SPLIT: 0
	.section	.text._ZN7rocprim17ROCPRIM_400000_NS6detail17trampoline_kernelINS0_14default_configENS1_38merge_sort_block_merge_config_selectorIbiEEZZNS1_27merge_sort_block_merge_implIS3_N6thrust23THRUST_200600_302600_NS6detail15normal_iteratorINS8_10device_ptrIbEEEENSA_INSB_IiEEEEjNS1_19radix_merge_compareILb1ELb1EbNS0_19identity_decomposerEEEEE10hipError_tT0_T1_T2_jT3_P12ihipStream_tbPNSt15iterator_traitsISK_E10value_typeEPNSQ_ISL_E10value_typeEPSM_NS1_7vsmem_tEENKUlT_SK_SL_SM_E_clIPbSD_PiSF_EESJ_SZ_SK_SL_SM_EUlSZ_E_NS1_11comp_targetILNS1_3genE5ELNS1_11target_archE942ELNS1_3gpuE9ELNS1_3repE0EEENS1_48merge_mergepath_partition_config_static_selectorELNS0_4arch9wavefront6targetE1EEEvSL_,"axG",@progbits,_ZN7rocprim17ROCPRIM_400000_NS6detail17trampoline_kernelINS0_14default_configENS1_38merge_sort_block_merge_config_selectorIbiEEZZNS1_27merge_sort_block_merge_implIS3_N6thrust23THRUST_200600_302600_NS6detail15normal_iteratorINS8_10device_ptrIbEEEENSA_INSB_IiEEEEjNS1_19radix_merge_compareILb1ELb1EbNS0_19identity_decomposerEEEEE10hipError_tT0_T1_T2_jT3_P12ihipStream_tbPNSt15iterator_traitsISK_E10value_typeEPNSQ_ISL_E10value_typeEPSM_NS1_7vsmem_tEENKUlT_SK_SL_SM_E_clIPbSD_PiSF_EESJ_SZ_SK_SL_SM_EUlSZ_E_NS1_11comp_targetILNS1_3genE5ELNS1_11target_archE942ELNS1_3gpuE9ELNS1_3repE0EEENS1_48merge_mergepath_partition_config_static_selectorELNS0_4arch9wavefront6targetE1EEEvSL_,comdat
	.protected	_ZN7rocprim17ROCPRIM_400000_NS6detail17trampoline_kernelINS0_14default_configENS1_38merge_sort_block_merge_config_selectorIbiEEZZNS1_27merge_sort_block_merge_implIS3_N6thrust23THRUST_200600_302600_NS6detail15normal_iteratorINS8_10device_ptrIbEEEENSA_INSB_IiEEEEjNS1_19radix_merge_compareILb1ELb1EbNS0_19identity_decomposerEEEEE10hipError_tT0_T1_T2_jT3_P12ihipStream_tbPNSt15iterator_traitsISK_E10value_typeEPNSQ_ISL_E10value_typeEPSM_NS1_7vsmem_tEENKUlT_SK_SL_SM_E_clIPbSD_PiSF_EESJ_SZ_SK_SL_SM_EUlSZ_E_NS1_11comp_targetILNS1_3genE5ELNS1_11target_archE942ELNS1_3gpuE9ELNS1_3repE0EEENS1_48merge_mergepath_partition_config_static_selectorELNS0_4arch9wavefront6targetE1EEEvSL_ ; -- Begin function _ZN7rocprim17ROCPRIM_400000_NS6detail17trampoline_kernelINS0_14default_configENS1_38merge_sort_block_merge_config_selectorIbiEEZZNS1_27merge_sort_block_merge_implIS3_N6thrust23THRUST_200600_302600_NS6detail15normal_iteratorINS8_10device_ptrIbEEEENSA_INSB_IiEEEEjNS1_19radix_merge_compareILb1ELb1EbNS0_19identity_decomposerEEEEE10hipError_tT0_T1_T2_jT3_P12ihipStream_tbPNSt15iterator_traitsISK_E10value_typeEPNSQ_ISL_E10value_typeEPSM_NS1_7vsmem_tEENKUlT_SK_SL_SM_E_clIPbSD_PiSF_EESJ_SZ_SK_SL_SM_EUlSZ_E_NS1_11comp_targetILNS1_3genE5ELNS1_11target_archE942ELNS1_3gpuE9ELNS1_3repE0EEENS1_48merge_mergepath_partition_config_static_selectorELNS0_4arch9wavefront6targetE1EEEvSL_
	.globl	_ZN7rocprim17ROCPRIM_400000_NS6detail17trampoline_kernelINS0_14default_configENS1_38merge_sort_block_merge_config_selectorIbiEEZZNS1_27merge_sort_block_merge_implIS3_N6thrust23THRUST_200600_302600_NS6detail15normal_iteratorINS8_10device_ptrIbEEEENSA_INSB_IiEEEEjNS1_19radix_merge_compareILb1ELb1EbNS0_19identity_decomposerEEEEE10hipError_tT0_T1_T2_jT3_P12ihipStream_tbPNSt15iterator_traitsISK_E10value_typeEPNSQ_ISL_E10value_typeEPSM_NS1_7vsmem_tEENKUlT_SK_SL_SM_E_clIPbSD_PiSF_EESJ_SZ_SK_SL_SM_EUlSZ_E_NS1_11comp_targetILNS1_3genE5ELNS1_11target_archE942ELNS1_3gpuE9ELNS1_3repE0EEENS1_48merge_mergepath_partition_config_static_selectorELNS0_4arch9wavefront6targetE1EEEvSL_
	.p2align	8
	.type	_ZN7rocprim17ROCPRIM_400000_NS6detail17trampoline_kernelINS0_14default_configENS1_38merge_sort_block_merge_config_selectorIbiEEZZNS1_27merge_sort_block_merge_implIS3_N6thrust23THRUST_200600_302600_NS6detail15normal_iteratorINS8_10device_ptrIbEEEENSA_INSB_IiEEEEjNS1_19radix_merge_compareILb1ELb1EbNS0_19identity_decomposerEEEEE10hipError_tT0_T1_T2_jT3_P12ihipStream_tbPNSt15iterator_traitsISK_E10value_typeEPNSQ_ISL_E10value_typeEPSM_NS1_7vsmem_tEENKUlT_SK_SL_SM_E_clIPbSD_PiSF_EESJ_SZ_SK_SL_SM_EUlSZ_E_NS1_11comp_targetILNS1_3genE5ELNS1_11target_archE942ELNS1_3gpuE9ELNS1_3repE0EEENS1_48merge_mergepath_partition_config_static_selectorELNS0_4arch9wavefront6targetE1EEEvSL_,@function
_ZN7rocprim17ROCPRIM_400000_NS6detail17trampoline_kernelINS0_14default_configENS1_38merge_sort_block_merge_config_selectorIbiEEZZNS1_27merge_sort_block_merge_implIS3_N6thrust23THRUST_200600_302600_NS6detail15normal_iteratorINS8_10device_ptrIbEEEENSA_INSB_IiEEEEjNS1_19radix_merge_compareILb1ELb1EbNS0_19identity_decomposerEEEEE10hipError_tT0_T1_T2_jT3_P12ihipStream_tbPNSt15iterator_traitsISK_E10value_typeEPNSQ_ISL_E10value_typeEPSM_NS1_7vsmem_tEENKUlT_SK_SL_SM_E_clIPbSD_PiSF_EESJ_SZ_SK_SL_SM_EUlSZ_E_NS1_11comp_targetILNS1_3genE5ELNS1_11target_archE942ELNS1_3gpuE9ELNS1_3repE0EEENS1_48merge_mergepath_partition_config_static_selectorELNS0_4arch9wavefront6targetE1EEEvSL_: ; @_ZN7rocprim17ROCPRIM_400000_NS6detail17trampoline_kernelINS0_14default_configENS1_38merge_sort_block_merge_config_selectorIbiEEZZNS1_27merge_sort_block_merge_implIS3_N6thrust23THRUST_200600_302600_NS6detail15normal_iteratorINS8_10device_ptrIbEEEENSA_INSB_IiEEEEjNS1_19radix_merge_compareILb1ELb1EbNS0_19identity_decomposerEEEEE10hipError_tT0_T1_T2_jT3_P12ihipStream_tbPNSt15iterator_traitsISK_E10value_typeEPNSQ_ISL_E10value_typeEPSM_NS1_7vsmem_tEENKUlT_SK_SL_SM_E_clIPbSD_PiSF_EESJ_SZ_SK_SL_SM_EUlSZ_E_NS1_11comp_targetILNS1_3genE5ELNS1_11target_archE942ELNS1_3gpuE9ELNS1_3repE0EEENS1_48merge_mergepath_partition_config_static_selectorELNS0_4arch9wavefront6targetE1EEEvSL_
; %bb.0:
	.section	.rodata,"a",@progbits
	.p2align	6, 0x0
	.amdhsa_kernel _ZN7rocprim17ROCPRIM_400000_NS6detail17trampoline_kernelINS0_14default_configENS1_38merge_sort_block_merge_config_selectorIbiEEZZNS1_27merge_sort_block_merge_implIS3_N6thrust23THRUST_200600_302600_NS6detail15normal_iteratorINS8_10device_ptrIbEEEENSA_INSB_IiEEEEjNS1_19radix_merge_compareILb1ELb1EbNS0_19identity_decomposerEEEEE10hipError_tT0_T1_T2_jT3_P12ihipStream_tbPNSt15iterator_traitsISK_E10value_typeEPNSQ_ISL_E10value_typeEPSM_NS1_7vsmem_tEENKUlT_SK_SL_SM_E_clIPbSD_PiSF_EESJ_SZ_SK_SL_SM_EUlSZ_E_NS1_11comp_targetILNS1_3genE5ELNS1_11target_archE942ELNS1_3gpuE9ELNS1_3repE0EEENS1_48merge_mergepath_partition_config_static_selectorELNS0_4arch9wavefront6targetE1EEEvSL_
		.amdhsa_group_segment_fixed_size 0
		.amdhsa_private_segment_fixed_size 0
		.amdhsa_kernarg_size 40
		.amdhsa_user_sgpr_count 2
		.amdhsa_user_sgpr_dispatch_ptr 0
		.amdhsa_user_sgpr_queue_ptr 0
		.amdhsa_user_sgpr_kernarg_segment_ptr 1
		.amdhsa_user_sgpr_dispatch_id 0
		.amdhsa_user_sgpr_kernarg_preload_length 0
		.amdhsa_user_sgpr_kernarg_preload_offset 0
		.amdhsa_user_sgpr_private_segment_size 0
		.amdhsa_uses_dynamic_stack 0
		.amdhsa_enable_private_segment 0
		.amdhsa_system_sgpr_workgroup_id_x 1
		.amdhsa_system_sgpr_workgroup_id_y 0
		.amdhsa_system_sgpr_workgroup_id_z 0
		.amdhsa_system_sgpr_workgroup_info 0
		.amdhsa_system_vgpr_workitem_id 0
		.amdhsa_next_free_vgpr 1
		.amdhsa_next_free_sgpr 0
		.amdhsa_accum_offset 4
		.amdhsa_reserve_vcc 0
		.amdhsa_float_round_mode_32 0
		.amdhsa_float_round_mode_16_64 0
		.amdhsa_float_denorm_mode_32 3
		.amdhsa_float_denorm_mode_16_64 3
		.amdhsa_dx10_clamp 1
		.amdhsa_ieee_mode 1
		.amdhsa_fp16_overflow 0
		.amdhsa_tg_split 0
		.amdhsa_exception_fp_ieee_invalid_op 0
		.amdhsa_exception_fp_denorm_src 0
		.amdhsa_exception_fp_ieee_div_zero 0
		.amdhsa_exception_fp_ieee_overflow 0
		.amdhsa_exception_fp_ieee_underflow 0
		.amdhsa_exception_fp_ieee_inexact 0
		.amdhsa_exception_int_div_zero 0
	.end_amdhsa_kernel
	.section	.text._ZN7rocprim17ROCPRIM_400000_NS6detail17trampoline_kernelINS0_14default_configENS1_38merge_sort_block_merge_config_selectorIbiEEZZNS1_27merge_sort_block_merge_implIS3_N6thrust23THRUST_200600_302600_NS6detail15normal_iteratorINS8_10device_ptrIbEEEENSA_INSB_IiEEEEjNS1_19radix_merge_compareILb1ELb1EbNS0_19identity_decomposerEEEEE10hipError_tT0_T1_T2_jT3_P12ihipStream_tbPNSt15iterator_traitsISK_E10value_typeEPNSQ_ISL_E10value_typeEPSM_NS1_7vsmem_tEENKUlT_SK_SL_SM_E_clIPbSD_PiSF_EESJ_SZ_SK_SL_SM_EUlSZ_E_NS1_11comp_targetILNS1_3genE5ELNS1_11target_archE942ELNS1_3gpuE9ELNS1_3repE0EEENS1_48merge_mergepath_partition_config_static_selectorELNS0_4arch9wavefront6targetE1EEEvSL_,"axG",@progbits,_ZN7rocprim17ROCPRIM_400000_NS6detail17trampoline_kernelINS0_14default_configENS1_38merge_sort_block_merge_config_selectorIbiEEZZNS1_27merge_sort_block_merge_implIS3_N6thrust23THRUST_200600_302600_NS6detail15normal_iteratorINS8_10device_ptrIbEEEENSA_INSB_IiEEEEjNS1_19radix_merge_compareILb1ELb1EbNS0_19identity_decomposerEEEEE10hipError_tT0_T1_T2_jT3_P12ihipStream_tbPNSt15iterator_traitsISK_E10value_typeEPNSQ_ISL_E10value_typeEPSM_NS1_7vsmem_tEENKUlT_SK_SL_SM_E_clIPbSD_PiSF_EESJ_SZ_SK_SL_SM_EUlSZ_E_NS1_11comp_targetILNS1_3genE5ELNS1_11target_archE942ELNS1_3gpuE9ELNS1_3repE0EEENS1_48merge_mergepath_partition_config_static_selectorELNS0_4arch9wavefront6targetE1EEEvSL_,comdat
.Lfunc_end2154:
	.size	_ZN7rocprim17ROCPRIM_400000_NS6detail17trampoline_kernelINS0_14default_configENS1_38merge_sort_block_merge_config_selectorIbiEEZZNS1_27merge_sort_block_merge_implIS3_N6thrust23THRUST_200600_302600_NS6detail15normal_iteratorINS8_10device_ptrIbEEEENSA_INSB_IiEEEEjNS1_19radix_merge_compareILb1ELb1EbNS0_19identity_decomposerEEEEE10hipError_tT0_T1_T2_jT3_P12ihipStream_tbPNSt15iterator_traitsISK_E10value_typeEPNSQ_ISL_E10value_typeEPSM_NS1_7vsmem_tEENKUlT_SK_SL_SM_E_clIPbSD_PiSF_EESJ_SZ_SK_SL_SM_EUlSZ_E_NS1_11comp_targetILNS1_3genE5ELNS1_11target_archE942ELNS1_3gpuE9ELNS1_3repE0EEENS1_48merge_mergepath_partition_config_static_selectorELNS0_4arch9wavefront6targetE1EEEvSL_, .Lfunc_end2154-_ZN7rocprim17ROCPRIM_400000_NS6detail17trampoline_kernelINS0_14default_configENS1_38merge_sort_block_merge_config_selectorIbiEEZZNS1_27merge_sort_block_merge_implIS3_N6thrust23THRUST_200600_302600_NS6detail15normal_iteratorINS8_10device_ptrIbEEEENSA_INSB_IiEEEEjNS1_19radix_merge_compareILb1ELb1EbNS0_19identity_decomposerEEEEE10hipError_tT0_T1_T2_jT3_P12ihipStream_tbPNSt15iterator_traitsISK_E10value_typeEPNSQ_ISL_E10value_typeEPSM_NS1_7vsmem_tEENKUlT_SK_SL_SM_E_clIPbSD_PiSF_EESJ_SZ_SK_SL_SM_EUlSZ_E_NS1_11comp_targetILNS1_3genE5ELNS1_11target_archE942ELNS1_3gpuE9ELNS1_3repE0EEENS1_48merge_mergepath_partition_config_static_selectorELNS0_4arch9wavefront6targetE1EEEvSL_
                                        ; -- End function
	.set _ZN7rocprim17ROCPRIM_400000_NS6detail17trampoline_kernelINS0_14default_configENS1_38merge_sort_block_merge_config_selectorIbiEEZZNS1_27merge_sort_block_merge_implIS3_N6thrust23THRUST_200600_302600_NS6detail15normal_iteratorINS8_10device_ptrIbEEEENSA_INSB_IiEEEEjNS1_19radix_merge_compareILb1ELb1EbNS0_19identity_decomposerEEEEE10hipError_tT0_T1_T2_jT3_P12ihipStream_tbPNSt15iterator_traitsISK_E10value_typeEPNSQ_ISL_E10value_typeEPSM_NS1_7vsmem_tEENKUlT_SK_SL_SM_E_clIPbSD_PiSF_EESJ_SZ_SK_SL_SM_EUlSZ_E_NS1_11comp_targetILNS1_3genE5ELNS1_11target_archE942ELNS1_3gpuE9ELNS1_3repE0EEENS1_48merge_mergepath_partition_config_static_selectorELNS0_4arch9wavefront6targetE1EEEvSL_.num_vgpr, 0
	.set _ZN7rocprim17ROCPRIM_400000_NS6detail17trampoline_kernelINS0_14default_configENS1_38merge_sort_block_merge_config_selectorIbiEEZZNS1_27merge_sort_block_merge_implIS3_N6thrust23THRUST_200600_302600_NS6detail15normal_iteratorINS8_10device_ptrIbEEEENSA_INSB_IiEEEEjNS1_19radix_merge_compareILb1ELb1EbNS0_19identity_decomposerEEEEE10hipError_tT0_T1_T2_jT3_P12ihipStream_tbPNSt15iterator_traitsISK_E10value_typeEPNSQ_ISL_E10value_typeEPSM_NS1_7vsmem_tEENKUlT_SK_SL_SM_E_clIPbSD_PiSF_EESJ_SZ_SK_SL_SM_EUlSZ_E_NS1_11comp_targetILNS1_3genE5ELNS1_11target_archE942ELNS1_3gpuE9ELNS1_3repE0EEENS1_48merge_mergepath_partition_config_static_selectorELNS0_4arch9wavefront6targetE1EEEvSL_.num_agpr, 0
	.set _ZN7rocprim17ROCPRIM_400000_NS6detail17trampoline_kernelINS0_14default_configENS1_38merge_sort_block_merge_config_selectorIbiEEZZNS1_27merge_sort_block_merge_implIS3_N6thrust23THRUST_200600_302600_NS6detail15normal_iteratorINS8_10device_ptrIbEEEENSA_INSB_IiEEEEjNS1_19radix_merge_compareILb1ELb1EbNS0_19identity_decomposerEEEEE10hipError_tT0_T1_T2_jT3_P12ihipStream_tbPNSt15iterator_traitsISK_E10value_typeEPNSQ_ISL_E10value_typeEPSM_NS1_7vsmem_tEENKUlT_SK_SL_SM_E_clIPbSD_PiSF_EESJ_SZ_SK_SL_SM_EUlSZ_E_NS1_11comp_targetILNS1_3genE5ELNS1_11target_archE942ELNS1_3gpuE9ELNS1_3repE0EEENS1_48merge_mergepath_partition_config_static_selectorELNS0_4arch9wavefront6targetE1EEEvSL_.numbered_sgpr, 0
	.set _ZN7rocprim17ROCPRIM_400000_NS6detail17trampoline_kernelINS0_14default_configENS1_38merge_sort_block_merge_config_selectorIbiEEZZNS1_27merge_sort_block_merge_implIS3_N6thrust23THRUST_200600_302600_NS6detail15normal_iteratorINS8_10device_ptrIbEEEENSA_INSB_IiEEEEjNS1_19radix_merge_compareILb1ELb1EbNS0_19identity_decomposerEEEEE10hipError_tT0_T1_T2_jT3_P12ihipStream_tbPNSt15iterator_traitsISK_E10value_typeEPNSQ_ISL_E10value_typeEPSM_NS1_7vsmem_tEENKUlT_SK_SL_SM_E_clIPbSD_PiSF_EESJ_SZ_SK_SL_SM_EUlSZ_E_NS1_11comp_targetILNS1_3genE5ELNS1_11target_archE942ELNS1_3gpuE9ELNS1_3repE0EEENS1_48merge_mergepath_partition_config_static_selectorELNS0_4arch9wavefront6targetE1EEEvSL_.num_named_barrier, 0
	.set _ZN7rocprim17ROCPRIM_400000_NS6detail17trampoline_kernelINS0_14default_configENS1_38merge_sort_block_merge_config_selectorIbiEEZZNS1_27merge_sort_block_merge_implIS3_N6thrust23THRUST_200600_302600_NS6detail15normal_iteratorINS8_10device_ptrIbEEEENSA_INSB_IiEEEEjNS1_19radix_merge_compareILb1ELb1EbNS0_19identity_decomposerEEEEE10hipError_tT0_T1_T2_jT3_P12ihipStream_tbPNSt15iterator_traitsISK_E10value_typeEPNSQ_ISL_E10value_typeEPSM_NS1_7vsmem_tEENKUlT_SK_SL_SM_E_clIPbSD_PiSF_EESJ_SZ_SK_SL_SM_EUlSZ_E_NS1_11comp_targetILNS1_3genE5ELNS1_11target_archE942ELNS1_3gpuE9ELNS1_3repE0EEENS1_48merge_mergepath_partition_config_static_selectorELNS0_4arch9wavefront6targetE1EEEvSL_.private_seg_size, 0
	.set _ZN7rocprim17ROCPRIM_400000_NS6detail17trampoline_kernelINS0_14default_configENS1_38merge_sort_block_merge_config_selectorIbiEEZZNS1_27merge_sort_block_merge_implIS3_N6thrust23THRUST_200600_302600_NS6detail15normal_iteratorINS8_10device_ptrIbEEEENSA_INSB_IiEEEEjNS1_19radix_merge_compareILb1ELb1EbNS0_19identity_decomposerEEEEE10hipError_tT0_T1_T2_jT3_P12ihipStream_tbPNSt15iterator_traitsISK_E10value_typeEPNSQ_ISL_E10value_typeEPSM_NS1_7vsmem_tEENKUlT_SK_SL_SM_E_clIPbSD_PiSF_EESJ_SZ_SK_SL_SM_EUlSZ_E_NS1_11comp_targetILNS1_3genE5ELNS1_11target_archE942ELNS1_3gpuE9ELNS1_3repE0EEENS1_48merge_mergepath_partition_config_static_selectorELNS0_4arch9wavefront6targetE1EEEvSL_.uses_vcc, 0
	.set _ZN7rocprim17ROCPRIM_400000_NS6detail17trampoline_kernelINS0_14default_configENS1_38merge_sort_block_merge_config_selectorIbiEEZZNS1_27merge_sort_block_merge_implIS3_N6thrust23THRUST_200600_302600_NS6detail15normal_iteratorINS8_10device_ptrIbEEEENSA_INSB_IiEEEEjNS1_19radix_merge_compareILb1ELb1EbNS0_19identity_decomposerEEEEE10hipError_tT0_T1_T2_jT3_P12ihipStream_tbPNSt15iterator_traitsISK_E10value_typeEPNSQ_ISL_E10value_typeEPSM_NS1_7vsmem_tEENKUlT_SK_SL_SM_E_clIPbSD_PiSF_EESJ_SZ_SK_SL_SM_EUlSZ_E_NS1_11comp_targetILNS1_3genE5ELNS1_11target_archE942ELNS1_3gpuE9ELNS1_3repE0EEENS1_48merge_mergepath_partition_config_static_selectorELNS0_4arch9wavefront6targetE1EEEvSL_.uses_flat_scratch, 0
	.set _ZN7rocprim17ROCPRIM_400000_NS6detail17trampoline_kernelINS0_14default_configENS1_38merge_sort_block_merge_config_selectorIbiEEZZNS1_27merge_sort_block_merge_implIS3_N6thrust23THRUST_200600_302600_NS6detail15normal_iteratorINS8_10device_ptrIbEEEENSA_INSB_IiEEEEjNS1_19radix_merge_compareILb1ELb1EbNS0_19identity_decomposerEEEEE10hipError_tT0_T1_T2_jT3_P12ihipStream_tbPNSt15iterator_traitsISK_E10value_typeEPNSQ_ISL_E10value_typeEPSM_NS1_7vsmem_tEENKUlT_SK_SL_SM_E_clIPbSD_PiSF_EESJ_SZ_SK_SL_SM_EUlSZ_E_NS1_11comp_targetILNS1_3genE5ELNS1_11target_archE942ELNS1_3gpuE9ELNS1_3repE0EEENS1_48merge_mergepath_partition_config_static_selectorELNS0_4arch9wavefront6targetE1EEEvSL_.has_dyn_sized_stack, 0
	.set _ZN7rocprim17ROCPRIM_400000_NS6detail17trampoline_kernelINS0_14default_configENS1_38merge_sort_block_merge_config_selectorIbiEEZZNS1_27merge_sort_block_merge_implIS3_N6thrust23THRUST_200600_302600_NS6detail15normal_iteratorINS8_10device_ptrIbEEEENSA_INSB_IiEEEEjNS1_19radix_merge_compareILb1ELb1EbNS0_19identity_decomposerEEEEE10hipError_tT0_T1_T2_jT3_P12ihipStream_tbPNSt15iterator_traitsISK_E10value_typeEPNSQ_ISL_E10value_typeEPSM_NS1_7vsmem_tEENKUlT_SK_SL_SM_E_clIPbSD_PiSF_EESJ_SZ_SK_SL_SM_EUlSZ_E_NS1_11comp_targetILNS1_3genE5ELNS1_11target_archE942ELNS1_3gpuE9ELNS1_3repE0EEENS1_48merge_mergepath_partition_config_static_selectorELNS0_4arch9wavefront6targetE1EEEvSL_.has_recursion, 0
	.set _ZN7rocprim17ROCPRIM_400000_NS6detail17trampoline_kernelINS0_14default_configENS1_38merge_sort_block_merge_config_selectorIbiEEZZNS1_27merge_sort_block_merge_implIS3_N6thrust23THRUST_200600_302600_NS6detail15normal_iteratorINS8_10device_ptrIbEEEENSA_INSB_IiEEEEjNS1_19radix_merge_compareILb1ELb1EbNS0_19identity_decomposerEEEEE10hipError_tT0_T1_T2_jT3_P12ihipStream_tbPNSt15iterator_traitsISK_E10value_typeEPNSQ_ISL_E10value_typeEPSM_NS1_7vsmem_tEENKUlT_SK_SL_SM_E_clIPbSD_PiSF_EESJ_SZ_SK_SL_SM_EUlSZ_E_NS1_11comp_targetILNS1_3genE5ELNS1_11target_archE942ELNS1_3gpuE9ELNS1_3repE0EEENS1_48merge_mergepath_partition_config_static_selectorELNS0_4arch9wavefront6targetE1EEEvSL_.has_indirect_call, 0
	.section	.AMDGPU.csdata,"",@progbits
; Kernel info:
; codeLenInByte = 0
; TotalNumSgprs: 6
; NumVgprs: 0
; NumAgprs: 0
; TotalNumVgprs: 0
; ScratchSize: 0
; MemoryBound: 0
; FloatMode: 240
; IeeeMode: 1
; LDSByteSize: 0 bytes/workgroup (compile time only)
; SGPRBlocks: 0
; VGPRBlocks: 0
; NumSGPRsForWavesPerEU: 6
; NumVGPRsForWavesPerEU: 1
; AccumOffset: 4
; Occupancy: 8
; WaveLimiterHint : 0
; COMPUTE_PGM_RSRC2:SCRATCH_EN: 0
; COMPUTE_PGM_RSRC2:USER_SGPR: 2
; COMPUTE_PGM_RSRC2:TRAP_HANDLER: 0
; COMPUTE_PGM_RSRC2:TGID_X_EN: 1
; COMPUTE_PGM_RSRC2:TGID_Y_EN: 0
; COMPUTE_PGM_RSRC2:TGID_Z_EN: 0
; COMPUTE_PGM_RSRC2:TIDIG_COMP_CNT: 0
; COMPUTE_PGM_RSRC3_GFX90A:ACCUM_OFFSET: 0
; COMPUTE_PGM_RSRC3_GFX90A:TG_SPLIT: 0
	.section	.text._ZN7rocprim17ROCPRIM_400000_NS6detail17trampoline_kernelINS0_14default_configENS1_38merge_sort_block_merge_config_selectorIbiEEZZNS1_27merge_sort_block_merge_implIS3_N6thrust23THRUST_200600_302600_NS6detail15normal_iteratorINS8_10device_ptrIbEEEENSA_INSB_IiEEEEjNS1_19radix_merge_compareILb1ELb1EbNS0_19identity_decomposerEEEEE10hipError_tT0_T1_T2_jT3_P12ihipStream_tbPNSt15iterator_traitsISK_E10value_typeEPNSQ_ISL_E10value_typeEPSM_NS1_7vsmem_tEENKUlT_SK_SL_SM_E_clIPbSD_PiSF_EESJ_SZ_SK_SL_SM_EUlSZ_E_NS1_11comp_targetILNS1_3genE4ELNS1_11target_archE910ELNS1_3gpuE8ELNS1_3repE0EEENS1_48merge_mergepath_partition_config_static_selectorELNS0_4arch9wavefront6targetE1EEEvSL_,"axG",@progbits,_ZN7rocprim17ROCPRIM_400000_NS6detail17trampoline_kernelINS0_14default_configENS1_38merge_sort_block_merge_config_selectorIbiEEZZNS1_27merge_sort_block_merge_implIS3_N6thrust23THRUST_200600_302600_NS6detail15normal_iteratorINS8_10device_ptrIbEEEENSA_INSB_IiEEEEjNS1_19radix_merge_compareILb1ELb1EbNS0_19identity_decomposerEEEEE10hipError_tT0_T1_T2_jT3_P12ihipStream_tbPNSt15iterator_traitsISK_E10value_typeEPNSQ_ISL_E10value_typeEPSM_NS1_7vsmem_tEENKUlT_SK_SL_SM_E_clIPbSD_PiSF_EESJ_SZ_SK_SL_SM_EUlSZ_E_NS1_11comp_targetILNS1_3genE4ELNS1_11target_archE910ELNS1_3gpuE8ELNS1_3repE0EEENS1_48merge_mergepath_partition_config_static_selectorELNS0_4arch9wavefront6targetE1EEEvSL_,comdat
	.protected	_ZN7rocprim17ROCPRIM_400000_NS6detail17trampoline_kernelINS0_14default_configENS1_38merge_sort_block_merge_config_selectorIbiEEZZNS1_27merge_sort_block_merge_implIS3_N6thrust23THRUST_200600_302600_NS6detail15normal_iteratorINS8_10device_ptrIbEEEENSA_INSB_IiEEEEjNS1_19radix_merge_compareILb1ELb1EbNS0_19identity_decomposerEEEEE10hipError_tT0_T1_T2_jT3_P12ihipStream_tbPNSt15iterator_traitsISK_E10value_typeEPNSQ_ISL_E10value_typeEPSM_NS1_7vsmem_tEENKUlT_SK_SL_SM_E_clIPbSD_PiSF_EESJ_SZ_SK_SL_SM_EUlSZ_E_NS1_11comp_targetILNS1_3genE4ELNS1_11target_archE910ELNS1_3gpuE8ELNS1_3repE0EEENS1_48merge_mergepath_partition_config_static_selectorELNS0_4arch9wavefront6targetE1EEEvSL_ ; -- Begin function _ZN7rocprim17ROCPRIM_400000_NS6detail17trampoline_kernelINS0_14default_configENS1_38merge_sort_block_merge_config_selectorIbiEEZZNS1_27merge_sort_block_merge_implIS3_N6thrust23THRUST_200600_302600_NS6detail15normal_iteratorINS8_10device_ptrIbEEEENSA_INSB_IiEEEEjNS1_19radix_merge_compareILb1ELb1EbNS0_19identity_decomposerEEEEE10hipError_tT0_T1_T2_jT3_P12ihipStream_tbPNSt15iterator_traitsISK_E10value_typeEPNSQ_ISL_E10value_typeEPSM_NS1_7vsmem_tEENKUlT_SK_SL_SM_E_clIPbSD_PiSF_EESJ_SZ_SK_SL_SM_EUlSZ_E_NS1_11comp_targetILNS1_3genE4ELNS1_11target_archE910ELNS1_3gpuE8ELNS1_3repE0EEENS1_48merge_mergepath_partition_config_static_selectorELNS0_4arch9wavefront6targetE1EEEvSL_
	.globl	_ZN7rocprim17ROCPRIM_400000_NS6detail17trampoline_kernelINS0_14default_configENS1_38merge_sort_block_merge_config_selectorIbiEEZZNS1_27merge_sort_block_merge_implIS3_N6thrust23THRUST_200600_302600_NS6detail15normal_iteratorINS8_10device_ptrIbEEEENSA_INSB_IiEEEEjNS1_19radix_merge_compareILb1ELb1EbNS0_19identity_decomposerEEEEE10hipError_tT0_T1_T2_jT3_P12ihipStream_tbPNSt15iterator_traitsISK_E10value_typeEPNSQ_ISL_E10value_typeEPSM_NS1_7vsmem_tEENKUlT_SK_SL_SM_E_clIPbSD_PiSF_EESJ_SZ_SK_SL_SM_EUlSZ_E_NS1_11comp_targetILNS1_3genE4ELNS1_11target_archE910ELNS1_3gpuE8ELNS1_3repE0EEENS1_48merge_mergepath_partition_config_static_selectorELNS0_4arch9wavefront6targetE1EEEvSL_
	.p2align	8
	.type	_ZN7rocprim17ROCPRIM_400000_NS6detail17trampoline_kernelINS0_14default_configENS1_38merge_sort_block_merge_config_selectorIbiEEZZNS1_27merge_sort_block_merge_implIS3_N6thrust23THRUST_200600_302600_NS6detail15normal_iteratorINS8_10device_ptrIbEEEENSA_INSB_IiEEEEjNS1_19radix_merge_compareILb1ELb1EbNS0_19identity_decomposerEEEEE10hipError_tT0_T1_T2_jT3_P12ihipStream_tbPNSt15iterator_traitsISK_E10value_typeEPNSQ_ISL_E10value_typeEPSM_NS1_7vsmem_tEENKUlT_SK_SL_SM_E_clIPbSD_PiSF_EESJ_SZ_SK_SL_SM_EUlSZ_E_NS1_11comp_targetILNS1_3genE4ELNS1_11target_archE910ELNS1_3gpuE8ELNS1_3repE0EEENS1_48merge_mergepath_partition_config_static_selectorELNS0_4arch9wavefront6targetE1EEEvSL_,@function
_ZN7rocprim17ROCPRIM_400000_NS6detail17trampoline_kernelINS0_14default_configENS1_38merge_sort_block_merge_config_selectorIbiEEZZNS1_27merge_sort_block_merge_implIS3_N6thrust23THRUST_200600_302600_NS6detail15normal_iteratorINS8_10device_ptrIbEEEENSA_INSB_IiEEEEjNS1_19radix_merge_compareILb1ELb1EbNS0_19identity_decomposerEEEEE10hipError_tT0_T1_T2_jT3_P12ihipStream_tbPNSt15iterator_traitsISK_E10value_typeEPNSQ_ISL_E10value_typeEPSM_NS1_7vsmem_tEENKUlT_SK_SL_SM_E_clIPbSD_PiSF_EESJ_SZ_SK_SL_SM_EUlSZ_E_NS1_11comp_targetILNS1_3genE4ELNS1_11target_archE910ELNS1_3gpuE8ELNS1_3repE0EEENS1_48merge_mergepath_partition_config_static_selectorELNS0_4arch9wavefront6targetE1EEEvSL_: ; @_ZN7rocprim17ROCPRIM_400000_NS6detail17trampoline_kernelINS0_14default_configENS1_38merge_sort_block_merge_config_selectorIbiEEZZNS1_27merge_sort_block_merge_implIS3_N6thrust23THRUST_200600_302600_NS6detail15normal_iteratorINS8_10device_ptrIbEEEENSA_INSB_IiEEEEjNS1_19radix_merge_compareILb1ELb1EbNS0_19identity_decomposerEEEEE10hipError_tT0_T1_T2_jT3_P12ihipStream_tbPNSt15iterator_traitsISK_E10value_typeEPNSQ_ISL_E10value_typeEPSM_NS1_7vsmem_tEENKUlT_SK_SL_SM_E_clIPbSD_PiSF_EESJ_SZ_SK_SL_SM_EUlSZ_E_NS1_11comp_targetILNS1_3genE4ELNS1_11target_archE910ELNS1_3gpuE8ELNS1_3repE0EEENS1_48merge_mergepath_partition_config_static_selectorELNS0_4arch9wavefront6targetE1EEEvSL_
; %bb.0:
	.section	.rodata,"a",@progbits
	.p2align	6, 0x0
	.amdhsa_kernel _ZN7rocprim17ROCPRIM_400000_NS6detail17trampoline_kernelINS0_14default_configENS1_38merge_sort_block_merge_config_selectorIbiEEZZNS1_27merge_sort_block_merge_implIS3_N6thrust23THRUST_200600_302600_NS6detail15normal_iteratorINS8_10device_ptrIbEEEENSA_INSB_IiEEEEjNS1_19radix_merge_compareILb1ELb1EbNS0_19identity_decomposerEEEEE10hipError_tT0_T1_T2_jT3_P12ihipStream_tbPNSt15iterator_traitsISK_E10value_typeEPNSQ_ISL_E10value_typeEPSM_NS1_7vsmem_tEENKUlT_SK_SL_SM_E_clIPbSD_PiSF_EESJ_SZ_SK_SL_SM_EUlSZ_E_NS1_11comp_targetILNS1_3genE4ELNS1_11target_archE910ELNS1_3gpuE8ELNS1_3repE0EEENS1_48merge_mergepath_partition_config_static_selectorELNS0_4arch9wavefront6targetE1EEEvSL_
		.amdhsa_group_segment_fixed_size 0
		.amdhsa_private_segment_fixed_size 0
		.amdhsa_kernarg_size 40
		.amdhsa_user_sgpr_count 2
		.amdhsa_user_sgpr_dispatch_ptr 0
		.amdhsa_user_sgpr_queue_ptr 0
		.amdhsa_user_sgpr_kernarg_segment_ptr 1
		.amdhsa_user_sgpr_dispatch_id 0
		.amdhsa_user_sgpr_kernarg_preload_length 0
		.amdhsa_user_sgpr_kernarg_preload_offset 0
		.amdhsa_user_sgpr_private_segment_size 0
		.amdhsa_uses_dynamic_stack 0
		.amdhsa_enable_private_segment 0
		.amdhsa_system_sgpr_workgroup_id_x 1
		.amdhsa_system_sgpr_workgroup_id_y 0
		.amdhsa_system_sgpr_workgroup_id_z 0
		.amdhsa_system_sgpr_workgroup_info 0
		.amdhsa_system_vgpr_workitem_id 0
		.amdhsa_next_free_vgpr 1
		.amdhsa_next_free_sgpr 0
		.amdhsa_accum_offset 4
		.amdhsa_reserve_vcc 0
		.amdhsa_float_round_mode_32 0
		.amdhsa_float_round_mode_16_64 0
		.amdhsa_float_denorm_mode_32 3
		.amdhsa_float_denorm_mode_16_64 3
		.amdhsa_dx10_clamp 1
		.amdhsa_ieee_mode 1
		.amdhsa_fp16_overflow 0
		.amdhsa_tg_split 0
		.amdhsa_exception_fp_ieee_invalid_op 0
		.amdhsa_exception_fp_denorm_src 0
		.amdhsa_exception_fp_ieee_div_zero 0
		.amdhsa_exception_fp_ieee_overflow 0
		.amdhsa_exception_fp_ieee_underflow 0
		.amdhsa_exception_fp_ieee_inexact 0
		.amdhsa_exception_int_div_zero 0
	.end_amdhsa_kernel
	.section	.text._ZN7rocprim17ROCPRIM_400000_NS6detail17trampoline_kernelINS0_14default_configENS1_38merge_sort_block_merge_config_selectorIbiEEZZNS1_27merge_sort_block_merge_implIS3_N6thrust23THRUST_200600_302600_NS6detail15normal_iteratorINS8_10device_ptrIbEEEENSA_INSB_IiEEEEjNS1_19radix_merge_compareILb1ELb1EbNS0_19identity_decomposerEEEEE10hipError_tT0_T1_T2_jT3_P12ihipStream_tbPNSt15iterator_traitsISK_E10value_typeEPNSQ_ISL_E10value_typeEPSM_NS1_7vsmem_tEENKUlT_SK_SL_SM_E_clIPbSD_PiSF_EESJ_SZ_SK_SL_SM_EUlSZ_E_NS1_11comp_targetILNS1_3genE4ELNS1_11target_archE910ELNS1_3gpuE8ELNS1_3repE0EEENS1_48merge_mergepath_partition_config_static_selectorELNS0_4arch9wavefront6targetE1EEEvSL_,"axG",@progbits,_ZN7rocprim17ROCPRIM_400000_NS6detail17trampoline_kernelINS0_14default_configENS1_38merge_sort_block_merge_config_selectorIbiEEZZNS1_27merge_sort_block_merge_implIS3_N6thrust23THRUST_200600_302600_NS6detail15normal_iteratorINS8_10device_ptrIbEEEENSA_INSB_IiEEEEjNS1_19radix_merge_compareILb1ELb1EbNS0_19identity_decomposerEEEEE10hipError_tT0_T1_T2_jT3_P12ihipStream_tbPNSt15iterator_traitsISK_E10value_typeEPNSQ_ISL_E10value_typeEPSM_NS1_7vsmem_tEENKUlT_SK_SL_SM_E_clIPbSD_PiSF_EESJ_SZ_SK_SL_SM_EUlSZ_E_NS1_11comp_targetILNS1_3genE4ELNS1_11target_archE910ELNS1_3gpuE8ELNS1_3repE0EEENS1_48merge_mergepath_partition_config_static_selectorELNS0_4arch9wavefront6targetE1EEEvSL_,comdat
.Lfunc_end2155:
	.size	_ZN7rocprim17ROCPRIM_400000_NS6detail17trampoline_kernelINS0_14default_configENS1_38merge_sort_block_merge_config_selectorIbiEEZZNS1_27merge_sort_block_merge_implIS3_N6thrust23THRUST_200600_302600_NS6detail15normal_iteratorINS8_10device_ptrIbEEEENSA_INSB_IiEEEEjNS1_19radix_merge_compareILb1ELb1EbNS0_19identity_decomposerEEEEE10hipError_tT0_T1_T2_jT3_P12ihipStream_tbPNSt15iterator_traitsISK_E10value_typeEPNSQ_ISL_E10value_typeEPSM_NS1_7vsmem_tEENKUlT_SK_SL_SM_E_clIPbSD_PiSF_EESJ_SZ_SK_SL_SM_EUlSZ_E_NS1_11comp_targetILNS1_3genE4ELNS1_11target_archE910ELNS1_3gpuE8ELNS1_3repE0EEENS1_48merge_mergepath_partition_config_static_selectorELNS0_4arch9wavefront6targetE1EEEvSL_, .Lfunc_end2155-_ZN7rocprim17ROCPRIM_400000_NS6detail17trampoline_kernelINS0_14default_configENS1_38merge_sort_block_merge_config_selectorIbiEEZZNS1_27merge_sort_block_merge_implIS3_N6thrust23THRUST_200600_302600_NS6detail15normal_iteratorINS8_10device_ptrIbEEEENSA_INSB_IiEEEEjNS1_19radix_merge_compareILb1ELb1EbNS0_19identity_decomposerEEEEE10hipError_tT0_T1_T2_jT3_P12ihipStream_tbPNSt15iterator_traitsISK_E10value_typeEPNSQ_ISL_E10value_typeEPSM_NS1_7vsmem_tEENKUlT_SK_SL_SM_E_clIPbSD_PiSF_EESJ_SZ_SK_SL_SM_EUlSZ_E_NS1_11comp_targetILNS1_3genE4ELNS1_11target_archE910ELNS1_3gpuE8ELNS1_3repE0EEENS1_48merge_mergepath_partition_config_static_selectorELNS0_4arch9wavefront6targetE1EEEvSL_
                                        ; -- End function
	.set _ZN7rocprim17ROCPRIM_400000_NS6detail17trampoline_kernelINS0_14default_configENS1_38merge_sort_block_merge_config_selectorIbiEEZZNS1_27merge_sort_block_merge_implIS3_N6thrust23THRUST_200600_302600_NS6detail15normal_iteratorINS8_10device_ptrIbEEEENSA_INSB_IiEEEEjNS1_19radix_merge_compareILb1ELb1EbNS0_19identity_decomposerEEEEE10hipError_tT0_T1_T2_jT3_P12ihipStream_tbPNSt15iterator_traitsISK_E10value_typeEPNSQ_ISL_E10value_typeEPSM_NS1_7vsmem_tEENKUlT_SK_SL_SM_E_clIPbSD_PiSF_EESJ_SZ_SK_SL_SM_EUlSZ_E_NS1_11comp_targetILNS1_3genE4ELNS1_11target_archE910ELNS1_3gpuE8ELNS1_3repE0EEENS1_48merge_mergepath_partition_config_static_selectorELNS0_4arch9wavefront6targetE1EEEvSL_.num_vgpr, 0
	.set _ZN7rocprim17ROCPRIM_400000_NS6detail17trampoline_kernelINS0_14default_configENS1_38merge_sort_block_merge_config_selectorIbiEEZZNS1_27merge_sort_block_merge_implIS3_N6thrust23THRUST_200600_302600_NS6detail15normal_iteratorINS8_10device_ptrIbEEEENSA_INSB_IiEEEEjNS1_19radix_merge_compareILb1ELb1EbNS0_19identity_decomposerEEEEE10hipError_tT0_T1_T2_jT3_P12ihipStream_tbPNSt15iterator_traitsISK_E10value_typeEPNSQ_ISL_E10value_typeEPSM_NS1_7vsmem_tEENKUlT_SK_SL_SM_E_clIPbSD_PiSF_EESJ_SZ_SK_SL_SM_EUlSZ_E_NS1_11comp_targetILNS1_3genE4ELNS1_11target_archE910ELNS1_3gpuE8ELNS1_3repE0EEENS1_48merge_mergepath_partition_config_static_selectorELNS0_4arch9wavefront6targetE1EEEvSL_.num_agpr, 0
	.set _ZN7rocprim17ROCPRIM_400000_NS6detail17trampoline_kernelINS0_14default_configENS1_38merge_sort_block_merge_config_selectorIbiEEZZNS1_27merge_sort_block_merge_implIS3_N6thrust23THRUST_200600_302600_NS6detail15normal_iteratorINS8_10device_ptrIbEEEENSA_INSB_IiEEEEjNS1_19radix_merge_compareILb1ELb1EbNS0_19identity_decomposerEEEEE10hipError_tT0_T1_T2_jT3_P12ihipStream_tbPNSt15iterator_traitsISK_E10value_typeEPNSQ_ISL_E10value_typeEPSM_NS1_7vsmem_tEENKUlT_SK_SL_SM_E_clIPbSD_PiSF_EESJ_SZ_SK_SL_SM_EUlSZ_E_NS1_11comp_targetILNS1_3genE4ELNS1_11target_archE910ELNS1_3gpuE8ELNS1_3repE0EEENS1_48merge_mergepath_partition_config_static_selectorELNS0_4arch9wavefront6targetE1EEEvSL_.numbered_sgpr, 0
	.set _ZN7rocprim17ROCPRIM_400000_NS6detail17trampoline_kernelINS0_14default_configENS1_38merge_sort_block_merge_config_selectorIbiEEZZNS1_27merge_sort_block_merge_implIS3_N6thrust23THRUST_200600_302600_NS6detail15normal_iteratorINS8_10device_ptrIbEEEENSA_INSB_IiEEEEjNS1_19radix_merge_compareILb1ELb1EbNS0_19identity_decomposerEEEEE10hipError_tT0_T1_T2_jT3_P12ihipStream_tbPNSt15iterator_traitsISK_E10value_typeEPNSQ_ISL_E10value_typeEPSM_NS1_7vsmem_tEENKUlT_SK_SL_SM_E_clIPbSD_PiSF_EESJ_SZ_SK_SL_SM_EUlSZ_E_NS1_11comp_targetILNS1_3genE4ELNS1_11target_archE910ELNS1_3gpuE8ELNS1_3repE0EEENS1_48merge_mergepath_partition_config_static_selectorELNS0_4arch9wavefront6targetE1EEEvSL_.num_named_barrier, 0
	.set _ZN7rocprim17ROCPRIM_400000_NS6detail17trampoline_kernelINS0_14default_configENS1_38merge_sort_block_merge_config_selectorIbiEEZZNS1_27merge_sort_block_merge_implIS3_N6thrust23THRUST_200600_302600_NS6detail15normal_iteratorINS8_10device_ptrIbEEEENSA_INSB_IiEEEEjNS1_19radix_merge_compareILb1ELb1EbNS0_19identity_decomposerEEEEE10hipError_tT0_T1_T2_jT3_P12ihipStream_tbPNSt15iterator_traitsISK_E10value_typeEPNSQ_ISL_E10value_typeEPSM_NS1_7vsmem_tEENKUlT_SK_SL_SM_E_clIPbSD_PiSF_EESJ_SZ_SK_SL_SM_EUlSZ_E_NS1_11comp_targetILNS1_3genE4ELNS1_11target_archE910ELNS1_3gpuE8ELNS1_3repE0EEENS1_48merge_mergepath_partition_config_static_selectorELNS0_4arch9wavefront6targetE1EEEvSL_.private_seg_size, 0
	.set _ZN7rocprim17ROCPRIM_400000_NS6detail17trampoline_kernelINS0_14default_configENS1_38merge_sort_block_merge_config_selectorIbiEEZZNS1_27merge_sort_block_merge_implIS3_N6thrust23THRUST_200600_302600_NS6detail15normal_iteratorINS8_10device_ptrIbEEEENSA_INSB_IiEEEEjNS1_19radix_merge_compareILb1ELb1EbNS0_19identity_decomposerEEEEE10hipError_tT0_T1_T2_jT3_P12ihipStream_tbPNSt15iterator_traitsISK_E10value_typeEPNSQ_ISL_E10value_typeEPSM_NS1_7vsmem_tEENKUlT_SK_SL_SM_E_clIPbSD_PiSF_EESJ_SZ_SK_SL_SM_EUlSZ_E_NS1_11comp_targetILNS1_3genE4ELNS1_11target_archE910ELNS1_3gpuE8ELNS1_3repE0EEENS1_48merge_mergepath_partition_config_static_selectorELNS0_4arch9wavefront6targetE1EEEvSL_.uses_vcc, 0
	.set _ZN7rocprim17ROCPRIM_400000_NS6detail17trampoline_kernelINS0_14default_configENS1_38merge_sort_block_merge_config_selectorIbiEEZZNS1_27merge_sort_block_merge_implIS3_N6thrust23THRUST_200600_302600_NS6detail15normal_iteratorINS8_10device_ptrIbEEEENSA_INSB_IiEEEEjNS1_19radix_merge_compareILb1ELb1EbNS0_19identity_decomposerEEEEE10hipError_tT0_T1_T2_jT3_P12ihipStream_tbPNSt15iterator_traitsISK_E10value_typeEPNSQ_ISL_E10value_typeEPSM_NS1_7vsmem_tEENKUlT_SK_SL_SM_E_clIPbSD_PiSF_EESJ_SZ_SK_SL_SM_EUlSZ_E_NS1_11comp_targetILNS1_3genE4ELNS1_11target_archE910ELNS1_3gpuE8ELNS1_3repE0EEENS1_48merge_mergepath_partition_config_static_selectorELNS0_4arch9wavefront6targetE1EEEvSL_.uses_flat_scratch, 0
	.set _ZN7rocprim17ROCPRIM_400000_NS6detail17trampoline_kernelINS0_14default_configENS1_38merge_sort_block_merge_config_selectorIbiEEZZNS1_27merge_sort_block_merge_implIS3_N6thrust23THRUST_200600_302600_NS6detail15normal_iteratorINS8_10device_ptrIbEEEENSA_INSB_IiEEEEjNS1_19radix_merge_compareILb1ELb1EbNS0_19identity_decomposerEEEEE10hipError_tT0_T1_T2_jT3_P12ihipStream_tbPNSt15iterator_traitsISK_E10value_typeEPNSQ_ISL_E10value_typeEPSM_NS1_7vsmem_tEENKUlT_SK_SL_SM_E_clIPbSD_PiSF_EESJ_SZ_SK_SL_SM_EUlSZ_E_NS1_11comp_targetILNS1_3genE4ELNS1_11target_archE910ELNS1_3gpuE8ELNS1_3repE0EEENS1_48merge_mergepath_partition_config_static_selectorELNS0_4arch9wavefront6targetE1EEEvSL_.has_dyn_sized_stack, 0
	.set _ZN7rocprim17ROCPRIM_400000_NS6detail17trampoline_kernelINS0_14default_configENS1_38merge_sort_block_merge_config_selectorIbiEEZZNS1_27merge_sort_block_merge_implIS3_N6thrust23THRUST_200600_302600_NS6detail15normal_iteratorINS8_10device_ptrIbEEEENSA_INSB_IiEEEEjNS1_19radix_merge_compareILb1ELb1EbNS0_19identity_decomposerEEEEE10hipError_tT0_T1_T2_jT3_P12ihipStream_tbPNSt15iterator_traitsISK_E10value_typeEPNSQ_ISL_E10value_typeEPSM_NS1_7vsmem_tEENKUlT_SK_SL_SM_E_clIPbSD_PiSF_EESJ_SZ_SK_SL_SM_EUlSZ_E_NS1_11comp_targetILNS1_3genE4ELNS1_11target_archE910ELNS1_3gpuE8ELNS1_3repE0EEENS1_48merge_mergepath_partition_config_static_selectorELNS0_4arch9wavefront6targetE1EEEvSL_.has_recursion, 0
	.set _ZN7rocprim17ROCPRIM_400000_NS6detail17trampoline_kernelINS0_14default_configENS1_38merge_sort_block_merge_config_selectorIbiEEZZNS1_27merge_sort_block_merge_implIS3_N6thrust23THRUST_200600_302600_NS6detail15normal_iteratorINS8_10device_ptrIbEEEENSA_INSB_IiEEEEjNS1_19radix_merge_compareILb1ELb1EbNS0_19identity_decomposerEEEEE10hipError_tT0_T1_T2_jT3_P12ihipStream_tbPNSt15iterator_traitsISK_E10value_typeEPNSQ_ISL_E10value_typeEPSM_NS1_7vsmem_tEENKUlT_SK_SL_SM_E_clIPbSD_PiSF_EESJ_SZ_SK_SL_SM_EUlSZ_E_NS1_11comp_targetILNS1_3genE4ELNS1_11target_archE910ELNS1_3gpuE8ELNS1_3repE0EEENS1_48merge_mergepath_partition_config_static_selectorELNS0_4arch9wavefront6targetE1EEEvSL_.has_indirect_call, 0
	.section	.AMDGPU.csdata,"",@progbits
; Kernel info:
; codeLenInByte = 0
; TotalNumSgprs: 6
; NumVgprs: 0
; NumAgprs: 0
; TotalNumVgprs: 0
; ScratchSize: 0
; MemoryBound: 0
; FloatMode: 240
; IeeeMode: 1
; LDSByteSize: 0 bytes/workgroup (compile time only)
; SGPRBlocks: 0
; VGPRBlocks: 0
; NumSGPRsForWavesPerEU: 6
; NumVGPRsForWavesPerEU: 1
; AccumOffset: 4
; Occupancy: 8
; WaveLimiterHint : 0
; COMPUTE_PGM_RSRC2:SCRATCH_EN: 0
; COMPUTE_PGM_RSRC2:USER_SGPR: 2
; COMPUTE_PGM_RSRC2:TRAP_HANDLER: 0
; COMPUTE_PGM_RSRC2:TGID_X_EN: 1
; COMPUTE_PGM_RSRC2:TGID_Y_EN: 0
; COMPUTE_PGM_RSRC2:TGID_Z_EN: 0
; COMPUTE_PGM_RSRC2:TIDIG_COMP_CNT: 0
; COMPUTE_PGM_RSRC3_GFX90A:ACCUM_OFFSET: 0
; COMPUTE_PGM_RSRC3_GFX90A:TG_SPLIT: 0
	.section	.text._ZN7rocprim17ROCPRIM_400000_NS6detail17trampoline_kernelINS0_14default_configENS1_38merge_sort_block_merge_config_selectorIbiEEZZNS1_27merge_sort_block_merge_implIS3_N6thrust23THRUST_200600_302600_NS6detail15normal_iteratorINS8_10device_ptrIbEEEENSA_INSB_IiEEEEjNS1_19radix_merge_compareILb1ELb1EbNS0_19identity_decomposerEEEEE10hipError_tT0_T1_T2_jT3_P12ihipStream_tbPNSt15iterator_traitsISK_E10value_typeEPNSQ_ISL_E10value_typeEPSM_NS1_7vsmem_tEENKUlT_SK_SL_SM_E_clIPbSD_PiSF_EESJ_SZ_SK_SL_SM_EUlSZ_E_NS1_11comp_targetILNS1_3genE3ELNS1_11target_archE908ELNS1_3gpuE7ELNS1_3repE0EEENS1_48merge_mergepath_partition_config_static_selectorELNS0_4arch9wavefront6targetE1EEEvSL_,"axG",@progbits,_ZN7rocprim17ROCPRIM_400000_NS6detail17trampoline_kernelINS0_14default_configENS1_38merge_sort_block_merge_config_selectorIbiEEZZNS1_27merge_sort_block_merge_implIS3_N6thrust23THRUST_200600_302600_NS6detail15normal_iteratorINS8_10device_ptrIbEEEENSA_INSB_IiEEEEjNS1_19radix_merge_compareILb1ELb1EbNS0_19identity_decomposerEEEEE10hipError_tT0_T1_T2_jT3_P12ihipStream_tbPNSt15iterator_traitsISK_E10value_typeEPNSQ_ISL_E10value_typeEPSM_NS1_7vsmem_tEENKUlT_SK_SL_SM_E_clIPbSD_PiSF_EESJ_SZ_SK_SL_SM_EUlSZ_E_NS1_11comp_targetILNS1_3genE3ELNS1_11target_archE908ELNS1_3gpuE7ELNS1_3repE0EEENS1_48merge_mergepath_partition_config_static_selectorELNS0_4arch9wavefront6targetE1EEEvSL_,comdat
	.protected	_ZN7rocprim17ROCPRIM_400000_NS6detail17trampoline_kernelINS0_14default_configENS1_38merge_sort_block_merge_config_selectorIbiEEZZNS1_27merge_sort_block_merge_implIS3_N6thrust23THRUST_200600_302600_NS6detail15normal_iteratorINS8_10device_ptrIbEEEENSA_INSB_IiEEEEjNS1_19radix_merge_compareILb1ELb1EbNS0_19identity_decomposerEEEEE10hipError_tT0_T1_T2_jT3_P12ihipStream_tbPNSt15iterator_traitsISK_E10value_typeEPNSQ_ISL_E10value_typeEPSM_NS1_7vsmem_tEENKUlT_SK_SL_SM_E_clIPbSD_PiSF_EESJ_SZ_SK_SL_SM_EUlSZ_E_NS1_11comp_targetILNS1_3genE3ELNS1_11target_archE908ELNS1_3gpuE7ELNS1_3repE0EEENS1_48merge_mergepath_partition_config_static_selectorELNS0_4arch9wavefront6targetE1EEEvSL_ ; -- Begin function _ZN7rocprim17ROCPRIM_400000_NS6detail17trampoline_kernelINS0_14default_configENS1_38merge_sort_block_merge_config_selectorIbiEEZZNS1_27merge_sort_block_merge_implIS3_N6thrust23THRUST_200600_302600_NS6detail15normal_iteratorINS8_10device_ptrIbEEEENSA_INSB_IiEEEEjNS1_19radix_merge_compareILb1ELb1EbNS0_19identity_decomposerEEEEE10hipError_tT0_T1_T2_jT3_P12ihipStream_tbPNSt15iterator_traitsISK_E10value_typeEPNSQ_ISL_E10value_typeEPSM_NS1_7vsmem_tEENKUlT_SK_SL_SM_E_clIPbSD_PiSF_EESJ_SZ_SK_SL_SM_EUlSZ_E_NS1_11comp_targetILNS1_3genE3ELNS1_11target_archE908ELNS1_3gpuE7ELNS1_3repE0EEENS1_48merge_mergepath_partition_config_static_selectorELNS0_4arch9wavefront6targetE1EEEvSL_
	.globl	_ZN7rocprim17ROCPRIM_400000_NS6detail17trampoline_kernelINS0_14default_configENS1_38merge_sort_block_merge_config_selectorIbiEEZZNS1_27merge_sort_block_merge_implIS3_N6thrust23THRUST_200600_302600_NS6detail15normal_iteratorINS8_10device_ptrIbEEEENSA_INSB_IiEEEEjNS1_19radix_merge_compareILb1ELb1EbNS0_19identity_decomposerEEEEE10hipError_tT0_T1_T2_jT3_P12ihipStream_tbPNSt15iterator_traitsISK_E10value_typeEPNSQ_ISL_E10value_typeEPSM_NS1_7vsmem_tEENKUlT_SK_SL_SM_E_clIPbSD_PiSF_EESJ_SZ_SK_SL_SM_EUlSZ_E_NS1_11comp_targetILNS1_3genE3ELNS1_11target_archE908ELNS1_3gpuE7ELNS1_3repE0EEENS1_48merge_mergepath_partition_config_static_selectorELNS0_4arch9wavefront6targetE1EEEvSL_
	.p2align	8
	.type	_ZN7rocprim17ROCPRIM_400000_NS6detail17trampoline_kernelINS0_14default_configENS1_38merge_sort_block_merge_config_selectorIbiEEZZNS1_27merge_sort_block_merge_implIS3_N6thrust23THRUST_200600_302600_NS6detail15normal_iteratorINS8_10device_ptrIbEEEENSA_INSB_IiEEEEjNS1_19radix_merge_compareILb1ELb1EbNS0_19identity_decomposerEEEEE10hipError_tT0_T1_T2_jT3_P12ihipStream_tbPNSt15iterator_traitsISK_E10value_typeEPNSQ_ISL_E10value_typeEPSM_NS1_7vsmem_tEENKUlT_SK_SL_SM_E_clIPbSD_PiSF_EESJ_SZ_SK_SL_SM_EUlSZ_E_NS1_11comp_targetILNS1_3genE3ELNS1_11target_archE908ELNS1_3gpuE7ELNS1_3repE0EEENS1_48merge_mergepath_partition_config_static_selectorELNS0_4arch9wavefront6targetE1EEEvSL_,@function
_ZN7rocprim17ROCPRIM_400000_NS6detail17trampoline_kernelINS0_14default_configENS1_38merge_sort_block_merge_config_selectorIbiEEZZNS1_27merge_sort_block_merge_implIS3_N6thrust23THRUST_200600_302600_NS6detail15normal_iteratorINS8_10device_ptrIbEEEENSA_INSB_IiEEEEjNS1_19radix_merge_compareILb1ELb1EbNS0_19identity_decomposerEEEEE10hipError_tT0_T1_T2_jT3_P12ihipStream_tbPNSt15iterator_traitsISK_E10value_typeEPNSQ_ISL_E10value_typeEPSM_NS1_7vsmem_tEENKUlT_SK_SL_SM_E_clIPbSD_PiSF_EESJ_SZ_SK_SL_SM_EUlSZ_E_NS1_11comp_targetILNS1_3genE3ELNS1_11target_archE908ELNS1_3gpuE7ELNS1_3repE0EEENS1_48merge_mergepath_partition_config_static_selectorELNS0_4arch9wavefront6targetE1EEEvSL_: ; @_ZN7rocprim17ROCPRIM_400000_NS6detail17trampoline_kernelINS0_14default_configENS1_38merge_sort_block_merge_config_selectorIbiEEZZNS1_27merge_sort_block_merge_implIS3_N6thrust23THRUST_200600_302600_NS6detail15normal_iteratorINS8_10device_ptrIbEEEENSA_INSB_IiEEEEjNS1_19radix_merge_compareILb1ELb1EbNS0_19identity_decomposerEEEEE10hipError_tT0_T1_T2_jT3_P12ihipStream_tbPNSt15iterator_traitsISK_E10value_typeEPNSQ_ISL_E10value_typeEPSM_NS1_7vsmem_tEENKUlT_SK_SL_SM_E_clIPbSD_PiSF_EESJ_SZ_SK_SL_SM_EUlSZ_E_NS1_11comp_targetILNS1_3genE3ELNS1_11target_archE908ELNS1_3gpuE7ELNS1_3repE0EEENS1_48merge_mergepath_partition_config_static_selectorELNS0_4arch9wavefront6targetE1EEEvSL_
; %bb.0:
	.section	.rodata,"a",@progbits
	.p2align	6, 0x0
	.amdhsa_kernel _ZN7rocprim17ROCPRIM_400000_NS6detail17trampoline_kernelINS0_14default_configENS1_38merge_sort_block_merge_config_selectorIbiEEZZNS1_27merge_sort_block_merge_implIS3_N6thrust23THRUST_200600_302600_NS6detail15normal_iteratorINS8_10device_ptrIbEEEENSA_INSB_IiEEEEjNS1_19radix_merge_compareILb1ELb1EbNS0_19identity_decomposerEEEEE10hipError_tT0_T1_T2_jT3_P12ihipStream_tbPNSt15iterator_traitsISK_E10value_typeEPNSQ_ISL_E10value_typeEPSM_NS1_7vsmem_tEENKUlT_SK_SL_SM_E_clIPbSD_PiSF_EESJ_SZ_SK_SL_SM_EUlSZ_E_NS1_11comp_targetILNS1_3genE3ELNS1_11target_archE908ELNS1_3gpuE7ELNS1_3repE0EEENS1_48merge_mergepath_partition_config_static_selectorELNS0_4arch9wavefront6targetE1EEEvSL_
		.amdhsa_group_segment_fixed_size 0
		.amdhsa_private_segment_fixed_size 0
		.amdhsa_kernarg_size 40
		.amdhsa_user_sgpr_count 2
		.amdhsa_user_sgpr_dispatch_ptr 0
		.amdhsa_user_sgpr_queue_ptr 0
		.amdhsa_user_sgpr_kernarg_segment_ptr 1
		.amdhsa_user_sgpr_dispatch_id 0
		.amdhsa_user_sgpr_kernarg_preload_length 0
		.amdhsa_user_sgpr_kernarg_preload_offset 0
		.amdhsa_user_sgpr_private_segment_size 0
		.amdhsa_uses_dynamic_stack 0
		.amdhsa_enable_private_segment 0
		.amdhsa_system_sgpr_workgroup_id_x 1
		.amdhsa_system_sgpr_workgroup_id_y 0
		.amdhsa_system_sgpr_workgroup_id_z 0
		.amdhsa_system_sgpr_workgroup_info 0
		.amdhsa_system_vgpr_workitem_id 0
		.amdhsa_next_free_vgpr 1
		.amdhsa_next_free_sgpr 0
		.amdhsa_accum_offset 4
		.amdhsa_reserve_vcc 0
		.amdhsa_float_round_mode_32 0
		.amdhsa_float_round_mode_16_64 0
		.amdhsa_float_denorm_mode_32 3
		.amdhsa_float_denorm_mode_16_64 3
		.amdhsa_dx10_clamp 1
		.amdhsa_ieee_mode 1
		.amdhsa_fp16_overflow 0
		.amdhsa_tg_split 0
		.amdhsa_exception_fp_ieee_invalid_op 0
		.amdhsa_exception_fp_denorm_src 0
		.amdhsa_exception_fp_ieee_div_zero 0
		.amdhsa_exception_fp_ieee_overflow 0
		.amdhsa_exception_fp_ieee_underflow 0
		.amdhsa_exception_fp_ieee_inexact 0
		.amdhsa_exception_int_div_zero 0
	.end_amdhsa_kernel
	.section	.text._ZN7rocprim17ROCPRIM_400000_NS6detail17trampoline_kernelINS0_14default_configENS1_38merge_sort_block_merge_config_selectorIbiEEZZNS1_27merge_sort_block_merge_implIS3_N6thrust23THRUST_200600_302600_NS6detail15normal_iteratorINS8_10device_ptrIbEEEENSA_INSB_IiEEEEjNS1_19radix_merge_compareILb1ELb1EbNS0_19identity_decomposerEEEEE10hipError_tT0_T1_T2_jT3_P12ihipStream_tbPNSt15iterator_traitsISK_E10value_typeEPNSQ_ISL_E10value_typeEPSM_NS1_7vsmem_tEENKUlT_SK_SL_SM_E_clIPbSD_PiSF_EESJ_SZ_SK_SL_SM_EUlSZ_E_NS1_11comp_targetILNS1_3genE3ELNS1_11target_archE908ELNS1_3gpuE7ELNS1_3repE0EEENS1_48merge_mergepath_partition_config_static_selectorELNS0_4arch9wavefront6targetE1EEEvSL_,"axG",@progbits,_ZN7rocprim17ROCPRIM_400000_NS6detail17trampoline_kernelINS0_14default_configENS1_38merge_sort_block_merge_config_selectorIbiEEZZNS1_27merge_sort_block_merge_implIS3_N6thrust23THRUST_200600_302600_NS6detail15normal_iteratorINS8_10device_ptrIbEEEENSA_INSB_IiEEEEjNS1_19radix_merge_compareILb1ELb1EbNS0_19identity_decomposerEEEEE10hipError_tT0_T1_T2_jT3_P12ihipStream_tbPNSt15iterator_traitsISK_E10value_typeEPNSQ_ISL_E10value_typeEPSM_NS1_7vsmem_tEENKUlT_SK_SL_SM_E_clIPbSD_PiSF_EESJ_SZ_SK_SL_SM_EUlSZ_E_NS1_11comp_targetILNS1_3genE3ELNS1_11target_archE908ELNS1_3gpuE7ELNS1_3repE0EEENS1_48merge_mergepath_partition_config_static_selectorELNS0_4arch9wavefront6targetE1EEEvSL_,comdat
.Lfunc_end2156:
	.size	_ZN7rocprim17ROCPRIM_400000_NS6detail17trampoline_kernelINS0_14default_configENS1_38merge_sort_block_merge_config_selectorIbiEEZZNS1_27merge_sort_block_merge_implIS3_N6thrust23THRUST_200600_302600_NS6detail15normal_iteratorINS8_10device_ptrIbEEEENSA_INSB_IiEEEEjNS1_19radix_merge_compareILb1ELb1EbNS0_19identity_decomposerEEEEE10hipError_tT0_T1_T2_jT3_P12ihipStream_tbPNSt15iterator_traitsISK_E10value_typeEPNSQ_ISL_E10value_typeEPSM_NS1_7vsmem_tEENKUlT_SK_SL_SM_E_clIPbSD_PiSF_EESJ_SZ_SK_SL_SM_EUlSZ_E_NS1_11comp_targetILNS1_3genE3ELNS1_11target_archE908ELNS1_3gpuE7ELNS1_3repE0EEENS1_48merge_mergepath_partition_config_static_selectorELNS0_4arch9wavefront6targetE1EEEvSL_, .Lfunc_end2156-_ZN7rocprim17ROCPRIM_400000_NS6detail17trampoline_kernelINS0_14default_configENS1_38merge_sort_block_merge_config_selectorIbiEEZZNS1_27merge_sort_block_merge_implIS3_N6thrust23THRUST_200600_302600_NS6detail15normal_iteratorINS8_10device_ptrIbEEEENSA_INSB_IiEEEEjNS1_19radix_merge_compareILb1ELb1EbNS0_19identity_decomposerEEEEE10hipError_tT0_T1_T2_jT3_P12ihipStream_tbPNSt15iterator_traitsISK_E10value_typeEPNSQ_ISL_E10value_typeEPSM_NS1_7vsmem_tEENKUlT_SK_SL_SM_E_clIPbSD_PiSF_EESJ_SZ_SK_SL_SM_EUlSZ_E_NS1_11comp_targetILNS1_3genE3ELNS1_11target_archE908ELNS1_3gpuE7ELNS1_3repE0EEENS1_48merge_mergepath_partition_config_static_selectorELNS0_4arch9wavefront6targetE1EEEvSL_
                                        ; -- End function
	.set _ZN7rocprim17ROCPRIM_400000_NS6detail17trampoline_kernelINS0_14default_configENS1_38merge_sort_block_merge_config_selectorIbiEEZZNS1_27merge_sort_block_merge_implIS3_N6thrust23THRUST_200600_302600_NS6detail15normal_iteratorINS8_10device_ptrIbEEEENSA_INSB_IiEEEEjNS1_19radix_merge_compareILb1ELb1EbNS0_19identity_decomposerEEEEE10hipError_tT0_T1_T2_jT3_P12ihipStream_tbPNSt15iterator_traitsISK_E10value_typeEPNSQ_ISL_E10value_typeEPSM_NS1_7vsmem_tEENKUlT_SK_SL_SM_E_clIPbSD_PiSF_EESJ_SZ_SK_SL_SM_EUlSZ_E_NS1_11comp_targetILNS1_3genE3ELNS1_11target_archE908ELNS1_3gpuE7ELNS1_3repE0EEENS1_48merge_mergepath_partition_config_static_selectorELNS0_4arch9wavefront6targetE1EEEvSL_.num_vgpr, 0
	.set _ZN7rocprim17ROCPRIM_400000_NS6detail17trampoline_kernelINS0_14default_configENS1_38merge_sort_block_merge_config_selectorIbiEEZZNS1_27merge_sort_block_merge_implIS3_N6thrust23THRUST_200600_302600_NS6detail15normal_iteratorINS8_10device_ptrIbEEEENSA_INSB_IiEEEEjNS1_19radix_merge_compareILb1ELb1EbNS0_19identity_decomposerEEEEE10hipError_tT0_T1_T2_jT3_P12ihipStream_tbPNSt15iterator_traitsISK_E10value_typeEPNSQ_ISL_E10value_typeEPSM_NS1_7vsmem_tEENKUlT_SK_SL_SM_E_clIPbSD_PiSF_EESJ_SZ_SK_SL_SM_EUlSZ_E_NS1_11comp_targetILNS1_3genE3ELNS1_11target_archE908ELNS1_3gpuE7ELNS1_3repE0EEENS1_48merge_mergepath_partition_config_static_selectorELNS0_4arch9wavefront6targetE1EEEvSL_.num_agpr, 0
	.set _ZN7rocprim17ROCPRIM_400000_NS6detail17trampoline_kernelINS0_14default_configENS1_38merge_sort_block_merge_config_selectorIbiEEZZNS1_27merge_sort_block_merge_implIS3_N6thrust23THRUST_200600_302600_NS6detail15normal_iteratorINS8_10device_ptrIbEEEENSA_INSB_IiEEEEjNS1_19radix_merge_compareILb1ELb1EbNS0_19identity_decomposerEEEEE10hipError_tT0_T1_T2_jT3_P12ihipStream_tbPNSt15iterator_traitsISK_E10value_typeEPNSQ_ISL_E10value_typeEPSM_NS1_7vsmem_tEENKUlT_SK_SL_SM_E_clIPbSD_PiSF_EESJ_SZ_SK_SL_SM_EUlSZ_E_NS1_11comp_targetILNS1_3genE3ELNS1_11target_archE908ELNS1_3gpuE7ELNS1_3repE0EEENS1_48merge_mergepath_partition_config_static_selectorELNS0_4arch9wavefront6targetE1EEEvSL_.numbered_sgpr, 0
	.set _ZN7rocprim17ROCPRIM_400000_NS6detail17trampoline_kernelINS0_14default_configENS1_38merge_sort_block_merge_config_selectorIbiEEZZNS1_27merge_sort_block_merge_implIS3_N6thrust23THRUST_200600_302600_NS6detail15normal_iteratorINS8_10device_ptrIbEEEENSA_INSB_IiEEEEjNS1_19radix_merge_compareILb1ELb1EbNS0_19identity_decomposerEEEEE10hipError_tT0_T1_T2_jT3_P12ihipStream_tbPNSt15iterator_traitsISK_E10value_typeEPNSQ_ISL_E10value_typeEPSM_NS1_7vsmem_tEENKUlT_SK_SL_SM_E_clIPbSD_PiSF_EESJ_SZ_SK_SL_SM_EUlSZ_E_NS1_11comp_targetILNS1_3genE3ELNS1_11target_archE908ELNS1_3gpuE7ELNS1_3repE0EEENS1_48merge_mergepath_partition_config_static_selectorELNS0_4arch9wavefront6targetE1EEEvSL_.num_named_barrier, 0
	.set _ZN7rocprim17ROCPRIM_400000_NS6detail17trampoline_kernelINS0_14default_configENS1_38merge_sort_block_merge_config_selectorIbiEEZZNS1_27merge_sort_block_merge_implIS3_N6thrust23THRUST_200600_302600_NS6detail15normal_iteratorINS8_10device_ptrIbEEEENSA_INSB_IiEEEEjNS1_19radix_merge_compareILb1ELb1EbNS0_19identity_decomposerEEEEE10hipError_tT0_T1_T2_jT3_P12ihipStream_tbPNSt15iterator_traitsISK_E10value_typeEPNSQ_ISL_E10value_typeEPSM_NS1_7vsmem_tEENKUlT_SK_SL_SM_E_clIPbSD_PiSF_EESJ_SZ_SK_SL_SM_EUlSZ_E_NS1_11comp_targetILNS1_3genE3ELNS1_11target_archE908ELNS1_3gpuE7ELNS1_3repE0EEENS1_48merge_mergepath_partition_config_static_selectorELNS0_4arch9wavefront6targetE1EEEvSL_.private_seg_size, 0
	.set _ZN7rocprim17ROCPRIM_400000_NS6detail17trampoline_kernelINS0_14default_configENS1_38merge_sort_block_merge_config_selectorIbiEEZZNS1_27merge_sort_block_merge_implIS3_N6thrust23THRUST_200600_302600_NS6detail15normal_iteratorINS8_10device_ptrIbEEEENSA_INSB_IiEEEEjNS1_19radix_merge_compareILb1ELb1EbNS0_19identity_decomposerEEEEE10hipError_tT0_T1_T2_jT3_P12ihipStream_tbPNSt15iterator_traitsISK_E10value_typeEPNSQ_ISL_E10value_typeEPSM_NS1_7vsmem_tEENKUlT_SK_SL_SM_E_clIPbSD_PiSF_EESJ_SZ_SK_SL_SM_EUlSZ_E_NS1_11comp_targetILNS1_3genE3ELNS1_11target_archE908ELNS1_3gpuE7ELNS1_3repE0EEENS1_48merge_mergepath_partition_config_static_selectorELNS0_4arch9wavefront6targetE1EEEvSL_.uses_vcc, 0
	.set _ZN7rocprim17ROCPRIM_400000_NS6detail17trampoline_kernelINS0_14default_configENS1_38merge_sort_block_merge_config_selectorIbiEEZZNS1_27merge_sort_block_merge_implIS3_N6thrust23THRUST_200600_302600_NS6detail15normal_iteratorINS8_10device_ptrIbEEEENSA_INSB_IiEEEEjNS1_19radix_merge_compareILb1ELb1EbNS0_19identity_decomposerEEEEE10hipError_tT0_T1_T2_jT3_P12ihipStream_tbPNSt15iterator_traitsISK_E10value_typeEPNSQ_ISL_E10value_typeEPSM_NS1_7vsmem_tEENKUlT_SK_SL_SM_E_clIPbSD_PiSF_EESJ_SZ_SK_SL_SM_EUlSZ_E_NS1_11comp_targetILNS1_3genE3ELNS1_11target_archE908ELNS1_3gpuE7ELNS1_3repE0EEENS1_48merge_mergepath_partition_config_static_selectorELNS0_4arch9wavefront6targetE1EEEvSL_.uses_flat_scratch, 0
	.set _ZN7rocprim17ROCPRIM_400000_NS6detail17trampoline_kernelINS0_14default_configENS1_38merge_sort_block_merge_config_selectorIbiEEZZNS1_27merge_sort_block_merge_implIS3_N6thrust23THRUST_200600_302600_NS6detail15normal_iteratorINS8_10device_ptrIbEEEENSA_INSB_IiEEEEjNS1_19radix_merge_compareILb1ELb1EbNS0_19identity_decomposerEEEEE10hipError_tT0_T1_T2_jT3_P12ihipStream_tbPNSt15iterator_traitsISK_E10value_typeEPNSQ_ISL_E10value_typeEPSM_NS1_7vsmem_tEENKUlT_SK_SL_SM_E_clIPbSD_PiSF_EESJ_SZ_SK_SL_SM_EUlSZ_E_NS1_11comp_targetILNS1_3genE3ELNS1_11target_archE908ELNS1_3gpuE7ELNS1_3repE0EEENS1_48merge_mergepath_partition_config_static_selectorELNS0_4arch9wavefront6targetE1EEEvSL_.has_dyn_sized_stack, 0
	.set _ZN7rocprim17ROCPRIM_400000_NS6detail17trampoline_kernelINS0_14default_configENS1_38merge_sort_block_merge_config_selectorIbiEEZZNS1_27merge_sort_block_merge_implIS3_N6thrust23THRUST_200600_302600_NS6detail15normal_iteratorINS8_10device_ptrIbEEEENSA_INSB_IiEEEEjNS1_19radix_merge_compareILb1ELb1EbNS0_19identity_decomposerEEEEE10hipError_tT0_T1_T2_jT3_P12ihipStream_tbPNSt15iterator_traitsISK_E10value_typeEPNSQ_ISL_E10value_typeEPSM_NS1_7vsmem_tEENKUlT_SK_SL_SM_E_clIPbSD_PiSF_EESJ_SZ_SK_SL_SM_EUlSZ_E_NS1_11comp_targetILNS1_3genE3ELNS1_11target_archE908ELNS1_3gpuE7ELNS1_3repE0EEENS1_48merge_mergepath_partition_config_static_selectorELNS0_4arch9wavefront6targetE1EEEvSL_.has_recursion, 0
	.set _ZN7rocprim17ROCPRIM_400000_NS6detail17trampoline_kernelINS0_14default_configENS1_38merge_sort_block_merge_config_selectorIbiEEZZNS1_27merge_sort_block_merge_implIS3_N6thrust23THRUST_200600_302600_NS6detail15normal_iteratorINS8_10device_ptrIbEEEENSA_INSB_IiEEEEjNS1_19radix_merge_compareILb1ELb1EbNS0_19identity_decomposerEEEEE10hipError_tT0_T1_T2_jT3_P12ihipStream_tbPNSt15iterator_traitsISK_E10value_typeEPNSQ_ISL_E10value_typeEPSM_NS1_7vsmem_tEENKUlT_SK_SL_SM_E_clIPbSD_PiSF_EESJ_SZ_SK_SL_SM_EUlSZ_E_NS1_11comp_targetILNS1_3genE3ELNS1_11target_archE908ELNS1_3gpuE7ELNS1_3repE0EEENS1_48merge_mergepath_partition_config_static_selectorELNS0_4arch9wavefront6targetE1EEEvSL_.has_indirect_call, 0
	.section	.AMDGPU.csdata,"",@progbits
; Kernel info:
; codeLenInByte = 0
; TotalNumSgprs: 6
; NumVgprs: 0
; NumAgprs: 0
; TotalNumVgprs: 0
; ScratchSize: 0
; MemoryBound: 0
; FloatMode: 240
; IeeeMode: 1
; LDSByteSize: 0 bytes/workgroup (compile time only)
; SGPRBlocks: 0
; VGPRBlocks: 0
; NumSGPRsForWavesPerEU: 6
; NumVGPRsForWavesPerEU: 1
; AccumOffset: 4
; Occupancy: 8
; WaveLimiterHint : 0
; COMPUTE_PGM_RSRC2:SCRATCH_EN: 0
; COMPUTE_PGM_RSRC2:USER_SGPR: 2
; COMPUTE_PGM_RSRC2:TRAP_HANDLER: 0
; COMPUTE_PGM_RSRC2:TGID_X_EN: 1
; COMPUTE_PGM_RSRC2:TGID_Y_EN: 0
; COMPUTE_PGM_RSRC2:TGID_Z_EN: 0
; COMPUTE_PGM_RSRC2:TIDIG_COMP_CNT: 0
; COMPUTE_PGM_RSRC3_GFX90A:ACCUM_OFFSET: 0
; COMPUTE_PGM_RSRC3_GFX90A:TG_SPLIT: 0
	.section	.text._ZN7rocprim17ROCPRIM_400000_NS6detail17trampoline_kernelINS0_14default_configENS1_38merge_sort_block_merge_config_selectorIbiEEZZNS1_27merge_sort_block_merge_implIS3_N6thrust23THRUST_200600_302600_NS6detail15normal_iteratorINS8_10device_ptrIbEEEENSA_INSB_IiEEEEjNS1_19radix_merge_compareILb1ELb1EbNS0_19identity_decomposerEEEEE10hipError_tT0_T1_T2_jT3_P12ihipStream_tbPNSt15iterator_traitsISK_E10value_typeEPNSQ_ISL_E10value_typeEPSM_NS1_7vsmem_tEENKUlT_SK_SL_SM_E_clIPbSD_PiSF_EESJ_SZ_SK_SL_SM_EUlSZ_E_NS1_11comp_targetILNS1_3genE2ELNS1_11target_archE906ELNS1_3gpuE6ELNS1_3repE0EEENS1_48merge_mergepath_partition_config_static_selectorELNS0_4arch9wavefront6targetE1EEEvSL_,"axG",@progbits,_ZN7rocprim17ROCPRIM_400000_NS6detail17trampoline_kernelINS0_14default_configENS1_38merge_sort_block_merge_config_selectorIbiEEZZNS1_27merge_sort_block_merge_implIS3_N6thrust23THRUST_200600_302600_NS6detail15normal_iteratorINS8_10device_ptrIbEEEENSA_INSB_IiEEEEjNS1_19radix_merge_compareILb1ELb1EbNS0_19identity_decomposerEEEEE10hipError_tT0_T1_T2_jT3_P12ihipStream_tbPNSt15iterator_traitsISK_E10value_typeEPNSQ_ISL_E10value_typeEPSM_NS1_7vsmem_tEENKUlT_SK_SL_SM_E_clIPbSD_PiSF_EESJ_SZ_SK_SL_SM_EUlSZ_E_NS1_11comp_targetILNS1_3genE2ELNS1_11target_archE906ELNS1_3gpuE6ELNS1_3repE0EEENS1_48merge_mergepath_partition_config_static_selectorELNS0_4arch9wavefront6targetE1EEEvSL_,comdat
	.protected	_ZN7rocprim17ROCPRIM_400000_NS6detail17trampoline_kernelINS0_14default_configENS1_38merge_sort_block_merge_config_selectorIbiEEZZNS1_27merge_sort_block_merge_implIS3_N6thrust23THRUST_200600_302600_NS6detail15normal_iteratorINS8_10device_ptrIbEEEENSA_INSB_IiEEEEjNS1_19radix_merge_compareILb1ELb1EbNS0_19identity_decomposerEEEEE10hipError_tT0_T1_T2_jT3_P12ihipStream_tbPNSt15iterator_traitsISK_E10value_typeEPNSQ_ISL_E10value_typeEPSM_NS1_7vsmem_tEENKUlT_SK_SL_SM_E_clIPbSD_PiSF_EESJ_SZ_SK_SL_SM_EUlSZ_E_NS1_11comp_targetILNS1_3genE2ELNS1_11target_archE906ELNS1_3gpuE6ELNS1_3repE0EEENS1_48merge_mergepath_partition_config_static_selectorELNS0_4arch9wavefront6targetE1EEEvSL_ ; -- Begin function _ZN7rocprim17ROCPRIM_400000_NS6detail17trampoline_kernelINS0_14default_configENS1_38merge_sort_block_merge_config_selectorIbiEEZZNS1_27merge_sort_block_merge_implIS3_N6thrust23THRUST_200600_302600_NS6detail15normal_iteratorINS8_10device_ptrIbEEEENSA_INSB_IiEEEEjNS1_19radix_merge_compareILb1ELb1EbNS0_19identity_decomposerEEEEE10hipError_tT0_T1_T2_jT3_P12ihipStream_tbPNSt15iterator_traitsISK_E10value_typeEPNSQ_ISL_E10value_typeEPSM_NS1_7vsmem_tEENKUlT_SK_SL_SM_E_clIPbSD_PiSF_EESJ_SZ_SK_SL_SM_EUlSZ_E_NS1_11comp_targetILNS1_3genE2ELNS1_11target_archE906ELNS1_3gpuE6ELNS1_3repE0EEENS1_48merge_mergepath_partition_config_static_selectorELNS0_4arch9wavefront6targetE1EEEvSL_
	.globl	_ZN7rocprim17ROCPRIM_400000_NS6detail17trampoline_kernelINS0_14default_configENS1_38merge_sort_block_merge_config_selectorIbiEEZZNS1_27merge_sort_block_merge_implIS3_N6thrust23THRUST_200600_302600_NS6detail15normal_iteratorINS8_10device_ptrIbEEEENSA_INSB_IiEEEEjNS1_19radix_merge_compareILb1ELb1EbNS0_19identity_decomposerEEEEE10hipError_tT0_T1_T2_jT3_P12ihipStream_tbPNSt15iterator_traitsISK_E10value_typeEPNSQ_ISL_E10value_typeEPSM_NS1_7vsmem_tEENKUlT_SK_SL_SM_E_clIPbSD_PiSF_EESJ_SZ_SK_SL_SM_EUlSZ_E_NS1_11comp_targetILNS1_3genE2ELNS1_11target_archE906ELNS1_3gpuE6ELNS1_3repE0EEENS1_48merge_mergepath_partition_config_static_selectorELNS0_4arch9wavefront6targetE1EEEvSL_
	.p2align	8
	.type	_ZN7rocprim17ROCPRIM_400000_NS6detail17trampoline_kernelINS0_14default_configENS1_38merge_sort_block_merge_config_selectorIbiEEZZNS1_27merge_sort_block_merge_implIS3_N6thrust23THRUST_200600_302600_NS6detail15normal_iteratorINS8_10device_ptrIbEEEENSA_INSB_IiEEEEjNS1_19radix_merge_compareILb1ELb1EbNS0_19identity_decomposerEEEEE10hipError_tT0_T1_T2_jT3_P12ihipStream_tbPNSt15iterator_traitsISK_E10value_typeEPNSQ_ISL_E10value_typeEPSM_NS1_7vsmem_tEENKUlT_SK_SL_SM_E_clIPbSD_PiSF_EESJ_SZ_SK_SL_SM_EUlSZ_E_NS1_11comp_targetILNS1_3genE2ELNS1_11target_archE906ELNS1_3gpuE6ELNS1_3repE0EEENS1_48merge_mergepath_partition_config_static_selectorELNS0_4arch9wavefront6targetE1EEEvSL_,@function
_ZN7rocprim17ROCPRIM_400000_NS6detail17trampoline_kernelINS0_14default_configENS1_38merge_sort_block_merge_config_selectorIbiEEZZNS1_27merge_sort_block_merge_implIS3_N6thrust23THRUST_200600_302600_NS6detail15normal_iteratorINS8_10device_ptrIbEEEENSA_INSB_IiEEEEjNS1_19radix_merge_compareILb1ELb1EbNS0_19identity_decomposerEEEEE10hipError_tT0_T1_T2_jT3_P12ihipStream_tbPNSt15iterator_traitsISK_E10value_typeEPNSQ_ISL_E10value_typeEPSM_NS1_7vsmem_tEENKUlT_SK_SL_SM_E_clIPbSD_PiSF_EESJ_SZ_SK_SL_SM_EUlSZ_E_NS1_11comp_targetILNS1_3genE2ELNS1_11target_archE906ELNS1_3gpuE6ELNS1_3repE0EEENS1_48merge_mergepath_partition_config_static_selectorELNS0_4arch9wavefront6targetE1EEEvSL_: ; @_ZN7rocprim17ROCPRIM_400000_NS6detail17trampoline_kernelINS0_14default_configENS1_38merge_sort_block_merge_config_selectorIbiEEZZNS1_27merge_sort_block_merge_implIS3_N6thrust23THRUST_200600_302600_NS6detail15normal_iteratorINS8_10device_ptrIbEEEENSA_INSB_IiEEEEjNS1_19radix_merge_compareILb1ELb1EbNS0_19identity_decomposerEEEEE10hipError_tT0_T1_T2_jT3_P12ihipStream_tbPNSt15iterator_traitsISK_E10value_typeEPNSQ_ISL_E10value_typeEPSM_NS1_7vsmem_tEENKUlT_SK_SL_SM_E_clIPbSD_PiSF_EESJ_SZ_SK_SL_SM_EUlSZ_E_NS1_11comp_targetILNS1_3genE2ELNS1_11target_archE906ELNS1_3gpuE6ELNS1_3repE0EEENS1_48merge_mergepath_partition_config_static_selectorELNS0_4arch9wavefront6targetE1EEEvSL_
; %bb.0:
	.section	.rodata,"a",@progbits
	.p2align	6, 0x0
	.amdhsa_kernel _ZN7rocprim17ROCPRIM_400000_NS6detail17trampoline_kernelINS0_14default_configENS1_38merge_sort_block_merge_config_selectorIbiEEZZNS1_27merge_sort_block_merge_implIS3_N6thrust23THRUST_200600_302600_NS6detail15normal_iteratorINS8_10device_ptrIbEEEENSA_INSB_IiEEEEjNS1_19radix_merge_compareILb1ELb1EbNS0_19identity_decomposerEEEEE10hipError_tT0_T1_T2_jT3_P12ihipStream_tbPNSt15iterator_traitsISK_E10value_typeEPNSQ_ISL_E10value_typeEPSM_NS1_7vsmem_tEENKUlT_SK_SL_SM_E_clIPbSD_PiSF_EESJ_SZ_SK_SL_SM_EUlSZ_E_NS1_11comp_targetILNS1_3genE2ELNS1_11target_archE906ELNS1_3gpuE6ELNS1_3repE0EEENS1_48merge_mergepath_partition_config_static_selectorELNS0_4arch9wavefront6targetE1EEEvSL_
		.amdhsa_group_segment_fixed_size 0
		.amdhsa_private_segment_fixed_size 0
		.amdhsa_kernarg_size 40
		.amdhsa_user_sgpr_count 2
		.amdhsa_user_sgpr_dispatch_ptr 0
		.amdhsa_user_sgpr_queue_ptr 0
		.amdhsa_user_sgpr_kernarg_segment_ptr 1
		.amdhsa_user_sgpr_dispatch_id 0
		.amdhsa_user_sgpr_kernarg_preload_length 0
		.amdhsa_user_sgpr_kernarg_preload_offset 0
		.amdhsa_user_sgpr_private_segment_size 0
		.amdhsa_uses_dynamic_stack 0
		.amdhsa_enable_private_segment 0
		.amdhsa_system_sgpr_workgroup_id_x 1
		.amdhsa_system_sgpr_workgroup_id_y 0
		.amdhsa_system_sgpr_workgroup_id_z 0
		.amdhsa_system_sgpr_workgroup_info 0
		.amdhsa_system_vgpr_workitem_id 0
		.amdhsa_next_free_vgpr 1
		.amdhsa_next_free_sgpr 0
		.amdhsa_accum_offset 4
		.amdhsa_reserve_vcc 0
		.amdhsa_float_round_mode_32 0
		.amdhsa_float_round_mode_16_64 0
		.amdhsa_float_denorm_mode_32 3
		.amdhsa_float_denorm_mode_16_64 3
		.amdhsa_dx10_clamp 1
		.amdhsa_ieee_mode 1
		.amdhsa_fp16_overflow 0
		.amdhsa_tg_split 0
		.amdhsa_exception_fp_ieee_invalid_op 0
		.amdhsa_exception_fp_denorm_src 0
		.amdhsa_exception_fp_ieee_div_zero 0
		.amdhsa_exception_fp_ieee_overflow 0
		.amdhsa_exception_fp_ieee_underflow 0
		.amdhsa_exception_fp_ieee_inexact 0
		.amdhsa_exception_int_div_zero 0
	.end_amdhsa_kernel
	.section	.text._ZN7rocprim17ROCPRIM_400000_NS6detail17trampoline_kernelINS0_14default_configENS1_38merge_sort_block_merge_config_selectorIbiEEZZNS1_27merge_sort_block_merge_implIS3_N6thrust23THRUST_200600_302600_NS6detail15normal_iteratorINS8_10device_ptrIbEEEENSA_INSB_IiEEEEjNS1_19radix_merge_compareILb1ELb1EbNS0_19identity_decomposerEEEEE10hipError_tT0_T1_T2_jT3_P12ihipStream_tbPNSt15iterator_traitsISK_E10value_typeEPNSQ_ISL_E10value_typeEPSM_NS1_7vsmem_tEENKUlT_SK_SL_SM_E_clIPbSD_PiSF_EESJ_SZ_SK_SL_SM_EUlSZ_E_NS1_11comp_targetILNS1_3genE2ELNS1_11target_archE906ELNS1_3gpuE6ELNS1_3repE0EEENS1_48merge_mergepath_partition_config_static_selectorELNS0_4arch9wavefront6targetE1EEEvSL_,"axG",@progbits,_ZN7rocprim17ROCPRIM_400000_NS6detail17trampoline_kernelINS0_14default_configENS1_38merge_sort_block_merge_config_selectorIbiEEZZNS1_27merge_sort_block_merge_implIS3_N6thrust23THRUST_200600_302600_NS6detail15normal_iteratorINS8_10device_ptrIbEEEENSA_INSB_IiEEEEjNS1_19radix_merge_compareILb1ELb1EbNS0_19identity_decomposerEEEEE10hipError_tT0_T1_T2_jT3_P12ihipStream_tbPNSt15iterator_traitsISK_E10value_typeEPNSQ_ISL_E10value_typeEPSM_NS1_7vsmem_tEENKUlT_SK_SL_SM_E_clIPbSD_PiSF_EESJ_SZ_SK_SL_SM_EUlSZ_E_NS1_11comp_targetILNS1_3genE2ELNS1_11target_archE906ELNS1_3gpuE6ELNS1_3repE0EEENS1_48merge_mergepath_partition_config_static_selectorELNS0_4arch9wavefront6targetE1EEEvSL_,comdat
.Lfunc_end2157:
	.size	_ZN7rocprim17ROCPRIM_400000_NS6detail17trampoline_kernelINS0_14default_configENS1_38merge_sort_block_merge_config_selectorIbiEEZZNS1_27merge_sort_block_merge_implIS3_N6thrust23THRUST_200600_302600_NS6detail15normal_iteratorINS8_10device_ptrIbEEEENSA_INSB_IiEEEEjNS1_19radix_merge_compareILb1ELb1EbNS0_19identity_decomposerEEEEE10hipError_tT0_T1_T2_jT3_P12ihipStream_tbPNSt15iterator_traitsISK_E10value_typeEPNSQ_ISL_E10value_typeEPSM_NS1_7vsmem_tEENKUlT_SK_SL_SM_E_clIPbSD_PiSF_EESJ_SZ_SK_SL_SM_EUlSZ_E_NS1_11comp_targetILNS1_3genE2ELNS1_11target_archE906ELNS1_3gpuE6ELNS1_3repE0EEENS1_48merge_mergepath_partition_config_static_selectorELNS0_4arch9wavefront6targetE1EEEvSL_, .Lfunc_end2157-_ZN7rocprim17ROCPRIM_400000_NS6detail17trampoline_kernelINS0_14default_configENS1_38merge_sort_block_merge_config_selectorIbiEEZZNS1_27merge_sort_block_merge_implIS3_N6thrust23THRUST_200600_302600_NS6detail15normal_iteratorINS8_10device_ptrIbEEEENSA_INSB_IiEEEEjNS1_19radix_merge_compareILb1ELb1EbNS0_19identity_decomposerEEEEE10hipError_tT0_T1_T2_jT3_P12ihipStream_tbPNSt15iterator_traitsISK_E10value_typeEPNSQ_ISL_E10value_typeEPSM_NS1_7vsmem_tEENKUlT_SK_SL_SM_E_clIPbSD_PiSF_EESJ_SZ_SK_SL_SM_EUlSZ_E_NS1_11comp_targetILNS1_3genE2ELNS1_11target_archE906ELNS1_3gpuE6ELNS1_3repE0EEENS1_48merge_mergepath_partition_config_static_selectorELNS0_4arch9wavefront6targetE1EEEvSL_
                                        ; -- End function
	.set _ZN7rocprim17ROCPRIM_400000_NS6detail17trampoline_kernelINS0_14default_configENS1_38merge_sort_block_merge_config_selectorIbiEEZZNS1_27merge_sort_block_merge_implIS3_N6thrust23THRUST_200600_302600_NS6detail15normal_iteratorINS8_10device_ptrIbEEEENSA_INSB_IiEEEEjNS1_19radix_merge_compareILb1ELb1EbNS0_19identity_decomposerEEEEE10hipError_tT0_T1_T2_jT3_P12ihipStream_tbPNSt15iterator_traitsISK_E10value_typeEPNSQ_ISL_E10value_typeEPSM_NS1_7vsmem_tEENKUlT_SK_SL_SM_E_clIPbSD_PiSF_EESJ_SZ_SK_SL_SM_EUlSZ_E_NS1_11comp_targetILNS1_3genE2ELNS1_11target_archE906ELNS1_3gpuE6ELNS1_3repE0EEENS1_48merge_mergepath_partition_config_static_selectorELNS0_4arch9wavefront6targetE1EEEvSL_.num_vgpr, 0
	.set _ZN7rocprim17ROCPRIM_400000_NS6detail17trampoline_kernelINS0_14default_configENS1_38merge_sort_block_merge_config_selectorIbiEEZZNS1_27merge_sort_block_merge_implIS3_N6thrust23THRUST_200600_302600_NS6detail15normal_iteratorINS8_10device_ptrIbEEEENSA_INSB_IiEEEEjNS1_19radix_merge_compareILb1ELb1EbNS0_19identity_decomposerEEEEE10hipError_tT0_T1_T2_jT3_P12ihipStream_tbPNSt15iterator_traitsISK_E10value_typeEPNSQ_ISL_E10value_typeEPSM_NS1_7vsmem_tEENKUlT_SK_SL_SM_E_clIPbSD_PiSF_EESJ_SZ_SK_SL_SM_EUlSZ_E_NS1_11comp_targetILNS1_3genE2ELNS1_11target_archE906ELNS1_3gpuE6ELNS1_3repE0EEENS1_48merge_mergepath_partition_config_static_selectorELNS0_4arch9wavefront6targetE1EEEvSL_.num_agpr, 0
	.set _ZN7rocprim17ROCPRIM_400000_NS6detail17trampoline_kernelINS0_14default_configENS1_38merge_sort_block_merge_config_selectorIbiEEZZNS1_27merge_sort_block_merge_implIS3_N6thrust23THRUST_200600_302600_NS6detail15normal_iteratorINS8_10device_ptrIbEEEENSA_INSB_IiEEEEjNS1_19radix_merge_compareILb1ELb1EbNS0_19identity_decomposerEEEEE10hipError_tT0_T1_T2_jT3_P12ihipStream_tbPNSt15iterator_traitsISK_E10value_typeEPNSQ_ISL_E10value_typeEPSM_NS1_7vsmem_tEENKUlT_SK_SL_SM_E_clIPbSD_PiSF_EESJ_SZ_SK_SL_SM_EUlSZ_E_NS1_11comp_targetILNS1_3genE2ELNS1_11target_archE906ELNS1_3gpuE6ELNS1_3repE0EEENS1_48merge_mergepath_partition_config_static_selectorELNS0_4arch9wavefront6targetE1EEEvSL_.numbered_sgpr, 0
	.set _ZN7rocprim17ROCPRIM_400000_NS6detail17trampoline_kernelINS0_14default_configENS1_38merge_sort_block_merge_config_selectorIbiEEZZNS1_27merge_sort_block_merge_implIS3_N6thrust23THRUST_200600_302600_NS6detail15normal_iteratorINS8_10device_ptrIbEEEENSA_INSB_IiEEEEjNS1_19radix_merge_compareILb1ELb1EbNS0_19identity_decomposerEEEEE10hipError_tT0_T1_T2_jT3_P12ihipStream_tbPNSt15iterator_traitsISK_E10value_typeEPNSQ_ISL_E10value_typeEPSM_NS1_7vsmem_tEENKUlT_SK_SL_SM_E_clIPbSD_PiSF_EESJ_SZ_SK_SL_SM_EUlSZ_E_NS1_11comp_targetILNS1_3genE2ELNS1_11target_archE906ELNS1_3gpuE6ELNS1_3repE0EEENS1_48merge_mergepath_partition_config_static_selectorELNS0_4arch9wavefront6targetE1EEEvSL_.num_named_barrier, 0
	.set _ZN7rocprim17ROCPRIM_400000_NS6detail17trampoline_kernelINS0_14default_configENS1_38merge_sort_block_merge_config_selectorIbiEEZZNS1_27merge_sort_block_merge_implIS3_N6thrust23THRUST_200600_302600_NS6detail15normal_iteratorINS8_10device_ptrIbEEEENSA_INSB_IiEEEEjNS1_19radix_merge_compareILb1ELb1EbNS0_19identity_decomposerEEEEE10hipError_tT0_T1_T2_jT3_P12ihipStream_tbPNSt15iterator_traitsISK_E10value_typeEPNSQ_ISL_E10value_typeEPSM_NS1_7vsmem_tEENKUlT_SK_SL_SM_E_clIPbSD_PiSF_EESJ_SZ_SK_SL_SM_EUlSZ_E_NS1_11comp_targetILNS1_3genE2ELNS1_11target_archE906ELNS1_3gpuE6ELNS1_3repE0EEENS1_48merge_mergepath_partition_config_static_selectorELNS0_4arch9wavefront6targetE1EEEvSL_.private_seg_size, 0
	.set _ZN7rocprim17ROCPRIM_400000_NS6detail17trampoline_kernelINS0_14default_configENS1_38merge_sort_block_merge_config_selectorIbiEEZZNS1_27merge_sort_block_merge_implIS3_N6thrust23THRUST_200600_302600_NS6detail15normal_iteratorINS8_10device_ptrIbEEEENSA_INSB_IiEEEEjNS1_19radix_merge_compareILb1ELb1EbNS0_19identity_decomposerEEEEE10hipError_tT0_T1_T2_jT3_P12ihipStream_tbPNSt15iterator_traitsISK_E10value_typeEPNSQ_ISL_E10value_typeEPSM_NS1_7vsmem_tEENKUlT_SK_SL_SM_E_clIPbSD_PiSF_EESJ_SZ_SK_SL_SM_EUlSZ_E_NS1_11comp_targetILNS1_3genE2ELNS1_11target_archE906ELNS1_3gpuE6ELNS1_3repE0EEENS1_48merge_mergepath_partition_config_static_selectorELNS0_4arch9wavefront6targetE1EEEvSL_.uses_vcc, 0
	.set _ZN7rocprim17ROCPRIM_400000_NS6detail17trampoline_kernelINS0_14default_configENS1_38merge_sort_block_merge_config_selectorIbiEEZZNS1_27merge_sort_block_merge_implIS3_N6thrust23THRUST_200600_302600_NS6detail15normal_iteratorINS8_10device_ptrIbEEEENSA_INSB_IiEEEEjNS1_19radix_merge_compareILb1ELb1EbNS0_19identity_decomposerEEEEE10hipError_tT0_T1_T2_jT3_P12ihipStream_tbPNSt15iterator_traitsISK_E10value_typeEPNSQ_ISL_E10value_typeEPSM_NS1_7vsmem_tEENKUlT_SK_SL_SM_E_clIPbSD_PiSF_EESJ_SZ_SK_SL_SM_EUlSZ_E_NS1_11comp_targetILNS1_3genE2ELNS1_11target_archE906ELNS1_3gpuE6ELNS1_3repE0EEENS1_48merge_mergepath_partition_config_static_selectorELNS0_4arch9wavefront6targetE1EEEvSL_.uses_flat_scratch, 0
	.set _ZN7rocprim17ROCPRIM_400000_NS6detail17trampoline_kernelINS0_14default_configENS1_38merge_sort_block_merge_config_selectorIbiEEZZNS1_27merge_sort_block_merge_implIS3_N6thrust23THRUST_200600_302600_NS6detail15normal_iteratorINS8_10device_ptrIbEEEENSA_INSB_IiEEEEjNS1_19radix_merge_compareILb1ELb1EbNS0_19identity_decomposerEEEEE10hipError_tT0_T1_T2_jT3_P12ihipStream_tbPNSt15iterator_traitsISK_E10value_typeEPNSQ_ISL_E10value_typeEPSM_NS1_7vsmem_tEENKUlT_SK_SL_SM_E_clIPbSD_PiSF_EESJ_SZ_SK_SL_SM_EUlSZ_E_NS1_11comp_targetILNS1_3genE2ELNS1_11target_archE906ELNS1_3gpuE6ELNS1_3repE0EEENS1_48merge_mergepath_partition_config_static_selectorELNS0_4arch9wavefront6targetE1EEEvSL_.has_dyn_sized_stack, 0
	.set _ZN7rocprim17ROCPRIM_400000_NS6detail17trampoline_kernelINS0_14default_configENS1_38merge_sort_block_merge_config_selectorIbiEEZZNS1_27merge_sort_block_merge_implIS3_N6thrust23THRUST_200600_302600_NS6detail15normal_iteratorINS8_10device_ptrIbEEEENSA_INSB_IiEEEEjNS1_19radix_merge_compareILb1ELb1EbNS0_19identity_decomposerEEEEE10hipError_tT0_T1_T2_jT3_P12ihipStream_tbPNSt15iterator_traitsISK_E10value_typeEPNSQ_ISL_E10value_typeEPSM_NS1_7vsmem_tEENKUlT_SK_SL_SM_E_clIPbSD_PiSF_EESJ_SZ_SK_SL_SM_EUlSZ_E_NS1_11comp_targetILNS1_3genE2ELNS1_11target_archE906ELNS1_3gpuE6ELNS1_3repE0EEENS1_48merge_mergepath_partition_config_static_selectorELNS0_4arch9wavefront6targetE1EEEvSL_.has_recursion, 0
	.set _ZN7rocprim17ROCPRIM_400000_NS6detail17trampoline_kernelINS0_14default_configENS1_38merge_sort_block_merge_config_selectorIbiEEZZNS1_27merge_sort_block_merge_implIS3_N6thrust23THRUST_200600_302600_NS6detail15normal_iteratorINS8_10device_ptrIbEEEENSA_INSB_IiEEEEjNS1_19radix_merge_compareILb1ELb1EbNS0_19identity_decomposerEEEEE10hipError_tT0_T1_T2_jT3_P12ihipStream_tbPNSt15iterator_traitsISK_E10value_typeEPNSQ_ISL_E10value_typeEPSM_NS1_7vsmem_tEENKUlT_SK_SL_SM_E_clIPbSD_PiSF_EESJ_SZ_SK_SL_SM_EUlSZ_E_NS1_11comp_targetILNS1_3genE2ELNS1_11target_archE906ELNS1_3gpuE6ELNS1_3repE0EEENS1_48merge_mergepath_partition_config_static_selectorELNS0_4arch9wavefront6targetE1EEEvSL_.has_indirect_call, 0
	.section	.AMDGPU.csdata,"",@progbits
; Kernel info:
; codeLenInByte = 0
; TotalNumSgprs: 6
; NumVgprs: 0
; NumAgprs: 0
; TotalNumVgprs: 0
; ScratchSize: 0
; MemoryBound: 0
; FloatMode: 240
; IeeeMode: 1
; LDSByteSize: 0 bytes/workgroup (compile time only)
; SGPRBlocks: 0
; VGPRBlocks: 0
; NumSGPRsForWavesPerEU: 6
; NumVGPRsForWavesPerEU: 1
; AccumOffset: 4
; Occupancy: 8
; WaveLimiterHint : 0
; COMPUTE_PGM_RSRC2:SCRATCH_EN: 0
; COMPUTE_PGM_RSRC2:USER_SGPR: 2
; COMPUTE_PGM_RSRC2:TRAP_HANDLER: 0
; COMPUTE_PGM_RSRC2:TGID_X_EN: 1
; COMPUTE_PGM_RSRC2:TGID_Y_EN: 0
; COMPUTE_PGM_RSRC2:TGID_Z_EN: 0
; COMPUTE_PGM_RSRC2:TIDIG_COMP_CNT: 0
; COMPUTE_PGM_RSRC3_GFX90A:ACCUM_OFFSET: 0
; COMPUTE_PGM_RSRC3_GFX90A:TG_SPLIT: 0
	.section	.text._ZN7rocprim17ROCPRIM_400000_NS6detail17trampoline_kernelINS0_14default_configENS1_38merge_sort_block_merge_config_selectorIbiEEZZNS1_27merge_sort_block_merge_implIS3_N6thrust23THRUST_200600_302600_NS6detail15normal_iteratorINS8_10device_ptrIbEEEENSA_INSB_IiEEEEjNS1_19radix_merge_compareILb1ELb1EbNS0_19identity_decomposerEEEEE10hipError_tT0_T1_T2_jT3_P12ihipStream_tbPNSt15iterator_traitsISK_E10value_typeEPNSQ_ISL_E10value_typeEPSM_NS1_7vsmem_tEENKUlT_SK_SL_SM_E_clIPbSD_PiSF_EESJ_SZ_SK_SL_SM_EUlSZ_E_NS1_11comp_targetILNS1_3genE9ELNS1_11target_archE1100ELNS1_3gpuE3ELNS1_3repE0EEENS1_48merge_mergepath_partition_config_static_selectorELNS0_4arch9wavefront6targetE1EEEvSL_,"axG",@progbits,_ZN7rocprim17ROCPRIM_400000_NS6detail17trampoline_kernelINS0_14default_configENS1_38merge_sort_block_merge_config_selectorIbiEEZZNS1_27merge_sort_block_merge_implIS3_N6thrust23THRUST_200600_302600_NS6detail15normal_iteratorINS8_10device_ptrIbEEEENSA_INSB_IiEEEEjNS1_19radix_merge_compareILb1ELb1EbNS0_19identity_decomposerEEEEE10hipError_tT0_T1_T2_jT3_P12ihipStream_tbPNSt15iterator_traitsISK_E10value_typeEPNSQ_ISL_E10value_typeEPSM_NS1_7vsmem_tEENKUlT_SK_SL_SM_E_clIPbSD_PiSF_EESJ_SZ_SK_SL_SM_EUlSZ_E_NS1_11comp_targetILNS1_3genE9ELNS1_11target_archE1100ELNS1_3gpuE3ELNS1_3repE0EEENS1_48merge_mergepath_partition_config_static_selectorELNS0_4arch9wavefront6targetE1EEEvSL_,comdat
	.protected	_ZN7rocprim17ROCPRIM_400000_NS6detail17trampoline_kernelINS0_14default_configENS1_38merge_sort_block_merge_config_selectorIbiEEZZNS1_27merge_sort_block_merge_implIS3_N6thrust23THRUST_200600_302600_NS6detail15normal_iteratorINS8_10device_ptrIbEEEENSA_INSB_IiEEEEjNS1_19radix_merge_compareILb1ELb1EbNS0_19identity_decomposerEEEEE10hipError_tT0_T1_T2_jT3_P12ihipStream_tbPNSt15iterator_traitsISK_E10value_typeEPNSQ_ISL_E10value_typeEPSM_NS1_7vsmem_tEENKUlT_SK_SL_SM_E_clIPbSD_PiSF_EESJ_SZ_SK_SL_SM_EUlSZ_E_NS1_11comp_targetILNS1_3genE9ELNS1_11target_archE1100ELNS1_3gpuE3ELNS1_3repE0EEENS1_48merge_mergepath_partition_config_static_selectorELNS0_4arch9wavefront6targetE1EEEvSL_ ; -- Begin function _ZN7rocprim17ROCPRIM_400000_NS6detail17trampoline_kernelINS0_14default_configENS1_38merge_sort_block_merge_config_selectorIbiEEZZNS1_27merge_sort_block_merge_implIS3_N6thrust23THRUST_200600_302600_NS6detail15normal_iteratorINS8_10device_ptrIbEEEENSA_INSB_IiEEEEjNS1_19radix_merge_compareILb1ELb1EbNS0_19identity_decomposerEEEEE10hipError_tT0_T1_T2_jT3_P12ihipStream_tbPNSt15iterator_traitsISK_E10value_typeEPNSQ_ISL_E10value_typeEPSM_NS1_7vsmem_tEENKUlT_SK_SL_SM_E_clIPbSD_PiSF_EESJ_SZ_SK_SL_SM_EUlSZ_E_NS1_11comp_targetILNS1_3genE9ELNS1_11target_archE1100ELNS1_3gpuE3ELNS1_3repE0EEENS1_48merge_mergepath_partition_config_static_selectorELNS0_4arch9wavefront6targetE1EEEvSL_
	.globl	_ZN7rocprim17ROCPRIM_400000_NS6detail17trampoline_kernelINS0_14default_configENS1_38merge_sort_block_merge_config_selectorIbiEEZZNS1_27merge_sort_block_merge_implIS3_N6thrust23THRUST_200600_302600_NS6detail15normal_iteratorINS8_10device_ptrIbEEEENSA_INSB_IiEEEEjNS1_19radix_merge_compareILb1ELb1EbNS0_19identity_decomposerEEEEE10hipError_tT0_T1_T2_jT3_P12ihipStream_tbPNSt15iterator_traitsISK_E10value_typeEPNSQ_ISL_E10value_typeEPSM_NS1_7vsmem_tEENKUlT_SK_SL_SM_E_clIPbSD_PiSF_EESJ_SZ_SK_SL_SM_EUlSZ_E_NS1_11comp_targetILNS1_3genE9ELNS1_11target_archE1100ELNS1_3gpuE3ELNS1_3repE0EEENS1_48merge_mergepath_partition_config_static_selectorELNS0_4arch9wavefront6targetE1EEEvSL_
	.p2align	8
	.type	_ZN7rocprim17ROCPRIM_400000_NS6detail17trampoline_kernelINS0_14default_configENS1_38merge_sort_block_merge_config_selectorIbiEEZZNS1_27merge_sort_block_merge_implIS3_N6thrust23THRUST_200600_302600_NS6detail15normal_iteratorINS8_10device_ptrIbEEEENSA_INSB_IiEEEEjNS1_19radix_merge_compareILb1ELb1EbNS0_19identity_decomposerEEEEE10hipError_tT0_T1_T2_jT3_P12ihipStream_tbPNSt15iterator_traitsISK_E10value_typeEPNSQ_ISL_E10value_typeEPSM_NS1_7vsmem_tEENKUlT_SK_SL_SM_E_clIPbSD_PiSF_EESJ_SZ_SK_SL_SM_EUlSZ_E_NS1_11comp_targetILNS1_3genE9ELNS1_11target_archE1100ELNS1_3gpuE3ELNS1_3repE0EEENS1_48merge_mergepath_partition_config_static_selectorELNS0_4arch9wavefront6targetE1EEEvSL_,@function
_ZN7rocprim17ROCPRIM_400000_NS6detail17trampoline_kernelINS0_14default_configENS1_38merge_sort_block_merge_config_selectorIbiEEZZNS1_27merge_sort_block_merge_implIS3_N6thrust23THRUST_200600_302600_NS6detail15normal_iteratorINS8_10device_ptrIbEEEENSA_INSB_IiEEEEjNS1_19radix_merge_compareILb1ELb1EbNS0_19identity_decomposerEEEEE10hipError_tT0_T1_T2_jT3_P12ihipStream_tbPNSt15iterator_traitsISK_E10value_typeEPNSQ_ISL_E10value_typeEPSM_NS1_7vsmem_tEENKUlT_SK_SL_SM_E_clIPbSD_PiSF_EESJ_SZ_SK_SL_SM_EUlSZ_E_NS1_11comp_targetILNS1_3genE9ELNS1_11target_archE1100ELNS1_3gpuE3ELNS1_3repE0EEENS1_48merge_mergepath_partition_config_static_selectorELNS0_4arch9wavefront6targetE1EEEvSL_: ; @_ZN7rocprim17ROCPRIM_400000_NS6detail17trampoline_kernelINS0_14default_configENS1_38merge_sort_block_merge_config_selectorIbiEEZZNS1_27merge_sort_block_merge_implIS3_N6thrust23THRUST_200600_302600_NS6detail15normal_iteratorINS8_10device_ptrIbEEEENSA_INSB_IiEEEEjNS1_19radix_merge_compareILb1ELb1EbNS0_19identity_decomposerEEEEE10hipError_tT0_T1_T2_jT3_P12ihipStream_tbPNSt15iterator_traitsISK_E10value_typeEPNSQ_ISL_E10value_typeEPSM_NS1_7vsmem_tEENKUlT_SK_SL_SM_E_clIPbSD_PiSF_EESJ_SZ_SK_SL_SM_EUlSZ_E_NS1_11comp_targetILNS1_3genE9ELNS1_11target_archE1100ELNS1_3gpuE3ELNS1_3repE0EEENS1_48merge_mergepath_partition_config_static_selectorELNS0_4arch9wavefront6targetE1EEEvSL_
; %bb.0:
	.section	.rodata,"a",@progbits
	.p2align	6, 0x0
	.amdhsa_kernel _ZN7rocprim17ROCPRIM_400000_NS6detail17trampoline_kernelINS0_14default_configENS1_38merge_sort_block_merge_config_selectorIbiEEZZNS1_27merge_sort_block_merge_implIS3_N6thrust23THRUST_200600_302600_NS6detail15normal_iteratorINS8_10device_ptrIbEEEENSA_INSB_IiEEEEjNS1_19radix_merge_compareILb1ELb1EbNS0_19identity_decomposerEEEEE10hipError_tT0_T1_T2_jT3_P12ihipStream_tbPNSt15iterator_traitsISK_E10value_typeEPNSQ_ISL_E10value_typeEPSM_NS1_7vsmem_tEENKUlT_SK_SL_SM_E_clIPbSD_PiSF_EESJ_SZ_SK_SL_SM_EUlSZ_E_NS1_11comp_targetILNS1_3genE9ELNS1_11target_archE1100ELNS1_3gpuE3ELNS1_3repE0EEENS1_48merge_mergepath_partition_config_static_selectorELNS0_4arch9wavefront6targetE1EEEvSL_
		.amdhsa_group_segment_fixed_size 0
		.amdhsa_private_segment_fixed_size 0
		.amdhsa_kernarg_size 40
		.amdhsa_user_sgpr_count 2
		.amdhsa_user_sgpr_dispatch_ptr 0
		.amdhsa_user_sgpr_queue_ptr 0
		.amdhsa_user_sgpr_kernarg_segment_ptr 1
		.amdhsa_user_sgpr_dispatch_id 0
		.amdhsa_user_sgpr_kernarg_preload_length 0
		.amdhsa_user_sgpr_kernarg_preload_offset 0
		.amdhsa_user_sgpr_private_segment_size 0
		.amdhsa_uses_dynamic_stack 0
		.amdhsa_enable_private_segment 0
		.amdhsa_system_sgpr_workgroup_id_x 1
		.amdhsa_system_sgpr_workgroup_id_y 0
		.amdhsa_system_sgpr_workgroup_id_z 0
		.amdhsa_system_sgpr_workgroup_info 0
		.amdhsa_system_vgpr_workitem_id 0
		.amdhsa_next_free_vgpr 1
		.amdhsa_next_free_sgpr 0
		.amdhsa_accum_offset 4
		.amdhsa_reserve_vcc 0
		.amdhsa_float_round_mode_32 0
		.amdhsa_float_round_mode_16_64 0
		.amdhsa_float_denorm_mode_32 3
		.amdhsa_float_denorm_mode_16_64 3
		.amdhsa_dx10_clamp 1
		.amdhsa_ieee_mode 1
		.amdhsa_fp16_overflow 0
		.amdhsa_tg_split 0
		.amdhsa_exception_fp_ieee_invalid_op 0
		.amdhsa_exception_fp_denorm_src 0
		.amdhsa_exception_fp_ieee_div_zero 0
		.amdhsa_exception_fp_ieee_overflow 0
		.amdhsa_exception_fp_ieee_underflow 0
		.amdhsa_exception_fp_ieee_inexact 0
		.amdhsa_exception_int_div_zero 0
	.end_amdhsa_kernel
	.section	.text._ZN7rocprim17ROCPRIM_400000_NS6detail17trampoline_kernelINS0_14default_configENS1_38merge_sort_block_merge_config_selectorIbiEEZZNS1_27merge_sort_block_merge_implIS3_N6thrust23THRUST_200600_302600_NS6detail15normal_iteratorINS8_10device_ptrIbEEEENSA_INSB_IiEEEEjNS1_19radix_merge_compareILb1ELb1EbNS0_19identity_decomposerEEEEE10hipError_tT0_T1_T2_jT3_P12ihipStream_tbPNSt15iterator_traitsISK_E10value_typeEPNSQ_ISL_E10value_typeEPSM_NS1_7vsmem_tEENKUlT_SK_SL_SM_E_clIPbSD_PiSF_EESJ_SZ_SK_SL_SM_EUlSZ_E_NS1_11comp_targetILNS1_3genE9ELNS1_11target_archE1100ELNS1_3gpuE3ELNS1_3repE0EEENS1_48merge_mergepath_partition_config_static_selectorELNS0_4arch9wavefront6targetE1EEEvSL_,"axG",@progbits,_ZN7rocprim17ROCPRIM_400000_NS6detail17trampoline_kernelINS0_14default_configENS1_38merge_sort_block_merge_config_selectorIbiEEZZNS1_27merge_sort_block_merge_implIS3_N6thrust23THRUST_200600_302600_NS6detail15normal_iteratorINS8_10device_ptrIbEEEENSA_INSB_IiEEEEjNS1_19radix_merge_compareILb1ELb1EbNS0_19identity_decomposerEEEEE10hipError_tT0_T1_T2_jT3_P12ihipStream_tbPNSt15iterator_traitsISK_E10value_typeEPNSQ_ISL_E10value_typeEPSM_NS1_7vsmem_tEENKUlT_SK_SL_SM_E_clIPbSD_PiSF_EESJ_SZ_SK_SL_SM_EUlSZ_E_NS1_11comp_targetILNS1_3genE9ELNS1_11target_archE1100ELNS1_3gpuE3ELNS1_3repE0EEENS1_48merge_mergepath_partition_config_static_selectorELNS0_4arch9wavefront6targetE1EEEvSL_,comdat
.Lfunc_end2158:
	.size	_ZN7rocprim17ROCPRIM_400000_NS6detail17trampoline_kernelINS0_14default_configENS1_38merge_sort_block_merge_config_selectorIbiEEZZNS1_27merge_sort_block_merge_implIS3_N6thrust23THRUST_200600_302600_NS6detail15normal_iteratorINS8_10device_ptrIbEEEENSA_INSB_IiEEEEjNS1_19radix_merge_compareILb1ELb1EbNS0_19identity_decomposerEEEEE10hipError_tT0_T1_T2_jT3_P12ihipStream_tbPNSt15iterator_traitsISK_E10value_typeEPNSQ_ISL_E10value_typeEPSM_NS1_7vsmem_tEENKUlT_SK_SL_SM_E_clIPbSD_PiSF_EESJ_SZ_SK_SL_SM_EUlSZ_E_NS1_11comp_targetILNS1_3genE9ELNS1_11target_archE1100ELNS1_3gpuE3ELNS1_3repE0EEENS1_48merge_mergepath_partition_config_static_selectorELNS0_4arch9wavefront6targetE1EEEvSL_, .Lfunc_end2158-_ZN7rocprim17ROCPRIM_400000_NS6detail17trampoline_kernelINS0_14default_configENS1_38merge_sort_block_merge_config_selectorIbiEEZZNS1_27merge_sort_block_merge_implIS3_N6thrust23THRUST_200600_302600_NS6detail15normal_iteratorINS8_10device_ptrIbEEEENSA_INSB_IiEEEEjNS1_19radix_merge_compareILb1ELb1EbNS0_19identity_decomposerEEEEE10hipError_tT0_T1_T2_jT3_P12ihipStream_tbPNSt15iterator_traitsISK_E10value_typeEPNSQ_ISL_E10value_typeEPSM_NS1_7vsmem_tEENKUlT_SK_SL_SM_E_clIPbSD_PiSF_EESJ_SZ_SK_SL_SM_EUlSZ_E_NS1_11comp_targetILNS1_3genE9ELNS1_11target_archE1100ELNS1_3gpuE3ELNS1_3repE0EEENS1_48merge_mergepath_partition_config_static_selectorELNS0_4arch9wavefront6targetE1EEEvSL_
                                        ; -- End function
	.set _ZN7rocprim17ROCPRIM_400000_NS6detail17trampoline_kernelINS0_14default_configENS1_38merge_sort_block_merge_config_selectorIbiEEZZNS1_27merge_sort_block_merge_implIS3_N6thrust23THRUST_200600_302600_NS6detail15normal_iteratorINS8_10device_ptrIbEEEENSA_INSB_IiEEEEjNS1_19radix_merge_compareILb1ELb1EbNS0_19identity_decomposerEEEEE10hipError_tT0_T1_T2_jT3_P12ihipStream_tbPNSt15iterator_traitsISK_E10value_typeEPNSQ_ISL_E10value_typeEPSM_NS1_7vsmem_tEENKUlT_SK_SL_SM_E_clIPbSD_PiSF_EESJ_SZ_SK_SL_SM_EUlSZ_E_NS1_11comp_targetILNS1_3genE9ELNS1_11target_archE1100ELNS1_3gpuE3ELNS1_3repE0EEENS1_48merge_mergepath_partition_config_static_selectorELNS0_4arch9wavefront6targetE1EEEvSL_.num_vgpr, 0
	.set _ZN7rocprim17ROCPRIM_400000_NS6detail17trampoline_kernelINS0_14default_configENS1_38merge_sort_block_merge_config_selectorIbiEEZZNS1_27merge_sort_block_merge_implIS3_N6thrust23THRUST_200600_302600_NS6detail15normal_iteratorINS8_10device_ptrIbEEEENSA_INSB_IiEEEEjNS1_19radix_merge_compareILb1ELb1EbNS0_19identity_decomposerEEEEE10hipError_tT0_T1_T2_jT3_P12ihipStream_tbPNSt15iterator_traitsISK_E10value_typeEPNSQ_ISL_E10value_typeEPSM_NS1_7vsmem_tEENKUlT_SK_SL_SM_E_clIPbSD_PiSF_EESJ_SZ_SK_SL_SM_EUlSZ_E_NS1_11comp_targetILNS1_3genE9ELNS1_11target_archE1100ELNS1_3gpuE3ELNS1_3repE0EEENS1_48merge_mergepath_partition_config_static_selectorELNS0_4arch9wavefront6targetE1EEEvSL_.num_agpr, 0
	.set _ZN7rocprim17ROCPRIM_400000_NS6detail17trampoline_kernelINS0_14default_configENS1_38merge_sort_block_merge_config_selectorIbiEEZZNS1_27merge_sort_block_merge_implIS3_N6thrust23THRUST_200600_302600_NS6detail15normal_iteratorINS8_10device_ptrIbEEEENSA_INSB_IiEEEEjNS1_19radix_merge_compareILb1ELb1EbNS0_19identity_decomposerEEEEE10hipError_tT0_T1_T2_jT3_P12ihipStream_tbPNSt15iterator_traitsISK_E10value_typeEPNSQ_ISL_E10value_typeEPSM_NS1_7vsmem_tEENKUlT_SK_SL_SM_E_clIPbSD_PiSF_EESJ_SZ_SK_SL_SM_EUlSZ_E_NS1_11comp_targetILNS1_3genE9ELNS1_11target_archE1100ELNS1_3gpuE3ELNS1_3repE0EEENS1_48merge_mergepath_partition_config_static_selectorELNS0_4arch9wavefront6targetE1EEEvSL_.numbered_sgpr, 0
	.set _ZN7rocprim17ROCPRIM_400000_NS6detail17trampoline_kernelINS0_14default_configENS1_38merge_sort_block_merge_config_selectorIbiEEZZNS1_27merge_sort_block_merge_implIS3_N6thrust23THRUST_200600_302600_NS6detail15normal_iteratorINS8_10device_ptrIbEEEENSA_INSB_IiEEEEjNS1_19radix_merge_compareILb1ELb1EbNS0_19identity_decomposerEEEEE10hipError_tT0_T1_T2_jT3_P12ihipStream_tbPNSt15iterator_traitsISK_E10value_typeEPNSQ_ISL_E10value_typeEPSM_NS1_7vsmem_tEENKUlT_SK_SL_SM_E_clIPbSD_PiSF_EESJ_SZ_SK_SL_SM_EUlSZ_E_NS1_11comp_targetILNS1_3genE9ELNS1_11target_archE1100ELNS1_3gpuE3ELNS1_3repE0EEENS1_48merge_mergepath_partition_config_static_selectorELNS0_4arch9wavefront6targetE1EEEvSL_.num_named_barrier, 0
	.set _ZN7rocprim17ROCPRIM_400000_NS6detail17trampoline_kernelINS0_14default_configENS1_38merge_sort_block_merge_config_selectorIbiEEZZNS1_27merge_sort_block_merge_implIS3_N6thrust23THRUST_200600_302600_NS6detail15normal_iteratorINS8_10device_ptrIbEEEENSA_INSB_IiEEEEjNS1_19radix_merge_compareILb1ELb1EbNS0_19identity_decomposerEEEEE10hipError_tT0_T1_T2_jT3_P12ihipStream_tbPNSt15iterator_traitsISK_E10value_typeEPNSQ_ISL_E10value_typeEPSM_NS1_7vsmem_tEENKUlT_SK_SL_SM_E_clIPbSD_PiSF_EESJ_SZ_SK_SL_SM_EUlSZ_E_NS1_11comp_targetILNS1_3genE9ELNS1_11target_archE1100ELNS1_3gpuE3ELNS1_3repE0EEENS1_48merge_mergepath_partition_config_static_selectorELNS0_4arch9wavefront6targetE1EEEvSL_.private_seg_size, 0
	.set _ZN7rocprim17ROCPRIM_400000_NS6detail17trampoline_kernelINS0_14default_configENS1_38merge_sort_block_merge_config_selectorIbiEEZZNS1_27merge_sort_block_merge_implIS3_N6thrust23THRUST_200600_302600_NS6detail15normal_iteratorINS8_10device_ptrIbEEEENSA_INSB_IiEEEEjNS1_19radix_merge_compareILb1ELb1EbNS0_19identity_decomposerEEEEE10hipError_tT0_T1_T2_jT3_P12ihipStream_tbPNSt15iterator_traitsISK_E10value_typeEPNSQ_ISL_E10value_typeEPSM_NS1_7vsmem_tEENKUlT_SK_SL_SM_E_clIPbSD_PiSF_EESJ_SZ_SK_SL_SM_EUlSZ_E_NS1_11comp_targetILNS1_3genE9ELNS1_11target_archE1100ELNS1_3gpuE3ELNS1_3repE0EEENS1_48merge_mergepath_partition_config_static_selectorELNS0_4arch9wavefront6targetE1EEEvSL_.uses_vcc, 0
	.set _ZN7rocprim17ROCPRIM_400000_NS6detail17trampoline_kernelINS0_14default_configENS1_38merge_sort_block_merge_config_selectorIbiEEZZNS1_27merge_sort_block_merge_implIS3_N6thrust23THRUST_200600_302600_NS6detail15normal_iteratorINS8_10device_ptrIbEEEENSA_INSB_IiEEEEjNS1_19radix_merge_compareILb1ELb1EbNS0_19identity_decomposerEEEEE10hipError_tT0_T1_T2_jT3_P12ihipStream_tbPNSt15iterator_traitsISK_E10value_typeEPNSQ_ISL_E10value_typeEPSM_NS1_7vsmem_tEENKUlT_SK_SL_SM_E_clIPbSD_PiSF_EESJ_SZ_SK_SL_SM_EUlSZ_E_NS1_11comp_targetILNS1_3genE9ELNS1_11target_archE1100ELNS1_3gpuE3ELNS1_3repE0EEENS1_48merge_mergepath_partition_config_static_selectorELNS0_4arch9wavefront6targetE1EEEvSL_.uses_flat_scratch, 0
	.set _ZN7rocprim17ROCPRIM_400000_NS6detail17trampoline_kernelINS0_14default_configENS1_38merge_sort_block_merge_config_selectorIbiEEZZNS1_27merge_sort_block_merge_implIS3_N6thrust23THRUST_200600_302600_NS6detail15normal_iteratorINS8_10device_ptrIbEEEENSA_INSB_IiEEEEjNS1_19radix_merge_compareILb1ELb1EbNS0_19identity_decomposerEEEEE10hipError_tT0_T1_T2_jT3_P12ihipStream_tbPNSt15iterator_traitsISK_E10value_typeEPNSQ_ISL_E10value_typeEPSM_NS1_7vsmem_tEENKUlT_SK_SL_SM_E_clIPbSD_PiSF_EESJ_SZ_SK_SL_SM_EUlSZ_E_NS1_11comp_targetILNS1_3genE9ELNS1_11target_archE1100ELNS1_3gpuE3ELNS1_3repE0EEENS1_48merge_mergepath_partition_config_static_selectorELNS0_4arch9wavefront6targetE1EEEvSL_.has_dyn_sized_stack, 0
	.set _ZN7rocprim17ROCPRIM_400000_NS6detail17trampoline_kernelINS0_14default_configENS1_38merge_sort_block_merge_config_selectorIbiEEZZNS1_27merge_sort_block_merge_implIS3_N6thrust23THRUST_200600_302600_NS6detail15normal_iteratorINS8_10device_ptrIbEEEENSA_INSB_IiEEEEjNS1_19radix_merge_compareILb1ELb1EbNS0_19identity_decomposerEEEEE10hipError_tT0_T1_T2_jT3_P12ihipStream_tbPNSt15iterator_traitsISK_E10value_typeEPNSQ_ISL_E10value_typeEPSM_NS1_7vsmem_tEENKUlT_SK_SL_SM_E_clIPbSD_PiSF_EESJ_SZ_SK_SL_SM_EUlSZ_E_NS1_11comp_targetILNS1_3genE9ELNS1_11target_archE1100ELNS1_3gpuE3ELNS1_3repE0EEENS1_48merge_mergepath_partition_config_static_selectorELNS0_4arch9wavefront6targetE1EEEvSL_.has_recursion, 0
	.set _ZN7rocprim17ROCPRIM_400000_NS6detail17trampoline_kernelINS0_14default_configENS1_38merge_sort_block_merge_config_selectorIbiEEZZNS1_27merge_sort_block_merge_implIS3_N6thrust23THRUST_200600_302600_NS6detail15normal_iteratorINS8_10device_ptrIbEEEENSA_INSB_IiEEEEjNS1_19radix_merge_compareILb1ELb1EbNS0_19identity_decomposerEEEEE10hipError_tT0_T1_T2_jT3_P12ihipStream_tbPNSt15iterator_traitsISK_E10value_typeEPNSQ_ISL_E10value_typeEPSM_NS1_7vsmem_tEENKUlT_SK_SL_SM_E_clIPbSD_PiSF_EESJ_SZ_SK_SL_SM_EUlSZ_E_NS1_11comp_targetILNS1_3genE9ELNS1_11target_archE1100ELNS1_3gpuE3ELNS1_3repE0EEENS1_48merge_mergepath_partition_config_static_selectorELNS0_4arch9wavefront6targetE1EEEvSL_.has_indirect_call, 0
	.section	.AMDGPU.csdata,"",@progbits
; Kernel info:
; codeLenInByte = 0
; TotalNumSgprs: 6
; NumVgprs: 0
; NumAgprs: 0
; TotalNumVgprs: 0
; ScratchSize: 0
; MemoryBound: 0
; FloatMode: 240
; IeeeMode: 1
; LDSByteSize: 0 bytes/workgroup (compile time only)
; SGPRBlocks: 0
; VGPRBlocks: 0
; NumSGPRsForWavesPerEU: 6
; NumVGPRsForWavesPerEU: 1
; AccumOffset: 4
; Occupancy: 8
; WaveLimiterHint : 0
; COMPUTE_PGM_RSRC2:SCRATCH_EN: 0
; COMPUTE_PGM_RSRC2:USER_SGPR: 2
; COMPUTE_PGM_RSRC2:TRAP_HANDLER: 0
; COMPUTE_PGM_RSRC2:TGID_X_EN: 1
; COMPUTE_PGM_RSRC2:TGID_Y_EN: 0
; COMPUTE_PGM_RSRC2:TGID_Z_EN: 0
; COMPUTE_PGM_RSRC2:TIDIG_COMP_CNT: 0
; COMPUTE_PGM_RSRC3_GFX90A:ACCUM_OFFSET: 0
; COMPUTE_PGM_RSRC3_GFX90A:TG_SPLIT: 0
	.section	.text._ZN7rocprim17ROCPRIM_400000_NS6detail17trampoline_kernelINS0_14default_configENS1_38merge_sort_block_merge_config_selectorIbiEEZZNS1_27merge_sort_block_merge_implIS3_N6thrust23THRUST_200600_302600_NS6detail15normal_iteratorINS8_10device_ptrIbEEEENSA_INSB_IiEEEEjNS1_19radix_merge_compareILb1ELb1EbNS0_19identity_decomposerEEEEE10hipError_tT0_T1_T2_jT3_P12ihipStream_tbPNSt15iterator_traitsISK_E10value_typeEPNSQ_ISL_E10value_typeEPSM_NS1_7vsmem_tEENKUlT_SK_SL_SM_E_clIPbSD_PiSF_EESJ_SZ_SK_SL_SM_EUlSZ_E_NS1_11comp_targetILNS1_3genE8ELNS1_11target_archE1030ELNS1_3gpuE2ELNS1_3repE0EEENS1_48merge_mergepath_partition_config_static_selectorELNS0_4arch9wavefront6targetE1EEEvSL_,"axG",@progbits,_ZN7rocprim17ROCPRIM_400000_NS6detail17trampoline_kernelINS0_14default_configENS1_38merge_sort_block_merge_config_selectorIbiEEZZNS1_27merge_sort_block_merge_implIS3_N6thrust23THRUST_200600_302600_NS6detail15normal_iteratorINS8_10device_ptrIbEEEENSA_INSB_IiEEEEjNS1_19radix_merge_compareILb1ELb1EbNS0_19identity_decomposerEEEEE10hipError_tT0_T1_T2_jT3_P12ihipStream_tbPNSt15iterator_traitsISK_E10value_typeEPNSQ_ISL_E10value_typeEPSM_NS1_7vsmem_tEENKUlT_SK_SL_SM_E_clIPbSD_PiSF_EESJ_SZ_SK_SL_SM_EUlSZ_E_NS1_11comp_targetILNS1_3genE8ELNS1_11target_archE1030ELNS1_3gpuE2ELNS1_3repE0EEENS1_48merge_mergepath_partition_config_static_selectorELNS0_4arch9wavefront6targetE1EEEvSL_,comdat
	.protected	_ZN7rocprim17ROCPRIM_400000_NS6detail17trampoline_kernelINS0_14default_configENS1_38merge_sort_block_merge_config_selectorIbiEEZZNS1_27merge_sort_block_merge_implIS3_N6thrust23THRUST_200600_302600_NS6detail15normal_iteratorINS8_10device_ptrIbEEEENSA_INSB_IiEEEEjNS1_19radix_merge_compareILb1ELb1EbNS0_19identity_decomposerEEEEE10hipError_tT0_T1_T2_jT3_P12ihipStream_tbPNSt15iterator_traitsISK_E10value_typeEPNSQ_ISL_E10value_typeEPSM_NS1_7vsmem_tEENKUlT_SK_SL_SM_E_clIPbSD_PiSF_EESJ_SZ_SK_SL_SM_EUlSZ_E_NS1_11comp_targetILNS1_3genE8ELNS1_11target_archE1030ELNS1_3gpuE2ELNS1_3repE0EEENS1_48merge_mergepath_partition_config_static_selectorELNS0_4arch9wavefront6targetE1EEEvSL_ ; -- Begin function _ZN7rocprim17ROCPRIM_400000_NS6detail17trampoline_kernelINS0_14default_configENS1_38merge_sort_block_merge_config_selectorIbiEEZZNS1_27merge_sort_block_merge_implIS3_N6thrust23THRUST_200600_302600_NS6detail15normal_iteratorINS8_10device_ptrIbEEEENSA_INSB_IiEEEEjNS1_19radix_merge_compareILb1ELb1EbNS0_19identity_decomposerEEEEE10hipError_tT0_T1_T2_jT3_P12ihipStream_tbPNSt15iterator_traitsISK_E10value_typeEPNSQ_ISL_E10value_typeEPSM_NS1_7vsmem_tEENKUlT_SK_SL_SM_E_clIPbSD_PiSF_EESJ_SZ_SK_SL_SM_EUlSZ_E_NS1_11comp_targetILNS1_3genE8ELNS1_11target_archE1030ELNS1_3gpuE2ELNS1_3repE0EEENS1_48merge_mergepath_partition_config_static_selectorELNS0_4arch9wavefront6targetE1EEEvSL_
	.globl	_ZN7rocprim17ROCPRIM_400000_NS6detail17trampoline_kernelINS0_14default_configENS1_38merge_sort_block_merge_config_selectorIbiEEZZNS1_27merge_sort_block_merge_implIS3_N6thrust23THRUST_200600_302600_NS6detail15normal_iteratorINS8_10device_ptrIbEEEENSA_INSB_IiEEEEjNS1_19radix_merge_compareILb1ELb1EbNS0_19identity_decomposerEEEEE10hipError_tT0_T1_T2_jT3_P12ihipStream_tbPNSt15iterator_traitsISK_E10value_typeEPNSQ_ISL_E10value_typeEPSM_NS1_7vsmem_tEENKUlT_SK_SL_SM_E_clIPbSD_PiSF_EESJ_SZ_SK_SL_SM_EUlSZ_E_NS1_11comp_targetILNS1_3genE8ELNS1_11target_archE1030ELNS1_3gpuE2ELNS1_3repE0EEENS1_48merge_mergepath_partition_config_static_selectorELNS0_4arch9wavefront6targetE1EEEvSL_
	.p2align	8
	.type	_ZN7rocprim17ROCPRIM_400000_NS6detail17trampoline_kernelINS0_14default_configENS1_38merge_sort_block_merge_config_selectorIbiEEZZNS1_27merge_sort_block_merge_implIS3_N6thrust23THRUST_200600_302600_NS6detail15normal_iteratorINS8_10device_ptrIbEEEENSA_INSB_IiEEEEjNS1_19radix_merge_compareILb1ELb1EbNS0_19identity_decomposerEEEEE10hipError_tT0_T1_T2_jT3_P12ihipStream_tbPNSt15iterator_traitsISK_E10value_typeEPNSQ_ISL_E10value_typeEPSM_NS1_7vsmem_tEENKUlT_SK_SL_SM_E_clIPbSD_PiSF_EESJ_SZ_SK_SL_SM_EUlSZ_E_NS1_11comp_targetILNS1_3genE8ELNS1_11target_archE1030ELNS1_3gpuE2ELNS1_3repE0EEENS1_48merge_mergepath_partition_config_static_selectorELNS0_4arch9wavefront6targetE1EEEvSL_,@function
_ZN7rocprim17ROCPRIM_400000_NS6detail17trampoline_kernelINS0_14default_configENS1_38merge_sort_block_merge_config_selectorIbiEEZZNS1_27merge_sort_block_merge_implIS3_N6thrust23THRUST_200600_302600_NS6detail15normal_iteratorINS8_10device_ptrIbEEEENSA_INSB_IiEEEEjNS1_19radix_merge_compareILb1ELb1EbNS0_19identity_decomposerEEEEE10hipError_tT0_T1_T2_jT3_P12ihipStream_tbPNSt15iterator_traitsISK_E10value_typeEPNSQ_ISL_E10value_typeEPSM_NS1_7vsmem_tEENKUlT_SK_SL_SM_E_clIPbSD_PiSF_EESJ_SZ_SK_SL_SM_EUlSZ_E_NS1_11comp_targetILNS1_3genE8ELNS1_11target_archE1030ELNS1_3gpuE2ELNS1_3repE0EEENS1_48merge_mergepath_partition_config_static_selectorELNS0_4arch9wavefront6targetE1EEEvSL_: ; @_ZN7rocprim17ROCPRIM_400000_NS6detail17trampoline_kernelINS0_14default_configENS1_38merge_sort_block_merge_config_selectorIbiEEZZNS1_27merge_sort_block_merge_implIS3_N6thrust23THRUST_200600_302600_NS6detail15normal_iteratorINS8_10device_ptrIbEEEENSA_INSB_IiEEEEjNS1_19radix_merge_compareILb1ELb1EbNS0_19identity_decomposerEEEEE10hipError_tT0_T1_T2_jT3_P12ihipStream_tbPNSt15iterator_traitsISK_E10value_typeEPNSQ_ISL_E10value_typeEPSM_NS1_7vsmem_tEENKUlT_SK_SL_SM_E_clIPbSD_PiSF_EESJ_SZ_SK_SL_SM_EUlSZ_E_NS1_11comp_targetILNS1_3genE8ELNS1_11target_archE1030ELNS1_3gpuE2ELNS1_3repE0EEENS1_48merge_mergepath_partition_config_static_selectorELNS0_4arch9wavefront6targetE1EEEvSL_
; %bb.0:
	.section	.rodata,"a",@progbits
	.p2align	6, 0x0
	.amdhsa_kernel _ZN7rocprim17ROCPRIM_400000_NS6detail17trampoline_kernelINS0_14default_configENS1_38merge_sort_block_merge_config_selectorIbiEEZZNS1_27merge_sort_block_merge_implIS3_N6thrust23THRUST_200600_302600_NS6detail15normal_iteratorINS8_10device_ptrIbEEEENSA_INSB_IiEEEEjNS1_19radix_merge_compareILb1ELb1EbNS0_19identity_decomposerEEEEE10hipError_tT0_T1_T2_jT3_P12ihipStream_tbPNSt15iterator_traitsISK_E10value_typeEPNSQ_ISL_E10value_typeEPSM_NS1_7vsmem_tEENKUlT_SK_SL_SM_E_clIPbSD_PiSF_EESJ_SZ_SK_SL_SM_EUlSZ_E_NS1_11comp_targetILNS1_3genE8ELNS1_11target_archE1030ELNS1_3gpuE2ELNS1_3repE0EEENS1_48merge_mergepath_partition_config_static_selectorELNS0_4arch9wavefront6targetE1EEEvSL_
		.amdhsa_group_segment_fixed_size 0
		.amdhsa_private_segment_fixed_size 0
		.amdhsa_kernarg_size 40
		.amdhsa_user_sgpr_count 2
		.amdhsa_user_sgpr_dispatch_ptr 0
		.amdhsa_user_sgpr_queue_ptr 0
		.amdhsa_user_sgpr_kernarg_segment_ptr 1
		.amdhsa_user_sgpr_dispatch_id 0
		.amdhsa_user_sgpr_kernarg_preload_length 0
		.amdhsa_user_sgpr_kernarg_preload_offset 0
		.amdhsa_user_sgpr_private_segment_size 0
		.amdhsa_uses_dynamic_stack 0
		.amdhsa_enable_private_segment 0
		.amdhsa_system_sgpr_workgroup_id_x 1
		.amdhsa_system_sgpr_workgroup_id_y 0
		.amdhsa_system_sgpr_workgroup_id_z 0
		.amdhsa_system_sgpr_workgroup_info 0
		.amdhsa_system_vgpr_workitem_id 0
		.amdhsa_next_free_vgpr 1
		.amdhsa_next_free_sgpr 0
		.amdhsa_accum_offset 4
		.amdhsa_reserve_vcc 0
		.amdhsa_float_round_mode_32 0
		.amdhsa_float_round_mode_16_64 0
		.amdhsa_float_denorm_mode_32 3
		.amdhsa_float_denorm_mode_16_64 3
		.amdhsa_dx10_clamp 1
		.amdhsa_ieee_mode 1
		.amdhsa_fp16_overflow 0
		.amdhsa_tg_split 0
		.amdhsa_exception_fp_ieee_invalid_op 0
		.amdhsa_exception_fp_denorm_src 0
		.amdhsa_exception_fp_ieee_div_zero 0
		.amdhsa_exception_fp_ieee_overflow 0
		.amdhsa_exception_fp_ieee_underflow 0
		.amdhsa_exception_fp_ieee_inexact 0
		.amdhsa_exception_int_div_zero 0
	.end_amdhsa_kernel
	.section	.text._ZN7rocprim17ROCPRIM_400000_NS6detail17trampoline_kernelINS0_14default_configENS1_38merge_sort_block_merge_config_selectorIbiEEZZNS1_27merge_sort_block_merge_implIS3_N6thrust23THRUST_200600_302600_NS6detail15normal_iteratorINS8_10device_ptrIbEEEENSA_INSB_IiEEEEjNS1_19radix_merge_compareILb1ELb1EbNS0_19identity_decomposerEEEEE10hipError_tT0_T1_T2_jT3_P12ihipStream_tbPNSt15iterator_traitsISK_E10value_typeEPNSQ_ISL_E10value_typeEPSM_NS1_7vsmem_tEENKUlT_SK_SL_SM_E_clIPbSD_PiSF_EESJ_SZ_SK_SL_SM_EUlSZ_E_NS1_11comp_targetILNS1_3genE8ELNS1_11target_archE1030ELNS1_3gpuE2ELNS1_3repE0EEENS1_48merge_mergepath_partition_config_static_selectorELNS0_4arch9wavefront6targetE1EEEvSL_,"axG",@progbits,_ZN7rocprim17ROCPRIM_400000_NS6detail17trampoline_kernelINS0_14default_configENS1_38merge_sort_block_merge_config_selectorIbiEEZZNS1_27merge_sort_block_merge_implIS3_N6thrust23THRUST_200600_302600_NS6detail15normal_iteratorINS8_10device_ptrIbEEEENSA_INSB_IiEEEEjNS1_19radix_merge_compareILb1ELb1EbNS0_19identity_decomposerEEEEE10hipError_tT0_T1_T2_jT3_P12ihipStream_tbPNSt15iterator_traitsISK_E10value_typeEPNSQ_ISL_E10value_typeEPSM_NS1_7vsmem_tEENKUlT_SK_SL_SM_E_clIPbSD_PiSF_EESJ_SZ_SK_SL_SM_EUlSZ_E_NS1_11comp_targetILNS1_3genE8ELNS1_11target_archE1030ELNS1_3gpuE2ELNS1_3repE0EEENS1_48merge_mergepath_partition_config_static_selectorELNS0_4arch9wavefront6targetE1EEEvSL_,comdat
.Lfunc_end2159:
	.size	_ZN7rocprim17ROCPRIM_400000_NS6detail17trampoline_kernelINS0_14default_configENS1_38merge_sort_block_merge_config_selectorIbiEEZZNS1_27merge_sort_block_merge_implIS3_N6thrust23THRUST_200600_302600_NS6detail15normal_iteratorINS8_10device_ptrIbEEEENSA_INSB_IiEEEEjNS1_19radix_merge_compareILb1ELb1EbNS0_19identity_decomposerEEEEE10hipError_tT0_T1_T2_jT3_P12ihipStream_tbPNSt15iterator_traitsISK_E10value_typeEPNSQ_ISL_E10value_typeEPSM_NS1_7vsmem_tEENKUlT_SK_SL_SM_E_clIPbSD_PiSF_EESJ_SZ_SK_SL_SM_EUlSZ_E_NS1_11comp_targetILNS1_3genE8ELNS1_11target_archE1030ELNS1_3gpuE2ELNS1_3repE0EEENS1_48merge_mergepath_partition_config_static_selectorELNS0_4arch9wavefront6targetE1EEEvSL_, .Lfunc_end2159-_ZN7rocprim17ROCPRIM_400000_NS6detail17trampoline_kernelINS0_14default_configENS1_38merge_sort_block_merge_config_selectorIbiEEZZNS1_27merge_sort_block_merge_implIS3_N6thrust23THRUST_200600_302600_NS6detail15normal_iteratorINS8_10device_ptrIbEEEENSA_INSB_IiEEEEjNS1_19radix_merge_compareILb1ELb1EbNS0_19identity_decomposerEEEEE10hipError_tT0_T1_T2_jT3_P12ihipStream_tbPNSt15iterator_traitsISK_E10value_typeEPNSQ_ISL_E10value_typeEPSM_NS1_7vsmem_tEENKUlT_SK_SL_SM_E_clIPbSD_PiSF_EESJ_SZ_SK_SL_SM_EUlSZ_E_NS1_11comp_targetILNS1_3genE8ELNS1_11target_archE1030ELNS1_3gpuE2ELNS1_3repE0EEENS1_48merge_mergepath_partition_config_static_selectorELNS0_4arch9wavefront6targetE1EEEvSL_
                                        ; -- End function
	.set _ZN7rocprim17ROCPRIM_400000_NS6detail17trampoline_kernelINS0_14default_configENS1_38merge_sort_block_merge_config_selectorIbiEEZZNS1_27merge_sort_block_merge_implIS3_N6thrust23THRUST_200600_302600_NS6detail15normal_iteratorINS8_10device_ptrIbEEEENSA_INSB_IiEEEEjNS1_19radix_merge_compareILb1ELb1EbNS0_19identity_decomposerEEEEE10hipError_tT0_T1_T2_jT3_P12ihipStream_tbPNSt15iterator_traitsISK_E10value_typeEPNSQ_ISL_E10value_typeEPSM_NS1_7vsmem_tEENKUlT_SK_SL_SM_E_clIPbSD_PiSF_EESJ_SZ_SK_SL_SM_EUlSZ_E_NS1_11comp_targetILNS1_3genE8ELNS1_11target_archE1030ELNS1_3gpuE2ELNS1_3repE0EEENS1_48merge_mergepath_partition_config_static_selectorELNS0_4arch9wavefront6targetE1EEEvSL_.num_vgpr, 0
	.set _ZN7rocprim17ROCPRIM_400000_NS6detail17trampoline_kernelINS0_14default_configENS1_38merge_sort_block_merge_config_selectorIbiEEZZNS1_27merge_sort_block_merge_implIS3_N6thrust23THRUST_200600_302600_NS6detail15normal_iteratorINS8_10device_ptrIbEEEENSA_INSB_IiEEEEjNS1_19radix_merge_compareILb1ELb1EbNS0_19identity_decomposerEEEEE10hipError_tT0_T1_T2_jT3_P12ihipStream_tbPNSt15iterator_traitsISK_E10value_typeEPNSQ_ISL_E10value_typeEPSM_NS1_7vsmem_tEENKUlT_SK_SL_SM_E_clIPbSD_PiSF_EESJ_SZ_SK_SL_SM_EUlSZ_E_NS1_11comp_targetILNS1_3genE8ELNS1_11target_archE1030ELNS1_3gpuE2ELNS1_3repE0EEENS1_48merge_mergepath_partition_config_static_selectorELNS0_4arch9wavefront6targetE1EEEvSL_.num_agpr, 0
	.set _ZN7rocprim17ROCPRIM_400000_NS6detail17trampoline_kernelINS0_14default_configENS1_38merge_sort_block_merge_config_selectorIbiEEZZNS1_27merge_sort_block_merge_implIS3_N6thrust23THRUST_200600_302600_NS6detail15normal_iteratorINS8_10device_ptrIbEEEENSA_INSB_IiEEEEjNS1_19radix_merge_compareILb1ELb1EbNS0_19identity_decomposerEEEEE10hipError_tT0_T1_T2_jT3_P12ihipStream_tbPNSt15iterator_traitsISK_E10value_typeEPNSQ_ISL_E10value_typeEPSM_NS1_7vsmem_tEENKUlT_SK_SL_SM_E_clIPbSD_PiSF_EESJ_SZ_SK_SL_SM_EUlSZ_E_NS1_11comp_targetILNS1_3genE8ELNS1_11target_archE1030ELNS1_3gpuE2ELNS1_3repE0EEENS1_48merge_mergepath_partition_config_static_selectorELNS0_4arch9wavefront6targetE1EEEvSL_.numbered_sgpr, 0
	.set _ZN7rocprim17ROCPRIM_400000_NS6detail17trampoline_kernelINS0_14default_configENS1_38merge_sort_block_merge_config_selectorIbiEEZZNS1_27merge_sort_block_merge_implIS3_N6thrust23THRUST_200600_302600_NS6detail15normal_iteratorINS8_10device_ptrIbEEEENSA_INSB_IiEEEEjNS1_19radix_merge_compareILb1ELb1EbNS0_19identity_decomposerEEEEE10hipError_tT0_T1_T2_jT3_P12ihipStream_tbPNSt15iterator_traitsISK_E10value_typeEPNSQ_ISL_E10value_typeEPSM_NS1_7vsmem_tEENKUlT_SK_SL_SM_E_clIPbSD_PiSF_EESJ_SZ_SK_SL_SM_EUlSZ_E_NS1_11comp_targetILNS1_3genE8ELNS1_11target_archE1030ELNS1_3gpuE2ELNS1_3repE0EEENS1_48merge_mergepath_partition_config_static_selectorELNS0_4arch9wavefront6targetE1EEEvSL_.num_named_barrier, 0
	.set _ZN7rocprim17ROCPRIM_400000_NS6detail17trampoline_kernelINS0_14default_configENS1_38merge_sort_block_merge_config_selectorIbiEEZZNS1_27merge_sort_block_merge_implIS3_N6thrust23THRUST_200600_302600_NS6detail15normal_iteratorINS8_10device_ptrIbEEEENSA_INSB_IiEEEEjNS1_19radix_merge_compareILb1ELb1EbNS0_19identity_decomposerEEEEE10hipError_tT0_T1_T2_jT3_P12ihipStream_tbPNSt15iterator_traitsISK_E10value_typeEPNSQ_ISL_E10value_typeEPSM_NS1_7vsmem_tEENKUlT_SK_SL_SM_E_clIPbSD_PiSF_EESJ_SZ_SK_SL_SM_EUlSZ_E_NS1_11comp_targetILNS1_3genE8ELNS1_11target_archE1030ELNS1_3gpuE2ELNS1_3repE0EEENS1_48merge_mergepath_partition_config_static_selectorELNS0_4arch9wavefront6targetE1EEEvSL_.private_seg_size, 0
	.set _ZN7rocprim17ROCPRIM_400000_NS6detail17trampoline_kernelINS0_14default_configENS1_38merge_sort_block_merge_config_selectorIbiEEZZNS1_27merge_sort_block_merge_implIS3_N6thrust23THRUST_200600_302600_NS6detail15normal_iteratorINS8_10device_ptrIbEEEENSA_INSB_IiEEEEjNS1_19radix_merge_compareILb1ELb1EbNS0_19identity_decomposerEEEEE10hipError_tT0_T1_T2_jT3_P12ihipStream_tbPNSt15iterator_traitsISK_E10value_typeEPNSQ_ISL_E10value_typeEPSM_NS1_7vsmem_tEENKUlT_SK_SL_SM_E_clIPbSD_PiSF_EESJ_SZ_SK_SL_SM_EUlSZ_E_NS1_11comp_targetILNS1_3genE8ELNS1_11target_archE1030ELNS1_3gpuE2ELNS1_3repE0EEENS1_48merge_mergepath_partition_config_static_selectorELNS0_4arch9wavefront6targetE1EEEvSL_.uses_vcc, 0
	.set _ZN7rocprim17ROCPRIM_400000_NS6detail17trampoline_kernelINS0_14default_configENS1_38merge_sort_block_merge_config_selectorIbiEEZZNS1_27merge_sort_block_merge_implIS3_N6thrust23THRUST_200600_302600_NS6detail15normal_iteratorINS8_10device_ptrIbEEEENSA_INSB_IiEEEEjNS1_19radix_merge_compareILb1ELb1EbNS0_19identity_decomposerEEEEE10hipError_tT0_T1_T2_jT3_P12ihipStream_tbPNSt15iterator_traitsISK_E10value_typeEPNSQ_ISL_E10value_typeEPSM_NS1_7vsmem_tEENKUlT_SK_SL_SM_E_clIPbSD_PiSF_EESJ_SZ_SK_SL_SM_EUlSZ_E_NS1_11comp_targetILNS1_3genE8ELNS1_11target_archE1030ELNS1_3gpuE2ELNS1_3repE0EEENS1_48merge_mergepath_partition_config_static_selectorELNS0_4arch9wavefront6targetE1EEEvSL_.uses_flat_scratch, 0
	.set _ZN7rocprim17ROCPRIM_400000_NS6detail17trampoline_kernelINS0_14default_configENS1_38merge_sort_block_merge_config_selectorIbiEEZZNS1_27merge_sort_block_merge_implIS3_N6thrust23THRUST_200600_302600_NS6detail15normal_iteratorINS8_10device_ptrIbEEEENSA_INSB_IiEEEEjNS1_19radix_merge_compareILb1ELb1EbNS0_19identity_decomposerEEEEE10hipError_tT0_T1_T2_jT3_P12ihipStream_tbPNSt15iterator_traitsISK_E10value_typeEPNSQ_ISL_E10value_typeEPSM_NS1_7vsmem_tEENKUlT_SK_SL_SM_E_clIPbSD_PiSF_EESJ_SZ_SK_SL_SM_EUlSZ_E_NS1_11comp_targetILNS1_3genE8ELNS1_11target_archE1030ELNS1_3gpuE2ELNS1_3repE0EEENS1_48merge_mergepath_partition_config_static_selectorELNS0_4arch9wavefront6targetE1EEEvSL_.has_dyn_sized_stack, 0
	.set _ZN7rocprim17ROCPRIM_400000_NS6detail17trampoline_kernelINS0_14default_configENS1_38merge_sort_block_merge_config_selectorIbiEEZZNS1_27merge_sort_block_merge_implIS3_N6thrust23THRUST_200600_302600_NS6detail15normal_iteratorINS8_10device_ptrIbEEEENSA_INSB_IiEEEEjNS1_19radix_merge_compareILb1ELb1EbNS0_19identity_decomposerEEEEE10hipError_tT0_T1_T2_jT3_P12ihipStream_tbPNSt15iterator_traitsISK_E10value_typeEPNSQ_ISL_E10value_typeEPSM_NS1_7vsmem_tEENKUlT_SK_SL_SM_E_clIPbSD_PiSF_EESJ_SZ_SK_SL_SM_EUlSZ_E_NS1_11comp_targetILNS1_3genE8ELNS1_11target_archE1030ELNS1_3gpuE2ELNS1_3repE0EEENS1_48merge_mergepath_partition_config_static_selectorELNS0_4arch9wavefront6targetE1EEEvSL_.has_recursion, 0
	.set _ZN7rocprim17ROCPRIM_400000_NS6detail17trampoline_kernelINS0_14default_configENS1_38merge_sort_block_merge_config_selectorIbiEEZZNS1_27merge_sort_block_merge_implIS3_N6thrust23THRUST_200600_302600_NS6detail15normal_iteratorINS8_10device_ptrIbEEEENSA_INSB_IiEEEEjNS1_19radix_merge_compareILb1ELb1EbNS0_19identity_decomposerEEEEE10hipError_tT0_T1_T2_jT3_P12ihipStream_tbPNSt15iterator_traitsISK_E10value_typeEPNSQ_ISL_E10value_typeEPSM_NS1_7vsmem_tEENKUlT_SK_SL_SM_E_clIPbSD_PiSF_EESJ_SZ_SK_SL_SM_EUlSZ_E_NS1_11comp_targetILNS1_3genE8ELNS1_11target_archE1030ELNS1_3gpuE2ELNS1_3repE0EEENS1_48merge_mergepath_partition_config_static_selectorELNS0_4arch9wavefront6targetE1EEEvSL_.has_indirect_call, 0
	.section	.AMDGPU.csdata,"",@progbits
; Kernel info:
; codeLenInByte = 0
; TotalNumSgprs: 6
; NumVgprs: 0
; NumAgprs: 0
; TotalNumVgprs: 0
; ScratchSize: 0
; MemoryBound: 0
; FloatMode: 240
; IeeeMode: 1
; LDSByteSize: 0 bytes/workgroup (compile time only)
; SGPRBlocks: 0
; VGPRBlocks: 0
; NumSGPRsForWavesPerEU: 6
; NumVGPRsForWavesPerEU: 1
; AccumOffset: 4
; Occupancy: 8
; WaveLimiterHint : 0
; COMPUTE_PGM_RSRC2:SCRATCH_EN: 0
; COMPUTE_PGM_RSRC2:USER_SGPR: 2
; COMPUTE_PGM_RSRC2:TRAP_HANDLER: 0
; COMPUTE_PGM_RSRC2:TGID_X_EN: 1
; COMPUTE_PGM_RSRC2:TGID_Y_EN: 0
; COMPUTE_PGM_RSRC2:TGID_Z_EN: 0
; COMPUTE_PGM_RSRC2:TIDIG_COMP_CNT: 0
; COMPUTE_PGM_RSRC3_GFX90A:ACCUM_OFFSET: 0
; COMPUTE_PGM_RSRC3_GFX90A:TG_SPLIT: 0
	.section	.text._ZN7rocprim17ROCPRIM_400000_NS6detail17trampoline_kernelINS0_14default_configENS1_38merge_sort_block_merge_config_selectorIbiEEZZNS1_27merge_sort_block_merge_implIS3_N6thrust23THRUST_200600_302600_NS6detail15normal_iteratorINS8_10device_ptrIbEEEENSA_INSB_IiEEEEjNS1_19radix_merge_compareILb1ELb1EbNS0_19identity_decomposerEEEEE10hipError_tT0_T1_T2_jT3_P12ihipStream_tbPNSt15iterator_traitsISK_E10value_typeEPNSQ_ISL_E10value_typeEPSM_NS1_7vsmem_tEENKUlT_SK_SL_SM_E_clIPbSD_PiSF_EESJ_SZ_SK_SL_SM_EUlSZ_E0_NS1_11comp_targetILNS1_3genE0ELNS1_11target_archE4294967295ELNS1_3gpuE0ELNS1_3repE0EEENS1_38merge_mergepath_config_static_selectorELNS0_4arch9wavefront6targetE1EEEvSL_,"axG",@progbits,_ZN7rocprim17ROCPRIM_400000_NS6detail17trampoline_kernelINS0_14default_configENS1_38merge_sort_block_merge_config_selectorIbiEEZZNS1_27merge_sort_block_merge_implIS3_N6thrust23THRUST_200600_302600_NS6detail15normal_iteratorINS8_10device_ptrIbEEEENSA_INSB_IiEEEEjNS1_19radix_merge_compareILb1ELb1EbNS0_19identity_decomposerEEEEE10hipError_tT0_T1_T2_jT3_P12ihipStream_tbPNSt15iterator_traitsISK_E10value_typeEPNSQ_ISL_E10value_typeEPSM_NS1_7vsmem_tEENKUlT_SK_SL_SM_E_clIPbSD_PiSF_EESJ_SZ_SK_SL_SM_EUlSZ_E0_NS1_11comp_targetILNS1_3genE0ELNS1_11target_archE4294967295ELNS1_3gpuE0ELNS1_3repE0EEENS1_38merge_mergepath_config_static_selectorELNS0_4arch9wavefront6targetE1EEEvSL_,comdat
	.protected	_ZN7rocprim17ROCPRIM_400000_NS6detail17trampoline_kernelINS0_14default_configENS1_38merge_sort_block_merge_config_selectorIbiEEZZNS1_27merge_sort_block_merge_implIS3_N6thrust23THRUST_200600_302600_NS6detail15normal_iteratorINS8_10device_ptrIbEEEENSA_INSB_IiEEEEjNS1_19radix_merge_compareILb1ELb1EbNS0_19identity_decomposerEEEEE10hipError_tT0_T1_T2_jT3_P12ihipStream_tbPNSt15iterator_traitsISK_E10value_typeEPNSQ_ISL_E10value_typeEPSM_NS1_7vsmem_tEENKUlT_SK_SL_SM_E_clIPbSD_PiSF_EESJ_SZ_SK_SL_SM_EUlSZ_E0_NS1_11comp_targetILNS1_3genE0ELNS1_11target_archE4294967295ELNS1_3gpuE0ELNS1_3repE0EEENS1_38merge_mergepath_config_static_selectorELNS0_4arch9wavefront6targetE1EEEvSL_ ; -- Begin function _ZN7rocprim17ROCPRIM_400000_NS6detail17trampoline_kernelINS0_14default_configENS1_38merge_sort_block_merge_config_selectorIbiEEZZNS1_27merge_sort_block_merge_implIS3_N6thrust23THRUST_200600_302600_NS6detail15normal_iteratorINS8_10device_ptrIbEEEENSA_INSB_IiEEEEjNS1_19radix_merge_compareILb1ELb1EbNS0_19identity_decomposerEEEEE10hipError_tT0_T1_T2_jT3_P12ihipStream_tbPNSt15iterator_traitsISK_E10value_typeEPNSQ_ISL_E10value_typeEPSM_NS1_7vsmem_tEENKUlT_SK_SL_SM_E_clIPbSD_PiSF_EESJ_SZ_SK_SL_SM_EUlSZ_E0_NS1_11comp_targetILNS1_3genE0ELNS1_11target_archE4294967295ELNS1_3gpuE0ELNS1_3repE0EEENS1_38merge_mergepath_config_static_selectorELNS0_4arch9wavefront6targetE1EEEvSL_
	.globl	_ZN7rocprim17ROCPRIM_400000_NS6detail17trampoline_kernelINS0_14default_configENS1_38merge_sort_block_merge_config_selectorIbiEEZZNS1_27merge_sort_block_merge_implIS3_N6thrust23THRUST_200600_302600_NS6detail15normal_iteratorINS8_10device_ptrIbEEEENSA_INSB_IiEEEEjNS1_19radix_merge_compareILb1ELb1EbNS0_19identity_decomposerEEEEE10hipError_tT0_T1_T2_jT3_P12ihipStream_tbPNSt15iterator_traitsISK_E10value_typeEPNSQ_ISL_E10value_typeEPSM_NS1_7vsmem_tEENKUlT_SK_SL_SM_E_clIPbSD_PiSF_EESJ_SZ_SK_SL_SM_EUlSZ_E0_NS1_11comp_targetILNS1_3genE0ELNS1_11target_archE4294967295ELNS1_3gpuE0ELNS1_3repE0EEENS1_38merge_mergepath_config_static_selectorELNS0_4arch9wavefront6targetE1EEEvSL_
	.p2align	8
	.type	_ZN7rocprim17ROCPRIM_400000_NS6detail17trampoline_kernelINS0_14default_configENS1_38merge_sort_block_merge_config_selectorIbiEEZZNS1_27merge_sort_block_merge_implIS3_N6thrust23THRUST_200600_302600_NS6detail15normal_iteratorINS8_10device_ptrIbEEEENSA_INSB_IiEEEEjNS1_19radix_merge_compareILb1ELb1EbNS0_19identity_decomposerEEEEE10hipError_tT0_T1_T2_jT3_P12ihipStream_tbPNSt15iterator_traitsISK_E10value_typeEPNSQ_ISL_E10value_typeEPSM_NS1_7vsmem_tEENKUlT_SK_SL_SM_E_clIPbSD_PiSF_EESJ_SZ_SK_SL_SM_EUlSZ_E0_NS1_11comp_targetILNS1_3genE0ELNS1_11target_archE4294967295ELNS1_3gpuE0ELNS1_3repE0EEENS1_38merge_mergepath_config_static_selectorELNS0_4arch9wavefront6targetE1EEEvSL_,@function
_ZN7rocprim17ROCPRIM_400000_NS6detail17trampoline_kernelINS0_14default_configENS1_38merge_sort_block_merge_config_selectorIbiEEZZNS1_27merge_sort_block_merge_implIS3_N6thrust23THRUST_200600_302600_NS6detail15normal_iteratorINS8_10device_ptrIbEEEENSA_INSB_IiEEEEjNS1_19radix_merge_compareILb1ELb1EbNS0_19identity_decomposerEEEEE10hipError_tT0_T1_T2_jT3_P12ihipStream_tbPNSt15iterator_traitsISK_E10value_typeEPNSQ_ISL_E10value_typeEPSM_NS1_7vsmem_tEENKUlT_SK_SL_SM_E_clIPbSD_PiSF_EESJ_SZ_SK_SL_SM_EUlSZ_E0_NS1_11comp_targetILNS1_3genE0ELNS1_11target_archE4294967295ELNS1_3gpuE0ELNS1_3repE0EEENS1_38merge_mergepath_config_static_selectorELNS0_4arch9wavefront6targetE1EEEvSL_: ; @_ZN7rocprim17ROCPRIM_400000_NS6detail17trampoline_kernelINS0_14default_configENS1_38merge_sort_block_merge_config_selectorIbiEEZZNS1_27merge_sort_block_merge_implIS3_N6thrust23THRUST_200600_302600_NS6detail15normal_iteratorINS8_10device_ptrIbEEEENSA_INSB_IiEEEEjNS1_19radix_merge_compareILb1ELb1EbNS0_19identity_decomposerEEEEE10hipError_tT0_T1_T2_jT3_P12ihipStream_tbPNSt15iterator_traitsISK_E10value_typeEPNSQ_ISL_E10value_typeEPSM_NS1_7vsmem_tEENKUlT_SK_SL_SM_E_clIPbSD_PiSF_EESJ_SZ_SK_SL_SM_EUlSZ_E0_NS1_11comp_targetILNS1_3genE0ELNS1_11target_archE4294967295ELNS1_3gpuE0ELNS1_3repE0EEENS1_38merge_mergepath_config_static_selectorELNS0_4arch9wavefront6targetE1EEEvSL_
; %bb.0:
	s_load_dwordx2 s[8:9], s[0:1], 0x4
	v_and_b32_e32 v4, 0x3ff, v0
	v_bfe_u32 v2, v0, 10, 10
	v_bfe_u32 v0, v0, 20, 10
	s_waitcnt lgkmcnt(0)
	s_lshr_b32 s0, s8, 16
	s_mul_i32 s0, s0, s9
	v_mul_lo_u32 v1, s0, v4
	s_load_dwordx4 s[16:19], s[2:3], 0x28
	s_load_dword s0, s[2:3], 0x34
	s_load_dwordx2 s[22:23], s[2:3], 0x40
	v_mul_u32_u24_e32 v2, s9, v2
	v_add3_u32 v12, v1, v2, v0
	s_waitcnt lgkmcnt(0)
	s_and_b32 s0, s0, 1
	v_mov_b32_e32 v0, s0
	s_add_u32 s24, s2, 64
	s_mul_i32 s0, s23, s6
	s_addc_u32 s25, s3, 0
	s_add_i32 s0, s0, s5
	s_mul_i32 s0, s0, s22
	s_add_i32 s20, s0, s4
	s_cmp_ge_u32 s20, s18
	ds_write_b8 v12, v0 offset:4224
	s_cbranch_scc1 .LBB2160_48
; %bb.1:
	s_load_dwordx8 s[8:15], s[2:3], 0x8
	s_load_dwordx2 s[0:1], s[2:3], 0x38
	s_lshr_b32 s29, s16, 10
	s_cmp_lg_u32 s20, s29
	s_mov_b32 s21, 0
	s_cselect_b64 s[18:19], -1, 0
	s_lshl_b64 s[2:3], s[20:21], 2
	s_waitcnt lgkmcnt(0)
	s_add_u32 s2, s0, s2
	s_addc_u32 s3, s1, s3
	s_load_dwordx2 s[0:1], s[2:3], 0x0
	s_lshr_b32 s2, s17, 9
	s_and_b32 s2, s2, 0x7ffffe
	s_sub_i32 s3, 0, s2
	s_and_b32 s2, s20, s3
	s_lshl_b32 s5, s2, 10
	s_lshl_b32 s6, s20, 10
	;; [unrolled: 1-line block ×3, first 2 shown]
	s_sub_i32 s7, s6, s5
	s_add_i32 s23, s2, s17
	s_add_i32 s7, s23, s7
	s_waitcnt lgkmcnt(0)
	s_sub_i32 s2, s7, s0
	s_sub_i32 s7, s7, s1
	;; [unrolled: 1-line block ×3, first 2 shown]
	s_min_u32 s2, s16, s2
	s_addk_i32 s7, 0x400
	s_or_b32 s3, s20, s3
	s_min_u32 s23, s16, s5
	s_add_i32 s5, s5, s17
	s_cmp_eq_u32 s3, -1
	s_cselect_b32 s3, s5, s7
	s_cselect_b32 s1, s23, s1
	s_min_u32 s17, s3, s16
	s_sub_i32 s7, s1, s0
	s_add_u32 s23, s8, s0
	s_addc_u32 s26, s9, 0
	s_add_u32 s27, s8, s2
	s_addc_u32 s28, s9, 0
	s_cmp_lt_u32 s4, s22
	v_mov_b32_e32 v1, 0
	s_cselect_b32 s1, 12, 18
	global_load_dword v0, v1, s[24:25] offset:14
	s_add_u32 s4, s24, s1
	s_addc_u32 s5, s25, 0
	global_load_ushort v2, v1, s[4:5]
	s_mov_b32 s1, s21
	s_mov_b32 s3, s21
	s_cmp_eq_u32 s20, s29
	s_waitcnt vmcnt(1)
	v_lshrrev_b32_e32 v3, 16, v0
	v_and_b32_e32 v0, 0xffff, v0
	v_mul_lo_u32 v0, v0, v3
	s_waitcnt vmcnt(0)
	v_mul_lo_u32 v14, v0, v2
	v_add_u32_e32 v8, v14, v4
	s_cbranch_scc1 .LBB2160_3
; %bb.2:
	v_subrev_u32_e32 v0, s7, v4
	v_mov_b32_e32 v5, s28
	v_mov_b32_e32 v9, s26
	v_cmp_gt_u32_e32 vcc, s7, v4
	v_mov_b32_e32 v10, s27
	v_mov_b32_e32 v13, s23
	v_min_u32_e32 v0, v4, v0
	v_cndmask_b32_e32 v3, v5, v9, vcc
	v_cndmask_b32_e32 v2, v10, v13, vcc
	v_lshl_add_u64 v[2:3], v[2:3], 0, v[0:1]
	v_subrev_u32_e32 v0, s7, v8
	v_cmp_gt_u32_e32 vcc, s7, v8
	v_min_u32_e32 v0, v8, v0
	v_add_u32_e32 v15, v8, v14
	v_cndmask_b32_e32 v7, v5, v9, vcc
	v_cndmask_b32_e32 v6, v10, v13, vcc
	v_lshl_add_u64 v[6:7], v[6:7], 0, v[0:1]
	v_subrev_u32_e32 v0, s7, v15
	v_cmp_gt_u32_e32 vcc, s7, v15
	v_min_u32_e32 v0, v15, v0
	s_mov_b32 s4, 0xc0c0004
	v_cndmask_b32_e32 v11, v5, v9, vcc
	v_cndmask_b32_e32 v10, v10, v13, vcc
	v_lshl_add_u64 v[0:1], v[10:11], 0, v[0:1]
	global_load_ubyte v5, v[6:7], off
	global_load_ubyte v9, v[2:3], off
	;; [unrolled: 1-line block ×3, first 2 shown]
	v_add_u32_e32 v0, v15, v14
	s_waitcnt vmcnt(1)
	v_perm_b32 v1, v9, v5, s4
	s_waitcnt vmcnt(0)
	v_lshl_or_b32 v13, v10, 16, v1
	s_mov_b64 s[4:5], -1
	s_sub_i32 s17, s17, s2
	s_cbranch_execz .LBB2160_4
	s_branch .LBB2160_11
.LBB2160_3:
	s_mov_b64 s[4:5], 0
                                        ; implicit-def: $vgpr0
                                        ; implicit-def: $vgpr13
	s_sub_i32 s17, s17, s2
.LBB2160_4:
	s_add_i32 s8, s17, s7
	v_cmp_gt_u32_e32 vcc, s8, v4
	v_mov_b32_e32 v13, 0
	s_and_saveexec_b64 s[4:5], vcc
	s_cbranch_execz .LBB2160_6
; %bb.5:
	v_mov_b32_e32 v0, s28
	v_mov_b32_e32 v1, s26
	v_cmp_gt_u32_e32 vcc, s7, v4
	v_mov_b32_e32 v2, s23
	v_mov_b32_e32 v3, 0
	v_cndmask_b32_e32 v1, v0, v1, vcc
	v_mov_b32_e32 v0, s27
	v_cndmask_b32_e32 v0, v0, v2, vcc
	v_subrev_u32_e32 v2, s7, v4
	v_min_u32_e32 v2, v4, v2
	v_lshl_add_u64 v[0:1], v[0:1], 0, v[2:3]
	global_load_ubyte v13, v[0:1], off
.LBB2160_6:
	s_or_b64 exec, exec, s[4:5]
	v_cmp_gt_u32_e32 vcc, s8, v8
	s_and_saveexec_b64 s[4:5], vcc
	s_cbranch_execz .LBB2160_8
; %bb.7:
	v_mov_b32_e32 v0, s28
	v_mov_b32_e32 v1, s26
	v_cmp_gt_u32_e32 vcc, s7, v8
	v_mov_b32_e32 v2, s23
	v_mov_b32_e32 v3, 0
	v_cndmask_b32_e32 v1, v0, v1, vcc
	v_mov_b32_e32 v0, s27
	v_cndmask_b32_e32 v0, v0, v2, vcc
	v_subrev_u32_e32 v2, s7, v8
	v_min_u32_e32 v2, v8, v2
	v_lshl_add_u64 v[0:1], v[0:1], 0, v[2:3]
	global_load_ubyte v0, v[0:1], off
	s_waitcnt vmcnt(0)
	v_lshlrev_b16_e32 v0, 8, v0
	v_or_b32_e32 v0, v13, v0
	v_and_b32_e32 v13, 0xffff, v0
.LBB2160_8:
	s_or_b64 exec, exec, s[4:5]
	v_add_u32_e32 v0, v8, v14
	v_cmp_gt_u32_e32 vcc, s8, v0
	s_and_saveexec_b64 s[4:5], vcc
	s_cbranch_execz .LBB2160_10
; %bb.9:
	v_mov_b32_e32 v1, s28
	v_mov_b32_e32 v2, s26
	v_cmp_gt_u32_e32 vcc, s7, v0
	v_mov_b32_e32 v7, 0
	s_nop 0
	v_cndmask_b32_e32 v3, v1, v2, vcc
	v_mov_b32_e32 v1, s27
	v_mov_b32_e32 v2, s23
	v_cndmask_b32_e32 v2, v1, v2, vcc
	v_subrev_u32_e32 v1, s7, v0
	v_min_u32_e32 v6, v0, v1
	v_lshl_add_u64 v[2:3], v[2:3], 0, v[6:7]
	global_load_ubyte v1, v[2:3], off
	s_waitcnt vmcnt(0)
	v_lshl_or_b32 v13, v1, 16, v13
.LBB2160_10:
	s_or_b64 exec, exec, s[4:5]
	v_add_u32_e32 v0, v0, v14
	v_cmp_gt_u32_e64 s[4:5], s8, v0
.LBB2160_11:
	s_and_saveexec_b64 s[8:9], s[4:5]
	s_cbranch_execz .LBB2160_13
; %bb.12:
	v_subrev_u32_e32 v1, s7, v0
	v_min_u32_e32 v2, v0, v1
	v_mov_b32_e32 v1, s28
	v_mov_b32_e32 v3, s26
	v_cmp_gt_u32_e32 vcc, s7, v0
	v_mov_b32_e32 v0, s27
	s_mov_b32 s4, 0x60504
	v_cndmask_b32_e32 v1, v1, v3, vcc
	v_mov_b32_e32 v3, s23
	v_cndmask_b32_e32 v0, v0, v3, vcc
	v_mov_b32_e32 v3, 0
	v_lshl_add_u64 v[0:1], v[0:1], 0, v[2:3]
	global_load_ubyte v0, v[0:1], off
	s_waitcnt vmcnt(0)
	v_perm_b32 v13, v13, v0, s4
.LBB2160_13:
	s_or_b64 exec, exec, s[8:9]
	s_lshl_b64 s[0:1], s[0:1], 2
	s_add_u32 s0, s12, s0
	s_addc_u32 s1, s13, s1
	s_lshl_b64 s[2:3], s[2:3], 2
	s_add_u32 s2, s12, s2
	s_waitcnt vmcnt(0)
	v_lshrrev_b32_e32 v15, 16, v13
	v_mov_b32_e32 v5, 0
	v_lshrrev_b32_e32 v16, 8, v13
	v_lshrrev_b32_e32 v17, 24, v13
	s_addc_u32 s3, s13, s3
	s_andn2_b64 vcc, exec, s[18:19]
	v_lshlrev_b32_e32 v6, 2, v4
	v_add_u32_e32 v10, v8, v14
	ds_write_b8 v4, v13
	ds_write_b8 v4, v16 offset:256
	ds_write_b8 v4, v15 offset:512
	;; [unrolled: 1-line block ×3, first 2 shown]
	s_cbranch_vccnz .LBB2160_15
; %bb.14:
	v_mov_b32_e32 v7, v5
	v_subrev_co_u32_e32 v2, vcc, s7, v4
	v_mov_b32_e32 v3, v5
	v_lshl_add_u64 v[0:1], s[0:1], 0, v[6:7]
	v_lshl_add_u64 v[2:3], v[2:3], 2, s[2:3]
	v_cndmask_b32_e32 v1, v3, v1, vcc
	v_cndmask_b32_e32 v0, v2, v0, vcc
	v_mov_b32_e32 v9, v5
	v_subrev_co_u32_e32 v18, vcc, s7, v8
	v_mov_b32_e32 v19, v5
	v_lshl_add_u64 v[2:3], v[8:9], 2, s[0:1]
	v_lshl_add_u64 v[18:19], v[18:19], 2, s[2:3]
	v_cndmask_b32_e32 v3, v19, v3, vcc
	v_cndmask_b32_e32 v2, v18, v2, vcc
	v_mov_b32_e32 v11, v5
	v_subrev_co_u32_e32 v18, vcc, s7, v10
	v_mov_b32_e32 v19, v5
	global_load_dword v0, v[0:1], off
	v_lshl_add_u64 v[18:19], v[18:19], 2, s[2:3]
	global_load_dword v1, v[2:3], off
	v_lshl_add_u64 v[2:3], v[10:11], 2, s[0:1]
	v_cndmask_b32_e32 v3, v19, v3, vcc
	v_cndmask_b32_e32 v2, v18, v2, vcc
	v_add_u32_e32 v18, v10, v14
	v_mov_b32_e32 v19, v5
	v_lshl_add_u64 v[20:21], v[18:19], 2, s[0:1]
	v_subrev_co_u32_e32 v18, vcc, s7, v18
	v_lshl_add_u64 v[18:19], v[18:19], 2, s[2:3]
	s_nop 0
	v_cndmask_b32_e32 v19, v19, v21, vcc
	v_cndmask_b32_e32 v18, v18, v20, vcc
	global_load_dword v2, v[2:3], off
	s_add_i32 s12, s17, s7
	global_load_dword v3, v[18:19], off
	s_cbranch_execz .LBB2160_16
	s_branch .LBB2160_23
.LBB2160_15:
                                        ; implicit-def: $vgpr0_vgpr1_vgpr2_vgpr3
                                        ; implicit-def: $sgpr12
.LBB2160_16:
	s_add_i32 s12, s17, s7
	s_waitcnt vmcnt(3)
	v_mov_b32_e32 v0, 0
	v_cmp_gt_u32_e32 vcc, s12, v4
	s_waitcnt vmcnt(2)
	v_mov_b32_e32 v1, v0
	s_waitcnt vmcnt(1)
	v_mov_b32_e32 v2, v0
	;; [unrolled: 2-line block ×3, first 2 shown]
	s_and_saveexec_b64 s[4:5], vcc
	s_cbranch_execnz .LBB2160_49
; %bb.17:
	s_or_b64 exec, exec, s[4:5]
	v_cmp_gt_u32_e32 vcc, s12, v8
	s_and_saveexec_b64 s[4:5], vcc
	s_cbranch_execnz .LBB2160_50
.LBB2160_18:
	s_or_b64 exec, exec, s[4:5]
	v_cmp_gt_u32_e32 vcc, s12, v10
	s_and_saveexec_b64 s[4:5], vcc
	s_cbranch_execz .LBB2160_20
.LBB2160_19:
	v_mov_b32_e32 v11, 0
	v_subrev_co_u32_e32 v18, vcc, s7, v10
	v_mov_b32_e32 v19, v11
	v_lshl_add_u64 v[8:9], v[10:11], 2, s[0:1]
	v_lshl_add_u64 v[18:19], v[18:19], 2, s[2:3]
	v_cndmask_b32_e32 v9, v19, v9, vcc
	v_cndmask_b32_e32 v8, v18, v8, vcc
	global_load_dword v2, v[8:9], off
.LBB2160_20:
	s_or_b64 exec, exec, s[4:5]
	v_add_u32_e32 v8, v10, v14
	v_cmp_gt_u32_e32 vcc, s12, v8
	s_and_saveexec_b64 s[4:5], vcc
	s_cbranch_execz .LBB2160_22
; %bb.21:
	v_mov_b32_e32 v9, 0
	v_lshl_add_u64 v[10:11], v[8:9], 2, s[0:1]
	v_subrev_co_u32_e32 v8, vcc, s7, v8
	v_lshl_add_u64 v[8:9], v[8:9], 2, s[2:3]
	s_nop 0
	v_cndmask_b32_e32 v9, v9, v11, vcc
	v_cndmask_b32_e32 v8, v8, v10, vcc
	global_load_dword v3, v[8:9], off
.LBB2160_22:
	s_or_b64 exec, exec, s[4:5]
.LBB2160_23:
	s_waitcnt lgkmcnt(0)
	s_barrier
	ds_read_u8 v8, v12 offset:4224
	v_lshlrev_b32_e32 v7, 2, v4
	v_min_u32_e32 v9, s12, v7
	v_min_u32_e32 v10, s7, v9
	s_waitcnt lgkmcnt(0)
	v_and_b32_e32 v8, 1, v8
	v_cmp_eq_u32_e32 vcc, 1, v8
	ds_write_b8 v12, v8 offset:4480
	v_sub_u32_e64 v8, v9, s17 clamp
	v_cmp_lt_u32_e64 s[0:1], v8, v10
	s_and_saveexec_b64 s[2:3], s[0:1]
	s_cbranch_execz .LBB2160_27
; %bb.24:
	ds_read_u8 v11, v12 offset:4480
	v_add_u32_e32 v14, s7, v9
	s_mov_b64 s[4:5], 0
.LBB2160_25:                            ; =>This Inner Loop Header: Depth=1
	v_add_u32_e32 v18, v10, v8
	v_lshrrev_b32_e32 v18, 1, v18
	v_xad_u32 v19, v18, -1, v14
	ds_read_u8 v20, v18
	ds_read_u8 v19, v19
	v_add_u32_e32 v21, 1, v18
	s_waitcnt lgkmcnt(1)
	v_bitop3_b16 v20, v20, 1, v11 bitop3:0x80
	s_waitcnt lgkmcnt(0)
	v_bitop3_b16 v19, v19, 1, v11 bitop3:0x80
	v_cmp_gt_u16_e64 s[0:1], v19, v20
	s_nop 1
	v_cndmask_b32_e64 v10, v10, v18, s[0:1]
	v_cndmask_b32_e64 v8, v21, v8, s[0:1]
	v_cmp_ge_u32_e64 s[0:1], v8, v10
	s_or_b64 s[4:5], s[0:1], s[4:5]
	s_andn2_b64 exec, exec, s[4:5]
	s_cbranch_execnz .LBB2160_25
; %bb.26:
	s_or_b64 exec, exec, s[4:5]
.LBB2160_27:
	s_or_b64 exec, exec, s[2:3]
	v_cndmask_b32_e64 v10, 0, 1, vcc
	ds_write_b8 v12, v10 offset:4992
	ds_read_u8 v10, v12 offset:4992
	v_sub_u32_e32 v9, v9, v8
	v_add_u32_e32 v14, s7, v9
	v_cmp_ge_u32_e32 vcc, s7, v8
	v_cmp_ge_u32_e64 s[0:1], s12, v14
	s_waitcnt lgkmcnt(0)
	v_and_b32_e32 v9, 1, v10
	ds_write_b8 v12, v9 offset:4736
	s_or_b64 s[0:1], vcc, s[0:1]
	v_mov_b32_e32 v10, 0
	v_mov_b32_e32 v18, 0
	;; [unrolled: 1-line block ×4, first 2 shown]
	s_and_saveexec_b64 s[8:9], s[0:1]
	s_cbranch_execz .LBB2160_33
; %bb.28:
	v_cmp_le_u32_e32 vcc, s7, v8
	v_cmp_gt_u32_e64 s[0:1], s7, v8
                                        ; implicit-def: $vgpr10
	s_and_saveexec_b64 s[2:3], s[0:1]
; %bb.29:
	ds_read_u8 v10, v8
; %bb.30:
	s_or_b64 exec, exec, s[2:3]
	v_cmp_le_u32_e64 s[0:1], s12, v14
	v_cmp_gt_u32_e64 s[2:3], s12, v14
                                        ; implicit-def: $vgpr13
	s_and_saveexec_b64 s[4:5], s[2:3]
; %bb.31:
	ds_read_u8 v13, v14
; %bb.32:
	s_or_b64 exec, exec, s[4:5]
	ds_read_u8 v12, v12 offset:4736
	v_cndmask_b32_e64 v9, 0, 1, s[0:1]
	s_or_b64 vcc, vcc, s[0:1]
	v_mov_b32_e32 v16, s7
	s_waitcnt lgkmcnt(0)
	v_bitop3_b16 v11, v12, 1, v13 bitop3:0x80
	v_bitop3_b16 v15, v12, 1, v10 bitop3:0x80
	v_cmp_le_u16_e64 s[2:3], v11, v15
	v_mov_b32_e32 v15, s12
	s_nop 0
	v_cndmask_b32_e64 v11, 0, 1, s[2:3]
	v_cndmask_b32_e32 v9, v11, v9, vcc
	v_and_b32_e32 v9, 1, v9
	v_cmp_eq_u32_e32 vcc, 1, v9
	s_nop 1
	v_cndmask_b32_e32 v9, v14, v8, vcc
	v_cndmask_b32_e32 v11, v15, v16, vcc
	v_add_u32_e32 v17, 1, v9
	v_add_u32_e32 v11, -1, v11
	v_min_u32_e32 v11, v17, v11
	ds_read_u8 v11, v11
	v_cndmask_b32_e32 v14, v17, v14, vcc
	v_cndmask_b32_e32 v8, v8, v17, vcc
	v_cmp_gt_u32_e64 s[2:3], s7, v8
	v_cmp_le_u32_e64 s[0:1], s12, v14
	s_waitcnt lgkmcnt(0)
	v_cndmask_b32_e32 v19, v11, v13, vcc
	v_cndmask_b32_e32 v20, v10, v11, vcc
	v_and_b32_e32 v11, v19, v12
	v_and_b32_e32 v17, v20, v12
	v_cmp_le_u16_sdwa s[4:5], v11, v17 src0_sel:BYTE_0 src1_sel:BYTE_0
	s_and_b64 s[2:3], s[2:3], s[4:5]
	s_or_b64 s[0:1], s[0:1], s[2:3]
	v_cndmask_b32_e64 v11, v14, v8, s[0:1]
	v_cndmask_b32_e64 v17, v15, v16, s[0:1]
	v_add_u32_e32 v18, 1, v11
	v_add_u32_e32 v17, -1, v17
	v_min_u32_e32 v17, v18, v17
	ds_read_u8 v17, v17
	v_cndmask_b32_e64 v14, v18, v14, s[0:1]
	v_cndmask_b32_e64 v8, v8, v18, s[0:1]
	v_cmp_gt_u32_e64 s[4:5], s7, v8
	v_cmp_le_u32_e64 s[2:3], s12, v14
	s_waitcnt lgkmcnt(0)
	v_cndmask_b32_e64 v21, v17, v19, s[0:1]
	v_cndmask_b32_e64 v17, v20, v17, s[0:1]
	v_and_b32_e32 v18, v21, v12
	v_and_b32_e32 v22, v17, v12
	v_cmp_le_u16_sdwa s[20:21], v18, v22 src0_sel:BYTE_0 src1_sel:BYTE_0
	s_and_b64 s[4:5], s[4:5], s[20:21]
	s_or_b64 s[2:3], s[2:3], s[4:5]
	v_cndmask_b32_e64 v18, v14, v8, s[2:3]
	v_cndmask_b32_e64 v15, v15, v16, s[2:3]
	v_add_u32_e32 v22, 1, v18
	v_add_u32_e32 v15, -1, v15
	v_min_u32_e32 v15, v22, v15
	ds_read_u8 v23, v15
	v_cndmask_b32_e64 v16, v19, v20, s[0:1]
	v_cndmask_b32_e64 v15, v21, v17, s[2:3]
	v_cndmask_b32_e32 v13, v13, v10, vcc
	v_cndmask_b32_e64 v10, v22, v14, s[2:3]
	s_waitcnt lgkmcnt(0)
	v_cndmask_b32_e64 v19, v23, v21, s[2:3]
	v_cndmask_b32_e64 v17, v17, v23, s[2:3]
	;; [unrolled: 1-line block ×3, first 2 shown]
	v_and_b32_e32 v14, v19, v12
	v_and_b32_e32 v12, v17, v12
	v_cmp_gt_u32_e64 s[0:1], s7, v8
	v_cmp_le_u16_sdwa s[2:3], v14, v12 src0_sel:BYTE_0 src1_sel:BYTE_0
	v_cmp_le_u32_e32 vcc, s12, v10
	s_and_b64 s[0:1], s[0:1], s[2:3]
	s_or_b64 vcc, vcc, s[0:1]
	v_cndmask_b32_e32 v10, v10, v8, vcc
	v_cndmask_b32_e32 v17, v19, v17, vcc
.LBB2160_33:
	s_or_b64 exec, exec, s[8:9]
	v_mad_u32_u24 v8, v4, 3, v4
	s_waitcnt lgkmcnt(0)
	s_barrier
	s_waitcnt vmcnt(0)
	ds_write2st64_b32 v8, v0, v1 offset1:4
	ds_write2st64_b32 v8, v2, v3 offset0:8 offset1:12
	v_lshlrev_b32_e32 v0, 2, v9
	v_lshlrev_b32_e32 v10, 2, v10
	s_waitcnt lgkmcnt(0)
	s_barrier
	v_lshlrev_b32_e32 v1, 2, v11
	v_lshlrev_b32_e32 v2, 2, v18
	ds_read_b32 v3, v0
	ds_read_b32 v8, v1
	;; [unrolled: 1-line block ×4, first 2 shown]
	v_lshrrev_b32_e32 v11, 3, v4
	v_and_b32_e32 v0, 0x7c, v11
	s_mov_b32 s2, 0xc0c0004
	v_add_u32_e32 v2, v0, v7
	v_perm_b32 v0, v13, v16, s2
	v_perm_b32 v1, v15, v17, s2
	v_add_u32_e32 v17, 0x100, v4
	v_add_u32_e32 v16, 0x200, v4
	;; [unrolled: 1-line block ×3, first 2 shown]
	s_add_u32 s0, s10, s6
	v_lshrrev_b32_e32 v12, 5, v17
	v_lshrrev_b32_e32 v13, 5, v16
	;; [unrolled: 1-line block ×3, first 2 shown]
	s_addc_u32 s1, s11, 0
	v_lshl_or_b32 v0, v1, 16, v0
	v_lshrrev_b32_e32 v22, 5, v4
	v_and_b32_e32 v19, 60, v12
	v_and_b32_e32 v20, 60, v13
	;; [unrolled: 1-line block ×3, first 2 shown]
	s_waitcnt lgkmcnt(0)
	s_barrier
	s_barrier
	s_mov_b32 s7, 0
	ds_write_b32 v2, v0
	v_and_b32_e32 v18, 28, v22
	v_lshl_add_u64 v[0:1], s[0:1], 0, v[4:5]
	s_and_b64 vcc, exec, s[18:19]
	v_add_u32_e32 v19, v19, v4
	v_add_u32_e32 v20, v20, v4
	;; [unrolled: 1-line block ×3, first 2 shown]
	v_lshlrev_b32_e32 v5, 2, v7
	s_waitcnt lgkmcnt(0)
	s_cbranch_vccz .LBB2160_35
; %bb.34:
	v_add_u32_e32 v23, v18, v4
	s_barrier
	ds_read_u8 v23, v23
	ds_read_u8 v24, v19 offset:256
	ds_read_u8 v25, v20 offset:512
	;; [unrolled: 1-line block ×3, first 2 shown]
	v_lshl_add_u32 v22, v22, 2, v7
	s_lshl_b64 s[0:1], s[6:7], 2
	s_waitcnt lgkmcnt(3)
	global_store_byte v[0:1], v23, off
	s_waitcnt lgkmcnt(2)
	global_store_byte v[0:1], v24, off offset:256
	s_waitcnt lgkmcnt(1)
	global_store_byte v[0:1], v25, off offset:512
	;; [unrolled: 2-line block ×3, first 2 shown]
	v_lshl_add_u32 v23, v11, 2, v5
	s_barrier
	ds_write2_b32 v23, v3, v8 offset1:1
	ds_write2_b32 v23, v9, v10 offset0:2 offset1:3
	v_lshl_add_u32 v23, v12, 2, v7
	v_lshl_add_u32 v24, v13, 2, v7
	s_waitcnt lgkmcnt(0)
	s_barrier
	ds_read_b32 v25, v22
	ds_read_b32 v23, v23 offset:1024
	ds_read_b32 v24, v24 offset:2048
	v_lshl_add_u32 v22, v14, 2, v7
	ds_read_b32 v22, v22 offset:3072
	s_add_u32 s0, s14, s0
	s_addc_u32 s1, s15, s1
	s_waitcnt lgkmcnt(3)
	global_store_dword v6, v25, s[0:1]
	s_waitcnt lgkmcnt(2)
	global_store_dword v6, v23, s[0:1] offset:1024
	s_waitcnt lgkmcnt(1)
	global_store_dword v6, v24, s[0:1] offset:2048
	s_mov_b64 s[4:5], -1
	s_cbranch_execz .LBB2160_36
	s_branch .LBB2160_46
.LBB2160_35:
	s_mov_b64 s[4:5], 0
                                        ; implicit-def: $vgpr22
.LBB2160_36:
	s_barrier
	s_waitcnt lgkmcnt(0)
	ds_read_u8 v22, v19 offset:256
	ds_read_u8 v20, v20 offset:512
	;; [unrolled: 1-line block ×3, first 2 shown]
	s_sub_i32 s8, s16, s6
	v_cmp_gt_u32_e32 vcc, s8, v4
	s_and_saveexec_b64 s[0:1], vcc
	s_cbranch_execnz .LBB2160_51
; %bb.37:
	s_or_b64 exec, exec, s[0:1]
	v_cmp_gt_u32_e64 s[0:1], s8, v17
	s_and_saveexec_b64 s[2:3], s[0:1]
	s_cbranch_execnz .LBB2160_52
.LBB2160_38:
	s_or_b64 exec, exec, s[2:3]
	v_cmp_gt_u32_e64 s[2:3], s8, v16
	s_and_saveexec_b64 s[4:5], s[2:3]
	s_cbranch_execnz .LBB2160_53
.LBB2160_39:
	s_or_b64 exec, exec, s[4:5]
	v_cmp_gt_u32_e64 s[4:5], s8, v15
	s_and_saveexec_b64 s[8:9], s[4:5]
	s_cbranch_execz .LBB2160_41
.LBB2160_40:
	s_waitcnt lgkmcnt(0)
	global_store_byte v[0:1], v19, off offset:768
.LBB2160_41:
	s_or_b64 exec, exec, s[8:9]
	v_lshl_add_u32 v0, v11, 2, v5
	s_waitcnt lgkmcnt(0)
	s_barrier
	ds_write2_b32 v0, v3, v8 offset1:1
	ds_write2_b32 v0, v9, v10 offset0:2 offset1:3
	v_lshl_add_u32 v0, v12, 2, v7
	s_waitcnt lgkmcnt(0)
	s_barrier
	v_lshl_add_u32 v1, v13, 2, v7
	v_lshl_add_u32 v5, v14, 2, v7
	ds_read_b32 v4, v0 offset:1024
	ds_read_b32 v3, v1 offset:2048
	;; [unrolled: 1-line block ×3, first 2 shown]
	s_lshl_b64 s[8:9], s[6:7], 2
	s_add_u32 s8, s14, s8
	s_addc_u32 s9, s15, s9
	v_mov_b32_e32 v7, 0
	v_lshl_add_u64 v[0:1], s[8:9], 0, v[6:7]
	s_and_saveexec_b64 s[8:9], vcc
	s_cbranch_execnz .LBB2160_54
; %bb.42:
	s_or_b64 exec, exec, s[8:9]
	s_and_saveexec_b64 s[8:9], s[0:1]
	s_cbranch_execnz .LBB2160_55
.LBB2160_43:
	s_or_b64 exec, exec, s[8:9]
	s_and_saveexec_b64 s[0:1], s[2:3]
	s_cbranch_execz .LBB2160_45
.LBB2160_44:
	s_waitcnt lgkmcnt(1)
	global_store_dword v[0:1], v3, off offset:2048
.LBB2160_45:
	s_or_b64 exec, exec, s[0:1]
.LBB2160_46:
	s_and_saveexec_b64 s[0:1], s[4:5]
	s_cbranch_execz .LBB2160_48
; %bb.47:
	s_lshl_b64 s[0:1], s[6:7], 2
	s_add_u32 s0, s14, s0
	s_addc_u32 s1, s15, s1
	s_waitcnt lgkmcnt(0)
	global_store_dword v6, v22, s[0:1] offset:3072
.LBB2160_48:
	s_endpgm
.LBB2160_49:
	v_mov_b32_e32 v7, v0
	v_subrev_co_u32_e32 v18, vcc, s7, v4
	v_mov_b32_e32 v19, v0
	v_lshl_add_u64 v[2:3], s[0:1], 0, v[6:7]
	v_lshl_add_u64 v[18:19], v[18:19], 2, s[2:3]
	v_cndmask_b32_e32 v3, v19, v3, vcc
	v_cndmask_b32_e32 v2, v18, v2, vcc
	global_load_dword v18, v[2:3], off
	v_mov_b32_e32 v19, v0
	v_mov_b32_e32 v20, v0
	;; [unrolled: 1-line block ×3, first 2 shown]
	s_waitcnt vmcnt(0)
	v_mov_b64_e32 v[0:1], v[18:19]
	v_mov_b64_e32 v[2:3], v[20:21]
	s_or_b64 exec, exec, s[4:5]
	v_cmp_gt_u32_e32 vcc, s12, v8
	s_and_saveexec_b64 s[4:5], vcc
	s_cbranch_execz .LBB2160_18
.LBB2160_50:
	v_mov_b32_e32 v9, 0
	v_lshl_add_u64 v[18:19], v[8:9], 2, s[0:1]
	v_subrev_co_u32_e32 v8, vcc, s7, v8
	v_lshl_add_u64 v[8:9], v[8:9], 2, s[2:3]
	s_nop 0
	v_cndmask_b32_e32 v9, v9, v19, vcc
	v_cndmask_b32_e32 v8, v8, v18, vcc
	global_load_dword v1, v[8:9], off
	s_or_b64 exec, exec, s[4:5]
	v_cmp_gt_u32_e32 vcc, s12, v10
	s_and_saveexec_b64 s[4:5], vcc
	s_cbranch_execnz .LBB2160_19
	s_branch .LBB2160_20
.LBB2160_51:
	v_add_u32_e32 v4, v18, v4
	ds_read_u8 v4, v4
	s_waitcnt lgkmcnt(0)
	global_store_byte v[0:1], v4, off
	s_or_b64 exec, exec, s[0:1]
	v_cmp_gt_u32_e64 s[0:1], s8, v17
	s_and_saveexec_b64 s[2:3], s[0:1]
	s_cbranch_execz .LBB2160_38
.LBB2160_52:
	s_waitcnt lgkmcnt(2)
	global_store_byte v[0:1], v22, off offset:256
	s_or_b64 exec, exec, s[2:3]
	v_cmp_gt_u32_e64 s[2:3], s8, v16
	s_and_saveexec_b64 s[4:5], s[2:3]
	s_cbranch_execz .LBB2160_39
.LBB2160_53:
	s_waitcnt lgkmcnt(1)
	global_store_byte v[0:1], v20, off offset:512
	s_or_b64 exec, exec, s[4:5]
	v_cmp_gt_u32_e64 s[4:5], s8, v15
	s_and_saveexec_b64 s[8:9], s[4:5]
	s_cbranch_execnz .LBB2160_40
	s_branch .LBB2160_41
.LBB2160_54:
	ds_read_b32 v2, v2
	s_waitcnt lgkmcnt(0)
	global_store_dword v[0:1], v2, off
	s_or_b64 exec, exec, s[8:9]
	s_and_saveexec_b64 s[8:9], s[0:1]
	s_cbranch_execz .LBB2160_43
.LBB2160_55:
	s_waitcnt lgkmcnt(2)
	global_store_dword v[0:1], v4, off offset:1024
	s_or_b64 exec, exec, s[8:9]
	s_and_saveexec_b64 s[0:1], s[2:3]
	s_cbranch_execnz .LBB2160_44
	s_branch .LBB2160_45
	.section	.rodata,"a",@progbits
	.p2align	6, 0x0
	.amdhsa_kernel _ZN7rocprim17ROCPRIM_400000_NS6detail17trampoline_kernelINS0_14default_configENS1_38merge_sort_block_merge_config_selectorIbiEEZZNS1_27merge_sort_block_merge_implIS3_N6thrust23THRUST_200600_302600_NS6detail15normal_iteratorINS8_10device_ptrIbEEEENSA_INSB_IiEEEEjNS1_19radix_merge_compareILb1ELb1EbNS0_19identity_decomposerEEEEE10hipError_tT0_T1_T2_jT3_P12ihipStream_tbPNSt15iterator_traitsISK_E10value_typeEPNSQ_ISL_E10value_typeEPSM_NS1_7vsmem_tEENKUlT_SK_SL_SM_E_clIPbSD_PiSF_EESJ_SZ_SK_SL_SM_EUlSZ_E0_NS1_11comp_targetILNS1_3genE0ELNS1_11target_archE4294967295ELNS1_3gpuE0ELNS1_3repE0EEENS1_38merge_mergepath_config_static_selectorELNS0_4arch9wavefront6targetE1EEEvSL_
		.amdhsa_group_segment_fixed_size 5248
		.amdhsa_private_segment_fixed_size 0
		.amdhsa_kernarg_size 320
		.amdhsa_user_sgpr_count 4
		.amdhsa_user_sgpr_dispatch_ptr 1
		.amdhsa_user_sgpr_queue_ptr 0
		.amdhsa_user_sgpr_kernarg_segment_ptr 1
		.amdhsa_user_sgpr_dispatch_id 0
		.amdhsa_user_sgpr_kernarg_preload_length 0
		.amdhsa_user_sgpr_kernarg_preload_offset 0
		.amdhsa_user_sgpr_private_segment_size 0
		.amdhsa_uses_dynamic_stack 0
		.amdhsa_enable_private_segment 0
		.amdhsa_system_sgpr_workgroup_id_x 1
		.amdhsa_system_sgpr_workgroup_id_y 1
		.amdhsa_system_sgpr_workgroup_id_z 1
		.amdhsa_system_sgpr_workgroup_info 0
		.amdhsa_system_vgpr_workitem_id 2
		.amdhsa_next_free_vgpr 27
		.amdhsa_next_free_sgpr 30
		.amdhsa_accum_offset 28
		.amdhsa_reserve_vcc 1
		.amdhsa_float_round_mode_32 0
		.amdhsa_float_round_mode_16_64 0
		.amdhsa_float_denorm_mode_32 3
		.amdhsa_float_denorm_mode_16_64 3
		.amdhsa_dx10_clamp 1
		.amdhsa_ieee_mode 1
		.amdhsa_fp16_overflow 0
		.amdhsa_tg_split 0
		.amdhsa_exception_fp_ieee_invalid_op 0
		.amdhsa_exception_fp_denorm_src 0
		.amdhsa_exception_fp_ieee_div_zero 0
		.amdhsa_exception_fp_ieee_overflow 0
		.amdhsa_exception_fp_ieee_underflow 0
		.amdhsa_exception_fp_ieee_inexact 0
		.amdhsa_exception_int_div_zero 0
	.end_amdhsa_kernel
	.section	.text._ZN7rocprim17ROCPRIM_400000_NS6detail17trampoline_kernelINS0_14default_configENS1_38merge_sort_block_merge_config_selectorIbiEEZZNS1_27merge_sort_block_merge_implIS3_N6thrust23THRUST_200600_302600_NS6detail15normal_iteratorINS8_10device_ptrIbEEEENSA_INSB_IiEEEEjNS1_19radix_merge_compareILb1ELb1EbNS0_19identity_decomposerEEEEE10hipError_tT0_T1_T2_jT3_P12ihipStream_tbPNSt15iterator_traitsISK_E10value_typeEPNSQ_ISL_E10value_typeEPSM_NS1_7vsmem_tEENKUlT_SK_SL_SM_E_clIPbSD_PiSF_EESJ_SZ_SK_SL_SM_EUlSZ_E0_NS1_11comp_targetILNS1_3genE0ELNS1_11target_archE4294967295ELNS1_3gpuE0ELNS1_3repE0EEENS1_38merge_mergepath_config_static_selectorELNS0_4arch9wavefront6targetE1EEEvSL_,"axG",@progbits,_ZN7rocprim17ROCPRIM_400000_NS6detail17trampoline_kernelINS0_14default_configENS1_38merge_sort_block_merge_config_selectorIbiEEZZNS1_27merge_sort_block_merge_implIS3_N6thrust23THRUST_200600_302600_NS6detail15normal_iteratorINS8_10device_ptrIbEEEENSA_INSB_IiEEEEjNS1_19radix_merge_compareILb1ELb1EbNS0_19identity_decomposerEEEEE10hipError_tT0_T1_T2_jT3_P12ihipStream_tbPNSt15iterator_traitsISK_E10value_typeEPNSQ_ISL_E10value_typeEPSM_NS1_7vsmem_tEENKUlT_SK_SL_SM_E_clIPbSD_PiSF_EESJ_SZ_SK_SL_SM_EUlSZ_E0_NS1_11comp_targetILNS1_3genE0ELNS1_11target_archE4294967295ELNS1_3gpuE0ELNS1_3repE0EEENS1_38merge_mergepath_config_static_selectorELNS0_4arch9wavefront6targetE1EEEvSL_,comdat
.Lfunc_end2160:
	.size	_ZN7rocprim17ROCPRIM_400000_NS6detail17trampoline_kernelINS0_14default_configENS1_38merge_sort_block_merge_config_selectorIbiEEZZNS1_27merge_sort_block_merge_implIS3_N6thrust23THRUST_200600_302600_NS6detail15normal_iteratorINS8_10device_ptrIbEEEENSA_INSB_IiEEEEjNS1_19radix_merge_compareILb1ELb1EbNS0_19identity_decomposerEEEEE10hipError_tT0_T1_T2_jT3_P12ihipStream_tbPNSt15iterator_traitsISK_E10value_typeEPNSQ_ISL_E10value_typeEPSM_NS1_7vsmem_tEENKUlT_SK_SL_SM_E_clIPbSD_PiSF_EESJ_SZ_SK_SL_SM_EUlSZ_E0_NS1_11comp_targetILNS1_3genE0ELNS1_11target_archE4294967295ELNS1_3gpuE0ELNS1_3repE0EEENS1_38merge_mergepath_config_static_selectorELNS0_4arch9wavefront6targetE1EEEvSL_, .Lfunc_end2160-_ZN7rocprim17ROCPRIM_400000_NS6detail17trampoline_kernelINS0_14default_configENS1_38merge_sort_block_merge_config_selectorIbiEEZZNS1_27merge_sort_block_merge_implIS3_N6thrust23THRUST_200600_302600_NS6detail15normal_iteratorINS8_10device_ptrIbEEEENSA_INSB_IiEEEEjNS1_19radix_merge_compareILb1ELb1EbNS0_19identity_decomposerEEEEE10hipError_tT0_T1_T2_jT3_P12ihipStream_tbPNSt15iterator_traitsISK_E10value_typeEPNSQ_ISL_E10value_typeEPSM_NS1_7vsmem_tEENKUlT_SK_SL_SM_E_clIPbSD_PiSF_EESJ_SZ_SK_SL_SM_EUlSZ_E0_NS1_11comp_targetILNS1_3genE0ELNS1_11target_archE4294967295ELNS1_3gpuE0ELNS1_3repE0EEENS1_38merge_mergepath_config_static_selectorELNS0_4arch9wavefront6targetE1EEEvSL_
                                        ; -- End function
	.set _ZN7rocprim17ROCPRIM_400000_NS6detail17trampoline_kernelINS0_14default_configENS1_38merge_sort_block_merge_config_selectorIbiEEZZNS1_27merge_sort_block_merge_implIS3_N6thrust23THRUST_200600_302600_NS6detail15normal_iteratorINS8_10device_ptrIbEEEENSA_INSB_IiEEEEjNS1_19radix_merge_compareILb1ELb1EbNS0_19identity_decomposerEEEEE10hipError_tT0_T1_T2_jT3_P12ihipStream_tbPNSt15iterator_traitsISK_E10value_typeEPNSQ_ISL_E10value_typeEPSM_NS1_7vsmem_tEENKUlT_SK_SL_SM_E_clIPbSD_PiSF_EESJ_SZ_SK_SL_SM_EUlSZ_E0_NS1_11comp_targetILNS1_3genE0ELNS1_11target_archE4294967295ELNS1_3gpuE0ELNS1_3repE0EEENS1_38merge_mergepath_config_static_selectorELNS0_4arch9wavefront6targetE1EEEvSL_.num_vgpr, 27
	.set _ZN7rocprim17ROCPRIM_400000_NS6detail17trampoline_kernelINS0_14default_configENS1_38merge_sort_block_merge_config_selectorIbiEEZZNS1_27merge_sort_block_merge_implIS3_N6thrust23THRUST_200600_302600_NS6detail15normal_iteratorINS8_10device_ptrIbEEEENSA_INSB_IiEEEEjNS1_19radix_merge_compareILb1ELb1EbNS0_19identity_decomposerEEEEE10hipError_tT0_T1_T2_jT3_P12ihipStream_tbPNSt15iterator_traitsISK_E10value_typeEPNSQ_ISL_E10value_typeEPSM_NS1_7vsmem_tEENKUlT_SK_SL_SM_E_clIPbSD_PiSF_EESJ_SZ_SK_SL_SM_EUlSZ_E0_NS1_11comp_targetILNS1_3genE0ELNS1_11target_archE4294967295ELNS1_3gpuE0ELNS1_3repE0EEENS1_38merge_mergepath_config_static_selectorELNS0_4arch9wavefront6targetE1EEEvSL_.num_agpr, 0
	.set _ZN7rocprim17ROCPRIM_400000_NS6detail17trampoline_kernelINS0_14default_configENS1_38merge_sort_block_merge_config_selectorIbiEEZZNS1_27merge_sort_block_merge_implIS3_N6thrust23THRUST_200600_302600_NS6detail15normal_iteratorINS8_10device_ptrIbEEEENSA_INSB_IiEEEEjNS1_19radix_merge_compareILb1ELb1EbNS0_19identity_decomposerEEEEE10hipError_tT0_T1_T2_jT3_P12ihipStream_tbPNSt15iterator_traitsISK_E10value_typeEPNSQ_ISL_E10value_typeEPSM_NS1_7vsmem_tEENKUlT_SK_SL_SM_E_clIPbSD_PiSF_EESJ_SZ_SK_SL_SM_EUlSZ_E0_NS1_11comp_targetILNS1_3genE0ELNS1_11target_archE4294967295ELNS1_3gpuE0ELNS1_3repE0EEENS1_38merge_mergepath_config_static_selectorELNS0_4arch9wavefront6targetE1EEEvSL_.numbered_sgpr, 30
	.set _ZN7rocprim17ROCPRIM_400000_NS6detail17trampoline_kernelINS0_14default_configENS1_38merge_sort_block_merge_config_selectorIbiEEZZNS1_27merge_sort_block_merge_implIS3_N6thrust23THRUST_200600_302600_NS6detail15normal_iteratorINS8_10device_ptrIbEEEENSA_INSB_IiEEEEjNS1_19radix_merge_compareILb1ELb1EbNS0_19identity_decomposerEEEEE10hipError_tT0_T1_T2_jT3_P12ihipStream_tbPNSt15iterator_traitsISK_E10value_typeEPNSQ_ISL_E10value_typeEPSM_NS1_7vsmem_tEENKUlT_SK_SL_SM_E_clIPbSD_PiSF_EESJ_SZ_SK_SL_SM_EUlSZ_E0_NS1_11comp_targetILNS1_3genE0ELNS1_11target_archE4294967295ELNS1_3gpuE0ELNS1_3repE0EEENS1_38merge_mergepath_config_static_selectorELNS0_4arch9wavefront6targetE1EEEvSL_.num_named_barrier, 0
	.set _ZN7rocprim17ROCPRIM_400000_NS6detail17trampoline_kernelINS0_14default_configENS1_38merge_sort_block_merge_config_selectorIbiEEZZNS1_27merge_sort_block_merge_implIS3_N6thrust23THRUST_200600_302600_NS6detail15normal_iteratorINS8_10device_ptrIbEEEENSA_INSB_IiEEEEjNS1_19radix_merge_compareILb1ELb1EbNS0_19identity_decomposerEEEEE10hipError_tT0_T1_T2_jT3_P12ihipStream_tbPNSt15iterator_traitsISK_E10value_typeEPNSQ_ISL_E10value_typeEPSM_NS1_7vsmem_tEENKUlT_SK_SL_SM_E_clIPbSD_PiSF_EESJ_SZ_SK_SL_SM_EUlSZ_E0_NS1_11comp_targetILNS1_3genE0ELNS1_11target_archE4294967295ELNS1_3gpuE0ELNS1_3repE0EEENS1_38merge_mergepath_config_static_selectorELNS0_4arch9wavefront6targetE1EEEvSL_.private_seg_size, 0
	.set _ZN7rocprim17ROCPRIM_400000_NS6detail17trampoline_kernelINS0_14default_configENS1_38merge_sort_block_merge_config_selectorIbiEEZZNS1_27merge_sort_block_merge_implIS3_N6thrust23THRUST_200600_302600_NS6detail15normal_iteratorINS8_10device_ptrIbEEEENSA_INSB_IiEEEEjNS1_19radix_merge_compareILb1ELb1EbNS0_19identity_decomposerEEEEE10hipError_tT0_T1_T2_jT3_P12ihipStream_tbPNSt15iterator_traitsISK_E10value_typeEPNSQ_ISL_E10value_typeEPSM_NS1_7vsmem_tEENKUlT_SK_SL_SM_E_clIPbSD_PiSF_EESJ_SZ_SK_SL_SM_EUlSZ_E0_NS1_11comp_targetILNS1_3genE0ELNS1_11target_archE4294967295ELNS1_3gpuE0ELNS1_3repE0EEENS1_38merge_mergepath_config_static_selectorELNS0_4arch9wavefront6targetE1EEEvSL_.uses_vcc, 1
	.set _ZN7rocprim17ROCPRIM_400000_NS6detail17trampoline_kernelINS0_14default_configENS1_38merge_sort_block_merge_config_selectorIbiEEZZNS1_27merge_sort_block_merge_implIS3_N6thrust23THRUST_200600_302600_NS6detail15normal_iteratorINS8_10device_ptrIbEEEENSA_INSB_IiEEEEjNS1_19radix_merge_compareILb1ELb1EbNS0_19identity_decomposerEEEEE10hipError_tT0_T1_T2_jT3_P12ihipStream_tbPNSt15iterator_traitsISK_E10value_typeEPNSQ_ISL_E10value_typeEPSM_NS1_7vsmem_tEENKUlT_SK_SL_SM_E_clIPbSD_PiSF_EESJ_SZ_SK_SL_SM_EUlSZ_E0_NS1_11comp_targetILNS1_3genE0ELNS1_11target_archE4294967295ELNS1_3gpuE0ELNS1_3repE0EEENS1_38merge_mergepath_config_static_selectorELNS0_4arch9wavefront6targetE1EEEvSL_.uses_flat_scratch, 0
	.set _ZN7rocprim17ROCPRIM_400000_NS6detail17trampoline_kernelINS0_14default_configENS1_38merge_sort_block_merge_config_selectorIbiEEZZNS1_27merge_sort_block_merge_implIS3_N6thrust23THRUST_200600_302600_NS6detail15normal_iteratorINS8_10device_ptrIbEEEENSA_INSB_IiEEEEjNS1_19radix_merge_compareILb1ELb1EbNS0_19identity_decomposerEEEEE10hipError_tT0_T1_T2_jT3_P12ihipStream_tbPNSt15iterator_traitsISK_E10value_typeEPNSQ_ISL_E10value_typeEPSM_NS1_7vsmem_tEENKUlT_SK_SL_SM_E_clIPbSD_PiSF_EESJ_SZ_SK_SL_SM_EUlSZ_E0_NS1_11comp_targetILNS1_3genE0ELNS1_11target_archE4294967295ELNS1_3gpuE0ELNS1_3repE0EEENS1_38merge_mergepath_config_static_selectorELNS0_4arch9wavefront6targetE1EEEvSL_.has_dyn_sized_stack, 0
	.set _ZN7rocprim17ROCPRIM_400000_NS6detail17trampoline_kernelINS0_14default_configENS1_38merge_sort_block_merge_config_selectorIbiEEZZNS1_27merge_sort_block_merge_implIS3_N6thrust23THRUST_200600_302600_NS6detail15normal_iteratorINS8_10device_ptrIbEEEENSA_INSB_IiEEEEjNS1_19radix_merge_compareILb1ELb1EbNS0_19identity_decomposerEEEEE10hipError_tT0_T1_T2_jT3_P12ihipStream_tbPNSt15iterator_traitsISK_E10value_typeEPNSQ_ISL_E10value_typeEPSM_NS1_7vsmem_tEENKUlT_SK_SL_SM_E_clIPbSD_PiSF_EESJ_SZ_SK_SL_SM_EUlSZ_E0_NS1_11comp_targetILNS1_3genE0ELNS1_11target_archE4294967295ELNS1_3gpuE0ELNS1_3repE0EEENS1_38merge_mergepath_config_static_selectorELNS0_4arch9wavefront6targetE1EEEvSL_.has_recursion, 0
	.set _ZN7rocprim17ROCPRIM_400000_NS6detail17trampoline_kernelINS0_14default_configENS1_38merge_sort_block_merge_config_selectorIbiEEZZNS1_27merge_sort_block_merge_implIS3_N6thrust23THRUST_200600_302600_NS6detail15normal_iteratorINS8_10device_ptrIbEEEENSA_INSB_IiEEEEjNS1_19radix_merge_compareILb1ELb1EbNS0_19identity_decomposerEEEEE10hipError_tT0_T1_T2_jT3_P12ihipStream_tbPNSt15iterator_traitsISK_E10value_typeEPNSQ_ISL_E10value_typeEPSM_NS1_7vsmem_tEENKUlT_SK_SL_SM_E_clIPbSD_PiSF_EESJ_SZ_SK_SL_SM_EUlSZ_E0_NS1_11comp_targetILNS1_3genE0ELNS1_11target_archE4294967295ELNS1_3gpuE0ELNS1_3repE0EEENS1_38merge_mergepath_config_static_selectorELNS0_4arch9wavefront6targetE1EEEvSL_.has_indirect_call, 0
	.section	.AMDGPU.csdata,"",@progbits
; Kernel info:
; codeLenInByte = 3364
; TotalNumSgprs: 36
; NumVgprs: 27
; NumAgprs: 0
; TotalNumVgprs: 27
; ScratchSize: 0
; MemoryBound: 0
; FloatMode: 240
; IeeeMode: 1
; LDSByteSize: 5248 bytes/workgroup (compile time only)
; SGPRBlocks: 4
; VGPRBlocks: 3
; NumSGPRsForWavesPerEU: 36
; NumVGPRsForWavesPerEU: 27
; AccumOffset: 28
; Occupancy: 8
; WaveLimiterHint : 1
; COMPUTE_PGM_RSRC2:SCRATCH_EN: 0
; COMPUTE_PGM_RSRC2:USER_SGPR: 4
; COMPUTE_PGM_RSRC2:TRAP_HANDLER: 0
; COMPUTE_PGM_RSRC2:TGID_X_EN: 1
; COMPUTE_PGM_RSRC2:TGID_Y_EN: 1
; COMPUTE_PGM_RSRC2:TGID_Z_EN: 1
; COMPUTE_PGM_RSRC2:TIDIG_COMP_CNT: 2
; COMPUTE_PGM_RSRC3_GFX90A:ACCUM_OFFSET: 6
; COMPUTE_PGM_RSRC3_GFX90A:TG_SPLIT: 0
	.section	.text._ZN7rocprim17ROCPRIM_400000_NS6detail17trampoline_kernelINS0_14default_configENS1_38merge_sort_block_merge_config_selectorIbiEEZZNS1_27merge_sort_block_merge_implIS3_N6thrust23THRUST_200600_302600_NS6detail15normal_iteratorINS8_10device_ptrIbEEEENSA_INSB_IiEEEEjNS1_19radix_merge_compareILb1ELb1EbNS0_19identity_decomposerEEEEE10hipError_tT0_T1_T2_jT3_P12ihipStream_tbPNSt15iterator_traitsISK_E10value_typeEPNSQ_ISL_E10value_typeEPSM_NS1_7vsmem_tEENKUlT_SK_SL_SM_E_clIPbSD_PiSF_EESJ_SZ_SK_SL_SM_EUlSZ_E0_NS1_11comp_targetILNS1_3genE10ELNS1_11target_archE1201ELNS1_3gpuE5ELNS1_3repE0EEENS1_38merge_mergepath_config_static_selectorELNS0_4arch9wavefront6targetE1EEEvSL_,"axG",@progbits,_ZN7rocprim17ROCPRIM_400000_NS6detail17trampoline_kernelINS0_14default_configENS1_38merge_sort_block_merge_config_selectorIbiEEZZNS1_27merge_sort_block_merge_implIS3_N6thrust23THRUST_200600_302600_NS6detail15normal_iteratorINS8_10device_ptrIbEEEENSA_INSB_IiEEEEjNS1_19radix_merge_compareILb1ELb1EbNS0_19identity_decomposerEEEEE10hipError_tT0_T1_T2_jT3_P12ihipStream_tbPNSt15iterator_traitsISK_E10value_typeEPNSQ_ISL_E10value_typeEPSM_NS1_7vsmem_tEENKUlT_SK_SL_SM_E_clIPbSD_PiSF_EESJ_SZ_SK_SL_SM_EUlSZ_E0_NS1_11comp_targetILNS1_3genE10ELNS1_11target_archE1201ELNS1_3gpuE5ELNS1_3repE0EEENS1_38merge_mergepath_config_static_selectorELNS0_4arch9wavefront6targetE1EEEvSL_,comdat
	.protected	_ZN7rocprim17ROCPRIM_400000_NS6detail17trampoline_kernelINS0_14default_configENS1_38merge_sort_block_merge_config_selectorIbiEEZZNS1_27merge_sort_block_merge_implIS3_N6thrust23THRUST_200600_302600_NS6detail15normal_iteratorINS8_10device_ptrIbEEEENSA_INSB_IiEEEEjNS1_19radix_merge_compareILb1ELb1EbNS0_19identity_decomposerEEEEE10hipError_tT0_T1_T2_jT3_P12ihipStream_tbPNSt15iterator_traitsISK_E10value_typeEPNSQ_ISL_E10value_typeEPSM_NS1_7vsmem_tEENKUlT_SK_SL_SM_E_clIPbSD_PiSF_EESJ_SZ_SK_SL_SM_EUlSZ_E0_NS1_11comp_targetILNS1_3genE10ELNS1_11target_archE1201ELNS1_3gpuE5ELNS1_3repE0EEENS1_38merge_mergepath_config_static_selectorELNS0_4arch9wavefront6targetE1EEEvSL_ ; -- Begin function _ZN7rocprim17ROCPRIM_400000_NS6detail17trampoline_kernelINS0_14default_configENS1_38merge_sort_block_merge_config_selectorIbiEEZZNS1_27merge_sort_block_merge_implIS3_N6thrust23THRUST_200600_302600_NS6detail15normal_iteratorINS8_10device_ptrIbEEEENSA_INSB_IiEEEEjNS1_19radix_merge_compareILb1ELb1EbNS0_19identity_decomposerEEEEE10hipError_tT0_T1_T2_jT3_P12ihipStream_tbPNSt15iterator_traitsISK_E10value_typeEPNSQ_ISL_E10value_typeEPSM_NS1_7vsmem_tEENKUlT_SK_SL_SM_E_clIPbSD_PiSF_EESJ_SZ_SK_SL_SM_EUlSZ_E0_NS1_11comp_targetILNS1_3genE10ELNS1_11target_archE1201ELNS1_3gpuE5ELNS1_3repE0EEENS1_38merge_mergepath_config_static_selectorELNS0_4arch9wavefront6targetE1EEEvSL_
	.globl	_ZN7rocprim17ROCPRIM_400000_NS6detail17trampoline_kernelINS0_14default_configENS1_38merge_sort_block_merge_config_selectorIbiEEZZNS1_27merge_sort_block_merge_implIS3_N6thrust23THRUST_200600_302600_NS6detail15normal_iteratorINS8_10device_ptrIbEEEENSA_INSB_IiEEEEjNS1_19radix_merge_compareILb1ELb1EbNS0_19identity_decomposerEEEEE10hipError_tT0_T1_T2_jT3_P12ihipStream_tbPNSt15iterator_traitsISK_E10value_typeEPNSQ_ISL_E10value_typeEPSM_NS1_7vsmem_tEENKUlT_SK_SL_SM_E_clIPbSD_PiSF_EESJ_SZ_SK_SL_SM_EUlSZ_E0_NS1_11comp_targetILNS1_3genE10ELNS1_11target_archE1201ELNS1_3gpuE5ELNS1_3repE0EEENS1_38merge_mergepath_config_static_selectorELNS0_4arch9wavefront6targetE1EEEvSL_
	.p2align	8
	.type	_ZN7rocprim17ROCPRIM_400000_NS6detail17trampoline_kernelINS0_14default_configENS1_38merge_sort_block_merge_config_selectorIbiEEZZNS1_27merge_sort_block_merge_implIS3_N6thrust23THRUST_200600_302600_NS6detail15normal_iteratorINS8_10device_ptrIbEEEENSA_INSB_IiEEEEjNS1_19radix_merge_compareILb1ELb1EbNS0_19identity_decomposerEEEEE10hipError_tT0_T1_T2_jT3_P12ihipStream_tbPNSt15iterator_traitsISK_E10value_typeEPNSQ_ISL_E10value_typeEPSM_NS1_7vsmem_tEENKUlT_SK_SL_SM_E_clIPbSD_PiSF_EESJ_SZ_SK_SL_SM_EUlSZ_E0_NS1_11comp_targetILNS1_3genE10ELNS1_11target_archE1201ELNS1_3gpuE5ELNS1_3repE0EEENS1_38merge_mergepath_config_static_selectorELNS0_4arch9wavefront6targetE1EEEvSL_,@function
_ZN7rocprim17ROCPRIM_400000_NS6detail17trampoline_kernelINS0_14default_configENS1_38merge_sort_block_merge_config_selectorIbiEEZZNS1_27merge_sort_block_merge_implIS3_N6thrust23THRUST_200600_302600_NS6detail15normal_iteratorINS8_10device_ptrIbEEEENSA_INSB_IiEEEEjNS1_19radix_merge_compareILb1ELb1EbNS0_19identity_decomposerEEEEE10hipError_tT0_T1_T2_jT3_P12ihipStream_tbPNSt15iterator_traitsISK_E10value_typeEPNSQ_ISL_E10value_typeEPSM_NS1_7vsmem_tEENKUlT_SK_SL_SM_E_clIPbSD_PiSF_EESJ_SZ_SK_SL_SM_EUlSZ_E0_NS1_11comp_targetILNS1_3genE10ELNS1_11target_archE1201ELNS1_3gpuE5ELNS1_3repE0EEENS1_38merge_mergepath_config_static_selectorELNS0_4arch9wavefront6targetE1EEEvSL_: ; @_ZN7rocprim17ROCPRIM_400000_NS6detail17trampoline_kernelINS0_14default_configENS1_38merge_sort_block_merge_config_selectorIbiEEZZNS1_27merge_sort_block_merge_implIS3_N6thrust23THRUST_200600_302600_NS6detail15normal_iteratorINS8_10device_ptrIbEEEENSA_INSB_IiEEEEjNS1_19radix_merge_compareILb1ELb1EbNS0_19identity_decomposerEEEEE10hipError_tT0_T1_T2_jT3_P12ihipStream_tbPNSt15iterator_traitsISK_E10value_typeEPNSQ_ISL_E10value_typeEPSM_NS1_7vsmem_tEENKUlT_SK_SL_SM_E_clIPbSD_PiSF_EESJ_SZ_SK_SL_SM_EUlSZ_E0_NS1_11comp_targetILNS1_3genE10ELNS1_11target_archE1201ELNS1_3gpuE5ELNS1_3repE0EEENS1_38merge_mergepath_config_static_selectorELNS0_4arch9wavefront6targetE1EEEvSL_
; %bb.0:
	.section	.rodata,"a",@progbits
	.p2align	6, 0x0
	.amdhsa_kernel _ZN7rocprim17ROCPRIM_400000_NS6detail17trampoline_kernelINS0_14default_configENS1_38merge_sort_block_merge_config_selectorIbiEEZZNS1_27merge_sort_block_merge_implIS3_N6thrust23THRUST_200600_302600_NS6detail15normal_iteratorINS8_10device_ptrIbEEEENSA_INSB_IiEEEEjNS1_19radix_merge_compareILb1ELb1EbNS0_19identity_decomposerEEEEE10hipError_tT0_T1_T2_jT3_P12ihipStream_tbPNSt15iterator_traitsISK_E10value_typeEPNSQ_ISL_E10value_typeEPSM_NS1_7vsmem_tEENKUlT_SK_SL_SM_E_clIPbSD_PiSF_EESJ_SZ_SK_SL_SM_EUlSZ_E0_NS1_11comp_targetILNS1_3genE10ELNS1_11target_archE1201ELNS1_3gpuE5ELNS1_3repE0EEENS1_38merge_mergepath_config_static_selectorELNS0_4arch9wavefront6targetE1EEEvSL_
		.amdhsa_group_segment_fixed_size 0
		.amdhsa_private_segment_fixed_size 0
		.amdhsa_kernarg_size 64
		.amdhsa_user_sgpr_count 2
		.amdhsa_user_sgpr_dispatch_ptr 0
		.amdhsa_user_sgpr_queue_ptr 0
		.amdhsa_user_sgpr_kernarg_segment_ptr 1
		.amdhsa_user_sgpr_dispatch_id 0
		.amdhsa_user_sgpr_kernarg_preload_length 0
		.amdhsa_user_sgpr_kernarg_preload_offset 0
		.amdhsa_user_sgpr_private_segment_size 0
		.amdhsa_uses_dynamic_stack 0
		.amdhsa_enable_private_segment 0
		.amdhsa_system_sgpr_workgroup_id_x 1
		.amdhsa_system_sgpr_workgroup_id_y 0
		.amdhsa_system_sgpr_workgroup_id_z 0
		.amdhsa_system_sgpr_workgroup_info 0
		.amdhsa_system_vgpr_workitem_id 0
		.amdhsa_next_free_vgpr 1
		.amdhsa_next_free_sgpr 0
		.amdhsa_accum_offset 4
		.amdhsa_reserve_vcc 0
		.amdhsa_float_round_mode_32 0
		.amdhsa_float_round_mode_16_64 0
		.amdhsa_float_denorm_mode_32 3
		.amdhsa_float_denorm_mode_16_64 3
		.amdhsa_dx10_clamp 1
		.amdhsa_ieee_mode 1
		.amdhsa_fp16_overflow 0
		.amdhsa_tg_split 0
		.amdhsa_exception_fp_ieee_invalid_op 0
		.amdhsa_exception_fp_denorm_src 0
		.amdhsa_exception_fp_ieee_div_zero 0
		.amdhsa_exception_fp_ieee_overflow 0
		.amdhsa_exception_fp_ieee_underflow 0
		.amdhsa_exception_fp_ieee_inexact 0
		.amdhsa_exception_int_div_zero 0
	.end_amdhsa_kernel
	.section	.text._ZN7rocprim17ROCPRIM_400000_NS6detail17trampoline_kernelINS0_14default_configENS1_38merge_sort_block_merge_config_selectorIbiEEZZNS1_27merge_sort_block_merge_implIS3_N6thrust23THRUST_200600_302600_NS6detail15normal_iteratorINS8_10device_ptrIbEEEENSA_INSB_IiEEEEjNS1_19radix_merge_compareILb1ELb1EbNS0_19identity_decomposerEEEEE10hipError_tT0_T1_T2_jT3_P12ihipStream_tbPNSt15iterator_traitsISK_E10value_typeEPNSQ_ISL_E10value_typeEPSM_NS1_7vsmem_tEENKUlT_SK_SL_SM_E_clIPbSD_PiSF_EESJ_SZ_SK_SL_SM_EUlSZ_E0_NS1_11comp_targetILNS1_3genE10ELNS1_11target_archE1201ELNS1_3gpuE5ELNS1_3repE0EEENS1_38merge_mergepath_config_static_selectorELNS0_4arch9wavefront6targetE1EEEvSL_,"axG",@progbits,_ZN7rocprim17ROCPRIM_400000_NS6detail17trampoline_kernelINS0_14default_configENS1_38merge_sort_block_merge_config_selectorIbiEEZZNS1_27merge_sort_block_merge_implIS3_N6thrust23THRUST_200600_302600_NS6detail15normal_iteratorINS8_10device_ptrIbEEEENSA_INSB_IiEEEEjNS1_19radix_merge_compareILb1ELb1EbNS0_19identity_decomposerEEEEE10hipError_tT0_T1_T2_jT3_P12ihipStream_tbPNSt15iterator_traitsISK_E10value_typeEPNSQ_ISL_E10value_typeEPSM_NS1_7vsmem_tEENKUlT_SK_SL_SM_E_clIPbSD_PiSF_EESJ_SZ_SK_SL_SM_EUlSZ_E0_NS1_11comp_targetILNS1_3genE10ELNS1_11target_archE1201ELNS1_3gpuE5ELNS1_3repE0EEENS1_38merge_mergepath_config_static_selectorELNS0_4arch9wavefront6targetE1EEEvSL_,comdat
.Lfunc_end2161:
	.size	_ZN7rocprim17ROCPRIM_400000_NS6detail17trampoline_kernelINS0_14default_configENS1_38merge_sort_block_merge_config_selectorIbiEEZZNS1_27merge_sort_block_merge_implIS3_N6thrust23THRUST_200600_302600_NS6detail15normal_iteratorINS8_10device_ptrIbEEEENSA_INSB_IiEEEEjNS1_19radix_merge_compareILb1ELb1EbNS0_19identity_decomposerEEEEE10hipError_tT0_T1_T2_jT3_P12ihipStream_tbPNSt15iterator_traitsISK_E10value_typeEPNSQ_ISL_E10value_typeEPSM_NS1_7vsmem_tEENKUlT_SK_SL_SM_E_clIPbSD_PiSF_EESJ_SZ_SK_SL_SM_EUlSZ_E0_NS1_11comp_targetILNS1_3genE10ELNS1_11target_archE1201ELNS1_3gpuE5ELNS1_3repE0EEENS1_38merge_mergepath_config_static_selectorELNS0_4arch9wavefront6targetE1EEEvSL_, .Lfunc_end2161-_ZN7rocprim17ROCPRIM_400000_NS6detail17trampoline_kernelINS0_14default_configENS1_38merge_sort_block_merge_config_selectorIbiEEZZNS1_27merge_sort_block_merge_implIS3_N6thrust23THRUST_200600_302600_NS6detail15normal_iteratorINS8_10device_ptrIbEEEENSA_INSB_IiEEEEjNS1_19radix_merge_compareILb1ELb1EbNS0_19identity_decomposerEEEEE10hipError_tT0_T1_T2_jT3_P12ihipStream_tbPNSt15iterator_traitsISK_E10value_typeEPNSQ_ISL_E10value_typeEPSM_NS1_7vsmem_tEENKUlT_SK_SL_SM_E_clIPbSD_PiSF_EESJ_SZ_SK_SL_SM_EUlSZ_E0_NS1_11comp_targetILNS1_3genE10ELNS1_11target_archE1201ELNS1_3gpuE5ELNS1_3repE0EEENS1_38merge_mergepath_config_static_selectorELNS0_4arch9wavefront6targetE1EEEvSL_
                                        ; -- End function
	.set _ZN7rocprim17ROCPRIM_400000_NS6detail17trampoline_kernelINS0_14default_configENS1_38merge_sort_block_merge_config_selectorIbiEEZZNS1_27merge_sort_block_merge_implIS3_N6thrust23THRUST_200600_302600_NS6detail15normal_iteratorINS8_10device_ptrIbEEEENSA_INSB_IiEEEEjNS1_19radix_merge_compareILb1ELb1EbNS0_19identity_decomposerEEEEE10hipError_tT0_T1_T2_jT3_P12ihipStream_tbPNSt15iterator_traitsISK_E10value_typeEPNSQ_ISL_E10value_typeEPSM_NS1_7vsmem_tEENKUlT_SK_SL_SM_E_clIPbSD_PiSF_EESJ_SZ_SK_SL_SM_EUlSZ_E0_NS1_11comp_targetILNS1_3genE10ELNS1_11target_archE1201ELNS1_3gpuE5ELNS1_3repE0EEENS1_38merge_mergepath_config_static_selectorELNS0_4arch9wavefront6targetE1EEEvSL_.num_vgpr, 0
	.set _ZN7rocprim17ROCPRIM_400000_NS6detail17trampoline_kernelINS0_14default_configENS1_38merge_sort_block_merge_config_selectorIbiEEZZNS1_27merge_sort_block_merge_implIS3_N6thrust23THRUST_200600_302600_NS6detail15normal_iteratorINS8_10device_ptrIbEEEENSA_INSB_IiEEEEjNS1_19radix_merge_compareILb1ELb1EbNS0_19identity_decomposerEEEEE10hipError_tT0_T1_T2_jT3_P12ihipStream_tbPNSt15iterator_traitsISK_E10value_typeEPNSQ_ISL_E10value_typeEPSM_NS1_7vsmem_tEENKUlT_SK_SL_SM_E_clIPbSD_PiSF_EESJ_SZ_SK_SL_SM_EUlSZ_E0_NS1_11comp_targetILNS1_3genE10ELNS1_11target_archE1201ELNS1_3gpuE5ELNS1_3repE0EEENS1_38merge_mergepath_config_static_selectorELNS0_4arch9wavefront6targetE1EEEvSL_.num_agpr, 0
	.set _ZN7rocprim17ROCPRIM_400000_NS6detail17trampoline_kernelINS0_14default_configENS1_38merge_sort_block_merge_config_selectorIbiEEZZNS1_27merge_sort_block_merge_implIS3_N6thrust23THRUST_200600_302600_NS6detail15normal_iteratorINS8_10device_ptrIbEEEENSA_INSB_IiEEEEjNS1_19radix_merge_compareILb1ELb1EbNS0_19identity_decomposerEEEEE10hipError_tT0_T1_T2_jT3_P12ihipStream_tbPNSt15iterator_traitsISK_E10value_typeEPNSQ_ISL_E10value_typeEPSM_NS1_7vsmem_tEENKUlT_SK_SL_SM_E_clIPbSD_PiSF_EESJ_SZ_SK_SL_SM_EUlSZ_E0_NS1_11comp_targetILNS1_3genE10ELNS1_11target_archE1201ELNS1_3gpuE5ELNS1_3repE0EEENS1_38merge_mergepath_config_static_selectorELNS0_4arch9wavefront6targetE1EEEvSL_.numbered_sgpr, 0
	.set _ZN7rocprim17ROCPRIM_400000_NS6detail17trampoline_kernelINS0_14default_configENS1_38merge_sort_block_merge_config_selectorIbiEEZZNS1_27merge_sort_block_merge_implIS3_N6thrust23THRUST_200600_302600_NS6detail15normal_iteratorINS8_10device_ptrIbEEEENSA_INSB_IiEEEEjNS1_19radix_merge_compareILb1ELb1EbNS0_19identity_decomposerEEEEE10hipError_tT0_T1_T2_jT3_P12ihipStream_tbPNSt15iterator_traitsISK_E10value_typeEPNSQ_ISL_E10value_typeEPSM_NS1_7vsmem_tEENKUlT_SK_SL_SM_E_clIPbSD_PiSF_EESJ_SZ_SK_SL_SM_EUlSZ_E0_NS1_11comp_targetILNS1_3genE10ELNS1_11target_archE1201ELNS1_3gpuE5ELNS1_3repE0EEENS1_38merge_mergepath_config_static_selectorELNS0_4arch9wavefront6targetE1EEEvSL_.num_named_barrier, 0
	.set _ZN7rocprim17ROCPRIM_400000_NS6detail17trampoline_kernelINS0_14default_configENS1_38merge_sort_block_merge_config_selectorIbiEEZZNS1_27merge_sort_block_merge_implIS3_N6thrust23THRUST_200600_302600_NS6detail15normal_iteratorINS8_10device_ptrIbEEEENSA_INSB_IiEEEEjNS1_19radix_merge_compareILb1ELb1EbNS0_19identity_decomposerEEEEE10hipError_tT0_T1_T2_jT3_P12ihipStream_tbPNSt15iterator_traitsISK_E10value_typeEPNSQ_ISL_E10value_typeEPSM_NS1_7vsmem_tEENKUlT_SK_SL_SM_E_clIPbSD_PiSF_EESJ_SZ_SK_SL_SM_EUlSZ_E0_NS1_11comp_targetILNS1_3genE10ELNS1_11target_archE1201ELNS1_3gpuE5ELNS1_3repE0EEENS1_38merge_mergepath_config_static_selectorELNS0_4arch9wavefront6targetE1EEEvSL_.private_seg_size, 0
	.set _ZN7rocprim17ROCPRIM_400000_NS6detail17trampoline_kernelINS0_14default_configENS1_38merge_sort_block_merge_config_selectorIbiEEZZNS1_27merge_sort_block_merge_implIS3_N6thrust23THRUST_200600_302600_NS6detail15normal_iteratorINS8_10device_ptrIbEEEENSA_INSB_IiEEEEjNS1_19radix_merge_compareILb1ELb1EbNS0_19identity_decomposerEEEEE10hipError_tT0_T1_T2_jT3_P12ihipStream_tbPNSt15iterator_traitsISK_E10value_typeEPNSQ_ISL_E10value_typeEPSM_NS1_7vsmem_tEENKUlT_SK_SL_SM_E_clIPbSD_PiSF_EESJ_SZ_SK_SL_SM_EUlSZ_E0_NS1_11comp_targetILNS1_3genE10ELNS1_11target_archE1201ELNS1_3gpuE5ELNS1_3repE0EEENS1_38merge_mergepath_config_static_selectorELNS0_4arch9wavefront6targetE1EEEvSL_.uses_vcc, 0
	.set _ZN7rocprim17ROCPRIM_400000_NS6detail17trampoline_kernelINS0_14default_configENS1_38merge_sort_block_merge_config_selectorIbiEEZZNS1_27merge_sort_block_merge_implIS3_N6thrust23THRUST_200600_302600_NS6detail15normal_iteratorINS8_10device_ptrIbEEEENSA_INSB_IiEEEEjNS1_19radix_merge_compareILb1ELb1EbNS0_19identity_decomposerEEEEE10hipError_tT0_T1_T2_jT3_P12ihipStream_tbPNSt15iterator_traitsISK_E10value_typeEPNSQ_ISL_E10value_typeEPSM_NS1_7vsmem_tEENKUlT_SK_SL_SM_E_clIPbSD_PiSF_EESJ_SZ_SK_SL_SM_EUlSZ_E0_NS1_11comp_targetILNS1_3genE10ELNS1_11target_archE1201ELNS1_3gpuE5ELNS1_3repE0EEENS1_38merge_mergepath_config_static_selectorELNS0_4arch9wavefront6targetE1EEEvSL_.uses_flat_scratch, 0
	.set _ZN7rocprim17ROCPRIM_400000_NS6detail17trampoline_kernelINS0_14default_configENS1_38merge_sort_block_merge_config_selectorIbiEEZZNS1_27merge_sort_block_merge_implIS3_N6thrust23THRUST_200600_302600_NS6detail15normal_iteratorINS8_10device_ptrIbEEEENSA_INSB_IiEEEEjNS1_19radix_merge_compareILb1ELb1EbNS0_19identity_decomposerEEEEE10hipError_tT0_T1_T2_jT3_P12ihipStream_tbPNSt15iterator_traitsISK_E10value_typeEPNSQ_ISL_E10value_typeEPSM_NS1_7vsmem_tEENKUlT_SK_SL_SM_E_clIPbSD_PiSF_EESJ_SZ_SK_SL_SM_EUlSZ_E0_NS1_11comp_targetILNS1_3genE10ELNS1_11target_archE1201ELNS1_3gpuE5ELNS1_3repE0EEENS1_38merge_mergepath_config_static_selectorELNS0_4arch9wavefront6targetE1EEEvSL_.has_dyn_sized_stack, 0
	.set _ZN7rocprim17ROCPRIM_400000_NS6detail17trampoline_kernelINS0_14default_configENS1_38merge_sort_block_merge_config_selectorIbiEEZZNS1_27merge_sort_block_merge_implIS3_N6thrust23THRUST_200600_302600_NS6detail15normal_iteratorINS8_10device_ptrIbEEEENSA_INSB_IiEEEEjNS1_19radix_merge_compareILb1ELb1EbNS0_19identity_decomposerEEEEE10hipError_tT0_T1_T2_jT3_P12ihipStream_tbPNSt15iterator_traitsISK_E10value_typeEPNSQ_ISL_E10value_typeEPSM_NS1_7vsmem_tEENKUlT_SK_SL_SM_E_clIPbSD_PiSF_EESJ_SZ_SK_SL_SM_EUlSZ_E0_NS1_11comp_targetILNS1_3genE10ELNS1_11target_archE1201ELNS1_3gpuE5ELNS1_3repE0EEENS1_38merge_mergepath_config_static_selectorELNS0_4arch9wavefront6targetE1EEEvSL_.has_recursion, 0
	.set _ZN7rocprim17ROCPRIM_400000_NS6detail17trampoline_kernelINS0_14default_configENS1_38merge_sort_block_merge_config_selectorIbiEEZZNS1_27merge_sort_block_merge_implIS3_N6thrust23THRUST_200600_302600_NS6detail15normal_iteratorINS8_10device_ptrIbEEEENSA_INSB_IiEEEEjNS1_19radix_merge_compareILb1ELb1EbNS0_19identity_decomposerEEEEE10hipError_tT0_T1_T2_jT3_P12ihipStream_tbPNSt15iterator_traitsISK_E10value_typeEPNSQ_ISL_E10value_typeEPSM_NS1_7vsmem_tEENKUlT_SK_SL_SM_E_clIPbSD_PiSF_EESJ_SZ_SK_SL_SM_EUlSZ_E0_NS1_11comp_targetILNS1_3genE10ELNS1_11target_archE1201ELNS1_3gpuE5ELNS1_3repE0EEENS1_38merge_mergepath_config_static_selectorELNS0_4arch9wavefront6targetE1EEEvSL_.has_indirect_call, 0
	.section	.AMDGPU.csdata,"",@progbits
; Kernel info:
; codeLenInByte = 0
; TotalNumSgprs: 6
; NumVgprs: 0
; NumAgprs: 0
; TotalNumVgprs: 0
; ScratchSize: 0
; MemoryBound: 0
; FloatMode: 240
; IeeeMode: 1
; LDSByteSize: 0 bytes/workgroup (compile time only)
; SGPRBlocks: 0
; VGPRBlocks: 0
; NumSGPRsForWavesPerEU: 6
; NumVGPRsForWavesPerEU: 1
; AccumOffset: 4
; Occupancy: 8
; WaveLimiterHint : 0
; COMPUTE_PGM_RSRC2:SCRATCH_EN: 0
; COMPUTE_PGM_RSRC2:USER_SGPR: 2
; COMPUTE_PGM_RSRC2:TRAP_HANDLER: 0
; COMPUTE_PGM_RSRC2:TGID_X_EN: 1
; COMPUTE_PGM_RSRC2:TGID_Y_EN: 0
; COMPUTE_PGM_RSRC2:TGID_Z_EN: 0
; COMPUTE_PGM_RSRC2:TIDIG_COMP_CNT: 0
; COMPUTE_PGM_RSRC3_GFX90A:ACCUM_OFFSET: 0
; COMPUTE_PGM_RSRC3_GFX90A:TG_SPLIT: 0
	.section	.text._ZN7rocprim17ROCPRIM_400000_NS6detail17trampoline_kernelINS0_14default_configENS1_38merge_sort_block_merge_config_selectorIbiEEZZNS1_27merge_sort_block_merge_implIS3_N6thrust23THRUST_200600_302600_NS6detail15normal_iteratorINS8_10device_ptrIbEEEENSA_INSB_IiEEEEjNS1_19radix_merge_compareILb1ELb1EbNS0_19identity_decomposerEEEEE10hipError_tT0_T1_T2_jT3_P12ihipStream_tbPNSt15iterator_traitsISK_E10value_typeEPNSQ_ISL_E10value_typeEPSM_NS1_7vsmem_tEENKUlT_SK_SL_SM_E_clIPbSD_PiSF_EESJ_SZ_SK_SL_SM_EUlSZ_E0_NS1_11comp_targetILNS1_3genE5ELNS1_11target_archE942ELNS1_3gpuE9ELNS1_3repE0EEENS1_38merge_mergepath_config_static_selectorELNS0_4arch9wavefront6targetE1EEEvSL_,"axG",@progbits,_ZN7rocprim17ROCPRIM_400000_NS6detail17trampoline_kernelINS0_14default_configENS1_38merge_sort_block_merge_config_selectorIbiEEZZNS1_27merge_sort_block_merge_implIS3_N6thrust23THRUST_200600_302600_NS6detail15normal_iteratorINS8_10device_ptrIbEEEENSA_INSB_IiEEEEjNS1_19radix_merge_compareILb1ELb1EbNS0_19identity_decomposerEEEEE10hipError_tT0_T1_T2_jT3_P12ihipStream_tbPNSt15iterator_traitsISK_E10value_typeEPNSQ_ISL_E10value_typeEPSM_NS1_7vsmem_tEENKUlT_SK_SL_SM_E_clIPbSD_PiSF_EESJ_SZ_SK_SL_SM_EUlSZ_E0_NS1_11comp_targetILNS1_3genE5ELNS1_11target_archE942ELNS1_3gpuE9ELNS1_3repE0EEENS1_38merge_mergepath_config_static_selectorELNS0_4arch9wavefront6targetE1EEEvSL_,comdat
	.protected	_ZN7rocprim17ROCPRIM_400000_NS6detail17trampoline_kernelINS0_14default_configENS1_38merge_sort_block_merge_config_selectorIbiEEZZNS1_27merge_sort_block_merge_implIS3_N6thrust23THRUST_200600_302600_NS6detail15normal_iteratorINS8_10device_ptrIbEEEENSA_INSB_IiEEEEjNS1_19radix_merge_compareILb1ELb1EbNS0_19identity_decomposerEEEEE10hipError_tT0_T1_T2_jT3_P12ihipStream_tbPNSt15iterator_traitsISK_E10value_typeEPNSQ_ISL_E10value_typeEPSM_NS1_7vsmem_tEENKUlT_SK_SL_SM_E_clIPbSD_PiSF_EESJ_SZ_SK_SL_SM_EUlSZ_E0_NS1_11comp_targetILNS1_3genE5ELNS1_11target_archE942ELNS1_3gpuE9ELNS1_3repE0EEENS1_38merge_mergepath_config_static_selectorELNS0_4arch9wavefront6targetE1EEEvSL_ ; -- Begin function _ZN7rocprim17ROCPRIM_400000_NS6detail17trampoline_kernelINS0_14default_configENS1_38merge_sort_block_merge_config_selectorIbiEEZZNS1_27merge_sort_block_merge_implIS3_N6thrust23THRUST_200600_302600_NS6detail15normal_iteratorINS8_10device_ptrIbEEEENSA_INSB_IiEEEEjNS1_19radix_merge_compareILb1ELb1EbNS0_19identity_decomposerEEEEE10hipError_tT0_T1_T2_jT3_P12ihipStream_tbPNSt15iterator_traitsISK_E10value_typeEPNSQ_ISL_E10value_typeEPSM_NS1_7vsmem_tEENKUlT_SK_SL_SM_E_clIPbSD_PiSF_EESJ_SZ_SK_SL_SM_EUlSZ_E0_NS1_11comp_targetILNS1_3genE5ELNS1_11target_archE942ELNS1_3gpuE9ELNS1_3repE0EEENS1_38merge_mergepath_config_static_selectorELNS0_4arch9wavefront6targetE1EEEvSL_
	.globl	_ZN7rocprim17ROCPRIM_400000_NS6detail17trampoline_kernelINS0_14default_configENS1_38merge_sort_block_merge_config_selectorIbiEEZZNS1_27merge_sort_block_merge_implIS3_N6thrust23THRUST_200600_302600_NS6detail15normal_iteratorINS8_10device_ptrIbEEEENSA_INSB_IiEEEEjNS1_19radix_merge_compareILb1ELb1EbNS0_19identity_decomposerEEEEE10hipError_tT0_T1_T2_jT3_P12ihipStream_tbPNSt15iterator_traitsISK_E10value_typeEPNSQ_ISL_E10value_typeEPSM_NS1_7vsmem_tEENKUlT_SK_SL_SM_E_clIPbSD_PiSF_EESJ_SZ_SK_SL_SM_EUlSZ_E0_NS1_11comp_targetILNS1_3genE5ELNS1_11target_archE942ELNS1_3gpuE9ELNS1_3repE0EEENS1_38merge_mergepath_config_static_selectorELNS0_4arch9wavefront6targetE1EEEvSL_
	.p2align	8
	.type	_ZN7rocprim17ROCPRIM_400000_NS6detail17trampoline_kernelINS0_14default_configENS1_38merge_sort_block_merge_config_selectorIbiEEZZNS1_27merge_sort_block_merge_implIS3_N6thrust23THRUST_200600_302600_NS6detail15normal_iteratorINS8_10device_ptrIbEEEENSA_INSB_IiEEEEjNS1_19radix_merge_compareILb1ELb1EbNS0_19identity_decomposerEEEEE10hipError_tT0_T1_T2_jT3_P12ihipStream_tbPNSt15iterator_traitsISK_E10value_typeEPNSQ_ISL_E10value_typeEPSM_NS1_7vsmem_tEENKUlT_SK_SL_SM_E_clIPbSD_PiSF_EESJ_SZ_SK_SL_SM_EUlSZ_E0_NS1_11comp_targetILNS1_3genE5ELNS1_11target_archE942ELNS1_3gpuE9ELNS1_3repE0EEENS1_38merge_mergepath_config_static_selectorELNS0_4arch9wavefront6targetE1EEEvSL_,@function
_ZN7rocprim17ROCPRIM_400000_NS6detail17trampoline_kernelINS0_14default_configENS1_38merge_sort_block_merge_config_selectorIbiEEZZNS1_27merge_sort_block_merge_implIS3_N6thrust23THRUST_200600_302600_NS6detail15normal_iteratorINS8_10device_ptrIbEEEENSA_INSB_IiEEEEjNS1_19radix_merge_compareILb1ELb1EbNS0_19identity_decomposerEEEEE10hipError_tT0_T1_T2_jT3_P12ihipStream_tbPNSt15iterator_traitsISK_E10value_typeEPNSQ_ISL_E10value_typeEPSM_NS1_7vsmem_tEENKUlT_SK_SL_SM_E_clIPbSD_PiSF_EESJ_SZ_SK_SL_SM_EUlSZ_E0_NS1_11comp_targetILNS1_3genE5ELNS1_11target_archE942ELNS1_3gpuE9ELNS1_3repE0EEENS1_38merge_mergepath_config_static_selectorELNS0_4arch9wavefront6targetE1EEEvSL_: ; @_ZN7rocprim17ROCPRIM_400000_NS6detail17trampoline_kernelINS0_14default_configENS1_38merge_sort_block_merge_config_selectorIbiEEZZNS1_27merge_sort_block_merge_implIS3_N6thrust23THRUST_200600_302600_NS6detail15normal_iteratorINS8_10device_ptrIbEEEENSA_INSB_IiEEEEjNS1_19radix_merge_compareILb1ELb1EbNS0_19identity_decomposerEEEEE10hipError_tT0_T1_T2_jT3_P12ihipStream_tbPNSt15iterator_traitsISK_E10value_typeEPNSQ_ISL_E10value_typeEPSM_NS1_7vsmem_tEENKUlT_SK_SL_SM_E_clIPbSD_PiSF_EESJ_SZ_SK_SL_SM_EUlSZ_E0_NS1_11comp_targetILNS1_3genE5ELNS1_11target_archE942ELNS1_3gpuE9ELNS1_3repE0EEENS1_38merge_mergepath_config_static_selectorELNS0_4arch9wavefront6targetE1EEEvSL_
; %bb.0:
	.section	.rodata,"a",@progbits
	.p2align	6, 0x0
	.amdhsa_kernel _ZN7rocprim17ROCPRIM_400000_NS6detail17trampoline_kernelINS0_14default_configENS1_38merge_sort_block_merge_config_selectorIbiEEZZNS1_27merge_sort_block_merge_implIS3_N6thrust23THRUST_200600_302600_NS6detail15normal_iteratorINS8_10device_ptrIbEEEENSA_INSB_IiEEEEjNS1_19radix_merge_compareILb1ELb1EbNS0_19identity_decomposerEEEEE10hipError_tT0_T1_T2_jT3_P12ihipStream_tbPNSt15iterator_traitsISK_E10value_typeEPNSQ_ISL_E10value_typeEPSM_NS1_7vsmem_tEENKUlT_SK_SL_SM_E_clIPbSD_PiSF_EESJ_SZ_SK_SL_SM_EUlSZ_E0_NS1_11comp_targetILNS1_3genE5ELNS1_11target_archE942ELNS1_3gpuE9ELNS1_3repE0EEENS1_38merge_mergepath_config_static_selectorELNS0_4arch9wavefront6targetE1EEEvSL_
		.amdhsa_group_segment_fixed_size 0
		.amdhsa_private_segment_fixed_size 0
		.amdhsa_kernarg_size 64
		.amdhsa_user_sgpr_count 2
		.amdhsa_user_sgpr_dispatch_ptr 0
		.amdhsa_user_sgpr_queue_ptr 0
		.amdhsa_user_sgpr_kernarg_segment_ptr 1
		.amdhsa_user_sgpr_dispatch_id 0
		.amdhsa_user_sgpr_kernarg_preload_length 0
		.amdhsa_user_sgpr_kernarg_preload_offset 0
		.amdhsa_user_sgpr_private_segment_size 0
		.amdhsa_uses_dynamic_stack 0
		.amdhsa_enable_private_segment 0
		.amdhsa_system_sgpr_workgroup_id_x 1
		.amdhsa_system_sgpr_workgroup_id_y 0
		.amdhsa_system_sgpr_workgroup_id_z 0
		.amdhsa_system_sgpr_workgroup_info 0
		.amdhsa_system_vgpr_workitem_id 0
		.amdhsa_next_free_vgpr 1
		.amdhsa_next_free_sgpr 0
		.amdhsa_accum_offset 4
		.amdhsa_reserve_vcc 0
		.amdhsa_float_round_mode_32 0
		.amdhsa_float_round_mode_16_64 0
		.amdhsa_float_denorm_mode_32 3
		.amdhsa_float_denorm_mode_16_64 3
		.amdhsa_dx10_clamp 1
		.amdhsa_ieee_mode 1
		.amdhsa_fp16_overflow 0
		.amdhsa_tg_split 0
		.amdhsa_exception_fp_ieee_invalid_op 0
		.amdhsa_exception_fp_denorm_src 0
		.amdhsa_exception_fp_ieee_div_zero 0
		.amdhsa_exception_fp_ieee_overflow 0
		.amdhsa_exception_fp_ieee_underflow 0
		.amdhsa_exception_fp_ieee_inexact 0
		.amdhsa_exception_int_div_zero 0
	.end_amdhsa_kernel
	.section	.text._ZN7rocprim17ROCPRIM_400000_NS6detail17trampoline_kernelINS0_14default_configENS1_38merge_sort_block_merge_config_selectorIbiEEZZNS1_27merge_sort_block_merge_implIS3_N6thrust23THRUST_200600_302600_NS6detail15normal_iteratorINS8_10device_ptrIbEEEENSA_INSB_IiEEEEjNS1_19radix_merge_compareILb1ELb1EbNS0_19identity_decomposerEEEEE10hipError_tT0_T1_T2_jT3_P12ihipStream_tbPNSt15iterator_traitsISK_E10value_typeEPNSQ_ISL_E10value_typeEPSM_NS1_7vsmem_tEENKUlT_SK_SL_SM_E_clIPbSD_PiSF_EESJ_SZ_SK_SL_SM_EUlSZ_E0_NS1_11comp_targetILNS1_3genE5ELNS1_11target_archE942ELNS1_3gpuE9ELNS1_3repE0EEENS1_38merge_mergepath_config_static_selectorELNS0_4arch9wavefront6targetE1EEEvSL_,"axG",@progbits,_ZN7rocprim17ROCPRIM_400000_NS6detail17trampoline_kernelINS0_14default_configENS1_38merge_sort_block_merge_config_selectorIbiEEZZNS1_27merge_sort_block_merge_implIS3_N6thrust23THRUST_200600_302600_NS6detail15normal_iteratorINS8_10device_ptrIbEEEENSA_INSB_IiEEEEjNS1_19radix_merge_compareILb1ELb1EbNS0_19identity_decomposerEEEEE10hipError_tT0_T1_T2_jT3_P12ihipStream_tbPNSt15iterator_traitsISK_E10value_typeEPNSQ_ISL_E10value_typeEPSM_NS1_7vsmem_tEENKUlT_SK_SL_SM_E_clIPbSD_PiSF_EESJ_SZ_SK_SL_SM_EUlSZ_E0_NS1_11comp_targetILNS1_3genE5ELNS1_11target_archE942ELNS1_3gpuE9ELNS1_3repE0EEENS1_38merge_mergepath_config_static_selectorELNS0_4arch9wavefront6targetE1EEEvSL_,comdat
.Lfunc_end2162:
	.size	_ZN7rocprim17ROCPRIM_400000_NS6detail17trampoline_kernelINS0_14default_configENS1_38merge_sort_block_merge_config_selectorIbiEEZZNS1_27merge_sort_block_merge_implIS3_N6thrust23THRUST_200600_302600_NS6detail15normal_iteratorINS8_10device_ptrIbEEEENSA_INSB_IiEEEEjNS1_19radix_merge_compareILb1ELb1EbNS0_19identity_decomposerEEEEE10hipError_tT0_T1_T2_jT3_P12ihipStream_tbPNSt15iterator_traitsISK_E10value_typeEPNSQ_ISL_E10value_typeEPSM_NS1_7vsmem_tEENKUlT_SK_SL_SM_E_clIPbSD_PiSF_EESJ_SZ_SK_SL_SM_EUlSZ_E0_NS1_11comp_targetILNS1_3genE5ELNS1_11target_archE942ELNS1_3gpuE9ELNS1_3repE0EEENS1_38merge_mergepath_config_static_selectorELNS0_4arch9wavefront6targetE1EEEvSL_, .Lfunc_end2162-_ZN7rocprim17ROCPRIM_400000_NS6detail17trampoline_kernelINS0_14default_configENS1_38merge_sort_block_merge_config_selectorIbiEEZZNS1_27merge_sort_block_merge_implIS3_N6thrust23THRUST_200600_302600_NS6detail15normal_iteratorINS8_10device_ptrIbEEEENSA_INSB_IiEEEEjNS1_19radix_merge_compareILb1ELb1EbNS0_19identity_decomposerEEEEE10hipError_tT0_T1_T2_jT3_P12ihipStream_tbPNSt15iterator_traitsISK_E10value_typeEPNSQ_ISL_E10value_typeEPSM_NS1_7vsmem_tEENKUlT_SK_SL_SM_E_clIPbSD_PiSF_EESJ_SZ_SK_SL_SM_EUlSZ_E0_NS1_11comp_targetILNS1_3genE5ELNS1_11target_archE942ELNS1_3gpuE9ELNS1_3repE0EEENS1_38merge_mergepath_config_static_selectorELNS0_4arch9wavefront6targetE1EEEvSL_
                                        ; -- End function
	.set _ZN7rocprim17ROCPRIM_400000_NS6detail17trampoline_kernelINS0_14default_configENS1_38merge_sort_block_merge_config_selectorIbiEEZZNS1_27merge_sort_block_merge_implIS3_N6thrust23THRUST_200600_302600_NS6detail15normal_iteratorINS8_10device_ptrIbEEEENSA_INSB_IiEEEEjNS1_19radix_merge_compareILb1ELb1EbNS0_19identity_decomposerEEEEE10hipError_tT0_T1_T2_jT3_P12ihipStream_tbPNSt15iterator_traitsISK_E10value_typeEPNSQ_ISL_E10value_typeEPSM_NS1_7vsmem_tEENKUlT_SK_SL_SM_E_clIPbSD_PiSF_EESJ_SZ_SK_SL_SM_EUlSZ_E0_NS1_11comp_targetILNS1_3genE5ELNS1_11target_archE942ELNS1_3gpuE9ELNS1_3repE0EEENS1_38merge_mergepath_config_static_selectorELNS0_4arch9wavefront6targetE1EEEvSL_.num_vgpr, 0
	.set _ZN7rocprim17ROCPRIM_400000_NS6detail17trampoline_kernelINS0_14default_configENS1_38merge_sort_block_merge_config_selectorIbiEEZZNS1_27merge_sort_block_merge_implIS3_N6thrust23THRUST_200600_302600_NS6detail15normal_iteratorINS8_10device_ptrIbEEEENSA_INSB_IiEEEEjNS1_19radix_merge_compareILb1ELb1EbNS0_19identity_decomposerEEEEE10hipError_tT0_T1_T2_jT3_P12ihipStream_tbPNSt15iterator_traitsISK_E10value_typeEPNSQ_ISL_E10value_typeEPSM_NS1_7vsmem_tEENKUlT_SK_SL_SM_E_clIPbSD_PiSF_EESJ_SZ_SK_SL_SM_EUlSZ_E0_NS1_11comp_targetILNS1_3genE5ELNS1_11target_archE942ELNS1_3gpuE9ELNS1_3repE0EEENS1_38merge_mergepath_config_static_selectorELNS0_4arch9wavefront6targetE1EEEvSL_.num_agpr, 0
	.set _ZN7rocprim17ROCPRIM_400000_NS6detail17trampoline_kernelINS0_14default_configENS1_38merge_sort_block_merge_config_selectorIbiEEZZNS1_27merge_sort_block_merge_implIS3_N6thrust23THRUST_200600_302600_NS6detail15normal_iteratorINS8_10device_ptrIbEEEENSA_INSB_IiEEEEjNS1_19radix_merge_compareILb1ELb1EbNS0_19identity_decomposerEEEEE10hipError_tT0_T1_T2_jT3_P12ihipStream_tbPNSt15iterator_traitsISK_E10value_typeEPNSQ_ISL_E10value_typeEPSM_NS1_7vsmem_tEENKUlT_SK_SL_SM_E_clIPbSD_PiSF_EESJ_SZ_SK_SL_SM_EUlSZ_E0_NS1_11comp_targetILNS1_3genE5ELNS1_11target_archE942ELNS1_3gpuE9ELNS1_3repE0EEENS1_38merge_mergepath_config_static_selectorELNS0_4arch9wavefront6targetE1EEEvSL_.numbered_sgpr, 0
	.set _ZN7rocprim17ROCPRIM_400000_NS6detail17trampoline_kernelINS0_14default_configENS1_38merge_sort_block_merge_config_selectorIbiEEZZNS1_27merge_sort_block_merge_implIS3_N6thrust23THRUST_200600_302600_NS6detail15normal_iteratorINS8_10device_ptrIbEEEENSA_INSB_IiEEEEjNS1_19radix_merge_compareILb1ELb1EbNS0_19identity_decomposerEEEEE10hipError_tT0_T1_T2_jT3_P12ihipStream_tbPNSt15iterator_traitsISK_E10value_typeEPNSQ_ISL_E10value_typeEPSM_NS1_7vsmem_tEENKUlT_SK_SL_SM_E_clIPbSD_PiSF_EESJ_SZ_SK_SL_SM_EUlSZ_E0_NS1_11comp_targetILNS1_3genE5ELNS1_11target_archE942ELNS1_3gpuE9ELNS1_3repE0EEENS1_38merge_mergepath_config_static_selectorELNS0_4arch9wavefront6targetE1EEEvSL_.num_named_barrier, 0
	.set _ZN7rocprim17ROCPRIM_400000_NS6detail17trampoline_kernelINS0_14default_configENS1_38merge_sort_block_merge_config_selectorIbiEEZZNS1_27merge_sort_block_merge_implIS3_N6thrust23THRUST_200600_302600_NS6detail15normal_iteratorINS8_10device_ptrIbEEEENSA_INSB_IiEEEEjNS1_19radix_merge_compareILb1ELb1EbNS0_19identity_decomposerEEEEE10hipError_tT0_T1_T2_jT3_P12ihipStream_tbPNSt15iterator_traitsISK_E10value_typeEPNSQ_ISL_E10value_typeEPSM_NS1_7vsmem_tEENKUlT_SK_SL_SM_E_clIPbSD_PiSF_EESJ_SZ_SK_SL_SM_EUlSZ_E0_NS1_11comp_targetILNS1_3genE5ELNS1_11target_archE942ELNS1_3gpuE9ELNS1_3repE0EEENS1_38merge_mergepath_config_static_selectorELNS0_4arch9wavefront6targetE1EEEvSL_.private_seg_size, 0
	.set _ZN7rocprim17ROCPRIM_400000_NS6detail17trampoline_kernelINS0_14default_configENS1_38merge_sort_block_merge_config_selectorIbiEEZZNS1_27merge_sort_block_merge_implIS3_N6thrust23THRUST_200600_302600_NS6detail15normal_iteratorINS8_10device_ptrIbEEEENSA_INSB_IiEEEEjNS1_19radix_merge_compareILb1ELb1EbNS0_19identity_decomposerEEEEE10hipError_tT0_T1_T2_jT3_P12ihipStream_tbPNSt15iterator_traitsISK_E10value_typeEPNSQ_ISL_E10value_typeEPSM_NS1_7vsmem_tEENKUlT_SK_SL_SM_E_clIPbSD_PiSF_EESJ_SZ_SK_SL_SM_EUlSZ_E0_NS1_11comp_targetILNS1_3genE5ELNS1_11target_archE942ELNS1_3gpuE9ELNS1_3repE0EEENS1_38merge_mergepath_config_static_selectorELNS0_4arch9wavefront6targetE1EEEvSL_.uses_vcc, 0
	.set _ZN7rocprim17ROCPRIM_400000_NS6detail17trampoline_kernelINS0_14default_configENS1_38merge_sort_block_merge_config_selectorIbiEEZZNS1_27merge_sort_block_merge_implIS3_N6thrust23THRUST_200600_302600_NS6detail15normal_iteratorINS8_10device_ptrIbEEEENSA_INSB_IiEEEEjNS1_19radix_merge_compareILb1ELb1EbNS0_19identity_decomposerEEEEE10hipError_tT0_T1_T2_jT3_P12ihipStream_tbPNSt15iterator_traitsISK_E10value_typeEPNSQ_ISL_E10value_typeEPSM_NS1_7vsmem_tEENKUlT_SK_SL_SM_E_clIPbSD_PiSF_EESJ_SZ_SK_SL_SM_EUlSZ_E0_NS1_11comp_targetILNS1_3genE5ELNS1_11target_archE942ELNS1_3gpuE9ELNS1_3repE0EEENS1_38merge_mergepath_config_static_selectorELNS0_4arch9wavefront6targetE1EEEvSL_.uses_flat_scratch, 0
	.set _ZN7rocprim17ROCPRIM_400000_NS6detail17trampoline_kernelINS0_14default_configENS1_38merge_sort_block_merge_config_selectorIbiEEZZNS1_27merge_sort_block_merge_implIS3_N6thrust23THRUST_200600_302600_NS6detail15normal_iteratorINS8_10device_ptrIbEEEENSA_INSB_IiEEEEjNS1_19radix_merge_compareILb1ELb1EbNS0_19identity_decomposerEEEEE10hipError_tT0_T1_T2_jT3_P12ihipStream_tbPNSt15iterator_traitsISK_E10value_typeEPNSQ_ISL_E10value_typeEPSM_NS1_7vsmem_tEENKUlT_SK_SL_SM_E_clIPbSD_PiSF_EESJ_SZ_SK_SL_SM_EUlSZ_E0_NS1_11comp_targetILNS1_3genE5ELNS1_11target_archE942ELNS1_3gpuE9ELNS1_3repE0EEENS1_38merge_mergepath_config_static_selectorELNS0_4arch9wavefront6targetE1EEEvSL_.has_dyn_sized_stack, 0
	.set _ZN7rocprim17ROCPRIM_400000_NS6detail17trampoline_kernelINS0_14default_configENS1_38merge_sort_block_merge_config_selectorIbiEEZZNS1_27merge_sort_block_merge_implIS3_N6thrust23THRUST_200600_302600_NS6detail15normal_iteratorINS8_10device_ptrIbEEEENSA_INSB_IiEEEEjNS1_19radix_merge_compareILb1ELb1EbNS0_19identity_decomposerEEEEE10hipError_tT0_T1_T2_jT3_P12ihipStream_tbPNSt15iterator_traitsISK_E10value_typeEPNSQ_ISL_E10value_typeEPSM_NS1_7vsmem_tEENKUlT_SK_SL_SM_E_clIPbSD_PiSF_EESJ_SZ_SK_SL_SM_EUlSZ_E0_NS1_11comp_targetILNS1_3genE5ELNS1_11target_archE942ELNS1_3gpuE9ELNS1_3repE0EEENS1_38merge_mergepath_config_static_selectorELNS0_4arch9wavefront6targetE1EEEvSL_.has_recursion, 0
	.set _ZN7rocprim17ROCPRIM_400000_NS6detail17trampoline_kernelINS0_14default_configENS1_38merge_sort_block_merge_config_selectorIbiEEZZNS1_27merge_sort_block_merge_implIS3_N6thrust23THRUST_200600_302600_NS6detail15normal_iteratorINS8_10device_ptrIbEEEENSA_INSB_IiEEEEjNS1_19radix_merge_compareILb1ELb1EbNS0_19identity_decomposerEEEEE10hipError_tT0_T1_T2_jT3_P12ihipStream_tbPNSt15iterator_traitsISK_E10value_typeEPNSQ_ISL_E10value_typeEPSM_NS1_7vsmem_tEENKUlT_SK_SL_SM_E_clIPbSD_PiSF_EESJ_SZ_SK_SL_SM_EUlSZ_E0_NS1_11comp_targetILNS1_3genE5ELNS1_11target_archE942ELNS1_3gpuE9ELNS1_3repE0EEENS1_38merge_mergepath_config_static_selectorELNS0_4arch9wavefront6targetE1EEEvSL_.has_indirect_call, 0
	.section	.AMDGPU.csdata,"",@progbits
; Kernel info:
; codeLenInByte = 0
; TotalNumSgprs: 6
; NumVgprs: 0
; NumAgprs: 0
; TotalNumVgprs: 0
; ScratchSize: 0
; MemoryBound: 0
; FloatMode: 240
; IeeeMode: 1
; LDSByteSize: 0 bytes/workgroup (compile time only)
; SGPRBlocks: 0
; VGPRBlocks: 0
; NumSGPRsForWavesPerEU: 6
; NumVGPRsForWavesPerEU: 1
; AccumOffset: 4
; Occupancy: 8
; WaveLimiterHint : 0
; COMPUTE_PGM_RSRC2:SCRATCH_EN: 0
; COMPUTE_PGM_RSRC2:USER_SGPR: 2
; COMPUTE_PGM_RSRC2:TRAP_HANDLER: 0
; COMPUTE_PGM_RSRC2:TGID_X_EN: 1
; COMPUTE_PGM_RSRC2:TGID_Y_EN: 0
; COMPUTE_PGM_RSRC2:TGID_Z_EN: 0
; COMPUTE_PGM_RSRC2:TIDIG_COMP_CNT: 0
; COMPUTE_PGM_RSRC3_GFX90A:ACCUM_OFFSET: 0
; COMPUTE_PGM_RSRC3_GFX90A:TG_SPLIT: 0
	.section	.text._ZN7rocprim17ROCPRIM_400000_NS6detail17trampoline_kernelINS0_14default_configENS1_38merge_sort_block_merge_config_selectorIbiEEZZNS1_27merge_sort_block_merge_implIS3_N6thrust23THRUST_200600_302600_NS6detail15normal_iteratorINS8_10device_ptrIbEEEENSA_INSB_IiEEEEjNS1_19radix_merge_compareILb1ELb1EbNS0_19identity_decomposerEEEEE10hipError_tT0_T1_T2_jT3_P12ihipStream_tbPNSt15iterator_traitsISK_E10value_typeEPNSQ_ISL_E10value_typeEPSM_NS1_7vsmem_tEENKUlT_SK_SL_SM_E_clIPbSD_PiSF_EESJ_SZ_SK_SL_SM_EUlSZ_E0_NS1_11comp_targetILNS1_3genE4ELNS1_11target_archE910ELNS1_3gpuE8ELNS1_3repE0EEENS1_38merge_mergepath_config_static_selectorELNS0_4arch9wavefront6targetE1EEEvSL_,"axG",@progbits,_ZN7rocprim17ROCPRIM_400000_NS6detail17trampoline_kernelINS0_14default_configENS1_38merge_sort_block_merge_config_selectorIbiEEZZNS1_27merge_sort_block_merge_implIS3_N6thrust23THRUST_200600_302600_NS6detail15normal_iteratorINS8_10device_ptrIbEEEENSA_INSB_IiEEEEjNS1_19radix_merge_compareILb1ELb1EbNS0_19identity_decomposerEEEEE10hipError_tT0_T1_T2_jT3_P12ihipStream_tbPNSt15iterator_traitsISK_E10value_typeEPNSQ_ISL_E10value_typeEPSM_NS1_7vsmem_tEENKUlT_SK_SL_SM_E_clIPbSD_PiSF_EESJ_SZ_SK_SL_SM_EUlSZ_E0_NS1_11comp_targetILNS1_3genE4ELNS1_11target_archE910ELNS1_3gpuE8ELNS1_3repE0EEENS1_38merge_mergepath_config_static_selectorELNS0_4arch9wavefront6targetE1EEEvSL_,comdat
	.protected	_ZN7rocprim17ROCPRIM_400000_NS6detail17trampoline_kernelINS0_14default_configENS1_38merge_sort_block_merge_config_selectorIbiEEZZNS1_27merge_sort_block_merge_implIS3_N6thrust23THRUST_200600_302600_NS6detail15normal_iteratorINS8_10device_ptrIbEEEENSA_INSB_IiEEEEjNS1_19radix_merge_compareILb1ELb1EbNS0_19identity_decomposerEEEEE10hipError_tT0_T1_T2_jT3_P12ihipStream_tbPNSt15iterator_traitsISK_E10value_typeEPNSQ_ISL_E10value_typeEPSM_NS1_7vsmem_tEENKUlT_SK_SL_SM_E_clIPbSD_PiSF_EESJ_SZ_SK_SL_SM_EUlSZ_E0_NS1_11comp_targetILNS1_3genE4ELNS1_11target_archE910ELNS1_3gpuE8ELNS1_3repE0EEENS1_38merge_mergepath_config_static_selectorELNS0_4arch9wavefront6targetE1EEEvSL_ ; -- Begin function _ZN7rocprim17ROCPRIM_400000_NS6detail17trampoline_kernelINS0_14default_configENS1_38merge_sort_block_merge_config_selectorIbiEEZZNS1_27merge_sort_block_merge_implIS3_N6thrust23THRUST_200600_302600_NS6detail15normal_iteratorINS8_10device_ptrIbEEEENSA_INSB_IiEEEEjNS1_19radix_merge_compareILb1ELb1EbNS0_19identity_decomposerEEEEE10hipError_tT0_T1_T2_jT3_P12ihipStream_tbPNSt15iterator_traitsISK_E10value_typeEPNSQ_ISL_E10value_typeEPSM_NS1_7vsmem_tEENKUlT_SK_SL_SM_E_clIPbSD_PiSF_EESJ_SZ_SK_SL_SM_EUlSZ_E0_NS1_11comp_targetILNS1_3genE4ELNS1_11target_archE910ELNS1_3gpuE8ELNS1_3repE0EEENS1_38merge_mergepath_config_static_selectorELNS0_4arch9wavefront6targetE1EEEvSL_
	.globl	_ZN7rocprim17ROCPRIM_400000_NS6detail17trampoline_kernelINS0_14default_configENS1_38merge_sort_block_merge_config_selectorIbiEEZZNS1_27merge_sort_block_merge_implIS3_N6thrust23THRUST_200600_302600_NS6detail15normal_iteratorINS8_10device_ptrIbEEEENSA_INSB_IiEEEEjNS1_19radix_merge_compareILb1ELb1EbNS0_19identity_decomposerEEEEE10hipError_tT0_T1_T2_jT3_P12ihipStream_tbPNSt15iterator_traitsISK_E10value_typeEPNSQ_ISL_E10value_typeEPSM_NS1_7vsmem_tEENKUlT_SK_SL_SM_E_clIPbSD_PiSF_EESJ_SZ_SK_SL_SM_EUlSZ_E0_NS1_11comp_targetILNS1_3genE4ELNS1_11target_archE910ELNS1_3gpuE8ELNS1_3repE0EEENS1_38merge_mergepath_config_static_selectorELNS0_4arch9wavefront6targetE1EEEvSL_
	.p2align	8
	.type	_ZN7rocprim17ROCPRIM_400000_NS6detail17trampoline_kernelINS0_14default_configENS1_38merge_sort_block_merge_config_selectorIbiEEZZNS1_27merge_sort_block_merge_implIS3_N6thrust23THRUST_200600_302600_NS6detail15normal_iteratorINS8_10device_ptrIbEEEENSA_INSB_IiEEEEjNS1_19radix_merge_compareILb1ELb1EbNS0_19identity_decomposerEEEEE10hipError_tT0_T1_T2_jT3_P12ihipStream_tbPNSt15iterator_traitsISK_E10value_typeEPNSQ_ISL_E10value_typeEPSM_NS1_7vsmem_tEENKUlT_SK_SL_SM_E_clIPbSD_PiSF_EESJ_SZ_SK_SL_SM_EUlSZ_E0_NS1_11comp_targetILNS1_3genE4ELNS1_11target_archE910ELNS1_3gpuE8ELNS1_3repE0EEENS1_38merge_mergepath_config_static_selectorELNS0_4arch9wavefront6targetE1EEEvSL_,@function
_ZN7rocprim17ROCPRIM_400000_NS6detail17trampoline_kernelINS0_14default_configENS1_38merge_sort_block_merge_config_selectorIbiEEZZNS1_27merge_sort_block_merge_implIS3_N6thrust23THRUST_200600_302600_NS6detail15normal_iteratorINS8_10device_ptrIbEEEENSA_INSB_IiEEEEjNS1_19radix_merge_compareILb1ELb1EbNS0_19identity_decomposerEEEEE10hipError_tT0_T1_T2_jT3_P12ihipStream_tbPNSt15iterator_traitsISK_E10value_typeEPNSQ_ISL_E10value_typeEPSM_NS1_7vsmem_tEENKUlT_SK_SL_SM_E_clIPbSD_PiSF_EESJ_SZ_SK_SL_SM_EUlSZ_E0_NS1_11comp_targetILNS1_3genE4ELNS1_11target_archE910ELNS1_3gpuE8ELNS1_3repE0EEENS1_38merge_mergepath_config_static_selectorELNS0_4arch9wavefront6targetE1EEEvSL_: ; @_ZN7rocprim17ROCPRIM_400000_NS6detail17trampoline_kernelINS0_14default_configENS1_38merge_sort_block_merge_config_selectorIbiEEZZNS1_27merge_sort_block_merge_implIS3_N6thrust23THRUST_200600_302600_NS6detail15normal_iteratorINS8_10device_ptrIbEEEENSA_INSB_IiEEEEjNS1_19radix_merge_compareILb1ELb1EbNS0_19identity_decomposerEEEEE10hipError_tT0_T1_T2_jT3_P12ihipStream_tbPNSt15iterator_traitsISK_E10value_typeEPNSQ_ISL_E10value_typeEPSM_NS1_7vsmem_tEENKUlT_SK_SL_SM_E_clIPbSD_PiSF_EESJ_SZ_SK_SL_SM_EUlSZ_E0_NS1_11comp_targetILNS1_3genE4ELNS1_11target_archE910ELNS1_3gpuE8ELNS1_3repE0EEENS1_38merge_mergepath_config_static_selectorELNS0_4arch9wavefront6targetE1EEEvSL_
; %bb.0:
	.section	.rodata,"a",@progbits
	.p2align	6, 0x0
	.amdhsa_kernel _ZN7rocprim17ROCPRIM_400000_NS6detail17trampoline_kernelINS0_14default_configENS1_38merge_sort_block_merge_config_selectorIbiEEZZNS1_27merge_sort_block_merge_implIS3_N6thrust23THRUST_200600_302600_NS6detail15normal_iteratorINS8_10device_ptrIbEEEENSA_INSB_IiEEEEjNS1_19radix_merge_compareILb1ELb1EbNS0_19identity_decomposerEEEEE10hipError_tT0_T1_T2_jT3_P12ihipStream_tbPNSt15iterator_traitsISK_E10value_typeEPNSQ_ISL_E10value_typeEPSM_NS1_7vsmem_tEENKUlT_SK_SL_SM_E_clIPbSD_PiSF_EESJ_SZ_SK_SL_SM_EUlSZ_E0_NS1_11comp_targetILNS1_3genE4ELNS1_11target_archE910ELNS1_3gpuE8ELNS1_3repE0EEENS1_38merge_mergepath_config_static_selectorELNS0_4arch9wavefront6targetE1EEEvSL_
		.amdhsa_group_segment_fixed_size 0
		.amdhsa_private_segment_fixed_size 0
		.amdhsa_kernarg_size 64
		.amdhsa_user_sgpr_count 2
		.amdhsa_user_sgpr_dispatch_ptr 0
		.amdhsa_user_sgpr_queue_ptr 0
		.amdhsa_user_sgpr_kernarg_segment_ptr 1
		.amdhsa_user_sgpr_dispatch_id 0
		.amdhsa_user_sgpr_kernarg_preload_length 0
		.amdhsa_user_sgpr_kernarg_preload_offset 0
		.amdhsa_user_sgpr_private_segment_size 0
		.amdhsa_uses_dynamic_stack 0
		.amdhsa_enable_private_segment 0
		.amdhsa_system_sgpr_workgroup_id_x 1
		.amdhsa_system_sgpr_workgroup_id_y 0
		.amdhsa_system_sgpr_workgroup_id_z 0
		.amdhsa_system_sgpr_workgroup_info 0
		.amdhsa_system_vgpr_workitem_id 0
		.amdhsa_next_free_vgpr 1
		.amdhsa_next_free_sgpr 0
		.amdhsa_accum_offset 4
		.amdhsa_reserve_vcc 0
		.amdhsa_float_round_mode_32 0
		.amdhsa_float_round_mode_16_64 0
		.amdhsa_float_denorm_mode_32 3
		.amdhsa_float_denorm_mode_16_64 3
		.amdhsa_dx10_clamp 1
		.amdhsa_ieee_mode 1
		.amdhsa_fp16_overflow 0
		.amdhsa_tg_split 0
		.amdhsa_exception_fp_ieee_invalid_op 0
		.amdhsa_exception_fp_denorm_src 0
		.amdhsa_exception_fp_ieee_div_zero 0
		.amdhsa_exception_fp_ieee_overflow 0
		.amdhsa_exception_fp_ieee_underflow 0
		.amdhsa_exception_fp_ieee_inexact 0
		.amdhsa_exception_int_div_zero 0
	.end_amdhsa_kernel
	.section	.text._ZN7rocprim17ROCPRIM_400000_NS6detail17trampoline_kernelINS0_14default_configENS1_38merge_sort_block_merge_config_selectorIbiEEZZNS1_27merge_sort_block_merge_implIS3_N6thrust23THRUST_200600_302600_NS6detail15normal_iteratorINS8_10device_ptrIbEEEENSA_INSB_IiEEEEjNS1_19radix_merge_compareILb1ELb1EbNS0_19identity_decomposerEEEEE10hipError_tT0_T1_T2_jT3_P12ihipStream_tbPNSt15iterator_traitsISK_E10value_typeEPNSQ_ISL_E10value_typeEPSM_NS1_7vsmem_tEENKUlT_SK_SL_SM_E_clIPbSD_PiSF_EESJ_SZ_SK_SL_SM_EUlSZ_E0_NS1_11comp_targetILNS1_3genE4ELNS1_11target_archE910ELNS1_3gpuE8ELNS1_3repE0EEENS1_38merge_mergepath_config_static_selectorELNS0_4arch9wavefront6targetE1EEEvSL_,"axG",@progbits,_ZN7rocprim17ROCPRIM_400000_NS6detail17trampoline_kernelINS0_14default_configENS1_38merge_sort_block_merge_config_selectorIbiEEZZNS1_27merge_sort_block_merge_implIS3_N6thrust23THRUST_200600_302600_NS6detail15normal_iteratorINS8_10device_ptrIbEEEENSA_INSB_IiEEEEjNS1_19radix_merge_compareILb1ELb1EbNS0_19identity_decomposerEEEEE10hipError_tT0_T1_T2_jT3_P12ihipStream_tbPNSt15iterator_traitsISK_E10value_typeEPNSQ_ISL_E10value_typeEPSM_NS1_7vsmem_tEENKUlT_SK_SL_SM_E_clIPbSD_PiSF_EESJ_SZ_SK_SL_SM_EUlSZ_E0_NS1_11comp_targetILNS1_3genE4ELNS1_11target_archE910ELNS1_3gpuE8ELNS1_3repE0EEENS1_38merge_mergepath_config_static_selectorELNS0_4arch9wavefront6targetE1EEEvSL_,comdat
.Lfunc_end2163:
	.size	_ZN7rocprim17ROCPRIM_400000_NS6detail17trampoline_kernelINS0_14default_configENS1_38merge_sort_block_merge_config_selectorIbiEEZZNS1_27merge_sort_block_merge_implIS3_N6thrust23THRUST_200600_302600_NS6detail15normal_iteratorINS8_10device_ptrIbEEEENSA_INSB_IiEEEEjNS1_19radix_merge_compareILb1ELb1EbNS0_19identity_decomposerEEEEE10hipError_tT0_T1_T2_jT3_P12ihipStream_tbPNSt15iterator_traitsISK_E10value_typeEPNSQ_ISL_E10value_typeEPSM_NS1_7vsmem_tEENKUlT_SK_SL_SM_E_clIPbSD_PiSF_EESJ_SZ_SK_SL_SM_EUlSZ_E0_NS1_11comp_targetILNS1_3genE4ELNS1_11target_archE910ELNS1_3gpuE8ELNS1_3repE0EEENS1_38merge_mergepath_config_static_selectorELNS0_4arch9wavefront6targetE1EEEvSL_, .Lfunc_end2163-_ZN7rocprim17ROCPRIM_400000_NS6detail17trampoline_kernelINS0_14default_configENS1_38merge_sort_block_merge_config_selectorIbiEEZZNS1_27merge_sort_block_merge_implIS3_N6thrust23THRUST_200600_302600_NS6detail15normal_iteratorINS8_10device_ptrIbEEEENSA_INSB_IiEEEEjNS1_19radix_merge_compareILb1ELb1EbNS0_19identity_decomposerEEEEE10hipError_tT0_T1_T2_jT3_P12ihipStream_tbPNSt15iterator_traitsISK_E10value_typeEPNSQ_ISL_E10value_typeEPSM_NS1_7vsmem_tEENKUlT_SK_SL_SM_E_clIPbSD_PiSF_EESJ_SZ_SK_SL_SM_EUlSZ_E0_NS1_11comp_targetILNS1_3genE4ELNS1_11target_archE910ELNS1_3gpuE8ELNS1_3repE0EEENS1_38merge_mergepath_config_static_selectorELNS0_4arch9wavefront6targetE1EEEvSL_
                                        ; -- End function
	.set _ZN7rocprim17ROCPRIM_400000_NS6detail17trampoline_kernelINS0_14default_configENS1_38merge_sort_block_merge_config_selectorIbiEEZZNS1_27merge_sort_block_merge_implIS3_N6thrust23THRUST_200600_302600_NS6detail15normal_iteratorINS8_10device_ptrIbEEEENSA_INSB_IiEEEEjNS1_19radix_merge_compareILb1ELb1EbNS0_19identity_decomposerEEEEE10hipError_tT0_T1_T2_jT3_P12ihipStream_tbPNSt15iterator_traitsISK_E10value_typeEPNSQ_ISL_E10value_typeEPSM_NS1_7vsmem_tEENKUlT_SK_SL_SM_E_clIPbSD_PiSF_EESJ_SZ_SK_SL_SM_EUlSZ_E0_NS1_11comp_targetILNS1_3genE4ELNS1_11target_archE910ELNS1_3gpuE8ELNS1_3repE0EEENS1_38merge_mergepath_config_static_selectorELNS0_4arch9wavefront6targetE1EEEvSL_.num_vgpr, 0
	.set _ZN7rocprim17ROCPRIM_400000_NS6detail17trampoline_kernelINS0_14default_configENS1_38merge_sort_block_merge_config_selectorIbiEEZZNS1_27merge_sort_block_merge_implIS3_N6thrust23THRUST_200600_302600_NS6detail15normal_iteratorINS8_10device_ptrIbEEEENSA_INSB_IiEEEEjNS1_19radix_merge_compareILb1ELb1EbNS0_19identity_decomposerEEEEE10hipError_tT0_T1_T2_jT3_P12ihipStream_tbPNSt15iterator_traitsISK_E10value_typeEPNSQ_ISL_E10value_typeEPSM_NS1_7vsmem_tEENKUlT_SK_SL_SM_E_clIPbSD_PiSF_EESJ_SZ_SK_SL_SM_EUlSZ_E0_NS1_11comp_targetILNS1_3genE4ELNS1_11target_archE910ELNS1_3gpuE8ELNS1_3repE0EEENS1_38merge_mergepath_config_static_selectorELNS0_4arch9wavefront6targetE1EEEvSL_.num_agpr, 0
	.set _ZN7rocprim17ROCPRIM_400000_NS6detail17trampoline_kernelINS0_14default_configENS1_38merge_sort_block_merge_config_selectorIbiEEZZNS1_27merge_sort_block_merge_implIS3_N6thrust23THRUST_200600_302600_NS6detail15normal_iteratorINS8_10device_ptrIbEEEENSA_INSB_IiEEEEjNS1_19radix_merge_compareILb1ELb1EbNS0_19identity_decomposerEEEEE10hipError_tT0_T1_T2_jT3_P12ihipStream_tbPNSt15iterator_traitsISK_E10value_typeEPNSQ_ISL_E10value_typeEPSM_NS1_7vsmem_tEENKUlT_SK_SL_SM_E_clIPbSD_PiSF_EESJ_SZ_SK_SL_SM_EUlSZ_E0_NS1_11comp_targetILNS1_3genE4ELNS1_11target_archE910ELNS1_3gpuE8ELNS1_3repE0EEENS1_38merge_mergepath_config_static_selectorELNS0_4arch9wavefront6targetE1EEEvSL_.numbered_sgpr, 0
	.set _ZN7rocprim17ROCPRIM_400000_NS6detail17trampoline_kernelINS0_14default_configENS1_38merge_sort_block_merge_config_selectorIbiEEZZNS1_27merge_sort_block_merge_implIS3_N6thrust23THRUST_200600_302600_NS6detail15normal_iteratorINS8_10device_ptrIbEEEENSA_INSB_IiEEEEjNS1_19radix_merge_compareILb1ELb1EbNS0_19identity_decomposerEEEEE10hipError_tT0_T1_T2_jT3_P12ihipStream_tbPNSt15iterator_traitsISK_E10value_typeEPNSQ_ISL_E10value_typeEPSM_NS1_7vsmem_tEENKUlT_SK_SL_SM_E_clIPbSD_PiSF_EESJ_SZ_SK_SL_SM_EUlSZ_E0_NS1_11comp_targetILNS1_3genE4ELNS1_11target_archE910ELNS1_3gpuE8ELNS1_3repE0EEENS1_38merge_mergepath_config_static_selectorELNS0_4arch9wavefront6targetE1EEEvSL_.num_named_barrier, 0
	.set _ZN7rocprim17ROCPRIM_400000_NS6detail17trampoline_kernelINS0_14default_configENS1_38merge_sort_block_merge_config_selectorIbiEEZZNS1_27merge_sort_block_merge_implIS3_N6thrust23THRUST_200600_302600_NS6detail15normal_iteratorINS8_10device_ptrIbEEEENSA_INSB_IiEEEEjNS1_19radix_merge_compareILb1ELb1EbNS0_19identity_decomposerEEEEE10hipError_tT0_T1_T2_jT3_P12ihipStream_tbPNSt15iterator_traitsISK_E10value_typeEPNSQ_ISL_E10value_typeEPSM_NS1_7vsmem_tEENKUlT_SK_SL_SM_E_clIPbSD_PiSF_EESJ_SZ_SK_SL_SM_EUlSZ_E0_NS1_11comp_targetILNS1_3genE4ELNS1_11target_archE910ELNS1_3gpuE8ELNS1_3repE0EEENS1_38merge_mergepath_config_static_selectorELNS0_4arch9wavefront6targetE1EEEvSL_.private_seg_size, 0
	.set _ZN7rocprim17ROCPRIM_400000_NS6detail17trampoline_kernelINS0_14default_configENS1_38merge_sort_block_merge_config_selectorIbiEEZZNS1_27merge_sort_block_merge_implIS3_N6thrust23THRUST_200600_302600_NS6detail15normal_iteratorINS8_10device_ptrIbEEEENSA_INSB_IiEEEEjNS1_19radix_merge_compareILb1ELb1EbNS0_19identity_decomposerEEEEE10hipError_tT0_T1_T2_jT3_P12ihipStream_tbPNSt15iterator_traitsISK_E10value_typeEPNSQ_ISL_E10value_typeEPSM_NS1_7vsmem_tEENKUlT_SK_SL_SM_E_clIPbSD_PiSF_EESJ_SZ_SK_SL_SM_EUlSZ_E0_NS1_11comp_targetILNS1_3genE4ELNS1_11target_archE910ELNS1_3gpuE8ELNS1_3repE0EEENS1_38merge_mergepath_config_static_selectorELNS0_4arch9wavefront6targetE1EEEvSL_.uses_vcc, 0
	.set _ZN7rocprim17ROCPRIM_400000_NS6detail17trampoline_kernelINS0_14default_configENS1_38merge_sort_block_merge_config_selectorIbiEEZZNS1_27merge_sort_block_merge_implIS3_N6thrust23THRUST_200600_302600_NS6detail15normal_iteratorINS8_10device_ptrIbEEEENSA_INSB_IiEEEEjNS1_19radix_merge_compareILb1ELb1EbNS0_19identity_decomposerEEEEE10hipError_tT0_T1_T2_jT3_P12ihipStream_tbPNSt15iterator_traitsISK_E10value_typeEPNSQ_ISL_E10value_typeEPSM_NS1_7vsmem_tEENKUlT_SK_SL_SM_E_clIPbSD_PiSF_EESJ_SZ_SK_SL_SM_EUlSZ_E0_NS1_11comp_targetILNS1_3genE4ELNS1_11target_archE910ELNS1_3gpuE8ELNS1_3repE0EEENS1_38merge_mergepath_config_static_selectorELNS0_4arch9wavefront6targetE1EEEvSL_.uses_flat_scratch, 0
	.set _ZN7rocprim17ROCPRIM_400000_NS6detail17trampoline_kernelINS0_14default_configENS1_38merge_sort_block_merge_config_selectorIbiEEZZNS1_27merge_sort_block_merge_implIS3_N6thrust23THRUST_200600_302600_NS6detail15normal_iteratorINS8_10device_ptrIbEEEENSA_INSB_IiEEEEjNS1_19radix_merge_compareILb1ELb1EbNS0_19identity_decomposerEEEEE10hipError_tT0_T1_T2_jT3_P12ihipStream_tbPNSt15iterator_traitsISK_E10value_typeEPNSQ_ISL_E10value_typeEPSM_NS1_7vsmem_tEENKUlT_SK_SL_SM_E_clIPbSD_PiSF_EESJ_SZ_SK_SL_SM_EUlSZ_E0_NS1_11comp_targetILNS1_3genE4ELNS1_11target_archE910ELNS1_3gpuE8ELNS1_3repE0EEENS1_38merge_mergepath_config_static_selectorELNS0_4arch9wavefront6targetE1EEEvSL_.has_dyn_sized_stack, 0
	.set _ZN7rocprim17ROCPRIM_400000_NS6detail17trampoline_kernelINS0_14default_configENS1_38merge_sort_block_merge_config_selectorIbiEEZZNS1_27merge_sort_block_merge_implIS3_N6thrust23THRUST_200600_302600_NS6detail15normal_iteratorINS8_10device_ptrIbEEEENSA_INSB_IiEEEEjNS1_19radix_merge_compareILb1ELb1EbNS0_19identity_decomposerEEEEE10hipError_tT0_T1_T2_jT3_P12ihipStream_tbPNSt15iterator_traitsISK_E10value_typeEPNSQ_ISL_E10value_typeEPSM_NS1_7vsmem_tEENKUlT_SK_SL_SM_E_clIPbSD_PiSF_EESJ_SZ_SK_SL_SM_EUlSZ_E0_NS1_11comp_targetILNS1_3genE4ELNS1_11target_archE910ELNS1_3gpuE8ELNS1_3repE0EEENS1_38merge_mergepath_config_static_selectorELNS0_4arch9wavefront6targetE1EEEvSL_.has_recursion, 0
	.set _ZN7rocprim17ROCPRIM_400000_NS6detail17trampoline_kernelINS0_14default_configENS1_38merge_sort_block_merge_config_selectorIbiEEZZNS1_27merge_sort_block_merge_implIS3_N6thrust23THRUST_200600_302600_NS6detail15normal_iteratorINS8_10device_ptrIbEEEENSA_INSB_IiEEEEjNS1_19radix_merge_compareILb1ELb1EbNS0_19identity_decomposerEEEEE10hipError_tT0_T1_T2_jT3_P12ihipStream_tbPNSt15iterator_traitsISK_E10value_typeEPNSQ_ISL_E10value_typeEPSM_NS1_7vsmem_tEENKUlT_SK_SL_SM_E_clIPbSD_PiSF_EESJ_SZ_SK_SL_SM_EUlSZ_E0_NS1_11comp_targetILNS1_3genE4ELNS1_11target_archE910ELNS1_3gpuE8ELNS1_3repE0EEENS1_38merge_mergepath_config_static_selectorELNS0_4arch9wavefront6targetE1EEEvSL_.has_indirect_call, 0
	.section	.AMDGPU.csdata,"",@progbits
; Kernel info:
; codeLenInByte = 0
; TotalNumSgprs: 6
; NumVgprs: 0
; NumAgprs: 0
; TotalNumVgprs: 0
; ScratchSize: 0
; MemoryBound: 0
; FloatMode: 240
; IeeeMode: 1
; LDSByteSize: 0 bytes/workgroup (compile time only)
; SGPRBlocks: 0
; VGPRBlocks: 0
; NumSGPRsForWavesPerEU: 6
; NumVGPRsForWavesPerEU: 1
; AccumOffset: 4
; Occupancy: 8
; WaveLimiterHint : 0
; COMPUTE_PGM_RSRC2:SCRATCH_EN: 0
; COMPUTE_PGM_RSRC2:USER_SGPR: 2
; COMPUTE_PGM_RSRC2:TRAP_HANDLER: 0
; COMPUTE_PGM_RSRC2:TGID_X_EN: 1
; COMPUTE_PGM_RSRC2:TGID_Y_EN: 0
; COMPUTE_PGM_RSRC2:TGID_Z_EN: 0
; COMPUTE_PGM_RSRC2:TIDIG_COMP_CNT: 0
; COMPUTE_PGM_RSRC3_GFX90A:ACCUM_OFFSET: 0
; COMPUTE_PGM_RSRC3_GFX90A:TG_SPLIT: 0
	.section	.text._ZN7rocprim17ROCPRIM_400000_NS6detail17trampoline_kernelINS0_14default_configENS1_38merge_sort_block_merge_config_selectorIbiEEZZNS1_27merge_sort_block_merge_implIS3_N6thrust23THRUST_200600_302600_NS6detail15normal_iteratorINS8_10device_ptrIbEEEENSA_INSB_IiEEEEjNS1_19radix_merge_compareILb1ELb1EbNS0_19identity_decomposerEEEEE10hipError_tT0_T1_T2_jT3_P12ihipStream_tbPNSt15iterator_traitsISK_E10value_typeEPNSQ_ISL_E10value_typeEPSM_NS1_7vsmem_tEENKUlT_SK_SL_SM_E_clIPbSD_PiSF_EESJ_SZ_SK_SL_SM_EUlSZ_E0_NS1_11comp_targetILNS1_3genE3ELNS1_11target_archE908ELNS1_3gpuE7ELNS1_3repE0EEENS1_38merge_mergepath_config_static_selectorELNS0_4arch9wavefront6targetE1EEEvSL_,"axG",@progbits,_ZN7rocprim17ROCPRIM_400000_NS6detail17trampoline_kernelINS0_14default_configENS1_38merge_sort_block_merge_config_selectorIbiEEZZNS1_27merge_sort_block_merge_implIS3_N6thrust23THRUST_200600_302600_NS6detail15normal_iteratorINS8_10device_ptrIbEEEENSA_INSB_IiEEEEjNS1_19radix_merge_compareILb1ELb1EbNS0_19identity_decomposerEEEEE10hipError_tT0_T1_T2_jT3_P12ihipStream_tbPNSt15iterator_traitsISK_E10value_typeEPNSQ_ISL_E10value_typeEPSM_NS1_7vsmem_tEENKUlT_SK_SL_SM_E_clIPbSD_PiSF_EESJ_SZ_SK_SL_SM_EUlSZ_E0_NS1_11comp_targetILNS1_3genE3ELNS1_11target_archE908ELNS1_3gpuE7ELNS1_3repE0EEENS1_38merge_mergepath_config_static_selectorELNS0_4arch9wavefront6targetE1EEEvSL_,comdat
	.protected	_ZN7rocprim17ROCPRIM_400000_NS6detail17trampoline_kernelINS0_14default_configENS1_38merge_sort_block_merge_config_selectorIbiEEZZNS1_27merge_sort_block_merge_implIS3_N6thrust23THRUST_200600_302600_NS6detail15normal_iteratorINS8_10device_ptrIbEEEENSA_INSB_IiEEEEjNS1_19radix_merge_compareILb1ELb1EbNS0_19identity_decomposerEEEEE10hipError_tT0_T1_T2_jT3_P12ihipStream_tbPNSt15iterator_traitsISK_E10value_typeEPNSQ_ISL_E10value_typeEPSM_NS1_7vsmem_tEENKUlT_SK_SL_SM_E_clIPbSD_PiSF_EESJ_SZ_SK_SL_SM_EUlSZ_E0_NS1_11comp_targetILNS1_3genE3ELNS1_11target_archE908ELNS1_3gpuE7ELNS1_3repE0EEENS1_38merge_mergepath_config_static_selectorELNS0_4arch9wavefront6targetE1EEEvSL_ ; -- Begin function _ZN7rocprim17ROCPRIM_400000_NS6detail17trampoline_kernelINS0_14default_configENS1_38merge_sort_block_merge_config_selectorIbiEEZZNS1_27merge_sort_block_merge_implIS3_N6thrust23THRUST_200600_302600_NS6detail15normal_iteratorINS8_10device_ptrIbEEEENSA_INSB_IiEEEEjNS1_19radix_merge_compareILb1ELb1EbNS0_19identity_decomposerEEEEE10hipError_tT0_T1_T2_jT3_P12ihipStream_tbPNSt15iterator_traitsISK_E10value_typeEPNSQ_ISL_E10value_typeEPSM_NS1_7vsmem_tEENKUlT_SK_SL_SM_E_clIPbSD_PiSF_EESJ_SZ_SK_SL_SM_EUlSZ_E0_NS1_11comp_targetILNS1_3genE3ELNS1_11target_archE908ELNS1_3gpuE7ELNS1_3repE0EEENS1_38merge_mergepath_config_static_selectorELNS0_4arch9wavefront6targetE1EEEvSL_
	.globl	_ZN7rocprim17ROCPRIM_400000_NS6detail17trampoline_kernelINS0_14default_configENS1_38merge_sort_block_merge_config_selectorIbiEEZZNS1_27merge_sort_block_merge_implIS3_N6thrust23THRUST_200600_302600_NS6detail15normal_iteratorINS8_10device_ptrIbEEEENSA_INSB_IiEEEEjNS1_19radix_merge_compareILb1ELb1EbNS0_19identity_decomposerEEEEE10hipError_tT0_T1_T2_jT3_P12ihipStream_tbPNSt15iterator_traitsISK_E10value_typeEPNSQ_ISL_E10value_typeEPSM_NS1_7vsmem_tEENKUlT_SK_SL_SM_E_clIPbSD_PiSF_EESJ_SZ_SK_SL_SM_EUlSZ_E0_NS1_11comp_targetILNS1_3genE3ELNS1_11target_archE908ELNS1_3gpuE7ELNS1_3repE0EEENS1_38merge_mergepath_config_static_selectorELNS0_4arch9wavefront6targetE1EEEvSL_
	.p2align	8
	.type	_ZN7rocprim17ROCPRIM_400000_NS6detail17trampoline_kernelINS0_14default_configENS1_38merge_sort_block_merge_config_selectorIbiEEZZNS1_27merge_sort_block_merge_implIS3_N6thrust23THRUST_200600_302600_NS6detail15normal_iteratorINS8_10device_ptrIbEEEENSA_INSB_IiEEEEjNS1_19radix_merge_compareILb1ELb1EbNS0_19identity_decomposerEEEEE10hipError_tT0_T1_T2_jT3_P12ihipStream_tbPNSt15iterator_traitsISK_E10value_typeEPNSQ_ISL_E10value_typeEPSM_NS1_7vsmem_tEENKUlT_SK_SL_SM_E_clIPbSD_PiSF_EESJ_SZ_SK_SL_SM_EUlSZ_E0_NS1_11comp_targetILNS1_3genE3ELNS1_11target_archE908ELNS1_3gpuE7ELNS1_3repE0EEENS1_38merge_mergepath_config_static_selectorELNS0_4arch9wavefront6targetE1EEEvSL_,@function
_ZN7rocprim17ROCPRIM_400000_NS6detail17trampoline_kernelINS0_14default_configENS1_38merge_sort_block_merge_config_selectorIbiEEZZNS1_27merge_sort_block_merge_implIS3_N6thrust23THRUST_200600_302600_NS6detail15normal_iteratorINS8_10device_ptrIbEEEENSA_INSB_IiEEEEjNS1_19radix_merge_compareILb1ELb1EbNS0_19identity_decomposerEEEEE10hipError_tT0_T1_T2_jT3_P12ihipStream_tbPNSt15iterator_traitsISK_E10value_typeEPNSQ_ISL_E10value_typeEPSM_NS1_7vsmem_tEENKUlT_SK_SL_SM_E_clIPbSD_PiSF_EESJ_SZ_SK_SL_SM_EUlSZ_E0_NS1_11comp_targetILNS1_3genE3ELNS1_11target_archE908ELNS1_3gpuE7ELNS1_3repE0EEENS1_38merge_mergepath_config_static_selectorELNS0_4arch9wavefront6targetE1EEEvSL_: ; @_ZN7rocprim17ROCPRIM_400000_NS6detail17trampoline_kernelINS0_14default_configENS1_38merge_sort_block_merge_config_selectorIbiEEZZNS1_27merge_sort_block_merge_implIS3_N6thrust23THRUST_200600_302600_NS6detail15normal_iteratorINS8_10device_ptrIbEEEENSA_INSB_IiEEEEjNS1_19radix_merge_compareILb1ELb1EbNS0_19identity_decomposerEEEEE10hipError_tT0_T1_T2_jT3_P12ihipStream_tbPNSt15iterator_traitsISK_E10value_typeEPNSQ_ISL_E10value_typeEPSM_NS1_7vsmem_tEENKUlT_SK_SL_SM_E_clIPbSD_PiSF_EESJ_SZ_SK_SL_SM_EUlSZ_E0_NS1_11comp_targetILNS1_3genE3ELNS1_11target_archE908ELNS1_3gpuE7ELNS1_3repE0EEENS1_38merge_mergepath_config_static_selectorELNS0_4arch9wavefront6targetE1EEEvSL_
; %bb.0:
	.section	.rodata,"a",@progbits
	.p2align	6, 0x0
	.amdhsa_kernel _ZN7rocprim17ROCPRIM_400000_NS6detail17trampoline_kernelINS0_14default_configENS1_38merge_sort_block_merge_config_selectorIbiEEZZNS1_27merge_sort_block_merge_implIS3_N6thrust23THRUST_200600_302600_NS6detail15normal_iteratorINS8_10device_ptrIbEEEENSA_INSB_IiEEEEjNS1_19radix_merge_compareILb1ELb1EbNS0_19identity_decomposerEEEEE10hipError_tT0_T1_T2_jT3_P12ihipStream_tbPNSt15iterator_traitsISK_E10value_typeEPNSQ_ISL_E10value_typeEPSM_NS1_7vsmem_tEENKUlT_SK_SL_SM_E_clIPbSD_PiSF_EESJ_SZ_SK_SL_SM_EUlSZ_E0_NS1_11comp_targetILNS1_3genE3ELNS1_11target_archE908ELNS1_3gpuE7ELNS1_3repE0EEENS1_38merge_mergepath_config_static_selectorELNS0_4arch9wavefront6targetE1EEEvSL_
		.amdhsa_group_segment_fixed_size 0
		.amdhsa_private_segment_fixed_size 0
		.amdhsa_kernarg_size 64
		.amdhsa_user_sgpr_count 2
		.amdhsa_user_sgpr_dispatch_ptr 0
		.amdhsa_user_sgpr_queue_ptr 0
		.amdhsa_user_sgpr_kernarg_segment_ptr 1
		.amdhsa_user_sgpr_dispatch_id 0
		.amdhsa_user_sgpr_kernarg_preload_length 0
		.amdhsa_user_sgpr_kernarg_preload_offset 0
		.amdhsa_user_sgpr_private_segment_size 0
		.amdhsa_uses_dynamic_stack 0
		.amdhsa_enable_private_segment 0
		.amdhsa_system_sgpr_workgroup_id_x 1
		.amdhsa_system_sgpr_workgroup_id_y 0
		.amdhsa_system_sgpr_workgroup_id_z 0
		.amdhsa_system_sgpr_workgroup_info 0
		.amdhsa_system_vgpr_workitem_id 0
		.amdhsa_next_free_vgpr 1
		.amdhsa_next_free_sgpr 0
		.amdhsa_accum_offset 4
		.amdhsa_reserve_vcc 0
		.amdhsa_float_round_mode_32 0
		.amdhsa_float_round_mode_16_64 0
		.amdhsa_float_denorm_mode_32 3
		.amdhsa_float_denorm_mode_16_64 3
		.amdhsa_dx10_clamp 1
		.amdhsa_ieee_mode 1
		.amdhsa_fp16_overflow 0
		.amdhsa_tg_split 0
		.amdhsa_exception_fp_ieee_invalid_op 0
		.amdhsa_exception_fp_denorm_src 0
		.amdhsa_exception_fp_ieee_div_zero 0
		.amdhsa_exception_fp_ieee_overflow 0
		.amdhsa_exception_fp_ieee_underflow 0
		.amdhsa_exception_fp_ieee_inexact 0
		.amdhsa_exception_int_div_zero 0
	.end_amdhsa_kernel
	.section	.text._ZN7rocprim17ROCPRIM_400000_NS6detail17trampoline_kernelINS0_14default_configENS1_38merge_sort_block_merge_config_selectorIbiEEZZNS1_27merge_sort_block_merge_implIS3_N6thrust23THRUST_200600_302600_NS6detail15normal_iteratorINS8_10device_ptrIbEEEENSA_INSB_IiEEEEjNS1_19radix_merge_compareILb1ELb1EbNS0_19identity_decomposerEEEEE10hipError_tT0_T1_T2_jT3_P12ihipStream_tbPNSt15iterator_traitsISK_E10value_typeEPNSQ_ISL_E10value_typeEPSM_NS1_7vsmem_tEENKUlT_SK_SL_SM_E_clIPbSD_PiSF_EESJ_SZ_SK_SL_SM_EUlSZ_E0_NS1_11comp_targetILNS1_3genE3ELNS1_11target_archE908ELNS1_3gpuE7ELNS1_3repE0EEENS1_38merge_mergepath_config_static_selectorELNS0_4arch9wavefront6targetE1EEEvSL_,"axG",@progbits,_ZN7rocprim17ROCPRIM_400000_NS6detail17trampoline_kernelINS0_14default_configENS1_38merge_sort_block_merge_config_selectorIbiEEZZNS1_27merge_sort_block_merge_implIS3_N6thrust23THRUST_200600_302600_NS6detail15normal_iteratorINS8_10device_ptrIbEEEENSA_INSB_IiEEEEjNS1_19radix_merge_compareILb1ELb1EbNS0_19identity_decomposerEEEEE10hipError_tT0_T1_T2_jT3_P12ihipStream_tbPNSt15iterator_traitsISK_E10value_typeEPNSQ_ISL_E10value_typeEPSM_NS1_7vsmem_tEENKUlT_SK_SL_SM_E_clIPbSD_PiSF_EESJ_SZ_SK_SL_SM_EUlSZ_E0_NS1_11comp_targetILNS1_3genE3ELNS1_11target_archE908ELNS1_3gpuE7ELNS1_3repE0EEENS1_38merge_mergepath_config_static_selectorELNS0_4arch9wavefront6targetE1EEEvSL_,comdat
.Lfunc_end2164:
	.size	_ZN7rocprim17ROCPRIM_400000_NS6detail17trampoline_kernelINS0_14default_configENS1_38merge_sort_block_merge_config_selectorIbiEEZZNS1_27merge_sort_block_merge_implIS3_N6thrust23THRUST_200600_302600_NS6detail15normal_iteratorINS8_10device_ptrIbEEEENSA_INSB_IiEEEEjNS1_19radix_merge_compareILb1ELb1EbNS0_19identity_decomposerEEEEE10hipError_tT0_T1_T2_jT3_P12ihipStream_tbPNSt15iterator_traitsISK_E10value_typeEPNSQ_ISL_E10value_typeEPSM_NS1_7vsmem_tEENKUlT_SK_SL_SM_E_clIPbSD_PiSF_EESJ_SZ_SK_SL_SM_EUlSZ_E0_NS1_11comp_targetILNS1_3genE3ELNS1_11target_archE908ELNS1_3gpuE7ELNS1_3repE0EEENS1_38merge_mergepath_config_static_selectorELNS0_4arch9wavefront6targetE1EEEvSL_, .Lfunc_end2164-_ZN7rocprim17ROCPRIM_400000_NS6detail17trampoline_kernelINS0_14default_configENS1_38merge_sort_block_merge_config_selectorIbiEEZZNS1_27merge_sort_block_merge_implIS3_N6thrust23THRUST_200600_302600_NS6detail15normal_iteratorINS8_10device_ptrIbEEEENSA_INSB_IiEEEEjNS1_19radix_merge_compareILb1ELb1EbNS0_19identity_decomposerEEEEE10hipError_tT0_T1_T2_jT3_P12ihipStream_tbPNSt15iterator_traitsISK_E10value_typeEPNSQ_ISL_E10value_typeEPSM_NS1_7vsmem_tEENKUlT_SK_SL_SM_E_clIPbSD_PiSF_EESJ_SZ_SK_SL_SM_EUlSZ_E0_NS1_11comp_targetILNS1_3genE3ELNS1_11target_archE908ELNS1_3gpuE7ELNS1_3repE0EEENS1_38merge_mergepath_config_static_selectorELNS0_4arch9wavefront6targetE1EEEvSL_
                                        ; -- End function
	.set _ZN7rocprim17ROCPRIM_400000_NS6detail17trampoline_kernelINS0_14default_configENS1_38merge_sort_block_merge_config_selectorIbiEEZZNS1_27merge_sort_block_merge_implIS3_N6thrust23THRUST_200600_302600_NS6detail15normal_iteratorINS8_10device_ptrIbEEEENSA_INSB_IiEEEEjNS1_19radix_merge_compareILb1ELb1EbNS0_19identity_decomposerEEEEE10hipError_tT0_T1_T2_jT3_P12ihipStream_tbPNSt15iterator_traitsISK_E10value_typeEPNSQ_ISL_E10value_typeEPSM_NS1_7vsmem_tEENKUlT_SK_SL_SM_E_clIPbSD_PiSF_EESJ_SZ_SK_SL_SM_EUlSZ_E0_NS1_11comp_targetILNS1_3genE3ELNS1_11target_archE908ELNS1_3gpuE7ELNS1_3repE0EEENS1_38merge_mergepath_config_static_selectorELNS0_4arch9wavefront6targetE1EEEvSL_.num_vgpr, 0
	.set _ZN7rocprim17ROCPRIM_400000_NS6detail17trampoline_kernelINS0_14default_configENS1_38merge_sort_block_merge_config_selectorIbiEEZZNS1_27merge_sort_block_merge_implIS3_N6thrust23THRUST_200600_302600_NS6detail15normal_iteratorINS8_10device_ptrIbEEEENSA_INSB_IiEEEEjNS1_19radix_merge_compareILb1ELb1EbNS0_19identity_decomposerEEEEE10hipError_tT0_T1_T2_jT3_P12ihipStream_tbPNSt15iterator_traitsISK_E10value_typeEPNSQ_ISL_E10value_typeEPSM_NS1_7vsmem_tEENKUlT_SK_SL_SM_E_clIPbSD_PiSF_EESJ_SZ_SK_SL_SM_EUlSZ_E0_NS1_11comp_targetILNS1_3genE3ELNS1_11target_archE908ELNS1_3gpuE7ELNS1_3repE0EEENS1_38merge_mergepath_config_static_selectorELNS0_4arch9wavefront6targetE1EEEvSL_.num_agpr, 0
	.set _ZN7rocprim17ROCPRIM_400000_NS6detail17trampoline_kernelINS0_14default_configENS1_38merge_sort_block_merge_config_selectorIbiEEZZNS1_27merge_sort_block_merge_implIS3_N6thrust23THRUST_200600_302600_NS6detail15normal_iteratorINS8_10device_ptrIbEEEENSA_INSB_IiEEEEjNS1_19radix_merge_compareILb1ELb1EbNS0_19identity_decomposerEEEEE10hipError_tT0_T1_T2_jT3_P12ihipStream_tbPNSt15iterator_traitsISK_E10value_typeEPNSQ_ISL_E10value_typeEPSM_NS1_7vsmem_tEENKUlT_SK_SL_SM_E_clIPbSD_PiSF_EESJ_SZ_SK_SL_SM_EUlSZ_E0_NS1_11comp_targetILNS1_3genE3ELNS1_11target_archE908ELNS1_3gpuE7ELNS1_3repE0EEENS1_38merge_mergepath_config_static_selectorELNS0_4arch9wavefront6targetE1EEEvSL_.numbered_sgpr, 0
	.set _ZN7rocprim17ROCPRIM_400000_NS6detail17trampoline_kernelINS0_14default_configENS1_38merge_sort_block_merge_config_selectorIbiEEZZNS1_27merge_sort_block_merge_implIS3_N6thrust23THRUST_200600_302600_NS6detail15normal_iteratorINS8_10device_ptrIbEEEENSA_INSB_IiEEEEjNS1_19radix_merge_compareILb1ELb1EbNS0_19identity_decomposerEEEEE10hipError_tT0_T1_T2_jT3_P12ihipStream_tbPNSt15iterator_traitsISK_E10value_typeEPNSQ_ISL_E10value_typeEPSM_NS1_7vsmem_tEENKUlT_SK_SL_SM_E_clIPbSD_PiSF_EESJ_SZ_SK_SL_SM_EUlSZ_E0_NS1_11comp_targetILNS1_3genE3ELNS1_11target_archE908ELNS1_3gpuE7ELNS1_3repE0EEENS1_38merge_mergepath_config_static_selectorELNS0_4arch9wavefront6targetE1EEEvSL_.num_named_barrier, 0
	.set _ZN7rocprim17ROCPRIM_400000_NS6detail17trampoline_kernelINS0_14default_configENS1_38merge_sort_block_merge_config_selectorIbiEEZZNS1_27merge_sort_block_merge_implIS3_N6thrust23THRUST_200600_302600_NS6detail15normal_iteratorINS8_10device_ptrIbEEEENSA_INSB_IiEEEEjNS1_19radix_merge_compareILb1ELb1EbNS0_19identity_decomposerEEEEE10hipError_tT0_T1_T2_jT3_P12ihipStream_tbPNSt15iterator_traitsISK_E10value_typeEPNSQ_ISL_E10value_typeEPSM_NS1_7vsmem_tEENKUlT_SK_SL_SM_E_clIPbSD_PiSF_EESJ_SZ_SK_SL_SM_EUlSZ_E0_NS1_11comp_targetILNS1_3genE3ELNS1_11target_archE908ELNS1_3gpuE7ELNS1_3repE0EEENS1_38merge_mergepath_config_static_selectorELNS0_4arch9wavefront6targetE1EEEvSL_.private_seg_size, 0
	.set _ZN7rocprim17ROCPRIM_400000_NS6detail17trampoline_kernelINS0_14default_configENS1_38merge_sort_block_merge_config_selectorIbiEEZZNS1_27merge_sort_block_merge_implIS3_N6thrust23THRUST_200600_302600_NS6detail15normal_iteratorINS8_10device_ptrIbEEEENSA_INSB_IiEEEEjNS1_19radix_merge_compareILb1ELb1EbNS0_19identity_decomposerEEEEE10hipError_tT0_T1_T2_jT3_P12ihipStream_tbPNSt15iterator_traitsISK_E10value_typeEPNSQ_ISL_E10value_typeEPSM_NS1_7vsmem_tEENKUlT_SK_SL_SM_E_clIPbSD_PiSF_EESJ_SZ_SK_SL_SM_EUlSZ_E0_NS1_11comp_targetILNS1_3genE3ELNS1_11target_archE908ELNS1_3gpuE7ELNS1_3repE0EEENS1_38merge_mergepath_config_static_selectorELNS0_4arch9wavefront6targetE1EEEvSL_.uses_vcc, 0
	.set _ZN7rocprim17ROCPRIM_400000_NS6detail17trampoline_kernelINS0_14default_configENS1_38merge_sort_block_merge_config_selectorIbiEEZZNS1_27merge_sort_block_merge_implIS3_N6thrust23THRUST_200600_302600_NS6detail15normal_iteratorINS8_10device_ptrIbEEEENSA_INSB_IiEEEEjNS1_19radix_merge_compareILb1ELb1EbNS0_19identity_decomposerEEEEE10hipError_tT0_T1_T2_jT3_P12ihipStream_tbPNSt15iterator_traitsISK_E10value_typeEPNSQ_ISL_E10value_typeEPSM_NS1_7vsmem_tEENKUlT_SK_SL_SM_E_clIPbSD_PiSF_EESJ_SZ_SK_SL_SM_EUlSZ_E0_NS1_11comp_targetILNS1_3genE3ELNS1_11target_archE908ELNS1_3gpuE7ELNS1_3repE0EEENS1_38merge_mergepath_config_static_selectorELNS0_4arch9wavefront6targetE1EEEvSL_.uses_flat_scratch, 0
	.set _ZN7rocprim17ROCPRIM_400000_NS6detail17trampoline_kernelINS0_14default_configENS1_38merge_sort_block_merge_config_selectorIbiEEZZNS1_27merge_sort_block_merge_implIS3_N6thrust23THRUST_200600_302600_NS6detail15normal_iteratorINS8_10device_ptrIbEEEENSA_INSB_IiEEEEjNS1_19radix_merge_compareILb1ELb1EbNS0_19identity_decomposerEEEEE10hipError_tT0_T1_T2_jT3_P12ihipStream_tbPNSt15iterator_traitsISK_E10value_typeEPNSQ_ISL_E10value_typeEPSM_NS1_7vsmem_tEENKUlT_SK_SL_SM_E_clIPbSD_PiSF_EESJ_SZ_SK_SL_SM_EUlSZ_E0_NS1_11comp_targetILNS1_3genE3ELNS1_11target_archE908ELNS1_3gpuE7ELNS1_3repE0EEENS1_38merge_mergepath_config_static_selectorELNS0_4arch9wavefront6targetE1EEEvSL_.has_dyn_sized_stack, 0
	.set _ZN7rocprim17ROCPRIM_400000_NS6detail17trampoline_kernelINS0_14default_configENS1_38merge_sort_block_merge_config_selectorIbiEEZZNS1_27merge_sort_block_merge_implIS3_N6thrust23THRUST_200600_302600_NS6detail15normal_iteratorINS8_10device_ptrIbEEEENSA_INSB_IiEEEEjNS1_19radix_merge_compareILb1ELb1EbNS0_19identity_decomposerEEEEE10hipError_tT0_T1_T2_jT3_P12ihipStream_tbPNSt15iterator_traitsISK_E10value_typeEPNSQ_ISL_E10value_typeEPSM_NS1_7vsmem_tEENKUlT_SK_SL_SM_E_clIPbSD_PiSF_EESJ_SZ_SK_SL_SM_EUlSZ_E0_NS1_11comp_targetILNS1_3genE3ELNS1_11target_archE908ELNS1_3gpuE7ELNS1_3repE0EEENS1_38merge_mergepath_config_static_selectorELNS0_4arch9wavefront6targetE1EEEvSL_.has_recursion, 0
	.set _ZN7rocprim17ROCPRIM_400000_NS6detail17trampoline_kernelINS0_14default_configENS1_38merge_sort_block_merge_config_selectorIbiEEZZNS1_27merge_sort_block_merge_implIS3_N6thrust23THRUST_200600_302600_NS6detail15normal_iteratorINS8_10device_ptrIbEEEENSA_INSB_IiEEEEjNS1_19radix_merge_compareILb1ELb1EbNS0_19identity_decomposerEEEEE10hipError_tT0_T1_T2_jT3_P12ihipStream_tbPNSt15iterator_traitsISK_E10value_typeEPNSQ_ISL_E10value_typeEPSM_NS1_7vsmem_tEENKUlT_SK_SL_SM_E_clIPbSD_PiSF_EESJ_SZ_SK_SL_SM_EUlSZ_E0_NS1_11comp_targetILNS1_3genE3ELNS1_11target_archE908ELNS1_3gpuE7ELNS1_3repE0EEENS1_38merge_mergepath_config_static_selectorELNS0_4arch9wavefront6targetE1EEEvSL_.has_indirect_call, 0
	.section	.AMDGPU.csdata,"",@progbits
; Kernel info:
; codeLenInByte = 0
; TotalNumSgprs: 6
; NumVgprs: 0
; NumAgprs: 0
; TotalNumVgprs: 0
; ScratchSize: 0
; MemoryBound: 0
; FloatMode: 240
; IeeeMode: 1
; LDSByteSize: 0 bytes/workgroup (compile time only)
; SGPRBlocks: 0
; VGPRBlocks: 0
; NumSGPRsForWavesPerEU: 6
; NumVGPRsForWavesPerEU: 1
; AccumOffset: 4
; Occupancy: 8
; WaveLimiterHint : 0
; COMPUTE_PGM_RSRC2:SCRATCH_EN: 0
; COMPUTE_PGM_RSRC2:USER_SGPR: 2
; COMPUTE_PGM_RSRC2:TRAP_HANDLER: 0
; COMPUTE_PGM_RSRC2:TGID_X_EN: 1
; COMPUTE_PGM_RSRC2:TGID_Y_EN: 0
; COMPUTE_PGM_RSRC2:TGID_Z_EN: 0
; COMPUTE_PGM_RSRC2:TIDIG_COMP_CNT: 0
; COMPUTE_PGM_RSRC3_GFX90A:ACCUM_OFFSET: 0
; COMPUTE_PGM_RSRC3_GFX90A:TG_SPLIT: 0
	.section	.text._ZN7rocprim17ROCPRIM_400000_NS6detail17trampoline_kernelINS0_14default_configENS1_38merge_sort_block_merge_config_selectorIbiEEZZNS1_27merge_sort_block_merge_implIS3_N6thrust23THRUST_200600_302600_NS6detail15normal_iteratorINS8_10device_ptrIbEEEENSA_INSB_IiEEEEjNS1_19radix_merge_compareILb1ELb1EbNS0_19identity_decomposerEEEEE10hipError_tT0_T1_T2_jT3_P12ihipStream_tbPNSt15iterator_traitsISK_E10value_typeEPNSQ_ISL_E10value_typeEPSM_NS1_7vsmem_tEENKUlT_SK_SL_SM_E_clIPbSD_PiSF_EESJ_SZ_SK_SL_SM_EUlSZ_E0_NS1_11comp_targetILNS1_3genE2ELNS1_11target_archE906ELNS1_3gpuE6ELNS1_3repE0EEENS1_38merge_mergepath_config_static_selectorELNS0_4arch9wavefront6targetE1EEEvSL_,"axG",@progbits,_ZN7rocprim17ROCPRIM_400000_NS6detail17trampoline_kernelINS0_14default_configENS1_38merge_sort_block_merge_config_selectorIbiEEZZNS1_27merge_sort_block_merge_implIS3_N6thrust23THRUST_200600_302600_NS6detail15normal_iteratorINS8_10device_ptrIbEEEENSA_INSB_IiEEEEjNS1_19radix_merge_compareILb1ELb1EbNS0_19identity_decomposerEEEEE10hipError_tT0_T1_T2_jT3_P12ihipStream_tbPNSt15iterator_traitsISK_E10value_typeEPNSQ_ISL_E10value_typeEPSM_NS1_7vsmem_tEENKUlT_SK_SL_SM_E_clIPbSD_PiSF_EESJ_SZ_SK_SL_SM_EUlSZ_E0_NS1_11comp_targetILNS1_3genE2ELNS1_11target_archE906ELNS1_3gpuE6ELNS1_3repE0EEENS1_38merge_mergepath_config_static_selectorELNS0_4arch9wavefront6targetE1EEEvSL_,comdat
	.protected	_ZN7rocprim17ROCPRIM_400000_NS6detail17trampoline_kernelINS0_14default_configENS1_38merge_sort_block_merge_config_selectorIbiEEZZNS1_27merge_sort_block_merge_implIS3_N6thrust23THRUST_200600_302600_NS6detail15normal_iteratorINS8_10device_ptrIbEEEENSA_INSB_IiEEEEjNS1_19radix_merge_compareILb1ELb1EbNS0_19identity_decomposerEEEEE10hipError_tT0_T1_T2_jT3_P12ihipStream_tbPNSt15iterator_traitsISK_E10value_typeEPNSQ_ISL_E10value_typeEPSM_NS1_7vsmem_tEENKUlT_SK_SL_SM_E_clIPbSD_PiSF_EESJ_SZ_SK_SL_SM_EUlSZ_E0_NS1_11comp_targetILNS1_3genE2ELNS1_11target_archE906ELNS1_3gpuE6ELNS1_3repE0EEENS1_38merge_mergepath_config_static_selectorELNS0_4arch9wavefront6targetE1EEEvSL_ ; -- Begin function _ZN7rocprim17ROCPRIM_400000_NS6detail17trampoline_kernelINS0_14default_configENS1_38merge_sort_block_merge_config_selectorIbiEEZZNS1_27merge_sort_block_merge_implIS3_N6thrust23THRUST_200600_302600_NS6detail15normal_iteratorINS8_10device_ptrIbEEEENSA_INSB_IiEEEEjNS1_19radix_merge_compareILb1ELb1EbNS0_19identity_decomposerEEEEE10hipError_tT0_T1_T2_jT3_P12ihipStream_tbPNSt15iterator_traitsISK_E10value_typeEPNSQ_ISL_E10value_typeEPSM_NS1_7vsmem_tEENKUlT_SK_SL_SM_E_clIPbSD_PiSF_EESJ_SZ_SK_SL_SM_EUlSZ_E0_NS1_11comp_targetILNS1_3genE2ELNS1_11target_archE906ELNS1_3gpuE6ELNS1_3repE0EEENS1_38merge_mergepath_config_static_selectorELNS0_4arch9wavefront6targetE1EEEvSL_
	.globl	_ZN7rocprim17ROCPRIM_400000_NS6detail17trampoline_kernelINS0_14default_configENS1_38merge_sort_block_merge_config_selectorIbiEEZZNS1_27merge_sort_block_merge_implIS3_N6thrust23THRUST_200600_302600_NS6detail15normal_iteratorINS8_10device_ptrIbEEEENSA_INSB_IiEEEEjNS1_19radix_merge_compareILb1ELb1EbNS0_19identity_decomposerEEEEE10hipError_tT0_T1_T2_jT3_P12ihipStream_tbPNSt15iterator_traitsISK_E10value_typeEPNSQ_ISL_E10value_typeEPSM_NS1_7vsmem_tEENKUlT_SK_SL_SM_E_clIPbSD_PiSF_EESJ_SZ_SK_SL_SM_EUlSZ_E0_NS1_11comp_targetILNS1_3genE2ELNS1_11target_archE906ELNS1_3gpuE6ELNS1_3repE0EEENS1_38merge_mergepath_config_static_selectorELNS0_4arch9wavefront6targetE1EEEvSL_
	.p2align	8
	.type	_ZN7rocprim17ROCPRIM_400000_NS6detail17trampoline_kernelINS0_14default_configENS1_38merge_sort_block_merge_config_selectorIbiEEZZNS1_27merge_sort_block_merge_implIS3_N6thrust23THRUST_200600_302600_NS6detail15normal_iteratorINS8_10device_ptrIbEEEENSA_INSB_IiEEEEjNS1_19radix_merge_compareILb1ELb1EbNS0_19identity_decomposerEEEEE10hipError_tT0_T1_T2_jT3_P12ihipStream_tbPNSt15iterator_traitsISK_E10value_typeEPNSQ_ISL_E10value_typeEPSM_NS1_7vsmem_tEENKUlT_SK_SL_SM_E_clIPbSD_PiSF_EESJ_SZ_SK_SL_SM_EUlSZ_E0_NS1_11comp_targetILNS1_3genE2ELNS1_11target_archE906ELNS1_3gpuE6ELNS1_3repE0EEENS1_38merge_mergepath_config_static_selectorELNS0_4arch9wavefront6targetE1EEEvSL_,@function
_ZN7rocprim17ROCPRIM_400000_NS6detail17trampoline_kernelINS0_14default_configENS1_38merge_sort_block_merge_config_selectorIbiEEZZNS1_27merge_sort_block_merge_implIS3_N6thrust23THRUST_200600_302600_NS6detail15normal_iteratorINS8_10device_ptrIbEEEENSA_INSB_IiEEEEjNS1_19radix_merge_compareILb1ELb1EbNS0_19identity_decomposerEEEEE10hipError_tT0_T1_T2_jT3_P12ihipStream_tbPNSt15iterator_traitsISK_E10value_typeEPNSQ_ISL_E10value_typeEPSM_NS1_7vsmem_tEENKUlT_SK_SL_SM_E_clIPbSD_PiSF_EESJ_SZ_SK_SL_SM_EUlSZ_E0_NS1_11comp_targetILNS1_3genE2ELNS1_11target_archE906ELNS1_3gpuE6ELNS1_3repE0EEENS1_38merge_mergepath_config_static_selectorELNS0_4arch9wavefront6targetE1EEEvSL_: ; @_ZN7rocprim17ROCPRIM_400000_NS6detail17trampoline_kernelINS0_14default_configENS1_38merge_sort_block_merge_config_selectorIbiEEZZNS1_27merge_sort_block_merge_implIS3_N6thrust23THRUST_200600_302600_NS6detail15normal_iteratorINS8_10device_ptrIbEEEENSA_INSB_IiEEEEjNS1_19radix_merge_compareILb1ELb1EbNS0_19identity_decomposerEEEEE10hipError_tT0_T1_T2_jT3_P12ihipStream_tbPNSt15iterator_traitsISK_E10value_typeEPNSQ_ISL_E10value_typeEPSM_NS1_7vsmem_tEENKUlT_SK_SL_SM_E_clIPbSD_PiSF_EESJ_SZ_SK_SL_SM_EUlSZ_E0_NS1_11comp_targetILNS1_3genE2ELNS1_11target_archE906ELNS1_3gpuE6ELNS1_3repE0EEENS1_38merge_mergepath_config_static_selectorELNS0_4arch9wavefront6targetE1EEEvSL_
; %bb.0:
	.section	.rodata,"a",@progbits
	.p2align	6, 0x0
	.amdhsa_kernel _ZN7rocprim17ROCPRIM_400000_NS6detail17trampoline_kernelINS0_14default_configENS1_38merge_sort_block_merge_config_selectorIbiEEZZNS1_27merge_sort_block_merge_implIS3_N6thrust23THRUST_200600_302600_NS6detail15normal_iteratorINS8_10device_ptrIbEEEENSA_INSB_IiEEEEjNS1_19radix_merge_compareILb1ELb1EbNS0_19identity_decomposerEEEEE10hipError_tT0_T1_T2_jT3_P12ihipStream_tbPNSt15iterator_traitsISK_E10value_typeEPNSQ_ISL_E10value_typeEPSM_NS1_7vsmem_tEENKUlT_SK_SL_SM_E_clIPbSD_PiSF_EESJ_SZ_SK_SL_SM_EUlSZ_E0_NS1_11comp_targetILNS1_3genE2ELNS1_11target_archE906ELNS1_3gpuE6ELNS1_3repE0EEENS1_38merge_mergepath_config_static_selectorELNS0_4arch9wavefront6targetE1EEEvSL_
		.amdhsa_group_segment_fixed_size 0
		.amdhsa_private_segment_fixed_size 0
		.amdhsa_kernarg_size 64
		.amdhsa_user_sgpr_count 2
		.amdhsa_user_sgpr_dispatch_ptr 0
		.amdhsa_user_sgpr_queue_ptr 0
		.amdhsa_user_sgpr_kernarg_segment_ptr 1
		.amdhsa_user_sgpr_dispatch_id 0
		.amdhsa_user_sgpr_kernarg_preload_length 0
		.amdhsa_user_sgpr_kernarg_preload_offset 0
		.amdhsa_user_sgpr_private_segment_size 0
		.amdhsa_uses_dynamic_stack 0
		.amdhsa_enable_private_segment 0
		.amdhsa_system_sgpr_workgroup_id_x 1
		.amdhsa_system_sgpr_workgroup_id_y 0
		.amdhsa_system_sgpr_workgroup_id_z 0
		.amdhsa_system_sgpr_workgroup_info 0
		.amdhsa_system_vgpr_workitem_id 0
		.amdhsa_next_free_vgpr 1
		.amdhsa_next_free_sgpr 0
		.amdhsa_accum_offset 4
		.amdhsa_reserve_vcc 0
		.amdhsa_float_round_mode_32 0
		.amdhsa_float_round_mode_16_64 0
		.amdhsa_float_denorm_mode_32 3
		.amdhsa_float_denorm_mode_16_64 3
		.amdhsa_dx10_clamp 1
		.amdhsa_ieee_mode 1
		.amdhsa_fp16_overflow 0
		.amdhsa_tg_split 0
		.amdhsa_exception_fp_ieee_invalid_op 0
		.amdhsa_exception_fp_denorm_src 0
		.amdhsa_exception_fp_ieee_div_zero 0
		.amdhsa_exception_fp_ieee_overflow 0
		.amdhsa_exception_fp_ieee_underflow 0
		.amdhsa_exception_fp_ieee_inexact 0
		.amdhsa_exception_int_div_zero 0
	.end_amdhsa_kernel
	.section	.text._ZN7rocprim17ROCPRIM_400000_NS6detail17trampoline_kernelINS0_14default_configENS1_38merge_sort_block_merge_config_selectorIbiEEZZNS1_27merge_sort_block_merge_implIS3_N6thrust23THRUST_200600_302600_NS6detail15normal_iteratorINS8_10device_ptrIbEEEENSA_INSB_IiEEEEjNS1_19radix_merge_compareILb1ELb1EbNS0_19identity_decomposerEEEEE10hipError_tT0_T1_T2_jT3_P12ihipStream_tbPNSt15iterator_traitsISK_E10value_typeEPNSQ_ISL_E10value_typeEPSM_NS1_7vsmem_tEENKUlT_SK_SL_SM_E_clIPbSD_PiSF_EESJ_SZ_SK_SL_SM_EUlSZ_E0_NS1_11comp_targetILNS1_3genE2ELNS1_11target_archE906ELNS1_3gpuE6ELNS1_3repE0EEENS1_38merge_mergepath_config_static_selectorELNS0_4arch9wavefront6targetE1EEEvSL_,"axG",@progbits,_ZN7rocprim17ROCPRIM_400000_NS6detail17trampoline_kernelINS0_14default_configENS1_38merge_sort_block_merge_config_selectorIbiEEZZNS1_27merge_sort_block_merge_implIS3_N6thrust23THRUST_200600_302600_NS6detail15normal_iteratorINS8_10device_ptrIbEEEENSA_INSB_IiEEEEjNS1_19radix_merge_compareILb1ELb1EbNS0_19identity_decomposerEEEEE10hipError_tT0_T1_T2_jT3_P12ihipStream_tbPNSt15iterator_traitsISK_E10value_typeEPNSQ_ISL_E10value_typeEPSM_NS1_7vsmem_tEENKUlT_SK_SL_SM_E_clIPbSD_PiSF_EESJ_SZ_SK_SL_SM_EUlSZ_E0_NS1_11comp_targetILNS1_3genE2ELNS1_11target_archE906ELNS1_3gpuE6ELNS1_3repE0EEENS1_38merge_mergepath_config_static_selectorELNS0_4arch9wavefront6targetE1EEEvSL_,comdat
.Lfunc_end2165:
	.size	_ZN7rocprim17ROCPRIM_400000_NS6detail17trampoline_kernelINS0_14default_configENS1_38merge_sort_block_merge_config_selectorIbiEEZZNS1_27merge_sort_block_merge_implIS3_N6thrust23THRUST_200600_302600_NS6detail15normal_iteratorINS8_10device_ptrIbEEEENSA_INSB_IiEEEEjNS1_19radix_merge_compareILb1ELb1EbNS0_19identity_decomposerEEEEE10hipError_tT0_T1_T2_jT3_P12ihipStream_tbPNSt15iterator_traitsISK_E10value_typeEPNSQ_ISL_E10value_typeEPSM_NS1_7vsmem_tEENKUlT_SK_SL_SM_E_clIPbSD_PiSF_EESJ_SZ_SK_SL_SM_EUlSZ_E0_NS1_11comp_targetILNS1_3genE2ELNS1_11target_archE906ELNS1_3gpuE6ELNS1_3repE0EEENS1_38merge_mergepath_config_static_selectorELNS0_4arch9wavefront6targetE1EEEvSL_, .Lfunc_end2165-_ZN7rocprim17ROCPRIM_400000_NS6detail17trampoline_kernelINS0_14default_configENS1_38merge_sort_block_merge_config_selectorIbiEEZZNS1_27merge_sort_block_merge_implIS3_N6thrust23THRUST_200600_302600_NS6detail15normal_iteratorINS8_10device_ptrIbEEEENSA_INSB_IiEEEEjNS1_19radix_merge_compareILb1ELb1EbNS0_19identity_decomposerEEEEE10hipError_tT0_T1_T2_jT3_P12ihipStream_tbPNSt15iterator_traitsISK_E10value_typeEPNSQ_ISL_E10value_typeEPSM_NS1_7vsmem_tEENKUlT_SK_SL_SM_E_clIPbSD_PiSF_EESJ_SZ_SK_SL_SM_EUlSZ_E0_NS1_11comp_targetILNS1_3genE2ELNS1_11target_archE906ELNS1_3gpuE6ELNS1_3repE0EEENS1_38merge_mergepath_config_static_selectorELNS0_4arch9wavefront6targetE1EEEvSL_
                                        ; -- End function
	.set _ZN7rocprim17ROCPRIM_400000_NS6detail17trampoline_kernelINS0_14default_configENS1_38merge_sort_block_merge_config_selectorIbiEEZZNS1_27merge_sort_block_merge_implIS3_N6thrust23THRUST_200600_302600_NS6detail15normal_iteratorINS8_10device_ptrIbEEEENSA_INSB_IiEEEEjNS1_19radix_merge_compareILb1ELb1EbNS0_19identity_decomposerEEEEE10hipError_tT0_T1_T2_jT3_P12ihipStream_tbPNSt15iterator_traitsISK_E10value_typeEPNSQ_ISL_E10value_typeEPSM_NS1_7vsmem_tEENKUlT_SK_SL_SM_E_clIPbSD_PiSF_EESJ_SZ_SK_SL_SM_EUlSZ_E0_NS1_11comp_targetILNS1_3genE2ELNS1_11target_archE906ELNS1_3gpuE6ELNS1_3repE0EEENS1_38merge_mergepath_config_static_selectorELNS0_4arch9wavefront6targetE1EEEvSL_.num_vgpr, 0
	.set _ZN7rocprim17ROCPRIM_400000_NS6detail17trampoline_kernelINS0_14default_configENS1_38merge_sort_block_merge_config_selectorIbiEEZZNS1_27merge_sort_block_merge_implIS3_N6thrust23THRUST_200600_302600_NS6detail15normal_iteratorINS8_10device_ptrIbEEEENSA_INSB_IiEEEEjNS1_19radix_merge_compareILb1ELb1EbNS0_19identity_decomposerEEEEE10hipError_tT0_T1_T2_jT3_P12ihipStream_tbPNSt15iterator_traitsISK_E10value_typeEPNSQ_ISL_E10value_typeEPSM_NS1_7vsmem_tEENKUlT_SK_SL_SM_E_clIPbSD_PiSF_EESJ_SZ_SK_SL_SM_EUlSZ_E0_NS1_11comp_targetILNS1_3genE2ELNS1_11target_archE906ELNS1_3gpuE6ELNS1_3repE0EEENS1_38merge_mergepath_config_static_selectorELNS0_4arch9wavefront6targetE1EEEvSL_.num_agpr, 0
	.set _ZN7rocprim17ROCPRIM_400000_NS6detail17trampoline_kernelINS0_14default_configENS1_38merge_sort_block_merge_config_selectorIbiEEZZNS1_27merge_sort_block_merge_implIS3_N6thrust23THRUST_200600_302600_NS6detail15normal_iteratorINS8_10device_ptrIbEEEENSA_INSB_IiEEEEjNS1_19radix_merge_compareILb1ELb1EbNS0_19identity_decomposerEEEEE10hipError_tT0_T1_T2_jT3_P12ihipStream_tbPNSt15iterator_traitsISK_E10value_typeEPNSQ_ISL_E10value_typeEPSM_NS1_7vsmem_tEENKUlT_SK_SL_SM_E_clIPbSD_PiSF_EESJ_SZ_SK_SL_SM_EUlSZ_E0_NS1_11comp_targetILNS1_3genE2ELNS1_11target_archE906ELNS1_3gpuE6ELNS1_3repE0EEENS1_38merge_mergepath_config_static_selectorELNS0_4arch9wavefront6targetE1EEEvSL_.numbered_sgpr, 0
	.set _ZN7rocprim17ROCPRIM_400000_NS6detail17trampoline_kernelINS0_14default_configENS1_38merge_sort_block_merge_config_selectorIbiEEZZNS1_27merge_sort_block_merge_implIS3_N6thrust23THRUST_200600_302600_NS6detail15normal_iteratorINS8_10device_ptrIbEEEENSA_INSB_IiEEEEjNS1_19radix_merge_compareILb1ELb1EbNS0_19identity_decomposerEEEEE10hipError_tT0_T1_T2_jT3_P12ihipStream_tbPNSt15iterator_traitsISK_E10value_typeEPNSQ_ISL_E10value_typeEPSM_NS1_7vsmem_tEENKUlT_SK_SL_SM_E_clIPbSD_PiSF_EESJ_SZ_SK_SL_SM_EUlSZ_E0_NS1_11comp_targetILNS1_3genE2ELNS1_11target_archE906ELNS1_3gpuE6ELNS1_3repE0EEENS1_38merge_mergepath_config_static_selectorELNS0_4arch9wavefront6targetE1EEEvSL_.num_named_barrier, 0
	.set _ZN7rocprim17ROCPRIM_400000_NS6detail17trampoline_kernelINS0_14default_configENS1_38merge_sort_block_merge_config_selectorIbiEEZZNS1_27merge_sort_block_merge_implIS3_N6thrust23THRUST_200600_302600_NS6detail15normal_iteratorINS8_10device_ptrIbEEEENSA_INSB_IiEEEEjNS1_19radix_merge_compareILb1ELb1EbNS0_19identity_decomposerEEEEE10hipError_tT0_T1_T2_jT3_P12ihipStream_tbPNSt15iterator_traitsISK_E10value_typeEPNSQ_ISL_E10value_typeEPSM_NS1_7vsmem_tEENKUlT_SK_SL_SM_E_clIPbSD_PiSF_EESJ_SZ_SK_SL_SM_EUlSZ_E0_NS1_11comp_targetILNS1_3genE2ELNS1_11target_archE906ELNS1_3gpuE6ELNS1_3repE0EEENS1_38merge_mergepath_config_static_selectorELNS0_4arch9wavefront6targetE1EEEvSL_.private_seg_size, 0
	.set _ZN7rocprim17ROCPRIM_400000_NS6detail17trampoline_kernelINS0_14default_configENS1_38merge_sort_block_merge_config_selectorIbiEEZZNS1_27merge_sort_block_merge_implIS3_N6thrust23THRUST_200600_302600_NS6detail15normal_iteratorINS8_10device_ptrIbEEEENSA_INSB_IiEEEEjNS1_19radix_merge_compareILb1ELb1EbNS0_19identity_decomposerEEEEE10hipError_tT0_T1_T2_jT3_P12ihipStream_tbPNSt15iterator_traitsISK_E10value_typeEPNSQ_ISL_E10value_typeEPSM_NS1_7vsmem_tEENKUlT_SK_SL_SM_E_clIPbSD_PiSF_EESJ_SZ_SK_SL_SM_EUlSZ_E0_NS1_11comp_targetILNS1_3genE2ELNS1_11target_archE906ELNS1_3gpuE6ELNS1_3repE0EEENS1_38merge_mergepath_config_static_selectorELNS0_4arch9wavefront6targetE1EEEvSL_.uses_vcc, 0
	.set _ZN7rocprim17ROCPRIM_400000_NS6detail17trampoline_kernelINS0_14default_configENS1_38merge_sort_block_merge_config_selectorIbiEEZZNS1_27merge_sort_block_merge_implIS3_N6thrust23THRUST_200600_302600_NS6detail15normal_iteratorINS8_10device_ptrIbEEEENSA_INSB_IiEEEEjNS1_19radix_merge_compareILb1ELb1EbNS0_19identity_decomposerEEEEE10hipError_tT0_T1_T2_jT3_P12ihipStream_tbPNSt15iterator_traitsISK_E10value_typeEPNSQ_ISL_E10value_typeEPSM_NS1_7vsmem_tEENKUlT_SK_SL_SM_E_clIPbSD_PiSF_EESJ_SZ_SK_SL_SM_EUlSZ_E0_NS1_11comp_targetILNS1_3genE2ELNS1_11target_archE906ELNS1_3gpuE6ELNS1_3repE0EEENS1_38merge_mergepath_config_static_selectorELNS0_4arch9wavefront6targetE1EEEvSL_.uses_flat_scratch, 0
	.set _ZN7rocprim17ROCPRIM_400000_NS6detail17trampoline_kernelINS0_14default_configENS1_38merge_sort_block_merge_config_selectorIbiEEZZNS1_27merge_sort_block_merge_implIS3_N6thrust23THRUST_200600_302600_NS6detail15normal_iteratorINS8_10device_ptrIbEEEENSA_INSB_IiEEEEjNS1_19radix_merge_compareILb1ELb1EbNS0_19identity_decomposerEEEEE10hipError_tT0_T1_T2_jT3_P12ihipStream_tbPNSt15iterator_traitsISK_E10value_typeEPNSQ_ISL_E10value_typeEPSM_NS1_7vsmem_tEENKUlT_SK_SL_SM_E_clIPbSD_PiSF_EESJ_SZ_SK_SL_SM_EUlSZ_E0_NS1_11comp_targetILNS1_3genE2ELNS1_11target_archE906ELNS1_3gpuE6ELNS1_3repE0EEENS1_38merge_mergepath_config_static_selectorELNS0_4arch9wavefront6targetE1EEEvSL_.has_dyn_sized_stack, 0
	.set _ZN7rocprim17ROCPRIM_400000_NS6detail17trampoline_kernelINS0_14default_configENS1_38merge_sort_block_merge_config_selectorIbiEEZZNS1_27merge_sort_block_merge_implIS3_N6thrust23THRUST_200600_302600_NS6detail15normal_iteratorINS8_10device_ptrIbEEEENSA_INSB_IiEEEEjNS1_19radix_merge_compareILb1ELb1EbNS0_19identity_decomposerEEEEE10hipError_tT0_T1_T2_jT3_P12ihipStream_tbPNSt15iterator_traitsISK_E10value_typeEPNSQ_ISL_E10value_typeEPSM_NS1_7vsmem_tEENKUlT_SK_SL_SM_E_clIPbSD_PiSF_EESJ_SZ_SK_SL_SM_EUlSZ_E0_NS1_11comp_targetILNS1_3genE2ELNS1_11target_archE906ELNS1_3gpuE6ELNS1_3repE0EEENS1_38merge_mergepath_config_static_selectorELNS0_4arch9wavefront6targetE1EEEvSL_.has_recursion, 0
	.set _ZN7rocprim17ROCPRIM_400000_NS6detail17trampoline_kernelINS0_14default_configENS1_38merge_sort_block_merge_config_selectorIbiEEZZNS1_27merge_sort_block_merge_implIS3_N6thrust23THRUST_200600_302600_NS6detail15normal_iteratorINS8_10device_ptrIbEEEENSA_INSB_IiEEEEjNS1_19radix_merge_compareILb1ELb1EbNS0_19identity_decomposerEEEEE10hipError_tT0_T1_T2_jT3_P12ihipStream_tbPNSt15iterator_traitsISK_E10value_typeEPNSQ_ISL_E10value_typeEPSM_NS1_7vsmem_tEENKUlT_SK_SL_SM_E_clIPbSD_PiSF_EESJ_SZ_SK_SL_SM_EUlSZ_E0_NS1_11comp_targetILNS1_3genE2ELNS1_11target_archE906ELNS1_3gpuE6ELNS1_3repE0EEENS1_38merge_mergepath_config_static_selectorELNS0_4arch9wavefront6targetE1EEEvSL_.has_indirect_call, 0
	.section	.AMDGPU.csdata,"",@progbits
; Kernel info:
; codeLenInByte = 0
; TotalNumSgprs: 6
; NumVgprs: 0
; NumAgprs: 0
; TotalNumVgprs: 0
; ScratchSize: 0
; MemoryBound: 0
; FloatMode: 240
; IeeeMode: 1
; LDSByteSize: 0 bytes/workgroup (compile time only)
; SGPRBlocks: 0
; VGPRBlocks: 0
; NumSGPRsForWavesPerEU: 6
; NumVGPRsForWavesPerEU: 1
; AccumOffset: 4
; Occupancy: 8
; WaveLimiterHint : 0
; COMPUTE_PGM_RSRC2:SCRATCH_EN: 0
; COMPUTE_PGM_RSRC2:USER_SGPR: 2
; COMPUTE_PGM_RSRC2:TRAP_HANDLER: 0
; COMPUTE_PGM_RSRC2:TGID_X_EN: 1
; COMPUTE_PGM_RSRC2:TGID_Y_EN: 0
; COMPUTE_PGM_RSRC2:TGID_Z_EN: 0
; COMPUTE_PGM_RSRC2:TIDIG_COMP_CNT: 0
; COMPUTE_PGM_RSRC3_GFX90A:ACCUM_OFFSET: 0
; COMPUTE_PGM_RSRC3_GFX90A:TG_SPLIT: 0
	.section	.text._ZN7rocprim17ROCPRIM_400000_NS6detail17trampoline_kernelINS0_14default_configENS1_38merge_sort_block_merge_config_selectorIbiEEZZNS1_27merge_sort_block_merge_implIS3_N6thrust23THRUST_200600_302600_NS6detail15normal_iteratorINS8_10device_ptrIbEEEENSA_INSB_IiEEEEjNS1_19radix_merge_compareILb1ELb1EbNS0_19identity_decomposerEEEEE10hipError_tT0_T1_T2_jT3_P12ihipStream_tbPNSt15iterator_traitsISK_E10value_typeEPNSQ_ISL_E10value_typeEPSM_NS1_7vsmem_tEENKUlT_SK_SL_SM_E_clIPbSD_PiSF_EESJ_SZ_SK_SL_SM_EUlSZ_E0_NS1_11comp_targetILNS1_3genE9ELNS1_11target_archE1100ELNS1_3gpuE3ELNS1_3repE0EEENS1_38merge_mergepath_config_static_selectorELNS0_4arch9wavefront6targetE1EEEvSL_,"axG",@progbits,_ZN7rocprim17ROCPRIM_400000_NS6detail17trampoline_kernelINS0_14default_configENS1_38merge_sort_block_merge_config_selectorIbiEEZZNS1_27merge_sort_block_merge_implIS3_N6thrust23THRUST_200600_302600_NS6detail15normal_iteratorINS8_10device_ptrIbEEEENSA_INSB_IiEEEEjNS1_19radix_merge_compareILb1ELb1EbNS0_19identity_decomposerEEEEE10hipError_tT0_T1_T2_jT3_P12ihipStream_tbPNSt15iterator_traitsISK_E10value_typeEPNSQ_ISL_E10value_typeEPSM_NS1_7vsmem_tEENKUlT_SK_SL_SM_E_clIPbSD_PiSF_EESJ_SZ_SK_SL_SM_EUlSZ_E0_NS1_11comp_targetILNS1_3genE9ELNS1_11target_archE1100ELNS1_3gpuE3ELNS1_3repE0EEENS1_38merge_mergepath_config_static_selectorELNS0_4arch9wavefront6targetE1EEEvSL_,comdat
	.protected	_ZN7rocprim17ROCPRIM_400000_NS6detail17trampoline_kernelINS0_14default_configENS1_38merge_sort_block_merge_config_selectorIbiEEZZNS1_27merge_sort_block_merge_implIS3_N6thrust23THRUST_200600_302600_NS6detail15normal_iteratorINS8_10device_ptrIbEEEENSA_INSB_IiEEEEjNS1_19radix_merge_compareILb1ELb1EbNS0_19identity_decomposerEEEEE10hipError_tT0_T1_T2_jT3_P12ihipStream_tbPNSt15iterator_traitsISK_E10value_typeEPNSQ_ISL_E10value_typeEPSM_NS1_7vsmem_tEENKUlT_SK_SL_SM_E_clIPbSD_PiSF_EESJ_SZ_SK_SL_SM_EUlSZ_E0_NS1_11comp_targetILNS1_3genE9ELNS1_11target_archE1100ELNS1_3gpuE3ELNS1_3repE0EEENS1_38merge_mergepath_config_static_selectorELNS0_4arch9wavefront6targetE1EEEvSL_ ; -- Begin function _ZN7rocprim17ROCPRIM_400000_NS6detail17trampoline_kernelINS0_14default_configENS1_38merge_sort_block_merge_config_selectorIbiEEZZNS1_27merge_sort_block_merge_implIS3_N6thrust23THRUST_200600_302600_NS6detail15normal_iteratorINS8_10device_ptrIbEEEENSA_INSB_IiEEEEjNS1_19radix_merge_compareILb1ELb1EbNS0_19identity_decomposerEEEEE10hipError_tT0_T1_T2_jT3_P12ihipStream_tbPNSt15iterator_traitsISK_E10value_typeEPNSQ_ISL_E10value_typeEPSM_NS1_7vsmem_tEENKUlT_SK_SL_SM_E_clIPbSD_PiSF_EESJ_SZ_SK_SL_SM_EUlSZ_E0_NS1_11comp_targetILNS1_3genE9ELNS1_11target_archE1100ELNS1_3gpuE3ELNS1_3repE0EEENS1_38merge_mergepath_config_static_selectorELNS0_4arch9wavefront6targetE1EEEvSL_
	.globl	_ZN7rocprim17ROCPRIM_400000_NS6detail17trampoline_kernelINS0_14default_configENS1_38merge_sort_block_merge_config_selectorIbiEEZZNS1_27merge_sort_block_merge_implIS3_N6thrust23THRUST_200600_302600_NS6detail15normal_iteratorINS8_10device_ptrIbEEEENSA_INSB_IiEEEEjNS1_19radix_merge_compareILb1ELb1EbNS0_19identity_decomposerEEEEE10hipError_tT0_T1_T2_jT3_P12ihipStream_tbPNSt15iterator_traitsISK_E10value_typeEPNSQ_ISL_E10value_typeEPSM_NS1_7vsmem_tEENKUlT_SK_SL_SM_E_clIPbSD_PiSF_EESJ_SZ_SK_SL_SM_EUlSZ_E0_NS1_11comp_targetILNS1_3genE9ELNS1_11target_archE1100ELNS1_3gpuE3ELNS1_3repE0EEENS1_38merge_mergepath_config_static_selectorELNS0_4arch9wavefront6targetE1EEEvSL_
	.p2align	8
	.type	_ZN7rocprim17ROCPRIM_400000_NS6detail17trampoline_kernelINS0_14default_configENS1_38merge_sort_block_merge_config_selectorIbiEEZZNS1_27merge_sort_block_merge_implIS3_N6thrust23THRUST_200600_302600_NS6detail15normal_iteratorINS8_10device_ptrIbEEEENSA_INSB_IiEEEEjNS1_19radix_merge_compareILb1ELb1EbNS0_19identity_decomposerEEEEE10hipError_tT0_T1_T2_jT3_P12ihipStream_tbPNSt15iterator_traitsISK_E10value_typeEPNSQ_ISL_E10value_typeEPSM_NS1_7vsmem_tEENKUlT_SK_SL_SM_E_clIPbSD_PiSF_EESJ_SZ_SK_SL_SM_EUlSZ_E0_NS1_11comp_targetILNS1_3genE9ELNS1_11target_archE1100ELNS1_3gpuE3ELNS1_3repE0EEENS1_38merge_mergepath_config_static_selectorELNS0_4arch9wavefront6targetE1EEEvSL_,@function
_ZN7rocprim17ROCPRIM_400000_NS6detail17trampoline_kernelINS0_14default_configENS1_38merge_sort_block_merge_config_selectorIbiEEZZNS1_27merge_sort_block_merge_implIS3_N6thrust23THRUST_200600_302600_NS6detail15normal_iteratorINS8_10device_ptrIbEEEENSA_INSB_IiEEEEjNS1_19radix_merge_compareILb1ELb1EbNS0_19identity_decomposerEEEEE10hipError_tT0_T1_T2_jT3_P12ihipStream_tbPNSt15iterator_traitsISK_E10value_typeEPNSQ_ISL_E10value_typeEPSM_NS1_7vsmem_tEENKUlT_SK_SL_SM_E_clIPbSD_PiSF_EESJ_SZ_SK_SL_SM_EUlSZ_E0_NS1_11comp_targetILNS1_3genE9ELNS1_11target_archE1100ELNS1_3gpuE3ELNS1_3repE0EEENS1_38merge_mergepath_config_static_selectorELNS0_4arch9wavefront6targetE1EEEvSL_: ; @_ZN7rocprim17ROCPRIM_400000_NS6detail17trampoline_kernelINS0_14default_configENS1_38merge_sort_block_merge_config_selectorIbiEEZZNS1_27merge_sort_block_merge_implIS3_N6thrust23THRUST_200600_302600_NS6detail15normal_iteratorINS8_10device_ptrIbEEEENSA_INSB_IiEEEEjNS1_19radix_merge_compareILb1ELb1EbNS0_19identity_decomposerEEEEE10hipError_tT0_T1_T2_jT3_P12ihipStream_tbPNSt15iterator_traitsISK_E10value_typeEPNSQ_ISL_E10value_typeEPSM_NS1_7vsmem_tEENKUlT_SK_SL_SM_E_clIPbSD_PiSF_EESJ_SZ_SK_SL_SM_EUlSZ_E0_NS1_11comp_targetILNS1_3genE9ELNS1_11target_archE1100ELNS1_3gpuE3ELNS1_3repE0EEENS1_38merge_mergepath_config_static_selectorELNS0_4arch9wavefront6targetE1EEEvSL_
; %bb.0:
	.section	.rodata,"a",@progbits
	.p2align	6, 0x0
	.amdhsa_kernel _ZN7rocprim17ROCPRIM_400000_NS6detail17trampoline_kernelINS0_14default_configENS1_38merge_sort_block_merge_config_selectorIbiEEZZNS1_27merge_sort_block_merge_implIS3_N6thrust23THRUST_200600_302600_NS6detail15normal_iteratorINS8_10device_ptrIbEEEENSA_INSB_IiEEEEjNS1_19radix_merge_compareILb1ELb1EbNS0_19identity_decomposerEEEEE10hipError_tT0_T1_T2_jT3_P12ihipStream_tbPNSt15iterator_traitsISK_E10value_typeEPNSQ_ISL_E10value_typeEPSM_NS1_7vsmem_tEENKUlT_SK_SL_SM_E_clIPbSD_PiSF_EESJ_SZ_SK_SL_SM_EUlSZ_E0_NS1_11comp_targetILNS1_3genE9ELNS1_11target_archE1100ELNS1_3gpuE3ELNS1_3repE0EEENS1_38merge_mergepath_config_static_selectorELNS0_4arch9wavefront6targetE1EEEvSL_
		.amdhsa_group_segment_fixed_size 0
		.amdhsa_private_segment_fixed_size 0
		.amdhsa_kernarg_size 64
		.amdhsa_user_sgpr_count 2
		.amdhsa_user_sgpr_dispatch_ptr 0
		.amdhsa_user_sgpr_queue_ptr 0
		.amdhsa_user_sgpr_kernarg_segment_ptr 1
		.amdhsa_user_sgpr_dispatch_id 0
		.amdhsa_user_sgpr_kernarg_preload_length 0
		.amdhsa_user_sgpr_kernarg_preload_offset 0
		.amdhsa_user_sgpr_private_segment_size 0
		.amdhsa_uses_dynamic_stack 0
		.amdhsa_enable_private_segment 0
		.amdhsa_system_sgpr_workgroup_id_x 1
		.amdhsa_system_sgpr_workgroup_id_y 0
		.amdhsa_system_sgpr_workgroup_id_z 0
		.amdhsa_system_sgpr_workgroup_info 0
		.amdhsa_system_vgpr_workitem_id 0
		.amdhsa_next_free_vgpr 1
		.amdhsa_next_free_sgpr 0
		.amdhsa_accum_offset 4
		.amdhsa_reserve_vcc 0
		.amdhsa_float_round_mode_32 0
		.amdhsa_float_round_mode_16_64 0
		.amdhsa_float_denorm_mode_32 3
		.amdhsa_float_denorm_mode_16_64 3
		.amdhsa_dx10_clamp 1
		.amdhsa_ieee_mode 1
		.amdhsa_fp16_overflow 0
		.amdhsa_tg_split 0
		.amdhsa_exception_fp_ieee_invalid_op 0
		.amdhsa_exception_fp_denorm_src 0
		.amdhsa_exception_fp_ieee_div_zero 0
		.amdhsa_exception_fp_ieee_overflow 0
		.amdhsa_exception_fp_ieee_underflow 0
		.amdhsa_exception_fp_ieee_inexact 0
		.amdhsa_exception_int_div_zero 0
	.end_amdhsa_kernel
	.section	.text._ZN7rocprim17ROCPRIM_400000_NS6detail17trampoline_kernelINS0_14default_configENS1_38merge_sort_block_merge_config_selectorIbiEEZZNS1_27merge_sort_block_merge_implIS3_N6thrust23THRUST_200600_302600_NS6detail15normal_iteratorINS8_10device_ptrIbEEEENSA_INSB_IiEEEEjNS1_19radix_merge_compareILb1ELb1EbNS0_19identity_decomposerEEEEE10hipError_tT0_T1_T2_jT3_P12ihipStream_tbPNSt15iterator_traitsISK_E10value_typeEPNSQ_ISL_E10value_typeEPSM_NS1_7vsmem_tEENKUlT_SK_SL_SM_E_clIPbSD_PiSF_EESJ_SZ_SK_SL_SM_EUlSZ_E0_NS1_11comp_targetILNS1_3genE9ELNS1_11target_archE1100ELNS1_3gpuE3ELNS1_3repE0EEENS1_38merge_mergepath_config_static_selectorELNS0_4arch9wavefront6targetE1EEEvSL_,"axG",@progbits,_ZN7rocprim17ROCPRIM_400000_NS6detail17trampoline_kernelINS0_14default_configENS1_38merge_sort_block_merge_config_selectorIbiEEZZNS1_27merge_sort_block_merge_implIS3_N6thrust23THRUST_200600_302600_NS6detail15normal_iteratorINS8_10device_ptrIbEEEENSA_INSB_IiEEEEjNS1_19radix_merge_compareILb1ELb1EbNS0_19identity_decomposerEEEEE10hipError_tT0_T1_T2_jT3_P12ihipStream_tbPNSt15iterator_traitsISK_E10value_typeEPNSQ_ISL_E10value_typeEPSM_NS1_7vsmem_tEENKUlT_SK_SL_SM_E_clIPbSD_PiSF_EESJ_SZ_SK_SL_SM_EUlSZ_E0_NS1_11comp_targetILNS1_3genE9ELNS1_11target_archE1100ELNS1_3gpuE3ELNS1_3repE0EEENS1_38merge_mergepath_config_static_selectorELNS0_4arch9wavefront6targetE1EEEvSL_,comdat
.Lfunc_end2166:
	.size	_ZN7rocprim17ROCPRIM_400000_NS6detail17trampoline_kernelINS0_14default_configENS1_38merge_sort_block_merge_config_selectorIbiEEZZNS1_27merge_sort_block_merge_implIS3_N6thrust23THRUST_200600_302600_NS6detail15normal_iteratorINS8_10device_ptrIbEEEENSA_INSB_IiEEEEjNS1_19radix_merge_compareILb1ELb1EbNS0_19identity_decomposerEEEEE10hipError_tT0_T1_T2_jT3_P12ihipStream_tbPNSt15iterator_traitsISK_E10value_typeEPNSQ_ISL_E10value_typeEPSM_NS1_7vsmem_tEENKUlT_SK_SL_SM_E_clIPbSD_PiSF_EESJ_SZ_SK_SL_SM_EUlSZ_E0_NS1_11comp_targetILNS1_3genE9ELNS1_11target_archE1100ELNS1_3gpuE3ELNS1_3repE0EEENS1_38merge_mergepath_config_static_selectorELNS0_4arch9wavefront6targetE1EEEvSL_, .Lfunc_end2166-_ZN7rocprim17ROCPRIM_400000_NS6detail17trampoline_kernelINS0_14default_configENS1_38merge_sort_block_merge_config_selectorIbiEEZZNS1_27merge_sort_block_merge_implIS3_N6thrust23THRUST_200600_302600_NS6detail15normal_iteratorINS8_10device_ptrIbEEEENSA_INSB_IiEEEEjNS1_19radix_merge_compareILb1ELb1EbNS0_19identity_decomposerEEEEE10hipError_tT0_T1_T2_jT3_P12ihipStream_tbPNSt15iterator_traitsISK_E10value_typeEPNSQ_ISL_E10value_typeEPSM_NS1_7vsmem_tEENKUlT_SK_SL_SM_E_clIPbSD_PiSF_EESJ_SZ_SK_SL_SM_EUlSZ_E0_NS1_11comp_targetILNS1_3genE9ELNS1_11target_archE1100ELNS1_3gpuE3ELNS1_3repE0EEENS1_38merge_mergepath_config_static_selectorELNS0_4arch9wavefront6targetE1EEEvSL_
                                        ; -- End function
	.set _ZN7rocprim17ROCPRIM_400000_NS6detail17trampoline_kernelINS0_14default_configENS1_38merge_sort_block_merge_config_selectorIbiEEZZNS1_27merge_sort_block_merge_implIS3_N6thrust23THRUST_200600_302600_NS6detail15normal_iteratorINS8_10device_ptrIbEEEENSA_INSB_IiEEEEjNS1_19radix_merge_compareILb1ELb1EbNS0_19identity_decomposerEEEEE10hipError_tT0_T1_T2_jT3_P12ihipStream_tbPNSt15iterator_traitsISK_E10value_typeEPNSQ_ISL_E10value_typeEPSM_NS1_7vsmem_tEENKUlT_SK_SL_SM_E_clIPbSD_PiSF_EESJ_SZ_SK_SL_SM_EUlSZ_E0_NS1_11comp_targetILNS1_3genE9ELNS1_11target_archE1100ELNS1_3gpuE3ELNS1_3repE0EEENS1_38merge_mergepath_config_static_selectorELNS0_4arch9wavefront6targetE1EEEvSL_.num_vgpr, 0
	.set _ZN7rocprim17ROCPRIM_400000_NS6detail17trampoline_kernelINS0_14default_configENS1_38merge_sort_block_merge_config_selectorIbiEEZZNS1_27merge_sort_block_merge_implIS3_N6thrust23THRUST_200600_302600_NS6detail15normal_iteratorINS8_10device_ptrIbEEEENSA_INSB_IiEEEEjNS1_19radix_merge_compareILb1ELb1EbNS0_19identity_decomposerEEEEE10hipError_tT0_T1_T2_jT3_P12ihipStream_tbPNSt15iterator_traitsISK_E10value_typeEPNSQ_ISL_E10value_typeEPSM_NS1_7vsmem_tEENKUlT_SK_SL_SM_E_clIPbSD_PiSF_EESJ_SZ_SK_SL_SM_EUlSZ_E0_NS1_11comp_targetILNS1_3genE9ELNS1_11target_archE1100ELNS1_3gpuE3ELNS1_3repE0EEENS1_38merge_mergepath_config_static_selectorELNS0_4arch9wavefront6targetE1EEEvSL_.num_agpr, 0
	.set _ZN7rocprim17ROCPRIM_400000_NS6detail17trampoline_kernelINS0_14default_configENS1_38merge_sort_block_merge_config_selectorIbiEEZZNS1_27merge_sort_block_merge_implIS3_N6thrust23THRUST_200600_302600_NS6detail15normal_iteratorINS8_10device_ptrIbEEEENSA_INSB_IiEEEEjNS1_19radix_merge_compareILb1ELb1EbNS0_19identity_decomposerEEEEE10hipError_tT0_T1_T2_jT3_P12ihipStream_tbPNSt15iterator_traitsISK_E10value_typeEPNSQ_ISL_E10value_typeEPSM_NS1_7vsmem_tEENKUlT_SK_SL_SM_E_clIPbSD_PiSF_EESJ_SZ_SK_SL_SM_EUlSZ_E0_NS1_11comp_targetILNS1_3genE9ELNS1_11target_archE1100ELNS1_3gpuE3ELNS1_3repE0EEENS1_38merge_mergepath_config_static_selectorELNS0_4arch9wavefront6targetE1EEEvSL_.numbered_sgpr, 0
	.set _ZN7rocprim17ROCPRIM_400000_NS6detail17trampoline_kernelINS0_14default_configENS1_38merge_sort_block_merge_config_selectorIbiEEZZNS1_27merge_sort_block_merge_implIS3_N6thrust23THRUST_200600_302600_NS6detail15normal_iteratorINS8_10device_ptrIbEEEENSA_INSB_IiEEEEjNS1_19radix_merge_compareILb1ELb1EbNS0_19identity_decomposerEEEEE10hipError_tT0_T1_T2_jT3_P12ihipStream_tbPNSt15iterator_traitsISK_E10value_typeEPNSQ_ISL_E10value_typeEPSM_NS1_7vsmem_tEENKUlT_SK_SL_SM_E_clIPbSD_PiSF_EESJ_SZ_SK_SL_SM_EUlSZ_E0_NS1_11comp_targetILNS1_3genE9ELNS1_11target_archE1100ELNS1_3gpuE3ELNS1_3repE0EEENS1_38merge_mergepath_config_static_selectorELNS0_4arch9wavefront6targetE1EEEvSL_.num_named_barrier, 0
	.set _ZN7rocprim17ROCPRIM_400000_NS6detail17trampoline_kernelINS0_14default_configENS1_38merge_sort_block_merge_config_selectorIbiEEZZNS1_27merge_sort_block_merge_implIS3_N6thrust23THRUST_200600_302600_NS6detail15normal_iteratorINS8_10device_ptrIbEEEENSA_INSB_IiEEEEjNS1_19radix_merge_compareILb1ELb1EbNS0_19identity_decomposerEEEEE10hipError_tT0_T1_T2_jT3_P12ihipStream_tbPNSt15iterator_traitsISK_E10value_typeEPNSQ_ISL_E10value_typeEPSM_NS1_7vsmem_tEENKUlT_SK_SL_SM_E_clIPbSD_PiSF_EESJ_SZ_SK_SL_SM_EUlSZ_E0_NS1_11comp_targetILNS1_3genE9ELNS1_11target_archE1100ELNS1_3gpuE3ELNS1_3repE0EEENS1_38merge_mergepath_config_static_selectorELNS0_4arch9wavefront6targetE1EEEvSL_.private_seg_size, 0
	.set _ZN7rocprim17ROCPRIM_400000_NS6detail17trampoline_kernelINS0_14default_configENS1_38merge_sort_block_merge_config_selectorIbiEEZZNS1_27merge_sort_block_merge_implIS3_N6thrust23THRUST_200600_302600_NS6detail15normal_iteratorINS8_10device_ptrIbEEEENSA_INSB_IiEEEEjNS1_19radix_merge_compareILb1ELb1EbNS0_19identity_decomposerEEEEE10hipError_tT0_T1_T2_jT3_P12ihipStream_tbPNSt15iterator_traitsISK_E10value_typeEPNSQ_ISL_E10value_typeEPSM_NS1_7vsmem_tEENKUlT_SK_SL_SM_E_clIPbSD_PiSF_EESJ_SZ_SK_SL_SM_EUlSZ_E0_NS1_11comp_targetILNS1_3genE9ELNS1_11target_archE1100ELNS1_3gpuE3ELNS1_3repE0EEENS1_38merge_mergepath_config_static_selectorELNS0_4arch9wavefront6targetE1EEEvSL_.uses_vcc, 0
	.set _ZN7rocprim17ROCPRIM_400000_NS6detail17trampoline_kernelINS0_14default_configENS1_38merge_sort_block_merge_config_selectorIbiEEZZNS1_27merge_sort_block_merge_implIS3_N6thrust23THRUST_200600_302600_NS6detail15normal_iteratorINS8_10device_ptrIbEEEENSA_INSB_IiEEEEjNS1_19radix_merge_compareILb1ELb1EbNS0_19identity_decomposerEEEEE10hipError_tT0_T1_T2_jT3_P12ihipStream_tbPNSt15iterator_traitsISK_E10value_typeEPNSQ_ISL_E10value_typeEPSM_NS1_7vsmem_tEENKUlT_SK_SL_SM_E_clIPbSD_PiSF_EESJ_SZ_SK_SL_SM_EUlSZ_E0_NS1_11comp_targetILNS1_3genE9ELNS1_11target_archE1100ELNS1_3gpuE3ELNS1_3repE0EEENS1_38merge_mergepath_config_static_selectorELNS0_4arch9wavefront6targetE1EEEvSL_.uses_flat_scratch, 0
	.set _ZN7rocprim17ROCPRIM_400000_NS6detail17trampoline_kernelINS0_14default_configENS1_38merge_sort_block_merge_config_selectorIbiEEZZNS1_27merge_sort_block_merge_implIS3_N6thrust23THRUST_200600_302600_NS6detail15normal_iteratorINS8_10device_ptrIbEEEENSA_INSB_IiEEEEjNS1_19radix_merge_compareILb1ELb1EbNS0_19identity_decomposerEEEEE10hipError_tT0_T1_T2_jT3_P12ihipStream_tbPNSt15iterator_traitsISK_E10value_typeEPNSQ_ISL_E10value_typeEPSM_NS1_7vsmem_tEENKUlT_SK_SL_SM_E_clIPbSD_PiSF_EESJ_SZ_SK_SL_SM_EUlSZ_E0_NS1_11comp_targetILNS1_3genE9ELNS1_11target_archE1100ELNS1_3gpuE3ELNS1_3repE0EEENS1_38merge_mergepath_config_static_selectorELNS0_4arch9wavefront6targetE1EEEvSL_.has_dyn_sized_stack, 0
	.set _ZN7rocprim17ROCPRIM_400000_NS6detail17trampoline_kernelINS0_14default_configENS1_38merge_sort_block_merge_config_selectorIbiEEZZNS1_27merge_sort_block_merge_implIS3_N6thrust23THRUST_200600_302600_NS6detail15normal_iteratorINS8_10device_ptrIbEEEENSA_INSB_IiEEEEjNS1_19radix_merge_compareILb1ELb1EbNS0_19identity_decomposerEEEEE10hipError_tT0_T1_T2_jT3_P12ihipStream_tbPNSt15iterator_traitsISK_E10value_typeEPNSQ_ISL_E10value_typeEPSM_NS1_7vsmem_tEENKUlT_SK_SL_SM_E_clIPbSD_PiSF_EESJ_SZ_SK_SL_SM_EUlSZ_E0_NS1_11comp_targetILNS1_3genE9ELNS1_11target_archE1100ELNS1_3gpuE3ELNS1_3repE0EEENS1_38merge_mergepath_config_static_selectorELNS0_4arch9wavefront6targetE1EEEvSL_.has_recursion, 0
	.set _ZN7rocprim17ROCPRIM_400000_NS6detail17trampoline_kernelINS0_14default_configENS1_38merge_sort_block_merge_config_selectorIbiEEZZNS1_27merge_sort_block_merge_implIS3_N6thrust23THRUST_200600_302600_NS6detail15normal_iteratorINS8_10device_ptrIbEEEENSA_INSB_IiEEEEjNS1_19radix_merge_compareILb1ELb1EbNS0_19identity_decomposerEEEEE10hipError_tT0_T1_T2_jT3_P12ihipStream_tbPNSt15iterator_traitsISK_E10value_typeEPNSQ_ISL_E10value_typeEPSM_NS1_7vsmem_tEENKUlT_SK_SL_SM_E_clIPbSD_PiSF_EESJ_SZ_SK_SL_SM_EUlSZ_E0_NS1_11comp_targetILNS1_3genE9ELNS1_11target_archE1100ELNS1_3gpuE3ELNS1_3repE0EEENS1_38merge_mergepath_config_static_selectorELNS0_4arch9wavefront6targetE1EEEvSL_.has_indirect_call, 0
	.section	.AMDGPU.csdata,"",@progbits
; Kernel info:
; codeLenInByte = 0
; TotalNumSgprs: 6
; NumVgprs: 0
; NumAgprs: 0
; TotalNumVgprs: 0
; ScratchSize: 0
; MemoryBound: 0
; FloatMode: 240
; IeeeMode: 1
; LDSByteSize: 0 bytes/workgroup (compile time only)
; SGPRBlocks: 0
; VGPRBlocks: 0
; NumSGPRsForWavesPerEU: 6
; NumVGPRsForWavesPerEU: 1
; AccumOffset: 4
; Occupancy: 8
; WaveLimiterHint : 0
; COMPUTE_PGM_RSRC2:SCRATCH_EN: 0
; COMPUTE_PGM_RSRC2:USER_SGPR: 2
; COMPUTE_PGM_RSRC2:TRAP_HANDLER: 0
; COMPUTE_PGM_RSRC2:TGID_X_EN: 1
; COMPUTE_PGM_RSRC2:TGID_Y_EN: 0
; COMPUTE_PGM_RSRC2:TGID_Z_EN: 0
; COMPUTE_PGM_RSRC2:TIDIG_COMP_CNT: 0
; COMPUTE_PGM_RSRC3_GFX90A:ACCUM_OFFSET: 0
; COMPUTE_PGM_RSRC3_GFX90A:TG_SPLIT: 0
	.section	.text._ZN7rocprim17ROCPRIM_400000_NS6detail17trampoline_kernelINS0_14default_configENS1_38merge_sort_block_merge_config_selectorIbiEEZZNS1_27merge_sort_block_merge_implIS3_N6thrust23THRUST_200600_302600_NS6detail15normal_iteratorINS8_10device_ptrIbEEEENSA_INSB_IiEEEEjNS1_19radix_merge_compareILb1ELb1EbNS0_19identity_decomposerEEEEE10hipError_tT0_T1_T2_jT3_P12ihipStream_tbPNSt15iterator_traitsISK_E10value_typeEPNSQ_ISL_E10value_typeEPSM_NS1_7vsmem_tEENKUlT_SK_SL_SM_E_clIPbSD_PiSF_EESJ_SZ_SK_SL_SM_EUlSZ_E0_NS1_11comp_targetILNS1_3genE8ELNS1_11target_archE1030ELNS1_3gpuE2ELNS1_3repE0EEENS1_38merge_mergepath_config_static_selectorELNS0_4arch9wavefront6targetE1EEEvSL_,"axG",@progbits,_ZN7rocprim17ROCPRIM_400000_NS6detail17trampoline_kernelINS0_14default_configENS1_38merge_sort_block_merge_config_selectorIbiEEZZNS1_27merge_sort_block_merge_implIS3_N6thrust23THRUST_200600_302600_NS6detail15normal_iteratorINS8_10device_ptrIbEEEENSA_INSB_IiEEEEjNS1_19radix_merge_compareILb1ELb1EbNS0_19identity_decomposerEEEEE10hipError_tT0_T1_T2_jT3_P12ihipStream_tbPNSt15iterator_traitsISK_E10value_typeEPNSQ_ISL_E10value_typeEPSM_NS1_7vsmem_tEENKUlT_SK_SL_SM_E_clIPbSD_PiSF_EESJ_SZ_SK_SL_SM_EUlSZ_E0_NS1_11comp_targetILNS1_3genE8ELNS1_11target_archE1030ELNS1_3gpuE2ELNS1_3repE0EEENS1_38merge_mergepath_config_static_selectorELNS0_4arch9wavefront6targetE1EEEvSL_,comdat
	.protected	_ZN7rocprim17ROCPRIM_400000_NS6detail17trampoline_kernelINS0_14default_configENS1_38merge_sort_block_merge_config_selectorIbiEEZZNS1_27merge_sort_block_merge_implIS3_N6thrust23THRUST_200600_302600_NS6detail15normal_iteratorINS8_10device_ptrIbEEEENSA_INSB_IiEEEEjNS1_19radix_merge_compareILb1ELb1EbNS0_19identity_decomposerEEEEE10hipError_tT0_T1_T2_jT3_P12ihipStream_tbPNSt15iterator_traitsISK_E10value_typeEPNSQ_ISL_E10value_typeEPSM_NS1_7vsmem_tEENKUlT_SK_SL_SM_E_clIPbSD_PiSF_EESJ_SZ_SK_SL_SM_EUlSZ_E0_NS1_11comp_targetILNS1_3genE8ELNS1_11target_archE1030ELNS1_3gpuE2ELNS1_3repE0EEENS1_38merge_mergepath_config_static_selectorELNS0_4arch9wavefront6targetE1EEEvSL_ ; -- Begin function _ZN7rocprim17ROCPRIM_400000_NS6detail17trampoline_kernelINS0_14default_configENS1_38merge_sort_block_merge_config_selectorIbiEEZZNS1_27merge_sort_block_merge_implIS3_N6thrust23THRUST_200600_302600_NS6detail15normal_iteratorINS8_10device_ptrIbEEEENSA_INSB_IiEEEEjNS1_19radix_merge_compareILb1ELb1EbNS0_19identity_decomposerEEEEE10hipError_tT0_T1_T2_jT3_P12ihipStream_tbPNSt15iterator_traitsISK_E10value_typeEPNSQ_ISL_E10value_typeEPSM_NS1_7vsmem_tEENKUlT_SK_SL_SM_E_clIPbSD_PiSF_EESJ_SZ_SK_SL_SM_EUlSZ_E0_NS1_11comp_targetILNS1_3genE8ELNS1_11target_archE1030ELNS1_3gpuE2ELNS1_3repE0EEENS1_38merge_mergepath_config_static_selectorELNS0_4arch9wavefront6targetE1EEEvSL_
	.globl	_ZN7rocprim17ROCPRIM_400000_NS6detail17trampoline_kernelINS0_14default_configENS1_38merge_sort_block_merge_config_selectorIbiEEZZNS1_27merge_sort_block_merge_implIS3_N6thrust23THRUST_200600_302600_NS6detail15normal_iteratorINS8_10device_ptrIbEEEENSA_INSB_IiEEEEjNS1_19radix_merge_compareILb1ELb1EbNS0_19identity_decomposerEEEEE10hipError_tT0_T1_T2_jT3_P12ihipStream_tbPNSt15iterator_traitsISK_E10value_typeEPNSQ_ISL_E10value_typeEPSM_NS1_7vsmem_tEENKUlT_SK_SL_SM_E_clIPbSD_PiSF_EESJ_SZ_SK_SL_SM_EUlSZ_E0_NS1_11comp_targetILNS1_3genE8ELNS1_11target_archE1030ELNS1_3gpuE2ELNS1_3repE0EEENS1_38merge_mergepath_config_static_selectorELNS0_4arch9wavefront6targetE1EEEvSL_
	.p2align	8
	.type	_ZN7rocprim17ROCPRIM_400000_NS6detail17trampoline_kernelINS0_14default_configENS1_38merge_sort_block_merge_config_selectorIbiEEZZNS1_27merge_sort_block_merge_implIS3_N6thrust23THRUST_200600_302600_NS6detail15normal_iteratorINS8_10device_ptrIbEEEENSA_INSB_IiEEEEjNS1_19radix_merge_compareILb1ELb1EbNS0_19identity_decomposerEEEEE10hipError_tT0_T1_T2_jT3_P12ihipStream_tbPNSt15iterator_traitsISK_E10value_typeEPNSQ_ISL_E10value_typeEPSM_NS1_7vsmem_tEENKUlT_SK_SL_SM_E_clIPbSD_PiSF_EESJ_SZ_SK_SL_SM_EUlSZ_E0_NS1_11comp_targetILNS1_3genE8ELNS1_11target_archE1030ELNS1_3gpuE2ELNS1_3repE0EEENS1_38merge_mergepath_config_static_selectorELNS0_4arch9wavefront6targetE1EEEvSL_,@function
_ZN7rocprim17ROCPRIM_400000_NS6detail17trampoline_kernelINS0_14default_configENS1_38merge_sort_block_merge_config_selectorIbiEEZZNS1_27merge_sort_block_merge_implIS3_N6thrust23THRUST_200600_302600_NS6detail15normal_iteratorINS8_10device_ptrIbEEEENSA_INSB_IiEEEEjNS1_19radix_merge_compareILb1ELb1EbNS0_19identity_decomposerEEEEE10hipError_tT0_T1_T2_jT3_P12ihipStream_tbPNSt15iterator_traitsISK_E10value_typeEPNSQ_ISL_E10value_typeEPSM_NS1_7vsmem_tEENKUlT_SK_SL_SM_E_clIPbSD_PiSF_EESJ_SZ_SK_SL_SM_EUlSZ_E0_NS1_11comp_targetILNS1_3genE8ELNS1_11target_archE1030ELNS1_3gpuE2ELNS1_3repE0EEENS1_38merge_mergepath_config_static_selectorELNS0_4arch9wavefront6targetE1EEEvSL_: ; @_ZN7rocprim17ROCPRIM_400000_NS6detail17trampoline_kernelINS0_14default_configENS1_38merge_sort_block_merge_config_selectorIbiEEZZNS1_27merge_sort_block_merge_implIS3_N6thrust23THRUST_200600_302600_NS6detail15normal_iteratorINS8_10device_ptrIbEEEENSA_INSB_IiEEEEjNS1_19radix_merge_compareILb1ELb1EbNS0_19identity_decomposerEEEEE10hipError_tT0_T1_T2_jT3_P12ihipStream_tbPNSt15iterator_traitsISK_E10value_typeEPNSQ_ISL_E10value_typeEPSM_NS1_7vsmem_tEENKUlT_SK_SL_SM_E_clIPbSD_PiSF_EESJ_SZ_SK_SL_SM_EUlSZ_E0_NS1_11comp_targetILNS1_3genE8ELNS1_11target_archE1030ELNS1_3gpuE2ELNS1_3repE0EEENS1_38merge_mergepath_config_static_selectorELNS0_4arch9wavefront6targetE1EEEvSL_
; %bb.0:
	.section	.rodata,"a",@progbits
	.p2align	6, 0x0
	.amdhsa_kernel _ZN7rocprim17ROCPRIM_400000_NS6detail17trampoline_kernelINS0_14default_configENS1_38merge_sort_block_merge_config_selectorIbiEEZZNS1_27merge_sort_block_merge_implIS3_N6thrust23THRUST_200600_302600_NS6detail15normal_iteratorINS8_10device_ptrIbEEEENSA_INSB_IiEEEEjNS1_19radix_merge_compareILb1ELb1EbNS0_19identity_decomposerEEEEE10hipError_tT0_T1_T2_jT3_P12ihipStream_tbPNSt15iterator_traitsISK_E10value_typeEPNSQ_ISL_E10value_typeEPSM_NS1_7vsmem_tEENKUlT_SK_SL_SM_E_clIPbSD_PiSF_EESJ_SZ_SK_SL_SM_EUlSZ_E0_NS1_11comp_targetILNS1_3genE8ELNS1_11target_archE1030ELNS1_3gpuE2ELNS1_3repE0EEENS1_38merge_mergepath_config_static_selectorELNS0_4arch9wavefront6targetE1EEEvSL_
		.amdhsa_group_segment_fixed_size 0
		.amdhsa_private_segment_fixed_size 0
		.amdhsa_kernarg_size 64
		.amdhsa_user_sgpr_count 2
		.amdhsa_user_sgpr_dispatch_ptr 0
		.amdhsa_user_sgpr_queue_ptr 0
		.amdhsa_user_sgpr_kernarg_segment_ptr 1
		.amdhsa_user_sgpr_dispatch_id 0
		.amdhsa_user_sgpr_kernarg_preload_length 0
		.amdhsa_user_sgpr_kernarg_preload_offset 0
		.amdhsa_user_sgpr_private_segment_size 0
		.amdhsa_uses_dynamic_stack 0
		.amdhsa_enable_private_segment 0
		.amdhsa_system_sgpr_workgroup_id_x 1
		.amdhsa_system_sgpr_workgroup_id_y 0
		.amdhsa_system_sgpr_workgroup_id_z 0
		.amdhsa_system_sgpr_workgroup_info 0
		.amdhsa_system_vgpr_workitem_id 0
		.amdhsa_next_free_vgpr 1
		.amdhsa_next_free_sgpr 0
		.amdhsa_accum_offset 4
		.amdhsa_reserve_vcc 0
		.amdhsa_float_round_mode_32 0
		.amdhsa_float_round_mode_16_64 0
		.amdhsa_float_denorm_mode_32 3
		.amdhsa_float_denorm_mode_16_64 3
		.amdhsa_dx10_clamp 1
		.amdhsa_ieee_mode 1
		.amdhsa_fp16_overflow 0
		.amdhsa_tg_split 0
		.amdhsa_exception_fp_ieee_invalid_op 0
		.amdhsa_exception_fp_denorm_src 0
		.amdhsa_exception_fp_ieee_div_zero 0
		.amdhsa_exception_fp_ieee_overflow 0
		.amdhsa_exception_fp_ieee_underflow 0
		.amdhsa_exception_fp_ieee_inexact 0
		.amdhsa_exception_int_div_zero 0
	.end_amdhsa_kernel
	.section	.text._ZN7rocprim17ROCPRIM_400000_NS6detail17trampoline_kernelINS0_14default_configENS1_38merge_sort_block_merge_config_selectorIbiEEZZNS1_27merge_sort_block_merge_implIS3_N6thrust23THRUST_200600_302600_NS6detail15normal_iteratorINS8_10device_ptrIbEEEENSA_INSB_IiEEEEjNS1_19radix_merge_compareILb1ELb1EbNS0_19identity_decomposerEEEEE10hipError_tT0_T1_T2_jT3_P12ihipStream_tbPNSt15iterator_traitsISK_E10value_typeEPNSQ_ISL_E10value_typeEPSM_NS1_7vsmem_tEENKUlT_SK_SL_SM_E_clIPbSD_PiSF_EESJ_SZ_SK_SL_SM_EUlSZ_E0_NS1_11comp_targetILNS1_3genE8ELNS1_11target_archE1030ELNS1_3gpuE2ELNS1_3repE0EEENS1_38merge_mergepath_config_static_selectorELNS0_4arch9wavefront6targetE1EEEvSL_,"axG",@progbits,_ZN7rocprim17ROCPRIM_400000_NS6detail17trampoline_kernelINS0_14default_configENS1_38merge_sort_block_merge_config_selectorIbiEEZZNS1_27merge_sort_block_merge_implIS3_N6thrust23THRUST_200600_302600_NS6detail15normal_iteratorINS8_10device_ptrIbEEEENSA_INSB_IiEEEEjNS1_19radix_merge_compareILb1ELb1EbNS0_19identity_decomposerEEEEE10hipError_tT0_T1_T2_jT3_P12ihipStream_tbPNSt15iterator_traitsISK_E10value_typeEPNSQ_ISL_E10value_typeEPSM_NS1_7vsmem_tEENKUlT_SK_SL_SM_E_clIPbSD_PiSF_EESJ_SZ_SK_SL_SM_EUlSZ_E0_NS1_11comp_targetILNS1_3genE8ELNS1_11target_archE1030ELNS1_3gpuE2ELNS1_3repE0EEENS1_38merge_mergepath_config_static_selectorELNS0_4arch9wavefront6targetE1EEEvSL_,comdat
.Lfunc_end2167:
	.size	_ZN7rocprim17ROCPRIM_400000_NS6detail17trampoline_kernelINS0_14default_configENS1_38merge_sort_block_merge_config_selectorIbiEEZZNS1_27merge_sort_block_merge_implIS3_N6thrust23THRUST_200600_302600_NS6detail15normal_iteratorINS8_10device_ptrIbEEEENSA_INSB_IiEEEEjNS1_19radix_merge_compareILb1ELb1EbNS0_19identity_decomposerEEEEE10hipError_tT0_T1_T2_jT3_P12ihipStream_tbPNSt15iterator_traitsISK_E10value_typeEPNSQ_ISL_E10value_typeEPSM_NS1_7vsmem_tEENKUlT_SK_SL_SM_E_clIPbSD_PiSF_EESJ_SZ_SK_SL_SM_EUlSZ_E0_NS1_11comp_targetILNS1_3genE8ELNS1_11target_archE1030ELNS1_3gpuE2ELNS1_3repE0EEENS1_38merge_mergepath_config_static_selectorELNS0_4arch9wavefront6targetE1EEEvSL_, .Lfunc_end2167-_ZN7rocprim17ROCPRIM_400000_NS6detail17trampoline_kernelINS0_14default_configENS1_38merge_sort_block_merge_config_selectorIbiEEZZNS1_27merge_sort_block_merge_implIS3_N6thrust23THRUST_200600_302600_NS6detail15normal_iteratorINS8_10device_ptrIbEEEENSA_INSB_IiEEEEjNS1_19radix_merge_compareILb1ELb1EbNS0_19identity_decomposerEEEEE10hipError_tT0_T1_T2_jT3_P12ihipStream_tbPNSt15iterator_traitsISK_E10value_typeEPNSQ_ISL_E10value_typeEPSM_NS1_7vsmem_tEENKUlT_SK_SL_SM_E_clIPbSD_PiSF_EESJ_SZ_SK_SL_SM_EUlSZ_E0_NS1_11comp_targetILNS1_3genE8ELNS1_11target_archE1030ELNS1_3gpuE2ELNS1_3repE0EEENS1_38merge_mergepath_config_static_selectorELNS0_4arch9wavefront6targetE1EEEvSL_
                                        ; -- End function
	.set _ZN7rocprim17ROCPRIM_400000_NS6detail17trampoline_kernelINS0_14default_configENS1_38merge_sort_block_merge_config_selectorIbiEEZZNS1_27merge_sort_block_merge_implIS3_N6thrust23THRUST_200600_302600_NS6detail15normal_iteratorINS8_10device_ptrIbEEEENSA_INSB_IiEEEEjNS1_19radix_merge_compareILb1ELb1EbNS0_19identity_decomposerEEEEE10hipError_tT0_T1_T2_jT3_P12ihipStream_tbPNSt15iterator_traitsISK_E10value_typeEPNSQ_ISL_E10value_typeEPSM_NS1_7vsmem_tEENKUlT_SK_SL_SM_E_clIPbSD_PiSF_EESJ_SZ_SK_SL_SM_EUlSZ_E0_NS1_11comp_targetILNS1_3genE8ELNS1_11target_archE1030ELNS1_3gpuE2ELNS1_3repE0EEENS1_38merge_mergepath_config_static_selectorELNS0_4arch9wavefront6targetE1EEEvSL_.num_vgpr, 0
	.set _ZN7rocprim17ROCPRIM_400000_NS6detail17trampoline_kernelINS0_14default_configENS1_38merge_sort_block_merge_config_selectorIbiEEZZNS1_27merge_sort_block_merge_implIS3_N6thrust23THRUST_200600_302600_NS6detail15normal_iteratorINS8_10device_ptrIbEEEENSA_INSB_IiEEEEjNS1_19radix_merge_compareILb1ELb1EbNS0_19identity_decomposerEEEEE10hipError_tT0_T1_T2_jT3_P12ihipStream_tbPNSt15iterator_traitsISK_E10value_typeEPNSQ_ISL_E10value_typeEPSM_NS1_7vsmem_tEENKUlT_SK_SL_SM_E_clIPbSD_PiSF_EESJ_SZ_SK_SL_SM_EUlSZ_E0_NS1_11comp_targetILNS1_3genE8ELNS1_11target_archE1030ELNS1_3gpuE2ELNS1_3repE0EEENS1_38merge_mergepath_config_static_selectorELNS0_4arch9wavefront6targetE1EEEvSL_.num_agpr, 0
	.set _ZN7rocprim17ROCPRIM_400000_NS6detail17trampoline_kernelINS0_14default_configENS1_38merge_sort_block_merge_config_selectorIbiEEZZNS1_27merge_sort_block_merge_implIS3_N6thrust23THRUST_200600_302600_NS6detail15normal_iteratorINS8_10device_ptrIbEEEENSA_INSB_IiEEEEjNS1_19radix_merge_compareILb1ELb1EbNS0_19identity_decomposerEEEEE10hipError_tT0_T1_T2_jT3_P12ihipStream_tbPNSt15iterator_traitsISK_E10value_typeEPNSQ_ISL_E10value_typeEPSM_NS1_7vsmem_tEENKUlT_SK_SL_SM_E_clIPbSD_PiSF_EESJ_SZ_SK_SL_SM_EUlSZ_E0_NS1_11comp_targetILNS1_3genE8ELNS1_11target_archE1030ELNS1_3gpuE2ELNS1_3repE0EEENS1_38merge_mergepath_config_static_selectorELNS0_4arch9wavefront6targetE1EEEvSL_.numbered_sgpr, 0
	.set _ZN7rocprim17ROCPRIM_400000_NS6detail17trampoline_kernelINS0_14default_configENS1_38merge_sort_block_merge_config_selectorIbiEEZZNS1_27merge_sort_block_merge_implIS3_N6thrust23THRUST_200600_302600_NS6detail15normal_iteratorINS8_10device_ptrIbEEEENSA_INSB_IiEEEEjNS1_19radix_merge_compareILb1ELb1EbNS0_19identity_decomposerEEEEE10hipError_tT0_T1_T2_jT3_P12ihipStream_tbPNSt15iterator_traitsISK_E10value_typeEPNSQ_ISL_E10value_typeEPSM_NS1_7vsmem_tEENKUlT_SK_SL_SM_E_clIPbSD_PiSF_EESJ_SZ_SK_SL_SM_EUlSZ_E0_NS1_11comp_targetILNS1_3genE8ELNS1_11target_archE1030ELNS1_3gpuE2ELNS1_3repE0EEENS1_38merge_mergepath_config_static_selectorELNS0_4arch9wavefront6targetE1EEEvSL_.num_named_barrier, 0
	.set _ZN7rocprim17ROCPRIM_400000_NS6detail17trampoline_kernelINS0_14default_configENS1_38merge_sort_block_merge_config_selectorIbiEEZZNS1_27merge_sort_block_merge_implIS3_N6thrust23THRUST_200600_302600_NS6detail15normal_iteratorINS8_10device_ptrIbEEEENSA_INSB_IiEEEEjNS1_19radix_merge_compareILb1ELb1EbNS0_19identity_decomposerEEEEE10hipError_tT0_T1_T2_jT3_P12ihipStream_tbPNSt15iterator_traitsISK_E10value_typeEPNSQ_ISL_E10value_typeEPSM_NS1_7vsmem_tEENKUlT_SK_SL_SM_E_clIPbSD_PiSF_EESJ_SZ_SK_SL_SM_EUlSZ_E0_NS1_11comp_targetILNS1_3genE8ELNS1_11target_archE1030ELNS1_3gpuE2ELNS1_3repE0EEENS1_38merge_mergepath_config_static_selectorELNS0_4arch9wavefront6targetE1EEEvSL_.private_seg_size, 0
	.set _ZN7rocprim17ROCPRIM_400000_NS6detail17trampoline_kernelINS0_14default_configENS1_38merge_sort_block_merge_config_selectorIbiEEZZNS1_27merge_sort_block_merge_implIS3_N6thrust23THRUST_200600_302600_NS6detail15normal_iteratorINS8_10device_ptrIbEEEENSA_INSB_IiEEEEjNS1_19radix_merge_compareILb1ELb1EbNS0_19identity_decomposerEEEEE10hipError_tT0_T1_T2_jT3_P12ihipStream_tbPNSt15iterator_traitsISK_E10value_typeEPNSQ_ISL_E10value_typeEPSM_NS1_7vsmem_tEENKUlT_SK_SL_SM_E_clIPbSD_PiSF_EESJ_SZ_SK_SL_SM_EUlSZ_E0_NS1_11comp_targetILNS1_3genE8ELNS1_11target_archE1030ELNS1_3gpuE2ELNS1_3repE0EEENS1_38merge_mergepath_config_static_selectorELNS0_4arch9wavefront6targetE1EEEvSL_.uses_vcc, 0
	.set _ZN7rocprim17ROCPRIM_400000_NS6detail17trampoline_kernelINS0_14default_configENS1_38merge_sort_block_merge_config_selectorIbiEEZZNS1_27merge_sort_block_merge_implIS3_N6thrust23THRUST_200600_302600_NS6detail15normal_iteratorINS8_10device_ptrIbEEEENSA_INSB_IiEEEEjNS1_19radix_merge_compareILb1ELb1EbNS0_19identity_decomposerEEEEE10hipError_tT0_T1_T2_jT3_P12ihipStream_tbPNSt15iterator_traitsISK_E10value_typeEPNSQ_ISL_E10value_typeEPSM_NS1_7vsmem_tEENKUlT_SK_SL_SM_E_clIPbSD_PiSF_EESJ_SZ_SK_SL_SM_EUlSZ_E0_NS1_11comp_targetILNS1_3genE8ELNS1_11target_archE1030ELNS1_3gpuE2ELNS1_3repE0EEENS1_38merge_mergepath_config_static_selectorELNS0_4arch9wavefront6targetE1EEEvSL_.uses_flat_scratch, 0
	.set _ZN7rocprim17ROCPRIM_400000_NS6detail17trampoline_kernelINS0_14default_configENS1_38merge_sort_block_merge_config_selectorIbiEEZZNS1_27merge_sort_block_merge_implIS3_N6thrust23THRUST_200600_302600_NS6detail15normal_iteratorINS8_10device_ptrIbEEEENSA_INSB_IiEEEEjNS1_19radix_merge_compareILb1ELb1EbNS0_19identity_decomposerEEEEE10hipError_tT0_T1_T2_jT3_P12ihipStream_tbPNSt15iterator_traitsISK_E10value_typeEPNSQ_ISL_E10value_typeEPSM_NS1_7vsmem_tEENKUlT_SK_SL_SM_E_clIPbSD_PiSF_EESJ_SZ_SK_SL_SM_EUlSZ_E0_NS1_11comp_targetILNS1_3genE8ELNS1_11target_archE1030ELNS1_3gpuE2ELNS1_3repE0EEENS1_38merge_mergepath_config_static_selectorELNS0_4arch9wavefront6targetE1EEEvSL_.has_dyn_sized_stack, 0
	.set _ZN7rocprim17ROCPRIM_400000_NS6detail17trampoline_kernelINS0_14default_configENS1_38merge_sort_block_merge_config_selectorIbiEEZZNS1_27merge_sort_block_merge_implIS3_N6thrust23THRUST_200600_302600_NS6detail15normal_iteratorINS8_10device_ptrIbEEEENSA_INSB_IiEEEEjNS1_19radix_merge_compareILb1ELb1EbNS0_19identity_decomposerEEEEE10hipError_tT0_T1_T2_jT3_P12ihipStream_tbPNSt15iterator_traitsISK_E10value_typeEPNSQ_ISL_E10value_typeEPSM_NS1_7vsmem_tEENKUlT_SK_SL_SM_E_clIPbSD_PiSF_EESJ_SZ_SK_SL_SM_EUlSZ_E0_NS1_11comp_targetILNS1_3genE8ELNS1_11target_archE1030ELNS1_3gpuE2ELNS1_3repE0EEENS1_38merge_mergepath_config_static_selectorELNS0_4arch9wavefront6targetE1EEEvSL_.has_recursion, 0
	.set _ZN7rocprim17ROCPRIM_400000_NS6detail17trampoline_kernelINS0_14default_configENS1_38merge_sort_block_merge_config_selectorIbiEEZZNS1_27merge_sort_block_merge_implIS3_N6thrust23THRUST_200600_302600_NS6detail15normal_iteratorINS8_10device_ptrIbEEEENSA_INSB_IiEEEEjNS1_19radix_merge_compareILb1ELb1EbNS0_19identity_decomposerEEEEE10hipError_tT0_T1_T2_jT3_P12ihipStream_tbPNSt15iterator_traitsISK_E10value_typeEPNSQ_ISL_E10value_typeEPSM_NS1_7vsmem_tEENKUlT_SK_SL_SM_E_clIPbSD_PiSF_EESJ_SZ_SK_SL_SM_EUlSZ_E0_NS1_11comp_targetILNS1_3genE8ELNS1_11target_archE1030ELNS1_3gpuE2ELNS1_3repE0EEENS1_38merge_mergepath_config_static_selectorELNS0_4arch9wavefront6targetE1EEEvSL_.has_indirect_call, 0
	.section	.AMDGPU.csdata,"",@progbits
; Kernel info:
; codeLenInByte = 0
; TotalNumSgprs: 6
; NumVgprs: 0
; NumAgprs: 0
; TotalNumVgprs: 0
; ScratchSize: 0
; MemoryBound: 0
; FloatMode: 240
; IeeeMode: 1
; LDSByteSize: 0 bytes/workgroup (compile time only)
; SGPRBlocks: 0
; VGPRBlocks: 0
; NumSGPRsForWavesPerEU: 6
; NumVGPRsForWavesPerEU: 1
; AccumOffset: 4
; Occupancy: 8
; WaveLimiterHint : 0
; COMPUTE_PGM_RSRC2:SCRATCH_EN: 0
; COMPUTE_PGM_RSRC2:USER_SGPR: 2
; COMPUTE_PGM_RSRC2:TRAP_HANDLER: 0
; COMPUTE_PGM_RSRC2:TGID_X_EN: 1
; COMPUTE_PGM_RSRC2:TGID_Y_EN: 0
; COMPUTE_PGM_RSRC2:TGID_Z_EN: 0
; COMPUTE_PGM_RSRC2:TIDIG_COMP_CNT: 0
; COMPUTE_PGM_RSRC3_GFX90A:ACCUM_OFFSET: 0
; COMPUTE_PGM_RSRC3_GFX90A:TG_SPLIT: 0
	.section	.text._ZN7rocprim17ROCPRIM_400000_NS6detail17trampoline_kernelINS0_14default_configENS1_38merge_sort_block_merge_config_selectorIbiEEZZNS1_27merge_sort_block_merge_implIS3_N6thrust23THRUST_200600_302600_NS6detail15normal_iteratorINS8_10device_ptrIbEEEENSA_INSB_IiEEEEjNS1_19radix_merge_compareILb1ELb1EbNS0_19identity_decomposerEEEEE10hipError_tT0_T1_T2_jT3_P12ihipStream_tbPNSt15iterator_traitsISK_E10value_typeEPNSQ_ISL_E10value_typeEPSM_NS1_7vsmem_tEENKUlT_SK_SL_SM_E_clIPbSD_PiSF_EESJ_SZ_SK_SL_SM_EUlSZ_E1_NS1_11comp_targetILNS1_3genE0ELNS1_11target_archE4294967295ELNS1_3gpuE0ELNS1_3repE0EEENS1_36merge_oddeven_config_static_selectorELNS0_4arch9wavefront6targetE1EEEvSL_,"axG",@progbits,_ZN7rocprim17ROCPRIM_400000_NS6detail17trampoline_kernelINS0_14default_configENS1_38merge_sort_block_merge_config_selectorIbiEEZZNS1_27merge_sort_block_merge_implIS3_N6thrust23THRUST_200600_302600_NS6detail15normal_iteratorINS8_10device_ptrIbEEEENSA_INSB_IiEEEEjNS1_19radix_merge_compareILb1ELb1EbNS0_19identity_decomposerEEEEE10hipError_tT0_T1_T2_jT3_P12ihipStream_tbPNSt15iterator_traitsISK_E10value_typeEPNSQ_ISL_E10value_typeEPSM_NS1_7vsmem_tEENKUlT_SK_SL_SM_E_clIPbSD_PiSF_EESJ_SZ_SK_SL_SM_EUlSZ_E1_NS1_11comp_targetILNS1_3genE0ELNS1_11target_archE4294967295ELNS1_3gpuE0ELNS1_3repE0EEENS1_36merge_oddeven_config_static_selectorELNS0_4arch9wavefront6targetE1EEEvSL_,comdat
	.protected	_ZN7rocprim17ROCPRIM_400000_NS6detail17trampoline_kernelINS0_14default_configENS1_38merge_sort_block_merge_config_selectorIbiEEZZNS1_27merge_sort_block_merge_implIS3_N6thrust23THRUST_200600_302600_NS6detail15normal_iteratorINS8_10device_ptrIbEEEENSA_INSB_IiEEEEjNS1_19radix_merge_compareILb1ELb1EbNS0_19identity_decomposerEEEEE10hipError_tT0_T1_T2_jT3_P12ihipStream_tbPNSt15iterator_traitsISK_E10value_typeEPNSQ_ISL_E10value_typeEPSM_NS1_7vsmem_tEENKUlT_SK_SL_SM_E_clIPbSD_PiSF_EESJ_SZ_SK_SL_SM_EUlSZ_E1_NS1_11comp_targetILNS1_3genE0ELNS1_11target_archE4294967295ELNS1_3gpuE0ELNS1_3repE0EEENS1_36merge_oddeven_config_static_selectorELNS0_4arch9wavefront6targetE1EEEvSL_ ; -- Begin function _ZN7rocprim17ROCPRIM_400000_NS6detail17trampoline_kernelINS0_14default_configENS1_38merge_sort_block_merge_config_selectorIbiEEZZNS1_27merge_sort_block_merge_implIS3_N6thrust23THRUST_200600_302600_NS6detail15normal_iteratorINS8_10device_ptrIbEEEENSA_INSB_IiEEEEjNS1_19radix_merge_compareILb1ELb1EbNS0_19identity_decomposerEEEEE10hipError_tT0_T1_T2_jT3_P12ihipStream_tbPNSt15iterator_traitsISK_E10value_typeEPNSQ_ISL_E10value_typeEPSM_NS1_7vsmem_tEENKUlT_SK_SL_SM_E_clIPbSD_PiSF_EESJ_SZ_SK_SL_SM_EUlSZ_E1_NS1_11comp_targetILNS1_3genE0ELNS1_11target_archE4294967295ELNS1_3gpuE0ELNS1_3repE0EEENS1_36merge_oddeven_config_static_selectorELNS0_4arch9wavefront6targetE1EEEvSL_
	.globl	_ZN7rocprim17ROCPRIM_400000_NS6detail17trampoline_kernelINS0_14default_configENS1_38merge_sort_block_merge_config_selectorIbiEEZZNS1_27merge_sort_block_merge_implIS3_N6thrust23THRUST_200600_302600_NS6detail15normal_iteratorINS8_10device_ptrIbEEEENSA_INSB_IiEEEEjNS1_19radix_merge_compareILb1ELb1EbNS0_19identity_decomposerEEEEE10hipError_tT0_T1_T2_jT3_P12ihipStream_tbPNSt15iterator_traitsISK_E10value_typeEPNSQ_ISL_E10value_typeEPSM_NS1_7vsmem_tEENKUlT_SK_SL_SM_E_clIPbSD_PiSF_EESJ_SZ_SK_SL_SM_EUlSZ_E1_NS1_11comp_targetILNS1_3genE0ELNS1_11target_archE4294967295ELNS1_3gpuE0ELNS1_3repE0EEENS1_36merge_oddeven_config_static_selectorELNS0_4arch9wavefront6targetE1EEEvSL_
	.p2align	8
	.type	_ZN7rocprim17ROCPRIM_400000_NS6detail17trampoline_kernelINS0_14default_configENS1_38merge_sort_block_merge_config_selectorIbiEEZZNS1_27merge_sort_block_merge_implIS3_N6thrust23THRUST_200600_302600_NS6detail15normal_iteratorINS8_10device_ptrIbEEEENSA_INSB_IiEEEEjNS1_19radix_merge_compareILb1ELb1EbNS0_19identity_decomposerEEEEE10hipError_tT0_T1_T2_jT3_P12ihipStream_tbPNSt15iterator_traitsISK_E10value_typeEPNSQ_ISL_E10value_typeEPSM_NS1_7vsmem_tEENKUlT_SK_SL_SM_E_clIPbSD_PiSF_EESJ_SZ_SK_SL_SM_EUlSZ_E1_NS1_11comp_targetILNS1_3genE0ELNS1_11target_archE4294967295ELNS1_3gpuE0ELNS1_3repE0EEENS1_36merge_oddeven_config_static_selectorELNS0_4arch9wavefront6targetE1EEEvSL_,@function
_ZN7rocprim17ROCPRIM_400000_NS6detail17trampoline_kernelINS0_14default_configENS1_38merge_sort_block_merge_config_selectorIbiEEZZNS1_27merge_sort_block_merge_implIS3_N6thrust23THRUST_200600_302600_NS6detail15normal_iteratorINS8_10device_ptrIbEEEENSA_INSB_IiEEEEjNS1_19radix_merge_compareILb1ELb1EbNS0_19identity_decomposerEEEEE10hipError_tT0_T1_T2_jT3_P12ihipStream_tbPNSt15iterator_traitsISK_E10value_typeEPNSQ_ISL_E10value_typeEPSM_NS1_7vsmem_tEENKUlT_SK_SL_SM_E_clIPbSD_PiSF_EESJ_SZ_SK_SL_SM_EUlSZ_E1_NS1_11comp_targetILNS1_3genE0ELNS1_11target_archE4294967295ELNS1_3gpuE0ELNS1_3repE0EEENS1_36merge_oddeven_config_static_selectorELNS0_4arch9wavefront6targetE1EEEvSL_: ; @_ZN7rocprim17ROCPRIM_400000_NS6detail17trampoline_kernelINS0_14default_configENS1_38merge_sort_block_merge_config_selectorIbiEEZZNS1_27merge_sort_block_merge_implIS3_N6thrust23THRUST_200600_302600_NS6detail15normal_iteratorINS8_10device_ptrIbEEEENSA_INSB_IiEEEEjNS1_19radix_merge_compareILb1ELb1EbNS0_19identity_decomposerEEEEE10hipError_tT0_T1_T2_jT3_P12ihipStream_tbPNSt15iterator_traitsISK_E10value_typeEPNSQ_ISL_E10value_typeEPSM_NS1_7vsmem_tEENKUlT_SK_SL_SM_E_clIPbSD_PiSF_EESJ_SZ_SK_SL_SM_EUlSZ_E1_NS1_11comp_targetILNS1_3genE0ELNS1_11target_archE4294967295ELNS1_3gpuE0ELNS1_3repE0EEENS1_36merge_oddeven_config_static_selectorELNS0_4arch9wavefront6targetE1EEEvSL_
; %bb.0:
	s_load_dwordx2 s[6:7], s[0:1], 0x4
	v_and_b32_e32 v1, 0x3ff, v0
	v_bfe_u32 v3, v0, 10, 10
	v_bfe_u32 v0, v0, 20, 10
	s_waitcnt lgkmcnt(0)
	s_lshr_b32 s0, s6, 16
	s_mul_i32 s0, s0, s7
	v_mul_lo_u32 v2, s0, v1
	s_load_dwordx2 s[18:19], s[2:3], 0x20
	s_load_dword s0, s[2:3], 0x28
	v_mul_u32_u24_e32 v3, s7, v3
	v_add3_u32 v4, v2, v3, v0
	s_waitcnt lgkmcnt(0)
	s_and_b32 s0, s0, 1
	v_mov_b32_e32 v0, s0
	s_lshr_b32 s0, s18, 8
	s_cmp_eq_u32 s4, s0
	s_cselect_b64 s[16:17], -1, 0
	s_cmp_lg_u32 s4, s0
	s_cselect_b64 s[0:1], -1, 0
	s_lshl_b32 s20, s4, 8
	s_sub_i32 s5, s18, s20
	v_cmp_gt_u32_e64 s[6:7], s5, v1
	s_or_b64 s[0:1], s[0:1], s[6:7]
	ds_write_b8 v4, v0
	s_and_saveexec_b64 s[8:9], s[0:1]
	s_cbranch_execz .LBB2168_24
; %bb.1:
	s_load_dwordx8 s[8:15], s[2:3], 0x0
	s_mov_b32 s21, 0
	v_lshlrev_b32_e32 v0, 2, v1
	s_waitcnt lgkmcnt(0)
	s_add_u32 s0, s8, s20
	s_addc_u32 s1, s9, 0
	s_lshl_b64 s[2:3], s[20:21], 2
	s_add_u32 s2, s12, s2
	s_addc_u32 s3, s13, s3
	global_load_dword v2, v0, s[2:3]
	global_load_ubyte v3, v1, s[0:1]
	s_lshr_b32 s0, s19, 8
	s_sub_i32 s1, 0, s0
	s_and_b32 s1, s4, s1
	s_and_b32 s0, s1, s0
	s_lshl_b32 s4, s1, 8
	s_sub_i32 s5, 0, s19
	s_cmp_eq_u32 s0, 0
	s_cselect_b64 s[0:1], -1, 0
	s_and_b64 s[2:3], s[0:1], exec
	s_cselect_b32 s12, s19, s5
	s_add_i32 s12, s12, s4
	s_mov_b64 s[2:3], -1
	s_cmp_gt_u32 s18, s12
	v_add_u32_e32 v0, s20, v1
	s_cbranch_scc1 .LBB2168_9
; %bb.2:
	s_and_b64 vcc, exec, s[16:17]
	s_cbranch_vccz .LBB2168_6
; %bb.3:
	v_cmp_gt_u32_e32 vcc, s18, v0
	s_and_saveexec_b64 s[2:3], vcc
	s_cbranch_execz .LBB2168_5
; %bb.4:
	v_mov_b32_e32 v1, 0
	v_lshl_add_u64 v[6:7], v[0:1], 2, s[14:15]
	s_waitcnt vmcnt(0)
	global_store_byte v0, v3, s[10:11]
	global_store_dword v[6:7], v2, off
.LBB2168_5:
	s_or_b64 exec, exec, s[2:3]
	s_mov_b64 s[2:3], 0
.LBB2168_6:
	s_andn2_b64 vcc, exec, s[2:3]
	s_cbranch_vccnz .LBB2168_8
; %bb.7:
	v_mov_b32_e32 v1, 0
	v_lshl_add_u64 v[6:7], v[0:1], 2, s[14:15]
	s_waitcnt vmcnt(0)
	global_store_byte v0, v3, s[10:11]
	global_store_dword v[6:7], v2, off
.LBB2168_8:
	s_mov_b64 s[2:3], 0
.LBB2168_9:
	s_andn2_b64 vcc, exec, s[2:3]
	s_cbranch_vccnz .LBB2168_24
; %bb.10:
	ds_read_u8 v1, v4
	s_min_u32 s13, s12, s18
	s_add_i32 s2, s13, s19
	s_min_u32 s18, s2, s18
	s_min_u32 s2, s4, s13
	s_add_i32 s4, s4, s13
	v_subrev_u32_e32 v0, s4, v0
	v_add_u32_e32 v0, s2, v0
	s_waitcnt vmcnt(0) lgkmcnt(0)
	v_and_b32_e32 v4, v1, v3
	s_mov_b64 s[2:3], -1
	s_and_b64 vcc, exec, s[16:17]
	s_cbranch_vccz .LBB2168_18
; %bb.11:
	s_and_saveexec_b64 s[2:3], s[6:7]
	s_cbranch_execz .LBB2168_17
; %bb.12:
	s_cmp_ge_u32 s12, s18
	v_mov_b32_e32 v5, s13
	s_cbranch_scc1 .LBB2168_16
; %bb.13:
	s_mov_b64 s[4:5], 0
	v_mov_b32_e32 v6, s18
	v_mov_b32_e32 v5, s13
.LBB2168_14:                            ; =>This Inner Loop Header: Depth=1
	v_add_u32_e32 v7, v5, v6
	v_lshrrev_b32_e32 v7, 1, v7
	global_load_ubyte v8, v7, s[8:9]
	v_add_u32_e32 v9, 1, v7
	s_waitcnt vmcnt(0)
	v_and_b32_e32 v8, v1, v8
	v_cmp_gt_u16_sdwa s[6:7], v8, v4 src0_sel:DWORD src1_sel:BYTE_0
	s_nop 1
	v_cndmask_b32_e64 v10, 0, 1, s[6:7]
	v_cmp_le_u16_sdwa s[6:7], v4, v8 src0_sel:BYTE_0 src1_sel:DWORD
	s_nop 1
	v_cndmask_b32_e64 v8, 0, 1, s[6:7]
	v_cndmask_b32_e64 v8, v8, v10, s[0:1]
	v_and_b32_e32 v8, 1, v8
	v_cmp_eq_u32_e32 vcc, 1, v8
	s_nop 1
	v_cndmask_b32_e32 v6, v7, v6, vcc
	v_cndmask_b32_e32 v5, v5, v9, vcc
	v_cmp_ge_u32_e32 vcc, v5, v6
	s_or_b64 s[4:5], vcc, s[4:5]
	s_andn2_b64 exec, exec, s[4:5]
	s_cbranch_execnz .LBB2168_14
; %bb.15:
	s_or_b64 exec, exec, s[4:5]
.LBB2168_16:
	v_add_u32_e32 v6, v5, v0
	v_mov_b32_e32 v7, 0
	global_store_byte v6, v3, s[10:11]
	v_lshl_add_u64 v[6:7], v[6:7], 2, s[14:15]
	global_store_dword v[6:7], v2, off
.LBB2168_17:
	s_or_b64 exec, exec, s[2:3]
	s_mov_b64 s[2:3], 0
.LBB2168_18:
	s_andn2_b64 vcc, exec, s[2:3]
	s_cbranch_vccnz .LBB2168_24
; %bb.19:
	s_cmp_ge_u32 s12, s18
	v_mov_b32_e32 v5, s13
	s_cbranch_scc1 .LBB2168_23
; %bb.20:
	s_mov_b64 s[2:3], 0
	v_mov_b32_e32 v6, s18
	v_mov_b32_e32 v5, s13
.LBB2168_21:                            ; =>This Inner Loop Header: Depth=1
	v_add_u32_e32 v7, v5, v6
	v_lshrrev_b32_e32 v7, 1, v7
	global_load_ubyte v8, v7, s[8:9]
	v_add_u32_e32 v9, 1, v7
	s_waitcnt vmcnt(0)
	v_and_b32_e32 v8, v1, v8
	v_cmp_gt_u16_sdwa s[4:5], v8, v4 src0_sel:DWORD src1_sel:BYTE_0
	s_nop 1
	v_cndmask_b32_e64 v10, 0, 1, s[4:5]
	v_cmp_le_u16_sdwa s[4:5], v4, v8 src0_sel:BYTE_0 src1_sel:DWORD
	s_nop 1
	v_cndmask_b32_e64 v8, 0, 1, s[4:5]
	v_cndmask_b32_e64 v8, v8, v10, s[0:1]
	v_and_b32_e32 v8, 1, v8
	v_cmp_eq_u32_e32 vcc, 1, v8
	s_nop 1
	v_cndmask_b32_e32 v6, v7, v6, vcc
	v_cndmask_b32_e32 v5, v5, v9, vcc
	v_cmp_ge_u32_e32 vcc, v5, v6
	s_or_b64 s[2:3], vcc, s[2:3]
	s_andn2_b64 exec, exec, s[2:3]
	s_cbranch_execnz .LBB2168_21
; %bb.22:
	s_or_b64 exec, exec, s[2:3]
.LBB2168_23:
	v_add_u32_e32 v0, v5, v0
	v_mov_b32_e32 v1, 0
	global_store_byte v0, v3, s[10:11]
	v_lshl_add_u64 v[0:1], v[0:1], 2, s[14:15]
	global_store_dword v[0:1], v2, off
.LBB2168_24:
	s_endpgm
	.section	.rodata,"a",@progbits
	.p2align	6, 0x0
	.amdhsa_kernel _ZN7rocprim17ROCPRIM_400000_NS6detail17trampoline_kernelINS0_14default_configENS1_38merge_sort_block_merge_config_selectorIbiEEZZNS1_27merge_sort_block_merge_implIS3_N6thrust23THRUST_200600_302600_NS6detail15normal_iteratorINS8_10device_ptrIbEEEENSA_INSB_IiEEEEjNS1_19radix_merge_compareILb1ELb1EbNS0_19identity_decomposerEEEEE10hipError_tT0_T1_T2_jT3_P12ihipStream_tbPNSt15iterator_traitsISK_E10value_typeEPNSQ_ISL_E10value_typeEPSM_NS1_7vsmem_tEENKUlT_SK_SL_SM_E_clIPbSD_PiSF_EESJ_SZ_SK_SL_SM_EUlSZ_E1_NS1_11comp_targetILNS1_3genE0ELNS1_11target_archE4294967295ELNS1_3gpuE0ELNS1_3repE0EEENS1_36merge_oddeven_config_static_selectorELNS0_4arch9wavefront6targetE1EEEvSL_
		.amdhsa_group_segment_fixed_size 256
		.amdhsa_private_segment_fixed_size 0
		.amdhsa_kernarg_size 48
		.amdhsa_user_sgpr_count 4
		.amdhsa_user_sgpr_dispatch_ptr 1
		.amdhsa_user_sgpr_queue_ptr 0
		.amdhsa_user_sgpr_kernarg_segment_ptr 1
		.amdhsa_user_sgpr_dispatch_id 0
		.amdhsa_user_sgpr_kernarg_preload_length 0
		.amdhsa_user_sgpr_kernarg_preload_offset 0
		.amdhsa_user_sgpr_private_segment_size 0
		.amdhsa_uses_dynamic_stack 0
		.amdhsa_enable_private_segment 0
		.amdhsa_system_sgpr_workgroup_id_x 1
		.amdhsa_system_sgpr_workgroup_id_y 0
		.amdhsa_system_sgpr_workgroup_id_z 0
		.amdhsa_system_sgpr_workgroup_info 0
		.amdhsa_system_vgpr_workitem_id 2
		.amdhsa_next_free_vgpr 11
		.amdhsa_next_free_sgpr 22
		.amdhsa_accum_offset 12
		.amdhsa_reserve_vcc 1
		.amdhsa_float_round_mode_32 0
		.amdhsa_float_round_mode_16_64 0
		.amdhsa_float_denorm_mode_32 3
		.amdhsa_float_denorm_mode_16_64 3
		.amdhsa_dx10_clamp 1
		.amdhsa_ieee_mode 1
		.amdhsa_fp16_overflow 0
		.amdhsa_tg_split 0
		.amdhsa_exception_fp_ieee_invalid_op 0
		.amdhsa_exception_fp_denorm_src 0
		.amdhsa_exception_fp_ieee_div_zero 0
		.amdhsa_exception_fp_ieee_overflow 0
		.amdhsa_exception_fp_ieee_underflow 0
		.amdhsa_exception_fp_ieee_inexact 0
		.amdhsa_exception_int_div_zero 0
	.end_amdhsa_kernel
	.section	.text._ZN7rocprim17ROCPRIM_400000_NS6detail17trampoline_kernelINS0_14default_configENS1_38merge_sort_block_merge_config_selectorIbiEEZZNS1_27merge_sort_block_merge_implIS3_N6thrust23THRUST_200600_302600_NS6detail15normal_iteratorINS8_10device_ptrIbEEEENSA_INSB_IiEEEEjNS1_19radix_merge_compareILb1ELb1EbNS0_19identity_decomposerEEEEE10hipError_tT0_T1_T2_jT3_P12ihipStream_tbPNSt15iterator_traitsISK_E10value_typeEPNSQ_ISL_E10value_typeEPSM_NS1_7vsmem_tEENKUlT_SK_SL_SM_E_clIPbSD_PiSF_EESJ_SZ_SK_SL_SM_EUlSZ_E1_NS1_11comp_targetILNS1_3genE0ELNS1_11target_archE4294967295ELNS1_3gpuE0ELNS1_3repE0EEENS1_36merge_oddeven_config_static_selectorELNS0_4arch9wavefront6targetE1EEEvSL_,"axG",@progbits,_ZN7rocprim17ROCPRIM_400000_NS6detail17trampoline_kernelINS0_14default_configENS1_38merge_sort_block_merge_config_selectorIbiEEZZNS1_27merge_sort_block_merge_implIS3_N6thrust23THRUST_200600_302600_NS6detail15normal_iteratorINS8_10device_ptrIbEEEENSA_INSB_IiEEEEjNS1_19radix_merge_compareILb1ELb1EbNS0_19identity_decomposerEEEEE10hipError_tT0_T1_T2_jT3_P12ihipStream_tbPNSt15iterator_traitsISK_E10value_typeEPNSQ_ISL_E10value_typeEPSM_NS1_7vsmem_tEENKUlT_SK_SL_SM_E_clIPbSD_PiSF_EESJ_SZ_SK_SL_SM_EUlSZ_E1_NS1_11comp_targetILNS1_3genE0ELNS1_11target_archE4294967295ELNS1_3gpuE0ELNS1_3repE0EEENS1_36merge_oddeven_config_static_selectorELNS0_4arch9wavefront6targetE1EEEvSL_,comdat
.Lfunc_end2168:
	.size	_ZN7rocprim17ROCPRIM_400000_NS6detail17trampoline_kernelINS0_14default_configENS1_38merge_sort_block_merge_config_selectorIbiEEZZNS1_27merge_sort_block_merge_implIS3_N6thrust23THRUST_200600_302600_NS6detail15normal_iteratorINS8_10device_ptrIbEEEENSA_INSB_IiEEEEjNS1_19radix_merge_compareILb1ELb1EbNS0_19identity_decomposerEEEEE10hipError_tT0_T1_T2_jT3_P12ihipStream_tbPNSt15iterator_traitsISK_E10value_typeEPNSQ_ISL_E10value_typeEPSM_NS1_7vsmem_tEENKUlT_SK_SL_SM_E_clIPbSD_PiSF_EESJ_SZ_SK_SL_SM_EUlSZ_E1_NS1_11comp_targetILNS1_3genE0ELNS1_11target_archE4294967295ELNS1_3gpuE0ELNS1_3repE0EEENS1_36merge_oddeven_config_static_selectorELNS0_4arch9wavefront6targetE1EEEvSL_, .Lfunc_end2168-_ZN7rocprim17ROCPRIM_400000_NS6detail17trampoline_kernelINS0_14default_configENS1_38merge_sort_block_merge_config_selectorIbiEEZZNS1_27merge_sort_block_merge_implIS3_N6thrust23THRUST_200600_302600_NS6detail15normal_iteratorINS8_10device_ptrIbEEEENSA_INSB_IiEEEEjNS1_19radix_merge_compareILb1ELb1EbNS0_19identity_decomposerEEEEE10hipError_tT0_T1_T2_jT3_P12ihipStream_tbPNSt15iterator_traitsISK_E10value_typeEPNSQ_ISL_E10value_typeEPSM_NS1_7vsmem_tEENKUlT_SK_SL_SM_E_clIPbSD_PiSF_EESJ_SZ_SK_SL_SM_EUlSZ_E1_NS1_11comp_targetILNS1_3genE0ELNS1_11target_archE4294967295ELNS1_3gpuE0ELNS1_3repE0EEENS1_36merge_oddeven_config_static_selectorELNS0_4arch9wavefront6targetE1EEEvSL_
                                        ; -- End function
	.set _ZN7rocprim17ROCPRIM_400000_NS6detail17trampoline_kernelINS0_14default_configENS1_38merge_sort_block_merge_config_selectorIbiEEZZNS1_27merge_sort_block_merge_implIS3_N6thrust23THRUST_200600_302600_NS6detail15normal_iteratorINS8_10device_ptrIbEEEENSA_INSB_IiEEEEjNS1_19radix_merge_compareILb1ELb1EbNS0_19identity_decomposerEEEEE10hipError_tT0_T1_T2_jT3_P12ihipStream_tbPNSt15iterator_traitsISK_E10value_typeEPNSQ_ISL_E10value_typeEPSM_NS1_7vsmem_tEENKUlT_SK_SL_SM_E_clIPbSD_PiSF_EESJ_SZ_SK_SL_SM_EUlSZ_E1_NS1_11comp_targetILNS1_3genE0ELNS1_11target_archE4294967295ELNS1_3gpuE0ELNS1_3repE0EEENS1_36merge_oddeven_config_static_selectorELNS0_4arch9wavefront6targetE1EEEvSL_.num_vgpr, 11
	.set _ZN7rocprim17ROCPRIM_400000_NS6detail17trampoline_kernelINS0_14default_configENS1_38merge_sort_block_merge_config_selectorIbiEEZZNS1_27merge_sort_block_merge_implIS3_N6thrust23THRUST_200600_302600_NS6detail15normal_iteratorINS8_10device_ptrIbEEEENSA_INSB_IiEEEEjNS1_19radix_merge_compareILb1ELb1EbNS0_19identity_decomposerEEEEE10hipError_tT0_T1_T2_jT3_P12ihipStream_tbPNSt15iterator_traitsISK_E10value_typeEPNSQ_ISL_E10value_typeEPSM_NS1_7vsmem_tEENKUlT_SK_SL_SM_E_clIPbSD_PiSF_EESJ_SZ_SK_SL_SM_EUlSZ_E1_NS1_11comp_targetILNS1_3genE0ELNS1_11target_archE4294967295ELNS1_3gpuE0ELNS1_3repE0EEENS1_36merge_oddeven_config_static_selectorELNS0_4arch9wavefront6targetE1EEEvSL_.num_agpr, 0
	.set _ZN7rocprim17ROCPRIM_400000_NS6detail17trampoline_kernelINS0_14default_configENS1_38merge_sort_block_merge_config_selectorIbiEEZZNS1_27merge_sort_block_merge_implIS3_N6thrust23THRUST_200600_302600_NS6detail15normal_iteratorINS8_10device_ptrIbEEEENSA_INSB_IiEEEEjNS1_19radix_merge_compareILb1ELb1EbNS0_19identity_decomposerEEEEE10hipError_tT0_T1_T2_jT3_P12ihipStream_tbPNSt15iterator_traitsISK_E10value_typeEPNSQ_ISL_E10value_typeEPSM_NS1_7vsmem_tEENKUlT_SK_SL_SM_E_clIPbSD_PiSF_EESJ_SZ_SK_SL_SM_EUlSZ_E1_NS1_11comp_targetILNS1_3genE0ELNS1_11target_archE4294967295ELNS1_3gpuE0ELNS1_3repE0EEENS1_36merge_oddeven_config_static_selectorELNS0_4arch9wavefront6targetE1EEEvSL_.numbered_sgpr, 22
	.set _ZN7rocprim17ROCPRIM_400000_NS6detail17trampoline_kernelINS0_14default_configENS1_38merge_sort_block_merge_config_selectorIbiEEZZNS1_27merge_sort_block_merge_implIS3_N6thrust23THRUST_200600_302600_NS6detail15normal_iteratorINS8_10device_ptrIbEEEENSA_INSB_IiEEEEjNS1_19radix_merge_compareILb1ELb1EbNS0_19identity_decomposerEEEEE10hipError_tT0_T1_T2_jT3_P12ihipStream_tbPNSt15iterator_traitsISK_E10value_typeEPNSQ_ISL_E10value_typeEPSM_NS1_7vsmem_tEENKUlT_SK_SL_SM_E_clIPbSD_PiSF_EESJ_SZ_SK_SL_SM_EUlSZ_E1_NS1_11comp_targetILNS1_3genE0ELNS1_11target_archE4294967295ELNS1_3gpuE0ELNS1_3repE0EEENS1_36merge_oddeven_config_static_selectorELNS0_4arch9wavefront6targetE1EEEvSL_.num_named_barrier, 0
	.set _ZN7rocprim17ROCPRIM_400000_NS6detail17trampoline_kernelINS0_14default_configENS1_38merge_sort_block_merge_config_selectorIbiEEZZNS1_27merge_sort_block_merge_implIS3_N6thrust23THRUST_200600_302600_NS6detail15normal_iteratorINS8_10device_ptrIbEEEENSA_INSB_IiEEEEjNS1_19radix_merge_compareILb1ELb1EbNS0_19identity_decomposerEEEEE10hipError_tT0_T1_T2_jT3_P12ihipStream_tbPNSt15iterator_traitsISK_E10value_typeEPNSQ_ISL_E10value_typeEPSM_NS1_7vsmem_tEENKUlT_SK_SL_SM_E_clIPbSD_PiSF_EESJ_SZ_SK_SL_SM_EUlSZ_E1_NS1_11comp_targetILNS1_3genE0ELNS1_11target_archE4294967295ELNS1_3gpuE0ELNS1_3repE0EEENS1_36merge_oddeven_config_static_selectorELNS0_4arch9wavefront6targetE1EEEvSL_.private_seg_size, 0
	.set _ZN7rocprim17ROCPRIM_400000_NS6detail17trampoline_kernelINS0_14default_configENS1_38merge_sort_block_merge_config_selectorIbiEEZZNS1_27merge_sort_block_merge_implIS3_N6thrust23THRUST_200600_302600_NS6detail15normal_iteratorINS8_10device_ptrIbEEEENSA_INSB_IiEEEEjNS1_19radix_merge_compareILb1ELb1EbNS0_19identity_decomposerEEEEE10hipError_tT0_T1_T2_jT3_P12ihipStream_tbPNSt15iterator_traitsISK_E10value_typeEPNSQ_ISL_E10value_typeEPSM_NS1_7vsmem_tEENKUlT_SK_SL_SM_E_clIPbSD_PiSF_EESJ_SZ_SK_SL_SM_EUlSZ_E1_NS1_11comp_targetILNS1_3genE0ELNS1_11target_archE4294967295ELNS1_3gpuE0ELNS1_3repE0EEENS1_36merge_oddeven_config_static_selectorELNS0_4arch9wavefront6targetE1EEEvSL_.uses_vcc, 1
	.set _ZN7rocprim17ROCPRIM_400000_NS6detail17trampoline_kernelINS0_14default_configENS1_38merge_sort_block_merge_config_selectorIbiEEZZNS1_27merge_sort_block_merge_implIS3_N6thrust23THRUST_200600_302600_NS6detail15normal_iteratorINS8_10device_ptrIbEEEENSA_INSB_IiEEEEjNS1_19radix_merge_compareILb1ELb1EbNS0_19identity_decomposerEEEEE10hipError_tT0_T1_T2_jT3_P12ihipStream_tbPNSt15iterator_traitsISK_E10value_typeEPNSQ_ISL_E10value_typeEPSM_NS1_7vsmem_tEENKUlT_SK_SL_SM_E_clIPbSD_PiSF_EESJ_SZ_SK_SL_SM_EUlSZ_E1_NS1_11comp_targetILNS1_3genE0ELNS1_11target_archE4294967295ELNS1_3gpuE0ELNS1_3repE0EEENS1_36merge_oddeven_config_static_selectorELNS0_4arch9wavefront6targetE1EEEvSL_.uses_flat_scratch, 0
	.set _ZN7rocprim17ROCPRIM_400000_NS6detail17trampoline_kernelINS0_14default_configENS1_38merge_sort_block_merge_config_selectorIbiEEZZNS1_27merge_sort_block_merge_implIS3_N6thrust23THRUST_200600_302600_NS6detail15normal_iteratorINS8_10device_ptrIbEEEENSA_INSB_IiEEEEjNS1_19radix_merge_compareILb1ELb1EbNS0_19identity_decomposerEEEEE10hipError_tT0_T1_T2_jT3_P12ihipStream_tbPNSt15iterator_traitsISK_E10value_typeEPNSQ_ISL_E10value_typeEPSM_NS1_7vsmem_tEENKUlT_SK_SL_SM_E_clIPbSD_PiSF_EESJ_SZ_SK_SL_SM_EUlSZ_E1_NS1_11comp_targetILNS1_3genE0ELNS1_11target_archE4294967295ELNS1_3gpuE0ELNS1_3repE0EEENS1_36merge_oddeven_config_static_selectorELNS0_4arch9wavefront6targetE1EEEvSL_.has_dyn_sized_stack, 0
	.set _ZN7rocprim17ROCPRIM_400000_NS6detail17trampoline_kernelINS0_14default_configENS1_38merge_sort_block_merge_config_selectorIbiEEZZNS1_27merge_sort_block_merge_implIS3_N6thrust23THRUST_200600_302600_NS6detail15normal_iteratorINS8_10device_ptrIbEEEENSA_INSB_IiEEEEjNS1_19radix_merge_compareILb1ELb1EbNS0_19identity_decomposerEEEEE10hipError_tT0_T1_T2_jT3_P12ihipStream_tbPNSt15iterator_traitsISK_E10value_typeEPNSQ_ISL_E10value_typeEPSM_NS1_7vsmem_tEENKUlT_SK_SL_SM_E_clIPbSD_PiSF_EESJ_SZ_SK_SL_SM_EUlSZ_E1_NS1_11comp_targetILNS1_3genE0ELNS1_11target_archE4294967295ELNS1_3gpuE0ELNS1_3repE0EEENS1_36merge_oddeven_config_static_selectorELNS0_4arch9wavefront6targetE1EEEvSL_.has_recursion, 0
	.set _ZN7rocprim17ROCPRIM_400000_NS6detail17trampoline_kernelINS0_14default_configENS1_38merge_sort_block_merge_config_selectorIbiEEZZNS1_27merge_sort_block_merge_implIS3_N6thrust23THRUST_200600_302600_NS6detail15normal_iteratorINS8_10device_ptrIbEEEENSA_INSB_IiEEEEjNS1_19radix_merge_compareILb1ELb1EbNS0_19identity_decomposerEEEEE10hipError_tT0_T1_T2_jT3_P12ihipStream_tbPNSt15iterator_traitsISK_E10value_typeEPNSQ_ISL_E10value_typeEPSM_NS1_7vsmem_tEENKUlT_SK_SL_SM_E_clIPbSD_PiSF_EESJ_SZ_SK_SL_SM_EUlSZ_E1_NS1_11comp_targetILNS1_3genE0ELNS1_11target_archE4294967295ELNS1_3gpuE0ELNS1_3repE0EEENS1_36merge_oddeven_config_static_selectorELNS0_4arch9wavefront6targetE1EEEvSL_.has_indirect_call, 0
	.section	.AMDGPU.csdata,"",@progbits
; Kernel info:
; codeLenInByte = 804
; TotalNumSgprs: 28
; NumVgprs: 11
; NumAgprs: 0
; TotalNumVgprs: 11
; ScratchSize: 0
; MemoryBound: 0
; FloatMode: 240
; IeeeMode: 1
; LDSByteSize: 256 bytes/workgroup (compile time only)
; SGPRBlocks: 3
; VGPRBlocks: 1
; NumSGPRsForWavesPerEU: 28
; NumVGPRsForWavesPerEU: 11
; AccumOffset: 12
; Occupancy: 8
; WaveLimiterHint : 0
; COMPUTE_PGM_RSRC2:SCRATCH_EN: 0
; COMPUTE_PGM_RSRC2:USER_SGPR: 4
; COMPUTE_PGM_RSRC2:TRAP_HANDLER: 0
; COMPUTE_PGM_RSRC2:TGID_X_EN: 1
; COMPUTE_PGM_RSRC2:TGID_Y_EN: 0
; COMPUTE_PGM_RSRC2:TGID_Z_EN: 0
; COMPUTE_PGM_RSRC2:TIDIG_COMP_CNT: 2
; COMPUTE_PGM_RSRC3_GFX90A:ACCUM_OFFSET: 2
; COMPUTE_PGM_RSRC3_GFX90A:TG_SPLIT: 0
	.section	.text._ZN7rocprim17ROCPRIM_400000_NS6detail17trampoline_kernelINS0_14default_configENS1_38merge_sort_block_merge_config_selectorIbiEEZZNS1_27merge_sort_block_merge_implIS3_N6thrust23THRUST_200600_302600_NS6detail15normal_iteratorINS8_10device_ptrIbEEEENSA_INSB_IiEEEEjNS1_19radix_merge_compareILb1ELb1EbNS0_19identity_decomposerEEEEE10hipError_tT0_T1_T2_jT3_P12ihipStream_tbPNSt15iterator_traitsISK_E10value_typeEPNSQ_ISL_E10value_typeEPSM_NS1_7vsmem_tEENKUlT_SK_SL_SM_E_clIPbSD_PiSF_EESJ_SZ_SK_SL_SM_EUlSZ_E1_NS1_11comp_targetILNS1_3genE10ELNS1_11target_archE1201ELNS1_3gpuE5ELNS1_3repE0EEENS1_36merge_oddeven_config_static_selectorELNS0_4arch9wavefront6targetE1EEEvSL_,"axG",@progbits,_ZN7rocprim17ROCPRIM_400000_NS6detail17trampoline_kernelINS0_14default_configENS1_38merge_sort_block_merge_config_selectorIbiEEZZNS1_27merge_sort_block_merge_implIS3_N6thrust23THRUST_200600_302600_NS6detail15normal_iteratorINS8_10device_ptrIbEEEENSA_INSB_IiEEEEjNS1_19radix_merge_compareILb1ELb1EbNS0_19identity_decomposerEEEEE10hipError_tT0_T1_T2_jT3_P12ihipStream_tbPNSt15iterator_traitsISK_E10value_typeEPNSQ_ISL_E10value_typeEPSM_NS1_7vsmem_tEENKUlT_SK_SL_SM_E_clIPbSD_PiSF_EESJ_SZ_SK_SL_SM_EUlSZ_E1_NS1_11comp_targetILNS1_3genE10ELNS1_11target_archE1201ELNS1_3gpuE5ELNS1_3repE0EEENS1_36merge_oddeven_config_static_selectorELNS0_4arch9wavefront6targetE1EEEvSL_,comdat
	.protected	_ZN7rocprim17ROCPRIM_400000_NS6detail17trampoline_kernelINS0_14default_configENS1_38merge_sort_block_merge_config_selectorIbiEEZZNS1_27merge_sort_block_merge_implIS3_N6thrust23THRUST_200600_302600_NS6detail15normal_iteratorINS8_10device_ptrIbEEEENSA_INSB_IiEEEEjNS1_19radix_merge_compareILb1ELb1EbNS0_19identity_decomposerEEEEE10hipError_tT0_T1_T2_jT3_P12ihipStream_tbPNSt15iterator_traitsISK_E10value_typeEPNSQ_ISL_E10value_typeEPSM_NS1_7vsmem_tEENKUlT_SK_SL_SM_E_clIPbSD_PiSF_EESJ_SZ_SK_SL_SM_EUlSZ_E1_NS1_11comp_targetILNS1_3genE10ELNS1_11target_archE1201ELNS1_3gpuE5ELNS1_3repE0EEENS1_36merge_oddeven_config_static_selectorELNS0_4arch9wavefront6targetE1EEEvSL_ ; -- Begin function _ZN7rocprim17ROCPRIM_400000_NS6detail17trampoline_kernelINS0_14default_configENS1_38merge_sort_block_merge_config_selectorIbiEEZZNS1_27merge_sort_block_merge_implIS3_N6thrust23THRUST_200600_302600_NS6detail15normal_iteratorINS8_10device_ptrIbEEEENSA_INSB_IiEEEEjNS1_19radix_merge_compareILb1ELb1EbNS0_19identity_decomposerEEEEE10hipError_tT0_T1_T2_jT3_P12ihipStream_tbPNSt15iterator_traitsISK_E10value_typeEPNSQ_ISL_E10value_typeEPSM_NS1_7vsmem_tEENKUlT_SK_SL_SM_E_clIPbSD_PiSF_EESJ_SZ_SK_SL_SM_EUlSZ_E1_NS1_11comp_targetILNS1_3genE10ELNS1_11target_archE1201ELNS1_3gpuE5ELNS1_3repE0EEENS1_36merge_oddeven_config_static_selectorELNS0_4arch9wavefront6targetE1EEEvSL_
	.globl	_ZN7rocprim17ROCPRIM_400000_NS6detail17trampoline_kernelINS0_14default_configENS1_38merge_sort_block_merge_config_selectorIbiEEZZNS1_27merge_sort_block_merge_implIS3_N6thrust23THRUST_200600_302600_NS6detail15normal_iteratorINS8_10device_ptrIbEEEENSA_INSB_IiEEEEjNS1_19radix_merge_compareILb1ELb1EbNS0_19identity_decomposerEEEEE10hipError_tT0_T1_T2_jT3_P12ihipStream_tbPNSt15iterator_traitsISK_E10value_typeEPNSQ_ISL_E10value_typeEPSM_NS1_7vsmem_tEENKUlT_SK_SL_SM_E_clIPbSD_PiSF_EESJ_SZ_SK_SL_SM_EUlSZ_E1_NS1_11comp_targetILNS1_3genE10ELNS1_11target_archE1201ELNS1_3gpuE5ELNS1_3repE0EEENS1_36merge_oddeven_config_static_selectorELNS0_4arch9wavefront6targetE1EEEvSL_
	.p2align	8
	.type	_ZN7rocprim17ROCPRIM_400000_NS6detail17trampoline_kernelINS0_14default_configENS1_38merge_sort_block_merge_config_selectorIbiEEZZNS1_27merge_sort_block_merge_implIS3_N6thrust23THRUST_200600_302600_NS6detail15normal_iteratorINS8_10device_ptrIbEEEENSA_INSB_IiEEEEjNS1_19radix_merge_compareILb1ELb1EbNS0_19identity_decomposerEEEEE10hipError_tT0_T1_T2_jT3_P12ihipStream_tbPNSt15iterator_traitsISK_E10value_typeEPNSQ_ISL_E10value_typeEPSM_NS1_7vsmem_tEENKUlT_SK_SL_SM_E_clIPbSD_PiSF_EESJ_SZ_SK_SL_SM_EUlSZ_E1_NS1_11comp_targetILNS1_3genE10ELNS1_11target_archE1201ELNS1_3gpuE5ELNS1_3repE0EEENS1_36merge_oddeven_config_static_selectorELNS0_4arch9wavefront6targetE1EEEvSL_,@function
_ZN7rocprim17ROCPRIM_400000_NS6detail17trampoline_kernelINS0_14default_configENS1_38merge_sort_block_merge_config_selectorIbiEEZZNS1_27merge_sort_block_merge_implIS3_N6thrust23THRUST_200600_302600_NS6detail15normal_iteratorINS8_10device_ptrIbEEEENSA_INSB_IiEEEEjNS1_19radix_merge_compareILb1ELb1EbNS0_19identity_decomposerEEEEE10hipError_tT0_T1_T2_jT3_P12ihipStream_tbPNSt15iterator_traitsISK_E10value_typeEPNSQ_ISL_E10value_typeEPSM_NS1_7vsmem_tEENKUlT_SK_SL_SM_E_clIPbSD_PiSF_EESJ_SZ_SK_SL_SM_EUlSZ_E1_NS1_11comp_targetILNS1_3genE10ELNS1_11target_archE1201ELNS1_3gpuE5ELNS1_3repE0EEENS1_36merge_oddeven_config_static_selectorELNS0_4arch9wavefront6targetE1EEEvSL_: ; @_ZN7rocprim17ROCPRIM_400000_NS6detail17trampoline_kernelINS0_14default_configENS1_38merge_sort_block_merge_config_selectorIbiEEZZNS1_27merge_sort_block_merge_implIS3_N6thrust23THRUST_200600_302600_NS6detail15normal_iteratorINS8_10device_ptrIbEEEENSA_INSB_IiEEEEjNS1_19radix_merge_compareILb1ELb1EbNS0_19identity_decomposerEEEEE10hipError_tT0_T1_T2_jT3_P12ihipStream_tbPNSt15iterator_traitsISK_E10value_typeEPNSQ_ISL_E10value_typeEPSM_NS1_7vsmem_tEENKUlT_SK_SL_SM_E_clIPbSD_PiSF_EESJ_SZ_SK_SL_SM_EUlSZ_E1_NS1_11comp_targetILNS1_3genE10ELNS1_11target_archE1201ELNS1_3gpuE5ELNS1_3repE0EEENS1_36merge_oddeven_config_static_selectorELNS0_4arch9wavefront6targetE1EEEvSL_
; %bb.0:
	.section	.rodata,"a",@progbits
	.p2align	6, 0x0
	.amdhsa_kernel _ZN7rocprim17ROCPRIM_400000_NS6detail17trampoline_kernelINS0_14default_configENS1_38merge_sort_block_merge_config_selectorIbiEEZZNS1_27merge_sort_block_merge_implIS3_N6thrust23THRUST_200600_302600_NS6detail15normal_iteratorINS8_10device_ptrIbEEEENSA_INSB_IiEEEEjNS1_19radix_merge_compareILb1ELb1EbNS0_19identity_decomposerEEEEE10hipError_tT0_T1_T2_jT3_P12ihipStream_tbPNSt15iterator_traitsISK_E10value_typeEPNSQ_ISL_E10value_typeEPSM_NS1_7vsmem_tEENKUlT_SK_SL_SM_E_clIPbSD_PiSF_EESJ_SZ_SK_SL_SM_EUlSZ_E1_NS1_11comp_targetILNS1_3genE10ELNS1_11target_archE1201ELNS1_3gpuE5ELNS1_3repE0EEENS1_36merge_oddeven_config_static_selectorELNS0_4arch9wavefront6targetE1EEEvSL_
		.amdhsa_group_segment_fixed_size 0
		.amdhsa_private_segment_fixed_size 0
		.amdhsa_kernarg_size 48
		.amdhsa_user_sgpr_count 2
		.amdhsa_user_sgpr_dispatch_ptr 0
		.amdhsa_user_sgpr_queue_ptr 0
		.amdhsa_user_sgpr_kernarg_segment_ptr 1
		.amdhsa_user_sgpr_dispatch_id 0
		.amdhsa_user_sgpr_kernarg_preload_length 0
		.amdhsa_user_sgpr_kernarg_preload_offset 0
		.amdhsa_user_sgpr_private_segment_size 0
		.amdhsa_uses_dynamic_stack 0
		.amdhsa_enable_private_segment 0
		.amdhsa_system_sgpr_workgroup_id_x 1
		.amdhsa_system_sgpr_workgroup_id_y 0
		.amdhsa_system_sgpr_workgroup_id_z 0
		.amdhsa_system_sgpr_workgroup_info 0
		.amdhsa_system_vgpr_workitem_id 0
		.amdhsa_next_free_vgpr 1
		.amdhsa_next_free_sgpr 0
		.amdhsa_accum_offset 4
		.amdhsa_reserve_vcc 0
		.amdhsa_float_round_mode_32 0
		.amdhsa_float_round_mode_16_64 0
		.amdhsa_float_denorm_mode_32 3
		.amdhsa_float_denorm_mode_16_64 3
		.amdhsa_dx10_clamp 1
		.amdhsa_ieee_mode 1
		.amdhsa_fp16_overflow 0
		.amdhsa_tg_split 0
		.amdhsa_exception_fp_ieee_invalid_op 0
		.amdhsa_exception_fp_denorm_src 0
		.amdhsa_exception_fp_ieee_div_zero 0
		.amdhsa_exception_fp_ieee_overflow 0
		.amdhsa_exception_fp_ieee_underflow 0
		.amdhsa_exception_fp_ieee_inexact 0
		.amdhsa_exception_int_div_zero 0
	.end_amdhsa_kernel
	.section	.text._ZN7rocprim17ROCPRIM_400000_NS6detail17trampoline_kernelINS0_14default_configENS1_38merge_sort_block_merge_config_selectorIbiEEZZNS1_27merge_sort_block_merge_implIS3_N6thrust23THRUST_200600_302600_NS6detail15normal_iteratorINS8_10device_ptrIbEEEENSA_INSB_IiEEEEjNS1_19radix_merge_compareILb1ELb1EbNS0_19identity_decomposerEEEEE10hipError_tT0_T1_T2_jT3_P12ihipStream_tbPNSt15iterator_traitsISK_E10value_typeEPNSQ_ISL_E10value_typeEPSM_NS1_7vsmem_tEENKUlT_SK_SL_SM_E_clIPbSD_PiSF_EESJ_SZ_SK_SL_SM_EUlSZ_E1_NS1_11comp_targetILNS1_3genE10ELNS1_11target_archE1201ELNS1_3gpuE5ELNS1_3repE0EEENS1_36merge_oddeven_config_static_selectorELNS0_4arch9wavefront6targetE1EEEvSL_,"axG",@progbits,_ZN7rocprim17ROCPRIM_400000_NS6detail17trampoline_kernelINS0_14default_configENS1_38merge_sort_block_merge_config_selectorIbiEEZZNS1_27merge_sort_block_merge_implIS3_N6thrust23THRUST_200600_302600_NS6detail15normal_iteratorINS8_10device_ptrIbEEEENSA_INSB_IiEEEEjNS1_19radix_merge_compareILb1ELb1EbNS0_19identity_decomposerEEEEE10hipError_tT0_T1_T2_jT3_P12ihipStream_tbPNSt15iterator_traitsISK_E10value_typeEPNSQ_ISL_E10value_typeEPSM_NS1_7vsmem_tEENKUlT_SK_SL_SM_E_clIPbSD_PiSF_EESJ_SZ_SK_SL_SM_EUlSZ_E1_NS1_11comp_targetILNS1_3genE10ELNS1_11target_archE1201ELNS1_3gpuE5ELNS1_3repE0EEENS1_36merge_oddeven_config_static_selectorELNS0_4arch9wavefront6targetE1EEEvSL_,comdat
.Lfunc_end2169:
	.size	_ZN7rocprim17ROCPRIM_400000_NS6detail17trampoline_kernelINS0_14default_configENS1_38merge_sort_block_merge_config_selectorIbiEEZZNS1_27merge_sort_block_merge_implIS3_N6thrust23THRUST_200600_302600_NS6detail15normal_iteratorINS8_10device_ptrIbEEEENSA_INSB_IiEEEEjNS1_19radix_merge_compareILb1ELb1EbNS0_19identity_decomposerEEEEE10hipError_tT0_T1_T2_jT3_P12ihipStream_tbPNSt15iterator_traitsISK_E10value_typeEPNSQ_ISL_E10value_typeEPSM_NS1_7vsmem_tEENKUlT_SK_SL_SM_E_clIPbSD_PiSF_EESJ_SZ_SK_SL_SM_EUlSZ_E1_NS1_11comp_targetILNS1_3genE10ELNS1_11target_archE1201ELNS1_3gpuE5ELNS1_3repE0EEENS1_36merge_oddeven_config_static_selectorELNS0_4arch9wavefront6targetE1EEEvSL_, .Lfunc_end2169-_ZN7rocprim17ROCPRIM_400000_NS6detail17trampoline_kernelINS0_14default_configENS1_38merge_sort_block_merge_config_selectorIbiEEZZNS1_27merge_sort_block_merge_implIS3_N6thrust23THRUST_200600_302600_NS6detail15normal_iteratorINS8_10device_ptrIbEEEENSA_INSB_IiEEEEjNS1_19radix_merge_compareILb1ELb1EbNS0_19identity_decomposerEEEEE10hipError_tT0_T1_T2_jT3_P12ihipStream_tbPNSt15iterator_traitsISK_E10value_typeEPNSQ_ISL_E10value_typeEPSM_NS1_7vsmem_tEENKUlT_SK_SL_SM_E_clIPbSD_PiSF_EESJ_SZ_SK_SL_SM_EUlSZ_E1_NS1_11comp_targetILNS1_3genE10ELNS1_11target_archE1201ELNS1_3gpuE5ELNS1_3repE0EEENS1_36merge_oddeven_config_static_selectorELNS0_4arch9wavefront6targetE1EEEvSL_
                                        ; -- End function
	.set _ZN7rocprim17ROCPRIM_400000_NS6detail17trampoline_kernelINS0_14default_configENS1_38merge_sort_block_merge_config_selectorIbiEEZZNS1_27merge_sort_block_merge_implIS3_N6thrust23THRUST_200600_302600_NS6detail15normal_iteratorINS8_10device_ptrIbEEEENSA_INSB_IiEEEEjNS1_19radix_merge_compareILb1ELb1EbNS0_19identity_decomposerEEEEE10hipError_tT0_T1_T2_jT3_P12ihipStream_tbPNSt15iterator_traitsISK_E10value_typeEPNSQ_ISL_E10value_typeEPSM_NS1_7vsmem_tEENKUlT_SK_SL_SM_E_clIPbSD_PiSF_EESJ_SZ_SK_SL_SM_EUlSZ_E1_NS1_11comp_targetILNS1_3genE10ELNS1_11target_archE1201ELNS1_3gpuE5ELNS1_3repE0EEENS1_36merge_oddeven_config_static_selectorELNS0_4arch9wavefront6targetE1EEEvSL_.num_vgpr, 0
	.set _ZN7rocprim17ROCPRIM_400000_NS6detail17trampoline_kernelINS0_14default_configENS1_38merge_sort_block_merge_config_selectorIbiEEZZNS1_27merge_sort_block_merge_implIS3_N6thrust23THRUST_200600_302600_NS6detail15normal_iteratorINS8_10device_ptrIbEEEENSA_INSB_IiEEEEjNS1_19radix_merge_compareILb1ELb1EbNS0_19identity_decomposerEEEEE10hipError_tT0_T1_T2_jT3_P12ihipStream_tbPNSt15iterator_traitsISK_E10value_typeEPNSQ_ISL_E10value_typeEPSM_NS1_7vsmem_tEENKUlT_SK_SL_SM_E_clIPbSD_PiSF_EESJ_SZ_SK_SL_SM_EUlSZ_E1_NS1_11comp_targetILNS1_3genE10ELNS1_11target_archE1201ELNS1_3gpuE5ELNS1_3repE0EEENS1_36merge_oddeven_config_static_selectorELNS0_4arch9wavefront6targetE1EEEvSL_.num_agpr, 0
	.set _ZN7rocprim17ROCPRIM_400000_NS6detail17trampoline_kernelINS0_14default_configENS1_38merge_sort_block_merge_config_selectorIbiEEZZNS1_27merge_sort_block_merge_implIS3_N6thrust23THRUST_200600_302600_NS6detail15normal_iteratorINS8_10device_ptrIbEEEENSA_INSB_IiEEEEjNS1_19radix_merge_compareILb1ELb1EbNS0_19identity_decomposerEEEEE10hipError_tT0_T1_T2_jT3_P12ihipStream_tbPNSt15iterator_traitsISK_E10value_typeEPNSQ_ISL_E10value_typeEPSM_NS1_7vsmem_tEENKUlT_SK_SL_SM_E_clIPbSD_PiSF_EESJ_SZ_SK_SL_SM_EUlSZ_E1_NS1_11comp_targetILNS1_3genE10ELNS1_11target_archE1201ELNS1_3gpuE5ELNS1_3repE0EEENS1_36merge_oddeven_config_static_selectorELNS0_4arch9wavefront6targetE1EEEvSL_.numbered_sgpr, 0
	.set _ZN7rocprim17ROCPRIM_400000_NS6detail17trampoline_kernelINS0_14default_configENS1_38merge_sort_block_merge_config_selectorIbiEEZZNS1_27merge_sort_block_merge_implIS3_N6thrust23THRUST_200600_302600_NS6detail15normal_iteratorINS8_10device_ptrIbEEEENSA_INSB_IiEEEEjNS1_19radix_merge_compareILb1ELb1EbNS0_19identity_decomposerEEEEE10hipError_tT0_T1_T2_jT3_P12ihipStream_tbPNSt15iterator_traitsISK_E10value_typeEPNSQ_ISL_E10value_typeEPSM_NS1_7vsmem_tEENKUlT_SK_SL_SM_E_clIPbSD_PiSF_EESJ_SZ_SK_SL_SM_EUlSZ_E1_NS1_11comp_targetILNS1_3genE10ELNS1_11target_archE1201ELNS1_3gpuE5ELNS1_3repE0EEENS1_36merge_oddeven_config_static_selectorELNS0_4arch9wavefront6targetE1EEEvSL_.num_named_barrier, 0
	.set _ZN7rocprim17ROCPRIM_400000_NS6detail17trampoline_kernelINS0_14default_configENS1_38merge_sort_block_merge_config_selectorIbiEEZZNS1_27merge_sort_block_merge_implIS3_N6thrust23THRUST_200600_302600_NS6detail15normal_iteratorINS8_10device_ptrIbEEEENSA_INSB_IiEEEEjNS1_19radix_merge_compareILb1ELb1EbNS0_19identity_decomposerEEEEE10hipError_tT0_T1_T2_jT3_P12ihipStream_tbPNSt15iterator_traitsISK_E10value_typeEPNSQ_ISL_E10value_typeEPSM_NS1_7vsmem_tEENKUlT_SK_SL_SM_E_clIPbSD_PiSF_EESJ_SZ_SK_SL_SM_EUlSZ_E1_NS1_11comp_targetILNS1_3genE10ELNS1_11target_archE1201ELNS1_3gpuE5ELNS1_3repE0EEENS1_36merge_oddeven_config_static_selectorELNS0_4arch9wavefront6targetE1EEEvSL_.private_seg_size, 0
	.set _ZN7rocprim17ROCPRIM_400000_NS6detail17trampoline_kernelINS0_14default_configENS1_38merge_sort_block_merge_config_selectorIbiEEZZNS1_27merge_sort_block_merge_implIS3_N6thrust23THRUST_200600_302600_NS6detail15normal_iteratorINS8_10device_ptrIbEEEENSA_INSB_IiEEEEjNS1_19radix_merge_compareILb1ELb1EbNS0_19identity_decomposerEEEEE10hipError_tT0_T1_T2_jT3_P12ihipStream_tbPNSt15iterator_traitsISK_E10value_typeEPNSQ_ISL_E10value_typeEPSM_NS1_7vsmem_tEENKUlT_SK_SL_SM_E_clIPbSD_PiSF_EESJ_SZ_SK_SL_SM_EUlSZ_E1_NS1_11comp_targetILNS1_3genE10ELNS1_11target_archE1201ELNS1_3gpuE5ELNS1_3repE0EEENS1_36merge_oddeven_config_static_selectorELNS0_4arch9wavefront6targetE1EEEvSL_.uses_vcc, 0
	.set _ZN7rocprim17ROCPRIM_400000_NS6detail17trampoline_kernelINS0_14default_configENS1_38merge_sort_block_merge_config_selectorIbiEEZZNS1_27merge_sort_block_merge_implIS3_N6thrust23THRUST_200600_302600_NS6detail15normal_iteratorINS8_10device_ptrIbEEEENSA_INSB_IiEEEEjNS1_19radix_merge_compareILb1ELb1EbNS0_19identity_decomposerEEEEE10hipError_tT0_T1_T2_jT3_P12ihipStream_tbPNSt15iterator_traitsISK_E10value_typeEPNSQ_ISL_E10value_typeEPSM_NS1_7vsmem_tEENKUlT_SK_SL_SM_E_clIPbSD_PiSF_EESJ_SZ_SK_SL_SM_EUlSZ_E1_NS1_11comp_targetILNS1_3genE10ELNS1_11target_archE1201ELNS1_3gpuE5ELNS1_3repE0EEENS1_36merge_oddeven_config_static_selectorELNS0_4arch9wavefront6targetE1EEEvSL_.uses_flat_scratch, 0
	.set _ZN7rocprim17ROCPRIM_400000_NS6detail17trampoline_kernelINS0_14default_configENS1_38merge_sort_block_merge_config_selectorIbiEEZZNS1_27merge_sort_block_merge_implIS3_N6thrust23THRUST_200600_302600_NS6detail15normal_iteratorINS8_10device_ptrIbEEEENSA_INSB_IiEEEEjNS1_19radix_merge_compareILb1ELb1EbNS0_19identity_decomposerEEEEE10hipError_tT0_T1_T2_jT3_P12ihipStream_tbPNSt15iterator_traitsISK_E10value_typeEPNSQ_ISL_E10value_typeEPSM_NS1_7vsmem_tEENKUlT_SK_SL_SM_E_clIPbSD_PiSF_EESJ_SZ_SK_SL_SM_EUlSZ_E1_NS1_11comp_targetILNS1_3genE10ELNS1_11target_archE1201ELNS1_3gpuE5ELNS1_3repE0EEENS1_36merge_oddeven_config_static_selectorELNS0_4arch9wavefront6targetE1EEEvSL_.has_dyn_sized_stack, 0
	.set _ZN7rocprim17ROCPRIM_400000_NS6detail17trampoline_kernelINS0_14default_configENS1_38merge_sort_block_merge_config_selectorIbiEEZZNS1_27merge_sort_block_merge_implIS3_N6thrust23THRUST_200600_302600_NS6detail15normal_iteratorINS8_10device_ptrIbEEEENSA_INSB_IiEEEEjNS1_19radix_merge_compareILb1ELb1EbNS0_19identity_decomposerEEEEE10hipError_tT0_T1_T2_jT3_P12ihipStream_tbPNSt15iterator_traitsISK_E10value_typeEPNSQ_ISL_E10value_typeEPSM_NS1_7vsmem_tEENKUlT_SK_SL_SM_E_clIPbSD_PiSF_EESJ_SZ_SK_SL_SM_EUlSZ_E1_NS1_11comp_targetILNS1_3genE10ELNS1_11target_archE1201ELNS1_3gpuE5ELNS1_3repE0EEENS1_36merge_oddeven_config_static_selectorELNS0_4arch9wavefront6targetE1EEEvSL_.has_recursion, 0
	.set _ZN7rocprim17ROCPRIM_400000_NS6detail17trampoline_kernelINS0_14default_configENS1_38merge_sort_block_merge_config_selectorIbiEEZZNS1_27merge_sort_block_merge_implIS3_N6thrust23THRUST_200600_302600_NS6detail15normal_iteratorINS8_10device_ptrIbEEEENSA_INSB_IiEEEEjNS1_19radix_merge_compareILb1ELb1EbNS0_19identity_decomposerEEEEE10hipError_tT0_T1_T2_jT3_P12ihipStream_tbPNSt15iterator_traitsISK_E10value_typeEPNSQ_ISL_E10value_typeEPSM_NS1_7vsmem_tEENKUlT_SK_SL_SM_E_clIPbSD_PiSF_EESJ_SZ_SK_SL_SM_EUlSZ_E1_NS1_11comp_targetILNS1_3genE10ELNS1_11target_archE1201ELNS1_3gpuE5ELNS1_3repE0EEENS1_36merge_oddeven_config_static_selectorELNS0_4arch9wavefront6targetE1EEEvSL_.has_indirect_call, 0
	.section	.AMDGPU.csdata,"",@progbits
; Kernel info:
; codeLenInByte = 0
; TotalNumSgprs: 6
; NumVgprs: 0
; NumAgprs: 0
; TotalNumVgprs: 0
; ScratchSize: 0
; MemoryBound: 0
; FloatMode: 240
; IeeeMode: 1
; LDSByteSize: 0 bytes/workgroup (compile time only)
; SGPRBlocks: 0
; VGPRBlocks: 0
; NumSGPRsForWavesPerEU: 6
; NumVGPRsForWavesPerEU: 1
; AccumOffset: 4
; Occupancy: 8
; WaveLimiterHint : 0
; COMPUTE_PGM_RSRC2:SCRATCH_EN: 0
; COMPUTE_PGM_RSRC2:USER_SGPR: 2
; COMPUTE_PGM_RSRC2:TRAP_HANDLER: 0
; COMPUTE_PGM_RSRC2:TGID_X_EN: 1
; COMPUTE_PGM_RSRC2:TGID_Y_EN: 0
; COMPUTE_PGM_RSRC2:TGID_Z_EN: 0
; COMPUTE_PGM_RSRC2:TIDIG_COMP_CNT: 0
; COMPUTE_PGM_RSRC3_GFX90A:ACCUM_OFFSET: 0
; COMPUTE_PGM_RSRC3_GFX90A:TG_SPLIT: 0
	.section	.text._ZN7rocprim17ROCPRIM_400000_NS6detail17trampoline_kernelINS0_14default_configENS1_38merge_sort_block_merge_config_selectorIbiEEZZNS1_27merge_sort_block_merge_implIS3_N6thrust23THRUST_200600_302600_NS6detail15normal_iteratorINS8_10device_ptrIbEEEENSA_INSB_IiEEEEjNS1_19radix_merge_compareILb1ELb1EbNS0_19identity_decomposerEEEEE10hipError_tT0_T1_T2_jT3_P12ihipStream_tbPNSt15iterator_traitsISK_E10value_typeEPNSQ_ISL_E10value_typeEPSM_NS1_7vsmem_tEENKUlT_SK_SL_SM_E_clIPbSD_PiSF_EESJ_SZ_SK_SL_SM_EUlSZ_E1_NS1_11comp_targetILNS1_3genE5ELNS1_11target_archE942ELNS1_3gpuE9ELNS1_3repE0EEENS1_36merge_oddeven_config_static_selectorELNS0_4arch9wavefront6targetE1EEEvSL_,"axG",@progbits,_ZN7rocprim17ROCPRIM_400000_NS6detail17trampoline_kernelINS0_14default_configENS1_38merge_sort_block_merge_config_selectorIbiEEZZNS1_27merge_sort_block_merge_implIS3_N6thrust23THRUST_200600_302600_NS6detail15normal_iteratorINS8_10device_ptrIbEEEENSA_INSB_IiEEEEjNS1_19radix_merge_compareILb1ELb1EbNS0_19identity_decomposerEEEEE10hipError_tT0_T1_T2_jT3_P12ihipStream_tbPNSt15iterator_traitsISK_E10value_typeEPNSQ_ISL_E10value_typeEPSM_NS1_7vsmem_tEENKUlT_SK_SL_SM_E_clIPbSD_PiSF_EESJ_SZ_SK_SL_SM_EUlSZ_E1_NS1_11comp_targetILNS1_3genE5ELNS1_11target_archE942ELNS1_3gpuE9ELNS1_3repE0EEENS1_36merge_oddeven_config_static_selectorELNS0_4arch9wavefront6targetE1EEEvSL_,comdat
	.protected	_ZN7rocprim17ROCPRIM_400000_NS6detail17trampoline_kernelINS0_14default_configENS1_38merge_sort_block_merge_config_selectorIbiEEZZNS1_27merge_sort_block_merge_implIS3_N6thrust23THRUST_200600_302600_NS6detail15normal_iteratorINS8_10device_ptrIbEEEENSA_INSB_IiEEEEjNS1_19radix_merge_compareILb1ELb1EbNS0_19identity_decomposerEEEEE10hipError_tT0_T1_T2_jT3_P12ihipStream_tbPNSt15iterator_traitsISK_E10value_typeEPNSQ_ISL_E10value_typeEPSM_NS1_7vsmem_tEENKUlT_SK_SL_SM_E_clIPbSD_PiSF_EESJ_SZ_SK_SL_SM_EUlSZ_E1_NS1_11comp_targetILNS1_3genE5ELNS1_11target_archE942ELNS1_3gpuE9ELNS1_3repE0EEENS1_36merge_oddeven_config_static_selectorELNS0_4arch9wavefront6targetE1EEEvSL_ ; -- Begin function _ZN7rocprim17ROCPRIM_400000_NS6detail17trampoline_kernelINS0_14default_configENS1_38merge_sort_block_merge_config_selectorIbiEEZZNS1_27merge_sort_block_merge_implIS3_N6thrust23THRUST_200600_302600_NS6detail15normal_iteratorINS8_10device_ptrIbEEEENSA_INSB_IiEEEEjNS1_19radix_merge_compareILb1ELb1EbNS0_19identity_decomposerEEEEE10hipError_tT0_T1_T2_jT3_P12ihipStream_tbPNSt15iterator_traitsISK_E10value_typeEPNSQ_ISL_E10value_typeEPSM_NS1_7vsmem_tEENKUlT_SK_SL_SM_E_clIPbSD_PiSF_EESJ_SZ_SK_SL_SM_EUlSZ_E1_NS1_11comp_targetILNS1_3genE5ELNS1_11target_archE942ELNS1_3gpuE9ELNS1_3repE0EEENS1_36merge_oddeven_config_static_selectorELNS0_4arch9wavefront6targetE1EEEvSL_
	.globl	_ZN7rocprim17ROCPRIM_400000_NS6detail17trampoline_kernelINS0_14default_configENS1_38merge_sort_block_merge_config_selectorIbiEEZZNS1_27merge_sort_block_merge_implIS3_N6thrust23THRUST_200600_302600_NS6detail15normal_iteratorINS8_10device_ptrIbEEEENSA_INSB_IiEEEEjNS1_19radix_merge_compareILb1ELb1EbNS0_19identity_decomposerEEEEE10hipError_tT0_T1_T2_jT3_P12ihipStream_tbPNSt15iterator_traitsISK_E10value_typeEPNSQ_ISL_E10value_typeEPSM_NS1_7vsmem_tEENKUlT_SK_SL_SM_E_clIPbSD_PiSF_EESJ_SZ_SK_SL_SM_EUlSZ_E1_NS1_11comp_targetILNS1_3genE5ELNS1_11target_archE942ELNS1_3gpuE9ELNS1_3repE0EEENS1_36merge_oddeven_config_static_selectorELNS0_4arch9wavefront6targetE1EEEvSL_
	.p2align	8
	.type	_ZN7rocprim17ROCPRIM_400000_NS6detail17trampoline_kernelINS0_14default_configENS1_38merge_sort_block_merge_config_selectorIbiEEZZNS1_27merge_sort_block_merge_implIS3_N6thrust23THRUST_200600_302600_NS6detail15normal_iteratorINS8_10device_ptrIbEEEENSA_INSB_IiEEEEjNS1_19radix_merge_compareILb1ELb1EbNS0_19identity_decomposerEEEEE10hipError_tT0_T1_T2_jT3_P12ihipStream_tbPNSt15iterator_traitsISK_E10value_typeEPNSQ_ISL_E10value_typeEPSM_NS1_7vsmem_tEENKUlT_SK_SL_SM_E_clIPbSD_PiSF_EESJ_SZ_SK_SL_SM_EUlSZ_E1_NS1_11comp_targetILNS1_3genE5ELNS1_11target_archE942ELNS1_3gpuE9ELNS1_3repE0EEENS1_36merge_oddeven_config_static_selectorELNS0_4arch9wavefront6targetE1EEEvSL_,@function
_ZN7rocprim17ROCPRIM_400000_NS6detail17trampoline_kernelINS0_14default_configENS1_38merge_sort_block_merge_config_selectorIbiEEZZNS1_27merge_sort_block_merge_implIS3_N6thrust23THRUST_200600_302600_NS6detail15normal_iteratorINS8_10device_ptrIbEEEENSA_INSB_IiEEEEjNS1_19radix_merge_compareILb1ELb1EbNS0_19identity_decomposerEEEEE10hipError_tT0_T1_T2_jT3_P12ihipStream_tbPNSt15iterator_traitsISK_E10value_typeEPNSQ_ISL_E10value_typeEPSM_NS1_7vsmem_tEENKUlT_SK_SL_SM_E_clIPbSD_PiSF_EESJ_SZ_SK_SL_SM_EUlSZ_E1_NS1_11comp_targetILNS1_3genE5ELNS1_11target_archE942ELNS1_3gpuE9ELNS1_3repE0EEENS1_36merge_oddeven_config_static_selectorELNS0_4arch9wavefront6targetE1EEEvSL_: ; @_ZN7rocprim17ROCPRIM_400000_NS6detail17trampoline_kernelINS0_14default_configENS1_38merge_sort_block_merge_config_selectorIbiEEZZNS1_27merge_sort_block_merge_implIS3_N6thrust23THRUST_200600_302600_NS6detail15normal_iteratorINS8_10device_ptrIbEEEENSA_INSB_IiEEEEjNS1_19radix_merge_compareILb1ELb1EbNS0_19identity_decomposerEEEEE10hipError_tT0_T1_T2_jT3_P12ihipStream_tbPNSt15iterator_traitsISK_E10value_typeEPNSQ_ISL_E10value_typeEPSM_NS1_7vsmem_tEENKUlT_SK_SL_SM_E_clIPbSD_PiSF_EESJ_SZ_SK_SL_SM_EUlSZ_E1_NS1_11comp_targetILNS1_3genE5ELNS1_11target_archE942ELNS1_3gpuE9ELNS1_3repE0EEENS1_36merge_oddeven_config_static_selectorELNS0_4arch9wavefront6targetE1EEEvSL_
; %bb.0:
	.section	.rodata,"a",@progbits
	.p2align	6, 0x0
	.amdhsa_kernel _ZN7rocprim17ROCPRIM_400000_NS6detail17trampoline_kernelINS0_14default_configENS1_38merge_sort_block_merge_config_selectorIbiEEZZNS1_27merge_sort_block_merge_implIS3_N6thrust23THRUST_200600_302600_NS6detail15normal_iteratorINS8_10device_ptrIbEEEENSA_INSB_IiEEEEjNS1_19radix_merge_compareILb1ELb1EbNS0_19identity_decomposerEEEEE10hipError_tT0_T1_T2_jT3_P12ihipStream_tbPNSt15iterator_traitsISK_E10value_typeEPNSQ_ISL_E10value_typeEPSM_NS1_7vsmem_tEENKUlT_SK_SL_SM_E_clIPbSD_PiSF_EESJ_SZ_SK_SL_SM_EUlSZ_E1_NS1_11comp_targetILNS1_3genE5ELNS1_11target_archE942ELNS1_3gpuE9ELNS1_3repE0EEENS1_36merge_oddeven_config_static_selectorELNS0_4arch9wavefront6targetE1EEEvSL_
		.amdhsa_group_segment_fixed_size 0
		.amdhsa_private_segment_fixed_size 0
		.amdhsa_kernarg_size 48
		.amdhsa_user_sgpr_count 2
		.amdhsa_user_sgpr_dispatch_ptr 0
		.amdhsa_user_sgpr_queue_ptr 0
		.amdhsa_user_sgpr_kernarg_segment_ptr 1
		.amdhsa_user_sgpr_dispatch_id 0
		.amdhsa_user_sgpr_kernarg_preload_length 0
		.amdhsa_user_sgpr_kernarg_preload_offset 0
		.amdhsa_user_sgpr_private_segment_size 0
		.amdhsa_uses_dynamic_stack 0
		.amdhsa_enable_private_segment 0
		.amdhsa_system_sgpr_workgroup_id_x 1
		.amdhsa_system_sgpr_workgroup_id_y 0
		.amdhsa_system_sgpr_workgroup_id_z 0
		.amdhsa_system_sgpr_workgroup_info 0
		.amdhsa_system_vgpr_workitem_id 0
		.amdhsa_next_free_vgpr 1
		.amdhsa_next_free_sgpr 0
		.amdhsa_accum_offset 4
		.amdhsa_reserve_vcc 0
		.amdhsa_float_round_mode_32 0
		.amdhsa_float_round_mode_16_64 0
		.amdhsa_float_denorm_mode_32 3
		.amdhsa_float_denorm_mode_16_64 3
		.amdhsa_dx10_clamp 1
		.amdhsa_ieee_mode 1
		.amdhsa_fp16_overflow 0
		.amdhsa_tg_split 0
		.amdhsa_exception_fp_ieee_invalid_op 0
		.amdhsa_exception_fp_denorm_src 0
		.amdhsa_exception_fp_ieee_div_zero 0
		.amdhsa_exception_fp_ieee_overflow 0
		.amdhsa_exception_fp_ieee_underflow 0
		.amdhsa_exception_fp_ieee_inexact 0
		.amdhsa_exception_int_div_zero 0
	.end_amdhsa_kernel
	.section	.text._ZN7rocprim17ROCPRIM_400000_NS6detail17trampoline_kernelINS0_14default_configENS1_38merge_sort_block_merge_config_selectorIbiEEZZNS1_27merge_sort_block_merge_implIS3_N6thrust23THRUST_200600_302600_NS6detail15normal_iteratorINS8_10device_ptrIbEEEENSA_INSB_IiEEEEjNS1_19radix_merge_compareILb1ELb1EbNS0_19identity_decomposerEEEEE10hipError_tT0_T1_T2_jT3_P12ihipStream_tbPNSt15iterator_traitsISK_E10value_typeEPNSQ_ISL_E10value_typeEPSM_NS1_7vsmem_tEENKUlT_SK_SL_SM_E_clIPbSD_PiSF_EESJ_SZ_SK_SL_SM_EUlSZ_E1_NS1_11comp_targetILNS1_3genE5ELNS1_11target_archE942ELNS1_3gpuE9ELNS1_3repE0EEENS1_36merge_oddeven_config_static_selectorELNS0_4arch9wavefront6targetE1EEEvSL_,"axG",@progbits,_ZN7rocprim17ROCPRIM_400000_NS6detail17trampoline_kernelINS0_14default_configENS1_38merge_sort_block_merge_config_selectorIbiEEZZNS1_27merge_sort_block_merge_implIS3_N6thrust23THRUST_200600_302600_NS6detail15normal_iteratorINS8_10device_ptrIbEEEENSA_INSB_IiEEEEjNS1_19radix_merge_compareILb1ELb1EbNS0_19identity_decomposerEEEEE10hipError_tT0_T1_T2_jT3_P12ihipStream_tbPNSt15iterator_traitsISK_E10value_typeEPNSQ_ISL_E10value_typeEPSM_NS1_7vsmem_tEENKUlT_SK_SL_SM_E_clIPbSD_PiSF_EESJ_SZ_SK_SL_SM_EUlSZ_E1_NS1_11comp_targetILNS1_3genE5ELNS1_11target_archE942ELNS1_3gpuE9ELNS1_3repE0EEENS1_36merge_oddeven_config_static_selectorELNS0_4arch9wavefront6targetE1EEEvSL_,comdat
.Lfunc_end2170:
	.size	_ZN7rocprim17ROCPRIM_400000_NS6detail17trampoline_kernelINS0_14default_configENS1_38merge_sort_block_merge_config_selectorIbiEEZZNS1_27merge_sort_block_merge_implIS3_N6thrust23THRUST_200600_302600_NS6detail15normal_iteratorINS8_10device_ptrIbEEEENSA_INSB_IiEEEEjNS1_19radix_merge_compareILb1ELb1EbNS0_19identity_decomposerEEEEE10hipError_tT0_T1_T2_jT3_P12ihipStream_tbPNSt15iterator_traitsISK_E10value_typeEPNSQ_ISL_E10value_typeEPSM_NS1_7vsmem_tEENKUlT_SK_SL_SM_E_clIPbSD_PiSF_EESJ_SZ_SK_SL_SM_EUlSZ_E1_NS1_11comp_targetILNS1_3genE5ELNS1_11target_archE942ELNS1_3gpuE9ELNS1_3repE0EEENS1_36merge_oddeven_config_static_selectorELNS0_4arch9wavefront6targetE1EEEvSL_, .Lfunc_end2170-_ZN7rocprim17ROCPRIM_400000_NS6detail17trampoline_kernelINS0_14default_configENS1_38merge_sort_block_merge_config_selectorIbiEEZZNS1_27merge_sort_block_merge_implIS3_N6thrust23THRUST_200600_302600_NS6detail15normal_iteratorINS8_10device_ptrIbEEEENSA_INSB_IiEEEEjNS1_19radix_merge_compareILb1ELb1EbNS0_19identity_decomposerEEEEE10hipError_tT0_T1_T2_jT3_P12ihipStream_tbPNSt15iterator_traitsISK_E10value_typeEPNSQ_ISL_E10value_typeEPSM_NS1_7vsmem_tEENKUlT_SK_SL_SM_E_clIPbSD_PiSF_EESJ_SZ_SK_SL_SM_EUlSZ_E1_NS1_11comp_targetILNS1_3genE5ELNS1_11target_archE942ELNS1_3gpuE9ELNS1_3repE0EEENS1_36merge_oddeven_config_static_selectorELNS0_4arch9wavefront6targetE1EEEvSL_
                                        ; -- End function
	.set _ZN7rocprim17ROCPRIM_400000_NS6detail17trampoline_kernelINS0_14default_configENS1_38merge_sort_block_merge_config_selectorIbiEEZZNS1_27merge_sort_block_merge_implIS3_N6thrust23THRUST_200600_302600_NS6detail15normal_iteratorINS8_10device_ptrIbEEEENSA_INSB_IiEEEEjNS1_19radix_merge_compareILb1ELb1EbNS0_19identity_decomposerEEEEE10hipError_tT0_T1_T2_jT3_P12ihipStream_tbPNSt15iterator_traitsISK_E10value_typeEPNSQ_ISL_E10value_typeEPSM_NS1_7vsmem_tEENKUlT_SK_SL_SM_E_clIPbSD_PiSF_EESJ_SZ_SK_SL_SM_EUlSZ_E1_NS1_11comp_targetILNS1_3genE5ELNS1_11target_archE942ELNS1_3gpuE9ELNS1_3repE0EEENS1_36merge_oddeven_config_static_selectorELNS0_4arch9wavefront6targetE1EEEvSL_.num_vgpr, 0
	.set _ZN7rocprim17ROCPRIM_400000_NS6detail17trampoline_kernelINS0_14default_configENS1_38merge_sort_block_merge_config_selectorIbiEEZZNS1_27merge_sort_block_merge_implIS3_N6thrust23THRUST_200600_302600_NS6detail15normal_iteratorINS8_10device_ptrIbEEEENSA_INSB_IiEEEEjNS1_19radix_merge_compareILb1ELb1EbNS0_19identity_decomposerEEEEE10hipError_tT0_T1_T2_jT3_P12ihipStream_tbPNSt15iterator_traitsISK_E10value_typeEPNSQ_ISL_E10value_typeEPSM_NS1_7vsmem_tEENKUlT_SK_SL_SM_E_clIPbSD_PiSF_EESJ_SZ_SK_SL_SM_EUlSZ_E1_NS1_11comp_targetILNS1_3genE5ELNS1_11target_archE942ELNS1_3gpuE9ELNS1_3repE0EEENS1_36merge_oddeven_config_static_selectorELNS0_4arch9wavefront6targetE1EEEvSL_.num_agpr, 0
	.set _ZN7rocprim17ROCPRIM_400000_NS6detail17trampoline_kernelINS0_14default_configENS1_38merge_sort_block_merge_config_selectorIbiEEZZNS1_27merge_sort_block_merge_implIS3_N6thrust23THRUST_200600_302600_NS6detail15normal_iteratorINS8_10device_ptrIbEEEENSA_INSB_IiEEEEjNS1_19radix_merge_compareILb1ELb1EbNS0_19identity_decomposerEEEEE10hipError_tT0_T1_T2_jT3_P12ihipStream_tbPNSt15iterator_traitsISK_E10value_typeEPNSQ_ISL_E10value_typeEPSM_NS1_7vsmem_tEENKUlT_SK_SL_SM_E_clIPbSD_PiSF_EESJ_SZ_SK_SL_SM_EUlSZ_E1_NS1_11comp_targetILNS1_3genE5ELNS1_11target_archE942ELNS1_3gpuE9ELNS1_3repE0EEENS1_36merge_oddeven_config_static_selectorELNS0_4arch9wavefront6targetE1EEEvSL_.numbered_sgpr, 0
	.set _ZN7rocprim17ROCPRIM_400000_NS6detail17trampoline_kernelINS0_14default_configENS1_38merge_sort_block_merge_config_selectorIbiEEZZNS1_27merge_sort_block_merge_implIS3_N6thrust23THRUST_200600_302600_NS6detail15normal_iteratorINS8_10device_ptrIbEEEENSA_INSB_IiEEEEjNS1_19radix_merge_compareILb1ELb1EbNS0_19identity_decomposerEEEEE10hipError_tT0_T1_T2_jT3_P12ihipStream_tbPNSt15iterator_traitsISK_E10value_typeEPNSQ_ISL_E10value_typeEPSM_NS1_7vsmem_tEENKUlT_SK_SL_SM_E_clIPbSD_PiSF_EESJ_SZ_SK_SL_SM_EUlSZ_E1_NS1_11comp_targetILNS1_3genE5ELNS1_11target_archE942ELNS1_3gpuE9ELNS1_3repE0EEENS1_36merge_oddeven_config_static_selectorELNS0_4arch9wavefront6targetE1EEEvSL_.num_named_barrier, 0
	.set _ZN7rocprim17ROCPRIM_400000_NS6detail17trampoline_kernelINS0_14default_configENS1_38merge_sort_block_merge_config_selectorIbiEEZZNS1_27merge_sort_block_merge_implIS3_N6thrust23THRUST_200600_302600_NS6detail15normal_iteratorINS8_10device_ptrIbEEEENSA_INSB_IiEEEEjNS1_19radix_merge_compareILb1ELb1EbNS0_19identity_decomposerEEEEE10hipError_tT0_T1_T2_jT3_P12ihipStream_tbPNSt15iterator_traitsISK_E10value_typeEPNSQ_ISL_E10value_typeEPSM_NS1_7vsmem_tEENKUlT_SK_SL_SM_E_clIPbSD_PiSF_EESJ_SZ_SK_SL_SM_EUlSZ_E1_NS1_11comp_targetILNS1_3genE5ELNS1_11target_archE942ELNS1_3gpuE9ELNS1_3repE0EEENS1_36merge_oddeven_config_static_selectorELNS0_4arch9wavefront6targetE1EEEvSL_.private_seg_size, 0
	.set _ZN7rocprim17ROCPRIM_400000_NS6detail17trampoline_kernelINS0_14default_configENS1_38merge_sort_block_merge_config_selectorIbiEEZZNS1_27merge_sort_block_merge_implIS3_N6thrust23THRUST_200600_302600_NS6detail15normal_iteratorINS8_10device_ptrIbEEEENSA_INSB_IiEEEEjNS1_19radix_merge_compareILb1ELb1EbNS0_19identity_decomposerEEEEE10hipError_tT0_T1_T2_jT3_P12ihipStream_tbPNSt15iterator_traitsISK_E10value_typeEPNSQ_ISL_E10value_typeEPSM_NS1_7vsmem_tEENKUlT_SK_SL_SM_E_clIPbSD_PiSF_EESJ_SZ_SK_SL_SM_EUlSZ_E1_NS1_11comp_targetILNS1_3genE5ELNS1_11target_archE942ELNS1_3gpuE9ELNS1_3repE0EEENS1_36merge_oddeven_config_static_selectorELNS0_4arch9wavefront6targetE1EEEvSL_.uses_vcc, 0
	.set _ZN7rocprim17ROCPRIM_400000_NS6detail17trampoline_kernelINS0_14default_configENS1_38merge_sort_block_merge_config_selectorIbiEEZZNS1_27merge_sort_block_merge_implIS3_N6thrust23THRUST_200600_302600_NS6detail15normal_iteratorINS8_10device_ptrIbEEEENSA_INSB_IiEEEEjNS1_19radix_merge_compareILb1ELb1EbNS0_19identity_decomposerEEEEE10hipError_tT0_T1_T2_jT3_P12ihipStream_tbPNSt15iterator_traitsISK_E10value_typeEPNSQ_ISL_E10value_typeEPSM_NS1_7vsmem_tEENKUlT_SK_SL_SM_E_clIPbSD_PiSF_EESJ_SZ_SK_SL_SM_EUlSZ_E1_NS1_11comp_targetILNS1_3genE5ELNS1_11target_archE942ELNS1_3gpuE9ELNS1_3repE0EEENS1_36merge_oddeven_config_static_selectorELNS0_4arch9wavefront6targetE1EEEvSL_.uses_flat_scratch, 0
	.set _ZN7rocprim17ROCPRIM_400000_NS6detail17trampoline_kernelINS0_14default_configENS1_38merge_sort_block_merge_config_selectorIbiEEZZNS1_27merge_sort_block_merge_implIS3_N6thrust23THRUST_200600_302600_NS6detail15normal_iteratorINS8_10device_ptrIbEEEENSA_INSB_IiEEEEjNS1_19radix_merge_compareILb1ELb1EbNS0_19identity_decomposerEEEEE10hipError_tT0_T1_T2_jT3_P12ihipStream_tbPNSt15iterator_traitsISK_E10value_typeEPNSQ_ISL_E10value_typeEPSM_NS1_7vsmem_tEENKUlT_SK_SL_SM_E_clIPbSD_PiSF_EESJ_SZ_SK_SL_SM_EUlSZ_E1_NS1_11comp_targetILNS1_3genE5ELNS1_11target_archE942ELNS1_3gpuE9ELNS1_3repE0EEENS1_36merge_oddeven_config_static_selectorELNS0_4arch9wavefront6targetE1EEEvSL_.has_dyn_sized_stack, 0
	.set _ZN7rocprim17ROCPRIM_400000_NS6detail17trampoline_kernelINS0_14default_configENS1_38merge_sort_block_merge_config_selectorIbiEEZZNS1_27merge_sort_block_merge_implIS3_N6thrust23THRUST_200600_302600_NS6detail15normal_iteratorINS8_10device_ptrIbEEEENSA_INSB_IiEEEEjNS1_19radix_merge_compareILb1ELb1EbNS0_19identity_decomposerEEEEE10hipError_tT0_T1_T2_jT3_P12ihipStream_tbPNSt15iterator_traitsISK_E10value_typeEPNSQ_ISL_E10value_typeEPSM_NS1_7vsmem_tEENKUlT_SK_SL_SM_E_clIPbSD_PiSF_EESJ_SZ_SK_SL_SM_EUlSZ_E1_NS1_11comp_targetILNS1_3genE5ELNS1_11target_archE942ELNS1_3gpuE9ELNS1_3repE0EEENS1_36merge_oddeven_config_static_selectorELNS0_4arch9wavefront6targetE1EEEvSL_.has_recursion, 0
	.set _ZN7rocprim17ROCPRIM_400000_NS6detail17trampoline_kernelINS0_14default_configENS1_38merge_sort_block_merge_config_selectorIbiEEZZNS1_27merge_sort_block_merge_implIS3_N6thrust23THRUST_200600_302600_NS6detail15normal_iteratorINS8_10device_ptrIbEEEENSA_INSB_IiEEEEjNS1_19radix_merge_compareILb1ELb1EbNS0_19identity_decomposerEEEEE10hipError_tT0_T1_T2_jT3_P12ihipStream_tbPNSt15iterator_traitsISK_E10value_typeEPNSQ_ISL_E10value_typeEPSM_NS1_7vsmem_tEENKUlT_SK_SL_SM_E_clIPbSD_PiSF_EESJ_SZ_SK_SL_SM_EUlSZ_E1_NS1_11comp_targetILNS1_3genE5ELNS1_11target_archE942ELNS1_3gpuE9ELNS1_3repE0EEENS1_36merge_oddeven_config_static_selectorELNS0_4arch9wavefront6targetE1EEEvSL_.has_indirect_call, 0
	.section	.AMDGPU.csdata,"",@progbits
; Kernel info:
; codeLenInByte = 0
; TotalNumSgprs: 6
; NumVgprs: 0
; NumAgprs: 0
; TotalNumVgprs: 0
; ScratchSize: 0
; MemoryBound: 0
; FloatMode: 240
; IeeeMode: 1
; LDSByteSize: 0 bytes/workgroup (compile time only)
; SGPRBlocks: 0
; VGPRBlocks: 0
; NumSGPRsForWavesPerEU: 6
; NumVGPRsForWavesPerEU: 1
; AccumOffset: 4
; Occupancy: 8
; WaveLimiterHint : 0
; COMPUTE_PGM_RSRC2:SCRATCH_EN: 0
; COMPUTE_PGM_RSRC2:USER_SGPR: 2
; COMPUTE_PGM_RSRC2:TRAP_HANDLER: 0
; COMPUTE_PGM_RSRC2:TGID_X_EN: 1
; COMPUTE_PGM_RSRC2:TGID_Y_EN: 0
; COMPUTE_PGM_RSRC2:TGID_Z_EN: 0
; COMPUTE_PGM_RSRC2:TIDIG_COMP_CNT: 0
; COMPUTE_PGM_RSRC3_GFX90A:ACCUM_OFFSET: 0
; COMPUTE_PGM_RSRC3_GFX90A:TG_SPLIT: 0
	.section	.text._ZN7rocprim17ROCPRIM_400000_NS6detail17trampoline_kernelINS0_14default_configENS1_38merge_sort_block_merge_config_selectorIbiEEZZNS1_27merge_sort_block_merge_implIS3_N6thrust23THRUST_200600_302600_NS6detail15normal_iteratorINS8_10device_ptrIbEEEENSA_INSB_IiEEEEjNS1_19radix_merge_compareILb1ELb1EbNS0_19identity_decomposerEEEEE10hipError_tT0_T1_T2_jT3_P12ihipStream_tbPNSt15iterator_traitsISK_E10value_typeEPNSQ_ISL_E10value_typeEPSM_NS1_7vsmem_tEENKUlT_SK_SL_SM_E_clIPbSD_PiSF_EESJ_SZ_SK_SL_SM_EUlSZ_E1_NS1_11comp_targetILNS1_3genE4ELNS1_11target_archE910ELNS1_3gpuE8ELNS1_3repE0EEENS1_36merge_oddeven_config_static_selectorELNS0_4arch9wavefront6targetE1EEEvSL_,"axG",@progbits,_ZN7rocprim17ROCPRIM_400000_NS6detail17trampoline_kernelINS0_14default_configENS1_38merge_sort_block_merge_config_selectorIbiEEZZNS1_27merge_sort_block_merge_implIS3_N6thrust23THRUST_200600_302600_NS6detail15normal_iteratorINS8_10device_ptrIbEEEENSA_INSB_IiEEEEjNS1_19radix_merge_compareILb1ELb1EbNS0_19identity_decomposerEEEEE10hipError_tT0_T1_T2_jT3_P12ihipStream_tbPNSt15iterator_traitsISK_E10value_typeEPNSQ_ISL_E10value_typeEPSM_NS1_7vsmem_tEENKUlT_SK_SL_SM_E_clIPbSD_PiSF_EESJ_SZ_SK_SL_SM_EUlSZ_E1_NS1_11comp_targetILNS1_3genE4ELNS1_11target_archE910ELNS1_3gpuE8ELNS1_3repE0EEENS1_36merge_oddeven_config_static_selectorELNS0_4arch9wavefront6targetE1EEEvSL_,comdat
	.protected	_ZN7rocprim17ROCPRIM_400000_NS6detail17trampoline_kernelINS0_14default_configENS1_38merge_sort_block_merge_config_selectorIbiEEZZNS1_27merge_sort_block_merge_implIS3_N6thrust23THRUST_200600_302600_NS6detail15normal_iteratorINS8_10device_ptrIbEEEENSA_INSB_IiEEEEjNS1_19radix_merge_compareILb1ELb1EbNS0_19identity_decomposerEEEEE10hipError_tT0_T1_T2_jT3_P12ihipStream_tbPNSt15iterator_traitsISK_E10value_typeEPNSQ_ISL_E10value_typeEPSM_NS1_7vsmem_tEENKUlT_SK_SL_SM_E_clIPbSD_PiSF_EESJ_SZ_SK_SL_SM_EUlSZ_E1_NS1_11comp_targetILNS1_3genE4ELNS1_11target_archE910ELNS1_3gpuE8ELNS1_3repE0EEENS1_36merge_oddeven_config_static_selectorELNS0_4arch9wavefront6targetE1EEEvSL_ ; -- Begin function _ZN7rocprim17ROCPRIM_400000_NS6detail17trampoline_kernelINS0_14default_configENS1_38merge_sort_block_merge_config_selectorIbiEEZZNS1_27merge_sort_block_merge_implIS3_N6thrust23THRUST_200600_302600_NS6detail15normal_iteratorINS8_10device_ptrIbEEEENSA_INSB_IiEEEEjNS1_19radix_merge_compareILb1ELb1EbNS0_19identity_decomposerEEEEE10hipError_tT0_T1_T2_jT3_P12ihipStream_tbPNSt15iterator_traitsISK_E10value_typeEPNSQ_ISL_E10value_typeEPSM_NS1_7vsmem_tEENKUlT_SK_SL_SM_E_clIPbSD_PiSF_EESJ_SZ_SK_SL_SM_EUlSZ_E1_NS1_11comp_targetILNS1_3genE4ELNS1_11target_archE910ELNS1_3gpuE8ELNS1_3repE0EEENS1_36merge_oddeven_config_static_selectorELNS0_4arch9wavefront6targetE1EEEvSL_
	.globl	_ZN7rocprim17ROCPRIM_400000_NS6detail17trampoline_kernelINS0_14default_configENS1_38merge_sort_block_merge_config_selectorIbiEEZZNS1_27merge_sort_block_merge_implIS3_N6thrust23THRUST_200600_302600_NS6detail15normal_iteratorINS8_10device_ptrIbEEEENSA_INSB_IiEEEEjNS1_19radix_merge_compareILb1ELb1EbNS0_19identity_decomposerEEEEE10hipError_tT0_T1_T2_jT3_P12ihipStream_tbPNSt15iterator_traitsISK_E10value_typeEPNSQ_ISL_E10value_typeEPSM_NS1_7vsmem_tEENKUlT_SK_SL_SM_E_clIPbSD_PiSF_EESJ_SZ_SK_SL_SM_EUlSZ_E1_NS1_11comp_targetILNS1_3genE4ELNS1_11target_archE910ELNS1_3gpuE8ELNS1_3repE0EEENS1_36merge_oddeven_config_static_selectorELNS0_4arch9wavefront6targetE1EEEvSL_
	.p2align	8
	.type	_ZN7rocprim17ROCPRIM_400000_NS6detail17trampoline_kernelINS0_14default_configENS1_38merge_sort_block_merge_config_selectorIbiEEZZNS1_27merge_sort_block_merge_implIS3_N6thrust23THRUST_200600_302600_NS6detail15normal_iteratorINS8_10device_ptrIbEEEENSA_INSB_IiEEEEjNS1_19radix_merge_compareILb1ELb1EbNS0_19identity_decomposerEEEEE10hipError_tT0_T1_T2_jT3_P12ihipStream_tbPNSt15iterator_traitsISK_E10value_typeEPNSQ_ISL_E10value_typeEPSM_NS1_7vsmem_tEENKUlT_SK_SL_SM_E_clIPbSD_PiSF_EESJ_SZ_SK_SL_SM_EUlSZ_E1_NS1_11comp_targetILNS1_3genE4ELNS1_11target_archE910ELNS1_3gpuE8ELNS1_3repE0EEENS1_36merge_oddeven_config_static_selectorELNS0_4arch9wavefront6targetE1EEEvSL_,@function
_ZN7rocprim17ROCPRIM_400000_NS6detail17trampoline_kernelINS0_14default_configENS1_38merge_sort_block_merge_config_selectorIbiEEZZNS1_27merge_sort_block_merge_implIS3_N6thrust23THRUST_200600_302600_NS6detail15normal_iteratorINS8_10device_ptrIbEEEENSA_INSB_IiEEEEjNS1_19radix_merge_compareILb1ELb1EbNS0_19identity_decomposerEEEEE10hipError_tT0_T1_T2_jT3_P12ihipStream_tbPNSt15iterator_traitsISK_E10value_typeEPNSQ_ISL_E10value_typeEPSM_NS1_7vsmem_tEENKUlT_SK_SL_SM_E_clIPbSD_PiSF_EESJ_SZ_SK_SL_SM_EUlSZ_E1_NS1_11comp_targetILNS1_3genE4ELNS1_11target_archE910ELNS1_3gpuE8ELNS1_3repE0EEENS1_36merge_oddeven_config_static_selectorELNS0_4arch9wavefront6targetE1EEEvSL_: ; @_ZN7rocprim17ROCPRIM_400000_NS6detail17trampoline_kernelINS0_14default_configENS1_38merge_sort_block_merge_config_selectorIbiEEZZNS1_27merge_sort_block_merge_implIS3_N6thrust23THRUST_200600_302600_NS6detail15normal_iteratorINS8_10device_ptrIbEEEENSA_INSB_IiEEEEjNS1_19radix_merge_compareILb1ELb1EbNS0_19identity_decomposerEEEEE10hipError_tT0_T1_T2_jT3_P12ihipStream_tbPNSt15iterator_traitsISK_E10value_typeEPNSQ_ISL_E10value_typeEPSM_NS1_7vsmem_tEENKUlT_SK_SL_SM_E_clIPbSD_PiSF_EESJ_SZ_SK_SL_SM_EUlSZ_E1_NS1_11comp_targetILNS1_3genE4ELNS1_11target_archE910ELNS1_3gpuE8ELNS1_3repE0EEENS1_36merge_oddeven_config_static_selectorELNS0_4arch9wavefront6targetE1EEEvSL_
; %bb.0:
	.section	.rodata,"a",@progbits
	.p2align	6, 0x0
	.amdhsa_kernel _ZN7rocprim17ROCPRIM_400000_NS6detail17trampoline_kernelINS0_14default_configENS1_38merge_sort_block_merge_config_selectorIbiEEZZNS1_27merge_sort_block_merge_implIS3_N6thrust23THRUST_200600_302600_NS6detail15normal_iteratorINS8_10device_ptrIbEEEENSA_INSB_IiEEEEjNS1_19radix_merge_compareILb1ELb1EbNS0_19identity_decomposerEEEEE10hipError_tT0_T1_T2_jT3_P12ihipStream_tbPNSt15iterator_traitsISK_E10value_typeEPNSQ_ISL_E10value_typeEPSM_NS1_7vsmem_tEENKUlT_SK_SL_SM_E_clIPbSD_PiSF_EESJ_SZ_SK_SL_SM_EUlSZ_E1_NS1_11comp_targetILNS1_3genE4ELNS1_11target_archE910ELNS1_3gpuE8ELNS1_3repE0EEENS1_36merge_oddeven_config_static_selectorELNS0_4arch9wavefront6targetE1EEEvSL_
		.amdhsa_group_segment_fixed_size 0
		.amdhsa_private_segment_fixed_size 0
		.amdhsa_kernarg_size 48
		.amdhsa_user_sgpr_count 2
		.amdhsa_user_sgpr_dispatch_ptr 0
		.amdhsa_user_sgpr_queue_ptr 0
		.amdhsa_user_sgpr_kernarg_segment_ptr 1
		.amdhsa_user_sgpr_dispatch_id 0
		.amdhsa_user_sgpr_kernarg_preload_length 0
		.amdhsa_user_sgpr_kernarg_preload_offset 0
		.amdhsa_user_sgpr_private_segment_size 0
		.amdhsa_uses_dynamic_stack 0
		.amdhsa_enable_private_segment 0
		.amdhsa_system_sgpr_workgroup_id_x 1
		.amdhsa_system_sgpr_workgroup_id_y 0
		.amdhsa_system_sgpr_workgroup_id_z 0
		.amdhsa_system_sgpr_workgroup_info 0
		.amdhsa_system_vgpr_workitem_id 0
		.amdhsa_next_free_vgpr 1
		.amdhsa_next_free_sgpr 0
		.amdhsa_accum_offset 4
		.amdhsa_reserve_vcc 0
		.amdhsa_float_round_mode_32 0
		.amdhsa_float_round_mode_16_64 0
		.amdhsa_float_denorm_mode_32 3
		.amdhsa_float_denorm_mode_16_64 3
		.amdhsa_dx10_clamp 1
		.amdhsa_ieee_mode 1
		.amdhsa_fp16_overflow 0
		.amdhsa_tg_split 0
		.amdhsa_exception_fp_ieee_invalid_op 0
		.amdhsa_exception_fp_denorm_src 0
		.amdhsa_exception_fp_ieee_div_zero 0
		.amdhsa_exception_fp_ieee_overflow 0
		.amdhsa_exception_fp_ieee_underflow 0
		.amdhsa_exception_fp_ieee_inexact 0
		.amdhsa_exception_int_div_zero 0
	.end_amdhsa_kernel
	.section	.text._ZN7rocprim17ROCPRIM_400000_NS6detail17trampoline_kernelINS0_14default_configENS1_38merge_sort_block_merge_config_selectorIbiEEZZNS1_27merge_sort_block_merge_implIS3_N6thrust23THRUST_200600_302600_NS6detail15normal_iteratorINS8_10device_ptrIbEEEENSA_INSB_IiEEEEjNS1_19radix_merge_compareILb1ELb1EbNS0_19identity_decomposerEEEEE10hipError_tT0_T1_T2_jT3_P12ihipStream_tbPNSt15iterator_traitsISK_E10value_typeEPNSQ_ISL_E10value_typeEPSM_NS1_7vsmem_tEENKUlT_SK_SL_SM_E_clIPbSD_PiSF_EESJ_SZ_SK_SL_SM_EUlSZ_E1_NS1_11comp_targetILNS1_3genE4ELNS1_11target_archE910ELNS1_3gpuE8ELNS1_3repE0EEENS1_36merge_oddeven_config_static_selectorELNS0_4arch9wavefront6targetE1EEEvSL_,"axG",@progbits,_ZN7rocprim17ROCPRIM_400000_NS6detail17trampoline_kernelINS0_14default_configENS1_38merge_sort_block_merge_config_selectorIbiEEZZNS1_27merge_sort_block_merge_implIS3_N6thrust23THRUST_200600_302600_NS6detail15normal_iteratorINS8_10device_ptrIbEEEENSA_INSB_IiEEEEjNS1_19radix_merge_compareILb1ELb1EbNS0_19identity_decomposerEEEEE10hipError_tT0_T1_T2_jT3_P12ihipStream_tbPNSt15iterator_traitsISK_E10value_typeEPNSQ_ISL_E10value_typeEPSM_NS1_7vsmem_tEENKUlT_SK_SL_SM_E_clIPbSD_PiSF_EESJ_SZ_SK_SL_SM_EUlSZ_E1_NS1_11comp_targetILNS1_3genE4ELNS1_11target_archE910ELNS1_3gpuE8ELNS1_3repE0EEENS1_36merge_oddeven_config_static_selectorELNS0_4arch9wavefront6targetE1EEEvSL_,comdat
.Lfunc_end2171:
	.size	_ZN7rocprim17ROCPRIM_400000_NS6detail17trampoline_kernelINS0_14default_configENS1_38merge_sort_block_merge_config_selectorIbiEEZZNS1_27merge_sort_block_merge_implIS3_N6thrust23THRUST_200600_302600_NS6detail15normal_iteratorINS8_10device_ptrIbEEEENSA_INSB_IiEEEEjNS1_19radix_merge_compareILb1ELb1EbNS0_19identity_decomposerEEEEE10hipError_tT0_T1_T2_jT3_P12ihipStream_tbPNSt15iterator_traitsISK_E10value_typeEPNSQ_ISL_E10value_typeEPSM_NS1_7vsmem_tEENKUlT_SK_SL_SM_E_clIPbSD_PiSF_EESJ_SZ_SK_SL_SM_EUlSZ_E1_NS1_11comp_targetILNS1_3genE4ELNS1_11target_archE910ELNS1_3gpuE8ELNS1_3repE0EEENS1_36merge_oddeven_config_static_selectorELNS0_4arch9wavefront6targetE1EEEvSL_, .Lfunc_end2171-_ZN7rocprim17ROCPRIM_400000_NS6detail17trampoline_kernelINS0_14default_configENS1_38merge_sort_block_merge_config_selectorIbiEEZZNS1_27merge_sort_block_merge_implIS3_N6thrust23THRUST_200600_302600_NS6detail15normal_iteratorINS8_10device_ptrIbEEEENSA_INSB_IiEEEEjNS1_19radix_merge_compareILb1ELb1EbNS0_19identity_decomposerEEEEE10hipError_tT0_T1_T2_jT3_P12ihipStream_tbPNSt15iterator_traitsISK_E10value_typeEPNSQ_ISL_E10value_typeEPSM_NS1_7vsmem_tEENKUlT_SK_SL_SM_E_clIPbSD_PiSF_EESJ_SZ_SK_SL_SM_EUlSZ_E1_NS1_11comp_targetILNS1_3genE4ELNS1_11target_archE910ELNS1_3gpuE8ELNS1_3repE0EEENS1_36merge_oddeven_config_static_selectorELNS0_4arch9wavefront6targetE1EEEvSL_
                                        ; -- End function
	.set _ZN7rocprim17ROCPRIM_400000_NS6detail17trampoline_kernelINS0_14default_configENS1_38merge_sort_block_merge_config_selectorIbiEEZZNS1_27merge_sort_block_merge_implIS3_N6thrust23THRUST_200600_302600_NS6detail15normal_iteratorINS8_10device_ptrIbEEEENSA_INSB_IiEEEEjNS1_19radix_merge_compareILb1ELb1EbNS0_19identity_decomposerEEEEE10hipError_tT0_T1_T2_jT3_P12ihipStream_tbPNSt15iterator_traitsISK_E10value_typeEPNSQ_ISL_E10value_typeEPSM_NS1_7vsmem_tEENKUlT_SK_SL_SM_E_clIPbSD_PiSF_EESJ_SZ_SK_SL_SM_EUlSZ_E1_NS1_11comp_targetILNS1_3genE4ELNS1_11target_archE910ELNS1_3gpuE8ELNS1_3repE0EEENS1_36merge_oddeven_config_static_selectorELNS0_4arch9wavefront6targetE1EEEvSL_.num_vgpr, 0
	.set _ZN7rocprim17ROCPRIM_400000_NS6detail17trampoline_kernelINS0_14default_configENS1_38merge_sort_block_merge_config_selectorIbiEEZZNS1_27merge_sort_block_merge_implIS3_N6thrust23THRUST_200600_302600_NS6detail15normal_iteratorINS8_10device_ptrIbEEEENSA_INSB_IiEEEEjNS1_19radix_merge_compareILb1ELb1EbNS0_19identity_decomposerEEEEE10hipError_tT0_T1_T2_jT3_P12ihipStream_tbPNSt15iterator_traitsISK_E10value_typeEPNSQ_ISL_E10value_typeEPSM_NS1_7vsmem_tEENKUlT_SK_SL_SM_E_clIPbSD_PiSF_EESJ_SZ_SK_SL_SM_EUlSZ_E1_NS1_11comp_targetILNS1_3genE4ELNS1_11target_archE910ELNS1_3gpuE8ELNS1_3repE0EEENS1_36merge_oddeven_config_static_selectorELNS0_4arch9wavefront6targetE1EEEvSL_.num_agpr, 0
	.set _ZN7rocprim17ROCPRIM_400000_NS6detail17trampoline_kernelINS0_14default_configENS1_38merge_sort_block_merge_config_selectorIbiEEZZNS1_27merge_sort_block_merge_implIS3_N6thrust23THRUST_200600_302600_NS6detail15normal_iteratorINS8_10device_ptrIbEEEENSA_INSB_IiEEEEjNS1_19radix_merge_compareILb1ELb1EbNS0_19identity_decomposerEEEEE10hipError_tT0_T1_T2_jT3_P12ihipStream_tbPNSt15iterator_traitsISK_E10value_typeEPNSQ_ISL_E10value_typeEPSM_NS1_7vsmem_tEENKUlT_SK_SL_SM_E_clIPbSD_PiSF_EESJ_SZ_SK_SL_SM_EUlSZ_E1_NS1_11comp_targetILNS1_3genE4ELNS1_11target_archE910ELNS1_3gpuE8ELNS1_3repE0EEENS1_36merge_oddeven_config_static_selectorELNS0_4arch9wavefront6targetE1EEEvSL_.numbered_sgpr, 0
	.set _ZN7rocprim17ROCPRIM_400000_NS6detail17trampoline_kernelINS0_14default_configENS1_38merge_sort_block_merge_config_selectorIbiEEZZNS1_27merge_sort_block_merge_implIS3_N6thrust23THRUST_200600_302600_NS6detail15normal_iteratorINS8_10device_ptrIbEEEENSA_INSB_IiEEEEjNS1_19radix_merge_compareILb1ELb1EbNS0_19identity_decomposerEEEEE10hipError_tT0_T1_T2_jT3_P12ihipStream_tbPNSt15iterator_traitsISK_E10value_typeEPNSQ_ISL_E10value_typeEPSM_NS1_7vsmem_tEENKUlT_SK_SL_SM_E_clIPbSD_PiSF_EESJ_SZ_SK_SL_SM_EUlSZ_E1_NS1_11comp_targetILNS1_3genE4ELNS1_11target_archE910ELNS1_3gpuE8ELNS1_3repE0EEENS1_36merge_oddeven_config_static_selectorELNS0_4arch9wavefront6targetE1EEEvSL_.num_named_barrier, 0
	.set _ZN7rocprim17ROCPRIM_400000_NS6detail17trampoline_kernelINS0_14default_configENS1_38merge_sort_block_merge_config_selectorIbiEEZZNS1_27merge_sort_block_merge_implIS3_N6thrust23THRUST_200600_302600_NS6detail15normal_iteratorINS8_10device_ptrIbEEEENSA_INSB_IiEEEEjNS1_19radix_merge_compareILb1ELb1EbNS0_19identity_decomposerEEEEE10hipError_tT0_T1_T2_jT3_P12ihipStream_tbPNSt15iterator_traitsISK_E10value_typeEPNSQ_ISL_E10value_typeEPSM_NS1_7vsmem_tEENKUlT_SK_SL_SM_E_clIPbSD_PiSF_EESJ_SZ_SK_SL_SM_EUlSZ_E1_NS1_11comp_targetILNS1_3genE4ELNS1_11target_archE910ELNS1_3gpuE8ELNS1_3repE0EEENS1_36merge_oddeven_config_static_selectorELNS0_4arch9wavefront6targetE1EEEvSL_.private_seg_size, 0
	.set _ZN7rocprim17ROCPRIM_400000_NS6detail17trampoline_kernelINS0_14default_configENS1_38merge_sort_block_merge_config_selectorIbiEEZZNS1_27merge_sort_block_merge_implIS3_N6thrust23THRUST_200600_302600_NS6detail15normal_iteratorINS8_10device_ptrIbEEEENSA_INSB_IiEEEEjNS1_19radix_merge_compareILb1ELb1EbNS0_19identity_decomposerEEEEE10hipError_tT0_T1_T2_jT3_P12ihipStream_tbPNSt15iterator_traitsISK_E10value_typeEPNSQ_ISL_E10value_typeEPSM_NS1_7vsmem_tEENKUlT_SK_SL_SM_E_clIPbSD_PiSF_EESJ_SZ_SK_SL_SM_EUlSZ_E1_NS1_11comp_targetILNS1_3genE4ELNS1_11target_archE910ELNS1_3gpuE8ELNS1_3repE0EEENS1_36merge_oddeven_config_static_selectorELNS0_4arch9wavefront6targetE1EEEvSL_.uses_vcc, 0
	.set _ZN7rocprim17ROCPRIM_400000_NS6detail17trampoline_kernelINS0_14default_configENS1_38merge_sort_block_merge_config_selectorIbiEEZZNS1_27merge_sort_block_merge_implIS3_N6thrust23THRUST_200600_302600_NS6detail15normal_iteratorINS8_10device_ptrIbEEEENSA_INSB_IiEEEEjNS1_19radix_merge_compareILb1ELb1EbNS0_19identity_decomposerEEEEE10hipError_tT0_T1_T2_jT3_P12ihipStream_tbPNSt15iterator_traitsISK_E10value_typeEPNSQ_ISL_E10value_typeEPSM_NS1_7vsmem_tEENKUlT_SK_SL_SM_E_clIPbSD_PiSF_EESJ_SZ_SK_SL_SM_EUlSZ_E1_NS1_11comp_targetILNS1_3genE4ELNS1_11target_archE910ELNS1_3gpuE8ELNS1_3repE0EEENS1_36merge_oddeven_config_static_selectorELNS0_4arch9wavefront6targetE1EEEvSL_.uses_flat_scratch, 0
	.set _ZN7rocprim17ROCPRIM_400000_NS6detail17trampoline_kernelINS0_14default_configENS1_38merge_sort_block_merge_config_selectorIbiEEZZNS1_27merge_sort_block_merge_implIS3_N6thrust23THRUST_200600_302600_NS6detail15normal_iteratorINS8_10device_ptrIbEEEENSA_INSB_IiEEEEjNS1_19radix_merge_compareILb1ELb1EbNS0_19identity_decomposerEEEEE10hipError_tT0_T1_T2_jT3_P12ihipStream_tbPNSt15iterator_traitsISK_E10value_typeEPNSQ_ISL_E10value_typeEPSM_NS1_7vsmem_tEENKUlT_SK_SL_SM_E_clIPbSD_PiSF_EESJ_SZ_SK_SL_SM_EUlSZ_E1_NS1_11comp_targetILNS1_3genE4ELNS1_11target_archE910ELNS1_3gpuE8ELNS1_3repE0EEENS1_36merge_oddeven_config_static_selectorELNS0_4arch9wavefront6targetE1EEEvSL_.has_dyn_sized_stack, 0
	.set _ZN7rocprim17ROCPRIM_400000_NS6detail17trampoline_kernelINS0_14default_configENS1_38merge_sort_block_merge_config_selectorIbiEEZZNS1_27merge_sort_block_merge_implIS3_N6thrust23THRUST_200600_302600_NS6detail15normal_iteratorINS8_10device_ptrIbEEEENSA_INSB_IiEEEEjNS1_19radix_merge_compareILb1ELb1EbNS0_19identity_decomposerEEEEE10hipError_tT0_T1_T2_jT3_P12ihipStream_tbPNSt15iterator_traitsISK_E10value_typeEPNSQ_ISL_E10value_typeEPSM_NS1_7vsmem_tEENKUlT_SK_SL_SM_E_clIPbSD_PiSF_EESJ_SZ_SK_SL_SM_EUlSZ_E1_NS1_11comp_targetILNS1_3genE4ELNS1_11target_archE910ELNS1_3gpuE8ELNS1_3repE0EEENS1_36merge_oddeven_config_static_selectorELNS0_4arch9wavefront6targetE1EEEvSL_.has_recursion, 0
	.set _ZN7rocprim17ROCPRIM_400000_NS6detail17trampoline_kernelINS0_14default_configENS1_38merge_sort_block_merge_config_selectorIbiEEZZNS1_27merge_sort_block_merge_implIS3_N6thrust23THRUST_200600_302600_NS6detail15normal_iteratorINS8_10device_ptrIbEEEENSA_INSB_IiEEEEjNS1_19radix_merge_compareILb1ELb1EbNS0_19identity_decomposerEEEEE10hipError_tT0_T1_T2_jT3_P12ihipStream_tbPNSt15iterator_traitsISK_E10value_typeEPNSQ_ISL_E10value_typeEPSM_NS1_7vsmem_tEENKUlT_SK_SL_SM_E_clIPbSD_PiSF_EESJ_SZ_SK_SL_SM_EUlSZ_E1_NS1_11comp_targetILNS1_3genE4ELNS1_11target_archE910ELNS1_3gpuE8ELNS1_3repE0EEENS1_36merge_oddeven_config_static_selectorELNS0_4arch9wavefront6targetE1EEEvSL_.has_indirect_call, 0
	.section	.AMDGPU.csdata,"",@progbits
; Kernel info:
; codeLenInByte = 0
; TotalNumSgprs: 6
; NumVgprs: 0
; NumAgprs: 0
; TotalNumVgprs: 0
; ScratchSize: 0
; MemoryBound: 0
; FloatMode: 240
; IeeeMode: 1
; LDSByteSize: 0 bytes/workgroup (compile time only)
; SGPRBlocks: 0
; VGPRBlocks: 0
; NumSGPRsForWavesPerEU: 6
; NumVGPRsForWavesPerEU: 1
; AccumOffset: 4
; Occupancy: 8
; WaveLimiterHint : 0
; COMPUTE_PGM_RSRC2:SCRATCH_EN: 0
; COMPUTE_PGM_RSRC2:USER_SGPR: 2
; COMPUTE_PGM_RSRC2:TRAP_HANDLER: 0
; COMPUTE_PGM_RSRC2:TGID_X_EN: 1
; COMPUTE_PGM_RSRC2:TGID_Y_EN: 0
; COMPUTE_PGM_RSRC2:TGID_Z_EN: 0
; COMPUTE_PGM_RSRC2:TIDIG_COMP_CNT: 0
; COMPUTE_PGM_RSRC3_GFX90A:ACCUM_OFFSET: 0
; COMPUTE_PGM_RSRC3_GFX90A:TG_SPLIT: 0
	.section	.text._ZN7rocprim17ROCPRIM_400000_NS6detail17trampoline_kernelINS0_14default_configENS1_38merge_sort_block_merge_config_selectorIbiEEZZNS1_27merge_sort_block_merge_implIS3_N6thrust23THRUST_200600_302600_NS6detail15normal_iteratorINS8_10device_ptrIbEEEENSA_INSB_IiEEEEjNS1_19radix_merge_compareILb1ELb1EbNS0_19identity_decomposerEEEEE10hipError_tT0_T1_T2_jT3_P12ihipStream_tbPNSt15iterator_traitsISK_E10value_typeEPNSQ_ISL_E10value_typeEPSM_NS1_7vsmem_tEENKUlT_SK_SL_SM_E_clIPbSD_PiSF_EESJ_SZ_SK_SL_SM_EUlSZ_E1_NS1_11comp_targetILNS1_3genE3ELNS1_11target_archE908ELNS1_3gpuE7ELNS1_3repE0EEENS1_36merge_oddeven_config_static_selectorELNS0_4arch9wavefront6targetE1EEEvSL_,"axG",@progbits,_ZN7rocprim17ROCPRIM_400000_NS6detail17trampoline_kernelINS0_14default_configENS1_38merge_sort_block_merge_config_selectorIbiEEZZNS1_27merge_sort_block_merge_implIS3_N6thrust23THRUST_200600_302600_NS6detail15normal_iteratorINS8_10device_ptrIbEEEENSA_INSB_IiEEEEjNS1_19radix_merge_compareILb1ELb1EbNS0_19identity_decomposerEEEEE10hipError_tT0_T1_T2_jT3_P12ihipStream_tbPNSt15iterator_traitsISK_E10value_typeEPNSQ_ISL_E10value_typeEPSM_NS1_7vsmem_tEENKUlT_SK_SL_SM_E_clIPbSD_PiSF_EESJ_SZ_SK_SL_SM_EUlSZ_E1_NS1_11comp_targetILNS1_3genE3ELNS1_11target_archE908ELNS1_3gpuE7ELNS1_3repE0EEENS1_36merge_oddeven_config_static_selectorELNS0_4arch9wavefront6targetE1EEEvSL_,comdat
	.protected	_ZN7rocprim17ROCPRIM_400000_NS6detail17trampoline_kernelINS0_14default_configENS1_38merge_sort_block_merge_config_selectorIbiEEZZNS1_27merge_sort_block_merge_implIS3_N6thrust23THRUST_200600_302600_NS6detail15normal_iteratorINS8_10device_ptrIbEEEENSA_INSB_IiEEEEjNS1_19radix_merge_compareILb1ELb1EbNS0_19identity_decomposerEEEEE10hipError_tT0_T1_T2_jT3_P12ihipStream_tbPNSt15iterator_traitsISK_E10value_typeEPNSQ_ISL_E10value_typeEPSM_NS1_7vsmem_tEENKUlT_SK_SL_SM_E_clIPbSD_PiSF_EESJ_SZ_SK_SL_SM_EUlSZ_E1_NS1_11comp_targetILNS1_3genE3ELNS1_11target_archE908ELNS1_3gpuE7ELNS1_3repE0EEENS1_36merge_oddeven_config_static_selectorELNS0_4arch9wavefront6targetE1EEEvSL_ ; -- Begin function _ZN7rocprim17ROCPRIM_400000_NS6detail17trampoline_kernelINS0_14default_configENS1_38merge_sort_block_merge_config_selectorIbiEEZZNS1_27merge_sort_block_merge_implIS3_N6thrust23THRUST_200600_302600_NS6detail15normal_iteratorINS8_10device_ptrIbEEEENSA_INSB_IiEEEEjNS1_19radix_merge_compareILb1ELb1EbNS0_19identity_decomposerEEEEE10hipError_tT0_T1_T2_jT3_P12ihipStream_tbPNSt15iterator_traitsISK_E10value_typeEPNSQ_ISL_E10value_typeEPSM_NS1_7vsmem_tEENKUlT_SK_SL_SM_E_clIPbSD_PiSF_EESJ_SZ_SK_SL_SM_EUlSZ_E1_NS1_11comp_targetILNS1_3genE3ELNS1_11target_archE908ELNS1_3gpuE7ELNS1_3repE0EEENS1_36merge_oddeven_config_static_selectorELNS0_4arch9wavefront6targetE1EEEvSL_
	.globl	_ZN7rocprim17ROCPRIM_400000_NS6detail17trampoline_kernelINS0_14default_configENS1_38merge_sort_block_merge_config_selectorIbiEEZZNS1_27merge_sort_block_merge_implIS3_N6thrust23THRUST_200600_302600_NS6detail15normal_iteratorINS8_10device_ptrIbEEEENSA_INSB_IiEEEEjNS1_19radix_merge_compareILb1ELb1EbNS0_19identity_decomposerEEEEE10hipError_tT0_T1_T2_jT3_P12ihipStream_tbPNSt15iterator_traitsISK_E10value_typeEPNSQ_ISL_E10value_typeEPSM_NS1_7vsmem_tEENKUlT_SK_SL_SM_E_clIPbSD_PiSF_EESJ_SZ_SK_SL_SM_EUlSZ_E1_NS1_11comp_targetILNS1_3genE3ELNS1_11target_archE908ELNS1_3gpuE7ELNS1_3repE0EEENS1_36merge_oddeven_config_static_selectorELNS0_4arch9wavefront6targetE1EEEvSL_
	.p2align	8
	.type	_ZN7rocprim17ROCPRIM_400000_NS6detail17trampoline_kernelINS0_14default_configENS1_38merge_sort_block_merge_config_selectorIbiEEZZNS1_27merge_sort_block_merge_implIS3_N6thrust23THRUST_200600_302600_NS6detail15normal_iteratorINS8_10device_ptrIbEEEENSA_INSB_IiEEEEjNS1_19radix_merge_compareILb1ELb1EbNS0_19identity_decomposerEEEEE10hipError_tT0_T1_T2_jT3_P12ihipStream_tbPNSt15iterator_traitsISK_E10value_typeEPNSQ_ISL_E10value_typeEPSM_NS1_7vsmem_tEENKUlT_SK_SL_SM_E_clIPbSD_PiSF_EESJ_SZ_SK_SL_SM_EUlSZ_E1_NS1_11comp_targetILNS1_3genE3ELNS1_11target_archE908ELNS1_3gpuE7ELNS1_3repE0EEENS1_36merge_oddeven_config_static_selectorELNS0_4arch9wavefront6targetE1EEEvSL_,@function
_ZN7rocprim17ROCPRIM_400000_NS6detail17trampoline_kernelINS0_14default_configENS1_38merge_sort_block_merge_config_selectorIbiEEZZNS1_27merge_sort_block_merge_implIS3_N6thrust23THRUST_200600_302600_NS6detail15normal_iteratorINS8_10device_ptrIbEEEENSA_INSB_IiEEEEjNS1_19radix_merge_compareILb1ELb1EbNS0_19identity_decomposerEEEEE10hipError_tT0_T1_T2_jT3_P12ihipStream_tbPNSt15iterator_traitsISK_E10value_typeEPNSQ_ISL_E10value_typeEPSM_NS1_7vsmem_tEENKUlT_SK_SL_SM_E_clIPbSD_PiSF_EESJ_SZ_SK_SL_SM_EUlSZ_E1_NS1_11comp_targetILNS1_3genE3ELNS1_11target_archE908ELNS1_3gpuE7ELNS1_3repE0EEENS1_36merge_oddeven_config_static_selectorELNS0_4arch9wavefront6targetE1EEEvSL_: ; @_ZN7rocprim17ROCPRIM_400000_NS6detail17trampoline_kernelINS0_14default_configENS1_38merge_sort_block_merge_config_selectorIbiEEZZNS1_27merge_sort_block_merge_implIS3_N6thrust23THRUST_200600_302600_NS6detail15normal_iteratorINS8_10device_ptrIbEEEENSA_INSB_IiEEEEjNS1_19radix_merge_compareILb1ELb1EbNS0_19identity_decomposerEEEEE10hipError_tT0_T1_T2_jT3_P12ihipStream_tbPNSt15iterator_traitsISK_E10value_typeEPNSQ_ISL_E10value_typeEPSM_NS1_7vsmem_tEENKUlT_SK_SL_SM_E_clIPbSD_PiSF_EESJ_SZ_SK_SL_SM_EUlSZ_E1_NS1_11comp_targetILNS1_3genE3ELNS1_11target_archE908ELNS1_3gpuE7ELNS1_3repE0EEENS1_36merge_oddeven_config_static_selectorELNS0_4arch9wavefront6targetE1EEEvSL_
; %bb.0:
	.section	.rodata,"a",@progbits
	.p2align	6, 0x0
	.amdhsa_kernel _ZN7rocprim17ROCPRIM_400000_NS6detail17trampoline_kernelINS0_14default_configENS1_38merge_sort_block_merge_config_selectorIbiEEZZNS1_27merge_sort_block_merge_implIS3_N6thrust23THRUST_200600_302600_NS6detail15normal_iteratorINS8_10device_ptrIbEEEENSA_INSB_IiEEEEjNS1_19radix_merge_compareILb1ELb1EbNS0_19identity_decomposerEEEEE10hipError_tT0_T1_T2_jT3_P12ihipStream_tbPNSt15iterator_traitsISK_E10value_typeEPNSQ_ISL_E10value_typeEPSM_NS1_7vsmem_tEENKUlT_SK_SL_SM_E_clIPbSD_PiSF_EESJ_SZ_SK_SL_SM_EUlSZ_E1_NS1_11comp_targetILNS1_3genE3ELNS1_11target_archE908ELNS1_3gpuE7ELNS1_3repE0EEENS1_36merge_oddeven_config_static_selectorELNS0_4arch9wavefront6targetE1EEEvSL_
		.amdhsa_group_segment_fixed_size 0
		.amdhsa_private_segment_fixed_size 0
		.amdhsa_kernarg_size 48
		.amdhsa_user_sgpr_count 2
		.amdhsa_user_sgpr_dispatch_ptr 0
		.amdhsa_user_sgpr_queue_ptr 0
		.amdhsa_user_sgpr_kernarg_segment_ptr 1
		.amdhsa_user_sgpr_dispatch_id 0
		.amdhsa_user_sgpr_kernarg_preload_length 0
		.amdhsa_user_sgpr_kernarg_preload_offset 0
		.amdhsa_user_sgpr_private_segment_size 0
		.amdhsa_uses_dynamic_stack 0
		.amdhsa_enable_private_segment 0
		.amdhsa_system_sgpr_workgroup_id_x 1
		.amdhsa_system_sgpr_workgroup_id_y 0
		.amdhsa_system_sgpr_workgroup_id_z 0
		.amdhsa_system_sgpr_workgroup_info 0
		.amdhsa_system_vgpr_workitem_id 0
		.amdhsa_next_free_vgpr 1
		.amdhsa_next_free_sgpr 0
		.amdhsa_accum_offset 4
		.amdhsa_reserve_vcc 0
		.amdhsa_float_round_mode_32 0
		.amdhsa_float_round_mode_16_64 0
		.amdhsa_float_denorm_mode_32 3
		.amdhsa_float_denorm_mode_16_64 3
		.amdhsa_dx10_clamp 1
		.amdhsa_ieee_mode 1
		.amdhsa_fp16_overflow 0
		.amdhsa_tg_split 0
		.amdhsa_exception_fp_ieee_invalid_op 0
		.amdhsa_exception_fp_denorm_src 0
		.amdhsa_exception_fp_ieee_div_zero 0
		.amdhsa_exception_fp_ieee_overflow 0
		.amdhsa_exception_fp_ieee_underflow 0
		.amdhsa_exception_fp_ieee_inexact 0
		.amdhsa_exception_int_div_zero 0
	.end_amdhsa_kernel
	.section	.text._ZN7rocprim17ROCPRIM_400000_NS6detail17trampoline_kernelINS0_14default_configENS1_38merge_sort_block_merge_config_selectorIbiEEZZNS1_27merge_sort_block_merge_implIS3_N6thrust23THRUST_200600_302600_NS6detail15normal_iteratorINS8_10device_ptrIbEEEENSA_INSB_IiEEEEjNS1_19radix_merge_compareILb1ELb1EbNS0_19identity_decomposerEEEEE10hipError_tT0_T1_T2_jT3_P12ihipStream_tbPNSt15iterator_traitsISK_E10value_typeEPNSQ_ISL_E10value_typeEPSM_NS1_7vsmem_tEENKUlT_SK_SL_SM_E_clIPbSD_PiSF_EESJ_SZ_SK_SL_SM_EUlSZ_E1_NS1_11comp_targetILNS1_3genE3ELNS1_11target_archE908ELNS1_3gpuE7ELNS1_3repE0EEENS1_36merge_oddeven_config_static_selectorELNS0_4arch9wavefront6targetE1EEEvSL_,"axG",@progbits,_ZN7rocprim17ROCPRIM_400000_NS6detail17trampoline_kernelINS0_14default_configENS1_38merge_sort_block_merge_config_selectorIbiEEZZNS1_27merge_sort_block_merge_implIS3_N6thrust23THRUST_200600_302600_NS6detail15normal_iteratorINS8_10device_ptrIbEEEENSA_INSB_IiEEEEjNS1_19radix_merge_compareILb1ELb1EbNS0_19identity_decomposerEEEEE10hipError_tT0_T1_T2_jT3_P12ihipStream_tbPNSt15iterator_traitsISK_E10value_typeEPNSQ_ISL_E10value_typeEPSM_NS1_7vsmem_tEENKUlT_SK_SL_SM_E_clIPbSD_PiSF_EESJ_SZ_SK_SL_SM_EUlSZ_E1_NS1_11comp_targetILNS1_3genE3ELNS1_11target_archE908ELNS1_3gpuE7ELNS1_3repE0EEENS1_36merge_oddeven_config_static_selectorELNS0_4arch9wavefront6targetE1EEEvSL_,comdat
.Lfunc_end2172:
	.size	_ZN7rocprim17ROCPRIM_400000_NS6detail17trampoline_kernelINS0_14default_configENS1_38merge_sort_block_merge_config_selectorIbiEEZZNS1_27merge_sort_block_merge_implIS3_N6thrust23THRUST_200600_302600_NS6detail15normal_iteratorINS8_10device_ptrIbEEEENSA_INSB_IiEEEEjNS1_19radix_merge_compareILb1ELb1EbNS0_19identity_decomposerEEEEE10hipError_tT0_T1_T2_jT3_P12ihipStream_tbPNSt15iterator_traitsISK_E10value_typeEPNSQ_ISL_E10value_typeEPSM_NS1_7vsmem_tEENKUlT_SK_SL_SM_E_clIPbSD_PiSF_EESJ_SZ_SK_SL_SM_EUlSZ_E1_NS1_11comp_targetILNS1_3genE3ELNS1_11target_archE908ELNS1_3gpuE7ELNS1_3repE0EEENS1_36merge_oddeven_config_static_selectorELNS0_4arch9wavefront6targetE1EEEvSL_, .Lfunc_end2172-_ZN7rocprim17ROCPRIM_400000_NS6detail17trampoline_kernelINS0_14default_configENS1_38merge_sort_block_merge_config_selectorIbiEEZZNS1_27merge_sort_block_merge_implIS3_N6thrust23THRUST_200600_302600_NS6detail15normal_iteratorINS8_10device_ptrIbEEEENSA_INSB_IiEEEEjNS1_19radix_merge_compareILb1ELb1EbNS0_19identity_decomposerEEEEE10hipError_tT0_T1_T2_jT3_P12ihipStream_tbPNSt15iterator_traitsISK_E10value_typeEPNSQ_ISL_E10value_typeEPSM_NS1_7vsmem_tEENKUlT_SK_SL_SM_E_clIPbSD_PiSF_EESJ_SZ_SK_SL_SM_EUlSZ_E1_NS1_11comp_targetILNS1_3genE3ELNS1_11target_archE908ELNS1_3gpuE7ELNS1_3repE0EEENS1_36merge_oddeven_config_static_selectorELNS0_4arch9wavefront6targetE1EEEvSL_
                                        ; -- End function
	.set _ZN7rocprim17ROCPRIM_400000_NS6detail17trampoline_kernelINS0_14default_configENS1_38merge_sort_block_merge_config_selectorIbiEEZZNS1_27merge_sort_block_merge_implIS3_N6thrust23THRUST_200600_302600_NS6detail15normal_iteratorINS8_10device_ptrIbEEEENSA_INSB_IiEEEEjNS1_19radix_merge_compareILb1ELb1EbNS0_19identity_decomposerEEEEE10hipError_tT0_T1_T2_jT3_P12ihipStream_tbPNSt15iterator_traitsISK_E10value_typeEPNSQ_ISL_E10value_typeEPSM_NS1_7vsmem_tEENKUlT_SK_SL_SM_E_clIPbSD_PiSF_EESJ_SZ_SK_SL_SM_EUlSZ_E1_NS1_11comp_targetILNS1_3genE3ELNS1_11target_archE908ELNS1_3gpuE7ELNS1_3repE0EEENS1_36merge_oddeven_config_static_selectorELNS0_4arch9wavefront6targetE1EEEvSL_.num_vgpr, 0
	.set _ZN7rocprim17ROCPRIM_400000_NS6detail17trampoline_kernelINS0_14default_configENS1_38merge_sort_block_merge_config_selectorIbiEEZZNS1_27merge_sort_block_merge_implIS3_N6thrust23THRUST_200600_302600_NS6detail15normal_iteratorINS8_10device_ptrIbEEEENSA_INSB_IiEEEEjNS1_19radix_merge_compareILb1ELb1EbNS0_19identity_decomposerEEEEE10hipError_tT0_T1_T2_jT3_P12ihipStream_tbPNSt15iterator_traitsISK_E10value_typeEPNSQ_ISL_E10value_typeEPSM_NS1_7vsmem_tEENKUlT_SK_SL_SM_E_clIPbSD_PiSF_EESJ_SZ_SK_SL_SM_EUlSZ_E1_NS1_11comp_targetILNS1_3genE3ELNS1_11target_archE908ELNS1_3gpuE7ELNS1_3repE0EEENS1_36merge_oddeven_config_static_selectorELNS0_4arch9wavefront6targetE1EEEvSL_.num_agpr, 0
	.set _ZN7rocprim17ROCPRIM_400000_NS6detail17trampoline_kernelINS0_14default_configENS1_38merge_sort_block_merge_config_selectorIbiEEZZNS1_27merge_sort_block_merge_implIS3_N6thrust23THRUST_200600_302600_NS6detail15normal_iteratorINS8_10device_ptrIbEEEENSA_INSB_IiEEEEjNS1_19radix_merge_compareILb1ELb1EbNS0_19identity_decomposerEEEEE10hipError_tT0_T1_T2_jT3_P12ihipStream_tbPNSt15iterator_traitsISK_E10value_typeEPNSQ_ISL_E10value_typeEPSM_NS1_7vsmem_tEENKUlT_SK_SL_SM_E_clIPbSD_PiSF_EESJ_SZ_SK_SL_SM_EUlSZ_E1_NS1_11comp_targetILNS1_3genE3ELNS1_11target_archE908ELNS1_3gpuE7ELNS1_3repE0EEENS1_36merge_oddeven_config_static_selectorELNS0_4arch9wavefront6targetE1EEEvSL_.numbered_sgpr, 0
	.set _ZN7rocprim17ROCPRIM_400000_NS6detail17trampoline_kernelINS0_14default_configENS1_38merge_sort_block_merge_config_selectorIbiEEZZNS1_27merge_sort_block_merge_implIS3_N6thrust23THRUST_200600_302600_NS6detail15normal_iteratorINS8_10device_ptrIbEEEENSA_INSB_IiEEEEjNS1_19radix_merge_compareILb1ELb1EbNS0_19identity_decomposerEEEEE10hipError_tT0_T1_T2_jT3_P12ihipStream_tbPNSt15iterator_traitsISK_E10value_typeEPNSQ_ISL_E10value_typeEPSM_NS1_7vsmem_tEENKUlT_SK_SL_SM_E_clIPbSD_PiSF_EESJ_SZ_SK_SL_SM_EUlSZ_E1_NS1_11comp_targetILNS1_3genE3ELNS1_11target_archE908ELNS1_3gpuE7ELNS1_3repE0EEENS1_36merge_oddeven_config_static_selectorELNS0_4arch9wavefront6targetE1EEEvSL_.num_named_barrier, 0
	.set _ZN7rocprim17ROCPRIM_400000_NS6detail17trampoline_kernelINS0_14default_configENS1_38merge_sort_block_merge_config_selectorIbiEEZZNS1_27merge_sort_block_merge_implIS3_N6thrust23THRUST_200600_302600_NS6detail15normal_iteratorINS8_10device_ptrIbEEEENSA_INSB_IiEEEEjNS1_19radix_merge_compareILb1ELb1EbNS0_19identity_decomposerEEEEE10hipError_tT0_T1_T2_jT3_P12ihipStream_tbPNSt15iterator_traitsISK_E10value_typeEPNSQ_ISL_E10value_typeEPSM_NS1_7vsmem_tEENKUlT_SK_SL_SM_E_clIPbSD_PiSF_EESJ_SZ_SK_SL_SM_EUlSZ_E1_NS1_11comp_targetILNS1_3genE3ELNS1_11target_archE908ELNS1_3gpuE7ELNS1_3repE0EEENS1_36merge_oddeven_config_static_selectorELNS0_4arch9wavefront6targetE1EEEvSL_.private_seg_size, 0
	.set _ZN7rocprim17ROCPRIM_400000_NS6detail17trampoline_kernelINS0_14default_configENS1_38merge_sort_block_merge_config_selectorIbiEEZZNS1_27merge_sort_block_merge_implIS3_N6thrust23THRUST_200600_302600_NS6detail15normal_iteratorINS8_10device_ptrIbEEEENSA_INSB_IiEEEEjNS1_19radix_merge_compareILb1ELb1EbNS0_19identity_decomposerEEEEE10hipError_tT0_T1_T2_jT3_P12ihipStream_tbPNSt15iterator_traitsISK_E10value_typeEPNSQ_ISL_E10value_typeEPSM_NS1_7vsmem_tEENKUlT_SK_SL_SM_E_clIPbSD_PiSF_EESJ_SZ_SK_SL_SM_EUlSZ_E1_NS1_11comp_targetILNS1_3genE3ELNS1_11target_archE908ELNS1_3gpuE7ELNS1_3repE0EEENS1_36merge_oddeven_config_static_selectorELNS0_4arch9wavefront6targetE1EEEvSL_.uses_vcc, 0
	.set _ZN7rocprim17ROCPRIM_400000_NS6detail17trampoline_kernelINS0_14default_configENS1_38merge_sort_block_merge_config_selectorIbiEEZZNS1_27merge_sort_block_merge_implIS3_N6thrust23THRUST_200600_302600_NS6detail15normal_iteratorINS8_10device_ptrIbEEEENSA_INSB_IiEEEEjNS1_19radix_merge_compareILb1ELb1EbNS0_19identity_decomposerEEEEE10hipError_tT0_T1_T2_jT3_P12ihipStream_tbPNSt15iterator_traitsISK_E10value_typeEPNSQ_ISL_E10value_typeEPSM_NS1_7vsmem_tEENKUlT_SK_SL_SM_E_clIPbSD_PiSF_EESJ_SZ_SK_SL_SM_EUlSZ_E1_NS1_11comp_targetILNS1_3genE3ELNS1_11target_archE908ELNS1_3gpuE7ELNS1_3repE0EEENS1_36merge_oddeven_config_static_selectorELNS0_4arch9wavefront6targetE1EEEvSL_.uses_flat_scratch, 0
	.set _ZN7rocprim17ROCPRIM_400000_NS6detail17trampoline_kernelINS0_14default_configENS1_38merge_sort_block_merge_config_selectorIbiEEZZNS1_27merge_sort_block_merge_implIS3_N6thrust23THRUST_200600_302600_NS6detail15normal_iteratorINS8_10device_ptrIbEEEENSA_INSB_IiEEEEjNS1_19radix_merge_compareILb1ELb1EbNS0_19identity_decomposerEEEEE10hipError_tT0_T1_T2_jT3_P12ihipStream_tbPNSt15iterator_traitsISK_E10value_typeEPNSQ_ISL_E10value_typeEPSM_NS1_7vsmem_tEENKUlT_SK_SL_SM_E_clIPbSD_PiSF_EESJ_SZ_SK_SL_SM_EUlSZ_E1_NS1_11comp_targetILNS1_3genE3ELNS1_11target_archE908ELNS1_3gpuE7ELNS1_3repE0EEENS1_36merge_oddeven_config_static_selectorELNS0_4arch9wavefront6targetE1EEEvSL_.has_dyn_sized_stack, 0
	.set _ZN7rocprim17ROCPRIM_400000_NS6detail17trampoline_kernelINS0_14default_configENS1_38merge_sort_block_merge_config_selectorIbiEEZZNS1_27merge_sort_block_merge_implIS3_N6thrust23THRUST_200600_302600_NS6detail15normal_iteratorINS8_10device_ptrIbEEEENSA_INSB_IiEEEEjNS1_19radix_merge_compareILb1ELb1EbNS0_19identity_decomposerEEEEE10hipError_tT0_T1_T2_jT3_P12ihipStream_tbPNSt15iterator_traitsISK_E10value_typeEPNSQ_ISL_E10value_typeEPSM_NS1_7vsmem_tEENKUlT_SK_SL_SM_E_clIPbSD_PiSF_EESJ_SZ_SK_SL_SM_EUlSZ_E1_NS1_11comp_targetILNS1_3genE3ELNS1_11target_archE908ELNS1_3gpuE7ELNS1_3repE0EEENS1_36merge_oddeven_config_static_selectorELNS0_4arch9wavefront6targetE1EEEvSL_.has_recursion, 0
	.set _ZN7rocprim17ROCPRIM_400000_NS6detail17trampoline_kernelINS0_14default_configENS1_38merge_sort_block_merge_config_selectorIbiEEZZNS1_27merge_sort_block_merge_implIS3_N6thrust23THRUST_200600_302600_NS6detail15normal_iteratorINS8_10device_ptrIbEEEENSA_INSB_IiEEEEjNS1_19radix_merge_compareILb1ELb1EbNS0_19identity_decomposerEEEEE10hipError_tT0_T1_T2_jT3_P12ihipStream_tbPNSt15iterator_traitsISK_E10value_typeEPNSQ_ISL_E10value_typeEPSM_NS1_7vsmem_tEENKUlT_SK_SL_SM_E_clIPbSD_PiSF_EESJ_SZ_SK_SL_SM_EUlSZ_E1_NS1_11comp_targetILNS1_3genE3ELNS1_11target_archE908ELNS1_3gpuE7ELNS1_3repE0EEENS1_36merge_oddeven_config_static_selectorELNS0_4arch9wavefront6targetE1EEEvSL_.has_indirect_call, 0
	.section	.AMDGPU.csdata,"",@progbits
; Kernel info:
; codeLenInByte = 0
; TotalNumSgprs: 6
; NumVgprs: 0
; NumAgprs: 0
; TotalNumVgprs: 0
; ScratchSize: 0
; MemoryBound: 0
; FloatMode: 240
; IeeeMode: 1
; LDSByteSize: 0 bytes/workgroup (compile time only)
; SGPRBlocks: 0
; VGPRBlocks: 0
; NumSGPRsForWavesPerEU: 6
; NumVGPRsForWavesPerEU: 1
; AccumOffset: 4
; Occupancy: 8
; WaveLimiterHint : 0
; COMPUTE_PGM_RSRC2:SCRATCH_EN: 0
; COMPUTE_PGM_RSRC2:USER_SGPR: 2
; COMPUTE_PGM_RSRC2:TRAP_HANDLER: 0
; COMPUTE_PGM_RSRC2:TGID_X_EN: 1
; COMPUTE_PGM_RSRC2:TGID_Y_EN: 0
; COMPUTE_PGM_RSRC2:TGID_Z_EN: 0
; COMPUTE_PGM_RSRC2:TIDIG_COMP_CNT: 0
; COMPUTE_PGM_RSRC3_GFX90A:ACCUM_OFFSET: 0
; COMPUTE_PGM_RSRC3_GFX90A:TG_SPLIT: 0
	.section	.text._ZN7rocprim17ROCPRIM_400000_NS6detail17trampoline_kernelINS0_14default_configENS1_38merge_sort_block_merge_config_selectorIbiEEZZNS1_27merge_sort_block_merge_implIS3_N6thrust23THRUST_200600_302600_NS6detail15normal_iteratorINS8_10device_ptrIbEEEENSA_INSB_IiEEEEjNS1_19radix_merge_compareILb1ELb1EbNS0_19identity_decomposerEEEEE10hipError_tT0_T1_T2_jT3_P12ihipStream_tbPNSt15iterator_traitsISK_E10value_typeEPNSQ_ISL_E10value_typeEPSM_NS1_7vsmem_tEENKUlT_SK_SL_SM_E_clIPbSD_PiSF_EESJ_SZ_SK_SL_SM_EUlSZ_E1_NS1_11comp_targetILNS1_3genE2ELNS1_11target_archE906ELNS1_3gpuE6ELNS1_3repE0EEENS1_36merge_oddeven_config_static_selectorELNS0_4arch9wavefront6targetE1EEEvSL_,"axG",@progbits,_ZN7rocprim17ROCPRIM_400000_NS6detail17trampoline_kernelINS0_14default_configENS1_38merge_sort_block_merge_config_selectorIbiEEZZNS1_27merge_sort_block_merge_implIS3_N6thrust23THRUST_200600_302600_NS6detail15normal_iteratorINS8_10device_ptrIbEEEENSA_INSB_IiEEEEjNS1_19radix_merge_compareILb1ELb1EbNS0_19identity_decomposerEEEEE10hipError_tT0_T1_T2_jT3_P12ihipStream_tbPNSt15iterator_traitsISK_E10value_typeEPNSQ_ISL_E10value_typeEPSM_NS1_7vsmem_tEENKUlT_SK_SL_SM_E_clIPbSD_PiSF_EESJ_SZ_SK_SL_SM_EUlSZ_E1_NS1_11comp_targetILNS1_3genE2ELNS1_11target_archE906ELNS1_3gpuE6ELNS1_3repE0EEENS1_36merge_oddeven_config_static_selectorELNS0_4arch9wavefront6targetE1EEEvSL_,comdat
	.protected	_ZN7rocprim17ROCPRIM_400000_NS6detail17trampoline_kernelINS0_14default_configENS1_38merge_sort_block_merge_config_selectorIbiEEZZNS1_27merge_sort_block_merge_implIS3_N6thrust23THRUST_200600_302600_NS6detail15normal_iteratorINS8_10device_ptrIbEEEENSA_INSB_IiEEEEjNS1_19radix_merge_compareILb1ELb1EbNS0_19identity_decomposerEEEEE10hipError_tT0_T1_T2_jT3_P12ihipStream_tbPNSt15iterator_traitsISK_E10value_typeEPNSQ_ISL_E10value_typeEPSM_NS1_7vsmem_tEENKUlT_SK_SL_SM_E_clIPbSD_PiSF_EESJ_SZ_SK_SL_SM_EUlSZ_E1_NS1_11comp_targetILNS1_3genE2ELNS1_11target_archE906ELNS1_3gpuE6ELNS1_3repE0EEENS1_36merge_oddeven_config_static_selectorELNS0_4arch9wavefront6targetE1EEEvSL_ ; -- Begin function _ZN7rocprim17ROCPRIM_400000_NS6detail17trampoline_kernelINS0_14default_configENS1_38merge_sort_block_merge_config_selectorIbiEEZZNS1_27merge_sort_block_merge_implIS3_N6thrust23THRUST_200600_302600_NS6detail15normal_iteratorINS8_10device_ptrIbEEEENSA_INSB_IiEEEEjNS1_19radix_merge_compareILb1ELb1EbNS0_19identity_decomposerEEEEE10hipError_tT0_T1_T2_jT3_P12ihipStream_tbPNSt15iterator_traitsISK_E10value_typeEPNSQ_ISL_E10value_typeEPSM_NS1_7vsmem_tEENKUlT_SK_SL_SM_E_clIPbSD_PiSF_EESJ_SZ_SK_SL_SM_EUlSZ_E1_NS1_11comp_targetILNS1_3genE2ELNS1_11target_archE906ELNS1_3gpuE6ELNS1_3repE0EEENS1_36merge_oddeven_config_static_selectorELNS0_4arch9wavefront6targetE1EEEvSL_
	.globl	_ZN7rocprim17ROCPRIM_400000_NS6detail17trampoline_kernelINS0_14default_configENS1_38merge_sort_block_merge_config_selectorIbiEEZZNS1_27merge_sort_block_merge_implIS3_N6thrust23THRUST_200600_302600_NS6detail15normal_iteratorINS8_10device_ptrIbEEEENSA_INSB_IiEEEEjNS1_19radix_merge_compareILb1ELb1EbNS0_19identity_decomposerEEEEE10hipError_tT0_T1_T2_jT3_P12ihipStream_tbPNSt15iterator_traitsISK_E10value_typeEPNSQ_ISL_E10value_typeEPSM_NS1_7vsmem_tEENKUlT_SK_SL_SM_E_clIPbSD_PiSF_EESJ_SZ_SK_SL_SM_EUlSZ_E1_NS1_11comp_targetILNS1_3genE2ELNS1_11target_archE906ELNS1_3gpuE6ELNS1_3repE0EEENS1_36merge_oddeven_config_static_selectorELNS0_4arch9wavefront6targetE1EEEvSL_
	.p2align	8
	.type	_ZN7rocprim17ROCPRIM_400000_NS6detail17trampoline_kernelINS0_14default_configENS1_38merge_sort_block_merge_config_selectorIbiEEZZNS1_27merge_sort_block_merge_implIS3_N6thrust23THRUST_200600_302600_NS6detail15normal_iteratorINS8_10device_ptrIbEEEENSA_INSB_IiEEEEjNS1_19radix_merge_compareILb1ELb1EbNS0_19identity_decomposerEEEEE10hipError_tT0_T1_T2_jT3_P12ihipStream_tbPNSt15iterator_traitsISK_E10value_typeEPNSQ_ISL_E10value_typeEPSM_NS1_7vsmem_tEENKUlT_SK_SL_SM_E_clIPbSD_PiSF_EESJ_SZ_SK_SL_SM_EUlSZ_E1_NS1_11comp_targetILNS1_3genE2ELNS1_11target_archE906ELNS1_3gpuE6ELNS1_3repE0EEENS1_36merge_oddeven_config_static_selectorELNS0_4arch9wavefront6targetE1EEEvSL_,@function
_ZN7rocprim17ROCPRIM_400000_NS6detail17trampoline_kernelINS0_14default_configENS1_38merge_sort_block_merge_config_selectorIbiEEZZNS1_27merge_sort_block_merge_implIS3_N6thrust23THRUST_200600_302600_NS6detail15normal_iteratorINS8_10device_ptrIbEEEENSA_INSB_IiEEEEjNS1_19radix_merge_compareILb1ELb1EbNS0_19identity_decomposerEEEEE10hipError_tT0_T1_T2_jT3_P12ihipStream_tbPNSt15iterator_traitsISK_E10value_typeEPNSQ_ISL_E10value_typeEPSM_NS1_7vsmem_tEENKUlT_SK_SL_SM_E_clIPbSD_PiSF_EESJ_SZ_SK_SL_SM_EUlSZ_E1_NS1_11comp_targetILNS1_3genE2ELNS1_11target_archE906ELNS1_3gpuE6ELNS1_3repE0EEENS1_36merge_oddeven_config_static_selectorELNS0_4arch9wavefront6targetE1EEEvSL_: ; @_ZN7rocprim17ROCPRIM_400000_NS6detail17trampoline_kernelINS0_14default_configENS1_38merge_sort_block_merge_config_selectorIbiEEZZNS1_27merge_sort_block_merge_implIS3_N6thrust23THRUST_200600_302600_NS6detail15normal_iteratorINS8_10device_ptrIbEEEENSA_INSB_IiEEEEjNS1_19radix_merge_compareILb1ELb1EbNS0_19identity_decomposerEEEEE10hipError_tT0_T1_T2_jT3_P12ihipStream_tbPNSt15iterator_traitsISK_E10value_typeEPNSQ_ISL_E10value_typeEPSM_NS1_7vsmem_tEENKUlT_SK_SL_SM_E_clIPbSD_PiSF_EESJ_SZ_SK_SL_SM_EUlSZ_E1_NS1_11comp_targetILNS1_3genE2ELNS1_11target_archE906ELNS1_3gpuE6ELNS1_3repE0EEENS1_36merge_oddeven_config_static_selectorELNS0_4arch9wavefront6targetE1EEEvSL_
; %bb.0:
	.section	.rodata,"a",@progbits
	.p2align	6, 0x0
	.amdhsa_kernel _ZN7rocprim17ROCPRIM_400000_NS6detail17trampoline_kernelINS0_14default_configENS1_38merge_sort_block_merge_config_selectorIbiEEZZNS1_27merge_sort_block_merge_implIS3_N6thrust23THRUST_200600_302600_NS6detail15normal_iteratorINS8_10device_ptrIbEEEENSA_INSB_IiEEEEjNS1_19radix_merge_compareILb1ELb1EbNS0_19identity_decomposerEEEEE10hipError_tT0_T1_T2_jT3_P12ihipStream_tbPNSt15iterator_traitsISK_E10value_typeEPNSQ_ISL_E10value_typeEPSM_NS1_7vsmem_tEENKUlT_SK_SL_SM_E_clIPbSD_PiSF_EESJ_SZ_SK_SL_SM_EUlSZ_E1_NS1_11comp_targetILNS1_3genE2ELNS1_11target_archE906ELNS1_3gpuE6ELNS1_3repE0EEENS1_36merge_oddeven_config_static_selectorELNS0_4arch9wavefront6targetE1EEEvSL_
		.amdhsa_group_segment_fixed_size 0
		.amdhsa_private_segment_fixed_size 0
		.amdhsa_kernarg_size 48
		.amdhsa_user_sgpr_count 2
		.amdhsa_user_sgpr_dispatch_ptr 0
		.amdhsa_user_sgpr_queue_ptr 0
		.amdhsa_user_sgpr_kernarg_segment_ptr 1
		.amdhsa_user_sgpr_dispatch_id 0
		.amdhsa_user_sgpr_kernarg_preload_length 0
		.amdhsa_user_sgpr_kernarg_preload_offset 0
		.amdhsa_user_sgpr_private_segment_size 0
		.amdhsa_uses_dynamic_stack 0
		.amdhsa_enable_private_segment 0
		.amdhsa_system_sgpr_workgroup_id_x 1
		.amdhsa_system_sgpr_workgroup_id_y 0
		.amdhsa_system_sgpr_workgroup_id_z 0
		.amdhsa_system_sgpr_workgroup_info 0
		.amdhsa_system_vgpr_workitem_id 0
		.amdhsa_next_free_vgpr 1
		.amdhsa_next_free_sgpr 0
		.amdhsa_accum_offset 4
		.amdhsa_reserve_vcc 0
		.amdhsa_float_round_mode_32 0
		.amdhsa_float_round_mode_16_64 0
		.amdhsa_float_denorm_mode_32 3
		.amdhsa_float_denorm_mode_16_64 3
		.amdhsa_dx10_clamp 1
		.amdhsa_ieee_mode 1
		.amdhsa_fp16_overflow 0
		.amdhsa_tg_split 0
		.amdhsa_exception_fp_ieee_invalid_op 0
		.amdhsa_exception_fp_denorm_src 0
		.amdhsa_exception_fp_ieee_div_zero 0
		.amdhsa_exception_fp_ieee_overflow 0
		.amdhsa_exception_fp_ieee_underflow 0
		.amdhsa_exception_fp_ieee_inexact 0
		.amdhsa_exception_int_div_zero 0
	.end_amdhsa_kernel
	.section	.text._ZN7rocprim17ROCPRIM_400000_NS6detail17trampoline_kernelINS0_14default_configENS1_38merge_sort_block_merge_config_selectorIbiEEZZNS1_27merge_sort_block_merge_implIS3_N6thrust23THRUST_200600_302600_NS6detail15normal_iteratorINS8_10device_ptrIbEEEENSA_INSB_IiEEEEjNS1_19radix_merge_compareILb1ELb1EbNS0_19identity_decomposerEEEEE10hipError_tT0_T1_T2_jT3_P12ihipStream_tbPNSt15iterator_traitsISK_E10value_typeEPNSQ_ISL_E10value_typeEPSM_NS1_7vsmem_tEENKUlT_SK_SL_SM_E_clIPbSD_PiSF_EESJ_SZ_SK_SL_SM_EUlSZ_E1_NS1_11comp_targetILNS1_3genE2ELNS1_11target_archE906ELNS1_3gpuE6ELNS1_3repE0EEENS1_36merge_oddeven_config_static_selectorELNS0_4arch9wavefront6targetE1EEEvSL_,"axG",@progbits,_ZN7rocprim17ROCPRIM_400000_NS6detail17trampoline_kernelINS0_14default_configENS1_38merge_sort_block_merge_config_selectorIbiEEZZNS1_27merge_sort_block_merge_implIS3_N6thrust23THRUST_200600_302600_NS6detail15normal_iteratorINS8_10device_ptrIbEEEENSA_INSB_IiEEEEjNS1_19radix_merge_compareILb1ELb1EbNS0_19identity_decomposerEEEEE10hipError_tT0_T1_T2_jT3_P12ihipStream_tbPNSt15iterator_traitsISK_E10value_typeEPNSQ_ISL_E10value_typeEPSM_NS1_7vsmem_tEENKUlT_SK_SL_SM_E_clIPbSD_PiSF_EESJ_SZ_SK_SL_SM_EUlSZ_E1_NS1_11comp_targetILNS1_3genE2ELNS1_11target_archE906ELNS1_3gpuE6ELNS1_3repE0EEENS1_36merge_oddeven_config_static_selectorELNS0_4arch9wavefront6targetE1EEEvSL_,comdat
.Lfunc_end2173:
	.size	_ZN7rocprim17ROCPRIM_400000_NS6detail17trampoline_kernelINS0_14default_configENS1_38merge_sort_block_merge_config_selectorIbiEEZZNS1_27merge_sort_block_merge_implIS3_N6thrust23THRUST_200600_302600_NS6detail15normal_iteratorINS8_10device_ptrIbEEEENSA_INSB_IiEEEEjNS1_19radix_merge_compareILb1ELb1EbNS0_19identity_decomposerEEEEE10hipError_tT0_T1_T2_jT3_P12ihipStream_tbPNSt15iterator_traitsISK_E10value_typeEPNSQ_ISL_E10value_typeEPSM_NS1_7vsmem_tEENKUlT_SK_SL_SM_E_clIPbSD_PiSF_EESJ_SZ_SK_SL_SM_EUlSZ_E1_NS1_11comp_targetILNS1_3genE2ELNS1_11target_archE906ELNS1_3gpuE6ELNS1_3repE0EEENS1_36merge_oddeven_config_static_selectorELNS0_4arch9wavefront6targetE1EEEvSL_, .Lfunc_end2173-_ZN7rocprim17ROCPRIM_400000_NS6detail17trampoline_kernelINS0_14default_configENS1_38merge_sort_block_merge_config_selectorIbiEEZZNS1_27merge_sort_block_merge_implIS3_N6thrust23THRUST_200600_302600_NS6detail15normal_iteratorINS8_10device_ptrIbEEEENSA_INSB_IiEEEEjNS1_19radix_merge_compareILb1ELb1EbNS0_19identity_decomposerEEEEE10hipError_tT0_T1_T2_jT3_P12ihipStream_tbPNSt15iterator_traitsISK_E10value_typeEPNSQ_ISL_E10value_typeEPSM_NS1_7vsmem_tEENKUlT_SK_SL_SM_E_clIPbSD_PiSF_EESJ_SZ_SK_SL_SM_EUlSZ_E1_NS1_11comp_targetILNS1_3genE2ELNS1_11target_archE906ELNS1_3gpuE6ELNS1_3repE0EEENS1_36merge_oddeven_config_static_selectorELNS0_4arch9wavefront6targetE1EEEvSL_
                                        ; -- End function
	.set _ZN7rocprim17ROCPRIM_400000_NS6detail17trampoline_kernelINS0_14default_configENS1_38merge_sort_block_merge_config_selectorIbiEEZZNS1_27merge_sort_block_merge_implIS3_N6thrust23THRUST_200600_302600_NS6detail15normal_iteratorINS8_10device_ptrIbEEEENSA_INSB_IiEEEEjNS1_19radix_merge_compareILb1ELb1EbNS0_19identity_decomposerEEEEE10hipError_tT0_T1_T2_jT3_P12ihipStream_tbPNSt15iterator_traitsISK_E10value_typeEPNSQ_ISL_E10value_typeEPSM_NS1_7vsmem_tEENKUlT_SK_SL_SM_E_clIPbSD_PiSF_EESJ_SZ_SK_SL_SM_EUlSZ_E1_NS1_11comp_targetILNS1_3genE2ELNS1_11target_archE906ELNS1_3gpuE6ELNS1_3repE0EEENS1_36merge_oddeven_config_static_selectorELNS0_4arch9wavefront6targetE1EEEvSL_.num_vgpr, 0
	.set _ZN7rocprim17ROCPRIM_400000_NS6detail17trampoline_kernelINS0_14default_configENS1_38merge_sort_block_merge_config_selectorIbiEEZZNS1_27merge_sort_block_merge_implIS3_N6thrust23THRUST_200600_302600_NS6detail15normal_iteratorINS8_10device_ptrIbEEEENSA_INSB_IiEEEEjNS1_19radix_merge_compareILb1ELb1EbNS0_19identity_decomposerEEEEE10hipError_tT0_T1_T2_jT3_P12ihipStream_tbPNSt15iterator_traitsISK_E10value_typeEPNSQ_ISL_E10value_typeEPSM_NS1_7vsmem_tEENKUlT_SK_SL_SM_E_clIPbSD_PiSF_EESJ_SZ_SK_SL_SM_EUlSZ_E1_NS1_11comp_targetILNS1_3genE2ELNS1_11target_archE906ELNS1_3gpuE6ELNS1_3repE0EEENS1_36merge_oddeven_config_static_selectorELNS0_4arch9wavefront6targetE1EEEvSL_.num_agpr, 0
	.set _ZN7rocprim17ROCPRIM_400000_NS6detail17trampoline_kernelINS0_14default_configENS1_38merge_sort_block_merge_config_selectorIbiEEZZNS1_27merge_sort_block_merge_implIS3_N6thrust23THRUST_200600_302600_NS6detail15normal_iteratorINS8_10device_ptrIbEEEENSA_INSB_IiEEEEjNS1_19radix_merge_compareILb1ELb1EbNS0_19identity_decomposerEEEEE10hipError_tT0_T1_T2_jT3_P12ihipStream_tbPNSt15iterator_traitsISK_E10value_typeEPNSQ_ISL_E10value_typeEPSM_NS1_7vsmem_tEENKUlT_SK_SL_SM_E_clIPbSD_PiSF_EESJ_SZ_SK_SL_SM_EUlSZ_E1_NS1_11comp_targetILNS1_3genE2ELNS1_11target_archE906ELNS1_3gpuE6ELNS1_3repE0EEENS1_36merge_oddeven_config_static_selectorELNS0_4arch9wavefront6targetE1EEEvSL_.numbered_sgpr, 0
	.set _ZN7rocprim17ROCPRIM_400000_NS6detail17trampoline_kernelINS0_14default_configENS1_38merge_sort_block_merge_config_selectorIbiEEZZNS1_27merge_sort_block_merge_implIS3_N6thrust23THRUST_200600_302600_NS6detail15normal_iteratorINS8_10device_ptrIbEEEENSA_INSB_IiEEEEjNS1_19radix_merge_compareILb1ELb1EbNS0_19identity_decomposerEEEEE10hipError_tT0_T1_T2_jT3_P12ihipStream_tbPNSt15iterator_traitsISK_E10value_typeEPNSQ_ISL_E10value_typeEPSM_NS1_7vsmem_tEENKUlT_SK_SL_SM_E_clIPbSD_PiSF_EESJ_SZ_SK_SL_SM_EUlSZ_E1_NS1_11comp_targetILNS1_3genE2ELNS1_11target_archE906ELNS1_3gpuE6ELNS1_3repE0EEENS1_36merge_oddeven_config_static_selectorELNS0_4arch9wavefront6targetE1EEEvSL_.num_named_barrier, 0
	.set _ZN7rocprim17ROCPRIM_400000_NS6detail17trampoline_kernelINS0_14default_configENS1_38merge_sort_block_merge_config_selectorIbiEEZZNS1_27merge_sort_block_merge_implIS3_N6thrust23THRUST_200600_302600_NS6detail15normal_iteratorINS8_10device_ptrIbEEEENSA_INSB_IiEEEEjNS1_19radix_merge_compareILb1ELb1EbNS0_19identity_decomposerEEEEE10hipError_tT0_T1_T2_jT3_P12ihipStream_tbPNSt15iterator_traitsISK_E10value_typeEPNSQ_ISL_E10value_typeEPSM_NS1_7vsmem_tEENKUlT_SK_SL_SM_E_clIPbSD_PiSF_EESJ_SZ_SK_SL_SM_EUlSZ_E1_NS1_11comp_targetILNS1_3genE2ELNS1_11target_archE906ELNS1_3gpuE6ELNS1_3repE0EEENS1_36merge_oddeven_config_static_selectorELNS0_4arch9wavefront6targetE1EEEvSL_.private_seg_size, 0
	.set _ZN7rocprim17ROCPRIM_400000_NS6detail17trampoline_kernelINS0_14default_configENS1_38merge_sort_block_merge_config_selectorIbiEEZZNS1_27merge_sort_block_merge_implIS3_N6thrust23THRUST_200600_302600_NS6detail15normal_iteratorINS8_10device_ptrIbEEEENSA_INSB_IiEEEEjNS1_19radix_merge_compareILb1ELb1EbNS0_19identity_decomposerEEEEE10hipError_tT0_T1_T2_jT3_P12ihipStream_tbPNSt15iterator_traitsISK_E10value_typeEPNSQ_ISL_E10value_typeEPSM_NS1_7vsmem_tEENKUlT_SK_SL_SM_E_clIPbSD_PiSF_EESJ_SZ_SK_SL_SM_EUlSZ_E1_NS1_11comp_targetILNS1_3genE2ELNS1_11target_archE906ELNS1_3gpuE6ELNS1_3repE0EEENS1_36merge_oddeven_config_static_selectorELNS0_4arch9wavefront6targetE1EEEvSL_.uses_vcc, 0
	.set _ZN7rocprim17ROCPRIM_400000_NS6detail17trampoline_kernelINS0_14default_configENS1_38merge_sort_block_merge_config_selectorIbiEEZZNS1_27merge_sort_block_merge_implIS3_N6thrust23THRUST_200600_302600_NS6detail15normal_iteratorINS8_10device_ptrIbEEEENSA_INSB_IiEEEEjNS1_19radix_merge_compareILb1ELb1EbNS0_19identity_decomposerEEEEE10hipError_tT0_T1_T2_jT3_P12ihipStream_tbPNSt15iterator_traitsISK_E10value_typeEPNSQ_ISL_E10value_typeEPSM_NS1_7vsmem_tEENKUlT_SK_SL_SM_E_clIPbSD_PiSF_EESJ_SZ_SK_SL_SM_EUlSZ_E1_NS1_11comp_targetILNS1_3genE2ELNS1_11target_archE906ELNS1_3gpuE6ELNS1_3repE0EEENS1_36merge_oddeven_config_static_selectorELNS0_4arch9wavefront6targetE1EEEvSL_.uses_flat_scratch, 0
	.set _ZN7rocprim17ROCPRIM_400000_NS6detail17trampoline_kernelINS0_14default_configENS1_38merge_sort_block_merge_config_selectorIbiEEZZNS1_27merge_sort_block_merge_implIS3_N6thrust23THRUST_200600_302600_NS6detail15normal_iteratorINS8_10device_ptrIbEEEENSA_INSB_IiEEEEjNS1_19radix_merge_compareILb1ELb1EbNS0_19identity_decomposerEEEEE10hipError_tT0_T1_T2_jT3_P12ihipStream_tbPNSt15iterator_traitsISK_E10value_typeEPNSQ_ISL_E10value_typeEPSM_NS1_7vsmem_tEENKUlT_SK_SL_SM_E_clIPbSD_PiSF_EESJ_SZ_SK_SL_SM_EUlSZ_E1_NS1_11comp_targetILNS1_3genE2ELNS1_11target_archE906ELNS1_3gpuE6ELNS1_3repE0EEENS1_36merge_oddeven_config_static_selectorELNS0_4arch9wavefront6targetE1EEEvSL_.has_dyn_sized_stack, 0
	.set _ZN7rocprim17ROCPRIM_400000_NS6detail17trampoline_kernelINS0_14default_configENS1_38merge_sort_block_merge_config_selectorIbiEEZZNS1_27merge_sort_block_merge_implIS3_N6thrust23THRUST_200600_302600_NS6detail15normal_iteratorINS8_10device_ptrIbEEEENSA_INSB_IiEEEEjNS1_19radix_merge_compareILb1ELb1EbNS0_19identity_decomposerEEEEE10hipError_tT0_T1_T2_jT3_P12ihipStream_tbPNSt15iterator_traitsISK_E10value_typeEPNSQ_ISL_E10value_typeEPSM_NS1_7vsmem_tEENKUlT_SK_SL_SM_E_clIPbSD_PiSF_EESJ_SZ_SK_SL_SM_EUlSZ_E1_NS1_11comp_targetILNS1_3genE2ELNS1_11target_archE906ELNS1_3gpuE6ELNS1_3repE0EEENS1_36merge_oddeven_config_static_selectorELNS0_4arch9wavefront6targetE1EEEvSL_.has_recursion, 0
	.set _ZN7rocprim17ROCPRIM_400000_NS6detail17trampoline_kernelINS0_14default_configENS1_38merge_sort_block_merge_config_selectorIbiEEZZNS1_27merge_sort_block_merge_implIS3_N6thrust23THRUST_200600_302600_NS6detail15normal_iteratorINS8_10device_ptrIbEEEENSA_INSB_IiEEEEjNS1_19radix_merge_compareILb1ELb1EbNS0_19identity_decomposerEEEEE10hipError_tT0_T1_T2_jT3_P12ihipStream_tbPNSt15iterator_traitsISK_E10value_typeEPNSQ_ISL_E10value_typeEPSM_NS1_7vsmem_tEENKUlT_SK_SL_SM_E_clIPbSD_PiSF_EESJ_SZ_SK_SL_SM_EUlSZ_E1_NS1_11comp_targetILNS1_3genE2ELNS1_11target_archE906ELNS1_3gpuE6ELNS1_3repE0EEENS1_36merge_oddeven_config_static_selectorELNS0_4arch9wavefront6targetE1EEEvSL_.has_indirect_call, 0
	.section	.AMDGPU.csdata,"",@progbits
; Kernel info:
; codeLenInByte = 0
; TotalNumSgprs: 6
; NumVgprs: 0
; NumAgprs: 0
; TotalNumVgprs: 0
; ScratchSize: 0
; MemoryBound: 0
; FloatMode: 240
; IeeeMode: 1
; LDSByteSize: 0 bytes/workgroup (compile time only)
; SGPRBlocks: 0
; VGPRBlocks: 0
; NumSGPRsForWavesPerEU: 6
; NumVGPRsForWavesPerEU: 1
; AccumOffset: 4
; Occupancy: 8
; WaveLimiterHint : 0
; COMPUTE_PGM_RSRC2:SCRATCH_EN: 0
; COMPUTE_PGM_RSRC2:USER_SGPR: 2
; COMPUTE_PGM_RSRC2:TRAP_HANDLER: 0
; COMPUTE_PGM_RSRC2:TGID_X_EN: 1
; COMPUTE_PGM_RSRC2:TGID_Y_EN: 0
; COMPUTE_PGM_RSRC2:TGID_Z_EN: 0
; COMPUTE_PGM_RSRC2:TIDIG_COMP_CNT: 0
; COMPUTE_PGM_RSRC3_GFX90A:ACCUM_OFFSET: 0
; COMPUTE_PGM_RSRC3_GFX90A:TG_SPLIT: 0
	.section	.text._ZN7rocprim17ROCPRIM_400000_NS6detail17trampoline_kernelINS0_14default_configENS1_38merge_sort_block_merge_config_selectorIbiEEZZNS1_27merge_sort_block_merge_implIS3_N6thrust23THRUST_200600_302600_NS6detail15normal_iteratorINS8_10device_ptrIbEEEENSA_INSB_IiEEEEjNS1_19radix_merge_compareILb1ELb1EbNS0_19identity_decomposerEEEEE10hipError_tT0_T1_T2_jT3_P12ihipStream_tbPNSt15iterator_traitsISK_E10value_typeEPNSQ_ISL_E10value_typeEPSM_NS1_7vsmem_tEENKUlT_SK_SL_SM_E_clIPbSD_PiSF_EESJ_SZ_SK_SL_SM_EUlSZ_E1_NS1_11comp_targetILNS1_3genE9ELNS1_11target_archE1100ELNS1_3gpuE3ELNS1_3repE0EEENS1_36merge_oddeven_config_static_selectorELNS0_4arch9wavefront6targetE1EEEvSL_,"axG",@progbits,_ZN7rocprim17ROCPRIM_400000_NS6detail17trampoline_kernelINS0_14default_configENS1_38merge_sort_block_merge_config_selectorIbiEEZZNS1_27merge_sort_block_merge_implIS3_N6thrust23THRUST_200600_302600_NS6detail15normal_iteratorINS8_10device_ptrIbEEEENSA_INSB_IiEEEEjNS1_19radix_merge_compareILb1ELb1EbNS0_19identity_decomposerEEEEE10hipError_tT0_T1_T2_jT3_P12ihipStream_tbPNSt15iterator_traitsISK_E10value_typeEPNSQ_ISL_E10value_typeEPSM_NS1_7vsmem_tEENKUlT_SK_SL_SM_E_clIPbSD_PiSF_EESJ_SZ_SK_SL_SM_EUlSZ_E1_NS1_11comp_targetILNS1_3genE9ELNS1_11target_archE1100ELNS1_3gpuE3ELNS1_3repE0EEENS1_36merge_oddeven_config_static_selectorELNS0_4arch9wavefront6targetE1EEEvSL_,comdat
	.protected	_ZN7rocprim17ROCPRIM_400000_NS6detail17trampoline_kernelINS0_14default_configENS1_38merge_sort_block_merge_config_selectorIbiEEZZNS1_27merge_sort_block_merge_implIS3_N6thrust23THRUST_200600_302600_NS6detail15normal_iteratorINS8_10device_ptrIbEEEENSA_INSB_IiEEEEjNS1_19radix_merge_compareILb1ELb1EbNS0_19identity_decomposerEEEEE10hipError_tT0_T1_T2_jT3_P12ihipStream_tbPNSt15iterator_traitsISK_E10value_typeEPNSQ_ISL_E10value_typeEPSM_NS1_7vsmem_tEENKUlT_SK_SL_SM_E_clIPbSD_PiSF_EESJ_SZ_SK_SL_SM_EUlSZ_E1_NS1_11comp_targetILNS1_3genE9ELNS1_11target_archE1100ELNS1_3gpuE3ELNS1_3repE0EEENS1_36merge_oddeven_config_static_selectorELNS0_4arch9wavefront6targetE1EEEvSL_ ; -- Begin function _ZN7rocprim17ROCPRIM_400000_NS6detail17trampoline_kernelINS0_14default_configENS1_38merge_sort_block_merge_config_selectorIbiEEZZNS1_27merge_sort_block_merge_implIS3_N6thrust23THRUST_200600_302600_NS6detail15normal_iteratorINS8_10device_ptrIbEEEENSA_INSB_IiEEEEjNS1_19radix_merge_compareILb1ELb1EbNS0_19identity_decomposerEEEEE10hipError_tT0_T1_T2_jT3_P12ihipStream_tbPNSt15iterator_traitsISK_E10value_typeEPNSQ_ISL_E10value_typeEPSM_NS1_7vsmem_tEENKUlT_SK_SL_SM_E_clIPbSD_PiSF_EESJ_SZ_SK_SL_SM_EUlSZ_E1_NS1_11comp_targetILNS1_3genE9ELNS1_11target_archE1100ELNS1_3gpuE3ELNS1_3repE0EEENS1_36merge_oddeven_config_static_selectorELNS0_4arch9wavefront6targetE1EEEvSL_
	.globl	_ZN7rocprim17ROCPRIM_400000_NS6detail17trampoline_kernelINS0_14default_configENS1_38merge_sort_block_merge_config_selectorIbiEEZZNS1_27merge_sort_block_merge_implIS3_N6thrust23THRUST_200600_302600_NS6detail15normal_iteratorINS8_10device_ptrIbEEEENSA_INSB_IiEEEEjNS1_19radix_merge_compareILb1ELb1EbNS0_19identity_decomposerEEEEE10hipError_tT0_T1_T2_jT3_P12ihipStream_tbPNSt15iterator_traitsISK_E10value_typeEPNSQ_ISL_E10value_typeEPSM_NS1_7vsmem_tEENKUlT_SK_SL_SM_E_clIPbSD_PiSF_EESJ_SZ_SK_SL_SM_EUlSZ_E1_NS1_11comp_targetILNS1_3genE9ELNS1_11target_archE1100ELNS1_3gpuE3ELNS1_3repE0EEENS1_36merge_oddeven_config_static_selectorELNS0_4arch9wavefront6targetE1EEEvSL_
	.p2align	8
	.type	_ZN7rocprim17ROCPRIM_400000_NS6detail17trampoline_kernelINS0_14default_configENS1_38merge_sort_block_merge_config_selectorIbiEEZZNS1_27merge_sort_block_merge_implIS3_N6thrust23THRUST_200600_302600_NS6detail15normal_iteratorINS8_10device_ptrIbEEEENSA_INSB_IiEEEEjNS1_19radix_merge_compareILb1ELb1EbNS0_19identity_decomposerEEEEE10hipError_tT0_T1_T2_jT3_P12ihipStream_tbPNSt15iterator_traitsISK_E10value_typeEPNSQ_ISL_E10value_typeEPSM_NS1_7vsmem_tEENKUlT_SK_SL_SM_E_clIPbSD_PiSF_EESJ_SZ_SK_SL_SM_EUlSZ_E1_NS1_11comp_targetILNS1_3genE9ELNS1_11target_archE1100ELNS1_3gpuE3ELNS1_3repE0EEENS1_36merge_oddeven_config_static_selectorELNS0_4arch9wavefront6targetE1EEEvSL_,@function
_ZN7rocprim17ROCPRIM_400000_NS6detail17trampoline_kernelINS0_14default_configENS1_38merge_sort_block_merge_config_selectorIbiEEZZNS1_27merge_sort_block_merge_implIS3_N6thrust23THRUST_200600_302600_NS6detail15normal_iteratorINS8_10device_ptrIbEEEENSA_INSB_IiEEEEjNS1_19radix_merge_compareILb1ELb1EbNS0_19identity_decomposerEEEEE10hipError_tT0_T1_T2_jT3_P12ihipStream_tbPNSt15iterator_traitsISK_E10value_typeEPNSQ_ISL_E10value_typeEPSM_NS1_7vsmem_tEENKUlT_SK_SL_SM_E_clIPbSD_PiSF_EESJ_SZ_SK_SL_SM_EUlSZ_E1_NS1_11comp_targetILNS1_3genE9ELNS1_11target_archE1100ELNS1_3gpuE3ELNS1_3repE0EEENS1_36merge_oddeven_config_static_selectorELNS0_4arch9wavefront6targetE1EEEvSL_: ; @_ZN7rocprim17ROCPRIM_400000_NS6detail17trampoline_kernelINS0_14default_configENS1_38merge_sort_block_merge_config_selectorIbiEEZZNS1_27merge_sort_block_merge_implIS3_N6thrust23THRUST_200600_302600_NS6detail15normal_iteratorINS8_10device_ptrIbEEEENSA_INSB_IiEEEEjNS1_19radix_merge_compareILb1ELb1EbNS0_19identity_decomposerEEEEE10hipError_tT0_T1_T2_jT3_P12ihipStream_tbPNSt15iterator_traitsISK_E10value_typeEPNSQ_ISL_E10value_typeEPSM_NS1_7vsmem_tEENKUlT_SK_SL_SM_E_clIPbSD_PiSF_EESJ_SZ_SK_SL_SM_EUlSZ_E1_NS1_11comp_targetILNS1_3genE9ELNS1_11target_archE1100ELNS1_3gpuE3ELNS1_3repE0EEENS1_36merge_oddeven_config_static_selectorELNS0_4arch9wavefront6targetE1EEEvSL_
; %bb.0:
	.section	.rodata,"a",@progbits
	.p2align	6, 0x0
	.amdhsa_kernel _ZN7rocprim17ROCPRIM_400000_NS6detail17trampoline_kernelINS0_14default_configENS1_38merge_sort_block_merge_config_selectorIbiEEZZNS1_27merge_sort_block_merge_implIS3_N6thrust23THRUST_200600_302600_NS6detail15normal_iteratorINS8_10device_ptrIbEEEENSA_INSB_IiEEEEjNS1_19radix_merge_compareILb1ELb1EbNS0_19identity_decomposerEEEEE10hipError_tT0_T1_T2_jT3_P12ihipStream_tbPNSt15iterator_traitsISK_E10value_typeEPNSQ_ISL_E10value_typeEPSM_NS1_7vsmem_tEENKUlT_SK_SL_SM_E_clIPbSD_PiSF_EESJ_SZ_SK_SL_SM_EUlSZ_E1_NS1_11comp_targetILNS1_3genE9ELNS1_11target_archE1100ELNS1_3gpuE3ELNS1_3repE0EEENS1_36merge_oddeven_config_static_selectorELNS0_4arch9wavefront6targetE1EEEvSL_
		.amdhsa_group_segment_fixed_size 0
		.amdhsa_private_segment_fixed_size 0
		.amdhsa_kernarg_size 48
		.amdhsa_user_sgpr_count 2
		.amdhsa_user_sgpr_dispatch_ptr 0
		.amdhsa_user_sgpr_queue_ptr 0
		.amdhsa_user_sgpr_kernarg_segment_ptr 1
		.amdhsa_user_sgpr_dispatch_id 0
		.amdhsa_user_sgpr_kernarg_preload_length 0
		.amdhsa_user_sgpr_kernarg_preload_offset 0
		.amdhsa_user_sgpr_private_segment_size 0
		.amdhsa_uses_dynamic_stack 0
		.amdhsa_enable_private_segment 0
		.amdhsa_system_sgpr_workgroup_id_x 1
		.amdhsa_system_sgpr_workgroup_id_y 0
		.amdhsa_system_sgpr_workgroup_id_z 0
		.amdhsa_system_sgpr_workgroup_info 0
		.amdhsa_system_vgpr_workitem_id 0
		.amdhsa_next_free_vgpr 1
		.amdhsa_next_free_sgpr 0
		.amdhsa_accum_offset 4
		.amdhsa_reserve_vcc 0
		.amdhsa_float_round_mode_32 0
		.amdhsa_float_round_mode_16_64 0
		.amdhsa_float_denorm_mode_32 3
		.amdhsa_float_denorm_mode_16_64 3
		.amdhsa_dx10_clamp 1
		.amdhsa_ieee_mode 1
		.amdhsa_fp16_overflow 0
		.amdhsa_tg_split 0
		.amdhsa_exception_fp_ieee_invalid_op 0
		.amdhsa_exception_fp_denorm_src 0
		.amdhsa_exception_fp_ieee_div_zero 0
		.amdhsa_exception_fp_ieee_overflow 0
		.amdhsa_exception_fp_ieee_underflow 0
		.amdhsa_exception_fp_ieee_inexact 0
		.amdhsa_exception_int_div_zero 0
	.end_amdhsa_kernel
	.section	.text._ZN7rocprim17ROCPRIM_400000_NS6detail17trampoline_kernelINS0_14default_configENS1_38merge_sort_block_merge_config_selectorIbiEEZZNS1_27merge_sort_block_merge_implIS3_N6thrust23THRUST_200600_302600_NS6detail15normal_iteratorINS8_10device_ptrIbEEEENSA_INSB_IiEEEEjNS1_19radix_merge_compareILb1ELb1EbNS0_19identity_decomposerEEEEE10hipError_tT0_T1_T2_jT3_P12ihipStream_tbPNSt15iterator_traitsISK_E10value_typeEPNSQ_ISL_E10value_typeEPSM_NS1_7vsmem_tEENKUlT_SK_SL_SM_E_clIPbSD_PiSF_EESJ_SZ_SK_SL_SM_EUlSZ_E1_NS1_11comp_targetILNS1_3genE9ELNS1_11target_archE1100ELNS1_3gpuE3ELNS1_3repE0EEENS1_36merge_oddeven_config_static_selectorELNS0_4arch9wavefront6targetE1EEEvSL_,"axG",@progbits,_ZN7rocprim17ROCPRIM_400000_NS6detail17trampoline_kernelINS0_14default_configENS1_38merge_sort_block_merge_config_selectorIbiEEZZNS1_27merge_sort_block_merge_implIS3_N6thrust23THRUST_200600_302600_NS6detail15normal_iteratorINS8_10device_ptrIbEEEENSA_INSB_IiEEEEjNS1_19radix_merge_compareILb1ELb1EbNS0_19identity_decomposerEEEEE10hipError_tT0_T1_T2_jT3_P12ihipStream_tbPNSt15iterator_traitsISK_E10value_typeEPNSQ_ISL_E10value_typeEPSM_NS1_7vsmem_tEENKUlT_SK_SL_SM_E_clIPbSD_PiSF_EESJ_SZ_SK_SL_SM_EUlSZ_E1_NS1_11comp_targetILNS1_3genE9ELNS1_11target_archE1100ELNS1_3gpuE3ELNS1_3repE0EEENS1_36merge_oddeven_config_static_selectorELNS0_4arch9wavefront6targetE1EEEvSL_,comdat
.Lfunc_end2174:
	.size	_ZN7rocprim17ROCPRIM_400000_NS6detail17trampoline_kernelINS0_14default_configENS1_38merge_sort_block_merge_config_selectorIbiEEZZNS1_27merge_sort_block_merge_implIS3_N6thrust23THRUST_200600_302600_NS6detail15normal_iteratorINS8_10device_ptrIbEEEENSA_INSB_IiEEEEjNS1_19radix_merge_compareILb1ELb1EbNS0_19identity_decomposerEEEEE10hipError_tT0_T1_T2_jT3_P12ihipStream_tbPNSt15iterator_traitsISK_E10value_typeEPNSQ_ISL_E10value_typeEPSM_NS1_7vsmem_tEENKUlT_SK_SL_SM_E_clIPbSD_PiSF_EESJ_SZ_SK_SL_SM_EUlSZ_E1_NS1_11comp_targetILNS1_3genE9ELNS1_11target_archE1100ELNS1_3gpuE3ELNS1_3repE0EEENS1_36merge_oddeven_config_static_selectorELNS0_4arch9wavefront6targetE1EEEvSL_, .Lfunc_end2174-_ZN7rocprim17ROCPRIM_400000_NS6detail17trampoline_kernelINS0_14default_configENS1_38merge_sort_block_merge_config_selectorIbiEEZZNS1_27merge_sort_block_merge_implIS3_N6thrust23THRUST_200600_302600_NS6detail15normal_iteratorINS8_10device_ptrIbEEEENSA_INSB_IiEEEEjNS1_19radix_merge_compareILb1ELb1EbNS0_19identity_decomposerEEEEE10hipError_tT0_T1_T2_jT3_P12ihipStream_tbPNSt15iterator_traitsISK_E10value_typeEPNSQ_ISL_E10value_typeEPSM_NS1_7vsmem_tEENKUlT_SK_SL_SM_E_clIPbSD_PiSF_EESJ_SZ_SK_SL_SM_EUlSZ_E1_NS1_11comp_targetILNS1_3genE9ELNS1_11target_archE1100ELNS1_3gpuE3ELNS1_3repE0EEENS1_36merge_oddeven_config_static_selectorELNS0_4arch9wavefront6targetE1EEEvSL_
                                        ; -- End function
	.set _ZN7rocprim17ROCPRIM_400000_NS6detail17trampoline_kernelINS0_14default_configENS1_38merge_sort_block_merge_config_selectorIbiEEZZNS1_27merge_sort_block_merge_implIS3_N6thrust23THRUST_200600_302600_NS6detail15normal_iteratorINS8_10device_ptrIbEEEENSA_INSB_IiEEEEjNS1_19radix_merge_compareILb1ELb1EbNS0_19identity_decomposerEEEEE10hipError_tT0_T1_T2_jT3_P12ihipStream_tbPNSt15iterator_traitsISK_E10value_typeEPNSQ_ISL_E10value_typeEPSM_NS1_7vsmem_tEENKUlT_SK_SL_SM_E_clIPbSD_PiSF_EESJ_SZ_SK_SL_SM_EUlSZ_E1_NS1_11comp_targetILNS1_3genE9ELNS1_11target_archE1100ELNS1_3gpuE3ELNS1_3repE0EEENS1_36merge_oddeven_config_static_selectorELNS0_4arch9wavefront6targetE1EEEvSL_.num_vgpr, 0
	.set _ZN7rocprim17ROCPRIM_400000_NS6detail17trampoline_kernelINS0_14default_configENS1_38merge_sort_block_merge_config_selectorIbiEEZZNS1_27merge_sort_block_merge_implIS3_N6thrust23THRUST_200600_302600_NS6detail15normal_iteratorINS8_10device_ptrIbEEEENSA_INSB_IiEEEEjNS1_19radix_merge_compareILb1ELb1EbNS0_19identity_decomposerEEEEE10hipError_tT0_T1_T2_jT3_P12ihipStream_tbPNSt15iterator_traitsISK_E10value_typeEPNSQ_ISL_E10value_typeEPSM_NS1_7vsmem_tEENKUlT_SK_SL_SM_E_clIPbSD_PiSF_EESJ_SZ_SK_SL_SM_EUlSZ_E1_NS1_11comp_targetILNS1_3genE9ELNS1_11target_archE1100ELNS1_3gpuE3ELNS1_3repE0EEENS1_36merge_oddeven_config_static_selectorELNS0_4arch9wavefront6targetE1EEEvSL_.num_agpr, 0
	.set _ZN7rocprim17ROCPRIM_400000_NS6detail17trampoline_kernelINS0_14default_configENS1_38merge_sort_block_merge_config_selectorIbiEEZZNS1_27merge_sort_block_merge_implIS3_N6thrust23THRUST_200600_302600_NS6detail15normal_iteratorINS8_10device_ptrIbEEEENSA_INSB_IiEEEEjNS1_19radix_merge_compareILb1ELb1EbNS0_19identity_decomposerEEEEE10hipError_tT0_T1_T2_jT3_P12ihipStream_tbPNSt15iterator_traitsISK_E10value_typeEPNSQ_ISL_E10value_typeEPSM_NS1_7vsmem_tEENKUlT_SK_SL_SM_E_clIPbSD_PiSF_EESJ_SZ_SK_SL_SM_EUlSZ_E1_NS1_11comp_targetILNS1_3genE9ELNS1_11target_archE1100ELNS1_3gpuE3ELNS1_3repE0EEENS1_36merge_oddeven_config_static_selectorELNS0_4arch9wavefront6targetE1EEEvSL_.numbered_sgpr, 0
	.set _ZN7rocprim17ROCPRIM_400000_NS6detail17trampoline_kernelINS0_14default_configENS1_38merge_sort_block_merge_config_selectorIbiEEZZNS1_27merge_sort_block_merge_implIS3_N6thrust23THRUST_200600_302600_NS6detail15normal_iteratorINS8_10device_ptrIbEEEENSA_INSB_IiEEEEjNS1_19radix_merge_compareILb1ELb1EbNS0_19identity_decomposerEEEEE10hipError_tT0_T1_T2_jT3_P12ihipStream_tbPNSt15iterator_traitsISK_E10value_typeEPNSQ_ISL_E10value_typeEPSM_NS1_7vsmem_tEENKUlT_SK_SL_SM_E_clIPbSD_PiSF_EESJ_SZ_SK_SL_SM_EUlSZ_E1_NS1_11comp_targetILNS1_3genE9ELNS1_11target_archE1100ELNS1_3gpuE3ELNS1_3repE0EEENS1_36merge_oddeven_config_static_selectorELNS0_4arch9wavefront6targetE1EEEvSL_.num_named_barrier, 0
	.set _ZN7rocprim17ROCPRIM_400000_NS6detail17trampoline_kernelINS0_14default_configENS1_38merge_sort_block_merge_config_selectorIbiEEZZNS1_27merge_sort_block_merge_implIS3_N6thrust23THRUST_200600_302600_NS6detail15normal_iteratorINS8_10device_ptrIbEEEENSA_INSB_IiEEEEjNS1_19radix_merge_compareILb1ELb1EbNS0_19identity_decomposerEEEEE10hipError_tT0_T1_T2_jT3_P12ihipStream_tbPNSt15iterator_traitsISK_E10value_typeEPNSQ_ISL_E10value_typeEPSM_NS1_7vsmem_tEENKUlT_SK_SL_SM_E_clIPbSD_PiSF_EESJ_SZ_SK_SL_SM_EUlSZ_E1_NS1_11comp_targetILNS1_3genE9ELNS1_11target_archE1100ELNS1_3gpuE3ELNS1_3repE0EEENS1_36merge_oddeven_config_static_selectorELNS0_4arch9wavefront6targetE1EEEvSL_.private_seg_size, 0
	.set _ZN7rocprim17ROCPRIM_400000_NS6detail17trampoline_kernelINS0_14default_configENS1_38merge_sort_block_merge_config_selectorIbiEEZZNS1_27merge_sort_block_merge_implIS3_N6thrust23THRUST_200600_302600_NS6detail15normal_iteratorINS8_10device_ptrIbEEEENSA_INSB_IiEEEEjNS1_19radix_merge_compareILb1ELb1EbNS0_19identity_decomposerEEEEE10hipError_tT0_T1_T2_jT3_P12ihipStream_tbPNSt15iterator_traitsISK_E10value_typeEPNSQ_ISL_E10value_typeEPSM_NS1_7vsmem_tEENKUlT_SK_SL_SM_E_clIPbSD_PiSF_EESJ_SZ_SK_SL_SM_EUlSZ_E1_NS1_11comp_targetILNS1_3genE9ELNS1_11target_archE1100ELNS1_3gpuE3ELNS1_3repE0EEENS1_36merge_oddeven_config_static_selectorELNS0_4arch9wavefront6targetE1EEEvSL_.uses_vcc, 0
	.set _ZN7rocprim17ROCPRIM_400000_NS6detail17trampoline_kernelINS0_14default_configENS1_38merge_sort_block_merge_config_selectorIbiEEZZNS1_27merge_sort_block_merge_implIS3_N6thrust23THRUST_200600_302600_NS6detail15normal_iteratorINS8_10device_ptrIbEEEENSA_INSB_IiEEEEjNS1_19radix_merge_compareILb1ELb1EbNS0_19identity_decomposerEEEEE10hipError_tT0_T1_T2_jT3_P12ihipStream_tbPNSt15iterator_traitsISK_E10value_typeEPNSQ_ISL_E10value_typeEPSM_NS1_7vsmem_tEENKUlT_SK_SL_SM_E_clIPbSD_PiSF_EESJ_SZ_SK_SL_SM_EUlSZ_E1_NS1_11comp_targetILNS1_3genE9ELNS1_11target_archE1100ELNS1_3gpuE3ELNS1_3repE0EEENS1_36merge_oddeven_config_static_selectorELNS0_4arch9wavefront6targetE1EEEvSL_.uses_flat_scratch, 0
	.set _ZN7rocprim17ROCPRIM_400000_NS6detail17trampoline_kernelINS0_14default_configENS1_38merge_sort_block_merge_config_selectorIbiEEZZNS1_27merge_sort_block_merge_implIS3_N6thrust23THRUST_200600_302600_NS6detail15normal_iteratorINS8_10device_ptrIbEEEENSA_INSB_IiEEEEjNS1_19radix_merge_compareILb1ELb1EbNS0_19identity_decomposerEEEEE10hipError_tT0_T1_T2_jT3_P12ihipStream_tbPNSt15iterator_traitsISK_E10value_typeEPNSQ_ISL_E10value_typeEPSM_NS1_7vsmem_tEENKUlT_SK_SL_SM_E_clIPbSD_PiSF_EESJ_SZ_SK_SL_SM_EUlSZ_E1_NS1_11comp_targetILNS1_3genE9ELNS1_11target_archE1100ELNS1_3gpuE3ELNS1_3repE0EEENS1_36merge_oddeven_config_static_selectorELNS0_4arch9wavefront6targetE1EEEvSL_.has_dyn_sized_stack, 0
	.set _ZN7rocprim17ROCPRIM_400000_NS6detail17trampoline_kernelINS0_14default_configENS1_38merge_sort_block_merge_config_selectorIbiEEZZNS1_27merge_sort_block_merge_implIS3_N6thrust23THRUST_200600_302600_NS6detail15normal_iteratorINS8_10device_ptrIbEEEENSA_INSB_IiEEEEjNS1_19radix_merge_compareILb1ELb1EbNS0_19identity_decomposerEEEEE10hipError_tT0_T1_T2_jT3_P12ihipStream_tbPNSt15iterator_traitsISK_E10value_typeEPNSQ_ISL_E10value_typeEPSM_NS1_7vsmem_tEENKUlT_SK_SL_SM_E_clIPbSD_PiSF_EESJ_SZ_SK_SL_SM_EUlSZ_E1_NS1_11comp_targetILNS1_3genE9ELNS1_11target_archE1100ELNS1_3gpuE3ELNS1_3repE0EEENS1_36merge_oddeven_config_static_selectorELNS0_4arch9wavefront6targetE1EEEvSL_.has_recursion, 0
	.set _ZN7rocprim17ROCPRIM_400000_NS6detail17trampoline_kernelINS0_14default_configENS1_38merge_sort_block_merge_config_selectorIbiEEZZNS1_27merge_sort_block_merge_implIS3_N6thrust23THRUST_200600_302600_NS6detail15normal_iteratorINS8_10device_ptrIbEEEENSA_INSB_IiEEEEjNS1_19radix_merge_compareILb1ELb1EbNS0_19identity_decomposerEEEEE10hipError_tT0_T1_T2_jT3_P12ihipStream_tbPNSt15iterator_traitsISK_E10value_typeEPNSQ_ISL_E10value_typeEPSM_NS1_7vsmem_tEENKUlT_SK_SL_SM_E_clIPbSD_PiSF_EESJ_SZ_SK_SL_SM_EUlSZ_E1_NS1_11comp_targetILNS1_3genE9ELNS1_11target_archE1100ELNS1_3gpuE3ELNS1_3repE0EEENS1_36merge_oddeven_config_static_selectorELNS0_4arch9wavefront6targetE1EEEvSL_.has_indirect_call, 0
	.section	.AMDGPU.csdata,"",@progbits
; Kernel info:
; codeLenInByte = 0
; TotalNumSgprs: 6
; NumVgprs: 0
; NumAgprs: 0
; TotalNumVgprs: 0
; ScratchSize: 0
; MemoryBound: 0
; FloatMode: 240
; IeeeMode: 1
; LDSByteSize: 0 bytes/workgroup (compile time only)
; SGPRBlocks: 0
; VGPRBlocks: 0
; NumSGPRsForWavesPerEU: 6
; NumVGPRsForWavesPerEU: 1
; AccumOffset: 4
; Occupancy: 8
; WaveLimiterHint : 0
; COMPUTE_PGM_RSRC2:SCRATCH_EN: 0
; COMPUTE_PGM_RSRC2:USER_SGPR: 2
; COMPUTE_PGM_RSRC2:TRAP_HANDLER: 0
; COMPUTE_PGM_RSRC2:TGID_X_EN: 1
; COMPUTE_PGM_RSRC2:TGID_Y_EN: 0
; COMPUTE_PGM_RSRC2:TGID_Z_EN: 0
; COMPUTE_PGM_RSRC2:TIDIG_COMP_CNT: 0
; COMPUTE_PGM_RSRC3_GFX90A:ACCUM_OFFSET: 0
; COMPUTE_PGM_RSRC3_GFX90A:TG_SPLIT: 0
	.section	.text._ZN7rocprim17ROCPRIM_400000_NS6detail17trampoline_kernelINS0_14default_configENS1_38merge_sort_block_merge_config_selectorIbiEEZZNS1_27merge_sort_block_merge_implIS3_N6thrust23THRUST_200600_302600_NS6detail15normal_iteratorINS8_10device_ptrIbEEEENSA_INSB_IiEEEEjNS1_19radix_merge_compareILb1ELb1EbNS0_19identity_decomposerEEEEE10hipError_tT0_T1_T2_jT3_P12ihipStream_tbPNSt15iterator_traitsISK_E10value_typeEPNSQ_ISL_E10value_typeEPSM_NS1_7vsmem_tEENKUlT_SK_SL_SM_E_clIPbSD_PiSF_EESJ_SZ_SK_SL_SM_EUlSZ_E1_NS1_11comp_targetILNS1_3genE8ELNS1_11target_archE1030ELNS1_3gpuE2ELNS1_3repE0EEENS1_36merge_oddeven_config_static_selectorELNS0_4arch9wavefront6targetE1EEEvSL_,"axG",@progbits,_ZN7rocprim17ROCPRIM_400000_NS6detail17trampoline_kernelINS0_14default_configENS1_38merge_sort_block_merge_config_selectorIbiEEZZNS1_27merge_sort_block_merge_implIS3_N6thrust23THRUST_200600_302600_NS6detail15normal_iteratorINS8_10device_ptrIbEEEENSA_INSB_IiEEEEjNS1_19radix_merge_compareILb1ELb1EbNS0_19identity_decomposerEEEEE10hipError_tT0_T1_T2_jT3_P12ihipStream_tbPNSt15iterator_traitsISK_E10value_typeEPNSQ_ISL_E10value_typeEPSM_NS1_7vsmem_tEENKUlT_SK_SL_SM_E_clIPbSD_PiSF_EESJ_SZ_SK_SL_SM_EUlSZ_E1_NS1_11comp_targetILNS1_3genE8ELNS1_11target_archE1030ELNS1_3gpuE2ELNS1_3repE0EEENS1_36merge_oddeven_config_static_selectorELNS0_4arch9wavefront6targetE1EEEvSL_,comdat
	.protected	_ZN7rocprim17ROCPRIM_400000_NS6detail17trampoline_kernelINS0_14default_configENS1_38merge_sort_block_merge_config_selectorIbiEEZZNS1_27merge_sort_block_merge_implIS3_N6thrust23THRUST_200600_302600_NS6detail15normal_iteratorINS8_10device_ptrIbEEEENSA_INSB_IiEEEEjNS1_19radix_merge_compareILb1ELb1EbNS0_19identity_decomposerEEEEE10hipError_tT0_T1_T2_jT3_P12ihipStream_tbPNSt15iterator_traitsISK_E10value_typeEPNSQ_ISL_E10value_typeEPSM_NS1_7vsmem_tEENKUlT_SK_SL_SM_E_clIPbSD_PiSF_EESJ_SZ_SK_SL_SM_EUlSZ_E1_NS1_11comp_targetILNS1_3genE8ELNS1_11target_archE1030ELNS1_3gpuE2ELNS1_3repE0EEENS1_36merge_oddeven_config_static_selectorELNS0_4arch9wavefront6targetE1EEEvSL_ ; -- Begin function _ZN7rocprim17ROCPRIM_400000_NS6detail17trampoline_kernelINS0_14default_configENS1_38merge_sort_block_merge_config_selectorIbiEEZZNS1_27merge_sort_block_merge_implIS3_N6thrust23THRUST_200600_302600_NS6detail15normal_iteratorINS8_10device_ptrIbEEEENSA_INSB_IiEEEEjNS1_19radix_merge_compareILb1ELb1EbNS0_19identity_decomposerEEEEE10hipError_tT0_T1_T2_jT3_P12ihipStream_tbPNSt15iterator_traitsISK_E10value_typeEPNSQ_ISL_E10value_typeEPSM_NS1_7vsmem_tEENKUlT_SK_SL_SM_E_clIPbSD_PiSF_EESJ_SZ_SK_SL_SM_EUlSZ_E1_NS1_11comp_targetILNS1_3genE8ELNS1_11target_archE1030ELNS1_3gpuE2ELNS1_3repE0EEENS1_36merge_oddeven_config_static_selectorELNS0_4arch9wavefront6targetE1EEEvSL_
	.globl	_ZN7rocprim17ROCPRIM_400000_NS6detail17trampoline_kernelINS0_14default_configENS1_38merge_sort_block_merge_config_selectorIbiEEZZNS1_27merge_sort_block_merge_implIS3_N6thrust23THRUST_200600_302600_NS6detail15normal_iteratorINS8_10device_ptrIbEEEENSA_INSB_IiEEEEjNS1_19radix_merge_compareILb1ELb1EbNS0_19identity_decomposerEEEEE10hipError_tT0_T1_T2_jT3_P12ihipStream_tbPNSt15iterator_traitsISK_E10value_typeEPNSQ_ISL_E10value_typeEPSM_NS1_7vsmem_tEENKUlT_SK_SL_SM_E_clIPbSD_PiSF_EESJ_SZ_SK_SL_SM_EUlSZ_E1_NS1_11comp_targetILNS1_3genE8ELNS1_11target_archE1030ELNS1_3gpuE2ELNS1_3repE0EEENS1_36merge_oddeven_config_static_selectorELNS0_4arch9wavefront6targetE1EEEvSL_
	.p2align	8
	.type	_ZN7rocprim17ROCPRIM_400000_NS6detail17trampoline_kernelINS0_14default_configENS1_38merge_sort_block_merge_config_selectorIbiEEZZNS1_27merge_sort_block_merge_implIS3_N6thrust23THRUST_200600_302600_NS6detail15normal_iteratorINS8_10device_ptrIbEEEENSA_INSB_IiEEEEjNS1_19radix_merge_compareILb1ELb1EbNS0_19identity_decomposerEEEEE10hipError_tT0_T1_T2_jT3_P12ihipStream_tbPNSt15iterator_traitsISK_E10value_typeEPNSQ_ISL_E10value_typeEPSM_NS1_7vsmem_tEENKUlT_SK_SL_SM_E_clIPbSD_PiSF_EESJ_SZ_SK_SL_SM_EUlSZ_E1_NS1_11comp_targetILNS1_3genE8ELNS1_11target_archE1030ELNS1_3gpuE2ELNS1_3repE0EEENS1_36merge_oddeven_config_static_selectorELNS0_4arch9wavefront6targetE1EEEvSL_,@function
_ZN7rocprim17ROCPRIM_400000_NS6detail17trampoline_kernelINS0_14default_configENS1_38merge_sort_block_merge_config_selectorIbiEEZZNS1_27merge_sort_block_merge_implIS3_N6thrust23THRUST_200600_302600_NS6detail15normal_iteratorINS8_10device_ptrIbEEEENSA_INSB_IiEEEEjNS1_19radix_merge_compareILb1ELb1EbNS0_19identity_decomposerEEEEE10hipError_tT0_T1_T2_jT3_P12ihipStream_tbPNSt15iterator_traitsISK_E10value_typeEPNSQ_ISL_E10value_typeEPSM_NS1_7vsmem_tEENKUlT_SK_SL_SM_E_clIPbSD_PiSF_EESJ_SZ_SK_SL_SM_EUlSZ_E1_NS1_11comp_targetILNS1_3genE8ELNS1_11target_archE1030ELNS1_3gpuE2ELNS1_3repE0EEENS1_36merge_oddeven_config_static_selectorELNS0_4arch9wavefront6targetE1EEEvSL_: ; @_ZN7rocprim17ROCPRIM_400000_NS6detail17trampoline_kernelINS0_14default_configENS1_38merge_sort_block_merge_config_selectorIbiEEZZNS1_27merge_sort_block_merge_implIS3_N6thrust23THRUST_200600_302600_NS6detail15normal_iteratorINS8_10device_ptrIbEEEENSA_INSB_IiEEEEjNS1_19radix_merge_compareILb1ELb1EbNS0_19identity_decomposerEEEEE10hipError_tT0_T1_T2_jT3_P12ihipStream_tbPNSt15iterator_traitsISK_E10value_typeEPNSQ_ISL_E10value_typeEPSM_NS1_7vsmem_tEENKUlT_SK_SL_SM_E_clIPbSD_PiSF_EESJ_SZ_SK_SL_SM_EUlSZ_E1_NS1_11comp_targetILNS1_3genE8ELNS1_11target_archE1030ELNS1_3gpuE2ELNS1_3repE0EEENS1_36merge_oddeven_config_static_selectorELNS0_4arch9wavefront6targetE1EEEvSL_
; %bb.0:
	.section	.rodata,"a",@progbits
	.p2align	6, 0x0
	.amdhsa_kernel _ZN7rocprim17ROCPRIM_400000_NS6detail17trampoline_kernelINS0_14default_configENS1_38merge_sort_block_merge_config_selectorIbiEEZZNS1_27merge_sort_block_merge_implIS3_N6thrust23THRUST_200600_302600_NS6detail15normal_iteratorINS8_10device_ptrIbEEEENSA_INSB_IiEEEEjNS1_19radix_merge_compareILb1ELb1EbNS0_19identity_decomposerEEEEE10hipError_tT0_T1_T2_jT3_P12ihipStream_tbPNSt15iterator_traitsISK_E10value_typeEPNSQ_ISL_E10value_typeEPSM_NS1_7vsmem_tEENKUlT_SK_SL_SM_E_clIPbSD_PiSF_EESJ_SZ_SK_SL_SM_EUlSZ_E1_NS1_11comp_targetILNS1_3genE8ELNS1_11target_archE1030ELNS1_3gpuE2ELNS1_3repE0EEENS1_36merge_oddeven_config_static_selectorELNS0_4arch9wavefront6targetE1EEEvSL_
		.amdhsa_group_segment_fixed_size 0
		.amdhsa_private_segment_fixed_size 0
		.amdhsa_kernarg_size 48
		.amdhsa_user_sgpr_count 2
		.amdhsa_user_sgpr_dispatch_ptr 0
		.amdhsa_user_sgpr_queue_ptr 0
		.amdhsa_user_sgpr_kernarg_segment_ptr 1
		.amdhsa_user_sgpr_dispatch_id 0
		.amdhsa_user_sgpr_kernarg_preload_length 0
		.amdhsa_user_sgpr_kernarg_preload_offset 0
		.amdhsa_user_sgpr_private_segment_size 0
		.amdhsa_uses_dynamic_stack 0
		.amdhsa_enable_private_segment 0
		.amdhsa_system_sgpr_workgroup_id_x 1
		.amdhsa_system_sgpr_workgroup_id_y 0
		.amdhsa_system_sgpr_workgroup_id_z 0
		.amdhsa_system_sgpr_workgroup_info 0
		.amdhsa_system_vgpr_workitem_id 0
		.amdhsa_next_free_vgpr 1
		.amdhsa_next_free_sgpr 0
		.amdhsa_accum_offset 4
		.amdhsa_reserve_vcc 0
		.amdhsa_float_round_mode_32 0
		.amdhsa_float_round_mode_16_64 0
		.amdhsa_float_denorm_mode_32 3
		.amdhsa_float_denorm_mode_16_64 3
		.amdhsa_dx10_clamp 1
		.amdhsa_ieee_mode 1
		.amdhsa_fp16_overflow 0
		.amdhsa_tg_split 0
		.amdhsa_exception_fp_ieee_invalid_op 0
		.amdhsa_exception_fp_denorm_src 0
		.amdhsa_exception_fp_ieee_div_zero 0
		.amdhsa_exception_fp_ieee_overflow 0
		.amdhsa_exception_fp_ieee_underflow 0
		.amdhsa_exception_fp_ieee_inexact 0
		.amdhsa_exception_int_div_zero 0
	.end_amdhsa_kernel
	.section	.text._ZN7rocprim17ROCPRIM_400000_NS6detail17trampoline_kernelINS0_14default_configENS1_38merge_sort_block_merge_config_selectorIbiEEZZNS1_27merge_sort_block_merge_implIS3_N6thrust23THRUST_200600_302600_NS6detail15normal_iteratorINS8_10device_ptrIbEEEENSA_INSB_IiEEEEjNS1_19radix_merge_compareILb1ELb1EbNS0_19identity_decomposerEEEEE10hipError_tT0_T1_T2_jT3_P12ihipStream_tbPNSt15iterator_traitsISK_E10value_typeEPNSQ_ISL_E10value_typeEPSM_NS1_7vsmem_tEENKUlT_SK_SL_SM_E_clIPbSD_PiSF_EESJ_SZ_SK_SL_SM_EUlSZ_E1_NS1_11comp_targetILNS1_3genE8ELNS1_11target_archE1030ELNS1_3gpuE2ELNS1_3repE0EEENS1_36merge_oddeven_config_static_selectorELNS0_4arch9wavefront6targetE1EEEvSL_,"axG",@progbits,_ZN7rocprim17ROCPRIM_400000_NS6detail17trampoline_kernelINS0_14default_configENS1_38merge_sort_block_merge_config_selectorIbiEEZZNS1_27merge_sort_block_merge_implIS3_N6thrust23THRUST_200600_302600_NS6detail15normal_iteratorINS8_10device_ptrIbEEEENSA_INSB_IiEEEEjNS1_19radix_merge_compareILb1ELb1EbNS0_19identity_decomposerEEEEE10hipError_tT0_T1_T2_jT3_P12ihipStream_tbPNSt15iterator_traitsISK_E10value_typeEPNSQ_ISL_E10value_typeEPSM_NS1_7vsmem_tEENKUlT_SK_SL_SM_E_clIPbSD_PiSF_EESJ_SZ_SK_SL_SM_EUlSZ_E1_NS1_11comp_targetILNS1_3genE8ELNS1_11target_archE1030ELNS1_3gpuE2ELNS1_3repE0EEENS1_36merge_oddeven_config_static_selectorELNS0_4arch9wavefront6targetE1EEEvSL_,comdat
.Lfunc_end2175:
	.size	_ZN7rocprim17ROCPRIM_400000_NS6detail17trampoline_kernelINS0_14default_configENS1_38merge_sort_block_merge_config_selectorIbiEEZZNS1_27merge_sort_block_merge_implIS3_N6thrust23THRUST_200600_302600_NS6detail15normal_iteratorINS8_10device_ptrIbEEEENSA_INSB_IiEEEEjNS1_19radix_merge_compareILb1ELb1EbNS0_19identity_decomposerEEEEE10hipError_tT0_T1_T2_jT3_P12ihipStream_tbPNSt15iterator_traitsISK_E10value_typeEPNSQ_ISL_E10value_typeEPSM_NS1_7vsmem_tEENKUlT_SK_SL_SM_E_clIPbSD_PiSF_EESJ_SZ_SK_SL_SM_EUlSZ_E1_NS1_11comp_targetILNS1_3genE8ELNS1_11target_archE1030ELNS1_3gpuE2ELNS1_3repE0EEENS1_36merge_oddeven_config_static_selectorELNS0_4arch9wavefront6targetE1EEEvSL_, .Lfunc_end2175-_ZN7rocprim17ROCPRIM_400000_NS6detail17trampoline_kernelINS0_14default_configENS1_38merge_sort_block_merge_config_selectorIbiEEZZNS1_27merge_sort_block_merge_implIS3_N6thrust23THRUST_200600_302600_NS6detail15normal_iteratorINS8_10device_ptrIbEEEENSA_INSB_IiEEEEjNS1_19radix_merge_compareILb1ELb1EbNS0_19identity_decomposerEEEEE10hipError_tT0_T1_T2_jT3_P12ihipStream_tbPNSt15iterator_traitsISK_E10value_typeEPNSQ_ISL_E10value_typeEPSM_NS1_7vsmem_tEENKUlT_SK_SL_SM_E_clIPbSD_PiSF_EESJ_SZ_SK_SL_SM_EUlSZ_E1_NS1_11comp_targetILNS1_3genE8ELNS1_11target_archE1030ELNS1_3gpuE2ELNS1_3repE0EEENS1_36merge_oddeven_config_static_selectorELNS0_4arch9wavefront6targetE1EEEvSL_
                                        ; -- End function
	.set _ZN7rocprim17ROCPRIM_400000_NS6detail17trampoline_kernelINS0_14default_configENS1_38merge_sort_block_merge_config_selectorIbiEEZZNS1_27merge_sort_block_merge_implIS3_N6thrust23THRUST_200600_302600_NS6detail15normal_iteratorINS8_10device_ptrIbEEEENSA_INSB_IiEEEEjNS1_19radix_merge_compareILb1ELb1EbNS0_19identity_decomposerEEEEE10hipError_tT0_T1_T2_jT3_P12ihipStream_tbPNSt15iterator_traitsISK_E10value_typeEPNSQ_ISL_E10value_typeEPSM_NS1_7vsmem_tEENKUlT_SK_SL_SM_E_clIPbSD_PiSF_EESJ_SZ_SK_SL_SM_EUlSZ_E1_NS1_11comp_targetILNS1_3genE8ELNS1_11target_archE1030ELNS1_3gpuE2ELNS1_3repE0EEENS1_36merge_oddeven_config_static_selectorELNS0_4arch9wavefront6targetE1EEEvSL_.num_vgpr, 0
	.set _ZN7rocprim17ROCPRIM_400000_NS6detail17trampoline_kernelINS0_14default_configENS1_38merge_sort_block_merge_config_selectorIbiEEZZNS1_27merge_sort_block_merge_implIS3_N6thrust23THRUST_200600_302600_NS6detail15normal_iteratorINS8_10device_ptrIbEEEENSA_INSB_IiEEEEjNS1_19radix_merge_compareILb1ELb1EbNS0_19identity_decomposerEEEEE10hipError_tT0_T1_T2_jT3_P12ihipStream_tbPNSt15iterator_traitsISK_E10value_typeEPNSQ_ISL_E10value_typeEPSM_NS1_7vsmem_tEENKUlT_SK_SL_SM_E_clIPbSD_PiSF_EESJ_SZ_SK_SL_SM_EUlSZ_E1_NS1_11comp_targetILNS1_3genE8ELNS1_11target_archE1030ELNS1_3gpuE2ELNS1_3repE0EEENS1_36merge_oddeven_config_static_selectorELNS0_4arch9wavefront6targetE1EEEvSL_.num_agpr, 0
	.set _ZN7rocprim17ROCPRIM_400000_NS6detail17trampoline_kernelINS0_14default_configENS1_38merge_sort_block_merge_config_selectorIbiEEZZNS1_27merge_sort_block_merge_implIS3_N6thrust23THRUST_200600_302600_NS6detail15normal_iteratorINS8_10device_ptrIbEEEENSA_INSB_IiEEEEjNS1_19radix_merge_compareILb1ELb1EbNS0_19identity_decomposerEEEEE10hipError_tT0_T1_T2_jT3_P12ihipStream_tbPNSt15iterator_traitsISK_E10value_typeEPNSQ_ISL_E10value_typeEPSM_NS1_7vsmem_tEENKUlT_SK_SL_SM_E_clIPbSD_PiSF_EESJ_SZ_SK_SL_SM_EUlSZ_E1_NS1_11comp_targetILNS1_3genE8ELNS1_11target_archE1030ELNS1_3gpuE2ELNS1_3repE0EEENS1_36merge_oddeven_config_static_selectorELNS0_4arch9wavefront6targetE1EEEvSL_.numbered_sgpr, 0
	.set _ZN7rocprim17ROCPRIM_400000_NS6detail17trampoline_kernelINS0_14default_configENS1_38merge_sort_block_merge_config_selectorIbiEEZZNS1_27merge_sort_block_merge_implIS3_N6thrust23THRUST_200600_302600_NS6detail15normal_iteratorINS8_10device_ptrIbEEEENSA_INSB_IiEEEEjNS1_19radix_merge_compareILb1ELb1EbNS0_19identity_decomposerEEEEE10hipError_tT0_T1_T2_jT3_P12ihipStream_tbPNSt15iterator_traitsISK_E10value_typeEPNSQ_ISL_E10value_typeEPSM_NS1_7vsmem_tEENKUlT_SK_SL_SM_E_clIPbSD_PiSF_EESJ_SZ_SK_SL_SM_EUlSZ_E1_NS1_11comp_targetILNS1_3genE8ELNS1_11target_archE1030ELNS1_3gpuE2ELNS1_3repE0EEENS1_36merge_oddeven_config_static_selectorELNS0_4arch9wavefront6targetE1EEEvSL_.num_named_barrier, 0
	.set _ZN7rocprim17ROCPRIM_400000_NS6detail17trampoline_kernelINS0_14default_configENS1_38merge_sort_block_merge_config_selectorIbiEEZZNS1_27merge_sort_block_merge_implIS3_N6thrust23THRUST_200600_302600_NS6detail15normal_iteratorINS8_10device_ptrIbEEEENSA_INSB_IiEEEEjNS1_19radix_merge_compareILb1ELb1EbNS0_19identity_decomposerEEEEE10hipError_tT0_T1_T2_jT3_P12ihipStream_tbPNSt15iterator_traitsISK_E10value_typeEPNSQ_ISL_E10value_typeEPSM_NS1_7vsmem_tEENKUlT_SK_SL_SM_E_clIPbSD_PiSF_EESJ_SZ_SK_SL_SM_EUlSZ_E1_NS1_11comp_targetILNS1_3genE8ELNS1_11target_archE1030ELNS1_3gpuE2ELNS1_3repE0EEENS1_36merge_oddeven_config_static_selectorELNS0_4arch9wavefront6targetE1EEEvSL_.private_seg_size, 0
	.set _ZN7rocprim17ROCPRIM_400000_NS6detail17trampoline_kernelINS0_14default_configENS1_38merge_sort_block_merge_config_selectorIbiEEZZNS1_27merge_sort_block_merge_implIS3_N6thrust23THRUST_200600_302600_NS6detail15normal_iteratorINS8_10device_ptrIbEEEENSA_INSB_IiEEEEjNS1_19radix_merge_compareILb1ELb1EbNS0_19identity_decomposerEEEEE10hipError_tT0_T1_T2_jT3_P12ihipStream_tbPNSt15iterator_traitsISK_E10value_typeEPNSQ_ISL_E10value_typeEPSM_NS1_7vsmem_tEENKUlT_SK_SL_SM_E_clIPbSD_PiSF_EESJ_SZ_SK_SL_SM_EUlSZ_E1_NS1_11comp_targetILNS1_3genE8ELNS1_11target_archE1030ELNS1_3gpuE2ELNS1_3repE0EEENS1_36merge_oddeven_config_static_selectorELNS0_4arch9wavefront6targetE1EEEvSL_.uses_vcc, 0
	.set _ZN7rocprim17ROCPRIM_400000_NS6detail17trampoline_kernelINS0_14default_configENS1_38merge_sort_block_merge_config_selectorIbiEEZZNS1_27merge_sort_block_merge_implIS3_N6thrust23THRUST_200600_302600_NS6detail15normal_iteratorINS8_10device_ptrIbEEEENSA_INSB_IiEEEEjNS1_19radix_merge_compareILb1ELb1EbNS0_19identity_decomposerEEEEE10hipError_tT0_T1_T2_jT3_P12ihipStream_tbPNSt15iterator_traitsISK_E10value_typeEPNSQ_ISL_E10value_typeEPSM_NS1_7vsmem_tEENKUlT_SK_SL_SM_E_clIPbSD_PiSF_EESJ_SZ_SK_SL_SM_EUlSZ_E1_NS1_11comp_targetILNS1_3genE8ELNS1_11target_archE1030ELNS1_3gpuE2ELNS1_3repE0EEENS1_36merge_oddeven_config_static_selectorELNS0_4arch9wavefront6targetE1EEEvSL_.uses_flat_scratch, 0
	.set _ZN7rocprim17ROCPRIM_400000_NS6detail17trampoline_kernelINS0_14default_configENS1_38merge_sort_block_merge_config_selectorIbiEEZZNS1_27merge_sort_block_merge_implIS3_N6thrust23THRUST_200600_302600_NS6detail15normal_iteratorINS8_10device_ptrIbEEEENSA_INSB_IiEEEEjNS1_19radix_merge_compareILb1ELb1EbNS0_19identity_decomposerEEEEE10hipError_tT0_T1_T2_jT3_P12ihipStream_tbPNSt15iterator_traitsISK_E10value_typeEPNSQ_ISL_E10value_typeEPSM_NS1_7vsmem_tEENKUlT_SK_SL_SM_E_clIPbSD_PiSF_EESJ_SZ_SK_SL_SM_EUlSZ_E1_NS1_11comp_targetILNS1_3genE8ELNS1_11target_archE1030ELNS1_3gpuE2ELNS1_3repE0EEENS1_36merge_oddeven_config_static_selectorELNS0_4arch9wavefront6targetE1EEEvSL_.has_dyn_sized_stack, 0
	.set _ZN7rocprim17ROCPRIM_400000_NS6detail17trampoline_kernelINS0_14default_configENS1_38merge_sort_block_merge_config_selectorIbiEEZZNS1_27merge_sort_block_merge_implIS3_N6thrust23THRUST_200600_302600_NS6detail15normal_iteratorINS8_10device_ptrIbEEEENSA_INSB_IiEEEEjNS1_19radix_merge_compareILb1ELb1EbNS0_19identity_decomposerEEEEE10hipError_tT0_T1_T2_jT3_P12ihipStream_tbPNSt15iterator_traitsISK_E10value_typeEPNSQ_ISL_E10value_typeEPSM_NS1_7vsmem_tEENKUlT_SK_SL_SM_E_clIPbSD_PiSF_EESJ_SZ_SK_SL_SM_EUlSZ_E1_NS1_11comp_targetILNS1_3genE8ELNS1_11target_archE1030ELNS1_3gpuE2ELNS1_3repE0EEENS1_36merge_oddeven_config_static_selectorELNS0_4arch9wavefront6targetE1EEEvSL_.has_recursion, 0
	.set _ZN7rocprim17ROCPRIM_400000_NS6detail17trampoline_kernelINS0_14default_configENS1_38merge_sort_block_merge_config_selectorIbiEEZZNS1_27merge_sort_block_merge_implIS3_N6thrust23THRUST_200600_302600_NS6detail15normal_iteratorINS8_10device_ptrIbEEEENSA_INSB_IiEEEEjNS1_19radix_merge_compareILb1ELb1EbNS0_19identity_decomposerEEEEE10hipError_tT0_T1_T2_jT3_P12ihipStream_tbPNSt15iterator_traitsISK_E10value_typeEPNSQ_ISL_E10value_typeEPSM_NS1_7vsmem_tEENKUlT_SK_SL_SM_E_clIPbSD_PiSF_EESJ_SZ_SK_SL_SM_EUlSZ_E1_NS1_11comp_targetILNS1_3genE8ELNS1_11target_archE1030ELNS1_3gpuE2ELNS1_3repE0EEENS1_36merge_oddeven_config_static_selectorELNS0_4arch9wavefront6targetE1EEEvSL_.has_indirect_call, 0
	.section	.AMDGPU.csdata,"",@progbits
; Kernel info:
; codeLenInByte = 0
; TotalNumSgprs: 6
; NumVgprs: 0
; NumAgprs: 0
; TotalNumVgprs: 0
; ScratchSize: 0
; MemoryBound: 0
; FloatMode: 240
; IeeeMode: 1
; LDSByteSize: 0 bytes/workgroup (compile time only)
; SGPRBlocks: 0
; VGPRBlocks: 0
; NumSGPRsForWavesPerEU: 6
; NumVGPRsForWavesPerEU: 1
; AccumOffset: 4
; Occupancy: 8
; WaveLimiterHint : 0
; COMPUTE_PGM_RSRC2:SCRATCH_EN: 0
; COMPUTE_PGM_RSRC2:USER_SGPR: 2
; COMPUTE_PGM_RSRC2:TRAP_HANDLER: 0
; COMPUTE_PGM_RSRC2:TGID_X_EN: 1
; COMPUTE_PGM_RSRC2:TGID_Y_EN: 0
; COMPUTE_PGM_RSRC2:TGID_Z_EN: 0
; COMPUTE_PGM_RSRC2:TIDIG_COMP_CNT: 0
; COMPUTE_PGM_RSRC3_GFX90A:ACCUM_OFFSET: 0
; COMPUTE_PGM_RSRC3_GFX90A:TG_SPLIT: 0
	.section	.text._ZN7rocprim17ROCPRIM_400000_NS6detail17trampoline_kernelINS0_14default_configENS1_38merge_sort_block_merge_config_selectorIbiEEZZNS1_27merge_sort_block_merge_implIS3_N6thrust23THRUST_200600_302600_NS6detail15normal_iteratorINS8_10device_ptrIbEEEENSA_INSB_IiEEEEjNS1_19radix_merge_compareILb1ELb1EbNS0_19identity_decomposerEEEEE10hipError_tT0_T1_T2_jT3_P12ihipStream_tbPNSt15iterator_traitsISK_E10value_typeEPNSQ_ISL_E10value_typeEPSM_NS1_7vsmem_tEENKUlT_SK_SL_SM_E_clISD_PbSF_PiEESJ_SZ_SK_SL_SM_EUlSZ_E_NS1_11comp_targetILNS1_3genE0ELNS1_11target_archE4294967295ELNS1_3gpuE0ELNS1_3repE0EEENS1_48merge_mergepath_partition_config_static_selectorELNS0_4arch9wavefront6targetE1EEEvSL_,"axG",@progbits,_ZN7rocprim17ROCPRIM_400000_NS6detail17trampoline_kernelINS0_14default_configENS1_38merge_sort_block_merge_config_selectorIbiEEZZNS1_27merge_sort_block_merge_implIS3_N6thrust23THRUST_200600_302600_NS6detail15normal_iteratorINS8_10device_ptrIbEEEENSA_INSB_IiEEEEjNS1_19radix_merge_compareILb1ELb1EbNS0_19identity_decomposerEEEEE10hipError_tT0_T1_T2_jT3_P12ihipStream_tbPNSt15iterator_traitsISK_E10value_typeEPNSQ_ISL_E10value_typeEPSM_NS1_7vsmem_tEENKUlT_SK_SL_SM_E_clISD_PbSF_PiEESJ_SZ_SK_SL_SM_EUlSZ_E_NS1_11comp_targetILNS1_3genE0ELNS1_11target_archE4294967295ELNS1_3gpuE0ELNS1_3repE0EEENS1_48merge_mergepath_partition_config_static_selectorELNS0_4arch9wavefront6targetE1EEEvSL_,comdat
	.protected	_ZN7rocprim17ROCPRIM_400000_NS6detail17trampoline_kernelINS0_14default_configENS1_38merge_sort_block_merge_config_selectorIbiEEZZNS1_27merge_sort_block_merge_implIS3_N6thrust23THRUST_200600_302600_NS6detail15normal_iteratorINS8_10device_ptrIbEEEENSA_INSB_IiEEEEjNS1_19radix_merge_compareILb1ELb1EbNS0_19identity_decomposerEEEEE10hipError_tT0_T1_T2_jT3_P12ihipStream_tbPNSt15iterator_traitsISK_E10value_typeEPNSQ_ISL_E10value_typeEPSM_NS1_7vsmem_tEENKUlT_SK_SL_SM_E_clISD_PbSF_PiEESJ_SZ_SK_SL_SM_EUlSZ_E_NS1_11comp_targetILNS1_3genE0ELNS1_11target_archE4294967295ELNS1_3gpuE0ELNS1_3repE0EEENS1_48merge_mergepath_partition_config_static_selectorELNS0_4arch9wavefront6targetE1EEEvSL_ ; -- Begin function _ZN7rocprim17ROCPRIM_400000_NS6detail17trampoline_kernelINS0_14default_configENS1_38merge_sort_block_merge_config_selectorIbiEEZZNS1_27merge_sort_block_merge_implIS3_N6thrust23THRUST_200600_302600_NS6detail15normal_iteratorINS8_10device_ptrIbEEEENSA_INSB_IiEEEEjNS1_19radix_merge_compareILb1ELb1EbNS0_19identity_decomposerEEEEE10hipError_tT0_T1_T2_jT3_P12ihipStream_tbPNSt15iterator_traitsISK_E10value_typeEPNSQ_ISL_E10value_typeEPSM_NS1_7vsmem_tEENKUlT_SK_SL_SM_E_clISD_PbSF_PiEESJ_SZ_SK_SL_SM_EUlSZ_E_NS1_11comp_targetILNS1_3genE0ELNS1_11target_archE4294967295ELNS1_3gpuE0ELNS1_3repE0EEENS1_48merge_mergepath_partition_config_static_selectorELNS0_4arch9wavefront6targetE1EEEvSL_
	.globl	_ZN7rocprim17ROCPRIM_400000_NS6detail17trampoline_kernelINS0_14default_configENS1_38merge_sort_block_merge_config_selectorIbiEEZZNS1_27merge_sort_block_merge_implIS3_N6thrust23THRUST_200600_302600_NS6detail15normal_iteratorINS8_10device_ptrIbEEEENSA_INSB_IiEEEEjNS1_19radix_merge_compareILb1ELb1EbNS0_19identity_decomposerEEEEE10hipError_tT0_T1_T2_jT3_P12ihipStream_tbPNSt15iterator_traitsISK_E10value_typeEPNSQ_ISL_E10value_typeEPSM_NS1_7vsmem_tEENKUlT_SK_SL_SM_E_clISD_PbSF_PiEESJ_SZ_SK_SL_SM_EUlSZ_E_NS1_11comp_targetILNS1_3genE0ELNS1_11target_archE4294967295ELNS1_3gpuE0ELNS1_3repE0EEENS1_48merge_mergepath_partition_config_static_selectorELNS0_4arch9wavefront6targetE1EEEvSL_
	.p2align	8
	.type	_ZN7rocprim17ROCPRIM_400000_NS6detail17trampoline_kernelINS0_14default_configENS1_38merge_sort_block_merge_config_selectorIbiEEZZNS1_27merge_sort_block_merge_implIS3_N6thrust23THRUST_200600_302600_NS6detail15normal_iteratorINS8_10device_ptrIbEEEENSA_INSB_IiEEEEjNS1_19radix_merge_compareILb1ELb1EbNS0_19identity_decomposerEEEEE10hipError_tT0_T1_T2_jT3_P12ihipStream_tbPNSt15iterator_traitsISK_E10value_typeEPNSQ_ISL_E10value_typeEPSM_NS1_7vsmem_tEENKUlT_SK_SL_SM_E_clISD_PbSF_PiEESJ_SZ_SK_SL_SM_EUlSZ_E_NS1_11comp_targetILNS1_3genE0ELNS1_11target_archE4294967295ELNS1_3gpuE0ELNS1_3repE0EEENS1_48merge_mergepath_partition_config_static_selectorELNS0_4arch9wavefront6targetE1EEEvSL_,@function
_ZN7rocprim17ROCPRIM_400000_NS6detail17trampoline_kernelINS0_14default_configENS1_38merge_sort_block_merge_config_selectorIbiEEZZNS1_27merge_sort_block_merge_implIS3_N6thrust23THRUST_200600_302600_NS6detail15normal_iteratorINS8_10device_ptrIbEEEENSA_INSB_IiEEEEjNS1_19radix_merge_compareILb1ELb1EbNS0_19identity_decomposerEEEEE10hipError_tT0_T1_T2_jT3_P12ihipStream_tbPNSt15iterator_traitsISK_E10value_typeEPNSQ_ISL_E10value_typeEPSM_NS1_7vsmem_tEENKUlT_SK_SL_SM_E_clISD_PbSF_PiEESJ_SZ_SK_SL_SM_EUlSZ_E_NS1_11comp_targetILNS1_3genE0ELNS1_11target_archE4294967295ELNS1_3gpuE0ELNS1_3repE0EEENS1_48merge_mergepath_partition_config_static_selectorELNS0_4arch9wavefront6targetE1EEEvSL_: ; @_ZN7rocprim17ROCPRIM_400000_NS6detail17trampoline_kernelINS0_14default_configENS1_38merge_sort_block_merge_config_selectorIbiEEZZNS1_27merge_sort_block_merge_implIS3_N6thrust23THRUST_200600_302600_NS6detail15normal_iteratorINS8_10device_ptrIbEEEENSA_INSB_IiEEEEjNS1_19radix_merge_compareILb1ELb1EbNS0_19identity_decomposerEEEEE10hipError_tT0_T1_T2_jT3_P12ihipStream_tbPNSt15iterator_traitsISK_E10value_typeEPNSQ_ISL_E10value_typeEPSM_NS1_7vsmem_tEENKUlT_SK_SL_SM_E_clISD_PbSF_PiEESJ_SZ_SK_SL_SM_EUlSZ_E_NS1_11comp_targetILNS1_3genE0ELNS1_11target_archE4294967295ELNS1_3gpuE0ELNS1_3repE0EEENS1_48merge_mergepath_partition_config_static_selectorELNS0_4arch9wavefront6targetE1EEEvSL_
; %bb.0:
	s_load_dword s5, s[2:3], 0x0
	v_and_b32_e32 v1, 0x3ff, v0
	v_lshl_or_b32 v2, s4, 7, v1
	s_waitcnt lgkmcnt(0)
	v_cmp_gt_u32_e32 vcc, s5, v2
	s_and_saveexec_b64 s[4:5], vcc
	s_cbranch_execz .LBB2176_6
; %bb.1:
	s_load_dwordx2 s[4:5], s[0:1], 0x4
	s_load_dwordx2 s[6:7], s[2:3], 0x4
	v_bfe_u32 v3, v0, 10, 10
	v_bfe_u32 v0, v0, 20, 10
	s_waitcnt lgkmcnt(0)
	s_lshr_b32 s0, s4, 16
	v_mul_u32_u24_e32 v3, s5, v3
	s_mul_i32 s0, s0, s5
	s_lshr_b32 s5, s6, 9
	s_and_b32 s5, s5, 0x7ffffe
	v_mul_u32_u24_e32 v1, s0, v1
	s_add_i32 s8, s5, -1
	s_sub_i32 s5, 0, s5
	v_add3_u32 v1, v1, v3, v0
	v_and_b32_e32 v0, s5, v2
	v_lshlrev_b32_e32 v4, 10, v0
	v_min_u32_e32 v0, s7, v4
	v_add_u32_e32 v4, s6, v4
	s_load_dwordx2 s[0:1], s[2:3], 0x20
	s_load_dword s4, s[2:3], 0x18
	v_min_u32_e32 v4, s7, v4
	v_add_u32_e32 v5, s6, v4
	v_and_b32_e32 v3, s8, v2
	v_min_u32_e32 v5, s7, v5
	v_sub_u32_e32 v6, v5, v0
	v_lshlrev_b32_e32 v3, 10, v3
	v_min_u32_e32 v10, v6, v3
	v_sub_u32_e32 v6, v4, v0
	v_sub_u32_e32 v3, v5, v4
	s_waitcnt lgkmcnt(0)
	s_and_b32 s4, s4, 1
	v_sub_u32_e64 v3, v10, v3 clamp
	v_min_u32_e32 v11, v10, v6
	v_mov_b32_e32 v5, s4
	v_cmp_lt_u32_e32 vcc, v3, v11
	ds_write_b8 v1, v5
	s_and_saveexec_b64 s[4:5], vcc
	s_cbranch_execz .LBB2176_5
; %bb.2:
	s_load_dwordx2 s[2:3], s[2:3], 0x10
	ds_read_u8 v12, v1
	v_mov_b32_e32 v5, 0
	v_mov_b32_e32 v1, v5
	s_waitcnt lgkmcnt(0)
	v_lshl_add_u64 v[6:7], s[2:3], 0, v[0:1]
	v_lshl_add_u64 v[8:9], s[2:3], 0, v[4:5]
	s_mov_b64 s[2:3], 0
.LBB2176_3:                             ; =>This Inner Loop Header: Depth=1
	v_add_u32_e32 v1, v11, v3
	v_lshrrev_b32_e32 v4, 1, v1
	v_mov_b32_e32 v15, v5
	v_xad_u32 v14, v4, -1, v10
	v_lshl_add_u64 v[16:17], v[6:7], 0, v[4:5]
	v_lshl_add_u64 v[14:15], v[8:9], 0, v[14:15]
	flat_load_ubyte v1, v[16:17]
	flat_load_ubyte v13, v[14:15]
	v_add_u32_e32 v14, 1, v4
	s_waitcnt vmcnt(0) lgkmcnt(0)
	v_bitop3_b16 v1, v1, 1, v12 bitop3:0x80
	v_bitop3_b16 v13, v13, 1, v12 bitop3:0x80
	v_cmp_gt_u16_e32 vcc, v13, v1
	s_nop 1
	v_cndmask_b32_e32 v11, v11, v4, vcc
	v_cndmask_b32_e32 v3, v14, v3, vcc
	v_cmp_ge_u32_e32 vcc, v3, v11
	s_or_b64 s[2:3], vcc, s[2:3]
	s_andn2_b64 exec, exec, s[2:3]
	s_cbranch_execnz .LBB2176_3
; %bb.4:
	s_or_b64 exec, exec, s[2:3]
.LBB2176_5:
	s_or_b64 exec, exec, s[4:5]
	v_add_u32_e32 v4, v3, v0
	v_mov_b32_e32 v3, 0
	v_lshl_add_u64 v[0:1], v[2:3], 2, s[0:1]
	global_store_dword v[0:1], v4, off
.LBB2176_6:
	s_endpgm
	.section	.rodata,"a",@progbits
	.p2align	6, 0x0
	.amdhsa_kernel _ZN7rocprim17ROCPRIM_400000_NS6detail17trampoline_kernelINS0_14default_configENS1_38merge_sort_block_merge_config_selectorIbiEEZZNS1_27merge_sort_block_merge_implIS3_N6thrust23THRUST_200600_302600_NS6detail15normal_iteratorINS8_10device_ptrIbEEEENSA_INSB_IiEEEEjNS1_19radix_merge_compareILb1ELb1EbNS0_19identity_decomposerEEEEE10hipError_tT0_T1_T2_jT3_P12ihipStream_tbPNSt15iterator_traitsISK_E10value_typeEPNSQ_ISL_E10value_typeEPSM_NS1_7vsmem_tEENKUlT_SK_SL_SM_E_clISD_PbSF_PiEESJ_SZ_SK_SL_SM_EUlSZ_E_NS1_11comp_targetILNS1_3genE0ELNS1_11target_archE4294967295ELNS1_3gpuE0ELNS1_3repE0EEENS1_48merge_mergepath_partition_config_static_selectorELNS0_4arch9wavefront6targetE1EEEvSL_
		.amdhsa_group_segment_fixed_size 128
		.amdhsa_private_segment_fixed_size 0
		.amdhsa_kernarg_size 40
		.amdhsa_user_sgpr_count 4
		.amdhsa_user_sgpr_dispatch_ptr 1
		.amdhsa_user_sgpr_queue_ptr 0
		.amdhsa_user_sgpr_kernarg_segment_ptr 1
		.amdhsa_user_sgpr_dispatch_id 0
		.amdhsa_user_sgpr_kernarg_preload_length 0
		.amdhsa_user_sgpr_kernarg_preload_offset 0
		.amdhsa_user_sgpr_private_segment_size 0
		.amdhsa_uses_dynamic_stack 0
		.amdhsa_enable_private_segment 0
		.amdhsa_system_sgpr_workgroup_id_x 1
		.amdhsa_system_sgpr_workgroup_id_y 0
		.amdhsa_system_sgpr_workgroup_id_z 0
		.amdhsa_system_sgpr_workgroup_info 0
		.amdhsa_system_vgpr_workitem_id 2
		.amdhsa_next_free_vgpr 18
		.amdhsa_next_free_sgpr 9
		.amdhsa_accum_offset 20
		.amdhsa_reserve_vcc 1
		.amdhsa_float_round_mode_32 0
		.amdhsa_float_round_mode_16_64 0
		.amdhsa_float_denorm_mode_32 3
		.amdhsa_float_denorm_mode_16_64 3
		.amdhsa_dx10_clamp 1
		.amdhsa_ieee_mode 1
		.amdhsa_fp16_overflow 0
		.amdhsa_tg_split 0
		.amdhsa_exception_fp_ieee_invalid_op 0
		.amdhsa_exception_fp_denorm_src 0
		.amdhsa_exception_fp_ieee_div_zero 0
		.amdhsa_exception_fp_ieee_overflow 0
		.amdhsa_exception_fp_ieee_underflow 0
		.amdhsa_exception_fp_ieee_inexact 0
		.amdhsa_exception_int_div_zero 0
	.end_amdhsa_kernel
	.section	.text._ZN7rocprim17ROCPRIM_400000_NS6detail17trampoline_kernelINS0_14default_configENS1_38merge_sort_block_merge_config_selectorIbiEEZZNS1_27merge_sort_block_merge_implIS3_N6thrust23THRUST_200600_302600_NS6detail15normal_iteratorINS8_10device_ptrIbEEEENSA_INSB_IiEEEEjNS1_19radix_merge_compareILb1ELb1EbNS0_19identity_decomposerEEEEE10hipError_tT0_T1_T2_jT3_P12ihipStream_tbPNSt15iterator_traitsISK_E10value_typeEPNSQ_ISL_E10value_typeEPSM_NS1_7vsmem_tEENKUlT_SK_SL_SM_E_clISD_PbSF_PiEESJ_SZ_SK_SL_SM_EUlSZ_E_NS1_11comp_targetILNS1_3genE0ELNS1_11target_archE4294967295ELNS1_3gpuE0ELNS1_3repE0EEENS1_48merge_mergepath_partition_config_static_selectorELNS0_4arch9wavefront6targetE1EEEvSL_,"axG",@progbits,_ZN7rocprim17ROCPRIM_400000_NS6detail17trampoline_kernelINS0_14default_configENS1_38merge_sort_block_merge_config_selectorIbiEEZZNS1_27merge_sort_block_merge_implIS3_N6thrust23THRUST_200600_302600_NS6detail15normal_iteratorINS8_10device_ptrIbEEEENSA_INSB_IiEEEEjNS1_19radix_merge_compareILb1ELb1EbNS0_19identity_decomposerEEEEE10hipError_tT0_T1_T2_jT3_P12ihipStream_tbPNSt15iterator_traitsISK_E10value_typeEPNSQ_ISL_E10value_typeEPSM_NS1_7vsmem_tEENKUlT_SK_SL_SM_E_clISD_PbSF_PiEESJ_SZ_SK_SL_SM_EUlSZ_E_NS1_11comp_targetILNS1_3genE0ELNS1_11target_archE4294967295ELNS1_3gpuE0ELNS1_3repE0EEENS1_48merge_mergepath_partition_config_static_selectorELNS0_4arch9wavefront6targetE1EEEvSL_,comdat
.Lfunc_end2176:
	.size	_ZN7rocprim17ROCPRIM_400000_NS6detail17trampoline_kernelINS0_14default_configENS1_38merge_sort_block_merge_config_selectorIbiEEZZNS1_27merge_sort_block_merge_implIS3_N6thrust23THRUST_200600_302600_NS6detail15normal_iteratorINS8_10device_ptrIbEEEENSA_INSB_IiEEEEjNS1_19radix_merge_compareILb1ELb1EbNS0_19identity_decomposerEEEEE10hipError_tT0_T1_T2_jT3_P12ihipStream_tbPNSt15iterator_traitsISK_E10value_typeEPNSQ_ISL_E10value_typeEPSM_NS1_7vsmem_tEENKUlT_SK_SL_SM_E_clISD_PbSF_PiEESJ_SZ_SK_SL_SM_EUlSZ_E_NS1_11comp_targetILNS1_3genE0ELNS1_11target_archE4294967295ELNS1_3gpuE0ELNS1_3repE0EEENS1_48merge_mergepath_partition_config_static_selectorELNS0_4arch9wavefront6targetE1EEEvSL_, .Lfunc_end2176-_ZN7rocprim17ROCPRIM_400000_NS6detail17trampoline_kernelINS0_14default_configENS1_38merge_sort_block_merge_config_selectorIbiEEZZNS1_27merge_sort_block_merge_implIS3_N6thrust23THRUST_200600_302600_NS6detail15normal_iteratorINS8_10device_ptrIbEEEENSA_INSB_IiEEEEjNS1_19radix_merge_compareILb1ELb1EbNS0_19identity_decomposerEEEEE10hipError_tT0_T1_T2_jT3_P12ihipStream_tbPNSt15iterator_traitsISK_E10value_typeEPNSQ_ISL_E10value_typeEPSM_NS1_7vsmem_tEENKUlT_SK_SL_SM_E_clISD_PbSF_PiEESJ_SZ_SK_SL_SM_EUlSZ_E_NS1_11comp_targetILNS1_3genE0ELNS1_11target_archE4294967295ELNS1_3gpuE0ELNS1_3repE0EEENS1_48merge_mergepath_partition_config_static_selectorELNS0_4arch9wavefront6targetE1EEEvSL_
                                        ; -- End function
	.set _ZN7rocprim17ROCPRIM_400000_NS6detail17trampoline_kernelINS0_14default_configENS1_38merge_sort_block_merge_config_selectorIbiEEZZNS1_27merge_sort_block_merge_implIS3_N6thrust23THRUST_200600_302600_NS6detail15normal_iteratorINS8_10device_ptrIbEEEENSA_INSB_IiEEEEjNS1_19radix_merge_compareILb1ELb1EbNS0_19identity_decomposerEEEEE10hipError_tT0_T1_T2_jT3_P12ihipStream_tbPNSt15iterator_traitsISK_E10value_typeEPNSQ_ISL_E10value_typeEPSM_NS1_7vsmem_tEENKUlT_SK_SL_SM_E_clISD_PbSF_PiEESJ_SZ_SK_SL_SM_EUlSZ_E_NS1_11comp_targetILNS1_3genE0ELNS1_11target_archE4294967295ELNS1_3gpuE0ELNS1_3repE0EEENS1_48merge_mergepath_partition_config_static_selectorELNS0_4arch9wavefront6targetE1EEEvSL_.num_vgpr, 18
	.set _ZN7rocprim17ROCPRIM_400000_NS6detail17trampoline_kernelINS0_14default_configENS1_38merge_sort_block_merge_config_selectorIbiEEZZNS1_27merge_sort_block_merge_implIS3_N6thrust23THRUST_200600_302600_NS6detail15normal_iteratorINS8_10device_ptrIbEEEENSA_INSB_IiEEEEjNS1_19radix_merge_compareILb1ELb1EbNS0_19identity_decomposerEEEEE10hipError_tT0_T1_T2_jT3_P12ihipStream_tbPNSt15iterator_traitsISK_E10value_typeEPNSQ_ISL_E10value_typeEPSM_NS1_7vsmem_tEENKUlT_SK_SL_SM_E_clISD_PbSF_PiEESJ_SZ_SK_SL_SM_EUlSZ_E_NS1_11comp_targetILNS1_3genE0ELNS1_11target_archE4294967295ELNS1_3gpuE0ELNS1_3repE0EEENS1_48merge_mergepath_partition_config_static_selectorELNS0_4arch9wavefront6targetE1EEEvSL_.num_agpr, 0
	.set _ZN7rocprim17ROCPRIM_400000_NS6detail17trampoline_kernelINS0_14default_configENS1_38merge_sort_block_merge_config_selectorIbiEEZZNS1_27merge_sort_block_merge_implIS3_N6thrust23THRUST_200600_302600_NS6detail15normal_iteratorINS8_10device_ptrIbEEEENSA_INSB_IiEEEEjNS1_19radix_merge_compareILb1ELb1EbNS0_19identity_decomposerEEEEE10hipError_tT0_T1_T2_jT3_P12ihipStream_tbPNSt15iterator_traitsISK_E10value_typeEPNSQ_ISL_E10value_typeEPSM_NS1_7vsmem_tEENKUlT_SK_SL_SM_E_clISD_PbSF_PiEESJ_SZ_SK_SL_SM_EUlSZ_E_NS1_11comp_targetILNS1_3genE0ELNS1_11target_archE4294967295ELNS1_3gpuE0ELNS1_3repE0EEENS1_48merge_mergepath_partition_config_static_selectorELNS0_4arch9wavefront6targetE1EEEvSL_.numbered_sgpr, 9
	.set _ZN7rocprim17ROCPRIM_400000_NS6detail17trampoline_kernelINS0_14default_configENS1_38merge_sort_block_merge_config_selectorIbiEEZZNS1_27merge_sort_block_merge_implIS3_N6thrust23THRUST_200600_302600_NS6detail15normal_iteratorINS8_10device_ptrIbEEEENSA_INSB_IiEEEEjNS1_19radix_merge_compareILb1ELb1EbNS0_19identity_decomposerEEEEE10hipError_tT0_T1_T2_jT3_P12ihipStream_tbPNSt15iterator_traitsISK_E10value_typeEPNSQ_ISL_E10value_typeEPSM_NS1_7vsmem_tEENKUlT_SK_SL_SM_E_clISD_PbSF_PiEESJ_SZ_SK_SL_SM_EUlSZ_E_NS1_11comp_targetILNS1_3genE0ELNS1_11target_archE4294967295ELNS1_3gpuE0ELNS1_3repE0EEENS1_48merge_mergepath_partition_config_static_selectorELNS0_4arch9wavefront6targetE1EEEvSL_.num_named_barrier, 0
	.set _ZN7rocprim17ROCPRIM_400000_NS6detail17trampoline_kernelINS0_14default_configENS1_38merge_sort_block_merge_config_selectorIbiEEZZNS1_27merge_sort_block_merge_implIS3_N6thrust23THRUST_200600_302600_NS6detail15normal_iteratorINS8_10device_ptrIbEEEENSA_INSB_IiEEEEjNS1_19radix_merge_compareILb1ELb1EbNS0_19identity_decomposerEEEEE10hipError_tT0_T1_T2_jT3_P12ihipStream_tbPNSt15iterator_traitsISK_E10value_typeEPNSQ_ISL_E10value_typeEPSM_NS1_7vsmem_tEENKUlT_SK_SL_SM_E_clISD_PbSF_PiEESJ_SZ_SK_SL_SM_EUlSZ_E_NS1_11comp_targetILNS1_3genE0ELNS1_11target_archE4294967295ELNS1_3gpuE0ELNS1_3repE0EEENS1_48merge_mergepath_partition_config_static_selectorELNS0_4arch9wavefront6targetE1EEEvSL_.private_seg_size, 0
	.set _ZN7rocprim17ROCPRIM_400000_NS6detail17trampoline_kernelINS0_14default_configENS1_38merge_sort_block_merge_config_selectorIbiEEZZNS1_27merge_sort_block_merge_implIS3_N6thrust23THRUST_200600_302600_NS6detail15normal_iteratorINS8_10device_ptrIbEEEENSA_INSB_IiEEEEjNS1_19radix_merge_compareILb1ELb1EbNS0_19identity_decomposerEEEEE10hipError_tT0_T1_T2_jT3_P12ihipStream_tbPNSt15iterator_traitsISK_E10value_typeEPNSQ_ISL_E10value_typeEPSM_NS1_7vsmem_tEENKUlT_SK_SL_SM_E_clISD_PbSF_PiEESJ_SZ_SK_SL_SM_EUlSZ_E_NS1_11comp_targetILNS1_3genE0ELNS1_11target_archE4294967295ELNS1_3gpuE0ELNS1_3repE0EEENS1_48merge_mergepath_partition_config_static_selectorELNS0_4arch9wavefront6targetE1EEEvSL_.uses_vcc, 1
	.set _ZN7rocprim17ROCPRIM_400000_NS6detail17trampoline_kernelINS0_14default_configENS1_38merge_sort_block_merge_config_selectorIbiEEZZNS1_27merge_sort_block_merge_implIS3_N6thrust23THRUST_200600_302600_NS6detail15normal_iteratorINS8_10device_ptrIbEEEENSA_INSB_IiEEEEjNS1_19radix_merge_compareILb1ELb1EbNS0_19identity_decomposerEEEEE10hipError_tT0_T1_T2_jT3_P12ihipStream_tbPNSt15iterator_traitsISK_E10value_typeEPNSQ_ISL_E10value_typeEPSM_NS1_7vsmem_tEENKUlT_SK_SL_SM_E_clISD_PbSF_PiEESJ_SZ_SK_SL_SM_EUlSZ_E_NS1_11comp_targetILNS1_3genE0ELNS1_11target_archE4294967295ELNS1_3gpuE0ELNS1_3repE0EEENS1_48merge_mergepath_partition_config_static_selectorELNS0_4arch9wavefront6targetE1EEEvSL_.uses_flat_scratch, 0
	.set _ZN7rocprim17ROCPRIM_400000_NS6detail17trampoline_kernelINS0_14default_configENS1_38merge_sort_block_merge_config_selectorIbiEEZZNS1_27merge_sort_block_merge_implIS3_N6thrust23THRUST_200600_302600_NS6detail15normal_iteratorINS8_10device_ptrIbEEEENSA_INSB_IiEEEEjNS1_19radix_merge_compareILb1ELb1EbNS0_19identity_decomposerEEEEE10hipError_tT0_T1_T2_jT3_P12ihipStream_tbPNSt15iterator_traitsISK_E10value_typeEPNSQ_ISL_E10value_typeEPSM_NS1_7vsmem_tEENKUlT_SK_SL_SM_E_clISD_PbSF_PiEESJ_SZ_SK_SL_SM_EUlSZ_E_NS1_11comp_targetILNS1_3genE0ELNS1_11target_archE4294967295ELNS1_3gpuE0ELNS1_3repE0EEENS1_48merge_mergepath_partition_config_static_selectorELNS0_4arch9wavefront6targetE1EEEvSL_.has_dyn_sized_stack, 0
	.set _ZN7rocprim17ROCPRIM_400000_NS6detail17trampoline_kernelINS0_14default_configENS1_38merge_sort_block_merge_config_selectorIbiEEZZNS1_27merge_sort_block_merge_implIS3_N6thrust23THRUST_200600_302600_NS6detail15normal_iteratorINS8_10device_ptrIbEEEENSA_INSB_IiEEEEjNS1_19radix_merge_compareILb1ELb1EbNS0_19identity_decomposerEEEEE10hipError_tT0_T1_T2_jT3_P12ihipStream_tbPNSt15iterator_traitsISK_E10value_typeEPNSQ_ISL_E10value_typeEPSM_NS1_7vsmem_tEENKUlT_SK_SL_SM_E_clISD_PbSF_PiEESJ_SZ_SK_SL_SM_EUlSZ_E_NS1_11comp_targetILNS1_3genE0ELNS1_11target_archE4294967295ELNS1_3gpuE0ELNS1_3repE0EEENS1_48merge_mergepath_partition_config_static_selectorELNS0_4arch9wavefront6targetE1EEEvSL_.has_recursion, 0
	.set _ZN7rocprim17ROCPRIM_400000_NS6detail17trampoline_kernelINS0_14default_configENS1_38merge_sort_block_merge_config_selectorIbiEEZZNS1_27merge_sort_block_merge_implIS3_N6thrust23THRUST_200600_302600_NS6detail15normal_iteratorINS8_10device_ptrIbEEEENSA_INSB_IiEEEEjNS1_19radix_merge_compareILb1ELb1EbNS0_19identity_decomposerEEEEE10hipError_tT0_T1_T2_jT3_P12ihipStream_tbPNSt15iterator_traitsISK_E10value_typeEPNSQ_ISL_E10value_typeEPSM_NS1_7vsmem_tEENKUlT_SK_SL_SM_E_clISD_PbSF_PiEESJ_SZ_SK_SL_SM_EUlSZ_E_NS1_11comp_targetILNS1_3genE0ELNS1_11target_archE4294967295ELNS1_3gpuE0ELNS1_3repE0EEENS1_48merge_mergepath_partition_config_static_selectorELNS0_4arch9wavefront6targetE1EEEvSL_.has_indirect_call, 0
	.section	.AMDGPU.csdata,"",@progbits
; Kernel info:
; codeLenInByte = 424
; TotalNumSgprs: 15
; NumVgprs: 18
; NumAgprs: 0
; TotalNumVgprs: 18
; ScratchSize: 0
; MemoryBound: 0
; FloatMode: 240
; IeeeMode: 1
; LDSByteSize: 128 bytes/workgroup (compile time only)
; SGPRBlocks: 1
; VGPRBlocks: 2
; NumSGPRsForWavesPerEU: 15
; NumVGPRsForWavesPerEU: 18
; AccumOffset: 20
; Occupancy: 8
; WaveLimiterHint : 0
; COMPUTE_PGM_RSRC2:SCRATCH_EN: 0
; COMPUTE_PGM_RSRC2:USER_SGPR: 4
; COMPUTE_PGM_RSRC2:TRAP_HANDLER: 0
; COMPUTE_PGM_RSRC2:TGID_X_EN: 1
; COMPUTE_PGM_RSRC2:TGID_Y_EN: 0
; COMPUTE_PGM_RSRC2:TGID_Z_EN: 0
; COMPUTE_PGM_RSRC2:TIDIG_COMP_CNT: 2
; COMPUTE_PGM_RSRC3_GFX90A:ACCUM_OFFSET: 4
; COMPUTE_PGM_RSRC3_GFX90A:TG_SPLIT: 0
	.section	.text._ZN7rocprim17ROCPRIM_400000_NS6detail17trampoline_kernelINS0_14default_configENS1_38merge_sort_block_merge_config_selectorIbiEEZZNS1_27merge_sort_block_merge_implIS3_N6thrust23THRUST_200600_302600_NS6detail15normal_iteratorINS8_10device_ptrIbEEEENSA_INSB_IiEEEEjNS1_19radix_merge_compareILb1ELb1EbNS0_19identity_decomposerEEEEE10hipError_tT0_T1_T2_jT3_P12ihipStream_tbPNSt15iterator_traitsISK_E10value_typeEPNSQ_ISL_E10value_typeEPSM_NS1_7vsmem_tEENKUlT_SK_SL_SM_E_clISD_PbSF_PiEESJ_SZ_SK_SL_SM_EUlSZ_E_NS1_11comp_targetILNS1_3genE10ELNS1_11target_archE1201ELNS1_3gpuE5ELNS1_3repE0EEENS1_48merge_mergepath_partition_config_static_selectorELNS0_4arch9wavefront6targetE1EEEvSL_,"axG",@progbits,_ZN7rocprim17ROCPRIM_400000_NS6detail17trampoline_kernelINS0_14default_configENS1_38merge_sort_block_merge_config_selectorIbiEEZZNS1_27merge_sort_block_merge_implIS3_N6thrust23THRUST_200600_302600_NS6detail15normal_iteratorINS8_10device_ptrIbEEEENSA_INSB_IiEEEEjNS1_19radix_merge_compareILb1ELb1EbNS0_19identity_decomposerEEEEE10hipError_tT0_T1_T2_jT3_P12ihipStream_tbPNSt15iterator_traitsISK_E10value_typeEPNSQ_ISL_E10value_typeEPSM_NS1_7vsmem_tEENKUlT_SK_SL_SM_E_clISD_PbSF_PiEESJ_SZ_SK_SL_SM_EUlSZ_E_NS1_11comp_targetILNS1_3genE10ELNS1_11target_archE1201ELNS1_3gpuE5ELNS1_3repE0EEENS1_48merge_mergepath_partition_config_static_selectorELNS0_4arch9wavefront6targetE1EEEvSL_,comdat
	.protected	_ZN7rocprim17ROCPRIM_400000_NS6detail17trampoline_kernelINS0_14default_configENS1_38merge_sort_block_merge_config_selectorIbiEEZZNS1_27merge_sort_block_merge_implIS3_N6thrust23THRUST_200600_302600_NS6detail15normal_iteratorINS8_10device_ptrIbEEEENSA_INSB_IiEEEEjNS1_19radix_merge_compareILb1ELb1EbNS0_19identity_decomposerEEEEE10hipError_tT0_T1_T2_jT3_P12ihipStream_tbPNSt15iterator_traitsISK_E10value_typeEPNSQ_ISL_E10value_typeEPSM_NS1_7vsmem_tEENKUlT_SK_SL_SM_E_clISD_PbSF_PiEESJ_SZ_SK_SL_SM_EUlSZ_E_NS1_11comp_targetILNS1_3genE10ELNS1_11target_archE1201ELNS1_3gpuE5ELNS1_3repE0EEENS1_48merge_mergepath_partition_config_static_selectorELNS0_4arch9wavefront6targetE1EEEvSL_ ; -- Begin function _ZN7rocprim17ROCPRIM_400000_NS6detail17trampoline_kernelINS0_14default_configENS1_38merge_sort_block_merge_config_selectorIbiEEZZNS1_27merge_sort_block_merge_implIS3_N6thrust23THRUST_200600_302600_NS6detail15normal_iteratorINS8_10device_ptrIbEEEENSA_INSB_IiEEEEjNS1_19radix_merge_compareILb1ELb1EbNS0_19identity_decomposerEEEEE10hipError_tT0_T1_T2_jT3_P12ihipStream_tbPNSt15iterator_traitsISK_E10value_typeEPNSQ_ISL_E10value_typeEPSM_NS1_7vsmem_tEENKUlT_SK_SL_SM_E_clISD_PbSF_PiEESJ_SZ_SK_SL_SM_EUlSZ_E_NS1_11comp_targetILNS1_3genE10ELNS1_11target_archE1201ELNS1_3gpuE5ELNS1_3repE0EEENS1_48merge_mergepath_partition_config_static_selectorELNS0_4arch9wavefront6targetE1EEEvSL_
	.globl	_ZN7rocprim17ROCPRIM_400000_NS6detail17trampoline_kernelINS0_14default_configENS1_38merge_sort_block_merge_config_selectorIbiEEZZNS1_27merge_sort_block_merge_implIS3_N6thrust23THRUST_200600_302600_NS6detail15normal_iteratorINS8_10device_ptrIbEEEENSA_INSB_IiEEEEjNS1_19radix_merge_compareILb1ELb1EbNS0_19identity_decomposerEEEEE10hipError_tT0_T1_T2_jT3_P12ihipStream_tbPNSt15iterator_traitsISK_E10value_typeEPNSQ_ISL_E10value_typeEPSM_NS1_7vsmem_tEENKUlT_SK_SL_SM_E_clISD_PbSF_PiEESJ_SZ_SK_SL_SM_EUlSZ_E_NS1_11comp_targetILNS1_3genE10ELNS1_11target_archE1201ELNS1_3gpuE5ELNS1_3repE0EEENS1_48merge_mergepath_partition_config_static_selectorELNS0_4arch9wavefront6targetE1EEEvSL_
	.p2align	8
	.type	_ZN7rocprim17ROCPRIM_400000_NS6detail17trampoline_kernelINS0_14default_configENS1_38merge_sort_block_merge_config_selectorIbiEEZZNS1_27merge_sort_block_merge_implIS3_N6thrust23THRUST_200600_302600_NS6detail15normal_iteratorINS8_10device_ptrIbEEEENSA_INSB_IiEEEEjNS1_19radix_merge_compareILb1ELb1EbNS0_19identity_decomposerEEEEE10hipError_tT0_T1_T2_jT3_P12ihipStream_tbPNSt15iterator_traitsISK_E10value_typeEPNSQ_ISL_E10value_typeEPSM_NS1_7vsmem_tEENKUlT_SK_SL_SM_E_clISD_PbSF_PiEESJ_SZ_SK_SL_SM_EUlSZ_E_NS1_11comp_targetILNS1_3genE10ELNS1_11target_archE1201ELNS1_3gpuE5ELNS1_3repE0EEENS1_48merge_mergepath_partition_config_static_selectorELNS0_4arch9wavefront6targetE1EEEvSL_,@function
_ZN7rocprim17ROCPRIM_400000_NS6detail17trampoline_kernelINS0_14default_configENS1_38merge_sort_block_merge_config_selectorIbiEEZZNS1_27merge_sort_block_merge_implIS3_N6thrust23THRUST_200600_302600_NS6detail15normal_iteratorINS8_10device_ptrIbEEEENSA_INSB_IiEEEEjNS1_19radix_merge_compareILb1ELb1EbNS0_19identity_decomposerEEEEE10hipError_tT0_T1_T2_jT3_P12ihipStream_tbPNSt15iterator_traitsISK_E10value_typeEPNSQ_ISL_E10value_typeEPSM_NS1_7vsmem_tEENKUlT_SK_SL_SM_E_clISD_PbSF_PiEESJ_SZ_SK_SL_SM_EUlSZ_E_NS1_11comp_targetILNS1_3genE10ELNS1_11target_archE1201ELNS1_3gpuE5ELNS1_3repE0EEENS1_48merge_mergepath_partition_config_static_selectorELNS0_4arch9wavefront6targetE1EEEvSL_: ; @_ZN7rocprim17ROCPRIM_400000_NS6detail17trampoline_kernelINS0_14default_configENS1_38merge_sort_block_merge_config_selectorIbiEEZZNS1_27merge_sort_block_merge_implIS3_N6thrust23THRUST_200600_302600_NS6detail15normal_iteratorINS8_10device_ptrIbEEEENSA_INSB_IiEEEEjNS1_19radix_merge_compareILb1ELb1EbNS0_19identity_decomposerEEEEE10hipError_tT0_T1_T2_jT3_P12ihipStream_tbPNSt15iterator_traitsISK_E10value_typeEPNSQ_ISL_E10value_typeEPSM_NS1_7vsmem_tEENKUlT_SK_SL_SM_E_clISD_PbSF_PiEESJ_SZ_SK_SL_SM_EUlSZ_E_NS1_11comp_targetILNS1_3genE10ELNS1_11target_archE1201ELNS1_3gpuE5ELNS1_3repE0EEENS1_48merge_mergepath_partition_config_static_selectorELNS0_4arch9wavefront6targetE1EEEvSL_
; %bb.0:
	.section	.rodata,"a",@progbits
	.p2align	6, 0x0
	.amdhsa_kernel _ZN7rocprim17ROCPRIM_400000_NS6detail17trampoline_kernelINS0_14default_configENS1_38merge_sort_block_merge_config_selectorIbiEEZZNS1_27merge_sort_block_merge_implIS3_N6thrust23THRUST_200600_302600_NS6detail15normal_iteratorINS8_10device_ptrIbEEEENSA_INSB_IiEEEEjNS1_19radix_merge_compareILb1ELb1EbNS0_19identity_decomposerEEEEE10hipError_tT0_T1_T2_jT3_P12ihipStream_tbPNSt15iterator_traitsISK_E10value_typeEPNSQ_ISL_E10value_typeEPSM_NS1_7vsmem_tEENKUlT_SK_SL_SM_E_clISD_PbSF_PiEESJ_SZ_SK_SL_SM_EUlSZ_E_NS1_11comp_targetILNS1_3genE10ELNS1_11target_archE1201ELNS1_3gpuE5ELNS1_3repE0EEENS1_48merge_mergepath_partition_config_static_selectorELNS0_4arch9wavefront6targetE1EEEvSL_
		.amdhsa_group_segment_fixed_size 0
		.amdhsa_private_segment_fixed_size 0
		.amdhsa_kernarg_size 40
		.amdhsa_user_sgpr_count 2
		.amdhsa_user_sgpr_dispatch_ptr 0
		.amdhsa_user_sgpr_queue_ptr 0
		.amdhsa_user_sgpr_kernarg_segment_ptr 1
		.amdhsa_user_sgpr_dispatch_id 0
		.amdhsa_user_sgpr_kernarg_preload_length 0
		.amdhsa_user_sgpr_kernarg_preload_offset 0
		.amdhsa_user_sgpr_private_segment_size 0
		.amdhsa_uses_dynamic_stack 0
		.amdhsa_enable_private_segment 0
		.amdhsa_system_sgpr_workgroup_id_x 1
		.amdhsa_system_sgpr_workgroup_id_y 0
		.amdhsa_system_sgpr_workgroup_id_z 0
		.amdhsa_system_sgpr_workgroup_info 0
		.amdhsa_system_vgpr_workitem_id 0
		.amdhsa_next_free_vgpr 1
		.amdhsa_next_free_sgpr 0
		.amdhsa_accum_offset 4
		.amdhsa_reserve_vcc 0
		.amdhsa_float_round_mode_32 0
		.amdhsa_float_round_mode_16_64 0
		.amdhsa_float_denorm_mode_32 3
		.amdhsa_float_denorm_mode_16_64 3
		.amdhsa_dx10_clamp 1
		.amdhsa_ieee_mode 1
		.amdhsa_fp16_overflow 0
		.amdhsa_tg_split 0
		.amdhsa_exception_fp_ieee_invalid_op 0
		.amdhsa_exception_fp_denorm_src 0
		.amdhsa_exception_fp_ieee_div_zero 0
		.amdhsa_exception_fp_ieee_overflow 0
		.amdhsa_exception_fp_ieee_underflow 0
		.amdhsa_exception_fp_ieee_inexact 0
		.amdhsa_exception_int_div_zero 0
	.end_amdhsa_kernel
	.section	.text._ZN7rocprim17ROCPRIM_400000_NS6detail17trampoline_kernelINS0_14default_configENS1_38merge_sort_block_merge_config_selectorIbiEEZZNS1_27merge_sort_block_merge_implIS3_N6thrust23THRUST_200600_302600_NS6detail15normal_iteratorINS8_10device_ptrIbEEEENSA_INSB_IiEEEEjNS1_19radix_merge_compareILb1ELb1EbNS0_19identity_decomposerEEEEE10hipError_tT0_T1_T2_jT3_P12ihipStream_tbPNSt15iterator_traitsISK_E10value_typeEPNSQ_ISL_E10value_typeEPSM_NS1_7vsmem_tEENKUlT_SK_SL_SM_E_clISD_PbSF_PiEESJ_SZ_SK_SL_SM_EUlSZ_E_NS1_11comp_targetILNS1_3genE10ELNS1_11target_archE1201ELNS1_3gpuE5ELNS1_3repE0EEENS1_48merge_mergepath_partition_config_static_selectorELNS0_4arch9wavefront6targetE1EEEvSL_,"axG",@progbits,_ZN7rocprim17ROCPRIM_400000_NS6detail17trampoline_kernelINS0_14default_configENS1_38merge_sort_block_merge_config_selectorIbiEEZZNS1_27merge_sort_block_merge_implIS3_N6thrust23THRUST_200600_302600_NS6detail15normal_iteratorINS8_10device_ptrIbEEEENSA_INSB_IiEEEEjNS1_19radix_merge_compareILb1ELb1EbNS0_19identity_decomposerEEEEE10hipError_tT0_T1_T2_jT3_P12ihipStream_tbPNSt15iterator_traitsISK_E10value_typeEPNSQ_ISL_E10value_typeEPSM_NS1_7vsmem_tEENKUlT_SK_SL_SM_E_clISD_PbSF_PiEESJ_SZ_SK_SL_SM_EUlSZ_E_NS1_11comp_targetILNS1_3genE10ELNS1_11target_archE1201ELNS1_3gpuE5ELNS1_3repE0EEENS1_48merge_mergepath_partition_config_static_selectorELNS0_4arch9wavefront6targetE1EEEvSL_,comdat
.Lfunc_end2177:
	.size	_ZN7rocprim17ROCPRIM_400000_NS6detail17trampoline_kernelINS0_14default_configENS1_38merge_sort_block_merge_config_selectorIbiEEZZNS1_27merge_sort_block_merge_implIS3_N6thrust23THRUST_200600_302600_NS6detail15normal_iteratorINS8_10device_ptrIbEEEENSA_INSB_IiEEEEjNS1_19radix_merge_compareILb1ELb1EbNS0_19identity_decomposerEEEEE10hipError_tT0_T1_T2_jT3_P12ihipStream_tbPNSt15iterator_traitsISK_E10value_typeEPNSQ_ISL_E10value_typeEPSM_NS1_7vsmem_tEENKUlT_SK_SL_SM_E_clISD_PbSF_PiEESJ_SZ_SK_SL_SM_EUlSZ_E_NS1_11comp_targetILNS1_3genE10ELNS1_11target_archE1201ELNS1_3gpuE5ELNS1_3repE0EEENS1_48merge_mergepath_partition_config_static_selectorELNS0_4arch9wavefront6targetE1EEEvSL_, .Lfunc_end2177-_ZN7rocprim17ROCPRIM_400000_NS6detail17trampoline_kernelINS0_14default_configENS1_38merge_sort_block_merge_config_selectorIbiEEZZNS1_27merge_sort_block_merge_implIS3_N6thrust23THRUST_200600_302600_NS6detail15normal_iteratorINS8_10device_ptrIbEEEENSA_INSB_IiEEEEjNS1_19radix_merge_compareILb1ELb1EbNS0_19identity_decomposerEEEEE10hipError_tT0_T1_T2_jT3_P12ihipStream_tbPNSt15iterator_traitsISK_E10value_typeEPNSQ_ISL_E10value_typeEPSM_NS1_7vsmem_tEENKUlT_SK_SL_SM_E_clISD_PbSF_PiEESJ_SZ_SK_SL_SM_EUlSZ_E_NS1_11comp_targetILNS1_3genE10ELNS1_11target_archE1201ELNS1_3gpuE5ELNS1_3repE0EEENS1_48merge_mergepath_partition_config_static_selectorELNS0_4arch9wavefront6targetE1EEEvSL_
                                        ; -- End function
	.set _ZN7rocprim17ROCPRIM_400000_NS6detail17trampoline_kernelINS0_14default_configENS1_38merge_sort_block_merge_config_selectorIbiEEZZNS1_27merge_sort_block_merge_implIS3_N6thrust23THRUST_200600_302600_NS6detail15normal_iteratorINS8_10device_ptrIbEEEENSA_INSB_IiEEEEjNS1_19radix_merge_compareILb1ELb1EbNS0_19identity_decomposerEEEEE10hipError_tT0_T1_T2_jT3_P12ihipStream_tbPNSt15iterator_traitsISK_E10value_typeEPNSQ_ISL_E10value_typeEPSM_NS1_7vsmem_tEENKUlT_SK_SL_SM_E_clISD_PbSF_PiEESJ_SZ_SK_SL_SM_EUlSZ_E_NS1_11comp_targetILNS1_3genE10ELNS1_11target_archE1201ELNS1_3gpuE5ELNS1_3repE0EEENS1_48merge_mergepath_partition_config_static_selectorELNS0_4arch9wavefront6targetE1EEEvSL_.num_vgpr, 0
	.set _ZN7rocprim17ROCPRIM_400000_NS6detail17trampoline_kernelINS0_14default_configENS1_38merge_sort_block_merge_config_selectorIbiEEZZNS1_27merge_sort_block_merge_implIS3_N6thrust23THRUST_200600_302600_NS6detail15normal_iteratorINS8_10device_ptrIbEEEENSA_INSB_IiEEEEjNS1_19radix_merge_compareILb1ELb1EbNS0_19identity_decomposerEEEEE10hipError_tT0_T1_T2_jT3_P12ihipStream_tbPNSt15iterator_traitsISK_E10value_typeEPNSQ_ISL_E10value_typeEPSM_NS1_7vsmem_tEENKUlT_SK_SL_SM_E_clISD_PbSF_PiEESJ_SZ_SK_SL_SM_EUlSZ_E_NS1_11comp_targetILNS1_3genE10ELNS1_11target_archE1201ELNS1_3gpuE5ELNS1_3repE0EEENS1_48merge_mergepath_partition_config_static_selectorELNS0_4arch9wavefront6targetE1EEEvSL_.num_agpr, 0
	.set _ZN7rocprim17ROCPRIM_400000_NS6detail17trampoline_kernelINS0_14default_configENS1_38merge_sort_block_merge_config_selectorIbiEEZZNS1_27merge_sort_block_merge_implIS3_N6thrust23THRUST_200600_302600_NS6detail15normal_iteratorINS8_10device_ptrIbEEEENSA_INSB_IiEEEEjNS1_19radix_merge_compareILb1ELb1EbNS0_19identity_decomposerEEEEE10hipError_tT0_T1_T2_jT3_P12ihipStream_tbPNSt15iterator_traitsISK_E10value_typeEPNSQ_ISL_E10value_typeEPSM_NS1_7vsmem_tEENKUlT_SK_SL_SM_E_clISD_PbSF_PiEESJ_SZ_SK_SL_SM_EUlSZ_E_NS1_11comp_targetILNS1_3genE10ELNS1_11target_archE1201ELNS1_3gpuE5ELNS1_3repE0EEENS1_48merge_mergepath_partition_config_static_selectorELNS0_4arch9wavefront6targetE1EEEvSL_.numbered_sgpr, 0
	.set _ZN7rocprim17ROCPRIM_400000_NS6detail17trampoline_kernelINS0_14default_configENS1_38merge_sort_block_merge_config_selectorIbiEEZZNS1_27merge_sort_block_merge_implIS3_N6thrust23THRUST_200600_302600_NS6detail15normal_iteratorINS8_10device_ptrIbEEEENSA_INSB_IiEEEEjNS1_19radix_merge_compareILb1ELb1EbNS0_19identity_decomposerEEEEE10hipError_tT0_T1_T2_jT3_P12ihipStream_tbPNSt15iterator_traitsISK_E10value_typeEPNSQ_ISL_E10value_typeEPSM_NS1_7vsmem_tEENKUlT_SK_SL_SM_E_clISD_PbSF_PiEESJ_SZ_SK_SL_SM_EUlSZ_E_NS1_11comp_targetILNS1_3genE10ELNS1_11target_archE1201ELNS1_3gpuE5ELNS1_3repE0EEENS1_48merge_mergepath_partition_config_static_selectorELNS0_4arch9wavefront6targetE1EEEvSL_.num_named_barrier, 0
	.set _ZN7rocprim17ROCPRIM_400000_NS6detail17trampoline_kernelINS0_14default_configENS1_38merge_sort_block_merge_config_selectorIbiEEZZNS1_27merge_sort_block_merge_implIS3_N6thrust23THRUST_200600_302600_NS6detail15normal_iteratorINS8_10device_ptrIbEEEENSA_INSB_IiEEEEjNS1_19radix_merge_compareILb1ELb1EbNS0_19identity_decomposerEEEEE10hipError_tT0_T1_T2_jT3_P12ihipStream_tbPNSt15iterator_traitsISK_E10value_typeEPNSQ_ISL_E10value_typeEPSM_NS1_7vsmem_tEENKUlT_SK_SL_SM_E_clISD_PbSF_PiEESJ_SZ_SK_SL_SM_EUlSZ_E_NS1_11comp_targetILNS1_3genE10ELNS1_11target_archE1201ELNS1_3gpuE5ELNS1_3repE0EEENS1_48merge_mergepath_partition_config_static_selectorELNS0_4arch9wavefront6targetE1EEEvSL_.private_seg_size, 0
	.set _ZN7rocprim17ROCPRIM_400000_NS6detail17trampoline_kernelINS0_14default_configENS1_38merge_sort_block_merge_config_selectorIbiEEZZNS1_27merge_sort_block_merge_implIS3_N6thrust23THRUST_200600_302600_NS6detail15normal_iteratorINS8_10device_ptrIbEEEENSA_INSB_IiEEEEjNS1_19radix_merge_compareILb1ELb1EbNS0_19identity_decomposerEEEEE10hipError_tT0_T1_T2_jT3_P12ihipStream_tbPNSt15iterator_traitsISK_E10value_typeEPNSQ_ISL_E10value_typeEPSM_NS1_7vsmem_tEENKUlT_SK_SL_SM_E_clISD_PbSF_PiEESJ_SZ_SK_SL_SM_EUlSZ_E_NS1_11comp_targetILNS1_3genE10ELNS1_11target_archE1201ELNS1_3gpuE5ELNS1_3repE0EEENS1_48merge_mergepath_partition_config_static_selectorELNS0_4arch9wavefront6targetE1EEEvSL_.uses_vcc, 0
	.set _ZN7rocprim17ROCPRIM_400000_NS6detail17trampoline_kernelINS0_14default_configENS1_38merge_sort_block_merge_config_selectorIbiEEZZNS1_27merge_sort_block_merge_implIS3_N6thrust23THRUST_200600_302600_NS6detail15normal_iteratorINS8_10device_ptrIbEEEENSA_INSB_IiEEEEjNS1_19radix_merge_compareILb1ELb1EbNS0_19identity_decomposerEEEEE10hipError_tT0_T1_T2_jT3_P12ihipStream_tbPNSt15iterator_traitsISK_E10value_typeEPNSQ_ISL_E10value_typeEPSM_NS1_7vsmem_tEENKUlT_SK_SL_SM_E_clISD_PbSF_PiEESJ_SZ_SK_SL_SM_EUlSZ_E_NS1_11comp_targetILNS1_3genE10ELNS1_11target_archE1201ELNS1_3gpuE5ELNS1_3repE0EEENS1_48merge_mergepath_partition_config_static_selectorELNS0_4arch9wavefront6targetE1EEEvSL_.uses_flat_scratch, 0
	.set _ZN7rocprim17ROCPRIM_400000_NS6detail17trampoline_kernelINS0_14default_configENS1_38merge_sort_block_merge_config_selectorIbiEEZZNS1_27merge_sort_block_merge_implIS3_N6thrust23THRUST_200600_302600_NS6detail15normal_iteratorINS8_10device_ptrIbEEEENSA_INSB_IiEEEEjNS1_19radix_merge_compareILb1ELb1EbNS0_19identity_decomposerEEEEE10hipError_tT0_T1_T2_jT3_P12ihipStream_tbPNSt15iterator_traitsISK_E10value_typeEPNSQ_ISL_E10value_typeEPSM_NS1_7vsmem_tEENKUlT_SK_SL_SM_E_clISD_PbSF_PiEESJ_SZ_SK_SL_SM_EUlSZ_E_NS1_11comp_targetILNS1_3genE10ELNS1_11target_archE1201ELNS1_3gpuE5ELNS1_3repE0EEENS1_48merge_mergepath_partition_config_static_selectorELNS0_4arch9wavefront6targetE1EEEvSL_.has_dyn_sized_stack, 0
	.set _ZN7rocprim17ROCPRIM_400000_NS6detail17trampoline_kernelINS0_14default_configENS1_38merge_sort_block_merge_config_selectorIbiEEZZNS1_27merge_sort_block_merge_implIS3_N6thrust23THRUST_200600_302600_NS6detail15normal_iteratorINS8_10device_ptrIbEEEENSA_INSB_IiEEEEjNS1_19radix_merge_compareILb1ELb1EbNS0_19identity_decomposerEEEEE10hipError_tT0_T1_T2_jT3_P12ihipStream_tbPNSt15iterator_traitsISK_E10value_typeEPNSQ_ISL_E10value_typeEPSM_NS1_7vsmem_tEENKUlT_SK_SL_SM_E_clISD_PbSF_PiEESJ_SZ_SK_SL_SM_EUlSZ_E_NS1_11comp_targetILNS1_3genE10ELNS1_11target_archE1201ELNS1_3gpuE5ELNS1_3repE0EEENS1_48merge_mergepath_partition_config_static_selectorELNS0_4arch9wavefront6targetE1EEEvSL_.has_recursion, 0
	.set _ZN7rocprim17ROCPRIM_400000_NS6detail17trampoline_kernelINS0_14default_configENS1_38merge_sort_block_merge_config_selectorIbiEEZZNS1_27merge_sort_block_merge_implIS3_N6thrust23THRUST_200600_302600_NS6detail15normal_iteratorINS8_10device_ptrIbEEEENSA_INSB_IiEEEEjNS1_19radix_merge_compareILb1ELb1EbNS0_19identity_decomposerEEEEE10hipError_tT0_T1_T2_jT3_P12ihipStream_tbPNSt15iterator_traitsISK_E10value_typeEPNSQ_ISL_E10value_typeEPSM_NS1_7vsmem_tEENKUlT_SK_SL_SM_E_clISD_PbSF_PiEESJ_SZ_SK_SL_SM_EUlSZ_E_NS1_11comp_targetILNS1_3genE10ELNS1_11target_archE1201ELNS1_3gpuE5ELNS1_3repE0EEENS1_48merge_mergepath_partition_config_static_selectorELNS0_4arch9wavefront6targetE1EEEvSL_.has_indirect_call, 0
	.section	.AMDGPU.csdata,"",@progbits
; Kernel info:
; codeLenInByte = 0
; TotalNumSgprs: 6
; NumVgprs: 0
; NumAgprs: 0
; TotalNumVgprs: 0
; ScratchSize: 0
; MemoryBound: 0
; FloatMode: 240
; IeeeMode: 1
; LDSByteSize: 0 bytes/workgroup (compile time only)
; SGPRBlocks: 0
; VGPRBlocks: 0
; NumSGPRsForWavesPerEU: 6
; NumVGPRsForWavesPerEU: 1
; AccumOffset: 4
; Occupancy: 8
; WaveLimiterHint : 0
; COMPUTE_PGM_RSRC2:SCRATCH_EN: 0
; COMPUTE_PGM_RSRC2:USER_SGPR: 2
; COMPUTE_PGM_RSRC2:TRAP_HANDLER: 0
; COMPUTE_PGM_RSRC2:TGID_X_EN: 1
; COMPUTE_PGM_RSRC2:TGID_Y_EN: 0
; COMPUTE_PGM_RSRC2:TGID_Z_EN: 0
; COMPUTE_PGM_RSRC2:TIDIG_COMP_CNT: 0
; COMPUTE_PGM_RSRC3_GFX90A:ACCUM_OFFSET: 0
; COMPUTE_PGM_RSRC3_GFX90A:TG_SPLIT: 0
	.section	.text._ZN7rocprim17ROCPRIM_400000_NS6detail17trampoline_kernelINS0_14default_configENS1_38merge_sort_block_merge_config_selectorIbiEEZZNS1_27merge_sort_block_merge_implIS3_N6thrust23THRUST_200600_302600_NS6detail15normal_iteratorINS8_10device_ptrIbEEEENSA_INSB_IiEEEEjNS1_19radix_merge_compareILb1ELb1EbNS0_19identity_decomposerEEEEE10hipError_tT0_T1_T2_jT3_P12ihipStream_tbPNSt15iterator_traitsISK_E10value_typeEPNSQ_ISL_E10value_typeEPSM_NS1_7vsmem_tEENKUlT_SK_SL_SM_E_clISD_PbSF_PiEESJ_SZ_SK_SL_SM_EUlSZ_E_NS1_11comp_targetILNS1_3genE5ELNS1_11target_archE942ELNS1_3gpuE9ELNS1_3repE0EEENS1_48merge_mergepath_partition_config_static_selectorELNS0_4arch9wavefront6targetE1EEEvSL_,"axG",@progbits,_ZN7rocprim17ROCPRIM_400000_NS6detail17trampoline_kernelINS0_14default_configENS1_38merge_sort_block_merge_config_selectorIbiEEZZNS1_27merge_sort_block_merge_implIS3_N6thrust23THRUST_200600_302600_NS6detail15normal_iteratorINS8_10device_ptrIbEEEENSA_INSB_IiEEEEjNS1_19radix_merge_compareILb1ELb1EbNS0_19identity_decomposerEEEEE10hipError_tT0_T1_T2_jT3_P12ihipStream_tbPNSt15iterator_traitsISK_E10value_typeEPNSQ_ISL_E10value_typeEPSM_NS1_7vsmem_tEENKUlT_SK_SL_SM_E_clISD_PbSF_PiEESJ_SZ_SK_SL_SM_EUlSZ_E_NS1_11comp_targetILNS1_3genE5ELNS1_11target_archE942ELNS1_3gpuE9ELNS1_3repE0EEENS1_48merge_mergepath_partition_config_static_selectorELNS0_4arch9wavefront6targetE1EEEvSL_,comdat
	.protected	_ZN7rocprim17ROCPRIM_400000_NS6detail17trampoline_kernelINS0_14default_configENS1_38merge_sort_block_merge_config_selectorIbiEEZZNS1_27merge_sort_block_merge_implIS3_N6thrust23THRUST_200600_302600_NS6detail15normal_iteratorINS8_10device_ptrIbEEEENSA_INSB_IiEEEEjNS1_19radix_merge_compareILb1ELb1EbNS0_19identity_decomposerEEEEE10hipError_tT0_T1_T2_jT3_P12ihipStream_tbPNSt15iterator_traitsISK_E10value_typeEPNSQ_ISL_E10value_typeEPSM_NS1_7vsmem_tEENKUlT_SK_SL_SM_E_clISD_PbSF_PiEESJ_SZ_SK_SL_SM_EUlSZ_E_NS1_11comp_targetILNS1_3genE5ELNS1_11target_archE942ELNS1_3gpuE9ELNS1_3repE0EEENS1_48merge_mergepath_partition_config_static_selectorELNS0_4arch9wavefront6targetE1EEEvSL_ ; -- Begin function _ZN7rocprim17ROCPRIM_400000_NS6detail17trampoline_kernelINS0_14default_configENS1_38merge_sort_block_merge_config_selectorIbiEEZZNS1_27merge_sort_block_merge_implIS3_N6thrust23THRUST_200600_302600_NS6detail15normal_iteratorINS8_10device_ptrIbEEEENSA_INSB_IiEEEEjNS1_19radix_merge_compareILb1ELb1EbNS0_19identity_decomposerEEEEE10hipError_tT0_T1_T2_jT3_P12ihipStream_tbPNSt15iterator_traitsISK_E10value_typeEPNSQ_ISL_E10value_typeEPSM_NS1_7vsmem_tEENKUlT_SK_SL_SM_E_clISD_PbSF_PiEESJ_SZ_SK_SL_SM_EUlSZ_E_NS1_11comp_targetILNS1_3genE5ELNS1_11target_archE942ELNS1_3gpuE9ELNS1_3repE0EEENS1_48merge_mergepath_partition_config_static_selectorELNS0_4arch9wavefront6targetE1EEEvSL_
	.globl	_ZN7rocprim17ROCPRIM_400000_NS6detail17trampoline_kernelINS0_14default_configENS1_38merge_sort_block_merge_config_selectorIbiEEZZNS1_27merge_sort_block_merge_implIS3_N6thrust23THRUST_200600_302600_NS6detail15normal_iteratorINS8_10device_ptrIbEEEENSA_INSB_IiEEEEjNS1_19radix_merge_compareILb1ELb1EbNS0_19identity_decomposerEEEEE10hipError_tT0_T1_T2_jT3_P12ihipStream_tbPNSt15iterator_traitsISK_E10value_typeEPNSQ_ISL_E10value_typeEPSM_NS1_7vsmem_tEENKUlT_SK_SL_SM_E_clISD_PbSF_PiEESJ_SZ_SK_SL_SM_EUlSZ_E_NS1_11comp_targetILNS1_3genE5ELNS1_11target_archE942ELNS1_3gpuE9ELNS1_3repE0EEENS1_48merge_mergepath_partition_config_static_selectorELNS0_4arch9wavefront6targetE1EEEvSL_
	.p2align	8
	.type	_ZN7rocprim17ROCPRIM_400000_NS6detail17trampoline_kernelINS0_14default_configENS1_38merge_sort_block_merge_config_selectorIbiEEZZNS1_27merge_sort_block_merge_implIS3_N6thrust23THRUST_200600_302600_NS6detail15normal_iteratorINS8_10device_ptrIbEEEENSA_INSB_IiEEEEjNS1_19radix_merge_compareILb1ELb1EbNS0_19identity_decomposerEEEEE10hipError_tT0_T1_T2_jT3_P12ihipStream_tbPNSt15iterator_traitsISK_E10value_typeEPNSQ_ISL_E10value_typeEPSM_NS1_7vsmem_tEENKUlT_SK_SL_SM_E_clISD_PbSF_PiEESJ_SZ_SK_SL_SM_EUlSZ_E_NS1_11comp_targetILNS1_3genE5ELNS1_11target_archE942ELNS1_3gpuE9ELNS1_3repE0EEENS1_48merge_mergepath_partition_config_static_selectorELNS0_4arch9wavefront6targetE1EEEvSL_,@function
_ZN7rocprim17ROCPRIM_400000_NS6detail17trampoline_kernelINS0_14default_configENS1_38merge_sort_block_merge_config_selectorIbiEEZZNS1_27merge_sort_block_merge_implIS3_N6thrust23THRUST_200600_302600_NS6detail15normal_iteratorINS8_10device_ptrIbEEEENSA_INSB_IiEEEEjNS1_19radix_merge_compareILb1ELb1EbNS0_19identity_decomposerEEEEE10hipError_tT0_T1_T2_jT3_P12ihipStream_tbPNSt15iterator_traitsISK_E10value_typeEPNSQ_ISL_E10value_typeEPSM_NS1_7vsmem_tEENKUlT_SK_SL_SM_E_clISD_PbSF_PiEESJ_SZ_SK_SL_SM_EUlSZ_E_NS1_11comp_targetILNS1_3genE5ELNS1_11target_archE942ELNS1_3gpuE9ELNS1_3repE0EEENS1_48merge_mergepath_partition_config_static_selectorELNS0_4arch9wavefront6targetE1EEEvSL_: ; @_ZN7rocprim17ROCPRIM_400000_NS6detail17trampoline_kernelINS0_14default_configENS1_38merge_sort_block_merge_config_selectorIbiEEZZNS1_27merge_sort_block_merge_implIS3_N6thrust23THRUST_200600_302600_NS6detail15normal_iteratorINS8_10device_ptrIbEEEENSA_INSB_IiEEEEjNS1_19radix_merge_compareILb1ELb1EbNS0_19identity_decomposerEEEEE10hipError_tT0_T1_T2_jT3_P12ihipStream_tbPNSt15iterator_traitsISK_E10value_typeEPNSQ_ISL_E10value_typeEPSM_NS1_7vsmem_tEENKUlT_SK_SL_SM_E_clISD_PbSF_PiEESJ_SZ_SK_SL_SM_EUlSZ_E_NS1_11comp_targetILNS1_3genE5ELNS1_11target_archE942ELNS1_3gpuE9ELNS1_3repE0EEENS1_48merge_mergepath_partition_config_static_selectorELNS0_4arch9wavefront6targetE1EEEvSL_
; %bb.0:
	.section	.rodata,"a",@progbits
	.p2align	6, 0x0
	.amdhsa_kernel _ZN7rocprim17ROCPRIM_400000_NS6detail17trampoline_kernelINS0_14default_configENS1_38merge_sort_block_merge_config_selectorIbiEEZZNS1_27merge_sort_block_merge_implIS3_N6thrust23THRUST_200600_302600_NS6detail15normal_iteratorINS8_10device_ptrIbEEEENSA_INSB_IiEEEEjNS1_19radix_merge_compareILb1ELb1EbNS0_19identity_decomposerEEEEE10hipError_tT0_T1_T2_jT3_P12ihipStream_tbPNSt15iterator_traitsISK_E10value_typeEPNSQ_ISL_E10value_typeEPSM_NS1_7vsmem_tEENKUlT_SK_SL_SM_E_clISD_PbSF_PiEESJ_SZ_SK_SL_SM_EUlSZ_E_NS1_11comp_targetILNS1_3genE5ELNS1_11target_archE942ELNS1_3gpuE9ELNS1_3repE0EEENS1_48merge_mergepath_partition_config_static_selectorELNS0_4arch9wavefront6targetE1EEEvSL_
		.amdhsa_group_segment_fixed_size 0
		.amdhsa_private_segment_fixed_size 0
		.amdhsa_kernarg_size 40
		.amdhsa_user_sgpr_count 2
		.amdhsa_user_sgpr_dispatch_ptr 0
		.amdhsa_user_sgpr_queue_ptr 0
		.amdhsa_user_sgpr_kernarg_segment_ptr 1
		.amdhsa_user_sgpr_dispatch_id 0
		.amdhsa_user_sgpr_kernarg_preload_length 0
		.amdhsa_user_sgpr_kernarg_preload_offset 0
		.amdhsa_user_sgpr_private_segment_size 0
		.amdhsa_uses_dynamic_stack 0
		.amdhsa_enable_private_segment 0
		.amdhsa_system_sgpr_workgroup_id_x 1
		.amdhsa_system_sgpr_workgroup_id_y 0
		.amdhsa_system_sgpr_workgroup_id_z 0
		.amdhsa_system_sgpr_workgroup_info 0
		.amdhsa_system_vgpr_workitem_id 0
		.amdhsa_next_free_vgpr 1
		.amdhsa_next_free_sgpr 0
		.amdhsa_accum_offset 4
		.amdhsa_reserve_vcc 0
		.amdhsa_float_round_mode_32 0
		.amdhsa_float_round_mode_16_64 0
		.amdhsa_float_denorm_mode_32 3
		.amdhsa_float_denorm_mode_16_64 3
		.amdhsa_dx10_clamp 1
		.amdhsa_ieee_mode 1
		.amdhsa_fp16_overflow 0
		.amdhsa_tg_split 0
		.amdhsa_exception_fp_ieee_invalid_op 0
		.amdhsa_exception_fp_denorm_src 0
		.amdhsa_exception_fp_ieee_div_zero 0
		.amdhsa_exception_fp_ieee_overflow 0
		.amdhsa_exception_fp_ieee_underflow 0
		.amdhsa_exception_fp_ieee_inexact 0
		.amdhsa_exception_int_div_zero 0
	.end_amdhsa_kernel
	.section	.text._ZN7rocprim17ROCPRIM_400000_NS6detail17trampoline_kernelINS0_14default_configENS1_38merge_sort_block_merge_config_selectorIbiEEZZNS1_27merge_sort_block_merge_implIS3_N6thrust23THRUST_200600_302600_NS6detail15normal_iteratorINS8_10device_ptrIbEEEENSA_INSB_IiEEEEjNS1_19radix_merge_compareILb1ELb1EbNS0_19identity_decomposerEEEEE10hipError_tT0_T1_T2_jT3_P12ihipStream_tbPNSt15iterator_traitsISK_E10value_typeEPNSQ_ISL_E10value_typeEPSM_NS1_7vsmem_tEENKUlT_SK_SL_SM_E_clISD_PbSF_PiEESJ_SZ_SK_SL_SM_EUlSZ_E_NS1_11comp_targetILNS1_3genE5ELNS1_11target_archE942ELNS1_3gpuE9ELNS1_3repE0EEENS1_48merge_mergepath_partition_config_static_selectorELNS0_4arch9wavefront6targetE1EEEvSL_,"axG",@progbits,_ZN7rocprim17ROCPRIM_400000_NS6detail17trampoline_kernelINS0_14default_configENS1_38merge_sort_block_merge_config_selectorIbiEEZZNS1_27merge_sort_block_merge_implIS3_N6thrust23THRUST_200600_302600_NS6detail15normal_iteratorINS8_10device_ptrIbEEEENSA_INSB_IiEEEEjNS1_19radix_merge_compareILb1ELb1EbNS0_19identity_decomposerEEEEE10hipError_tT0_T1_T2_jT3_P12ihipStream_tbPNSt15iterator_traitsISK_E10value_typeEPNSQ_ISL_E10value_typeEPSM_NS1_7vsmem_tEENKUlT_SK_SL_SM_E_clISD_PbSF_PiEESJ_SZ_SK_SL_SM_EUlSZ_E_NS1_11comp_targetILNS1_3genE5ELNS1_11target_archE942ELNS1_3gpuE9ELNS1_3repE0EEENS1_48merge_mergepath_partition_config_static_selectorELNS0_4arch9wavefront6targetE1EEEvSL_,comdat
.Lfunc_end2178:
	.size	_ZN7rocprim17ROCPRIM_400000_NS6detail17trampoline_kernelINS0_14default_configENS1_38merge_sort_block_merge_config_selectorIbiEEZZNS1_27merge_sort_block_merge_implIS3_N6thrust23THRUST_200600_302600_NS6detail15normal_iteratorINS8_10device_ptrIbEEEENSA_INSB_IiEEEEjNS1_19radix_merge_compareILb1ELb1EbNS0_19identity_decomposerEEEEE10hipError_tT0_T1_T2_jT3_P12ihipStream_tbPNSt15iterator_traitsISK_E10value_typeEPNSQ_ISL_E10value_typeEPSM_NS1_7vsmem_tEENKUlT_SK_SL_SM_E_clISD_PbSF_PiEESJ_SZ_SK_SL_SM_EUlSZ_E_NS1_11comp_targetILNS1_3genE5ELNS1_11target_archE942ELNS1_3gpuE9ELNS1_3repE0EEENS1_48merge_mergepath_partition_config_static_selectorELNS0_4arch9wavefront6targetE1EEEvSL_, .Lfunc_end2178-_ZN7rocprim17ROCPRIM_400000_NS6detail17trampoline_kernelINS0_14default_configENS1_38merge_sort_block_merge_config_selectorIbiEEZZNS1_27merge_sort_block_merge_implIS3_N6thrust23THRUST_200600_302600_NS6detail15normal_iteratorINS8_10device_ptrIbEEEENSA_INSB_IiEEEEjNS1_19radix_merge_compareILb1ELb1EbNS0_19identity_decomposerEEEEE10hipError_tT0_T1_T2_jT3_P12ihipStream_tbPNSt15iterator_traitsISK_E10value_typeEPNSQ_ISL_E10value_typeEPSM_NS1_7vsmem_tEENKUlT_SK_SL_SM_E_clISD_PbSF_PiEESJ_SZ_SK_SL_SM_EUlSZ_E_NS1_11comp_targetILNS1_3genE5ELNS1_11target_archE942ELNS1_3gpuE9ELNS1_3repE0EEENS1_48merge_mergepath_partition_config_static_selectorELNS0_4arch9wavefront6targetE1EEEvSL_
                                        ; -- End function
	.set _ZN7rocprim17ROCPRIM_400000_NS6detail17trampoline_kernelINS0_14default_configENS1_38merge_sort_block_merge_config_selectorIbiEEZZNS1_27merge_sort_block_merge_implIS3_N6thrust23THRUST_200600_302600_NS6detail15normal_iteratorINS8_10device_ptrIbEEEENSA_INSB_IiEEEEjNS1_19radix_merge_compareILb1ELb1EbNS0_19identity_decomposerEEEEE10hipError_tT0_T1_T2_jT3_P12ihipStream_tbPNSt15iterator_traitsISK_E10value_typeEPNSQ_ISL_E10value_typeEPSM_NS1_7vsmem_tEENKUlT_SK_SL_SM_E_clISD_PbSF_PiEESJ_SZ_SK_SL_SM_EUlSZ_E_NS1_11comp_targetILNS1_3genE5ELNS1_11target_archE942ELNS1_3gpuE9ELNS1_3repE0EEENS1_48merge_mergepath_partition_config_static_selectorELNS0_4arch9wavefront6targetE1EEEvSL_.num_vgpr, 0
	.set _ZN7rocprim17ROCPRIM_400000_NS6detail17trampoline_kernelINS0_14default_configENS1_38merge_sort_block_merge_config_selectorIbiEEZZNS1_27merge_sort_block_merge_implIS3_N6thrust23THRUST_200600_302600_NS6detail15normal_iteratorINS8_10device_ptrIbEEEENSA_INSB_IiEEEEjNS1_19radix_merge_compareILb1ELb1EbNS0_19identity_decomposerEEEEE10hipError_tT0_T1_T2_jT3_P12ihipStream_tbPNSt15iterator_traitsISK_E10value_typeEPNSQ_ISL_E10value_typeEPSM_NS1_7vsmem_tEENKUlT_SK_SL_SM_E_clISD_PbSF_PiEESJ_SZ_SK_SL_SM_EUlSZ_E_NS1_11comp_targetILNS1_3genE5ELNS1_11target_archE942ELNS1_3gpuE9ELNS1_3repE0EEENS1_48merge_mergepath_partition_config_static_selectorELNS0_4arch9wavefront6targetE1EEEvSL_.num_agpr, 0
	.set _ZN7rocprim17ROCPRIM_400000_NS6detail17trampoline_kernelINS0_14default_configENS1_38merge_sort_block_merge_config_selectorIbiEEZZNS1_27merge_sort_block_merge_implIS3_N6thrust23THRUST_200600_302600_NS6detail15normal_iteratorINS8_10device_ptrIbEEEENSA_INSB_IiEEEEjNS1_19radix_merge_compareILb1ELb1EbNS0_19identity_decomposerEEEEE10hipError_tT0_T1_T2_jT3_P12ihipStream_tbPNSt15iterator_traitsISK_E10value_typeEPNSQ_ISL_E10value_typeEPSM_NS1_7vsmem_tEENKUlT_SK_SL_SM_E_clISD_PbSF_PiEESJ_SZ_SK_SL_SM_EUlSZ_E_NS1_11comp_targetILNS1_3genE5ELNS1_11target_archE942ELNS1_3gpuE9ELNS1_3repE0EEENS1_48merge_mergepath_partition_config_static_selectorELNS0_4arch9wavefront6targetE1EEEvSL_.numbered_sgpr, 0
	.set _ZN7rocprim17ROCPRIM_400000_NS6detail17trampoline_kernelINS0_14default_configENS1_38merge_sort_block_merge_config_selectorIbiEEZZNS1_27merge_sort_block_merge_implIS3_N6thrust23THRUST_200600_302600_NS6detail15normal_iteratorINS8_10device_ptrIbEEEENSA_INSB_IiEEEEjNS1_19radix_merge_compareILb1ELb1EbNS0_19identity_decomposerEEEEE10hipError_tT0_T1_T2_jT3_P12ihipStream_tbPNSt15iterator_traitsISK_E10value_typeEPNSQ_ISL_E10value_typeEPSM_NS1_7vsmem_tEENKUlT_SK_SL_SM_E_clISD_PbSF_PiEESJ_SZ_SK_SL_SM_EUlSZ_E_NS1_11comp_targetILNS1_3genE5ELNS1_11target_archE942ELNS1_3gpuE9ELNS1_3repE0EEENS1_48merge_mergepath_partition_config_static_selectorELNS0_4arch9wavefront6targetE1EEEvSL_.num_named_barrier, 0
	.set _ZN7rocprim17ROCPRIM_400000_NS6detail17trampoline_kernelINS0_14default_configENS1_38merge_sort_block_merge_config_selectorIbiEEZZNS1_27merge_sort_block_merge_implIS3_N6thrust23THRUST_200600_302600_NS6detail15normal_iteratorINS8_10device_ptrIbEEEENSA_INSB_IiEEEEjNS1_19radix_merge_compareILb1ELb1EbNS0_19identity_decomposerEEEEE10hipError_tT0_T1_T2_jT3_P12ihipStream_tbPNSt15iterator_traitsISK_E10value_typeEPNSQ_ISL_E10value_typeEPSM_NS1_7vsmem_tEENKUlT_SK_SL_SM_E_clISD_PbSF_PiEESJ_SZ_SK_SL_SM_EUlSZ_E_NS1_11comp_targetILNS1_3genE5ELNS1_11target_archE942ELNS1_3gpuE9ELNS1_3repE0EEENS1_48merge_mergepath_partition_config_static_selectorELNS0_4arch9wavefront6targetE1EEEvSL_.private_seg_size, 0
	.set _ZN7rocprim17ROCPRIM_400000_NS6detail17trampoline_kernelINS0_14default_configENS1_38merge_sort_block_merge_config_selectorIbiEEZZNS1_27merge_sort_block_merge_implIS3_N6thrust23THRUST_200600_302600_NS6detail15normal_iteratorINS8_10device_ptrIbEEEENSA_INSB_IiEEEEjNS1_19radix_merge_compareILb1ELb1EbNS0_19identity_decomposerEEEEE10hipError_tT0_T1_T2_jT3_P12ihipStream_tbPNSt15iterator_traitsISK_E10value_typeEPNSQ_ISL_E10value_typeEPSM_NS1_7vsmem_tEENKUlT_SK_SL_SM_E_clISD_PbSF_PiEESJ_SZ_SK_SL_SM_EUlSZ_E_NS1_11comp_targetILNS1_3genE5ELNS1_11target_archE942ELNS1_3gpuE9ELNS1_3repE0EEENS1_48merge_mergepath_partition_config_static_selectorELNS0_4arch9wavefront6targetE1EEEvSL_.uses_vcc, 0
	.set _ZN7rocprim17ROCPRIM_400000_NS6detail17trampoline_kernelINS0_14default_configENS1_38merge_sort_block_merge_config_selectorIbiEEZZNS1_27merge_sort_block_merge_implIS3_N6thrust23THRUST_200600_302600_NS6detail15normal_iteratorINS8_10device_ptrIbEEEENSA_INSB_IiEEEEjNS1_19radix_merge_compareILb1ELb1EbNS0_19identity_decomposerEEEEE10hipError_tT0_T1_T2_jT3_P12ihipStream_tbPNSt15iterator_traitsISK_E10value_typeEPNSQ_ISL_E10value_typeEPSM_NS1_7vsmem_tEENKUlT_SK_SL_SM_E_clISD_PbSF_PiEESJ_SZ_SK_SL_SM_EUlSZ_E_NS1_11comp_targetILNS1_3genE5ELNS1_11target_archE942ELNS1_3gpuE9ELNS1_3repE0EEENS1_48merge_mergepath_partition_config_static_selectorELNS0_4arch9wavefront6targetE1EEEvSL_.uses_flat_scratch, 0
	.set _ZN7rocprim17ROCPRIM_400000_NS6detail17trampoline_kernelINS0_14default_configENS1_38merge_sort_block_merge_config_selectorIbiEEZZNS1_27merge_sort_block_merge_implIS3_N6thrust23THRUST_200600_302600_NS6detail15normal_iteratorINS8_10device_ptrIbEEEENSA_INSB_IiEEEEjNS1_19radix_merge_compareILb1ELb1EbNS0_19identity_decomposerEEEEE10hipError_tT0_T1_T2_jT3_P12ihipStream_tbPNSt15iterator_traitsISK_E10value_typeEPNSQ_ISL_E10value_typeEPSM_NS1_7vsmem_tEENKUlT_SK_SL_SM_E_clISD_PbSF_PiEESJ_SZ_SK_SL_SM_EUlSZ_E_NS1_11comp_targetILNS1_3genE5ELNS1_11target_archE942ELNS1_3gpuE9ELNS1_3repE0EEENS1_48merge_mergepath_partition_config_static_selectorELNS0_4arch9wavefront6targetE1EEEvSL_.has_dyn_sized_stack, 0
	.set _ZN7rocprim17ROCPRIM_400000_NS6detail17trampoline_kernelINS0_14default_configENS1_38merge_sort_block_merge_config_selectorIbiEEZZNS1_27merge_sort_block_merge_implIS3_N6thrust23THRUST_200600_302600_NS6detail15normal_iteratorINS8_10device_ptrIbEEEENSA_INSB_IiEEEEjNS1_19radix_merge_compareILb1ELb1EbNS0_19identity_decomposerEEEEE10hipError_tT0_T1_T2_jT3_P12ihipStream_tbPNSt15iterator_traitsISK_E10value_typeEPNSQ_ISL_E10value_typeEPSM_NS1_7vsmem_tEENKUlT_SK_SL_SM_E_clISD_PbSF_PiEESJ_SZ_SK_SL_SM_EUlSZ_E_NS1_11comp_targetILNS1_3genE5ELNS1_11target_archE942ELNS1_3gpuE9ELNS1_3repE0EEENS1_48merge_mergepath_partition_config_static_selectorELNS0_4arch9wavefront6targetE1EEEvSL_.has_recursion, 0
	.set _ZN7rocprim17ROCPRIM_400000_NS6detail17trampoline_kernelINS0_14default_configENS1_38merge_sort_block_merge_config_selectorIbiEEZZNS1_27merge_sort_block_merge_implIS3_N6thrust23THRUST_200600_302600_NS6detail15normal_iteratorINS8_10device_ptrIbEEEENSA_INSB_IiEEEEjNS1_19radix_merge_compareILb1ELb1EbNS0_19identity_decomposerEEEEE10hipError_tT0_T1_T2_jT3_P12ihipStream_tbPNSt15iterator_traitsISK_E10value_typeEPNSQ_ISL_E10value_typeEPSM_NS1_7vsmem_tEENKUlT_SK_SL_SM_E_clISD_PbSF_PiEESJ_SZ_SK_SL_SM_EUlSZ_E_NS1_11comp_targetILNS1_3genE5ELNS1_11target_archE942ELNS1_3gpuE9ELNS1_3repE0EEENS1_48merge_mergepath_partition_config_static_selectorELNS0_4arch9wavefront6targetE1EEEvSL_.has_indirect_call, 0
	.section	.AMDGPU.csdata,"",@progbits
; Kernel info:
; codeLenInByte = 0
; TotalNumSgprs: 6
; NumVgprs: 0
; NumAgprs: 0
; TotalNumVgprs: 0
; ScratchSize: 0
; MemoryBound: 0
; FloatMode: 240
; IeeeMode: 1
; LDSByteSize: 0 bytes/workgroup (compile time only)
; SGPRBlocks: 0
; VGPRBlocks: 0
; NumSGPRsForWavesPerEU: 6
; NumVGPRsForWavesPerEU: 1
; AccumOffset: 4
; Occupancy: 8
; WaveLimiterHint : 0
; COMPUTE_PGM_RSRC2:SCRATCH_EN: 0
; COMPUTE_PGM_RSRC2:USER_SGPR: 2
; COMPUTE_PGM_RSRC2:TRAP_HANDLER: 0
; COMPUTE_PGM_RSRC2:TGID_X_EN: 1
; COMPUTE_PGM_RSRC2:TGID_Y_EN: 0
; COMPUTE_PGM_RSRC2:TGID_Z_EN: 0
; COMPUTE_PGM_RSRC2:TIDIG_COMP_CNT: 0
; COMPUTE_PGM_RSRC3_GFX90A:ACCUM_OFFSET: 0
; COMPUTE_PGM_RSRC3_GFX90A:TG_SPLIT: 0
	.section	.text._ZN7rocprim17ROCPRIM_400000_NS6detail17trampoline_kernelINS0_14default_configENS1_38merge_sort_block_merge_config_selectorIbiEEZZNS1_27merge_sort_block_merge_implIS3_N6thrust23THRUST_200600_302600_NS6detail15normal_iteratorINS8_10device_ptrIbEEEENSA_INSB_IiEEEEjNS1_19radix_merge_compareILb1ELb1EbNS0_19identity_decomposerEEEEE10hipError_tT0_T1_T2_jT3_P12ihipStream_tbPNSt15iterator_traitsISK_E10value_typeEPNSQ_ISL_E10value_typeEPSM_NS1_7vsmem_tEENKUlT_SK_SL_SM_E_clISD_PbSF_PiEESJ_SZ_SK_SL_SM_EUlSZ_E_NS1_11comp_targetILNS1_3genE4ELNS1_11target_archE910ELNS1_3gpuE8ELNS1_3repE0EEENS1_48merge_mergepath_partition_config_static_selectorELNS0_4arch9wavefront6targetE1EEEvSL_,"axG",@progbits,_ZN7rocprim17ROCPRIM_400000_NS6detail17trampoline_kernelINS0_14default_configENS1_38merge_sort_block_merge_config_selectorIbiEEZZNS1_27merge_sort_block_merge_implIS3_N6thrust23THRUST_200600_302600_NS6detail15normal_iteratorINS8_10device_ptrIbEEEENSA_INSB_IiEEEEjNS1_19radix_merge_compareILb1ELb1EbNS0_19identity_decomposerEEEEE10hipError_tT0_T1_T2_jT3_P12ihipStream_tbPNSt15iterator_traitsISK_E10value_typeEPNSQ_ISL_E10value_typeEPSM_NS1_7vsmem_tEENKUlT_SK_SL_SM_E_clISD_PbSF_PiEESJ_SZ_SK_SL_SM_EUlSZ_E_NS1_11comp_targetILNS1_3genE4ELNS1_11target_archE910ELNS1_3gpuE8ELNS1_3repE0EEENS1_48merge_mergepath_partition_config_static_selectorELNS0_4arch9wavefront6targetE1EEEvSL_,comdat
	.protected	_ZN7rocprim17ROCPRIM_400000_NS6detail17trampoline_kernelINS0_14default_configENS1_38merge_sort_block_merge_config_selectorIbiEEZZNS1_27merge_sort_block_merge_implIS3_N6thrust23THRUST_200600_302600_NS6detail15normal_iteratorINS8_10device_ptrIbEEEENSA_INSB_IiEEEEjNS1_19radix_merge_compareILb1ELb1EbNS0_19identity_decomposerEEEEE10hipError_tT0_T1_T2_jT3_P12ihipStream_tbPNSt15iterator_traitsISK_E10value_typeEPNSQ_ISL_E10value_typeEPSM_NS1_7vsmem_tEENKUlT_SK_SL_SM_E_clISD_PbSF_PiEESJ_SZ_SK_SL_SM_EUlSZ_E_NS1_11comp_targetILNS1_3genE4ELNS1_11target_archE910ELNS1_3gpuE8ELNS1_3repE0EEENS1_48merge_mergepath_partition_config_static_selectorELNS0_4arch9wavefront6targetE1EEEvSL_ ; -- Begin function _ZN7rocprim17ROCPRIM_400000_NS6detail17trampoline_kernelINS0_14default_configENS1_38merge_sort_block_merge_config_selectorIbiEEZZNS1_27merge_sort_block_merge_implIS3_N6thrust23THRUST_200600_302600_NS6detail15normal_iteratorINS8_10device_ptrIbEEEENSA_INSB_IiEEEEjNS1_19radix_merge_compareILb1ELb1EbNS0_19identity_decomposerEEEEE10hipError_tT0_T1_T2_jT3_P12ihipStream_tbPNSt15iterator_traitsISK_E10value_typeEPNSQ_ISL_E10value_typeEPSM_NS1_7vsmem_tEENKUlT_SK_SL_SM_E_clISD_PbSF_PiEESJ_SZ_SK_SL_SM_EUlSZ_E_NS1_11comp_targetILNS1_3genE4ELNS1_11target_archE910ELNS1_3gpuE8ELNS1_3repE0EEENS1_48merge_mergepath_partition_config_static_selectorELNS0_4arch9wavefront6targetE1EEEvSL_
	.globl	_ZN7rocprim17ROCPRIM_400000_NS6detail17trampoline_kernelINS0_14default_configENS1_38merge_sort_block_merge_config_selectorIbiEEZZNS1_27merge_sort_block_merge_implIS3_N6thrust23THRUST_200600_302600_NS6detail15normal_iteratorINS8_10device_ptrIbEEEENSA_INSB_IiEEEEjNS1_19radix_merge_compareILb1ELb1EbNS0_19identity_decomposerEEEEE10hipError_tT0_T1_T2_jT3_P12ihipStream_tbPNSt15iterator_traitsISK_E10value_typeEPNSQ_ISL_E10value_typeEPSM_NS1_7vsmem_tEENKUlT_SK_SL_SM_E_clISD_PbSF_PiEESJ_SZ_SK_SL_SM_EUlSZ_E_NS1_11comp_targetILNS1_3genE4ELNS1_11target_archE910ELNS1_3gpuE8ELNS1_3repE0EEENS1_48merge_mergepath_partition_config_static_selectorELNS0_4arch9wavefront6targetE1EEEvSL_
	.p2align	8
	.type	_ZN7rocprim17ROCPRIM_400000_NS6detail17trampoline_kernelINS0_14default_configENS1_38merge_sort_block_merge_config_selectorIbiEEZZNS1_27merge_sort_block_merge_implIS3_N6thrust23THRUST_200600_302600_NS6detail15normal_iteratorINS8_10device_ptrIbEEEENSA_INSB_IiEEEEjNS1_19radix_merge_compareILb1ELb1EbNS0_19identity_decomposerEEEEE10hipError_tT0_T1_T2_jT3_P12ihipStream_tbPNSt15iterator_traitsISK_E10value_typeEPNSQ_ISL_E10value_typeEPSM_NS1_7vsmem_tEENKUlT_SK_SL_SM_E_clISD_PbSF_PiEESJ_SZ_SK_SL_SM_EUlSZ_E_NS1_11comp_targetILNS1_3genE4ELNS1_11target_archE910ELNS1_3gpuE8ELNS1_3repE0EEENS1_48merge_mergepath_partition_config_static_selectorELNS0_4arch9wavefront6targetE1EEEvSL_,@function
_ZN7rocprim17ROCPRIM_400000_NS6detail17trampoline_kernelINS0_14default_configENS1_38merge_sort_block_merge_config_selectorIbiEEZZNS1_27merge_sort_block_merge_implIS3_N6thrust23THRUST_200600_302600_NS6detail15normal_iteratorINS8_10device_ptrIbEEEENSA_INSB_IiEEEEjNS1_19radix_merge_compareILb1ELb1EbNS0_19identity_decomposerEEEEE10hipError_tT0_T1_T2_jT3_P12ihipStream_tbPNSt15iterator_traitsISK_E10value_typeEPNSQ_ISL_E10value_typeEPSM_NS1_7vsmem_tEENKUlT_SK_SL_SM_E_clISD_PbSF_PiEESJ_SZ_SK_SL_SM_EUlSZ_E_NS1_11comp_targetILNS1_3genE4ELNS1_11target_archE910ELNS1_3gpuE8ELNS1_3repE0EEENS1_48merge_mergepath_partition_config_static_selectorELNS0_4arch9wavefront6targetE1EEEvSL_: ; @_ZN7rocprim17ROCPRIM_400000_NS6detail17trampoline_kernelINS0_14default_configENS1_38merge_sort_block_merge_config_selectorIbiEEZZNS1_27merge_sort_block_merge_implIS3_N6thrust23THRUST_200600_302600_NS6detail15normal_iteratorINS8_10device_ptrIbEEEENSA_INSB_IiEEEEjNS1_19radix_merge_compareILb1ELb1EbNS0_19identity_decomposerEEEEE10hipError_tT0_T1_T2_jT3_P12ihipStream_tbPNSt15iterator_traitsISK_E10value_typeEPNSQ_ISL_E10value_typeEPSM_NS1_7vsmem_tEENKUlT_SK_SL_SM_E_clISD_PbSF_PiEESJ_SZ_SK_SL_SM_EUlSZ_E_NS1_11comp_targetILNS1_3genE4ELNS1_11target_archE910ELNS1_3gpuE8ELNS1_3repE0EEENS1_48merge_mergepath_partition_config_static_selectorELNS0_4arch9wavefront6targetE1EEEvSL_
; %bb.0:
	.section	.rodata,"a",@progbits
	.p2align	6, 0x0
	.amdhsa_kernel _ZN7rocprim17ROCPRIM_400000_NS6detail17trampoline_kernelINS0_14default_configENS1_38merge_sort_block_merge_config_selectorIbiEEZZNS1_27merge_sort_block_merge_implIS3_N6thrust23THRUST_200600_302600_NS6detail15normal_iteratorINS8_10device_ptrIbEEEENSA_INSB_IiEEEEjNS1_19radix_merge_compareILb1ELb1EbNS0_19identity_decomposerEEEEE10hipError_tT0_T1_T2_jT3_P12ihipStream_tbPNSt15iterator_traitsISK_E10value_typeEPNSQ_ISL_E10value_typeEPSM_NS1_7vsmem_tEENKUlT_SK_SL_SM_E_clISD_PbSF_PiEESJ_SZ_SK_SL_SM_EUlSZ_E_NS1_11comp_targetILNS1_3genE4ELNS1_11target_archE910ELNS1_3gpuE8ELNS1_3repE0EEENS1_48merge_mergepath_partition_config_static_selectorELNS0_4arch9wavefront6targetE1EEEvSL_
		.amdhsa_group_segment_fixed_size 0
		.amdhsa_private_segment_fixed_size 0
		.amdhsa_kernarg_size 40
		.amdhsa_user_sgpr_count 2
		.amdhsa_user_sgpr_dispatch_ptr 0
		.amdhsa_user_sgpr_queue_ptr 0
		.amdhsa_user_sgpr_kernarg_segment_ptr 1
		.amdhsa_user_sgpr_dispatch_id 0
		.amdhsa_user_sgpr_kernarg_preload_length 0
		.amdhsa_user_sgpr_kernarg_preload_offset 0
		.amdhsa_user_sgpr_private_segment_size 0
		.amdhsa_uses_dynamic_stack 0
		.amdhsa_enable_private_segment 0
		.amdhsa_system_sgpr_workgroup_id_x 1
		.amdhsa_system_sgpr_workgroup_id_y 0
		.amdhsa_system_sgpr_workgroup_id_z 0
		.amdhsa_system_sgpr_workgroup_info 0
		.amdhsa_system_vgpr_workitem_id 0
		.amdhsa_next_free_vgpr 1
		.amdhsa_next_free_sgpr 0
		.amdhsa_accum_offset 4
		.amdhsa_reserve_vcc 0
		.amdhsa_float_round_mode_32 0
		.amdhsa_float_round_mode_16_64 0
		.amdhsa_float_denorm_mode_32 3
		.amdhsa_float_denorm_mode_16_64 3
		.amdhsa_dx10_clamp 1
		.amdhsa_ieee_mode 1
		.amdhsa_fp16_overflow 0
		.amdhsa_tg_split 0
		.amdhsa_exception_fp_ieee_invalid_op 0
		.amdhsa_exception_fp_denorm_src 0
		.amdhsa_exception_fp_ieee_div_zero 0
		.amdhsa_exception_fp_ieee_overflow 0
		.amdhsa_exception_fp_ieee_underflow 0
		.amdhsa_exception_fp_ieee_inexact 0
		.amdhsa_exception_int_div_zero 0
	.end_amdhsa_kernel
	.section	.text._ZN7rocprim17ROCPRIM_400000_NS6detail17trampoline_kernelINS0_14default_configENS1_38merge_sort_block_merge_config_selectorIbiEEZZNS1_27merge_sort_block_merge_implIS3_N6thrust23THRUST_200600_302600_NS6detail15normal_iteratorINS8_10device_ptrIbEEEENSA_INSB_IiEEEEjNS1_19radix_merge_compareILb1ELb1EbNS0_19identity_decomposerEEEEE10hipError_tT0_T1_T2_jT3_P12ihipStream_tbPNSt15iterator_traitsISK_E10value_typeEPNSQ_ISL_E10value_typeEPSM_NS1_7vsmem_tEENKUlT_SK_SL_SM_E_clISD_PbSF_PiEESJ_SZ_SK_SL_SM_EUlSZ_E_NS1_11comp_targetILNS1_3genE4ELNS1_11target_archE910ELNS1_3gpuE8ELNS1_3repE0EEENS1_48merge_mergepath_partition_config_static_selectorELNS0_4arch9wavefront6targetE1EEEvSL_,"axG",@progbits,_ZN7rocprim17ROCPRIM_400000_NS6detail17trampoline_kernelINS0_14default_configENS1_38merge_sort_block_merge_config_selectorIbiEEZZNS1_27merge_sort_block_merge_implIS3_N6thrust23THRUST_200600_302600_NS6detail15normal_iteratorINS8_10device_ptrIbEEEENSA_INSB_IiEEEEjNS1_19radix_merge_compareILb1ELb1EbNS0_19identity_decomposerEEEEE10hipError_tT0_T1_T2_jT3_P12ihipStream_tbPNSt15iterator_traitsISK_E10value_typeEPNSQ_ISL_E10value_typeEPSM_NS1_7vsmem_tEENKUlT_SK_SL_SM_E_clISD_PbSF_PiEESJ_SZ_SK_SL_SM_EUlSZ_E_NS1_11comp_targetILNS1_3genE4ELNS1_11target_archE910ELNS1_3gpuE8ELNS1_3repE0EEENS1_48merge_mergepath_partition_config_static_selectorELNS0_4arch9wavefront6targetE1EEEvSL_,comdat
.Lfunc_end2179:
	.size	_ZN7rocprim17ROCPRIM_400000_NS6detail17trampoline_kernelINS0_14default_configENS1_38merge_sort_block_merge_config_selectorIbiEEZZNS1_27merge_sort_block_merge_implIS3_N6thrust23THRUST_200600_302600_NS6detail15normal_iteratorINS8_10device_ptrIbEEEENSA_INSB_IiEEEEjNS1_19radix_merge_compareILb1ELb1EbNS0_19identity_decomposerEEEEE10hipError_tT0_T1_T2_jT3_P12ihipStream_tbPNSt15iterator_traitsISK_E10value_typeEPNSQ_ISL_E10value_typeEPSM_NS1_7vsmem_tEENKUlT_SK_SL_SM_E_clISD_PbSF_PiEESJ_SZ_SK_SL_SM_EUlSZ_E_NS1_11comp_targetILNS1_3genE4ELNS1_11target_archE910ELNS1_3gpuE8ELNS1_3repE0EEENS1_48merge_mergepath_partition_config_static_selectorELNS0_4arch9wavefront6targetE1EEEvSL_, .Lfunc_end2179-_ZN7rocprim17ROCPRIM_400000_NS6detail17trampoline_kernelINS0_14default_configENS1_38merge_sort_block_merge_config_selectorIbiEEZZNS1_27merge_sort_block_merge_implIS3_N6thrust23THRUST_200600_302600_NS6detail15normal_iteratorINS8_10device_ptrIbEEEENSA_INSB_IiEEEEjNS1_19radix_merge_compareILb1ELb1EbNS0_19identity_decomposerEEEEE10hipError_tT0_T1_T2_jT3_P12ihipStream_tbPNSt15iterator_traitsISK_E10value_typeEPNSQ_ISL_E10value_typeEPSM_NS1_7vsmem_tEENKUlT_SK_SL_SM_E_clISD_PbSF_PiEESJ_SZ_SK_SL_SM_EUlSZ_E_NS1_11comp_targetILNS1_3genE4ELNS1_11target_archE910ELNS1_3gpuE8ELNS1_3repE0EEENS1_48merge_mergepath_partition_config_static_selectorELNS0_4arch9wavefront6targetE1EEEvSL_
                                        ; -- End function
	.set _ZN7rocprim17ROCPRIM_400000_NS6detail17trampoline_kernelINS0_14default_configENS1_38merge_sort_block_merge_config_selectorIbiEEZZNS1_27merge_sort_block_merge_implIS3_N6thrust23THRUST_200600_302600_NS6detail15normal_iteratorINS8_10device_ptrIbEEEENSA_INSB_IiEEEEjNS1_19radix_merge_compareILb1ELb1EbNS0_19identity_decomposerEEEEE10hipError_tT0_T1_T2_jT3_P12ihipStream_tbPNSt15iterator_traitsISK_E10value_typeEPNSQ_ISL_E10value_typeEPSM_NS1_7vsmem_tEENKUlT_SK_SL_SM_E_clISD_PbSF_PiEESJ_SZ_SK_SL_SM_EUlSZ_E_NS1_11comp_targetILNS1_3genE4ELNS1_11target_archE910ELNS1_3gpuE8ELNS1_3repE0EEENS1_48merge_mergepath_partition_config_static_selectorELNS0_4arch9wavefront6targetE1EEEvSL_.num_vgpr, 0
	.set _ZN7rocprim17ROCPRIM_400000_NS6detail17trampoline_kernelINS0_14default_configENS1_38merge_sort_block_merge_config_selectorIbiEEZZNS1_27merge_sort_block_merge_implIS3_N6thrust23THRUST_200600_302600_NS6detail15normal_iteratorINS8_10device_ptrIbEEEENSA_INSB_IiEEEEjNS1_19radix_merge_compareILb1ELb1EbNS0_19identity_decomposerEEEEE10hipError_tT0_T1_T2_jT3_P12ihipStream_tbPNSt15iterator_traitsISK_E10value_typeEPNSQ_ISL_E10value_typeEPSM_NS1_7vsmem_tEENKUlT_SK_SL_SM_E_clISD_PbSF_PiEESJ_SZ_SK_SL_SM_EUlSZ_E_NS1_11comp_targetILNS1_3genE4ELNS1_11target_archE910ELNS1_3gpuE8ELNS1_3repE0EEENS1_48merge_mergepath_partition_config_static_selectorELNS0_4arch9wavefront6targetE1EEEvSL_.num_agpr, 0
	.set _ZN7rocprim17ROCPRIM_400000_NS6detail17trampoline_kernelINS0_14default_configENS1_38merge_sort_block_merge_config_selectorIbiEEZZNS1_27merge_sort_block_merge_implIS3_N6thrust23THRUST_200600_302600_NS6detail15normal_iteratorINS8_10device_ptrIbEEEENSA_INSB_IiEEEEjNS1_19radix_merge_compareILb1ELb1EbNS0_19identity_decomposerEEEEE10hipError_tT0_T1_T2_jT3_P12ihipStream_tbPNSt15iterator_traitsISK_E10value_typeEPNSQ_ISL_E10value_typeEPSM_NS1_7vsmem_tEENKUlT_SK_SL_SM_E_clISD_PbSF_PiEESJ_SZ_SK_SL_SM_EUlSZ_E_NS1_11comp_targetILNS1_3genE4ELNS1_11target_archE910ELNS1_3gpuE8ELNS1_3repE0EEENS1_48merge_mergepath_partition_config_static_selectorELNS0_4arch9wavefront6targetE1EEEvSL_.numbered_sgpr, 0
	.set _ZN7rocprim17ROCPRIM_400000_NS6detail17trampoline_kernelINS0_14default_configENS1_38merge_sort_block_merge_config_selectorIbiEEZZNS1_27merge_sort_block_merge_implIS3_N6thrust23THRUST_200600_302600_NS6detail15normal_iteratorINS8_10device_ptrIbEEEENSA_INSB_IiEEEEjNS1_19radix_merge_compareILb1ELb1EbNS0_19identity_decomposerEEEEE10hipError_tT0_T1_T2_jT3_P12ihipStream_tbPNSt15iterator_traitsISK_E10value_typeEPNSQ_ISL_E10value_typeEPSM_NS1_7vsmem_tEENKUlT_SK_SL_SM_E_clISD_PbSF_PiEESJ_SZ_SK_SL_SM_EUlSZ_E_NS1_11comp_targetILNS1_3genE4ELNS1_11target_archE910ELNS1_3gpuE8ELNS1_3repE0EEENS1_48merge_mergepath_partition_config_static_selectorELNS0_4arch9wavefront6targetE1EEEvSL_.num_named_barrier, 0
	.set _ZN7rocprim17ROCPRIM_400000_NS6detail17trampoline_kernelINS0_14default_configENS1_38merge_sort_block_merge_config_selectorIbiEEZZNS1_27merge_sort_block_merge_implIS3_N6thrust23THRUST_200600_302600_NS6detail15normal_iteratorINS8_10device_ptrIbEEEENSA_INSB_IiEEEEjNS1_19radix_merge_compareILb1ELb1EbNS0_19identity_decomposerEEEEE10hipError_tT0_T1_T2_jT3_P12ihipStream_tbPNSt15iterator_traitsISK_E10value_typeEPNSQ_ISL_E10value_typeEPSM_NS1_7vsmem_tEENKUlT_SK_SL_SM_E_clISD_PbSF_PiEESJ_SZ_SK_SL_SM_EUlSZ_E_NS1_11comp_targetILNS1_3genE4ELNS1_11target_archE910ELNS1_3gpuE8ELNS1_3repE0EEENS1_48merge_mergepath_partition_config_static_selectorELNS0_4arch9wavefront6targetE1EEEvSL_.private_seg_size, 0
	.set _ZN7rocprim17ROCPRIM_400000_NS6detail17trampoline_kernelINS0_14default_configENS1_38merge_sort_block_merge_config_selectorIbiEEZZNS1_27merge_sort_block_merge_implIS3_N6thrust23THRUST_200600_302600_NS6detail15normal_iteratorINS8_10device_ptrIbEEEENSA_INSB_IiEEEEjNS1_19radix_merge_compareILb1ELb1EbNS0_19identity_decomposerEEEEE10hipError_tT0_T1_T2_jT3_P12ihipStream_tbPNSt15iterator_traitsISK_E10value_typeEPNSQ_ISL_E10value_typeEPSM_NS1_7vsmem_tEENKUlT_SK_SL_SM_E_clISD_PbSF_PiEESJ_SZ_SK_SL_SM_EUlSZ_E_NS1_11comp_targetILNS1_3genE4ELNS1_11target_archE910ELNS1_3gpuE8ELNS1_3repE0EEENS1_48merge_mergepath_partition_config_static_selectorELNS0_4arch9wavefront6targetE1EEEvSL_.uses_vcc, 0
	.set _ZN7rocprim17ROCPRIM_400000_NS6detail17trampoline_kernelINS0_14default_configENS1_38merge_sort_block_merge_config_selectorIbiEEZZNS1_27merge_sort_block_merge_implIS3_N6thrust23THRUST_200600_302600_NS6detail15normal_iteratorINS8_10device_ptrIbEEEENSA_INSB_IiEEEEjNS1_19radix_merge_compareILb1ELb1EbNS0_19identity_decomposerEEEEE10hipError_tT0_T1_T2_jT3_P12ihipStream_tbPNSt15iterator_traitsISK_E10value_typeEPNSQ_ISL_E10value_typeEPSM_NS1_7vsmem_tEENKUlT_SK_SL_SM_E_clISD_PbSF_PiEESJ_SZ_SK_SL_SM_EUlSZ_E_NS1_11comp_targetILNS1_3genE4ELNS1_11target_archE910ELNS1_3gpuE8ELNS1_3repE0EEENS1_48merge_mergepath_partition_config_static_selectorELNS0_4arch9wavefront6targetE1EEEvSL_.uses_flat_scratch, 0
	.set _ZN7rocprim17ROCPRIM_400000_NS6detail17trampoline_kernelINS0_14default_configENS1_38merge_sort_block_merge_config_selectorIbiEEZZNS1_27merge_sort_block_merge_implIS3_N6thrust23THRUST_200600_302600_NS6detail15normal_iteratorINS8_10device_ptrIbEEEENSA_INSB_IiEEEEjNS1_19radix_merge_compareILb1ELb1EbNS0_19identity_decomposerEEEEE10hipError_tT0_T1_T2_jT3_P12ihipStream_tbPNSt15iterator_traitsISK_E10value_typeEPNSQ_ISL_E10value_typeEPSM_NS1_7vsmem_tEENKUlT_SK_SL_SM_E_clISD_PbSF_PiEESJ_SZ_SK_SL_SM_EUlSZ_E_NS1_11comp_targetILNS1_3genE4ELNS1_11target_archE910ELNS1_3gpuE8ELNS1_3repE0EEENS1_48merge_mergepath_partition_config_static_selectorELNS0_4arch9wavefront6targetE1EEEvSL_.has_dyn_sized_stack, 0
	.set _ZN7rocprim17ROCPRIM_400000_NS6detail17trampoline_kernelINS0_14default_configENS1_38merge_sort_block_merge_config_selectorIbiEEZZNS1_27merge_sort_block_merge_implIS3_N6thrust23THRUST_200600_302600_NS6detail15normal_iteratorINS8_10device_ptrIbEEEENSA_INSB_IiEEEEjNS1_19radix_merge_compareILb1ELb1EbNS0_19identity_decomposerEEEEE10hipError_tT0_T1_T2_jT3_P12ihipStream_tbPNSt15iterator_traitsISK_E10value_typeEPNSQ_ISL_E10value_typeEPSM_NS1_7vsmem_tEENKUlT_SK_SL_SM_E_clISD_PbSF_PiEESJ_SZ_SK_SL_SM_EUlSZ_E_NS1_11comp_targetILNS1_3genE4ELNS1_11target_archE910ELNS1_3gpuE8ELNS1_3repE0EEENS1_48merge_mergepath_partition_config_static_selectorELNS0_4arch9wavefront6targetE1EEEvSL_.has_recursion, 0
	.set _ZN7rocprim17ROCPRIM_400000_NS6detail17trampoline_kernelINS0_14default_configENS1_38merge_sort_block_merge_config_selectorIbiEEZZNS1_27merge_sort_block_merge_implIS3_N6thrust23THRUST_200600_302600_NS6detail15normal_iteratorINS8_10device_ptrIbEEEENSA_INSB_IiEEEEjNS1_19radix_merge_compareILb1ELb1EbNS0_19identity_decomposerEEEEE10hipError_tT0_T1_T2_jT3_P12ihipStream_tbPNSt15iterator_traitsISK_E10value_typeEPNSQ_ISL_E10value_typeEPSM_NS1_7vsmem_tEENKUlT_SK_SL_SM_E_clISD_PbSF_PiEESJ_SZ_SK_SL_SM_EUlSZ_E_NS1_11comp_targetILNS1_3genE4ELNS1_11target_archE910ELNS1_3gpuE8ELNS1_3repE0EEENS1_48merge_mergepath_partition_config_static_selectorELNS0_4arch9wavefront6targetE1EEEvSL_.has_indirect_call, 0
	.section	.AMDGPU.csdata,"",@progbits
; Kernel info:
; codeLenInByte = 0
; TotalNumSgprs: 6
; NumVgprs: 0
; NumAgprs: 0
; TotalNumVgprs: 0
; ScratchSize: 0
; MemoryBound: 0
; FloatMode: 240
; IeeeMode: 1
; LDSByteSize: 0 bytes/workgroup (compile time only)
; SGPRBlocks: 0
; VGPRBlocks: 0
; NumSGPRsForWavesPerEU: 6
; NumVGPRsForWavesPerEU: 1
; AccumOffset: 4
; Occupancy: 8
; WaveLimiterHint : 0
; COMPUTE_PGM_RSRC2:SCRATCH_EN: 0
; COMPUTE_PGM_RSRC2:USER_SGPR: 2
; COMPUTE_PGM_RSRC2:TRAP_HANDLER: 0
; COMPUTE_PGM_RSRC2:TGID_X_EN: 1
; COMPUTE_PGM_RSRC2:TGID_Y_EN: 0
; COMPUTE_PGM_RSRC2:TGID_Z_EN: 0
; COMPUTE_PGM_RSRC2:TIDIG_COMP_CNT: 0
; COMPUTE_PGM_RSRC3_GFX90A:ACCUM_OFFSET: 0
; COMPUTE_PGM_RSRC3_GFX90A:TG_SPLIT: 0
	.section	.text._ZN7rocprim17ROCPRIM_400000_NS6detail17trampoline_kernelINS0_14default_configENS1_38merge_sort_block_merge_config_selectorIbiEEZZNS1_27merge_sort_block_merge_implIS3_N6thrust23THRUST_200600_302600_NS6detail15normal_iteratorINS8_10device_ptrIbEEEENSA_INSB_IiEEEEjNS1_19radix_merge_compareILb1ELb1EbNS0_19identity_decomposerEEEEE10hipError_tT0_T1_T2_jT3_P12ihipStream_tbPNSt15iterator_traitsISK_E10value_typeEPNSQ_ISL_E10value_typeEPSM_NS1_7vsmem_tEENKUlT_SK_SL_SM_E_clISD_PbSF_PiEESJ_SZ_SK_SL_SM_EUlSZ_E_NS1_11comp_targetILNS1_3genE3ELNS1_11target_archE908ELNS1_3gpuE7ELNS1_3repE0EEENS1_48merge_mergepath_partition_config_static_selectorELNS0_4arch9wavefront6targetE1EEEvSL_,"axG",@progbits,_ZN7rocprim17ROCPRIM_400000_NS6detail17trampoline_kernelINS0_14default_configENS1_38merge_sort_block_merge_config_selectorIbiEEZZNS1_27merge_sort_block_merge_implIS3_N6thrust23THRUST_200600_302600_NS6detail15normal_iteratorINS8_10device_ptrIbEEEENSA_INSB_IiEEEEjNS1_19radix_merge_compareILb1ELb1EbNS0_19identity_decomposerEEEEE10hipError_tT0_T1_T2_jT3_P12ihipStream_tbPNSt15iterator_traitsISK_E10value_typeEPNSQ_ISL_E10value_typeEPSM_NS1_7vsmem_tEENKUlT_SK_SL_SM_E_clISD_PbSF_PiEESJ_SZ_SK_SL_SM_EUlSZ_E_NS1_11comp_targetILNS1_3genE3ELNS1_11target_archE908ELNS1_3gpuE7ELNS1_3repE0EEENS1_48merge_mergepath_partition_config_static_selectorELNS0_4arch9wavefront6targetE1EEEvSL_,comdat
	.protected	_ZN7rocprim17ROCPRIM_400000_NS6detail17trampoline_kernelINS0_14default_configENS1_38merge_sort_block_merge_config_selectorIbiEEZZNS1_27merge_sort_block_merge_implIS3_N6thrust23THRUST_200600_302600_NS6detail15normal_iteratorINS8_10device_ptrIbEEEENSA_INSB_IiEEEEjNS1_19radix_merge_compareILb1ELb1EbNS0_19identity_decomposerEEEEE10hipError_tT0_T1_T2_jT3_P12ihipStream_tbPNSt15iterator_traitsISK_E10value_typeEPNSQ_ISL_E10value_typeEPSM_NS1_7vsmem_tEENKUlT_SK_SL_SM_E_clISD_PbSF_PiEESJ_SZ_SK_SL_SM_EUlSZ_E_NS1_11comp_targetILNS1_3genE3ELNS1_11target_archE908ELNS1_3gpuE7ELNS1_3repE0EEENS1_48merge_mergepath_partition_config_static_selectorELNS0_4arch9wavefront6targetE1EEEvSL_ ; -- Begin function _ZN7rocprim17ROCPRIM_400000_NS6detail17trampoline_kernelINS0_14default_configENS1_38merge_sort_block_merge_config_selectorIbiEEZZNS1_27merge_sort_block_merge_implIS3_N6thrust23THRUST_200600_302600_NS6detail15normal_iteratorINS8_10device_ptrIbEEEENSA_INSB_IiEEEEjNS1_19radix_merge_compareILb1ELb1EbNS0_19identity_decomposerEEEEE10hipError_tT0_T1_T2_jT3_P12ihipStream_tbPNSt15iterator_traitsISK_E10value_typeEPNSQ_ISL_E10value_typeEPSM_NS1_7vsmem_tEENKUlT_SK_SL_SM_E_clISD_PbSF_PiEESJ_SZ_SK_SL_SM_EUlSZ_E_NS1_11comp_targetILNS1_3genE3ELNS1_11target_archE908ELNS1_3gpuE7ELNS1_3repE0EEENS1_48merge_mergepath_partition_config_static_selectorELNS0_4arch9wavefront6targetE1EEEvSL_
	.globl	_ZN7rocprim17ROCPRIM_400000_NS6detail17trampoline_kernelINS0_14default_configENS1_38merge_sort_block_merge_config_selectorIbiEEZZNS1_27merge_sort_block_merge_implIS3_N6thrust23THRUST_200600_302600_NS6detail15normal_iteratorINS8_10device_ptrIbEEEENSA_INSB_IiEEEEjNS1_19radix_merge_compareILb1ELb1EbNS0_19identity_decomposerEEEEE10hipError_tT0_T1_T2_jT3_P12ihipStream_tbPNSt15iterator_traitsISK_E10value_typeEPNSQ_ISL_E10value_typeEPSM_NS1_7vsmem_tEENKUlT_SK_SL_SM_E_clISD_PbSF_PiEESJ_SZ_SK_SL_SM_EUlSZ_E_NS1_11comp_targetILNS1_3genE3ELNS1_11target_archE908ELNS1_3gpuE7ELNS1_3repE0EEENS1_48merge_mergepath_partition_config_static_selectorELNS0_4arch9wavefront6targetE1EEEvSL_
	.p2align	8
	.type	_ZN7rocprim17ROCPRIM_400000_NS6detail17trampoline_kernelINS0_14default_configENS1_38merge_sort_block_merge_config_selectorIbiEEZZNS1_27merge_sort_block_merge_implIS3_N6thrust23THRUST_200600_302600_NS6detail15normal_iteratorINS8_10device_ptrIbEEEENSA_INSB_IiEEEEjNS1_19radix_merge_compareILb1ELb1EbNS0_19identity_decomposerEEEEE10hipError_tT0_T1_T2_jT3_P12ihipStream_tbPNSt15iterator_traitsISK_E10value_typeEPNSQ_ISL_E10value_typeEPSM_NS1_7vsmem_tEENKUlT_SK_SL_SM_E_clISD_PbSF_PiEESJ_SZ_SK_SL_SM_EUlSZ_E_NS1_11comp_targetILNS1_3genE3ELNS1_11target_archE908ELNS1_3gpuE7ELNS1_3repE0EEENS1_48merge_mergepath_partition_config_static_selectorELNS0_4arch9wavefront6targetE1EEEvSL_,@function
_ZN7rocprim17ROCPRIM_400000_NS6detail17trampoline_kernelINS0_14default_configENS1_38merge_sort_block_merge_config_selectorIbiEEZZNS1_27merge_sort_block_merge_implIS3_N6thrust23THRUST_200600_302600_NS6detail15normal_iteratorINS8_10device_ptrIbEEEENSA_INSB_IiEEEEjNS1_19radix_merge_compareILb1ELb1EbNS0_19identity_decomposerEEEEE10hipError_tT0_T1_T2_jT3_P12ihipStream_tbPNSt15iterator_traitsISK_E10value_typeEPNSQ_ISL_E10value_typeEPSM_NS1_7vsmem_tEENKUlT_SK_SL_SM_E_clISD_PbSF_PiEESJ_SZ_SK_SL_SM_EUlSZ_E_NS1_11comp_targetILNS1_3genE3ELNS1_11target_archE908ELNS1_3gpuE7ELNS1_3repE0EEENS1_48merge_mergepath_partition_config_static_selectorELNS0_4arch9wavefront6targetE1EEEvSL_: ; @_ZN7rocprim17ROCPRIM_400000_NS6detail17trampoline_kernelINS0_14default_configENS1_38merge_sort_block_merge_config_selectorIbiEEZZNS1_27merge_sort_block_merge_implIS3_N6thrust23THRUST_200600_302600_NS6detail15normal_iteratorINS8_10device_ptrIbEEEENSA_INSB_IiEEEEjNS1_19radix_merge_compareILb1ELb1EbNS0_19identity_decomposerEEEEE10hipError_tT0_T1_T2_jT3_P12ihipStream_tbPNSt15iterator_traitsISK_E10value_typeEPNSQ_ISL_E10value_typeEPSM_NS1_7vsmem_tEENKUlT_SK_SL_SM_E_clISD_PbSF_PiEESJ_SZ_SK_SL_SM_EUlSZ_E_NS1_11comp_targetILNS1_3genE3ELNS1_11target_archE908ELNS1_3gpuE7ELNS1_3repE0EEENS1_48merge_mergepath_partition_config_static_selectorELNS0_4arch9wavefront6targetE1EEEvSL_
; %bb.0:
	.section	.rodata,"a",@progbits
	.p2align	6, 0x0
	.amdhsa_kernel _ZN7rocprim17ROCPRIM_400000_NS6detail17trampoline_kernelINS0_14default_configENS1_38merge_sort_block_merge_config_selectorIbiEEZZNS1_27merge_sort_block_merge_implIS3_N6thrust23THRUST_200600_302600_NS6detail15normal_iteratorINS8_10device_ptrIbEEEENSA_INSB_IiEEEEjNS1_19radix_merge_compareILb1ELb1EbNS0_19identity_decomposerEEEEE10hipError_tT0_T1_T2_jT3_P12ihipStream_tbPNSt15iterator_traitsISK_E10value_typeEPNSQ_ISL_E10value_typeEPSM_NS1_7vsmem_tEENKUlT_SK_SL_SM_E_clISD_PbSF_PiEESJ_SZ_SK_SL_SM_EUlSZ_E_NS1_11comp_targetILNS1_3genE3ELNS1_11target_archE908ELNS1_3gpuE7ELNS1_3repE0EEENS1_48merge_mergepath_partition_config_static_selectorELNS0_4arch9wavefront6targetE1EEEvSL_
		.amdhsa_group_segment_fixed_size 0
		.amdhsa_private_segment_fixed_size 0
		.amdhsa_kernarg_size 40
		.amdhsa_user_sgpr_count 2
		.amdhsa_user_sgpr_dispatch_ptr 0
		.amdhsa_user_sgpr_queue_ptr 0
		.amdhsa_user_sgpr_kernarg_segment_ptr 1
		.amdhsa_user_sgpr_dispatch_id 0
		.amdhsa_user_sgpr_kernarg_preload_length 0
		.amdhsa_user_sgpr_kernarg_preload_offset 0
		.amdhsa_user_sgpr_private_segment_size 0
		.amdhsa_uses_dynamic_stack 0
		.amdhsa_enable_private_segment 0
		.amdhsa_system_sgpr_workgroup_id_x 1
		.amdhsa_system_sgpr_workgroup_id_y 0
		.amdhsa_system_sgpr_workgroup_id_z 0
		.amdhsa_system_sgpr_workgroup_info 0
		.amdhsa_system_vgpr_workitem_id 0
		.amdhsa_next_free_vgpr 1
		.amdhsa_next_free_sgpr 0
		.amdhsa_accum_offset 4
		.amdhsa_reserve_vcc 0
		.amdhsa_float_round_mode_32 0
		.amdhsa_float_round_mode_16_64 0
		.amdhsa_float_denorm_mode_32 3
		.amdhsa_float_denorm_mode_16_64 3
		.amdhsa_dx10_clamp 1
		.amdhsa_ieee_mode 1
		.amdhsa_fp16_overflow 0
		.amdhsa_tg_split 0
		.amdhsa_exception_fp_ieee_invalid_op 0
		.amdhsa_exception_fp_denorm_src 0
		.amdhsa_exception_fp_ieee_div_zero 0
		.amdhsa_exception_fp_ieee_overflow 0
		.amdhsa_exception_fp_ieee_underflow 0
		.amdhsa_exception_fp_ieee_inexact 0
		.amdhsa_exception_int_div_zero 0
	.end_amdhsa_kernel
	.section	.text._ZN7rocprim17ROCPRIM_400000_NS6detail17trampoline_kernelINS0_14default_configENS1_38merge_sort_block_merge_config_selectorIbiEEZZNS1_27merge_sort_block_merge_implIS3_N6thrust23THRUST_200600_302600_NS6detail15normal_iteratorINS8_10device_ptrIbEEEENSA_INSB_IiEEEEjNS1_19radix_merge_compareILb1ELb1EbNS0_19identity_decomposerEEEEE10hipError_tT0_T1_T2_jT3_P12ihipStream_tbPNSt15iterator_traitsISK_E10value_typeEPNSQ_ISL_E10value_typeEPSM_NS1_7vsmem_tEENKUlT_SK_SL_SM_E_clISD_PbSF_PiEESJ_SZ_SK_SL_SM_EUlSZ_E_NS1_11comp_targetILNS1_3genE3ELNS1_11target_archE908ELNS1_3gpuE7ELNS1_3repE0EEENS1_48merge_mergepath_partition_config_static_selectorELNS0_4arch9wavefront6targetE1EEEvSL_,"axG",@progbits,_ZN7rocprim17ROCPRIM_400000_NS6detail17trampoline_kernelINS0_14default_configENS1_38merge_sort_block_merge_config_selectorIbiEEZZNS1_27merge_sort_block_merge_implIS3_N6thrust23THRUST_200600_302600_NS6detail15normal_iteratorINS8_10device_ptrIbEEEENSA_INSB_IiEEEEjNS1_19radix_merge_compareILb1ELb1EbNS0_19identity_decomposerEEEEE10hipError_tT0_T1_T2_jT3_P12ihipStream_tbPNSt15iterator_traitsISK_E10value_typeEPNSQ_ISL_E10value_typeEPSM_NS1_7vsmem_tEENKUlT_SK_SL_SM_E_clISD_PbSF_PiEESJ_SZ_SK_SL_SM_EUlSZ_E_NS1_11comp_targetILNS1_3genE3ELNS1_11target_archE908ELNS1_3gpuE7ELNS1_3repE0EEENS1_48merge_mergepath_partition_config_static_selectorELNS0_4arch9wavefront6targetE1EEEvSL_,comdat
.Lfunc_end2180:
	.size	_ZN7rocprim17ROCPRIM_400000_NS6detail17trampoline_kernelINS0_14default_configENS1_38merge_sort_block_merge_config_selectorIbiEEZZNS1_27merge_sort_block_merge_implIS3_N6thrust23THRUST_200600_302600_NS6detail15normal_iteratorINS8_10device_ptrIbEEEENSA_INSB_IiEEEEjNS1_19radix_merge_compareILb1ELb1EbNS0_19identity_decomposerEEEEE10hipError_tT0_T1_T2_jT3_P12ihipStream_tbPNSt15iterator_traitsISK_E10value_typeEPNSQ_ISL_E10value_typeEPSM_NS1_7vsmem_tEENKUlT_SK_SL_SM_E_clISD_PbSF_PiEESJ_SZ_SK_SL_SM_EUlSZ_E_NS1_11comp_targetILNS1_3genE3ELNS1_11target_archE908ELNS1_3gpuE7ELNS1_3repE0EEENS1_48merge_mergepath_partition_config_static_selectorELNS0_4arch9wavefront6targetE1EEEvSL_, .Lfunc_end2180-_ZN7rocprim17ROCPRIM_400000_NS6detail17trampoline_kernelINS0_14default_configENS1_38merge_sort_block_merge_config_selectorIbiEEZZNS1_27merge_sort_block_merge_implIS3_N6thrust23THRUST_200600_302600_NS6detail15normal_iteratorINS8_10device_ptrIbEEEENSA_INSB_IiEEEEjNS1_19radix_merge_compareILb1ELb1EbNS0_19identity_decomposerEEEEE10hipError_tT0_T1_T2_jT3_P12ihipStream_tbPNSt15iterator_traitsISK_E10value_typeEPNSQ_ISL_E10value_typeEPSM_NS1_7vsmem_tEENKUlT_SK_SL_SM_E_clISD_PbSF_PiEESJ_SZ_SK_SL_SM_EUlSZ_E_NS1_11comp_targetILNS1_3genE3ELNS1_11target_archE908ELNS1_3gpuE7ELNS1_3repE0EEENS1_48merge_mergepath_partition_config_static_selectorELNS0_4arch9wavefront6targetE1EEEvSL_
                                        ; -- End function
	.set _ZN7rocprim17ROCPRIM_400000_NS6detail17trampoline_kernelINS0_14default_configENS1_38merge_sort_block_merge_config_selectorIbiEEZZNS1_27merge_sort_block_merge_implIS3_N6thrust23THRUST_200600_302600_NS6detail15normal_iteratorINS8_10device_ptrIbEEEENSA_INSB_IiEEEEjNS1_19radix_merge_compareILb1ELb1EbNS0_19identity_decomposerEEEEE10hipError_tT0_T1_T2_jT3_P12ihipStream_tbPNSt15iterator_traitsISK_E10value_typeEPNSQ_ISL_E10value_typeEPSM_NS1_7vsmem_tEENKUlT_SK_SL_SM_E_clISD_PbSF_PiEESJ_SZ_SK_SL_SM_EUlSZ_E_NS1_11comp_targetILNS1_3genE3ELNS1_11target_archE908ELNS1_3gpuE7ELNS1_3repE0EEENS1_48merge_mergepath_partition_config_static_selectorELNS0_4arch9wavefront6targetE1EEEvSL_.num_vgpr, 0
	.set _ZN7rocprim17ROCPRIM_400000_NS6detail17trampoline_kernelINS0_14default_configENS1_38merge_sort_block_merge_config_selectorIbiEEZZNS1_27merge_sort_block_merge_implIS3_N6thrust23THRUST_200600_302600_NS6detail15normal_iteratorINS8_10device_ptrIbEEEENSA_INSB_IiEEEEjNS1_19radix_merge_compareILb1ELb1EbNS0_19identity_decomposerEEEEE10hipError_tT0_T1_T2_jT3_P12ihipStream_tbPNSt15iterator_traitsISK_E10value_typeEPNSQ_ISL_E10value_typeEPSM_NS1_7vsmem_tEENKUlT_SK_SL_SM_E_clISD_PbSF_PiEESJ_SZ_SK_SL_SM_EUlSZ_E_NS1_11comp_targetILNS1_3genE3ELNS1_11target_archE908ELNS1_3gpuE7ELNS1_3repE0EEENS1_48merge_mergepath_partition_config_static_selectorELNS0_4arch9wavefront6targetE1EEEvSL_.num_agpr, 0
	.set _ZN7rocprim17ROCPRIM_400000_NS6detail17trampoline_kernelINS0_14default_configENS1_38merge_sort_block_merge_config_selectorIbiEEZZNS1_27merge_sort_block_merge_implIS3_N6thrust23THRUST_200600_302600_NS6detail15normal_iteratorINS8_10device_ptrIbEEEENSA_INSB_IiEEEEjNS1_19radix_merge_compareILb1ELb1EbNS0_19identity_decomposerEEEEE10hipError_tT0_T1_T2_jT3_P12ihipStream_tbPNSt15iterator_traitsISK_E10value_typeEPNSQ_ISL_E10value_typeEPSM_NS1_7vsmem_tEENKUlT_SK_SL_SM_E_clISD_PbSF_PiEESJ_SZ_SK_SL_SM_EUlSZ_E_NS1_11comp_targetILNS1_3genE3ELNS1_11target_archE908ELNS1_3gpuE7ELNS1_3repE0EEENS1_48merge_mergepath_partition_config_static_selectorELNS0_4arch9wavefront6targetE1EEEvSL_.numbered_sgpr, 0
	.set _ZN7rocprim17ROCPRIM_400000_NS6detail17trampoline_kernelINS0_14default_configENS1_38merge_sort_block_merge_config_selectorIbiEEZZNS1_27merge_sort_block_merge_implIS3_N6thrust23THRUST_200600_302600_NS6detail15normal_iteratorINS8_10device_ptrIbEEEENSA_INSB_IiEEEEjNS1_19radix_merge_compareILb1ELb1EbNS0_19identity_decomposerEEEEE10hipError_tT0_T1_T2_jT3_P12ihipStream_tbPNSt15iterator_traitsISK_E10value_typeEPNSQ_ISL_E10value_typeEPSM_NS1_7vsmem_tEENKUlT_SK_SL_SM_E_clISD_PbSF_PiEESJ_SZ_SK_SL_SM_EUlSZ_E_NS1_11comp_targetILNS1_3genE3ELNS1_11target_archE908ELNS1_3gpuE7ELNS1_3repE0EEENS1_48merge_mergepath_partition_config_static_selectorELNS0_4arch9wavefront6targetE1EEEvSL_.num_named_barrier, 0
	.set _ZN7rocprim17ROCPRIM_400000_NS6detail17trampoline_kernelINS0_14default_configENS1_38merge_sort_block_merge_config_selectorIbiEEZZNS1_27merge_sort_block_merge_implIS3_N6thrust23THRUST_200600_302600_NS6detail15normal_iteratorINS8_10device_ptrIbEEEENSA_INSB_IiEEEEjNS1_19radix_merge_compareILb1ELb1EbNS0_19identity_decomposerEEEEE10hipError_tT0_T1_T2_jT3_P12ihipStream_tbPNSt15iterator_traitsISK_E10value_typeEPNSQ_ISL_E10value_typeEPSM_NS1_7vsmem_tEENKUlT_SK_SL_SM_E_clISD_PbSF_PiEESJ_SZ_SK_SL_SM_EUlSZ_E_NS1_11comp_targetILNS1_3genE3ELNS1_11target_archE908ELNS1_3gpuE7ELNS1_3repE0EEENS1_48merge_mergepath_partition_config_static_selectorELNS0_4arch9wavefront6targetE1EEEvSL_.private_seg_size, 0
	.set _ZN7rocprim17ROCPRIM_400000_NS6detail17trampoline_kernelINS0_14default_configENS1_38merge_sort_block_merge_config_selectorIbiEEZZNS1_27merge_sort_block_merge_implIS3_N6thrust23THRUST_200600_302600_NS6detail15normal_iteratorINS8_10device_ptrIbEEEENSA_INSB_IiEEEEjNS1_19radix_merge_compareILb1ELb1EbNS0_19identity_decomposerEEEEE10hipError_tT0_T1_T2_jT3_P12ihipStream_tbPNSt15iterator_traitsISK_E10value_typeEPNSQ_ISL_E10value_typeEPSM_NS1_7vsmem_tEENKUlT_SK_SL_SM_E_clISD_PbSF_PiEESJ_SZ_SK_SL_SM_EUlSZ_E_NS1_11comp_targetILNS1_3genE3ELNS1_11target_archE908ELNS1_3gpuE7ELNS1_3repE0EEENS1_48merge_mergepath_partition_config_static_selectorELNS0_4arch9wavefront6targetE1EEEvSL_.uses_vcc, 0
	.set _ZN7rocprim17ROCPRIM_400000_NS6detail17trampoline_kernelINS0_14default_configENS1_38merge_sort_block_merge_config_selectorIbiEEZZNS1_27merge_sort_block_merge_implIS3_N6thrust23THRUST_200600_302600_NS6detail15normal_iteratorINS8_10device_ptrIbEEEENSA_INSB_IiEEEEjNS1_19radix_merge_compareILb1ELb1EbNS0_19identity_decomposerEEEEE10hipError_tT0_T1_T2_jT3_P12ihipStream_tbPNSt15iterator_traitsISK_E10value_typeEPNSQ_ISL_E10value_typeEPSM_NS1_7vsmem_tEENKUlT_SK_SL_SM_E_clISD_PbSF_PiEESJ_SZ_SK_SL_SM_EUlSZ_E_NS1_11comp_targetILNS1_3genE3ELNS1_11target_archE908ELNS1_3gpuE7ELNS1_3repE0EEENS1_48merge_mergepath_partition_config_static_selectorELNS0_4arch9wavefront6targetE1EEEvSL_.uses_flat_scratch, 0
	.set _ZN7rocprim17ROCPRIM_400000_NS6detail17trampoline_kernelINS0_14default_configENS1_38merge_sort_block_merge_config_selectorIbiEEZZNS1_27merge_sort_block_merge_implIS3_N6thrust23THRUST_200600_302600_NS6detail15normal_iteratorINS8_10device_ptrIbEEEENSA_INSB_IiEEEEjNS1_19radix_merge_compareILb1ELb1EbNS0_19identity_decomposerEEEEE10hipError_tT0_T1_T2_jT3_P12ihipStream_tbPNSt15iterator_traitsISK_E10value_typeEPNSQ_ISL_E10value_typeEPSM_NS1_7vsmem_tEENKUlT_SK_SL_SM_E_clISD_PbSF_PiEESJ_SZ_SK_SL_SM_EUlSZ_E_NS1_11comp_targetILNS1_3genE3ELNS1_11target_archE908ELNS1_3gpuE7ELNS1_3repE0EEENS1_48merge_mergepath_partition_config_static_selectorELNS0_4arch9wavefront6targetE1EEEvSL_.has_dyn_sized_stack, 0
	.set _ZN7rocprim17ROCPRIM_400000_NS6detail17trampoline_kernelINS0_14default_configENS1_38merge_sort_block_merge_config_selectorIbiEEZZNS1_27merge_sort_block_merge_implIS3_N6thrust23THRUST_200600_302600_NS6detail15normal_iteratorINS8_10device_ptrIbEEEENSA_INSB_IiEEEEjNS1_19radix_merge_compareILb1ELb1EbNS0_19identity_decomposerEEEEE10hipError_tT0_T1_T2_jT3_P12ihipStream_tbPNSt15iterator_traitsISK_E10value_typeEPNSQ_ISL_E10value_typeEPSM_NS1_7vsmem_tEENKUlT_SK_SL_SM_E_clISD_PbSF_PiEESJ_SZ_SK_SL_SM_EUlSZ_E_NS1_11comp_targetILNS1_3genE3ELNS1_11target_archE908ELNS1_3gpuE7ELNS1_3repE0EEENS1_48merge_mergepath_partition_config_static_selectorELNS0_4arch9wavefront6targetE1EEEvSL_.has_recursion, 0
	.set _ZN7rocprim17ROCPRIM_400000_NS6detail17trampoline_kernelINS0_14default_configENS1_38merge_sort_block_merge_config_selectorIbiEEZZNS1_27merge_sort_block_merge_implIS3_N6thrust23THRUST_200600_302600_NS6detail15normal_iteratorINS8_10device_ptrIbEEEENSA_INSB_IiEEEEjNS1_19radix_merge_compareILb1ELb1EbNS0_19identity_decomposerEEEEE10hipError_tT0_T1_T2_jT3_P12ihipStream_tbPNSt15iterator_traitsISK_E10value_typeEPNSQ_ISL_E10value_typeEPSM_NS1_7vsmem_tEENKUlT_SK_SL_SM_E_clISD_PbSF_PiEESJ_SZ_SK_SL_SM_EUlSZ_E_NS1_11comp_targetILNS1_3genE3ELNS1_11target_archE908ELNS1_3gpuE7ELNS1_3repE0EEENS1_48merge_mergepath_partition_config_static_selectorELNS0_4arch9wavefront6targetE1EEEvSL_.has_indirect_call, 0
	.section	.AMDGPU.csdata,"",@progbits
; Kernel info:
; codeLenInByte = 0
; TotalNumSgprs: 6
; NumVgprs: 0
; NumAgprs: 0
; TotalNumVgprs: 0
; ScratchSize: 0
; MemoryBound: 0
; FloatMode: 240
; IeeeMode: 1
; LDSByteSize: 0 bytes/workgroup (compile time only)
; SGPRBlocks: 0
; VGPRBlocks: 0
; NumSGPRsForWavesPerEU: 6
; NumVGPRsForWavesPerEU: 1
; AccumOffset: 4
; Occupancy: 8
; WaveLimiterHint : 0
; COMPUTE_PGM_RSRC2:SCRATCH_EN: 0
; COMPUTE_PGM_RSRC2:USER_SGPR: 2
; COMPUTE_PGM_RSRC2:TRAP_HANDLER: 0
; COMPUTE_PGM_RSRC2:TGID_X_EN: 1
; COMPUTE_PGM_RSRC2:TGID_Y_EN: 0
; COMPUTE_PGM_RSRC2:TGID_Z_EN: 0
; COMPUTE_PGM_RSRC2:TIDIG_COMP_CNT: 0
; COMPUTE_PGM_RSRC3_GFX90A:ACCUM_OFFSET: 0
; COMPUTE_PGM_RSRC3_GFX90A:TG_SPLIT: 0
	.section	.text._ZN7rocprim17ROCPRIM_400000_NS6detail17trampoline_kernelINS0_14default_configENS1_38merge_sort_block_merge_config_selectorIbiEEZZNS1_27merge_sort_block_merge_implIS3_N6thrust23THRUST_200600_302600_NS6detail15normal_iteratorINS8_10device_ptrIbEEEENSA_INSB_IiEEEEjNS1_19radix_merge_compareILb1ELb1EbNS0_19identity_decomposerEEEEE10hipError_tT0_T1_T2_jT3_P12ihipStream_tbPNSt15iterator_traitsISK_E10value_typeEPNSQ_ISL_E10value_typeEPSM_NS1_7vsmem_tEENKUlT_SK_SL_SM_E_clISD_PbSF_PiEESJ_SZ_SK_SL_SM_EUlSZ_E_NS1_11comp_targetILNS1_3genE2ELNS1_11target_archE906ELNS1_3gpuE6ELNS1_3repE0EEENS1_48merge_mergepath_partition_config_static_selectorELNS0_4arch9wavefront6targetE1EEEvSL_,"axG",@progbits,_ZN7rocprim17ROCPRIM_400000_NS6detail17trampoline_kernelINS0_14default_configENS1_38merge_sort_block_merge_config_selectorIbiEEZZNS1_27merge_sort_block_merge_implIS3_N6thrust23THRUST_200600_302600_NS6detail15normal_iteratorINS8_10device_ptrIbEEEENSA_INSB_IiEEEEjNS1_19radix_merge_compareILb1ELb1EbNS0_19identity_decomposerEEEEE10hipError_tT0_T1_T2_jT3_P12ihipStream_tbPNSt15iterator_traitsISK_E10value_typeEPNSQ_ISL_E10value_typeEPSM_NS1_7vsmem_tEENKUlT_SK_SL_SM_E_clISD_PbSF_PiEESJ_SZ_SK_SL_SM_EUlSZ_E_NS1_11comp_targetILNS1_3genE2ELNS1_11target_archE906ELNS1_3gpuE6ELNS1_3repE0EEENS1_48merge_mergepath_partition_config_static_selectorELNS0_4arch9wavefront6targetE1EEEvSL_,comdat
	.protected	_ZN7rocprim17ROCPRIM_400000_NS6detail17trampoline_kernelINS0_14default_configENS1_38merge_sort_block_merge_config_selectorIbiEEZZNS1_27merge_sort_block_merge_implIS3_N6thrust23THRUST_200600_302600_NS6detail15normal_iteratorINS8_10device_ptrIbEEEENSA_INSB_IiEEEEjNS1_19radix_merge_compareILb1ELb1EbNS0_19identity_decomposerEEEEE10hipError_tT0_T1_T2_jT3_P12ihipStream_tbPNSt15iterator_traitsISK_E10value_typeEPNSQ_ISL_E10value_typeEPSM_NS1_7vsmem_tEENKUlT_SK_SL_SM_E_clISD_PbSF_PiEESJ_SZ_SK_SL_SM_EUlSZ_E_NS1_11comp_targetILNS1_3genE2ELNS1_11target_archE906ELNS1_3gpuE6ELNS1_3repE0EEENS1_48merge_mergepath_partition_config_static_selectorELNS0_4arch9wavefront6targetE1EEEvSL_ ; -- Begin function _ZN7rocprim17ROCPRIM_400000_NS6detail17trampoline_kernelINS0_14default_configENS1_38merge_sort_block_merge_config_selectorIbiEEZZNS1_27merge_sort_block_merge_implIS3_N6thrust23THRUST_200600_302600_NS6detail15normal_iteratorINS8_10device_ptrIbEEEENSA_INSB_IiEEEEjNS1_19radix_merge_compareILb1ELb1EbNS0_19identity_decomposerEEEEE10hipError_tT0_T1_T2_jT3_P12ihipStream_tbPNSt15iterator_traitsISK_E10value_typeEPNSQ_ISL_E10value_typeEPSM_NS1_7vsmem_tEENKUlT_SK_SL_SM_E_clISD_PbSF_PiEESJ_SZ_SK_SL_SM_EUlSZ_E_NS1_11comp_targetILNS1_3genE2ELNS1_11target_archE906ELNS1_3gpuE6ELNS1_3repE0EEENS1_48merge_mergepath_partition_config_static_selectorELNS0_4arch9wavefront6targetE1EEEvSL_
	.globl	_ZN7rocprim17ROCPRIM_400000_NS6detail17trampoline_kernelINS0_14default_configENS1_38merge_sort_block_merge_config_selectorIbiEEZZNS1_27merge_sort_block_merge_implIS3_N6thrust23THRUST_200600_302600_NS6detail15normal_iteratorINS8_10device_ptrIbEEEENSA_INSB_IiEEEEjNS1_19radix_merge_compareILb1ELb1EbNS0_19identity_decomposerEEEEE10hipError_tT0_T1_T2_jT3_P12ihipStream_tbPNSt15iterator_traitsISK_E10value_typeEPNSQ_ISL_E10value_typeEPSM_NS1_7vsmem_tEENKUlT_SK_SL_SM_E_clISD_PbSF_PiEESJ_SZ_SK_SL_SM_EUlSZ_E_NS1_11comp_targetILNS1_3genE2ELNS1_11target_archE906ELNS1_3gpuE6ELNS1_3repE0EEENS1_48merge_mergepath_partition_config_static_selectorELNS0_4arch9wavefront6targetE1EEEvSL_
	.p2align	8
	.type	_ZN7rocprim17ROCPRIM_400000_NS6detail17trampoline_kernelINS0_14default_configENS1_38merge_sort_block_merge_config_selectorIbiEEZZNS1_27merge_sort_block_merge_implIS3_N6thrust23THRUST_200600_302600_NS6detail15normal_iteratorINS8_10device_ptrIbEEEENSA_INSB_IiEEEEjNS1_19radix_merge_compareILb1ELb1EbNS0_19identity_decomposerEEEEE10hipError_tT0_T1_T2_jT3_P12ihipStream_tbPNSt15iterator_traitsISK_E10value_typeEPNSQ_ISL_E10value_typeEPSM_NS1_7vsmem_tEENKUlT_SK_SL_SM_E_clISD_PbSF_PiEESJ_SZ_SK_SL_SM_EUlSZ_E_NS1_11comp_targetILNS1_3genE2ELNS1_11target_archE906ELNS1_3gpuE6ELNS1_3repE0EEENS1_48merge_mergepath_partition_config_static_selectorELNS0_4arch9wavefront6targetE1EEEvSL_,@function
_ZN7rocprim17ROCPRIM_400000_NS6detail17trampoline_kernelINS0_14default_configENS1_38merge_sort_block_merge_config_selectorIbiEEZZNS1_27merge_sort_block_merge_implIS3_N6thrust23THRUST_200600_302600_NS6detail15normal_iteratorINS8_10device_ptrIbEEEENSA_INSB_IiEEEEjNS1_19radix_merge_compareILb1ELb1EbNS0_19identity_decomposerEEEEE10hipError_tT0_T1_T2_jT3_P12ihipStream_tbPNSt15iterator_traitsISK_E10value_typeEPNSQ_ISL_E10value_typeEPSM_NS1_7vsmem_tEENKUlT_SK_SL_SM_E_clISD_PbSF_PiEESJ_SZ_SK_SL_SM_EUlSZ_E_NS1_11comp_targetILNS1_3genE2ELNS1_11target_archE906ELNS1_3gpuE6ELNS1_3repE0EEENS1_48merge_mergepath_partition_config_static_selectorELNS0_4arch9wavefront6targetE1EEEvSL_: ; @_ZN7rocprim17ROCPRIM_400000_NS6detail17trampoline_kernelINS0_14default_configENS1_38merge_sort_block_merge_config_selectorIbiEEZZNS1_27merge_sort_block_merge_implIS3_N6thrust23THRUST_200600_302600_NS6detail15normal_iteratorINS8_10device_ptrIbEEEENSA_INSB_IiEEEEjNS1_19radix_merge_compareILb1ELb1EbNS0_19identity_decomposerEEEEE10hipError_tT0_T1_T2_jT3_P12ihipStream_tbPNSt15iterator_traitsISK_E10value_typeEPNSQ_ISL_E10value_typeEPSM_NS1_7vsmem_tEENKUlT_SK_SL_SM_E_clISD_PbSF_PiEESJ_SZ_SK_SL_SM_EUlSZ_E_NS1_11comp_targetILNS1_3genE2ELNS1_11target_archE906ELNS1_3gpuE6ELNS1_3repE0EEENS1_48merge_mergepath_partition_config_static_selectorELNS0_4arch9wavefront6targetE1EEEvSL_
; %bb.0:
	.section	.rodata,"a",@progbits
	.p2align	6, 0x0
	.amdhsa_kernel _ZN7rocprim17ROCPRIM_400000_NS6detail17trampoline_kernelINS0_14default_configENS1_38merge_sort_block_merge_config_selectorIbiEEZZNS1_27merge_sort_block_merge_implIS3_N6thrust23THRUST_200600_302600_NS6detail15normal_iteratorINS8_10device_ptrIbEEEENSA_INSB_IiEEEEjNS1_19radix_merge_compareILb1ELb1EbNS0_19identity_decomposerEEEEE10hipError_tT0_T1_T2_jT3_P12ihipStream_tbPNSt15iterator_traitsISK_E10value_typeEPNSQ_ISL_E10value_typeEPSM_NS1_7vsmem_tEENKUlT_SK_SL_SM_E_clISD_PbSF_PiEESJ_SZ_SK_SL_SM_EUlSZ_E_NS1_11comp_targetILNS1_3genE2ELNS1_11target_archE906ELNS1_3gpuE6ELNS1_3repE0EEENS1_48merge_mergepath_partition_config_static_selectorELNS0_4arch9wavefront6targetE1EEEvSL_
		.amdhsa_group_segment_fixed_size 0
		.amdhsa_private_segment_fixed_size 0
		.amdhsa_kernarg_size 40
		.amdhsa_user_sgpr_count 2
		.amdhsa_user_sgpr_dispatch_ptr 0
		.amdhsa_user_sgpr_queue_ptr 0
		.amdhsa_user_sgpr_kernarg_segment_ptr 1
		.amdhsa_user_sgpr_dispatch_id 0
		.amdhsa_user_sgpr_kernarg_preload_length 0
		.amdhsa_user_sgpr_kernarg_preload_offset 0
		.amdhsa_user_sgpr_private_segment_size 0
		.amdhsa_uses_dynamic_stack 0
		.amdhsa_enable_private_segment 0
		.amdhsa_system_sgpr_workgroup_id_x 1
		.amdhsa_system_sgpr_workgroup_id_y 0
		.amdhsa_system_sgpr_workgroup_id_z 0
		.amdhsa_system_sgpr_workgroup_info 0
		.amdhsa_system_vgpr_workitem_id 0
		.amdhsa_next_free_vgpr 1
		.amdhsa_next_free_sgpr 0
		.amdhsa_accum_offset 4
		.amdhsa_reserve_vcc 0
		.amdhsa_float_round_mode_32 0
		.amdhsa_float_round_mode_16_64 0
		.amdhsa_float_denorm_mode_32 3
		.amdhsa_float_denorm_mode_16_64 3
		.amdhsa_dx10_clamp 1
		.amdhsa_ieee_mode 1
		.amdhsa_fp16_overflow 0
		.amdhsa_tg_split 0
		.amdhsa_exception_fp_ieee_invalid_op 0
		.amdhsa_exception_fp_denorm_src 0
		.amdhsa_exception_fp_ieee_div_zero 0
		.amdhsa_exception_fp_ieee_overflow 0
		.amdhsa_exception_fp_ieee_underflow 0
		.amdhsa_exception_fp_ieee_inexact 0
		.amdhsa_exception_int_div_zero 0
	.end_amdhsa_kernel
	.section	.text._ZN7rocprim17ROCPRIM_400000_NS6detail17trampoline_kernelINS0_14default_configENS1_38merge_sort_block_merge_config_selectorIbiEEZZNS1_27merge_sort_block_merge_implIS3_N6thrust23THRUST_200600_302600_NS6detail15normal_iteratorINS8_10device_ptrIbEEEENSA_INSB_IiEEEEjNS1_19radix_merge_compareILb1ELb1EbNS0_19identity_decomposerEEEEE10hipError_tT0_T1_T2_jT3_P12ihipStream_tbPNSt15iterator_traitsISK_E10value_typeEPNSQ_ISL_E10value_typeEPSM_NS1_7vsmem_tEENKUlT_SK_SL_SM_E_clISD_PbSF_PiEESJ_SZ_SK_SL_SM_EUlSZ_E_NS1_11comp_targetILNS1_3genE2ELNS1_11target_archE906ELNS1_3gpuE6ELNS1_3repE0EEENS1_48merge_mergepath_partition_config_static_selectorELNS0_4arch9wavefront6targetE1EEEvSL_,"axG",@progbits,_ZN7rocprim17ROCPRIM_400000_NS6detail17trampoline_kernelINS0_14default_configENS1_38merge_sort_block_merge_config_selectorIbiEEZZNS1_27merge_sort_block_merge_implIS3_N6thrust23THRUST_200600_302600_NS6detail15normal_iteratorINS8_10device_ptrIbEEEENSA_INSB_IiEEEEjNS1_19radix_merge_compareILb1ELb1EbNS0_19identity_decomposerEEEEE10hipError_tT0_T1_T2_jT3_P12ihipStream_tbPNSt15iterator_traitsISK_E10value_typeEPNSQ_ISL_E10value_typeEPSM_NS1_7vsmem_tEENKUlT_SK_SL_SM_E_clISD_PbSF_PiEESJ_SZ_SK_SL_SM_EUlSZ_E_NS1_11comp_targetILNS1_3genE2ELNS1_11target_archE906ELNS1_3gpuE6ELNS1_3repE0EEENS1_48merge_mergepath_partition_config_static_selectorELNS0_4arch9wavefront6targetE1EEEvSL_,comdat
.Lfunc_end2181:
	.size	_ZN7rocprim17ROCPRIM_400000_NS6detail17trampoline_kernelINS0_14default_configENS1_38merge_sort_block_merge_config_selectorIbiEEZZNS1_27merge_sort_block_merge_implIS3_N6thrust23THRUST_200600_302600_NS6detail15normal_iteratorINS8_10device_ptrIbEEEENSA_INSB_IiEEEEjNS1_19radix_merge_compareILb1ELb1EbNS0_19identity_decomposerEEEEE10hipError_tT0_T1_T2_jT3_P12ihipStream_tbPNSt15iterator_traitsISK_E10value_typeEPNSQ_ISL_E10value_typeEPSM_NS1_7vsmem_tEENKUlT_SK_SL_SM_E_clISD_PbSF_PiEESJ_SZ_SK_SL_SM_EUlSZ_E_NS1_11comp_targetILNS1_3genE2ELNS1_11target_archE906ELNS1_3gpuE6ELNS1_3repE0EEENS1_48merge_mergepath_partition_config_static_selectorELNS0_4arch9wavefront6targetE1EEEvSL_, .Lfunc_end2181-_ZN7rocprim17ROCPRIM_400000_NS6detail17trampoline_kernelINS0_14default_configENS1_38merge_sort_block_merge_config_selectorIbiEEZZNS1_27merge_sort_block_merge_implIS3_N6thrust23THRUST_200600_302600_NS6detail15normal_iteratorINS8_10device_ptrIbEEEENSA_INSB_IiEEEEjNS1_19radix_merge_compareILb1ELb1EbNS0_19identity_decomposerEEEEE10hipError_tT0_T1_T2_jT3_P12ihipStream_tbPNSt15iterator_traitsISK_E10value_typeEPNSQ_ISL_E10value_typeEPSM_NS1_7vsmem_tEENKUlT_SK_SL_SM_E_clISD_PbSF_PiEESJ_SZ_SK_SL_SM_EUlSZ_E_NS1_11comp_targetILNS1_3genE2ELNS1_11target_archE906ELNS1_3gpuE6ELNS1_3repE0EEENS1_48merge_mergepath_partition_config_static_selectorELNS0_4arch9wavefront6targetE1EEEvSL_
                                        ; -- End function
	.set _ZN7rocprim17ROCPRIM_400000_NS6detail17trampoline_kernelINS0_14default_configENS1_38merge_sort_block_merge_config_selectorIbiEEZZNS1_27merge_sort_block_merge_implIS3_N6thrust23THRUST_200600_302600_NS6detail15normal_iteratorINS8_10device_ptrIbEEEENSA_INSB_IiEEEEjNS1_19radix_merge_compareILb1ELb1EbNS0_19identity_decomposerEEEEE10hipError_tT0_T1_T2_jT3_P12ihipStream_tbPNSt15iterator_traitsISK_E10value_typeEPNSQ_ISL_E10value_typeEPSM_NS1_7vsmem_tEENKUlT_SK_SL_SM_E_clISD_PbSF_PiEESJ_SZ_SK_SL_SM_EUlSZ_E_NS1_11comp_targetILNS1_3genE2ELNS1_11target_archE906ELNS1_3gpuE6ELNS1_3repE0EEENS1_48merge_mergepath_partition_config_static_selectorELNS0_4arch9wavefront6targetE1EEEvSL_.num_vgpr, 0
	.set _ZN7rocprim17ROCPRIM_400000_NS6detail17trampoline_kernelINS0_14default_configENS1_38merge_sort_block_merge_config_selectorIbiEEZZNS1_27merge_sort_block_merge_implIS3_N6thrust23THRUST_200600_302600_NS6detail15normal_iteratorINS8_10device_ptrIbEEEENSA_INSB_IiEEEEjNS1_19radix_merge_compareILb1ELb1EbNS0_19identity_decomposerEEEEE10hipError_tT0_T1_T2_jT3_P12ihipStream_tbPNSt15iterator_traitsISK_E10value_typeEPNSQ_ISL_E10value_typeEPSM_NS1_7vsmem_tEENKUlT_SK_SL_SM_E_clISD_PbSF_PiEESJ_SZ_SK_SL_SM_EUlSZ_E_NS1_11comp_targetILNS1_3genE2ELNS1_11target_archE906ELNS1_3gpuE6ELNS1_3repE0EEENS1_48merge_mergepath_partition_config_static_selectorELNS0_4arch9wavefront6targetE1EEEvSL_.num_agpr, 0
	.set _ZN7rocprim17ROCPRIM_400000_NS6detail17trampoline_kernelINS0_14default_configENS1_38merge_sort_block_merge_config_selectorIbiEEZZNS1_27merge_sort_block_merge_implIS3_N6thrust23THRUST_200600_302600_NS6detail15normal_iteratorINS8_10device_ptrIbEEEENSA_INSB_IiEEEEjNS1_19radix_merge_compareILb1ELb1EbNS0_19identity_decomposerEEEEE10hipError_tT0_T1_T2_jT3_P12ihipStream_tbPNSt15iterator_traitsISK_E10value_typeEPNSQ_ISL_E10value_typeEPSM_NS1_7vsmem_tEENKUlT_SK_SL_SM_E_clISD_PbSF_PiEESJ_SZ_SK_SL_SM_EUlSZ_E_NS1_11comp_targetILNS1_3genE2ELNS1_11target_archE906ELNS1_3gpuE6ELNS1_3repE0EEENS1_48merge_mergepath_partition_config_static_selectorELNS0_4arch9wavefront6targetE1EEEvSL_.numbered_sgpr, 0
	.set _ZN7rocprim17ROCPRIM_400000_NS6detail17trampoline_kernelINS0_14default_configENS1_38merge_sort_block_merge_config_selectorIbiEEZZNS1_27merge_sort_block_merge_implIS3_N6thrust23THRUST_200600_302600_NS6detail15normal_iteratorINS8_10device_ptrIbEEEENSA_INSB_IiEEEEjNS1_19radix_merge_compareILb1ELb1EbNS0_19identity_decomposerEEEEE10hipError_tT0_T1_T2_jT3_P12ihipStream_tbPNSt15iterator_traitsISK_E10value_typeEPNSQ_ISL_E10value_typeEPSM_NS1_7vsmem_tEENKUlT_SK_SL_SM_E_clISD_PbSF_PiEESJ_SZ_SK_SL_SM_EUlSZ_E_NS1_11comp_targetILNS1_3genE2ELNS1_11target_archE906ELNS1_3gpuE6ELNS1_3repE0EEENS1_48merge_mergepath_partition_config_static_selectorELNS0_4arch9wavefront6targetE1EEEvSL_.num_named_barrier, 0
	.set _ZN7rocprim17ROCPRIM_400000_NS6detail17trampoline_kernelINS0_14default_configENS1_38merge_sort_block_merge_config_selectorIbiEEZZNS1_27merge_sort_block_merge_implIS3_N6thrust23THRUST_200600_302600_NS6detail15normal_iteratorINS8_10device_ptrIbEEEENSA_INSB_IiEEEEjNS1_19radix_merge_compareILb1ELb1EbNS0_19identity_decomposerEEEEE10hipError_tT0_T1_T2_jT3_P12ihipStream_tbPNSt15iterator_traitsISK_E10value_typeEPNSQ_ISL_E10value_typeEPSM_NS1_7vsmem_tEENKUlT_SK_SL_SM_E_clISD_PbSF_PiEESJ_SZ_SK_SL_SM_EUlSZ_E_NS1_11comp_targetILNS1_3genE2ELNS1_11target_archE906ELNS1_3gpuE6ELNS1_3repE0EEENS1_48merge_mergepath_partition_config_static_selectorELNS0_4arch9wavefront6targetE1EEEvSL_.private_seg_size, 0
	.set _ZN7rocprim17ROCPRIM_400000_NS6detail17trampoline_kernelINS0_14default_configENS1_38merge_sort_block_merge_config_selectorIbiEEZZNS1_27merge_sort_block_merge_implIS3_N6thrust23THRUST_200600_302600_NS6detail15normal_iteratorINS8_10device_ptrIbEEEENSA_INSB_IiEEEEjNS1_19radix_merge_compareILb1ELb1EbNS0_19identity_decomposerEEEEE10hipError_tT0_T1_T2_jT3_P12ihipStream_tbPNSt15iterator_traitsISK_E10value_typeEPNSQ_ISL_E10value_typeEPSM_NS1_7vsmem_tEENKUlT_SK_SL_SM_E_clISD_PbSF_PiEESJ_SZ_SK_SL_SM_EUlSZ_E_NS1_11comp_targetILNS1_3genE2ELNS1_11target_archE906ELNS1_3gpuE6ELNS1_3repE0EEENS1_48merge_mergepath_partition_config_static_selectorELNS0_4arch9wavefront6targetE1EEEvSL_.uses_vcc, 0
	.set _ZN7rocprim17ROCPRIM_400000_NS6detail17trampoline_kernelINS0_14default_configENS1_38merge_sort_block_merge_config_selectorIbiEEZZNS1_27merge_sort_block_merge_implIS3_N6thrust23THRUST_200600_302600_NS6detail15normal_iteratorINS8_10device_ptrIbEEEENSA_INSB_IiEEEEjNS1_19radix_merge_compareILb1ELb1EbNS0_19identity_decomposerEEEEE10hipError_tT0_T1_T2_jT3_P12ihipStream_tbPNSt15iterator_traitsISK_E10value_typeEPNSQ_ISL_E10value_typeEPSM_NS1_7vsmem_tEENKUlT_SK_SL_SM_E_clISD_PbSF_PiEESJ_SZ_SK_SL_SM_EUlSZ_E_NS1_11comp_targetILNS1_3genE2ELNS1_11target_archE906ELNS1_3gpuE6ELNS1_3repE0EEENS1_48merge_mergepath_partition_config_static_selectorELNS0_4arch9wavefront6targetE1EEEvSL_.uses_flat_scratch, 0
	.set _ZN7rocprim17ROCPRIM_400000_NS6detail17trampoline_kernelINS0_14default_configENS1_38merge_sort_block_merge_config_selectorIbiEEZZNS1_27merge_sort_block_merge_implIS3_N6thrust23THRUST_200600_302600_NS6detail15normal_iteratorINS8_10device_ptrIbEEEENSA_INSB_IiEEEEjNS1_19radix_merge_compareILb1ELb1EbNS0_19identity_decomposerEEEEE10hipError_tT0_T1_T2_jT3_P12ihipStream_tbPNSt15iterator_traitsISK_E10value_typeEPNSQ_ISL_E10value_typeEPSM_NS1_7vsmem_tEENKUlT_SK_SL_SM_E_clISD_PbSF_PiEESJ_SZ_SK_SL_SM_EUlSZ_E_NS1_11comp_targetILNS1_3genE2ELNS1_11target_archE906ELNS1_3gpuE6ELNS1_3repE0EEENS1_48merge_mergepath_partition_config_static_selectorELNS0_4arch9wavefront6targetE1EEEvSL_.has_dyn_sized_stack, 0
	.set _ZN7rocprim17ROCPRIM_400000_NS6detail17trampoline_kernelINS0_14default_configENS1_38merge_sort_block_merge_config_selectorIbiEEZZNS1_27merge_sort_block_merge_implIS3_N6thrust23THRUST_200600_302600_NS6detail15normal_iteratorINS8_10device_ptrIbEEEENSA_INSB_IiEEEEjNS1_19radix_merge_compareILb1ELb1EbNS0_19identity_decomposerEEEEE10hipError_tT0_T1_T2_jT3_P12ihipStream_tbPNSt15iterator_traitsISK_E10value_typeEPNSQ_ISL_E10value_typeEPSM_NS1_7vsmem_tEENKUlT_SK_SL_SM_E_clISD_PbSF_PiEESJ_SZ_SK_SL_SM_EUlSZ_E_NS1_11comp_targetILNS1_3genE2ELNS1_11target_archE906ELNS1_3gpuE6ELNS1_3repE0EEENS1_48merge_mergepath_partition_config_static_selectorELNS0_4arch9wavefront6targetE1EEEvSL_.has_recursion, 0
	.set _ZN7rocprim17ROCPRIM_400000_NS6detail17trampoline_kernelINS0_14default_configENS1_38merge_sort_block_merge_config_selectorIbiEEZZNS1_27merge_sort_block_merge_implIS3_N6thrust23THRUST_200600_302600_NS6detail15normal_iteratorINS8_10device_ptrIbEEEENSA_INSB_IiEEEEjNS1_19radix_merge_compareILb1ELb1EbNS0_19identity_decomposerEEEEE10hipError_tT0_T1_T2_jT3_P12ihipStream_tbPNSt15iterator_traitsISK_E10value_typeEPNSQ_ISL_E10value_typeEPSM_NS1_7vsmem_tEENKUlT_SK_SL_SM_E_clISD_PbSF_PiEESJ_SZ_SK_SL_SM_EUlSZ_E_NS1_11comp_targetILNS1_3genE2ELNS1_11target_archE906ELNS1_3gpuE6ELNS1_3repE0EEENS1_48merge_mergepath_partition_config_static_selectorELNS0_4arch9wavefront6targetE1EEEvSL_.has_indirect_call, 0
	.section	.AMDGPU.csdata,"",@progbits
; Kernel info:
; codeLenInByte = 0
; TotalNumSgprs: 6
; NumVgprs: 0
; NumAgprs: 0
; TotalNumVgprs: 0
; ScratchSize: 0
; MemoryBound: 0
; FloatMode: 240
; IeeeMode: 1
; LDSByteSize: 0 bytes/workgroup (compile time only)
; SGPRBlocks: 0
; VGPRBlocks: 0
; NumSGPRsForWavesPerEU: 6
; NumVGPRsForWavesPerEU: 1
; AccumOffset: 4
; Occupancy: 8
; WaveLimiterHint : 0
; COMPUTE_PGM_RSRC2:SCRATCH_EN: 0
; COMPUTE_PGM_RSRC2:USER_SGPR: 2
; COMPUTE_PGM_RSRC2:TRAP_HANDLER: 0
; COMPUTE_PGM_RSRC2:TGID_X_EN: 1
; COMPUTE_PGM_RSRC2:TGID_Y_EN: 0
; COMPUTE_PGM_RSRC2:TGID_Z_EN: 0
; COMPUTE_PGM_RSRC2:TIDIG_COMP_CNT: 0
; COMPUTE_PGM_RSRC3_GFX90A:ACCUM_OFFSET: 0
; COMPUTE_PGM_RSRC3_GFX90A:TG_SPLIT: 0
	.section	.text._ZN7rocprim17ROCPRIM_400000_NS6detail17trampoline_kernelINS0_14default_configENS1_38merge_sort_block_merge_config_selectorIbiEEZZNS1_27merge_sort_block_merge_implIS3_N6thrust23THRUST_200600_302600_NS6detail15normal_iteratorINS8_10device_ptrIbEEEENSA_INSB_IiEEEEjNS1_19radix_merge_compareILb1ELb1EbNS0_19identity_decomposerEEEEE10hipError_tT0_T1_T2_jT3_P12ihipStream_tbPNSt15iterator_traitsISK_E10value_typeEPNSQ_ISL_E10value_typeEPSM_NS1_7vsmem_tEENKUlT_SK_SL_SM_E_clISD_PbSF_PiEESJ_SZ_SK_SL_SM_EUlSZ_E_NS1_11comp_targetILNS1_3genE9ELNS1_11target_archE1100ELNS1_3gpuE3ELNS1_3repE0EEENS1_48merge_mergepath_partition_config_static_selectorELNS0_4arch9wavefront6targetE1EEEvSL_,"axG",@progbits,_ZN7rocprim17ROCPRIM_400000_NS6detail17trampoline_kernelINS0_14default_configENS1_38merge_sort_block_merge_config_selectorIbiEEZZNS1_27merge_sort_block_merge_implIS3_N6thrust23THRUST_200600_302600_NS6detail15normal_iteratorINS8_10device_ptrIbEEEENSA_INSB_IiEEEEjNS1_19radix_merge_compareILb1ELb1EbNS0_19identity_decomposerEEEEE10hipError_tT0_T1_T2_jT3_P12ihipStream_tbPNSt15iterator_traitsISK_E10value_typeEPNSQ_ISL_E10value_typeEPSM_NS1_7vsmem_tEENKUlT_SK_SL_SM_E_clISD_PbSF_PiEESJ_SZ_SK_SL_SM_EUlSZ_E_NS1_11comp_targetILNS1_3genE9ELNS1_11target_archE1100ELNS1_3gpuE3ELNS1_3repE0EEENS1_48merge_mergepath_partition_config_static_selectorELNS0_4arch9wavefront6targetE1EEEvSL_,comdat
	.protected	_ZN7rocprim17ROCPRIM_400000_NS6detail17trampoline_kernelINS0_14default_configENS1_38merge_sort_block_merge_config_selectorIbiEEZZNS1_27merge_sort_block_merge_implIS3_N6thrust23THRUST_200600_302600_NS6detail15normal_iteratorINS8_10device_ptrIbEEEENSA_INSB_IiEEEEjNS1_19radix_merge_compareILb1ELb1EbNS0_19identity_decomposerEEEEE10hipError_tT0_T1_T2_jT3_P12ihipStream_tbPNSt15iterator_traitsISK_E10value_typeEPNSQ_ISL_E10value_typeEPSM_NS1_7vsmem_tEENKUlT_SK_SL_SM_E_clISD_PbSF_PiEESJ_SZ_SK_SL_SM_EUlSZ_E_NS1_11comp_targetILNS1_3genE9ELNS1_11target_archE1100ELNS1_3gpuE3ELNS1_3repE0EEENS1_48merge_mergepath_partition_config_static_selectorELNS0_4arch9wavefront6targetE1EEEvSL_ ; -- Begin function _ZN7rocprim17ROCPRIM_400000_NS6detail17trampoline_kernelINS0_14default_configENS1_38merge_sort_block_merge_config_selectorIbiEEZZNS1_27merge_sort_block_merge_implIS3_N6thrust23THRUST_200600_302600_NS6detail15normal_iteratorINS8_10device_ptrIbEEEENSA_INSB_IiEEEEjNS1_19radix_merge_compareILb1ELb1EbNS0_19identity_decomposerEEEEE10hipError_tT0_T1_T2_jT3_P12ihipStream_tbPNSt15iterator_traitsISK_E10value_typeEPNSQ_ISL_E10value_typeEPSM_NS1_7vsmem_tEENKUlT_SK_SL_SM_E_clISD_PbSF_PiEESJ_SZ_SK_SL_SM_EUlSZ_E_NS1_11comp_targetILNS1_3genE9ELNS1_11target_archE1100ELNS1_3gpuE3ELNS1_3repE0EEENS1_48merge_mergepath_partition_config_static_selectorELNS0_4arch9wavefront6targetE1EEEvSL_
	.globl	_ZN7rocprim17ROCPRIM_400000_NS6detail17trampoline_kernelINS0_14default_configENS1_38merge_sort_block_merge_config_selectorIbiEEZZNS1_27merge_sort_block_merge_implIS3_N6thrust23THRUST_200600_302600_NS6detail15normal_iteratorINS8_10device_ptrIbEEEENSA_INSB_IiEEEEjNS1_19radix_merge_compareILb1ELb1EbNS0_19identity_decomposerEEEEE10hipError_tT0_T1_T2_jT3_P12ihipStream_tbPNSt15iterator_traitsISK_E10value_typeEPNSQ_ISL_E10value_typeEPSM_NS1_7vsmem_tEENKUlT_SK_SL_SM_E_clISD_PbSF_PiEESJ_SZ_SK_SL_SM_EUlSZ_E_NS1_11comp_targetILNS1_3genE9ELNS1_11target_archE1100ELNS1_3gpuE3ELNS1_3repE0EEENS1_48merge_mergepath_partition_config_static_selectorELNS0_4arch9wavefront6targetE1EEEvSL_
	.p2align	8
	.type	_ZN7rocprim17ROCPRIM_400000_NS6detail17trampoline_kernelINS0_14default_configENS1_38merge_sort_block_merge_config_selectorIbiEEZZNS1_27merge_sort_block_merge_implIS3_N6thrust23THRUST_200600_302600_NS6detail15normal_iteratorINS8_10device_ptrIbEEEENSA_INSB_IiEEEEjNS1_19radix_merge_compareILb1ELb1EbNS0_19identity_decomposerEEEEE10hipError_tT0_T1_T2_jT3_P12ihipStream_tbPNSt15iterator_traitsISK_E10value_typeEPNSQ_ISL_E10value_typeEPSM_NS1_7vsmem_tEENKUlT_SK_SL_SM_E_clISD_PbSF_PiEESJ_SZ_SK_SL_SM_EUlSZ_E_NS1_11comp_targetILNS1_3genE9ELNS1_11target_archE1100ELNS1_3gpuE3ELNS1_3repE0EEENS1_48merge_mergepath_partition_config_static_selectorELNS0_4arch9wavefront6targetE1EEEvSL_,@function
_ZN7rocprim17ROCPRIM_400000_NS6detail17trampoline_kernelINS0_14default_configENS1_38merge_sort_block_merge_config_selectorIbiEEZZNS1_27merge_sort_block_merge_implIS3_N6thrust23THRUST_200600_302600_NS6detail15normal_iteratorINS8_10device_ptrIbEEEENSA_INSB_IiEEEEjNS1_19radix_merge_compareILb1ELb1EbNS0_19identity_decomposerEEEEE10hipError_tT0_T1_T2_jT3_P12ihipStream_tbPNSt15iterator_traitsISK_E10value_typeEPNSQ_ISL_E10value_typeEPSM_NS1_7vsmem_tEENKUlT_SK_SL_SM_E_clISD_PbSF_PiEESJ_SZ_SK_SL_SM_EUlSZ_E_NS1_11comp_targetILNS1_3genE9ELNS1_11target_archE1100ELNS1_3gpuE3ELNS1_3repE0EEENS1_48merge_mergepath_partition_config_static_selectorELNS0_4arch9wavefront6targetE1EEEvSL_: ; @_ZN7rocprim17ROCPRIM_400000_NS6detail17trampoline_kernelINS0_14default_configENS1_38merge_sort_block_merge_config_selectorIbiEEZZNS1_27merge_sort_block_merge_implIS3_N6thrust23THRUST_200600_302600_NS6detail15normal_iteratorINS8_10device_ptrIbEEEENSA_INSB_IiEEEEjNS1_19radix_merge_compareILb1ELb1EbNS0_19identity_decomposerEEEEE10hipError_tT0_T1_T2_jT3_P12ihipStream_tbPNSt15iterator_traitsISK_E10value_typeEPNSQ_ISL_E10value_typeEPSM_NS1_7vsmem_tEENKUlT_SK_SL_SM_E_clISD_PbSF_PiEESJ_SZ_SK_SL_SM_EUlSZ_E_NS1_11comp_targetILNS1_3genE9ELNS1_11target_archE1100ELNS1_3gpuE3ELNS1_3repE0EEENS1_48merge_mergepath_partition_config_static_selectorELNS0_4arch9wavefront6targetE1EEEvSL_
; %bb.0:
	.section	.rodata,"a",@progbits
	.p2align	6, 0x0
	.amdhsa_kernel _ZN7rocprim17ROCPRIM_400000_NS6detail17trampoline_kernelINS0_14default_configENS1_38merge_sort_block_merge_config_selectorIbiEEZZNS1_27merge_sort_block_merge_implIS3_N6thrust23THRUST_200600_302600_NS6detail15normal_iteratorINS8_10device_ptrIbEEEENSA_INSB_IiEEEEjNS1_19radix_merge_compareILb1ELb1EbNS0_19identity_decomposerEEEEE10hipError_tT0_T1_T2_jT3_P12ihipStream_tbPNSt15iterator_traitsISK_E10value_typeEPNSQ_ISL_E10value_typeEPSM_NS1_7vsmem_tEENKUlT_SK_SL_SM_E_clISD_PbSF_PiEESJ_SZ_SK_SL_SM_EUlSZ_E_NS1_11comp_targetILNS1_3genE9ELNS1_11target_archE1100ELNS1_3gpuE3ELNS1_3repE0EEENS1_48merge_mergepath_partition_config_static_selectorELNS0_4arch9wavefront6targetE1EEEvSL_
		.amdhsa_group_segment_fixed_size 0
		.amdhsa_private_segment_fixed_size 0
		.amdhsa_kernarg_size 40
		.amdhsa_user_sgpr_count 2
		.amdhsa_user_sgpr_dispatch_ptr 0
		.amdhsa_user_sgpr_queue_ptr 0
		.amdhsa_user_sgpr_kernarg_segment_ptr 1
		.amdhsa_user_sgpr_dispatch_id 0
		.amdhsa_user_sgpr_kernarg_preload_length 0
		.amdhsa_user_sgpr_kernarg_preload_offset 0
		.amdhsa_user_sgpr_private_segment_size 0
		.amdhsa_uses_dynamic_stack 0
		.amdhsa_enable_private_segment 0
		.amdhsa_system_sgpr_workgroup_id_x 1
		.amdhsa_system_sgpr_workgroup_id_y 0
		.amdhsa_system_sgpr_workgroup_id_z 0
		.amdhsa_system_sgpr_workgroup_info 0
		.amdhsa_system_vgpr_workitem_id 0
		.amdhsa_next_free_vgpr 1
		.amdhsa_next_free_sgpr 0
		.amdhsa_accum_offset 4
		.amdhsa_reserve_vcc 0
		.amdhsa_float_round_mode_32 0
		.amdhsa_float_round_mode_16_64 0
		.amdhsa_float_denorm_mode_32 3
		.amdhsa_float_denorm_mode_16_64 3
		.amdhsa_dx10_clamp 1
		.amdhsa_ieee_mode 1
		.amdhsa_fp16_overflow 0
		.amdhsa_tg_split 0
		.amdhsa_exception_fp_ieee_invalid_op 0
		.amdhsa_exception_fp_denorm_src 0
		.amdhsa_exception_fp_ieee_div_zero 0
		.amdhsa_exception_fp_ieee_overflow 0
		.amdhsa_exception_fp_ieee_underflow 0
		.amdhsa_exception_fp_ieee_inexact 0
		.amdhsa_exception_int_div_zero 0
	.end_amdhsa_kernel
	.section	.text._ZN7rocprim17ROCPRIM_400000_NS6detail17trampoline_kernelINS0_14default_configENS1_38merge_sort_block_merge_config_selectorIbiEEZZNS1_27merge_sort_block_merge_implIS3_N6thrust23THRUST_200600_302600_NS6detail15normal_iteratorINS8_10device_ptrIbEEEENSA_INSB_IiEEEEjNS1_19radix_merge_compareILb1ELb1EbNS0_19identity_decomposerEEEEE10hipError_tT0_T1_T2_jT3_P12ihipStream_tbPNSt15iterator_traitsISK_E10value_typeEPNSQ_ISL_E10value_typeEPSM_NS1_7vsmem_tEENKUlT_SK_SL_SM_E_clISD_PbSF_PiEESJ_SZ_SK_SL_SM_EUlSZ_E_NS1_11comp_targetILNS1_3genE9ELNS1_11target_archE1100ELNS1_3gpuE3ELNS1_3repE0EEENS1_48merge_mergepath_partition_config_static_selectorELNS0_4arch9wavefront6targetE1EEEvSL_,"axG",@progbits,_ZN7rocprim17ROCPRIM_400000_NS6detail17trampoline_kernelINS0_14default_configENS1_38merge_sort_block_merge_config_selectorIbiEEZZNS1_27merge_sort_block_merge_implIS3_N6thrust23THRUST_200600_302600_NS6detail15normal_iteratorINS8_10device_ptrIbEEEENSA_INSB_IiEEEEjNS1_19radix_merge_compareILb1ELb1EbNS0_19identity_decomposerEEEEE10hipError_tT0_T1_T2_jT3_P12ihipStream_tbPNSt15iterator_traitsISK_E10value_typeEPNSQ_ISL_E10value_typeEPSM_NS1_7vsmem_tEENKUlT_SK_SL_SM_E_clISD_PbSF_PiEESJ_SZ_SK_SL_SM_EUlSZ_E_NS1_11comp_targetILNS1_3genE9ELNS1_11target_archE1100ELNS1_3gpuE3ELNS1_3repE0EEENS1_48merge_mergepath_partition_config_static_selectorELNS0_4arch9wavefront6targetE1EEEvSL_,comdat
.Lfunc_end2182:
	.size	_ZN7rocprim17ROCPRIM_400000_NS6detail17trampoline_kernelINS0_14default_configENS1_38merge_sort_block_merge_config_selectorIbiEEZZNS1_27merge_sort_block_merge_implIS3_N6thrust23THRUST_200600_302600_NS6detail15normal_iteratorINS8_10device_ptrIbEEEENSA_INSB_IiEEEEjNS1_19radix_merge_compareILb1ELb1EbNS0_19identity_decomposerEEEEE10hipError_tT0_T1_T2_jT3_P12ihipStream_tbPNSt15iterator_traitsISK_E10value_typeEPNSQ_ISL_E10value_typeEPSM_NS1_7vsmem_tEENKUlT_SK_SL_SM_E_clISD_PbSF_PiEESJ_SZ_SK_SL_SM_EUlSZ_E_NS1_11comp_targetILNS1_3genE9ELNS1_11target_archE1100ELNS1_3gpuE3ELNS1_3repE0EEENS1_48merge_mergepath_partition_config_static_selectorELNS0_4arch9wavefront6targetE1EEEvSL_, .Lfunc_end2182-_ZN7rocprim17ROCPRIM_400000_NS6detail17trampoline_kernelINS0_14default_configENS1_38merge_sort_block_merge_config_selectorIbiEEZZNS1_27merge_sort_block_merge_implIS3_N6thrust23THRUST_200600_302600_NS6detail15normal_iteratorINS8_10device_ptrIbEEEENSA_INSB_IiEEEEjNS1_19radix_merge_compareILb1ELb1EbNS0_19identity_decomposerEEEEE10hipError_tT0_T1_T2_jT3_P12ihipStream_tbPNSt15iterator_traitsISK_E10value_typeEPNSQ_ISL_E10value_typeEPSM_NS1_7vsmem_tEENKUlT_SK_SL_SM_E_clISD_PbSF_PiEESJ_SZ_SK_SL_SM_EUlSZ_E_NS1_11comp_targetILNS1_3genE9ELNS1_11target_archE1100ELNS1_3gpuE3ELNS1_3repE0EEENS1_48merge_mergepath_partition_config_static_selectorELNS0_4arch9wavefront6targetE1EEEvSL_
                                        ; -- End function
	.set _ZN7rocprim17ROCPRIM_400000_NS6detail17trampoline_kernelINS0_14default_configENS1_38merge_sort_block_merge_config_selectorIbiEEZZNS1_27merge_sort_block_merge_implIS3_N6thrust23THRUST_200600_302600_NS6detail15normal_iteratorINS8_10device_ptrIbEEEENSA_INSB_IiEEEEjNS1_19radix_merge_compareILb1ELb1EbNS0_19identity_decomposerEEEEE10hipError_tT0_T1_T2_jT3_P12ihipStream_tbPNSt15iterator_traitsISK_E10value_typeEPNSQ_ISL_E10value_typeEPSM_NS1_7vsmem_tEENKUlT_SK_SL_SM_E_clISD_PbSF_PiEESJ_SZ_SK_SL_SM_EUlSZ_E_NS1_11comp_targetILNS1_3genE9ELNS1_11target_archE1100ELNS1_3gpuE3ELNS1_3repE0EEENS1_48merge_mergepath_partition_config_static_selectorELNS0_4arch9wavefront6targetE1EEEvSL_.num_vgpr, 0
	.set _ZN7rocprim17ROCPRIM_400000_NS6detail17trampoline_kernelINS0_14default_configENS1_38merge_sort_block_merge_config_selectorIbiEEZZNS1_27merge_sort_block_merge_implIS3_N6thrust23THRUST_200600_302600_NS6detail15normal_iteratorINS8_10device_ptrIbEEEENSA_INSB_IiEEEEjNS1_19radix_merge_compareILb1ELb1EbNS0_19identity_decomposerEEEEE10hipError_tT0_T1_T2_jT3_P12ihipStream_tbPNSt15iterator_traitsISK_E10value_typeEPNSQ_ISL_E10value_typeEPSM_NS1_7vsmem_tEENKUlT_SK_SL_SM_E_clISD_PbSF_PiEESJ_SZ_SK_SL_SM_EUlSZ_E_NS1_11comp_targetILNS1_3genE9ELNS1_11target_archE1100ELNS1_3gpuE3ELNS1_3repE0EEENS1_48merge_mergepath_partition_config_static_selectorELNS0_4arch9wavefront6targetE1EEEvSL_.num_agpr, 0
	.set _ZN7rocprim17ROCPRIM_400000_NS6detail17trampoline_kernelINS0_14default_configENS1_38merge_sort_block_merge_config_selectorIbiEEZZNS1_27merge_sort_block_merge_implIS3_N6thrust23THRUST_200600_302600_NS6detail15normal_iteratorINS8_10device_ptrIbEEEENSA_INSB_IiEEEEjNS1_19radix_merge_compareILb1ELb1EbNS0_19identity_decomposerEEEEE10hipError_tT0_T1_T2_jT3_P12ihipStream_tbPNSt15iterator_traitsISK_E10value_typeEPNSQ_ISL_E10value_typeEPSM_NS1_7vsmem_tEENKUlT_SK_SL_SM_E_clISD_PbSF_PiEESJ_SZ_SK_SL_SM_EUlSZ_E_NS1_11comp_targetILNS1_3genE9ELNS1_11target_archE1100ELNS1_3gpuE3ELNS1_3repE0EEENS1_48merge_mergepath_partition_config_static_selectorELNS0_4arch9wavefront6targetE1EEEvSL_.numbered_sgpr, 0
	.set _ZN7rocprim17ROCPRIM_400000_NS6detail17trampoline_kernelINS0_14default_configENS1_38merge_sort_block_merge_config_selectorIbiEEZZNS1_27merge_sort_block_merge_implIS3_N6thrust23THRUST_200600_302600_NS6detail15normal_iteratorINS8_10device_ptrIbEEEENSA_INSB_IiEEEEjNS1_19radix_merge_compareILb1ELb1EbNS0_19identity_decomposerEEEEE10hipError_tT0_T1_T2_jT3_P12ihipStream_tbPNSt15iterator_traitsISK_E10value_typeEPNSQ_ISL_E10value_typeEPSM_NS1_7vsmem_tEENKUlT_SK_SL_SM_E_clISD_PbSF_PiEESJ_SZ_SK_SL_SM_EUlSZ_E_NS1_11comp_targetILNS1_3genE9ELNS1_11target_archE1100ELNS1_3gpuE3ELNS1_3repE0EEENS1_48merge_mergepath_partition_config_static_selectorELNS0_4arch9wavefront6targetE1EEEvSL_.num_named_barrier, 0
	.set _ZN7rocprim17ROCPRIM_400000_NS6detail17trampoline_kernelINS0_14default_configENS1_38merge_sort_block_merge_config_selectorIbiEEZZNS1_27merge_sort_block_merge_implIS3_N6thrust23THRUST_200600_302600_NS6detail15normal_iteratorINS8_10device_ptrIbEEEENSA_INSB_IiEEEEjNS1_19radix_merge_compareILb1ELb1EbNS0_19identity_decomposerEEEEE10hipError_tT0_T1_T2_jT3_P12ihipStream_tbPNSt15iterator_traitsISK_E10value_typeEPNSQ_ISL_E10value_typeEPSM_NS1_7vsmem_tEENKUlT_SK_SL_SM_E_clISD_PbSF_PiEESJ_SZ_SK_SL_SM_EUlSZ_E_NS1_11comp_targetILNS1_3genE9ELNS1_11target_archE1100ELNS1_3gpuE3ELNS1_3repE0EEENS1_48merge_mergepath_partition_config_static_selectorELNS0_4arch9wavefront6targetE1EEEvSL_.private_seg_size, 0
	.set _ZN7rocprim17ROCPRIM_400000_NS6detail17trampoline_kernelINS0_14default_configENS1_38merge_sort_block_merge_config_selectorIbiEEZZNS1_27merge_sort_block_merge_implIS3_N6thrust23THRUST_200600_302600_NS6detail15normal_iteratorINS8_10device_ptrIbEEEENSA_INSB_IiEEEEjNS1_19radix_merge_compareILb1ELb1EbNS0_19identity_decomposerEEEEE10hipError_tT0_T1_T2_jT3_P12ihipStream_tbPNSt15iterator_traitsISK_E10value_typeEPNSQ_ISL_E10value_typeEPSM_NS1_7vsmem_tEENKUlT_SK_SL_SM_E_clISD_PbSF_PiEESJ_SZ_SK_SL_SM_EUlSZ_E_NS1_11comp_targetILNS1_3genE9ELNS1_11target_archE1100ELNS1_3gpuE3ELNS1_3repE0EEENS1_48merge_mergepath_partition_config_static_selectorELNS0_4arch9wavefront6targetE1EEEvSL_.uses_vcc, 0
	.set _ZN7rocprim17ROCPRIM_400000_NS6detail17trampoline_kernelINS0_14default_configENS1_38merge_sort_block_merge_config_selectorIbiEEZZNS1_27merge_sort_block_merge_implIS3_N6thrust23THRUST_200600_302600_NS6detail15normal_iteratorINS8_10device_ptrIbEEEENSA_INSB_IiEEEEjNS1_19radix_merge_compareILb1ELb1EbNS0_19identity_decomposerEEEEE10hipError_tT0_T1_T2_jT3_P12ihipStream_tbPNSt15iterator_traitsISK_E10value_typeEPNSQ_ISL_E10value_typeEPSM_NS1_7vsmem_tEENKUlT_SK_SL_SM_E_clISD_PbSF_PiEESJ_SZ_SK_SL_SM_EUlSZ_E_NS1_11comp_targetILNS1_3genE9ELNS1_11target_archE1100ELNS1_3gpuE3ELNS1_3repE0EEENS1_48merge_mergepath_partition_config_static_selectorELNS0_4arch9wavefront6targetE1EEEvSL_.uses_flat_scratch, 0
	.set _ZN7rocprim17ROCPRIM_400000_NS6detail17trampoline_kernelINS0_14default_configENS1_38merge_sort_block_merge_config_selectorIbiEEZZNS1_27merge_sort_block_merge_implIS3_N6thrust23THRUST_200600_302600_NS6detail15normal_iteratorINS8_10device_ptrIbEEEENSA_INSB_IiEEEEjNS1_19radix_merge_compareILb1ELb1EbNS0_19identity_decomposerEEEEE10hipError_tT0_T1_T2_jT3_P12ihipStream_tbPNSt15iterator_traitsISK_E10value_typeEPNSQ_ISL_E10value_typeEPSM_NS1_7vsmem_tEENKUlT_SK_SL_SM_E_clISD_PbSF_PiEESJ_SZ_SK_SL_SM_EUlSZ_E_NS1_11comp_targetILNS1_3genE9ELNS1_11target_archE1100ELNS1_3gpuE3ELNS1_3repE0EEENS1_48merge_mergepath_partition_config_static_selectorELNS0_4arch9wavefront6targetE1EEEvSL_.has_dyn_sized_stack, 0
	.set _ZN7rocprim17ROCPRIM_400000_NS6detail17trampoline_kernelINS0_14default_configENS1_38merge_sort_block_merge_config_selectorIbiEEZZNS1_27merge_sort_block_merge_implIS3_N6thrust23THRUST_200600_302600_NS6detail15normal_iteratorINS8_10device_ptrIbEEEENSA_INSB_IiEEEEjNS1_19radix_merge_compareILb1ELb1EbNS0_19identity_decomposerEEEEE10hipError_tT0_T1_T2_jT3_P12ihipStream_tbPNSt15iterator_traitsISK_E10value_typeEPNSQ_ISL_E10value_typeEPSM_NS1_7vsmem_tEENKUlT_SK_SL_SM_E_clISD_PbSF_PiEESJ_SZ_SK_SL_SM_EUlSZ_E_NS1_11comp_targetILNS1_3genE9ELNS1_11target_archE1100ELNS1_3gpuE3ELNS1_3repE0EEENS1_48merge_mergepath_partition_config_static_selectorELNS0_4arch9wavefront6targetE1EEEvSL_.has_recursion, 0
	.set _ZN7rocprim17ROCPRIM_400000_NS6detail17trampoline_kernelINS0_14default_configENS1_38merge_sort_block_merge_config_selectorIbiEEZZNS1_27merge_sort_block_merge_implIS3_N6thrust23THRUST_200600_302600_NS6detail15normal_iteratorINS8_10device_ptrIbEEEENSA_INSB_IiEEEEjNS1_19radix_merge_compareILb1ELb1EbNS0_19identity_decomposerEEEEE10hipError_tT0_T1_T2_jT3_P12ihipStream_tbPNSt15iterator_traitsISK_E10value_typeEPNSQ_ISL_E10value_typeEPSM_NS1_7vsmem_tEENKUlT_SK_SL_SM_E_clISD_PbSF_PiEESJ_SZ_SK_SL_SM_EUlSZ_E_NS1_11comp_targetILNS1_3genE9ELNS1_11target_archE1100ELNS1_3gpuE3ELNS1_3repE0EEENS1_48merge_mergepath_partition_config_static_selectorELNS0_4arch9wavefront6targetE1EEEvSL_.has_indirect_call, 0
	.section	.AMDGPU.csdata,"",@progbits
; Kernel info:
; codeLenInByte = 0
; TotalNumSgprs: 6
; NumVgprs: 0
; NumAgprs: 0
; TotalNumVgprs: 0
; ScratchSize: 0
; MemoryBound: 0
; FloatMode: 240
; IeeeMode: 1
; LDSByteSize: 0 bytes/workgroup (compile time only)
; SGPRBlocks: 0
; VGPRBlocks: 0
; NumSGPRsForWavesPerEU: 6
; NumVGPRsForWavesPerEU: 1
; AccumOffset: 4
; Occupancy: 8
; WaveLimiterHint : 0
; COMPUTE_PGM_RSRC2:SCRATCH_EN: 0
; COMPUTE_PGM_RSRC2:USER_SGPR: 2
; COMPUTE_PGM_RSRC2:TRAP_HANDLER: 0
; COMPUTE_PGM_RSRC2:TGID_X_EN: 1
; COMPUTE_PGM_RSRC2:TGID_Y_EN: 0
; COMPUTE_PGM_RSRC2:TGID_Z_EN: 0
; COMPUTE_PGM_RSRC2:TIDIG_COMP_CNT: 0
; COMPUTE_PGM_RSRC3_GFX90A:ACCUM_OFFSET: 0
; COMPUTE_PGM_RSRC3_GFX90A:TG_SPLIT: 0
	.section	.text._ZN7rocprim17ROCPRIM_400000_NS6detail17trampoline_kernelINS0_14default_configENS1_38merge_sort_block_merge_config_selectorIbiEEZZNS1_27merge_sort_block_merge_implIS3_N6thrust23THRUST_200600_302600_NS6detail15normal_iteratorINS8_10device_ptrIbEEEENSA_INSB_IiEEEEjNS1_19radix_merge_compareILb1ELb1EbNS0_19identity_decomposerEEEEE10hipError_tT0_T1_T2_jT3_P12ihipStream_tbPNSt15iterator_traitsISK_E10value_typeEPNSQ_ISL_E10value_typeEPSM_NS1_7vsmem_tEENKUlT_SK_SL_SM_E_clISD_PbSF_PiEESJ_SZ_SK_SL_SM_EUlSZ_E_NS1_11comp_targetILNS1_3genE8ELNS1_11target_archE1030ELNS1_3gpuE2ELNS1_3repE0EEENS1_48merge_mergepath_partition_config_static_selectorELNS0_4arch9wavefront6targetE1EEEvSL_,"axG",@progbits,_ZN7rocprim17ROCPRIM_400000_NS6detail17trampoline_kernelINS0_14default_configENS1_38merge_sort_block_merge_config_selectorIbiEEZZNS1_27merge_sort_block_merge_implIS3_N6thrust23THRUST_200600_302600_NS6detail15normal_iteratorINS8_10device_ptrIbEEEENSA_INSB_IiEEEEjNS1_19radix_merge_compareILb1ELb1EbNS0_19identity_decomposerEEEEE10hipError_tT0_T1_T2_jT3_P12ihipStream_tbPNSt15iterator_traitsISK_E10value_typeEPNSQ_ISL_E10value_typeEPSM_NS1_7vsmem_tEENKUlT_SK_SL_SM_E_clISD_PbSF_PiEESJ_SZ_SK_SL_SM_EUlSZ_E_NS1_11comp_targetILNS1_3genE8ELNS1_11target_archE1030ELNS1_3gpuE2ELNS1_3repE0EEENS1_48merge_mergepath_partition_config_static_selectorELNS0_4arch9wavefront6targetE1EEEvSL_,comdat
	.protected	_ZN7rocprim17ROCPRIM_400000_NS6detail17trampoline_kernelINS0_14default_configENS1_38merge_sort_block_merge_config_selectorIbiEEZZNS1_27merge_sort_block_merge_implIS3_N6thrust23THRUST_200600_302600_NS6detail15normal_iteratorINS8_10device_ptrIbEEEENSA_INSB_IiEEEEjNS1_19radix_merge_compareILb1ELb1EbNS0_19identity_decomposerEEEEE10hipError_tT0_T1_T2_jT3_P12ihipStream_tbPNSt15iterator_traitsISK_E10value_typeEPNSQ_ISL_E10value_typeEPSM_NS1_7vsmem_tEENKUlT_SK_SL_SM_E_clISD_PbSF_PiEESJ_SZ_SK_SL_SM_EUlSZ_E_NS1_11comp_targetILNS1_3genE8ELNS1_11target_archE1030ELNS1_3gpuE2ELNS1_3repE0EEENS1_48merge_mergepath_partition_config_static_selectorELNS0_4arch9wavefront6targetE1EEEvSL_ ; -- Begin function _ZN7rocprim17ROCPRIM_400000_NS6detail17trampoline_kernelINS0_14default_configENS1_38merge_sort_block_merge_config_selectorIbiEEZZNS1_27merge_sort_block_merge_implIS3_N6thrust23THRUST_200600_302600_NS6detail15normal_iteratorINS8_10device_ptrIbEEEENSA_INSB_IiEEEEjNS1_19radix_merge_compareILb1ELb1EbNS0_19identity_decomposerEEEEE10hipError_tT0_T1_T2_jT3_P12ihipStream_tbPNSt15iterator_traitsISK_E10value_typeEPNSQ_ISL_E10value_typeEPSM_NS1_7vsmem_tEENKUlT_SK_SL_SM_E_clISD_PbSF_PiEESJ_SZ_SK_SL_SM_EUlSZ_E_NS1_11comp_targetILNS1_3genE8ELNS1_11target_archE1030ELNS1_3gpuE2ELNS1_3repE0EEENS1_48merge_mergepath_partition_config_static_selectorELNS0_4arch9wavefront6targetE1EEEvSL_
	.globl	_ZN7rocprim17ROCPRIM_400000_NS6detail17trampoline_kernelINS0_14default_configENS1_38merge_sort_block_merge_config_selectorIbiEEZZNS1_27merge_sort_block_merge_implIS3_N6thrust23THRUST_200600_302600_NS6detail15normal_iteratorINS8_10device_ptrIbEEEENSA_INSB_IiEEEEjNS1_19radix_merge_compareILb1ELb1EbNS0_19identity_decomposerEEEEE10hipError_tT0_T1_T2_jT3_P12ihipStream_tbPNSt15iterator_traitsISK_E10value_typeEPNSQ_ISL_E10value_typeEPSM_NS1_7vsmem_tEENKUlT_SK_SL_SM_E_clISD_PbSF_PiEESJ_SZ_SK_SL_SM_EUlSZ_E_NS1_11comp_targetILNS1_3genE8ELNS1_11target_archE1030ELNS1_3gpuE2ELNS1_3repE0EEENS1_48merge_mergepath_partition_config_static_selectorELNS0_4arch9wavefront6targetE1EEEvSL_
	.p2align	8
	.type	_ZN7rocprim17ROCPRIM_400000_NS6detail17trampoline_kernelINS0_14default_configENS1_38merge_sort_block_merge_config_selectorIbiEEZZNS1_27merge_sort_block_merge_implIS3_N6thrust23THRUST_200600_302600_NS6detail15normal_iteratorINS8_10device_ptrIbEEEENSA_INSB_IiEEEEjNS1_19radix_merge_compareILb1ELb1EbNS0_19identity_decomposerEEEEE10hipError_tT0_T1_T2_jT3_P12ihipStream_tbPNSt15iterator_traitsISK_E10value_typeEPNSQ_ISL_E10value_typeEPSM_NS1_7vsmem_tEENKUlT_SK_SL_SM_E_clISD_PbSF_PiEESJ_SZ_SK_SL_SM_EUlSZ_E_NS1_11comp_targetILNS1_3genE8ELNS1_11target_archE1030ELNS1_3gpuE2ELNS1_3repE0EEENS1_48merge_mergepath_partition_config_static_selectorELNS0_4arch9wavefront6targetE1EEEvSL_,@function
_ZN7rocprim17ROCPRIM_400000_NS6detail17trampoline_kernelINS0_14default_configENS1_38merge_sort_block_merge_config_selectorIbiEEZZNS1_27merge_sort_block_merge_implIS3_N6thrust23THRUST_200600_302600_NS6detail15normal_iteratorINS8_10device_ptrIbEEEENSA_INSB_IiEEEEjNS1_19radix_merge_compareILb1ELb1EbNS0_19identity_decomposerEEEEE10hipError_tT0_T1_T2_jT3_P12ihipStream_tbPNSt15iterator_traitsISK_E10value_typeEPNSQ_ISL_E10value_typeEPSM_NS1_7vsmem_tEENKUlT_SK_SL_SM_E_clISD_PbSF_PiEESJ_SZ_SK_SL_SM_EUlSZ_E_NS1_11comp_targetILNS1_3genE8ELNS1_11target_archE1030ELNS1_3gpuE2ELNS1_3repE0EEENS1_48merge_mergepath_partition_config_static_selectorELNS0_4arch9wavefront6targetE1EEEvSL_: ; @_ZN7rocprim17ROCPRIM_400000_NS6detail17trampoline_kernelINS0_14default_configENS1_38merge_sort_block_merge_config_selectorIbiEEZZNS1_27merge_sort_block_merge_implIS3_N6thrust23THRUST_200600_302600_NS6detail15normal_iteratorINS8_10device_ptrIbEEEENSA_INSB_IiEEEEjNS1_19radix_merge_compareILb1ELb1EbNS0_19identity_decomposerEEEEE10hipError_tT0_T1_T2_jT3_P12ihipStream_tbPNSt15iterator_traitsISK_E10value_typeEPNSQ_ISL_E10value_typeEPSM_NS1_7vsmem_tEENKUlT_SK_SL_SM_E_clISD_PbSF_PiEESJ_SZ_SK_SL_SM_EUlSZ_E_NS1_11comp_targetILNS1_3genE8ELNS1_11target_archE1030ELNS1_3gpuE2ELNS1_3repE0EEENS1_48merge_mergepath_partition_config_static_selectorELNS0_4arch9wavefront6targetE1EEEvSL_
; %bb.0:
	.section	.rodata,"a",@progbits
	.p2align	6, 0x0
	.amdhsa_kernel _ZN7rocprim17ROCPRIM_400000_NS6detail17trampoline_kernelINS0_14default_configENS1_38merge_sort_block_merge_config_selectorIbiEEZZNS1_27merge_sort_block_merge_implIS3_N6thrust23THRUST_200600_302600_NS6detail15normal_iteratorINS8_10device_ptrIbEEEENSA_INSB_IiEEEEjNS1_19radix_merge_compareILb1ELb1EbNS0_19identity_decomposerEEEEE10hipError_tT0_T1_T2_jT3_P12ihipStream_tbPNSt15iterator_traitsISK_E10value_typeEPNSQ_ISL_E10value_typeEPSM_NS1_7vsmem_tEENKUlT_SK_SL_SM_E_clISD_PbSF_PiEESJ_SZ_SK_SL_SM_EUlSZ_E_NS1_11comp_targetILNS1_3genE8ELNS1_11target_archE1030ELNS1_3gpuE2ELNS1_3repE0EEENS1_48merge_mergepath_partition_config_static_selectorELNS0_4arch9wavefront6targetE1EEEvSL_
		.amdhsa_group_segment_fixed_size 0
		.amdhsa_private_segment_fixed_size 0
		.amdhsa_kernarg_size 40
		.amdhsa_user_sgpr_count 2
		.amdhsa_user_sgpr_dispatch_ptr 0
		.amdhsa_user_sgpr_queue_ptr 0
		.amdhsa_user_sgpr_kernarg_segment_ptr 1
		.amdhsa_user_sgpr_dispatch_id 0
		.amdhsa_user_sgpr_kernarg_preload_length 0
		.amdhsa_user_sgpr_kernarg_preload_offset 0
		.amdhsa_user_sgpr_private_segment_size 0
		.amdhsa_uses_dynamic_stack 0
		.amdhsa_enable_private_segment 0
		.amdhsa_system_sgpr_workgroup_id_x 1
		.amdhsa_system_sgpr_workgroup_id_y 0
		.amdhsa_system_sgpr_workgroup_id_z 0
		.amdhsa_system_sgpr_workgroup_info 0
		.amdhsa_system_vgpr_workitem_id 0
		.amdhsa_next_free_vgpr 1
		.amdhsa_next_free_sgpr 0
		.amdhsa_accum_offset 4
		.amdhsa_reserve_vcc 0
		.amdhsa_float_round_mode_32 0
		.amdhsa_float_round_mode_16_64 0
		.amdhsa_float_denorm_mode_32 3
		.amdhsa_float_denorm_mode_16_64 3
		.amdhsa_dx10_clamp 1
		.amdhsa_ieee_mode 1
		.amdhsa_fp16_overflow 0
		.amdhsa_tg_split 0
		.amdhsa_exception_fp_ieee_invalid_op 0
		.amdhsa_exception_fp_denorm_src 0
		.amdhsa_exception_fp_ieee_div_zero 0
		.amdhsa_exception_fp_ieee_overflow 0
		.amdhsa_exception_fp_ieee_underflow 0
		.amdhsa_exception_fp_ieee_inexact 0
		.amdhsa_exception_int_div_zero 0
	.end_amdhsa_kernel
	.section	.text._ZN7rocprim17ROCPRIM_400000_NS6detail17trampoline_kernelINS0_14default_configENS1_38merge_sort_block_merge_config_selectorIbiEEZZNS1_27merge_sort_block_merge_implIS3_N6thrust23THRUST_200600_302600_NS6detail15normal_iteratorINS8_10device_ptrIbEEEENSA_INSB_IiEEEEjNS1_19radix_merge_compareILb1ELb1EbNS0_19identity_decomposerEEEEE10hipError_tT0_T1_T2_jT3_P12ihipStream_tbPNSt15iterator_traitsISK_E10value_typeEPNSQ_ISL_E10value_typeEPSM_NS1_7vsmem_tEENKUlT_SK_SL_SM_E_clISD_PbSF_PiEESJ_SZ_SK_SL_SM_EUlSZ_E_NS1_11comp_targetILNS1_3genE8ELNS1_11target_archE1030ELNS1_3gpuE2ELNS1_3repE0EEENS1_48merge_mergepath_partition_config_static_selectorELNS0_4arch9wavefront6targetE1EEEvSL_,"axG",@progbits,_ZN7rocprim17ROCPRIM_400000_NS6detail17trampoline_kernelINS0_14default_configENS1_38merge_sort_block_merge_config_selectorIbiEEZZNS1_27merge_sort_block_merge_implIS3_N6thrust23THRUST_200600_302600_NS6detail15normal_iteratorINS8_10device_ptrIbEEEENSA_INSB_IiEEEEjNS1_19radix_merge_compareILb1ELb1EbNS0_19identity_decomposerEEEEE10hipError_tT0_T1_T2_jT3_P12ihipStream_tbPNSt15iterator_traitsISK_E10value_typeEPNSQ_ISL_E10value_typeEPSM_NS1_7vsmem_tEENKUlT_SK_SL_SM_E_clISD_PbSF_PiEESJ_SZ_SK_SL_SM_EUlSZ_E_NS1_11comp_targetILNS1_3genE8ELNS1_11target_archE1030ELNS1_3gpuE2ELNS1_3repE0EEENS1_48merge_mergepath_partition_config_static_selectorELNS0_4arch9wavefront6targetE1EEEvSL_,comdat
.Lfunc_end2183:
	.size	_ZN7rocprim17ROCPRIM_400000_NS6detail17trampoline_kernelINS0_14default_configENS1_38merge_sort_block_merge_config_selectorIbiEEZZNS1_27merge_sort_block_merge_implIS3_N6thrust23THRUST_200600_302600_NS6detail15normal_iteratorINS8_10device_ptrIbEEEENSA_INSB_IiEEEEjNS1_19radix_merge_compareILb1ELb1EbNS0_19identity_decomposerEEEEE10hipError_tT0_T1_T2_jT3_P12ihipStream_tbPNSt15iterator_traitsISK_E10value_typeEPNSQ_ISL_E10value_typeEPSM_NS1_7vsmem_tEENKUlT_SK_SL_SM_E_clISD_PbSF_PiEESJ_SZ_SK_SL_SM_EUlSZ_E_NS1_11comp_targetILNS1_3genE8ELNS1_11target_archE1030ELNS1_3gpuE2ELNS1_3repE0EEENS1_48merge_mergepath_partition_config_static_selectorELNS0_4arch9wavefront6targetE1EEEvSL_, .Lfunc_end2183-_ZN7rocprim17ROCPRIM_400000_NS6detail17trampoline_kernelINS0_14default_configENS1_38merge_sort_block_merge_config_selectorIbiEEZZNS1_27merge_sort_block_merge_implIS3_N6thrust23THRUST_200600_302600_NS6detail15normal_iteratorINS8_10device_ptrIbEEEENSA_INSB_IiEEEEjNS1_19radix_merge_compareILb1ELb1EbNS0_19identity_decomposerEEEEE10hipError_tT0_T1_T2_jT3_P12ihipStream_tbPNSt15iterator_traitsISK_E10value_typeEPNSQ_ISL_E10value_typeEPSM_NS1_7vsmem_tEENKUlT_SK_SL_SM_E_clISD_PbSF_PiEESJ_SZ_SK_SL_SM_EUlSZ_E_NS1_11comp_targetILNS1_3genE8ELNS1_11target_archE1030ELNS1_3gpuE2ELNS1_3repE0EEENS1_48merge_mergepath_partition_config_static_selectorELNS0_4arch9wavefront6targetE1EEEvSL_
                                        ; -- End function
	.set _ZN7rocprim17ROCPRIM_400000_NS6detail17trampoline_kernelINS0_14default_configENS1_38merge_sort_block_merge_config_selectorIbiEEZZNS1_27merge_sort_block_merge_implIS3_N6thrust23THRUST_200600_302600_NS6detail15normal_iteratorINS8_10device_ptrIbEEEENSA_INSB_IiEEEEjNS1_19radix_merge_compareILb1ELb1EbNS0_19identity_decomposerEEEEE10hipError_tT0_T1_T2_jT3_P12ihipStream_tbPNSt15iterator_traitsISK_E10value_typeEPNSQ_ISL_E10value_typeEPSM_NS1_7vsmem_tEENKUlT_SK_SL_SM_E_clISD_PbSF_PiEESJ_SZ_SK_SL_SM_EUlSZ_E_NS1_11comp_targetILNS1_3genE8ELNS1_11target_archE1030ELNS1_3gpuE2ELNS1_3repE0EEENS1_48merge_mergepath_partition_config_static_selectorELNS0_4arch9wavefront6targetE1EEEvSL_.num_vgpr, 0
	.set _ZN7rocprim17ROCPRIM_400000_NS6detail17trampoline_kernelINS0_14default_configENS1_38merge_sort_block_merge_config_selectorIbiEEZZNS1_27merge_sort_block_merge_implIS3_N6thrust23THRUST_200600_302600_NS6detail15normal_iteratorINS8_10device_ptrIbEEEENSA_INSB_IiEEEEjNS1_19radix_merge_compareILb1ELb1EbNS0_19identity_decomposerEEEEE10hipError_tT0_T1_T2_jT3_P12ihipStream_tbPNSt15iterator_traitsISK_E10value_typeEPNSQ_ISL_E10value_typeEPSM_NS1_7vsmem_tEENKUlT_SK_SL_SM_E_clISD_PbSF_PiEESJ_SZ_SK_SL_SM_EUlSZ_E_NS1_11comp_targetILNS1_3genE8ELNS1_11target_archE1030ELNS1_3gpuE2ELNS1_3repE0EEENS1_48merge_mergepath_partition_config_static_selectorELNS0_4arch9wavefront6targetE1EEEvSL_.num_agpr, 0
	.set _ZN7rocprim17ROCPRIM_400000_NS6detail17trampoline_kernelINS0_14default_configENS1_38merge_sort_block_merge_config_selectorIbiEEZZNS1_27merge_sort_block_merge_implIS3_N6thrust23THRUST_200600_302600_NS6detail15normal_iteratorINS8_10device_ptrIbEEEENSA_INSB_IiEEEEjNS1_19radix_merge_compareILb1ELb1EbNS0_19identity_decomposerEEEEE10hipError_tT0_T1_T2_jT3_P12ihipStream_tbPNSt15iterator_traitsISK_E10value_typeEPNSQ_ISL_E10value_typeEPSM_NS1_7vsmem_tEENKUlT_SK_SL_SM_E_clISD_PbSF_PiEESJ_SZ_SK_SL_SM_EUlSZ_E_NS1_11comp_targetILNS1_3genE8ELNS1_11target_archE1030ELNS1_3gpuE2ELNS1_3repE0EEENS1_48merge_mergepath_partition_config_static_selectorELNS0_4arch9wavefront6targetE1EEEvSL_.numbered_sgpr, 0
	.set _ZN7rocprim17ROCPRIM_400000_NS6detail17trampoline_kernelINS0_14default_configENS1_38merge_sort_block_merge_config_selectorIbiEEZZNS1_27merge_sort_block_merge_implIS3_N6thrust23THRUST_200600_302600_NS6detail15normal_iteratorINS8_10device_ptrIbEEEENSA_INSB_IiEEEEjNS1_19radix_merge_compareILb1ELb1EbNS0_19identity_decomposerEEEEE10hipError_tT0_T1_T2_jT3_P12ihipStream_tbPNSt15iterator_traitsISK_E10value_typeEPNSQ_ISL_E10value_typeEPSM_NS1_7vsmem_tEENKUlT_SK_SL_SM_E_clISD_PbSF_PiEESJ_SZ_SK_SL_SM_EUlSZ_E_NS1_11comp_targetILNS1_3genE8ELNS1_11target_archE1030ELNS1_3gpuE2ELNS1_3repE0EEENS1_48merge_mergepath_partition_config_static_selectorELNS0_4arch9wavefront6targetE1EEEvSL_.num_named_barrier, 0
	.set _ZN7rocprim17ROCPRIM_400000_NS6detail17trampoline_kernelINS0_14default_configENS1_38merge_sort_block_merge_config_selectorIbiEEZZNS1_27merge_sort_block_merge_implIS3_N6thrust23THRUST_200600_302600_NS6detail15normal_iteratorINS8_10device_ptrIbEEEENSA_INSB_IiEEEEjNS1_19radix_merge_compareILb1ELb1EbNS0_19identity_decomposerEEEEE10hipError_tT0_T1_T2_jT3_P12ihipStream_tbPNSt15iterator_traitsISK_E10value_typeEPNSQ_ISL_E10value_typeEPSM_NS1_7vsmem_tEENKUlT_SK_SL_SM_E_clISD_PbSF_PiEESJ_SZ_SK_SL_SM_EUlSZ_E_NS1_11comp_targetILNS1_3genE8ELNS1_11target_archE1030ELNS1_3gpuE2ELNS1_3repE0EEENS1_48merge_mergepath_partition_config_static_selectorELNS0_4arch9wavefront6targetE1EEEvSL_.private_seg_size, 0
	.set _ZN7rocprim17ROCPRIM_400000_NS6detail17trampoline_kernelINS0_14default_configENS1_38merge_sort_block_merge_config_selectorIbiEEZZNS1_27merge_sort_block_merge_implIS3_N6thrust23THRUST_200600_302600_NS6detail15normal_iteratorINS8_10device_ptrIbEEEENSA_INSB_IiEEEEjNS1_19radix_merge_compareILb1ELb1EbNS0_19identity_decomposerEEEEE10hipError_tT0_T1_T2_jT3_P12ihipStream_tbPNSt15iterator_traitsISK_E10value_typeEPNSQ_ISL_E10value_typeEPSM_NS1_7vsmem_tEENKUlT_SK_SL_SM_E_clISD_PbSF_PiEESJ_SZ_SK_SL_SM_EUlSZ_E_NS1_11comp_targetILNS1_3genE8ELNS1_11target_archE1030ELNS1_3gpuE2ELNS1_3repE0EEENS1_48merge_mergepath_partition_config_static_selectorELNS0_4arch9wavefront6targetE1EEEvSL_.uses_vcc, 0
	.set _ZN7rocprim17ROCPRIM_400000_NS6detail17trampoline_kernelINS0_14default_configENS1_38merge_sort_block_merge_config_selectorIbiEEZZNS1_27merge_sort_block_merge_implIS3_N6thrust23THRUST_200600_302600_NS6detail15normal_iteratorINS8_10device_ptrIbEEEENSA_INSB_IiEEEEjNS1_19radix_merge_compareILb1ELb1EbNS0_19identity_decomposerEEEEE10hipError_tT0_T1_T2_jT3_P12ihipStream_tbPNSt15iterator_traitsISK_E10value_typeEPNSQ_ISL_E10value_typeEPSM_NS1_7vsmem_tEENKUlT_SK_SL_SM_E_clISD_PbSF_PiEESJ_SZ_SK_SL_SM_EUlSZ_E_NS1_11comp_targetILNS1_3genE8ELNS1_11target_archE1030ELNS1_3gpuE2ELNS1_3repE0EEENS1_48merge_mergepath_partition_config_static_selectorELNS0_4arch9wavefront6targetE1EEEvSL_.uses_flat_scratch, 0
	.set _ZN7rocprim17ROCPRIM_400000_NS6detail17trampoline_kernelINS0_14default_configENS1_38merge_sort_block_merge_config_selectorIbiEEZZNS1_27merge_sort_block_merge_implIS3_N6thrust23THRUST_200600_302600_NS6detail15normal_iteratorINS8_10device_ptrIbEEEENSA_INSB_IiEEEEjNS1_19radix_merge_compareILb1ELb1EbNS0_19identity_decomposerEEEEE10hipError_tT0_T1_T2_jT3_P12ihipStream_tbPNSt15iterator_traitsISK_E10value_typeEPNSQ_ISL_E10value_typeEPSM_NS1_7vsmem_tEENKUlT_SK_SL_SM_E_clISD_PbSF_PiEESJ_SZ_SK_SL_SM_EUlSZ_E_NS1_11comp_targetILNS1_3genE8ELNS1_11target_archE1030ELNS1_3gpuE2ELNS1_3repE0EEENS1_48merge_mergepath_partition_config_static_selectorELNS0_4arch9wavefront6targetE1EEEvSL_.has_dyn_sized_stack, 0
	.set _ZN7rocprim17ROCPRIM_400000_NS6detail17trampoline_kernelINS0_14default_configENS1_38merge_sort_block_merge_config_selectorIbiEEZZNS1_27merge_sort_block_merge_implIS3_N6thrust23THRUST_200600_302600_NS6detail15normal_iteratorINS8_10device_ptrIbEEEENSA_INSB_IiEEEEjNS1_19radix_merge_compareILb1ELb1EbNS0_19identity_decomposerEEEEE10hipError_tT0_T1_T2_jT3_P12ihipStream_tbPNSt15iterator_traitsISK_E10value_typeEPNSQ_ISL_E10value_typeEPSM_NS1_7vsmem_tEENKUlT_SK_SL_SM_E_clISD_PbSF_PiEESJ_SZ_SK_SL_SM_EUlSZ_E_NS1_11comp_targetILNS1_3genE8ELNS1_11target_archE1030ELNS1_3gpuE2ELNS1_3repE0EEENS1_48merge_mergepath_partition_config_static_selectorELNS0_4arch9wavefront6targetE1EEEvSL_.has_recursion, 0
	.set _ZN7rocprim17ROCPRIM_400000_NS6detail17trampoline_kernelINS0_14default_configENS1_38merge_sort_block_merge_config_selectorIbiEEZZNS1_27merge_sort_block_merge_implIS3_N6thrust23THRUST_200600_302600_NS6detail15normal_iteratorINS8_10device_ptrIbEEEENSA_INSB_IiEEEEjNS1_19radix_merge_compareILb1ELb1EbNS0_19identity_decomposerEEEEE10hipError_tT0_T1_T2_jT3_P12ihipStream_tbPNSt15iterator_traitsISK_E10value_typeEPNSQ_ISL_E10value_typeEPSM_NS1_7vsmem_tEENKUlT_SK_SL_SM_E_clISD_PbSF_PiEESJ_SZ_SK_SL_SM_EUlSZ_E_NS1_11comp_targetILNS1_3genE8ELNS1_11target_archE1030ELNS1_3gpuE2ELNS1_3repE0EEENS1_48merge_mergepath_partition_config_static_selectorELNS0_4arch9wavefront6targetE1EEEvSL_.has_indirect_call, 0
	.section	.AMDGPU.csdata,"",@progbits
; Kernel info:
; codeLenInByte = 0
; TotalNumSgprs: 6
; NumVgprs: 0
; NumAgprs: 0
; TotalNumVgprs: 0
; ScratchSize: 0
; MemoryBound: 0
; FloatMode: 240
; IeeeMode: 1
; LDSByteSize: 0 bytes/workgroup (compile time only)
; SGPRBlocks: 0
; VGPRBlocks: 0
; NumSGPRsForWavesPerEU: 6
; NumVGPRsForWavesPerEU: 1
; AccumOffset: 4
; Occupancy: 8
; WaveLimiterHint : 0
; COMPUTE_PGM_RSRC2:SCRATCH_EN: 0
; COMPUTE_PGM_RSRC2:USER_SGPR: 2
; COMPUTE_PGM_RSRC2:TRAP_HANDLER: 0
; COMPUTE_PGM_RSRC2:TGID_X_EN: 1
; COMPUTE_PGM_RSRC2:TGID_Y_EN: 0
; COMPUTE_PGM_RSRC2:TGID_Z_EN: 0
; COMPUTE_PGM_RSRC2:TIDIG_COMP_CNT: 0
; COMPUTE_PGM_RSRC3_GFX90A:ACCUM_OFFSET: 0
; COMPUTE_PGM_RSRC3_GFX90A:TG_SPLIT: 0
	.section	.text._ZN7rocprim17ROCPRIM_400000_NS6detail17trampoline_kernelINS0_14default_configENS1_38merge_sort_block_merge_config_selectorIbiEEZZNS1_27merge_sort_block_merge_implIS3_N6thrust23THRUST_200600_302600_NS6detail15normal_iteratorINS8_10device_ptrIbEEEENSA_INSB_IiEEEEjNS1_19radix_merge_compareILb1ELb1EbNS0_19identity_decomposerEEEEE10hipError_tT0_T1_T2_jT3_P12ihipStream_tbPNSt15iterator_traitsISK_E10value_typeEPNSQ_ISL_E10value_typeEPSM_NS1_7vsmem_tEENKUlT_SK_SL_SM_E_clISD_PbSF_PiEESJ_SZ_SK_SL_SM_EUlSZ_E0_NS1_11comp_targetILNS1_3genE0ELNS1_11target_archE4294967295ELNS1_3gpuE0ELNS1_3repE0EEENS1_38merge_mergepath_config_static_selectorELNS0_4arch9wavefront6targetE1EEEvSL_,"axG",@progbits,_ZN7rocprim17ROCPRIM_400000_NS6detail17trampoline_kernelINS0_14default_configENS1_38merge_sort_block_merge_config_selectorIbiEEZZNS1_27merge_sort_block_merge_implIS3_N6thrust23THRUST_200600_302600_NS6detail15normal_iteratorINS8_10device_ptrIbEEEENSA_INSB_IiEEEEjNS1_19radix_merge_compareILb1ELb1EbNS0_19identity_decomposerEEEEE10hipError_tT0_T1_T2_jT3_P12ihipStream_tbPNSt15iterator_traitsISK_E10value_typeEPNSQ_ISL_E10value_typeEPSM_NS1_7vsmem_tEENKUlT_SK_SL_SM_E_clISD_PbSF_PiEESJ_SZ_SK_SL_SM_EUlSZ_E0_NS1_11comp_targetILNS1_3genE0ELNS1_11target_archE4294967295ELNS1_3gpuE0ELNS1_3repE0EEENS1_38merge_mergepath_config_static_selectorELNS0_4arch9wavefront6targetE1EEEvSL_,comdat
	.protected	_ZN7rocprim17ROCPRIM_400000_NS6detail17trampoline_kernelINS0_14default_configENS1_38merge_sort_block_merge_config_selectorIbiEEZZNS1_27merge_sort_block_merge_implIS3_N6thrust23THRUST_200600_302600_NS6detail15normal_iteratorINS8_10device_ptrIbEEEENSA_INSB_IiEEEEjNS1_19radix_merge_compareILb1ELb1EbNS0_19identity_decomposerEEEEE10hipError_tT0_T1_T2_jT3_P12ihipStream_tbPNSt15iterator_traitsISK_E10value_typeEPNSQ_ISL_E10value_typeEPSM_NS1_7vsmem_tEENKUlT_SK_SL_SM_E_clISD_PbSF_PiEESJ_SZ_SK_SL_SM_EUlSZ_E0_NS1_11comp_targetILNS1_3genE0ELNS1_11target_archE4294967295ELNS1_3gpuE0ELNS1_3repE0EEENS1_38merge_mergepath_config_static_selectorELNS0_4arch9wavefront6targetE1EEEvSL_ ; -- Begin function _ZN7rocprim17ROCPRIM_400000_NS6detail17trampoline_kernelINS0_14default_configENS1_38merge_sort_block_merge_config_selectorIbiEEZZNS1_27merge_sort_block_merge_implIS3_N6thrust23THRUST_200600_302600_NS6detail15normal_iteratorINS8_10device_ptrIbEEEENSA_INSB_IiEEEEjNS1_19radix_merge_compareILb1ELb1EbNS0_19identity_decomposerEEEEE10hipError_tT0_T1_T2_jT3_P12ihipStream_tbPNSt15iterator_traitsISK_E10value_typeEPNSQ_ISL_E10value_typeEPSM_NS1_7vsmem_tEENKUlT_SK_SL_SM_E_clISD_PbSF_PiEESJ_SZ_SK_SL_SM_EUlSZ_E0_NS1_11comp_targetILNS1_3genE0ELNS1_11target_archE4294967295ELNS1_3gpuE0ELNS1_3repE0EEENS1_38merge_mergepath_config_static_selectorELNS0_4arch9wavefront6targetE1EEEvSL_
	.globl	_ZN7rocprim17ROCPRIM_400000_NS6detail17trampoline_kernelINS0_14default_configENS1_38merge_sort_block_merge_config_selectorIbiEEZZNS1_27merge_sort_block_merge_implIS3_N6thrust23THRUST_200600_302600_NS6detail15normal_iteratorINS8_10device_ptrIbEEEENSA_INSB_IiEEEEjNS1_19radix_merge_compareILb1ELb1EbNS0_19identity_decomposerEEEEE10hipError_tT0_T1_T2_jT3_P12ihipStream_tbPNSt15iterator_traitsISK_E10value_typeEPNSQ_ISL_E10value_typeEPSM_NS1_7vsmem_tEENKUlT_SK_SL_SM_E_clISD_PbSF_PiEESJ_SZ_SK_SL_SM_EUlSZ_E0_NS1_11comp_targetILNS1_3genE0ELNS1_11target_archE4294967295ELNS1_3gpuE0ELNS1_3repE0EEENS1_38merge_mergepath_config_static_selectorELNS0_4arch9wavefront6targetE1EEEvSL_
	.p2align	8
	.type	_ZN7rocprim17ROCPRIM_400000_NS6detail17trampoline_kernelINS0_14default_configENS1_38merge_sort_block_merge_config_selectorIbiEEZZNS1_27merge_sort_block_merge_implIS3_N6thrust23THRUST_200600_302600_NS6detail15normal_iteratorINS8_10device_ptrIbEEEENSA_INSB_IiEEEEjNS1_19radix_merge_compareILb1ELb1EbNS0_19identity_decomposerEEEEE10hipError_tT0_T1_T2_jT3_P12ihipStream_tbPNSt15iterator_traitsISK_E10value_typeEPNSQ_ISL_E10value_typeEPSM_NS1_7vsmem_tEENKUlT_SK_SL_SM_E_clISD_PbSF_PiEESJ_SZ_SK_SL_SM_EUlSZ_E0_NS1_11comp_targetILNS1_3genE0ELNS1_11target_archE4294967295ELNS1_3gpuE0ELNS1_3repE0EEENS1_38merge_mergepath_config_static_selectorELNS0_4arch9wavefront6targetE1EEEvSL_,@function
_ZN7rocprim17ROCPRIM_400000_NS6detail17trampoline_kernelINS0_14default_configENS1_38merge_sort_block_merge_config_selectorIbiEEZZNS1_27merge_sort_block_merge_implIS3_N6thrust23THRUST_200600_302600_NS6detail15normal_iteratorINS8_10device_ptrIbEEEENSA_INSB_IiEEEEjNS1_19radix_merge_compareILb1ELb1EbNS0_19identity_decomposerEEEEE10hipError_tT0_T1_T2_jT3_P12ihipStream_tbPNSt15iterator_traitsISK_E10value_typeEPNSQ_ISL_E10value_typeEPSM_NS1_7vsmem_tEENKUlT_SK_SL_SM_E_clISD_PbSF_PiEESJ_SZ_SK_SL_SM_EUlSZ_E0_NS1_11comp_targetILNS1_3genE0ELNS1_11target_archE4294967295ELNS1_3gpuE0ELNS1_3repE0EEENS1_38merge_mergepath_config_static_selectorELNS0_4arch9wavefront6targetE1EEEvSL_: ; @_ZN7rocprim17ROCPRIM_400000_NS6detail17trampoline_kernelINS0_14default_configENS1_38merge_sort_block_merge_config_selectorIbiEEZZNS1_27merge_sort_block_merge_implIS3_N6thrust23THRUST_200600_302600_NS6detail15normal_iteratorINS8_10device_ptrIbEEEENSA_INSB_IiEEEEjNS1_19radix_merge_compareILb1ELb1EbNS0_19identity_decomposerEEEEE10hipError_tT0_T1_T2_jT3_P12ihipStream_tbPNSt15iterator_traitsISK_E10value_typeEPNSQ_ISL_E10value_typeEPSM_NS1_7vsmem_tEENKUlT_SK_SL_SM_E_clISD_PbSF_PiEESJ_SZ_SK_SL_SM_EUlSZ_E0_NS1_11comp_targetILNS1_3genE0ELNS1_11target_archE4294967295ELNS1_3gpuE0ELNS1_3repE0EEENS1_38merge_mergepath_config_static_selectorELNS0_4arch9wavefront6targetE1EEEvSL_
; %bb.0:
	s_load_dwordx2 s[8:9], s[0:1], 0x4
	v_and_b32_e32 v4, 0x3ff, v0
	v_bfe_u32 v2, v0, 10, 10
	v_bfe_u32 v0, v0, 20, 10
	s_waitcnt lgkmcnt(0)
	s_lshr_b32 s0, s8, 16
	s_mul_i32 s0, s0, s9
	v_mul_lo_u32 v1, s0, v4
	s_load_dwordx4 s[16:19], s[2:3], 0x28
	s_load_dword s0, s[2:3], 0x34
	s_load_dwordx2 s[24:25], s[2:3], 0x40
	v_mul_u32_u24_e32 v2, s9, v2
	v_add3_u32 v14, v1, v2, v0
	s_waitcnt lgkmcnt(0)
	s_and_b32 s0, s0, 1
	v_mov_b32_e32 v0, s0
	s_add_u32 s26, s2, 64
	s_mul_i32 s0, s25, s6
	s_addc_u32 s27, s3, 0
	s_add_i32 s0, s0, s5
	s_mul_i32 s0, s0, s24
	s_add_i32 s22, s0, s4
	s_cmp_ge_u32 s22, s18
	ds_write_b8 v14, v0 offset:4224
	s_cbranch_scc1 .LBB2184_46
; %bb.1:
	s_load_dwordx8 s[8:15], s[2:3], 0x8
	s_load_dwordx2 s[0:1], s[2:3], 0x38
	s_lshr_b32 s25, s16, 10
	s_cmp_lg_u32 s22, s25
	s_mov_b32 s23, 0
	s_cselect_b64 s[18:19], -1, 0
	s_lshl_b64 s[2:3], s[22:23], 2
	s_waitcnt lgkmcnt(0)
	s_add_u32 s2, s0, s2
	s_addc_u32 s3, s1, s3
	s_load_dwordx2 s[0:1], s[2:3], 0x0
	s_lshr_b32 s2, s17, 9
	s_and_b32 s2, s2, 0x7ffffe
	s_sub_i32 s3, 0, s2
	s_and_b32 s2, s22, s3
	s_lshl_b32 s5, s2, 10
	s_lshl_b32 s6, s22, 10
	;; [unrolled: 1-line block ×3, first 2 shown]
	s_sub_i32 s7, s6, s5
	s_add_i32 s20, s2, s17
	s_add_i32 s7, s20, s7
	s_waitcnt lgkmcnt(0)
	s_sub_i32 s2, s7, s0
	s_sub_i32 s7, s7, s1
	;; [unrolled: 1-line block ×3, first 2 shown]
	s_min_u32 s2, s16, s2
	s_addk_i32 s7, 0x400
	s_or_b32 s3, s22, s3
	s_min_u32 s20, s16, s5
	s_add_i32 s5, s5, s17
	s_cmp_eq_u32 s3, -1
	s_cselect_b32 s3, s5, s7
	s_cselect_b32 s1, s20, s1
	s_min_u32 s17, s3, s16
	s_sub_i32 s7, s1, s0
	s_add_u32 s20, s8, s0
	s_addc_u32 s21, s9, 0
	s_add_u32 s8, s8, s2
	s_addc_u32 s9, s9, 0
	s_cmp_lt_u32 s4, s24
	v_mov_b32_e32 v1, 0
	s_cselect_b32 s1, 12, 18
	global_load_dword v0, v1, s[26:27] offset:14
	s_add_u32 s4, s26, s1
	s_addc_u32 s5, s27, 0
	global_load_ushort v2, v1, s[4:5]
	s_mov_b32 s1, s23
	s_mov_b32 s3, s23
	s_cmp_eq_u32 s22, s25
	s_waitcnt vmcnt(1)
	v_lshrrev_b32_e32 v3, 16, v0
	v_and_b32_e32 v0, 0xffff, v0
	v_mul_lo_u32 v0, v0, v3
	s_waitcnt vmcnt(0)
	v_mul_lo_u32 v13, v0, v2
	v_add_u32_e32 v10, v13, v4
	v_add_u32_e32 v8, v10, v13
	s_cbranch_scc1 .LBB2184_3
; %bb.2:
	v_mov_b32_e32 v5, v1
	v_subrev_co_u32_e32 v0, vcc, s7, v4
	v_lshl_add_u64 v[2:3], s[20:21], 0, v[4:5]
	v_lshl_add_u64 v[6:7], s[8:9], 0, v[0:1]
	v_cndmask_b32_e32 v3, v7, v3, vcc
	v_cndmask_b32_e32 v2, v6, v2, vcc
	v_mov_b32_e32 v11, v1
	v_subrev_co_u32_e32 v0, vcc, s7, v10
	v_lshl_add_u64 v[6:7], s[20:21], 0, v[10:11]
	v_lshl_add_u64 v[16:17], s[8:9], 0, v[0:1]
	v_cndmask_b32_e32 v7, v17, v7, vcc
	v_cndmask_b32_e32 v6, v16, v6, vcc
	;; [unrolled: 6-line block ×3, first 2 shown]
	global_load_ubyte v5, v[2:3], off
	global_load_ubyte v9, v[6:7], off
	;; [unrolled: 1-line block ×3, first 2 shown]
	s_mov_b32 s4, 0xc0c0004
	v_add_u32_e32 v0, v8, v13
	s_waitcnt vmcnt(1)
	v_perm_b32 v1, v5, v9, s4
	s_waitcnt vmcnt(0)
	v_lshl_or_b32 v15, v11, 16, v1
	s_mov_b64 s[4:5], -1
	s_sub_i32 s17, s17, s2
	s_cbranch_execz .LBB2184_4
	s_branch .LBB2184_9
.LBB2184_3:
	s_mov_b64 s[4:5], 0
                                        ; implicit-def: $vgpr0
                                        ; implicit-def: $vgpr15
	s_sub_i32 s17, s17, s2
.LBB2184_4:
	s_add_i32 s22, s17, s7
	v_cmp_gt_u32_e32 vcc, s22, v4
	v_mov_b32_e32 v15, 0
	s_and_saveexec_b64 s[4:5], vcc
	s_cbranch_execnz .LBB2184_47
; %bb.5:
	s_or_b64 exec, exec, s[4:5]
	v_cmp_gt_u32_e32 vcc, s22, v10
	s_and_saveexec_b64 s[4:5], vcc
	s_cbranch_execnz .LBB2184_48
.LBB2184_6:
	s_or_b64 exec, exec, s[4:5]
	v_cmp_gt_u32_e32 vcc, s22, v8
	s_and_saveexec_b64 s[4:5], vcc
	s_cbranch_execz .LBB2184_8
.LBB2184_7:
	v_mov_b32_e32 v9, 0
	v_subrev_co_u32_e32 v2, vcc, s7, v8
	v_mov_b32_e32 v3, v9
	v_lshl_add_u64 v[0:1], s[20:21], 0, v[8:9]
	v_lshl_add_u64 v[2:3], s[8:9], 0, v[2:3]
	v_cndmask_b32_e32 v1, v3, v1, vcc
	v_cndmask_b32_e32 v0, v2, v0, vcc
	global_load_ubyte v0, v[0:1], off
	s_waitcnt vmcnt(0)
	v_lshl_or_b32 v15, v0, 16, v15
.LBB2184_8:
	s_or_b64 exec, exec, s[4:5]
	v_add_u32_e32 v0, v8, v13
	v_cmp_gt_u32_e64 s[4:5], s22, v0
.LBB2184_9:
	s_and_saveexec_b64 s[22:23], s[4:5]
	s_cbranch_execz .LBB2184_11
; %bb.10:
	v_mov_b32_e32 v3, 0
	v_mov_b32_e32 v1, v3
	v_subrev_co_u32_e32 v2, vcc, s7, v0
	v_lshl_add_u64 v[6:7], s[20:21], 0, v[0:1]
	v_lshl_add_u64 v[0:1], s[8:9], 0, v[2:3]
	v_cndmask_b32_e32 v1, v1, v7, vcc
	v_cndmask_b32_e32 v0, v0, v6, vcc
	global_load_ubyte v0, v[0:1], off
	s_mov_b32 s4, 0x60504
	s_waitcnt vmcnt(0)
	v_perm_b32 v15, v15, v0, s4
.LBB2184_11:
	s_or_b64 exec, exec, s[22:23]
	s_lshl_b64 s[0:1], s[0:1], 2
	s_add_u32 s0, s12, s0
	s_addc_u32 s1, s13, s1
	s_lshl_b64 s[2:3], s[2:3], 2
	s_add_u32 s2, s12, s2
	s_waitcnt vmcnt(0)
	v_lshrrev_b32_e32 v16, 16, v15
	v_mov_b32_e32 v5, 0
	v_lshrrev_b32_e32 v17, 8, v15
	v_lshrrev_b32_e32 v18, 24, v15
	s_addc_u32 s3, s13, s3
	s_andn2_b64 vcc, exec, s[18:19]
	v_lshlrev_b32_e32 v6, 2, v4
	ds_write_b8 v4, v15
	ds_write_b8 v4, v17 offset:256
	ds_write_b8 v4, v16 offset:512
	ds_write_b8 v4, v18 offset:768
	s_cbranch_vccnz .LBB2184_13
; %bb.12:
	v_mov_b32_e32 v7, v5
	v_subrev_co_u32_e32 v2, vcc, s7, v4
	v_mov_b32_e32 v3, v5
	v_lshl_add_u64 v[0:1], s[0:1], 0, v[6:7]
	v_lshl_add_u64 v[2:3], v[2:3], 2, s[2:3]
	v_cndmask_b32_e32 v1, v3, v1, vcc
	v_cndmask_b32_e32 v0, v2, v0, vcc
	v_mov_b32_e32 v11, v5
	v_subrev_co_u32_e32 v20, vcc, s7, v10
	v_mov_b32_e32 v21, v5
	v_lshl_add_u64 v[2:3], v[10:11], 2, s[0:1]
	v_lshl_add_u64 v[20:21], v[20:21], 2, s[2:3]
	v_cndmask_b32_e32 v3, v21, v3, vcc
	v_cndmask_b32_e32 v2, v20, v2, vcc
	v_mov_b32_e32 v9, v5
	v_subrev_co_u32_e32 v20, vcc, s7, v8
	v_mov_b32_e32 v21, v5
	global_load_dword v0, v[0:1], off
	v_lshl_add_u64 v[20:21], v[20:21], 2, s[2:3]
	global_load_dword v1, v[2:3], off
	v_lshl_add_u64 v[2:3], v[8:9], 2, s[0:1]
	v_cndmask_b32_e32 v3, v21, v3, vcc
	v_cndmask_b32_e32 v2, v20, v2, vcc
	global_load_dword v2, v[2:3], off
	s_add_i32 s12, s17, s7
	v_mov_b32_e32 v3, v5
	v_add_u32_e32 v12, v8, v13
	s_mov_b64 s[4:5], -1
	v_mov_b32_e32 v9, s12
	s_cbranch_execz .LBB2184_14
	s_branch .LBB2184_19
.LBB2184_13:
	s_mov_b64 s[4:5], 0
                                        ; implicit-def: $vgpr12
                                        ; implicit-def: $vgpr0_vgpr1_vgpr2_vgpr3
                                        ; implicit-def: $vgpr9
.LBB2184_14:
	s_add_i32 s8, s17, s7
	s_waitcnt vmcnt(2)
	v_mov_b32_e32 v0, 0
	v_cmp_gt_u32_e32 vcc, s8, v4
	s_waitcnt vmcnt(1)
	v_mov_b32_e32 v1, v0
	s_waitcnt vmcnt(0)
	v_mov_b32_e32 v2, v0
	v_mov_b32_e32 v3, v0
	s_and_saveexec_b64 s[4:5], vcc
	s_cbranch_execnz .LBB2184_49
; %bb.15:
	s_or_b64 exec, exec, s[4:5]
	v_cmp_gt_u32_e32 vcc, s8, v10
	s_and_saveexec_b64 s[4:5], vcc
	s_cbranch_execnz .LBB2184_50
.LBB2184_16:
	s_or_b64 exec, exec, s[4:5]
	v_cmp_gt_u32_e32 vcc, s8, v8
	s_and_saveexec_b64 s[4:5], vcc
	s_cbranch_execz .LBB2184_18
.LBB2184_17:
	v_mov_b32_e32 v9, 0
	v_subrev_co_u32_e32 v20, vcc, s7, v8
	v_mov_b32_e32 v21, v9
	v_lshl_add_u64 v[10:11], v[8:9], 2, s[0:1]
	v_lshl_add_u64 v[20:21], v[20:21], 2, s[2:3]
	v_cndmask_b32_e32 v11, v21, v11, vcc
	v_cndmask_b32_e32 v10, v20, v10, vcc
	global_load_dword v2, v[10:11], off
.LBB2184_18:
	s_or_b64 exec, exec, s[4:5]
	v_add_u32_e32 v12, v8, v13
	v_cmp_gt_u32_e64 s[4:5], s8, v12
	v_mov_b32_e32 v9, s8
.LBB2184_19:
	s_and_saveexec_b64 s[8:9], s[4:5]
	s_cbranch_execz .LBB2184_21
; %bb.20:
	v_mov_b32_e32 v11, 0
	v_mov_b32_e32 v13, v11
	v_subrev_co_u32_e32 v10, vcc, s7, v12
	v_lshl_add_u64 v[20:21], v[12:13], 2, s[0:1]
	v_lshl_add_u64 v[10:11], v[10:11], 2, s[2:3]
	v_cndmask_b32_e32 v11, v11, v21, vcc
	v_cndmask_b32_e32 v10, v10, v20, vcc
	global_load_dword v3, v[10:11], off
.LBB2184_21:
	s_or_b64 exec, exec, s[8:9]
	s_waitcnt lgkmcnt(0)
	s_barrier
	ds_read_u8 v8, v14 offset:4224
	v_lshlrev_b32_e32 v7, 2, v4
	v_min_u32_e32 v10, v9, v7
	v_min_u32_e32 v11, s7, v10
	s_waitcnt lgkmcnt(0)
	v_and_b32_e32 v8, 1, v8
	v_cmp_eq_u32_e32 vcc, 1, v8
	ds_write_b8 v14, v8 offset:4480
	v_sub_u32_e64 v8, v10, s17 clamp
	v_cmp_lt_u32_e64 s[0:1], v8, v11
	s_and_saveexec_b64 s[2:3], s[0:1]
	s_cbranch_execz .LBB2184_25
; %bb.22:
	ds_read_u8 v12, v14 offset:4480
	v_add_u32_e32 v13, s7, v10
	s_mov_b64 s[4:5], 0
.LBB2184_23:                            ; =>This Inner Loop Header: Depth=1
	v_add_u32_e32 v19, v11, v8
	v_lshrrev_b32_e32 v19, 1, v19
	v_xad_u32 v20, v19, -1, v13
	ds_read_u8 v21, v19
	ds_read_u8 v20, v20
	v_add_u32_e32 v22, 1, v19
	s_waitcnt lgkmcnt(1)
	v_bitop3_b16 v21, v21, 1, v12 bitop3:0x80
	s_waitcnt lgkmcnt(0)
	v_bitop3_b16 v20, v20, 1, v12 bitop3:0x80
	v_cmp_gt_u16_e64 s[0:1], v20, v21
	s_nop 1
	v_cndmask_b32_e64 v11, v11, v19, s[0:1]
	v_cndmask_b32_e64 v8, v22, v8, s[0:1]
	v_cmp_ge_u32_e64 s[0:1], v8, v11
	s_or_b64 s[4:5], s[0:1], s[4:5]
	s_andn2_b64 exec, exec, s[4:5]
	s_cbranch_execnz .LBB2184_23
; %bb.24:
	s_or_b64 exec, exec, s[4:5]
.LBB2184_25:
	s_or_b64 exec, exec, s[2:3]
	v_cndmask_b32_e64 v11, 0, 1, vcc
	ds_write_b8 v14, v11 offset:4992
	ds_read_u8 v11, v14 offset:4992
	v_sub_u32_e32 v10, v10, v8
	v_add_u32_e32 v13, s7, v10
	v_cmp_ge_u32_e32 vcc, s7, v8
	v_cmp_le_u32_e64 s[0:1], v13, v9
	s_waitcnt lgkmcnt(0)
	v_and_b32_e32 v10, 1, v11
	ds_write_b8 v14, v10 offset:4736
	s_or_b64 s[0:1], vcc, s[0:1]
	v_mov_b32_e32 v11, 0
	v_mov_b32_e32 v19, 0
	;; [unrolled: 1-line block ×4, first 2 shown]
	s_and_saveexec_b64 s[8:9], s[0:1]
	s_cbranch_execz .LBB2184_31
; %bb.26:
	v_cmp_le_u32_e32 vcc, s7, v8
	v_cmp_gt_u32_e64 s[0:1], s7, v8
                                        ; implicit-def: $vgpr11
	s_and_saveexec_b64 s[2:3], s[0:1]
; %bb.27:
	ds_read_u8 v11, v8
; %bb.28:
	s_or_b64 exec, exec, s[2:3]
	v_cmp_ge_u32_e64 s[0:1], v13, v9
	v_cmp_lt_u32_e64 s[2:3], v13, v9
                                        ; implicit-def: $vgpr15
	s_and_saveexec_b64 s[4:5], s[2:3]
; %bb.29:
	ds_read_u8 v15, v13
; %bb.30:
	s_or_b64 exec, exec, s[4:5]
	ds_read_u8 v14, v14 offset:4736
	v_cndmask_b32_e64 v10, 0, 1, s[0:1]
	s_or_b64 vcc, vcc, s[0:1]
	s_waitcnt lgkmcnt(0)
	v_bitop3_b16 v12, v14, 1, v15 bitop3:0x80
	v_bitop3_b16 v16, v14, 1, v11 bitop3:0x80
	v_cmp_le_u16_e64 s[2:3], v12, v16
	v_mov_b32_e32 v16, s7
	s_nop 0
	v_cndmask_b32_e64 v12, 0, 1, s[2:3]
	v_cndmask_b32_e32 v10, v12, v10, vcc
	v_and_b32_e32 v10, 1, v10
	v_cmp_eq_u32_e32 vcc, 1, v10
	s_nop 1
	v_cndmask_b32_e32 v10, v13, v8, vcc
	v_cndmask_b32_e32 v12, v9, v16, vcc
	v_add_u32_e32 v17, 1, v10
	v_add_u32_e32 v12, -1, v12
	v_min_u32_e32 v12, v17, v12
	ds_read_u8 v12, v12
	v_cndmask_b32_e32 v13, v17, v13, vcc
	v_cndmask_b32_e32 v8, v8, v17, vcc
	v_cmp_gt_u32_e64 s[2:3], s7, v8
	v_cmp_ge_u32_e64 s[0:1], v13, v9
	s_waitcnt lgkmcnt(0)
	v_cndmask_b32_e32 v18, v12, v15, vcc
	v_cndmask_b32_e32 v20, v11, v12, vcc
	v_and_b32_e32 v12, v18, v14
	v_and_b32_e32 v17, v20, v14
	v_cmp_le_u16_sdwa s[4:5], v12, v17 src0_sel:BYTE_0 src1_sel:BYTE_0
	s_and_b64 s[2:3], s[2:3], s[4:5]
	s_or_b64 s[0:1], s[0:1], s[2:3]
	v_cndmask_b32_e64 v12, v13, v8, s[0:1]
	v_cndmask_b32_e64 v17, v9, v16, s[0:1]
	v_add_u32_e32 v19, 1, v12
	v_add_u32_e32 v17, -1, v17
	v_min_u32_e32 v17, v19, v17
	ds_read_u8 v17, v17
	v_cndmask_b32_e64 v13, v19, v13, s[0:1]
	v_cndmask_b32_e64 v8, v8, v19, s[0:1]
	v_cmp_gt_u32_e64 s[4:5], s7, v8
	v_cmp_ge_u32_e64 s[2:3], v13, v9
	s_waitcnt lgkmcnt(0)
	v_cndmask_b32_e64 v21, v17, v18, s[0:1]
	v_cndmask_b32_e64 v22, v20, v17, s[0:1]
	v_and_b32_e32 v17, v21, v14
	v_and_b32_e32 v19, v22, v14
	v_cmp_le_u16_sdwa s[12:13], v17, v19 src0_sel:BYTE_0 src1_sel:BYTE_0
	s_and_b64 s[4:5], s[4:5], s[12:13]
	s_or_b64 s[2:3], s[2:3], s[4:5]
	v_cndmask_b32_e64 v19, v13, v8, s[2:3]
	v_cndmask_b32_e64 v16, v9, v16, s[2:3]
	v_add_u32_e32 v23, 1, v19
	v_add_u32_e32 v16, -1, v16
	v_min_u32_e32 v16, v23, v16
	ds_read_u8 v24, v16
	v_cndmask_b32_e32 v15, v15, v11, vcc
	v_cndmask_b32_e64 v17, v18, v20, s[0:1]
	v_cndmask_b32_e64 v11, v23, v13, s[2:3]
	;; [unrolled: 1-line block ×3, first 2 shown]
	s_waitcnt lgkmcnt(0)
	v_cndmask_b32_e64 v18, v24, v21, s[2:3]
	v_cndmask_b32_e64 v20, v22, v24, s[2:3]
	v_cmp_ge_u32_e32 vcc, v11, v9
	v_and_b32_e32 v9, v18, v14
	v_and_b32_e32 v13, v20, v14
	v_cndmask_b32_e64 v16, v21, v22, s[2:3]
	v_cmp_gt_u32_e64 s[0:1], s7, v8
	v_cmp_le_u16_sdwa s[2:3], v9, v13 src0_sel:BYTE_0 src1_sel:BYTE_0
	s_and_b64 s[0:1], s[0:1], s[2:3]
	s_or_b64 vcc, vcc, s[0:1]
	v_cndmask_b32_e32 v11, v11, v8, vcc
	v_cndmask_b32_e32 v18, v18, v20, vcc
.LBB2184_31:
	s_or_b64 exec, exec, s[8:9]
	v_mad_u32_u24 v8, v4, 3, v4
	s_waitcnt lgkmcnt(0)
	s_barrier
	s_waitcnt vmcnt(0)
	ds_write2st64_b32 v8, v0, v1 offset1:4
	ds_write2st64_b32 v8, v2, v3 offset0:8 offset1:12
	v_lshlrev_b32_e32 v0, 2, v10
	v_lshlrev_b32_e32 v10, 2, v11
	s_waitcnt lgkmcnt(0)
	s_barrier
	v_lshlrev_b32_e32 v1, 2, v12
	v_lshlrev_b32_e32 v2, 2, v19
	ds_read_b32 v3, v0
	ds_read_b32 v8, v1
	;; [unrolled: 1-line block ×4, first 2 shown]
	v_lshrrev_b32_e32 v11, 3, v4
	v_and_b32_e32 v0, 0x7c, v11
	s_mov_b32 s2, 0xc0c0004
	v_add_u32_e32 v2, v0, v7
	v_perm_b32 v0, v15, v17, s2
	v_perm_b32 v1, v16, v18, s2
	v_add_u32_e32 v17, 0x100, v4
	v_add_u32_e32 v16, 0x200, v4
	;; [unrolled: 1-line block ×3, first 2 shown]
	s_add_u32 s0, s10, s6
	v_lshrrev_b32_e32 v12, 5, v17
	v_lshrrev_b32_e32 v13, 5, v16
	;; [unrolled: 1-line block ×3, first 2 shown]
	s_addc_u32 s1, s11, 0
	v_lshl_or_b32 v0, v1, 16, v0
	v_lshrrev_b32_e32 v22, 5, v4
	v_and_b32_e32 v19, 60, v12
	v_and_b32_e32 v20, 60, v13
	;; [unrolled: 1-line block ×3, first 2 shown]
	s_waitcnt lgkmcnt(0)
	s_barrier
	s_barrier
	s_mov_b32 s7, 0
	ds_write_b32 v2, v0
	v_and_b32_e32 v18, 28, v22
	v_lshl_add_u64 v[0:1], s[0:1], 0, v[4:5]
	s_and_b64 vcc, exec, s[18:19]
	v_add_u32_e32 v19, v19, v4
	v_add_u32_e32 v20, v20, v4
	v_add_u32_e32 v21, v21, v4
	v_lshlrev_b32_e32 v5, 2, v7
	s_waitcnt lgkmcnt(0)
	s_cbranch_vccz .LBB2184_33
; %bb.32:
	v_add_u32_e32 v23, v18, v4
	s_barrier
	ds_read_u8 v23, v23
	ds_read_u8 v24, v19 offset:256
	ds_read_u8 v25, v20 offset:512
	;; [unrolled: 1-line block ×3, first 2 shown]
	v_lshl_add_u32 v22, v22, 2, v7
	s_lshl_b64 s[0:1], s[6:7], 2
	s_waitcnt lgkmcnt(3)
	global_store_byte v[0:1], v23, off
	s_waitcnt lgkmcnt(2)
	global_store_byte v[0:1], v24, off offset:256
	s_waitcnt lgkmcnt(1)
	global_store_byte v[0:1], v25, off offset:512
	;; [unrolled: 2-line block ×3, first 2 shown]
	v_lshl_add_u32 v23, v11, 2, v5
	s_barrier
	ds_write2_b32 v23, v3, v8 offset1:1
	ds_write2_b32 v23, v9, v10 offset0:2 offset1:3
	v_lshl_add_u32 v23, v12, 2, v7
	v_lshl_add_u32 v24, v13, 2, v7
	s_waitcnt lgkmcnt(0)
	s_barrier
	ds_read_b32 v25, v22
	ds_read_b32 v23, v23 offset:1024
	ds_read_b32 v24, v24 offset:2048
	v_lshl_add_u32 v22, v14, 2, v7
	ds_read_b32 v22, v22 offset:3072
	s_add_u32 s0, s14, s0
	s_addc_u32 s1, s15, s1
	s_waitcnt lgkmcnt(3)
	global_store_dword v6, v25, s[0:1]
	s_waitcnt lgkmcnt(2)
	global_store_dword v6, v23, s[0:1] offset:1024
	s_waitcnt lgkmcnt(1)
	global_store_dword v6, v24, s[0:1] offset:2048
	s_mov_b64 s[4:5], -1
	s_cbranch_execz .LBB2184_34
	s_branch .LBB2184_44
.LBB2184_33:
	s_mov_b64 s[4:5], 0
                                        ; implicit-def: $vgpr22
.LBB2184_34:
	s_barrier
	s_waitcnt lgkmcnt(0)
	ds_read_u8 v22, v19 offset:256
	ds_read_u8 v20, v20 offset:512
	;; [unrolled: 1-line block ×3, first 2 shown]
	s_sub_i32 s8, s16, s6
	v_cmp_gt_u32_e32 vcc, s8, v4
	s_and_saveexec_b64 s[0:1], vcc
	s_cbranch_execnz .LBB2184_51
; %bb.35:
	s_or_b64 exec, exec, s[0:1]
	v_cmp_gt_u32_e64 s[0:1], s8, v17
	s_and_saveexec_b64 s[2:3], s[0:1]
	s_cbranch_execnz .LBB2184_52
.LBB2184_36:
	s_or_b64 exec, exec, s[2:3]
	v_cmp_gt_u32_e64 s[2:3], s8, v16
	s_and_saveexec_b64 s[4:5], s[2:3]
	s_cbranch_execnz .LBB2184_53
.LBB2184_37:
	s_or_b64 exec, exec, s[4:5]
	v_cmp_gt_u32_e64 s[4:5], s8, v15
	s_and_saveexec_b64 s[8:9], s[4:5]
	s_cbranch_execz .LBB2184_39
.LBB2184_38:
	s_waitcnt lgkmcnt(0)
	global_store_byte v[0:1], v19, off offset:768
.LBB2184_39:
	s_or_b64 exec, exec, s[8:9]
	v_lshl_add_u32 v0, v11, 2, v5
	s_waitcnt lgkmcnt(0)
	s_barrier
	ds_write2_b32 v0, v3, v8 offset1:1
	ds_write2_b32 v0, v9, v10 offset0:2 offset1:3
	v_lshl_add_u32 v0, v12, 2, v7
	s_waitcnt lgkmcnt(0)
	s_barrier
	v_lshl_add_u32 v1, v13, 2, v7
	v_lshl_add_u32 v5, v14, 2, v7
	ds_read_b32 v4, v0 offset:1024
	ds_read_b32 v3, v1 offset:2048
	;; [unrolled: 1-line block ×3, first 2 shown]
	s_lshl_b64 s[8:9], s[6:7], 2
	s_add_u32 s8, s14, s8
	s_addc_u32 s9, s15, s9
	v_mov_b32_e32 v7, 0
	v_lshl_add_u64 v[0:1], s[8:9], 0, v[6:7]
	s_and_saveexec_b64 s[8:9], vcc
	s_cbranch_execnz .LBB2184_54
; %bb.40:
	s_or_b64 exec, exec, s[8:9]
	s_and_saveexec_b64 s[8:9], s[0:1]
	s_cbranch_execnz .LBB2184_55
.LBB2184_41:
	s_or_b64 exec, exec, s[8:9]
	s_and_saveexec_b64 s[0:1], s[2:3]
	s_cbranch_execz .LBB2184_43
.LBB2184_42:
	s_waitcnt lgkmcnt(1)
	global_store_dword v[0:1], v3, off offset:2048
.LBB2184_43:
	s_or_b64 exec, exec, s[0:1]
.LBB2184_44:
	s_and_saveexec_b64 s[0:1], s[4:5]
	s_cbranch_execz .LBB2184_46
; %bb.45:
	s_lshl_b64 s[0:1], s[6:7], 2
	s_add_u32 s0, s14, s0
	s_addc_u32 s1, s15, s1
	s_waitcnt lgkmcnt(0)
	global_store_dword v6, v22, s[0:1] offset:3072
.LBB2184_46:
	s_endpgm
.LBB2184_47:
	v_mov_b32_e32 v5, 0
	v_subrev_co_u32_e32 v2, vcc, s7, v4
	v_mov_b32_e32 v3, v5
	v_lshl_add_u64 v[0:1], s[20:21], 0, v[4:5]
	v_lshl_add_u64 v[2:3], s[8:9], 0, v[2:3]
	v_cndmask_b32_e32 v1, v3, v1, vcc
	v_cndmask_b32_e32 v0, v2, v0, vcc
	global_load_ubyte v15, v[0:1], off
	s_or_b64 exec, exec, s[4:5]
	v_cmp_gt_u32_e32 vcc, s22, v10
	s_and_saveexec_b64 s[4:5], vcc
	s_cbranch_execz .LBB2184_6
.LBB2184_48:
	v_mov_b32_e32 v11, 0
	v_subrev_co_u32_e32 v2, vcc, s7, v10
	v_mov_b32_e32 v3, v11
	v_lshl_add_u64 v[0:1], s[20:21], 0, v[10:11]
	v_lshl_add_u64 v[2:3], s[8:9], 0, v[2:3]
	v_cndmask_b32_e32 v1, v3, v1, vcc
	v_cndmask_b32_e32 v0, v2, v0, vcc
	global_load_ubyte v0, v[0:1], off
	s_waitcnt vmcnt(0)
	v_lshlrev_b16_e32 v0, 8, v0
	v_or_b32_e32 v0, v15, v0
	v_and_b32_e32 v15, 0xffff, v0
	s_or_b64 exec, exec, s[4:5]
	v_cmp_gt_u32_e32 vcc, s22, v8
	s_and_saveexec_b64 s[4:5], vcc
	s_cbranch_execnz .LBB2184_7
	s_branch .LBB2184_8
.LBB2184_49:
	v_mov_b32_e32 v7, v0
	v_subrev_co_u32_e32 v20, vcc, s7, v4
	v_mov_b32_e32 v21, v0
	v_lshl_add_u64 v[2:3], s[0:1], 0, v[6:7]
	v_lshl_add_u64 v[20:21], v[20:21], 2, s[2:3]
	v_cndmask_b32_e32 v3, v21, v3, vcc
	v_cndmask_b32_e32 v2, v20, v2, vcc
	global_load_dword v20, v[2:3], off
	v_mov_b32_e32 v21, v0
	v_mov_b32_e32 v22, v0
	;; [unrolled: 1-line block ×3, first 2 shown]
	s_waitcnt vmcnt(0)
	v_mov_b64_e32 v[0:1], v[20:21]
	v_mov_b64_e32 v[2:3], v[22:23]
	s_or_b64 exec, exec, s[4:5]
	v_cmp_gt_u32_e32 vcc, s8, v10
	s_and_saveexec_b64 s[4:5], vcc
	s_cbranch_execz .LBB2184_16
.LBB2184_50:
	v_mov_b32_e32 v11, 0
	v_lshl_add_u64 v[20:21], v[10:11], 2, s[0:1]
	v_subrev_co_u32_e32 v10, vcc, s7, v10
	v_lshl_add_u64 v[10:11], v[10:11], 2, s[2:3]
	s_nop 0
	v_cndmask_b32_e32 v11, v11, v21, vcc
	v_cndmask_b32_e32 v10, v10, v20, vcc
	global_load_dword v1, v[10:11], off
	s_or_b64 exec, exec, s[4:5]
	v_cmp_gt_u32_e32 vcc, s8, v8
	s_and_saveexec_b64 s[4:5], vcc
	s_cbranch_execnz .LBB2184_17
	s_branch .LBB2184_18
.LBB2184_51:
	v_add_u32_e32 v4, v18, v4
	ds_read_u8 v4, v4
	s_waitcnt lgkmcnt(0)
	global_store_byte v[0:1], v4, off
	s_or_b64 exec, exec, s[0:1]
	v_cmp_gt_u32_e64 s[0:1], s8, v17
	s_and_saveexec_b64 s[2:3], s[0:1]
	s_cbranch_execz .LBB2184_36
.LBB2184_52:
	s_waitcnt lgkmcnt(2)
	global_store_byte v[0:1], v22, off offset:256
	s_or_b64 exec, exec, s[2:3]
	v_cmp_gt_u32_e64 s[2:3], s8, v16
	s_and_saveexec_b64 s[4:5], s[2:3]
	s_cbranch_execz .LBB2184_37
.LBB2184_53:
	s_waitcnt lgkmcnt(1)
	global_store_byte v[0:1], v20, off offset:512
	s_or_b64 exec, exec, s[4:5]
	v_cmp_gt_u32_e64 s[4:5], s8, v15
	s_and_saveexec_b64 s[8:9], s[4:5]
	s_cbranch_execnz .LBB2184_38
	s_branch .LBB2184_39
.LBB2184_54:
	ds_read_b32 v2, v2
	s_waitcnt lgkmcnt(0)
	global_store_dword v[0:1], v2, off
	s_or_b64 exec, exec, s[8:9]
	s_and_saveexec_b64 s[8:9], s[0:1]
	s_cbranch_execz .LBB2184_41
.LBB2184_55:
	s_waitcnt lgkmcnt(2)
	global_store_dword v[0:1], v4, off offset:1024
	s_or_b64 exec, exec, s[8:9]
	s_and_saveexec_b64 s[0:1], s[2:3]
	s_cbranch_execnz .LBB2184_42
	s_branch .LBB2184_43
	.section	.rodata,"a",@progbits
	.p2align	6, 0x0
	.amdhsa_kernel _ZN7rocprim17ROCPRIM_400000_NS6detail17trampoline_kernelINS0_14default_configENS1_38merge_sort_block_merge_config_selectorIbiEEZZNS1_27merge_sort_block_merge_implIS3_N6thrust23THRUST_200600_302600_NS6detail15normal_iteratorINS8_10device_ptrIbEEEENSA_INSB_IiEEEEjNS1_19radix_merge_compareILb1ELb1EbNS0_19identity_decomposerEEEEE10hipError_tT0_T1_T2_jT3_P12ihipStream_tbPNSt15iterator_traitsISK_E10value_typeEPNSQ_ISL_E10value_typeEPSM_NS1_7vsmem_tEENKUlT_SK_SL_SM_E_clISD_PbSF_PiEESJ_SZ_SK_SL_SM_EUlSZ_E0_NS1_11comp_targetILNS1_3genE0ELNS1_11target_archE4294967295ELNS1_3gpuE0ELNS1_3repE0EEENS1_38merge_mergepath_config_static_selectorELNS0_4arch9wavefront6targetE1EEEvSL_
		.amdhsa_group_segment_fixed_size 5248
		.amdhsa_private_segment_fixed_size 0
		.amdhsa_kernarg_size 320
		.amdhsa_user_sgpr_count 4
		.amdhsa_user_sgpr_dispatch_ptr 1
		.amdhsa_user_sgpr_queue_ptr 0
		.amdhsa_user_sgpr_kernarg_segment_ptr 1
		.amdhsa_user_sgpr_dispatch_id 0
		.amdhsa_user_sgpr_kernarg_preload_length 0
		.amdhsa_user_sgpr_kernarg_preload_offset 0
		.amdhsa_user_sgpr_private_segment_size 0
		.amdhsa_uses_dynamic_stack 0
		.amdhsa_enable_private_segment 0
		.amdhsa_system_sgpr_workgroup_id_x 1
		.amdhsa_system_sgpr_workgroup_id_y 1
		.amdhsa_system_sgpr_workgroup_id_z 1
		.amdhsa_system_sgpr_workgroup_info 0
		.amdhsa_system_vgpr_workitem_id 2
		.amdhsa_next_free_vgpr 27
		.amdhsa_next_free_sgpr 28
		.amdhsa_accum_offset 28
		.amdhsa_reserve_vcc 1
		.amdhsa_float_round_mode_32 0
		.amdhsa_float_round_mode_16_64 0
		.amdhsa_float_denorm_mode_32 3
		.amdhsa_float_denorm_mode_16_64 3
		.amdhsa_dx10_clamp 1
		.amdhsa_ieee_mode 1
		.amdhsa_fp16_overflow 0
		.amdhsa_tg_split 0
		.amdhsa_exception_fp_ieee_invalid_op 0
		.amdhsa_exception_fp_denorm_src 0
		.amdhsa_exception_fp_ieee_div_zero 0
		.amdhsa_exception_fp_ieee_overflow 0
		.amdhsa_exception_fp_ieee_underflow 0
		.amdhsa_exception_fp_ieee_inexact 0
		.amdhsa_exception_int_div_zero 0
	.end_amdhsa_kernel
	.section	.text._ZN7rocprim17ROCPRIM_400000_NS6detail17trampoline_kernelINS0_14default_configENS1_38merge_sort_block_merge_config_selectorIbiEEZZNS1_27merge_sort_block_merge_implIS3_N6thrust23THRUST_200600_302600_NS6detail15normal_iteratorINS8_10device_ptrIbEEEENSA_INSB_IiEEEEjNS1_19radix_merge_compareILb1ELb1EbNS0_19identity_decomposerEEEEE10hipError_tT0_T1_T2_jT3_P12ihipStream_tbPNSt15iterator_traitsISK_E10value_typeEPNSQ_ISL_E10value_typeEPSM_NS1_7vsmem_tEENKUlT_SK_SL_SM_E_clISD_PbSF_PiEESJ_SZ_SK_SL_SM_EUlSZ_E0_NS1_11comp_targetILNS1_3genE0ELNS1_11target_archE4294967295ELNS1_3gpuE0ELNS1_3repE0EEENS1_38merge_mergepath_config_static_selectorELNS0_4arch9wavefront6targetE1EEEvSL_,"axG",@progbits,_ZN7rocprim17ROCPRIM_400000_NS6detail17trampoline_kernelINS0_14default_configENS1_38merge_sort_block_merge_config_selectorIbiEEZZNS1_27merge_sort_block_merge_implIS3_N6thrust23THRUST_200600_302600_NS6detail15normal_iteratorINS8_10device_ptrIbEEEENSA_INSB_IiEEEEjNS1_19radix_merge_compareILb1ELb1EbNS0_19identity_decomposerEEEEE10hipError_tT0_T1_T2_jT3_P12ihipStream_tbPNSt15iterator_traitsISK_E10value_typeEPNSQ_ISL_E10value_typeEPSM_NS1_7vsmem_tEENKUlT_SK_SL_SM_E_clISD_PbSF_PiEESJ_SZ_SK_SL_SM_EUlSZ_E0_NS1_11comp_targetILNS1_3genE0ELNS1_11target_archE4294967295ELNS1_3gpuE0ELNS1_3repE0EEENS1_38merge_mergepath_config_static_selectorELNS0_4arch9wavefront6targetE1EEEvSL_,comdat
.Lfunc_end2184:
	.size	_ZN7rocprim17ROCPRIM_400000_NS6detail17trampoline_kernelINS0_14default_configENS1_38merge_sort_block_merge_config_selectorIbiEEZZNS1_27merge_sort_block_merge_implIS3_N6thrust23THRUST_200600_302600_NS6detail15normal_iteratorINS8_10device_ptrIbEEEENSA_INSB_IiEEEEjNS1_19radix_merge_compareILb1ELb1EbNS0_19identity_decomposerEEEEE10hipError_tT0_T1_T2_jT3_P12ihipStream_tbPNSt15iterator_traitsISK_E10value_typeEPNSQ_ISL_E10value_typeEPSM_NS1_7vsmem_tEENKUlT_SK_SL_SM_E_clISD_PbSF_PiEESJ_SZ_SK_SL_SM_EUlSZ_E0_NS1_11comp_targetILNS1_3genE0ELNS1_11target_archE4294967295ELNS1_3gpuE0ELNS1_3repE0EEENS1_38merge_mergepath_config_static_selectorELNS0_4arch9wavefront6targetE1EEEvSL_, .Lfunc_end2184-_ZN7rocprim17ROCPRIM_400000_NS6detail17trampoline_kernelINS0_14default_configENS1_38merge_sort_block_merge_config_selectorIbiEEZZNS1_27merge_sort_block_merge_implIS3_N6thrust23THRUST_200600_302600_NS6detail15normal_iteratorINS8_10device_ptrIbEEEENSA_INSB_IiEEEEjNS1_19radix_merge_compareILb1ELb1EbNS0_19identity_decomposerEEEEE10hipError_tT0_T1_T2_jT3_P12ihipStream_tbPNSt15iterator_traitsISK_E10value_typeEPNSQ_ISL_E10value_typeEPSM_NS1_7vsmem_tEENKUlT_SK_SL_SM_E_clISD_PbSF_PiEESJ_SZ_SK_SL_SM_EUlSZ_E0_NS1_11comp_targetILNS1_3genE0ELNS1_11target_archE4294967295ELNS1_3gpuE0ELNS1_3repE0EEENS1_38merge_mergepath_config_static_selectorELNS0_4arch9wavefront6targetE1EEEvSL_
                                        ; -- End function
	.set _ZN7rocprim17ROCPRIM_400000_NS6detail17trampoline_kernelINS0_14default_configENS1_38merge_sort_block_merge_config_selectorIbiEEZZNS1_27merge_sort_block_merge_implIS3_N6thrust23THRUST_200600_302600_NS6detail15normal_iteratorINS8_10device_ptrIbEEEENSA_INSB_IiEEEEjNS1_19radix_merge_compareILb1ELb1EbNS0_19identity_decomposerEEEEE10hipError_tT0_T1_T2_jT3_P12ihipStream_tbPNSt15iterator_traitsISK_E10value_typeEPNSQ_ISL_E10value_typeEPSM_NS1_7vsmem_tEENKUlT_SK_SL_SM_E_clISD_PbSF_PiEESJ_SZ_SK_SL_SM_EUlSZ_E0_NS1_11comp_targetILNS1_3genE0ELNS1_11target_archE4294967295ELNS1_3gpuE0ELNS1_3repE0EEENS1_38merge_mergepath_config_static_selectorELNS0_4arch9wavefront6targetE1EEEvSL_.num_vgpr, 27
	.set _ZN7rocprim17ROCPRIM_400000_NS6detail17trampoline_kernelINS0_14default_configENS1_38merge_sort_block_merge_config_selectorIbiEEZZNS1_27merge_sort_block_merge_implIS3_N6thrust23THRUST_200600_302600_NS6detail15normal_iteratorINS8_10device_ptrIbEEEENSA_INSB_IiEEEEjNS1_19radix_merge_compareILb1ELb1EbNS0_19identity_decomposerEEEEE10hipError_tT0_T1_T2_jT3_P12ihipStream_tbPNSt15iterator_traitsISK_E10value_typeEPNSQ_ISL_E10value_typeEPSM_NS1_7vsmem_tEENKUlT_SK_SL_SM_E_clISD_PbSF_PiEESJ_SZ_SK_SL_SM_EUlSZ_E0_NS1_11comp_targetILNS1_3genE0ELNS1_11target_archE4294967295ELNS1_3gpuE0ELNS1_3repE0EEENS1_38merge_mergepath_config_static_selectorELNS0_4arch9wavefront6targetE1EEEvSL_.num_agpr, 0
	.set _ZN7rocprim17ROCPRIM_400000_NS6detail17trampoline_kernelINS0_14default_configENS1_38merge_sort_block_merge_config_selectorIbiEEZZNS1_27merge_sort_block_merge_implIS3_N6thrust23THRUST_200600_302600_NS6detail15normal_iteratorINS8_10device_ptrIbEEEENSA_INSB_IiEEEEjNS1_19radix_merge_compareILb1ELb1EbNS0_19identity_decomposerEEEEE10hipError_tT0_T1_T2_jT3_P12ihipStream_tbPNSt15iterator_traitsISK_E10value_typeEPNSQ_ISL_E10value_typeEPSM_NS1_7vsmem_tEENKUlT_SK_SL_SM_E_clISD_PbSF_PiEESJ_SZ_SK_SL_SM_EUlSZ_E0_NS1_11comp_targetILNS1_3genE0ELNS1_11target_archE4294967295ELNS1_3gpuE0ELNS1_3repE0EEENS1_38merge_mergepath_config_static_selectorELNS0_4arch9wavefront6targetE1EEEvSL_.numbered_sgpr, 28
	.set _ZN7rocprim17ROCPRIM_400000_NS6detail17trampoline_kernelINS0_14default_configENS1_38merge_sort_block_merge_config_selectorIbiEEZZNS1_27merge_sort_block_merge_implIS3_N6thrust23THRUST_200600_302600_NS6detail15normal_iteratorINS8_10device_ptrIbEEEENSA_INSB_IiEEEEjNS1_19radix_merge_compareILb1ELb1EbNS0_19identity_decomposerEEEEE10hipError_tT0_T1_T2_jT3_P12ihipStream_tbPNSt15iterator_traitsISK_E10value_typeEPNSQ_ISL_E10value_typeEPSM_NS1_7vsmem_tEENKUlT_SK_SL_SM_E_clISD_PbSF_PiEESJ_SZ_SK_SL_SM_EUlSZ_E0_NS1_11comp_targetILNS1_3genE0ELNS1_11target_archE4294967295ELNS1_3gpuE0ELNS1_3repE0EEENS1_38merge_mergepath_config_static_selectorELNS0_4arch9wavefront6targetE1EEEvSL_.num_named_barrier, 0
	.set _ZN7rocprim17ROCPRIM_400000_NS6detail17trampoline_kernelINS0_14default_configENS1_38merge_sort_block_merge_config_selectorIbiEEZZNS1_27merge_sort_block_merge_implIS3_N6thrust23THRUST_200600_302600_NS6detail15normal_iteratorINS8_10device_ptrIbEEEENSA_INSB_IiEEEEjNS1_19radix_merge_compareILb1ELb1EbNS0_19identity_decomposerEEEEE10hipError_tT0_T1_T2_jT3_P12ihipStream_tbPNSt15iterator_traitsISK_E10value_typeEPNSQ_ISL_E10value_typeEPSM_NS1_7vsmem_tEENKUlT_SK_SL_SM_E_clISD_PbSF_PiEESJ_SZ_SK_SL_SM_EUlSZ_E0_NS1_11comp_targetILNS1_3genE0ELNS1_11target_archE4294967295ELNS1_3gpuE0ELNS1_3repE0EEENS1_38merge_mergepath_config_static_selectorELNS0_4arch9wavefront6targetE1EEEvSL_.private_seg_size, 0
	.set _ZN7rocprim17ROCPRIM_400000_NS6detail17trampoline_kernelINS0_14default_configENS1_38merge_sort_block_merge_config_selectorIbiEEZZNS1_27merge_sort_block_merge_implIS3_N6thrust23THRUST_200600_302600_NS6detail15normal_iteratorINS8_10device_ptrIbEEEENSA_INSB_IiEEEEjNS1_19radix_merge_compareILb1ELb1EbNS0_19identity_decomposerEEEEE10hipError_tT0_T1_T2_jT3_P12ihipStream_tbPNSt15iterator_traitsISK_E10value_typeEPNSQ_ISL_E10value_typeEPSM_NS1_7vsmem_tEENKUlT_SK_SL_SM_E_clISD_PbSF_PiEESJ_SZ_SK_SL_SM_EUlSZ_E0_NS1_11comp_targetILNS1_3genE0ELNS1_11target_archE4294967295ELNS1_3gpuE0ELNS1_3repE0EEENS1_38merge_mergepath_config_static_selectorELNS0_4arch9wavefront6targetE1EEEvSL_.uses_vcc, 1
	.set _ZN7rocprim17ROCPRIM_400000_NS6detail17trampoline_kernelINS0_14default_configENS1_38merge_sort_block_merge_config_selectorIbiEEZZNS1_27merge_sort_block_merge_implIS3_N6thrust23THRUST_200600_302600_NS6detail15normal_iteratorINS8_10device_ptrIbEEEENSA_INSB_IiEEEEjNS1_19radix_merge_compareILb1ELb1EbNS0_19identity_decomposerEEEEE10hipError_tT0_T1_T2_jT3_P12ihipStream_tbPNSt15iterator_traitsISK_E10value_typeEPNSQ_ISL_E10value_typeEPSM_NS1_7vsmem_tEENKUlT_SK_SL_SM_E_clISD_PbSF_PiEESJ_SZ_SK_SL_SM_EUlSZ_E0_NS1_11comp_targetILNS1_3genE0ELNS1_11target_archE4294967295ELNS1_3gpuE0ELNS1_3repE0EEENS1_38merge_mergepath_config_static_selectorELNS0_4arch9wavefront6targetE1EEEvSL_.uses_flat_scratch, 0
	.set _ZN7rocprim17ROCPRIM_400000_NS6detail17trampoline_kernelINS0_14default_configENS1_38merge_sort_block_merge_config_selectorIbiEEZZNS1_27merge_sort_block_merge_implIS3_N6thrust23THRUST_200600_302600_NS6detail15normal_iteratorINS8_10device_ptrIbEEEENSA_INSB_IiEEEEjNS1_19radix_merge_compareILb1ELb1EbNS0_19identity_decomposerEEEEE10hipError_tT0_T1_T2_jT3_P12ihipStream_tbPNSt15iterator_traitsISK_E10value_typeEPNSQ_ISL_E10value_typeEPSM_NS1_7vsmem_tEENKUlT_SK_SL_SM_E_clISD_PbSF_PiEESJ_SZ_SK_SL_SM_EUlSZ_E0_NS1_11comp_targetILNS1_3genE0ELNS1_11target_archE4294967295ELNS1_3gpuE0ELNS1_3repE0EEENS1_38merge_mergepath_config_static_selectorELNS0_4arch9wavefront6targetE1EEEvSL_.has_dyn_sized_stack, 0
	.set _ZN7rocprim17ROCPRIM_400000_NS6detail17trampoline_kernelINS0_14default_configENS1_38merge_sort_block_merge_config_selectorIbiEEZZNS1_27merge_sort_block_merge_implIS3_N6thrust23THRUST_200600_302600_NS6detail15normal_iteratorINS8_10device_ptrIbEEEENSA_INSB_IiEEEEjNS1_19radix_merge_compareILb1ELb1EbNS0_19identity_decomposerEEEEE10hipError_tT0_T1_T2_jT3_P12ihipStream_tbPNSt15iterator_traitsISK_E10value_typeEPNSQ_ISL_E10value_typeEPSM_NS1_7vsmem_tEENKUlT_SK_SL_SM_E_clISD_PbSF_PiEESJ_SZ_SK_SL_SM_EUlSZ_E0_NS1_11comp_targetILNS1_3genE0ELNS1_11target_archE4294967295ELNS1_3gpuE0ELNS1_3repE0EEENS1_38merge_mergepath_config_static_selectorELNS0_4arch9wavefront6targetE1EEEvSL_.has_recursion, 0
	.set _ZN7rocprim17ROCPRIM_400000_NS6detail17trampoline_kernelINS0_14default_configENS1_38merge_sort_block_merge_config_selectorIbiEEZZNS1_27merge_sort_block_merge_implIS3_N6thrust23THRUST_200600_302600_NS6detail15normal_iteratorINS8_10device_ptrIbEEEENSA_INSB_IiEEEEjNS1_19radix_merge_compareILb1ELb1EbNS0_19identity_decomposerEEEEE10hipError_tT0_T1_T2_jT3_P12ihipStream_tbPNSt15iterator_traitsISK_E10value_typeEPNSQ_ISL_E10value_typeEPSM_NS1_7vsmem_tEENKUlT_SK_SL_SM_E_clISD_PbSF_PiEESJ_SZ_SK_SL_SM_EUlSZ_E0_NS1_11comp_targetILNS1_3genE0ELNS1_11target_archE4294967295ELNS1_3gpuE0ELNS1_3repE0EEENS1_38merge_mergepath_config_static_selectorELNS0_4arch9wavefront6targetE1EEEvSL_.has_indirect_call, 0
	.section	.AMDGPU.csdata,"",@progbits
; Kernel info:
; codeLenInByte = 3308
; TotalNumSgprs: 34
; NumVgprs: 27
; NumAgprs: 0
; TotalNumVgprs: 27
; ScratchSize: 0
; MemoryBound: 0
; FloatMode: 240
; IeeeMode: 1
; LDSByteSize: 5248 bytes/workgroup (compile time only)
; SGPRBlocks: 4
; VGPRBlocks: 3
; NumSGPRsForWavesPerEU: 34
; NumVGPRsForWavesPerEU: 27
; AccumOffset: 28
; Occupancy: 8
; WaveLimiterHint : 1
; COMPUTE_PGM_RSRC2:SCRATCH_EN: 0
; COMPUTE_PGM_RSRC2:USER_SGPR: 4
; COMPUTE_PGM_RSRC2:TRAP_HANDLER: 0
; COMPUTE_PGM_RSRC2:TGID_X_EN: 1
; COMPUTE_PGM_RSRC2:TGID_Y_EN: 1
; COMPUTE_PGM_RSRC2:TGID_Z_EN: 1
; COMPUTE_PGM_RSRC2:TIDIG_COMP_CNT: 2
; COMPUTE_PGM_RSRC3_GFX90A:ACCUM_OFFSET: 6
; COMPUTE_PGM_RSRC3_GFX90A:TG_SPLIT: 0
	.section	.text._ZN7rocprim17ROCPRIM_400000_NS6detail17trampoline_kernelINS0_14default_configENS1_38merge_sort_block_merge_config_selectorIbiEEZZNS1_27merge_sort_block_merge_implIS3_N6thrust23THRUST_200600_302600_NS6detail15normal_iteratorINS8_10device_ptrIbEEEENSA_INSB_IiEEEEjNS1_19radix_merge_compareILb1ELb1EbNS0_19identity_decomposerEEEEE10hipError_tT0_T1_T2_jT3_P12ihipStream_tbPNSt15iterator_traitsISK_E10value_typeEPNSQ_ISL_E10value_typeEPSM_NS1_7vsmem_tEENKUlT_SK_SL_SM_E_clISD_PbSF_PiEESJ_SZ_SK_SL_SM_EUlSZ_E0_NS1_11comp_targetILNS1_3genE10ELNS1_11target_archE1201ELNS1_3gpuE5ELNS1_3repE0EEENS1_38merge_mergepath_config_static_selectorELNS0_4arch9wavefront6targetE1EEEvSL_,"axG",@progbits,_ZN7rocprim17ROCPRIM_400000_NS6detail17trampoline_kernelINS0_14default_configENS1_38merge_sort_block_merge_config_selectorIbiEEZZNS1_27merge_sort_block_merge_implIS3_N6thrust23THRUST_200600_302600_NS6detail15normal_iteratorINS8_10device_ptrIbEEEENSA_INSB_IiEEEEjNS1_19radix_merge_compareILb1ELb1EbNS0_19identity_decomposerEEEEE10hipError_tT0_T1_T2_jT3_P12ihipStream_tbPNSt15iterator_traitsISK_E10value_typeEPNSQ_ISL_E10value_typeEPSM_NS1_7vsmem_tEENKUlT_SK_SL_SM_E_clISD_PbSF_PiEESJ_SZ_SK_SL_SM_EUlSZ_E0_NS1_11comp_targetILNS1_3genE10ELNS1_11target_archE1201ELNS1_3gpuE5ELNS1_3repE0EEENS1_38merge_mergepath_config_static_selectorELNS0_4arch9wavefront6targetE1EEEvSL_,comdat
	.protected	_ZN7rocprim17ROCPRIM_400000_NS6detail17trampoline_kernelINS0_14default_configENS1_38merge_sort_block_merge_config_selectorIbiEEZZNS1_27merge_sort_block_merge_implIS3_N6thrust23THRUST_200600_302600_NS6detail15normal_iteratorINS8_10device_ptrIbEEEENSA_INSB_IiEEEEjNS1_19radix_merge_compareILb1ELb1EbNS0_19identity_decomposerEEEEE10hipError_tT0_T1_T2_jT3_P12ihipStream_tbPNSt15iterator_traitsISK_E10value_typeEPNSQ_ISL_E10value_typeEPSM_NS1_7vsmem_tEENKUlT_SK_SL_SM_E_clISD_PbSF_PiEESJ_SZ_SK_SL_SM_EUlSZ_E0_NS1_11comp_targetILNS1_3genE10ELNS1_11target_archE1201ELNS1_3gpuE5ELNS1_3repE0EEENS1_38merge_mergepath_config_static_selectorELNS0_4arch9wavefront6targetE1EEEvSL_ ; -- Begin function _ZN7rocprim17ROCPRIM_400000_NS6detail17trampoline_kernelINS0_14default_configENS1_38merge_sort_block_merge_config_selectorIbiEEZZNS1_27merge_sort_block_merge_implIS3_N6thrust23THRUST_200600_302600_NS6detail15normal_iteratorINS8_10device_ptrIbEEEENSA_INSB_IiEEEEjNS1_19radix_merge_compareILb1ELb1EbNS0_19identity_decomposerEEEEE10hipError_tT0_T1_T2_jT3_P12ihipStream_tbPNSt15iterator_traitsISK_E10value_typeEPNSQ_ISL_E10value_typeEPSM_NS1_7vsmem_tEENKUlT_SK_SL_SM_E_clISD_PbSF_PiEESJ_SZ_SK_SL_SM_EUlSZ_E0_NS1_11comp_targetILNS1_3genE10ELNS1_11target_archE1201ELNS1_3gpuE5ELNS1_3repE0EEENS1_38merge_mergepath_config_static_selectorELNS0_4arch9wavefront6targetE1EEEvSL_
	.globl	_ZN7rocprim17ROCPRIM_400000_NS6detail17trampoline_kernelINS0_14default_configENS1_38merge_sort_block_merge_config_selectorIbiEEZZNS1_27merge_sort_block_merge_implIS3_N6thrust23THRUST_200600_302600_NS6detail15normal_iteratorINS8_10device_ptrIbEEEENSA_INSB_IiEEEEjNS1_19radix_merge_compareILb1ELb1EbNS0_19identity_decomposerEEEEE10hipError_tT0_T1_T2_jT3_P12ihipStream_tbPNSt15iterator_traitsISK_E10value_typeEPNSQ_ISL_E10value_typeEPSM_NS1_7vsmem_tEENKUlT_SK_SL_SM_E_clISD_PbSF_PiEESJ_SZ_SK_SL_SM_EUlSZ_E0_NS1_11comp_targetILNS1_3genE10ELNS1_11target_archE1201ELNS1_3gpuE5ELNS1_3repE0EEENS1_38merge_mergepath_config_static_selectorELNS0_4arch9wavefront6targetE1EEEvSL_
	.p2align	8
	.type	_ZN7rocprim17ROCPRIM_400000_NS6detail17trampoline_kernelINS0_14default_configENS1_38merge_sort_block_merge_config_selectorIbiEEZZNS1_27merge_sort_block_merge_implIS3_N6thrust23THRUST_200600_302600_NS6detail15normal_iteratorINS8_10device_ptrIbEEEENSA_INSB_IiEEEEjNS1_19radix_merge_compareILb1ELb1EbNS0_19identity_decomposerEEEEE10hipError_tT0_T1_T2_jT3_P12ihipStream_tbPNSt15iterator_traitsISK_E10value_typeEPNSQ_ISL_E10value_typeEPSM_NS1_7vsmem_tEENKUlT_SK_SL_SM_E_clISD_PbSF_PiEESJ_SZ_SK_SL_SM_EUlSZ_E0_NS1_11comp_targetILNS1_3genE10ELNS1_11target_archE1201ELNS1_3gpuE5ELNS1_3repE0EEENS1_38merge_mergepath_config_static_selectorELNS0_4arch9wavefront6targetE1EEEvSL_,@function
_ZN7rocprim17ROCPRIM_400000_NS6detail17trampoline_kernelINS0_14default_configENS1_38merge_sort_block_merge_config_selectorIbiEEZZNS1_27merge_sort_block_merge_implIS3_N6thrust23THRUST_200600_302600_NS6detail15normal_iteratorINS8_10device_ptrIbEEEENSA_INSB_IiEEEEjNS1_19radix_merge_compareILb1ELb1EbNS0_19identity_decomposerEEEEE10hipError_tT0_T1_T2_jT3_P12ihipStream_tbPNSt15iterator_traitsISK_E10value_typeEPNSQ_ISL_E10value_typeEPSM_NS1_7vsmem_tEENKUlT_SK_SL_SM_E_clISD_PbSF_PiEESJ_SZ_SK_SL_SM_EUlSZ_E0_NS1_11comp_targetILNS1_3genE10ELNS1_11target_archE1201ELNS1_3gpuE5ELNS1_3repE0EEENS1_38merge_mergepath_config_static_selectorELNS0_4arch9wavefront6targetE1EEEvSL_: ; @_ZN7rocprim17ROCPRIM_400000_NS6detail17trampoline_kernelINS0_14default_configENS1_38merge_sort_block_merge_config_selectorIbiEEZZNS1_27merge_sort_block_merge_implIS3_N6thrust23THRUST_200600_302600_NS6detail15normal_iteratorINS8_10device_ptrIbEEEENSA_INSB_IiEEEEjNS1_19radix_merge_compareILb1ELb1EbNS0_19identity_decomposerEEEEE10hipError_tT0_T1_T2_jT3_P12ihipStream_tbPNSt15iterator_traitsISK_E10value_typeEPNSQ_ISL_E10value_typeEPSM_NS1_7vsmem_tEENKUlT_SK_SL_SM_E_clISD_PbSF_PiEESJ_SZ_SK_SL_SM_EUlSZ_E0_NS1_11comp_targetILNS1_3genE10ELNS1_11target_archE1201ELNS1_3gpuE5ELNS1_3repE0EEENS1_38merge_mergepath_config_static_selectorELNS0_4arch9wavefront6targetE1EEEvSL_
; %bb.0:
	.section	.rodata,"a",@progbits
	.p2align	6, 0x0
	.amdhsa_kernel _ZN7rocprim17ROCPRIM_400000_NS6detail17trampoline_kernelINS0_14default_configENS1_38merge_sort_block_merge_config_selectorIbiEEZZNS1_27merge_sort_block_merge_implIS3_N6thrust23THRUST_200600_302600_NS6detail15normal_iteratorINS8_10device_ptrIbEEEENSA_INSB_IiEEEEjNS1_19radix_merge_compareILb1ELb1EbNS0_19identity_decomposerEEEEE10hipError_tT0_T1_T2_jT3_P12ihipStream_tbPNSt15iterator_traitsISK_E10value_typeEPNSQ_ISL_E10value_typeEPSM_NS1_7vsmem_tEENKUlT_SK_SL_SM_E_clISD_PbSF_PiEESJ_SZ_SK_SL_SM_EUlSZ_E0_NS1_11comp_targetILNS1_3genE10ELNS1_11target_archE1201ELNS1_3gpuE5ELNS1_3repE0EEENS1_38merge_mergepath_config_static_selectorELNS0_4arch9wavefront6targetE1EEEvSL_
		.amdhsa_group_segment_fixed_size 0
		.amdhsa_private_segment_fixed_size 0
		.amdhsa_kernarg_size 64
		.amdhsa_user_sgpr_count 2
		.amdhsa_user_sgpr_dispatch_ptr 0
		.amdhsa_user_sgpr_queue_ptr 0
		.amdhsa_user_sgpr_kernarg_segment_ptr 1
		.amdhsa_user_sgpr_dispatch_id 0
		.amdhsa_user_sgpr_kernarg_preload_length 0
		.amdhsa_user_sgpr_kernarg_preload_offset 0
		.amdhsa_user_sgpr_private_segment_size 0
		.amdhsa_uses_dynamic_stack 0
		.amdhsa_enable_private_segment 0
		.amdhsa_system_sgpr_workgroup_id_x 1
		.amdhsa_system_sgpr_workgroup_id_y 0
		.amdhsa_system_sgpr_workgroup_id_z 0
		.amdhsa_system_sgpr_workgroup_info 0
		.amdhsa_system_vgpr_workitem_id 0
		.amdhsa_next_free_vgpr 1
		.amdhsa_next_free_sgpr 0
		.amdhsa_accum_offset 4
		.amdhsa_reserve_vcc 0
		.amdhsa_float_round_mode_32 0
		.amdhsa_float_round_mode_16_64 0
		.amdhsa_float_denorm_mode_32 3
		.amdhsa_float_denorm_mode_16_64 3
		.amdhsa_dx10_clamp 1
		.amdhsa_ieee_mode 1
		.amdhsa_fp16_overflow 0
		.amdhsa_tg_split 0
		.amdhsa_exception_fp_ieee_invalid_op 0
		.amdhsa_exception_fp_denorm_src 0
		.amdhsa_exception_fp_ieee_div_zero 0
		.amdhsa_exception_fp_ieee_overflow 0
		.amdhsa_exception_fp_ieee_underflow 0
		.amdhsa_exception_fp_ieee_inexact 0
		.amdhsa_exception_int_div_zero 0
	.end_amdhsa_kernel
	.section	.text._ZN7rocprim17ROCPRIM_400000_NS6detail17trampoline_kernelINS0_14default_configENS1_38merge_sort_block_merge_config_selectorIbiEEZZNS1_27merge_sort_block_merge_implIS3_N6thrust23THRUST_200600_302600_NS6detail15normal_iteratorINS8_10device_ptrIbEEEENSA_INSB_IiEEEEjNS1_19radix_merge_compareILb1ELb1EbNS0_19identity_decomposerEEEEE10hipError_tT0_T1_T2_jT3_P12ihipStream_tbPNSt15iterator_traitsISK_E10value_typeEPNSQ_ISL_E10value_typeEPSM_NS1_7vsmem_tEENKUlT_SK_SL_SM_E_clISD_PbSF_PiEESJ_SZ_SK_SL_SM_EUlSZ_E0_NS1_11comp_targetILNS1_3genE10ELNS1_11target_archE1201ELNS1_3gpuE5ELNS1_3repE0EEENS1_38merge_mergepath_config_static_selectorELNS0_4arch9wavefront6targetE1EEEvSL_,"axG",@progbits,_ZN7rocprim17ROCPRIM_400000_NS6detail17trampoline_kernelINS0_14default_configENS1_38merge_sort_block_merge_config_selectorIbiEEZZNS1_27merge_sort_block_merge_implIS3_N6thrust23THRUST_200600_302600_NS6detail15normal_iteratorINS8_10device_ptrIbEEEENSA_INSB_IiEEEEjNS1_19radix_merge_compareILb1ELb1EbNS0_19identity_decomposerEEEEE10hipError_tT0_T1_T2_jT3_P12ihipStream_tbPNSt15iterator_traitsISK_E10value_typeEPNSQ_ISL_E10value_typeEPSM_NS1_7vsmem_tEENKUlT_SK_SL_SM_E_clISD_PbSF_PiEESJ_SZ_SK_SL_SM_EUlSZ_E0_NS1_11comp_targetILNS1_3genE10ELNS1_11target_archE1201ELNS1_3gpuE5ELNS1_3repE0EEENS1_38merge_mergepath_config_static_selectorELNS0_4arch9wavefront6targetE1EEEvSL_,comdat
.Lfunc_end2185:
	.size	_ZN7rocprim17ROCPRIM_400000_NS6detail17trampoline_kernelINS0_14default_configENS1_38merge_sort_block_merge_config_selectorIbiEEZZNS1_27merge_sort_block_merge_implIS3_N6thrust23THRUST_200600_302600_NS6detail15normal_iteratorINS8_10device_ptrIbEEEENSA_INSB_IiEEEEjNS1_19radix_merge_compareILb1ELb1EbNS0_19identity_decomposerEEEEE10hipError_tT0_T1_T2_jT3_P12ihipStream_tbPNSt15iterator_traitsISK_E10value_typeEPNSQ_ISL_E10value_typeEPSM_NS1_7vsmem_tEENKUlT_SK_SL_SM_E_clISD_PbSF_PiEESJ_SZ_SK_SL_SM_EUlSZ_E0_NS1_11comp_targetILNS1_3genE10ELNS1_11target_archE1201ELNS1_3gpuE5ELNS1_3repE0EEENS1_38merge_mergepath_config_static_selectorELNS0_4arch9wavefront6targetE1EEEvSL_, .Lfunc_end2185-_ZN7rocprim17ROCPRIM_400000_NS6detail17trampoline_kernelINS0_14default_configENS1_38merge_sort_block_merge_config_selectorIbiEEZZNS1_27merge_sort_block_merge_implIS3_N6thrust23THRUST_200600_302600_NS6detail15normal_iteratorINS8_10device_ptrIbEEEENSA_INSB_IiEEEEjNS1_19radix_merge_compareILb1ELb1EbNS0_19identity_decomposerEEEEE10hipError_tT0_T1_T2_jT3_P12ihipStream_tbPNSt15iterator_traitsISK_E10value_typeEPNSQ_ISL_E10value_typeEPSM_NS1_7vsmem_tEENKUlT_SK_SL_SM_E_clISD_PbSF_PiEESJ_SZ_SK_SL_SM_EUlSZ_E0_NS1_11comp_targetILNS1_3genE10ELNS1_11target_archE1201ELNS1_3gpuE5ELNS1_3repE0EEENS1_38merge_mergepath_config_static_selectorELNS0_4arch9wavefront6targetE1EEEvSL_
                                        ; -- End function
	.set _ZN7rocprim17ROCPRIM_400000_NS6detail17trampoline_kernelINS0_14default_configENS1_38merge_sort_block_merge_config_selectorIbiEEZZNS1_27merge_sort_block_merge_implIS3_N6thrust23THRUST_200600_302600_NS6detail15normal_iteratorINS8_10device_ptrIbEEEENSA_INSB_IiEEEEjNS1_19radix_merge_compareILb1ELb1EbNS0_19identity_decomposerEEEEE10hipError_tT0_T1_T2_jT3_P12ihipStream_tbPNSt15iterator_traitsISK_E10value_typeEPNSQ_ISL_E10value_typeEPSM_NS1_7vsmem_tEENKUlT_SK_SL_SM_E_clISD_PbSF_PiEESJ_SZ_SK_SL_SM_EUlSZ_E0_NS1_11comp_targetILNS1_3genE10ELNS1_11target_archE1201ELNS1_3gpuE5ELNS1_3repE0EEENS1_38merge_mergepath_config_static_selectorELNS0_4arch9wavefront6targetE1EEEvSL_.num_vgpr, 0
	.set _ZN7rocprim17ROCPRIM_400000_NS6detail17trampoline_kernelINS0_14default_configENS1_38merge_sort_block_merge_config_selectorIbiEEZZNS1_27merge_sort_block_merge_implIS3_N6thrust23THRUST_200600_302600_NS6detail15normal_iteratorINS8_10device_ptrIbEEEENSA_INSB_IiEEEEjNS1_19radix_merge_compareILb1ELb1EbNS0_19identity_decomposerEEEEE10hipError_tT0_T1_T2_jT3_P12ihipStream_tbPNSt15iterator_traitsISK_E10value_typeEPNSQ_ISL_E10value_typeEPSM_NS1_7vsmem_tEENKUlT_SK_SL_SM_E_clISD_PbSF_PiEESJ_SZ_SK_SL_SM_EUlSZ_E0_NS1_11comp_targetILNS1_3genE10ELNS1_11target_archE1201ELNS1_3gpuE5ELNS1_3repE0EEENS1_38merge_mergepath_config_static_selectorELNS0_4arch9wavefront6targetE1EEEvSL_.num_agpr, 0
	.set _ZN7rocprim17ROCPRIM_400000_NS6detail17trampoline_kernelINS0_14default_configENS1_38merge_sort_block_merge_config_selectorIbiEEZZNS1_27merge_sort_block_merge_implIS3_N6thrust23THRUST_200600_302600_NS6detail15normal_iteratorINS8_10device_ptrIbEEEENSA_INSB_IiEEEEjNS1_19radix_merge_compareILb1ELb1EbNS0_19identity_decomposerEEEEE10hipError_tT0_T1_T2_jT3_P12ihipStream_tbPNSt15iterator_traitsISK_E10value_typeEPNSQ_ISL_E10value_typeEPSM_NS1_7vsmem_tEENKUlT_SK_SL_SM_E_clISD_PbSF_PiEESJ_SZ_SK_SL_SM_EUlSZ_E0_NS1_11comp_targetILNS1_3genE10ELNS1_11target_archE1201ELNS1_3gpuE5ELNS1_3repE0EEENS1_38merge_mergepath_config_static_selectorELNS0_4arch9wavefront6targetE1EEEvSL_.numbered_sgpr, 0
	.set _ZN7rocprim17ROCPRIM_400000_NS6detail17trampoline_kernelINS0_14default_configENS1_38merge_sort_block_merge_config_selectorIbiEEZZNS1_27merge_sort_block_merge_implIS3_N6thrust23THRUST_200600_302600_NS6detail15normal_iteratorINS8_10device_ptrIbEEEENSA_INSB_IiEEEEjNS1_19radix_merge_compareILb1ELb1EbNS0_19identity_decomposerEEEEE10hipError_tT0_T1_T2_jT3_P12ihipStream_tbPNSt15iterator_traitsISK_E10value_typeEPNSQ_ISL_E10value_typeEPSM_NS1_7vsmem_tEENKUlT_SK_SL_SM_E_clISD_PbSF_PiEESJ_SZ_SK_SL_SM_EUlSZ_E0_NS1_11comp_targetILNS1_3genE10ELNS1_11target_archE1201ELNS1_3gpuE5ELNS1_3repE0EEENS1_38merge_mergepath_config_static_selectorELNS0_4arch9wavefront6targetE1EEEvSL_.num_named_barrier, 0
	.set _ZN7rocprim17ROCPRIM_400000_NS6detail17trampoline_kernelINS0_14default_configENS1_38merge_sort_block_merge_config_selectorIbiEEZZNS1_27merge_sort_block_merge_implIS3_N6thrust23THRUST_200600_302600_NS6detail15normal_iteratorINS8_10device_ptrIbEEEENSA_INSB_IiEEEEjNS1_19radix_merge_compareILb1ELb1EbNS0_19identity_decomposerEEEEE10hipError_tT0_T1_T2_jT3_P12ihipStream_tbPNSt15iterator_traitsISK_E10value_typeEPNSQ_ISL_E10value_typeEPSM_NS1_7vsmem_tEENKUlT_SK_SL_SM_E_clISD_PbSF_PiEESJ_SZ_SK_SL_SM_EUlSZ_E0_NS1_11comp_targetILNS1_3genE10ELNS1_11target_archE1201ELNS1_3gpuE5ELNS1_3repE0EEENS1_38merge_mergepath_config_static_selectorELNS0_4arch9wavefront6targetE1EEEvSL_.private_seg_size, 0
	.set _ZN7rocprim17ROCPRIM_400000_NS6detail17trampoline_kernelINS0_14default_configENS1_38merge_sort_block_merge_config_selectorIbiEEZZNS1_27merge_sort_block_merge_implIS3_N6thrust23THRUST_200600_302600_NS6detail15normal_iteratorINS8_10device_ptrIbEEEENSA_INSB_IiEEEEjNS1_19radix_merge_compareILb1ELb1EbNS0_19identity_decomposerEEEEE10hipError_tT0_T1_T2_jT3_P12ihipStream_tbPNSt15iterator_traitsISK_E10value_typeEPNSQ_ISL_E10value_typeEPSM_NS1_7vsmem_tEENKUlT_SK_SL_SM_E_clISD_PbSF_PiEESJ_SZ_SK_SL_SM_EUlSZ_E0_NS1_11comp_targetILNS1_3genE10ELNS1_11target_archE1201ELNS1_3gpuE5ELNS1_3repE0EEENS1_38merge_mergepath_config_static_selectorELNS0_4arch9wavefront6targetE1EEEvSL_.uses_vcc, 0
	.set _ZN7rocprim17ROCPRIM_400000_NS6detail17trampoline_kernelINS0_14default_configENS1_38merge_sort_block_merge_config_selectorIbiEEZZNS1_27merge_sort_block_merge_implIS3_N6thrust23THRUST_200600_302600_NS6detail15normal_iteratorINS8_10device_ptrIbEEEENSA_INSB_IiEEEEjNS1_19radix_merge_compareILb1ELb1EbNS0_19identity_decomposerEEEEE10hipError_tT0_T1_T2_jT3_P12ihipStream_tbPNSt15iterator_traitsISK_E10value_typeEPNSQ_ISL_E10value_typeEPSM_NS1_7vsmem_tEENKUlT_SK_SL_SM_E_clISD_PbSF_PiEESJ_SZ_SK_SL_SM_EUlSZ_E0_NS1_11comp_targetILNS1_3genE10ELNS1_11target_archE1201ELNS1_3gpuE5ELNS1_3repE0EEENS1_38merge_mergepath_config_static_selectorELNS0_4arch9wavefront6targetE1EEEvSL_.uses_flat_scratch, 0
	.set _ZN7rocprim17ROCPRIM_400000_NS6detail17trampoline_kernelINS0_14default_configENS1_38merge_sort_block_merge_config_selectorIbiEEZZNS1_27merge_sort_block_merge_implIS3_N6thrust23THRUST_200600_302600_NS6detail15normal_iteratorINS8_10device_ptrIbEEEENSA_INSB_IiEEEEjNS1_19radix_merge_compareILb1ELb1EbNS0_19identity_decomposerEEEEE10hipError_tT0_T1_T2_jT3_P12ihipStream_tbPNSt15iterator_traitsISK_E10value_typeEPNSQ_ISL_E10value_typeEPSM_NS1_7vsmem_tEENKUlT_SK_SL_SM_E_clISD_PbSF_PiEESJ_SZ_SK_SL_SM_EUlSZ_E0_NS1_11comp_targetILNS1_3genE10ELNS1_11target_archE1201ELNS1_3gpuE5ELNS1_3repE0EEENS1_38merge_mergepath_config_static_selectorELNS0_4arch9wavefront6targetE1EEEvSL_.has_dyn_sized_stack, 0
	.set _ZN7rocprim17ROCPRIM_400000_NS6detail17trampoline_kernelINS0_14default_configENS1_38merge_sort_block_merge_config_selectorIbiEEZZNS1_27merge_sort_block_merge_implIS3_N6thrust23THRUST_200600_302600_NS6detail15normal_iteratorINS8_10device_ptrIbEEEENSA_INSB_IiEEEEjNS1_19radix_merge_compareILb1ELb1EbNS0_19identity_decomposerEEEEE10hipError_tT0_T1_T2_jT3_P12ihipStream_tbPNSt15iterator_traitsISK_E10value_typeEPNSQ_ISL_E10value_typeEPSM_NS1_7vsmem_tEENKUlT_SK_SL_SM_E_clISD_PbSF_PiEESJ_SZ_SK_SL_SM_EUlSZ_E0_NS1_11comp_targetILNS1_3genE10ELNS1_11target_archE1201ELNS1_3gpuE5ELNS1_3repE0EEENS1_38merge_mergepath_config_static_selectorELNS0_4arch9wavefront6targetE1EEEvSL_.has_recursion, 0
	.set _ZN7rocprim17ROCPRIM_400000_NS6detail17trampoline_kernelINS0_14default_configENS1_38merge_sort_block_merge_config_selectorIbiEEZZNS1_27merge_sort_block_merge_implIS3_N6thrust23THRUST_200600_302600_NS6detail15normal_iteratorINS8_10device_ptrIbEEEENSA_INSB_IiEEEEjNS1_19radix_merge_compareILb1ELb1EbNS0_19identity_decomposerEEEEE10hipError_tT0_T1_T2_jT3_P12ihipStream_tbPNSt15iterator_traitsISK_E10value_typeEPNSQ_ISL_E10value_typeEPSM_NS1_7vsmem_tEENKUlT_SK_SL_SM_E_clISD_PbSF_PiEESJ_SZ_SK_SL_SM_EUlSZ_E0_NS1_11comp_targetILNS1_3genE10ELNS1_11target_archE1201ELNS1_3gpuE5ELNS1_3repE0EEENS1_38merge_mergepath_config_static_selectorELNS0_4arch9wavefront6targetE1EEEvSL_.has_indirect_call, 0
	.section	.AMDGPU.csdata,"",@progbits
; Kernel info:
; codeLenInByte = 0
; TotalNumSgprs: 6
; NumVgprs: 0
; NumAgprs: 0
; TotalNumVgprs: 0
; ScratchSize: 0
; MemoryBound: 0
; FloatMode: 240
; IeeeMode: 1
; LDSByteSize: 0 bytes/workgroup (compile time only)
; SGPRBlocks: 0
; VGPRBlocks: 0
; NumSGPRsForWavesPerEU: 6
; NumVGPRsForWavesPerEU: 1
; AccumOffset: 4
; Occupancy: 8
; WaveLimiterHint : 0
; COMPUTE_PGM_RSRC2:SCRATCH_EN: 0
; COMPUTE_PGM_RSRC2:USER_SGPR: 2
; COMPUTE_PGM_RSRC2:TRAP_HANDLER: 0
; COMPUTE_PGM_RSRC2:TGID_X_EN: 1
; COMPUTE_PGM_RSRC2:TGID_Y_EN: 0
; COMPUTE_PGM_RSRC2:TGID_Z_EN: 0
; COMPUTE_PGM_RSRC2:TIDIG_COMP_CNT: 0
; COMPUTE_PGM_RSRC3_GFX90A:ACCUM_OFFSET: 0
; COMPUTE_PGM_RSRC3_GFX90A:TG_SPLIT: 0
	.section	.text._ZN7rocprim17ROCPRIM_400000_NS6detail17trampoline_kernelINS0_14default_configENS1_38merge_sort_block_merge_config_selectorIbiEEZZNS1_27merge_sort_block_merge_implIS3_N6thrust23THRUST_200600_302600_NS6detail15normal_iteratorINS8_10device_ptrIbEEEENSA_INSB_IiEEEEjNS1_19radix_merge_compareILb1ELb1EbNS0_19identity_decomposerEEEEE10hipError_tT0_T1_T2_jT3_P12ihipStream_tbPNSt15iterator_traitsISK_E10value_typeEPNSQ_ISL_E10value_typeEPSM_NS1_7vsmem_tEENKUlT_SK_SL_SM_E_clISD_PbSF_PiEESJ_SZ_SK_SL_SM_EUlSZ_E0_NS1_11comp_targetILNS1_3genE5ELNS1_11target_archE942ELNS1_3gpuE9ELNS1_3repE0EEENS1_38merge_mergepath_config_static_selectorELNS0_4arch9wavefront6targetE1EEEvSL_,"axG",@progbits,_ZN7rocprim17ROCPRIM_400000_NS6detail17trampoline_kernelINS0_14default_configENS1_38merge_sort_block_merge_config_selectorIbiEEZZNS1_27merge_sort_block_merge_implIS3_N6thrust23THRUST_200600_302600_NS6detail15normal_iteratorINS8_10device_ptrIbEEEENSA_INSB_IiEEEEjNS1_19radix_merge_compareILb1ELb1EbNS0_19identity_decomposerEEEEE10hipError_tT0_T1_T2_jT3_P12ihipStream_tbPNSt15iterator_traitsISK_E10value_typeEPNSQ_ISL_E10value_typeEPSM_NS1_7vsmem_tEENKUlT_SK_SL_SM_E_clISD_PbSF_PiEESJ_SZ_SK_SL_SM_EUlSZ_E0_NS1_11comp_targetILNS1_3genE5ELNS1_11target_archE942ELNS1_3gpuE9ELNS1_3repE0EEENS1_38merge_mergepath_config_static_selectorELNS0_4arch9wavefront6targetE1EEEvSL_,comdat
	.protected	_ZN7rocprim17ROCPRIM_400000_NS6detail17trampoline_kernelINS0_14default_configENS1_38merge_sort_block_merge_config_selectorIbiEEZZNS1_27merge_sort_block_merge_implIS3_N6thrust23THRUST_200600_302600_NS6detail15normal_iteratorINS8_10device_ptrIbEEEENSA_INSB_IiEEEEjNS1_19radix_merge_compareILb1ELb1EbNS0_19identity_decomposerEEEEE10hipError_tT0_T1_T2_jT3_P12ihipStream_tbPNSt15iterator_traitsISK_E10value_typeEPNSQ_ISL_E10value_typeEPSM_NS1_7vsmem_tEENKUlT_SK_SL_SM_E_clISD_PbSF_PiEESJ_SZ_SK_SL_SM_EUlSZ_E0_NS1_11comp_targetILNS1_3genE5ELNS1_11target_archE942ELNS1_3gpuE9ELNS1_3repE0EEENS1_38merge_mergepath_config_static_selectorELNS0_4arch9wavefront6targetE1EEEvSL_ ; -- Begin function _ZN7rocprim17ROCPRIM_400000_NS6detail17trampoline_kernelINS0_14default_configENS1_38merge_sort_block_merge_config_selectorIbiEEZZNS1_27merge_sort_block_merge_implIS3_N6thrust23THRUST_200600_302600_NS6detail15normal_iteratorINS8_10device_ptrIbEEEENSA_INSB_IiEEEEjNS1_19radix_merge_compareILb1ELb1EbNS0_19identity_decomposerEEEEE10hipError_tT0_T1_T2_jT3_P12ihipStream_tbPNSt15iterator_traitsISK_E10value_typeEPNSQ_ISL_E10value_typeEPSM_NS1_7vsmem_tEENKUlT_SK_SL_SM_E_clISD_PbSF_PiEESJ_SZ_SK_SL_SM_EUlSZ_E0_NS1_11comp_targetILNS1_3genE5ELNS1_11target_archE942ELNS1_3gpuE9ELNS1_3repE0EEENS1_38merge_mergepath_config_static_selectorELNS0_4arch9wavefront6targetE1EEEvSL_
	.globl	_ZN7rocprim17ROCPRIM_400000_NS6detail17trampoline_kernelINS0_14default_configENS1_38merge_sort_block_merge_config_selectorIbiEEZZNS1_27merge_sort_block_merge_implIS3_N6thrust23THRUST_200600_302600_NS6detail15normal_iteratorINS8_10device_ptrIbEEEENSA_INSB_IiEEEEjNS1_19radix_merge_compareILb1ELb1EbNS0_19identity_decomposerEEEEE10hipError_tT0_T1_T2_jT3_P12ihipStream_tbPNSt15iterator_traitsISK_E10value_typeEPNSQ_ISL_E10value_typeEPSM_NS1_7vsmem_tEENKUlT_SK_SL_SM_E_clISD_PbSF_PiEESJ_SZ_SK_SL_SM_EUlSZ_E0_NS1_11comp_targetILNS1_3genE5ELNS1_11target_archE942ELNS1_3gpuE9ELNS1_3repE0EEENS1_38merge_mergepath_config_static_selectorELNS0_4arch9wavefront6targetE1EEEvSL_
	.p2align	8
	.type	_ZN7rocprim17ROCPRIM_400000_NS6detail17trampoline_kernelINS0_14default_configENS1_38merge_sort_block_merge_config_selectorIbiEEZZNS1_27merge_sort_block_merge_implIS3_N6thrust23THRUST_200600_302600_NS6detail15normal_iteratorINS8_10device_ptrIbEEEENSA_INSB_IiEEEEjNS1_19radix_merge_compareILb1ELb1EbNS0_19identity_decomposerEEEEE10hipError_tT0_T1_T2_jT3_P12ihipStream_tbPNSt15iterator_traitsISK_E10value_typeEPNSQ_ISL_E10value_typeEPSM_NS1_7vsmem_tEENKUlT_SK_SL_SM_E_clISD_PbSF_PiEESJ_SZ_SK_SL_SM_EUlSZ_E0_NS1_11comp_targetILNS1_3genE5ELNS1_11target_archE942ELNS1_3gpuE9ELNS1_3repE0EEENS1_38merge_mergepath_config_static_selectorELNS0_4arch9wavefront6targetE1EEEvSL_,@function
_ZN7rocprim17ROCPRIM_400000_NS6detail17trampoline_kernelINS0_14default_configENS1_38merge_sort_block_merge_config_selectorIbiEEZZNS1_27merge_sort_block_merge_implIS3_N6thrust23THRUST_200600_302600_NS6detail15normal_iteratorINS8_10device_ptrIbEEEENSA_INSB_IiEEEEjNS1_19radix_merge_compareILb1ELb1EbNS0_19identity_decomposerEEEEE10hipError_tT0_T1_T2_jT3_P12ihipStream_tbPNSt15iterator_traitsISK_E10value_typeEPNSQ_ISL_E10value_typeEPSM_NS1_7vsmem_tEENKUlT_SK_SL_SM_E_clISD_PbSF_PiEESJ_SZ_SK_SL_SM_EUlSZ_E0_NS1_11comp_targetILNS1_3genE5ELNS1_11target_archE942ELNS1_3gpuE9ELNS1_3repE0EEENS1_38merge_mergepath_config_static_selectorELNS0_4arch9wavefront6targetE1EEEvSL_: ; @_ZN7rocprim17ROCPRIM_400000_NS6detail17trampoline_kernelINS0_14default_configENS1_38merge_sort_block_merge_config_selectorIbiEEZZNS1_27merge_sort_block_merge_implIS3_N6thrust23THRUST_200600_302600_NS6detail15normal_iteratorINS8_10device_ptrIbEEEENSA_INSB_IiEEEEjNS1_19radix_merge_compareILb1ELb1EbNS0_19identity_decomposerEEEEE10hipError_tT0_T1_T2_jT3_P12ihipStream_tbPNSt15iterator_traitsISK_E10value_typeEPNSQ_ISL_E10value_typeEPSM_NS1_7vsmem_tEENKUlT_SK_SL_SM_E_clISD_PbSF_PiEESJ_SZ_SK_SL_SM_EUlSZ_E0_NS1_11comp_targetILNS1_3genE5ELNS1_11target_archE942ELNS1_3gpuE9ELNS1_3repE0EEENS1_38merge_mergepath_config_static_selectorELNS0_4arch9wavefront6targetE1EEEvSL_
; %bb.0:
	.section	.rodata,"a",@progbits
	.p2align	6, 0x0
	.amdhsa_kernel _ZN7rocprim17ROCPRIM_400000_NS6detail17trampoline_kernelINS0_14default_configENS1_38merge_sort_block_merge_config_selectorIbiEEZZNS1_27merge_sort_block_merge_implIS3_N6thrust23THRUST_200600_302600_NS6detail15normal_iteratorINS8_10device_ptrIbEEEENSA_INSB_IiEEEEjNS1_19radix_merge_compareILb1ELb1EbNS0_19identity_decomposerEEEEE10hipError_tT0_T1_T2_jT3_P12ihipStream_tbPNSt15iterator_traitsISK_E10value_typeEPNSQ_ISL_E10value_typeEPSM_NS1_7vsmem_tEENKUlT_SK_SL_SM_E_clISD_PbSF_PiEESJ_SZ_SK_SL_SM_EUlSZ_E0_NS1_11comp_targetILNS1_3genE5ELNS1_11target_archE942ELNS1_3gpuE9ELNS1_3repE0EEENS1_38merge_mergepath_config_static_selectorELNS0_4arch9wavefront6targetE1EEEvSL_
		.amdhsa_group_segment_fixed_size 0
		.amdhsa_private_segment_fixed_size 0
		.amdhsa_kernarg_size 64
		.amdhsa_user_sgpr_count 2
		.amdhsa_user_sgpr_dispatch_ptr 0
		.amdhsa_user_sgpr_queue_ptr 0
		.amdhsa_user_sgpr_kernarg_segment_ptr 1
		.amdhsa_user_sgpr_dispatch_id 0
		.amdhsa_user_sgpr_kernarg_preload_length 0
		.amdhsa_user_sgpr_kernarg_preload_offset 0
		.amdhsa_user_sgpr_private_segment_size 0
		.amdhsa_uses_dynamic_stack 0
		.amdhsa_enable_private_segment 0
		.amdhsa_system_sgpr_workgroup_id_x 1
		.amdhsa_system_sgpr_workgroup_id_y 0
		.amdhsa_system_sgpr_workgroup_id_z 0
		.amdhsa_system_sgpr_workgroup_info 0
		.amdhsa_system_vgpr_workitem_id 0
		.amdhsa_next_free_vgpr 1
		.amdhsa_next_free_sgpr 0
		.amdhsa_accum_offset 4
		.amdhsa_reserve_vcc 0
		.amdhsa_float_round_mode_32 0
		.amdhsa_float_round_mode_16_64 0
		.amdhsa_float_denorm_mode_32 3
		.amdhsa_float_denorm_mode_16_64 3
		.amdhsa_dx10_clamp 1
		.amdhsa_ieee_mode 1
		.amdhsa_fp16_overflow 0
		.amdhsa_tg_split 0
		.amdhsa_exception_fp_ieee_invalid_op 0
		.amdhsa_exception_fp_denorm_src 0
		.amdhsa_exception_fp_ieee_div_zero 0
		.amdhsa_exception_fp_ieee_overflow 0
		.amdhsa_exception_fp_ieee_underflow 0
		.amdhsa_exception_fp_ieee_inexact 0
		.amdhsa_exception_int_div_zero 0
	.end_amdhsa_kernel
	.section	.text._ZN7rocprim17ROCPRIM_400000_NS6detail17trampoline_kernelINS0_14default_configENS1_38merge_sort_block_merge_config_selectorIbiEEZZNS1_27merge_sort_block_merge_implIS3_N6thrust23THRUST_200600_302600_NS6detail15normal_iteratorINS8_10device_ptrIbEEEENSA_INSB_IiEEEEjNS1_19radix_merge_compareILb1ELb1EbNS0_19identity_decomposerEEEEE10hipError_tT0_T1_T2_jT3_P12ihipStream_tbPNSt15iterator_traitsISK_E10value_typeEPNSQ_ISL_E10value_typeEPSM_NS1_7vsmem_tEENKUlT_SK_SL_SM_E_clISD_PbSF_PiEESJ_SZ_SK_SL_SM_EUlSZ_E0_NS1_11comp_targetILNS1_3genE5ELNS1_11target_archE942ELNS1_3gpuE9ELNS1_3repE0EEENS1_38merge_mergepath_config_static_selectorELNS0_4arch9wavefront6targetE1EEEvSL_,"axG",@progbits,_ZN7rocprim17ROCPRIM_400000_NS6detail17trampoline_kernelINS0_14default_configENS1_38merge_sort_block_merge_config_selectorIbiEEZZNS1_27merge_sort_block_merge_implIS3_N6thrust23THRUST_200600_302600_NS6detail15normal_iteratorINS8_10device_ptrIbEEEENSA_INSB_IiEEEEjNS1_19radix_merge_compareILb1ELb1EbNS0_19identity_decomposerEEEEE10hipError_tT0_T1_T2_jT3_P12ihipStream_tbPNSt15iterator_traitsISK_E10value_typeEPNSQ_ISL_E10value_typeEPSM_NS1_7vsmem_tEENKUlT_SK_SL_SM_E_clISD_PbSF_PiEESJ_SZ_SK_SL_SM_EUlSZ_E0_NS1_11comp_targetILNS1_3genE5ELNS1_11target_archE942ELNS1_3gpuE9ELNS1_3repE0EEENS1_38merge_mergepath_config_static_selectorELNS0_4arch9wavefront6targetE1EEEvSL_,comdat
.Lfunc_end2186:
	.size	_ZN7rocprim17ROCPRIM_400000_NS6detail17trampoline_kernelINS0_14default_configENS1_38merge_sort_block_merge_config_selectorIbiEEZZNS1_27merge_sort_block_merge_implIS3_N6thrust23THRUST_200600_302600_NS6detail15normal_iteratorINS8_10device_ptrIbEEEENSA_INSB_IiEEEEjNS1_19radix_merge_compareILb1ELb1EbNS0_19identity_decomposerEEEEE10hipError_tT0_T1_T2_jT3_P12ihipStream_tbPNSt15iterator_traitsISK_E10value_typeEPNSQ_ISL_E10value_typeEPSM_NS1_7vsmem_tEENKUlT_SK_SL_SM_E_clISD_PbSF_PiEESJ_SZ_SK_SL_SM_EUlSZ_E0_NS1_11comp_targetILNS1_3genE5ELNS1_11target_archE942ELNS1_3gpuE9ELNS1_3repE0EEENS1_38merge_mergepath_config_static_selectorELNS0_4arch9wavefront6targetE1EEEvSL_, .Lfunc_end2186-_ZN7rocprim17ROCPRIM_400000_NS6detail17trampoline_kernelINS0_14default_configENS1_38merge_sort_block_merge_config_selectorIbiEEZZNS1_27merge_sort_block_merge_implIS3_N6thrust23THRUST_200600_302600_NS6detail15normal_iteratorINS8_10device_ptrIbEEEENSA_INSB_IiEEEEjNS1_19radix_merge_compareILb1ELb1EbNS0_19identity_decomposerEEEEE10hipError_tT0_T1_T2_jT3_P12ihipStream_tbPNSt15iterator_traitsISK_E10value_typeEPNSQ_ISL_E10value_typeEPSM_NS1_7vsmem_tEENKUlT_SK_SL_SM_E_clISD_PbSF_PiEESJ_SZ_SK_SL_SM_EUlSZ_E0_NS1_11comp_targetILNS1_3genE5ELNS1_11target_archE942ELNS1_3gpuE9ELNS1_3repE0EEENS1_38merge_mergepath_config_static_selectorELNS0_4arch9wavefront6targetE1EEEvSL_
                                        ; -- End function
	.set _ZN7rocprim17ROCPRIM_400000_NS6detail17trampoline_kernelINS0_14default_configENS1_38merge_sort_block_merge_config_selectorIbiEEZZNS1_27merge_sort_block_merge_implIS3_N6thrust23THRUST_200600_302600_NS6detail15normal_iteratorINS8_10device_ptrIbEEEENSA_INSB_IiEEEEjNS1_19radix_merge_compareILb1ELb1EbNS0_19identity_decomposerEEEEE10hipError_tT0_T1_T2_jT3_P12ihipStream_tbPNSt15iterator_traitsISK_E10value_typeEPNSQ_ISL_E10value_typeEPSM_NS1_7vsmem_tEENKUlT_SK_SL_SM_E_clISD_PbSF_PiEESJ_SZ_SK_SL_SM_EUlSZ_E0_NS1_11comp_targetILNS1_3genE5ELNS1_11target_archE942ELNS1_3gpuE9ELNS1_3repE0EEENS1_38merge_mergepath_config_static_selectorELNS0_4arch9wavefront6targetE1EEEvSL_.num_vgpr, 0
	.set _ZN7rocprim17ROCPRIM_400000_NS6detail17trampoline_kernelINS0_14default_configENS1_38merge_sort_block_merge_config_selectorIbiEEZZNS1_27merge_sort_block_merge_implIS3_N6thrust23THRUST_200600_302600_NS6detail15normal_iteratorINS8_10device_ptrIbEEEENSA_INSB_IiEEEEjNS1_19radix_merge_compareILb1ELb1EbNS0_19identity_decomposerEEEEE10hipError_tT0_T1_T2_jT3_P12ihipStream_tbPNSt15iterator_traitsISK_E10value_typeEPNSQ_ISL_E10value_typeEPSM_NS1_7vsmem_tEENKUlT_SK_SL_SM_E_clISD_PbSF_PiEESJ_SZ_SK_SL_SM_EUlSZ_E0_NS1_11comp_targetILNS1_3genE5ELNS1_11target_archE942ELNS1_3gpuE9ELNS1_3repE0EEENS1_38merge_mergepath_config_static_selectorELNS0_4arch9wavefront6targetE1EEEvSL_.num_agpr, 0
	.set _ZN7rocprim17ROCPRIM_400000_NS6detail17trampoline_kernelINS0_14default_configENS1_38merge_sort_block_merge_config_selectorIbiEEZZNS1_27merge_sort_block_merge_implIS3_N6thrust23THRUST_200600_302600_NS6detail15normal_iteratorINS8_10device_ptrIbEEEENSA_INSB_IiEEEEjNS1_19radix_merge_compareILb1ELb1EbNS0_19identity_decomposerEEEEE10hipError_tT0_T1_T2_jT3_P12ihipStream_tbPNSt15iterator_traitsISK_E10value_typeEPNSQ_ISL_E10value_typeEPSM_NS1_7vsmem_tEENKUlT_SK_SL_SM_E_clISD_PbSF_PiEESJ_SZ_SK_SL_SM_EUlSZ_E0_NS1_11comp_targetILNS1_3genE5ELNS1_11target_archE942ELNS1_3gpuE9ELNS1_3repE0EEENS1_38merge_mergepath_config_static_selectorELNS0_4arch9wavefront6targetE1EEEvSL_.numbered_sgpr, 0
	.set _ZN7rocprim17ROCPRIM_400000_NS6detail17trampoline_kernelINS0_14default_configENS1_38merge_sort_block_merge_config_selectorIbiEEZZNS1_27merge_sort_block_merge_implIS3_N6thrust23THRUST_200600_302600_NS6detail15normal_iteratorINS8_10device_ptrIbEEEENSA_INSB_IiEEEEjNS1_19radix_merge_compareILb1ELb1EbNS0_19identity_decomposerEEEEE10hipError_tT0_T1_T2_jT3_P12ihipStream_tbPNSt15iterator_traitsISK_E10value_typeEPNSQ_ISL_E10value_typeEPSM_NS1_7vsmem_tEENKUlT_SK_SL_SM_E_clISD_PbSF_PiEESJ_SZ_SK_SL_SM_EUlSZ_E0_NS1_11comp_targetILNS1_3genE5ELNS1_11target_archE942ELNS1_3gpuE9ELNS1_3repE0EEENS1_38merge_mergepath_config_static_selectorELNS0_4arch9wavefront6targetE1EEEvSL_.num_named_barrier, 0
	.set _ZN7rocprim17ROCPRIM_400000_NS6detail17trampoline_kernelINS0_14default_configENS1_38merge_sort_block_merge_config_selectorIbiEEZZNS1_27merge_sort_block_merge_implIS3_N6thrust23THRUST_200600_302600_NS6detail15normal_iteratorINS8_10device_ptrIbEEEENSA_INSB_IiEEEEjNS1_19radix_merge_compareILb1ELb1EbNS0_19identity_decomposerEEEEE10hipError_tT0_T1_T2_jT3_P12ihipStream_tbPNSt15iterator_traitsISK_E10value_typeEPNSQ_ISL_E10value_typeEPSM_NS1_7vsmem_tEENKUlT_SK_SL_SM_E_clISD_PbSF_PiEESJ_SZ_SK_SL_SM_EUlSZ_E0_NS1_11comp_targetILNS1_3genE5ELNS1_11target_archE942ELNS1_3gpuE9ELNS1_3repE0EEENS1_38merge_mergepath_config_static_selectorELNS0_4arch9wavefront6targetE1EEEvSL_.private_seg_size, 0
	.set _ZN7rocprim17ROCPRIM_400000_NS6detail17trampoline_kernelINS0_14default_configENS1_38merge_sort_block_merge_config_selectorIbiEEZZNS1_27merge_sort_block_merge_implIS3_N6thrust23THRUST_200600_302600_NS6detail15normal_iteratorINS8_10device_ptrIbEEEENSA_INSB_IiEEEEjNS1_19radix_merge_compareILb1ELb1EbNS0_19identity_decomposerEEEEE10hipError_tT0_T1_T2_jT3_P12ihipStream_tbPNSt15iterator_traitsISK_E10value_typeEPNSQ_ISL_E10value_typeEPSM_NS1_7vsmem_tEENKUlT_SK_SL_SM_E_clISD_PbSF_PiEESJ_SZ_SK_SL_SM_EUlSZ_E0_NS1_11comp_targetILNS1_3genE5ELNS1_11target_archE942ELNS1_3gpuE9ELNS1_3repE0EEENS1_38merge_mergepath_config_static_selectorELNS0_4arch9wavefront6targetE1EEEvSL_.uses_vcc, 0
	.set _ZN7rocprim17ROCPRIM_400000_NS6detail17trampoline_kernelINS0_14default_configENS1_38merge_sort_block_merge_config_selectorIbiEEZZNS1_27merge_sort_block_merge_implIS3_N6thrust23THRUST_200600_302600_NS6detail15normal_iteratorINS8_10device_ptrIbEEEENSA_INSB_IiEEEEjNS1_19radix_merge_compareILb1ELb1EbNS0_19identity_decomposerEEEEE10hipError_tT0_T1_T2_jT3_P12ihipStream_tbPNSt15iterator_traitsISK_E10value_typeEPNSQ_ISL_E10value_typeEPSM_NS1_7vsmem_tEENKUlT_SK_SL_SM_E_clISD_PbSF_PiEESJ_SZ_SK_SL_SM_EUlSZ_E0_NS1_11comp_targetILNS1_3genE5ELNS1_11target_archE942ELNS1_3gpuE9ELNS1_3repE0EEENS1_38merge_mergepath_config_static_selectorELNS0_4arch9wavefront6targetE1EEEvSL_.uses_flat_scratch, 0
	.set _ZN7rocprim17ROCPRIM_400000_NS6detail17trampoline_kernelINS0_14default_configENS1_38merge_sort_block_merge_config_selectorIbiEEZZNS1_27merge_sort_block_merge_implIS3_N6thrust23THRUST_200600_302600_NS6detail15normal_iteratorINS8_10device_ptrIbEEEENSA_INSB_IiEEEEjNS1_19radix_merge_compareILb1ELb1EbNS0_19identity_decomposerEEEEE10hipError_tT0_T1_T2_jT3_P12ihipStream_tbPNSt15iterator_traitsISK_E10value_typeEPNSQ_ISL_E10value_typeEPSM_NS1_7vsmem_tEENKUlT_SK_SL_SM_E_clISD_PbSF_PiEESJ_SZ_SK_SL_SM_EUlSZ_E0_NS1_11comp_targetILNS1_3genE5ELNS1_11target_archE942ELNS1_3gpuE9ELNS1_3repE0EEENS1_38merge_mergepath_config_static_selectorELNS0_4arch9wavefront6targetE1EEEvSL_.has_dyn_sized_stack, 0
	.set _ZN7rocprim17ROCPRIM_400000_NS6detail17trampoline_kernelINS0_14default_configENS1_38merge_sort_block_merge_config_selectorIbiEEZZNS1_27merge_sort_block_merge_implIS3_N6thrust23THRUST_200600_302600_NS6detail15normal_iteratorINS8_10device_ptrIbEEEENSA_INSB_IiEEEEjNS1_19radix_merge_compareILb1ELb1EbNS0_19identity_decomposerEEEEE10hipError_tT0_T1_T2_jT3_P12ihipStream_tbPNSt15iterator_traitsISK_E10value_typeEPNSQ_ISL_E10value_typeEPSM_NS1_7vsmem_tEENKUlT_SK_SL_SM_E_clISD_PbSF_PiEESJ_SZ_SK_SL_SM_EUlSZ_E0_NS1_11comp_targetILNS1_3genE5ELNS1_11target_archE942ELNS1_3gpuE9ELNS1_3repE0EEENS1_38merge_mergepath_config_static_selectorELNS0_4arch9wavefront6targetE1EEEvSL_.has_recursion, 0
	.set _ZN7rocprim17ROCPRIM_400000_NS6detail17trampoline_kernelINS0_14default_configENS1_38merge_sort_block_merge_config_selectorIbiEEZZNS1_27merge_sort_block_merge_implIS3_N6thrust23THRUST_200600_302600_NS6detail15normal_iteratorINS8_10device_ptrIbEEEENSA_INSB_IiEEEEjNS1_19radix_merge_compareILb1ELb1EbNS0_19identity_decomposerEEEEE10hipError_tT0_T1_T2_jT3_P12ihipStream_tbPNSt15iterator_traitsISK_E10value_typeEPNSQ_ISL_E10value_typeEPSM_NS1_7vsmem_tEENKUlT_SK_SL_SM_E_clISD_PbSF_PiEESJ_SZ_SK_SL_SM_EUlSZ_E0_NS1_11comp_targetILNS1_3genE5ELNS1_11target_archE942ELNS1_3gpuE9ELNS1_3repE0EEENS1_38merge_mergepath_config_static_selectorELNS0_4arch9wavefront6targetE1EEEvSL_.has_indirect_call, 0
	.section	.AMDGPU.csdata,"",@progbits
; Kernel info:
; codeLenInByte = 0
; TotalNumSgprs: 6
; NumVgprs: 0
; NumAgprs: 0
; TotalNumVgprs: 0
; ScratchSize: 0
; MemoryBound: 0
; FloatMode: 240
; IeeeMode: 1
; LDSByteSize: 0 bytes/workgroup (compile time only)
; SGPRBlocks: 0
; VGPRBlocks: 0
; NumSGPRsForWavesPerEU: 6
; NumVGPRsForWavesPerEU: 1
; AccumOffset: 4
; Occupancy: 8
; WaveLimiterHint : 0
; COMPUTE_PGM_RSRC2:SCRATCH_EN: 0
; COMPUTE_PGM_RSRC2:USER_SGPR: 2
; COMPUTE_PGM_RSRC2:TRAP_HANDLER: 0
; COMPUTE_PGM_RSRC2:TGID_X_EN: 1
; COMPUTE_PGM_RSRC2:TGID_Y_EN: 0
; COMPUTE_PGM_RSRC2:TGID_Z_EN: 0
; COMPUTE_PGM_RSRC2:TIDIG_COMP_CNT: 0
; COMPUTE_PGM_RSRC3_GFX90A:ACCUM_OFFSET: 0
; COMPUTE_PGM_RSRC3_GFX90A:TG_SPLIT: 0
	.section	.text._ZN7rocprim17ROCPRIM_400000_NS6detail17trampoline_kernelINS0_14default_configENS1_38merge_sort_block_merge_config_selectorIbiEEZZNS1_27merge_sort_block_merge_implIS3_N6thrust23THRUST_200600_302600_NS6detail15normal_iteratorINS8_10device_ptrIbEEEENSA_INSB_IiEEEEjNS1_19radix_merge_compareILb1ELb1EbNS0_19identity_decomposerEEEEE10hipError_tT0_T1_T2_jT3_P12ihipStream_tbPNSt15iterator_traitsISK_E10value_typeEPNSQ_ISL_E10value_typeEPSM_NS1_7vsmem_tEENKUlT_SK_SL_SM_E_clISD_PbSF_PiEESJ_SZ_SK_SL_SM_EUlSZ_E0_NS1_11comp_targetILNS1_3genE4ELNS1_11target_archE910ELNS1_3gpuE8ELNS1_3repE0EEENS1_38merge_mergepath_config_static_selectorELNS0_4arch9wavefront6targetE1EEEvSL_,"axG",@progbits,_ZN7rocprim17ROCPRIM_400000_NS6detail17trampoline_kernelINS0_14default_configENS1_38merge_sort_block_merge_config_selectorIbiEEZZNS1_27merge_sort_block_merge_implIS3_N6thrust23THRUST_200600_302600_NS6detail15normal_iteratorINS8_10device_ptrIbEEEENSA_INSB_IiEEEEjNS1_19radix_merge_compareILb1ELb1EbNS0_19identity_decomposerEEEEE10hipError_tT0_T1_T2_jT3_P12ihipStream_tbPNSt15iterator_traitsISK_E10value_typeEPNSQ_ISL_E10value_typeEPSM_NS1_7vsmem_tEENKUlT_SK_SL_SM_E_clISD_PbSF_PiEESJ_SZ_SK_SL_SM_EUlSZ_E0_NS1_11comp_targetILNS1_3genE4ELNS1_11target_archE910ELNS1_3gpuE8ELNS1_3repE0EEENS1_38merge_mergepath_config_static_selectorELNS0_4arch9wavefront6targetE1EEEvSL_,comdat
	.protected	_ZN7rocprim17ROCPRIM_400000_NS6detail17trampoline_kernelINS0_14default_configENS1_38merge_sort_block_merge_config_selectorIbiEEZZNS1_27merge_sort_block_merge_implIS3_N6thrust23THRUST_200600_302600_NS6detail15normal_iteratorINS8_10device_ptrIbEEEENSA_INSB_IiEEEEjNS1_19radix_merge_compareILb1ELb1EbNS0_19identity_decomposerEEEEE10hipError_tT0_T1_T2_jT3_P12ihipStream_tbPNSt15iterator_traitsISK_E10value_typeEPNSQ_ISL_E10value_typeEPSM_NS1_7vsmem_tEENKUlT_SK_SL_SM_E_clISD_PbSF_PiEESJ_SZ_SK_SL_SM_EUlSZ_E0_NS1_11comp_targetILNS1_3genE4ELNS1_11target_archE910ELNS1_3gpuE8ELNS1_3repE0EEENS1_38merge_mergepath_config_static_selectorELNS0_4arch9wavefront6targetE1EEEvSL_ ; -- Begin function _ZN7rocprim17ROCPRIM_400000_NS6detail17trampoline_kernelINS0_14default_configENS1_38merge_sort_block_merge_config_selectorIbiEEZZNS1_27merge_sort_block_merge_implIS3_N6thrust23THRUST_200600_302600_NS6detail15normal_iteratorINS8_10device_ptrIbEEEENSA_INSB_IiEEEEjNS1_19radix_merge_compareILb1ELb1EbNS0_19identity_decomposerEEEEE10hipError_tT0_T1_T2_jT3_P12ihipStream_tbPNSt15iterator_traitsISK_E10value_typeEPNSQ_ISL_E10value_typeEPSM_NS1_7vsmem_tEENKUlT_SK_SL_SM_E_clISD_PbSF_PiEESJ_SZ_SK_SL_SM_EUlSZ_E0_NS1_11comp_targetILNS1_3genE4ELNS1_11target_archE910ELNS1_3gpuE8ELNS1_3repE0EEENS1_38merge_mergepath_config_static_selectorELNS0_4arch9wavefront6targetE1EEEvSL_
	.globl	_ZN7rocprim17ROCPRIM_400000_NS6detail17trampoline_kernelINS0_14default_configENS1_38merge_sort_block_merge_config_selectorIbiEEZZNS1_27merge_sort_block_merge_implIS3_N6thrust23THRUST_200600_302600_NS6detail15normal_iteratorINS8_10device_ptrIbEEEENSA_INSB_IiEEEEjNS1_19radix_merge_compareILb1ELb1EbNS0_19identity_decomposerEEEEE10hipError_tT0_T1_T2_jT3_P12ihipStream_tbPNSt15iterator_traitsISK_E10value_typeEPNSQ_ISL_E10value_typeEPSM_NS1_7vsmem_tEENKUlT_SK_SL_SM_E_clISD_PbSF_PiEESJ_SZ_SK_SL_SM_EUlSZ_E0_NS1_11comp_targetILNS1_3genE4ELNS1_11target_archE910ELNS1_3gpuE8ELNS1_3repE0EEENS1_38merge_mergepath_config_static_selectorELNS0_4arch9wavefront6targetE1EEEvSL_
	.p2align	8
	.type	_ZN7rocprim17ROCPRIM_400000_NS6detail17trampoline_kernelINS0_14default_configENS1_38merge_sort_block_merge_config_selectorIbiEEZZNS1_27merge_sort_block_merge_implIS3_N6thrust23THRUST_200600_302600_NS6detail15normal_iteratorINS8_10device_ptrIbEEEENSA_INSB_IiEEEEjNS1_19radix_merge_compareILb1ELb1EbNS0_19identity_decomposerEEEEE10hipError_tT0_T1_T2_jT3_P12ihipStream_tbPNSt15iterator_traitsISK_E10value_typeEPNSQ_ISL_E10value_typeEPSM_NS1_7vsmem_tEENKUlT_SK_SL_SM_E_clISD_PbSF_PiEESJ_SZ_SK_SL_SM_EUlSZ_E0_NS1_11comp_targetILNS1_3genE4ELNS1_11target_archE910ELNS1_3gpuE8ELNS1_3repE0EEENS1_38merge_mergepath_config_static_selectorELNS0_4arch9wavefront6targetE1EEEvSL_,@function
_ZN7rocprim17ROCPRIM_400000_NS6detail17trampoline_kernelINS0_14default_configENS1_38merge_sort_block_merge_config_selectorIbiEEZZNS1_27merge_sort_block_merge_implIS3_N6thrust23THRUST_200600_302600_NS6detail15normal_iteratorINS8_10device_ptrIbEEEENSA_INSB_IiEEEEjNS1_19radix_merge_compareILb1ELb1EbNS0_19identity_decomposerEEEEE10hipError_tT0_T1_T2_jT3_P12ihipStream_tbPNSt15iterator_traitsISK_E10value_typeEPNSQ_ISL_E10value_typeEPSM_NS1_7vsmem_tEENKUlT_SK_SL_SM_E_clISD_PbSF_PiEESJ_SZ_SK_SL_SM_EUlSZ_E0_NS1_11comp_targetILNS1_3genE4ELNS1_11target_archE910ELNS1_3gpuE8ELNS1_3repE0EEENS1_38merge_mergepath_config_static_selectorELNS0_4arch9wavefront6targetE1EEEvSL_: ; @_ZN7rocprim17ROCPRIM_400000_NS6detail17trampoline_kernelINS0_14default_configENS1_38merge_sort_block_merge_config_selectorIbiEEZZNS1_27merge_sort_block_merge_implIS3_N6thrust23THRUST_200600_302600_NS6detail15normal_iteratorINS8_10device_ptrIbEEEENSA_INSB_IiEEEEjNS1_19radix_merge_compareILb1ELb1EbNS0_19identity_decomposerEEEEE10hipError_tT0_T1_T2_jT3_P12ihipStream_tbPNSt15iterator_traitsISK_E10value_typeEPNSQ_ISL_E10value_typeEPSM_NS1_7vsmem_tEENKUlT_SK_SL_SM_E_clISD_PbSF_PiEESJ_SZ_SK_SL_SM_EUlSZ_E0_NS1_11comp_targetILNS1_3genE4ELNS1_11target_archE910ELNS1_3gpuE8ELNS1_3repE0EEENS1_38merge_mergepath_config_static_selectorELNS0_4arch9wavefront6targetE1EEEvSL_
; %bb.0:
	.section	.rodata,"a",@progbits
	.p2align	6, 0x0
	.amdhsa_kernel _ZN7rocprim17ROCPRIM_400000_NS6detail17trampoline_kernelINS0_14default_configENS1_38merge_sort_block_merge_config_selectorIbiEEZZNS1_27merge_sort_block_merge_implIS3_N6thrust23THRUST_200600_302600_NS6detail15normal_iteratorINS8_10device_ptrIbEEEENSA_INSB_IiEEEEjNS1_19radix_merge_compareILb1ELb1EbNS0_19identity_decomposerEEEEE10hipError_tT0_T1_T2_jT3_P12ihipStream_tbPNSt15iterator_traitsISK_E10value_typeEPNSQ_ISL_E10value_typeEPSM_NS1_7vsmem_tEENKUlT_SK_SL_SM_E_clISD_PbSF_PiEESJ_SZ_SK_SL_SM_EUlSZ_E0_NS1_11comp_targetILNS1_3genE4ELNS1_11target_archE910ELNS1_3gpuE8ELNS1_3repE0EEENS1_38merge_mergepath_config_static_selectorELNS0_4arch9wavefront6targetE1EEEvSL_
		.amdhsa_group_segment_fixed_size 0
		.amdhsa_private_segment_fixed_size 0
		.amdhsa_kernarg_size 64
		.amdhsa_user_sgpr_count 2
		.amdhsa_user_sgpr_dispatch_ptr 0
		.amdhsa_user_sgpr_queue_ptr 0
		.amdhsa_user_sgpr_kernarg_segment_ptr 1
		.amdhsa_user_sgpr_dispatch_id 0
		.amdhsa_user_sgpr_kernarg_preload_length 0
		.amdhsa_user_sgpr_kernarg_preload_offset 0
		.amdhsa_user_sgpr_private_segment_size 0
		.amdhsa_uses_dynamic_stack 0
		.amdhsa_enable_private_segment 0
		.amdhsa_system_sgpr_workgroup_id_x 1
		.amdhsa_system_sgpr_workgroup_id_y 0
		.amdhsa_system_sgpr_workgroup_id_z 0
		.amdhsa_system_sgpr_workgroup_info 0
		.amdhsa_system_vgpr_workitem_id 0
		.amdhsa_next_free_vgpr 1
		.amdhsa_next_free_sgpr 0
		.amdhsa_accum_offset 4
		.amdhsa_reserve_vcc 0
		.amdhsa_float_round_mode_32 0
		.amdhsa_float_round_mode_16_64 0
		.amdhsa_float_denorm_mode_32 3
		.amdhsa_float_denorm_mode_16_64 3
		.amdhsa_dx10_clamp 1
		.amdhsa_ieee_mode 1
		.amdhsa_fp16_overflow 0
		.amdhsa_tg_split 0
		.amdhsa_exception_fp_ieee_invalid_op 0
		.amdhsa_exception_fp_denorm_src 0
		.amdhsa_exception_fp_ieee_div_zero 0
		.amdhsa_exception_fp_ieee_overflow 0
		.amdhsa_exception_fp_ieee_underflow 0
		.amdhsa_exception_fp_ieee_inexact 0
		.amdhsa_exception_int_div_zero 0
	.end_amdhsa_kernel
	.section	.text._ZN7rocprim17ROCPRIM_400000_NS6detail17trampoline_kernelINS0_14default_configENS1_38merge_sort_block_merge_config_selectorIbiEEZZNS1_27merge_sort_block_merge_implIS3_N6thrust23THRUST_200600_302600_NS6detail15normal_iteratorINS8_10device_ptrIbEEEENSA_INSB_IiEEEEjNS1_19radix_merge_compareILb1ELb1EbNS0_19identity_decomposerEEEEE10hipError_tT0_T1_T2_jT3_P12ihipStream_tbPNSt15iterator_traitsISK_E10value_typeEPNSQ_ISL_E10value_typeEPSM_NS1_7vsmem_tEENKUlT_SK_SL_SM_E_clISD_PbSF_PiEESJ_SZ_SK_SL_SM_EUlSZ_E0_NS1_11comp_targetILNS1_3genE4ELNS1_11target_archE910ELNS1_3gpuE8ELNS1_3repE0EEENS1_38merge_mergepath_config_static_selectorELNS0_4arch9wavefront6targetE1EEEvSL_,"axG",@progbits,_ZN7rocprim17ROCPRIM_400000_NS6detail17trampoline_kernelINS0_14default_configENS1_38merge_sort_block_merge_config_selectorIbiEEZZNS1_27merge_sort_block_merge_implIS3_N6thrust23THRUST_200600_302600_NS6detail15normal_iteratorINS8_10device_ptrIbEEEENSA_INSB_IiEEEEjNS1_19radix_merge_compareILb1ELb1EbNS0_19identity_decomposerEEEEE10hipError_tT0_T1_T2_jT3_P12ihipStream_tbPNSt15iterator_traitsISK_E10value_typeEPNSQ_ISL_E10value_typeEPSM_NS1_7vsmem_tEENKUlT_SK_SL_SM_E_clISD_PbSF_PiEESJ_SZ_SK_SL_SM_EUlSZ_E0_NS1_11comp_targetILNS1_3genE4ELNS1_11target_archE910ELNS1_3gpuE8ELNS1_3repE0EEENS1_38merge_mergepath_config_static_selectorELNS0_4arch9wavefront6targetE1EEEvSL_,comdat
.Lfunc_end2187:
	.size	_ZN7rocprim17ROCPRIM_400000_NS6detail17trampoline_kernelINS0_14default_configENS1_38merge_sort_block_merge_config_selectorIbiEEZZNS1_27merge_sort_block_merge_implIS3_N6thrust23THRUST_200600_302600_NS6detail15normal_iteratorINS8_10device_ptrIbEEEENSA_INSB_IiEEEEjNS1_19radix_merge_compareILb1ELb1EbNS0_19identity_decomposerEEEEE10hipError_tT0_T1_T2_jT3_P12ihipStream_tbPNSt15iterator_traitsISK_E10value_typeEPNSQ_ISL_E10value_typeEPSM_NS1_7vsmem_tEENKUlT_SK_SL_SM_E_clISD_PbSF_PiEESJ_SZ_SK_SL_SM_EUlSZ_E0_NS1_11comp_targetILNS1_3genE4ELNS1_11target_archE910ELNS1_3gpuE8ELNS1_3repE0EEENS1_38merge_mergepath_config_static_selectorELNS0_4arch9wavefront6targetE1EEEvSL_, .Lfunc_end2187-_ZN7rocprim17ROCPRIM_400000_NS6detail17trampoline_kernelINS0_14default_configENS1_38merge_sort_block_merge_config_selectorIbiEEZZNS1_27merge_sort_block_merge_implIS3_N6thrust23THRUST_200600_302600_NS6detail15normal_iteratorINS8_10device_ptrIbEEEENSA_INSB_IiEEEEjNS1_19radix_merge_compareILb1ELb1EbNS0_19identity_decomposerEEEEE10hipError_tT0_T1_T2_jT3_P12ihipStream_tbPNSt15iterator_traitsISK_E10value_typeEPNSQ_ISL_E10value_typeEPSM_NS1_7vsmem_tEENKUlT_SK_SL_SM_E_clISD_PbSF_PiEESJ_SZ_SK_SL_SM_EUlSZ_E0_NS1_11comp_targetILNS1_3genE4ELNS1_11target_archE910ELNS1_3gpuE8ELNS1_3repE0EEENS1_38merge_mergepath_config_static_selectorELNS0_4arch9wavefront6targetE1EEEvSL_
                                        ; -- End function
	.set _ZN7rocprim17ROCPRIM_400000_NS6detail17trampoline_kernelINS0_14default_configENS1_38merge_sort_block_merge_config_selectorIbiEEZZNS1_27merge_sort_block_merge_implIS3_N6thrust23THRUST_200600_302600_NS6detail15normal_iteratorINS8_10device_ptrIbEEEENSA_INSB_IiEEEEjNS1_19radix_merge_compareILb1ELb1EbNS0_19identity_decomposerEEEEE10hipError_tT0_T1_T2_jT3_P12ihipStream_tbPNSt15iterator_traitsISK_E10value_typeEPNSQ_ISL_E10value_typeEPSM_NS1_7vsmem_tEENKUlT_SK_SL_SM_E_clISD_PbSF_PiEESJ_SZ_SK_SL_SM_EUlSZ_E0_NS1_11comp_targetILNS1_3genE4ELNS1_11target_archE910ELNS1_3gpuE8ELNS1_3repE0EEENS1_38merge_mergepath_config_static_selectorELNS0_4arch9wavefront6targetE1EEEvSL_.num_vgpr, 0
	.set _ZN7rocprim17ROCPRIM_400000_NS6detail17trampoline_kernelINS0_14default_configENS1_38merge_sort_block_merge_config_selectorIbiEEZZNS1_27merge_sort_block_merge_implIS3_N6thrust23THRUST_200600_302600_NS6detail15normal_iteratorINS8_10device_ptrIbEEEENSA_INSB_IiEEEEjNS1_19radix_merge_compareILb1ELb1EbNS0_19identity_decomposerEEEEE10hipError_tT0_T1_T2_jT3_P12ihipStream_tbPNSt15iterator_traitsISK_E10value_typeEPNSQ_ISL_E10value_typeEPSM_NS1_7vsmem_tEENKUlT_SK_SL_SM_E_clISD_PbSF_PiEESJ_SZ_SK_SL_SM_EUlSZ_E0_NS1_11comp_targetILNS1_3genE4ELNS1_11target_archE910ELNS1_3gpuE8ELNS1_3repE0EEENS1_38merge_mergepath_config_static_selectorELNS0_4arch9wavefront6targetE1EEEvSL_.num_agpr, 0
	.set _ZN7rocprim17ROCPRIM_400000_NS6detail17trampoline_kernelINS0_14default_configENS1_38merge_sort_block_merge_config_selectorIbiEEZZNS1_27merge_sort_block_merge_implIS3_N6thrust23THRUST_200600_302600_NS6detail15normal_iteratorINS8_10device_ptrIbEEEENSA_INSB_IiEEEEjNS1_19radix_merge_compareILb1ELb1EbNS0_19identity_decomposerEEEEE10hipError_tT0_T1_T2_jT3_P12ihipStream_tbPNSt15iterator_traitsISK_E10value_typeEPNSQ_ISL_E10value_typeEPSM_NS1_7vsmem_tEENKUlT_SK_SL_SM_E_clISD_PbSF_PiEESJ_SZ_SK_SL_SM_EUlSZ_E0_NS1_11comp_targetILNS1_3genE4ELNS1_11target_archE910ELNS1_3gpuE8ELNS1_3repE0EEENS1_38merge_mergepath_config_static_selectorELNS0_4arch9wavefront6targetE1EEEvSL_.numbered_sgpr, 0
	.set _ZN7rocprim17ROCPRIM_400000_NS6detail17trampoline_kernelINS0_14default_configENS1_38merge_sort_block_merge_config_selectorIbiEEZZNS1_27merge_sort_block_merge_implIS3_N6thrust23THRUST_200600_302600_NS6detail15normal_iteratorINS8_10device_ptrIbEEEENSA_INSB_IiEEEEjNS1_19radix_merge_compareILb1ELb1EbNS0_19identity_decomposerEEEEE10hipError_tT0_T1_T2_jT3_P12ihipStream_tbPNSt15iterator_traitsISK_E10value_typeEPNSQ_ISL_E10value_typeEPSM_NS1_7vsmem_tEENKUlT_SK_SL_SM_E_clISD_PbSF_PiEESJ_SZ_SK_SL_SM_EUlSZ_E0_NS1_11comp_targetILNS1_3genE4ELNS1_11target_archE910ELNS1_3gpuE8ELNS1_3repE0EEENS1_38merge_mergepath_config_static_selectorELNS0_4arch9wavefront6targetE1EEEvSL_.num_named_barrier, 0
	.set _ZN7rocprim17ROCPRIM_400000_NS6detail17trampoline_kernelINS0_14default_configENS1_38merge_sort_block_merge_config_selectorIbiEEZZNS1_27merge_sort_block_merge_implIS3_N6thrust23THRUST_200600_302600_NS6detail15normal_iteratorINS8_10device_ptrIbEEEENSA_INSB_IiEEEEjNS1_19radix_merge_compareILb1ELb1EbNS0_19identity_decomposerEEEEE10hipError_tT0_T1_T2_jT3_P12ihipStream_tbPNSt15iterator_traitsISK_E10value_typeEPNSQ_ISL_E10value_typeEPSM_NS1_7vsmem_tEENKUlT_SK_SL_SM_E_clISD_PbSF_PiEESJ_SZ_SK_SL_SM_EUlSZ_E0_NS1_11comp_targetILNS1_3genE4ELNS1_11target_archE910ELNS1_3gpuE8ELNS1_3repE0EEENS1_38merge_mergepath_config_static_selectorELNS0_4arch9wavefront6targetE1EEEvSL_.private_seg_size, 0
	.set _ZN7rocprim17ROCPRIM_400000_NS6detail17trampoline_kernelINS0_14default_configENS1_38merge_sort_block_merge_config_selectorIbiEEZZNS1_27merge_sort_block_merge_implIS3_N6thrust23THRUST_200600_302600_NS6detail15normal_iteratorINS8_10device_ptrIbEEEENSA_INSB_IiEEEEjNS1_19radix_merge_compareILb1ELb1EbNS0_19identity_decomposerEEEEE10hipError_tT0_T1_T2_jT3_P12ihipStream_tbPNSt15iterator_traitsISK_E10value_typeEPNSQ_ISL_E10value_typeEPSM_NS1_7vsmem_tEENKUlT_SK_SL_SM_E_clISD_PbSF_PiEESJ_SZ_SK_SL_SM_EUlSZ_E0_NS1_11comp_targetILNS1_3genE4ELNS1_11target_archE910ELNS1_3gpuE8ELNS1_3repE0EEENS1_38merge_mergepath_config_static_selectorELNS0_4arch9wavefront6targetE1EEEvSL_.uses_vcc, 0
	.set _ZN7rocprim17ROCPRIM_400000_NS6detail17trampoline_kernelINS0_14default_configENS1_38merge_sort_block_merge_config_selectorIbiEEZZNS1_27merge_sort_block_merge_implIS3_N6thrust23THRUST_200600_302600_NS6detail15normal_iteratorINS8_10device_ptrIbEEEENSA_INSB_IiEEEEjNS1_19radix_merge_compareILb1ELb1EbNS0_19identity_decomposerEEEEE10hipError_tT0_T1_T2_jT3_P12ihipStream_tbPNSt15iterator_traitsISK_E10value_typeEPNSQ_ISL_E10value_typeEPSM_NS1_7vsmem_tEENKUlT_SK_SL_SM_E_clISD_PbSF_PiEESJ_SZ_SK_SL_SM_EUlSZ_E0_NS1_11comp_targetILNS1_3genE4ELNS1_11target_archE910ELNS1_3gpuE8ELNS1_3repE0EEENS1_38merge_mergepath_config_static_selectorELNS0_4arch9wavefront6targetE1EEEvSL_.uses_flat_scratch, 0
	.set _ZN7rocprim17ROCPRIM_400000_NS6detail17trampoline_kernelINS0_14default_configENS1_38merge_sort_block_merge_config_selectorIbiEEZZNS1_27merge_sort_block_merge_implIS3_N6thrust23THRUST_200600_302600_NS6detail15normal_iteratorINS8_10device_ptrIbEEEENSA_INSB_IiEEEEjNS1_19radix_merge_compareILb1ELb1EbNS0_19identity_decomposerEEEEE10hipError_tT0_T1_T2_jT3_P12ihipStream_tbPNSt15iterator_traitsISK_E10value_typeEPNSQ_ISL_E10value_typeEPSM_NS1_7vsmem_tEENKUlT_SK_SL_SM_E_clISD_PbSF_PiEESJ_SZ_SK_SL_SM_EUlSZ_E0_NS1_11comp_targetILNS1_3genE4ELNS1_11target_archE910ELNS1_3gpuE8ELNS1_3repE0EEENS1_38merge_mergepath_config_static_selectorELNS0_4arch9wavefront6targetE1EEEvSL_.has_dyn_sized_stack, 0
	.set _ZN7rocprim17ROCPRIM_400000_NS6detail17trampoline_kernelINS0_14default_configENS1_38merge_sort_block_merge_config_selectorIbiEEZZNS1_27merge_sort_block_merge_implIS3_N6thrust23THRUST_200600_302600_NS6detail15normal_iteratorINS8_10device_ptrIbEEEENSA_INSB_IiEEEEjNS1_19radix_merge_compareILb1ELb1EbNS0_19identity_decomposerEEEEE10hipError_tT0_T1_T2_jT3_P12ihipStream_tbPNSt15iterator_traitsISK_E10value_typeEPNSQ_ISL_E10value_typeEPSM_NS1_7vsmem_tEENKUlT_SK_SL_SM_E_clISD_PbSF_PiEESJ_SZ_SK_SL_SM_EUlSZ_E0_NS1_11comp_targetILNS1_3genE4ELNS1_11target_archE910ELNS1_3gpuE8ELNS1_3repE0EEENS1_38merge_mergepath_config_static_selectorELNS0_4arch9wavefront6targetE1EEEvSL_.has_recursion, 0
	.set _ZN7rocprim17ROCPRIM_400000_NS6detail17trampoline_kernelINS0_14default_configENS1_38merge_sort_block_merge_config_selectorIbiEEZZNS1_27merge_sort_block_merge_implIS3_N6thrust23THRUST_200600_302600_NS6detail15normal_iteratorINS8_10device_ptrIbEEEENSA_INSB_IiEEEEjNS1_19radix_merge_compareILb1ELb1EbNS0_19identity_decomposerEEEEE10hipError_tT0_T1_T2_jT3_P12ihipStream_tbPNSt15iterator_traitsISK_E10value_typeEPNSQ_ISL_E10value_typeEPSM_NS1_7vsmem_tEENKUlT_SK_SL_SM_E_clISD_PbSF_PiEESJ_SZ_SK_SL_SM_EUlSZ_E0_NS1_11comp_targetILNS1_3genE4ELNS1_11target_archE910ELNS1_3gpuE8ELNS1_3repE0EEENS1_38merge_mergepath_config_static_selectorELNS0_4arch9wavefront6targetE1EEEvSL_.has_indirect_call, 0
	.section	.AMDGPU.csdata,"",@progbits
; Kernel info:
; codeLenInByte = 0
; TotalNumSgprs: 6
; NumVgprs: 0
; NumAgprs: 0
; TotalNumVgprs: 0
; ScratchSize: 0
; MemoryBound: 0
; FloatMode: 240
; IeeeMode: 1
; LDSByteSize: 0 bytes/workgroup (compile time only)
; SGPRBlocks: 0
; VGPRBlocks: 0
; NumSGPRsForWavesPerEU: 6
; NumVGPRsForWavesPerEU: 1
; AccumOffset: 4
; Occupancy: 8
; WaveLimiterHint : 0
; COMPUTE_PGM_RSRC2:SCRATCH_EN: 0
; COMPUTE_PGM_RSRC2:USER_SGPR: 2
; COMPUTE_PGM_RSRC2:TRAP_HANDLER: 0
; COMPUTE_PGM_RSRC2:TGID_X_EN: 1
; COMPUTE_PGM_RSRC2:TGID_Y_EN: 0
; COMPUTE_PGM_RSRC2:TGID_Z_EN: 0
; COMPUTE_PGM_RSRC2:TIDIG_COMP_CNT: 0
; COMPUTE_PGM_RSRC3_GFX90A:ACCUM_OFFSET: 0
; COMPUTE_PGM_RSRC3_GFX90A:TG_SPLIT: 0
	.section	.text._ZN7rocprim17ROCPRIM_400000_NS6detail17trampoline_kernelINS0_14default_configENS1_38merge_sort_block_merge_config_selectorIbiEEZZNS1_27merge_sort_block_merge_implIS3_N6thrust23THRUST_200600_302600_NS6detail15normal_iteratorINS8_10device_ptrIbEEEENSA_INSB_IiEEEEjNS1_19radix_merge_compareILb1ELb1EbNS0_19identity_decomposerEEEEE10hipError_tT0_T1_T2_jT3_P12ihipStream_tbPNSt15iterator_traitsISK_E10value_typeEPNSQ_ISL_E10value_typeEPSM_NS1_7vsmem_tEENKUlT_SK_SL_SM_E_clISD_PbSF_PiEESJ_SZ_SK_SL_SM_EUlSZ_E0_NS1_11comp_targetILNS1_3genE3ELNS1_11target_archE908ELNS1_3gpuE7ELNS1_3repE0EEENS1_38merge_mergepath_config_static_selectorELNS0_4arch9wavefront6targetE1EEEvSL_,"axG",@progbits,_ZN7rocprim17ROCPRIM_400000_NS6detail17trampoline_kernelINS0_14default_configENS1_38merge_sort_block_merge_config_selectorIbiEEZZNS1_27merge_sort_block_merge_implIS3_N6thrust23THRUST_200600_302600_NS6detail15normal_iteratorINS8_10device_ptrIbEEEENSA_INSB_IiEEEEjNS1_19radix_merge_compareILb1ELb1EbNS0_19identity_decomposerEEEEE10hipError_tT0_T1_T2_jT3_P12ihipStream_tbPNSt15iterator_traitsISK_E10value_typeEPNSQ_ISL_E10value_typeEPSM_NS1_7vsmem_tEENKUlT_SK_SL_SM_E_clISD_PbSF_PiEESJ_SZ_SK_SL_SM_EUlSZ_E0_NS1_11comp_targetILNS1_3genE3ELNS1_11target_archE908ELNS1_3gpuE7ELNS1_3repE0EEENS1_38merge_mergepath_config_static_selectorELNS0_4arch9wavefront6targetE1EEEvSL_,comdat
	.protected	_ZN7rocprim17ROCPRIM_400000_NS6detail17trampoline_kernelINS0_14default_configENS1_38merge_sort_block_merge_config_selectorIbiEEZZNS1_27merge_sort_block_merge_implIS3_N6thrust23THRUST_200600_302600_NS6detail15normal_iteratorINS8_10device_ptrIbEEEENSA_INSB_IiEEEEjNS1_19radix_merge_compareILb1ELb1EbNS0_19identity_decomposerEEEEE10hipError_tT0_T1_T2_jT3_P12ihipStream_tbPNSt15iterator_traitsISK_E10value_typeEPNSQ_ISL_E10value_typeEPSM_NS1_7vsmem_tEENKUlT_SK_SL_SM_E_clISD_PbSF_PiEESJ_SZ_SK_SL_SM_EUlSZ_E0_NS1_11comp_targetILNS1_3genE3ELNS1_11target_archE908ELNS1_3gpuE7ELNS1_3repE0EEENS1_38merge_mergepath_config_static_selectorELNS0_4arch9wavefront6targetE1EEEvSL_ ; -- Begin function _ZN7rocprim17ROCPRIM_400000_NS6detail17trampoline_kernelINS0_14default_configENS1_38merge_sort_block_merge_config_selectorIbiEEZZNS1_27merge_sort_block_merge_implIS3_N6thrust23THRUST_200600_302600_NS6detail15normal_iteratorINS8_10device_ptrIbEEEENSA_INSB_IiEEEEjNS1_19radix_merge_compareILb1ELb1EbNS0_19identity_decomposerEEEEE10hipError_tT0_T1_T2_jT3_P12ihipStream_tbPNSt15iterator_traitsISK_E10value_typeEPNSQ_ISL_E10value_typeEPSM_NS1_7vsmem_tEENKUlT_SK_SL_SM_E_clISD_PbSF_PiEESJ_SZ_SK_SL_SM_EUlSZ_E0_NS1_11comp_targetILNS1_3genE3ELNS1_11target_archE908ELNS1_3gpuE7ELNS1_3repE0EEENS1_38merge_mergepath_config_static_selectorELNS0_4arch9wavefront6targetE1EEEvSL_
	.globl	_ZN7rocprim17ROCPRIM_400000_NS6detail17trampoline_kernelINS0_14default_configENS1_38merge_sort_block_merge_config_selectorIbiEEZZNS1_27merge_sort_block_merge_implIS3_N6thrust23THRUST_200600_302600_NS6detail15normal_iteratorINS8_10device_ptrIbEEEENSA_INSB_IiEEEEjNS1_19radix_merge_compareILb1ELb1EbNS0_19identity_decomposerEEEEE10hipError_tT0_T1_T2_jT3_P12ihipStream_tbPNSt15iterator_traitsISK_E10value_typeEPNSQ_ISL_E10value_typeEPSM_NS1_7vsmem_tEENKUlT_SK_SL_SM_E_clISD_PbSF_PiEESJ_SZ_SK_SL_SM_EUlSZ_E0_NS1_11comp_targetILNS1_3genE3ELNS1_11target_archE908ELNS1_3gpuE7ELNS1_3repE0EEENS1_38merge_mergepath_config_static_selectorELNS0_4arch9wavefront6targetE1EEEvSL_
	.p2align	8
	.type	_ZN7rocprim17ROCPRIM_400000_NS6detail17trampoline_kernelINS0_14default_configENS1_38merge_sort_block_merge_config_selectorIbiEEZZNS1_27merge_sort_block_merge_implIS3_N6thrust23THRUST_200600_302600_NS6detail15normal_iteratorINS8_10device_ptrIbEEEENSA_INSB_IiEEEEjNS1_19radix_merge_compareILb1ELb1EbNS0_19identity_decomposerEEEEE10hipError_tT0_T1_T2_jT3_P12ihipStream_tbPNSt15iterator_traitsISK_E10value_typeEPNSQ_ISL_E10value_typeEPSM_NS1_7vsmem_tEENKUlT_SK_SL_SM_E_clISD_PbSF_PiEESJ_SZ_SK_SL_SM_EUlSZ_E0_NS1_11comp_targetILNS1_3genE3ELNS1_11target_archE908ELNS1_3gpuE7ELNS1_3repE0EEENS1_38merge_mergepath_config_static_selectorELNS0_4arch9wavefront6targetE1EEEvSL_,@function
_ZN7rocprim17ROCPRIM_400000_NS6detail17trampoline_kernelINS0_14default_configENS1_38merge_sort_block_merge_config_selectorIbiEEZZNS1_27merge_sort_block_merge_implIS3_N6thrust23THRUST_200600_302600_NS6detail15normal_iteratorINS8_10device_ptrIbEEEENSA_INSB_IiEEEEjNS1_19radix_merge_compareILb1ELb1EbNS0_19identity_decomposerEEEEE10hipError_tT0_T1_T2_jT3_P12ihipStream_tbPNSt15iterator_traitsISK_E10value_typeEPNSQ_ISL_E10value_typeEPSM_NS1_7vsmem_tEENKUlT_SK_SL_SM_E_clISD_PbSF_PiEESJ_SZ_SK_SL_SM_EUlSZ_E0_NS1_11comp_targetILNS1_3genE3ELNS1_11target_archE908ELNS1_3gpuE7ELNS1_3repE0EEENS1_38merge_mergepath_config_static_selectorELNS0_4arch9wavefront6targetE1EEEvSL_: ; @_ZN7rocprim17ROCPRIM_400000_NS6detail17trampoline_kernelINS0_14default_configENS1_38merge_sort_block_merge_config_selectorIbiEEZZNS1_27merge_sort_block_merge_implIS3_N6thrust23THRUST_200600_302600_NS6detail15normal_iteratorINS8_10device_ptrIbEEEENSA_INSB_IiEEEEjNS1_19radix_merge_compareILb1ELb1EbNS0_19identity_decomposerEEEEE10hipError_tT0_T1_T2_jT3_P12ihipStream_tbPNSt15iterator_traitsISK_E10value_typeEPNSQ_ISL_E10value_typeEPSM_NS1_7vsmem_tEENKUlT_SK_SL_SM_E_clISD_PbSF_PiEESJ_SZ_SK_SL_SM_EUlSZ_E0_NS1_11comp_targetILNS1_3genE3ELNS1_11target_archE908ELNS1_3gpuE7ELNS1_3repE0EEENS1_38merge_mergepath_config_static_selectorELNS0_4arch9wavefront6targetE1EEEvSL_
; %bb.0:
	.section	.rodata,"a",@progbits
	.p2align	6, 0x0
	.amdhsa_kernel _ZN7rocprim17ROCPRIM_400000_NS6detail17trampoline_kernelINS0_14default_configENS1_38merge_sort_block_merge_config_selectorIbiEEZZNS1_27merge_sort_block_merge_implIS3_N6thrust23THRUST_200600_302600_NS6detail15normal_iteratorINS8_10device_ptrIbEEEENSA_INSB_IiEEEEjNS1_19radix_merge_compareILb1ELb1EbNS0_19identity_decomposerEEEEE10hipError_tT0_T1_T2_jT3_P12ihipStream_tbPNSt15iterator_traitsISK_E10value_typeEPNSQ_ISL_E10value_typeEPSM_NS1_7vsmem_tEENKUlT_SK_SL_SM_E_clISD_PbSF_PiEESJ_SZ_SK_SL_SM_EUlSZ_E0_NS1_11comp_targetILNS1_3genE3ELNS1_11target_archE908ELNS1_3gpuE7ELNS1_3repE0EEENS1_38merge_mergepath_config_static_selectorELNS0_4arch9wavefront6targetE1EEEvSL_
		.amdhsa_group_segment_fixed_size 0
		.amdhsa_private_segment_fixed_size 0
		.amdhsa_kernarg_size 64
		.amdhsa_user_sgpr_count 2
		.amdhsa_user_sgpr_dispatch_ptr 0
		.amdhsa_user_sgpr_queue_ptr 0
		.amdhsa_user_sgpr_kernarg_segment_ptr 1
		.amdhsa_user_sgpr_dispatch_id 0
		.amdhsa_user_sgpr_kernarg_preload_length 0
		.amdhsa_user_sgpr_kernarg_preload_offset 0
		.amdhsa_user_sgpr_private_segment_size 0
		.amdhsa_uses_dynamic_stack 0
		.amdhsa_enable_private_segment 0
		.amdhsa_system_sgpr_workgroup_id_x 1
		.amdhsa_system_sgpr_workgroup_id_y 0
		.amdhsa_system_sgpr_workgroup_id_z 0
		.amdhsa_system_sgpr_workgroup_info 0
		.amdhsa_system_vgpr_workitem_id 0
		.amdhsa_next_free_vgpr 1
		.amdhsa_next_free_sgpr 0
		.amdhsa_accum_offset 4
		.amdhsa_reserve_vcc 0
		.amdhsa_float_round_mode_32 0
		.amdhsa_float_round_mode_16_64 0
		.amdhsa_float_denorm_mode_32 3
		.amdhsa_float_denorm_mode_16_64 3
		.amdhsa_dx10_clamp 1
		.amdhsa_ieee_mode 1
		.amdhsa_fp16_overflow 0
		.amdhsa_tg_split 0
		.amdhsa_exception_fp_ieee_invalid_op 0
		.amdhsa_exception_fp_denorm_src 0
		.amdhsa_exception_fp_ieee_div_zero 0
		.amdhsa_exception_fp_ieee_overflow 0
		.amdhsa_exception_fp_ieee_underflow 0
		.amdhsa_exception_fp_ieee_inexact 0
		.amdhsa_exception_int_div_zero 0
	.end_amdhsa_kernel
	.section	.text._ZN7rocprim17ROCPRIM_400000_NS6detail17trampoline_kernelINS0_14default_configENS1_38merge_sort_block_merge_config_selectorIbiEEZZNS1_27merge_sort_block_merge_implIS3_N6thrust23THRUST_200600_302600_NS6detail15normal_iteratorINS8_10device_ptrIbEEEENSA_INSB_IiEEEEjNS1_19radix_merge_compareILb1ELb1EbNS0_19identity_decomposerEEEEE10hipError_tT0_T1_T2_jT3_P12ihipStream_tbPNSt15iterator_traitsISK_E10value_typeEPNSQ_ISL_E10value_typeEPSM_NS1_7vsmem_tEENKUlT_SK_SL_SM_E_clISD_PbSF_PiEESJ_SZ_SK_SL_SM_EUlSZ_E0_NS1_11comp_targetILNS1_3genE3ELNS1_11target_archE908ELNS1_3gpuE7ELNS1_3repE0EEENS1_38merge_mergepath_config_static_selectorELNS0_4arch9wavefront6targetE1EEEvSL_,"axG",@progbits,_ZN7rocprim17ROCPRIM_400000_NS6detail17trampoline_kernelINS0_14default_configENS1_38merge_sort_block_merge_config_selectorIbiEEZZNS1_27merge_sort_block_merge_implIS3_N6thrust23THRUST_200600_302600_NS6detail15normal_iteratorINS8_10device_ptrIbEEEENSA_INSB_IiEEEEjNS1_19radix_merge_compareILb1ELb1EbNS0_19identity_decomposerEEEEE10hipError_tT0_T1_T2_jT3_P12ihipStream_tbPNSt15iterator_traitsISK_E10value_typeEPNSQ_ISL_E10value_typeEPSM_NS1_7vsmem_tEENKUlT_SK_SL_SM_E_clISD_PbSF_PiEESJ_SZ_SK_SL_SM_EUlSZ_E0_NS1_11comp_targetILNS1_3genE3ELNS1_11target_archE908ELNS1_3gpuE7ELNS1_3repE0EEENS1_38merge_mergepath_config_static_selectorELNS0_4arch9wavefront6targetE1EEEvSL_,comdat
.Lfunc_end2188:
	.size	_ZN7rocprim17ROCPRIM_400000_NS6detail17trampoline_kernelINS0_14default_configENS1_38merge_sort_block_merge_config_selectorIbiEEZZNS1_27merge_sort_block_merge_implIS3_N6thrust23THRUST_200600_302600_NS6detail15normal_iteratorINS8_10device_ptrIbEEEENSA_INSB_IiEEEEjNS1_19radix_merge_compareILb1ELb1EbNS0_19identity_decomposerEEEEE10hipError_tT0_T1_T2_jT3_P12ihipStream_tbPNSt15iterator_traitsISK_E10value_typeEPNSQ_ISL_E10value_typeEPSM_NS1_7vsmem_tEENKUlT_SK_SL_SM_E_clISD_PbSF_PiEESJ_SZ_SK_SL_SM_EUlSZ_E0_NS1_11comp_targetILNS1_3genE3ELNS1_11target_archE908ELNS1_3gpuE7ELNS1_3repE0EEENS1_38merge_mergepath_config_static_selectorELNS0_4arch9wavefront6targetE1EEEvSL_, .Lfunc_end2188-_ZN7rocprim17ROCPRIM_400000_NS6detail17trampoline_kernelINS0_14default_configENS1_38merge_sort_block_merge_config_selectorIbiEEZZNS1_27merge_sort_block_merge_implIS3_N6thrust23THRUST_200600_302600_NS6detail15normal_iteratorINS8_10device_ptrIbEEEENSA_INSB_IiEEEEjNS1_19radix_merge_compareILb1ELb1EbNS0_19identity_decomposerEEEEE10hipError_tT0_T1_T2_jT3_P12ihipStream_tbPNSt15iterator_traitsISK_E10value_typeEPNSQ_ISL_E10value_typeEPSM_NS1_7vsmem_tEENKUlT_SK_SL_SM_E_clISD_PbSF_PiEESJ_SZ_SK_SL_SM_EUlSZ_E0_NS1_11comp_targetILNS1_3genE3ELNS1_11target_archE908ELNS1_3gpuE7ELNS1_3repE0EEENS1_38merge_mergepath_config_static_selectorELNS0_4arch9wavefront6targetE1EEEvSL_
                                        ; -- End function
	.set _ZN7rocprim17ROCPRIM_400000_NS6detail17trampoline_kernelINS0_14default_configENS1_38merge_sort_block_merge_config_selectorIbiEEZZNS1_27merge_sort_block_merge_implIS3_N6thrust23THRUST_200600_302600_NS6detail15normal_iteratorINS8_10device_ptrIbEEEENSA_INSB_IiEEEEjNS1_19radix_merge_compareILb1ELb1EbNS0_19identity_decomposerEEEEE10hipError_tT0_T1_T2_jT3_P12ihipStream_tbPNSt15iterator_traitsISK_E10value_typeEPNSQ_ISL_E10value_typeEPSM_NS1_7vsmem_tEENKUlT_SK_SL_SM_E_clISD_PbSF_PiEESJ_SZ_SK_SL_SM_EUlSZ_E0_NS1_11comp_targetILNS1_3genE3ELNS1_11target_archE908ELNS1_3gpuE7ELNS1_3repE0EEENS1_38merge_mergepath_config_static_selectorELNS0_4arch9wavefront6targetE1EEEvSL_.num_vgpr, 0
	.set _ZN7rocprim17ROCPRIM_400000_NS6detail17trampoline_kernelINS0_14default_configENS1_38merge_sort_block_merge_config_selectorIbiEEZZNS1_27merge_sort_block_merge_implIS3_N6thrust23THRUST_200600_302600_NS6detail15normal_iteratorINS8_10device_ptrIbEEEENSA_INSB_IiEEEEjNS1_19radix_merge_compareILb1ELb1EbNS0_19identity_decomposerEEEEE10hipError_tT0_T1_T2_jT3_P12ihipStream_tbPNSt15iterator_traitsISK_E10value_typeEPNSQ_ISL_E10value_typeEPSM_NS1_7vsmem_tEENKUlT_SK_SL_SM_E_clISD_PbSF_PiEESJ_SZ_SK_SL_SM_EUlSZ_E0_NS1_11comp_targetILNS1_3genE3ELNS1_11target_archE908ELNS1_3gpuE7ELNS1_3repE0EEENS1_38merge_mergepath_config_static_selectorELNS0_4arch9wavefront6targetE1EEEvSL_.num_agpr, 0
	.set _ZN7rocprim17ROCPRIM_400000_NS6detail17trampoline_kernelINS0_14default_configENS1_38merge_sort_block_merge_config_selectorIbiEEZZNS1_27merge_sort_block_merge_implIS3_N6thrust23THRUST_200600_302600_NS6detail15normal_iteratorINS8_10device_ptrIbEEEENSA_INSB_IiEEEEjNS1_19radix_merge_compareILb1ELb1EbNS0_19identity_decomposerEEEEE10hipError_tT0_T1_T2_jT3_P12ihipStream_tbPNSt15iterator_traitsISK_E10value_typeEPNSQ_ISL_E10value_typeEPSM_NS1_7vsmem_tEENKUlT_SK_SL_SM_E_clISD_PbSF_PiEESJ_SZ_SK_SL_SM_EUlSZ_E0_NS1_11comp_targetILNS1_3genE3ELNS1_11target_archE908ELNS1_3gpuE7ELNS1_3repE0EEENS1_38merge_mergepath_config_static_selectorELNS0_4arch9wavefront6targetE1EEEvSL_.numbered_sgpr, 0
	.set _ZN7rocprim17ROCPRIM_400000_NS6detail17trampoline_kernelINS0_14default_configENS1_38merge_sort_block_merge_config_selectorIbiEEZZNS1_27merge_sort_block_merge_implIS3_N6thrust23THRUST_200600_302600_NS6detail15normal_iteratorINS8_10device_ptrIbEEEENSA_INSB_IiEEEEjNS1_19radix_merge_compareILb1ELb1EbNS0_19identity_decomposerEEEEE10hipError_tT0_T1_T2_jT3_P12ihipStream_tbPNSt15iterator_traitsISK_E10value_typeEPNSQ_ISL_E10value_typeEPSM_NS1_7vsmem_tEENKUlT_SK_SL_SM_E_clISD_PbSF_PiEESJ_SZ_SK_SL_SM_EUlSZ_E0_NS1_11comp_targetILNS1_3genE3ELNS1_11target_archE908ELNS1_3gpuE7ELNS1_3repE0EEENS1_38merge_mergepath_config_static_selectorELNS0_4arch9wavefront6targetE1EEEvSL_.num_named_barrier, 0
	.set _ZN7rocprim17ROCPRIM_400000_NS6detail17trampoline_kernelINS0_14default_configENS1_38merge_sort_block_merge_config_selectorIbiEEZZNS1_27merge_sort_block_merge_implIS3_N6thrust23THRUST_200600_302600_NS6detail15normal_iteratorINS8_10device_ptrIbEEEENSA_INSB_IiEEEEjNS1_19radix_merge_compareILb1ELb1EbNS0_19identity_decomposerEEEEE10hipError_tT0_T1_T2_jT3_P12ihipStream_tbPNSt15iterator_traitsISK_E10value_typeEPNSQ_ISL_E10value_typeEPSM_NS1_7vsmem_tEENKUlT_SK_SL_SM_E_clISD_PbSF_PiEESJ_SZ_SK_SL_SM_EUlSZ_E0_NS1_11comp_targetILNS1_3genE3ELNS1_11target_archE908ELNS1_3gpuE7ELNS1_3repE0EEENS1_38merge_mergepath_config_static_selectorELNS0_4arch9wavefront6targetE1EEEvSL_.private_seg_size, 0
	.set _ZN7rocprim17ROCPRIM_400000_NS6detail17trampoline_kernelINS0_14default_configENS1_38merge_sort_block_merge_config_selectorIbiEEZZNS1_27merge_sort_block_merge_implIS3_N6thrust23THRUST_200600_302600_NS6detail15normal_iteratorINS8_10device_ptrIbEEEENSA_INSB_IiEEEEjNS1_19radix_merge_compareILb1ELb1EbNS0_19identity_decomposerEEEEE10hipError_tT0_T1_T2_jT3_P12ihipStream_tbPNSt15iterator_traitsISK_E10value_typeEPNSQ_ISL_E10value_typeEPSM_NS1_7vsmem_tEENKUlT_SK_SL_SM_E_clISD_PbSF_PiEESJ_SZ_SK_SL_SM_EUlSZ_E0_NS1_11comp_targetILNS1_3genE3ELNS1_11target_archE908ELNS1_3gpuE7ELNS1_3repE0EEENS1_38merge_mergepath_config_static_selectorELNS0_4arch9wavefront6targetE1EEEvSL_.uses_vcc, 0
	.set _ZN7rocprim17ROCPRIM_400000_NS6detail17trampoline_kernelINS0_14default_configENS1_38merge_sort_block_merge_config_selectorIbiEEZZNS1_27merge_sort_block_merge_implIS3_N6thrust23THRUST_200600_302600_NS6detail15normal_iteratorINS8_10device_ptrIbEEEENSA_INSB_IiEEEEjNS1_19radix_merge_compareILb1ELb1EbNS0_19identity_decomposerEEEEE10hipError_tT0_T1_T2_jT3_P12ihipStream_tbPNSt15iterator_traitsISK_E10value_typeEPNSQ_ISL_E10value_typeEPSM_NS1_7vsmem_tEENKUlT_SK_SL_SM_E_clISD_PbSF_PiEESJ_SZ_SK_SL_SM_EUlSZ_E0_NS1_11comp_targetILNS1_3genE3ELNS1_11target_archE908ELNS1_3gpuE7ELNS1_3repE0EEENS1_38merge_mergepath_config_static_selectorELNS0_4arch9wavefront6targetE1EEEvSL_.uses_flat_scratch, 0
	.set _ZN7rocprim17ROCPRIM_400000_NS6detail17trampoline_kernelINS0_14default_configENS1_38merge_sort_block_merge_config_selectorIbiEEZZNS1_27merge_sort_block_merge_implIS3_N6thrust23THRUST_200600_302600_NS6detail15normal_iteratorINS8_10device_ptrIbEEEENSA_INSB_IiEEEEjNS1_19radix_merge_compareILb1ELb1EbNS0_19identity_decomposerEEEEE10hipError_tT0_T1_T2_jT3_P12ihipStream_tbPNSt15iterator_traitsISK_E10value_typeEPNSQ_ISL_E10value_typeEPSM_NS1_7vsmem_tEENKUlT_SK_SL_SM_E_clISD_PbSF_PiEESJ_SZ_SK_SL_SM_EUlSZ_E0_NS1_11comp_targetILNS1_3genE3ELNS1_11target_archE908ELNS1_3gpuE7ELNS1_3repE0EEENS1_38merge_mergepath_config_static_selectorELNS0_4arch9wavefront6targetE1EEEvSL_.has_dyn_sized_stack, 0
	.set _ZN7rocprim17ROCPRIM_400000_NS6detail17trampoline_kernelINS0_14default_configENS1_38merge_sort_block_merge_config_selectorIbiEEZZNS1_27merge_sort_block_merge_implIS3_N6thrust23THRUST_200600_302600_NS6detail15normal_iteratorINS8_10device_ptrIbEEEENSA_INSB_IiEEEEjNS1_19radix_merge_compareILb1ELb1EbNS0_19identity_decomposerEEEEE10hipError_tT0_T1_T2_jT3_P12ihipStream_tbPNSt15iterator_traitsISK_E10value_typeEPNSQ_ISL_E10value_typeEPSM_NS1_7vsmem_tEENKUlT_SK_SL_SM_E_clISD_PbSF_PiEESJ_SZ_SK_SL_SM_EUlSZ_E0_NS1_11comp_targetILNS1_3genE3ELNS1_11target_archE908ELNS1_3gpuE7ELNS1_3repE0EEENS1_38merge_mergepath_config_static_selectorELNS0_4arch9wavefront6targetE1EEEvSL_.has_recursion, 0
	.set _ZN7rocprim17ROCPRIM_400000_NS6detail17trampoline_kernelINS0_14default_configENS1_38merge_sort_block_merge_config_selectorIbiEEZZNS1_27merge_sort_block_merge_implIS3_N6thrust23THRUST_200600_302600_NS6detail15normal_iteratorINS8_10device_ptrIbEEEENSA_INSB_IiEEEEjNS1_19radix_merge_compareILb1ELb1EbNS0_19identity_decomposerEEEEE10hipError_tT0_T1_T2_jT3_P12ihipStream_tbPNSt15iterator_traitsISK_E10value_typeEPNSQ_ISL_E10value_typeEPSM_NS1_7vsmem_tEENKUlT_SK_SL_SM_E_clISD_PbSF_PiEESJ_SZ_SK_SL_SM_EUlSZ_E0_NS1_11comp_targetILNS1_3genE3ELNS1_11target_archE908ELNS1_3gpuE7ELNS1_3repE0EEENS1_38merge_mergepath_config_static_selectorELNS0_4arch9wavefront6targetE1EEEvSL_.has_indirect_call, 0
	.section	.AMDGPU.csdata,"",@progbits
; Kernel info:
; codeLenInByte = 0
; TotalNumSgprs: 6
; NumVgprs: 0
; NumAgprs: 0
; TotalNumVgprs: 0
; ScratchSize: 0
; MemoryBound: 0
; FloatMode: 240
; IeeeMode: 1
; LDSByteSize: 0 bytes/workgroup (compile time only)
; SGPRBlocks: 0
; VGPRBlocks: 0
; NumSGPRsForWavesPerEU: 6
; NumVGPRsForWavesPerEU: 1
; AccumOffset: 4
; Occupancy: 8
; WaveLimiterHint : 0
; COMPUTE_PGM_RSRC2:SCRATCH_EN: 0
; COMPUTE_PGM_RSRC2:USER_SGPR: 2
; COMPUTE_PGM_RSRC2:TRAP_HANDLER: 0
; COMPUTE_PGM_RSRC2:TGID_X_EN: 1
; COMPUTE_PGM_RSRC2:TGID_Y_EN: 0
; COMPUTE_PGM_RSRC2:TGID_Z_EN: 0
; COMPUTE_PGM_RSRC2:TIDIG_COMP_CNT: 0
; COMPUTE_PGM_RSRC3_GFX90A:ACCUM_OFFSET: 0
; COMPUTE_PGM_RSRC3_GFX90A:TG_SPLIT: 0
	.section	.text._ZN7rocprim17ROCPRIM_400000_NS6detail17trampoline_kernelINS0_14default_configENS1_38merge_sort_block_merge_config_selectorIbiEEZZNS1_27merge_sort_block_merge_implIS3_N6thrust23THRUST_200600_302600_NS6detail15normal_iteratorINS8_10device_ptrIbEEEENSA_INSB_IiEEEEjNS1_19radix_merge_compareILb1ELb1EbNS0_19identity_decomposerEEEEE10hipError_tT0_T1_T2_jT3_P12ihipStream_tbPNSt15iterator_traitsISK_E10value_typeEPNSQ_ISL_E10value_typeEPSM_NS1_7vsmem_tEENKUlT_SK_SL_SM_E_clISD_PbSF_PiEESJ_SZ_SK_SL_SM_EUlSZ_E0_NS1_11comp_targetILNS1_3genE2ELNS1_11target_archE906ELNS1_3gpuE6ELNS1_3repE0EEENS1_38merge_mergepath_config_static_selectorELNS0_4arch9wavefront6targetE1EEEvSL_,"axG",@progbits,_ZN7rocprim17ROCPRIM_400000_NS6detail17trampoline_kernelINS0_14default_configENS1_38merge_sort_block_merge_config_selectorIbiEEZZNS1_27merge_sort_block_merge_implIS3_N6thrust23THRUST_200600_302600_NS6detail15normal_iteratorINS8_10device_ptrIbEEEENSA_INSB_IiEEEEjNS1_19radix_merge_compareILb1ELb1EbNS0_19identity_decomposerEEEEE10hipError_tT0_T1_T2_jT3_P12ihipStream_tbPNSt15iterator_traitsISK_E10value_typeEPNSQ_ISL_E10value_typeEPSM_NS1_7vsmem_tEENKUlT_SK_SL_SM_E_clISD_PbSF_PiEESJ_SZ_SK_SL_SM_EUlSZ_E0_NS1_11comp_targetILNS1_3genE2ELNS1_11target_archE906ELNS1_3gpuE6ELNS1_3repE0EEENS1_38merge_mergepath_config_static_selectorELNS0_4arch9wavefront6targetE1EEEvSL_,comdat
	.protected	_ZN7rocprim17ROCPRIM_400000_NS6detail17trampoline_kernelINS0_14default_configENS1_38merge_sort_block_merge_config_selectorIbiEEZZNS1_27merge_sort_block_merge_implIS3_N6thrust23THRUST_200600_302600_NS6detail15normal_iteratorINS8_10device_ptrIbEEEENSA_INSB_IiEEEEjNS1_19radix_merge_compareILb1ELb1EbNS0_19identity_decomposerEEEEE10hipError_tT0_T1_T2_jT3_P12ihipStream_tbPNSt15iterator_traitsISK_E10value_typeEPNSQ_ISL_E10value_typeEPSM_NS1_7vsmem_tEENKUlT_SK_SL_SM_E_clISD_PbSF_PiEESJ_SZ_SK_SL_SM_EUlSZ_E0_NS1_11comp_targetILNS1_3genE2ELNS1_11target_archE906ELNS1_3gpuE6ELNS1_3repE0EEENS1_38merge_mergepath_config_static_selectorELNS0_4arch9wavefront6targetE1EEEvSL_ ; -- Begin function _ZN7rocprim17ROCPRIM_400000_NS6detail17trampoline_kernelINS0_14default_configENS1_38merge_sort_block_merge_config_selectorIbiEEZZNS1_27merge_sort_block_merge_implIS3_N6thrust23THRUST_200600_302600_NS6detail15normal_iteratorINS8_10device_ptrIbEEEENSA_INSB_IiEEEEjNS1_19radix_merge_compareILb1ELb1EbNS0_19identity_decomposerEEEEE10hipError_tT0_T1_T2_jT3_P12ihipStream_tbPNSt15iterator_traitsISK_E10value_typeEPNSQ_ISL_E10value_typeEPSM_NS1_7vsmem_tEENKUlT_SK_SL_SM_E_clISD_PbSF_PiEESJ_SZ_SK_SL_SM_EUlSZ_E0_NS1_11comp_targetILNS1_3genE2ELNS1_11target_archE906ELNS1_3gpuE6ELNS1_3repE0EEENS1_38merge_mergepath_config_static_selectorELNS0_4arch9wavefront6targetE1EEEvSL_
	.globl	_ZN7rocprim17ROCPRIM_400000_NS6detail17trampoline_kernelINS0_14default_configENS1_38merge_sort_block_merge_config_selectorIbiEEZZNS1_27merge_sort_block_merge_implIS3_N6thrust23THRUST_200600_302600_NS6detail15normal_iteratorINS8_10device_ptrIbEEEENSA_INSB_IiEEEEjNS1_19radix_merge_compareILb1ELb1EbNS0_19identity_decomposerEEEEE10hipError_tT0_T1_T2_jT3_P12ihipStream_tbPNSt15iterator_traitsISK_E10value_typeEPNSQ_ISL_E10value_typeEPSM_NS1_7vsmem_tEENKUlT_SK_SL_SM_E_clISD_PbSF_PiEESJ_SZ_SK_SL_SM_EUlSZ_E0_NS1_11comp_targetILNS1_3genE2ELNS1_11target_archE906ELNS1_3gpuE6ELNS1_3repE0EEENS1_38merge_mergepath_config_static_selectorELNS0_4arch9wavefront6targetE1EEEvSL_
	.p2align	8
	.type	_ZN7rocprim17ROCPRIM_400000_NS6detail17trampoline_kernelINS0_14default_configENS1_38merge_sort_block_merge_config_selectorIbiEEZZNS1_27merge_sort_block_merge_implIS3_N6thrust23THRUST_200600_302600_NS6detail15normal_iteratorINS8_10device_ptrIbEEEENSA_INSB_IiEEEEjNS1_19radix_merge_compareILb1ELb1EbNS0_19identity_decomposerEEEEE10hipError_tT0_T1_T2_jT3_P12ihipStream_tbPNSt15iterator_traitsISK_E10value_typeEPNSQ_ISL_E10value_typeEPSM_NS1_7vsmem_tEENKUlT_SK_SL_SM_E_clISD_PbSF_PiEESJ_SZ_SK_SL_SM_EUlSZ_E0_NS1_11comp_targetILNS1_3genE2ELNS1_11target_archE906ELNS1_3gpuE6ELNS1_3repE0EEENS1_38merge_mergepath_config_static_selectorELNS0_4arch9wavefront6targetE1EEEvSL_,@function
_ZN7rocprim17ROCPRIM_400000_NS6detail17trampoline_kernelINS0_14default_configENS1_38merge_sort_block_merge_config_selectorIbiEEZZNS1_27merge_sort_block_merge_implIS3_N6thrust23THRUST_200600_302600_NS6detail15normal_iteratorINS8_10device_ptrIbEEEENSA_INSB_IiEEEEjNS1_19radix_merge_compareILb1ELb1EbNS0_19identity_decomposerEEEEE10hipError_tT0_T1_T2_jT3_P12ihipStream_tbPNSt15iterator_traitsISK_E10value_typeEPNSQ_ISL_E10value_typeEPSM_NS1_7vsmem_tEENKUlT_SK_SL_SM_E_clISD_PbSF_PiEESJ_SZ_SK_SL_SM_EUlSZ_E0_NS1_11comp_targetILNS1_3genE2ELNS1_11target_archE906ELNS1_3gpuE6ELNS1_3repE0EEENS1_38merge_mergepath_config_static_selectorELNS0_4arch9wavefront6targetE1EEEvSL_: ; @_ZN7rocprim17ROCPRIM_400000_NS6detail17trampoline_kernelINS0_14default_configENS1_38merge_sort_block_merge_config_selectorIbiEEZZNS1_27merge_sort_block_merge_implIS3_N6thrust23THRUST_200600_302600_NS6detail15normal_iteratorINS8_10device_ptrIbEEEENSA_INSB_IiEEEEjNS1_19radix_merge_compareILb1ELb1EbNS0_19identity_decomposerEEEEE10hipError_tT0_T1_T2_jT3_P12ihipStream_tbPNSt15iterator_traitsISK_E10value_typeEPNSQ_ISL_E10value_typeEPSM_NS1_7vsmem_tEENKUlT_SK_SL_SM_E_clISD_PbSF_PiEESJ_SZ_SK_SL_SM_EUlSZ_E0_NS1_11comp_targetILNS1_3genE2ELNS1_11target_archE906ELNS1_3gpuE6ELNS1_3repE0EEENS1_38merge_mergepath_config_static_selectorELNS0_4arch9wavefront6targetE1EEEvSL_
; %bb.0:
	.section	.rodata,"a",@progbits
	.p2align	6, 0x0
	.amdhsa_kernel _ZN7rocprim17ROCPRIM_400000_NS6detail17trampoline_kernelINS0_14default_configENS1_38merge_sort_block_merge_config_selectorIbiEEZZNS1_27merge_sort_block_merge_implIS3_N6thrust23THRUST_200600_302600_NS6detail15normal_iteratorINS8_10device_ptrIbEEEENSA_INSB_IiEEEEjNS1_19radix_merge_compareILb1ELb1EbNS0_19identity_decomposerEEEEE10hipError_tT0_T1_T2_jT3_P12ihipStream_tbPNSt15iterator_traitsISK_E10value_typeEPNSQ_ISL_E10value_typeEPSM_NS1_7vsmem_tEENKUlT_SK_SL_SM_E_clISD_PbSF_PiEESJ_SZ_SK_SL_SM_EUlSZ_E0_NS1_11comp_targetILNS1_3genE2ELNS1_11target_archE906ELNS1_3gpuE6ELNS1_3repE0EEENS1_38merge_mergepath_config_static_selectorELNS0_4arch9wavefront6targetE1EEEvSL_
		.amdhsa_group_segment_fixed_size 0
		.amdhsa_private_segment_fixed_size 0
		.amdhsa_kernarg_size 64
		.amdhsa_user_sgpr_count 2
		.amdhsa_user_sgpr_dispatch_ptr 0
		.amdhsa_user_sgpr_queue_ptr 0
		.amdhsa_user_sgpr_kernarg_segment_ptr 1
		.amdhsa_user_sgpr_dispatch_id 0
		.amdhsa_user_sgpr_kernarg_preload_length 0
		.amdhsa_user_sgpr_kernarg_preload_offset 0
		.amdhsa_user_sgpr_private_segment_size 0
		.amdhsa_uses_dynamic_stack 0
		.amdhsa_enable_private_segment 0
		.amdhsa_system_sgpr_workgroup_id_x 1
		.amdhsa_system_sgpr_workgroup_id_y 0
		.amdhsa_system_sgpr_workgroup_id_z 0
		.amdhsa_system_sgpr_workgroup_info 0
		.amdhsa_system_vgpr_workitem_id 0
		.amdhsa_next_free_vgpr 1
		.amdhsa_next_free_sgpr 0
		.amdhsa_accum_offset 4
		.amdhsa_reserve_vcc 0
		.amdhsa_float_round_mode_32 0
		.amdhsa_float_round_mode_16_64 0
		.amdhsa_float_denorm_mode_32 3
		.amdhsa_float_denorm_mode_16_64 3
		.amdhsa_dx10_clamp 1
		.amdhsa_ieee_mode 1
		.amdhsa_fp16_overflow 0
		.amdhsa_tg_split 0
		.amdhsa_exception_fp_ieee_invalid_op 0
		.amdhsa_exception_fp_denorm_src 0
		.amdhsa_exception_fp_ieee_div_zero 0
		.amdhsa_exception_fp_ieee_overflow 0
		.amdhsa_exception_fp_ieee_underflow 0
		.amdhsa_exception_fp_ieee_inexact 0
		.amdhsa_exception_int_div_zero 0
	.end_amdhsa_kernel
	.section	.text._ZN7rocprim17ROCPRIM_400000_NS6detail17trampoline_kernelINS0_14default_configENS1_38merge_sort_block_merge_config_selectorIbiEEZZNS1_27merge_sort_block_merge_implIS3_N6thrust23THRUST_200600_302600_NS6detail15normal_iteratorINS8_10device_ptrIbEEEENSA_INSB_IiEEEEjNS1_19radix_merge_compareILb1ELb1EbNS0_19identity_decomposerEEEEE10hipError_tT0_T1_T2_jT3_P12ihipStream_tbPNSt15iterator_traitsISK_E10value_typeEPNSQ_ISL_E10value_typeEPSM_NS1_7vsmem_tEENKUlT_SK_SL_SM_E_clISD_PbSF_PiEESJ_SZ_SK_SL_SM_EUlSZ_E0_NS1_11comp_targetILNS1_3genE2ELNS1_11target_archE906ELNS1_3gpuE6ELNS1_3repE0EEENS1_38merge_mergepath_config_static_selectorELNS0_4arch9wavefront6targetE1EEEvSL_,"axG",@progbits,_ZN7rocprim17ROCPRIM_400000_NS6detail17trampoline_kernelINS0_14default_configENS1_38merge_sort_block_merge_config_selectorIbiEEZZNS1_27merge_sort_block_merge_implIS3_N6thrust23THRUST_200600_302600_NS6detail15normal_iteratorINS8_10device_ptrIbEEEENSA_INSB_IiEEEEjNS1_19radix_merge_compareILb1ELb1EbNS0_19identity_decomposerEEEEE10hipError_tT0_T1_T2_jT3_P12ihipStream_tbPNSt15iterator_traitsISK_E10value_typeEPNSQ_ISL_E10value_typeEPSM_NS1_7vsmem_tEENKUlT_SK_SL_SM_E_clISD_PbSF_PiEESJ_SZ_SK_SL_SM_EUlSZ_E0_NS1_11comp_targetILNS1_3genE2ELNS1_11target_archE906ELNS1_3gpuE6ELNS1_3repE0EEENS1_38merge_mergepath_config_static_selectorELNS0_4arch9wavefront6targetE1EEEvSL_,comdat
.Lfunc_end2189:
	.size	_ZN7rocprim17ROCPRIM_400000_NS6detail17trampoline_kernelINS0_14default_configENS1_38merge_sort_block_merge_config_selectorIbiEEZZNS1_27merge_sort_block_merge_implIS3_N6thrust23THRUST_200600_302600_NS6detail15normal_iteratorINS8_10device_ptrIbEEEENSA_INSB_IiEEEEjNS1_19radix_merge_compareILb1ELb1EbNS0_19identity_decomposerEEEEE10hipError_tT0_T1_T2_jT3_P12ihipStream_tbPNSt15iterator_traitsISK_E10value_typeEPNSQ_ISL_E10value_typeEPSM_NS1_7vsmem_tEENKUlT_SK_SL_SM_E_clISD_PbSF_PiEESJ_SZ_SK_SL_SM_EUlSZ_E0_NS1_11comp_targetILNS1_3genE2ELNS1_11target_archE906ELNS1_3gpuE6ELNS1_3repE0EEENS1_38merge_mergepath_config_static_selectorELNS0_4arch9wavefront6targetE1EEEvSL_, .Lfunc_end2189-_ZN7rocprim17ROCPRIM_400000_NS6detail17trampoline_kernelINS0_14default_configENS1_38merge_sort_block_merge_config_selectorIbiEEZZNS1_27merge_sort_block_merge_implIS3_N6thrust23THRUST_200600_302600_NS6detail15normal_iteratorINS8_10device_ptrIbEEEENSA_INSB_IiEEEEjNS1_19radix_merge_compareILb1ELb1EbNS0_19identity_decomposerEEEEE10hipError_tT0_T1_T2_jT3_P12ihipStream_tbPNSt15iterator_traitsISK_E10value_typeEPNSQ_ISL_E10value_typeEPSM_NS1_7vsmem_tEENKUlT_SK_SL_SM_E_clISD_PbSF_PiEESJ_SZ_SK_SL_SM_EUlSZ_E0_NS1_11comp_targetILNS1_3genE2ELNS1_11target_archE906ELNS1_3gpuE6ELNS1_3repE0EEENS1_38merge_mergepath_config_static_selectorELNS0_4arch9wavefront6targetE1EEEvSL_
                                        ; -- End function
	.set _ZN7rocprim17ROCPRIM_400000_NS6detail17trampoline_kernelINS0_14default_configENS1_38merge_sort_block_merge_config_selectorIbiEEZZNS1_27merge_sort_block_merge_implIS3_N6thrust23THRUST_200600_302600_NS6detail15normal_iteratorINS8_10device_ptrIbEEEENSA_INSB_IiEEEEjNS1_19radix_merge_compareILb1ELb1EbNS0_19identity_decomposerEEEEE10hipError_tT0_T1_T2_jT3_P12ihipStream_tbPNSt15iterator_traitsISK_E10value_typeEPNSQ_ISL_E10value_typeEPSM_NS1_7vsmem_tEENKUlT_SK_SL_SM_E_clISD_PbSF_PiEESJ_SZ_SK_SL_SM_EUlSZ_E0_NS1_11comp_targetILNS1_3genE2ELNS1_11target_archE906ELNS1_3gpuE6ELNS1_3repE0EEENS1_38merge_mergepath_config_static_selectorELNS0_4arch9wavefront6targetE1EEEvSL_.num_vgpr, 0
	.set _ZN7rocprim17ROCPRIM_400000_NS6detail17trampoline_kernelINS0_14default_configENS1_38merge_sort_block_merge_config_selectorIbiEEZZNS1_27merge_sort_block_merge_implIS3_N6thrust23THRUST_200600_302600_NS6detail15normal_iteratorINS8_10device_ptrIbEEEENSA_INSB_IiEEEEjNS1_19radix_merge_compareILb1ELb1EbNS0_19identity_decomposerEEEEE10hipError_tT0_T1_T2_jT3_P12ihipStream_tbPNSt15iterator_traitsISK_E10value_typeEPNSQ_ISL_E10value_typeEPSM_NS1_7vsmem_tEENKUlT_SK_SL_SM_E_clISD_PbSF_PiEESJ_SZ_SK_SL_SM_EUlSZ_E0_NS1_11comp_targetILNS1_3genE2ELNS1_11target_archE906ELNS1_3gpuE6ELNS1_3repE0EEENS1_38merge_mergepath_config_static_selectorELNS0_4arch9wavefront6targetE1EEEvSL_.num_agpr, 0
	.set _ZN7rocprim17ROCPRIM_400000_NS6detail17trampoline_kernelINS0_14default_configENS1_38merge_sort_block_merge_config_selectorIbiEEZZNS1_27merge_sort_block_merge_implIS3_N6thrust23THRUST_200600_302600_NS6detail15normal_iteratorINS8_10device_ptrIbEEEENSA_INSB_IiEEEEjNS1_19radix_merge_compareILb1ELb1EbNS0_19identity_decomposerEEEEE10hipError_tT0_T1_T2_jT3_P12ihipStream_tbPNSt15iterator_traitsISK_E10value_typeEPNSQ_ISL_E10value_typeEPSM_NS1_7vsmem_tEENKUlT_SK_SL_SM_E_clISD_PbSF_PiEESJ_SZ_SK_SL_SM_EUlSZ_E0_NS1_11comp_targetILNS1_3genE2ELNS1_11target_archE906ELNS1_3gpuE6ELNS1_3repE0EEENS1_38merge_mergepath_config_static_selectorELNS0_4arch9wavefront6targetE1EEEvSL_.numbered_sgpr, 0
	.set _ZN7rocprim17ROCPRIM_400000_NS6detail17trampoline_kernelINS0_14default_configENS1_38merge_sort_block_merge_config_selectorIbiEEZZNS1_27merge_sort_block_merge_implIS3_N6thrust23THRUST_200600_302600_NS6detail15normal_iteratorINS8_10device_ptrIbEEEENSA_INSB_IiEEEEjNS1_19radix_merge_compareILb1ELb1EbNS0_19identity_decomposerEEEEE10hipError_tT0_T1_T2_jT3_P12ihipStream_tbPNSt15iterator_traitsISK_E10value_typeEPNSQ_ISL_E10value_typeEPSM_NS1_7vsmem_tEENKUlT_SK_SL_SM_E_clISD_PbSF_PiEESJ_SZ_SK_SL_SM_EUlSZ_E0_NS1_11comp_targetILNS1_3genE2ELNS1_11target_archE906ELNS1_3gpuE6ELNS1_3repE0EEENS1_38merge_mergepath_config_static_selectorELNS0_4arch9wavefront6targetE1EEEvSL_.num_named_barrier, 0
	.set _ZN7rocprim17ROCPRIM_400000_NS6detail17trampoline_kernelINS0_14default_configENS1_38merge_sort_block_merge_config_selectorIbiEEZZNS1_27merge_sort_block_merge_implIS3_N6thrust23THRUST_200600_302600_NS6detail15normal_iteratorINS8_10device_ptrIbEEEENSA_INSB_IiEEEEjNS1_19radix_merge_compareILb1ELb1EbNS0_19identity_decomposerEEEEE10hipError_tT0_T1_T2_jT3_P12ihipStream_tbPNSt15iterator_traitsISK_E10value_typeEPNSQ_ISL_E10value_typeEPSM_NS1_7vsmem_tEENKUlT_SK_SL_SM_E_clISD_PbSF_PiEESJ_SZ_SK_SL_SM_EUlSZ_E0_NS1_11comp_targetILNS1_3genE2ELNS1_11target_archE906ELNS1_3gpuE6ELNS1_3repE0EEENS1_38merge_mergepath_config_static_selectorELNS0_4arch9wavefront6targetE1EEEvSL_.private_seg_size, 0
	.set _ZN7rocprim17ROCPRIM_400000_NS6detail17trampoline_kernelINS0_14default_configENS1_38merge_sort_block_merge_config_selectorIbiEEZZNS1_27merge_sort_block_merge_implIS3_N6thrust23THRUST_200600_302600_NS6detail15normal_iteratorINS8_10device_ptrIbEEEENSA_INSB_IiEEEEjNS1_19radix_merge_compareILb1ELb1EbNS0_19identity_decomposerEEEEE10hipError_tT0_T1_T2_jT3_P12ihipStream_tbPNSt15iterator_traitsISK_E10value_typeEPNSQ_ISL_E10value_typeEPSM_NS1_7vsmem_tEENKUlT_SK_SL_SM_E_clISD_PbSF_PiEESJ_SZ_SK_SL_SM_EUlSZ_E0_NS1_11comp_targetILNS1_3genE2ELNS1_11target_archE906ELNS1_3gpuE6ELNS1_3repE0EEENS1_38merge_mergepath_config_static_selectorELNS0_4arch9wavefront6targetE1EEEvSL_.uses_vcc, 0
	.set _ZN7rocprim17ROCPRIM_400000_NS6detail17trampoline_kernelINS0_14default_configENS1_38merge_sort_block_merge_config_selectorIbiEEZZNS1_27merge_sort_block_merge_implIS3_N6thrust23THRUST_200600_302600_NS6detail15normal_iteratorINS8_10device_ptrIbEEEENSA_INSB_IiEEEEjNS1_19radix_merge_compareILb1ELb1EbNS0_19identity_decomposerEEEEE10hipError_tT0_T1_T2_jT3_P12ihipStream_tbPNSt15iterator_traitsISK_E10value_typeEPNSQ_ISL_E10value_typeEPSM_NS1_7vsmem_tEENKUlT_SK_SL_SM_E_clISD_PbSF_PiEESJ_SZ_SK_SL_SM_EUlSZ_E0_NS1_11comp_targetILNS1_3genE2ELNS1_11target_archE906ELNS1_3gpuE6ELNS1_3repE0EEENS1_38merge_mergepath_config_static_selectorELNS0_4arch9wavefront6targetE1EEEvSL_.uses_flat_scratch, 0
	.set _ZN7rocprim17ROCPRIM_400000_NS6detail17trampoline_kernelINS0_14default_configENS1_38merge_sort_block_merge_config_selectorIbiEEZZNS1_27merge_sort_block_merge_implIS3_N6thrust23THRUST_200600_302600_NS6detail15normal_iteratorINS8_10device_ptrIbEEEENSA_INSB_IiEEEEjNS1_19radix_merge_compareILb1ELb1EbNS0_19identity_decomposerEEEEE10hipError_tT0_T1_T2_jT3_P12ihipStream_tbPNSt15iterator_traitsISK_E10value_typeEPNSQ_ISL_E10value_typeEPSM_NS1_7vsmem_tEENKUlT_SK_SL_SM_E_clISD_PbSF_PiEESJ_SZ_SK_SL_SM_EUlSZ_E0_NS1_11comp_targetILNS1_3genE2ELNS1_11target_archE906ELNS1_3gpuE6ELNS1_3repE0EEENS1_38merge_mergepath_config_static_selectorELNS0_4arch9wavefront6targetE1EEEvSL_.has_dyn_sized_stack, 0
	.set _ZN7rocprim17ROCPRIM_400000_NS6detail17trampoline_kernelINS0_14default_configENS1_38merge_sort_block_merge_config_selectorIbiEEZZNS1_27merge_sort_block_merge_implIS3_N6thrust23THRUST_200600_302600_NS6detail15normal_iteratorINS8_10device_ptrIbEEEENSA_INSB_IiEEEEjNS1_19radix_merge_compareILb1ELb1EbNS0_19identity_decomposerEEEEE10hipError_tT0_T1_T2_jT3_P12ihipStream_tbPNSt15iterator_traitsISK_E10value_typeEPNSQ_ISL_E10value_typeEPSM_NS1_7vsmem_tEENKUlT_SK_SL_SM_E_clISD_PbSF_PiEESJ_SZ_SK_SL_SM_EUlSZ_E0_NS1_11comp_targetILNS1_3genE2ELNS1_11target_archE906ELNS1_3gpuE6ELNS1_3repE0EEENS1_38merge_mergepath_config_static_selectorELNS0_4arch9wavefront6targetE1EEEvSL_.has_recursion, 0
	.set _ZN7rocprim17ROCPRIM_400000_NS6detail17trampoline_kernelINS0_14default_configENS1_38merge_sort_block_merge_config_selectorIbiEEZZNS1_27merge_sort_block_merge_implIS3_N6thrust23THRUST_200600_302600_NS6detail15normal_iteratorINS8_10device_ptrIbEEEENSA_INSB_IiEEEEjNS1_19radix_merge_compareILb1ELb1EbNS0_19identity_decomposerEEEEE10hipError_tT0_T1_T2_jT3_P12ihipStream_tbPNSt15iterator_traitsISK_E10value_typeEPNSQ_ISL_E10value_typeEPSM_NS1_7vsmem_tEENKUlT_SK_SL_SM_E_clISD_PbSF_PiEESJ_SZ_SK_SL_SM_EUlSZ_E0_NS1_11comp_targetILNS1_3genE2ELNS1_11target_archE906ELNS1_3gpuE6ELNS1_3repE0EEENS1_38merge_mergepath_config_static_selectorELNS0_4arch9wavefront6targetE1EEEvSL_.has_indirect_call, 0
	.section	.AMDGPU.csdata,"",@progbits
; Kernel info:
; codeLenInByte = 0
; TotalNumSgprs: 6
; NumVgprs: 0
; NumAgprs: 0
; TotalNumVgprs: 0
; ScratchSize: 0
; MemoryBound: 0
; FloatMode: 240
; IeeeMode: 1
; LDSByteSize: 0 bytes/workgroup (compile time only)
; SGPRBlocks: 0
; VGPRBlocks: 0
; NumSGPRsForWavesPerEU: 6
; NumVGPRsForWavesPerEU: 1
; AccumOffset: 4
; Occupancy: 8
; WaveLimiterHint : 0
; COMPUTE_PGM_RSRC2:SCRATCH_EN: 0
; COMPUTE_PGM_RSRC2:USER_SGPR: 2
; COMPUTE_PGM_RSRC2:TRAP_HANDLER: 0
; COMPUTE_PGM_RSRC2:TGID_X_EN: 1
; COMPUTE_PGM_RSRC2:TGID_Y_EN: 0
; COMPUTE_PGM_RSRC2:TGID_Z_EN: 0
; COMPUTE_PGM_RSRC2:TIDIG_COMP_CNT: 0
; COMPUTE_PGM_RSRC3_GFX90A:ACCUM_OFFSET: 0
; COMPUTE_PGM_RSRC3_GFX90A:TG_SPLIT: 0
	.section	.text._ZN7rocprim17ROCPRIM_400000_NS6detail17trampoline_kernelINS0_14default_configENS1_38merge_sort_block_merge_config_selectorIbiEEZZNS1_27merge_sort_block_merge_implIS3_N6thrust23THRUST_200600_302600_NS6detail15normal_iteratorINS8_10device_ptrIbEEEENSA_INSB_IiEEEEjNS1_19radix_merge_compareILb1ELb1EbNS0_19identity_decomposerEEEEE10hipError_tT0_T1_T2_jT3_P12ihipStream_tbPNSt15iterator_traitsISK_E10value_typeEPNSQ_ISL_E10value_typeEPSM_NS1_7vsmem_tEENKUlT_SK_SL_SM_E_clISD_PbSF_PiEESJ_SZ_SK_SL_SM_EUlSZ_E0_NS1_11comp_targetILNS1_3genE9ELNS1_11target_archE1100ELNS1_3gpuE3ELNS1_3repE0EEENS1_38merge_mergepath_config_static_selectorELNS0_4arch9wavefront6targetE1EEEvSL_,"axG",@progbits,_ZN7rocprim17ROCPRIM_400000_NS6detail17trampoline_kernelINS0_14default_configENS1_38merge_sort_block_merge_config_selectorIbiEEZZNS1_27merge_sort_block_merge_implIS3_N6thrust23THRUST_200600_302600_NS6detail15normal_iteratorINS8_10device_ptrIbEEEENSA_INSB_IiEEEEjNS1_19radix_merge_compareILb1ELb1EbNS0_19identity_decomposerEEEEE10hipError_tT0_T1_T2_jT3_P12ihipStream_tbPNSt15iterator_traitsISK_E10value_typeEPNSQ_ISL_E10value_typeEPSM_NS1_7vsmem_tEENKUlT_SK_SL_SM_E_clISD_PbSF_PiEESJ_SZ_SK_SL_SM_EUlSZ_E0_NS1_11comp_targetILNS1_3genE9ELNS1_11target_archE1100ELNS1_3gpuE3ELNS1_3repE0EEENS1_38merge_mergepath_config_static_selectorELNS0_4arch9wavefront6targetE1EEEvSL_,comdat
	.protected	_ZN7rocprim17ROCPRIM_400000_NS6detail17trampoline_kernelINS0_14default_configENS1_38merge_sort_block_merge_config_selectorIbiEEZZNS1_27merge_sort_block_merge_implIS3_N6thrust23THRUST_200600_302600_NS6detail15normal_iteratorINS8_10device_ptrIbEEEENSA_INSB_IiEEEEjNS1_19radix_merge_compareILb1ELb1EbNS0_19identity_decomposerEEEEE10hipError_tT0_T1_T2_jT3_P12ihipStream_tbPNSt15iterator_traitsISK_E10value_typeEPNSQ_ISL_E10value_typeEPSM_NS1_7vsmem_tEENKUlT_SK_SL_SM_E_clISD_PbSF_PiEESJ_SZ_SK_SL_SM_EUlSZ_E0_NS1_11comp_targetILNS1_3genE9ELNS1_11target_archE1100ELNS1_3gpuE3ELNS1_3repE0EEENS1_38merge_mergepath_config_static_selectorELNS0_4arch9wavefront6targetE1EEEvSL_ ; -- Begin function _ZN7rocprim17ROCPRIM_400000_NS6detail17trampoline_kernelINS0_14default_configENS1_38merge_sort_block_merge_config_selectorIbiEEZZNS1_27merge_sort_block_merge_implIS3_N6thrust23THRUST_200600_302600_NS6detail15normal_iteratorINS8_10device_ptrIbEEEENSA_INSB_IiEEEEjNS1_19radix_merge_compareILb1ELb1EbNS0_19identity_decomposerEEEEE10hipError_tT0_T1_T2_jT3_P12ihipStream_tbPNSt15iterator_traitsISK_E10value_typeEPNSQ_ISL_E10value_typeEPSM_NS1_7vsmem_tEENKUlT_SK_SL_SM_E_clISD_PbSF_PiEESJ_SZ_SK_SL_SM_EUlSZ_E0_NS1_11comp_targetILNS1_3genE9ELNS1_11target_archE1100ELNS1_3gpuE3ELNS1_3repE0EEENS1_38merge_mergepath_config_static_selectorELNS0_4arch9wavefront6targetE1EEEvSL_
	.globl	_ZN7rocprim17ROCPRIM_400000_NS6detail17trampoline_kernelINS0_14default_configENS1_38merge_sort_block_merge_config_selectorIbiEEZZNS1_27merge_sort_block_merge_implIS3_N6thrust23THRUST_200600_302600_NS6detail15normal_iteratorINS8_10device_ptrIbEEEENSA_INSB_IiEEEEjNS1_19radix_merge_compareILb1ELb1EbNS0_19identity_decomposerEEEEE10hipError_tT0_T1_T2_jT3_P12ihipStream_tbPNSt15iterator_traitsISK_E10value_typeEPNSQ_ISL_E10value_typeEPSM_NS1_7vsmem_tEENKUlT_SK_SL_SM_E_clISD_PbSF_PiEESJ_SZ_SK_SL_SM_EUlSZ_E0_NS1_11comp_targetILNS1_3genE9ELNS1_11target_archE1100ELNS1_3gpuE3ELNS1_3repE0EEENS1_38merge_mergepath_config_static_selectorELNS0_4arch9wavefront6targetE1EEEvSL_
	.p2align	8
	.type	_ZN7rocprim17ROCPRIM_400000_NS6detail17trampoline_kernelINS0_14default_configENS1_38merge_sort_block_merge_config_selectorIbiEEZZNS1_27merge_sort_block_merge_implIS3_N6thrust23THRUST_200600_302600_NS6detail15normal_iteratorINS8_10device_ptrIbEEEENSA_INSB_IiEEEEjNS1_19radix_merge_compareILb1ELb1EbNS0_19identity_decomposerEEEEE10hipError_tT0_T1_T2_jT3_P12ihipStream_tbPNSt15iterator_traitsISK_E10value_typeEPNSQ_ISL_E10value_typeEPSM_NS1_7vsmem_tEENKUlT_SK_SL_SM_E_clISD_PbSF_PiEESJ_SZ_SK_SL_SM_EUlSZ_E0_NS1_11comp_targetILNS1_3genE9ELNS1_11target_archE1100ELNS1_3gpuE3ELNS1_3repE0EEENS1_38merge_mergepath_config_static_selectorELNS0_4arch9wavefront6targetE1EEEvSL_,@function
_ZN7rocprim17ROCPRIM_400000_NS6detail17trampoline_kernelINS0_14default_configENS1_38merge_sort_block_merge_config_selectorIbiEEZZNS1_27merge_sort_block_merge_implIS3_N6thrust23THRUST_200600_302600_NS6detail15normal_iteratorINS8_10device_ptrIbEEEENSA_INSB_IiEEEEjNS1_19radix_merge_compareILb1ELb1EbNS0_19identity_decomposerEEEEE10hipError_tT0_T1_T2_jT3_P12ihipStream_tbPNSt15iterator_traitsISK_E10value_typeEPNSQ_ISL_E10value_typeEPSM_NS1_7vsmem_tEENKUlT_SK_SL_SM_E_clISD_PbSF_PiEESJ_SZ_SK_SL_SM_EUlSZ_E0_NS1_11comp_targetILNS1_3genE9ELNS1_11target_archE1100ELNS1_3gpuE3ELNS1_3repE0EEENS1_38merge_mergepath_config_static_selectorELNS0_4arch9wavefront6targetE1EEEvSL_: ; @_ZN7rocprim17ROCPRIM_400000_NS6detail17trampoline_kernelINS0_14default_configENS1_38merge_sort_block_merge_config_selectorIbiEEZZNS1_27merge_sort_block_merge_implIS3_N6thrust23THRUST_200600_302600_NS6detail15normal_iteratorINS8_10device_ptrIbEEEENSA_INSB_IiEEEEjNS1_19radix_merge_compareILb1ELb1EbNS0_19identity_decomposerEEEEE10hipError_tT0_T1_T2_jT3_P12ihipStream_tbPNSt15iterator_traitsISK_E10value_typeEPNSQ_ISL_E10value_typeEPSM_NS1_7vsmem_tEENKUlT_SK_SL_SM_E_clISD_PbSF_PiEESJ_SZ_SK_SL_SM_EUlSZ_E0_NS1_11comp_targetILNS1_3genE9ELNS1_11target_archE1100ELNS1_3gpuE3ELNS1_3repE0EEENS1_38merge_mergepath_config_static_selectorELNS0_4arch9wavefront6targetE1EEEvSL_
; %bb.0:
	.section	.rodata,"a",@progbits
	.p2align	6, 0x0
	.amdhsa_kernel _ZN7rocprim17ROCPRIM_400000_NS6detail17trampoline_kernelINS0_14default_configENS1_38merge_sort_block_merge_config_selectorIbiEEZZNS1_27merge_sort_block_merge_implIS3_N6thrust23THRUST_200600_302600_NS6detail15normal_iteratorINS8_10device_ptrIbEEEENSA_INSB_IiEEEEjNS1_19radix_merge_compareILb1ELb1EbNS0_19identity_decomposerEEEEE10hipError_tT0_T1_T2_jT3_P12ihipStream_tbPNSt15iterator_traitsISK_E10value_typeEPNSQ_ISL_E10value_typeEPSM_NS1_7vsmem_tEENKUlT_SK_SL_SM_E_clISD_PbSF_PiEESJ_SZ_SK_SL_SM_EUlSZ_E0_NS1_11comp_targetILNS1_3genE9ELNS1_11target_archE1100ELNS1_3gpuE3ELNS1_3repE0EEENS1_38merge_mergepath_config_static_selectorELNS0_4arch9wavefront6targetE1EEEvSL_
		.amdhsa_group_segment_fixed_size 0
		.amdhsa_private_segment_fixed_size 0
		.amdhsa_kernarg_size 64
		.amdhsa_user_sgpr_count 2
		.amdhsa_user_sgpr_dispatch_ptr 0
		.amdhsa_user_sgpr_queue_ptr 0
		.amdhsa_user_sgpr_kernarg_segment_ptr 1
		.amdhsa_user_sgpr_dispatch_id 0
		.amdhsa_user_sgpr_kernarg_preload_length 0
		.amdhsa_user_sgpr_kernarg_preload_offset 0
		.amdhsa_user_sgpr_private_segment_size 0
		.amdhsa_uses_dynamic_stack 0
		.amdhsa_enable_private_segment 0
		.amdhsa_system_sgpr_workgroup_id_x 1
		.amdhsa_system_sgpr_workgroup_id_y 0
		.amdhsa_system_sgpr_workgroup_id_z 0
		.amdhsa_system_sgpr_workgroup_info 0
		.amdhsa_system_vgpr_workitem_id 0
		.amdhsa_next_free_vgpr 1
		.amdhsa_next_free_sgpr 0
		.amdhsa_accum_offset 4
		.amdhsa_reserve_vcc 0
		.amdhsa_float_round_mode_32 0
		.amdhsa_float_round_mode_16_64 0
		.amdhsa_float_denorm_mode_32 3
		.amdhsa_float_denorm_mode_16_64 3
		.amdhsa_dx10_clamp 1
		.amdhsa_ieee_mode 1
		.amdhsa_fp16_overflow 0
		.amdhsa_tg_split 0
		.amdhsa_exception_fp_ieee_invalid_op 0
		.amdhsa_exception_fp_denorm_src 0
		.amdhsa_exception_fp_ieee_div_zero 0
		.amdhsa_exception_fp_ieee_overflow 0
		.amdhsa_exception_fp_ieee_underflow 0
		.amdhsa_exception_fp_ieee_inexact 0
		.amdhsa_exception_int_div_zero 0
	.end_amdhsa_kernel
	.section	.text._ZN7rocprim17ROCPRIM_400000_NS6detail17trampoline_kernelINS0_14default_configENS1_38merge_sort_block_merge_config_selectorIbiEEZZNS1_27merge_sort_block_merge_implIS3_N6thrust23THRUST_200600_302600_NS6detail15normal_iteratorINS8_10device_ptrIbEEEENSA_INSB_IiEEEEjNS1_19radix_merge_compareILb1ELb1EbNS0_19identity_decomposerEEEEE10hipError_tT0_T1_T2_jT3_P12ihipStream_tbPNSt15iterator_traitsISK_E10value_typeEPNSQ_ISL_E10value_typeEPSM_NS1_7vsmem_tEENKUlT_SK_SL_SM_E_clISD_PbSF_PiEESJ_SZ_SK_SL_SM_EUlSZ_E0_NS1_11comp_targetILNS1_3genE9ELNS1_11target_archE1100ELNS1_3gpuE3ELNS1_3repE0EEENS1_38merge_mergepath_config_static_selectorELNS0_4arch9wavefront6targetE1EEEvSL_,"axG",@progbits,_ZN7rocprim17ROCPRIM_400000_NS6detail17trampoline_kernelINS0_14default_configENS1_38merge_sort_block_merge_config_selectorIbiEEZZNS1_27merge_sort_block_merge_implIS3_N6thrust23THRUST_200600_302600_NS6detail15normal_iteratorINS8_10device_ptrIbEEEENSA_INSB_IiEEEEjNS1_19radix_merge_compareILb1ELb1EbNS0_19identity_decomposerEEEEE10hipError_tT0_T1_T2_jT3_P12ihipStream_tbPNSt15iterator_traitsISK_E10value_typeEPNSQ_ISL_E10value_typeEPSM_NS1_7vsmem_tEENKUlT_SK_SL_SM_E_clISD_PbSF_PiEESJ_SZ_SK_SL_SM_EUlSZ_E0_NS1_11comp_targetILNS1_3genE9ELNS1_11target_archE1100ELNS1_3gpuE3ELNS1_3repE0EEENS1_38merge_mergepath_config_static_selectorELNS0_4arch9wavefront6targetE1EEEvSL_,comdat
.Lfunc_end2190:
	.size	_ZN7rocprim17ROCPRIM_400000_NS6detail17trampoline_kernelINS0_14default_configENS1_38merge_sort_block_merge_config_selectorIbiEEZZNS1_27merge_sort_block_merge_implIS3_N6thrust23THRUST_200600_302600_NS6detail15normal_iteratorINS8_10device_ptrIbEEEENSA_INSB_IiEEEEjNS1_19radix_merge_compareILb1ELb1EbNS0_19identity_decomposerEEEEE10hipError_tT0_T1_T2_jT3_P12ihipStream_tbPNSt15iterator_traitsISK_E10value_typeEPNSQ_ISL_E10value_typeEPSM_NS1_7vsmem_tEENKUlT_SK_SL_SM_E_clISD_PbSF_PiEESJ_SZ_SK_SL_SM_EUlSZ_E0_NS1_11comp_targetILNS1_3genE9ELNS1_11target_archE1100ELNS1_3gpuE3ELNS1_3repE0EEENS1_38merge_mergepath_config_static_selectorELNS0_4arch9wavefront6targetE1EEEvSL_, .Lfunc_end2190-_ZN7rocprim17ROCPRIM_400000_NS6detail17trampoline_kernelINS0_14default_configENS1_38merge_sort_block_merge_config_selectorIbiEEZZNS1_27merge_sort_block_merge_implIS3_N6thrust23THRUST_200600_302600_NS6detail15normal_iteratorINS8_10device_ptrIbEEEENSA_INSB_IiEEEEjNS1_19radix_merge_compareILb1ELb1EbNS0_19identity_decomposerEEEEE10hipError_tT0_T1_T2_jT3_P12ihipStream_tbPNSt15iterator_traitsISK_E10value_typeEPNSQ_ISL_E10value_typeEPSM_NS1_7vsmem_tEENKUlT_SK_SL_SM_E_clISD_PbSF_PiEESJ_SZ_SK_SL_SM_EUlSZ_E0_NS1_11comp_targetILNS1_3genE9ELNS1_11target_archE1100ELNS1_3gpuE3ELNS1_3repE0EEENS1_38merge_mergepath_config_static_selectorELNS0_4arch9wavefront6targetE1EEEvSL_
                                        ; -- End function
	.set _ZN7rocprim17ROCPRIM_400000_NS6detail17trampoline_kernelINS0_14default_configENS1_38merge_sort_block_merge_config_selectorIbiEEZZNS1_27merge_sort_block_merge_implIS3_N6thrust23THRUST_200600_302600_NS6detail15normal_iteratorINS8_10device_ptrIbEEEENSA_INSB_IiEEEEjNS1_19radix_merge_compareILb1ELb1EbNS0_19identity_decomposerEEEEE10hipError_tT0_T1_T2_jT3_P12ihipStream_tbPNSt15iterator_traitsISK_E10value_typeEPNSQ_ISL_E10value_typeEPSM_NS1_7vsmem_tEENKUlT_SK_SL_SM_E_clISD_PbSF_PiEESJ_SZ_SK_SL_SM_EUlSZ_E0_NS1_11comp_targetILNS1_3genE9ELNS1_11target_archE1100ELNS1_3gpuE3ELNS1_3repE0EEENS1_38merge_mergepath_config_static_selectorELNS0_4arch9wavefront6targetE1EEEvSL_.num_vgpr, 0
	.set _ZN7rocprim17ROCPRIM_400000_NS6detail17trampoline_kernelINS0_14default_configENS1_38merge_sort_block_merge_config_selectorIbiEEZZNS1_27merge_sort_block_merge_implIS3_N6thrust23THRUST_200600_302600_NS6detail15normal_iteratorINS8_10device_ptrIbEEEENSA_INSB_IiEEEEjNS1_19radix_merge_compareILb1ELb1EbNS0_19identity_decomposerEEEEE10hipError_tT0_T1_T2_jT3_P12ihipStream_tbPNSt15iterator_traitsISK_E10value_typeEPNSQ_ISL_E10value_typeEPSM_NS1_7vsmem_tEENKUlT_SK_SL_SM_E_clISD_PbSF_PiEESJ_SZ_SK_SL_SM_EUlSZ_E0_NS1_11comp_targetILNS1_3genE9ELNS1_11target_archE1100ELNS1_3gpuE3ELNS1_3repE0EEENS1_38merge_mergepath_config_static_selectorELNS0_4arch9wavefront6targetE1EEEvSL_.num_agpr, 0
	.set _ZN7rocprim17ROCPRIM_400000_NS6detail17trampoline_kernelINS0_14default_configENS1_38merge_sort_block_merge_config_selectorIbiEEZZNS1_27merge_sort_block_merge_implIS3_N6thrust23THRUST_200600_302600_NS6detail15normal_iteratorINS8_10device_ptrIbEEEENSA_INSB_IiEEEEjNS1_19radix_merge_compareILb1ELb1EbNS0_19identity_decomposerEEEEE10hipError_tT0_T1_T2_jT3_P12ihipStream_tbPNSt15iterator_traitsISK_E10value_typeEPNSQ_ISL_E10value_typeEPSM_NS1_7vsmem_tEENKUlT_SK_SL_SM_E_clISD_PbSF_PiEESJ_SZ_SK_SL_SM_EUlSZ_E0_NS1_11comp_targetILNS1_3genE9ELNS1_11target_archE1100ELNS1_3gpuE3ELNS1_3repE0EEENS1_38merge_mergepath_config_static_selectorELNS0_4arch9wavefront6targetE1EEEvSL_.numbered_sgpr, 0
	.set _ZN7rocprim17ROCPRIM_400000_NS6detail17trampoline_kernelINS0_14default_configENS1_38merge_sort_block_merge_config_selectorIbiEEZZNS1_27merge_sort_block_merge_implIS3_N6thrust23THRUST_200600_302600_NS6detail15normal_iteratorINS8_10device_ptrIbEEEENSA_INSB_IiEEEEjNS1_19radix_merge_compareILb1ELb1EbNS0_19identity_decomposerEEEEE10hipError_tT0_T1_T2_jT3_P12ihipStream_tbPNSt15iterator_traitsISK_E10value_typeEPNSQ_ISL_E10value_typeEPSM_NS1_7vsmem_tEENKUlT_SK_SL_SM_E_clISD_PbSF_PiEESJ_SZ_SK_SL_SM_EUlSZ_E0_NS1_11comp_targetILNS1_3genE9ELNS1_11target_archE1100ELNS1_3gpuE3ELNS1_3repE0EEENS1_38merge_mergepath_config_static_selectorELNS0_4arch9wavefront6targetE1EEEvSL_.num_named_barrier, 0
	.set _ZN7rocprim17ROCPRIM_400000_NS6detail17trampoline_kernelINS0_14default_configENS1_38merge_sort_block_merge_config_selectorIbiEEZZNS1_27merge_sort_block_merge_implIS3_N6thrust23THRUST_200600_302600_NS6detail15normal_iteratorINS8_10device_ptrIbEEEENSA_INSB_IiEEEEjNS1_19radix_merge_compareILb1ELb1EbNS0_19identity_decomposerEEEEE10hipError_tT0_T1_T2_jT3_P12ihipStream_tbPNSt15iterator_traitsISK_E10value_typeEPNSQ_ISL_E10value_typeEPSM_NS1_7vsmem_tEENKUlT_SK_SL_SM_E_clISD_PbSF_PiEESJ_SZ_SK_SL_SM_EUlSZ_E0_NS1_11comp_targetILNS1_3genE9ELNS1_11target_archE1100ELNS1_3gpuE3ELNS1_3repE0EEENS1_38merge_mergepath_config_static_selectorELNS0_4arch9wavefront6targetE1EEEvSL_.private_seg_size, 0
	.set _ZN7rocprim17ROCPRIM_400000_NS6detail17trampoline_kernelINS0_14default_configENS1_38merge_sort_block_merge_config_selectorIbiEEZZNS1_27merge_sort_block_merge_implIS3_N6thrust23THRUST_200600_302600_NS6detail15normal_iteratorINS8_10device_ptrIbEEEENSA_INSB_IiEEEEjNS1_19radix_merge_compareILb1ELb1EbNS0_19identity_decomposerEEEEE10hipError_tT0_T1_T2_jT3_P12ihipStream_tbPNSt15iterator_traitsISK_E10value_typeEPNSQ_ISL_E10value_typeEPSM_NS1_7vsmem_tEENKUlT_SK_SL_SM_E_clISD_PbSF_PiEESJ_SZ_SK_SL_SM_EUlSZ_E0_NS1_11comp_targetILNS1_3genE9ELNS1_11target_archE1100ELNS1_3gpuE3ELNS1_3repE0EEENS1_38merge_mergepath_config_static_selectorELNS0_4arch9wavefront6targetE1EEEvSL_.uses_vcc, 0
	.set _ZN7rocprim17ROCPRIM_400000_NS6detail17trampoline_kernelINS0_14default_configENS1_38merge_sort_block_merge_config_selectorIbiEEZZNS1_27merge_sort_block_merge_implIS3_N6thrust23THRUST_200600_302600_NS6detail15normal_iteratorINS8_10device_ptrIbEEEENSA_INSB_IiEEEEjNS1_19radix_merge_compareILb1ELb1EbNS0_19identity_decomposerEEEEE10hipError_tT0_T1_T2_jT3_P12ihipStream_tbPNSt15iterator_traitsISK_E10value_typeEPNSQ_ISL_E10value_typeEPSM_NS1_7vsmem_tEENKUlT_SK_SL_SM_E_clISD_PbSF_PiEESJ_SZ_SK_SL_SM_EUlSZ_E0_NS1_11comp_targetILNS1_3genE9ELNS1_11target_archE1100ELNS1_3gpuE3ELNS1_3repE0EEENS1_38merge_mergepath_config_static_selectorELNS0_4arch9wavefront6targetE1EEEvSL_.uses_flat_scratch, 0
	.set _ZN7rocprim17ROCPRIM_400000_NS6detail17trampoline_kernelINS0_14default_configENS1_38merge_sort_block_merge_config_selectorIbiEEZZNS1_27merge_sort_block_merge_implIS3_N6thrust23THRUST_200600_302600_NS6detail15normal_iteratorINS8_10device_ptrIbEEEENSA_INSB_IiEEEEjNS1_19radix_merge_compareILb1ELb1EbNS0_19identity_decomposerEEEEE10hipError_tT0_T1_T2_jT3_P12ihipStream_tbPNSt15iterator_traitsISK_E10value_typeEPNSQ_ISL_E10value_typeEPSM_NS1_7vsmem_tEENKUlT_SK_SL_SM_E_clISD_PbSF_PiEESJ_SZ_SK_SL_SM_EUlSZ_E0_NS1_11comp_targetILNS1_3genE9ELNS1_11target_archE1100ELNS1_3gpuE3ELNS1_3repE0EEENS1_38merge_mergepath_config_static_selectorELNS0_4arch9wavefront6targetE1EEEvSL_.has_dyn_sized_stack, 0
	.set _ZN7rocprim17ROCPRIM_400000_NS6detail17trampoline_kernelINS0_14default_configENS1_38merge_sort_block_merge_config_selectorIbiEEZZNS1_27merge_sort_block_merge_implIS3_N6thrust23THRUST_200600_302600_NS6detail15normal_iteratorINS8_10device_ptrIbEEEENSA_INSB_IiEEEEjNS1_19radix_merge_compareILb1ELb1EbNS0_19identity_decomposerEEEEE10hipError_tT0_T1_T2_jT3_P12ihipStream_tbPNSt15iterator_traitsISK_E10value_typeEPNSQ_ISL_E10value_typeEPSM_NS1_7vsmem_tEENKUlT_SK_SL_SM_E_clISD_PbSF_PiEESJ_SZ_SK_SL_SM_EUlSZ_E0_NS1_11comp_targetILNS1_3genE9ELNS1_11target_archE1100ELNS1_3gpuE3ELNS1_3repE0EEENS1_38merge_mergepath_config_static_selectorELNS0_4arch9wavefront6targetE1EEEvSL_.has_recursion, 0
	.set _ZN7rocprim17ROCPRIM_400000_NS6detail17trampoline_kernelINS0_14default_configENS1_38merge_sort_block_merge_config_selectorIbiEEZZNS1_27merge_sort_block_merge_implIS3_N6thrust23THRUST_200600_302600_NS6detail15normal_iteratorINS8_10device_ptrIbEEEENSA_INSB_IiEEEEjNS1_19radix_merge_compareILb1ELb1EbNS0_19identity_decomposerEEEEE10hipError_tT0_T1_T2_jT3_P12ihipStream_tbPNSt15iterator_traitsISK_E10value_typeEPNSQ_ISL_E10value_typeEPSM_NS1_7vsmem_tEENKUlT_SK_SL_SM_E_clISD_PbSF_PiEESJ_SZ_SK_SL_SM_EUlSZ_E0_NS1_11comp_targetILNS1_3genE9ELNS1_11target_archE1100ELNS1_3gpuE3ELNS1_3repE0EEENS1_38merge_mergepath_config_static_selectorELNS0_4arch9wavefront6targetE1EEEvSL_.has_indirect_call, 0
	.section	.AMDGPU.csdata,"",@progbits
; Kernel info:
; codeLenInByte = 0
; TotalNumSgprs: 6
; NumVgprs: 0
; NumAgprs: 0
; TotalNumVgprs: 0
; ScratchSize: 0
; MemoryBound: 0
; FloatMode: 240
; IeeeMode: 1
; LDSByteSize: 0 bytes/workgroup (compile time only)
; SGPRBlocks: 0
; VGPRBlocks: 0
; NumSGPRsForWavesPerEU: 6
; NumVGPRsForWavesPerEU: 1
; AccumOffset: 4
; Occupancy: 8
; WaveLimiterHint : 0
; COMPUTE_PGM_RSRC2:SCRATCH_EN: 0
; COMPUTE_PGM_RSRC2:USER_SGPR: 2
; COMPUTE_PGM_RSRC2:TRAP_HANDLER: 0
; COMPUTE_PGM_RSRC2:TGID_X_EN: 1
; COMPUTE_PGM_RSRC2:TGID_Y_EN: 0
; COMPUTE_PGM_RSRC2:TGID_Z_EN: 0
; COMPUTE_PGM_RSRC2:TIDIG_COMP_CNT: 0
; COMPUTE_PGM_RSRC3_GFX90A:ACCUM_OFFSET: 0
; COMPUTE_PGM_RSRC3_GFX90A:TG_SPLIT: 0
	.section	.text._ZN7rocprim17ROCPRIM_400000_NS6detail17trampoline_kernelINS0_14default_configENS1_38merge_sort_block_merge_config_selectorIbiEEZZNS1_27merge_sort_block_merge_implIS3_N6thrust23THRUST_200600_302600_NS6detail15normal_iteratorINS8_10device_ptrIbEEEENSA_INSB_IiEEEEjNS1_19radix_merge_compareILb1ELb1EbNS0_19identity_decomposerEEEEE10hipError_tT0_T1_T2_jT3_P12ihipStream_tbPNSt15iterator_traitsISK_E10value_typeEPNSQ_ISL_E10value_typeEPSM_NS1_7vsmem_tEENKUlT_SK_SL_SM_E_clISD_PbSF_PiEESJ_SZ_SK_SL_SM_EUlSZ_E0_NS1_11comp_targetILNS1_3genE8ELNS1_11target_archE1030ELNS1_3gpuE2ELNS1_3repE0EEENS1_38merge_mergepath_config_static_selectorELNS0_4arch9wavefront6targetE1EEEvSL_,"axG",@progbits,_ZN7rocprim17ROCPRIM_400000_NS6detail17trampoline_kernelINS0_14default_configENS1_38merge_sort_block_merge_config_selectorIbiEEZZNS1_27merge_sort_block_merge_implIS3_N6thrust23THRUST_200600_302600_NS6detail15normal_iteratorINS8_10device_ptrIbEEEENSA_INSB_IiEEEEjNS1_19radix_merge_compareILb1ELb1EbNS0_19identity_decomposerEEEEE10hipError_tT0_T1_T2_jT3_P12ihipStream_tbPNSt15iterator_traitsISK_E10value_typeEPNSQ_ISL_E10value_typeEPSM_NS1_7vsmem_tEENKUlT_SK_SL_SM_E_clISD_PbSF_PiEESJ_SZ_SK_SL_SM_EUlSZ_E0_NS1_11comp_targetILNS1_3genE8ELNS1_11target_archE1030ELNS1_3gpuE2ELNS1_3repE0EEENS1_38merge_mergepath_config_static_selectorELNS0_4arch9wavefront6targetE1EEEvSL_,comdat
	.protected	_ZN7rocprim17ROCPRIM_400000_NS6detail17trampoline_kernelINS0_14default_configENS1_38merge_sort_block_merge_config_selectorIbiEEZZNS1_27merge_sort_block_merge_implIS3_N6thrust23THRUST_200600_302600_NS6detail15normal_iteratorINS8_10device_ptrIbEEEENSA_INSB_IiEEEEjNS1_19radix_merge_compareILb1ELb1EbNS0_19identity_decomposerEEEEE10hipError_tT0_T1_T2_jT3_P12ihipStream_tbPNSt15iterator_traitsISK_E10value_typeEPNSQ_ISL_E10value_typeEPSM_NS1_7vsmem_tEENKUlT_SK_SL_SM_E_clISD_PbSF_PiEESJ_SZ_SK_SL_SM_EUlSZ_E0_NS1_11comp_targetILNS1_3genE8ELNS1_11target_archE1030ELNS1_3gpuE2ELNS1_3repE0EEENS1_38merge_mergepath_config_static_selectorELNS0_4arch9wavefront6targetE1EEEvSL_ ; -- Begin function _ZN7rocprim17ROCPRIM_400000_NS6detail17trampoline_kernelINS0_14default_configENS1_38merge_sort_block_merge_config_selectorIbiEEZZNS1_27merge_sort_block_merge_implIS3_N6thrust23THRUST_200600_302600_NS6detail15normal_iteratorINS8_10device_ptrIbEEEENSA_INSB_IiEEEEjNS1_19radix_merge_compareILb1ELb1EbNS0_19identity_decomposerEEEEE10hipError_tT0_T1_T2_jT3_P12ihipStream_tbPNSt15iterator_traitsISK_E10value_typeEPNSQ_ISL_E10value_typeEPSM_NS1_7vsmem_tEENKUlT_SK_SL_SM_E_clISD_PbSF_PiEESJ_SZ_SK_SL_SM_EUlSZ_E0_NS1_11comp_targetILNS1_3genE8ELNS1_11target_archE1030ELNS1_3gpuE2ELNS1_3repE0EEENS1_38merge_mergepath_config_static_selectorELNS0_4arch9wavefront6targetE1EEEvSL_
	.globl	_ZN7rocprim17ROCPRIM_400000_NS6detail17trampoline_kernelINS0_14default_configENS1_38merge_sort_block_merge_config_selectorIbiEEZZNS1_27merge_sort_block_merge_implIS3_N6thrust23THRUST_200600_302600_NS6detail15normal_iteratorINS8_10device_ptrIbEEEENSA_INSB_IiEEEEjNS1_19radix_merge_compareILb1ELb1EbNS0_19identity_decomposerEEEEE10hipError_tT0_T1_T2_jT3_P12ihipStream_tbPNSt15iterator_traitsISK_E10value_typeEPNSQ_ISL_E10value_typeEPSM_NS1_7vsmem_tEENKUlT_SK_SL_SM_E_clISD_PbSF_PiEESJ_SZ_SK_SL_SM_EUlSZ_E0_NS1_11comp_targetILNS1_3genE8ELNS1_11target_archE1030ELNS1_3gpuE2ELNS1_3repE0EEENS1_38merge_mergepath_config_static_selectorELNS0_4arch9wavefront6targetE1EEEvSL_
	.p2align	8
	.type	_ZN7rocprim17ROCPRIM_400000_NS6detail17trampoline_kernelINS0_14default_configENS1_38merge_sort_block_merge_config_selectorIbiEEZZNS1_27merge_sort_block_merge_implIS3_N6thrust23THRUST_200600_302600_NS6detail15normal_iteratorINS8_10device_ptrIbEEEENSA_INSB_IiEEEEjNS1_19radix_merge_compareILb1ELb1EbNS0_19identity_decomposerEEEEE10hipError_tT0_T1_T2_jT3_P12ihipStream_tbPNSt15iterator_traitsISK_E10value_typeEPNSQ_ISL_E10value_typeEPSM_NS1_7vsmem_tEENKUlT_SK_SL_SM_E_clISD_PbSF_PiEESJ_SZ_SK_SL_SM_EUlSZ_E0_NS1_11comp_targetILNS1_3genE8ELNS1_11target_archE1030ELNS1_3gpuE2ELNS1_3repE0EEENS1_38merge_mergepath_config_static_selectorELNS0_4arch9wavefront6targetE1EEEvSL_,@function
_ZN7rocprim17ROCPRIM_400000_NS6detail17trampoline_kernelINS0_14default_configENS1_38merge_sort_block_merge_config_selectorIbiEEZZNS1_27merge_sort_block_merge_implIS3_N6thrust23THRUST_200600_302600_NS6detail15normal_iteratorINS8_10device_ptrIbEEEENSA_INSB_IiEEEEjNS1_19radix_merge_compareILb1ELb1EbNS0_19identity_decomposerEEEEE10hipError_tT0_T1_T2_jT3_P12ihipStream_tbPNSt15iterator_traitsISK_E10value_typeEPNSQ_ISL_E10value_typeEPSM_NS1_7vsmem_tEENKUlT_SK_SL_SM_E_clISD_PbSF_PiEESJ_SZ_SK_SL_SM_EUlSZ_E0_NS1_11comp_targetILNS1_3genE8ELNS1_11target_archE1030ELNS1_3gpuE2ELNS1_3repE0EEENS1_38merge_mergepath_config_static_selectorELNS0_4arch9wavefront6targetE1EEEvSL_: ; @_ZN7rocprim17ROCPRIM_400000_NS6detail17trampoline_kernelINS0_14default_configENS1_38merge_sort_block_merge_config_selectorIbiEEZZNS1_27merge_sort_block_merge_implIS3_N6thrust23THRUST_200600_302600_NS6detail15normal_iteratorINS8_10device_ptrIbEEEENSA_INSB_IiEEEEjNS1_19radix_merge_compareILb1ELb1EbNS0_19identity_decomposerEEEEE10hipError_tT0_T1_T2_jT3_P12ihipStream_tbPNSt15iterator_traitsISK_E10value_typeEPNSQ_ISL_E10value_typeEPSM_NS1_7vsmem_tEENKUlT_SK_SL_SM_E_clISD_PbSF_PiEESJ_SZ_SK_SL_SM_EUlSZ_E0_NS1_11comp_targetILNS1_3genE8ELNS1_11target_archE1030ELNS1_3gpuE2ELNS1_3repE0EEENS1_38merge_mergepath_config_static_selectorELNS0_4arch9wavefront6targetE1EEEvSL_
; %bb.0:
	.section	.rodata,"a",@progbits
	.p2align	6, 0x0
	.amdhsa_kernel _ZN7rocprim17ROCPRIM_400000_NS6detail17trampoline_kernelINS0_14default_configENS1_38merge_sort_block_merge_config_selectorIbiEEZZNS1_27merge_sort_block_merge_implIS3_N6thrust23THRUST_200600_302600_NS6detail15normal_iteratorINS8_10device_ptrIbEEEENSA_INSB_IiEEEEjNS1_19radix_merge_compareILb1ELb1EbNS0_19identity_decomposerEEEEE10hipError_tT0_T1_T2_jT3_P12ihipStream_tbPNSt15iterator_traitsISK_E10value_typeEPNSQ_ISL_E10value_typeEPSM_NS1_7vsmem_tEENKUlT_SK_SL_SM_E_clISD_PbSF_PiEESJ_SZ_SK_SL_SM_EUlSZ_E0_NS1_11comp_targetILNS1_3genE8ELNS1_11target_archE1030ELNS1_3gpuE2ELNS1_3repE0EEENS1_38merge_mergepath_config_static_selectorELNS0_4arch9wavefront6targetE1EEEvSL_
		.amdhsa_group_segment_fixed_size 0
		.amdhsa_private_segment_fixed_size 0
		.amdhsa_kernarg_size 64
		.amdhsa_user_sgpr_count 2
		.amdhsa_user_sgpr_dispatch_ptr 0
		.amdhsa_user_sgpr_queue_ptr 0
		.amdhsa_user_sgpr_kernarg_segment_ptr 1
		.amdhsa_user_sgpr_dispatch_id 0
		.amdhsa_user_sgpr_kernarg_preload_length 0
		.amdhsa_user_sgpr_kernarg_preload_offset 0
		.amdhsa_user_sgpr_private_segment_size 0
		.amdhsa_uses_dynamic_stack 0
		.amdhsa_enable_private_segment 0
		.amdhsa_system_sgpr_workgroup_id_x 1
		.amdhsa_system_sgpr_workgroup_id_y 0
		.amdhsa_system_sgpr_workgroup_id_z 0
		.amdhsa_system_sgpr_workgroup_info 0
		.amdhsa_system_vgpr_workitem_id 0
		.amdhsa_next_free_vgpr 1
		.amdhsa_next_free_sgpr 0
		.amdhsa_accum_offset 4
		.amdhsa_reserve_vcc 0
		.amdhsa_float_round_mode_32 0
		.amdhsa_float_round_mode_16_64 0
		.amdhsa_float_denorm_mode_32 3
		.amdhsa_float_denorm_mode_16_64 3
		.amdhsa_dx10_clamp 1
		.amdhsa_ieee_mode 1
		.amdhsa_fp16_overflow 0
		.amdhsa_tg_split 0
		.amdhsa_exception_fp_ieee_invalid_op 0
		.amdhsa_exception_fp_denorm_src 0
		.amdhsa_exception_fp_ieee_div_zero 0
		.amdhsa_exception_fp_ieee_overflow 0
		.amdhsa_exception_fp_ieee_underflow 0
		.amdhsa_exception_fp_ieee_inexact 0
		.amdhsa_exception_int_div_zero 0
	.end_amdhsa_kernel
	.section	.text._ZN7rocprim17ROCPRIM_400000_NS6detail17trampoline_kernelINS0_14default_configENS1_38merge_sort_block_merge_config_selectorIbiEEZZNS1_27merge_sort_block_merge_implIS3_N6thrust23THRUST_200600_302600_NS6detail15normal_iteratorINS8_10device_ptrIbEEEENSA_INSB_IiEEEEjNS1_19radix_merge_compareILb1ELb1EbNS0_19identity_decomposerEEEEE10hipError_tT0_T1_T2_jT3_P12ihipStream_tbPNSt15iterator_traitsISK_E10value_typeEPNSQ_ISL_E10value_typeEPSM_NS1_7vsmem_tEENKUlT_SK_SL_SM_E_clISD_PbSF_PiEESJ_SZ_SK_SL_SM_EUlSZ_E0_NS1_11comp_targetILNS1_3genE8ELNS1_11target_archE1030ELNS1_3gpuE2ELNS1_3repE0EEENS1_38merge_mergepath_config_static_selectorELNS0_4arch9wavefront6targetE1EEEvSL_,"axG",@progbits,_ZN7rocprim17ROCPRIM_400000_NS6detail17trampoline_kernelINS0_14default_configENS1_38merge_sort_block_merge_config_selectorIbiEEZZNS1_27merge_sort_block_merge_implIS3_N6thrust23THRUST_200600_302600_NS6detail15normal_iteratorINS8_10device_ptrIbEEEENSA_INSB_IiEEEEjNS1_19radix_merge_compareILb1ELb1EbNS0_19identity_decomposerEEEEE10hipError_tT0_T1_T2_jT3_P12ihipStream_tbPNSt15iterator_traitsISK_E10value_typeEPNSQ_ISL_E10value_typeEPSM_NS1_7vsmem_tEENKUlT_SK_SL_SM_E_clISD_PbSF_PiEESJ_SZ_SK_SL_SM_EUlSZ_E0_NS1_11comp_targetILNS1_3genE8ELNS1_11target_archE1030ELNS1_3gpuE2ELNS1_3repE0EEENS1_38merge_mergepath_config_static_selectorELNS0_4arch9wavefront6targetE1EEEvSL_,comdat
.Lfunc_end2191:
	.size	_ZN7rocprim17ROCPRIM_400000_NS6detail17trampoline_kernelINS0_14default_configENS1_38merge_sort_block_merge_config_selectorIbiEEZZNS1_27merge_sort_block_merge_implIS3_N6thrust23THRUST_200600_302600_NS6detail15normal_iteratorINS8_10device_ptrIbEEEENSA_INSB_IiEEEEjNS1_19radix_merge_compareILb1ELb1EbNS0_19identity_decomposerEEEEE10hipError_tT0_T1_T2_jT3_P12ihipStream_tbPNSt15iterator_traitsISK_E10value_typeEPNSQ_ISL_E10value_typeEPSM_NS1_7vsmem_tEENKUlT_SK_SL_SM_E_clISD_PbSF_PiEESJ_SZ_SK_SL_SM_EUlSZ_E0_NS1_11comp_targetILNS1_3genE8ELNS1_11target_archE1030ELNS1_3gpuE2ELNS1_3repE0EEENS1_38merge_mergepath_config_static_selectorELNS0_4arch9wavefront6targetE1EEEvSL_, .Lfunc_end2191-_ZN7rocprim17ROCPRIM_400000_NS6detail17trampoline_kernelINS0_14default_configENS1_38merge_sort_block_merge_config_selectorIbiEEZZNS1_27merge_sort_block_merge_implIS3_N6thrust23THRUST_200600_302600_NS6detail15normal_iteratorINS8_10device_ptrIbEEEENSA_INSB_IiEEEEjNS1_19radix_merge_compareILb1ELb1EbNS0_19identity_decomposerEEEEE10hipError_tT0_T1_T2_jT3_P12ihipStream_tbPNSt15iterator_traitsISK_E10value_typeEPNSQ_ISL_E10value_typeEPSM_NS1_7vsmem_tEENKUlT_SK_SL_SM_E_clISD_PbSF_PiEESJ_SZ_SK_SL_SM_EUlSZ_E0_NS1_11comp_targetILNS1_3genE8ELNS1_11target_archE1030ELNS1_3gpuE2ELNS1_3repE0EEENS1_38merge_mergepath_config_static_selectorELNS0_4arch9wavefront6targetE1EEEvSL_
                                        ; -- End function
	.set _ZN7rocprim17ROCPRIM_400000_NS6detail17trampoline_kernelINS0_14default_configENS1_38merge_sort_block_merge_config_selectorIbiEEZZNS1_27merge_sort_block_merge_implIS3_N6thrust23THRUST_200600_302600_NS6detail15normal_iteratorINS8_10device_ptrIbEEEENSA_INSB_IiEEEEjNS1_19radix_merge_compareILb1ELb1EbNS0_19identity_decomposerEEEEE10hipError_tT0_T1_T2_jT3_P12ihipStream_tbPNSt15iterator_traitsISK_E10value_typeEPNSQ_ISL_E10value_typeEPSM_NS1_7vsmem_tEENKUlT_SK_SL_SM_E_clISD_PbSF_PiEESJ_SZ_SK_SL_SM_EUlSZ_E0_NS1_11comp_targetILNS1_3genE8ELNS1_11target_archE1030ELNS1_3gpuE2ELNS1_3repE0EEENS1_38merge_mergepath_config_static_selectorELNS0_4arch9wavefront6targetE1EEEvSL_.num_vgpr, 0
	.set _ZN7rocprim17ROCPRIM_400000_NS6detail17trampoline_kernelINS0_14default_configENS1_38merge_sort_block_merge_config_selectorIbiEEZZNS1_27merge_sort_block_merge_implIS3_N6thrust23THRUST_200600_302600_NS6detail15normal_iteratorINS8_10device_ptrIbEEEENSA_INSB_IiEEEEjNS1_19radix_merge_compareILb1ELb1EbNS0_19identity_decomposerEEEEE10hipError_tT0_T1_T2_jT3_P12ihipStream_tbPNSt15iterator_traitsISK_E10value_typeEPNSQ_ISL_E10value_typeEPSM_NS1_7vsmem_tEENKUlT_SK_SL_SM_E_clISD_PbSF_PiEESJ_SZ_SK_SL_SM_EUlSZ_E0_NS1_11comp_targetILNS1_3genE8ELNS1_11target_archE1030ELNS1_3gpuE2ELNS1_3repE0EEENS1_38merge_mergepath_config_static_selectorELNS0_4arch9wavefront6targetE1EEEvSL_.num_agpr, 0
	.set _ZN7rocprim17ROCPRIM_400000_NS6detail17trampoline_kernelINS0_14default_configENS1_38merge_sort_block_merge_config_selectorIbiEEZZNS1_27merge_sort_block_merge_implIS3_N6thrust23THRUST_200600_302600_NS6detail15normal_iteratorINS8_10device_ptrIbEEEENSA_INSB_IiEEEEjNS1_19radix_merge_compareILb1ELb1EbNS0_19identity_decomposerEEEEE10hipError_tT0_T1_T2_jT3_P12ihipStream_tbPNSt15iterator_traitsISK_E10value_typeEPNSQ_ISL_E10value_typeEPSM_NS1_7vsmem_tEENKUlT_SK_SL_SM_E_clISD_PbSF_PiEESJ_SZ_SK_SL_SM_EUlSZ_E0_NS1_11comp_targetILNS1_3genE8ELNS1_11target_archE1030ELNS1_3gpuE2ELNS1_3repE0EEENS1_38merge_mergepath_config_static_selectorELNS0_4arch9wavefront6targetE1EEEvSL_.numbered_sgpr, 0
	.set _ZN7rocprim17ROCPRIM_400000_NS6detail17trampoline_kernelINS0_14default_configENS1_38merge_sort_block_merge_config_selectorIbiEEZZNS1_27merge_sort_block_merge_implIS3_N6thrust23THRUST_200600_302600_NS6detail15normal_iteratorINS8_10device_ptrIbEEEENSA_INSB_IiEEEEjNS1_19radix_merge_compareILb1ELb1EbNS0_19identity_decomposerEEEEE10hipError_tT0_T1_T2_jT3_P12ihipStream_tbPNSt15iterator_traitsISK_E10value_typeEPNSQ_ISL_E10value_typeEPSM_NS1_7vsmem_tEENKUlT_SK_SL_SM_E_clISD_PbSF_PiEESJ_SZ_SK_SL_SM_EUlSZ_E0_NS1_11comp_targetILNS1_3genE8ELNS1_11target_archE1030ELNS1_3gpuE2ELNS1_3repE0EEENS1_38merge_mergepath_config_static_selectorELNS0_4arch9wavefront6targetE1EEEvSL_.num_named_barrier, 0
	.set _ZN7rocprim17ROCPRIM_400000_NS6detail17trampoline_kernelINS0_14default_configENS1_38merge_sort_block_merge_config_selectorIbiEEZZNS1_27merge_sort_block_merge_implIS3_N6thrust23THRUST_200600_302600_NS6detail15normal_iteratorINS8_10device_ptrIbEEEENSA_INSB_IiEEEEjNS1_19radix_merge_compareILb1ELb1EbNS0_19identity_decomposerEEEEE10hipError_tT0_T1_T2_jT3_P12ihipStream_tbPNSt15iterator_traitsISK_E10value_typeEPNSQ_ISL_E10value_typeEPSM_NS1_7vsmem_tEENKUlT_SK_SL_SM_E_clISD_PbSF_PiEESJ_SZ_SK_SL_SM_EUlSZ_E0_NS1_11comp_targetILNS1_3genE8ELNS1_11target_archE1030ELNS1_3gpuE2ELNS1_3repE0EEENS1_38merge_mergepath_config_static_selectorELNS0_4arch9wavefront6targetE1EEEvSL_.private_seg_size, 0
	.set _ZN7rocprim17ROCPRIM_400000_NS6detail17trampoline_kernelINS0_14default_configENS1_38merge_sort_block_merge_config_selectorIbiEEZZNS1_27merge_sort_block_merge_implIS3_N6thrust23THRUST_200600_302600_NS6detail15normal_iteratorINS8_10device_ptrIbEEEENSA_INSB_IiEEEEjNS1_19radix_merge_compareILb1ELb1EbNS0_19identity_decomposerEEEEE10hipError_tT0_T1_T2_jT3_P12ihipStream_tbPNSt15iterator_traitsISK_E10value_typeEPNSQ_ISL_E10value_typeEPSM_NS1_7vsmem_tEENKUlT_SK_SL_SM_E_clISD_PbSF_PiEESJ_SZ_SK_SL_SM_EUlSZ_E0_NS1_11comp_targetILNS1_3genE8ELNS1_11target_archE1030ELNS1_3gpuE2ELNS1_3repE0EEENS1_38merge_mergepath_config_static_selectorELNS0_4arch9wavefront6targetE1EEEvSL_.uses_vcc, 0
	.set _ZN7rocprim17ROCPRIM_400000_NS6detail17trampoline_kernelINS0_14default_configENS1_38merge_sort_block_merge_config_selectorIbiEEZZNS1_27merge_sort_block_merge_implIS3_N6thrust23THRUST_200600_302600_NS6detail15normal_iteratorINS8_10device_ptrIbEEEENSA_INSB_IiEEEEjNS1_19radix_merge_compareILb1ELb1EbNS0_19identity_decomposerEEEEE10hipError_tT0_T1_T2_jT3_P12ihipStream_tbPNSt15iterator_traitsISK_E10value_typeEPNSQ_ISL_E10value_typeEPSM_NS1_7vsmem_tEENKUlT_SK_SL_SM_E_clISD_PbSF_PiEESJ_SZ_SK_SL_SM_EUlSZ_E0_NS1_11comp_targetILNS1_3genE8ELNS1_11target_archE1030ELNS1_3gpuE2ELNS1_3repE0EEENS1_38merge_mergepath_config_static_selectorELNS0_4arch9wavefront6targetE1EEEvSL_.uses_flat_scratch, 0
	.set _ZN7rocprim17ROCPRIM_400000_NS6detail17trampoline_kernelINS0_14default_configENS1_38merge_sort_block_merge_config_selectorIbiEEZZNS1_27merge_sort_block_merge_implIS3_N6thrust23THRUST_200600_302600_NS6detail15normal_iteratorINS8_10device_ptrIbEEEENSA_INSB_IiEEEEjNS1_19radix_merge_compareILb1ELb1EbNS0_19identity_decomposerEEEEE10hipError_tT0_T1_T2_jT3_P12ihipStream_tbPNSt15iterator_traitsISK_E10value_typeEPNSQ_ISL_E10value_typeEPSM_NS1_7vsmem_tEENKUlT_SK_SL_SM_E_clISD_PbSF_PiEESJ_SZ_SK_SL_SM_EUlSZ_E0_NS1_11comp_targetILNS1_3genE8ELNS1_11target_archE1030ELNS1_3gpuE2ELNS1_3repE0EEENS1_38merge_mergepath_config_static_selectorELNS0_4arch9wavefront6targetE1EEEvSL_.has_dyn_sized_stack, 0
	.set _ZN7rocprim17ROCPRIM_400000_NS6detail17trampoline_kernelINS0_14default_configENS1_38merge_sort_block_merge_config_selectorIbiEEZZNS1_27merge_sort_block_merge_implIS3_N6thrust23THRUST_200600_302600_NS6detail15normal_iteratorINS8_10device_ptrIbEEEENSA_INSB_IiEEEEjNS1_19radix_merge_compareILb1ELb1EbNS0_19identity_decomposerEEEEE10hipError_tT0_T1_T2_jT3_P12ihipStream_tbPNSt15iterator_traitsISK_E10value_typeEPNSQ_ISL_E10value_typeEPSM_NS1_7vsmem_tEENKUlT_SK_SL_SM_E_clISD_PbSF_PiEESJ_SZ_SK_SL_SM_EUlSZ_E0_NS1_11comp_targetILNS1_3genE8ELNS1_11target_archE1030ELNS1_3gpuE2ELNS1_3repE0EEENS1_38merge_mergepath_config_static_selectorELNS0_4arch9wavefront6targetE1EEEvSL_.has_recursion, 0
	.set _ZN7rocprim17ROCPRIM_400000_NS6detail17trampoline_kernelINS0_14default_configENS1_38merge_sort_block_merge_config_selectorIbiEEZZNS1_27merge_sort_block_merge_implIS3_N6thrust23THRUST_200600_302600_NS6detail15normal_iteratorINS8_10device_ptrIbEEEENSA_INSB_IiEEEEjNS1_19radix_merge_compareILb1ELb1EbNS0_19identity_decomposerEEEEE10hipError_tT0_T1_T2_jT3_P12ihipStream_tbPNSt15iterator_traitsISK_E10value_typeEPNSQ_ISL_E10value_typeEPSM_NS1_7vsmem_tEENKUlT_SK_SL_SM_E_clISD_PbSF_PiEESJ_SZ_SK_SL_SM_EUlSZ_E0_NS1_11comp_targetILNS1_3genE8ELNS1_11target_archE1030ELNS1_3gpuE2ELNS1_3repE0EEENS1_38merge_mergepath_config_static_selectorELNS0_4arch9wavefront6targetE1EEEvSL_.has_indirect_call, 0
	.section	.AMDGPU.csdata,"",@progbits
; Kernel info:
; codeLenInByte = 0
; TotalNumSgprs: 6
; NumVgprs: 0
; NumAgprs: 0
; TotalNumVgprs: 0
; ScratchSize: 0
; MemoryBound: 0
; FloatMode: 240
; IeeeMode: 1
; LDSByteSize: 0 bytes/workgroup (compile time only)
; SGPRBlocks: 0
; VGPRBlocks: 0
; NumSGPRsForWavesPerEU: 6
; NumVGPRsForWavesPerEU: 1
; AccumOffset: 4
; Occupancy: 8
; WaveLimiterHint : 0
; COMPUTE_PGM_RSRC2:SCRATCH_EN: 0
; COMPUTE_PGM_RSRC2:USER_SGPR: 2
; COMPUTE_PGM_RSRC2:TRAP_HANDLER: 0
; COMPUTE_PGM_RSRC2:TGID_X_EN: 1
; COMPUTE_PGM_RSRC2:TGID_Y_EN: 0
; COMPUTE_PGM_RSRC2:TGID_Z_EN: 0
; COMPUTE_PGM_RSRC2:TIDIG_COMP_CNT: 0
; COMPUTE_PGM_RSRC3_GFX90A:ACCUM_OFFSET: 0
; COMPUTE_PGM_RSRC3_GFX90A:TG_SPLIT: 0
	.section	.text._ZN7rocprim17ROCPRIM_400000_NS6detail17trampoline_kernelINS0_14default_configENS1_38merge_sort_block_merge_config_selectorIbiEEZZNS1_27merge_sort_block_merge_implIS3_N6thrust23THRUST_200600_302600_NS6detail15normal_iteratorINS8_10device_ptrIbEEEENSA_INSB_IiEEEEjNS1_19radix_merge_compareILb1ELb1EbNS0_19identity_decomposerEEEEE10hipError_tT0_T1_T2_jT3_P12ihipStream_tbPNSt15iterator_traitsISK_E10value_typeEPNSQ_ISL_E10value_typeEPSM_NS1_7vsmem_tEENKUlT_SK_SL_SM_E_clISD_PbSF_PiEESJ_SZ_SK_SL_SM_EUlSZ_E1_NS1_11comp_targetILNS1_3genE0ELNS1_11target_archE4294967295ELNS1_3gpuE0ELNS1_3repE0EEENS1_36merge_oddeven_config_static_selectorELNS0_4arch9wavefront6targetE1EEEvSL_,"axG",@progbits,_ZN7rocprim17ROCPRIM_400000_NS6detail17trampoline_kernelINS0_14default_configENS1_38merge_sort_block_merge_config_selectorIbiEEZZNS1_27merge_sort_block_merge_implIS3_N6thrust23THRUST_200600_302600_NS6detail15normal_iteratorINS8_10device_ptrIbEEEENSA_INSB_IiEEEEjNS1_19radix_merge_compareILb1ELb1EbNS0_19identity_decomposerEEEEE10hipError_tT0_T1_T2_jT3_P12ihipStream_tbPNSt15iterator_traitsISK_E10value_typeEPNSQ_ISL_E10value_typeEPSM_NS1_7vsmem_tEENKUlT_SK_SL_SM_E_clISD_PbSF_PiEESJ_SZ_SK_SL_SM_EUlSZ_E1_NS1_11comp_targetILNS1_3genE0ELNS1_11target_archE4294967295ELNS1_3gpuE0ELNS1_3repE0EEENS1_36merge_oddeven_config_static_selectorELNS0_4arch9wavefront6targetE1EEEvSL_,comdat
	.protected	_ZN7rocprim17ROCPRIM_400000_NS6detail17trampoline_kernelINS0_14default_configENS1_38merge_sort_block_merge_config_selectorIbiEEZZNS1_27merge_sort_block_merge_implIS3_N6thrust23THRUST_200600_302600_NS6detail15normal_iteratorINS8_10device_ptrIbEEEENSA_INSB_IiEEEEjNS1_19radix_merge_compareILb1ELb1EbNS0_19identity_decomposerEEEEE10hipError_tT0_T1_T2_jT3_P12ihipStream_tbPNSt15iterator_traitsISK_E10value_typeEPNSQ_ISL_E10value_typeEPSM_NS1_7vsmem_tEENKUlT_SK_SL_SM_E_clISD_PbSF_PiEESJ_SZ_SK_SL_SM_EUlSZ_E1_NS1_11comp_targetILNS1_3genE0ELNS1_11target_archE4294967295ELNS1_3gpuE0ELNS1_3repE0EEENS1_36merge_oddeven_config_static_selectorELNS0_4arch9wavefront6targetE1EEEvSL_ ; -- Begin function _ZN7rocprim17ROCPRIM_400000_NS6detail17trampoline_kernelINS0_14default_configENS1_38merge_sort_block_merge_config_selectorIbiEEZZNS1_27merge_sort_block_merge_implIS3_N6thrust23THRUST_200600_302600_NS6detail15normal_iteratorINS8_10device_ptrIbEEEENSA_INSB_IiEEEEjNS1_19radix_merge_compareILb1ELb1EbNS0_19identity_decomposerEEEEE10hipError_tT0_T1_T2_jT3_P12ihipStream_tbPNSt15iterator_traitsISK_E10value_typeEPNSQ_ISL_E10value_typeEPSM_NS1_7vsmem_tEENKUlT_SK_SL_SM_E_clISD_PbSF_PiEESJ_SZ_SK_SL_SM_EUlSZ_E1_NS1_11comp_targetILNS1_3genE0ELNS1_11target_archE4294967295ELNS1_3gpuE0ELNS1_3repE0EEENS1_36merge_oddeven_config_static_selectorELNS0_4arch9wavefront6targetE1EEEvSL_
	.globl	_ZN7rocprim17ROCPRIM_400000_NS6detail17trampoline_kernelINS0_14default_configENS1_38merge_sort_block_merge_config_selectorIbiEEZZNS1_27merge_sort_block_merge_implIS3_N6thrust23THRUST_200600_302600_NS6detail15normal_iteratorINS8_10device_ptrIbEEEENSA_INSB_IiEEEEjNS1_19radix_merge_compareILb1ELb1EbNS0_19identity_decomposerEEEEE10hipError_tT0_T1_T2_jT3_P12ihipStream_tbPNSt15iterator_traitsISK_E10value_typeEPNSQ_ISL_E10value_typeEPSM_NS1_7vsmem_tEENKUlT_SK_SL_SM_E_clISD_PbSF_PiEESJ_SZ_SK_SL_SM_EUlSZ_E1_NS1_11comp_targetILNS1_3genE0ELNS1_11target_archE4294967295ELNS1_3gpuE0ELNS1_3repE0EEENS1_36merge_oddeven_config_static_selectorELNS0_4arch9wavefront6targetE1EEEvSL_
	.p2align	8
	.type	_ZN7rocprim17ROCPRIM_400000_NS6detail17trampoline_kernelINS0_14default_configENS1_38merge_sort_block_merge_config_selectorIbiEEZZNS1_27merge_sort_block_merge_implIS3_N6thrust23THRUST_200600_302600_NS6detail15normal_iteratorINS8_10device_ptrIbEEEENSA_INSB_IiEEEEjNS1_19radix_merge_compareILb1ELb1EbNS0_19identity_decomposerEEEEE10hipError_tT0_T1_T2_jT3_P12ihipStream_tbPNSt15iterator_traitsISK_E10value_typeEPNSQ_ISL_E10value_typeEPSM_NS1_7vsmem_tEENKUlT_SK_SL_SM_E_clISD_PbSF_PiEESJ_SZ_SK_SL_SM_EUlSZ_E1_NS1_11comp_targetILNS1_3genE0ELNS1_11target_archE4294967295ELNS1_3gpuE0ELNS1_3repE0EEENS1_36merge_oddeven_config_static_selectorELNS0_4arch9wavefront6targetE1EEEvSL_,@function
_ZN7rocprim17ROCPRIM_400000_NS6detail17trampoline_kernelINS0_14default_configENS1_38merge_sort_block_merge_config_selectorIbiEEZZNS1_27merge_sort_block_merge_implIS3_N6thrust23THRUST_200600_302600_NS6detail15normal_iteratorINS8_10device_ptrIbEEEENSA_INSB_IiEEEEjNS1_19radix_merge_compareILb1ELb1EbNS0_19identity_decomposerEEEEE10hipError_tT0_T1_T2_jT3_P12ihipStream_tbPNSt15iterator_traitsISK_E10value_typeEPNSQ_ISL_E10value_typeEPSM_NS1_7vsmem_tEENKUlT_SK_SL_SM_E_clISD_PbSF_PiEESJ_SZ_SK_SL_SM_EUlSZ_E1_NS1_11comp_targetILNS1_3genE0ELNS1_11target_archE4294967295ELNS1_3gpuE0ELNS1_3repE0EEENS1_36merge_oddeven_config_static_selectorELNS0_4arch9wavefront6targetE1EEEvSL_: ; @_ZN7rocprim17ROCPRIM_400000_NS6detail17trampoline_kernelINS0_14default_configENS1_38merge_sort_block_merge_config_selectorIbiEEZZNS1_27merge_sort_block_merge_implIS3_N6thrust23THRUST_200600_302600_NS6detail15normal_iteratorINS8_10device_ptrIbEEEENSA_INSB_IiEEEEjNS1_19radix_merge_compareILb1ELb1EbNS0_19identity_decomposerEEEEE10hipError_tT0_T1_T2_jT3_P12ihipStream_tbPNSt15iterator_traitsISK_E10value_typeEPNSQ_ISL_E10value_typeEPSM_NS1_7vsmem_tEENKUlT_SK_SL_SM_E_clISD_PbSF_PiEESJ_SZ_SK_SL_SM_EUlSZ_E1_NS1_11comp_targetILNS1_3genE0ELNS1_11target_archE4294967295ELNS1_3gpuE0ELNS1_3repE0EEENS1_36merge_oddeven_config_static_selectorELNS0_4arch9wavefront6targetE1EEEvSL_
; %bb.0:
	s_load_dwordx2 s[6:7], s[0:1], 0x4
	v_and_b32_e32 v1, 0x3ff, v0
	v_bfe_u32 v3, v0, 10, 10
	v_bfe_u32 v0, v0, 20, 10
	s_waitcnt lgkmcnt(0)
	s_lshr_b32 s0, s6, 16
	s_mul_i32 s0, s0, s7
	v_mul_lo_u32 v2, s0, v1
	s_load_dwordx2 s[18:19], s[2:3], 0x20
	s_load_dword s0, s[2:3], 0x28
	v_mul_u32_u24_e32 v3, s7, v3
	v_add3_u32 v4, v2, v3, v0
	s_waitcnt lgkmcnt(0)
	s_and_b32 s0, s0, 1
	v_mov_b32_e32 v0, s0
	s_lshr_b32 s0, s18, 8
	s_cmp_eq_u32 s4, s0
	s_cselect_b64 s[16:17], -1, 0
	s_cmp_lg_u32 s4, s0
	s_cselect_b64 s[0:1], -1, 0
	s_lshl_b32 s20, s4, 8
	s_sub_i32 s5, s18, s20
	v_cmp_gt_u32_e64 s[6:7], s5, v1
	s_or_b64 s[0:1], s[0:1], s[6:7]
	ds_write_b8 v4, v0
	s_and_saveexec_b64 s[8:9], s[0:1]
	s_cbranch_execz .LBB2192_24
; %bb.1:
	s_load_dwordx8 s[8:15], s[2:3], 0x0
	s_mov_b32 s21, 0
	v_lshlrev_b32_e32 v0, 2, v1
	s_waitcnt lgkmcnt(0)
	s_add_u32 s0, s8, s20
	s_addc_u32 s1, s9, 0
	s_lshl_b64 s[2:3], s[20:21], 2
	s_add_u32 s2, s12, s2
	s_addc_u32 s3, s13, s3
	global_load_dword v2, v0, s[2:3]
	global_load_ubyte v3, v1, s[0:1]
	s_lshr_b32 s0, s19, 8
	s_sub_i32 s1, 0, s0
	s_and_b32 s1, s4, s1
	s_and_b32 s0, s1, s0
	s_lshl_b32 s4, s1, 8
	s_sub_i32 s5, 0, s19
	s_cmp_eq_u32 s0, 0
	s_cselect_b64 s[0:1], -1, 0
	s_and_b64 s[2:3], s[0:1], exec
	s_cselect_b32 s12, s19, s5
	s_add_i32 s12, s12, s4
	s_mov_b64 s[2:3], -1
	s_cmp_gt_u32 s18, s12
	v_add_u32_e32 v0, s20, v1
	s_cbranch_scc1 .LBB2192_9
; %bb.2:
	s_and_b64 vcc, exec, s[16:17]
	s_cbranch_vccz .LBB2192_6
; %bb.3:
	v_cmp_gt_u32_e32 vcc, s18, v0
	s_and_saveexec_b64 s[2:3], vcc
	s_cbranch_execz .LBB2192_5
; %bb.4:
	v_mov_b32_e32 v1, 0
	v_lshl_add_u64 v[6:7], v[0:1], 2, s[14:15]
	s_waitcnt vmcnt(0)
	global_store_byte v0, v3, s[10:11]
	global_store_dword v[6:7], v2, off
.LBB2192_5:
	s_or_b64 exec, exec, s[2:3]
	s_mov_b64 s[2:3], 0
.LBB2192_6:
	s_andn2_b64 vcc, exec, s[2:3]
	s_cbranch_vccnz .LBB2192_8
; %bb.7:
	v_mov_b32_e32 v1, 0
	v_lshl_add_u64 v[6:7], v[0:1], 2, s[14:15]
	s_waitcnt vmcnt(0)
	global_store_byte v0, v3, s[10:11]
	global_store_dword v[6:7], v2, off
.LBB2192_8:
	s_mov_b64 s[2:3], 0
.LBB2192_9:
	s_andn2_b64 vcc, exec, s[2:3]
	s_cbranch_vccnz .LBB2192_24
; %bb.10:
	ds_read_u8 v1, v4
	s_min_u32 s13, s12, s18
	s_add_i32 s2, s13, s19
	s_min_u32 s18, s2, s18
	s_min_u32 s2, s4, s13
	s_add_i32 s4, s4, s13
	v_subrev_u32_e32 v0, s4, v0
	v_add_u32_e32 v0, s2, v0
	s_waitcnt vmcnt(0) lgkmcnt(0)
	v_and_b32_e32 v4, v1, v3
	s_mov_b64 s[2:3], -1
	s_and_b64 vcc, exec, s[16:17]
	s_cbranch_vccz .LBB2192_18
; %bb.11:
	s_and_saveexec_b64 s[2:3], s[6:7]
	s_cbranch_execz .LBB2192_17
; %bb.12:
	s_cmp_ge_u32 s12, s18
	v_mov_b32_e32 v5, s13
	s_cbranch_scc1 .LBB2192_16
; %bb.13:
	s_mov_b64 s[4:5], 0
	v_mov_b32_e32 v6, s18
	v_mov_b32_e32 v5, s13
.LBB2192_14:                            ; =>This Inner Loop Header: Depth=1
	v_add_u32_e32 v7, v5, v6
	v_lshrrev_b32_e32 v7, 1, v7
	global_load_ubyte v8, v7, s[8:9]
	v_add_u32_e32 v9, 1, v7
	s_waitcnt vmcnt(0)
	v_and_b32_e32 v8, v1, v8
	v_cmp_gt_u16_sdwa s[6:7], v8, v4 src0_sel:DWORD src1_sel:BYTE_0
	s_nop 1
	v_cndmask_b32_e64 v10, 0, 1, s[6:7]
	v_cmp_le_u16_sdwa s[6:7], v4, v8 src0_sel:BYTE_0 src1_sel:DWORD
	s_nop 1
	v_cndmask_b32_e64 v8, 0, 1, s[6:7]
	v_cndmask_b32_e64 v8, v8, v10, s[0:1]
	v_and_b32_e32 v8, 1, v8
	v_cmp_eq_u32_e32 vcc, 1, v8
	s_nop 1
	v_cndmask_b32_e32 v6, v7, v6, vcc
	v_cndmask_b32_e32 v5, v5, v9, vcc
	v_cmp_ge_u32_e32 vcc, v5, v6
	s_or_b64 s[4:5], vcc, s[4:5]
	s_andn2_b64 exec, exec, s[4:5]
	s_cbranch_execnz .LBB2192_14
; %bb.15:
	s_or_b64 exec, exec, s[4:5]
.LBB2192_16:
	v_add_u32_e32 v6, v5, v0
	v_mov_b32_e32 v7, 0
	global_store_byte v6, v3, s[10:11]
	v_lshl_add_u64 v[6:7], v[6:7], 2, s[14:15]
	global_store_dword v[6:7], v2, off
.LBB2192_17:
	s_or_b64 exec, exec, s[2:3]
	s_mov_b64 s[2:3], 0
.LBB2192_18:
	s_andn2_b64 vcc, exec, s[2:3]
	s_cbranch_vccnz .LBB2192_24
; %bb.19:
	s_cmp_ge_u32 s12, s18
	v_mov_b32_e32 v5, s13
	s_cbranch_scc1 .LBB2192_23
; %bb.20:
	s_mov_b64 s[2:3], 0
	v_mov_b32_e32 v6, s18
	v_mov_b32_e32 v5, s13
.LBB2192_21:                            ; =>This Inner Loop Header: Depth=1
	v_add_u32_e32 v7, v5, v6
	v_lshrrev_b32_e32 v7, 1, v7
	global_load_ubyte v8, v7, s[8:9]
	v_add_u32_e32 v9, 1, v7
	s_waitcnt vmcnt(0)
	v_and_b32_e32 v8, v1, v8
	v_cmp_gt_u16_sdwa s[4:5], v8, v4 src0_sel:DWORD src1_sel:BYTE_0
	s_nop 1
	v_cndmask_b32_e64 v10, 0, 1, s[4:5]
	v_cmp_le_u16_sdwa s[4:5], v4, v8 src0_sel:BYTE_0 src1_sel:DWORD
	s_nop 1
	v_cndmask_b32_e64 v8, 0, 1, s[4:5]
	v_cndmask_b32_e64 v8, v8, v10, s[0:1]
	v_and_b32_e32 v8, 1, v8
	v_cmp_eq_u32_e32 vcc, 1, v8
	s_nop 1
	v_cndmask_b32_e32 v6, v7, v6, vcc
	v_cndmask_b32_e32 v5, v5, v9, vcc
	v_cmp_ge_u32_e32 vcc, v5, v6
	s_or_b64 s[2:3], vcc, s[2:3]
	s_andn2_b64 exec, exec, s[2:3]
	s_cbranch_execnz .LBB2192_21
; %bb.22:
	s_or_b64 exec, exec, s[2:3]
.LBB2192_23:
	v_add_u32_e32 v0, v5, v0
	v_mov_b32_e32 v1, 0
	global_store_byte v0, v3, s[10:11]
	v_lshl_add_u64 v[0:1], v[0:1], 2, s[14:15]
	global_store_dword v[0:1], v2, off
.LBB2192_24:
	s_endpgm
	.section	.rodata,"a",@progbits
	.p2align	6, 0x0
	.amdhsa_kernel _ZN7rocprim17ROCPRIM_400000_NS6detail17trampoline_kernelINS0_14default_configENS1_38merge_sort_block_merge_config_selectorIbiEEZZNS1_27merge_sort_block_merge_implIS3_N6thrust23THRUST_200600_302600_NS6detail15normal_iteratorINS8_10device_ptrIbEEEENSA_INSB_IiEEEEjNS1_19radix_merge_compareILb1ELb1EbNS0_19identity_decomposerEEEEE10hipError_tT0_T1_T2_jT3_P12ihipStream_tbPNSt15iterator_traitsISK_E10value_typeEPNSQ_ISL_E10value_typeEPSM_NS1_7vsmem_tEENKUlT_SK_SL_SM_E_clISD_PbSF_PiEESJ_SZ_SK_SL_SM_EUlSZ_E1_NS1_11comp_targetILNS1_3genE0ELNS1_11target_archE4294967295ELNS1_3gpuE0ELNS1_3repE0EEENS1_36merge_oddeven_config_static_selectorELNS0_4arch9wavefront6targetE1EEEvSL_
		.amdhsa_group_segment_fixed_size 256
		.amdhsa_private_segment_fixed_size 0
		.amdhsa_kernarg_size 48
		.amdhsa_user_sgpr_count 4
		.amdhsa_user_sgpr_dispatch_ptr 1
		.amdhsa_user_sgpr_queue_ptr 0
		.amdhsa_user_sgpr_kernarg_segment_ptr 1
		.amdhsa_user_sgpr_dispatch_id 0
		.amdhsa_user_sgpr_kernarg_preload_length 0
		.amdhsa_user_sgpr_kernarg_preload_offset 0
		.amdhsa_user_sgpr_private_segment_size 0
		.amdhsa_uses_dynamic_stack 0
		.amdhsa_enable_private_segment 0
		.amdhsa_system_sgpr_workgroup_id_x 1
		.amdhsa_system_sgpr_workgroup_id_y 0
		.amdhsa_system_sgpr_workgroup_id_z 0
		.amdhsa_system_sgpr_workgroup_info 0
		.amdhsa_system_vgpr_workitem_id 2
		.amdhsa_next_free_vgpr 11
		.amdhsa_next_free_sgpr 22
		.amdhsa_accum_offset 12
		.amdhsa_reserve_vcc 1
		.amdhsa_float_round_mode_32 0
		.amdhsa_float_round_mode_16_64 0
		.amdhsa_float_denorm_mode_32 3
		.amdhsa_float_denorm_mode_16_64 3
		.amdhsa_dx10_clamp 1
		.amdhsa_ieee_mode 1
		.amdhsa_fp16_overflow 0
		.amdhsa_tg_split 0
		.amdhsa_exception_fp_ieee_invalid_op 0
		.amdhsa_exception_fp_denorm_src 0
		.amdhsa_exception_fp_ieee_div_zero 0
		.amdhsa_exception_fp_ieee_overflow 0
		.amdhsa_exception_fp_ieee_underflow 0
		.amdhsa_exception_fp_ieee_inexact 0
		.amdhsa_exception_int_div_zero 0
	.end_amdhsa_kernel
	.section	.text._ZN7rocprim17ROCPRIM_400000_NS6detail17trampoline_kernelINS0_14default_configENS1_38merge_sort_block_merge_config_selectorIbiEEZZNS1_27merge_sort_block_merge_implIS3_N6thrust23THRUST_200600_302600_NS6detail15normal_iteratorINS8_10device_ptrIbEEEENSA_INSB_IiEEEEjNS1_19radix_merge_compareILb1ELb1EbNS0_19identity_decomposerEEEEE10hipError_tT0_T1_T2_jT3_P12ihipStream_tbPNSt15iterator_traitsISK_E10value_typeEPNSQ_ISL_E10value_typeEPSM_NS1_7vsmem_tEENKUlT_SK_SL_SM_E_clISD_PbSF_PiEESJ_SZ_SK_SL_SM_EUlSZ_E1_NS1_11comp_targetILNS1_3genE0ELNS1_11target_archE4294967295ELNS1_3gpuE0ELNS1_3repE0EEENS1_36merge_oddeven_config_static_selectorELNS0_4arch9wavefront6targetE1EEEvSL_,"axG",@progbits,_ZN7rocprim17ROCPRIM_400000_NS6detail17trampoline_kernelINS0_14default_configENS1_38merge_sort_block_merge_config_selectorIbiEEZZNS1_27merge_sort_block_merge_implIS3_N6thrust23THRUST_200600_302600_NS6detail15normal_iteratorINS8_10device_ptrIbEEEENSA_INSB_IiEEEEjNS1_19radix_merge_compareILb1ELb1EbNS0_19identity_decomposerEEEEE10hipError_tT0_T1_T2_jT3_P12ihipStream_tbPNSt15iterator_traitsISK_E10value_typeEPNSQ_ISL_E10value_typeEPSM_NS1_7vsmem_tEENKUlT_SK_SL_SM_E_clISD_PbSF_PiEESJ_SZ_SK_SL_SM_EUlSZ_E1_NS1_11comp_targetILNS1_3genE0ELNS1_11target_archE4294967295ELNS1_3gpuE0ELNS1_3repE0EEENS1_36merge_oddeven_config_static_selectorELNS0_4arch9wavefront6targetE1EEEvSL_,comdat
.Lfunc_end2192:
	.size	_ZN7rocprim17ROCPRIM_400000_NS6detail17trampoline_kernelINS0_14default_configENS1_38merge_sort_block_merge_config_selectorIbiEEZZNS1_27merge_sort_block_merge_implIS3_N6thrust23THRUST_200600_302600_NS6detail15normal_iteratorINS8_10device_ptrIbEEEENSA_INSB_IiEEEEjNS1_19radix_merge_compareILb1ELb1EbNS0_19identity_decomposerEEEEE10hipError_tT0_T1_T2_jT3_P12ihipStream_tbPNSt15iterator_traitsISK_E10value_typeEPNSQ_ISL_E10value_typeEPSM_NS1_7vsmem_tEENKUlT_SK_SL_SM_E_clISD_PbSF_PiEESJ_SZ_SK_SL_SM_EUlSZ_E1_NS1_11comp_targetILNS1_3genE0ELNS1_11target_archE4294967295ELNS1_3gpuE0ELNS1_3repE0EEENS1_36merge_oddeven_config_static_selectorELNS0_4arch9wavefront6targetE1EEEvSL_, .Lfunc_end2192-_ZN7rocprim17ROCPRIM_400000_NS6detail17trampoline_kernelINS0_14default_configENS1_38merge_sort_block_merge_config_selectorIbiEEZZNS1_27merge_sort_block_merge_implIS3_N6thrust23THRUST_200600_302600_NS6detail15normal_iteratorINS8_10device_ptrIbEEEENSA_INSB_IiEEEEjNS1_19radix_merge_compareILb1ELb1EbNS0_19identity_decomposerEEEEE10hipError_tT0_T1_T2_jT3_P12ihipStream_tbPNSt15iterator_traitsISK_E10value_typeEPNSQ_ISL_E10value_typeEPSM_NS1_7vsmem_tEENKUlT_SK_SL_SM_E_clISD_PbSF_PiEESJ_SZ_SK_SL_SM_EUlSZ_E1_NS1_11comp_targetILNS1_3genE0ELNS1_11target_archE4294967295ELNS1_3gpuE0ELNS1_3repE0EEENS1_36merge_oddeven_config_static_selectorELNS0_4arch9wavefront6targetE1EEEvSL_
                                        ; -- End function
	.set _ZN7rocprim17ROCPRIM_400000_NS6detail17trampoline_kernelINS0_14default_configENS1_38merge_sort_block_merge_config_selectorIbiEEZZNS1_27merge_sort_block_merge_implIS3_N6thrust23THRUST_200600_302600_NS6detail15normal_iteratorINS8_10device_ptrIbEEEENSA_INSB_IiEEEEjNS1_19radix_merge_compareILb1ELb1EbNS0_19identity_decomposerEEEEE10hipError_tT0_T1_T2_jT3_P12ihipStream_tbPNSt15iterator_traitsISK_E10value_typeEPNSQ_ISL_E10value_typeEPSM_NS1_7vsmem_tEENKUlT_SK_SL_SM_E_clISD_PbSF_PiEESJ_SZ_SK_SL_SM_EUlSZ_E1_NS1_11comp_targetILNS1_3genE0ELNS1_11target_archE4294967295ELNS1_3gpuE0ELNS1_3repE0EEENS1_36merge_oddeven_config_static_selectorELNS0_4arch9wavefront6targetE1EEEvSL_.num_vgpr, 11
	.set _ZN7rocprim17ROCPRIM_400000_NS6detail17trampoline_kernelINS0_14default_configENS1_38merge_sort_block_merge_config_selectorIbiEEZZNS1_27merge_sort_block_merge_implIS3_N6thrust23THRUST_200600_302600_NS6detail15normal_iteratorINS8_10device_ptrIbEEEENSA_INSB_IiEEEEjNS1_19radix_merge_compareILb1ELb1EbNS0_19identity_decomposerEEEEE10hipError_tT0_T1_T2_jT3_P12ihipStream_tbPNSt15iterator_traitsISK_E10value_typeEPNSQ_ISL_E10value_typeEPSM_NS1_7vsmem_tEENKUlT_SK_SL_SM_E_clISD_PbSF_PiEESJ_SZ_SK_SL_SM_EUlSZ_E1_NS1_11comp_targetILNS1_3genE0ELNS1_11target_archE4294967295ELNS1_3gpuE0ELNS1_3repE0EEENS1_36merge_oddeven_config_static_selectorELNS0_4arch9wavefront6targetE1EEEvSL_.num_agpr, 0
	.set _ZN7rocprim17ROCPRIM_400000_NS6detail17trampoline_kernelINS0_14default_configENS1_38merge_sort_block_merge_config_selectorIbiEEZZNS1_27merge_sort_block_merge_implIS3_N6thrust23THRUST_200600_302600_NS6detail15normal_iteratorINS8_10device_ptrIbEEEENSA_INSB_IiEEEEjNS1_19radix_merge_compareILb1ELb1EbNS0_19identity_decomposerEEEEE10hipError_tT0_T1_T2_jT3_P12ihipStream_tbPNSt15iterator_traitsISK_E10value_typeEPNSQ_ISL_E10value_typeEPSM_NS1_7vsmem_tEENKUlT_SK_SL_SM_E_clISD_PbSF_PiEESJ_SZ_SK_SL_SM_EUlSZ_E1_NS1_11comp_targetILNS1_3genE0ELNS1_11target_archE4294967295ELNS1_3gpuE0ELNS1_3repE0EEENS1_36merge_oddeven_config_static_selectorELNS0_4arch9wavefront6targetE1EEEvSL_.numbered_sgpr, 22
	.set _ZN7rocprim17ROCPRIM_400000_NS6detail17trampoline_kernelINS0_14default_configENS1_38merge_sort_block_merge_config_selectorIbiEEZZNS1_27merge_sort_block_merge_implIS3_N6thrust23THRUST_200600_302600_NS6detail15normal_iteratorINS8_10device_ptrIbEEEENSA_INSB_IiEEEEjNS1_19radix_merge_compareILb1ELb1EbNS0_19identity_decomposerEEEEE10hipError_tT0_T1_T2_jT3_P12ihipStream_tbPNSt15iterator_traitsISK_E10value_typeEPNSQ_ISL_E10value_typeEPSM_NS1_7vsmem_tEENKUlT_SK_SL_SM_E_clISD_PbSF_PiEESJ_SZ_SK_SL_SM_EUlSZ_E1_NS1_11comp_targetILNS1_3genE0ELNS1_11target_archE4294967295ELNS1_3gpuE0ELNS1_3repE0EEENS1_36merge_oddeven_config_static_selectorELNS0_4arch9wavefront6targetE1EEEvSL_.num_named_barrier, 0
	.set _ZN7rocprim17ROCPRIM_400000_NS6detail17trampoline_kernelINS0_14default_configENS1_38merge_sort_block_merge_config_selectorIbiEEZZNS1_27merge_sort_block_merge_implIS3_N6thrust23THRUST_200600_302600_NS6detail15normal_iteratorINS8_10device_ptrIbEEEENSA_INSB_IiEEEEjNS1_19radix_merge_compareILb1ELb1EbNS0_19identity_decomposerEEEEE10hipError_tT0_T1_T2_jT3_P12ihipStream_tbPNSt15iterator_traitsISK_E10value_typeEPNSQ_ISL_E10value_typeEPSM_NS1_7vsmem_tEENKUlT_SK_SL_SM_E_clISD_PbSF_PiEESJ_SZ_SK_SL_SM_EUlSZ_E1_NS1_11comp_targetILNS1_3genE0ELNS1_11target_archE4294967295ELNS1_3gpuE0ELNS1_3repE0EEENS1_36merge_oddeven_config_static_selectorELNS0_4arch9wavefront6targetE1EEEvSL_.private_seg_size, 0
	.set _ZN7rocprim17ROCPRIM_400000_NS6detail17trampoline_kernelINS0_14default_configENS1_38merge_sort_block_merge_config_selectorIbiEEZZNS1_27merge_sort_block_merge_implIS3_N6thrust23THRUST_200600_302600_NS6detail15normal_iteratorINS8_10device_ptrIbEEEENSA_INSB_IiEEEEjNS1_19radix_merge_compareILb1ELb1EbNS0_19identity_decomposerEEEEE10hipError_tT0_T1_T2_jT3_P12ihipStream_tbPNSt15iterator_traitsISK_E10value_typeEPNSQ_ISL_E10value_typeEPSM_NS1_7vsmem_tEENKUlT_SK_SL_SM_E_clISD_PbSF_PiEESJ_SZ_SK_SL_SM_EUlSZ_E1_NS1_11comp_targetILNS1_3genE0ELNS1_11target_archE4294967295ELNS1_3gpuE0ELNS1_3repE0EEENS1_36merge_oddeven_config_static_selectorELNS0_4arch9wavefront6targetE1EEEvSL_.uses_vcc, 1
	.set _ZN7rocprim17ROCPRIM_400000_NS6detail17trampoline_kernelINS0_14default_configENS1_38merge_sort_block_merge_config_selectorIbiEEZZNS1_27merge_sort_block_merge_implIS3_N6thrust23THRUST_200600_302600_NS6detail15normal_iteratorINS8_10device_ptrIbEEEENSA_INSB_IiEEEEjNS1_19radix_merge_compareILb1ELb1EbNS0_19identity_decomposerEEEEE10hipError_tT0_T1_T2_jT3_P12ihipStream_tbPNSt15iterator_traitsISK_E10value_typeEPNSQ_ISL_E10value_typeEPSM_NS1_7vsmem_tEENKUlT_SK_SL_SM_E_clISD_PbSF_PiEESJ_SZ_SK_SL_SM_EUlSZ_E1_NS1_11comp_targetILNS1_3genE0ELNS1_11target_archE4294967295ELNS1_3gpuE0ELNS1_3repE0EEENS1_36merge_oddeven_config_static_selectorELNS0_4arch9wavefront6targetE1EEEvSL_.uses_flat_scratch, 0
	.set _ZN7rocprim17ROCPRIM_400000_NS6detail17trampoline_kernelINS0_14default_configENS1_38merge_sort_block_merge_config_selectorIbiEEZZNS1_27merge_sort_block_merge_implIS3_N6thrust23THRUST_200600_302600_NS6detail15normal_iteratorINS8_10device_ptrIbEEEENSA_INSB_IiEEEEjNS1_19radix_merge_compareILb1ELb1EbNS0_19identity_decomposerEEEEE10hipError_tT0_T1_T2_jT3_P12ihipStream_tbPNSt15iterator_traitsISK_E10value_typeEPNSQ_ISL_E10value_typeEPSM_NS1_7vsmem_tEENKUlT_SK_SL_SM_E_clISD_PbSF_PiEESJ_SZ_SK_SL_SM_EUlSZ_E1_NS1_11comp_targetILNS1_3genE0ELNS1_11target_archE4294967295ELNS1_3gpuE0ELNS1_3repE0EEENS1_36merge_oddeven_config_static_selectorELNS0_4arch9wavefront6targetE1EEEvSL_.has_dyn_sized_stack, 0
	.set _ZN7rocprim17ROCPRIM_400000_NS6detail17trampoline_kernelINS0_14default_configENS1_38merge_sort_block_merge_config_selectorIbiEEZZNS1_27merge_sort_block_merge_implIS3_N6thrust23THRUST_200600_302600_NS6detail15normal_iteratorINS8_10device_ptrIbEEEENSA_INSB_IiEEEEjNS1_19radix_merge_compareILb1ELb1EbNS0_19identity_decomposerEEEEE10hipError_tT0_T1_T2_jT3_P12ihipStream_tbPNSt15iterator_traitsISK_E10value_typeEPNSQ_ISL_E10value_typeEPSM_NS1_7vsmem_tEENKUlT_SK_SL_SM_E_clISD_PbSF_PiEESJ_SZ_SK_SL_SM_EUlSZ_E1_NS1_11comp_targetILNS1_3genE0ELNS1_11target_archE4294967295ELNS1_3gpuE0ELNS1_3repE0EEENS1_36merge_oddeven_config_static_selectorELNS0_4arch9wavefront6targetE1EEEvSL_.has_recursion, 0
	.set _ZN7rocprim17ROCPRIM_400000_NS6detail17trampoline_kernelINS0_14default_configENS1_38merge_sort_block_merge_config_selectorIbiEEZZNS1_27merge_sort_block_merge_implIS3_N6thrust23THRUST_200600_302600_NS6detail15normal_iteratorINS8_10device_ptrIbEEEENSA_INSB_IiEEEEjNS1_19radix_merge_compareILb1ELb1EbNS0_19identity_decomposerEEEEE10hipError_tT0_T1_T2_jT3_P12ihipStream_tbPNSt15iterator_traitsISK_E10value_typeEPNSQ_ISL_E10value_typeEPSM_NS1_7vsmem_tEENKUlT_SK_SL_SM_E_clISD_PbSF_PiEESJ_SZ_SK_SL_SM_EUlSZ_E1_NS1_11comp_targetILNS1_3genE0ELNS1_11target_archE4294967295ELNS1_3gpuE0ELNS1_3repE0EEENS1_36merge_oddeven_config_static_selectorELNS0_4arch9wavefront6targetE1EEEvSL_.has_indirect_call, 0
	.section	.AMDGPU.csdata,"",@progbits
; Kernel info:
; codeLenInByte = 804
; TotalNumSgprs: 28
; NumVgprs: 11
; NumAgprs: 0
; TotalNumVgprs: 11
; ScratchSize: 0
; MemoryBound: 0
; FloatMode: 240
; IeeeMode: 1
; LDSByteSize: 256 bytes/workgroup (compile time only)
; SGPRBlocks: 3
; VGPRBlocks: 1
; NumSGPRsForWavesPerEU: 28
; NumVGPRsForWavesPerEU: 11
; AccumOffset: 12
; Occupancy: 8
; WaveLimiterHint : 0
; COMPUTE_PGM_RSRC2:SCRATCH_EN: 0
; COMPUTE_PGM_RSRC2:USER_SGPR: 4
; COMPUTE_PGM_RSRC2:TRAP_HANDLER: 0
; COMPUTE_PGM_RSRC2:TGID_X_EN: 1
; COMPUTE_PGM_RSRC2:TGID_Y_EN: 0
; COMPUTE_PGM_RSRC2:TGID_Z_EN: 0
; COMPUTE_PGM_RSRC2:TIDIG_COMP_CNT: 2
; COMPUTE_PGM_RSRC3_GFX90A:ACCUM_OFFSET: 2
; COMPUTE_PGM_RSRC3_GFX90A:TG_SPLIT: 0
	.section	.text._ZN7rocprim17ROCPRIM_400000_NS6detail17trampoline_kernelINS0_14default_configENS1_38merge_sort_block_merge_config_selectorIbiEEZZNS1_27merge_sort_block_merge_implIS3_N6thrust23THRUST_200600_302600_NS6detail15normal_iteratorINS8_10device_ptrIbEEEENSA_INSB_IiEEEEjNS1_19radix_merge_compareILb1ELb1EbNS0_19identity_decomposerEEEEE10hipError_tT0_T1_T2_jT3_P12ihipStream_tbPNSt15iterator_traitsISK_E10value_typeEPNSQ_ISL_E10value_typeEPSM_NS1_7vsmem_tEENKUlT_SK_SL_SM_E_clISD_PbSF_PiEESJ_SZ_SK_SL_SM_EUlSZ_E1_NS1_11comp_targetILNS1_3genE10ELNS1_11target_archE1201ELNS1_3gpuE5ELNS1_3repE0EEENS1_36merge_oddeven_config_static_selectorELNS0_4arch9wavefront6targetE1EEEvSL_,"axG",@progbits,_ZN7rocprim17ROCPRIM_400000_NS6detail17trampoline_kernelINS0_14default_configENS1_38merge_sort_block_merge_config_selectorIbiEEZZNS1_27merge_sort_block_merge_implIS3_N6thrust23THRUST_200600_302600_NS6detail15normal_iteratorINS8_10device_ptrIbEEEENSA_INSB_IiEEEEjNS1_19radix_merge_compareILb1ELb1EbNS0_19identity_decomposerEEEEE10hipError_tT0_T1_T2_jT3_P12ihipStream_tbPNSt15iterator_traitsISK_E10value_typeEPNSQ_ISL_E10value_typeEPSM_NS1_7vsmem_tEENKUlT_SK_SL_SM_E_clISD_PbSF_PiEESJ_SZ_SK_SL_SM_EUlSZ_E1_NS1_11comp_targetILNS1_3genE10ELNS1_11target_archE1201ELNS1_3gpuE5ELNS1_3repE0EEENS1_36merge_oddeven_config_static_selectorELNS0_4arch9wavefront6targetE1EEEvSL_,comdat
	.protected	_ZN7rocprim17ROCPRIM_400000_NS6detail17trampoline_kernelINS0_14default_configENS1_38merge_sort_block_merge_config_selectorIbiEEZZNS1_27merge_sort_block_merge_implIS3_N6thrust23THRUST_200600_302600_NS6detail15normal_iteratorINS8_10device_ptrIbEEEENSA_INSB_IiEEEEjNS1_19radix_merge_compareILb1ELb1EbNS0_19identity_decomposerEEEEE10hipError_tT0_T1_T2_jT3_P12ihipStream_tbPNSt15iterator_traitsISK_E10value_typeEPNSQ_ISL_E10value_typeEPSM_NS1_7vsmem_tEENKUlT_SK_SL_SM_E_clISD_PbSF_PiEESJ_SZ_SK_SL_SM_EUlSZ_E1_NS1_11comp_targetILNS1_3genE10ELNS1_11target_archE1201ELNS1_3gpuE5ELNS1_3repE0EEENS1_36merge_oddeven_config_static_selectorELNS0_4arch9wavefront6targetE1EEEvSL_ ; -- Begin function _ZN7rocprim17ROCPRIM_400000_NS6detail17trampoline_kernelINS0_14default_configENS1_38merge_sort_block_merge_config_selectorIbiEEZZNS1_27merge_sort_block_merge_implIS3_N6thrust23THRUST_200600_302600_NS6detail15normal_iteratorINS8_10device_ptrIbEEEENSA_INSB_IiEEEEjNS1_19radix_merge_compareILb1ELb1EbNS0_19identity_decomposerEEEEE10hipError_tT0_T1_T2_jT3_P12ihipStream_tbPNSt15iterator_traitsISK_E10value_typeEPNSQ_ISL_E10value_typeEPSM_NS1_7vsmem_tEENKUlT_SK_SL_SM_E_clISD_PbSF_PiEESJ_SZ_SK_SL_SM_EUlSZ_E1_NS1_11comp_targetILNS1_3genE10ELNS1_11target_archE1201ELNS1_3gpuE5ELNS1_3repE0EEENS1_36merge_oddeven_config_static_selectorELNS0_4arch9wavefront6targetE1EEEvSL_
	.globl	_ZN7rocprim17ROCPRIM_400000_NS6detail17trampoline_kernelINS0_14default_configENS1_38merge_sort_block_merge_config_selectorIbiEEZZNS1_27merge_sort_block_merge_implIS3_N6thrust23THRUST_200600_302600_NS6detail15normal_iteratorINS8_10device_ptrIbEEEENSA_INSB_IiEEEEjNS1_19radix_merge_compareILb1ELb1EbNS0_19identity_decomposerEEEEE10hipError_tT0_T1_T2_jT3_P12ihipStream_tbPNSt15iterator_traitsISK_E10value_typeEPNSQ_ISL_E10value_typeEPSM_NS1_7vsmem_tEENKUlT_SK_SL_SM_E_clISD_PbSF_PiEESJ_SZ_SK_SL_SM_EUlSZ_E1_NS1_11comp_targetILNS1_3genE10ELNS1_11target_archE1201ELNS1_3gpuE5ELNS1_3repE0EEENS1_36merge_oddeven_config_static_selectorELNS0_4arch9wavefront6targetE1EEEvSL_
	.p2align	8
	.type	_ZN7rocprim17ROCPRIM_400000_NS6detail17trampoline_kernelINS0_14default_configENS1_38merge_sort_block_merge_config_selectorIbiEEZZNS1_27merge_sort_block_merge_implIS3_N6thrust23THRUST_200600_302600_NS6detail15normal_iteratorINS8_10device_ptrIbEEEENSA_INSB_IiEEEEjNS1_19radix_merge_compareILb1ELb1EbNS0_19identity_decomposerEEEEE10hipError_tT0_T1_T2_jT3_P12ihipStream_tbPNSt15iterator_traitsISK_E10value_typeEPNSQ_ISL_E10value_typeEPSM_NS1_7vsmem_tEENKUlT_SK_SL_SM_E_clISD_PbSF_PiEESJ_SZ_SK_SL_SM_EUlSZ_E1_NS1_11comp_targetILNS1_3genE10ELNS1_11target_archE1201ELNS1_3gpuE5ELNS1_3repE0EEENS1_36merge_oddeven_config_static_selectorELNS0_4arch9wavefront6targetE1EEEvSL_,@function
_ZN7rocprim17ROCPRIM_400000_NS6detail17trampoline_kernelINS0_14default_configENS1_38merge_sort_block_merge_config_selectorIbiEEZZNS1_27merge_sort_block_merge_implIS3_N6thrust23THRUST_200600_302600_NS6detail15normal_iteratorINS8_10device_ptrIbEEEENSA_INSB_IiEEEEjNS1_19radix_merge_compareILb1ELb1EbNS0_19identity_decomposerEEEEE10hipError_tT0_T1_T2_jT3_P12ihipStream_tbPNSt15iterator_traitsISK_E10value_typeEPNSQ_ISL_E10value_typeEPSM_NS1_7vsmem_tEENKUlT_SK_SL_SM_E_clISD_PbSF_PiEESJ_SZ_SK_SL_SM_EUlSZ_E1_NS1_11comp_targetILNS1_3genE10ELNS1_11target_archE1201ELNS1_3gpuE5ELNS1_3repE0EEENS1_36merge_oddeven_config_static_selectorELNS0_4arch9wavefront6targetE1EEEvSL_: ; @_ZN7rocprim17ROCPRIM_400000_NS6detail17trampoline_kernelINS0_14default_configENS1_38merge_sort_block_merge_config_selectorIbiEEZZNS1_27merge_sort_block_merge_implIS3_N6thrust23THRUST_200600_302600_NS6detail15normal_iteratorINS8_10device_ptrIbEEEENSA_INSB_IiEEEEjNS1_19radix_merge_compareILb1ELb1EbNS0_19identity_decomposerEEEEE10hipError_tT0_T1_T2_jT3_P12ihipStream_tbPNSt15iterator_traitsISK_E10value_typeEPNSQ_ISL_E10value_typeEPSM_NS1_7vsmem_tEENKUlT_SK_SL_SM_E_clISD_PbSF_PiEESJ_SZ_SK_SL_SM_EUlSZ_E1_NS1_11comp_targetILNS1_3genE10ELNS1_11target_archE1201ELNS1_3gpuE5ELNS1_3repE0EEENS1_36merge_oddeven_config_static_selectorELNS0_4arch9wavefront6targetE1EEEvSL_
; %bb.0:
	.section	.rodata,"a",@progbits
	.p2align	6, 0x0
	.amdhsa_kernel _ZN7rocprim17ROCPRIM_400000_NS6detail17trampoline_kernelINS0_14default_configENS1_38merge_sort_block_merge_config_selectorIbiEEZZNS1_27merge_sort_block_merge_implIS3_N6thrust23THRUST_200600_302600_NS6detail15normal_iteratorINS8_10device_ptrIbEEEENSA_INSB_IiEEEEjNS1_19radix_merge_compareILb1ELb1EbNS0_19identity_decomposerEEEEE10hipError_tT0_T1_T2_jT3_P12ihipStream_tbPNSt15iterator_traitsISK_E10value_typeEPNSQ_ISL_E10value_typeEPSM_NS1_7vsmem_tEENKUlT_SK_SL_SM_E_clISD_PbSF_PiEESJ_SZ_SK_SL_SM_EUlSZ_E1_NS1_11comp_targetILNS1_3genE10ELNS1_11target_archE1201ELNS1_3gpuE5ELNS1_3repE0EEENS1_36merge_oddeven_config_static_selectorELNS0_4arch9wavefront6targetE1EEEvSL_
		.amdhsa_group_segment_fixed_size 0
		.amdhsa_private_segment_fixed_size 0
		.amdhsa_kernarg_size 48
		.amdhsa_user_sgpr_count 2
		.amdhsa_user_sgpr_dispatch_ptr 0
		.amdhsa_user_sgpr_queue_ptr 0
		.amdhsa_user_sgpr_kernarg_segment_ptr 1
		.amdhsa_user_sgpr_dispatch_id 0
		.amdhsa_user_sgpr_kernarg_preload_length 0
		.amdhsa_user_sgpr_kernarg_preload_offset 0
		.amdhsa_user_sgpr_private_segment_size 0
		.amdhsa_uses_dynamic_stack 0
		.amdhsa_enable_private_segment 0
		.amdhsa_system_sgpr_workgroup_id_x 1
		.amdhsa_system_sgpr_workgroup_id_y 0
		.amdhsa_system_sgpr_workgroup_id_z 0
		.amdhsa_system_sgpr_workgroup_info 0
		.amdhsa_system_vgpr_workitem_id 0
		.amdhsa_next_free_vgpr 1
		.amdhsa_next_free_sgpr 0
		.amdhsa_accum_offset 4
		.amdhsa_reserve_vcc 0
		.amdhsa_float_round_mode_32 0
		.amdhsa_float_round_mode_16_64 0
		.amdhsa_float_denorm_mode_32 3
		.amdhsa_float_denorm_mode_16_64 3
		.amdhsa_dx10_clamp 1
		.amdhsa_ieee_mode 1
		.amdhsa_fp16_overflow 0
		.amdhsa_tg_split 0
		.amdhsa_exception_fp_ieee_invalid_op 0
		.amdhsa_exception_fp_denorm_src 0
		.amdhsa_exception_fp_ieee_div_zero 0
		.amdhsa_exception_fp_ieee_overflow 0
		.amdhsa_exception_fp_ieee_underflow 0
		.amdhsa_exception_fp_ieee_inexact 0
		.amdhsa_exception_int_div_zero 0
	.end_amdhsa_kernel
	.section	.text._ZN7rocprim17ROCPRIM_400000_NS6detail17trampoline_kernelINS0_14default_configENS1_38merge_sort_block_merge_config_selectorIbiEEZZNS1_27merge_sort_block_merge_implIS3_N6thrust23THRUST_200600_302600_NS6detail15normal_iteratorINS8_10device_ptrIbEEEENSA_INSB_IiEEEEjNS1_19radix_merge_compareILb1ELb1EbNS0_19identity_decomposerEEEEE10hipError_tT0_T1_T2_jT3_P12ihipStream_tbPNSt15iterator_traitsISK_E10value_typeEPNSQ_ISL_E10value_typeEPSM_NS1_7vsmem_tEENKUlT_SK_SL_SM_E_clISD_PbSF_PiEESJ_SZ_SK_SL_SM_EUlSZ_E1_NS1_11comp_targetILNS1_3genE10ELNS1_11target_archE1201ELNS1_3gpuE5ELNS1_3repE0EEENS1_36merge_oddeven_config_static_selectorELNS0_4arch9wavefront6targetE1EEEvSL_,"axG",@progbits,_ZN7rocprim17ROCPRIM_400000_NS6detail17trampoline_kernelINS0_14default_configENS1_38merge_sort_block_merge_config_selectorIbiEEZZNS1_27merge_sort_block_merge_implIS3_N6thrust23THRUST_200600_302600_NS6detail15normal_iteratorINS8_10device_ptrIbEEEENSA_INSB_IiEEEEjNS1_19radix_merge_compareILb1ELb1EbNS0_19identity_decomposerEEEEE10hipError_tT0_T1_T2_jT3_P12ihipStream_tbPNSt15iterator_traitsISK_E10value_typeEPNSQ_ISL_E10value_typeEPSM_NS1_7vsmem_tEENKUlT_SK_SL_SM_E_clISD_PbSF_PiEESJ_SZ_SK_SL_SM_EUlSZ_E1_NS1_11comp_targetILNS1_3genE10ELNS1_11target_archE1201ELNS1_3gpuE5ELNS1_3repE0EEENS1_36merge_oddeven_config_static_selectorELNS0_4arch9wavefront6targetE1EEEvSL_,comdat
.Lfunc_end2193:
	.size	_ZN7rocprim17ROCPRIM_400000_NS6detail17trampoline_kernelINS0_14default_configENS1_38merge_sort_block_merge_config_selectorIbiEEZZNS1_27merge_sort_block_merge_implIS3_N6thrust23THRUST_200600_302600_NS6detail15normal_iteratorINS8_10device_ptrIbEEEENSA_INSB_IiEEEEjNS1_19radix_merge_compareILb1ELb1EbNS0_19identity_decomposerEEEEE10hipError_tT0_T1_T2_jT3_P12ihipStream_tbPNSt15iterator_traitsISK_E10value_typeEPNSQ_ISL_E10value_typeEPSM_NS1_7vsmem_tEENKUlT_SK_SL_SM_E_clISD_PbSF_PiEESJ_SZ_SK_SL_SM_EUlSZ_E1_NS1_11comp_targetILNS1_3genE10ELNS1_11target_archE1201ELNS1_3gpuE5ELNS1_3repE0EEENS1_36merge_oddeven_config_static_selectorELNS0_4arch9wavefront6targetE1EEEvSL_, .Lfunc_end2193-_ZN7rocprim17ROCPRIM_400000_NS6detail17trampoline_kernelINS0_14default_configENS1_38merge_sort_block_merge_config_selectorIbiEEZZNS1_27merge_sort_block_merge_implIS3_N6thrust23THRUST_200600_302600_NS6detail15normal_iteratorINS8_10device_ptrIbEEEENSA_INSB_IiEEEEjNS1_19radix_merge_compareILb1ELb1EbNS0_19identity_decomposerEEEEE10hipError_tT0_T1_T2_jT3_P12ihipStream_tbPNSt15iterator_traitsISK_E10value_typeEPNSQ_ISL_E10value_typeEPSM_NS1_7vsmem_tEENKUlT_SK_SL_SM_E_clISD_PbSF_PiEESJ_SZ_SK_SL_SM_EUlSZ_E1_NS1_11comp_targetILNS1_3genE10ELNS1_11target_archE1201ELNS1_3gpuE5ELNS1_3repE0EEENS1_36merge_oddeven_config_static_selectorELNS0_4arch9wavefront6targetE1EEEvSL_
                                        ; -- End function
	.set _ZN7rocprim17ROCPRIM_400000_NS6detail17trampoline_kernelINS0_14default_configENS1_38merge_sort_block_merge_config_selectorIbiEEZZNS1_27merge_sort_block_merge_implIS3_N6thrust23THRUST_200600_302600_NS6detail15normal_iteratorINS8_10device_ptrIbEEEENSA_INSB_IiEEEEjNS1_19radix_merge_compareILb1ELb1EbNS0_19identity_decomposerEEEEE10hipError_tT0_T1_T2_jT3_P12ihipStream_tbPNSt15iterator_traitsISK_E10value_typeEPNSQ_ISL_E10value_typeEPSM_NS1_7vsmem_tEENKUlT_SK_SL_SM_E_clISD_PbSF_PiEESJ_SZ_SK_SL_SM_EUlSZ_E1_NS1_11comp_targetILNS1_3genE10ELNS1_11target_archE1201ELNS1_3gpuE5ELNS1_3repE0EEENS1_36merge_oddeven_config_static_selectorELNS0_4arch9wavefront6targetE1EEEvSL_.num_vgpr, 0
	.set _ZN7rocprim17ROCPRIM_400000_NS6detail17trampoline_kernelINS0_14default_configENS1_38merge_sort_block_merge_config_selectorIbiEEZZNS1_27merge_sort_block_merge_implIS3_N6thrust23THRUST_200600_302600_NS6detail15normal_iteratorINS8_10device_ptrIbEEEENSA_INSB_IiEEEEjNS1_19radix_merge_compareILb1ELb1EbNS0_19identity_decomposerEEEEE10hipError_tT0_T1_T2_jT3_P12ihipStream_tbPNSt15iterator_traitsISK_E10value_typeEPNSQ_ISL_E10value_typeEPSM_NS1_7vsmem_tEENKUlT_SK_SL_SM_E_clISD_PbSF_PiEESJ_SZ_SK_SL_SM_EUlSZ_E1_NS1_11comp_targetILNS1_3genE10ELNS1_11target_archE1201ELNS1_3gpuE5ELNS1_3repE0EEENS1_36merge_oddeven_config_static_selectorELNS0_4arch9wavefront6targetE1EEEvSL_.num_agpr, 0
	.set _ZN7rocprim17ROCPRIM_400000_NS6detail17trampoline_kernelINS0_14default_configENS1_38merge_sort_block_merge_config_selectorIbiEEZZNS1_27merge_sort_block_merge_implIS3_N6thrust23THRUST_200600_302600_NS6detail15normal_iteratorINS8_10device_ptrIbEEEENSA_INSB_IiEEEEjNS1_19radix_merge_compareILb1ELb1EbNS0_19identity_decomposerEEEEE10hipError_tT0_T1_T2_jT3_P12ihipStream_tbPNSt15iterator_traitsISK_E10value_typeEPNSQ_ISL_E10value_typeEPSM_NS1_7vsmem_tEENKUlT_SK_SL_SM_E_clISD_PbSF_PiEESJ_SZ_SK_SL_SM_EUlSZ_E1_NS1_11comp_targetILNS1_3genE10ELNS1_11target_archE1201ELNS1_3gpuE5ELNS1_3repE0EEENS1_36merge_oddeven_config_static_selectorELNS0_4arch9wavefront6targetE1EEEvSL_.numbered_sgpr, 0
	.set _ZN7rocprim17ROCPRIM_400000_NS6detail17trampoline_kernelINS0_14default_configENS1_38merge_sort_block_merge_config_selectorIbiEEZZNS1_27merge_sort_block_merge_implIS3_N6thrust23THRUST_200600_302600_NS6detail15normal_iteratorINS8_10device_ptrIbEEEENSA_INSB_IiEEEEjNS1_19radix_merge_compareILb1ELb1EbNS0_19identity_decomposerEEEEE10hipError_tT0_T1_T2_jT3_P12ihipStream_tbPNSt15iterator_traitsISK_E10value_typeEPNSQ_ISL_E10value_typeEPSM_NS1_7vsmem_tEENKUlT_SK_SL_SM_E_clISD_PbSF_PiEESJ_SZ_SK_SL_SM_EUlSZ_E1_NS1_11comp_targetILNS1_3genE10ELNS1_11target_archE1201ELNS1_3gpuE5ELNS1_3repE0EEENS1_36merge_oddeven_config_static_selectorELNS0_4arch9wavefront6targetE1EEEvSL_.num_named_barrier, 0
	.set _ZN7rocprim17ROCPRIM_400000_NS6detail17trampoline_kernelINS0_14default_configENS1_38merge_sort_block_merge_config_selectorIbiEEZZNS1_27merge_sort_block_merge_implIS3_N6thrust23THRUST_200600_302600_NS6detail15normal_iteratorINS8_10device_ptrIbEEEENSA_INSB_IiEEEEjNS1_19radix_merge_compareILb1ELb1EbNS0_19identity_decomposerEEEEE10hipError_tT0_T1_T2_jT3_P12ihipStream_tbPNSt15iterator_traitsISK_E10value_typeEPNSQ_ISL_E10value_typeEPSM_NS1_7vsmem_tEENKUlT_SK_SL_SM_E_clISD_PbSF_PiEESJ_SZ_SK_SL_SM_EUlSZ_E1_NS1_11comp_targetILNS1_3genE10ELNS1_11target_archE1201ELNS1_3gpuE5ELNS1_3repE0EEENS1_36merge_oddeven_config_static_selectorELNS0_4arch9wavefront6targetE1EEEvSL_.private_seg_size, 0
	.set _ZN7rocprim17ROCPRIM_400000_NS6detail17trampoline_kernelINS0_14default_configENS1_38merge_sort_block_merge_config_selectorIbiEEZZNS1_27merge_sort_block_merge_implIS3_N6thrust23THRUST_200600_302600_NS6detail15normal_iteratorINS8_10device_ptrIbEEEENSA_INSB_IiEEEEjNS1_19radix_merge_compareILb1ELb1EbNS0_19identity_decomposerEEEEE10hipError_tT0_T1_T2_jT3_P12ihipStream_tbPNSt15iterator_traitsISK_E10value_typeEPNSQ_ISL_E10value_typeEPSM_NS1_7vsmem_tEENKUlT_SK_SL_SM_E_clISD_PbSF_PiEESJ_SZ_SK_SL_SM_EUlSZ_E1_NS1_11comp_targetILNS1_3genE10ELNS1_11target_archE1201ELNS1_3gpuE5ELNS1_3repE0EEENS1_36merge_oddeven_config_static_selectorELNS0_4arch9wavefront6targetE1EEEvSL_.uses_vcc, 0
	.set _ZN7rocprim17ROCPRIM_400000_NS6detail17trampoline_kernelINS0_14default_configENS1_38merge_sort_block_merge_config_selectorIbiEEZZNS1_27merge_sort_block_merge_implIS3_N6thrust23THRUST_200600_302600_NS6detail15normal_iteratorINS8_10device_ptrIbEEEENSA_INSB_IiEEEEjNS1_19radix_merge_compareILb1ELb1EbNS0_19identity_decomposerEEEEE10hipError_tT0_T1_T2_jT3_P12ihipStream_tbPNSt15iterator_traitsISK_E10value_typeEPNSQ_ISL_E10value_typeEPSM_NS1_7vsmem_tEENKUlT_SK_SL_SM_E_clISD_PbSF_PiEESJ_SZ_SK_SL_SM_EUlSZ_E1_NS1_11comp_targetILNS1_3genE10ELNS1_11target_archE1201ELNS1_3gpuE5ELNS1_3repE0EEENS1_36merge_oddeven_config_static_selectorELNS0_4arch9wavefront6targetE1EEEvSL_.uses_flat_scratch, 0
	.set _ZN7rocprim17ROCPRIM_400000_NS6detail17trampoline_kernelINS0_14default_configENS1_38merge_sort_block_merge_config_selectorIbiEEZZNS1_27merge_sort_block_merge_implIS3_N6thrust23THRUST_200600_302600_NS6detail15normal_iteratorINS8_10device_ptrIbEEEENSA_INSB_IiEEEEjNS1_19radix_merge_compareILb1ELb1EbNS0_19identity_decomposerEEEEE10hipError_tT0_T1_T2_jT3_P12ihipStream_tbPNSt15iterator_traitsISK_E10value_typeEPNSQ_ISL_E10value_typeEPSM_NS1_7vsmem_tEENKUlT_SK_SL_SM_E_clISD_PbSF_PiEESJ_SZ_SK_SL_SM_EUlSZ_E1_NS1_11comp_targetILNS1_3genE10ELNS1_11target_archE1201ELNS1_3gpuE5ELNS1_3repE0EEENS1_36merge_oddeven_config_static_selectorELNS0_4arch9wavefront6targetE1EEEvSL_.has_dyn_sized_stack, 0
	.set _ZN7rocprim17ROCPRIM_400000_NS6detail17trampoline_kernelINS0_14default_configENS1_38merge_sort_block_merge_config_selectorIbiEEZZNS1_27merge_sort_block_merge_implIS3_N6thrust23THRUST_200600_302600_NS6detail15normal_iteratorINS8_10device_ptrIbEEEENSA_INSB_IiEEEEjNS1_19radix_merge_compareILb1ELb1EbNS0_19identity_decomposerEEEEE10hipError_tT0_T1_T2_jT3_P12ihipStream_tbPNSt15iterator_traitsISK_E10value_typeEPNSQ_ISL_E10value_typeEPSM_NS1_7vsmem_tEENKUlT_SK_SL_SM_E_clISD_PbSF_PiEESJ_SZ_SK_SL_SM_EUlSZ_E1_NS1_11comp_targetILNS1_3genE10ELNS1_11target_archE1201ELNS1_3gpuE5ELNS1_3repE0EEENS1_36merge_oddeven_config_static_selectorELNS0_4arch9wavefront6targetE1EEEvSL_.has_recursion, 0
	.set _ZN7rocprim17ROCPRIM_400000_NS6detail17trampoline_kernelINS0_14default_configENS1_38merge_sort_block_merge_config_selectorIbiEEZZNS1_27merge_sort_block_merge_implIS3_N6thrust23THRUST_200600_302600_NS6detail15normal_iteratorINS8_10device_ptrIbEEEENSA_INSB_IiEEEEjNS1_19radix_merge_compareILb1ELb1EbNS0_19identity_decomposerEEEEE10hipError_tT0_T1_T2_jT3_P12ihipStream_tbPNSt15iterator_traitsISK_E10value_typeEPNSQ_ISL_E10value_typeEPSM_NS1_7vsmem_tEENKUlT_SK_SL_SM_E_clISD_PbSF_PiEESJ_SZ_SK_SL_SM_EUlSZ_E1_NS1_11comp_targetILNS1_3genE10ELNS1_11target_archE1201ELNS1_3gpuE5ELNS1_3repE0EEENS1_36merge_oddeven_config_static_selectorELNS0_4arch9wavefront6targetE1EEEvSL_.has_indirect_call, 0
	.section	.AMDGPU.csdata,"",@progbits
; Kernel info:
; codeLenInByte = 0
; TotalNumSgprs: 6
; NumVgprs: 0
; NumAgprs: 0
; TotalNumVgprs: 0
; ScratchSize: 0
; MemoryBound: 0
; FloatMode: 240
; IeeeMode: 1
; LDSByteSize: 0 bytes/workgroup (compile time only)
; SGPRBlocks: 0
; VGPRBlocks: 0
; NumSGPRsForWavesPerEU: 6
; NumVGPRsForWavesPerEU: 1
; AccumOffset: 4
; Occupancy: 8
; WaveLimiterHint : 0
; COMPUTE_PGM_RSRC2:SCRATCH_EN: 0
; COMPUTE_PGM_RSRC2:USER_SGPR: 2
; COMPUTE_PGM_RSRC2:TRAP_HANDLER: 0
; COMPUTE_PGM_RSRC2:TGID_X_EN: 1
; COMPUTE_PGM_RSRC2:TGID_Y_EN: 0
; COMPUTE_PGM_RSRC2:TGID_Z_EN: 0
; COMPUTE_PGM_RSRC2:TIDIG_COMP_CNT: 0
; COMPUTE_PGM_RSRC3_GFX90A:ACCUM_OFFSET: 0
; COMPUTE_PGM_RSRC3_GFX90A:TG_SPLIT: 0
	.section	.text._ZN7rocprim17ROCPRIM_400000_NS6detail17trampoline_kernelINS0_14default_configENS1_38merge_sort_block_merge_config_selectorIbiEEZZNS1_27merge_sort_block_merge_implIS3_N6thrust23THRUST_200600_302600_NS6detail15normal_iteratorINS8_10device_ptrIbEEEENSA_INSB_IiEEEEjNS1_19radix_merge_compareILb1ELb1EbNS0_19identity_decomposerEEEEE10hipError_tT0_T1_T2_jT3_P12ihipStream_tbPNSt15iterator_traitsISK_E10value_typeEPNSQ_ISL_E10value_typeEPSM_NS1_7vsmem_tEENKUlT_SK_SL_SM_E_clISD_PbSF_PiEESJ_SZ_SK_SL_SM_EUlSZ_E1_NS1_11comp_targetILNS1_3genE5ELNS1_11target_archE942ELNS1_3gpuE9ELNS1_3repE0EEENS1_36merge_oddeven_config_static_selectorELNS0_4arch9wavefront6targetE1EEEvSL_,"axG",@progbits,_ZN7rocprim17ROCPRIM_400000_NS6detail17trampoline_kernelINS0_14default_configENS1_38merge_sort_block_merge_config_selectorIbiEEZZNS1_27merge_sort_block_merge_implIS3_N6thrust23THRUST_200600_302600_NS6detail15normal_iteratorINS8_10device_ptrIbEEEENSA_INSB_IiEEEEjNS1_19radix_merge_compareILb1ELb1EbNS0_19identity_decomposerEEEEE10hipError_tT0_T1_T2_jT3_P12ihipStream_tbPNSt15iterator_traitsISK_E10value_typeEPNSQ_ISL_E10value_typeEPSM_NS1_7vsmem_tEENKUlT_SK_SL_SM_E_clISD_PbSF_PiEESJ_SZ_SK_SL_SM_EUlSZ_E1_NS1_11comp_targetILNS1_3genE5ELNS1_11target_archE942ELNS1_3gpuE9ELNS1_3repE0EEENS1_36merge_oddeven_config_static_selectorELNS0_4arch9wavefront6targetE1EEEvSL_,comdat
	.protected	_ZN7rocprim17ROCPRIM_400000_NS6detail17trampoline_kernelINS0_14default_configENS1_38merge_sort_block_merge_config_selectorIbiEEZZNS1_27merge_sort_block_merge_implIS3_N6thrust23THRUST_200600_302600_NS6detail15normal_iteratorINS8_10device_ptrIbEEEENSA_INSB_IiEEEEjNS1_19radix_merge_compareILb1ELb1EbNS0_19identity_decomposerEEEEE10hipError_tT0_T1_T2_jT3_P12ihipStream_tbPNSt15iterator_traitsISK_E10value_typeEPNSQ_ISL_E10value_typeEPSM_NS1_7vsmem_tEENKUlT_SK_SL_SM_E_clISD_PbSF_PiEESJ_SZ_SK_SL_SM_EUlSZ_E1_NS1_11comp_targetILNS1_3genE5ELNS1_11target_archE942ELNS1_3gpuE9ELNS1_3repE0EEENS1_36merge_oddeven_config_static_selectorELNS0_4arch9wavefront6targetE1EEEvSL_ ; -- Begin function _ZN7rocprim17ROCPRIM_400000_NS6detail17trampoline_kernelINS0_14default_configENS1_38merge_sort_block_merge_config_selectorIbiEEZZNS1_27merge_sort_block_merge_implIS3_N6thrust23THRUST_200600_302600_NS6detail15normal_iteratorINS8_10device_ptrIbEEEENSA_INSB_IiEEEEjNS1_19radix_merge_compareILb1ELb1EbNS0_19identity_decomposerEEEEE10hipError_tT0_T1_T2_jT3_P12ihipStream_tbPNSt15iterator_traitsISK_E10value_typeEPNSQ_ISL_E10value_typeEPSM_NS1_7vsmem_tEENKUlT_SK_SL_SM_E_clISD_PbSF_PiEESJ_SZ_SK_SL_SM_EUlSZ_E1_NS1_11comp_targetILNS1_3genE5ELNS1_11target_archE942ELNS1_3gpuE9ELNS1_3repE0EEENS1_36merge_oddeven_config_static_selectorELNS0_4arch9wavefront6targetE1EEEvSL_
	.globl	_ZN7rocprim17ROCPRIM_400000_NS6detail17trampoline_kernelINS0_14default_configENS1_38merge_sort_block_merge_config_selectorIbiEEZZNS1_27merge_sort_block_merge_implIS3_N6thrust23THRUST_200600_302600_NS6detail15normal_iteratorINS8_10device_ptrIbEEEENSA_INSB_IiEEEEjNS1_19radix_merge_compareILb1ELb1EbNS0_19identity_decomposerEEEEE10hipError_tT0_T1_T2_jT3_P12ihipStream_tbPNSt15iterator_traitsISK_E10value_typeEPNSQ_ISL_E10value_typeEPSM_NS1_7vsmem_tEENKUlT_SK_SL_SM_E_clISD_PbSF_PiEESJ_SZ_SK_SL_SM_EUlSZ_E1_NS1_11comp_targetILNS1_3genE5ELNS1_11target_archE942ELNS1_3gpuE9ELNS1_3repE0EEENS1_36merge_oddeven_config_static_selectorELNS0_4arch9wavefront6targetE1EEEvSL_
	.p2align	8
	.type	_ZN7rocprim17ROCPRIM_400000_NS6detail17trampoline_kernelINS0_14default_configENS1_38merge_sort_block_merge_config_selectorIbiEEZZNS1_27merge_sort_block_merge_implIS3_N6thrust23THRUST_200600_302600_NS6detail15normal_iteratorINS8_10device_ptrIbEEEENSA_INSB_IiEEEEjNS1_19radix_merge_compareILb1ELb1EbNS0_19identity_decomposerEEEEE10hipError_tT0_T1_T2_jT3_P12ihipStream_tbPNSt15iterator_traitsISK_E10value_typeEPNSQ_ISL_E10value_typeEPSM_NS1_7vsmem_tEENKUlT_SK_SL_SM_E_clISD_PbSF_PiEESJ_SZ_SK_SL_SM_EUlSZ_E1_NS1_11comp_targetILNS1_3genE5ELNS1_11target_archE942ELNS1_3gpuE9ELNS1_3repE0EEENS1_36merge_oddeven_config_static_selectorELNS0_4arch9wavefront6targetE1EEEvSL_,@function
_ZN7rocprim17ROCPRIM_400000_NS6detail17trampoline_kernelINS0_14default_configENS1_38merge_sort_block_merge_config_selectorIbiEEZZNS1_27merge_sort_block_merge_implIS3_N6thrust23THRUST_200600_302600_NS6detail15normal_iteratorINS8_10device_ptrIbEEEENSA_INSB_IiEEEEjNS1_19radix_merge_compareILb1ELb1EbNS0_19identity_decomposerEEEEE10hipError_tT0_T1_T2_jT3_P12ihipStream_tbPNSt15iterator_traitsISK_E10value_typeEPNSQ_ISL_E10value_typeEPSM_NS1_7vsmem_tEENKUlT_SK_SL_SM_E_clISD_PbSF_PiEESJ_SZ_SK_SL_SM_EUlSZ_E1_NS1_11comp_targetILNS1_3genE5ELNS1_11target_archE942ELNS1_3gpuE9ELNS1_3repE0EEENS1_36merge_oddeven_config_static_selectorELNS0_4arch9wavefront6targetE1EEEvSL_: ; @_ZN7rocprim17ROCPRIM_400000_NS6detail17trampoline_kernelINS0_14default_configENS1_38merge_sort_block_merge_config_selectorIbiEEZZNS1_27merge_sort_block_merge_implIS3_N6thrust23THRUST_200600_302600_NS6detail15normal_iteratorINS8_10device_ptrIbEEEENSA_INSB_IiEEEEjNS1_19radix_merge_compareILb1ELb1EbNS0_19identity_decomposerEEEEE10hipError_tT0_T1_T2_jT3_P12ihipStream_tbPNSt15iterator_traitsISK_E10value_typeEPNSQ_ISL_E10value_typeEPSM_NS1_7vsmem_tEENKUlT_SK_SL_SM_E_clISD_PbSF_PiEESJ_SZ_SK_SL_SM_EUlSZ_E1_NS1_11comp_targetILNS1_3genE5ELNS1_11target_archE942ELNS1_3gpuE9ELNS1_3repE0EEENS1_36merge_oddeven_config_static_selectorELNS0_4arch9wavefront6targetE1EEEvSL_
; %bb.0:
	.section	.rodata,"a",@progbits
	.p2align	6, 0x0
	.amdhsa_kernel _ZN7rocprim17ROCPRIM_400000_NS6detail17trampoline_kernelINS0_14default_configENS1_38merge_sort_block_merge_config_selectorIbiEEZZNS1_27merge_sort_block_merge_implIS3_N6thrust23THRUST_200600_302600_NS6detail15normal_iteratorINS8_10device_ptrIbEEEENSA_INSB_IiEEEEjNS1_19radix_merge_compareILb1ELb1EbNS0_19identity_decomposerEEEEE10hipError_tT0_T1_T2_jT3_P12ihipStream_tbPNSt15iterator_traitsISK_E10value_typeEPNSQ_ISL_E10value_typeEPSM_NS1_7vsmem_tEENKUlT_SK_SL_SM_E_clISD_PbSF_PiEESJ_SZ_SK_SL_SM_EUlSZ_E1_NS1_11comp_targetILNS1_3genE5ELNS1_11target_archE942ELNS1_3gpuE9ELNS1_3repE0EEENS1_36merge_oddeven_config_static_selectorELNS0_4arch9wavefront6targetE1EEEvSL_
		.amdhsa_group_segment_fixed_size 0
		.amdhsa_private_segment_fixed_size 0
		.amdhsa_kernarg_size 48
		.amdhsa_user_sgpr_count 2
		.amdhsa_user_sgpr_dispatch_ptr 0
		.amdhsa_user_sgpr_queue_ptr 0
		.amdhsa_user_sgpr_kernarg_segment_ptr 1
		.amdhsa_user_sgpr_dispatch_id 0
		.amdhsa_user_sgpr_kernarg_preload_length 0
		.amdhsa_user_sgpr_kernarg_preload_offset 0
		.amdhsa_user_sgpr_private_segment_size 0
		.amdhsa_uses_dynamic_stack 0
		.amdhsa_enable_private_segment 0
		.amdhsa_system_sgpr_workgroup_id_x 1
		.amdhsa_system_sgpr_workgroup_id_y 0
		.amdhsa_system_sgpr_workgroup_id_z 0
		.amdhsa_system_sgpr_workgroup_info 0
		.amdhsa_system_vgpr_workitem_id 0
		.amdhsa_next_free_vgpr 1
		.amdhsa_next_free_sgpr 0
		.amdhsa_accum_offset 4
		.amdhsa_reserve_vcc 0
		.amdhsa_float_round_mode_32 0
		.amdhsa_float_round_mode_16_64 0
		.amdhsa_float_denorm_mode_32 3
		.amdhsa_float_denorm_mode_16_64 3
		.amdhsa_dx10_clamp 1
		.amdhsa_ieee_mode 1
		.amdhsa_fp16_overflow 0
		.amdhsa_tg_split 0
		.amdhsa_exception_fp_ieee_invalid_op 0
		.amdhsa_exception_fp_denorm_src 0
		.amdhsa_exception_fp_ieee_div_zero 0
		.amdhsa_exception_fp_ieee_overflow 0
		.amdhsa_exception_fp_ieee_underflow 0
		.amdhsa_exception_fp_ieee_inexact 0
		.amdhsa_exception_int_div_zero 0
	.end_amdhsa_kernel
	.section	.text._ZN7rocprim17ROCPRIM_400000_NS6detail17trampoline_kernelINS0_14default_configENS1_38merge_sort_block_merge_config_selectorIbiEEZZNS1_27merge_sort_block_merge_implIS3_N6thrust23THRUST_200600_302600_NS6detail15normal_iteratorINS8_10device_ptrIbEEEENSA_INSB_IiEEEEjNS1_19radix_merge_compareILb1ELb1EbNS0_19identity_decomposerEEEEE10hipError_tT0_T1_T2_jT3_P12ihipStream_tbPNSt15iterator_traitsISK_E10value_typeEPNSQ_ISL_E10value_typeEPSM_NS1_7vsmem_tEENKUlT_SK_SL_SM_E_clISD_PbSF_PiEESJ_SZ_SK_SL_SM_EUlSZ_E1_NS1_11comp_targetILNS1_3genE5ELNS1_11target_archE942ELNS1_3gpuE9ELNS1_3repE0EEENS1_36merge_oddeven_config_static_selectorELNS0_4arch9wavefront6targetE1EEEvSL_,"axG",@progbits,_ZN7rocprim17ROCPRIM_400000_NS6detail17trampoline_kernelINS0_14default_configENS1_38merge_sort_block_merge_config_selectorIbiEEZZNS1_27merge_sort_block_merge_implIS3_N6thrust23THRUST_200600_302600_NS6detail15normal_iteratorINS8_10device_ptrIbEEEENSA_INSB_IiEEEEjNS1_19radix_merge_compareILb1ELb1EbNS0_19identity_decomposerEEEEE10hipError_tT0_T1_T2_jT3_P12ihipStream_tbPNSt15iterator_traitsISK_E10value_typeEPNSQ_ISL_E10value_typeEPSM_NS1_7vsmem_tEENKUlT_SK_SL_SM_E_clISD_PbSF_PiEESJ_SZ_SK_SL_SM_EUlSZ_E1_NS1_11comp_targetILNS1_3genE5ELNS1_11target_archE942ELNS1_3gpuE9ELNS1_3repE0EEENS1_36merge_oddeven_config_static_selectorELNS0_4arch9wavefront6targetE1EEEvSL_,comdat
.Lfunc_end2194:
	.size	_ZN7rocprim17ROCPRIM_400000_NS6detail17trampoline_kernelINS0_14default_configENS1_38merge_sort_block_merge_config_selectorIbiEEZZNS1_27merge_sort_block_merge_implIS3_N6thrust23THRUST_200600_302600_NS6detail15normal_iteratorINS8_10device_ptrIbEEEENSA_INSB_IiEEEEjNS1_19radix_merge_compareILb1ELb1EbNS0_19identity_decomposerEEEEE10hipError_tT0_T1_T2_jT3_P12ihipStream_tbPNSt15iterator_traitsISK_E10value_typeEPNSQ_ISL_E10value_typeEPSM_NS1_7vsmem_tEENKUlT_SK_SL_SM_E_clISD_PbSF_PiEESJ_SZ_SK_SL_SM_EUlSZ_E1_NS1_11comp_targetILNS1_3genE5ELNS1_11target_archE942ELNS1_3gpuE9ELNS1_3repE0EEENS1_36merge_oddeven_config_static_selectorELNS0_4arch9wavefront6targetE1EEEvSL_, .Lfunc_end2194-_ZN7rocprim17ROCPRIM_400000_NS6detail17trampoline_kernelINS0_14default_configENS1_38merge_sort_block_merge_config_selectorIbiEEZZNS1_27merge_sort_block_merge_implIS3_N6thrust23THRUST_200600_302600_NS6detail15normal_iteratorINS8_10device_ptrIbEEEENSA_INSB_IiEEEEjNS1_19radix_merge_compareILb1ELb1EbNS0_19identity_decomposerEEEEE10hipError_tT0_T1_T2_jT3_P12ihipStream_tbPNSt15iterator_traitsISK_E10value_typeEPNSQ_ISL_E10value_typeEPSM_NS1_7vsmem_tEENKUlT_SK_SL_SM_E_clISD_PbSF_PiEESJ_SZ_SK_SL_SM_EUlSZ_E1_NS1_11comp_targetILNS1_3genE5ELNS1_11target_archE942ELNS1_3gpuE9ELNS1_3repE0EEENS1_36merge_oddeven_config_static_selectorELNS0_4arch9wavefront6targetE1EEEvSL_
                                        ; -- End function
	.set _ZN7rocprim17ROCPRIM_400000_NS6detail17trampoline_kernelINS0_14default_configENS1_38merge_sort_block_merge_config_selectorIbiEEZZNS1_27merge_sort_block_merge_implIS3_N6thrust23THRUST_200600_302600_NS6detail15normal_iteratorINS8_10device_ptrIbEEEENSA_INSB_IiEEEEjNS1_19radix_merge_compareILb1ELb1EbNS0_19identity_decomposerEEEEE10hipError_tT0_T1_T2_jT3_P12ihipStream_tbPNSt15iterator_traitsISK_E10value_typeEPNSQ_ISL_E10value_typeEPSM_NS1_7vsmem_tEENKUlT_SK_SL_SM_E_clISD_PbSF_PiEESJ_SZ_SK_SL_SM_EUlSZ_E1_NS1_11comp_targetILNS1_3genE5ELNS1_11target_archE942ELNS1_3gpuE9ELNS1_3repE0EEENS1_36merge_oddeven_config_static_selectorELNS0_4arch9wavefront6targetE1EEEvSL_.num_vgpr, 0
	.set _ZN7rocprim17ROCPRIM_400000_NS6detail17trampoline_kernelINS0_14default_configENS1_38merge_sort_block_merge_config_selectorIbiEEZZNS1_27merge_sort_block_merge_implIS3_N6thrust23THRUST_200600_302600_NS6detail15normal_iteratorINS8_10device_ptrIbEEEENSA_INSB_IiEEEEjNS1_19radix_merge_compareILb1ELb1EbNS0_19identity_decomposerEEEEE10hipError_tT0_T1_T2_jT3_P12ihipStream_tbPNSt15iterator_traitsISK_E10value_typeEPNSQ_ISL_E10value_typeEPSM_NS1_7vsmem_tEENKUlT_SK_SL_SM_E_clISD_PbSF_PiEESJ_SZ_SK_SL_SM_EUlSZ_E1_NS1_11comp_targetILNS1_3genE5ELNS1_11target_archE942ELNS1_3gpuE9ELNS1_3repE0EEENS1_36merge_oddeven_config_static_selectorELNS0_4arch9wavefront6targetE1EEEvSL_.num_agpr, 0
	.set _ZN7rocprim17ROCPRIM_400000_NS6detail17trampoline_kernelINS0_14default_configENS1_38merge_sort_block_merge_config_selectorIbiEEZZNS1_27merge_sort_block_merge_implIS3_N6thrust23THRUST_200600_302600_NS6detail15normal_iteratorINS8_10device_ptrIbEEEENSA_INSB_IiEEEEjNS1_19radix_merge_compareILb1ELb1EbNS0_19identity_decomposerEEEEE10hipError_tT0_T1_T2_jT3_P12ihipStream_tbPNSt15iterator_traitsISK_E10value_typeEPNSQ_ISL_E10value_typeEPSM_NS1_7vsmem_tEENKUlT_SK_SL_SM_E_clISD_PbSF_PiEESJ_SZ_SK_SL_SM_EUlSZ_E1_NS1_11comp_targetILNS1_3genE5ELNS1_11target_archE942ELNS1_3gpuE9ELNS1_3repE0EEENS1_36merge_oddeven_config_static_selectorELNS0_4arch9wavefront6targetE1EEEvSL_.numbered_sgpr, 0
	.set _ZN7rocprim17ROCPRIM_400000_NS6detail17trampoline_kernelINS0_14default_configENS1_38merge_sort_block_merge_config_selectorIbiEEZZNS1_27merge_sort_block_merge_implIS3_N6thrust23THRUST_200600_302600_NS6detail15normal_iteratorINS8_10device_ptrIbEEEENSA_INSB_IiEEEEjNS1_19radix_merge_compareILb1ELb1EbNS0_19identity_decomposerEEEEE10hipError_tT0_T1_T2_jT3_P12ihipStream_tbPNSt15iterator_traitsISK_E10value_typeEPNSQ_ISL_E10value_typeEPSM_NS1_7vsmem_tEENKUlT_SK_SL_SM_E_clISD_PbSF_PiEESJ_SZ_SK_SL_SM_EUlSZ_E1_NS1_11comp_targetILNS1_3genE5ELNS1_11target_archE942ELNS1_3gpuE9ELNS1_3repE0EEENS1_36merge_oddeven_config_static_selectorELNS0_4arch9wavefront6targetE1EEEvSL_.num_named_barrier, 0
	.set _ZN7rocprim17ROCPRIM_400000_NS6detail17trampoline_kernelINS0_14default_configENS1_38merge_sort_block_merge_config_selectorIbiEEZZNS1_27merge_sort_block_merge_implIS3_N6thrust23THRUST_200600_302600_NS6detail15normal_iteratorINS8_10device_ptrIbEEEENSA_INSB_IiEEEEjNS1_19radix_merge_compareILb1ELb1EbNS0_19identity_decomposerEEEEE10hipError_tT0_T1_T2_jT3_P12ihipStream_tbPNSt15iterator_traitsISK_E10value_typeEPNSQ_ISL_E10value_typeEPSM_NS1_7vsmem_tEENKUlT_SK_SL_SM_E_clISD_PbSF_PiEESJ_SZ_SK_SL_SM_EUlSZ_E1_NS1_11comp_targetILNS1_3genE5ELNS1_11target_archE942ELNS1_3gpuE9ELNS1_3repE0EEENS1_36merge_oddeven_config_static_selectorELNS0_4arch9wavefront6targetE1EEEvSL_.private_seg_size, 0
	.set _ZN7rocprim17ROCPRIM_400000_NS6detail17trampoline_kernelINS0_14default_configENS1_38merge_sort_block_merge_config_selectorIbiEEZZNS1_27merge_sort_block_merge_implIS3_N6thrust23THRUST_200600_302600_NS6detail15normal_iteratorINS8_10device_ptrIbEEEENSA_INSB_IiEEEEjNS1_19radix_merge_compareILb1ELb1EbNS0_19identity_decomposerEEEEE10hipError_tT0_T1_T2_jT3_P12ihipStream_tbPNSt15iterator_traitsISK_E10value_typeEPNSQ_ISL_E10value_typeEPSM_NS1_7vsmem_tEENKUlT_SK_SL_SM_E_clISD_PbSF_PiEESJ_SZ_SK_SL_SM_EUlSZ_E1_NS1_11comp_targetILNS1_3genE5ELNS1_11target_archE942ELNS1_3gpuE9ELNS1_3repE0EEENS1_36merge_oddeven_config_static_selectorELNS0_4arch9wavefront6targetE1EEEvSL_.uses_vcc, 0
	.set _ZN7rocprim17ROCPRIM_400000_NS6detail17trampoline_kernelINS0_14default_configENS1_38merge_sort_block_merge_config_selectorIbiEEZZNS1_27merge_sort_block_merge_implIS3_N6thrust23THRUST_200600_302600_NS6detail15normal_iteratorINS8_10device_ptrIbEEEENSA_INSB_IiEEEEjNS1_19radix_merge_compareILb1ELb1EbNS0_19identity_decomposerEEEEE10hipError_tT0_T1_T2_jT3_P12ihipStream_tbPNSt15iterator_traitsISK_E10value_typeEPNSQ_ISL_E10value_typeEPSM_NS1_7vsmem_tEENKUlT_SK_SL_SM_E_clISD_PbSF_PiEESJ_SZ_SK_SL_SM_EUlSZ_E1_NS1_11comp_targetILNS1_3genE5ELNS1_11target_archE942ELNS1_3gpuE9ELNS1_3repE0EEENS1_36merge_oddeven_config_static_selectorELNS0_4arch9wavefront6targetE1EEEvSL_.uses_flat_scratch, 0
	.set _ZN7rocprim17ROCPRIM_400000_NS6detail17trampoline_kernelINS0_14default_configENS1_38merge_sort_block_merge_config_selectorIbiEEZZNS1_27merge_sort_block_merge_implIS3_N6thrust23THRUST_200600_302600_NS6detail15normal_iteratorINS8_10device_ptrIbEEEENSA_INSB_IiEEEEjNS1_19radix_merge_compareILb1ELb1EbNS0_19identity_decomposerEEEEE10hipError_tT0_T1_T2_jT3_P12ihipStream_tbPNSt15iterator_traitsISK_E10value_typeEPNSQ_ISL_E10value_typeEPSM_NS1_7vsmem_tEENKUlT_SK_SL_SM_E_clISD_PbSF_PiEESJ_SZ_SK_SL_SM_EUlSZ_E1_NS1_11comp_targetILNS1_3genE5ELNS1_11target_archE942ELNS1_3gpuE9ELNS1_3repE0EEENS1_36merge_oddeven_config_static_selectorELNS0_4arch9wavefront6targetE1EEEvSL_.has_dyn_sized_stack, 0
	.set _ZN7rocprim17ROCPRIM_400000_NS6detail17trampoline_kernelINS0_14default_configENS1_38merge_sort_block_merge_config_selectorIbiEEZZNS1_27merge_sort_block_merge_implIS3_N6thrust23THRUST_200600_302600_NS6detail15normal_iteratorINS8_10device_ptrIbEEEENSA_INSB_IiEEEEjNS1_19radix_merge_compareILb1ELb1EbNS0_19identity_decomposerEEEEE10hipError_tT0_T1_T2_jT3_P12ihipStream_tbPNSt15iterator_traitsISK_E10value_typeEPNSQ_ISL_E10value_typeEPSM_NS1_7vsmem_tEENKUlT_SK_SL_SM_E_clISD_PbSF_PiEESJ_SZ_SK_SL_SM_EUlSZ_E1_NS1_11comp_targetILNS1_3genE5ELNS1_11target_archE942ELNS1_3gpuE9ELNS1_3repE0EEENS1_36merge_oddeven_config_static_selectorELNS0_4arch9wavefront6targetE1EEEvSL_.has_recursion, 0
	.set _ZN7rocprim17ROCPRIM_400000_NS6detail17trampoline_kernelINS0_14default_configENS1_38merge_sort_block_merge_config_selectorIbiEEZZNS1_27merge_sort_block_merge_implIS3_N6thrust23THRUST_200600_302600_NS6detail15normal_iteratorINS8_10device_ptrIbEEEENSA_INSB_IiEEEEjNS1_19radix_merge_compareILb1ELb1EbNS0_19identity_decomposerEEEEE10hipError_tT0_T1_T2_jT3_P12ihipStream_tbPNSt15iterator_traitsISK_E10value_typeEPNSQ_ISL_E10value_typeEPSM_NS1_7vsmem_tEENKUlT_SK_SL_SM_E_clISD_PbSF_PiEESJ_SZ_SK_SL_SM_EUlSZ_E1_NS1_11comp_targetILNS1_3genE5ELNS1_11target_archE942ELNS1_3gpuE9ELNS1_3repE0EEENS1_36merge_oddeven_config_static_selectorELNS0_4arch9wavefront6targetE1EEEvSL_.has_indirect_call, 0
	.section	.AMDGPU.csdata,"",@progbits
; Kernel info:
; codeLenInByte = 0
; TotalNumSgprs: 6
; NumVgprs: 0
; NumAgprs: 0
; TotalNumVgprs: 0
; ScratchSize: 0
; MemoryBound: 0
; FloatMode: 240
; IeeeMode: 1
; LDSByteSize: 0 bytes/workgroup (compile time only)
; SGPRBlocks: 0
; VGPRBlocks: 0
; NumSGPRsForWavesPerEU: 6
; NumVGPRsForWavesPerEU: 1
; AccumOffset: 4
; Occupancy: 8
; WaveLimiterHint : 0
; COMPUTE_PGM_RSRC2:SCRATCH_EN: 0
; COMPUTE_PGM_RSRC2:USER_SGPR: 2
; COMPUTE_PGM_RSRC2:TRAP_HANDLER: 0
; COMPUTE_PGM_RSRC2:TGID_X_EN: 1
; COMPUTE_PGM_RSRC2:TGID_Y_EN: 0
; COMPUTE_PGM_RSRC2:TGID_Z_EN: 0
; COMPUTE_PGM_RSRC2:TIDIG_COMP_CNT: 0
; COMPUTE_PGM_RSRC3_GFX90A:ACCUM_OFFSET: 0
; COMPUTE_PGM_RSRC3_GFX90A:TG_SPLIT: 0
	.section	.text._ZN7rocprim17ROCPRIM_400000_NS6detail17trampoline_kernelINS0_14default_configENS1_38merge_sort_block_merge_config_selectorIbiEEZZNS1_27merge_sort_block_merge_implIS3_N6thrust23THRUST_200600_302600_NS6detail15normal_iteratorINS8_10device_ptrIbEEEENSA_INSB_IiEEEEjNS1_19radix_merge_compareILb1ELb1EbNS0_19identity_decomposerEEEEE10hipError_tT0_T1_T2_jT3_P12ihipStream_tbPNSt15iterator_traitsISK_E10value_typeEPNSQ_ISL_E10value_typeEPSM_NS1_7vsmem_tEENKUlT_SK_SL_SM_E_clISD_PbSF_PiEESJ_SZ_SK_SL_SM_EUlSZ_E1_NS1_11comp_targetILNS1_3genE4ELNS1_11target_archE910ELNS1_3gpuE8ELNS1_3repE0EEENS1_36merge_oddeven_config_static_selectorELNS0_4arch9wavefront6targetE1EEEvSL_,"axG",@progbits,_ZN7rocprim17ROCPRIM_400000_NS6detail17trampoline_kernelINS0_14default_configENS1_38merge_sort_block_merge_config_selectorIbiEEZZNS1_27merge_sort_block_merge_implIS3_N6thrust23THRUST_200600_302600_NS6detail15normal_iteratorINS8_10device_ptrIbEEEENSA_INSB_IiEEEEjNS1_19radix_merge_compareILb1ELb1EbNS0_19identity_decomposerEEEEE10hipError_tT0_T1_T2_jT3_P12ihipStream_tbPNSt15iterator_traitsISK_E10value_typeEPNSQ_ISL_E10value_typeEPSM_NS1_7vsmem_tEENKUlT_SK_SL_SM_E_clISD_PbSF_PiEESJ_SZ_SK_SL_SM_EUlSZ_E1_NS1_11comp_targetILNS1_3genE4ELNS1_11target_archE910ELNS1_3gpuE8ELNS1_3repE0EEENS1_36merge_oddeven_config_static_selectorELNS0_4arch9wavefront6targetE1EEEvSL_,comdat
	.protected	_ZN7rocprim17ROCPRIM_400000_NS6detail17trampoline_kernelINS0_14default_configENS1_38merge_sort_block_merge_config_selectorIbiEEZZNS1_27merge_sort_block_merge_implIS3_N6thrust23THRUST_200600_302600_NS6detail15normal_iteratorINS8_10device_ptrIbEEEENSA_INSB_IiEEEEjNS1_19radix_merge_compareILb1ELb1EbNS0_19identity_decomposerEEEEE10hipError_tT0_T1_T2_jT3_P12ihipStream_tbPNSt15iterator_traitsISK_E10value_typeEPNSQ_ISL_E10value_typeEPSM_NS1_7vsmem_tEENKUlT_SK_SL_SM_E_clISD_PbSF_PiEESJ_SZ_SK_SL_SM_EUlSZ_E1_NS1_11comp_targetILNS1_3genE4ELNS1_11target_archE910ELNS1_3gpuE8ELNS1_3repE0EEENS1_36merge_oddeven_config_static_selectorELNS0_4arch9wavefront6targetE1EEEvSL_ ; -- Begin function _ZN7rocprim17ROCPRIM_400000_NS6detail17trampoline_kernelINS0_14default_configENS1_38merge_sort_block_merge_config_selectorIbiEEZZNS1_27merge_sort_block_merge_implIS3_N6thrust23THRUST_200600_302600_NS6detail15normal_iteratorINS8_10device_ptrIbEEEENSA_INSB_IiEEEEjNS1_19radix_merge_compareILb1ELb1EbNS0_19identity_decomposerEEEEE10hipError_tT0_T1_T2_jT3_P12ihipStream_tbPNSt15iterator_traitsISK_E10value_typeEPNSQ_ISL_E10value_typeEPSM_NS1_7vsmem_tEENKUlT_SK_SL_SM_E_clISD_PbSF_PiEESJ_SZ_SK_SL_SM_EUlSZ_E1_NS1_11comp_targetILNS1_3genE4ELNS1_11target_archE910ELNS1_3gpuE8ELNS1_3repE0EEENS1_36merge_oddeven_config_static_selectorELNS0_4arch9wavefront6targetE1EEEvSL_
	.globl	_ZN7rocprim17ROCPRIM_400000_NS6detail17trampoline_kernelINS0_14default_configENS1_38merge_sort_block_merge_config_selectorIbiEEZZNS1_27merge_sort_block_merge_implIS3_N6thrust23THRUST_200600_302600_NS6detail15normal_iteratorINS8_10device_ptrIbEEEENSA_INSB_IiEEEEjNS1_19radix_merge_compareILb1ELb1EbNS0_19identity_decomposerEEEEE10hipError_tT0_T1_T2_jT3_P12ihipStream_tbPNSt15iterator_traitsISK_E10value_typeEPNSQ_ISL_E10value_typeEPSM_NS1_7vsmem_tEENKUlT_SK_SL_SM_E_clISD_PbSF_PiEESJ_SZ_SK_SL_SM_EUlSZ_E1_NS1_11comp_targetILNS1_3genE4ELNS1_11target_archE910ELNS1_3gpuE8ELNS1_3repE0EEENS1_36merge_oddeven_config_static_selectorELNS0_4arch9wavefront6targetE1EEEvSL_
	.p2align	8
	.type	_ZN7rocprim17ROCPRIM_400000_NS6detail17trampoline_kernelINS0_14default_configENS1_38merge_sort_block_merge_config_selectorIbiEEZZNS1_27merge_sort_block_merge_implIS3_N6thrust23THRUST_200600_302600_NS6detail15normal_iteratorINS8_10device_ptrIbEEEENSA_INSB_IiEEEEjNS1_19radix_merge_compareILb1ELb1EbNS0_19identity_decomposerEEEEE10hipError_tT0_T1_T2_jT3_P12ihipStream_tbPNSt15iterator_traitsISK_E10value_typeEPNSQ_ISL_E10value_typeEPSM_NS1_7vsmem_tEENKUlT_SK_SL_SM_E_clISD_PbSF_PiEESJ_SZ_SK_SL_SM_EUlSZ_E1_NS1_11comp_targetILNS1_3genE4ELNS1_11target_archE910ELNS1_3gpuE8ELNS1_3repE0EEENS1_36merge_oddeven_config_static_selectorELNS0_4arch9wavefront6targetE1EEEvSL_,@function
_ZN7rocprim17ROCPRIM_400000_NS6detail17trampoline_kernelINS0_14default_configENS1_38merge_sort_block_merge_config_selectorIbiEEZZNS1_27merge_sort_block_merge_implIS3_N6thrust23THRUST_200600_302600_NS6detail15normal_iteratorINS8_10device_ptrIbEEEENSA_INSB_IiEEEEjNS1_19radix_merge_compareILb1ELb1EbNS0_19identity_decomposerEEEEE10hipError_tT0_T1_T2_jT3_P12ihipStream_tbPNSt15iterator_traitsISK_E10value_typeEPNSQ_ISL_E10value_typeEPSM_NS1_7vsmem_tEENKUlT_SK_SL_SM_E_clISD_PbSF_PiEESJ_SZ_SK_SL_SM_EUlSZ_E1_NS1_11comp_targetILNS1_3genE4ELNS1_11target_archE910ELNS1_3gpuE8ELNS1_3repE0EEENS1_36merge_oddeven_config_static_selectorELNS0_4arch9wavefront6targetE1EEEvSL_: ; @_ZN7rocprim17ROCPRIM_400000_NS6detail17trampoline_kernelINS0_14default_configENS1_38merge_sort_block_merge_config_selectorIbiEEZZNS1_27merge_sort_block_merge_implIS3_N6thrust23THRUST_200600_302600_NS6detail15normal_iteratorINS8_10device_ptrIbEEEENSA_INSB_IiEEEEjNS1_19radix_merge_compareILb1ELb1EbNS0_19identity_decomposerEEEEE10hipError_tT0_T1_T2_jT3_P12ihipStream_tbPNSt15iterator_traitsISK_E10value_typeEPNSQ_ISL_E10value_typeEPSM_NS1_7vsmem_tEENKUlT_SK_SL_SM_E_clISD_PbSF_PiEESJ_SZ_SK_SL_SM_EUlSZ_E1_NS1_11comp_targetILNS1_3genE4ELNS1_11target_archE910ELNS1_3gpuE8ELNS1_3repE0EEENS1_36merge_oddeven_config_static_selectorELNS0_4arch9wavefront6targetE1EEEvSL_
; %bb.0:
	.section	.rodata,"a",@progbits
	.p2align	6, 0x0
	.amdhsa_kernel _ZN7rocprim17ROCPRIM_400000_NS6detail17trampoline_kernelINS0_14default_configENS1_38merge_sort_block_merge_config_selectorIbiEEZZNS1_27merge_sort_block_merge_implIS3_N6thrust23THRUST_200600_302600_NS6detail15normal_iteratorINS8_10device_ptrIbEEEENSA_INSB_IiEEEEjNS1_19radix_merge_compareILb1ELb1EbNS0_19identity_decomposerEEEEE10hipError_tT0_T1_T2_jT3_P12ihipStream_tbPNSt15iterator_traitsISK_E10value_typeEPNSQ_ISL_E10value_typeEPSM_NS1_7vsmem_tEENKUlT_SK_SL_SM_E_clISD_PbSF_PiEESJ_SZ_SK_SL_SM_EUlSZ_E1_NS1_11comp_targetILNS1_3genE4ELNS1_11target_archE910ELNS1_3gpuE8ELNS1_3repE0EEENS1_36merge_oddeven_config_static_selectorELNS0_4arch9wavefront6targetE1EEEvSL_
		.amdhsa_group_segment_fixed_size 0
		.amdhsa_private_segment_fixed_size 0
		.amdhsa_kernarg_size 48
		.amdhsa_user_sgpr_count 2
		.amdhsa_user_sgpr_dispatch_ptr 0
		.amdhsa_user_sgpr_queue_ptr 0
		.amdhsa_user_sgpr_kernarg_segment_ptr 1
		.amdhsa_user_sgpr_dispatch_id 0
		.amdhsa_user_sgpr_kernarg_preload_length 0
		.amdhsa_user_sgpr_kernarg_preload_offset 0
		.amdhsa_user_sgpr_private_segment_size 0
		.amdhsa_uses_dynamic_stack 0
		.amdhsa_enable_private_segment 0
		.amdhsa_system_sgpr_workgroup_id_x 1
		.amdhsa_system_sgpr_workgroup_id_y 0
		.amdhsa_system_sgpr_workgroup_id_z 0
		.amdhsa_system_sgpr_workgroup_info 0
		.amdhsa_system_vgpr_workitem_id 0
		.amdhsa_next_free_vgpr 1
		.amdhsa_next_free_sgpr 0
		.amdhsa_accum_offset 4
		.amdhsa_reserve_vcc 0
		.amdhsa_float_round_mode_32 0
		.amdhsa_float_round_mode_16_64 0
		.amdhsa_float_denorm_mode_32 3
		.amdhsa_float_denorm_mode_16_64 3
		.amdhsa_dx10_clamp 1
		.amdhsa_ieee_mode 1
		.amdhsa_fp16_overflow 0
		.amdhsa_tg_split 0
		.amdhsa_exception_fp_ieee_invalid_op 0
		.amdhsa_exception_fp_denorm_src 0
		.amdhsa_exception_fp_ieee_div_zero 0
		.amdhsa_exception_fp_ieee_overflow 0
		.amdhsa_exception_fp_ieee_underflow 0
		.amdhsa_exception_fp_ieee_inexact 0
		.amdhsa_exception_int_div_zero 0
	.end_amdhsa_kernel
	.section	.text._ZN7rocprim17ROCPRIM_400000_NS6detail17trampoline_kernelINS0_14default_configENS1_38merge_sort_block_merge_config_selectorIbiEEZZNS1_27merge_sort_block_merge_implIS3_N6thrust23THRUST_200600_302600_NS6detail15normal_iteratorINS8_10device_ptrIbEEEENSA_INSB_IiEEEEjNS1_19radix_merge_compareILb1ELb1EbNS0_19identity_decomposerEEEEE10hipError_tT0_T1_T2_jT3_P12ihipStream_tbPNSt15iterator_traitsISK_E10value_typeEPNSQ_ISL_E10value_typeEPSM_NS1_7vsmem_tEENKUlT_SK_SL_SM_E_clISD_PbSF_PiEESJ_SZ_SK_SL_SM_EUlSZ_E1_NS1_11comp_targetILNS1_3genE4ELNS1_11target_archE910ELNS1_3gpuE8ELNS1_3repE0EEENS1_36merge_oddeven_config_static_selectorELNS0_4arch9wavefront6targetE1EEEvSL_,"axG",@progbits,_ZN7rocprim17ROCPRIM_400000_NS6detail17trampoline_kernelINS0_14default_configENS1_38merge_sort_block_merge_config_selectorIbiEEZZNS1_27merge_sort_block_merge_implIS3_N6thrust23THRUST_200600_302600_NS6detail15normal_iteratorINS8_10device_ptrIbEEEENSA_INSB_IiEEEEjNS1_19radix_merge_compareILb1ELb1EbNS0_19identity_decomposerEEEEE10hipError_tT0_T1_T2_jT3_P12ihipStream_tbPNSt15iterator_traitsISK_E10value_typeEPNSQ_ISL_E10value_typeEPSM_NS1_7vsmem_tEENKUlT_SK_SL_SM_E_clISD_PbSF_PiEESJ_SZ_SK_SL_SM_EUlSZ_E1_NS1_11comp_targetILNS1_3genE4ELNS1_11target_archE910ELNS1_3gpuE8ELNS1_3repE0EEENS1_36merge_oddeven_config_static_selectorELNS0_4arch9wavefront6targetE1EEEvSL_,comdat
.Lfunc_end2195:
	.size	_ZN7rocprim17ROCPRIM_400000_NS6detail17trampoline_kernelINS0_14default_configENS1_38merge_sort_block_merge_config_selectorIbiEEZZNS1_27merge_sort_block_merge_implIS3_N6thrust23THRUST_200600_302600_NS6detail15normal_iteratorINS8_10device_ptrIbEEEENSA_INSB_IiEEEEjNS1_19radix_merge_compareILb1ELb1EbNS0_19identity_decomposerEEEEE10hipError_tT0_T1_T2_jT3_P12ihipStream_tbPNSt15iterator_traitsISK_E10value_typeEPNSQ_ISL_E10value_typeEPSM_NS1_7vsmem_tEENKUlT_SK_SL_SM_E_clISD_PbSF_PiEESJ_SZ_SK_SL_SM_EUlSZ_E1_NS1_11comp_targetILNS1_3genE4ELNS1_11target_archE910ELNS1_3gpuE8ELNS1_3repE0EEENS1_36merge_oddeven_config_static_selectorELNS0_4arch9wavefront6targetE1EEEvSL_, .Lfunc_end2195-_ZN7rocprim17ROCPRIM_400000_NS6detail17trampoline_kernelINS0_14default_configENS1_38merge_sort_block_merge_config_selectorIbiEEZZNS1_27merge_sort_block_merge_implIS3_N6thrust23THRUST_200600_302600_NS6detail15normal_iteratorINS8_10device_ptrIbEEEENSA_INSB_IiEEEEjNS1_19radix_merge_compareILb1ELb1EbNS0_19identity_decomposerEEEEE10hipError_tT0_T1_T2_jT3_P12ihipStream_tbPNSt15iterator_traitsISK_E10value_typeEPNSQ_ISL_E10value_typeEPSM_NS1_7vsmem_tEENKUlT_SK_SL_SM_E_clISD_PbSF_PiEESJ_SZ_SK_SL_SM_EUlSZ_E1_NS1_11comp_targetILNS1_3genE4ELNS1_11target_archE910ELNS1_3gpuE8ELNS1_3repE0EEENS1_36merge_oddeven_config_static_selectorELNS0_4arch9wavefront6targetE1EEEvSL_
                                        ; -- End function
	.set _ZN7rocprim17ROCPRIM_400000_NS6detail17trampoline_kernelINS0_14default_configENS1_38merge_sort_block_merge_config_selectorIbiEEZZNS1_27merge_sort_block_merge_implIS3_N6thrust23THRUST_200600_302600_NS6detail15normal_iteratorINS8_10device_ptrIbEEEENSA_INSB_IiEEEEjNS1_19radix_merge_compareILb1ELb1EbNS0_19identity_decomposerEEEEE10hipError_tT0_T1_T2_jT3_P12ihipStream_tbPNSt15iterator_traitsISK_E10value_typeEPNSQ_ISL_E10value_typeEPSM_NS1_7vsmem_tEENKUlT_SK_SL_SM_E_clISD_PbSF_PiEESJ_SZ_SK_SL_SM_EUlSZ_E1_NS1_11comp_targetILNS1_3genE4ELNS1_11target_archE910ELNS1_3gpuE8ELNS1_3repE0EEENS1_36merge_oddeven_config_static_selectorELNS0_4arch9wavefront6targetE1EEEvSL_.num_vgpr, 0
	.set _ZN7rocprim17ROCPRIM_400000_NS6detail17trampoline_kernelINS0_14default_configENS1_38merge_sort_block_merge_config_selectorIbiEEZZNS1_27merge_sort_block_merge_implIS3_N6thrust23THRUST_200600_302600_NS6detail15normal_iteratorINS8_10device_ptrIbEEEENSA_INSB_IiEEEEjNS1_19radix_merge_compareILb1ELb1EbNS0_19identity_decomposerEEEEE10hipError_tT0_T1_T2_jT3_P12ihipStream_tbPNSt15iterator_traitsISK_E10value_typeEPNSQ_ISL_E10value_typeEPSM_NS1_7vsmem_tEENKUlT_SK_SL_SM_E_clISD_PbSF_PiEESJ_SZ_SK_SL_SM_EUlSZ_E1_NS1_11comp_targetILNS1_3genE4ELNS1_11target_archE910ELNS1_3gpuE8ELNS1_3repE0EEENS1_36merge_oddeven_config_static_selectorELNS0_4arch9wavefront6targetE1EEEvSL_.num_agpr, 0
	.set _ZN7rocprim17ROCPRIM_400000_NS6detail17trampoline_kernelINS0_14default_configENS1_38merge_sort_block_merge_config_selectorIbiEEZZNS1_27merge_sort_block_merge_implIS3_N6thrust23THRUST_200600_302600_NS6detail15normal_iteratorINS8_10device_ptrIbEEEENSA_INSB_IiEEEEjNS1_19radix_merge_compareILb1ELb1EbNS0_19identity_decomposerEEEEE10hipError_tT0_T1_T2_jT3_P12ihipStream_tbPNSt15iterator_traitsISK_E10value_typeEPNSQ_ISL_E10value_typeEPSM_NS1_7vsmem_tEENKUlT_SK_SL_SM_E_clISD_PbSF_PiEESJ_SZ_SK_SL_SM_EUlSZ_E1_NS1_11comp_targetILNS1_3genE4ELNS1_11target_archE910ELNS1_3gpuE8ELNS1_3repE0EEENS1_36merge_oddeven_config_static_selectorELNS0_4arch9wavefront6targetE1EEEvSL_.numbered_sgpr, 0
	.set _ZN7rocprim17ROCPRIM_400000_NS6detail17trampoline_kernelINS0_14default_configENS1_38merge_sort_block_merge_config_selectorIbiEEZZNS1_27merge_sort_block_merge_implIS3_N6thrust23THRUST_200600_302600_NS6detail15normal_iteratorINS8_10device_ptrIbEEEENSA_INSB_IiEEEEjNS1_19radix_merge_compareILb1ELb1EbNS0_19identity_decomposerEEEEE10hipError_tT0_T1_T2_jT3_P12ihipStream_tbPNSt15iterator_traitsISK_E10value_typeEPNSQ_ISL_E10value_typeEPSM_NS1_7vsmem_tEENKUlT_SK_SL_SM_E_clISD_PbSF_PiEESJ_SZ_SK_SL_SM_EUlSZ_E1_NS1_11comp_targetILNS1_3genE4ELNS1_11target_archE910ELNS1_3gpuE8ELNS1_3repE0EEENS1_36merge_oddeven_config_static_selectorELNS0_4arch9wavefront6targetE1EEEvSL_.num_named_barrier, 0
	.set _ZN7rocprim17ROCPRIM_400000_NS6detail17trampoline_kernelINS0_14default_configENS1_38merge_sort_block_merge_config_selectorIbiEEZZNS1_27merge_sort_block_merge_implIS3_N6thrust23THRUST_200600_302600_NS6detail15normal_iteratorINS8_10device_ptrIbEEEENSA_INSB_IiEEEEjNS1_19radix_merge_compareILb1ELb1EbNS0_19identity_decomposerEEEEE10hipError_tT0_T1_T2_jT3_P12ihipStream_tbPNSt15iterator_traitsISK_E10value_typeEPNSQ_ISL_E10value_typeEPSM_NS1_7vsmem_tEENKUlT_SK_SL_SM_E_clISD_PbSF_PiEESJ_SZ_SK_SL_SM_EUlSZ_E1_NS1_11comp_targetILNS1_3genE4ELNS1_11target_archE910ELNS1_3gpuE8ELNS1_3repE0EEENS1_36merge_oddeven_config_static_selectorELNS0_4arch9wavefront6targetE1EEEvSL_.private_seg_size, 0
	.set _ZN7rocprim17ROCPRIM_400000_NS6detail17trampoline_kernelINS0_14default_configENS1_38merge_sort_block_merge_config_selectorIbiEEZZNS1_27merge_sort_block_merge_implIS3_N6thrust23THRUST_200600_302600_NS6detail15normal_iteratorINS8_10device_ptrIbEEEENSA_INSB_IiEEEEjNS1_19radix_merge_compareILb1ELb1EbNS0_19identity_decomposerEEEEE10hipError_tT0_T1_T2_jT3_P12ihipStream_tbPNSt15iterator_traitsISK_E10value_typeEPNSQ_ISL_E10value_typeEPSM_NS1_7vsmem_tEENKUlT_SK_SL_SM_E_clISD_PbSF_PiEESJ_SZ_SK_SL_SM_EUlSZ_E1_NS1_11comp_targetILNS1_3genE4ELNS1_11target_archE910ELNS1_3gpuE8ELNS1_3repE0EEENS1_36merge_oddeven_config_static_selectorELNS0_4arch9wavefront6targetE1EEEvSL_.uses_vcc, 0
	.set _ZN7rocprim17ROCPRIM_400000_NS6detail17trampoline_kernelINS0_14default_configENS1_38merge_sort_block_merge_config_selectorIbiEEZZNS1_27merge_sort_block_merge_implIS3_N6thrust23THRUST_200600_302600_NS6detail15normal_iteratorINS8_10device_ptrIbEEEENSA_INSB_IiEEEEjNS1_19radix_merge_compareILb1ELb1EbNS0_19identity_decomposerEEEEE10hipError_tT0_T1_T2_jT3_P12ihipStream_tbPNSt15iterator_traitsISK_E10value_typeEPNSQ_ISL_E10value_typeEPSM_NS1_7vsmem_tEENKUlT_SK_SL_SM_E_clISD_PbSF_PiEESJ_SZ_SK_SL_SM_EUlSZ_E1_NS1_11comp_targetILNS1_3genE4ELNS1_11target_archE910ELNS1_3gpuE8ELNS1_3repE0EEENS1_36merge_oddeven_config_static_selectorELNS0_4arch9wavefront6targetE1EEEvSL_.uses_flat_scratch, 0
	.set _ZN7rocprim17ROCPRIM_400000_NS6detail17trampoline_kernelINS0_14default_configENS1_38merge_sort_block_merge_config_selectorIbiEEZZNS1_27merge_sort_block_merge_implIS3_N6thrust23THRUST_200600_302600_NS6detail15normal_iteratorINS8_10device_ptrIbEEEENSA_INSB_IiEEEEjNS1_19radix_merge_compareILb1ELb1EbNS0_19identity_decomposerEEEEE10hipError_tT0_T1_T2_jT3_P12ihipStream_tbPNSt15iterator_traitsISK_E10value_typeEPNSQ_ISL_E10value_typeEPSM_NS1_7vsmem_tEENKUlT_SK_SL_SM_E_clISD_PbSF_PiEESJ_SZ_SK_SL_SM_EUlSZ_E1_NS1_11comp_targetILNS1_3genE4ELNS1_11target_archE910ELNS1_3gpuE8ELNS1_3repE0EEENS1_36merge_oddeven_config_static_selectorELNS0_4arch9wavefront6targetE1EEEvSL_.has_dyn_sized_stack, 0
	.set _ZN7rocprim17ROCPRIM_400000_NS6detail17trampoline_kernelINS0_14default_configENS1_38merge_sort_block_merge_config_selectorIbiEEZZNS1_27merge_sort_block_merge_implIS3_N6thrust23THRUST_200600_302600_NS6detail15normal_iteratorINS8_10device_ptrIbEEEENSA_INSB_IiEEEEjNS1_19radix_merge_compareILb1ELb1EbNS0_19identity_decomposerEEEEE10hipError_tT0_T1_T2_jT3_P12ihipStream_tbPNSt15iterator_traitsISK_E10value_typeEPNSQ_ISL_E10value_typeEPSM_NS1_7vsmem_tEENKUlT_SK_SL_SM_E_clISD_PbSF_PiEESJ_SZ_SK_SL_SM_EUlSZ_E1_NS1_11comp_targetILNS1_3genE4ELNS1_11target_archE910ELNS1_3gpuE8ELNS1_3repE0EEENS1_36merge_oddeven_config_static_selectorELNS0_4arch9wavefront6targetE1EEEvSL_.has_recursion, 0
	.set _ZN7rocprim17ROCPRIM_400000_NS6detail17trampoline_kernelINS0_14default_configENS1_38merge_sort_block_merge_config_selectorIbiEEZZNS1_27merge_sort_block_merge_implIS3_N6thrust23THRUST_200600_302600_NS6detail15normal_iteratorINS8_10device_ptrIbEEEENSA_INSB_IiEEEEjNS1_19radix_merge_compareILb1ELb1EbNS0_19identity_decomposerEEEEE10hipError_tT0_T1_T2_jT3_P12ihipStream_tbPNSt15iterator_traitsISK_E10value_typeEPNSQ_ISL_E10value_typeEPSM_NS1_7vsmem_tEENKUlT_SK_SL_SM_E_clISD_PbSF_PiEESJ_SZ_SK_SL_SM_EUlSZ_E1_NS1_11comp_targetILNS1_3genE4ELNS1_11target_archE910ELNS1_3gpuE8ELNS1_3repE0EEENS1_36merge_oddeven_config_static_selectorELNS0_4arch9wavefront6targetE1EEEvSL_.has_indirect_call, 0
	.section	.AMDGPU.csdata,"",@progbits
; Kernel info:
; codeLenInByte = 0
; TotalNumSgprs: 6
; NumVgprs: 0
; NumAgprs: 0
; TotalNumVgprs: 0
; ScratchSize: 0
; MemoryBound: 0
; FloatMode: 240
; IeeeMode: 1
; LDSByteSize: 0 bytes/workgroup (compile time only)
; SGPRBlocks: 0
; VGPRBlocks: 0
; NumSGPRsForWavesPerEU: 6
; NumVGPRsForWavesPerEU: 1
; AccumOffset: 4
; Occupancy: 8
; WaveLimiterHint : 0
; COMPUTE_PGM_RSRC2:SCRATCH_EN: 0
; COMPUTE_PGM_RSRC2:USER_SGPR: 2
; COMPUTE_PGM_RSRC2:TRAP_HANDLER: 0
; COMPUTE_PGM_RSRC2:TGID_X_EN: 1
; COMPUTE_PGM_RSRC2:TGID_Y_EN: 0
; COMPUTE_PGM_RSRC2:TGID_Z_EN: 0
; COMPUTE_PGM_RSRC2:TIDIG_COMP_CNT: 0
; COMPUTE_PGM_RSRC3_GFX90A:ACCUM_OFFSET: 0
; COMPUTE_PGM_RSRC3_GFX90A:TG_SPLIT: 0
	.section	.text._ZN7rocprim17ROCPRIM_400000_NS6detail17trampoline_kernelINS0_14default_configENS1_38merge_sort_block_merge_config_selectorIbiEEZZNS1_27merge_sort_block_merge_implIS3_N6thrust23THRUST_200600_302600_NS6detail15normal_iteratorINS8_10device_ptrIbEEEENSA_INSB_IiEEEEjNS1_19radix_merge_compareILb1ELb1EbNS0_19identity_decomposerEEEEE10hipError_tT0_T1_T2_jT3_P12ihipStream_tbPNSt15iterator_traitsISK_E10value_typeEPNSQ_ISL_E10value_typeEPSM_NS1_7vsmem_tEENKUlT_SK_SL_SM_E_clISD_PbSF_PiEESJ_SZ_SK_SL_SM_EUlSZ_E1_NS1_11comp_targetILNS1_3genE3ELNS1_11target_archE908ELNS1_3gpuE7ELNS1_3repE0EEENS1_36merge_oddeven_config_static_selectorELNS0_4arch9wavefront6targetE1EEEvSL_,"axG",@progbits,_ZN7rocprim17ROCPRIM_400000_NS6detail17trampoline_kernelINS0_14default_configENS1_38merge_sort_block_merge_config_selectorIbiEEZZNS1_27merge_sort_block_merge_implIS3_N6thrust23THRUST_200600_302600_NS6detail15normal_iteratorINS8_10device_ptrIbEEEENSA_INSB_IiEEEEjNS1_19radix_merge_compareILb1ELb1EbNS0_19identity_decomposerEEEEE10hipError_tT0_T1_T2_jT3_P12ihipStream_tbPNSt15iterator_traitsISK_E10value_typeEPNSQ_ISL_E10value_typeEPSM_NS1_7vsmem_tEENKUlT_SK_SL_SM_E_clISD_PbSF_PiEESJ_SZ_SK_SL_SM_EUlSZ_E1_NS1_11comp_targetILNS1_3genE3ELNS1_11target_archE908ELNS1_3gpuE7ELNS1_3repE0EEENS1_36merge_oddeven_config_static_selectorELNS0_4arch9wavefront6targetE1EEEvSL_,comdat
	.protected	_ZN7rocprim17ROCPRIM_400000_NS6detail17trampoline_kernelINS0_14default_configENS1_38merge_sort_block_merge_config_selectorIbiEEZZNS1_27merge_sort_block_merge_implIS3_N6thrust23THRUST_200600_302600_NS6detail15normal_iteratorINS8_10device_ptrIbEEEENSA_INSB_IiEEEEjNS1_19radix_merge_compareILb1ELb1EbNS0_19identity_decomposerEEEEE10hipError_tT0_T1_T2_jT3_P12ihipStream_tbPNSt15iterator_traitsISK_E10value_typeEPNSQ_ISL_E10value_typeEPSM_NS1_7vsmem_tEENKUlT_SK_SL_SM_E_clISD_PbSF_PiEESJ_SZ_SK_SL_SM_EUlSZ_E1_NS1_11comp_targetILNS1_3genE3ELNS1_11target_archE908ELNS1_3gpuE7ELNS1_3repE0EEENS1_36merge_oddeven_config_static_selectorELNS0_4arch9wavefront6targetE1EEEvSL_ ; -- Begin function _ZN7rocprim17ROCPRIM_400000_NS6detail17trampoline_kernelINS0_14default_configENS1_38merge_sort_block_merge_config_selectorIbiEEZZNS1_27merge_sort_block_merge_implIS3_N6thrust23THRUST_200600_302600_NS6detail15normal_iteratorINS8_10device_ptrIbEEEENSA_INSB_IiEEEEjNS1_19radix_merge_compareILb1ELb1EbNS0_19identity_decomposerEEEEE10hipError_tT0_T1_T2_jT3_P12ihipStream_tbPNSt15iterator_traitsISK_E10value_typeEPNSQ_ISL_E10value_typeEPSM_NS1_7vsmem_tEENKUlT_SK_SL_SM_E_clISD_PbSF_PiEESJ_SZ_SK_SL_SM_EUlSZ_E1_NS1_11comp_targetILNS1_3genE3ELNS1_11target_archE908ELNS1_3gpuE7ELNS1_3repE0EEENS1_36merge_oddeven_config_static_selectorELNS0_4arch9wavefront6targetE1EEEvSL_
	.globl	_ZN7rocprim17ROCPRIM_400000_NS6detail17trampoline_kernelINS0_14default_configENS1_38merge_sort_block_merge_config_selectorIbiEEZZNS1_27merge_sort_block_merge_implIS3_N6thrust23THRUST_200600_302600_NS6detail15normal_iteratorINS8_10device_ptrIbEEEENSA_INSB_IiEEEEjNS1_19radix_merge_compareILb1ELb1EbNS0_19identity_decomposerEEEEE10hipError_tT0_T1_T2_jT3_P12ihipStream_tbPNSt15iterator_traitsISK_E10value_typeEPNSQ_ISL_E10value_typeEPSM_NS1_7vsmem_tEENKUlT_SK_SL_SM_E_clISD_PbSF_PiEESJ_SZ_SK_SL_SM_EUlSZ_E1_NS1_11comp_targetILNS1_3genE3ELNS1_11target_archE908ELNS1_3gpuE7ELNS1_3repE0EEENS1_36merge_oddeven_config_static_selectorELNS0_4arch9wavefront6targetE1EEEvSL_
	.p2align	8
	.type	_ZN7rocprim17ROCPRIM_400000_NS6detail17trampoline_kernelINS0_14default_configENS1_38merge_sort_block_merge_config_selectorIbiEEZZNS1_27merge_sort_block_merge_implIS3_N6thrust23THRUST_200600_302600_NS6detail15normal_iteratorINS8_10device_ptrIbEEEENSA_INSB_IiEEEEjNS1_19radix_merge_compareILb1ELb1EbNS0_19identity_decomposerEEEEE10hipError_tT0_T1_T2_jT3_P12ihipStream_tbPNSt15iterator_traitsISK_E10value_typeEPNSQ_ISL_E10value_typeEPSM_NS1_7vsmem_tEENKUlT_SK_SL_SM_E_clISD_PbSF_PiEESJ_SZ_SK_SL_SM_EUlSZ_E1_NS1_11comp_targetILNS1_3genE3ELNS1_11target_archE908ELNS1_3gpuE7ELNS1_3repE0EEENS1_36merge_oddeven_config_static_selectorELNS0_4arch9wavefront6targetE1EEEvSL_,@function
_ZN7rocprim17ROCPRIM_400000_NS6detail17trampoline_kernelINS0_14default_configENS1_38merge_sort_block_merge_config_selectorIbiEEZZNS1_27merge_sort_block_merge_implIS3_N6thrust23THRUST_200600_302600_NS6detail15normal_iteratorINS8_10device_ptrIbEEEENSA_INSB_IiEEEEjNS1_19radix_merge_compareILb1ELb1EbNS0_19identity_decomposerEEEEE10hipError_tT0_T1_T2_jT3_P12ihipStream_tbPNSt15iterator_traitsISK_E10value_typeEPNSQ_ISL_E10value_typeEPSM_NS1_7vsmem_tEENKUlT_SK_SL_SM_E_clISD_PbSF_PiEESJ_SZ_SK_SL_SM_EUlSZ_E1_NS1_11comp_targetILNS1_3genE3ELNS1_11target_archE908ELNS1_3gpuE7ELNS1_3repE0EEENS1_36merge_oddeven_config_static_selectorELNS0_4arch9wavefront6targetE1EEEvSL_: ; @_ZN7rocprim17ROCPRIM_400000_NS6detail17trampoline_kernelINS0_14default_configENS1_38merge_sort_block_merge_config_selectorIbiEEZZNS1_27merge_sort_block_merge_implIS3_N6thrust23THRUST_200600_302600_NS6detail15normal_iteratorINS8_10device_ptrIbEEEENSA_INSB_IiEEEEjNS1_19radix_merge_compareILb1ELb1EbNS0_19identity_decomposerEEEEE10hipError_tT0_T1_T2_jT3_P12ihipStream_tbPNSt15iterator_traitsISK_E10value_typeEPNSQ_ISL_E10value_typeEPSM_NS1_7vsmem_tEENKUlT_SK_SL_SM_E_clISD_PbSF_PiEESJ_SZ_SK_SL_SM_EUlSZ_E1_NS1_11comp_targetILNS1_3genE3ELNS1_11target_archE908ELNS1_3gpuE7ELNS1_3repE0EEENS1_36merge_oddeven_config_static_selectorELNS0_4arch9wavefront6targetE1EEEvSL_
; %bb.0:
	.section	.rodata,"a",@progbits
	.p2align	6, 0x0
	.amdhsa_kernel _ZN7rocprim17ROCPRIM_400000_NS6detail17trampoline_kernelINS0_14default_configENS1_38merge_sort_block_merge_config_selectorIbiEEZZNS1_27merge_sort_block_merge_implIS3_N6thrust23THRUST_200600_302600_NS6detail15normal_iteratorINS8_10device_ptrIbEEEENSA_INSB_IiEEEEjNS1_19radix_merge_compareILb1ELb1EbNS0_19identity_decomposerEEEEE10hipError_tT0_T1_T2_jT3_P12ihipStream_tbPNSt15iterator_traitsISK_E10value_typeEPNSQ_ISL_E10value_typeEPSM_NS1_7vsmem_tEENKUlT_SK_SL_SM_E_clISD_PbSF_PiEESJ_SZ_SK_SL_SM_EUlSZ_E1_NS1_11comp_targetILNS1_3genE3ELNS1_11target_archE908ELNS1_3gpuE7ELNS1_3repE0EEENS1_36merge_oddeven_config_static_selectorELNS0_4arch9wavefront6targetE1EEEvSL_
		.amdhsa_group_segment_fixed_size 0
		.amdhsa_private_segment_fixed_size 0
		.amdhsa_kernarg_size 48
		.amdhsa_user_sgpr_count 2
		.amdhsa_user_sgpr_dispatch_ptr 0
		.amdhsa_user_sgpr_queue_ptr 0
		.amdhsa_user_sgpr_kernarg_segment_ptr 1
		.amdhsa_user_sgpr_dispatch_id 0
		.amdhsa_user_sgpr_kernarg_preload_length 0
		.amdhsa_user_sgpr_kernarg_preload_offset 0
		.amdhsa_user_sgpr_private_segment_size 0
		.amdhsa_uses_dynamic_stack 0
		.amdhsa_enable_private_segment 0
		.amdhsa_system_sgpr_workgroup_id_x 1
		.amdhsa_system_sgpr_workgroup_id_y 0
		.amdhsa_system_sgpr_workgroup_id_z 0
		.amdhsa_system_sgpr_workgroup_info 0
		.amdhsa_system_vgpr_workitem_id 0
		.amdhsa_next_free_vgpr 1
		.amdhsa_next_free_sgpr 0
		.amdhsa_accum_offset 4
		.amdhsa_reserve_vcc 0
		.amdhsa_float_round_mode_32 0
		.amdhsa_float_round_mode_16_64 0
		.amdhsa_float_denorm_mode_32 3
		.amdhsa_float_denorm_mode_16_64 3
		.amdhsa_dx10_clamp 1
		.amdhsa_ieee_mode 1
		.amdhsa_fp16_overflow 0
		.amdhsa_tg_split 0
		.amdhsa_exception_fp_ieee_invalid_op 0
		.amdhsa_exception_fp_denorm_src 0
		.amdhsa_exception_fp_ieee_div_zero 0
		.amdhsa_exception_fp_ieee_overflow 0
		.amdhsa_exception_fp_ieee_underflow 0
		.amdhsa_exception_fp_ieee_inexact 0
		.amdhsa_exception_int_div_zero 0
	.end_amdhsa_kernel
	.section	.text._ZN7rocprim17ROCPRIM_400000_NS6detail17trampoline_kernelINS0_14default_configENS1_38merge_sort_block_merge_config_selectorIbiEEZZNS1_27merge_sort_block_merge_implIS3_N6thrust23THRUST_200600_302600_NS6detail15normal_iteratorINS8_10device_ptrIbEEEENSA_INSB_IiEEEEjNS1_19radix_merge_compareILb1ELb1EbNS0_19identity_decomposerEEEEE10hipError_tT0_T1_T2_jT3_P12ihipStream_tbPNSt15iterator_traitsISK_E10value_typeEPNSQ_ISL_E10value_typeEPSM_NS1_7vsmem_tEENKUlT_SK_SL_SM_E_clISD_PbSF_PiEESJ_SZ_SK_SL_SM_EUlSZ_E1_NS1_11comp_targetILNS1_3genE3ELNS1_11target_archE908ELNS1_3gpuE7ELNS1_3repE0EEENS1_36merge_oddeven_config_static_selectorELNS0_4arch9wavefront6targetE1EEEvSL_,"axG",@progbits,_ZN7rocprim17ROCPRIM_400000_NS6detail17trampoline_kernelINS0_14default_configENS1_38merge_sort_block_merge_config_selectorIbiEEZZNS1_27merge_sort_block_merge_implIS3_N6thrust23THRUST_200600_302600_NS6detail15normal_iteratorINS8_10device_ptrIbEEEENSA_INSB_IiEEEEjNS1_19radix_merge_compareILb1ELb1EbNS0_19identity_decomposerEEEEE10hipError_tT0_T1_T2_jT3_P12ihipStream_tbPNSt15iterator_traitsISK_E10value_typeEPNSQ_ISL_E10value_typeEPSM_NS1_7vsmem_tEENKUlT_SK_SL_SM_E_clISD_PbSF_PiEESJ_SZ_SK_SL_SM_EUlSZ_E1_NS1_11comp_targetILNS1_3genE3ELNS1_11target_archE908ELNS1_3gpuE7ELNS1_3repE0EEENS1_36merge_oddeven_config_static_selectorELNS0_4arch9wavefront6targetE1EEEvSL_,comdat
.Lfunc_end2196:
	.size	_ZN7rocprim17ROCPRIM_400000_NS6detail17trampoline_kernelINS0_14default_configENS1_38merge_sort_block_merge_config_selectorIbiEEZZNS1_27merge_sort_block_merge_implIS3_N6thrust23THRUST_200600_302600_NS6detail15normal_iteratorINS8_10device_ptrIbEEEENSA_INSB_IiEEEEjNS1_19radix_merge_compareILb1ELb1EbNS0_19identity_decomposerEEEEE10hipError_tT0_T1_T2_jT3_P12ihipStream_tbPNSt15iterator_traitsISK_E10value_typeEPNSQ_ISL_E10value_typeEPSM_NS1_7vsmem_tEENKUlT_SK_SL_SM_E_clISD_PbSF_PiEESJ_SZ_SK_SL_SM_EUlSZ_E1_NS1_11comp_targetILNS1_3genE3ELNS1_11target_archE908ELNS1_3gpuE7ELNS1_3repE0EEENS1_36merge_oddeven_config_static_selectorELNS0_4arch9wavefront6targetE1EEEvSL_, .Lfunc_end2196-_ZN7rocprim17ROCPRIM_400000_NS6detail17trampoline_kernelINS0_14default_configENS1_38merge_sort_block_merge_config_selectorIbiEEZZNS1_27merge_sort_block_merge_implIS3_N6thrust23THRUST_200600_302600_NS6detail15normal_iteratorINS8_10device_ptrIbEEEENSA_INSB_IiEEEEjNS1_19radix_merge_compareILb1ELb1EbNS0_19identity_decomposerEEEEE10hipError_tT0_T1_T2_jT3_P12ihipStream_tbPNSt15iterator_traitsISK_E10value_typeEPNSQ_ISL_E10value_typeEPSM_NS1_7vsmem_tEENKUlT_SK_SL_SM_E_clISD_PbSF_PiEESJ_SZ_SK_SL_SM_EUlSZ_E1_NS1_11comp_targetILNS1_3genE3ELNS1_11target_archE908ELNS1_3gpuE7ELNS1_3repE0EEENS1_36merge_oddeven_config_static_selectorELNS0_4arch9wavefront6targetE1EEEvSL_
                                        ; -- End function
	.set _ZN7rocprim17ROCPRIM_400000_NS6detail17trampoline_kernelINS0_14default_configENS1_38merge_sort_block_merge_config_selectorIbiEEZZNS1_27merge_sort_block_merge_implIS3_N6thrust23THRUST_200600_302600_NS6detail15normal_iteratorINS8_10device_ptrIbEEEENSA_INSB_IiEEEEjNS1_19radix_merge_compareILb1ELb1EbNS0_19identity_decomposerEEEEE10hipError_tT0_T1_T2_jT3_P12ihipStream_tbPNSt15iterator_traitsISK_E10value_typeEPNSQ_ISL_E10value_typeEPSM_NS1_7vsmem_tEENKUlT_SK_SL_SM_E_clISD_PbSF_PiEESJ_SZ_SK_SL_SM_EUlSZ_E1_NS1_11comp_targetILNS1_3genE3ELNS1_11target_archE908ELNS1_3gpuE7ELNS1_3repE0EEENS1_36merge_oddeven_config_static_selectorELNS0_4arch9wavefront6targetE1EEEvSL_.num_vgpr, 0
	.set _ZN7rocprim17ROCPRIM_400000_NS6detail17trampoline_kernelINS0_14default_configENS1_38merge_sort_block_merge_config_selectorIbiEEZZNS1_27merge_sort_block_merge_implIS3_N6thrust23THRUST_200600_302600_NS6detail15normal_iteratorINS8_10device_ptrIbEEEENSA_INSB_IiEEEEjNS1_19radix_merge_compareILb1ELb1EbNS0_19identity_decomposerEEEEE10hipError_tT0_T1_T2_jT3_P12ihipStream_tbPNSt15iterator_traitsISK_E10value_typeEPNSQ_ISL_E10value_typeEPSM_NS1_7vsmem_tEENKUlT_SK_SL_SM_E_clISD_PbSF_PiEESJ_SZ_SK_SL_SM_EUlSZ_E1_NS1_11comp_targetILNS1_3genE3ELNS1_11target_archE908ELNS1_3gpuE7ELNS1_3repE0EEENS1_36merge_oddeven_config_static_selectorELNS0_4arch9wavefront6targetE1EEEvSL_.num_agpr, 0
	.set _ZN7rocprim17ROCPRIM_400000_NS6detail17trampoline_kernelINS0_14default_configENS1_38merge_sort_block_merge_config_selectorIbiEEZZNS1_27merge_sort_block_merge_implIS3_N6thrust23THRUST_200600_302600_NS6detail15normal_iteratorINS8_10device_ptrIbEEEENSA_INSB_IiEEEEjNS1_19radix_merge_compareILb1ELb1EbNS0_19identity_decomposerEEEEE10hipError_tT0_T1_T2_jT3_P12ihipStream_tbPNSt15iterator_traitsISK_E10value_typeEPNSQ_ISL_E10value_typeEPSM_NS1_7vsmem_tEENKUlT_SK_SL_SM_E_clISD_PbSF_PiEESJ_SZ_SK_SL_SM_EUlSZ_E1_NS1_11comp_targetILNS1_3genE3ELNS1_11target_archE908ELNS1_3gpuE7ELNS1_3repE0EEENS1_36merge_oddeven_config_static_selectorELNS0_4arch9wavefront6targetE1EEEvSL_.numbered_sgpr, 0
	.set _ZN7rocprim17ROCPRIM_400000_NS6detail17trampoline_kernelINS0_14default_configENS1_38merge_sort_block_merge_config_selectorIbiEEZZNS1_27merge_sort_block_merge_implIS3_N6thrust23THRUST_200600_302600_NS6detail15normal_iteratorINS8_10device_ptrIbEEEENSA_INSB_IiEEEEjNS1_19radix_merge_compareILb1ELb1EbNS0_19identity_decomposerEEEEE10hipError_tT0_T1_T2_jT3_P12ihipStream_tbPNSt15iterator_traitsISK_E10value_typeEPNSQ_ISL_E10value_typeEPSM_NS1_7vsmem_tEENKUlT_SK_SL_SM_E_clISD_PbSF_PiEESJ_SZ_SK_SL_SM_EUlSZ_E1_NS1_11comp_targetILNS1_3genE3ELNS1_11target_archE908ELNS1_3gpuE7ELNS1_3repE0EEENS1_36merge_oddeven_config_static_selectorELNS0_4arch9wavefront6targetE1EEEvSL_.num_named_barrier, 0
	.set _ZN7rocprim17ROCPRIM_400000_NS6detail17trampoline_kernelINS0_14default_configENS1_38merge_sort_block_merge_config_selectorIbiEEZZNS1_27merge_sort_block_merge_implIS3_N6thrust23THRUST_200600_302600_NS6detail15normal_iteratorINS8_10device_ptrIbEEEENSA_INSB_IiEEEEjNS1_19radix_merge_compareILb1ELb1EbNS0_19identity_decomposerEEEEE10hipError_tT0_T1_T2_jT3_P12ihipStream_tbPNSt15iterator_traitsISK_E10value_typeEPNSQ_ISL_E10value_typeEPSM_NS1_7vsmem_tEENKUlT_SK_SL_SM_E_clISD_PbSF_PiEESJ_SZ_SK_SL_SM_EUlSZ_E1_NS1_11comp_targetILNS1_3genE3ELNS1_11target_archE908ELNS1_3gpuE7ELNS1_3repE0EEENS1_36merge_oddeven_config_static_selectorELNS0_4arch9wavefront6targetE1EEEvSL_.private_seg_size, 0
	.set _ZN7rocprim17ROCPRIM_400000_NS6detail17trampoline_kernelINS0_14default_configENS1_38merge_sort_block_merge_config_selectorIbiEEZZNS1_27merge_sort_block_merge_implIS3_N6thrust23THRUST_200600_302600_NS6detail15normal_iteratorINS8_10device_ptrIbEEEENSA_INSB_IiEEEEjNS1_19radix_merge_compareILb1ELb1EbNS0_19identity_decomposerEEEEE10hipError_tT0_T1_T2_jT3_P12ihipStream_tbPNSt15iterator_traitsISK_E10value_typeEPNSQ_ISL_E10value_typeEPSM_NS1_7vsmem_tEENKUlT_SK_SL_SM_E_clISD_PbSF_PiEESJ_SZ_SK_SL_SM_EUlSZ_E1_NS1_11comp_targetILNS1_3genE3ELNS1_11target_archE908ELNS1_3gpuE7ELNS1_3repE0EEENS1_36merge_oddeven_config_static_selectorELNS0_4arch9wavefront6targetE1EEEvSL_.uses_vcc, 0
	.set _ZN7rocprim17ROCPRIM_400000_NS6detail17trampoline_kernelINS0_14default_configENS1_38merge_sort_block_merge_config_selectorIbiEEZZNS1_27merge_sort_block_merge_implIS3_N6thrust23THRUST_200600_302600_NS6detail15normal_iteratorINS8_10device_ptrIbEEEENSA_INSB_IiEEEEjNS1_19radix_merge_compareILb1ELb1EbNS0_19identity_decomposerEEEEE10hipError_tT0_T1_T2_jT3_P12ihipStream_tbPNSt15iterator_traitsISK_E10value_typeEPNSQ_ISL_E10value_typeEPSM_NS1_7vsmem_tEENKUlT_SK_SL_SM_E_clISD_PbSF_PiEESJ_SZ_SK_SL_SM_EUlSZ_E1_NS1_11comp_targetILNS1_3genE3ELNS1_11target_archE908ELNS1_3gpuE7ELNS1_3repE0EEENS1_36merge_oddeven_config_static_selectorELNS0_4arch9wavefront6targetE1EEEvSL_.uses_flat_scratch, 0
	.set _ZN7rocprim17ROCPRIM_400000_NS6detail17trampoline_kernelINS0_14default_configENS1_38merge_sort_block_merge_config_selectorIbiEEZZNS1_27merge_sort_block_merge_implIS3_N6thrust23THRUST_200600_302600_NS6detail15normal_iteratorINS8_10device_ptrIbEEEENSA_INSB_IiEEEEjNS1_19radix_merge_compareILb1ELb1EbNS0_19identity_decomposerEEEEE10hipError_tT0_T1_T2_jT3_P12ihipStream_tbPNSt15iterator_traitsISK_E10value_typeEPNSQ_ISL_E10value_typeEPSM_NS1_7vsmem_tEENKUlT_SK_SL_SM_E_clISD_PbSF_PiEESJ_SZ_SK_SL_SM_EUlSZ_E1_NS1_11comp_targetILNS1_3genE3ELNS1_11target_archE908ELNS1_3gpuE7ELNS1_3repE0EEENS1_36merge_oddeven_config_static_selectorELNS0_4arch9wavefront6targetE1EEEvSL_.has_dyn_sized_stack, 0
	.set _ZN7rocprim17ROCPRIM_400000_NS6detail17trampoline_kernelINS0_14default_configENS1_38merge_sort_block_merge_config_selectorIbiEEZZNS1_27merge_sort_block_merge_implIS3_N6thrust23THRUST_200600_302600_NS6detail15normal_iteratorINS8_10device_ptrIbEEEENSA_INSB_IiEEEEjNS1_19radix_merge_compareILb1ELb1EbNS0_19identity_decomposerEEEEE10hipError_tT0_T1_T2_jT3_P12ihipStream_tbPNSt15iterator_traitsISK_E10value_typeEPNSQ_ISL_E10value_typeEPSM_NS1_7vsmem_tEENKUlT_SK_SL_SM_E_clISD_PbSF_PiEESJ_SZ_SK_SL_SM_EUlSZ_E1_NS1_11comp_targetILNS1_3genE3ELNS1_11target_archE908ELNS1_3gpuE7ELNS1_3repE0EEENS1_36merge_oddeven_config_static_selectorELNS0_4arch9wavefront6targetE1EEEvSL_.has_recursion, 0
	.set _ZN7rocprim17ROCPRIM_400000_NS6detail17trampoline_kernelINS0_14default_configENS1_38merge_sort_block_merge_config_selectorIbiEEZZNS1_27merge_sort_block_merge_implIS3_N6thrust23THRUST_200600_302600_NS6detail15normal_iteratorINS8_10device_ptrIbEEEENSA_INSB_IiEEEEjNS1_19radix_merge_compareILb1ELb1EbNS0_19identity_decomposerEEEEE10hipError_tT0_T1_T2_jT3_P12ihipStream_tbPNSt15iterator_traitsISK_E10value_typeEPNSQ_ISL_E10value_typeEPSM_NS1_7vsmem_tEENKUlT_SK_SL_SM_E_clISD_PbSF_PiEESJ_SZ_SK_SL_SM_EUlSZ_E1_NS1_11comp_targetILNS1_3genE3ELNS1_11target_archE908ELNS1_3gpuE7ELNS1_3repE0EEENS1_36merge_oddeven_config_static_selectorELNS0_4arch9wavefront6targetE1EEEvSL_.has_indirect_call, 0
	.section	.AMDGPU.csdata,"",@progbits
; Kernel info:
; codeLenInByte = 0
; TotalNumSgprs: 6
; NumVgprs: 0
; NumAgprs: 0
; TotalNumVgprs: 0
; ScratchSize: 0
; MemoryBound: 0
; FloatMode: 240
; IeeeMode: 1
; LDSByteSize: 0 bytes/workgroup (compile time only)
; SGPRBlocks: 0
; VGPRBlocks: 0
; NumSGPRsForWavesPerEU: 6
; NumVGPRsForWavesPerEU: 1
; AccumOffset: 4
; Occupancy: 8
; WaveLimiterHint : 0
; COMPUTE_PGM_RSRC2:SCRATCH_EN: 0
; COMPUTE_PGM_RSRC2:USER_SGPR: 2
; COMPUTE_PGM_RSRC2:TRAP_HANDLER: 0
; COMPUTE_PGM_RSRC2:TGID_X_EN: 1
; COMPUTE_PGM_RSRC2:TGID_Y_EN: 0
; COMPUTE_PGM_RSRC2:TGID_Z_EN: 0
; COMPUTE_PGM_RSRC2:TIDIG_COMP_CNT: 0
; COMPUTE_PGM_RSRC3_GFX90A:ACCUM_OFFSET: 0
; COMPUTE_PGM_RSRC3_GFX90A:TG_SPLIT: 0
	.section	.text._ZN7rocprim17ROCPRIM_400000_NS6detail17trampoline_kernelINS0_14default_configENS1_38merge_sort_block_merge_config_selectorIbiEEZZNS1_27merge_sort_block_merge_implIS3_N6thrust23THRUST_200600_302600_NS6detail15normal_iteratorINS8_10device_ptrIbEEEENSA_INSB_IiEEEEjNS1_19radix_merge_compareILb1ELb1EbNS0_19identity_decomposerEEEEE10hipError_tT0_T1_T2_jT3_P12ihipStream_tbPNSt15iterator_traitsISK_E10value_typeEPNSQ_ISL_E10value_typeEPSM_NS1_7vsmem_tEENKUlT_SK_SL_SM_E_clISD_PbSF_PiEESJ_SZ_SK_SL_SM_EUlSZ_E1_NS1_11comp_targetILNS1_3genE2ELNS1_11target_archE906ELNS1_3gpuE6ELNS1_3repE0EEENS1_36merge_oddeven_config_static_selectorELNS0_4arch9wavefront6targetE1EEEvSL_,"axG",@progbits,_ZN7rocprim17ROCPRIM_400000_NS6detail17trampoline_kernelINS0_14default_configENS1_38merge_sort_block_merge_config_selectorIbiEEZZNS1_27merge_sort_block_merge_implIS3_N6thrust23THRUST_200600_302600_NS6detail15normal_iteratorINS8_10device_ptrIbEEEENSA_INSB_IiEEEEjNS1_19radix_merge_compareILb1ELb1EbNS0_19identity_decomposerEEEEE10hipError_tT0_T1_T2_jT3_P12ihipStream_tbPNSt15iterator_traitsISK_E10value_typeEPNSQ_ISL_E10value_typeEPSM_NS1_7vsmem_tEENKUlT_SK_SL_SM_E_clISD_PbSF_PiEESJ_SZ_SK_SL_SM_EUlSZ_E1_NS1_11comp_targetILNS1_3genE2ELNS1_11target_archE906ELNS1_3gpuE6ELNS1_3repE0EEENS1_36merge_oddeven_config_static_selectorELNS0_4arch9wavefront6targetE1EEEvSL_,comdat
	.protected	_ZN7rocprim17ROCPRIM_400000_NS6detail17trampoline_kernelINS0_14default_configENS1_38merge_sort_block_merge_config_selectorIbiEEZZNS1_27merge_sort_block_merge_implIS3_N6thrust23THRUST_200600_302600_NS6detail15normal_iteratorINS8_10device_ptrIbEEEENSA_INSB_IiEEEEjNS1_19radix_merge_compareILb1ELb1EbNS0_19identity_decomposerEEEEE10hipError_tT0_T1_T2_jT3_P12ihipStream_tbPNSt15iterator_traitsISK_E10value_typeEPNSQ_ISL_E10value_typeEPSM_NS1_7vsmem_tEENKUlT_SK_SL_SM_E_clISD_PbSF_PiEESJ_SZ_SK_SL_SM_EUlSZ_E1_NS1_11comp_targetILNS1_3genE2ELNS1_11target_archE906ELNS1_3gpuE6ELNS1_3repE0EEENS1_36merge_oddeven_config_static_selectorELNS0_4arch9wavefront6targetE1EEEvSL_ ; -- Begin function _ZN7rocprim17ROCPRIM_400000_NS6detail17trampoline_kernelINS0_14default_configENS1_38merge_sort_block_merge_config_selectorIbiEEZZNS1_27merge_sort_block_merge_implIS3_N6thrust23THRUST_200600_302600_NS6detail15normal_iteratorINS8_10device_ptrIbEEEENSA_INSB_IiEEEEjNS1_19radix_merge_compareILb1ELb1EbNS0_19identity_decomposerEEEEE10hipError_tT0_T1_T2_jT3_P12ihipStream_tbPNSt15iterator_traitsISK_E10value_typeEPNSQ_ISL_E10value_typeEPSM_NS1_7vsmem_tEENKUlT_SK_SL_SM_E_clISD_PbSF_PiEESJ_SZ_SK_SL_SM_EUlSZ_E1_NS1_11comp_targetILNS1_3genE2ELNS1_11target_archE906ELNS1_3gpuE6ELNS1_3repE0EEENS1_36merge_oddeven_config_static_selectorELNS0_4arch9wavefront6targetE1EEEvSL_
	.globl	_ZN7rocprim17ROCPRIM_400000_NS6detail17trampoline_kernelINS0_14default_configENS1_38merge_sort_block_merge_config_selectorIbiEEZZNS1_27merge_sort_block_merge_implIS3_N6thrust23THRUST_200600_302600_NS6detail15normal_iteratorINS8_10device_ptrIbEEEENSA_INSB_IiEEEEjNS1_19radix_merge_compareILb1ELb1EbNS0_19identity_decomposerEEEEE10hipError_tT0_T1_T2_jT3_P12ihipStream_tbPNSt15iterator_traitsISK_E10value_typeEPNSQ_ISL_E10value_typeEPSM_NS1_7vsmem_tEENKUlT_SK_SL_SM_E_clISD_PbSF_PiEESJ_SZ_SK_SL_SM_EUlSZ_E1_NS1_11comp_targetILNS1_3genE2ELNS1_11target_archE906ELNS1_3gpuE6ELNS1_3repE0EEENS1_36merge_oddeven_config_static_selectorELNS0_4arch9wavefront6targetE1EEEvSL_
	.p2align	8
	.type	_ZN7rocprim17ROCPRIM_400000_NS6detail17trampoline_kernelINS0_14default_configENS1_38merge_sort_block_merge_config_selectorIbiEEZZNS1_27merge_sort_block_merge_implIS3_N6thrust23THRUST_200600_302600_NS6detail15normal_iteratorINS8_10device_ptrIbEEEENSA_INSB_IiEEEEjNS1_19radix_merge_compareILb1ELb1EbNS0_19identity_decomposerEEEEE10hipError_tT0_T1_T2_jT3_P12ihipStream_tbPNSt15iterator_traitsISK_E10value_typeEPNSQ_ISL_E10value_typeEPSM_NS1_7vsmem_tEENKUlT_SK_SL_SM_E_clISD_PbSF_PiEESJ_SZ_SK_SL_SM_EUlSZ_E1_NS1_11comp_targetILNS1_3genE2ELNS1_11target_archE906ELNS1_3gpuE6ELNS1_3repE0EEENS1_36merge_oddeven_config_static_selectorELNS0_4arch9wavefront6targetE1EEEvSL_,@function
_ZN7rocprim17ROCPRIM_400000_NS6detail17trampoline_kernelINS0_14default_configENS1_38merge_sort_block_merge_config_selectorIbiEEZZNS1_27merge_sort_block_merge_implIS3_N6thrust23THRUST_200600_302600_NS6detail15normal_iteratorINS8_10device_ptrIbEEEENSA_INSB_IiEEEEjNS1_19radix_merge_compareILb1ELb1EbNS0_19identity_decomposerEEEEE10hipError_tT0_T1_T2_jT3_P12ihipStream_tbPNSt15iterator_traitsISK_E10value_typeEPNSQ_ISL_E10value_typeEPSM_NS1_7vsmem_tEENKUlT_SK_SL_SM_E_clISD_PbSF_PiEESJ_SZ_SK_SL_SM_EUlSZ_E1_NS1_11comp_targetILNS1_3genE2ELNS1_11target_archE906ELNS1_3gpuE6ELNS1_3repE0EEENS1_36merge_oddeven_config_static_selectorELNS0_4arch9wavefront6targetE1EEEvSL_: ; @_ZN7rocprim17ROCPRIM_400000_NS6detail17trampoline_kernelINS0_14default_configENS1_38merge_sort_block_merge_config_selectorIbiEEZZNS1_27merge_sort_block_merge_implIS3_N6thrust23THRUST_200600_302600_NS6detail15normal_iteratorINS8_10device_ptrIbEEEENSA_INSB_IiEEEEjNS1_19radix_merge_compareILb1ELb1EbNS0_19identity_decomposerEEEEE10hipError_tT0_T1_T2_jT3_P12ihipStream_tbPNSt15iterator_traitsISK_E10value_typeEPNSQ_ISL_E10value_typeEPSM_NS1_7vsmem_tEENKUlT_SK_SL_SM_E_clISD_PbSF_PiEESJ_SZ_SK_SL_SM_EUlSZ_E1_NS1_11comp_targetILNS1_3genE2ELNS1_11target_archE906ELNS1_3gpuE6ELNS1_3repE0EEENS1_36merge_oddeven_config_static_selectorELNS0_4arch9wavefront6targetE1EEEvSL_
; %bb.0:
	.section	.rodata,"a",@progbits
	.p2align	6, 0x0
	.amdhsa_kernel _ZN7rocprim17ROCPRIM_400000_NS6detail17trampoline_kernelINS0_14default_configENS1_38merge_sort_block_merge_config_selectorIbiEEZZNS1_27merge_sort_block_merge_implIS3_N6thrust23THRUST_200600_302600_NS6detail15normal_iteratorINS8_10device_ptrIbEEEENSA_INSB_IiEEEEjNS1_19radix_merge_compareILb1ELb1EbNS0_19identity_decomposerEEEEE10hipError_tT0_T1_T2_jT3_P12ihipStream_tbPNSt15iterator_traitsISK_E10value_typeEPNSQ_ISL_E10value_typeEPSM_NS1_7vsmem_tEENKUlT_SK_SL_SM_E_clISD_PbSF_PiEESJ_SZ_SK_SL_SM_EUlSZ_E1_NS1_11comp_targetILNS1_3genE2ELNS1_11target_archE906ELNS1_3gpuE6ELNS1_3repE0EEENS1_36merge_oddeven_config_static_selectorELNS0_4arch9wavefront6targetE1EEEvSL_
		.amdhsa_group_segment_fixed_size 0
		.amdhsa_private_segment_fixed_size 0
		.amdhsa_kernarg_size 48
		.amdhsa_user_sgpr_count 2
		.amdhsa_user_sgpr_dispatch_ptr 0
		.amdhsa_user_sgpr_queue_ptr 0
		.amdhsa_user_sgpr_kernarg_segment_ptr 1
		.amdhsa_user_sgpr_dispatch_id 0
		.amdhsa_user_sgpr_kernarg_preload_length 0
		.amdhsa_user_sgpr_kernarg_preload_offset 0
		.amdhsa_user_sgpr_private_segment_size 0
		.amdhsa_uses_dynamic_stack 0
		.amdhsa_enable_private_segment 0
		.amdhsa_system_sgpr_workgroup_id_x 1
		.amdhsa_system_sgpr_workgroup_id_y 0
		.amdhsa_system_sgpr_workgroup_id_z 0
		.amdhsa_system_sgpr_workgroup_info 0
		.amdhsa_system_vgpr_workitem_id 0
		.amdhsa_next_free_vgpr 1
		.amdhsa_next_free_sgpr 0
		.amdhsa_accum_offset 4
		.amdhsa_reserve_vcc 0
		.amdhsa_float_round_mode_32 0
		.amdhsa_float_round_mode_16_64 0
		.amdhsa_float_denorm_mode_32 3
		.amdhsa_float_denorm_mode_16_64 3
		.amdhsa_dx10_clamp 1
		.amdhsa_ieee_mode 1
		.amdhsa_fp16_overflow 0
		.amdhsa_tg_split 0
		.amdhsa_exception_fp_ieee_invalid_op 0
		.amdhsa_exception_fp_denorm_src 0
		.amdhsa_exception_fp_ieee_div_zero 0
		.amdhsa_exception_fp_ieee_overflow 0
		.amdhsa_exception_fp_ieee_underflow 0
		.amdhsa_exception_fp_ieee_inexact 0
		.amdhsa_exception_int_div_zero 0
	.end_amdhsa_kernel
	.section	.text._ZN7rocprim17ROCPRIM_400000_NS6detail17trampoline_kernelINS0_14default_configENS1_38merge_sort_block_merge_config_selectorIbiEEZZNS1_27merge_sort_block_merge_implIS3_N6thrust23THRUST_200600_302600_NS6detail15normal_iteratorINS8_10device_ptrIbEEEENSA_INSB_IiEEEEjNS1_19radix_merge_compareILb1ELb1EbNS0_19identity_decomposerEEEEE10hipError_tT0_T1_T2_jT3_P12ihipStream_tbPNSt15iterator_traitsISK_E10value_typeEPNSQ_ISL_E10value_typeEPSM_NS1_7vsmem_tEENKUlT_SK_SL_SM_E_clISD_PbSF_PiEESJ_SZ_SK_SL_SM_EUlSZ_E1_NS1_11comp_targetILNS1_3genE2ELNS1_11target_archE906ELNS1_3gpuE6ELNS1_3repE0EEENS1_36merge_oddeven_config_static_selectorELNS0_4arch9wavefront6targetE1EEEvSL_,"axG",@progbits,_ZN7rocprim17ROCPRIM_400000_NS6detail17trampoline_kernelINS0_14default_configENS1_38merge_sort_block_merge_config_selectorIbiEEZZNS1_27merge_sort_block_merge_implIS3_N6thrust23THRUST_200600_302600_NS6detail15normal_iteratorINS8_10device_ptrIbEEEENSA_INSB_IiEEEEjNS1_19radix_merge_compareILb1ELb1EbNS0_19identity_decomposerEEEEE10hipError_tT0_T1_T2_jT3_P12ihipStream_tbPNSt15iterator_traitsISK_E10value_typeEPNSQ_ISL_E10value_typeEPSM_NS1_7vsmem_tEENKUlT_SK_SL_SM_E_clISD_PbSF_PiEESJ_SZ_SK_SL_SM_EUlSZ_E1_NS1_11comp_targetILNS1_3genE2ELNS1_11target_archE906ELNS1_3gpuE6ELNS1_3repE0EEENS1_36merge_oddeven_config_static_selectorELNS0_4arch9wavefront6targetE1EEEvSL_,comdat
.Lfunc_end2197:
	.size	_ZN7rocprim17ROCPRIM_400000_NS6detail17trampoline_kernelINS0_14default_configENS1_38merge_sort_block_merge_config_selectorIbiEEZZNS1_27merge_sort_block_merge_implIS3_N6thrust23THRUST_200600_302600_NS6detail15normal_iteratorINS8_10device_ptrIbEEEENSA_INSB_IiEEEEjNS1_19radix_merge_compareILb1ELb1EbNS0_19identity_decomposerEEEEE10hipError_tT0_T1_T2_jT3_P12ihipStream_tbPNSt15iterator_traitsISK_E10value_typeEPNSQ_ISL_E10value_typeEPSM_NS1_7vsmem_tEENKUlT_SK_SL_SM_E_clISD_PbSF_PiEESJ_SZ_SK_SL_SM_EUlSZ_E1_NS1_11comp_targetILNS1_3genE2ELNS1_11target_archE906ELNS1_3gpuE6ELNS1_3repE0EEENS1_36merge_oddeven_config_static_selectorELNS0_4arch9wavefront6targetE1EEEvSL_, .Lfunc_end2197-_ZN7rocprim17ROCPRIM_400000_NS6detail17trampoline_kernelINS0_14default_configENS1_38merge_sort_block_merge_config_selectorIbiEEZZNS1_27merge_sort_block_merge_implIS3_N6thrust23THRUST_200600_302600_NS6detail15normal_iteratorINS8_10device_ptrIbEEEENSA_INSB_IiEEEEjNS1_19radix_merge_compareILb1ELb1EbNS0_19identity_decomposerEEEEE10hipError_tT0_T1_T2_jT3_P12ihipStream_tbPNSt15iterator_traitsISK_E10value_typeEPNSQ_ISL_E10value_typeEPSM_NS1_7vsmem_tEENKUlT_SK_SL_SM_E_clISD_PbSF_PiEESJ_SZ_SK_SL_SM_EUlSZ_E1_NS1_11comp_targetILNS1_3genE2ELNS1_11target_archE906ELNS1_3gpuE6ELNS1_3repE0EEENS1_36merge_oddeven_config_static_selectorELNS0_4arch9wavefront6targetE1EEEvSL_
                                        ; -- End function
	.set _ZN7rocprim17ROCPRIM_400000_NS6detail17trampoline_kernelINS0_14default_configENS1_38merge_sort_block_merge_config_selectorIbiEEZZNS1_27merge_sort_block_merge_implIS3_N6thrust23THRUST_200600_302600_NS6detail15normal_iteratorINS8_10device_ptrIbEEEENSA_INSB_IiEEEEjNS1_19radix_merge_compareILb1ELb1EbNS0_19identity_decomposerEEEEE10hipError_tT0_T1_T2_jT3_P12ihipStream_tbPNSt15iterator_traitsISK_E10value_typeEPNSQ_ISL_E10value_typeEPSM_NS1_7vsmem_tEENKUlT_SK_SL_SM_E_clISD_PbSF_PiEESJ_SZ_SK_SL_SM_EUlSZ_E1_NS1_11comp_targetILNS1_3genE2ELNS1_11target_archE906ELNS1_3gpuE6ELNS1_3repE0EEENS1_36merge_oddeven_config_static_selectorELNS0_4arch9wavefront6targetE1EEEvSL_.num_vgpr, 0
	.set _ZN7rocprim17ROCPRIM_400000_NS6detail17trampoline_kernelINS0_14default_configENS1_38merge_sort_block_merge_config_selectorIbiEEZZNS1_27merge_sort_block_merge_implIS3_N6thrust23THRUST_200600_302600_NS6detail15normal_iteratorINS8_10device_ptrIbEEEENSA_INSB_IiEEEEjNS1_19radix_merge_compareILb1ELb1EbNS0_19identity_decomposerEEEEE10hipError_tT0_T1_T2_jT3_P12ihipStream_tbPNSt15iterator_traitsISK_E10value_typeEPNSQ_ISL_E10value_typeEPSM_NS1_7vsmem_tEENKUlT_SK_SL_SM_E_clISD_PbSF_PiEESJ_SZ_SK_SL_SM_EUlSZ_E1_NS1_11comp_targetILNS1_3genE2ELNS1_11target_archE906ELNS1_3gpuE6ELNS1_3repE0EEENS1_36merge_oddeven_config_static_selectorELNS0_4arch9wavefront6targetE1EEEvSL_.num_agpr, 0
	.set _ZN7rocprim17ROCPRIM_400000_NS6detail17trampoline_kernelINS0_14default_configENS1_38merge_sort_block_merge_config_selectorIbiEEZZNS1_27merge_sort_block_merge_implIS3_N6thrust23THRUST_200600_302600_NS6detail15normal_iteratorINS8_10device_ptrIbEEEENSA_INSB_IiEEEEjNS1_19radix_merge_compareILb1ELb1EbNS0_19identity_decomposerEEEEE10hipError_tT0_T1_T2_jT3_P12ihipStream_tbPNSt15iterator_traitsISK_E10value_typeEPNSQ_ISL_E10value_typeEPSM_NS1_7vsmem_tEENKUlT_SK_SL_SM_E_clISD_PbSF_PiEESJ_SZ_SK_SL_SM_EUlSZ_E1_NS1_11comp_targetILNS1_3genE2ELNS1_11target_archE906ELNS1_3gpuE6ELNS1_3repE0EEENS1_36merge_oddeven_config_static_selectorELNS0_4arch9wavefront6targetE1EEEvSL_.numbered_sgpr, 0
	.set _ZN7rocprim17ROCPRIM_400000_NS6detail17trampoline_kernelINS0_14default_configENS1_38merge_sort_block_merge_config_selectorIbiEEZZNS1_27merge_sort_block_merge_implIS3_N6thrust23THRUST_200600_302600_NS6detail15normal_iteratorINS8_10device_ptrIbEEEENSA_INSB_IiEEEEjNS1_19radix_merge_compareILb1ELb1EbNS0_19identity_decomposerEEEEE10hipError_tT0_T1_T2_jT3_P12ihipStream_tbPNSt15iterator_traitsISK_E10value_typeEPNSQ_ISL_E10value_typeEPSM_NS1_7vsmem_tEENKUlT_SK_SL_SM_E_clISD_PbSF_PiEESJ_SZ_SK_SL_SM_EUlSZ_E1_NS1_11comp_targetILNS1_3genE2ELNS1_11target_archE906ELNS1_3gpuE6ELNS1_3repE0EEENS1_36merge_oddeven_config_static_selectorELNS0_4arch9wavefront6targetE1EEEvSL_.num_named_barrier, 0
	.set _ZN7rocprim17ROCPRIM_400000_NS6detail17trampoline_kernelINS0_14default_configENS1_38merge_sort_block_merge_config_selectorIbiEEZZNS1_27merge_sort_block_merge_implIS3_N6thrust23THRUST_200600_302600_NS6detail15normal_iteratorINS8_10device_ptrIbEEEENSA_INSB_IiEEEEjNS1_19radix_merge_compareILb1ELb1EbNS0_19identity_decomposerEEEEE10hipError_tT0_T1_T2_jT3_P12ihipStream_tbPNSt15iterator_traitsISK_E10value_typeEPNSQ_ISL_E10value_typeEPSM_NS1_7vsmem_tEENKUlT_SK_SL_SM_E_clISD_PbSF_PiEESJ_SZ_SK_SL_SM_EUlSZ_E1_NS1_11comp_targetILNS1_3genE2ELNS1_11target_archE906ELNS1_3gpuE6ELNS1_3repE0EEENS1_36merge_oddeven_config_static_selectorELNS0_4arch9wavefront6targetE1EEEvSL_.private_seg_size, 0
	.set _ZN7rocprim17ROCPRIM_400000_NS6detail17trampoline_kernelINS0_14default_configENS1_38merge_sort_block_merge_config_selectorIbiEEZZNS1_27merge_sort_block_merge_implIS3_N6thrust23THRUST_200600_302600_NS6detail15normal_iteratorINS8_10device_ptrIbEEEENSA_INSB_IiEEEEjNS1_19radix_merge_compareILb1ELb1EbNS0_19identity_decomposerEEEEE10hipError_tT0_T1_T2_jT3_P12ihipStream_tbPNSt15iterator_traitsISK_E10value_typeEPNSQ_ISL_E10value_typeEPSM_NS1_7vsmem_tEENKUlT_SK_SL_SM_E_clISD_PbSF_PiEESJ_SZ_SK_SL_SM_EUlSZ_E1_NS1_11comp_targetILNS1_3genE2ELNS1_11target_archE906ELNS1_3gpuE6ELNS1_3repE0EEENS1_36merge_oddeven_config_static_selectorELNS0_4arch9wavefront6targetE1EEEvSL_.uses_vcc, 0
	.set _ZN7rocprim17ROCPRIM_400000_NS6detail17trampoline_kernelINS0_14default_configENS1_38merge_sort_block_merge_config_selectorIbiEEZZNS1_27merge_sort_block_merge_implIS3_N6thrust23THRUST_200600_302600_NS6detail15normal_iteratorINS8_10device_ptrIbEEEENSA_INSB_IiEEEEjNS1_19radix_merge_compareILb1ELb1EbNS0_19identity_decomposerEEEEE10hipError_tT0_T1_T2_jT3_P12ihipStream_tbPNSt15iterator_traitsISK_E10value_typeEPNSQ_ISL_E10value_typeEPSM_NS1_7vsmem_tEENKUlT_SK_SL_SM_E_clISD_PbSF_PiEESJ_SZ_SK_SL_SM_EUlSZ_E1_NS1_11comp_targetILNS1_3genE2ELNS1_11target_archE906ELNS1_3gpuE6ELNS1_3repE0EEENS1_36merge_oddeven_config_static_selectorELNS0_4arch9wavefront6targetE1EEEvSL_.uses_flat_scratch, 0
	.set _ZN7rocprim17ROCPRIM_400000_NS6detail17trampoline_kernelINS0_14default_configENS1_38merge_sort_block_merge_config_selectorIbiEEZZNS1_27merge_sort_block_merge_implIS3_N6thrust23THRUST_200600_302600_NS6detail15normal_iteratorINS8_10device_ptrIbEEEENSA_INSB_IiEEEEjNS1_19radix_merge_compareILb1ELb1EbNS0_19identity_decomposerEEEEE10hipError_tT0_T1_T2_jT3_P12ihipStream_tbPNSt15iterator_traitsISK_E10value_typeEPNSQ_ISL_E10value_typeEPSM_NS1_7vsmem_tEENKUlT_SK_SL_SM_E_clISD_PbSF_PiEESJ_SZ_SK_SL_SM_EUlSZ_E1_NS1_11comp_targetILNS1_3genE2ELNS1_11target_archE906ELNS1_3gpuE6ELNS1_3repE0EEENS1_36merge_oddeven_config_static_selectorELNS0_4arch9wavefront6targetE1EEEvSL_.has_dyn_sized_stack, 0
	.set _ZN7rocprim17ROCPRIM_400000_NS6detail17trampoline_kernelINS0_14default_configENS1_38merge_sort_block_merge_config_selectorIbiEEZZNS1_27merge_sort_block_merge_implIS3_N6thrust23THRUST_200600_302600_NS6detail15normal_iteratorINS8_10device_ptrIbEEEENSA_INSB_IiEEEEjNS1_19radix_merge_compareILb1ELb1EbNS0_19identity_decomposerEEEEE10hipError_tT0_T1_T2_jT3_P12ihipStream_tbPNSt15iterator_traitsISK_E10value_typeEPNSQ_ISL_E10value_typeEPSM_NS1_7vsmem_tEENKUlT_SK_SL_SM_E_clISD_PbSF_PiEESJ_SZ_SK_SL_SM_EUlSZ_E1_NS1_11comp_targetILNS1_3genE2ELNS1_11target_archE906ELNS1_3gpuE6ELNS1_3repE0EEENS1_36merge_oddeven_config_static_selectorELNS0_4arch9wavefront6targetE1EEEvSL_.has_recursion, 0
	.set _ZN7rocprim17ROCPRIM_400000_NS6detail17trampoline_kernelINS0_14default_configENS1_38merge_sort_block_merge_config_selectorIbiEEZZNS1_27merge_sort_block_merge_implIS3_N6thrust23THRUST_200600_302600_NS6detail15normal_iteratorINS8_10device_ptrIbEEEENSA_INSB_IiEEEEjNS1_19radix_merge_compareILb1ELb1EbNS0_19identity_decomposerEEEEE10hipError_tT0_T1_T2_jT3_P12ihipStream_tbPNSt15iterator_traitsISK_E10value_typeEPNSQ_ISL_E10value_typeEPSM_NS1_7vsmem_tEENKUlT_SK_SL_SM_E_clISD_PbSF_PiEESJ_SZ_SK_SL_SM_EUlSZ_E1_NS1_11comp_targetILNS1_3genE2ELNS1_11target_archE906ELNS1_3gpuE6ELNS1_3repE0EEENS1_36merge_oddeven_config_static_selectorELNS0_4arch9wavefront6targetE1EEEvSL_.has_indirect_call, 0
	.section	.AMDGPU.csdata,"",@progbits
; Kernel info:
; codeLenInByte = 0
; TotalNumSgprs: 6
; NumVgprs: 0
; NumAgprs: 0
; TotalNumVgprs: 0
; ScratchSize: 0
; MemoryBound: 0
; FloatMode: 240
; IeeeMode: 1
; LDSByteSize: 0 bytes/workgroup (compile time only)
; SGPRBlocks: 0
; VGPRBlocks: 0
; NumSGPRsForWavesPerEU: 6
; NumVGPRsForWavesPerEU: 1
; AccumOffset: 4
; Occupancy: 8
; WaveLimiterHint : 0
; COMPUTE_PGM_RSRC2:SCRATCH_EN: 0
; COMPUTE_PGM_RSRC2:USER_SGPR: 2
; COMPUTE_PGM_RSRC2:TRAP_HANDLER: 0
; COMPUTE_PGM_RSRC2:TGID_X_EN: 1
; COMPUTE_PGM_RSRC2:TGID_Y_EN: 0
; COMPUTE_PGM_RSRC2:TGID_Z_EN: 0
; COMPUTE_PGM_RSRC2:TIDIG_COMP_CNT: 0
; COMPUTE_PGM_RSRC3_GFX90A:ACCUM_OFFSET: 0
; COMPUTE_PGM_RSRC3_GFX90A:TG_SPLIT: 0
	.section	.text._ZN7rocprim17ROCPRIM_400000_NS6detail17trampoline_kernelINS0_14default_configENS1_38merge_sort_block_merge_config_selectorIbiEEZZNS1_27merge_sort_block_merge_implIS3_N6thrust23THRUST_200600_302600_NS6detail15normal_iteratorINS8_10device_ptrIbEEEENSA_INSB_IiEEEEjNS1_19radix_merge_compareILb1ELb1EbNS0_19identity_decomposerEEEEE10hipError_tT0_T1_T2_jT3_P12ihipStream_tbPNSt15iterator_traitsISK_E10value_typeEPNSQ_ISL_E10value_typeEPSM_NS1_7vsmem_tEENKUlT_SK_SL_SM_E_clISD_PbSF_PiEESJ_SZ_SK_SL_SM_EUlSZ_E1_NS1_11comp_targetILNS1_3genE9ELNS1_11target_archE1100ELNS1_3gpuE3ELNS1_3repE0EEENS1_36merge_oddeven_config_static_selectorELNS0_4arch9wavefront6targetE1EEEvSL_,"axG",@progbits,_ZN7rocprim17ROCPRIM_400000_NS6detail17trampoline_kernelINS0_14default_configENS1_38merge_sort_block_merge_config_selectorIbiEEZZNS1_27merge_sort_block_merge_implIS3_N6thrust23THRUST_200600_302600_NS6detail15normal_iteratorINS8_10device_ptrIbEEEENSA_INSB_IiEEEEjNS1_19radix_merge_compareILb1ELb1EbNS0_19identity_decomposerEEEEE10hipError_tT0_T1_T2_jT3_P12ihipStream_tbPNSt15iterator_traitsISK_E10value_typeEPNSQ_ISL_E10value_typeEPSM_NS1_7vsmem_tEENKUlT_SK_SL_SM_E_clISD_PbSF_PiEESJ_SZ_SK_SL_SM_EUlSZ_E1_NS1_11comp_targetILNS1_3genE9ELNS1_11target_archE1100ELNS1_3gpuE3ELNS1_3repE0EEENS1_36merge_oddeven_config_static_selectorELNS0_4arch9wavefront6targetE1EEEvSL_,comdat
	.protected	_ZN7rocprim17ROCPRIM_400000_NS6detail17trampoline_kernelINS0_14default_configENS1_38merge_sort_block_merge_config_selectorIbiEEZZNS1_27merge_sort_block_merge_implIS3_N6thrust23THRUST_200600_302600_NS6detail15normal_iteratorINS8_10device_ptrIbEEEENSA_INSB_IiEEEEjNS1_19radix_merge_compareILb1ELb1EbNS0_19identity_decomposerEEEEE10hipError_tT0_T1_T2_jT3_P12ihipStream_tbPNSt15iterator_traitsISK_E10value_typeEPNSQ_ISL_E10value_typeEPSM_NS1_7vsmem_tEENKUlT_SK_SL_SM_E_clISD_PbSF_PiEESJ_SZ_SK_SL_SM_EUlSZ_E1_NS1_11comp_targetILNS1_3genE9ELNS1_11target_archE1100ELNS1_3gpuE3ELNS1_3repE0EEENS1_36merge_oddeven_config_static_selectorELNS0_4arch9wavefront6targetE1EEEvSL_ ; -- Begin function _ZN7rocprim17ROCPRIM_400000_NS6detail17trampoline_kernelINS0_14default_configENS1_38merge_sort_block_merge_config_selectorIbiEEZZNS1_27merge_sort_block_merge_implIS3_N6thrust23THRUST_200600_302600_NS6detail15normal_iteratorINS8_10device_ptrIbEEEENSA_INSB_IiEEEEjNS1_19radix_merge_compareILb1ELb1EbNS0_19identity_decomposerEEEEE10hipError_tT0_T1_T2_jT3_P12ihipStream_tbPNSt15iterator_traitsISK_E10value_typeEPNSQ_ISL_E10value_typeEPSM_NS1_7vsmem_tEENKUlT_SK_SL_SM_E_clISD_PbSF_PiEESJ_SZ_SK_SL_SM_EUlSZ_E1_NS1_11comp_targetILNS1_3genE9ELNS1_11target_archE1100ELNS1_3gpuE3ELNS1_3repE0EEENS1_36merge_oddeven_config_static_selectorELNS0_4arch9wavefront6targetE1EEEvSL_
	.globl	_ZN7rocprim17ROCPRIM_400000_NS6detail17trampoline_kernelINS0_14default_configENS1_38merge_sort_block_merge_config_selectorIbiEEZZNS1_27merge_sort_block_merge_implIS3_N6thrust23THRUST_200600_302600_NS6detail15normal_iteratorINS8_10device_ptrIbEEEENSA_INSB_IiEEEEjNS1_19radix_merge_compareILb1ELb1EbNS0_19identity_decomposerEEEEE10hipError_tT0_T1_T2_jT3_P12ihipStream_tbPNSt15iterator_traitsISK_E10value_typeEPNSQ_ISL_E10value_typeEPSM_NS1_7vsmem_tEENKUlT_SK_SL_SM_E_clISD_PbSF_PiEESJ_SZ_SK_SL_SM_EUlSZ_E1_NS1_11comp_targetILNS1_3genE9ELNS1_11target_archE1100ELNS1_3gpuE3ELNS1_3repE0EEENS1_36merge_oddeven_config_static_selectorELNS0_4arch9wavefront6targetE1EEEvSL_
	.p2align	8
	.type	_ZN7rocprim17ROCPRIM_400000_NS6detail17trampoline_kernelINS0_14default_configENS1_38merge_sort_block_merge_config_selectorIbiEEZZNS1_27merge_sort_block_merge_implIS3_N6thrust23THRUST_200600_302600_NS6detail15normal_iteratorINS8_10device_ptrIbEEEENSA_INSB_IiEEEEjNS1_19radix_merge_compareILb1ELb1EbNS0_19identity_decomposerEEEEE10hipError_tT0_T1_T2_jT3_P12ihipStream_tbPNSt15iterator_traitsISK_E10value_typeEPNSQ_ISL_E10value_typeEPSM_NS1_7vsmem_tEENKUlT_SK_SL_SM_E_clISD_PbSF_PiEESJ_SZ_SK_SL_SM_EUlSZ_E1_NS1_11comp_targetILNS1_3genE9ELNS1_11target_archE1100ELNS1_3gpuE3ELNS1_3repE0EEENS1_36merge_oddeven_config_static_selectorELNS0_4arch9wavefront6targetE1EEEvSL_,@function
_ZN7rocprim17ROCPRIM_400000_NS6detail17trampoline_kernelINS0_14default_configENS1_38merge_sort_block_merge_config_selectorIbiEEZZNS1_27merge_sort_block_merge_implIS3_N6thrust23THRUST_200600_302600_NS6detail15normal_iteratorINS8_10device_ptrIbEEEENSA_INSB_IiEEEEjNS1_19radix_merge_compareILb1ELb1EbNS0_19identity_decomposerEEEEE10hipError_tT0_T1_T2_jT3_P12ihipStream_tbPNSt15iterator_traitsISK_E10value_typeEPNSQ_ISL_E10value_typeEPSM_NS1_7vsmem_tEENKUlT_SK_SL_SM_E_clISD_PbSF_PiEESJ_SZ_SK_SL_SM_EUlSZ_E1_NS1_11comp_targetILNS1_3genE9ELNS1_11target_archE1100ELNS1_3gpuE3ELNS1_3repE0EEENS1_36merge_oddeven_config_static_selectorELNS0_4arch9wavefront6targetE1EEEvSL_: ; @_ZN7rocprim17ROCPRIM_400000_NS6detail17trampoline_kernelINS0_14default_configENS1_38merge_sort_block_merge_config_selectorIbiEEZZNS1_27merge_sort_block_merge_implIS3_N6thrust23THRUST_200600_302600_NS6detail15normal_iteratorINS8_10device_ptrIbEEEENSA_INSB_IiEEEEjNS1_19radix_merge_compareILb1ELb1EbNS0_19identity_decomposerEEEEE10hipError_tT0_T1_T2_jT3_P12ihipStream_tbPNSt15iterator_traitsISK_E10value_typeEPNSQ_ISL_E10value_typeEPSM_NS1_7vsmem_tEENKUlT_SK_SL_SM_E_clISD_PbSF_PiEESJ_SZ_SK_SL_SM_EUlSZ_E1_NS1_11comp_targetILNS1_3genE9ELNS1_11target_archE1100ELNS1_3gpuE3ELNS1_3repE0EEENS1_36merge_oddeven_config_static_selectorELNS0_4arch9wavefront6targetE1EEEvSL_
; %bb.0:
	.section	.rodata,"a",@progbits
	.p2align	6, 0x0
	.amdhsa_kernel _ZN7rocprim17ROCPRIM_400000_NS6detail17trampoline_kernelINS0_14default_configENS1_38merge_sort_block_merge_config_selectorIbiEEZZNS1_27merge_sort_block_merge_implIS3_N6thrust23THRUST_200600_302600_NS6detail15normal_iteratorINS8_10device_ptrIbEEEENSA_INSB_IiEEEEjNS1_19radix_merge_compareILb1ELb1EbNS0_19identity_decomposerEEEEE10hipError_tT0_T1_T2_jT3_P12ihipStream_tbPNSt15iterator_traitsISK_E10value_typeEPNSQ_ISL_E10value_typeEPSM_NS1_7vsmem_tEENKUlT_SK_SL_SM_E_clISD_PbSF_PiEESJ_SZ_SK_SL_SM_EUlSZ_E1_NS1_11comp_targetILNS1_3genE9ELNS1_11target_archE1100ELNS1_3gpuE3ELNS1_3repE0EEENS1_36merge_oddeven_config_static_selectorELNS0_4arch9wavefront6targetE1EEEvSL_
		.amdhsa_group_segment_fixed_size 0
		.amdhsa_private_segment_fixed_size 0
		.amdhsa_kernarg_size 48
		.amdhsa_user_sgpr_count 2
		.amdhsa_user_sgpr_dispatch_ptr 0
		.amdhsa_user_sgpr_queue_ptr 0
		.amdhsa_user_sgpr_kernarg_segment_ptr 1
		.amdhsa_user_sgpr_dispatch_id 0
		.amdhsa_user_sgpr_kernarg_preload_length 0
		.amdhsa_user_sgpr_kernarg_preload_offset 0
		.amdhsa_user_sgpr_private_segment_size 0
		.amdhsa_uses_dynamic_stack 0
		.amdhsa_enable_private_segment 0
		.amdhsa_system_sgpr_workgroup_id_x 1
		.amdhsa_system_sgpr_workgroup_id_y 0
		.amdhsa_system_sgpr_workgroup_id_z 0
		.amdhsa_system_sgpr_workgroup_info 0
		.amdhsa_system_vgpr_workitem_id 0
		.amdhsa_next_free_vgpr 1
		.amdhsa_next_free_sgpr 0
		.amdhsa_accum_offset 4
		.amdhsa_reserve_vcc 0
		.amdhsa_float_round_mode_32 0
		.amdhsa_float_round_mode_16_64 0
		.amdhsa_float_denorm_mode_32 3
		.amdhsa_float_denorm_mode_16_64 3
		.amdhsa_dx10_clamp 1
		.amdhsa_ieee_mode 1
		.amdhsa_fp16_overflow 0
		.amdhsa_tg_split 0
		.amdhsa_exception_fp_ieee_invalid_op 0
		.amdhsa_exception_fp_denorm_src 0
		.amdhsa_exception_fp_ieee_div_zero 0
		.amdhsa_exception_fp_ieee_overflow 0
		.amdhsa_exception_fp_ieee_underflow 0
		.amdhsa_exception_fp_ieee_inexact 0
		.amdhsa_exception_int_div_zero 0
	.end_amdhsa_kernel
	.section	.text._ZN7rocprim17ROCPRIM_400000_NS6detail17trampoline_kernelINS0_14default_configENS1_38merge_sort_block_merge_config_selectorIbiEEZZNS1_27merge_sort_block_merge_implIS3_N6thrust23THRUST_200600_302600_NS6detail15normal_iteratorINS8_10device_ptrIbEEEENSA_INSB_IiEEEEjNS1_19radix_merge_compareILb1ELb1EbNS0_19identity_decomposerEEEEE10hipError_tT0_T1_T2_jT3_P12ihipStream_tbPNSt15iterator_traitsISK_E10value_typeEPNSQ_ISL_E10value_typeEPSM_NS1_7vsmem_tEENKUlT_SK_SL_SM_E_clISD_PbSF_PiEESJ_SZ_SK_SL_SM_EUlSZ_E1_NS1_11comp_targetILNS1_3genE9ELNS1_11target_archE1100ELNS1_3gpuE3ELNS1_3repE0EEENS1_36merge_oddeven_config_static_selectorELNS0_4arch9wavefront6targetE1EEEvSL_,"axG",@progbits,_ZN7rocprim17ROCPRIM_400000_NS6detail17trampoline_kernelINS0_14default_configENS1_38merge_sort_block_merge_config_selectorIbiEEZZNS1_27merge_sort_block_merge_implIS3_N6thrust23THRUST_200600_302600_NS6detail15normal_iteratorINS8_10device_ptrIbEEEENSA_INSB_IiEEEEjNS1_19radix_merge_compareILb1ELb1EbNS0_19identity_decomposerEEEEE10hipError_tT0_T1_T2_jT3_P12ihipStream_tbPNSt15iterator_traitsISK_E10value_typeEPNSQ_ISL_E10value_typeEPSM_NS1_7vsmem_tEENKUlT_SK_SL_SM_E_clISD_PbSF_PiEESJ_SZ_SK_SL_SM_EUlSZ_E1_NS1_11comp_targetILNS1_3genE9ELNS1_11target_archE1100ELNS1_3gpuE3ELNS1_3repE0EEENS1_36merge_oddeven_config_static_selectorELNS0_4arch9wavefront6targetE1EEEvSL_,comdat
.Lfunc_end2198:
	.size	_ZN7rocprim17ROCPRIM_400000_NS6detail17trampoline_kernelINS0_14default_configENS1_38merge_sort_block_merge_config_selectorIbiEEZZNS1_27merge_sort_block_merge_implIS3_N6thrust23THRUST_200600_302600_NS6detail15normal_iteratorINS8_10device_ptrIbEEEENSA_INSB_IiEEEEjNS1_19radix_merge_compareILb1ELb1EbNS0_19identity_decomposerEEEEE10hipError_tT0_T1_T2_jT3_P12ihipStream_tbPNSt15iterator_traitsISK_E10value_typeEPNSQ_ISL_E10value_typeEPSM_NS1_7vsmem_tEENKUlT_SK_SL_SM_E_clISD_PbSF_PiEESJ_SZ_SK_SL_SM_EUlSZ_E1_NS1_11comp_targetILNS1_3genE9ELNS1_11target_archE1100ELNS1_3gpuE3ELNS1_3repE0EEENS1_36merge_oddeven_config_static_selectorELNS0_4arch9wavefront6targetE1EEEvSL_, .Lfunc_end2198-_ZN7rocprim17ROCPRIM_400000_NS6detail17trampoline_kernelINS0_14default_configENS1_38merge_sort_block_merge_config_selectorIbiEEZZNS1_27merge_sort_block_merge_implIS3_N6thrust23THRUST_200600_302600_NS6detail15normal_iteratorINS8_10device_ptrIbEEEENSA_INSB_IiEEEEjNS1_19radix_merge_compareILb1ELb1EbNS0_19identity_decomposerEEEEE10hipError_tT0_T1_T2_jT3_P12ihipStream_tbPNSt15iterator_traitsISK_E10value_typeEPNSQ_ISL_E10value_typeEPSM_NS1_7vsmem_tEENKUlT_SK_SL_SM_E_clISD_PbSF_PiEESJ_SZ_SK_SL_SM_EUlSZ_E1_NS1_11comp_targetILNS1_3genE9ELNS1_11target_archE1100ELNS1_3gpuE3ELNS1_3repE0EEENS1_36merge_oddeven_config_static_selectorELNS0_4arch9wavefront6targetE1EEEvSL_
                                        ; -- End function
	.set _ZN7rocprim17ROCPRIM_400000_NS6detail17trampoline_kernelINS0_14default_configENS1_38merge_sort_block_merge_config_selectorIbiEEZZNS1_27merge_sort_block_merge_implIS3_N6thrust23THRUST_200600_302600_NS6detail15normal_iteratorINS8_10device_ptrIbEEEENSA_INSB_IiEEEEjNS1_19radix_merge_compareILb1ELb1EbNS0_19identity_decomposerEEEEE10hipError_tT0_T1_T2_jT3_P12ihipStream_tbPNSt15iterator_traitsISK_E10value_typeEPNSQ_ISL_E10value_typeEPSM_NS1_7vsmem_tEENKUlT_SK_SL_SM_E_clISD_PbSF_PiEESJ_SZ_SK_SL_SM_EUlSZ_E1_NS1_11comp_targetILNS1_3genE9ELNS1_11target_archE1100ELNS1_3gpuE3ELNS1_3repE0EEENS1_36merge_oddeven_config_static_selectorELNS0_4arch9wavefront6targetE1EEEvSL_.num_vgpr, 0
	.set _ZN7rocprim17ROCPRIM_400000_NS6detail17trampoline_kernelINS0_14default_configENS1_38merge_sort_block_merge_config_selectorIbiEEZZNS1_27merge_sort_block_merge_implIS3_N6thrust23THRUST_200600_302600_NS6detail15normal_iteratorINS8_10device_ptrIbEEEENSA_INSB_IiEEEEjNS1_19radix_merge_compareILb1ELb1EbNS0_19identity_decomposerEEEEE10hipError_tT0_T1_T2_jT3_P12ihipStream_tbPNSt15iterator_traitsISK_E10value_typeEPNSQ_ISL_E10value_typeEPSM_NS1_7vsmem_tEENKUlT_SK_SL_SM_E_clISD_PbSF_PiEESJ_SZ_SK_SL_SM_EUlSZ_E1_NS1_11comp_targetILNS1_3genE9ELNS1_11target_archE1100ELNS1_3gpuE3ELNS1_3repE0EEENS1_36merge_oddeven_config_static_selectorELNS0_4arch9wavefront6targetE1EEEvSL_.num_agpr, 0
	.set _ZN7rocprim17ROCPRIM_400000_NS6detail17trampoline_kernelINS0_14default_configENS1_38merge_sort_block_merge_config_selectorIbiEEZZNS1_27merge_sort_block_merge_implIS3_N6thrust23THRUST_200600_302600_NS6detail15normal_iteratorINS8_10device_ptrIbEEEENSA_INSB_IiEEEEjNS1_19radix_merge_compareILb1ELb1EbNS0_19identity_decomposerEEEEE10hipError_tT0_T1_T2_jT3_P12ihipStream_tbPNSt15iterator_traitsISK_E10value_typeEPNSQ_ISL_E10value_typeEPSM_NS1_7vsmem_tEENKUlT_SK_SL_SM_E_clISD_PbSF_PiEESJ_SZ_SK_SL_SM_EUlSZ_E1_NS1_11comp_targetILNS1_3genE9ELNS1_11target_archE1100ELNS1_3gpuE3ELNS1_3repE0EEENS1_36merge_oddeven_config_static_selectorELNS0_4arch9wavefront6targetE1EEEvSL_.numbered_sgpr, 0
	.set _ZN7rocprim17ROCPRIM_400000_NS6detail17trampoline_kernelINS0_14default_configENS1_38merge_sort_block_merge_config_selectorIbiEEZZNS1_27merge_sort_block_merge_implIS3_N6thrust23THRUST_200600_302600_NS6detail15normal_iteratorINS8_10device_ptrIbEEEENSA_INSB_IiEEEEjNS1_19radix_merge_compareILb1ELb1EbNS0_19identity_decomposerEEEEE10hipError_tT0_T1_T2_jT3_P12ihipStream_tbPNSt15iterator_traitsISK_E10value_typeEPNSQ_ISL_E10value_typeEPSM_NS1_7vsmem_tEENKUlT_SK_SL_SM_E_clISD_PbSF_PiEESJ_SZ_SK_SL_SM_EUlSZ_E1_NS1_11comp_targetILNS1_3genE9ELNS1_11target_archE1100ELNS1_3gpuE3ELNS1_3repE0EEENS1_36merge_oddeven_config_static_selectorELNS0_4arch9wavefront6targetE1EEEvSL_.num_named_barrier, 0
	.set _ZN7rocprim17ROCPRIM_400000_NS6detail17trampoline_kernelINS0_14default_configENS1_38merge_sort_block_merge_config_selectorIbiEEZZNS1_27merge_sort_block_merge_implIS3_N6thrust23THRUST_200600_302600_NS6detail15normal_iteratorINS8_10device_ptrIbEEEENSA_INSB_IiEEEEjNS1_19radix_merge_compareILb1ELb1EbNS0_19identity_decomposerEEEEE10hipError_tT0_T1_T2_jT3_P12ihipStream_tbPNSt15iterator_traitsISK_E10value_typeEPNSQ_ISL_E10value_typeEPSM_NS1_7vsmem_tEENKUlT_SK_SL_SM_E_clISD_PbSF_PiEESJ_SZ_SK_SL_SM_EUlSZ_E1_NS1_11comp_targetILNS1_3genE9ELNS1_11target_archE1100ELNS1_3gpuE3ELNS1_3repE0EEENS1_36merge_oddeven_config_static_selectorELNS0_4arch9wavefront6targetE1EEEvSL_.private_seg_size, 0
	.set _ZN7rocprim17ROCPRIM_400000_NS6detail17trampoline_kernelINS0_14default_configENS1_38merge_sort_block_merge_config_selectorIbiEEZZNS1_27merge_sort_block_merge_implIS3_N6thrust23THRUST_200600_302600_NS6detail15normal_iteratorINS8_10device_ptrIbEEEENSA_INSB_IiEEEEjNS1_19radix_merge_compareILb1ELb1EbNS0_19identity_decomposerEEEEE10hipError_tT0_T1_T2_jT3_P12ihipStream_tbPNSt15iterator_traitsISK_E10value_typeEPNSQ_ISL_E10value_typeEPSM_NS1_7vsmem_tEENKUlT_SK_SL_SM_E_clISD_PbSF_PiEESJ_SZ_SK_SL_SM_EUlSZ_E1_NS1_11comp_targetILNS1_3genE9ELNS1_11target_archE1100ELNS1_3gpuE3ELNS1_3repE0EEENS1_36merge_oddeven_config_static_selectorELNS0_4arch9wavefront6targetE1EEEvSL_.uses_vcc, 0
	.set _ZN7rocprim17ROCPRIM_400000_NS6detail17trampoline_kernelINS0_14default_configENS1_38merge_sort_block_merge_config_selectorIbiEEZZNS1_27merge_sort_block_merge_implIS3_N6thrust23THRUST_200600_302600_NS6detail15normal_iteratorINS8_10device_ptrIbEEEENSA_INSB_IiEEEEjNS1_19radix_merge_compareILb1ELb1EbNS0_19identity_decomposerEEEEE10hipError_tT0_T1_T2_jT3_P12ihipStream_tbPNSt15iterator_traitsISK_E10value_typeEPNSQ_ISL_E10value_typeEPSM_NS1_7vsmem_tEENKUlT_SK_SL_SM_E_clISD_PbSF_PiEESJ_SZ_SK_SL_SM_EUlSZ_E1_NS1_11comp_targetILNS1_3genE9ELNS1_11target_archE1100ELNS1_3gpuE3ELNS1_3repE0EEENS1_36merge_oddeven_config_static_selectorELNS0_4arch9wavefront6targetE1EEEvSL_.uses_flat_scratch, 0
	.set _ZN7rocprim17ROCPRIM_400000_NS6detail17trampoline_kernelINS0_14default_configENS1_38merge_sort_block_merge_config_selectorIbiEEZZNS1_27merge_sort_block_merge_implIS3_N6thrust23THRUST_200600_302600_NS6detail15normal_iteratorINS8_10device_ptrIbEEEENSA_INSB_IiEEEEjNS1_19radix_merge_compareILb1ELb1EbNS0_19identity_decomposerEEEEE10hipError_tT0_T1_T2_jT3_P12ihipStream_tbPNSt15iterator_traitsISK_E10value_typeEPNSQ_ISL_E10value_typeEPSM_NS1_7vsmem_tEENKUlT_SK_SL_SM_E_clISD_PbSF_PiEESJ_SZ_SK_SL_SM_EUlSZ_E1_NS1_11comp_targetILNS1_3genE9ELNS1_11target_archE1100ELNS1_3gpuE3ELNS1_3repE0EEENS1_36merge_oddeven_config_static_selectorELNS0_4arch9wavefront6targetE1EEEvSL_.has_dyn_sized_stack, 0
	.set _ZN7rocprim17ROCPRIM_400000_NS6detail17trampoline_kernelINS0_14default_configENS1_38merge_sort_block_merge_config_selectorIbiEEZZNS1_27merge_sort_block_merge_implIS3_N6thrust23THRUST_200600_302600_NS6detail15normal_iteratorINS8_10device_ptrIbEEEENSA_INSB_IiEEEEjNS1_19radix_merge_compareILb1ELb1EbNS0_19identity_decomposerEEEEE10hipError_tT0_T1_T2_jT3_P12ihipStream_tbPNSt15iterator_traitsISK_E10value_typeEPNSQ_ISL_E10value_typeEPSM_NS1_7vsmem_tEENKUlT_SK_SL_SM_E_clISD_PbSF_PiEESJ_SZ_SK_SL_SM_EUlSZ_E1_NS1_11comp_targetILNS1_3genE9ELNS1_11target_archE1100ELNS1_3gpuE3ELNS1_3repE0EEENS1_36merge_oddeven_config_static_selectorELNS0_4arch9wavefront6targetE1EEEvSL_.has_recursion, 0
	.set _ZN7rocprim17ROCPRIM_400000_NS6detail17trampoline_kernelINS0_14default_configENS1_38merge_sort_block_merge_config_selectorIbiEEZZNS1_27merge_sort_block_merge_implIS3_N6thrust23THRUST_200600_302600_NS6detail15normal_iteratorINS8_10device_ptrIbEEEENSA_INSB_IiEEEEjNS1_19radix_merge_compareILb1ELb1EbNS0_19identity_decomposerEEEEE10hipError_tT0_T1_T2_jT3_P12ihipStream_tbPNSt15iterator_traitsISK_E10value_typeEPNSQ_ISL_E10value_typeEPSM_NS1_7vsmem_tEENKUlT_SK_SL_SM_E_clISD_PbSF_PiEESJ_SZ_SK_SL_SM_EUlSZ_E1_NS1_11comp_targetILNS1_3genE9ELNS1_11target_archE1100ELNS1_3gpuE3ELNS1_3repE0EEENS1_36merge_oddeven_config_static_selectorELNS0_4arch9wavefront6targetE1EEEvSL_.has_indirect_call, 0
	.section	.AMDGPU.csdata,"",@progbits
; Kernel info:
; codeLenInByte = 0
; TotalNumSgprs: 6
; NumVgprs: 0
; NumAgprs: 0
; TotalNumVgprs: 0
; ScratchSize: 0
; MemoryBound: 0
; FloatMode: 240
; IeeeMode: 1
; LDSByteSize: 0 bytes/workgroup (compile time only)
; SGPRBlocks: 0
; VGPRBlocks: 0
; NumSGPRsForWavesPerEU: 6
; NumVGPRsForWavesPerEU: 1
; AccumOffset: 4
; Occupancy: 8
; WaveLimiterHint : 0
; COMPUTE_PGM_RSRC2:SCRATCH_EN: 0
; COMPUTE_PGM_RSRC2:USER_SGPR: 2
; COMPUTE_PGM_RSRC2:TRAP_HANDLER: 0
; COMPUTE_PGM_RSRC2:TGID_X_EN: 1
; COMPUTE_PGM_RSRC2:TGID_Y_EN: 0
; COMPUTE_PGM_RSRC2:TGID_Z_EN: 0
; COMPUTE_PGM_RSRC2:TIDIG_COMP_CNT: 0
; COMPUTE_PGM_RSRC3_GFX90A:ACCUM_OFFSET: 0
; COMPUTE_PGM_RSRC3_GFX90A:TG_SPLIT: 0
	.section	.text._ZN7rocprim17ROCPRIM_400000_NS6detail17trampoline_kernelINS0_14default_configENS1_38merge_sort_block_merge_config_selectorIbiEEZZNS1_27merge_sort_block_merge_implIS3_N6thrust23THRUST_200600_302600_NS6detail15normal_iteratorINS8_10device_ptrIbEEEENSA_INSB_IiEEEEjNS1_19radix_merge_compareILb1ELb1EbNS0_19identity_decomposerEEEEE10hipError_tT0_T1_T2_jT3_P12ihipStream_tbPNSt15iterator_traitsISK_E10value_typeEPNSQ_ISL_E10value_typeEPSM_NS1_7vsmem_tEENKUlT_SK_SL_SM_E_clISD_PbSF_PiEESJ_SZ_SK_SL_SM_EUlSZ_E1_NS1_11comp_targetILNS1_3genE8ELNS1_11target_archE1030ELNS1_3gpuE2ELNS1_3repE0EEENS1_36merge_oddeven_config_static_selectorELNS0_4arch9wavefront6targetE1EEEvSL_,"axG",@progbits,_ZN7rocprim17ROCPRIM_400000_NS6detail17trampoline_kernelINS0_14default_configENS1_38merge_sort_block_merge_config_selectorIbiEEZZNS1_27merge_sort_block_merge_implIS3_N6thrust23THRUST_200600_302600_NS6detail15normal_iteratorINS8_10device_ptrIbEEEENSA_INSB_IiEEEEjNS1_19radix_merge_compareILb1ELb1EbNS0_19identity_decomposerEEEEE10hipError_tT0_T1_T2_jT3_P12ihipStream_tbPNSt15iterator_traitsISK_E10value_typeEPNSQ_ISL_E10value_typeEPSM_NS1_7vsmem_tEENKUlT_SK_SL_SM_E_clISD_PbSF_PiEESJ_SZ_SK_SL_SM_EUlSZ_E1_NS1_11comp_targetILNS1_3genE8ELNS1_11target_archE1030ELNS1_3gpuE2ELNS1_3repE0EEENS1_36merge_oddeven_config_static_selectorELNS0_4arch9wavefront6targetE1EEEvSL_,comdat
	.protected	_ZN7rocprim17ROCPRIM_400000_NS6detail17trampoline_kernelINS0_14default_configENS1_38merge_sort_block_merge_config_selectorIbiEEZZNS1_27merge_sort_block_merge_implIS3_N6thrust23THRUST_200600_302600_NS6detail15normal_iteratorINS8_10device_ptrIbEEEENSA_INSB_IiEEEEjNS1_19radix_merge_compareILb1ELb1EbNS0_19identity_decomposerEEEEE10hipError_tT0_T1_T2_jT3_P12ihipStream_tbPNSt15iterator_traitsISK_E10value_typeEPNSQ_ISL_E10value_typeEPSM_NS1_7vsmem_tEENKUlT_SK_SL_SM_E_clISD_PbSF_PiEESJ_SZ_SK_SL_SM_EUlSZ_E1_NS1_11comp_targetILNS1_3genE8ELNS1_11target_archE1030ELNS1_3gpuE2ELNS1_3repE0EEENS1_36merge_oddeven_config_static_selectorELNS0_4arch9wavefront6targetE1EEEvSL_ ; -- Begin function _ZN7rocprim17ROCPRIM_400000_NS6detail17trampoline_kernelINS0_14default_configENS1_38merge_sort_block_merge_config_selectorIbiEEZZNS1_27merge_sort_block_merge_implIS3_N6thrust23THRUST_200600_302600_NS6detail15normal_iteratorINS8_10device_ptrIbEEEENSA_INSB_IiEEEEjNS1_19radix_merge_compareILb1ELb1EbNS0_19identity_decomposerEEEEE10hipError_tT0_T1_T2_jT3_P12ihipStream_tbPNSt15iterator_traitsISK_E10value_typeEPNSQ_ISL_E10value_typeEPSM_NS1_7vsmem_tEENKUlT_SK_SL_SM_E_clISD_PbSF_PiEESJ_SZ_SK_SL_SM_EUlSZ_E1_NS1_11comp_targetILNS1_3genE8ELNS1_11target_archE1030ELNS1_3gpuE2ELNS1_3repE0EEENS1_36merge_oddeven_config_static_selectorELNS0_4arch9wavefront6targetE1EEEvSL_
	.globl	_ZN7rocprim17ROCPRIM_400000_NS6detail17trampoline_kernelINS0_14default_configENS1_38merge_sort_block_merge_config_selectorIbiEEZZNS1_27merge_sort_block_merge_implIS3_N6thrust23THRUST_200600_302600_NS6detail15normal_iteratorINS8_10device_ptrIbEEEENSA_INSB_IiEEEEjNS1_19radix_merge_compareILb1ELb1EbNS0_19identity_decomposerEEEEE10hipError_tT0_T1_T2_jT3_P12ihipStream_tbPNSt15iterator_traitsISK_E10value_typeEPNSQ_ISL_E10value_typeEPSM_NS1_7vsmem_tEENKUlT_SK_SL_SM_E_clISD_PbSF_PiEESJ_SZ_SK_SL_SM_EUlSZ_E1_NS1_11comp_targetILNS1_3genE8ELNS1_11target_archE1030ELNS1_3gpuE2ELNS1_3repE0EEENS1_36merge_oddeven_config_static_selectorELNS0_4arch9wavefront6targetE1EEEvSL_
	.p2align	8
	.type	_ZN7rocprim17ROCPRIM_400000_NS6detail17trampoline_kernelINS0_14default_configENS1_38merge_sort_block_merge_config_selectorIbiEEZZNS1_27merge_sort_block_merge_implIS3_N6thrust23THRUST_200600_302600_NS6detail15normal_iteratorINS8_10device_ptrIbEEEENSA_INSB_IiEEEEjNS1_19radix_merge_compareILb1ELb1EbNS0_19identity_decomposerEEEEE10hipError_tT0_T1_T2_jT3_P12ihipStream_tbPNSt15iterator_traitsISK_E10value_typeEPNSQ_ISL_E10value_typeEPSM_NS1_7vsmem_tEENKUlT_SK_SL_SM_E_clISD_PbSF_PiEESJ_SZ_SK_SL_SM_EUlSZ_E1_NS1_11comp_targetILNS1_3genE8ELNS1_11target_archE1030ELNS1_3gpuE2ELNS1_3repE0EEENS1_36merge_oddeven_config_static_selectorELNS0_4arch9wavefront6targetE1EEEvSL_,@function
_ZN7rocprim17ROCPRIM_400000_NS6detail17trampoline_kernelINS0_14default_configENS1_38merge_sort_block_merge_config_selectorIbiEEZZNS1_27merge_sort_block_merge_implIS3_N6thrust23THRUST_200600_302600_NS6detail15normal_iteratorINS8_10device_ptrIbEEEENSA_INSB_IiEEEEjNS1_19radix_merge_compareILb1ELb1EbNS0_19identity_decomposerEEEEE10hipError_tT0_T1_T2_jT3_P12ihipStream_tbPNSt15iterator_traitsISK_E10value_typeEPNSQ_ISL_E10value_typeEPSM_NS1_7vsmem_tEENKUlT_SK_SL_SM_E_clISD_PbSF_PiEESJ_SZ_SK_SL_SM_EUlSZ_E1_NS1_11comp_targetILNS1_3genE8ELNS1_11target_archE1030ELNS1_3gpuE2ELNS1_3repE0EEENS1_36merge_oddeven_config_static_selectorELNS0_4arch9wavefront6targetE1EEEvSL_: ; @_ZN7rocprim17ROCPRIM_400000_NS6detail17trampoline_kernelINS0_14default_configENS1_38merge_sort_block_merge_config_selectorIbiEEZZNS1_27merge_sort_block_merge_implIS3_N6thrust23THRUST_200600_302600_NS6detail15normal_iteratorINS8_10device_ptrIbEEEENSA_INSB_IiEEEEjNS1_19radix_merge_compareILb1ELb1EbNS0_19identity_decomposerEEEEE10hipError_tT0_T1_T2_jT3_P12ihipStream_tbPNSt15iterator_traitsISK_E10value_typeEPNSQ_ISL_E10value_typeEPSM_NS1_7vsmem_tEENKUlT_SK_SL_SM_E_clISD_PbSF_PiEESJ_SZ_SK_SL_SM_EUlSZ_E1_NS1_11comp_targetILNS1_3genE8ELNS1_11target_archE1030ELNS1_3gpuE2ELNS1_3repE0EEENS1_36merge_oddeven_config_static_selectorELNS0_4arch9wavefront6targetE1EEEvSL_
; %bb.0:
	.section	.rodata,"a",@progbits
	.p2align	6, 0x0
	.amdhsa_kernel _ZN7rocprim17ROCPRIM_400000_NS6detail17trampoline_kernelINS0_14default_configENS1_38merge_sort_block_merge_config_selectorIbiEEZZNS1_27merge_sort_block_merge_implIS3_N6thrust23THRUST_200600_302600_NS6detail15normal_iteratorINS8_10device_ptrIbEEEENSA_INSB_IiEEEEjNS1_19radix_merge_compareILb1ELb1EbNS0_19identity_decomposerEEEEE10hipError_tT0_T1_T2_jT3_P12ihipStream_tbPNSt15iterator_traitsISK_E10value_typeEPNSQ_ISL_E10value_typeEPSM_NS1_7vsmem_tEENKUlT_SK_SL_SM_E_clISD_PbSF_PiEESJ_SZ_SK_SL_SM_EUlSZ_E1_NS1_11comp_targetILNS1_3genE8ELNS1_11target_archE1030ELNS1_3gpuE2ELNS1_3repE0EEENS1_36merge_oddeven_config_static_selectorELNS0_4arch9wavefront6targetE1EEEvSL_
		.amdhsa_group_segment_fixed_size 0
		.amdhsa_private_segment_fixed_size 0
		.amdhsa_kernarg_size 48
		.amdhsa_user_sgpr_count 2
		.amdhsa_user_sgpr_dispatch_ptr 0
		.amdhsa_user_sgpr_queue_ptr 0
		.amdhsa_user_sgpr_kernarg_segment_ptr 1
		.amdhsa_user_sgpr_dispatch_id 0
		.amdhsa_user_sgpr_kernarg_preload_length 0
		.amdhsa_user_sgpr_kernarg_preload_offset 0
		.amdhsa_user_sgpr_private_segment_size 0
		.amdhsa_uses_dynamic_stack 0
		.amdhsa_enable_private_segment 0
		.amdhsa_system_sgpr_workgroup_id_x 1
		.amdhsa_system_sgpr_workgroup_id_y 0
		.amdhsa_system_sgpr_workgroup_id_z 0
		.amdhsa_system_sgpr_workgroup_info 0
		.amdhsa_system_vgpr_workitem_id 0
		.amdhsa_next_free_vgpr 1
		.amdhsa_next_free_sgpr 0
		.amdhsa_accum_offset 4
		.amdhsa_reserve_vcc 0
		.amdhsa_float_round_mode_32 0
		.amdhsa_float_round_mode_16_64 0
		.amdhsa_float_denorm_mode_32 3
		.amdhsa_float_denorm_mode_16_64 3
		.amdhsa_dx10_clamp 1
		.amdhsa_ieee_mode 1
		.amdhsa_fp16_overflow 0
		.amdhsa_tg_split 0
		.amdhsa_exception_fp_ieee_invalid_op 0
		.amdhsa_exception_fp_denorm_src 0
		.amdhsa_exception_fp_ieee_div_zero 0
		.amdhsa_exception_fp_ieee_overflow 0
		.amdhsa_exception_fp_ieee_underflow 0
		.amdhsa_exception_fp_ieee_inexact 0
		.amdhsa_exception_int_div_zero 0
	.end_amdhsa_kernel
	.section	.text._ZN7rocprim17ROCPRIM_400000_NS6detail17trampoline_kernelINS0_14default_configENS1_38merge_sort_block_merge_config_selectorIbiEEZZNS1_27merge_sort_block_merge_implIS3_N6thrust23THRUST_200600_302600_NS6detail15normal_iteratorINS8_10device_ptrIbEEEENSA_INSB_IiEEEEjNS1_19radix_merge_compareILb1ELb1EbNS0_19identity_decomposerEEEEE10hipError_tT0_T1_T2_jT3_P12ihipStream_tbPNSt15iterator_traitsISK_E10value_typeEPNSQ_ISL_E10value_typeEPSM_NS1_7vsmem_tEENKUlT_SK_SL_SM_E_clISD_PbSF_PiEESJ_SZ_SK_SL_SM_EUlSZ_E1_NS1_11comp_targetILNS1_3genE8ELNS1_11target_archE1030ELNS1_3gpuE2ELNS1_3repE0EEENS1_36merge_oddeven_config_static_selectorELNS0_4arch9wavefront6targetE1EEEvSL_,"axG",@progbits,_ZN7rocprim17ROCPRIM_400000_NS6detail17trampoline_kernelINS0_14default_configENS1_38merge_sort_block_merge_config_selectorIbiEEZZNS1_27merge_sort_block_merge_implIS3_N6thrust23THRUST_200600_302600_NS6detail15normal_iteratorINS8_10device_ptrIbEEEENSA_INSB_IiEEEEjNS1_19radix_merge_compareILb1ELb1EbNS0_19identity_decomposerEEEEE10hipError_tT0_T1_T2_jT3_P12ihipStream_tbPNSt15iterator_traitsISK_E10value_typeEPNSQ_ISL_E10value_typeEPSM_NS1_7vsmem_tEENKUlT_SK_SL_SM_E_clISD_PbSF_PiEESJ_SZ_SK_SL_SM_EUlSZ_E1_NS1_11comp_targetILNS1_3genE8ELNS1_11target_archE1030ELNS1_3gpuE2ELNS1_3repE0EEENS1_36merge_oddeven_config_static_selectorELNS0_4arch9wavefront6targetE1EEEvSL_,comdat
.Lfunc_end2199:
	.size	_ZN7rocprim17ROCPRIM_400000_NS6detail17trampoline_kernelINS0_14default_configENS1_38merge_sort_block_merge_config_selectorIbiEEZZNS1_27merge_sort_block_merge_implIS3_N6thrust23THRUST_200600_302600_NS6detail15normal_iteratorINS8_10device_ptrIbEEEENSA_INSB_IiEEEEjNS1_19radix_merge_compareILb1ELb1EbNS0_19identity_decomposerEEEEE10hipError_tT0_T1_T2_jT3_P12ihipStream_tbPNSt15iterator_traitsISK_E10value_typeEPNSQ_ISL_E10value_typeEPSM_NS1_7vsmem_tEENKUlT_SK_SL_SM_E_clISD_PbSF_PiEESJ_SZ_SK_SL_SM_EUlSZ_E1_NS1_11comp_targetILNS1_3genE8ELNS1_11target_archE1030ELNS1_3gpuE2ELNS1_3repE0EEENS1_36merge_oddeven_config_static_selectorELNS0_4arch9wavefront6targetE1EEEvSL_, .Lfunc_end2199-_ZN7rocprim17ROCPRIM_400000_NS6detail17trampoline_kernelINS0_14default_configENS1_38merge_sort_block_merge_config_selectorIbiEEZZNS1_27merge_sort_block_merge_implIS3_N6thrust23THRUST_200600_302600_NS6detail15normal_iteratorINS8_10device_ptrIbEEEENSA_INSB_IiEEEEjNS1_19radix_merge_compareILb1ELb1EbNS0_19identity_decomposerEEEEE10hipError_tT0_T1_T2_jT3_P12ihipStream_tbPNSt15iterator_traitsISK_E10value_typeEPNSQ_ISL_E10value_typeEPSM_NS1_7vsmem_tEENKUlT_SK_SL_SM_E_clISD_PbSF_PiEESJ_SZ_SK_SL_SM_EUlSZ_E1_NS1_11comp_targetILNS1_3genE8ELNS1_11target_archE1030ELNS1_3gpuE2ELNS1_3repE0EEENS1_36merge_oddeven_config_static_selectorELNS0_4arch9wavefront6targetE1EEEvSL_
                                        ; -- End function
	.set _ZN7rocprim17ROCPRIM_400000_NS6detail17trampoline_kernelINS0_14default_configENS1_38merge_sort_block_merge_config_selectorIbiEEZZNS1_27merge_sort_block_merge_implIS3_N6thrust23THRUST_200600_302600_NS6detail15normal_iteratorINS8_10device_ptrIbEEEENSA_INSB_IiEEEEjNS1_19radix_merge_compareILb1ELb1EbNS0_19identity_decomposerEEEEE10hipError_tT0_T1_T2_jT3_P12ihipStream_tbPNSt15iterator_traitsISK_E10value_typeEPNSQ_ISL_E10value_typeEPSM_NS1_7vsmem_tEENKUlT_SK_SL_SM_E_clISD_PbSF_PiEESJ_SZ_SK_SL_SM_EUlSZ_E1_NS1_11comp_targetILNS1_3genE8ELNS1_11target_archE1030ELNS1_3gpuE2ELNS1_3repE0EEENS1_36merge_oddeven_config_static_selectorELNS0_4arch9wavefront6targetE1EEEvSL_.num_vgpr, 0
	.set _ZN7rocprim17ROCPRIM_400000_NS6detail17trampoline_kernelINS0_14default_configENS1_38merge_sort_block_merge_config_selectorIbiEEZZNS1_27merge_sort_block_merge_implIS3_N6thrust23THRUST_200600_302600_NS6detail15normal_iteratorINS8_10device_ptrIbEEEENSA_INSB_IiEEEEjNS1_19radix_merge_compareILb1ELb1EbNS0_19identity_decomposerEEEEE10hipError_tT0_T1_T2_jT3_P12ihipStream_tbPNSt15iterator_traitsISK_E10value_typeEPNSQ_ISL_E10value_typeEPSM_NS1_7vsmem_tEENKUlT_SK_SL_SM_E_clISD_PbSF_PiEESJ_SZ_SK_SL_SM_EUlSZ_E1_NS1_11comp_targetILNS1_3genE8ELNS1_11target_archE1030ELNS1_3gpuE2ELNS1_3repE0EEENS1_36merge_oddeven_config_static_selectorELNS0_4arch9wavefront6targetE1EEEvSL_.num_agpr, 0
	.set _ZN7rocprim17ROCPRIM_400000_NS6detail17trampoline_kernelINS0_14default_configENS1_38merge_sort_block_merge_config_selectorIbiEEZZNS1_27merge_sort_block_merge_implIS3_N6thrust23THRUST_200600_302600_NS6detail15normal_iteratorINS8_10device_ptrIbEEEENSA_INSB_IiEEEEjNS1_19radix_merge_compareILb1ELb1EbNS0_19identity_decomposerEEEEE10hipError_tT0_T1_T2_jT3_P12ihipStream_tbPNSt15iterator_traitsISK_E10value_typeEPNSQ_ISL_E10value_typeEPSM_NS1_7vsmem_tEENKUlT_SK_SL_SM_E_clISD_PbSF_PiEESJ_SZ_SK_SL_SM_EUlSZ_E1_NS1_11comp_targetILNS1_3genE8ELNS1_11target_archE1030ELNS1_3gpuE2ELNS1_3repE0EEENS1_36merge_oddeven_config_static_selectorELNS0_4arch9wavefront6targetE1EEEvSL_.numbered_sgpr, 0
	.set _ZN7rocprim17ROCPRIM_400000_NS6detail17trampoline_kernelINS0_14default_configENS1_38merge_sort_block_merge_config_selectorIbiEEZZNS1_27merge_sort_block_merge_implIS3_N6thrust23THRUST_200600_302600_NS6detail15normal_iteratorINS8_10device_ptrIbEEEENSA_INSB_IiEEEEjNS1_19radix_merge_compareILb1ELb1EbNS0_19identity_decomposerEEEEE10hipError_tT0_T1_T2_jT3_P12ihipStream_tbPNSt15iterator_traitsISK_E10value_typeEPNSQ_ISL_E10value_typeEPSM_NS1_7vsmem_tEENKUlT_SK_SL_SM_E_clISD_PbSF_PiEESJ_SZ_SK_SL_SM_EUlSZ_E1_NS1_11comp_targetILNS1_3genE8ELNS1_11target_archE1030ELNS1_3gpuE2ELNS1_3repE0EEENS1_36merge_oddeven_config_static_selectorELNS0_4arch9wavefront6targetE1EEEvSL_.num_named_barrier, 0
	.set _ZN7rocprim17ROCPRIM_400000_NS6detail17trampoline_kernelINS0_14default_configENS1_38merge_sort_block_merge_config_selectorIbiEEZZNS1_27merge_sort_block_merge_implIS3_N6thrust23THRUST_200600_302600_NS6detail15normal_iteratorINS8_10device_ptrIbEEEENSA_INSB_IiEEEEjNS1_19radix_merge_compareILb1ELb1EbNS0_19identity_decomposerEEEEE10hipError_tT0_T1_T2_jT3_P12ihipStream_tbPNSt15iterator_traitsISK_E10value_typeEPNSQ_ISL_E10value_typeEPSM_NS1_7vsmem_tEENKUlT_SK_SL_SM_E_clISD_PbSF_PiEESJ_SZ_SK_SL_SM_EUlSZ_E1_NS1_11comp_targetILNS1_3genE8ELNS1_11target_archE1030ELNS1_3gpuE2ELNS1_3repE0EEENS1_36merge_oddeven_config_static_selectorELNS0_4arch9wavefront6targetE1EEEvSL_.private_seg_size, 0
	.set _ZN7rocprim17ROCPRIM_400000_NS6detail17trampoline_kernelINS0_14default_configENS1_38merge_sort_block_merge_config_selectorIbiEEZZNS1_27merge_sort_block_merge_implIS3_N6thrust23THRUST_200600_302600_NS6detail15normal_iteratorINS8_10device_ptrIbEEEENSA_INSB_IiEEEEjNS1_19radix_merge_compareILb1ELb1EbNS0_19identity_decomposerEEEEE10hipError_tT0_T1_T2_jT3_P12ihipStream_tbPNSt15iterator_traitsISK_E10value_typeEPNSQ_ISL_E10value_typeEPSM_NS1_7vsmem_tEENKUlT_SK_SL_SM_E_clISD_PbSF_PiEESJ_SZ_SK_SL_SM_EUlSZ_E1_NS1_11comp_targetILNS1_3genE8ELNS1_11target_archE1030ELNS1_3gpuE2ELNS1_3repE0EEENS1_36merge_oddeven_config_static_selectorELNS0_4arch9wavefront6targetE1EEEvSL_.uses_vcc, 0
	.set _ZN7rocprim17ROCPRIM_400000_NS6detail17trampoline_kernelINS0_14default_configENS1_38merge_sort_block_merge_config_selectorIbiEEZZNS1_27merge_sort_block_merge_implIS3_N6thrust23THRUST_200600_302600_NS6detail15normal_iteratorINS8_10device_ptrIbEEEENSA_INSB_IiEEEEjNS1_19radix_merge_compareILb1ELb1EbNS0_19identity_decomposerEEEEE10hipError_tT0_T1_T2_jT3_P12ihipStream_tbPNSt15iterator_traitsISK_E10value_typeEPNSQ_ISL_E10value_typeEPSM_NS1_7vsmem_tEENKUlT_SK_SL_SM_E_clISD_PbSF_PiEESJ_SZ_SK_SL_SM_EUlSZ_E1_NS1_11comp_targetILNS1_3genE8ELNS1_11target_archE1030ELNS1_3gpuE2ELNS1_3repE0EEENS1_36merge_oddeven_config_static_selectorELNS0_4arch9wavefront6targetE1EEEvSL_.uses_flat_scratch, 0
	.set _ZN7rocprim17ROCPRIM_400000_NS6detail17trampoline_kernelINS0_14default_configENS1_38merge_sort_block_merge_config_selectorIbiEEZZNS1_27merge_sort_block_merge_implIS3_N6thrust23THRUST_200600_302600_NS6detail15normal_iteratorINS8_10device_ptrIbEEEENSA_INSB_IiEEEEjNS1_19radix_merge_compareILb1ELb1EbNS0_19identity_decomposerEEEEE10hipError_tT0_T1_T2_jT3_P12ihipStream_tbPNSt15iterator_traitsISK_E10value_typeEPNSQ_ISL_E10value_typeEPSM_NS1_7vsmem_tEENKUlT_SK_SL_SM_E_clISD_PbSF_PiEESJ_SZ_SK_SL_SM_EUlSZ_E1_NS1_11comp_targetILNS1_3genE8ELNS1_11target_archE1030ELNS1_3gpuE2ELNS1_3repE0EEENS1_36merge_oddeven_config_static_selectorELNS0_4arch9wavefront6targetE1EEEvSL_.has_dyn_sized_stack, 0
	.set _ZN7rocprim17ROCPRIM_400000_NS6detail17trampoline_kernelINS0_14default_configENS1_38merge_sort_block_merge_config_selectorIbiEEZZNS1_27merge_sort_block_merge_implIS3_N6thrust23THRUST_200600_302600_NS6detail15normal_iteratorINS8_10device_ptrIbEEEENSA_INSB_IiEEEEjNS1_19radix_merge_compareILb1ELb1EbNS0_19identity_decomposerEEEEE10hipError_tT0_T1_T2_jT3_P12ihipStream_tbPNSt15iterator_traitsISK_E10value_typeEPNSQ_ISL_E10value_typeEPSM_NS1_7vsmem_tEENKUlT_SK_SL_SM_E_clISD_PbSF_PiEESJ_SZ_SK_SL_SM_EUlSZ_E1_NS1_11comp_targetILNS1_3genE8ELNS1_11target_archE1030ELNS1_3gpuE2ELNS1_3repE0EEENS1_36merge_oddeven_config_static_selectorELNS0_4arch9wavefront6targetE1EEEvSL_.has_recursion, 0
	.set _ZN7rocprim17ROCPRIM_400000_NS6detail17trampoline_kernelINS0_14default_configENS1_38merge_sort_block_merge_config_selectorIbiEEZZNS1_27merge_sort_block_merge_implIS3_N6thrust23THRUST_200600_302600_NS6detail15normal_iteratorINS8_10device_ptrIbEEEENSA_INSB_IiEEEEjNS1_19radix_merge_compareILb1ELb1EbNS0_19identity_decomposerEEEEE10hipError_tT0_T1_T2_jT3_P12ihipStream_tbPNSt15iterator_traitsISK_E10value_typeEPNSQ_ISL_E10value_typeEPSM_NS1_7vsmem_tEENKUlT_SK_SL_SM_E_clISD_PbSF_PiEESJ_SZ_SK_SL_SM_EUlSZ_E1_NS1_11comp_targetILNS1_3genE8ELNS1_11target_archE1030ELNS1_3gpuE2ELNS1_3repE0EEENS1_36merge_oddeven_config_static_selectorELNS0_4arch9wavefront6targetE1EEEvSL_.has_indirect_call, 0
	.section	.AMDGPU.csdata,"",@progbits
; Kernel info:
; codeLenInByte = 0
; TotalNumSgprs: 6
; NumVgprs: 0
; NumAgprs: 0
; TotalNumVgprs: 0
; ScratchSize: 0
; MemoryBound: 0
; FloatMode: 240
; IeeeMode: 1
; LDSByteSize: 0 bytes/workgroup (compile time only)
; SGPRBlocks: 0
; VGPRBlocks: 0
; NumSGPRsForWavesPerEU: 6
; NumVGPRsForWavesPerEU: 1
; AccumOffset: 4
; Occupancy: 8
; WaveLimiterHint : 0
; COMPUTE_PGM_RSRC2:SCRATCH_EN: 0
; COMPUTE_PGM_RSRC2:USER_SGPR: 2
; COMPUTE_PGM_RSRC2:TRAP_HANDLER: 0
; COMPUTE_PGM_RSRC2:TGID_X_EN: 1
; COMPUTE_PGM_RSRC2:TGID_Y_EN: 0
; COMPUTE_PGM_RSRC2:TGID_Z_EN: 0
; COMPUTE_PGM_RSRC2:TIDIG_COMP_CNT: 0
; COMPUTE_PGM_RSRC3_GFX90A:ACCUM_OFFSET: 0
; COMPUTE_PGM_RSRC3_GFX90A:TG_SPLIT: 0
	.section	.text._ZN7rocprim17ROCPRIM_400000_NS6detail17trampoline_kernelINS0_14default_configENS1_35radix_sort_onesweep_config_selectorIbiEEZNS1_34radix_sort_onesweep_global_offsetsIS3_Lb1EN6thrust23THRUST_200600_302600_NS6detail15normal_iteratorINS8_10device_ptrIbEEEENSA_INSB_IiEEEEjNS0_19identity_decomposerEEE10hipError_tT1_T2_PT3_SK_jT4_jjP12ihipStream_tbEUlT_E_NS1_11comp_targetILNS1_3genE0ELNS1_11target_archE4294967295ELNS1_3gpuE0ELNS1_3repE0EEENS1_52radix_sort_onesweep_histogram_config_static_selectorELNS0_4arch9wavefront6targetE1EEEvSI_,"axG",@progbits,_ZN7rocprim17ROCPRIM_400000_NS6detail17trampoline_kernelINS0_14default_configENS1_35radix_sort_onesweep_config_selectorIbiEEZNS1_34radix_sort_onesweep_global_offsetsIS3_Lb1EN6thrust23THRUST_200600_302600_NS6detail15normal_iteratorINS8_10device_ptrIbEEEENSA_INSB_IiEEEEjNS0_19identity_decomposerEEE10hipError_tT1_T2_PT3_SK_jT4_jjP12ihipStream_tbEUlT_E_NS1_11comp_targetILNS1_3genE0ELNS1_11target_archE4294967295ELNS1_3gpuE0ELNS1_3repE0EEENS1_52radix_sort_onesweep_histogram_config_static_selectorELNS0_4arch9wavefront6targetE1EEEvSI_,comdat
	.protected	_ZN7rocprim17ROCPRIM_400000_NS6detail17trampoline_kernelINS0_14default_configENS1_35radix_sort_onesweep_config_selectorIbiEEZNS1_34radix_sort_onesweep_global_offsetsIS3_Lb1EN6thrust23THRUST_200600_302600_NS6detail15normal_iteratorINS8_10device_ptrIbEEEENSA_INSB_IiEEEEjNS0_19identity_decomposerEEE10hipError_tT1_T2_PT3_SK_jT4_jjP12ihipStream_tbEUlT_E_NS1_11comp_targetILNS1_3genE0ELNS1_11target_archE4294967295ELNS1_3gpuE0ELNS1_3repE0EEENS1_52radix_sort_onesweep_histogram_config_static_selectorELNS0_4arch9wavefront6targetE1EEEvSI_ ; -- Begin function _ZN7rocprim17ROCPRIM_400000_NS6detail17trampoline_kernelINS0_14default_configENS1_35radix_sort_onesweep_config_selectorIbiEEZNS1_34radix_sort_onesweep_global_offsetsIS3_Lb1EN6thrust23THRUST_200600_302600_NS6detail15normal_iteratorINS8_10device_ptrIbEEEENSA_INSB_IiEEEEjNS0_19identity_decomposerEEE10hipError_tT1_T2_PT3_SK_jT4_jjP12ihipStream_tbEUlT_E_NS1_11comp_targetILNS1_3genE0ELNS1_11target_archE4294967295ELNS1_3gpuE0ELNS1_3repE0EEENS1_52radix_sort_onesweep_histogram_config_static_selectorELNS0_4arch9wavefront6targetE1EEEvSI_
	.globl	_ZN7rocprim17ROCPRIM_400000_NS6detail17trampoline_kernelINS0_14default_configENS1_35radix_sort_onesweep_config_selectorIbiEEZNS1_34radix_sort_onesweep_global_offsetsIS3_Lb1EN6thrust23THRUST_200600_302600_NS6detail15normal_iteratorINS8_10device_ptrIbEEEENSA_INSB_IiEEEEjNS0_19identity_decomposerEEE10hipError_tT1_T2_PT3_SK_jT4_jjP12ihipStream_tbEUlT_E_NS1_11comp_targetILNS1_3genE0ELNS1_11target_archE4294967295ELNS1_3gpuE0ELNS1_3repE0EEENS1_52radix_sort_onesweep_histogram_config_static_selectorELNS0_4arch9wavefront6targetE1EEEvSI_
	.p2align	8
	.type	_ZN7rocprim17ROCPRIM_400000_NS6detail17trampoline_kernelINS0_14default_configENS1_35radix_sort_onesweep_config_selectorIbiEEZNS1_34radix_sort_onesweep_global_offsetsIS3_Lb1EN6thrust23THRUST_200600_302600_NS6detail15normal_iteratorINS8_10device_ptrIbEEEENSA_INSB_IiEEEEjNS0_19identity_decomposerEEE10hipError_tT1_T2_PT3_SK_jT4_jjP12ihipStream_tbEUlT_E_NS1_11comp_targetILNS1_3genE0ELNS1_11target_archE4294967295ELNS1_3gpuE0ELNS1_3repE0EEENS1_52radix_sort_onesweep_histogram_config_static_selectorELNS0_4arch9wavefront6targetE1EEEvSI_,@function
_ZN7rocprim17ROCPRIM_400000_NS6detail17trampoline_kernelINS0_14default_configENS1_35radix_sort_onesweep_config_selectorIbiEEZNS1_34radix_sort_onesweep_global_offsetsIS3_Lb1EN6thrust23THRUST_200600_302600_NS6detail15normal_iteratorINS8_10device_ptrIbEEEENSA_INSB_IiEEEEjNS0_19identity_decomposerEEE10hipError_tT1_T2_PT3_SK_jT4_jjP12ihipStream_tbEUlT_E_NS1_11comp_targetILNS1_3genE0ELNS1_11target_archE4294967295ELNS1_3gpuE0ELNS1_3repE0EEENS1_52radix_sort_onesweep_histogram_config_static_selectorELNS0_4arch9wavefront6targetE1EEEvSI_: ; @_ZN7rocprim17ROCPRIM_400000_NS6detail17trampoline_kernelINS0_14default_configENS1_35radix_sort_onesweep_config_selectorIbiEEZNS1_34radix_sort_onesweep_global_offsetsIS3_Lb1EN6thrust23THRUST_200600_302600_NS6detail15normal_iteratorINS8_10device_ptrIbEEEENSA_INSB_IiEEEEjNS0_19identity_decomposerEEE10hipError_tT1_T2_PT3_SK_jT4_jjP12ihipStream_tbEUlT_E_NS1_11comp_targetILNS1_3genE0ELNS1_11target_archE4294967295ELNS1_3gpuE0ELNS1_3repE0EEENS1_52radix_sort_onesweep_histogram_config_static_selectorELNS0_4arch9wavefront6targetE1EEEvSI_
; %bb.0:
	.section	.rodata,"a",@progbits
	.p2align	6, 0x0
	.amdhsa_kernel _ZN7rocprim17ROCPRIM_400000_NS6detail17trampoline_kernelINS0_14default_configENS1_35radix_sort_onesweep_config_selectorIbiEEZNS1_34radix_sort_onesweep_global_offsetsIS3_Lb1EN6thrust23THRUST_200600_302600_NS6detail15normal_iteratorINS8_10device_ptrIbEEEENSA_INSB_IiEEEEjNS0_19identity_decomposerEEE10hipError_tT1_T2_PT3_SK_jT4_jjP12ihipStream_tbEUlT_E_NS1_11comp_targetILNS1_3genE0ELNS1_11target_archE4294967295ELNS1_3gpuE0ELNS1_3repE0EEENS1_52radix_sort_onesweep_histogram_config_static_selectorELNS0_4arch9wavefront6targetE1EEEvSI_
		.amdhsa_group_segment_fixed_size 0
		.amdhsa_private_segment_fixed_size 0
		.amdhsa_kernarg_size 40
		.amdhsa_user_sgpr_count 2
		.amdhsa_user_sgpr_dispatch_ptr 0
		.amdhsa_user_sgpr_queue_ptr 0
		.amdhsa_user_sgpr_kernarg_segment_ptr 1
		.amdhsa_user_sgpr_dispatch_id 0
		.amdhsa_user_sgpr_kernarg_preload_length 0
		.amdhsa_user_sgpr_kernarg_preload_offset 0
		.amdhsa_user_sgpr_private_segment_size 0
		.amdhsa_uses_dynamic_stack 0
		.amdhsa_enable_private_segment 0
		.amdhsa_system_sgpr_workgroup_id_x 1
		.amdhsa_system_sgpr_workgroup_id_y 0
		.amdhsa_system_sgpr_workgroup_id_z 0
		.amdhsa_system_sgpr_workgroup_info 0
		.amdhsa_system_vgpr_workitem_id 0
		.amdhsa_next_free_vgpr 1
		.amdhsa_next_free_sgpr 0
		.amdhsa_accum_offset 4
		.amdhsa_reserve_vcc 0
		.amdhsa_float_round_mode_32 0
		.amdhsa_float_round_mode_16_64 0
		.amdhsa_float_denorm_mode_32 3
		.amdhsa_float_denorm_mode_16_64 3
		.amdhsa_dx10_clamp 1
		.amdhsa_ieee_mode 1
		.amdhsa_fp16_overflow 0
		.amdhsa_tg_split 0
		.amdhsa_exception_fp_ieee_invalid_op 0
		.amdhsa_exception_fp_denorm_src 0
		.amdhsa_exception_fp_ieee_div_zero 0
		.amdhsa_exception_fp_ieee_overflow 0
		.amdhsa_exception_fp_ieee_underflow 0
		.amdhsa_exception_fp_ieee_inexact 0
		.amdhsa_exception_int_div_zero 0
	.end_amdhsa_kernel
	.section	.text._ZN7rocprim17ROCPRIM_400000_NS6detail17trampoline_kernelINS0_14default_configENS1_35radix_sort_onesweep_config_selectorIbiEEZNS1_34radix_sort_onesweep_global_offsetsIS3_Lb1EN6thrust23THRUST_200600_302600_NS6detail15normal_iteratorINS8_10device_ptrIbEEEENSA_INSB_IiEEEEjNS0_19identity_decomposerEEE10hipError_tT1_T2_PT3_SK_jT4_jjP12ihipStream_tbEUlT_E_NS1_11comp_targetILNS1_3genE0ELNS1_11target_archE4294967295ELNS1_3gpuE0ELNS1_3repE0EEENS1_52radix_sort_onesweep_histogram_config_static_selectorELNS0_4arch9wavefront6targetE1EEEvSI_,"axG",@progbits,_ZN7rocprim17ROCPRIM_400000_NS6detail17trampoline_kernelINS0_14default_configENS1_35radix_sort_onesweep_config_selectorIbiEEZNS1_34radix_sort_onesweep_global_offsetsIS3_Lb1EN6thrust23THRUST_200600_302600_NS6detail15normal_iteratorINS8_10device_ptrIbEEEENSA_INSB_IiEEEEjNS0_19identity_decomposerEEE10hipError_tT1_T2_PT3_SK_jT4_jjP12ihipStream_tbEUlT_E_NS1_11comp_targetILNS1_3genE0ELNS1_11target_archE4294967295ELNS1_3gpuE0ELNS1_3repE0EEENS1_52radix_sort_onesweep_histogram_config_static_selectorELNS0_4arch9wavefront6targetE1EEEvSI_,comdat
.Lfunc_end2200:
	.size	_ZN7rocprim17ROCPRIM_400000_NS6detail17trampoline_kernelINS0_14default_configENS1_35radix_sort_onesweep_config_selectorIbiEEZNS1_34radix_sort_onesweep_global_offsetsIS3_Lb1EN6thrust23THRUST_200600_302600_NS6detail15normal_iteratorINS8_10device_ptrIbEEEENSA_INSB_IiEEEEjNS0_19identity_decomposerEEE10hipError_tT1_T2_PT3_SK_jT4_jjP12ihipStream_tbEUlT_E_NS1_11comp_targetILNS1_3genE0ELNS1_11target_archE4294967295ELNS1_3gpuE0ELNS1_3repE0EEENS1_52radix_sort_onesweep_histogram_config_static_selectorELNS0_4arch9wavefront6targetE1EEEvSI_, .Lfunc_end2200-_ZN7rocprim17ROCPRIM_400000_NS6detail17trampoline_kernelINS0_14default_configENS1_35radix_sort_onesweep_config_selectorIbiEEZNS1_34radix_sort_onesweep_global_offsetsIS3_Lb1EN6thrust23THRUST_200600_302600_NS6detail15normal_iteratorINS8_10device_ptrIbEEEENSA_INSB_IiEEEEjNS0_19identity_decomposerEEE10hipError_tT1_T2_PT3_SK_jT4_jjP12ihipStream_tbEUlT_E_NS1_11comp_targetILNS1_3genE0ELNS1_11target_archE4294967295ELNS1_3gpuE0ELNS1_3repE0EEENS1_52radix_sort_onesweep_histogram_config_static_selectorELNS0_4arch9wavefront6targetE1EEEvSI_
                                        ; -- End function
	.set _ZN7rocprim17ROCPRIM_400000_NS6detail17trampoline_kernelINS0_14default_configENS1_35radix_sort_onesweep_config_selectorIbiEEZNS1_34radix_sort_onesweep_global_offsetsIS3_Lb1EN6thrust23THRUST_200600_302600_NS6detail15normal_iteratorINS8_10device_ptrIbEEEENSA_INSB_IiEEEEjNS0_19identity_decomposerEEE10hipError_tT1_T2_PT3_SK_jT4_jjP12ihipStream_tbEUlT_E_NS1_11comp_targetILNS1_3genE0ELNS1_11target_archE4294967295ELNS1_3gpuE0ELNS1_3repE0EEENS1_52radix_sort_onesweep_histogram_config_static_selectorELNS0_4arch9wavefront6targetE1EEEvSI_.num_vgpr, 0
	.set _ZN7rocprim17ROCPRIM_400000_NS6detail17trampoline_kernelINS0_14default_configENS1_35radix_sort_onesweep_config_selectorIbiEEZNS1_34radix_sort_onesweep_global_offsetsIS3_Lb1EN6thrust23THRUST_200600_302600_NS6detail15normal_iteratorINS8_10device_ptrIbEEEENSA_INSB_IiEEEEjNS0_19identity_decomposerEEE10hipError_tT1_T2_PT3_SK_jT4_jjP12ihipStream_tbEUlT_E_NS1_11comp_targetILNS1_3genE0ELNS1_11target_archE4294967295ELNS1_3gpuE0ELNS1_3repE0EEENS1_52radix_sort_onesweep_histogram_config_static_selectorELNS0_4arch9wavefront6targetE1EEEvSI_.num_agpr, 0
	.set _ZN7rocprim17ROCPRIM_400000_NS6detail17trampoline_kernelINS0_14default_configENS1_35radix_sort_onesweep_config_selectorIbiEEZNS1_34radix_sort_onesweep_global_offsetsIS3_Lb1EN6thrust23THRUST_200600_302600_NS6detail15normal_iteratorINS8_10device_ptrIbEEEENSA_INSB_IiEEEEjNS0_19identity_decomposerEEE10hipError_tT1_T2_PT3_SK_jT4_jjP12ihipStream_tbEUlT_E_NS1_11comp_targetILNS1_3genE0ELNS1_11target_archE4294967295ELNS1_3gpuE0ELNS1_3repE0EEENS1_52radix_sort_onesweep_histogram_config_static_selectorELNS0_4arch9wavefront6targetE1EEEvSI_.numbered_sgpr, 0
	.set _ZN7rocprim17ROCPRIM_400000_NS6detail17trampoline_kernelINS0_14default_configENS1_35radix_sort_onesweep_config_selectorIbiEEZNS1_34radix_sort_onesweep_global_offsetsIS3_Lb1EN6thrust23THRUST_200600_302600_NS6detail15normal_iteratorINS8_10device_ptrIbEEEENSA_INSB_IiEEEEjNS0_19identity_decomposerEEE10hipError_tT1_T2_PT3_SK_jT4_jjP12ihipStream_tbEUlT_E_NS1_11comp_targetILNS1_3genE0ELNS1_11target_archE4294967295ELNS1_3gpuE0ELNS1_3repE0EEENS1_52radix_sort_onesweep_histogram_config_static_selectorELNS0_4arch9wavefront6targetE1EEEvSI_.num_named_barrier, 0
	.set _ZN7rocprim17ROCPRIM_400000_NS6detail17trampoline_kernelINS0_14default_configENS1_35radix_sort_onesweep_config_selectorIbiEEZNS1_34radix_sort_onesweep_global_offsetsIS3_Lb1EN6thrust23THRUST_200600_302600_NS6detail15normal_iteratorINS8_10device_ptrIbEEEENSA_INSB_IiEEEEjNS0_19identity_decomposerEEE10hipError_tT1_T2_PT3_SK_jT4_jjP12ihipStream_tbEUlT_E_NS1_11comp_targetILNS1_3genE0ELNS1_11target_archE4294967295ELNS1_3gpuE0ELNS1_3repE0EEENS1_52radix_sort_onesweep_histogram_config_static_selectorELNS0_4arch9wavefront6targetE1EEEvSI_.private_seg_size, 0
	.set _ZN7rocprim17ROCPRIM_400000_NS6detail17trampoline_kernelINS0_14default_configENS1_35radix_sort_onesweep_config_selectorIbiEEZNS1_34radix_sort_onesweep_global_offsetsIS3_Lb1EN6thrust23THRUST_200600_302600_NS6detail15normal_iteratorINS8_10device_ptrIbEEEENSA_INSB_IiEEEEjNS0_19identity_decomposerEEE10hipError_tT1_T2_PT3_SK_jT4_jjP12ihipStream_tbEUlT_E_NS1_11comp_targetILNS1_3genE0ELNS1_11target_archE4294967295ELNS1_3gpuE0ELNS1_3repE0EEENS1_52radix_sort_onesweep_histogram_config_static_selectorELNS0_4arch9wavefront6targetE1EEEvSI_.uses_vcc, 0
	.set _ZN7rocprim17ROCPRIM_400000_NS6detail17trampoline_kernelINS0_14default_configENS1_35radix_sort_onesweep_config_selectorIbiEEZNS1_34radix_sort_onesweep_global_offsetsIS3_Lb1EN6thrust23THRUST_200600_302600_NS6detail15normal_iteratorINS8_10device_ptrIbEEEENSA_INSB_IiEEEEjNS0_19identity_decomposerEEE10hipError_tT1_T2_PT3_SK_jT4_jjP12ihipStream_tbEUlT_E_NS1_11comp_targetILNS1_3genE0ELNS1_11target_archE4294967295ELNS1_3gpuE0ELNS1_3repE0EEENS1_52radix_sort_onesweep_histogram_config_static_selectorELNS0_4arch9wavefront6targetE1EEEvSI_.uses_flat_scratch, 0
	.set _ZN7rocprim17ROCPRIM_400000_NS6detail17trampoline_kernelINS0_14default_configENS1_35radix_sort_onesweep_config_selectorIbiEEZNS1_34radix_sort_onesweep_global_offsetsIS3_Lb1EN6thrust23THRUST_200600_302600_NS6detail15normal_iteratorINS8_10device_ptrIbEEEENSA_INSB_IiEEEEjNS0_19identity_decomposerEEE10hipError_tT1_T2_PT3_SK_jT4_jjP12ihipStream_tbEUlT_E_NS1_11comp_targetILNS1_3genE0ELNS1_11target_archE4294967295ELNS1_3gpuE0ELNS1_3repE0EEENS1_52radix_sort_onesweep_histogram_config_static_selectorELNS0_4arch9wavefront6targetE1EEEvSI_.has_dyn_sized_stack, 0
	.set _ZN7rocprim17ROCPRIM_400000_NS6detail17trampoline_kernelINS0_14default_configENS1_35radix_sort_onesweep_config_selectorIbiEEZNS1_34radix_sort_onesweep_global_offsetsIS3_Lb1EN6thrust23THRUST_200600_302600_NS6detail15normal_iteratorINS8_10device_ptrIbEEEENSA_INSB_IiEEEEjNS0_19identity_decomposerEEE10hipError_tT1_T2_PT3_SK_jT4_jjP12ihipStream_tbEUlT_E_NS1_11comp_targetILNS1_3genE0ELNS1_11target_archE4294967295ELNS1_3gpuE0ELNS1_3repE0EEENS1_52radix_sort_onesweep_histogram_config_static_selectorELNS0_4arch9wavefront6targetE1EEEvSI_.has_recursion, 0
	.set _ZN7rocprim17ROCPRIM_400000_NS6detail17trampoline_kernelINS0_14default_configENS1_35radix_sort_onesweep_config_selectorIbiEEZNS1_34radix_sort_onesweep_global_offsetsIS3_Lb1EN6thrust23THRUST_200600_302600_NS6detail15normal_iteratorINS8_10device_ptrIbEEEENSA_INSB_IiEEEEjNS0_19identity_decomposerEEE10hipError_tT1_T2_PT3_SK_jT4_jjP12ihipStream_tbEUlT_E_NS1_11comp_targetILNS1_3genE0ELNS1_11target_archE4294967295ELNS1_3gpuE0ELNS1_3repE0EEENS1_52radix_sort_onesweep_histogram_config_static_selectorELNS0_4arch9wavefront6targetE1EEEvSI_.has_indirect_call, 0
	.section	.AMDGPU.csdata,"",@progbits
; Kernel info:
; codeLenInByte = 0
; TotalNumSgprs: 6
; NumVgprs: 0
; NumAgprs: 0
; TotalNumVgprs: 0
; ScratchSize: 0
; MemoryBound: 0
; FloatMode: 240
; IeeeMode: 1
; LDSByteSize: 0 bytes/workgroup (compile time only)
; SGPRBlocks: 0
; VGPRBlocks: 0
; NumSGPRsForWavesPerEU: 6
; NumVGPRsForWavesPerEU: 1
; AccumOffset: 4
; Occupancy: 8
; WaveLimiterHint : 0
; COMPUTE_PGM_RSRC2:SCRATCH_EN: 0
; COMPUTE_PGM_RSRC2:USER_SGPR: 2
; COMPUTE_PGM_RSRC2:TRAP_HANDLER: 0
; COMPUTE_PGM_RSRC2:TGID_X_EN: 1
; COMPUTE_PGM_RSRC2:TGID_Y_EN: 0
; COMPUTE_PGM_RSRC2:TGID_Z_EN: 0
; COMPUTE_PGM_RSRC2:TIDIG_COMP_CNT: 0
; COMPUTE_PGM_RSRC3_GFX90A:ACCUM_OFFSET: 0
; COMPUTE_PGM_RSRC3_GFX90A:TG_SPLIT: 0
	.section	.text._ZN7rocprim17ROCPRIM_400000_NS6detail17trampoline_kernelINS0_14default_configENS1_35radix_sort_onesweep_config_selectorIbiEEZNS1_34radix_sort_onesweep_global_offsetsIS3_Lb1EN6thrust23THRUST_200600_302600_NS6detail15normal_iteratorINS8_10device_ptrIbEEEENSA_INSB_IiEEEEjNS0_19identity_decomposerEEE10hipError_tT1_T2_PT3_SK_jT4_jjP12ihipStream_tbEUlT_E_NS1_11comp_targetILNS1_3genE6ELNS1_11target_archE950ELNS1_3gpuE13ELNS1_3repE0EEENS1_52radix_sort_onesweep_histogram_config_static_selectorELNS0_4arch9wavefront6targetE1EEEvSI_,"axG",@progbits,_ZN7rocprim17ROCPRIM_400000_NS6detail17trampoline_kernelINS0_14default_configENS1_35radix_sort_onesweep_config_selectorIbiEEZNS1_34radix_sort_onesweep_global_offsetsIS3_Lb1EN6thrust23THRUST_200600_302600_NS6detail15normal_iteratorINS8_10device_ptrIbEEEENSA_INSB_IiEEEEjNS0_19identity_decomposerEEE10hipError_tT1_T2_PT3_SK_jT4_jjP12ihipStream_tbEUlT_E_NS1_11comp_targetILNS1_3genE6ELNS1_11target_archE950ELNS1_3gpuE13ELNS1_3repE0EEENS1_52radix_sort_onesweep_histogram_config_static_selectorELNS0_4arch9wavefront6targetE1EEEvSI_,comdat
	.protected	_ZN7rocprim17ROCPRIM_400000_NS6detail17trampoline_kernelINS0_14default_configENS1_35radix_sort_onesweep_config_selectorIbiEEZNS1_34radix_sort_onesweep_global_offsetsIS3_Lb1EN6thrust23THRUST_200600_302600_NS6detail15normal_iteratorINS8_10device_ptrIbEEEENSA_INSB_IiEEEEjNS0_19identity_decomposerEEE10hipError_tT1_T2_PT3_SK_jT4_jjP12ihipStream_tbEUlT_E_NS1_11comp_targetILNS1_3genE6ELNS1_11target_archE950ELNS1_3gpuE13ELNS1_3repE0EEENS1_52radix_sort_onesweep_histogram_config_static_selectorELNS0_4arch9wavefront6targetE1EEEvSI_ ; -- Begin function _ZN7rocprim17ROCPRIM_400000_NS6detail17trampoline_kernelINS0_14default_configENS1_35radix_sort_onesweep_config_selectorIbiEEZNS1_34radix_sort_onesweep_global_offsetsIS3_Lb1EN6thrust23THRUST_200600_302600_NS6detail15normal_iteratorINS8_10device_ptrIbEEEENSA_INSB_IiEEEEjNS0_19identity_decomposerEEE10hipError_tT1_T2_PT3_SK_jT4_jjP12ihipStream_tbEUlT_E_NS1_11comp_targetILNS1_3genE6ELNS1_11target_archE950ELNS1_3gpuE13ELNS1_3repE0EEENS1_52radix_sort_onesweep_histogram_config_static_selectorELNS0_4arch9wavefront6targetE1EEEvSI_
	.globl	_ZN7rocprim17ROCPRIM_400000_NS6detail17trampoline_kernelINS0_14default_configENS1_35radix_sort_onesweep_config_selectorIbiEEZNS1_34radix_sort_onesweep_global_offsetsIS3_Lb1EN6thrust23THRUST_200600_302600_NS6detail15normal_iteratorINS8_10device_ptrIbEEEENSA_INSB_IiEEEEjNS0_19identity_decomposerEEE10hipError_tT1_T2_PT3_SK_jT4_jjP12ihipStream_tbEUlT_E_NS1_11comp_targetILNS1_3genE6ELNS1_11target_archE950ELNS1_3gpuE13ELNS1_3repE0EEENS1_52radix_sort_onesweep_histogram_config_static_selectorELNS0_4arch9wavefront6targetE1EEEvSI_
	.p2align	8
	.type	_ZN7rocprim17ROCPRIM_400000_NS6detail17trampoline_kernelINS0_14default_configENS1_35radix_sort_onesweep_config_selectorIbiEEZNS1_34radix_sort_onesweep_global_offsetsIS3_Lb1EN6thrust23THRUST_200600_302600_NS6detail15normal_iteratorINS8_10device_ptrIbEEEENSA_INSB_IiEEEEjNS0_19identity_decomposerEEE10hipError_tT1_T2_PT3_SK_jT4_jjP12ihipStream_tbEUlT_E_NS1_11comp_targetILNS1_3genE6ELNS1_11target_archE950ELNS1_3gpuE13ELNS1_3repE0EEENS1_52radix_sort_onesweep_histogram_config_static_selectorELNS0_4arch9wavefront6targetE1EEEvSI_,@function
_ZN7rocprim17ROCPRIM_400000_NS6detail17trampoline_kernelINS0_14default_configENS1_35radix_sort_onesweep_config_selectorIbiEEZNS1_34radix_sort_onesweep_global_offsetsIS3_Lb1EN6thrust23THRUST_200600_302600_NS6detail15normal_iteratorINS8_10device_ptrIbEEEENSA_INSB_IiEEEEjNS0_19identity_decomposerEEE10hipError_tT1_T2_PT3_SK_jT4_jjP12ihipStream_tbEUlT_E_NS1_11comp_targetILNS1_3genE6ELNS1_11target_archE950ELNS1_3gpuE13ELNS1_3repE0EEENS1_52radix_sort_onesweep_histogram_config_static_selectorELNS0_4arch9wavefront6targetE1EEEvSI_: ; @_ZN7rocprim17ROCPRIM_400000_NS6detail17trampoline_kernelINS0_14default_configENS1_35radix_sort_onesweep_config_selectorIbiEEZNS1_34radix_sort_onesweep_global_offsetsIS3_Lb1EN6thrust23THRUST_200600_302600_NS6detail15normal_iteratorINS8_10device_ptrIbEEEENSA_INSB_IiEEEEjNS0_19identity_decomposerEEE10hipError_tT1_T2_PT3_SK_jT4_jjP12ihipStream_tbEUlT_E_NS1_11comp_targetILNS1_3genE6ELNS1_11target_archE950ELNS1_3gpuE13ELNS1_3repE0EEENS1_52radix_sort_onesweep_histogram_config_static_selectorELNS0_4arch9wavefront6targetE1EEEvSI_
; %bb.0:
	s_load_dword s4, s[0:1], 0x14
	s_load_dwordx4 s[36:39], s[0:1], 0x0
	s_load_dwordx2 s[34:35], s[0:1], 0x1c
	s_lshl_b32 s33, s2, 14
	s_waitcnt lgkmcnt(0)
	s_cmp_ge_u32 s2, s4
	s_mov_b64 s[2:3], -1
	s_cbranch_scc0 .LBB2201_71
; %bb.1:
	s_load_dword s0, s[0:1], 0x10
	s_lshl_b32 s1, s4, 14
	v_mov_b32_e32 v1, 0
	v_mov_b32_e32 v2, 0
	v_mov_b32_e32 v11, 0
	s_waitcnt lgkmcnt(0)
	s_sub_i32 s42, s0, s1
	s_add_u32 s0, s36, s33
	v_cmp_gt_u32_e32 vcc, s42, v0
	s_addc_u32 s1, s37, 0
	v_mov_b32_e32 v12, 0
	v_mov_b32_e32 v13, 0
	;; [unrolled: 1-line block ×12, first 2 shown]
	s_and_saveexec_b64 s[2:3], vcc
	s_cbranch_execz .LBB2201_3
; %bb.2:
	global_load_ubyte v2, v0, s[0:1]
	v_mov_b32_e32 v11, 0
	v_mov_b32_e32 v12, 0
	;; [unrolled: 1-line block ×13, first 2 shown]
.LBB2201_3:
	s_or_b64 exec, exec, s[2:3]
	v_or_b32_e32 v3, 0x400, v0
	v_cmp_gt_u32_e32 vcc, s42, v3
	v_mov_b32_e32 v18, v1
	s_and_saveexec_b64 s[2:3], vcc
	s_cbranch_execz .LBB2201_5
; %bb.4:
	global_load_ubyte v18, v0, s[0:1] offset:1024
.LBB2201_5:
	s_or_b64 exec, exec, s[2:3]
	v_or_b32_e32 v17, 0x800, v0
	v_cmp_gt_u32_e32 vcc, s42, v17
	s_and_saveexec_b64 s[2:3], vcc
	s_cbranch_execz .LBB2201_7
; %bb.6:
	global_load_ubyte v1, v0, s[0:1] offset:2048
.LBB2201_7:
	s_or_b64 exec, exec, s[2:3]
	v_or_b32_e32 v19, 0xc00, v0
	v_cmp_gt_u32_e32 vcc, s42, v19
	;; [unrolled: 8-line block ×3, first 2 shown]
	s_and_saveexec_b64 s[2:3], vcc
	s_cbranch_execz .LBB2201_11
; %bb.10:
	global_load_ubyte v12, v20, s[0:1]
.LBB2201_11:
	s_or_b64 exec, exec, s[2:3]
	v_or_b32_e32 v21, 0x1400, v0
	v_cmp_gt_u32_e32 vcc, s42, v21
	s_and_saveexec_b64 s[2:3], vcc
	s_cbranch_execz .LBB2201_13
; %bb.12:
	global_load_ubyte v13, v21, s[0:1]
.LBB2201_13:
	s_or_b64 exec, exec, s[2:3]
	v_or_b32_e32 v22, 0x1800, v0
	v_cmp_gt_u32_e32 vcc, s42, v22
	;; [unrolled: 8-line block ×11, first 2 shown]
	s_and_saveexec_b64 s[2:3], vcc
	s_cbranch_execz .LBB2201_33
; %bb.32:
	global_load_ubyte v10, v31, s[0:1]
.LBB2201_33:
	s_or_b64 exec, exec, s[2:3]
	s_waitcnt vmcnt(0)
	v_and_b32_e32 v1, 1, v1
	v_cmp_eq_u32_e64 s[24:25], 1, v1
	v_and_b32_e32 v1, 1, v11
	v_cmp_eq_u32_e64 s[22:23], 1, v1
	;; [unrolled: 2-line block ×8, first 2 shown]
	v_and_b32_e32 v1, 1, v5
	s_cmp_le_u32 s35, s34
	v_cmp_eq_u32_e64 s[8:9], 1, v1
	v_and_b32_e32 v1, 1, v6
	s_cselect_b64 s[40:41], -1, 0
	s_cmp_gt_u32 s35, s34
	v_cmp_eq_u32_e64 s[6:7], 1, v1
	v_and_b32_e32 v1, 1, v7
	s_cselect_b64 s[44:45], -1, 0
	s_sub_i32 s30, s35, s34
	v_cmp_eq_u32_e64 s[4:5], 1, v1
	v_and_b32_e32 v1, 1, v8
	s_min_u32 s30, s30, 8
	v_and_b32_e32 v2, 1, v2
	v_cmp_eq_u32_e64 s[2:3], 1, v1
	v_and_b32_e32 v1, 1, v9
	s_lshl_b32 s30, -1, s30
	v_and_b32_e32 v33, 3, v0
	v_cmp_eq_u32_e64 s[28:29], 1, v2
	v_and_b32_e32 v2, 1, v18
	v_cmp_eq_u32_e64 s[0:1], 1, v1
	v_and_b32_e32 v1, 1, v10
	s_not_b32 s43, s30
	v_cmp_gt_u32_e64 s[30:31], s42, v0
	v_lshlrev_b32_e32 v32, 2, v0
	v_mov_b32_e32 v34, 0
	v_cmp_eq_u32_e64 s[26:27], 1, v2
	v_cmp_eq_u32_e32 vcc, 1, v1
	v_lshlrev_b32_e32 v1, 2, v33
	s_and_b64 s[44:45], s[44:45], s[30:31]
	ds_write_b32 v32, v34
	s_waitcnt lgkmcnt(0)
	s_barrier
	s_and_saveexec_b64 s[30:31], s[44:45]
	s_cbranch_execz .LBB2201_35
; %bb.34:
	s_xor_b64 s[28:29], s[28:29], -1
	v_cndmask_b32_e64 v2, 0, 1, s[28:29]
	v_lshrrev_b32_e32 v2, s34, v2
	v_and_b32_e32 v2, s43, v2
	v_lshl_or_b32 v2, v2, 4, v1
	v_mov_b32_e32 v4, 1
	ds_add_u32 v2, v4
.LBB2201_35:
	s_or_b64 exec, exec, s[30:31]
	v_cmp_gt_u32_e64 s[28:29], s42, v3
	s_xor_b64 s[30:31], s[40:41], -1
	s_and_b64 s[40:41], s[30:31], s[28:29]
	s_and_saveexec_b64 s[28:29], s[40:41]
	s_cbranch_execz .LBB2201_37
; %bb.36:
	s_xor_b64 s[26:27], s[26:27], -1
	v_cndmask_b32_e64 v2, 0, 1, s[26:27]
	v_lshrrev_b32_e32 v2, s34, v2
	v_and_b32_e32 v2, s43, v2
	v_lshl_or_b32 v2, v2, 4, v1
	v_mov_b32_e32 v3, 1
	ds_add_u32 v2, v3
.LBB2201_37:
	s_or_b64 exec, exec, s[28:29]
	v_cmp_gt_u32_e64 s[26:27], s42, v17
	s_and_b64 s[28:29], s[30:31], s[26:27]
	s_and_saveexec_b64 s[26:27], s[28:29]
	s_cbranch_execz .LBB2201_39
; %bb.38:
	s_xor_b64 s[24:25], s[24:25], -1
	v_cndmask_b32_e64 v2, 0, 1, s[24:25]
	v_lshrrev_b32_e32 v2, s34, v2
	v_and_b32_e32 v2, s43, v2
	v_lshl_or_b32 v2, v2, 4, v1
	v_mov_b32_e32 v3, 1
	ds_add_u32 v2, v3
.LBB2201_39:
	s_or_b64 exec, exec, s[26:27]
	v_cmp_gt_u32_e64 s[24:25], s42, v19
	;; [unrolled: 14-line block ×14, first 2 shown]
	s_and_b64 s[2:3], s[30:31], s[0:1]
	s_and_saveexec_b64 s[0:1], s[2:3]
	s_cbranch_execz .LBB2201_65
; %bb.64:
	s_xor_b64 s[2:3], vcc, -1
	v_cndmask_b32_e64 v2, 0, 1, s[2:3]
	v_lshrrev_b32_e32 v2, s34, v2
	v_and_b32_e32 v2, s43, v2
	v_lshl_or_b32 v1, v2, 4, v1
	v_mov_b32_e32 v2, 1
	ds_add_u32 v1, v2
.LBB2201_65:
	s_or_b64 exec, exec, s[0:1]
	s_cmp_gt_u32 s35, s34
	s_waitcnt lgkmcnt(0)
	s_barrier
	s_cbranch_scc0 .LBB2201_70
; %bb.66:
	s_movk_i32 s0, 0x100
	v_cmp_gt_u32_e32 vcc, s0, v0
	v_mad_u32_u24 v1, v0, 12, v32
	v_mov_b32_e32 v3, 0
	v_mov_b32_e32 v2, v0
	s_mov_b32 s2, s34
	s_branch .LBB2201_68
.LBB2201_67:                            ;   in Loop: Header=BB2201_68 Depth=1
	s_or_b64 exec, exec, s[0:1]
	s_add_i32 s2, s2, 8
	v_add_u32_e32 v2, 0x100, v2
	s_cmp_lt_u32 s2, s35
	v_add_u32_e32 v1, 0x1000, v1
	s_cbranch_scc0 .LBB2201_70
.LBB2201_68:                            ; =>This Inner Loop Header: Depth=1
	s_and_saveexec_b64 s[0:1], vcc
	s_cbranch_execz .LBB2201_67
; %bb.69:                               ;   in Loop: Header=BB2201_68 Depth=1
	ds_read2_b32 v[4:5], v1 offset1:1
	ds_read2_b32 v[6:7], v1 offset0:2 offset1:3
	s_waitcnt lgkmcnt(1)
	v_add_u32_e32 v4, v5, v4
	s_waitcnt lgkmcnt(0)
	v_add3_u32 v6, v4, v6, v7
	v_lshl_add_u64 v[4:5], v[2:3], 2, s[38:39]
	global_atomic_add v[4:5], v6, off
	s_branch .LBB2201_67
.LBB2201_70:
	s_mov_b64 s[2:3], 0
.LBB2201_71:
	s_and_b64 vcc, exec, s[2:3]
	s_cbranch_vccz .LBB2201_84
; %bb.72:
	s_cmp_lg_u32 s34, 0
	s_cselect_b64 s[0:1], -1, 0
	s_cmp_lg_u32 s35, 8
	s_cselect_b64 s[2:3], -1, 0
	s_or_b64 s[2:3], s[0:1], s[2:3]
	s_add_u32 s0, s36, s33
	s_addc_u32 s1, s37, 0
	v_mov_b32_e32 v1, 0
	v_lshl_add_u64 v[2:3], s[0:1], 0, v[0:1]
	v_add_co_u32_e32 v4, vcc, 0x1000, v2
	s_nop 1
	v_addc_co_u32_e32 v5, vcc, 0, v3, vcc
	v_add_co_u32_e32 v18, vcc, 0x2000, v2
	s_nop 1
	v_addc_co_u32_e32 v19, vcc, 0, v3, vcc
	v_add_co_u32_e32 v2, vcc, 0x3000, v2
	global_load_ubyte v16, v[4:5], off
	global_load_ubyte v15, v[4:5], off offset:1024
	global_load_ubyte v14, v[4:5], off offset:2048
	;; [unrolled: 1-line block ×3, first 2 shown]
	global_load_ubyte v12, v[18:19], off
	global_load_ubyte v11, v[18:19], off offset:1024
	global_load_ubyte v9, v[18:19], off offset:2048
	;; [unrolled: 1-line block ×3, first 2 shown]
	v_addc_co_u32_e32 v3, vcc, 0, v3, vcc
	global_load_ubyte v20, v0, s[0:1]
	global_load_ubyte v19, v0, s[0:1] offset:1024
	global_load_ubyte v18, v0, s[0:1] offset:2048
	;; [unrolled: 1-line block ×3, first 2 shown]
	global_load_ubyte v10, v[2:3], off
	global_load_ubyte v8, v[2:3], off offset:1024
	global_load_ubyte v6, v[2:3], off offset:2048
	;; [unrolled: 1-line block ×3, first 2 shown]
	v_lshlrev_b32_e32 v4, 2, v0
	s_mov_b64 s[0:1], -1
	s_and_b64 vcc, exec, s[2:3]
	ds_write_b32 v4, v1
	s_waitcnt lgkmcnt(0)
	s_cbranch_vccz .LBB2201_81
; %bb.73:
	s_cmp_gt_u32 s35, s34
	s_cselect_b64 s[0:1], -1, 0
	s_cmp_le_u32 s35, s34
	s_barrier
	s_cbranch_scc1 .LBB2201_75
; %bb.74:
	s_sub_i32 s2, s35, s34
	s_min_u32 s2, s2, 8
	s_waitcnt vmcnt(7)
	v_xor_b32_e32 v34, 1, v20
	s_lshl_b32 s2, -1, s2
	v_and_b32_e32 v1, 3, v0
	s_waitcnt vmcnt(6)
	v_xor_b32_e32 v33, 1, v19
	v_lshrrev_b32_sdwa v34, s34, v34 dst_sel:DWORD dst_unused:UNUSED_PAD src0_sel:DWORD src1_sel:BYTE_0
	v_lshlrev_b32_e32 v1, 2, v1
	s_waitcnt vmcnt(5)
	v_xor_b32_e32 v32, 1, v18
	v_bitop3_b32 v34, v34, s2, v34 bitop3:0x30
	v_lshrrev_b32_sdwa v33, s34, v33 dst_sel:DWORD dst_unused:UNUSED_PAD src0_sel:DWORD src1_sel:BYTE_0
	s_waitcnt vmcnt(4)
	v_xor_b32_e32 v31, 1, v17
	v_lshl_or_b32 v34, v34, 4, v1
	v_mov_b32_e32 v35, 1
	v_bitop3_b32 v33, v33, s2, v33 bitop3:0x30
	v_lshrrev_b32_sdwa v32, s34, v32 dst_sel:DWORD dst_unused:UNUSED_PAD src0_sel:DWORD src1_sel:BYTE_0
	v_xor_b32_e32 v30, 1, v16
	ds_add_u32 v34, v35
	v_lshl_or_b32 v33, v33, 4, v1
	v_bitop3_b32 v32, v32, s2, v32 bitop3:0x30
	v_lshrrev_b32_sdwa v31, s34, v31 dst_sel:DWORD dst_unused:UNUSED_PAD src0_sel:DWORD src1_sel:BYTE_0
	v_xor_b32_e32 v29, 1, v15
	ds_add_u32 v33, v35
	v_lshl_or_b32 v32, v32, 4, v1
	;; [unrolled: 5-line block ×8, first 2 shown]
	v_bitop3_b32 v25, v25, s2, v25 bitop3:0x30
	v_lshrrev_b32_sdwa v24, s34, v24 dst_sel:DWORD dst_unused:UNUSED_PAD src0_sel:DWORD src1_sel:BYTE_0
	s_waitcnt vmcnt(3)
	v_xor_b32_e32 v22, 1, v10
	ds_add_u32 v26, v35
	v_lshl_or_b32 v25, v25, 4, v1
	v_bitop3_b32 v24, v24, s2, v24 bitop3:0x30
	v_lshrrev_b32_sdwa v23, s34, v23 dst_sel:DWORD dst_unused:UNUSED_PAD src0_sel:DWORD src1_sel:BYTE_0
	s_waitcnt vmcnt(2)
	v_xor_b32_e32 v21, 1, v8
	ds_add_u32 v25, v35
	v_lshl_or_b32 v24, v24, 4, v1
	;; [unrolled: 6-line block ×4, first 2 shown]
	v_bitop3_b32 v21, v21, s2, v21 bitop3:0x30
	v_lshrrev_b32_sdwa v3, s34, v3 dst_sel:DWORD dst_unused:UNUSED_PAD src0_sel:DWORD src1_sel:BYTE_0
	ds_add_u32 v22, v35
	v_lshl_or_b32 v21, v21, 4, v1
	v_bitop3_b32 v3, v3, s2, v3 bitop3:0x30
	v_lshrrev_b32_sdwa v2, s34, v2 dst_sel:DWORD dst_unused:UNUSED_PAD src0_sel:DWORD src1_sel:BYTE_0
	ds_add_u32 v21, v35
	v_lshl_or_b32 v3, v3, 4, v1
	v_bitop3_b32 v2, v2, s2, v2 bitop3:0x30
	ds_add_u32 v3, v35
	v_lshl_or_b32 v1, v2, 4, v1
	ds_add_u32 v1, v35
.LBB2201_75:
	s_and_b64 vcc, exec, s[0:1]
	s_waitcnt lgkmcnt(0)
	s_barrier
	s_cbranch_vccz .LBB2201_80
; %bb.76:
	s_movk_i32 s0, 0x100
	v_cmp_gt_u32_e32 vcc, s0, v0
	v_lshlrev_b32_e32 v1, 4, v0
	v_mov_b32_e32 v3, 0
	v_mov_b32_e32 v2, v0
	s_branch .LBB2201_78
.LBB2201_77:                            ;   in Loop: Header=BB2201_78 Depth=1
	s_or_b64 exec, exec, s[0:1]
	s_add_i32 s34, s34, 8
	v_add_u32_e32 v2, 0x100, v2
	s_cmp_ge_u32 s34, s35
	v_add_u32_e32 v1, 0x1000, v1
	s_cbranch_scc1 .LBB2201_80
.LBB2201_78:                            ; =>This Inner Loop Header: Depth=1
	s_and_saveexec_b64 s[0:1], vcc
	s_cbranch_execz .LBB2201_77
; %bb.79:                               ;   in Loop: Header=BB2201_78 Depth=1
	ds_read2_b32 v[22:23], v1 offset1:1
	ds_read2_b32 v[24:25], v1 offset0:2 offset1:3
	s_waitcnt lgkmcnt(1)
	v_add_u32_e32 v21, v23, v22
	s_waitcnt lgkmcnt(0)
	v_add3_u32 v21, v21, v24, v25
	v_lshl_add_u64 v[22:23], v[2:3], 2, s[38:39]
	global_atomic_add v[22:23], v21, off
	s_branch .LBB2201_77
.LBB2201_80:
	s_mov_b64 s[0:1], 0
.LBB2201_81:
	s_and_b64 vcc, exec, s[0:1]
	s_cbranch_vccz .LBB2201_84
; %bb.82:
	s_waitcnt vmcnt(7)
	v_lshlrev_b16_e32 v2, 2, v20
	v_and_b32_e32 v1, 3, v0
	v_xor_b32_e32 v2, 4, v2
	v_lshlrev_b32_e32 v1, 2, v1
	v_and_b32_e32 v2, 0xfc, v2
	v_lshl_or_b32 v2, v2, 2, v1
	v_mov_b32_e32 v3, 1
	s_barrier
	ds_add_u32 v2, v3
	s_waitcnt vmcnt(6)
	v_lshlrev_b16_e32 v2, 2, v19
	v_xor_b32_e32 v2, 4, v2
	v_and_b32_e32 v2, 0xfc, v2
	v_lshl_or_b32 v2, v2, 2, v1
	ds_add_u32 v2, v3
	s_waitcnt vmcnt(5)
	v_lshlrev_b16_e32 v2, 2, v18
	v_xor_b32_e32 v2, 4, v2
	v_and_b32_e32 v2, 0xfc, v2
	v_lshl_or_b32 v2, v2, 2, v1
	;; [unrolled: 6-line block ×3, first 2 shown]
	ds_add_u32 v2, v3
	v_lshlrev_b16_e32 v2, 2, v16
	v_xor_b32_e32 v2, 4, v2
	v_and_b32_e32 v2, 0xfc, v2
	v_lshl_or_b32 v2, v2, 2, v1
	ds_add_u32 v2, v3
	v_lshlrev_b16_e32 v2, 2, v15
	v_xor_b32_e32 v2, 4, v2
	v_and_b32_e32 v2, 0xfc, v2
	v_lshl_or_b32 v2, v2, 2, v1
	;; [unrolled: 5-line block ×8, first 2 shown]
	ds_add_u32 v2, v3
	s_waitcnt vmcnt(3)
	v_lshlrev_b16_e32 v2, 2, v10
	v_xor_b32_e32 v2, 4, v2
	v_and_b32_e32 v2, 0xfc, v2
	v_lshl_or_b32 v2, v2, 2, v1
	ds_add_u32 v2, v3
	s_waitcnt vmcnt(2)
	v_lshlrev_b16_e32 v2, 2, v8
	v_xor_b32_e32 v2, 4, v2
	v_and_b32_e32 v2, 0xfc, v2
	v_lshl_or_b32 v2, v2, 2, v1
	;; [unrolled: 6-line block ×4, first 2 shown]
	ds_add_u32 v1, v3
	s_movk_i32 s0, 0x100
	v_cmp_gt_u32_e32 vcc, s0, v0
	s_waitcnt lgkmcnt(0)
	s_barrier
	s_and_saveexec_b64 s[0:1], vcc
	s_cbranch_execz .LBB2201_84
; %bb.83:
	v_mad_u32_u24 v1, v0, 12, v4
	ds_read2_b32 v[2:3], v1 offset1:1
	ds_read2_b32 v[4:5], v1 offset0:2 offset1:3
	v_lshlrev_b32_e32 v0, 2, v0
	s_waitcnt lgkmcnt(1)
	v_add_u32_e32 v1, v3, v2
	s_waitcnt lgkmcnt(0)
	v_add3_u32 v1, v1, v4, v5
	global_atomic_add v0, v1, s[38:39]
.LBB2201_84:
	s_endpgm
	.section	.rodata,"a",@progbits
	.p2align	6, 0x0
	.amdhsa_kernel _ZN7rocprim17ROCPRIM_400000_NS6detail17trampoline_kernelINS0_14default_configENS1_35radix_sort_onesweep_config_selectorIbiEEZNS1_34radix_sort_onesweep_global_offsetsIS3_Lb1EN6thrust23THRUST_200600_302600_NS6detail15normal_iteratorINS8_10device_ptrIbEEEENSA_INSB_IiEEEEjNS0_19identity_decomposerEEE10hipError_tT1_T2_PT3_SK_jT4_jjP12ihipStream_tbEUlT_E_NS1_11comp_targetILNS1_3genE6ELNS1_11target_archE950ELNS1_3gpuE13ELNS1_3repE0EEENS1_52radix_sort_onesweep_histogram_config_static_selectorELNS0_4arch9wavefront6targetE1EEEvSI_
		.amdhsa_group_segment_fixed_size 4096
		.amdhsa_private_segment_fixed_size 0
		.amdhsa_kernarg_size 40
		.amdhsa_user_sgpr_count 2
		.amdhsa_user_sgpr_dispatch_ptr 0
		.amdhsa_user_sgpr_queue_ptr 0
		.amdhsa_user_sgpr_kernarg_segment_ptr 1
		.amdhsa_user_sgpr_dispatch_id 0
		.amdhsa_user_sgpr_kernarg_preload_length 0
		.amdhsa_user_sgpr_kernarg_preload_offset 0
		.amdhsa_user_sgpr_private_segment_size 0
		.amdhsa_uses_dynamic_stack 0
		.amdhsa_enable_private_segment 0
		.amdhsa_system_sgpr_workgroup_id_x 1
		.amdhsa_system_sgpr_workgroup_id_y 0
		.amdhsa_system_sgpr_workgroup_id_z 0
		.amdhsa_system_sgpr_workgroup_info 0
		.amdhsa_system_vgpr_workitem_id 0
		.amdhsa_next_free_vgpr 36
		.amdhsa_next_free_sgpr 46
		.amdhsa_accum_offset 36
		.amdhsa_reserve_vcc 1
		.amdhsa_float_round_mode_32 0
		.amdhsa_float_round_mode_16_64 0
		.amdhsa_float_denorm_mode_32 3
		.amdhsa_float_denorm_mode_16_64 3
		.amdhsa_dx10_clamp 1
		.amdhsa_ieee_mode 1
		.amdhsa_fp16_overflow 0
		.amdhsa_tg_split 0
		.amdhsa_exception_fp_ieee_invalid_op 0
		.amdhsa_exception_fp_denorm_src 0
		.amdhsa_exception_fp_ieee_div_zero 0
		.amdhsa_exception_fp_ieee_overflow 0
		.amdhsa_exception_fp_ieee_underflow 0
		.amdhsa_exception_fp_ieee_inexact 0
		.amdhsa_exception_int_div_zero 0
	.end_amdhsa_kernel
	.section	.text._ZN7rocprim17ROCPRIM_400000_NS6detail17trampoline_kernelINS0_14default_configENS1_35radix_sort_onesweep_config_selectorIbiEEZNS1_34radix_sort_onesweep_global_offsetsIS3_Lb1EN6thrust23THRUST_200600_302600_NS6detail15normal_iteratorINS8_10device_ptrIbEEEENSA_INSB_IiEEEEjNS0_19identity_decomposerEEE10hipError_tT1_T2_PT3_SK_jT4_jjP12ihipStream_tbEUlT_E_NS1_11comp_targetILNS1_3genE6ELNS1_11target_archE950ELNS1_3gpuE13ELNS1_3repE0EEENS1_52radix_sort_onesweep_histogram_config_static_selectorELNS0_4arch9wavefront6targetE1EEEvSI_,"axG",@progbits,_ZN7rocprim17ROCPRIM_400000_NS6detail17trampoline_kernelINS0_14default_configENS1_35radix_sort_onesweep_config_selectorIbiEEZNS1_34radix_sort_onesweep_global_offsetsIS3_Lb1EN6thrust23THRUST_200600_302600_NS6detail15normal_iteratorINS8_10device_ptrIbEEEENSA_INSB_IiEEEEjNS0_19identity_decomposerEEE10hipError_tT1_T2_PT3_SK_jT4_jjP12ihipStream_tbEUlT_E_NS1_11comp_targetILNS1_3genE6ELNS1_11target_archE950ELNS1_3gpuE13ELNS1_3repE0EEENS1_52radix_sort_onesweep_histogram_config_static_selectorELNS0_4arch9wavefront6targetE1EEEvSI_,comdat
.Lfunc_end2201:
	.size	_ZN7rocprim17ROCPRIM_400000_NS6detail17trampoline_kernelINS0_14default_configENS1_35radix_sort_onesweep_config_selectorIbiEEZNS1_34radix_sort_onesweep_global_offsetsIS3_Lb1EN6thrust23THRUST_200600_302600_NS6detail15normal_iteratorINS8_10device_ptrIbEEEENSA_INSB_IiEEEEjNS0_19identity_decomposerEEE10hipError_tT1_T2_PT3_SK_jT4_jjP12ihipStream_tbEUlT_E_NS1_11comp_targetILNS1_3genE6ELNS1_11target_archE950ELNS1_3gpuE13ELNS1_3repE0EEENS1_52radix_sort_onesweep_histogram_config_static_selectorELNS0_4arch9wavefront6targetE1EEEvSI_, .Lfunc_end2201-_ZN7rocprim17ROCPRIM_400000_NS6detail17trampoline_kernelINS0_14default_configENS1_35radix_sort_onesweep_config_selectorIbiEEZNS1_34radix_sort_onesweep_global_offsetsIS3_Lb1EN6thrust23THRUST_200600_302600_NS6detail15normal_iteratorINS8_10device_ptrIbEEEENSA_INSB_IiEEEEjNS0_19identity_decomposerEEE10hipError_tT1_T2_PT3_SK_jT4_jjP12ihipStream_tbEUlT_E_NS1_11comp_targetILNS1_3genE6ELNS1_11target_archE950ELNS1_3gpuE13ELNS1_3repE0EEENS1_52radix_sort_onesweep_histogram_config_static_selectorELNS0_4arch9wavefront6targetE1EEEvSI_
                                        ; -- End function
	.set _ZN7rocprim17ROCPRIM_400000_NS6detail17trampoline_kernelINS0_14default_configENS1_35radix_sort_onesweep_config_selectorIbiEEZNS1_34radix_sort_onesweep_global_offsetsIS3_Lb1EN6thrust23THRUST_200600_302600_NS6detail15normal_iteratorINS8_10device_ptrIbEEEENSA_INSB_IiEEEEjNS0_19identity_decomposerEEE10hipError_tT1_T2_PT3_SK_jT4_jjP12ihipStream_tbEUlT_E_NS1_11comp_targetILNS1_3genE6ELNS1_11target_archE950ELNS1_3gpuE13ELNS1_3repE0EEENS1_52radix_sort_onesweep_histogram_config_static_selectorELNS0_4arch9wavefront6targetE1EEEvSI_.num_vgpr, 36
	.set _ZN7rocprim17ROCPRIM_400000_NS6detail17trampoline_kernelINS0_14default_configENS1_35radix_sort_onesweep_config_selectorIbiEEZNS1_34radix_sort_onesweep_global_offsetsIS3_Lb1EN6thrust23THRUST_200600_302600_NS6detail15normal_iteratorINS8_10device_ptrIbEEEENSA_INSB_IiEEEEjNS0_19identity_decomposerEEE10hipError_tT1_T2_PT3_SK_jT4_jjP12ihipStream_tbEUlT_E_NS1_11comp_targetILNS1_3genE6ELNS1_11target_archE950ELNS1_3gpuE13ELNS1_3repE0EEENS1_52radix_sort_onesweep_histogram_config_static_selectorELNS0_4arch9wavefront6targetE1EEEvSI_.num_agpr, 0
	.set _ZN7rocprim17ROCPRIM_400000_NS6detail17trampoline_kernelINS0_14default_configENS1_35radix_sort_onesweep_config_selectorIbiEEZNS1_34radix_sort_onesweep_global_offsetsIS3_Lb1EN6thrust23THRUST_200600_302600_NS6detail15normal_iteratorINS8_10device_ptrIbEEEENSA_INSB_IiEEEEjNS0_19identity_decomposerEEE10hipError_tT1_T2_PT3_SK_jT4_jjP12ihipStream_tbEUlT_E_NS1_11comp_targetILNS1_3genE6ELNS1_11target_archE950ELNS1_3gpuE13ELNS1_3repE0EEENS1_52radix_sort_onesweep_histogram_config_static_selectorELNS0_4arch9wavefront6targetE1EEEvSI_.numbered_sgpr, 46
	.set _ZN7rocprim17ROCPRIM_400000_NS6detail17trampoline_kernelINS0_14default_configENS1_35radix_sort_onesweep_config_selectorIbiEEZNS1_34radix_sort_onesweep_global_offsetsIS3_Lb1EN6thrust23THRUST_200600_302600_NS6detail15normal_iteratorINS8_10device_ptrIbEEEENSA_INSB_IiEEEEjNS0_19identity_decomposerEEE10hipError_tT1_T2_PT3_SK_jT4_jjP12ihipStream_tbEUlT_E_NS1_11comp_targetILNS1_3genE6ELNS1_11target_archE950ELNS1_3gpuE13ELNS1_3repE0EEENS1_52radix_sort_onesweep_histogram_config_static_selectorELNS0_4arch9wavefront6targetE1EEEvSI_.num_named_barrier, 0
	.set _ZN7rocprim17ROCPRIM_400000_NS6detail17trampoline_kernelINS0_14default_configENS1_35radix_sort_onesweep_config_selectorIbiEEZNS1_34radix_sort_onesweep_global_offsetsIS3_Lb1EN6thrust23THRUST_200600_302600_NS6detail15normal_iteratorINS8_10device_ptrIbEEEENSA_INSB_IiEEEEjNS0_19identity_decomposerEEE10hipError_tT1_T2_PT3_SK_jT4_jjP12ihipStream_tbEUlT_E_NS1_11comp_targetILNS1_3genE6ELNS1_11target_archE950ELNS1_3gpuE13ELNS1_3repE0EEENS1_52radix_sort_onesweep_histogram_config_static_selectorELNS0_4arch9wavefront6targetE1EEEvSI_.private_seg_size, 0
	.set _ZN7rocprim17ROCPRIM_400000_NS6detail17trampoline_kernelINS0_14default_configENS1_35radix_sort_onesweep_config_selectorIbiEEZNS1_34radix_sort_onesweep_global_offsetsIS3_Lb1EN6thrust23THRUST_200600_302600_NS6detail15normal_iteratorINS8_10device_ptrIbEEEENSA_INSB_IiEEEEjNS0_19identity_decomposerEEE10hipError_tT1_T2_PT3_SK_jT4_jjP12ihipStream_tbEUlT_E_NS1_11comp_targetILNS1_3genE6ELNS1_11target_archE950ELNS1_3gpuE13ELNS1_3repE0EEENS1_52radix_sort_onesweep_histogram_config_static_selectorELNS0_4arch9wavefront6targetE1EEEvSI_.uses_vcc, 1
	.set _ZN7rocprim17ROCPRIM_400000_NS6detail17trampoline_kernelINS0_14default_configENS1_35radix_sort_onesweep_config_selectorIbiEEZNS1_34radix_sort_onesweep_global_offsetsIS3_Lb1EN6thrust23THRUST_200600_302600_NS6detail15normal_iteratorINS8_10device_ptrIbEEEENSA_INSB_IiEEEEjNS0_19identity_decomposerEEE10hipError_tT1_T2_PT3_SK_jT4_jjP12ihipStream_tbEUlT_E_NS1_11comp_targetILNS1_3genE6ELNS1_11target_archE950ELNS1_3gpuE13ELNS1_3repE0EEENS1_52radix_sort_onesweep_histogram_config_static_selectorELNS0_4arch9wavefront6targetE1EEEvSI_.uses_flat_scratch, 0
	.set _ZN7rocprim17ROCPRIM_400000_NS6detail17trampoline_kernelINS0_14default_configENS1_35radix_sort_onesweep_config_selectorIbiEEZNS1_34radix_sort_onesweep_global_offsetsIS3_Lb1EN6thrust23THRUST_200600_302600_NS6detail15normal_iteratorINS8_10device_ptrIbEEEENSA_INSB_IiEEEEjNS0_19identity_decomposerEEE10hipError_tT1_T2_PT3_SK_jT4_jjP12ihipStream_tbEUlT_E_NS1_11comp_targetILNS1_3genE6ELNS1_11target_archE950ELNS1_3gpuE13ELNS1_3repE0EEENS1_52radix_sort_onesweep_histogram_config_static_selectorELNS0_4arch9wavefront6targetE1EEEvSI_.has_dyn_sized_stack, 0
	.set _ZN7rocprim17ROCPRIM_400000_NS6detail17trampoline_kernelINS0_14default_configENS1_35radix_sort_onesweep_config_selectorIbiEEZNS1_34radix_sort_onesweep_global_offsetsIS3_Lb1EN6thrust23THRUST_200600_302600_NS6detail15normal_iteratorINS8_10device_ptrIbEEEENSA_INSB_IiEEEEjNS0_19identity_decomposerEEE10hipError_tT1_T2_PT3_SK_jT4_jjP12ihipStream_tbEUlT_E_NS1_11comp_targetILNS1_3genE6ELNS1_11target_archE950ELNS1_3gpuE13ELNS1_3repE0EEENS1_52radix_sort_onesweep_histogram_config_static_selectorELNS0_4arch9wavefront6targetE1EEEvSI_.has_recursion, 0
	.set _ZN7rocprim17ROCPRIM_400000_NS6detail17trampoline_kernelINS0_14default_configENS1_35radix_sort_onesweep_config_selectorIbiEEZNS1_34radix_sort_onesweep_global_offsetsIS3_Lb1EN6thrust23THRUST_200600_302600_NS6detail15normal_iteratorINS8_10device_ptrIbEEEENSA_INSB_IiEEEEjNS0_19identity_decomposerEEE10hipError_tT1_T2_PT3_SK_jT4_jjP12ihipStream_tbEUlT_E_NS1_11comp_targetILNS1_3genE6ELNS1_11target_archE950ELNS1_3gpuE13ELNS1_3repE0EEENS1_52radix_sort_onesweep_histogram_config_static_selectorELNS0_4arch9wavefront6targetE1EEEvSI_.has_indirect_call, 0
	.section	.AMDGPU.csdata,"",@progbits
; Kernel info:
; codeLenInByte = 3816
; TotalNumSgprs: 52
; NumVgprs: 36
; NumAgprs: 0
; TotalNumVgprs: 36
; ScratchSize: 0
; MemoryBound: 0
; FloatMode: 240
; IeeeMode: 1
; LDSByteSize: 4096 bytes/workgroup (compile time only)
; SGPRBlocks: 6
; VGPRBlocks: 4
; NumSGPRsForWavesPerEU: 52
; NumVGPRsForWavesPerEU: 36
; AccumOffset: 36
; Occupancy: 8
; WaveLimiterHint : 1
; COMPUTE_PGM_RSRC2:SCRATCH_EN: 0
; COMPUTE_PGM_RSRC2:USER_SGPR: 2
; COMPUTE_PGM_RSRC2:TRAP_HANDLER: 0
; COMPUTE_PGM_RSRC2:TGID_X_EN: 1
; COMPUTE_PGM_RSRC2:TGID_Y_EN: 0
; COMPUTE_PGM_RSRC2:TGID_Z_EN: 0
; COMPUTE_PGM_RSRC2:TIDIG_COMP_CNT: 0
; COMPUTE_PGM_RSRC3_GFX90A:ACCUM_OFFSET: 8
; COMPUTE_PGM_RSRC3_GFX90A:TG_SPLIT: 0
	.section	.text._ZN7rocprim17ROCPRIM_400000_NS6detail17trampoline_kernelINS0_14default_configENS1_35radix_sort_onesweep_config_selectorIbiEEZNS1_34radix_sort_onesweep_global_offsetsIS3_Lb1EN6thrust23THRUST_200600_302600_NS6detail15normal_iteratorINS8_10device_ptrIbEEEENSA_INSB_IiEEEEjNS0_19identity_decomposerEEE10hipError_tT1_T2_PT3_SK_jT4_jjP12ihipStream_tbEUlT_E_NS1_11comp_targetILNS1_3genE5ELNS1_11target_archE942ELNS1_3gpuE9ELNS1_3repE0EEENS1_52radix_sort_onesweep_histogram_config_static_selectorELNS0_4arch9wavefront6targetE1EEEvSI_,"axG",@progbits,_ZN7rocprim17ROCPRIM_400000_NS6detail17trampoline_kernelINS0_14default_configENS1_35radix_sort_onesweep_config_selectorIbiEEZNS1_34radix_sort_onesweep_global_offsetsIS3_Lb1EN6thrust23THRUST_200600_302600_NS6detail15normal_iteratorINS8_10device_ptrIbEEEENSA_INSB_IiEEEEjNS0_19identity_decomposerEEE10hipError_tT1_T2_PT3_SK_jT4_jjP12ihipStream_tbEUlT_E_NS1_11comp_targetILNS1_3genE5ELNS1_11target_archE942ELNS1_3gpuE9ELNS1_3repE0EEENS1_52radix_sort_onesweep_histogram_config_static_selectorELNS0_4arch9wavefront6targetE1EEEvSI_,comdat
	.protected	_ZN7rocprim17ROCPRIM_400000_NS6detail17trampoline_kernelINS0_14default_configENS1_35radix_sort_onesweep_config_selectorIbiEEZNS1_34radix_sort_onesweep_global_offsetsIS3_Lb1EN6thrust23THRUST_200600_302600_NS6detail15normal_iteratorINS8_10device_ptrIbEEEENSA_INSB_IiEEEEjNS0_19identity_decomposerEEE10hipError_tT1_T2_PT3_SK_jT4_jjP12ihipStream_tbEUlT_E_NS1_11comp_targetILNS1_3genE5ELNS1_11target_archE942ELNS1_3gpuE9ELNS1_3repE0EEENS1_52radix_sort_onesweep_histogram_config_static_selectorELNS0_4arch9wavefront6targetE1EEEvSI_ ; -- Begin function _ZN7rocprim17ROCPRIM_400000_NS6detail17trampoline_kernelINS0_14default_configENS1_35radix_sort_onesweep_config_selectorIbiEEZNS1_34radix_sort_onesweep_global_offsetsIS3_Lb1EN6thrust23THRUST_200600_302600_NS6detail15normal_iteratorINS8_10device_ptrIbEEEENSA_INSB_IiEEEEjNS0_19identity_decomposerEEE10hipError_tT1_T2_PT3_SK_jT4_jjP12ihipStream_tbEUlT_E_NS1_11comp_targetILNS1_3genE5ELNS1_11target_archE942ELNS1_3gpuE9ELNS1_3repE0EEENS1_52radix_sort_onesweep_histogram_config_static_selectorELNS0_4arch9wavefront6targetE1EEEvSI_
	.globl	_ZN7rocprim17ROCPRIM_400000_NS6detail17trampoline_kernelINS0_14default_configENS1_35radix_sort_onesweep_config_selectorIbiEEZNS1_34radix_sort_onesweep_global_offsetsIS3_Lb1EN6thrust23THRUST_200600_302600_NS6detail15normal_iteratorINS8_10device_ptrIbEEEENSA_INSB_IiEEEEjNS0_19identity_decomposerEEE10hipError_tT1_T2_PT3_SK_jT4_jjP12ihipStream_tbEUlT_E_NS1_11comp_targetILNS1_3genE5ELNS1_11target_archE942ELNS1_3gpuE9ELNS1_3repE0EEENS1_52radix_sort_onesweep_histogram_config_static_selectorELNS0_4arch9wavefront6targetE1EEEvSI_
	.p2align	8
	.type	_ZN7rocprim17ROCPRIM_400000_NS6detail17trampoline_kernelINS0_14default_configENS1_35radix_sort_onesweep_config_selectorIbiEEZNS1_34radix_sort_onesweep_global_offsetsIS3_Lb1EN6thrust23THRUST_200600_302600_NS6detail15normal_iteratorINS8_10device_ptrIbEEEENSA_INSB_IiEEEEjNS0_19identity_decomposerEEE10hipError_tT1_T2_PT3_SK_jT4_jjP12ihipStream_tbEUlT_E_NS1_11comp_targetILNS1_3genE5ELNS1_11target_archE942ELNS1_3gpuE9ELNS1_3repE0EEENS1_52radix_sort_onesweep_histogram_config_static_selectorELNS0_4arch9wavefront6targetE1EEEvSI_,@function
_ZN7rocprim17ROCPRIM_400000_NS6detail17trampoline_kernelINS0_14default_configENS1_35radix_sort_onesweep_config_selectorIbiEEZNS1_34radix_sort_onesweep_global_offsetsIS3_Lb1EN6thrust23THRUST_200600_302600_NS6detail15normal_iteratorINS8_10device_ptrIbEEEENSA_INSB_IiEEEEjNS0_19identity_decomposerEEE10hipError_tT1_T2_PT3_SK_jT4_jjP12ihipStream_tbEUlT_E_NS1_11comp_targetILNS1_3genE5ELNS1_11target_archE942ELNS1_3gpuE9ELNS1_3repE0EEENS1_52radix_sort_onesweep_histogram_config_static_selectorELNS0_4arch9wavefront6targetE1EEEvSI_: ; @_ZN7rocprim17ROCPRIM_400000_NS6detail17trampoline_kernelINS0_14default_configENS1_35radix_sort_onesweep_config_selectorIbiEEZNS1_34radix_sort_onesweep_global_offsetsIS3_Lb1EN6thrust23THRUST_200600_302600_NS6detail15normal_iteratorINS8_10device_ptrIbEEEENSA_INSB_IiEEEEjNS0_19identity_decomposerEEE10hipError_tT1_T2_PT3_SK_jT4_jjP12ihipStream_tbEUlT_E_NS1_11comp_targetILNS1_3genE5ELNS1_11target_archE942ELNS1_3gpuE9ELNS1_3repE0EEENS1_52radix_sort_onesweep_histogram_config_static_selectorELNS0_4arch9wavefront6targetE1EEEvSI_
; %bb.0:
	.section	.rodata,"a",@progbits
	.p2align	6, 0x0
	.amdhsa_kernel _ZN7rocprim17ROCPRIM_400000_NS6detail17trampoline_kernelINS0_14default_configENS1_35radix_sort_onesweep_config_selectorIbiEEZNS1_34radix_sort_onesweep_global_offsetsIS3_Lb1EN6thrust23THRUST_200600_302600_NS6detail15normal_iteratorINS8_10device_ptrIbEEEENSA_INSB_IiEEEEjNS0_19identity_decomposerEEE10hipError_tT1_T2_PT3_SK_jT4_jjP12ihipStream_tbEUlT_E_NS1_11comp_targetILNS1_3genE5ELNS1_11target_archE942ELNS1_3gpuE9ELNS1_3repE0EEENS1_52radix_sort_onesweep_histogram_config_static_selectorELNS0_4arch9wavefront6targetE1EEEvSI_
		.amdhsa_group_segment_fixed_size 0
		.amdhsa_private_segment_fixed_size 0
		.amdhsa_kernarg_size 40
		.amdhsa_user_sgpr_count 2
		.amdhsa_user_sgpr_dispatch_ptr 0
		.amdhsa_user_sgpr_queue_ptr 0
		.amdhsa_user_sgpr_kernarg_segment_ptr 1
		.amdhsa_user_sgpr_dispatch_id 0
		.amdhsa_user_sgpr_kernarg_preload_length 0
		.amdhsa_user_sgpr_kernarg_preload_offset 0
		.amdhsa_user_sgpr_private_segment_size 0
		.amdhsa_uses_dynamic_stack 0
		.amdhsa_enable_private_segment 0
		.amdhsa_system_sgpr_workgroup_id_x 1
		.amdhsa_system_sgpr_workgroup_id_y 0
		.amdhsa_system_sgpr_workgroup_id_z 0
		.amdhsa_system_sgpr_workgroup_info 0
		.amdhsa_system_vgpr_workitem_id 0
		.amdhsa_next_free_vgpr 1
		.amdhsa_next_free_sgpr 0
		.amdhsa_accum_offset 4
		.amdhsa_reserve_vcc 0
		.amdhsa_float_round_mode_32 0
		.amdhsa_float_round_mode_16_64 0
		.amdhsa_float_denorm_mode_32 3
		.amdhsa_float_denorm_mode_16_64 3
		.amdhsa_dx10_clamp 1
		.amdhsa_ieee_mode 1
		.amdhsa_fp16_overflow 0
		.amdhsa_tg_split 0
		.amdhsa_exception_fp_ieee_invalid_op 0
		.amdhsa_exception_fp_denorm_src 0
		.amdhsa_exception_fp_ieee_div_zero 0
		.amdhsa_exception_fp_ieee_overflow 0
		.amdhsa_exception_fp_ieee_underflow 0
		.amdhsa_exception_fp_ieee_inexact 0
		.amdhsa_exception_int_div_zero 0
	.end_amdhsa_kernel
	.section	.text._ZN7rocprim17ROCPRIM_400000_NS6detail17trampoline_kernelINS0_14default_configENS1_35radix_sort_onesweep_config_selectorIbiEEZNS1_34radix_sort_onesweep_global_offsetsIS3_Lb1EN6thrust23THRUST_200600_302600_NS6detail15normal_iteratorINS8_10device_ptrIbEEEENSA_INSB_IiEEEEjNS0_19identity_decomposerEEE10hipError_tT1_T2_PT3_SK_jT4_jjP12ihipStream_tbEUlT_E_NS1_11comp_targetILNS1_3genE5ELNS1_11target_archE942ELNS1_3gpuE9ELNS1_3repE0EEENS1_52radix_sort_onesweep_histogram_config_static_selectorELNS0_4arch9wavefront6targetE1EEEvSI_,"axG",@progbits,_ZN7rocprim17ROCPRIM_400000_NS6detail17trampoline_kernelINS0_14default_configENS1_35radix_sort_onesweep_config_selectorIbiEEZNS1_34radix_sort_onesweep_global_offsetsIS3_Lb1EN6thrust23THRUST_200600_302600_NS6detail15normal_iteratorINS8_10device_ptrIbEEEENSA_INSB_IiEEEEjNS0_19identity_decomposerEEE10hipError_tT1_T2_PT3_SK_jT4_jjP12ihipStream_tbEUlT_E_NS1_11comp_targetILNS1_3genE5ELNS1_11target_archE942ELNS1_3gpuE9ELNS1_3repE0EEENS1_52radix_sort_onesweep_histogram_config_static_selectorELNS0_4arch9wavefront6targetE1EEEvSI_,comdat
.Lfunc_end2202:
	.size	_ZN7rocprim17ROCPRIM_400000_NS6detail17trampoline_kernelINS0_14default_configENS1_35radix_sort_onesweep_config_selectorIbiEEZNS1_34radix_sort_onesweep_global_offsetsIS3_Lb1EN6thrust23THRUST_200600_302600_NS6detail15normal_iteratorINS8_10device_ptrIbEEEENSA_INSB_IiEEEEjNS0_19identity_decomposerEEE10hipError_tT1_T2_PT3_SK_jT4_jjP12ihipStream_tbEUlT_E_NS1_11comp_targetILNS1_3genE5ELNS1_11target_archE942ELNS1_3gpuE9ELNS1_3repE0EEENS1_52radix_sort_onesweep_histogram_config_static_selectorELNS0_4arch9wavefront6targetE1EEEvSI_, .Lfunc_end2202-_ZN7rocprim17ROCPRIM_400000_NS6detail17trampoline_kernelINS0_14default_configENS1_35radix_sort_onesweep_config_selectorIbiEEZNS1_34radix_sort_onesweep_global_offsetsIS3_Lb1EN6thrust23THRUST_200600_302600_NS6detail15normal_iteratorINS8_10device_ptrIbEEEENSA_INSB_IiEEEEjNS0_19identity_decomposerEEE10hipError_tT1_T2_PT3_SK_jT4_jjP12ihipStream_tbEUlT_E_NS1_11comp_targetILNS1_3genE5ELNS1_11target_archE942ELNS1_3gpuE9ELNS1_3repE0EEENS1_52radix_sort_onesweep_histogram_config_static_selectorELNS0_4arch9wavefront6targetE1EEEvSI_
                                        ; -- End function
	.set _ZN7rocprim17ROCPRIM_400000_NS6detail17trampoline_kernelINS0_14default_configENS1_35radix_sort_onesweep_config_selectorIbiEEZNS1_34radix_sort_onesweep_global_offsetsIS3_Lb1EN6thrust23THRUST_200600_302600_NS6detail15normal_iteratorINS8_10device_ptrIbEEEENSA_INSB_IiEEEEjNS0_19identity_decomposerEEE10hipError_tT1_T2_PT3_SK_jT4_jjP12ihipStream_tbEUlT_E_NS1_11comp_targetILNS1_3genE5ELNS1_11target_archE942ELNS1_3gpuE9ELNS1_3repE0EEENS1_52radix_sort_onesweep_histogram_config_static_selectorELNS0_4arch9wavefront6targetE1EEEvSI_.num_vgpr, 0
	.set _ZN7rocprim17ROCPRIM_400000_NS6detail17trampoline_kernelINS0_14default_configENS1_35radix_sort_onesweep_config_selectorIbiEEZNS1_34radix_sort_onesweep_global_offsetsIS3_Lb1EN6thrust23THRUST_200600_302600_NS6detail15normal_iteratorINS8_10device_ptrIbEEEENSA_INSB_IiEEEEjNS0_19identity_decomposerEEE10hipError_tT1_T2_PT3_SK_jT4_jjP12ihipStream_tbEUlT_E_NS1_11comp_targetILNS1_3genE5ELNS1_11target_archE942ELNS1_3gpuE9ELNS1_3repE0EEENS1_52radix_sort_onesweep_histogram_config_static_selectorELNS0_4arch9wavefront6targetE1EEEvSI_.num_agpr, 0
	.set _ZN7rocprim17ROCPRIM_400000_NS6detail17trampoline_kernelINS0_14default_configENS1_35radix_sort_onesweep_config_selectorIbiEEZNS1_34radix_sort_onesweep_global_offsetsIS3_Lb1EN6thrust23THRUST_200600_302600_NS6detail15normal_iteratorINS8_10device_ptrIbEEEENSA_INSB_IiEEEEjNS0_19identity_decomposerEEE10hipError_tT1_T2_PT3_SK_jT4_jjP12ihipStream_tbEUlT_E_NS1_11comp_targetILNS1_3genE5ELNS1_11target_archE942ELNS1_3gpuE9ELNS1_3repE0EEENS1_52radix_sort_onesweep_histogram_config_static_selectorELNS0_4arch9wavefront6targetE1EEEvSI_.numbered_sgpr, 0
	.set _ZN7rocprim17ROCPRIM_400000_NS6detail17trampoline_kernelINS0_14default_configENS1_35radix_sort_onesweep_config_selectorIbiEEZNS1_34radix_sort_onesweep_global_offsetsIS3_Lb1EN6thrust23THRUST_200600_302600_NS6detail15normal_iteratorINS8_10device_ptrIbEEEENSA_INSB_IiEEEEjNS0_19identity_decomposerEEE10hipError_tT1_T2_PT3_SK_jT4_jjP12ihipStream_tbEUlT_E_NS1_11comp_targetILNS1_3genE5ELNS1_11target_archE942ELNS1_3gpuE9ELNS1_3repE0EEENS1_52radix_sort_onesweep_histogram_config_static_selectorELNS0_4arch9wavefront6targetE1EEEvSI_.num_named_barrier, 0
	.set _ZN7rocprim17ROCPRIM_400000_NS6detail17trampoline_kernelINS0_14default_configENS1_35radix_sort_onesweep_config_selectorIbiEEZNS1_34radix_sort_onesweep_global_offsetsIS3_Lb1EN6thrust23THRUST_200600_302600_NS6detail15normal_iteratorINS8_10device_ptrIbEEEENSA_INSB_IiEEEEjNS0_19identity_decomposerEEE10hipError_tT1_T2_PT3_SK_jT4_jjP12ihipStream_tbEUlT_E_NS1_11comp_targetILNS1_3genE5ELNS1_11target_archE942ELNS1_3gpuE9ELNS1_3repE0EEENS1_52radix_sort_onesweep_histogram_config_static_selectorELNS0_4arch9wavefront6targetE1EEEvSI_.private_seg_size, 0
	.set _ZN7rocprim17ROCPRIM_400000_NS6detail17trampoline_kernelINS0_14default_configENS1_35radix_sort_onesweep_config_selectorIbiEEZNS1_34radix_sort_onesweep_global_offsetsIS3_Lb1EN6thrust23THRUST_200600_302600_NS6detail15normal_iteratorINS8_10device_ptrIbEEEENSA_INSB_IiEEEEjNS0_19identity_decomposerEEE10hipError_tT1_T2_PT3_SK_jT4_jjP12ihipStream_tbEUlT_E_NS1_11comp_targetILNS1_3genE5ELNS1_11target_archE942ELNS1_3gpuE9ELNS1_3repE0EEENS1_52radix_sort_onesweep_histogram_config_static_selectorELNS0_4arch9wavefront6targetE1EEEvSI_.uses_vcc, 0
	.set _ZN7rocprim17ROCPRIM_400000_NS6detail17trampoline_kernelINS0_14default_configENS1_35radix_sort_onesweep_config_selectorIbiEEZNS1_34radix_sort_onesweep_global_offsetsIS3_Lb1EN6thrust23THRUST_200600_302600_NS6detail15normal_iteratorINS8_10device_ptrIbEEEENSA_INSB_IiEEEEjNS0_19identity_decomposerEEE10hipError_tT1_T2_PT3_SK_jT4_jjP12ihipStream_tbEUlT_E_NS1_11comp_targetILNS1_3genE5ELNS1_11target_archE942ELNS1_3gpuE9ELNS1_3repE0EEENS1_52radix_sort_onesweep_histogram_config_static_selectorELNS0_4arch9wavefront6targetE1EEEvSI_.uses_flat_scratch, 0
	.set _ZN7rocprim17ROCPRIM_400000_NS6detail17trampoline_kernelINS0_14default_configENS1_35radix_sort_onesweep_config_selectorIbiEEZNS1_34radix_sort_onesweep_global_offsetsIS3_Lb1EN6thrust23THRUST_200600_302600_NS6detail15normal_iteratorINS8_10device_ptrIbEEEENSA_INSB_IiEEEEjNS0_19identity_decomposerEEE10hipError_tT1_T2_PT3_SK_jT4_jjP12ihipStream_tbEUlT_E_NS1_11comp_targetILNS1_3genE5ELNS1_11target_archE942ELNS1_3gpuE9ELNS1_3repE0EEENS1_52radix_sort_onesweep_histogram_config_static_selectorELNS0_4arch9wavefront6targetE1EEEvSI_.has_dyn_sized_stack, 0
	.set _ZN7rocprim17ROCPRIM_400000_NS6detail17trampoline_kernelINS0_14default_configENS1_35radix_sort_onesweep_config_selectorIbiEEZNS1_34radix_sort_onesweep_global_offsetsIS3_Lb1EN6thrust23THRUST_200600_302600_NS6detail15normal_iteratorINS8_10device_ptrIbEEEENSA_INSB_IiEEEEjNS0_19identity_decomposerEEE10hipError_tT1_T2_PT3_SK_jT4_jjP12ihipStream_tbEUlT_E_NS1_11comp_targetILNS1_3genE5ELNS1_11target_archE942ELNS1_3gpuE9ELNS1_3repE0EEENS1_52radix_sort_onesweep_histogram_config_static_selectorELNS0_4arch9wavefront6targetE1EEEvSI_.has_recursion, 0
	.set _ZN7rocprim17ROCPRIM_400000_NS6detail17trampoline_kernelINS0_14default_configENS1_35radix_sort_onesweep_config_selectorIbiEEZNS1_34radix_sort_onesweep_global_offsetsIS3_Lb1EN6thrust23THRUST_200600_302600_NS6detail15normal_iteratorINS8_10device_ptrIbEEEENSA_INSB_IiEEEEjNS0_19identity_decomposerEEE10hipError_tT1_T2_PT3_SK_jT4_jjP12ihipStream_tbEUlT_E_NS1_11comp_targetILNS1_3genE5ELNS1_11target_archE942ELNS1_3gpuE9ELNS1_3repE0EEENS1_52radix_sort_onesweep_histogram_config_static_selectorELNS0_4arch9wavefront6targetE1EEEvSI_.has_indirect_call, 0
	.section	.AMDGPU.csdata,"",@progbits
; Kernel info:
; codeLenInByte = 0
; TotalNumSgprs: 6
; NumVgprs: 0
; NumAgprs: 0
; TotalNumVgprs: 0
; ScratchSize: 0
; MemoryBound: 0
; FloatMode: 240
; IeeeMode: 1
; LDSByteSize: 0 bytes/workgroup (compile time only)
; SGPRBlocks: 0
; VGPRBlocks: 0
; NumSGPRsForWavesPerEU: 6
; NumVGPRsForWavesPerEU: 1
; AccumOffset: 4
; Occupancy: 8
; WaveLimiterHint : 0
; COMPUTE_PGM_RSRC2:SCRATCH_EN: 0
; COMPUTE_PGM_RSRC2:USER_SGPR: 2
; COMPUTE_PGM_RSRC2:TRAP_HANDLER: 0
; COMPUTE_PGM_RSRC2:TGID_X_EN: 1
; COMPUTE_PGM_RSRC2:TGID_Y_EN: 0
; COMPUTE_PGM_RSRC2:TGID_Z_EN: 0
; COMPUTE_PGM_RSRC2:TIDIG_COMP_CNT: 0
; COMPUTE_PGM_RSRC3_GFX90A:ACCUM_OFFSET: 0
; COMPUTE_PGM_RSRC3_GFX90A:TG_SPLIT: 0
	.section	.text._ZN7rocprim17ROCPRIM_400000_NS6detail17trampoline_kernelINS0_14default_configENS1_35radix_sort_onesweep_config_selectorIbiEEZNS1_34radix_sort_onesweep_global_offsetsIS3_Lb1EN6thrust23THRUST_200600_302600_NS6detail15normal_iteratorINS8_10device_ptrIbEEEENSA_INSB_IiEEEEjNS0_19identity_decomposerEEE10hipError_tT1_T2_PT3_SK_jT4_jjP12ihipStream_tbEUlT_E_NS1_11comp_targetILNS1_3genE2ELNS1_11target_archE906ELNS1_3gpuE6ELNS1_3repE0EEENS1_52radix_sort_onesweep_histogram_config_static_selectorELNS0_4arch9wavefront6targetE1EEEvSI_,"axG",@progbits,_ZN7rocprim17ROCPRIM_400000_NS6detail17trampoline_kernelINS0_14default_configENS1_35radix_sort_onesweep_config_selectorIbiEEZNS1_34radix_sort_onesweep_global_offsetsIS3_Lb1EN6thrust23THRUST_200600_302600_NS6detail15normal_iteratorINS8_10device_ptrIbEEEENSA_INSB_IiEEEEjNS0_19identity_decomposerEEE10hipError_tT1_T2_PT3_SK_jT4_jjP12ihipStream_tbEUlT_E_NS1_11comp_targetILNS1_3genE2ELNS1_11target_archE906ELNS1_3gpuE6ELNS1_3repE0EEENS1_52radix_sort_onesweep_histogram_config_static_selectorELNS0_4arch9wavefront6targetE1EEEvSI_,comdat
	.protected	_ZN7rocprim17ROCPRIM_400000_NS6detail17trampoline_kernelINS0_14default_configENS1_35radix_sort_onesweep_config_selectorIbiEEZNS1_34radix_sort_onesweep_global_offsetsIS3_Lb1EN6thrust23THRUST_200600_302600_NS6detail15normal_iteratorINS8_10device_ptrIbEEEENSA_INSB_IiEEEEjNS0_19identity_decomposerEEE10hipError_tT1_T2_PT3_SK_jT4_jjP12ihipStream_tbEUlT_E_NS1_11comp_targetILNS1_3genE2ELNS1_11target_archE906ELNS1_3gpuE6ELNS1_3repE0EEENS1_52radix_sort_onesweep_histogram_config_static_selectorELNS0_4arch9wavefront6targetE1EEEvSI_ ; -- Begin function _ZN7rocprim17ROCPRIM_400000_NS6detail17trampoline_kernelINS0_14default_configENS1_35radix_sort_onesweep_config_selectorIbiEEZNS1_34radix_sort_onesweep_global_offsetsIS3_Lb1EN6thrust23THRUST_200600_302600_NS6detail15normal_iteratorINS8_10device_ptrIbEEEENSA_INSB_IiEEEEjNS0_19identity_decomposerEEE10hipError_tT1_T2_PT3_SK_jT4_jjP12ihipStream_tbEUlT_E_NS1_11comp_targetILNS1_3genE2ELNS1_11target_archE906ELNS1_3gpuE6ELNS1_3repE0EEENS1_52radix_sort_onesweep_histogram_config_static_selectorELNS0_4arch9wavefront6targetE1EEEvSI_
	.globl	_ZN7rocprim17ROCPRIM_400000_NS6detail17trampoline_kernelINS0_14default_configENS1_35radix_sort_onesweep_config_selectorIbiEEZNS1_34radix_sort_onesweep_global_offsetsIS3_Lb1EN6thrust23THRUST_200600_302600_NS6detail15normal_iteratorINS8_10device_ptrIbEEEENSA_INSB_IiEEEEjNS0_19identity_decomposerEEE10hipError_tT1_T2_PT3_SK_jT4_jjP12ihipStream_tbEUlT_E_NS1_11comp_targetILNS1_3genE2ELNS1_11target_archE906ELNS1_3gpuE6ELNS1_3repE0EEENS1_52radix_sort_onesweep_histogram_config_static_selectorELNS0_4arch9wavefront6targetE1EEEvSI_
	.p2align	8
	.type	_ZN7rocprim17ROCPRIM_400000_NS6detail17trampoline_kernelINS0_14default_configENS1_35radix_sort_onesweep_config_selectorIbiEEZNS1_34radix_sort_onesweep_global_offsetsIS3_Lb1EN6thrust23THRUST_200600_302600_NS6detail15normal_iteratorINS8_10device_ptrIbEEEENSA_INSB_IiEEEEjNS0_19identity_decomposerEEE10hipError_tT1_T2_PT3_SK_jT4_jjP12ihipStream_tbEUlT_E_NS1_11comp_targetILNS1_3genE2ELNS1_11target_archE906ELNS1_3gpuE6ELNS1_3repE0EEENS1_52radix_sort_onesweep_histogram_config_static_selectorELNS0_4arch9wavefront6targetE1EEEvSI_,@function
_ZN7rocprim17ROCPRIM_400000_NS6detail17trampoline_kernelINS0_14default_configENS1_35radix_sort_onesweep_config_selectorIbiEEZNS1_34radix_sort_onesweep_global_offsetsIS3_Lb1EN6thrust23THRUST_200600_302600_NS6detail15normal_iteratorINS8_10device_ptrIbEEEENSA_INSB_IiEEEEjNS0_19identity_decomposerEEE10hipError_tT1_T2_PT3_SK_jT4_jjP12ihipStream_tbEUlT_E_NS1_11comp_targetILNS1_3genE2ELNS1_11target_archE906ELNS1_3gpuE6ELNS1_3repE0EEENS1_52radix_sort_onesweep_histogram_config_static_selectorELNS0_4arch9wavefront6targetE1EEEvSI_: ; @_ZN7rocprim17ROCPRIM_400000_NS6detail17trampoline_kernelINS0_14default_configENS1_35radix_sort_onesweep_config_selectorIbiEEZNS1_34radix_sort_onesweep_global_offsetsIS3_Lb1EN6thrust23THRUST_200600_302600_NS6detail15normal_iteratorINS8_10device_ptrIbEEEENSA_INSB_IiEEEEjNS0_19identity_decomposerEEE10hipError_tT1_T2_PT3_SK_jT4_jjP12ihipStream_tbEUlT_E_NS1_11comp_targetILNS1_3genE2ELNS1_11target_archE906ELNS1_3gpuE6ELNS1_3repE0EEENS1_52radix_sort_onesweep_histogram_config_static_selectorELNS0_4arch9wavefront6targetE1EEEvSI_
; %bb.0:
	.section	.rodata,"a",@progbits
	.p2align	6, 0x0
	.amdhsa_kernel _ZN7rocprim17ROCPRIM_400000_NS6detail17trampoline_kernelINS0_14default_configENS1_35radix_sort_onesweep_config_selectorIbiEEZNS1_34radix_sort_onesweep_global_offsetsIS3_Lb1EN6thrust23THRUST_200600_302600_NS6detail15normal_iteratorINS8_10device_ptrIbEEEENSA_INSB_IiEEEEjNS0_19identity_decomposerEEE10hipError_tT1_T2_PT3_SK_jT4_jjP12ihipStream_tbEUlT_E_NS1_11comp_targetILNS1_3genE2ELNS1_11target_archE906ELNS1_3gpuE6ELNS1_3repE0EEENS1_52radix_sort_onesweep_histogram_config_static_selectorELNS0_4arch9wavefront6targetE1EEEvSI_
		.amdhsa_group_segment_fixed_size 0
		.amdhsa_private_segment_fixed_size 0
		.amdhsa_kernarg_size 40
		.amdhsa_user_sgpr_count 2
		.amdhsa_user_sgpr_dispatch_ptr 0
		.amdhsa_user_sgpr_queue_ptr 0
		.amdhsa_user_sgpr_kernarg_segment_ptr 1
		.amdhsa_user_sgpr_dispatch_id 0
		.amdhsa_user_sgpr_kernarg_preload_length 0
		.amdhsa_user_sgpr_kernarg_preload_offset 0
		.amdhsa_user_sgpr_private_segment_size 0
		.amdhsa_uses_dynamic_stack 0
		.amdhsa_enable_private_segment 0
		.amdhsa_system_sgpr_workgroup_id_x 1
		.amdhsa_system_sgpr_workgroup_id_y 0
		.amdhsa_system_sgpr_workgroup_id_z 0
		.amdhsa_system_sgpr_workgroup_info 0
		.amdhsa_system_vgpr_workitem_id 0
		.amdhsa_next_free_vgpr 1
		.amdhsa_next_free_sgpr 0
		.amdhsa_accum_offset 4
		.amdhsa_reserve_vcc 0
		.amdhsa_float_round_mode_32 0
		.amdhsa_float_round_mode_16_64 0
		.amdhsa_float_denorm_mode_32 3
		.amdhsa_float_denorm_mode_16_64 3
		.amdhsa_dx10_clamp 1
		.amdhsa_ieee_mode 1
		.amdhsa_fp16_overflow 0
		.amdhsa_tg_split 0
		.amdhsa_exception_fp_ieee_invalid_op 0
		.amdhsa_exception_fp_denorm_src 0
		.amdhsa_exception_fp_ieee_div_zero 0
		.amdhsa_exception_fp_ieee_overflow 0
		.amdhsa_exception_fp_ieee_underflow 0
		.amdhsa_exception_fp_ieee_inexact 0
		.amdhsa_exception_int_div_zero 0
	.end_amdhsa_kernel
	.section	.text._ZN7rocprim17ROCPRIM_400000_NS6detail17trampoline_kernelINS0_14default_configENS1_35radix_sort_onesweep_config_selectorIbiEEZNS1_34radix_sort_onesweep_global_offsetsIS3_Lb1EN6thrust23THRUST_200600_302600_NS6detail15normal_iteratorINS8_10device_ptrIbEEEENSA_INSB_IiEEEEjNS0_19identity_decomposerEEE10hipError_tT1_T2_PT3_SK_jT4_jjP12ihipStream_tbEUlT_E_NS1_11comp_targetILNS1_3genE2ELNS1_11target_archE906ELNS1_3gpuE6ELNS1_3repE0EEENS1_52radix_sort_onesweep_histogram_config_static_selectorELNS0_4arch9wavefront6targetE1EEEvSI_,"axG",@progbits,_ZN7rocprim17ROCPRIM_400000_NS6detail17trampoline_kernelINS0_14default_configENS1_35radix_sort_onesweep_config_selectorIbiEEZNS1_34radix_sort_onesweep_global_offsetsIS3_Lb1EN6thrust23THRUST_200600_302600_NS6detail15normal_iteratorINS8_10device_ptrIbEEEENSA_INSB_IiEEEEjNS0_19identity_decomposerEEE10hipError_tT1_T2_PT3_SK_jT4_jjP12ihipStream_tbEUlT_E_NS1_11comp_targetILNS1_3genE2ELNS1_11target_archE906ELNS1_3gpuE6ELNS1_3repE0EEENS1_52radix_sort_onesweep_histogram_config_static_selectorELNS0_4arch9wavefront6targetE1EEEvSI_,comdat
.Lfunc_end2203:
	.size	_ZN7rocprim17ROCPRIM_400000_NS6detail17trampoline_kernelINS0_14default_configENS1_35radix_sort_onesweep_config_selectorIbiEEZNS1_34radix_sort_onesweep_global_offsetsIS3_Lb1EN6thrust23THRUST_200600_302600_NS6detail15normal_iteratorINS8_10device_ptrIbEEEENSA_INSB_IiEEEEjNS0_19identity_decomposerEEE10hipError_tT1_T2_PT3_SK_jT4_jjP12ihipStream_tbEUlT_E_NS1_11comp_targetILNS1_3genE2ELNS1_11target_archE906ELNS1_3gpuE6ELNS1_3repE0EEENS1_52radix_sort_onesweep_histogram_config_static_selectorELNS0_4arch9wavefront6targetE1EEEvSI_, .Lfunc_end2203-_ZN7rocprim17ROCPRIM_400000_NS6detail17trampoline_kernelINS0_14default_configENS1_35radix_sort_onesweep_config_selectorIbiEEZNS1_34radix_sort_onesweep_global_offsetsIS3_Lb1EN6thrust23THRUST_200600_302600_NS6detail15normal_iteratorINS8_10device_ptrIbEEEENSA_INSB_IiEEEEjNS0_19identity_decomposerEEE10hipError_tT1_T2_PT3_SK_jT4_jjP12ihipStream_tbEUlT_E_NS1_11comp_targetILNS1_3genE2ELNS1_11target_archE906ELNS1_3gpuE6ELNS1_3repE0EEENS1_52radix_sort_onesweep_histogram_config_static_selectorELNS0_4arch9wavefront6targetE1EEEvSI_
                                        ; -- End function
	.set _ZN7rocprim17ROCPRIM_400000_NS6detail17trampoline_kernelINS0_14default_configENS1_35radix_sort_onesweep_config_selectorIbiEEZNS1_34radix_sort_onesweep_global_offsetsIS3_Lb1EN6thrust23THRUST_200600_302600_NS6detail15normal_iteratorINS8_10device_ptrIbEEEENSA_INSB_IiEEEEjNS0_19identity_decomposerEEE10hipError_tT1_T2_PT3_SK_jT4_jjP12ihipStream_tbEUlT_E_NS1_11comp_targetILNS1_3genE2ELNS1_11target_archE906ELNS1_3gpuE6ELNS1_3repE0EEENS1_52radix_sort_onesweep_histogram_config_static_selectorELNS0_4arch9wavefront6targetE1EEEvSI_.num_vgpr, 0
	.set _ZN7rocprim17ROCPRIM_400000_NS6detail17trampoline_kernelINS0_14default_configENS1_35radix_sort_onesweep_config_selectorIbiEEZNS1_34radix_sort_onesweep_global_offsetsIS3_Lb1EN6thrust23THRUST_200600_302600_NS6detail15normal_iteratorINS8_10device_ptrIbEEEENSA_INSB_IiEEEEjNS0_19identity_decomposerEEE10hipError_tT1_T2_PT3_SK_jT4_jjP12ihipStream_tbEUlT_E_NS1_11comp_targetILNS1_3genE2ELNS1_11target_archE906ELNS1_3gpuE6ELNS1_3repE0EEENS1_52radix_sort_onesweep_histogram_config_static_selectorELNS0_4arch9wavefront6targetE1EEEvSI_.num_agpr, 0
	.set _ZN7rocprim17ROCPRIM_400000_NS6detail17trampoline_kernelINS0_14default_configENS1_35radix_sort_onesweep_config_selectorIbiEEZNS1_34radix_sort_onesweep_global_offsetsIS3_Lb1EN6thrust23THRUST_200600_302600_NS6detail15normal_iteratorINS8_10device_ptrIbEEEENSA_INSB_IiEEEEjNS0_19identity_decomposerEEE10hipError_tT1_T2_PT3_SK_jT4_jjP12ihipStream_tbEUlT_E_NS1_11comp_targetILNS1_3genE2ELNS1_11target_archE906ELNS1_3gpuE6ELNS1_3repE0EEENS1_52radix_sort_onesweep_histogram_config_static_selectorELNS0_4arch9wavefront6targetE1EEEvSI_.numbered_sgpr, 0
	.set _ZN7rocprim17ROCPRIM_400000_NS6detail17trampoline_kernelINS0_14default_configENS1_35radix_sort_onesweep_config_selectorIbiEEZNS1_34radix_sort_onesweep_global_offsetsIS3_Lb1EN6thrust23THRUST_200600_302600_NS6detail15normal_iteratorINS8_10device_ptrIbEEEENSA_INSB_IiEEEEjNS0_19identity_decomposerEEE10hipError_tT1_T2_PT3_SK_jT4_jjP12ihipStream_tbEUlT_E_NS1_11comp_targetILNS1_3genE2ELNS1_11target_archE906ELNS1_3gpuE6ELNS1_3repE0EEENS1_52radix_sort_onesweep_histogram_config_static_selectorELNS0_4arch9wavefront6targetE1EEEvSI_.num_named_barrier, 0
	.set _ZN7rocprim17ROCPRIM_400000_NS6detail17trampoline_kernelINS0_14default_configENS1_35radix_sort_onesweep_config_selectorIbiEEZNS1_34radix_sort_onesweep_global_offsetsIS3_Lb1EN6thrust23THRUST_200600_302600_NS6detail15normal_iteratorINS8_10device_ptrIbEEEENSA_INSB_IiEEEEjNS0_19identity_decomposerEEE10hipError_tT1_T2_PT3_SK_jT4_jjP12ihipStream_tbEUlT_E_NS1_11comp_targetILNS1_3genE2ELNS1_11target_archE906ELNS1_3gpuE6ELNS1_3repE0EEENS1_52radix_sort_onesweep_histogram_config_static_selectorELNS0_4arch9wavefront6targetE1EEEvSI_.private_seg_size, 0
	.set _ZN7rocprim17ROCPRIM_400000_NS6detail17trampoline_kernelINS0_14default_configENS1_35radix_sort_onesweep_config_selectorIbiEEZNS1_34radix_sort_onesweep_global_offsetsIS3_Lb1EN6thrust23THRUST_200600_302600_NS6detail15normal_iteratorINS8_10device_ptrIbEEEENSA_INSB_IiEEEEjNS0_19identity_decomposerEEE10hipError_tT1_T2_PT3_SK_jT4_jjP12ihipStream_tbEUlT_E_NS1_11comp_targetILNS1_3genE2ELNS1_11target_archE906ELNS1_3gpuE6ELNS1_3repE0EEENS1_52radix_sort_onesweep_histogram_config_static_selectorELNS0_4arch9wavefront6targetE1EEEvSI_.uses_vcc, 0
	.set _ZN7rocprim17ROCPRIM_400000_NS6detail17trampoline_kernelINS0_14default_configENS1_35radix_sort_onesweep_config_selectorIbiEEZNS1_34radix_sort_onesweep_global_offsetsIS3_Lb1EN6thrust23THRUST_200600_302600_NS6detail15normal_iteratorINS8_10device_ptrIbEEEENSA_INSB_IiEEEEjNS0_19identity_decomposerEEE10hipError_tT1_T2_PT3_SK_jT4_jjP12ihipStream_tbEUlT_E_NS1_11comp_targetILNS1_3genE2ELNS1_11target_archE906ELNS1_3gpuE6ELNS1_3repE0EEENS1_52radix_sort_onesweep_histogram_config_static_selectorELNS0_4arch9wavefront6targetE1EEEvSI_.uses_flat_scratch, 0
	.set _ZN7rocprim17ROCPRIM_400000_NS6detail17trampoline_kernelINS0_14default_configENS1_35radix_sort_onesweep_config_selectorIbiEEZNS1_34radix_sort_onesweep_global_offsetsIS3_Lb1EN6thrust23THRUST_200600_302600_NS6detail15normal_iteratorINS8_10device_ptrIbEEEENSA_INSB_IiEEEEjNS0_19identity_decomposerEEE10hipError_tT1_T2_PT3_SK_jT4_jjP12ihipStream_tbEUlT_E_NS1_11comp_targetILNS1_3genE2ELNS1_11target_archE906ELNS1_3gpuE6ELNS1_3repE0EEENS1_52radix_sort_onesweep_histogram_config_static_selectorELNS0_4arch9wavefront6targetE1EEEvSI_.has_dyn_sized_stack, 0
	.set _ZN7rocprim17ROCPRIM_400000_NS6detail17trampoline_kernelINS0_14default_configENS1_35radix_sort_onesweep_config_selectorIbiEEZNS1_34radix_sort_onesweep_global_offsetsIS3_Lb1EN6thrust23THRUST_200600_302600_NS6detail15normal_iteratorINS8_10device_ptrIbEEEENSA_INSB_IiEEEEjNS0_19identity_decomposerEEE10hipError_tT1_T2_PT3_SK_jT4_jjP12ihipStream_tbEUlT_E_NS1_11comp_targetILNS1_3genE2ELNS1_11target_archE906ELNS1_3gpuE6ELNS1_3repE0EEENS1_52radix_sort_onesweep_histogram_config_static_selectorELNS0_4arch9wavefront6targetE1EEEvSI_.has_recursion, 0
	.set _ZN7rocprim17ROCPRIM_400000_NS6detail17trampoline_kernelINS0_14default_configENS1_35radix_sort_onesweep_config_selectorIbiEEZNS1_34radix_sort_onesweep_global_offsetsIS3_Lb1EN6thrust23THRUST_200600_302600_NS6detail15normal_iteratorINS8_10device_ptrIbEEEENSA_INSB_IiEEEEjNS0_19identity_decomposerEEE10hipError_tT1_T2_PT3_SK_jT4_jjP12ihipStream_tbEUlT_E_NS1_11comp_targetILNS1_3genE2ELNS1_11target_archE906ELNS1_3gpuE6ELNS1_3repE0EEENS1_52radix_sort_onesweep_histogram_config_static_selectorELNS0_4arch9wavefront6targetE1EEEvSI_.has_indirect_call, 0
	.section	.AMDGPU.csdata,"",@progbits
; Kernel info:
; codeLenInByte = 0
; TotalNumSgprs: 6
; NumVgprs: 0
; NumAgprs: 0
; TotalNumVgprs: 0
; ScratchSize: 0
; MemoryBound: 0
; FloatMode: 240
; IeeeMode: 1
; LDSByteSize: 0 bytes/workgroup (compile time only)
; SGPRBlocks: 0
; VGPRBlocks: 0
; NumSGPRsForWavesPerEU: 6
; NumVGPRsForWavesPerEU: 1
; AccumOffset: 4
; Occupancy: 8
; WaveLimiterHint : 0
; COMPUTE_PGM_RSRC2:SCRATCH_EN: 0
; COMPUTE_PGM_RSRC2:USER_SGPR: 2
; COMPUTE_PGM_RSRC2:TRAP_HANDLER: 0
; COMPUTE_PGM_RSRC2:TGID_X_EN: 1
; COMPUTE_PGM_RSRC2:TGID_Y_EN: 0
; COMPUTE_PGM_RSRC2:TGID_Z_EN: 0
; COMPUTE_PGM_RSRC2:TIDIG_COMP_CNT: 0
; COMPUTE_PGM_RSRC3_GFX90A:ACCUM_OFFSET: 0
; COMPUTE_PGM_RSRC3_GFX90A:TG_SPLIT: 0
	.section	.text._ZN7rocprim17ROCPRIM_400000_NS6detail17trampoline_kernelINS0_14default_configENS1_35radix_sort_onesweep_config_selectorIbiEEZNS1_34radix_sort_onesweep_global_offsetsIS3_Lb1EN6thrust23THRUST_200600_302600_NS6detail15normal_iteratorINS8_10device_ptrIbEEEENSA_INSB_IiEEEEjNS0_19identity_decomposerEEE10hipError_tT1_T2_PT3_SK_jT4_jjP12ihipStream_tbEUlT_E_NS1_11comp_targetILNS1_3genE4ELNS1_11target_archE910ELNS1_3gpuE8ELNS1_3repE0EEENS1_52radix_sort_onesweep_histogram_config_static_selectorELNS0_4arch9wavefront6targetE1EEEvSI_,"axG",@progbits,_ZN7rocprim17ROCPRIM_400000_NS6detail17trampoline_kernelINS0_14default_configENS1_35radix_sort_onesweep_config_selectorIbiEEZNS1_34radix_sort_onesweep_global_offsetsIS3_Lb1EN6thrust23THRUST_200600_302600_NS6detail15normal_iteratorINS8_10device_ptrIbEEEENSA_INSB_IiEEEEjNS0_19identity_decomposerEEE10hipError_tT1_T2_PT3_SK_jT4_jjP12ihipStream_tbEUlT_E_NS1_11comp_targetILNS1_3genE4ELNS1_11target_archE910ELNS1_3gpuE8ELNS1_3repE0EEENS1_52radix_sort_onesweep_histogram_config_static_selectorELNS0_4arch9wavefront6targetE1EEEvSI_,comdat
	.protected	_ZN7rocprim17ROCPRIM_400000_NS6detail17trampoline_kernelINS0_14default_configENS1_35radix_sort_onesweep_config_selectorIbiEEZNS1_34radix_sort_onesweep_global_offsetsIS3_Lb1EN6thrust23THRUST_200600_302600_NS6detail15normal_iteratorINS8_10device_ptrIbEEEENSA_INSB_IiEEEEjNS0_19identity_decomposerEEE10hipError_tT1_T2_PT3_SK_jT4_jjP12ihipStream_tbEUlT_E_NS1_11comp_targetILNS1_3genE4ELNS1_11target_archE910ELNS1_3gpuE8ELNS1_3repE0EEENS1_52radix_sort_onesweep_histogram_config_static_selectorELNS0_4arch9wavefront6targetE1EEEvSI_ ; -- Begin function _ZN7rocprim17ROCPRIM_400000_NS6detail17trampoline_kernelINS0_14default_configENS1_35radix_sort_onesweep_config_selectorIbiEEZNS1_34radix_sort_onesweep_global_offsetsIS3_Lb1EN6thrust23THRUST_200600_302600_NS6detail15normal_iteratorINS8_10device_ptrIbEEEENSA_INSB_IiEEEEjNS0_19identity_decomposerEEE10hipError_tT1_T2_PT3_SK_jT4_jjP12ihipStream_tbEUlT_E_NS1_11comp_targetILNS1_3genE4ELNS1_11target_archE910ELNS1_3gpuE8ELNS1_3repE0EEENS1_52radix_sort_onesweep_histogram_config_static_selectorELNS0_4arch9wavefront6targetE1EEEvSI_
	.globl	_ZN7rocprim17ROCPRIM_400000_NS6detail17trampoline_kernelINS0_14default_configENS1_35radix_sort_onesweep_config_selectorIbiEEZNS1_34radix_sort_onesweep_global_offsetsIS3_Lb1EN6thrust23THRUST_200600_302600_NS6detail15normal_iteratorINS8_10device_ptrIbEEEENSA_INSB_IiEEEEjNS0_19identity_decomposerEEE10hipError_tT1_T2_PT3_SK_jT4_jjP12ihipStream_tbEUlT_E_NS1_11comp_targetILNS1_3genE4ELNS1_11target_archE910ELNS1_3gpuE8ELNS1_3repE0EEENS1_52radix_sort_onesweep_histogram_config_static_selectorELNS0_4arch9wavefront6targetE1EEEvSI_
	.p2align	8
	.type	_ZN7rocprim17ROCPRIM_400000_NS6detail17trampoline_kernelINS0_14default_configENS1_35radix_sort_onesweep_config_selectorIbiEEZNS1_34radix_sort_onesweep_global_offsetsIS3_Lb1EN6thrust23THRUST_200600_302600_NS6detail15normal_iteratorINS8_10device_ptrIbEEEENSA_INSB_IiEEEEjNS0_19identity_decomposerEEE10hipError_tT1_T2_PT3_SK_jT4_jjP12ihipStream_tbEUlT_E_NS1_11comp_targetILNS1_3genE4ELNS1_11target_archE910ELNS1_3gpuE8ELNS1_3repE0EEENS1_52radix_sort_onesweep_histogram_config_static_selectorELNS0_4arch9wavefront6targetE1EEEvSI_,@function
_ZN7rocprim17ROCPRIM_400000_NS6detail17trampoline_kernelINS0_14default_configENS1_35radix_sort_onesweep_config_selectorIbiEEZNS1_34radix_sort_onesweep_global_offsetsIS3_Lb1EN6thrust23THRUST_200600_302600_NS6detail15normal_iteratorINS8_10device_ptrIbEEEENSA_INSB_IiEEEEjNS0_19identity_decomposerEEE10hipError_tT1_T2_PT3_SK_jT4_jjP12ihipStream_tbEUlT_E_NS1_11comp_targetILNS1_3genE4ELNS1_11target_archE910ELNS1_3gpuE8ELNS1_3repE0EEENS1_52radix_sort_onesweep_histogram_config_static_selectorELNS0_4arch9wavefront6targetE1EEEvSI_: ; @_ZN7rocprim17ROCPRIM_400000_NS6detail17trampoline_kernelINS0_14default_configENS1_35radix_sort_onesweep_config_selectorIbiEEZNS1_34radix_sort_onesweep_global_offsetsIS3_Lb1EN6thrust23THRUST_200600_302600_NS6detail15normal_iteratorINS8_10device_ptrIbEEEENSA_INSB_IiEEEEjNS0_19identity_decomposerEEE10hipError_tT1_T2_PT3_SK_jT4_jjP12ihipStream_tbEUlT_E_NS1_11comp_targetILNS1_3genE4ELNS1_11target_archE910ELNS1_3gpuE8ELNS1_3repE0EEENS1_52radix_sort_onesweep_histogram_config_static_selectorELNS0_4arch9wavefront6targetE1EEEvSI_
; %bb.0:
	.section	.rodata,"a",@progbits
	.p2align	6, 0x0
	.amdhsa_kernel _ZN7rocprim17ROCPRIM_400000_NS6detail17trampoline_kernelINS0_14default_configENS1_35radix_sort_onesweep_config_selectorIbiEEZNS1_34radix_sort_onesweep_global_offsetsIS3_Lb1EN6thrust23THRUST_200600_302600_NS6detail15normal_iteratorINS8_10device_ptrIbEEEENSA_INSB_IiEEEEjNS0_19identity_decomposerEEE10hipError_tT1_T2_PT3_SK_jT4_jjP12ihipStream_tbEUlT_E_NS1_11comp_targetILNS1_3genE4ELNS1_11target_archE910ELNS1_3gpuE8ELNS1_3repE0EEENS1_52radix_sort_onesweep_histogram_config_static_selectorELNS0_4arch9wavefront6targetE1EEEvSI_
		.amdhsa_group_segment_fixed_size 0
		.amdhsa_private_segment_fixed_size 0
		.amdhsa_kernarg_size 40
		.amdhsa_user_sgpr_count 2
		.amdhsa_user_sgpr_dispatch_ptr 0
		.amdhsa_user_sgpr_queue_ptr 0
		.amdhsa_user_sgpr_kernarg_segment_ptr 1
		.amdhsa_user_sgpr_dispatch_id 0
		.amdhsa_user_sgpr_kernarg_preload_length 0
		.amdhsa_user_sgpr_kernarg_preload_offset 0
		.amdhsa_user_sgpr_private_segment_size 0
		.amdhsa_uses_dynamic_stack 0
		.amdhsa_enable_private_segment 0
		.amdhsa_system_sgpr_workgroup_id_x 1
		.amdhsa_system_sgpr_workgroup_id_y 0
		.amdhsa_system_sgpr_workgroup_id_z 0
		.amdhsa_system_sgpr_workgroup_info 0
		.amdhsa_system_vgpr_workitem_id 0
		.amdhsa_next_free_vgpr 1
		.amdhsa_next_free_sgpr 0
		.amdhsa_accum_offset 4
		.amdhsa_reserve_vcc 0
		.amdhsa_float_round_mode_32 0
		.amdhsa_float_round_mode_16_64 0
		.amdhsa_float_denorm_mode_32 3
		.amdhsa_float_denorm_mode_16_64 3
		.amdhsa_dx10_clamp 1
		.amdhsa_ieee_mode 1
		.amdhsa_fp16_overflow 0
		.amdhsa_tg_split 0
		.amdhsa_exception_fp_ieee_invalid_op 0
		.amdhsa_exception_fp_denorm_src 0
		.amdhsa_exception_fp_ieee_div_zero 0
		.amdhsa_exception_fp_ieee_overflow 0
		.amdhsa_exception_fp_ieee_underflow 0
		.amdhsa_exception_fp_ieee_inexact 0
		.amdhsa_exception_int_div_zero 0
	.end_amdhsa_kernel
	.section	.text._ZN7rocprim17ROCPRIM_400000_NS6detail17trampoline_kernelINS0_14default_configENS1_35radix_sort_onesweep_config_selectorIbiEEZNS1_34radix_sort_onesweep_global_offsetsIS3_Lb1EN6thrust23THRUST_200600_302600_NS6detail15normal_iteratorINS8_10device_ptrIbEEEENSA_INSB_IiEEEEjNS0_19identity_decomposerEEE10hipError_tT1_T2_PT3_SK_jT4_jjP12ihipStream_tbEUlT_E_NS1_11comp_targetILNS1_3genE4ELNS1_11target_archE910ELNS1_3gpuE8ELNS1_3repE0EEENS1_52radix_sort_onesweep_histogram_config_static_selectorELNS0_4arch9wavefront6targetE1EEEvSI_,"axG",@progbits,_ZN7rocprim17ROCPRIM_400000_NS6detail17trampoline_kernelINS0_14default_configENS1_35radix_sort_onesweep_config_selectorIbiEEZNS1_34radix_sort_onesweep_global_offsetsIS3_Lb1EN6thrust23THRUST_200600_302600_NS6detail15normal_iteratorINS8_10device_ptrIbEEEENSA_INSB_IiEEEEjNS0_19identity_decomposerEEE10hipError_tT1_T2_PT3_SK_jT4_jjP12ihipStream_tbEUlT_E_NS1_11comp_targetILNS1_3genE4ELNS1_11target_archE910ELNS1_3gpuE8ELNS1_3repE0EEENS1_52radix_sort_onesweep_histogram_config_static_selectorELNS0_4arch9wavefront6targetE1EEEvSI_,comdat
.Lfunc_end2204:
	.size	_ZN7rocprim17ROCPRIM_400000_NS6detail17trampoline_kernelINS0_14default_configENS1_35radix_sort_onesweep_config_selectorIbiEEZNS1_34radix_sort_onesweep_global_offsetsIS3_Lb1EN6thrust23THRUST_200600_302600_NS6detail15normal_iteratorINS8_10device_ptrIbEEEENSA_INSB_IiEEEEjNS0_19identity_decomposerEEE10hipError_tT1_T2_PT3_SK_jT4_jjP12ihipStream_tbEUlT_E_NS1_11comp_targetILNS1_3genE4ELNS1_11target_archE910ELNS1_3gpuE8ELNS1_3repE0EEENS1_52radix_sort_onesweep_histogram_config_static_selectorELNS0_4arch9wavefront6targetE1EEEvSI_, .Lfunc_end2204-_ZN7rocprim17ROCPRIM_400000_NS6detail17trampoline_kernelINS0_14default_configENS1_35radix_sort_onesweep_config_selectorIbiEEZNS1_34radix_sort_onesweep_global_offsetsIS3_Lb1EN6thrust23THRUST_200600_302600_NS6detail15normal_iteratorINS8_10device_ptrIbEEEENSA_INSB_IiEEEEjNS0_19identity_decomposerEEE10hipError_tT1_T2_PT3_SK_jT4_jjP12ihipStream_tbEUlT_E_NS1_11comp_targetILNS1_3genE4ELNS1_11target_archE910ELNS1_3gpuE8ELNS1_3repE0EEENS1_52radix_sort_onesweep_histogram_config_static_selectorELNS0_4arch9wavefront6targetE1EEEvSI_
                                        ; -- End function
	.set _ZN7rocprim17ROCPRIM_400000_NS6detail17trampoline_kernelINS0_14default_configENS1_35radix_sort_onesweep_config_selectorIbiEEZNS1_34radix_sort_onesweep_global_offsetsIS3_Lb1EN6thrust23THRUST_200600_302600_NS6detail15normal_iteratorINS8_10device_ptrIbEEEENSA_INSB_IiEEEEjNS0_19identity_decomposerEEE10hipError_tT1_T2_PT3_SK_jT4_jjP12ihipStream_tbEUlT_E_NS1_11comp_targetILNS1_3genE4ELNS1_11target_archE910ELNS1_3gpuE8ELNS1_3repE0EEENS1_52radix_sort_onesweep_histogram_config_static_selectorELNS0_4arch9wavefront6targetE1EEEvSI_.num_vgpr, 0
	.set _ZN7rocprim17ROCPRIM_400000_NS6detail17trampoline_kernelINS0_14default_configENS1_35radix_sort_onesweep_config_selectorIbiEEZNS1_34radix_sort_onesweep_global_offsetsIS3_Lb1EN6thrust23THRUST_200600_302600_NS6detail15normal_iteratorINS8_10device_ptrIbEEEENSA_INSB_IiEEEEjNS0_19identity_decomposerEEE10hipError_tT1_T2_PT3_SK_jT4_jjP12ihipStream_tbEUlT_E_NS1_11comp_targetILNS1_3genE4ELNS1_11target_archE910ELNS1_3gpuE8ELNS1_3repE0EEENS1_52radix_sort_onesweep_histogram_config_static_selectorELNS0_4arch9wavefront6targetE1EEEvSI_.num_agpr, 0
	.set _ZN7rocprim17ROCPRIM_400000_NS6detail17trampoline_kernelINS0_14default_configENS1_35radix_sort_onesweep_config_selectorIbiEEZNS1_34radix_sort_onesweep_global_offsetsIS3_Lb1EN6thrust23THRUST_200600_302600_NS6detail15normal_iteratorINS8_10device_ptrIbEEEENSA_INSB_IiEEEEjNS0_19identity_decomposerEEE10hipError_tT1_T2_PT3_SK_jT4_jjP12ihipStream_tbEUlT_E_NS1_11comp_targetILNS1_3genE4ELNS1_11target_archE910ELNS1_3gpuE8ELNS1_3repE0EEENS1_52radix_sort_onesweep_histogram_config_static_selectorELNS0_4arch9wavefront6targetE1EEEvSI_.numbered_sgpr, 0
	.set _ZN7rocprim17ROCPRIM_400000_NS6detail17trampoline_kernelINS0_14default_configENS1_35radix_sort_onesweep_config_selectorIbiEEZNS1_34radix_sort_onesweep_global_offsetsIS3_Lb1EN6thrust23THRUST_200600_302600_NS6detail15normal_iteratorINS8_10device_ptrIbEEEENSA_INSB_IiEEEEjNS0_19identity_decomposerEEE10hipError_tT1_T2_PT3_SK_jT4_jjP12ihipStream_tbEUlT_E_NS1_11comp_targetILNS1_3genE4ELNS1_11target_archE910ELNS1_3gpuE8ELNS1_3repE0EEENS1_52radix_sort_onesweep_histogram_config_static_selectorELNS0_4arch9wavefront6targetE1EEEvSI_.num_named_barrier, 0
	.set _ZN7rocprim17ROCPRIM_400000_NS6detail17trampoline_kernelINS0_14default_configENS1_35radix_sort_onesweep_config_selectorIbiEEZNS1_34radix_sort_onesweep_global_offsetsIS3_Lb1EN6thrust23THRUST_200600_302600_NS6detail15normal_iteratorINS8_10device_ptrIbEEEENSA_INSB_IiEEEEjNS0_19identity_decomposerEEE10hipError_tT1_T2_PT3_SK_jT4_jjP12ihipStream_tbEUlT_E_NS1_11comp_targetILNS1_3genE4ELNS1_11target_archE910ELNS1_3gpuE8ELNS1_3repE0EEENS1_52radix_sort_onesweep_histogram_config_static_selectorELNS0_4arch9wavefront6targetE1EEEvSI_.private_seg_size, 0
	.set _ZN7rocprim17ROCPRIM_400000_NS6detail17trampoline_kernelINS0_14default_configENS1_35radix_sort_onesweep_config_selectorIbiEEZNS1_34radix_sort_onesweep_global_offsetsIS3_Lb1EN6thrust23THRUST_200600_302600_NS6detail15normal_iteratorINS8_10device_ptrIbEEEENSA_INSB_IiEEEEjNS0_19identity_decomposerEEE10hipError_tT1_T2_PT3_SK_jT4_jjP12ihipStream_tbEUlT_E_NS1_11comp_targetILNS1_3genE4ELNS1_11target_archE910ELNS1_3gpuE8ELNS1_3repE0EEENS1_52radix_sort_onesweep_histogram_config_static_selectorELNS0_4arch9wavefront6targetE1EEEvSI_.uses_vcc, 0
	.set _ZN7rocprim17ROCPRIM_400000_NS6detail17trampoline_kernelINS0_14default_configENS1_35radix_sort_onesweep_config_selectorIbiEEZNS1_34radix_sort_onesweep_global_offsetsIS3_Lb1EN6thrust23THRUST_200600_302600_NS6detail15normal_iteratorINS8_10device_ptrIbEEEENSA_INSB_IiEEEEjNS0_19identity_decomposerEEE10hipError_tT1_T2_PT3_SK_jT4_jjP12ihipStream_tbEUlT_E_NS1_11comp_targetILNS1_3genE4ELNS1_11target_archE910ELNS1_3gpuE8ELNS1_3repE0EEENS1_52radix_sort_onesweep_histogram_config_static_selectorELNS0_4arch9wavefront6targetE1EEEvSI_.uses_flat_scratch, 0
	.set _ZN7rocprim17ROCPRIM_400000_NS6detail17trampoline_kernelINS0_14default_configENS1_35radix_sort_onesweep_config_selectorIbiEEZNS1_34radix_sort_onesweep_global_offsetsIS3_Lb1EN6thrust23THRUST_200600_302600_NS6detail15normal_iteratorINS8_10device_ptrIbEEEENSA_INSB_IiEEEEjNS0_19identity_decomposerEEE10hipError_tT1_T2_PT3_SK_jT4_jjP12ihipStream_tbEUlT_E_NS1_11comp_targetILNS1_3genE4ELNS1_11target_archE910ELNS1_3gpuE8ELNS1_3repE0EEENS1_52radix_sort_onesweep_histogram_config_static_selectorELNS0_4arch9wavefront6targetE1EEEvSI_.has_dyn_sized_stack, 0
	.set _ZN7rocprim17ROCPRIM_400000_NS6detail17trampoline_kernelINS0_14default_configENS1_35radix_sort_onesweep_config_selectorIbiEEZNS1_34radix_sort_onesweep_global_offsetsIS3_Lb1EN6thrust23THRUST_200600_302600_NS6detail15normal_iteratorINS8_10device_ptrIbEEEENSA_INSB_IiEEEEjNS0_19identity_decomposerEEE10hipError_tT1_T2_PT3_SK_jT4_jjP12ihipStream_tbEUlT_E_NS1_11comp_targetILNS1_3genE4ELNS1_11target_archE910ELNS1_3gpuE8ELNS1_3repE0EEENS1_52radix_sort_onesweep_histogram_config_static_selectorELNS0_4arch9wavefront6targetE1EEEvSI_.has_recursion, 0
	.set _ZN7rocprim17ROCPRIM_400000_NS6detail17trampoline_kernelINS0_14default_configENS1_35radix_sort_onesweep_config_selectorIbiEEZNS1_34radix_sort_onesweep_global_offsetsIS3_Lb1EN6thrust23THRUST_200600_302600_NS6detail15normal_iteratorINS8_10device_ptrIbEEEENSA_INSB_IiEEEEjNS0_19identity_decomposerEEE10hipError_tT1_T2_PT3_SK_jT4_jjP12ihipStream_tbEUlT_E_NS1_11comp_targetILNS1_3genE4ELNS1_11target_archE910ELNS1_3gpuE8ELNS1_3repE0EEENS1_52radix_sort_onesweep_histogram_config_static_selectorELNS0_4arch9wavefront6targetE1EEEvSI_.has_indirect_call, 0
	.section	.AMDGPU.csdata,"",@progbits
; Kernel info:
; codeLenInByte = 0
; TotalNumSgprs: 6
; NumVgprs: 0
; NumAgprs: 0
; TotalNumVgprs: 0
; ScratchSize: 0
; MemoryBound: 0
; FloatMode: 240
; IeeeMode: 1
; LDSByteSize: 0 bytes/workgroup (compile time only)
; SGPRBlocks: 0
; VGPRBlocks: 0
; NumSGPRsForWavesPerEU: 6
; NumVGPRsForWavesPerEU: 1
; AccumOffset: 4
; Occupancy: 8
; WaveLimiterHint : 0
; COMPUTE_PGM_RSRC2:SCRATCH_EN: 0
; COMPUTE_PGM_RSRC2:USER_SGPR: 2
; COMPUTE_PGM_RSRC2:TRAP_HANDLER: 0
; COMPUTE_PGM_RSRC2:TGID_X_EN: 1
; COMPUTE_PGM_RSRC2:TGID_Y_EN: 0
; COMPUTE_PGM_RSRC2:TGID_Z_EN: 0
; COMPUTE_PGM_RSRC2:TIDIG_COMP_CNT: 0
; COMPUTE_PGM_RSRC3_GFX90A:ACCUM_OFFSET: 0
; COMPUTE_PGM_RSRC3_GFX90A:TG_SPLIT: 0
	.section	.text._ZN7rocprim17ROCPRIM_400000_NS6detail17trampoline_kernelINS0_14default_configENS1_35radix_sort_onesweep_config_selectorIbiEEZNS1_34radix_sort_onesweep_global_offsetsIS3_Lb1EN6thrust23THRUST_200600_302600_NS6detail15normal_iteratorINS8_10device_ptrIbEEEENSA_INSB_IiEEEEjNS0_19identity_decomposerEEE10hipError_tT1_T2_PT3_SK_jT4_jjP12ihipStream_tbEUlT_E_NS1_11comp_targetILNS1_3genE3ELNS1_11target_archE908ELNS1_3gpuE7ELNS1_3repE0EEENS1_52radix_sort_onesweep_histogram_config_static_selectorELNS0_4arch9wavefront6targetE1EEEvSI_,"axG",@progbits,_ZN7rocprim17ROCPRIM_400000_NS6detail17trampoline_kernelINS0_14default_configENS1_35radix_sort_onesweep_config_selectorIbiEEZNS1_34radix_sort_onesweep_global_offsetsIS3_Lb1EN6thrust23THRUST_200600_302600_NS6detail15normal_iteratorINS8_10device_ptrIbEEEENSA_INSB_IiEEEEjNS0_19identity_decomposerEEE10hipError_tT1_T2_PT3_SK_jT4_jjP12ihipStream_tbEUlT_E_NS1_11comp_targetILNS1_3genE3ELNS1_11target_archE908ELNS1_3gpuE7ELNS1_3repE0EEENS1_52radix_sort_onesweep_histogram_config_static_selectorELNS0_4arch9wavefront6targetE1EEEvSI_,comdat
	.protected	_ZN7rocprim17ROCPRIM_400000_NS6detail17trampoline_kernelINS0_14default_configENS1_35radix_sort_onesweep_config_selectorIbiEEZNS1_34radix_sort_onesweep_global_offsetsIS3_Lb1EN6thrust23THRUST_200600_302600_NS6detail15normal_iteratorINS8_10device_ptrIbEEEENSA_INSB_IiEEEEjNS0_19identity_decomposerEEE10hipError_tT1_T2_PT3_SK_jT4_jjP12ihipStream_tbEUlT_E_NS1_11comp_targetILNS1_3genE3ELNS1_11target_archE908ELNS1_3gpuE7ELNS1_3repE0EEENS1_52radix_sort_onesweep_histogram_config_static_selectorELNS0_4arch9wavefront6targetE1EEEvSI_ ; -- Begin function _ZN7rocprim17ROCPRIM_400000_NS6detail17trampoline_kernelINS0_14default_configENS1_35radix_sort_onesweep_config_selectorIbiEEZNS1_34radix_sort_onesweep_global_offsetsIS3_Lb1EN6thrust23THRUST_200600_302600_NS6detail15normal_iteratorINS8_10device_ptrIbEEEENSA_INSB_IiEEEEjNS0_19identity_decomposerEEE10hipError_tT1_T2_PT3_SK_jT4_jjP12ihipStream_tbEUlT_E_NS1_11comp_targetILNS1_3genE3ELNS1_11target_archE908ELNS1_3gpuE7ELNS1_3repE0EEENS1_52radix_sort_onesweep_histogram_config_static_selectorELNS0_4arch9wavefront6targetE1EEEvSI_
	.globl	_ZN7rocprim17ROCPRIM_400000_NS6detail17trampoline_kernelINS0_14default_configENS1_35radix_sort_onesweep_config_selectorIbiEEZNS1_34radix_sort_onesweep_global_offsetsIS3_Lb1EN6thrust23THRUST_200600_302600_NS6detail15normal_iteratorINS8_10device_ptrIbEEEENSA_INSB_IiEEEEjNS0_19identity_decomposerEEE10hipError_tT1_T2_PT3_SK_jT4_jjP12ihipStream_tbEUlT_E_NS1_11comp_targetILNS1_3genE3ELNS1_11target_archE908ELNS1_3gpuE7ELNS1_3repE0EEENS1_52radix_sort_onesweep_histogram_config_static_selectorELNS0_4arch9wavefront6targetE1EEEvSI_
	.p2align	8
	.type	_ZN7rocprim17ROCPRIM_400000_NS6detail17trampoline_kernelINS0_14default_configENS1_35radix_sort_onesweep_config_selectorIbiEEZNS1_34radix_sort_onesweep_global_offsetsIS3_Lb1EN6thrust23THRUST_200600_302600_NS6detail15normal_iteratorINS8_10device_ptrIbEEEENSA_INSB_IiEEEEjNS0_19identity_decomposerEEE10hipError_tT1_T2_PT3_SK_jT4_jjP12ihipStream_tbEUlT_E_NS1_11comp_targetILNS1_3genE3ELNS1_11target_archE908ELNS1_3gpuE7ELNS1_3repE0EEENS1_52radix_sort_onesweep_histogram_config_static_selectorELNS0_4arch9wavefront6targetE1EEEvSI_,@function
_ZN7rocprim17ROCPRIM_400000_NS6detail17trampoline_kernelINS0_14default_configENS1_35radix_sort_onesweep_config_selectorIbiEEZNS1_34radix_sort_onesweep_global_offsetsIS3_Lb1EN6thrust23THRUST_200600_302600_NS6detail15normal_iteratorINS8_10device_ptrIbEEEENSA_INSB_IiEEEEjNS0_19identity_decomposerEEE10hipError_tT1_T2_PT3_SK_jT4_jjP12ihipStream_tbEUlT_E_NS1_11comp_targetILNS1_3genE3ELNS1_11target_archE908ELNS1_3gpuE7ELNS1_3repE0EEENS1_52radix_sort_onesweep_histogram_config_static_selectorELNS0_4arch9wavefront6targetE1EEEvSI_: ; @_ZN7rocprim17ROCPRIM_400000_NS6detail17trampoline_kernelINS0_14default_configENS1_35radix_sort_onesweep_config_selectorIbiEEZNS1_34radix_sort_onesweep_global_offsetsIS3_Lb1EN6thrust23THRUST_200600_302600_NS6detail15normal_iteratorINS8_10device_ptrIbEEEENSA_INSB_IiEEEEjNS0_19identity_decomposerEEE10hipError_tT1_T2_PT3_SK_jT4_jjP12ihipStream_tbEUlT_E_NS1_11comp_targetILNS1_3genE3ELNS1_11target_archE908ELNS1_3gpuE7ELNS1_3repE0EEENS1_52radix_sort_onesweep_histogram_config_static_selectorELNS0_4arch9wavefront6targetE1EEEvSI_
; %bb.0:
	.section	.rodata,"a",@progbits
	.p2align	6, 0x0
	.amdhsa_kernel _ZN7rocprim17ROCPRIM_400000_NS6detail17trampoline_kernelINS0_14default_configENS1_35radix_sort_onesweep_config_selectorIbiEEZNS1_34radix_sort_onesweep_global_offsetsIS3_Lb1EN6thrust23THRUST_200600_302600_NS6detail15normal_iteratorINS8_10device_ptrIbEEEENSA_INSB_IiEEEEjNS0_19identity_decomposerEEE10hipError_tT1_T2_PT3_SK_jT4_jjP12ihipStream_tbEUlT_E_NS1_11comp_targetILNS1_3genE3ELNS1_11target_archE908ELNS1_3gpuE7ELNS1_3repE0EEENS1_52radix_sort_onesweep_histogram_config_static_selectorELNS0_4arch9wavefront6targetE1EEEvSI_
		.amdhsa_group_segment_fixed_size 0
		.amdhsa_private_segment_fixed_size 0
		.amdhsa_kernarg_size 40
		.amdhsa_user_sgpr_count 2
		.amdhsa_user_sgpr_dispatch_ptr 0
		.amdhsa_user_sgpr_queue_ptr 0
		.amdhsa_user_sgpr_kernarg_segment_ptr 1
		.amdhsa_user_sgpr_dispatch_id 0
		.amdhsa_user_sgpr_kernarg_preload_length 0
		.amdhsa_user_sgpr_kernarg_preload_offset 0
		.amdhsa_user_sgpr_private_segment_size 0
		.amdhsa_uses_dynamic_stack 0
		.amdhsa_enable_private_segment 0
		.amdhsa_system_sgpr_workgroup_id_x 1
		.amdhsa_system_sgpr_workgroup_id_y 0
		.amdhsa_system_sgpr_workgroup_id_z 0
		.amdhsa_system_sgpr_workgroup_info 0
		.amdhsa_system_vgpr_workitem_id 0
		.amdhsa_next_free_vgpr 1
		.amdhsa_next_free_sgpr 0
		.amdhsa_accum_offset 4
		.amdhsa_reserve_vcc 0
		.amdhsa_float_round_mode_32 0
		.amdhsa_float_round_mode_16_64 0
		.amdhsa_float_denorm_mode_32 3
		.amdhsa_float_denorm_mode_16_64 3
		.amdhsa_dx10_clamp 1
		.amdhsa_ieee_mode 1
		.amdhsa_fp16_overflow 0
		.amdhsa_tg_split 0
		.amdhsa_exception_fp_ieee_invalid_op 0
		.amdhsa_exception_fp_denorm_src 0
		.amdhsa_exception_fp_ieee_div_zero 0
		.amdhsa_exception_fp_ieee_overflow 0
		.amdhsa_exception_fp_ieee_underflow 0
		.amdhsa_exception_fp_ieee_inexact 0
		.amdhsa_exception_int_div_zero 0
	.end_amdhsa_kernel
	.section	.text._ZN7rocprim17ROCPRIM_400000_NS6detail17trampoline_kernelINS0_14default_configENS1_35radix_sort_onesweep_config_selectorIbiEEZNS1_34radix_sort_onesweep_global_offsetsIS3_Lb1EN6thrust23THRUST_200600_302600_NS6detail15normal_iteratorINS8_10device_ptrIbEEEENSA_INSB_IiEEEEjNS0_19identity_decomposerEEE10hipError_tT1_T2_PT3_SK_jT4_jjP12ihipStream_tbEUlT_E_NS1_11comp_targetILNS1_3genE3ELNS1_11target_archE908ELNS1_3gpuE7ELNS1_3repE0EEENS1_52radix_sort_onesweep_histogram_config_static_selectorELNS0_4arch9wavefront6targetE1EEEvSI_,"axG",@progbits,_ZN7rocprim17ROCPRIM_400000_NS6detail17trampoline_kernelINS0_14default_configENS1_35radix_sort_onesweep_config_selectorIbiEEZNS1_34radix_sort_onesweep_global_offsetsIS3_Lb1EN6thrust23THRUST_200600_302600_NS6detail15normal_iteratorINS8_10device_ptrIbEEEENSA_INSB_IiEEEEjNS0_19identity_decomposerEEE10hipError_tT1_T2_PT3_SK_jT4_jjP12ihipStream_tbEUlT_E_NS1_11comp_targetILNS1_3genE3ELNS1_11target_archE908ELNS1_3gpuE7ELNS1_3repE0EEENS1_52radix_sort_onesweep_histogram_config_static_selectorELNS0_4arch9wavefront6targetE1EEEvSI_,comdat
.Lfunc_end2205:
	.size	_ZN7rocprim17ROCPRIM_400000_NS6detail17trampoline_kernelINS0_14default_configENS1_35radix_sort_onesweep_config_selectorIbiEEZNS1_34radix_sort_onesweep_global_offsetsIS3_Lb1EN6thrust23THRUST_200600_302600_NS6detail15normal_iteratorINS8_10device_ptrIbEEEENSA_INSB_IiEEEEjNS0_19identity_decomposerEEE10hipError_tT1_T2_PT3_SK_jT4_jjP12ihipStream_tbEUlT_E_NS1_11comp_targetILNS1_3genE3ELNS1_11target_archE908ELNS1_3gpuE7ELNS1_3repE0EEENS1_52radix_sort_onesweep_histogram_config_static_selectorELNS0_4arch9wavefront6targetE1EEEvSI_, .Lfunc_end2205-_ZN7rocprim17ROCPRIM_400000_NS6detail17trampoline_kernelINS0_14default_configENS1_35radix_sort_onesweep_config_selectorIbiEEZNS1_34radix_sort_onesweep_global_offsetsIS3_Lb1EN6thrust23THRUST_200600_302600_NS6detail15normal_iteratorINS8_10device_ptrIbEEEENSA_INSB_IiEEEEjNS0_19identity_decomposerEEE10hipError_tT1_T2_PT3_SK_jT4_jjP12ihipStream_tbEUlT_E_NS1_11comp_targetILNS1_3genE3ELNS1_11target_archE908ELNS1_3gpuE7ELNS1_3repE0EEENS1_52radix_sort_onesweep_histogram_config_static_selectorELNS0_4arch9wavefront6targetE1EEEvSI_
                                        ; -- End function
	.set _ZN7rocprim17ROCPRIM_400000_NS6detail17trampoline_kernelINS0_14default_configENS1_35radix_sort_onesweep_config_selectorIbiEEZNS1_34radix_sort_onesweep_global_offsetsIS3_Lb1EN6thrust23THRUST_200600_302600_NS6detail15normal_iteratorINS8_10device_ptrIbEEEENSA_INSB_IiEEEEjNS0_19identity_decomposerEEE10hipError_tT1_T2_PT3_SK_jT4_jjP12ihipStream_tbEUlT_E_NS1_11comp_targetILNS1_3genE3ELNS1_11target_archE908ELNS1_3gpuE7ELNS1_3repE0EEENS1_52radix_sort_onesweep_histogram_config_static_selectorELNS0_4arch9wavefront6targetE1EEEvSI_.num_vgpr, 0
	.set _ZN7rocprim17ROCPRIM_400000_NS6detail17trampoline_kernelINS0_14default_configENS1_35radix_sort_onesweep_config_selectorIbiEEZNS1_34radix_sort_onesweep_global_offsetsIS3_Lb1EN6thrust23THRUST_200600_302600_NS6detail15normal_iteratorINS8_10device_ptrIbEEEENSA_INSB_IiEEEEjNS0_19identity_decomposerEEE10hipError_tT1_T2_PT3_SK_jT4_jjP12ihipStream_tbEUlT_E_NS1_11comp_targetILNS1_3genE3ELNS1_11target_archE908ELNS1_3gpuE7ELNS1_3repE0EEENS1_52radix_sort_onesweep_histogram_config_static_selectorELNS0_4arch9wavefront6targetE1EEEvSI_.num_agpr, 0
	.set _ZN7rocprim17ROCPRIM_400000_NS6detail17trampoline_kernelINS0_14default_configENS1_35radix_sort_onesweep_config_selectorIbiEEZNS1_34radix_sort_onesweep_global_offsetsIS3_Lb1EN6thrust23THRUST_200600_302600_NS6detail15normal_iteratorINS8_10device_ptrIbEEEENSA_INSB_IiEEEEjNS0_19identity_decomposerEEE10hipError_tT1_T2_PT3_SK_jT4_jjP12ihipStream_tbEUlT_E_NS1_11comp_targetILNS1_3genE3ELNS1_11target_archE908ELNS1_3gpuE7ELNS1_3repE0EEENS1_52radix_sort_onesweep_histogram_config_static_selectorELNS0_4arch9wavefront6targetE1EEEvSI_.numbered_sgpr, 0
	.set _ZN7rocprim17ROCPRIM_400000_NS6detail17trampoline_kernelINS0_14default_configENS1_35radix_sort_onesweep_config_selectorIbiEEZNS1_34radix_sort_onesweep_global_offsetsIS3_Lb1EN6thrust23THRUST_200600_302600_NS6detail15normal_iteratorINS8_10device_ptrIbEEEENSA_INSB_IiEEEEjNS0_19identity_decomposerEEE10hipError_tT1_T2_PT3_SK_jT4_jjP12ihipStream_tbEUlT_E_NS1_11comp_targetILNS1_3genE3ELNS1_11target_archE908ELNS1_3gpuE7ELNS1_3repE0EEENS1_52radix_sort_onesweep_histogram_config_static_selectorELNS0_4arch9wavefront6targetE1EEEvSI_.num_named_barrier, 0
	.set _ZN7rocprim17ROCPRIM_400000_NS6detail17trampoline_kernelINS0_14default_configENS1_35radix_sort_onesweep_config_selectorIbiEEZNS1_34radix_sort_onesweep_global_offsetsIS3_Lb1EN6thrust23THRUST_200600_302600_NS6detail15normal_iteratorINS8_10device_ptrIbEEEENSA_INSB_IiEEEEjNS0_19identity_decomposerEEE10hipError_tT1_T2_PT3_SK_jT4_jjP12ihipStream_tbEUlT_E_NS1_11comp_targetILNS1_3genE3ELNS1_11target_archE908ELNS1_3gpuE7ELNS1_3repE0EEENS1_52radix_sort_onesweep_histogram_config_static_selectorELNS0_4arch9wavefront6targetE1EEEvSI_.private_seg_size, 0
	.set _ZN7rocprim17ROCPRIM_400000_NS6detail17trampoline_kernelINS0_14default_configENS1_35radix_sort_onesweep_config_selectorIbiEEZNS1_34radix_sort_onesweep_global_offsetsIS3_Lb1EN6thrust23THRUST_200600_302600_NS6detail15normal_iteratorINS8_10device_ptrIbEEEENSA_INSB_IiEEEEjNS0_19identity_decomposerEEE10hipError_tT1_T2_PT3_SK_jT4_jjP12ihipStream_tbEUlT_E_NS1_11comp_targetILNS1_3genE3ELNS1_11target_archE908ELNS1_3gpuE7ELNS1_3repE0EEENS1_52radix_sort_onesweep_histogram_config_static_selectorELNS0_4arch9wavefront6targetE1EEEvSI_.uses_vcc, 0
	.set _ZN7rocprim17ROCPRIM_400000_NS6detail17trampoline_kernelINS0_14default_configENS1_35radix_sort_onesweep_config_selectorIbiEEZNS1_34radix_sort_onesweep_global_offsetsIS3_Lb1EN6thrust23THRUST_200600_302600_NS6detail15normal_iteratorINS8_10device_ptrIbEEEENSA_INSB_IiEEEEjNS0_19identity_decomposerEEE10hipError_tT1_T2_PT3_SK_jT4_jjP12ihipStream_tbEUlT_E_NS1_11comp_targetILNS1_3genE3ELNS1_11target_archE908ELNS1_3gpuE7ELNS1_3repE0EEENS1_52radix_sort_onesweep_histogram_config_static_selectorELNS0_4arch9wavefront6targetE1EEEvSI_.uses_flat_scratch, 0
	.set _ZN7rocprim17ROCPRIM_400000_NS6detail17trampoline_kernelINS0_14default_configENS1_35radix_sort_onesweep_config_selectorIbiEEZNS1_34radix_sort_onesweep_global_offsetsIS3_Lb1EN6thrust23THRUST_200600_302600_NS6detail15normal_iteratorINS8_10device_ptrIbEEEENSA_INSB_IiEEEEjNS0_19identity_decomposerEEE10hipError_tT1_T2_PT3_SK_jT4_jjP12ihipStream_tbEUlT_E_NS1_11comp_targetILNS1_3genE3ELNS1_11target_archE908ELNS1_3gpuE7ELNS1_3repE0EEENS1_52radix_sort_onesweep_histogram_config_static_selectorELNS0_4arch9wavefront6targetE1EEEvSI_.has_dyn_sized_stack, 0
	.set _ZN7rocprim17ROCPRIM_400000_NS6detail17trampoline_kernelINS0_14default_configENS1_35radix_sort_onesweep_config_selectorIbiEEZNS1_34radix_sort_onesweep_global_offsetsIS3_Lb1EN6thrust23THRUST_200600_302600_NS6detail15normal_iteratorINS8_10device_ptrIbEEEENSA_INSB_IiEEEEjNS0_19identity_decomposerEEE10hipError_tT1_T2_PT3_SK_jT4_jjP12ihipStream_tbEUlT_E_NS1_11comp_targetILNS1_3genE3ELNS1_11target_archE908ELNS1_3gpuE7ELNS1_3repE0EEENS1_52radix_sort_onesweep_histogram_config_static_selectorELNS0_4arch9wavefront6targetE1EEEvSI_.has_recursion, 0
	.set _ZN7rocprim17ROCPRIM_400000_NS6detail17trampoline_kernelINS0_14default_configENS1_35radix_sort_onesweep_config_selectorIbiEEZNS1_34radix_sort_onesweep_global_offsetsIS3_Lb1EN6thrust23THRUST_200600_302600_NS6detail15normal_iteratorINS8_10device_ptrIbEEEENSA_INSB_IiEEEEjNS0_19identity_decomposerEEE10hipError_tT1_T2_PT3_SK_jT4_jjP12ihipStream_tbEUlT_E_NS1_11comp_targetILNS1_3genE3ELNS1_11target_archE908ELNS1_3gpuE7ELNS1_3repE0EEENS1_52radix_sort_onesweep_histogram_config_static_selectorELNS0_4arch9wavefront6targetE1EEEvSI_.has_indirect_call, 0
	.section	.AMDGPU.csdata,"",@progbits
; Kernel info:
; codeLenInByte = 0
; TotalNumSgprs: 6
; NumVgprs: 0
; NumAgprs: 0
; TotalNumVgprs: 0
; ScratchSize: 0
; MemoryBound: 0
; FloatMode: 240
; IeeeMode: 1
; LDSByteSize: 0 bytes/workgroup (compile time only)
; SGPRBlocks: 0
; VGPRBlocks: 0
; NumSGPRsForWavesPerEU: 6
; NumVGPRsForWavesPerEU: 1
; AccumOffset: 4
; Occupancy: 8
; WaveLimiterHint : 0
; COMPUTE_PGM_RSRC2:SCRATCH_EN: 0
; COMPUTE_PGM_RSRC2:USER_SGPR: 2
; COMPUTE_PGM_RSRC2:TRAP_HANDLER: 0
; COMPUTE_PGM_RSRC2:TGID_X_EN: 1
; COMPUTE_PGM_RSRC2:TGID_Y_EN: 0
; COMPUTE_PGM_RSRC2:TGID_Z_EN: 0
; COMPUTE_PGM_RSRC2:TIDIG_COMP_CNT: 0
; COMPUTE_PGM_RSRC3_GFX90A:ACCUM_OFFSET: 0
; COMPUTE_PGM_RSRC3_GFX90A:TG_SPLIT: 0
	.section	.text._ZN7rocprim17ROCPRIM_400000_NS6detail17trampoline_kernelINS0_14default_configENS1_35radix_sort_onesweep_config_selectorIbiEEZNS1_34radix_sort_onesweep_global_offsetsIS3_Lb1EN6thrust23THRUST_200600_302600_NS6detail15normal_iteratorINS8_10device_ptrIbEEEENSA_INSB_IiEEEEjNS0_19identity_decomposerEEE10hipError_tT1_T2_PT3_SK_jT4_jjP12ihipStream_tbEUlT_E_NS1_11comp_targetILNS1_3genE10ELNS1_11target_archE1201ELNS1_3gpuE5ELNS1_3repE0EEENS1_52radix_sort_onesweep_histogram_config_static_selectorELNS0_4arch9wavefront6targetE1EEEvSI_,"axG",@progbits,_ZN7rocprim17ROCPRIM_400000_NS6detail17trampoline_kernelINS0_14default_configENS1_35radix_sort_onesweep_config_selectorIbiEEZNS1_34radix_sort_onesweep_global_offsetsIS3_Lb1EN6thrust23THRUST_200600_302600_NS6detail15normal_iteratorINS8_10device_ptrIbEEEENSA_INSB_IiEEEEjNS0_19identity_decomposerEEE10hipError_tT1_T2_PT3_SK_jT4_jjP12ihipStream_tbEUlT_E_NS1_11comp_targetILNS1_3genE10ELNS1_11target_archE1201ELNS1_3gpuE5ELNS1_3repE0EEENS1_52radix_sort_onesweep_histogram_config_static_selectorELNS0_4arch9wavefront6targetE1EEEvSI_,comdat
	.protected	_ZN7rocprim17ROCPRIM_400000_NS6detail17trampoline_kernelINS0_14default_configENS1_35radix_sort_onesweep_config_selectorIbiEEZNS1_34radix_sort_onesweep_global_offsetsIS3_Lb1EN6thrust23THRUST_200600_302600_NS6detail15normal_iteratorINS8_10device_ptrIbEEEENSA_INSB_IiEEEEjNS0_19identity_decomposerEEE10hipError_tT1_T2_PT3_SK_jT4_jjP12ihipStream_tbEUlT_E_NS1_11comp_targetILNS1_3genE10ELNS1_11target_archE1201ELNS1_3gpuE5ELNS1_3repE0EEENS1_52radix_sort_onesweep_histogram_config_static_selectorELNS0_4arch9wavefront6targetE1EEEvSI_ ; -- Begin function _ZN7rocprim17ROCPRIM_400000_NS6detail17trampoline_kernelINS0_14default_configENS1_35radix_sort_onesweep_config_selectorIbiEEZNS1_34radix_sort_onesweep_global_offsetsIS3_Lb1EN6thrust23THRUST_200600_302600_NS6detail15normal_iteratorINS8_10device_ptrIbEEEENSA_INSB_IiEEEEjNS0_19identity_decomposerEEE10hipError_tT1_T2_PT3_SK_jT4_jjP12ihipStream_tbEUlT_E_NS1_11comp_targetILNS1_3genE10ELNS1_11target_archE1201ELNS1_3gpuE5ELNS1_3repE0EEENS1_52radix_sort_onesweep_histogram_config_static_selectorELNS0_4arch9wavefront6targetE1EEEvSI_
	.globl	_ZN7rocprim17ROCPRIM_400000_NS6detail17trampoline_kernelINS0_14default_configENS1_35radix_sort_onesweep_config_selectorIbiEEZNS1_34radix_sort_onesweep_global_offsetsIS3_Lb1EN6thrust23THRUST_200600_302600_NS6detail15normal_iteratorINS8_10device_ptrIbEEEENSA_INSB_IiEEEEjNS0_19identity_decomposerEEE10hipError_tT1_T2_PT3_SK_jT4_jjP12ihipStream_tbEUlT_E_NS1_11comp_targetILNS1_3genE10ELNS1_11target_archE1201ELNS1_3gpuE5ELNS1_3repE0EEENS1_52radix_sort_onesweep_histogram_config_static_selectorELNS0_4arch9wavefront6targetE1EEEvSI_
	.p2align	8
	.type	_ZN7rocprim17ROCPRIM_400000_NS6detail17trampoline_kernelINS0_14default_configENS1_35radix_sort_onesweep_config_selectorIbiEEZNS1_34radix_sort_onesweep_global_offsetsIS3_Lb1EN6thrust23THRUST_200600_302600_NS6detail15normal_iteratorINS8_10device_ptrIbEEEENSA_INSB_IiEEEEjNS0_19identity_decomposerEEE10hipError_tT1_T2_PT3_SK_jT4_jjP12ihipStream_tbEUlT_E_NS1_11comp_targetILNS1_3genE10ELNS1_11target_archE1201ELNS1_3gpuE5ELNS1_3repE0EEENS1_52radix_sort_onesweep_histogram_config_static_selectorELNS0_4arch9wavefront6targetE1EEEvSI_,@function
_ZN7rocprim17ROCPRIM_400000_NS6detail17trampoline_kernelINS0_14default_configENS1_35radix_sort_onesweep_config_selectorIbiEEZNS1_34radix_sort_onesweep_global_offsetsIS3_Lb1EN6thrust23THRUST_200600_302600_NS6detail15normal_iteratorINS8_10device_ptrIbEEEENSA_INSB_IiEEEEjNS0_19identity_decomposerEEE10hipError_tT1_T2_PT3_SK_jT4_jjP12ihipStream_tbEUlT_E_NS1_11comp_targetILNS1_3genE10ELNS1_11target_archE1201ELNS1_3gpuE5ELNS1_3repE0EEENS1_52radix_sort_onesweep_histogram_config_static_selectorELNS0_4arch9wavefront6targetE1EEEvSI_: ; @_ZN7rocprim17ROCPRIM_400000_NS6detail17trampoline_kernelINS0_14default_configENS1_35radix_sort_onesweep_config_selectorIbiEEZNS1_34radix_sort_onesweep_global_offsetsIS3_Lb1EN6thrust23THRUST_200600_302600_NS6detail15normal_iteratorINS8_10device_ptrIbEEEENSA_INSB_IiEEEEjNS0_19identity_decomposerEEE10hipError_tT1_T2_PT3_SK_jT4_jjP12ihipStream_tbEUlT_E_NS1_11comp_targetILNS1_3genE10ELNS1_11target_archE1201ELNS1_3gpuE5ELNS1_3repE0EEENS1_52radix_sort_onesweep_histogram_config_static_selectorELNS0_4arch9wavefront6targetE1EEEvSI_
; %bb.0:
	.section	.rodata,"a",@progbits
	.p2align	6, 0x0
	.amdhsa_kernel _ZN7rocprim17ROCPRIM_400000_NS6detail17trampoline_kernelINS0_14default_configENS1_35radix_sort_onesweep_config_selectorIbiEEZNS1_34radix_sort_onesweep_global_offsetsIS3_Lb1EN6thrust23THRUST_200600_302600_NS6detail15normal_iteratorINS8_10device_ptrIbEEEENSA_INSB_IiEEEEjNS0_19identity_decomposerEEE10hipError_tT1_T2_PT3_SK_jT4_jjP12ihipStream_tbEUlT_E_NS1_11comp_targetILNS1_3genE10ELNS1_11target_archE1201ELNS1_3gpuE5ELNS1_3repE0EEENS1_52radix_sort_onesweep_histogram_config_static_selectorELNS0_4arch9wavefront6targetE1EEEvSI_
		.amdhsa_group_segment_fixed_size 0
		.amdhsa_private_segment_fixed_size 0
		.amdhsa_kernarg_size 40
		.amdhsa_user_sgpr_count 2
		.amdhsa_user_sgpr_dispatch_ptr 0
		.amdhsa_user_sgpr_queue_ptr 0
		.amdhsa_user_sgpr_kernarg_segment_ptr 1
		.amdhsa_user_sgpr_dispatch_id 0
		.amdhsa_user_sgpr_kernarg_preload_length 0
		.amdhsa_user_sgpr_kernarg_preload_offset 0
		.amdhsa_user_sgpr_private_segment_size 0
		.amdhsa_uses_dynamic_stack 0
		.amdhsa_enable_private_segment 0
		.amdhsa_system_sgpr_workgroup_id_x 1
		.amdhsa_system_sgpr_workgroup_id_y 0
		.amdhsa_system_sgpr_workgroup_id_z 0
		.amdhsa_system_sgpr_workgroup_info 0
		.amdhsa_system_vgpr_workitem_id 0
		.amdhsa_next_free_vgpr 1
		.amdhsa_next_free_sgpr 0
		.amdhsa_accum_offset 4
		.amdhsa_reserve_vcc 0
		.amdhsa_float_round_mode_32 0
		.amdhsa_float_round_mode_16_64 0
		.amdhsa_float_denorm_mode_32 3
		.amdhsa_float_denorm_mode_16_64 3
		.amdhsa_dx10_clamp 1
		.amdhsa_ieee_mode 1
		.amdhsa_fp16_overflow 0
		.amdhsa_tg_split 0
		.amdhsa_exception_fp_ieee_invalid_op 0
		.amdhsa_exception_fp_denorm_src 0
		.amdhsa_exception_fp_ieee_div_zero 0
		.amdhsa_exception_fp_ieee_overflow 0
		.amdhsa_exception_fp_ieee_underflow 0
		.amdhsa_exception_fp_ieee_inexact 0
		.amdhsa_exception_int_div_zero 0
	.end_amdhsa_kernel
	.section	.text._ZN7rocprim17ROCPRIM_400000_NS6detail17trampoline_kernelINS0_14default_configENS1_35radix_sort_onesweep_config_selectorIbiEEZNS1_34radix_sort_onesweep_global_offsetsIS3_Lb1EN6thrust23THRUST_200600_302600_NS6detail15normal_iteratorINS8_10device_ptrIbEEEENSA_INSB_IiEEEEjNS0_19identity_decomposerEEE10hipError_tT1_T2_PT3_SK_jT4_jjP12ihipStream_tbEUlT_E_NS1_11comp_targetILNS1_3genE10ELNS1_11target_archE1201ELNS1_3gpuE5ELNS1_3repE0EEENS1_52radix_sort_onesweep_histogram_config_static_selectorELNS0_4arch9wavefront6targetE1EEEvSI_,"axG",@progbits,_ZN7rocprim17ROCPRIM_400000_NS6detail17trampoline_kernelINS0_14default_configENS1_35radix_sort_onesweep_config_selectorIbiEEZNS1_34radix_sort_onesweep_global_offsetsIS3_Lb1EN6thrust23THRUST_200600_302600_NS6detail15normal_iteratorINS8_10device_ptrIbEEEENSA_INSB_IiEEEEjNS0_19identity_decomposerEEE10hipError_tT1_T2_PT3_SK_jT4_jjP12ihipStream_tbEUlT_E_NS1_11comp_targetILNS1_3genE10ELNS1_11target_archE1201ELNS1_3gpuE5ELNS1_3repE0EEENS1_52radix_sort_onesweep_histogram_config_static_selectorELNS0_4arch9wavefront6targetE1EEEvSI_,comdat
.Lfunc_end2206:
	.size	_ZN7rocprim17ROCPRIM_400000_NS6detail17trampoline_kernelINS0_14default_configENS1_35radix_sort_onesweep_config_selectorIbiEEZNS1_34radix_sort_onesweep_global_offsetsIS3_Lb1EN6thrust23THRUST_200600_302600_NS6detail15normal_iteratorINS8_10device_ptrIbEEEENSA_INSB_IiEEEEjNS0_19identity_decomposerEEE10hipError_tT1_T2_PT3_SK_jT4_jjP12ihipStream_tbEUlT_E_NS1_11comp_targetILNS1_3genE10ELNS1_11target_archE1201ELNS1_3gpuE5ELNS1_3repE0EEENS1_52radix_sort_onesweep_histogram_config_static_selectorELNS0_4arch9wavefront6targetE1EEEvSI_, .Lfunc_end2206-_ZN7rocprim17ROCPRIM_400000_NS6detail17trampoline_kernelINS0_14default_configENS1_35radix_sort_onesweep_config_selectorIbiEEZNS1_34radix_sort_onesweep_global_offsetsIS3_Lb1EN6thrust23THRUST_200600_302600_NS6detail15normal_iteratorINS8_10device_ptrIbEEEENSA_INSB_IiEEEEjNS0_19identity_decomposerEEE10hipError_tT1_T2_PT3_SK_jT4_jjP12ihipStream_tbEUlT_E_NS1_11comp_targetILNS1_3genE10ELNS1_11target_archE1201ELNS1_3gpuE5ELNS1_3repE0EEENS1_52radix_sort_onesweep_histogram_config_static_selectorELNS0_4arch9wavefront6targetE1EEEvSI_
                                        ; -- End function
	.set _ZN7rocprim17ROCPRIM_400000_NS6detail17trampoline_kernelINS0_14default_configENS1_35radix_sort_onesweep_config_selectorIbiEEZNS1_34radix_sort_onesweep_global_offsetsIS3_Lb1EN6thrust23THRUST_200600_302600_NS6detail15normal_iteratorINS8_10device_ptrIbEEEENSA_INSB_IiEEEEjNS0_19identity_decomposerEEE10hipError_tT1_T2_PT3_SK_jT4_jjP12ihipStream_tbEUlT_E_NS1_11comp_targetILNS1_3genE10ELNS1_11target_archE1201ELNS1_3gpuE5ELNS1_3repE0EEENS1_52radix_sort_onesweep_histogram_config_static_selectorELNS0_4arch9wavefront6targetE1EEEvSI_.num_vgpr, 0
	.set _ZN7rocprim17ROCPRIM_400000_NS6detail17trampoline_kernelINS0_14default_configENS1_35radix_sort_onesweep_config_selectorIbiEEZNS1_34radix_sort_onesweep_global_offsetsIS3_Lb1EN6thrust23THRUST_200600_302600_NS6detail15normal_iteratorINS8_10device_ptrIbEEEENSA_INSB_IiEEEEjNS0_19identity_decomposerEEE10hipError_tT1_T2_PT3_SK_jT4_jjP12ihipStream_tbEUlT_E_NS1_11comp_targetILNS1_3genE10ELNS1_11target_archE1201ELNS1_3gpuE5ELNS1_3repE0EEENS1_52radix_sort_onesweep_histogram_config_static_selectorELNS0_4arch9wavefront6targetE1EEEvSI_.num_agpr, 0
	.set _ZN7rocprim17ROCPRIM_400000_NS6detail17trampoline_kernelINS0_14default_configENS1_35radix_sort_onesweep_config_selectorIbiEEZNS1_34radix_sort_onesweep_global_offsetsIS3_Lb1EN6thrust23THRUST_200600_302600_NS6detail15normal_iteratorINS8_10device_ptrIbEEEENSA_INSB_IiEEEEjNS0_19identity_decomposerEEE10hipError_tT1_T2_PT3_SK_jT4_jjP12ihipStream_tbEUlT_E_NS1_11comp_targetILNS1_3genE10ELNS1_11target_archE1201ELNS1_3gpuE5ELNS1_3repE0EEENS1_52radix_sort_onesweep_histogram_config_static_selectorELNS0_4arch9wavefront6targetE1EEEvSI_.numbered_sgpr, 0
	.set _ZN7rocprim17ROCPRIM_400000_NS6detail17trampoline_kernelINS0_14default_configENS1_35radix_sort_onesweep_config_selectorIbiEEZNS1_34radix_sort_onesweep_global_offsetsIS3_Lb1EN6thrust23THRUST_200600_302600_NS6detail15normal_iteratorINS8_10device_ptrIbEEEENSA_INSB_IiEEEEjNS0_19identity_decomposerEEE10hipError_tT1_T2_PT3_SK_jT4_jjP12ihipStream_tbEUlT_E_NS1_11comp_targetILNS1_3genE10ELNS1_11target_archE1201ELNS1_3gpuE5ELNS1_3repE0EEENS1_52radix_sort_onesweep_histogram_config_static_selectorELNS0_4arch9wavefront6targetE1EEEvSI_.num_named_barrier, 0
	.set _ZN7rocprim17ROCPRIM_400000_NS6detail17trampoline_kernelINS0_14default_configENS1_35radix_sort_onesweep_config_selectorIbiEEZNS1_34radix_sort_onesweep_global_offsetsIS3_Lb1EN6thrust23THRUST_200600_302600_NS6detail15normal_iteratorINS8_10device_ptrIbEEEENSA_INSB_IiEEEEjNS0_19identity_decomposerEEE10hipError_tT1_T2_PT3_SK_jT4_jjP12ihipStream_tbEUlT_E_NS1_11comp_targetILNS1_3genE10ELNS1_11target_archE1201ELNS1_3gpuE5ELNS1_3repE0EEENS1_52radix_sort_onesweep_histogram_config_static_selectorELNS0_4arch9wavefront6targetE1EEEvSI_.private_seg_size, 0
	.set _ZN7rocprim17ROCPRIM_400000_NS6detail17trampoline_kernelINS0_14default_configENS1_35radix_sort_onesweep_config_selectorIbiEEZNS1_34radix_sort_onesweep_global_offsetsIS3_Lb1EN6thrust23THRUST_200600_302600_NS6detail15normal_iteratorINS8_10device_ptrIbEEEENSA_INSB_IiEEEEjNS0_19identity_decomposerEEE10hipError_tT1_T2_PT3_SK_jT4_jjP12ihipStream_tbEUlT_E_NS1_11comp_targetILNS1_3genE10ELNS1_11target_archE1201ELNS1_3gpuE5ELNS1_3repE0EEENS1_52radix_sort_onesweep_histogram_config_static_selectorELNS0_4arch9wavefront6targetE1EEEvSI_.uses_vcc, 0
	.set _ZN7rocprim17ROCPRIM_400000_NS6detail17trampoline_kernelINS0_14default_configENS1_35radix_sort_onesweep_config_selectorIbiEEZNS1_34radix_sort_onesweep_global_offsetsIS3_Lb1EN6thrust23THRUST_200600_302600_NS6detail15normal_iteratorINS8_10device_ptrIbEEEENSA_INSB_IiEEEEjNS0_19identity_decomposerEEE10hipError_tT1_T2_PT3_SK_jT4_jjP12ihipStream_tbEUlT_E_NS1_11comp_targetILNS1_3genE10ELNS1_11target_archE1201ELNS1_3gpuE5ELNS1_3repE0EEENS1_52radix_sort_onesweep_histogram_config_static_selectorELNS0_4arch9wavefront6targetE1EEEvSI_.uses_flat_scratch, 0
	.set _ZN7rocprim17ROCPRIM_400000_NS6detail17trampoline_kernelINS0_14default_configENS1_35radix_sort_onesweep_config_selectorIbiEEZNS1_34radix_sort_onesweep_global_offsetsIS3_Lb1EN6thrust23THRUST_200600_302600_NS6detail15normal_iteratorINS8_10device_ptrIbEEEENSA_INSB_IiEEEEjNS0_19identity_decomposerEEE10hipError_tT1_T2_PT3_SK_jT4_jjP12ihipStream_tbEUlT_E_NS1_11comp_targetILNS1_3genE10ELNS1_11target_archE1201ELNS1_3gpuE5ELNS1_3repE0EEENS1_52radix_sort_onesweep_histogram_config_static_selectorELNS0_4arch9wavefront6targetE1EEEvSI_.has_dyn_sized_stack, 0
	.set _ZN7rocprim17ROCPRIM_400000_NS6detail17trampoline_kernelINS0_14default_configENS1_35radix_sort_onesweep_config_selectorIbiEEZNS1_34radix_sort_onesweep_global_offsetsIS3_Lb1EN6thrust23THRUST_200600_302600_NS6detail15normal_iteratorINS8_10device_ptrIbEEEENSA_INSB_IiEEEEjNS0_19identity_decomposerEEE10hipError_tT1_T2_PT3_SK_jT4_jjP12ihipStream_tbEUlT_E_NS1_11comp_targetILNS1_3genE10ELNS1_11target_archE1201ELNS1_3gpuE5ELNS1_3repE0EEENS1_52radix_sort_onesweep_histogram_config_static_selectorELNS0_4arch9wavefront6targetE1EEEvSI_.has_recursion, 0
	.set _ZN7rocprim17ROCPRIM_400000_NS6detail17trampoline_kernelINS0_14default_configENS1_35radix_sort_onesweep_config_selectorIbiEEZNS1_34radix_sort_onesweep_global_offsetsIS3_Lb1EN6thrust23THRUST_200600_302600_NS6detail15normal_iteratorINS8_10device_ptrIbEEEENSA_INSB_IiEEEEjNS0_19identity_decomposerEEE10hipError_tT1_T2_PT3_SK_jT4_jjP12ihipStream_tbEUlT_E_NS1_11comp_targetILNS1_3genE10ELNS1_11target_archE1201ELNS1_3gpuE5ELNS1_3repE0EEENS1_52radix_sort_onesweep_histogram_config_static_selectorELNS0_4arch9wavefront6targetE1EEEvSI_.has_indirect_call, 0
	.section	.AMDGPU.csdata,"",@progbits
; Kernel info:
; codeLenInByte = 0
; TotalNumSgprs: 6
; NumVgprs: 0
; NumAgprs: 0
; TotalNumVgprs: 0
; ScratchSize: 0
; MemoryBound: 0
; FloatMode: 240
; IeeeMode: 1
; LDSByteSize: 0 bytes/workgroup (compile time only)
; SGPRBlocks: 0
; VGPRBlocks: 0
; NumSGPRsForWavesPerEU: 6
; NumVGPRsForWavesPerEU: 1
; AccumOffset: 4
; Occupancy: 8
; WaveLimiterHint : 0
; COMPUTE_PGM_RSRC2:SCRATCH_EN: 0
; COMPUTE_PGM_RSRC2:USER_SGPR: 2
; COMPUTE_PGM_RSRC2:TRAP_HANDLER: 0
; COMPUTE_PGM_RSRC2:TGID_X_EN: 1
; COMPUTE_PGM_RSRC2:TGID_Y_EN: 0
; COMPUTE_PGM_RSRC2:TGID_Z_EN: 0
; COMPUTE_PGM_RSRC2:TIDIG_COMP_CNT: 0
; COMPUTE_PGM_RSRC3_GFX90A:ACCUM_OFFSET: 0
; COMPUTE_PGM_RSRC3_GFX90A:TG_SPLIT: 0
	.section	.text._ZN7rocprim17ROCPRIM_400000_NS6detail17trampoline_kernelINS0_14default_configENS1_35radix_sort_onesweep_config_selectorIbiEEZNS1_34radix_sort_onesweep_global_offsetsIS3_Lb1EN6thrust23THRUST_200600_302600_NS6detail15normal_iteratorINS8_10device_ptrIbEEEENSA_INSB_IiEEEEjNS0_19identity_decomposerEEE10hipError_tT1_T2_PT3_SK_jT4_jjP12ihipStream_tbEUlT_E_NS1_11comp_targetILNS1_3genE9ELNS1_11target_archE1100ELNS1_3gpuE3ELNS1_3repE0EEENS1_52radix_sort_onesweep_histogram_config_static_selectorELNS0_4arch9wavefront6targetE1EEEvSI_,"axG",@progbits,_ZN7rocprim17ROCPRIM_400000_NS6detail17trampoline_kernelINS0_14default_configENS1_35radix_sort_onesweep_config_selectorIbiEEZNS1_34radix_sort_onesweep_global_offsetsIS3_Lb1EN6thrust23THRUST_200600_302600_NS6detail15normal_iteratorINS8_10device_ptrIbEEEENSA_INSB_IiEEEEjNS0_19identity_decomposerEEE10hipError_tT1_T2_PT3_SK_jT4_jjP12ihipStream_tbEUlT_E_NS1_11comp_targetILNS1_3genE9ELNS1_11target_archE1100ELNS1_3gpuE3ELNS1_3repE0EEENS1_52radix_sort_onesweep_histogram_config_static_selectorELNS0_4arch9wavefront6targetE1EEEvSI_,comdat
	.protected	_ZN7rocprim17ROCPRIM_400000_NS6detail17trampoline_kernelINS0_14default_configENS1_35radix_sort_onesweep_config_selectorIbiEEZNS1_34radix_sort_onesweep_global_offsetsIS3_Lb1EN6thrust23THRUST_200600_302600_NS6detail15normal_iteratorINS8_10device_ptrIbEEEENSA_INSB_IiEEEEjNS0_19identity_decomposerEEE10hipError_tT1_T2_PT3_SK_jT4_jjP12ihipStream_tbEUlT_E_NS1_11comp_targetILNS1_3genE9ELNS1_11target_archE1100ELNS1_3gpuE3ELNS1_3repE0EEENS1_52radix_sort_onesweep_histogram_config_static_selectorELNS0_4arch9wavefront6targetE1EEEvSI_ ; -- Begin function _ZN7rocprim17ROCPRIM_400000_NS6detail17trampoline_kernelINS0_14default_configENS1_35radix_sort_onesweep_config_selectorIbiEEZNS1_34radix_sort_onesweep_global_offsetsIS3_Lb1EN6thrust23THRUST_200600_302600_NS6detail15normal_iteratorINS8_10device_ptrIbEEEENSA_INSB_IiEEEEjNS0_19identity_decomposerEEE10hipError_tT1_T2_PT3_SK_jT4_jjP12ihipStream_tbEUlT_E_NS1_11comp_targetILNS1_3genE9ELNS1_11target_archE1100ELNS1_3gpuE3ELNS1_3repE0EEENS1_52radix_sort_onesweep_histogram_config_static_selectorELNS0_4arch9wavefront6targetE1EEEvSI_
	.globl	_ZN7rocprim17ROCPRIM_400000_NS6detail17trampoline_kernelINS0_14default_configENS1_35radix_sort_onesweep_config_selectorIbiEEZNS1_34radix_sort_onesweep_global_offsetsIS3_Lb1EN6thrust23THRUST_200600_302600_NS6detail15normal_iteratorINS8_10device_ptrIbEEEENSA_INSB_IiEEEEjNS0_19identity_decomposerEEE10hipError_tT1_T2_PT3_SK_jT4_jjP12ihipStream_tbEUlT_E_NS1_11comp_targetILNS1_3genE9ELNS1_11target_archE1100ELNS1_3gpuE3ELNS1_3repE0EEENS1_52radix_sort_onesweep_histogram_config_static_selectorELNS0_4arch9wavefront6targetE1EEEvSI_
	.p2align	8
	.type	_ZN7rocprim17ROCPRIM_400000_NS6detail17trampoline_kernelINS0_14default_configENS1_35radix_sort_onesweep_config_selectorIbiEEZNS1_34radix_sort_onesweep_global_offsetsIS3_Lb1EN6thrust23THRUST_200600_302600_NS6detail15normal_iteratorINS8_10device_ptrIbEEEENSA_INSB_IiEEEEjNS0_19identity_decomposerEEE10hipError_tT1_T2_PT3_SK_jT4_jjP12ihipStream_tbEUlT_E_NS1_11comp_targetILNS1_3genE9ELNS1_11target_archE1100ELNS1_3gpuE3ELNS1_3repE0EEENS1_52radix_sort_onesweep_histogram_config_static_selectorELNS0_4arch9wavefront6targetE1EEEvSI_,@function
_ZN7rocprim17ROCPRIM_400000_NS6detail17trampoline_kernelINS0_14default_configENS1_35radix_sort_onesweep_config_selectorIbiEEZNS1_34radix_sort_onesweep_global_offsetsIS3_Lb1EN6thrust23THRUST_200600_302600_NS6detail15normal_iteratorINS8_10device_ptrIbEEEENSA_INSB_IiEEEEjNS0_19identity_decomposerEEE10hipError_tT1_T2_PT3_SK_jT4_jjP12ihipStream_tbEUlT_E_NS1_11comp_targetILNS1_3genE9ELNS1_11target_archE1100ELNS1_3gpuE3ELNS1_3repE0EEENS1_52radix_sort_onesweep_histogram_config_static_selectorELNS0_4arch9wavefront6targetE1EEEvSI_: ; @_ZN7rocprim17ROCPRIM_400000_NS6detail17trampoline_kernelINS0_14default_configENS1_35radix_sort_onesweep_config_selectorIbiEEZNS1_34radix_sort_onesweep_global_offsetsIS3_Lb1EN6thrust23THRUST_200600_302600_NS6detail15normal_iteratorINS8_10device_ptrIbEEEENSA_INSB_IiEEEEjNS0_19identity_decomposerEEE10hipError_tT1_T2_PT3_SK_jT4_jjP12ihipStream_tbEUlT_E_NS1_11comp_targetILNS1_3genE9ELNS1_11target_archE1100ELNS1_3gpuE3ELNS1_3repE0EEENS1_52radix_sort_onesweep_histogram_config_static_selectorELNS0_4arch9wavefront6targetE1EEEvSI_
; %bb.0:
	.section	.rodata,"a",@progbits
	.p2align	6, 0x0
	.amdhsa_kernel _ZN7rocprim17ROCPRIM_400000_NS6detail17trampoline_kernelINS0_14default_configENS1_35radix_sort_onesweep_config_selectorIbiEEZNS1_34radix_sort_onesweep_global_offsetsIS3_Lb1EN6thrust23THRUST_200600_302600_NS6detail15normal_iteratorINS8_10device_ptrIbEEEENSA_INSB_IiEEEEjNS0_19identity_decomposerEEE10hipError_tT1_T2_PT3_SK_jT4_jjP12ihipStream_tbEUlT_E_NS1_11comp_targetILNS1_3genE9ELNS1_11target_archE1100ELNS1_3gpuE3ELNS1_3repE0EEENS1_52radix_sort_onesweep_histogram_config_static_selectorELNS0_4arch9wavefront6targetE1EEEvSI_
		.amdhsa_group_segment_fixed_size 0
		.amdhsa_private_segment_fixed_size 0
		.amdhsa_kernarg_size 40
		.amdhsa_user_sgpr_count 2
		.amdhsa_user_sgpr_dispatch_ptr 0
		.amdhsa_user_sgpr_queue_ptr 0
		.amdhsa_user_sgpr_kernarg_segment_ptr 1
		.amdhsa_user_sgpr_dispatch_id 0
		.amdhsa_user_sgpr_kernarg_preload_length 0
		.amdhsa_user_sgpr_kernarg_preload_offset 0
		.amdhsa_user_sgpr_private_segment_size 0
		.amdhsa_uses_dynamic_stack 0
		.amdhsa_enable_private_segment 0
		.amdhsa_system_sgpr_workgroup_id_x 1
		.amdhsa_system_sgpr_workgroup_id_y 0
		.amdhsa_system_sgpr_workgroup_id_z 0
		.amdhsa_system_sgpr_workgroup_info 0
		.amdhsa_system_vgpr_workitem_id 0
		.amdhsa_next_free_vgpr 1
		.amdhsa_next_free_sgpr 0
		.amdhsa_accum_offset 4
		.amdhsa_reserve_vcc 0
		.amdhsa_float_round_mode_32 0
		.amdhsa_float_round_mode_16_64 0
		.amdhsa_float_denorm_mode_32 3
		.amdhsa_float_denorm_mode_16_64 3
		.amdhsa_dx10_clamp 1
		.amdhsa_ieee_mode 1
		.amdhsa_fp16_overflow 0
		.amdhsa_tg_split 0
		.amdhsa_exception_fp_ieee_invalid_op 0
		.amdhsa_exception_fp_denorm_src 0
		.amdhsa_exception_fp_ieee_div_zero 0
		.amdhsa_exception_fp_ieee_overflow 0
		.amdhsa_exception_fp_ieee_underflow 0
		.amdhsa_exception_fp_ieee_inexact 0
		.amdhsa_exception_int_div_zero 0
	.end_amdhsa_kernel
	.section	.text._ZN7rocprim17ROCPRIM_400000_NS6detail17trampoline_kernelINS0_14default_configENS1_35radix_sort_onesweep_config_selectorIbiEEZNS1_34radix_sort_onesweep_global_offsetsIS3_Lb1EN6thrust23THRUST_200600_302600_NS6detail15normal_iteratorINS8_10device_ptrIbEEEENSA_INSB_IiEEEEjNS0_19identity_decomposerEEE10hipError_tT1_T2_PT3_SK_jT4_jjP12ihipStream_tbEUlT_E_NS1_11comp_targetILNS1_3genE9ELNS1_11target_archE1100ELNS1_3gpuE3ELNS1_3repE0EEENS1_52radix_sort_onesweep_histogram_config_static_selectorELNS0_4arch9wavefront6targetE1EEEvSI_,"axG",@progbits,_ZN7rocprim17ROCPRIM_400000_NS6detail17trampoline_kernelINS0_14default_configENS1_35radix_sort_onesweep_config_selectorIbiEEZNS1_34radix_sort_onesweep_global_offsetsIS3_Lb1EN6thrust23THRUST_200600_302600_NS6detail15normal_iteratorINS8_10device_ptrIbEEEENSA_INSB_IiEEEEjNS0_19identity_decomposerEEE10hipError_tT1_T2_PT3_SK_jT4_jjP12ihipStream_tbEUlT_E_NS1_11comp_targetILNS1_3genE9ELNS1_11target_archE1100ELNS1_3gpuE3ELNS1_3repE0EEENS1_52radix_sort_onesweep_histogram_config_static_selectorELNS0_4arch9wavefront6targetE1EEEvSI_,comdat
.Lfunc_end2207:
	.size	_ZN7rocprim17ROCPRIM_400000_NS6detail17trampoline_kernelINS0_14default_configENS1_35radix_sort_onesweep_config_selectorIbiEEZNS1_34radix_sort_onesweep_global_offsetsIS3_Lb1EN6thrust23THRUST_200600_302600_NS6detail15normal_iteratorINS8_10device_ptrIbEEEENSA_INSB_IiEEEEjNS0_19identity_decomposerEEE10hipError_tT1_T2_PT3_SK_jT4_jjP12ihipStream_tbEUlT_E_NS1_11comp_targetILNS1_3genE9ELNS1_11target_archE1100ELNS1_3gpuE3ELNS1_3repE0EEENS1_52radix_sort_onesweep_histogram_config_static_selectorELNS0_4arch9wavefront6targetE1EEEvSI_, .Lfunc_end2207-_ZN7rocprim17ROCPRIM_400000_NS6detail17trampoline_kernelINS0_14default_configENS1_35radix_sort_onesweep_config_selectorIbiEEZNS1_34radix_sort_onesweep_global_offsetsIS3_Lb1EN6thrust23THRUST_200600_302600_NS6detail15normal_iteratorINS8_10device_ptrIbEEEENSA_INSB_IiEEEEjNS0_19identity_decomposerEEE10hipError_tT1_T2_PT3_SK_jT4_jjP12ihipStream_tbEUlT_E_NS1_11comp_targetILNS1_3genE9ELNS1_11target_archE1100ELNS1_3gpuE3ELNS1_3repE0EEENS1_52radix_sort_onesweep_histogram_config_static_selectorELNS0_4arch9wavefront6targetE1EEEvSI_
                                        ; -- End function
	.set _ZN7rocprim17ROCPRIM_400000_NS6detail17trampoline_kernelINS0_14default_configENS1_35radix_sort_onesweep_config_selectorIbiEEZNS1_34radix_sort_onesweep_global_offsetsIS3_Lb1EN6thrust23THRUST_200600_302600_NS6detail15normal_iteratorINS8_10device_ptrIbEEEENSA_INSB_IiEEEEjNS0_19identity_decomposerEEE10hipError_tT1_T2_PT3_SK_jT4_jjP12ihipStream_tbEUlT_E_NS1_11comp_targetILNS1_3genE9ELNS1_11target_archE1100ELNS1_3gpuE3ELNS1_3repE0EEENS1_52radix_sort_onesweep_histogram_config_static_selectorELNS0_4arch9wavefront6targetE1EEEvSI_.num_vgpr, 0
	.set _ZN7rocprim17ROCPRIM_400000_NS6detail17trampoline_kernelINS0_14default_configENS1_35radix_sort_onesweep_config_selectorIbiEEZNS1_34radix_sort_onesweep_global_offsetsIS3_Lb1EN6thrust23THRUST_200600_302600_NS6detail15normal_iteratorINS8_10device_ptrIbEEEENSA_INSB_IiEEEEjNS0_19identity_decomposerEEE10hipError_tT1_T2_PT3_SK_jT4_jjP12ihipStream_tbEUlT_E_NS1_11comp_targetILNS1_3genE9ELNS1_11target_archE1100ELNS1_3gpuE3ELNS1_3repE0EEENS1_52radix_sort_onesweep_histogram_config_static_selectorELNS0_4arch9wavefront6targetE1EEEvSI_.num_agpr, 0
	.set _ZN7rocprim17ROCPRIM_400000_NS6detail17trampoline_kernelINS0_14default_configENS1_35radix_sort_onesweep_config_selectorIbiEEZNS1_34radix_sort_onesweep_global_offsetsIS3_Lb1EN6thrust23THRUST_200600_302600_NS6detail15normal_iteratorINS8_10device_ptrIbEEEENSA_INSB_IiEEEEjNS0_19identity_decomposerEEE10hipError_tT1_T2_PT3_SK_jT4_jjP12ihipStream_tbEUlT_E_NS1_11comp_targetILNS1_3genE9ELNS1_11target_archE1100ELNS1_3gpuE3ELNS1_3repE0EEENS1_52radix_sort_onesweep_histogram_config_static_selectorELNS0_4arch9wavefront6targetE1EEEvSI_.numbered_sgpr, 0
	.set _ZN7rocprim17ROCPRIM_400000_NS6detail17trampoline_kernelINS0_14default_configENS1_35radix_sort_onesweep_config_selectorIbiEEZNS1_34radix_sort_onesweep_global_offsetsIS3_Lb1EN6thrust23THRUST_200600_302600_NS6detail15normal_iteratorINS8_10device_ptrIbEEEENSA_INSB_IiEEEEjNS0_19identity_decomposerEEE10hipError_tT1_T2_PT3_SK_jT4_jjP12ihipStream_tbEUlT_E_NS1_11comp_targetILNS1_3genE9ELNS1_11target_archE1100ELNS1_3gpuE3ELNS1_3repE0EEENS1_52radix_sort_onesweep_histogram_config_static_selectorELNS0_4arch9wavefront6targetE1EEEvSI_.num_named_barrier, 0
	.set _ZN7rocprim17ROCPRIM_400000_NS6detail17trampoline_kernelINS0_14default_configENS1_35radix_sort_onesweep_config_selectorIbiEEZNS1_34radix_sort_onesweep_global_offsetsIS3_Lb1EN6thrust23THRUST_200600_302600_NS6detail15normal_iteratorINS8_10device_ptrIbEEEENSA_INSB_IiEEEEjNS0_19identity_decomposerEEE10hipError_tT1_T2_PT3_SK_jT4_jjP12ihipStream_tbEUlT_E_NS1_11comp_targetILNS1_3genE9ELNS1_11target_archE1100ELNS1_3gpuE3ELNS1_3repE0EEENS1_52radix_sort_onesweep_histogram_config_static_selectorELNS0_4arch9wavefront6targetE1EEEvSI_.private_seg_size, 0
	.set _ZN7rocprim17ROCPRIM_400000_NS6detail17trampoline_kernelINS0_14default_configENS1_35radix_sort_onesweep_config_selectorIbiEEZNS1_34radix_sort_onesweep_global_offsetsIS3_Lb1EN6thrust23THRUST_200600_302600_NS6detail15normal_iteratorINS8_10device_ptrIbEEEENSA_INSB_IiEEEEjNS0_19identity_decomposerEEE10hipError_tT1_T2_PT3_SK_jT4_jjP12ihipStream_tbEUlT_E_NS1_11comp_targetILNS1_3genE9ELNS1_11target_archE1100ELNS1_3gpuE3ELNS1_3repE0EEENS1_52radix_sort_onesweep_histogram_config_static_selectorELNS0_4arch9wavefront6targetE1EEEvSI_.uses_vcc, 0
	.set _ZN7rocprim17ROCPRIM_400000_NS6detail17trampoline_kernelINS0_14default_configENS1_35radix_sort_onesweep_config_selectorIbiEEZNS1_34radix_sort_onesweep_global_offsetsIS3_Lb1EN6thrust23THRUST_200600_302600_NS6detail15normal_iteratorINS8_10device_ptrIbEEEENSA_INSB_IiEEEEjNS0_19identity_decomposerEEE10hipError_tT1_T2_PT3_SK_jT4_jjP12ihipStream_tbEUlT_E_NS1_11comp_targetILNS1_3genE9ELNS1_11target_archE1100ELNS1_3gpuE3ELNS1_3repE0EEENS1_52radix_sort_onesweep_histogram_config_static_selectorELNS0_4arch9wavefront6targetE1EEEvSI_.uses_flat_scratch, 0
	.set _ZN7rocprim17ROCPRIM_400000_NS6detail17trampoline_kernelINS0_14default_configENS1_35radix_sort_onesweep_config_selectorIbiEEZNS1_34radix_sort_onesweep_global_offsetsIS3_Lb1EN6thrust23THRUST_200600_302600_NS6detail15normal_iteratorINS8_10device_ptrIbEEEENSA_INSB_IiEEEEjNS0_19identity_decomposerEEE10hipError_tT1_T2_PT3_SK_jT4_jjP12ihipStream_tbEUlT_E_NS1_11comp_targetILNS1_3genE9ELNS1_11target_archE1100ELNS1_3gpuE3ELNS1_3repE0EEENS1_52radix_sort_onesweep_histogram_config_static_selectorELNS0_4arch9wavefront6targetE1EEEvSI_.has_dyn_sized_stack, 0
	.set _ZN7rocprim17ROCPRIM_400000_NS6detail17trampoline_kernelINS0_14default_configENS1_35radix_sort_onesweep_config_selectorIbiEEZNS1_34radix_sort_onesweep_global_offsetsIS3_Lb1EN6thrust23THRUST_200600_302600_NS6detail15normal_iteratorINS8_10device_ptrIbEEEENSA_INSB_IiEEEEjNS0_19identity_decomposerEEE10hipError_tT1_T2_PT3_SK_jT4_jjP12ihipStream_tbEUlT_E_NS1_11comp_targetILNS1_3genE9ELNS1_11target_archE1100ELNS1_3gpuE3ELNS1_3repE0EEENS1_52radix_sort_onesweep_histogram_config_static_selectorELNS0_4arch9wavefront6targetE1EEEvSI_.has_recursion, 0
	.set _ZN7rocprim17ROCPRIM_400000_NS6detail17trampoline_kernelINS0_14default_configENS1_35radix_sort_onesweep_config_selectorIbiEEZNS1_34radix_sort_onesweep_global_offsetsIS3_Lb1EN6thrust23THRUST_200600_302600_NS6detail15normal_iteratorINS8_10device_ptrIbEEEENSA_INSB_IiEEEEjNS0_19identity_decomposerEEE10hipError_tT1_T2_PT3_SK_jT4_jjP12ihipStream_tbEUlT_E_NS1_11comp_targetILNS1_3genE9ELNS1_11target_archE1100ELNS1_3gpuE3ELNS1_3repE0EEENS1_52radix_sort_onesweep_histogram_config_static_selectorELNS0_4arch9wavefront6targetE1EEEvSI_.has_indirect_call, 0
	.section	.AMDGPU.csdata,"",@progbits
; Kernel info:
; codeLenInByte = 0
; TotalNumSgprs: 6
; NumVgprs: 0
; NumAgprs: 0
; TotalNumVgprs: 0
; ScratchSize: 0
; MemoryBound: 0
; FloatMode: 240
; IeeeMode: 1
; LDSByteSize: 0 bytes/workgroup (compile time only)
; SGPRBlocks: 0
; VGPRBlocks: 0
; NumSGPRsForWavesPerEU: 6
; NumVGPRsForWavesPerEU: 1
; AccumOffset: 4
; Occupancy: 8
; WaveLimiterHint : 0
; COMPUTE_PGM_RSRC2:SCRATCH_EN: 0
; COMPUTE_PGM_RSRC2:USER_SGPR: 2
; COMPUTE_PGM_RSRC2:TRAP_HANDLER: 0
; COMPUTE_PGM_RSRC2:TGID_X_EN: 1
; COMPUTE_PGM_RSRC2:TGID_Y_EN: 0
; COMPUTE_PGM_RSRC2:TGID_Z_EN: 0
; COMPUTE_PGM_RSRC2:TIDIG_COMP_CNT: 0
; COMPUTE_PGM_RSRC3_GFX90A:ACCUM_OFFSET: 0
; COMPUTE_PGM_RSRC3_GFX90A:TG_SPLIT: 0
	.section	.text._ZN7rocprim17ROCPRIM_400000_NS6detail17trampoline_kernelINS0_14default_configENS1_35radix_sort_onesweep_config_selectorIbiEEZNS1_34radix_sort_onesweep_global_offsetsIS3_Lb1EN6thrust23THRUST_200600_302600_NS6detail15normal_iteratorINS8_10device_ptrIbEEEENSA_INSB_IiEEEEjNS0_19identity_decomposerEEE10hipError_tT1_T2_PT3_SK_jT4_jjP12ihipStream_tbEUlT_E_NS1_11comp_targetILNS1_3genE8ELNS1_11target_archE1030ELNS1_3gpuE2ELNS1_3repE0EEENS1_52radix_sort_onesweep_histogram_config_static_selectorELNS0_4arch9wavefront6targetE1EEEvSI_,"axG",@progbits,_ZN7rocprim17ROCPRIM_400000_NS6detail17trampoline_kernelINS0_14default_configENS1_35radix_sort_onesweep_config_selectorIbiEEZNS1_34radix_sort_onesweep_global_offsetsIS3_Lb1EN6thrust23THRUST_200600_302600_NS6detail15normal_iteratorINS8_10device_ptrIbEEEENSA_INSB_IiEEEEjNS0_19identity_decomposerEEE10hipError_tT1_T2_PT3_SK_jT4_jjP12ihipStream_tbEUlT_E_NS1_11comp_targetILNS1_3genE8ELNS1_11target_archE1030ELNS1_3gpuE2ELNS1_3repE0EEENS1_52radix_sort_onesweep_histogram_config_static_selectorELNS0_4arch9wavefront6targetE1EEEvSI_,comdat
	.protected	_ZN7rocprim17ROCPRIM_400000_NS6detail17trampoline_kernelINS0_14default_configENS1_35radix_sort_onesweep_config_selectorIbiEEZNS1_34radix_sort_onesweep_global_offsetsIS3_Lb1EN6thrust23THRUST_200600_302600_NS6detail15normal_iteratorINS8_10device_ptrIbEEEENSA_INSB_IiEEEEjNS0_19identity_decomposerEEE10hipError_tT1_T2_PT3_SK_jT4_jjP12ihipStream_tbEUlT_E_NS1_11comp_targetILNS1_3genE8ELNS1_11target_archE1030ELNS1_3gpuE2ELNS1_3repE0EEENS1_52radix_sort_onesweep_histogram_config_static_selectorELNS0_4arch9wavefront6targetE1EEEvSI_ ; -- Begin function _ZN7rocprim17ROCPRIM_400000_NS6detail17trampoline_kernelINS0_14default_configENS1_35radix_sort_onesweep_config_selectorIbiEEZNS1_34radix_sort_onesweep_global_offsetsIS3_Lb1EN6thrust23THRUST_200600_302600_NS6detail15normal_iteratorINS8_10device_ptrIbEEEENSA_INSB_IiEEEEjNS0_19identity_decomposerEEE10hipError_tT1_T2_PT3_SK_jT4_jjP12ihipStream_tbEUlT_E_NS1_11comp_targetILNS1_3genE8ELNS1_11target_archE1030ELNS1_3gpuE2ELNS1_3repE0EEENS1_52radix_sort_onesweep_histogram_config_static_selectorELNS0_4arch9wavefront6targetE1EEEvSI_
	.globl	_ZN7rocprim17ROCPRIM_400000_NS6detail17trampoline_kernelINS0_14default_configENS1_35radix_sort_onesweep_config_selectorIbiEEZNS1_34radix_sort_onesweep_global_offsetsIS3_Lb1EN6thrust23THRUST_200600_302600_NS6detail15normal_iteratorINS8_10device_ptrIbEEEENSA_INSB_IiEEEEjNS0_19identity_decomposerEEE10hipError_tT1_T2_PT3_SK_jT4_jjP12ihipStream_tbEUlT_E_NS1_11comp_targetILNS1_3genE8ELNS1_11target_archE1030ELNS1_3gpuE2ELNS1_3repE0EEENS1_52radix_sort_onesweep_histogram_config_static_selectorELNS0_4arch9wavefront6targetE1EEEvSI_
	.p2align	8
	.type	_ZN7rocprim17ROCPRIM_400000_NS6detail17trampoline_kernelINS0_14default_configENS1_35radix_sort_onesweep_config_selectorIbiEEZNS1_34radix_sort_onesweep_global_offsetsIS3_Lb1EN6thrust23THRUST_200600_302600_NS6detail15normal_iteratorINS8_10device_ptrIbEEEENSA_INSB_IiEEEEjNS0_19identity_decomposerEEE10hipError_tT1_T2_PT3_SK_jT4_jjP12ihipStream_tbEUlT_E_NS1_11comp_targetILNS1_3genE8ELNS1_11target_archE1030ELNS1_3gpuE2ELNS1_3repE0EEENS1_52radix_sort_onesweep_histogram_config_static_selectorELNS0_4arch9wavefront6targetE1EEEvSI_,@function
_ZN7rocprim17ROCPRIM_400000_NS6detail17trampoline_kernelINS0_14default_configENS1_35radix_sort_onesweep_config_selectorIbiEEZNS1_34radix_sort_onesweep_global_offsetsIS3_Lb1EN6thrust23THRUST_200600_302600_NS6detail15normal_iteratorINS8_10device_ptrIbEEEENSA_INSB_IiEEEEjNS0_19identity_decomposerEEE10hipError_tT1_T2_PT3_SK_jT4_jjP12ihipStream_tbEUlT_E_NS1_11comp_targetILNS1_3genE8ELNS1_11target_archE1030ELNS1_3gpuE2ELNS1_3repE0EEENS1_52radix_sort_onesweep_histogram_config_static_selectorELNS0_4arch9wavefront6targetE1EEEvSI_: ; @_ZN7rocprim17ROCPRIM_400000_NS6detail17trampoline_kernelINS0_14default_configENS1_35radix_sort_onesweep_config_selectorIbiEEZNS1_34radix_sort_onesweep_global_offsetsIS3_Lb1EN6thrust23THRUST_200600_302600_NS6detail15normal_iteratorINS8_10device_ptrIbEEEENSA_INSB_IiEEEEjNS0_19identity_decomposerEEE10hipError_tT1_T2_PT3_SK_jT4_jjP12ihipStream_tbEUlT_E_NS1_11comp_targetILNS1_3genE8ELNS1_11target_archE1030ELNS1_3gpuE2ELNS1_3repE0EEENS1_52radix_sort_onesweep_histogram_config_static_selectorELNS0_4arch9wavefront6targetE1EEEvSI_
; %bb.0:
	.section	.rodata,"a",@progbits
	.p2align	6, 0x0
	.amdhsa_kernel _ZN7rocprim17ROCPRIM_400000_NS6detail17trampoline_kernelINS0_14default_configENS1_35radix_sort_onesweep_config_selectorIbiEEZNS1_34radix_sort_onesweep_global_offsetsIS3_Lb1EN6thrust23THRUST_200600_302600_NS6detail15normal_iteratorINS8_10device_ptrIbEEEENSA_INSB_IiEEEEjNS0_19identity_decomposerEEE10hipError_tT1_T2_PT3_SK_jT4_jjP12ihipStream_tbEUlT_E_NS1_11comp_targetILNS1_3genE8ELNS1_11target_archE1030ELNS1_3gpuE2ELNS1_3repE0EEENS1_52radix_sort_onesweep_histogram_config_static_selectorELNS0_4arch9wavefront6targetE1EEEvSI_
		.amdhsa_group_segment_fixed_size 0
		.amdhsa_private_segment_fixed_size 0
		.amdhsa_kernarg_size 40
		.amdhsa_user_sgpr_count 2
		.amdhsa_user_sgpr_dispatch_ptr 0
		.amdhsa_user_sgpr_queue_ptr 0
		.amdhsa_user_sgpr_kernarg_segment_ptr 1
		.amdhsa_user_sgpr_dispatch_id 0
		.amdhsa_user_sgpr_kernarg_preload_length 0
		.amdhsa_user_sgpr_kernarg_preload_offset 0
		.amdhsa_user_sgpr_private_segment_size 0
		.amdhsa_uses_dynamic_stack 0
		.amdhsa_enable_private_segment 0
		.amdhsa_system_sgpr_workgroup_id_x 1
		.amdhsa_system_sgpr_workgroup_id_y 0
		.amdhsa_system_sgpr_workgroup_id_z 0
		.amdhsa_system_sgpr_workgroup_info 0
		.amdhsa_system_vgpr_workitem_id 0
		.amdhsa_next_free_vgpr 1
		.amdhsa_next_free_sgpr 0
		.amdhsa_accum_offset 4
		.amdhsa_reserve_vcc 0
		.amdhsa_float_round_mode_32 0
		.amdhsa_float_round_mode_16_64 0
		.amdhsa_float_denorm_mode_32 3
		.amdhsa_float_denorm_mode_16_64 3
		.amdhsa_dx10_clamp 1
		.amdhsa_ieee_mode 1
		.amdhsa_fp16_overflow 0
		.amdhsa_tg_split 0
		.amdhsa_exception_fp_ieee_invalid_op 0
		.amdhsa_exception_fp_denorm_src 0
		.amdhsa_exception_fp_ieee_div_zero 0
		.amdhsa_exception_fp_ieee_overflow 0
		.amdhsa_exception_fp_ieee_underflow 0
		.amdhsa_exception_fp_ieee_inexact 0
		.amdhsa_exception_int_div_zero 0
	.end_amdhsa_kernel
	.section	.text._ZN7rocprim17ROCPRIM_400000_NS6detail17trampoline_kernelINS0_14default_configENS1_35radix_sort_onesweep_config_selectorIbiEEZNS1_34radix_sort_onesweep_global_offsetsIS3_Lb1EN6thrust23THRUST_200600_302600_NS6detail15normal_iteratorINS8_10device_ptrIbEEEENSA_INSB_IiEEEEjNS0_19identity_decomposerEEE10hipError_tT1_T2_PT3_SK_jT4_jjP12ihipStream_tbEUlT_E_NS1_11comp_targetILNS1_3genE8ELNS1_11target_archE1030ELNS1_3gpuE2ELNS1_3repE0EEENS1_52radix_sort_onesweep_histogram_config_static_selectorELNS0_4arch9wavefront6targetE1EEEvSI_,"axG",@progbits,_ZN7rocprim17ROCPRIM_400000_NS6detail17trampoline_kernelINS0_14default_configENS1_35radix_sort_onesweep_config_selectorIbiEEZNS1_34radix_sort_onesweep_global_offsetsIS3_Lb1EN6thrust23THRUST_200600_302600_NS6detail15normal_iteratorINS8_10device_ptrIbEEEENSA_INSB_IiEEEEjNS0_19identity_decomposerEEE10hipError_tT1_T2_PT3_SK_jT4_jjP12ihipStream_tbEUlT_E_NS1_11comp_targetILNS1_3genE8ELNS1_11target_archE1030ELNS1_3gpuE2ELNS1_3repE0EEENS1_52radix_sort_onesweep_histogram_config_static_selectorELNS0_4arch9wavefront6targetE1EEEvSI_,comdat
.Lfunc_end2208:
	.size	_ZN7rocprim17ROCPRIM_400000_NS6detail17trampoline_kernelINS0_14default_configENS1_35radix_sort_onesweep_config_selectorIbiEEZNS1_34radix_sort_onesweep_global_offsetsIS3_Lb1EN6thrust23THRUST_200600_302600_NS6detail15normal_iteratorINS8_10device_ptrIbEEEENSA_INSB_IiEEEEjNS0_19identity_decomposerEEE10hipError_tT1_T2_PT3_SK_jT4_jjP12ihipStream_tbEUlT_E_NS1_11comp_targetILNS1_3genE8ELNS1_11target_archE1030ELNS1_3gpuE2ELNS1_3repE0EEENS1_52radix_sort_onesweep_histogram_config_static_selectorELNS0_4arch9wavefront6targetE1EEEvSI_, .Lfunc_end2208-_ZN7rocprim17ROCPRIM_400000_NS6detail17trampoline_kernelINS0_14default_configENS1_35radix_sort_onesweep_config_selectorIbiEEZNS1_34radix_sort_onesweep_global_offsetsIS3_Lb1EN6thrust23THRUST_200600_302600_NS6detail15normal_iteratorINS8_10device_ptrIbEEEENSA_INSB_IiEEEEjNS0_19identity_decomposerEEE10hipError_tT1_T2_PT3_SK_jT4_jjP12ihipStream_tbEUlT_E_NS1_11comp_targetILNS1_3genE8ELNS1_11target_archE1030ELNS1_3gpuE2ELNS1_3repE0EEENS1_52radix_sort_onesweep_histogram_config_static_selectorELNS0_4arch9wavefront6targetE1EEEvSI_
                                        ; -- End function
	.set _ZN7rocprim17ROCPRIM_400000_NS6detail17trampoline_kernelINS0_14default_configENS1_35radix_sort_onesweep_config_selectorIbiEEZNS1_34radix_sort_onesweep_global_offsetsIS3_Lb1EN6thrust23THRUST_200600_302600_NS6detail15normal_iteratorINS8_10device_ptrIbEEEENSA_INSB_IiEEEEjNS0_19identity_decomposerEEE10hipError_tT1_T2_PT3_SK_jT4_jjP12ihipStream_tbEUlT_E_NS1_11comp_targetILNS1_3genE8ELNS1_11target_archE1030ELNS1_3gpuE2ELNS1_3repE0EEENS1_52radix_sort_onesweep_histogram_config_static_selectorELNS0_4arch9wavefront6targetE1EEEvSI_.num_vgpr, 0
	.set _ZN7rocprim17ROCPRIM_400000_NS6detail17trampoline_kernelINS0_14default_configENS1_35radix_sort_onesweep_config_selectorIbiEEZNS1_34radix_sort_onesweep_global_offsetsIS3_Lb1EN6thrust23THRUST_200600_302600_NS6detail15normal_iteratorINS8_10device_ptrIbEEEENSA_INSB_IiEEEEjNS0_19identity_decomposerEEE10hipError_tT1_T2_PT3_SK_jT4_jjP12ihipStream_tbEUlT_E_NS1_11comp_targetILNS1_3genE8ELNS1_11target_archE1030ELNS1_3gpuE2ELNS1_3repE0EEENS1_52radix_sort_onesweep_histogram_config_static_selectorELNS0_4arch9wavefront6targetE1EEEvSI_.num_agpr, 0
	.set _ZN7rocprim17ROCPRIM_400000_NS6detail17trampoline_kernelINS0_14default_configENS1_35radix_sort_onesweep_config_selectorIbiEEZNS1_34radix_sort_onesweep_global_offsetsIS3_Lb1EN6thrust23THRUST_200600_302600_NS6detail15normal_iteratorINS8_10device_ptrIbEEEENSA_INSB_IiEEEEjNS0_19identity_decomposerEEE10hipError_tT1_T2_PT3_SK_jT4_jjP12ihipStream_tbEUlT_E_NS1_11comp_targetILNS1_3genE8ELNS1_11target_archE1030ELNS1_3gpuE2ELNS1_3repE0EEENS1_52radix_sort_onesweep_histogram_config_static_selectorELNS0_4arch9wavefront6targetE1EEEvSI_.numbered_sgpr, 0
	.set _ZN7rocprim17ROCPRIM_400000_NS6detail17trampoline_kernelINS0_14default_configENS1_35radix_sort_onesweep_config_selectorIbiEEZNS1_34radix_sort_onesweep_global_offsetsIS3_Lb1EN6thrust23THRUST_200600_302600_NS6detail15normal_iteratorINS8_10device_ptrIbEEEENSA_INSB_IiEEEEjNS0_19identity_decomposerEEE10hipError_tT1_T2_PT3_SK_jT4_jjP12ihipStream_tbEUlT_E_NS1_11comp_targetILNS1_3genE8ELNS1_11target_archE1030ELNS1_3gpuE2ELNS1_3repE0EEENS1_52radix_sort_onesweep_histogram_config_static_selectorELNS0_4arch9wavefront6targetE1EEEvSI_.num_named_barrier, 0
	.set _ZN7rocprim17ROCPRIM_400000_NS6detail17trampoline_kernelINS0_14default_configENS1_35radix_sort_onesweep_config_selectorIbiEEZNS1_34radix_sort_onesweep_global_offsetsIS3_Lb1EN6thrust23THRUST_200600_302600_NS6detail15normal_iteratorINS8_10device_ptrIbEEEENSA_INSB_IiEEEEjNS0_19identity_decomposerEEE10hipError_tT1_T2_PT3_SK_jT4_jjP12ihipStream_tbEUlT_E_NS1_11comp_targetILNS1_3genE8ELNS1_11target_archE1030ELNS1_3gpuE2ELNS1_3repE0EEENS1_52radix_sort_onesweep_histogram_config_static_selectorELNS0_4arch9wavefront6targetE1EEEvSI_.private_seg_size, 0
	.set _ZN7rocprim17ROCPRIM_400000_NS6detail17trampoline_kernelINS0_14default_configENS1_35radix_sort_onesweep_config_selectorIbiEEZNS1_34radix_sort_onesweep_global_offsetsIS3_Lb1EN6thrust23THRUST_200600_302600_NS6detail15normal_iteratorINS8_10device_ptrIbEEEENSA_INSB_IiEEEEjNS0_19identity_decomposerEEE10hipError_tT1_T2_PT3_SK_jT4_jjP12ihipStream_tbEUlT_E_NS1_11comp_targetILNS1_3genE8ELNS1_11target_archE1030ELNS1_3gpuE2ELNS1_3repE0EEENS1_52radix_sort_onesweep_histogram_config_static_selectorELNS0_4arch9wavefront6targetE1EEEvSI_.uses_vcc, 0
	.set _ZN7rocprim17ROCPRIM_400000_NS6detail17trampoline_kernelINS0_14default_configENS1_35radix_sort_onesweep_config_selectorIbiEEZNS1_34radix_sort_onesweep_global_offsetsIS3_Lb1EN6thrust23THRUST_200600_302600_NS6detail15normal_iteratorINS8_10device_ptrIbEEEENSA_INSB_IiEEEEjNS0_19identity_decomposerEEE10hipError_tT1_T2_PT3_SK_jT4_jjP12ihipStream_tbEUlT_E_NS1_11comp_targetILNS1_3genE8ELNS1_11target_archE1030ELNS1_3gpuE2ELNS1_3repE0EEENS1_52radix_sort_onesweep_histogram_config_static_selectorELNS0_4arch9wavefront6targetE1EEEvSI_.uses_flat_scratch, 0
	.set _ZN7rocprim17ROCPRIM_400000_NS6detail17trampoline_kernelINS0_14default_configENS1_35radix_sort_onesweep_config_selectorIbiEEZNS1_34radix_sort_onesweep_global_offsetsIS3_Lb1EN6thrust23THRUST_200600_302600_NS6detail15normal_iteratorINS8_10device_ptrIbEEEENSA_INSB_IiEEEEjNS0_19identity_decomposerEEE10hipError_tT1_T2_PT3_SK_jT4_jjP12ihipStream_tbEUlT_E_NS1_11comp_targetILNS1_3genE8ELNS1_11target_archE1030ELNS1_3gpuE2ELNS1_3repE0EEENS1_52radix_sort_onesweep_histogram_config_static_selectorELNS0_4arch9wavefront6targetE1EEEvSI_.has_dyn_sized_stack, 0
	.set _ZN7rocprim17ROCPRIM_400000_NS6detail17trampoline_kernelINS0_14default_configENS1_35radix_sort_onesweep_config_selectorIbiEEZNS1_34radix_sort_onesweep_global_offsetsIS3_Lb1EN6thrust23THRUST_200600_302600_NS6detail15normal_iteratorINS8_10device_ptrIbEEEENSA_INSB_IiEEEEjNS0_19identity_decomposerEEE10hipError_tT1_T2_PT3_SK_jT4_jjP12ihipStream_tbEUlT_E_NS1_11comp_targetILNS1_3genE8ELNS1_11target_archE1030ELNS1_3gpuE2ELNS1_3repE0EEENS1_52radix_sort_onesweep_histogram_config_static_selectorELNS0_4arch9wavefront6targetE1EEEvSI_.has_recursion, 0
	.set _ZN7rocprim17ROCPRIM_400000_NS6detail17trampoline_kernelINS0_14default_configENS1_35radix_sort_onesweep_config_selectorIbiEEZNS1_34radix_sort_onesweep_global_offsetsIS3_Lb1EN6thrust23THRUST_200600_302600_NS6detail15normal_iteratorINS8_10device_ptrIbEEEENSA_INSB_IiEEEEjNS0_19identity_decomposerEEE10hipError_tT1_T2_PT3_SK_jT4_jjP12ihipStream_tbEUlT_E_NS1_11comp_targetILNS1_3genE8ELNS1_11target_archE1030ELNS1_3gpuE2ELNS1_3repE0EEENS1_52radix_sort_onesweep_histogram_config_static_selectorELNS0_4arch9wavefront6targetE1EEEvSI_.has_indirect_call, 0
	.section	.AMDGPU.csdata,"",@progbits
; Kernel info:
; codeLenInByte = 0
; TotalNumSgprs: 6
; NumVgprs: 0
; NumAgprs: 0
; TotalNumVgprs: 0
; ScratchSize: 0
; MemoryBound: 0
; FloatMode: 240
; IeeeMode: 1
; LDSByteSize: 0 bytes/workgroup (compile time only)
; SGPRBlocks: 0
; VGPRBlocks: 0
; NumSGPRsForWavesPerEU: 6
; NumVGPRsForWavesPerEU: 1
; AccumOffset: 4
; Occupancy: 8
; WaveLimiterHint : 0
; COMPUTE_PGM_RSRC2:SCRATCH_EN: 0
; COMPUTE_PGM_RSRC2:USER_SGPR: 2
; COMPUTE_PGM_RSRC2:TRAP_HANDLER: 0
; COMPUTE_PGM_RSRC2:TGID_X_EN: 1
; COMPUTE_PGM_RSRC2:TGID_Y_EN: 0
; COMPUTE_PGM_RSRC2:TGID_Z_EN: 0
; COMPUTE_PGM_RSRC2:TIDIG_COMP_CNT: 0
; COMPUTE_PGM_RSRC3_GFX90A:ACCUM_OFFSET: 0
; COMPUTE_PGM_RSRC3_GFX90A:TG_SPLIT: 0
	.section	.text._ZN7rocprim17ROCPRIM_400000_NS6detail17trampoline_kernelINS0_14default_configENS1_35radix_sort_onesweep_config_selectorIbiEEZNS1_34radix_sort_onesweep_global_offsetsIS3_Lb1EN6thrust23THRUST_200600_302600_NS6detail15normal_iteratorINS8_10device_ptrIbEEEENSA_INSB_IiEEEEjNS0_19identity_decomposerEEE10hipError_tT1_T2_PT3_SK_jT4_jjP12ihipStream_tbEUlT_E0_NS1_11comp_targetILNS1_3genE0ELNS1_11target_archE4294967295ELNS1_3gpuE0ELNS1_3repE0EEENS1_52radix_sort_onesweep_histogram_config_static_selectorELNS0_4arch9wavefront6targetE1EEEvSI_,"axG",@progbits,_ZN7rocprim17ROCPRIM_400000_NS6detail17trampoline_kernelINS0_14default_configENS1_35radix_sort_onesweep_config_selectorIbiEEZNS1_34radix_sort_onesweep_global_offsetsIS3_Lb1EN6thrust23THRUST_200600_302600_NS6detail15normal_iteratorINS8_10device_ptrIbEEEENSA_INSB_IiEEEEjNS0_19identity_decomposerEEE10hipError_tT1_T2_PT3_SK_jT4_jjP12ihipStream_tbEUlT_E0_NS1_11comp_targetILNS1_3genE0ELNS1_11target_archE4294967295ELNS1_3gpuE0ELNS1_3repE0EEENS1_52radix_sort_onesweep_histogram_config_static_selectorELNS0_4arch9wavefront6targetE1EEEvSI_,comdat
	.protected	_ZN7rocprim17ROCPRIM_400000_NS6detail17trampoline_kernelINS0_14default_configENS1_35radix_sort_onesweep_config_selectorIbiEEZNS1_34radix_sort_onesweep_global_offsetsIS3_Lb1EN6thrust23THRUST_200600_302600_NS6detail15normal_iteratorINS8_10device_ptrIbEEEENSA_INSB_IiEEEEjNS0_19identity_decomposerEEE10hipError_tT1_T2_PT3_SK_jT4_jjP12ihipStream_tbEUlT_E0_NS1_11comp_targetILNS1_3genE0ELNS1_11target_archE4294967295ELNS1_3gpuE0ELNS1_3repE0EEENS1_52radix_sort_onesweep_histogram_config_static_selectorELNS0_4arch9wavefront6targetE1EEEvSI_ ; -- Begin function _ZN7rocprim17ROCPRIM_400000_NS6detail17trampoline_kernelINS0_14default_configENS1_35radix_sort_onesweep_config_selectorIbiEEZNS1_34radix_sort_onesweep_global_offsetsIS3_Lb1EN6thrust23THRUST_200600_302600_NS6detail15normal_iteratorINS8_10device_ptrIbEEEENSA_INSB_IiEEEEjNS0_19identity_decomposerEEE10hipError_tT1_T2_PT3_SK_jT4_jjP12ihipStream_tbEUlT_E0_NS1_11comp_targetILNS1_3genE0ELNS1_11target_archE4294967295ELNS1_3gpuE0ELNS1_3repE0EEENS1_52radix_sort_onesweep_histogram_config_static_selectorELNS0_4arch9wavefront6targetE1EEEvSI_
	.globl	_ZN7rocprim17ROCPRIM_400000_NS6detail17trampoline_kernelINS0_14default_configENS1_35radix_sort_onesweep_config_selectorIbiEEZNS1_34radix_sort_onesweep_global_offsetsIS3_Lb1EN6thrust23THRUST_200600_302600_NS6detail15normal_iteratorINS8_10device_ptrIbEEEENSA_INSB_IiEEEEjNS0_19identity_decomposerEEE10hipError_tT1_T2_PT3_SK_jT4_jjP12ihipStream_tbEUlT_E0_NS1_11comp_targetILNS1_3genE0ELNS1_11target_archE4294967295ELNS1_3gpuE0ELNS1_3repE0EEENS1_52radix_sort_onesweep_histogram_config_static_selectorELNS0_4arch9wavefront6targetE1EEEvSI_
	.p2align	8
	.type	_ZN7rocprim17ROCPRIM_400000_NS6detail17trampoline_kernelINS0_14default_configENS1_35radix_sort_onesweep_config_selectorIbiEEZNS1_34radix_sort_onesweep_global_offsetsIS3_Lb1EN6thrust23THRUST_200600_302600_NS6detail15normal_iteratorINS8_10device_ptrIbEEEENSA_INSB_IiEEEEjNS0_19identity_decomposerEEE10hipError_tT1_T2_PT3_SK_jT4_jjP12ihipStream_tbEUlT_E0_NS1_11comp_targetILNS1_3genE0ELNS1_11target_archE4294967295ELNS1_3gpuE0ELNS1_3repE0EEENS1_52radix_sort_onesweep_histogram_config_static_selectorELNS0_4arch9wavefront6targetE1EEEvSI_,@function
_ZN7rocprim17ROCPRIM_400000_NS6detail17trampoline_kernelINS0_14default_configENS1_35radix_sort_onesweep_config_selectorIbiEEZNS1_34radix_sort_onesweep_global_offsetsIS3_Lb1EN6thrust23THRUST_200600_302600_NS6detail15normal_iteratorINS8_10device_ptrIbEEEENSA_INSB_IiEEEEjNS0_19identity_decomposerEEE10hipError_tT1_T2_PT3_SK_jT4_jjP12ihipStream_tbEUlT_E0_NS1_11comp_targetILNS1_3genE0ELNS1_11target_archE4294967295ELNS1_3gpuE0ELNS1_3repE0EEENS1_52radix_sort_onesweep_histogram_config_static_selectorELNS0_4arch9wavefront6targetE1EEEvSI_: ; @_ZN7rocprim17ROCPRIM_400000_NS6detail17trampoline_kernelINS0_14default_configENS1_35radix_sort_onesweep_config_selectorIbiEEZNS1_34radix_sort_onesweep_global_offsetsIS3_Lb1EN6thrust23THRUST_200600_302600_NS6detail15normal_iteratorINS8_10device_ptrIbEEEENSA_INSB_IiEEEEjNS0_19identity_decomposerEEE10hipError_tT1_T2_PT3_SK_jT4_jjP12ihipStream_tbEUlT_E0_NS1_11comp_targetILNS1_3genE0ELNS1_11target_archE4294967295ELNS1_3gpuE0ELNS1_3repE0EEENS1_52radix_sort_onesweep_histogram_config_static_selectorELNS0_4arch9wavefront6targetE1EEEvSI_
; %bb.0:
	.section	.rodata,"a",@progbits
	.p2align	6, 0x0
	.amdhsa_kernel _ZN7rocprim17ROCPRIM_400000_NS6detail17trampoline_kernelINS0_14default_configENS1_35radix_sort_onesweep_config_selectorIbiEEZNS1_34radix_sort_onesweep_global_offsetsIS3_Lb1EN6thrust23THRUST_200600_302600_NS6detail15normal_iteratorINS8_10device_ptrIbEEEENSA_INSB_IiEEEEjNS0_19identity_decomposerEEE10hipError_tT1_T2_PT3_SK_jT4_jjP12ihipStream_tbEUlT_E0_NS1_11comp_targetILNS1_3genE0ELNS1_11target_archE4294967295ELNS1_3gpuE0ELNS1_3repE0EEENS1_52radix_sort_onesweep_histogram_config_static_selectorELNS0_4arch9wavefront6targetE1EEEvSI_
		.amdhsa_group_segment_fixed_size 0
		.amdhsa_private_segment_fixed_size 0
		.amdhsa_kernarg_size 8
		.amdhsa_user_sgpr_count 2
		.amdhsa_user_sgpr_dispatch_ptr 0
		.amdhsa_user_sgpr_queue_ptr 0
		.amdhsa_user_sgpr_kernarg_segment_ptr 1
		.amdhsa_user_sgpr_dispatch_id 0
		.amdhsa_user_sgpr_kernarg_preload_length 0
		.amdhsa_user_sgpr_kernarg_preload_offset 0
		.amdhsa_user_sgpr_private_segment_size 0
		.amdhsa_uses_dynamic_stack 0
		.amdhsa_enable_private_segment 0
		.amdhsa_system_sgpr_workgroup_id_x 1
		.amdhsa_system_sgpr_workgroup_id_y 0
		.amdhsa_system_sgpr_workgroup_id_z 0
		.amdhsa_system_sgpr_workgroup_info 0
		.amdhsa_system_vgpr_workitem_id 0
		.amdhsa_next_free_vgpr 1
		.amdhsa_next_free_sgpr 0
		.amdhsa_accum_offset 4
		.amdhsa_reserve_vcc 0
		.amdhsa_float_round_mode_32 0
		.amdhsa_float_round_mode_16_64 0
		.amdhsa_float_denorm_mode_32 3
		.amdhsa_float_denorm_mode_16_64 3
		.amdhsa_dx10_clamp 1
		.amdhsa_ieee_mode 1
		.amdhsa_fp16_overflow 0
		.amdhsa_tg_split 0
		.amdhsa_exception_fp_ieee_invalid_op 0
		.amdhsa_exception_fp_denorm_src 0
		.amdhsa_exception_fp_ieee_div_zero 0
		.amdhsa_exception_fp_ieee_overflow 0
		.amdhsa_exception_fp_ieee_underflow 0
		.amdhsa_exception_fp_ieee_inexact 0
		.amdhsa_exception_int_div_zero 0
	.end_amdhsa_kernel
	.section	.text._ZN7rocprim17ROCPRIM_400000_NS6detail17trampoline_kernelINS0_14default_configENS1_35radix_sort_onesweep_config_selectorIbiEEZNS1_34radix_sort_onesweep_global_offsetsIS3_Lb1EN6thrust23THRUST_200600_302600_NS6detail15normal_iteratorINS8_10device_ptrIbEEEENSA_INSB_IiEEEEjNS0_19identity_decomposerEEE10hipError_tT1_T2_PT3_SK_jT4_jjP12ihipStream_tbEUlT_E0_NS1_11comp_targetILNS1_3genE0ELNS1_11target_archE4294967295ELNS1_3gpuE0ELNS1_3repE0EEENS1_52radix_sort_onesweep_histogram_config_static_selectorELNS0_4arch9wavefront6targetE1EEEvSI_,"axG",@progbits,_ZN7rocprim17ROCPRIM_400000_NS6detail17trampoline_kernelINS0_14default_configENS1_35radix_sort_onesweep_config_selectorIbiEEZNS1_34radix_sort_onesweep_global_offsetsIS3_Lb1EN6thrust23THRUST_200600_302600_NS6detail15normal_iteratorINS8_10device_ptrIbEEEENSA_INSB_IiEEEEjNS0_19identity_decomposerEEE10hipError_tT1_T2_PT3_SK_jT4_jjP12ihipStream_tbEUlT_E0_NS1_11comp_targetILNS1_3genE0ELNS1_11target_archE4294967295ELNS1_3gpuE0ELNS1_3repE0EEENS1_52radix_sort_onesweep_histogram_config_static_selectorELNS0_4arch9wavefront6targetE1EEEvSI_,comdat
.Lfunc_end2209:
	.size	_ZN7rocprim17ROCPRIM_400000_NS6detail17trampoline_kernelINS0_14default_configENS1_35radix_sort_onesweep_config_selectorIbiEEZNS1_34radix_sort_onesweep_global_offsetsIS3_Lb1EN6thrust23THRUST_200600_302600_NS6detail15normal_iteratorINS8_10device_ptrIbEEEENSA_INSB_IiEEEEjNS0_19identity_decomposerEEE10hipError_tT1_T2_PT3_SK_jT4_jjP12ihipStream_tbEUlT_E0_NS1_11comp_targetILNS1_3genE0ELNS1_11target_archE4294967295ELNS1_3gpuE0ELNS1_3repE0EEENS1_52radix_sort_onesweep_histogram_config_static_selectorELNS0_4arch9wavefront6targetE1EEEvSI_, .Lfunc_end2209-_ZN7rocprim17ROCPRIM_400000_NS6detail17trampoline_kernelINS0_14default_configENS1_35radix_sort_onesweep_config_selectorIbiEEZNS1_34radix_sort_onesweep_global_offsetsIS3_Lb1EN6thrust23THRUST_200600_302600_NS6detail15normal_iteratorINS8_10device_ptrIbEEEENSA_INSB_IiEEEEjNS0_19identity_decomposerEEE10hipError_tT1_T2_PT3_SK_jT4_jjP12ihipStream_tbEUlT_E0_NS1_11comp_targetILNS1_3genE0ELNS1_11target_archE4294967295ELNS1_3gpuE0ELNS1_3repE0EEENS1_52radix_sort_onesweep_histogram_config_static_selectorELNS0_4arch9wavefront6targetE1EEEvSI_
                                        ; -- End function
	.set _ZN7rocprim17ROCPRIM_400000_NS6detail17trampoline_kernelINS0_14default_configENS1_35radix_sort_onesweep_config_selectorIbiEEZNS1_34radix_sort_onesweep_global_offsetsIS3_Lb1EN6thrust23THRUST_200600_302600_NS6detail15normal_iteratorINS8_10device_ptrIbEEEENSA_INSB_IiEEEEjNS0_19identity_decomposerEEE10hipError_tT1_T2_PT3_SK_jT4_jjP12ihipStream_tbEUlT_E0_NS1_11comp_targetILNS1_3genE0ELNS1_11target_archE4294967295ELNS1_3gpuE0ELNS1_3repE0EEENS1_52radix_sort_onesweep_histogram_config_static_selectorELNS0_4arch9wavefront6targetE1EEEvSI_.num_vgpr, 0
	.set _ZN7rocprim17ROCPRIM_400000_NS6detail17trampoline_kernelINS0_14default_configENS1_35radix_sort_onesweep_config_selectorIbiEEZNS1_34radix_sort_onesweep_global_offsetsIS3_Lb1EN6thrust23THRUST_200600_302600_NS6detail15normal_iteratorINS8_10device_ptrIbEEEENSA_INSB_IiEEEEjNS0_19identity_decomposerEEE10hipError_tT1_T2_PT3_SK_jT4_jjP12ihipStream_tbEUlT_E0_NS1_11comp_targetILNS1_3genE0ELNS1_11target_archE4294967295ELNS1_3gpuE0ELNS1_3repE0EEENS1_52radix_sort_onesweep_histogram_config_static_selectorELNS0_4arch9wavefront6targetE1EEEvSI_.num_agpr, 0
	.set _ZN7rocprim17ROCPRIM_400000_NS6detail17trampoline_kernelINS0_14default_configENS1_35radix_sort_onesweep_config_selectorIbiEEZNS1_34radix_sort_onesweep_global_offsetsIS3_Lb1EN6thrust23THRUST_200600_302600_NS6detail15normal_iteratorINS8_10device_ptrIbEEEENSA_INSB_IiEEEEjNS0_19identity_decomposerEEE10hipError_tT1_T2_PT3_SK_jT4_jjP12ihipStream_tbEUlT_E0_NS1_11comp_targetILNS1_3genE0ELNS1_11target_archE4294967295ELNS1_3gpuE0ELNS1_3repE0EEENS1_52radix_sort_onesweep_histogram_config_static_selectorELNS0_4arch9wavefront6targetE1EEEvSI_.numbered_sgpr, 0
	.set _ZN7rocprim17ROCPRIM_400000_NS6detail17trampoline_kernelINS0_14default_configENS1_35radix_sort_onesweep_config_selectorIbiEEZNS1_34radix_sort_onesweep_global_offsetsIS3_Lb1EN6thrust23THRUST_200600_302600_NS6detail15normal_iteratorINS8_10device_ptrIbEEEENSA_INSB_IiEEEEjNS0_19identity_decomposerEEE10hipError_tT1_T2_PT3_SK_jT4_jjP12ihipStream_tbEUlT_E0_NS1_11comp_targetILNS1_3genE0ELNS1_11target_archE4294967295ELNS1_3gpuE0ELNS1_3repE0EEENS1_52radix_sort_onesweep_histogram_config_static_selectorELNS0_4arch9wavefront6targetE1EEEvSI_.num_named_barrier, 0
	.set _ZN7rocprim17ROCPRIM_400000_NS6detail17trampoline_kernelINS0_14default_configENS1_35radix_sort_onesweep_config_selectorIbiEEZNS1_34radix_sort_onesweep_global_offsetsIS3_Lb1EN6thrust23THRUST_200600_302600_NS6detail15normal_iteratorINS8_10device_ptrIbEEEENSA_INSB_IiEEEEjNS0_19identity_decomposerEEE10hipError_tT1_T2_PT3_SK_jT4_jjP12ihipStream_tbEUlT_E0_NS1_11comp_targetILNS1_3genE0ELNS1_11target_archE4294967295ELNS1_3gpuE0ELNS1_3repE0EEENS1_52radix_sort_onesweep_histogram_config_static_selectorELNS0_4arch9wavefront6targetE1EEEvSI_.private_seg_size, 0
	.set _ZN7rocprim17ROCPRIM_400000_NS6detail17trampoline_kernelINS0_14default_configENS1_35radix_sort_onesweep_config_selectorIbiEEZNS1_34radix_sort_onesweep_global_offsetsIS3_Lb1EN6thrust23THRUST_200600_302600_NS6detail15normal_iteratorINS8_10device_ptrIbEEEENSA_INSB_IiEEEEjNS0_19identity_decomposerEEE10hipError_tT1_T2_PT3_SK_jT4_jjP12ihipStream_tbEUlT_E0_NS1_11comp_targetILNS1_3genE0ELNS1_11target_archE4294967295ELNS1_3gpuE0ELNS1_3repE0EEENS1_52radix_sort_onesweep_histogram_config_static_selectorELNS0_4arch9wavefront6targetE1EEEvSI_.uses_vcc, 0
	.set _ZN7rocprim17ROCPRIM_400000_NS6detail17trampoline_kernelINS0_14default_configENS1_35radix_sort_onesweep_config_selectorIbiEEZNS1_34radix_sort_onesweep_global_offsetsIS3_Lb1EN6thrust23THRUST_200600_302600_NS6detail15normal_iteratorINS8_10device_ptrIbEEEENSA_INSB_IiEEEEjNS0_19identity_decomposerEEE10hipError_tT1_T2_PT3_SK_jT4_jjP12ihipStream_tbEUlT_E0_NS1_11comp_targetILNS1_3genE0ELNS1_11target_archE4294967295ELNS1_3gpuE0ELNS1_3repE0EEENS1_52radix_sort_onesweep_histogram_config_static_selectorELNS0_4arch9wavefront6targetE1EEEvSI_.uses_flat_scratch, 0
	.set _ZN7rocprim17ROCPRIM_400000_NS6detail17trampoline_kernelINS0_14default_configENS1_35radix_sort_onesweep_config_selectorIbiEEZNS1_34radix_sort_onesweep_global_offsetsIS3_Lb1EN6thrust23THRUST_200600_302600_NS6detail15normal_iteratorINS8_10device_ptrIbEEEENSA_INSB_IiEEEEjNS0_19identity_decomposerEEE10hipError_tT1_T2_PT3_SK_jT4_jjP12ihipStream_tbEUlT_E0_NS1_11comp_targetILNS1_3genE0ELNS1_11target_archE4294967295ELNS1_3gpuE0ELNS1_3repE0EEENS1_52radix_sort_onesweep_histogram_config_static_selectorELNS0_4arch9wavefront6targetE1EEEvSI_.has_dyn_sized_stack, 0
	.set _ZN7rocprim17ROCPRIM_400000_NS6detail17trampoline_kernelINS0_14default_configENS1_35radix_sort_onesweep_config_selectorIbiEEZNS1_34radix_sort_onesweep_global_offsetsIS3_Lb1EN6thrust23THRUST_200600_302600_NS6detail15normal_iteratorINS8_10device_ptrIbEEEENSA_INSB_IiEEEEjNS0_19identity_decomposerEEE10hipError_tT1_T2_PT3_SK_jT4_jjP12ihipStream_tbEUlT_E0_NS1_11comp_targetILNS1_3genE0ELNS1_11target_archE4294967295ELNS1_3gpuE0ELNS1_3repE0EEENS1_52radix_sort_onesweep_histogram_config_static_selectorELNS0_4arch9wavefront6targetE1EEEvSI_.has_recursion, 0
	.set _ZN7rocprim17ROCPRIM_400000_NS6detail17trampoline_kernelINS0_14default_configENS1_35radix_sort_onesweep_config_selectorIbiEEZNS1_34radix_sort_onesweep_global_offsetsIS3_Lb1EN6thrust23THRUST_200600_302600_NS6detail15normal_iteratorINS8_10device_ptrIbEEEENSA_INSB_IiEEEEjNS0_19identity_decomposerEEE10hipError_tT1_T2_PT3_SK_jT4_jjP12ihipStream_tbEUlT_E0_NS1_11comp_targetILNS1_3genE0ELNS1_11target_archE4294967295ELNS1_3gpuE0ELNS1_3repE0EEENS1_52radix_sort_onesweep_histogram_config_static_selectorELNS0_4arch9wavefront6targetE1EEEvSI_.has_indirect_call, 0
	.section	.AMDGPU.csdata,"",@progbits
; Kernel info:
; codeLenInByte = 0
; TotalNumSgprs: 6
; NumVgprs: 0
; NumAgprs: 0
; TotalNumVgprs: 0
; ScratchSize: 0
; MemoryBound: 0
; FloatMode: 240
; IeeeMode: 1
; LDSByteSize: 0 bytes/workgroup (compile time only)
; SGPRBlocks: 0
; VGPRBlocks: 0
; NumSGPRsForWavesPerEU: 6
; NumVGPRsForWavesPerEU: 1
; AccumOffset: 4
; Occupancy: 8
; WaveLimiterHint : 0
; COMPUTE_PGM_RSRC2:SCRATCH_EN: 0
; COMPUTE_PGM_RSRC2:USER_SGPR: 2
; COMPUTE_PGM_RSRC2:TRAP_HANDLER: 0
; COMPUTE_PGM_RSRC2:TGID_X_EN: 1
; COMPUTE_PGM_RSRC2:TGID_Y_EN: 0
; COMPUTE_PGM_RSRC2:TGID_Z_EN: 0
; COMPUTE_PGM_RSRC2:TIDIG_COMP_CNT: 0
; COMPUTE_PGM_RSRC3_GFX90A:ACCUM_OFFSET: 0
; COMPUTE_PGM_RSRC3_GFX90A:TG_SPLIT: 0
	.section	.text._ZN7rocprim17ROCPRIM_400000_NS6detail17trampoline_kernelINS0_14default_configENS1_35radix_sort_onesweep_config_selectorIbiEEZNS1_34radix_sort_onesweep_global_offsetsIS3_Lb1EN6thrust23THRUST_200600_302600_NS6detail15normal_iteratorINS8_10device_ptrIbEEEENSA_INSB_IiEEEEjNS0_19identity_decomposerEEE10hipError_tT1_T2_PT3_SK_jT4_jjP12ihipStream_tbEUlT_E0_NS1_11comp_targetILNS1_3genE6ELNS1_11target_archE950ELNS1_3gpuE13ELNS1_3repE0EEENS1_52radix_sort_onesweep_histogram_config_static_selectorELNS0_4arch9wavefront6targetE1EEEvSI_,"axG",@progbits,_ZN7rocprim17ROCPRIM_400000_NS6detail17trampoline_kernelINS0_14default_configENS1_35radix_sort_onesweep_config_selectorIbiEEZNS1_34radix_sort_onesweep_global_offsetsIS3_Lb1EN6thrust23THRUST_200600_302600_NS6detail15normal_iteratorINS8_10device_ptrIbEEEENSA_INSB_IiEEEEjNS0_19identity_decomposerEEE10hipError_tT1_T2_PT3_SK_jT4_jjP12ihipStream_tbEUlT_E0_NS1_11comp_targetILNS1_3genE6ELNS1_11target_archE950ELNS1_3gpuE13ELNS1_3repE0EEENS1_52radix_sort_onesweep_histogram_config_static_selectorELNS0_4arch9wavefront6targetE1EEEvSI_,comdat
	.protected	_ZN7rocprim17ROCPRIM_400000_NS6detail17trampoline_kernelINS0_14default_configENS1_35radix_sort_onesweep_config_selectorIbiEEZNS1_34radix_sort_onesweep_global_offsetsIS3_Lb1EN6thrust23THRUST_200600_302600_NS6detail15normal_iteratorINS8_10device_ptrIbEEEENSA_INSB_IiEEEEjNS0_19identity_decomposerEEE10hipError_tT1_T2_PT3_SK_jT4_jjP12ihipStream_tbEUlT_E0_NS1_11comp_targetILNS1_3genE6ELNS1_11target_archE950ELNS1_3gpuE13ELNS1_3repE0EEENS1_52radix_sort_onesweep_histogram_config_static_selectorELNS0_4arch9wavefront6targetE1EEEvSI_ ; -- Begin function _ZN7rocprim17ROCPRIM_400000_NS6detail17trampoline_kernelINS0_14default_configENS1_35radix_sort_onesweep_config_selectorIbiEEZNS1_34radix_sort_onesweep_global_offsetsIS3_Lb1EN6thrust23THRUST_200600_302600_NS6detail15normal_iteratorINS8_10device_ptrIbEEEENSA_INSB_IiEEEEjNS0_19identity_decomposerEEE10hipError_tT1_T2_PT3_SK_jT4_jjP12ihipStream_tbEUlT_E0_NS1_11comp_targetILNS1_3genE6ELNS1_11target_archE950ELNS1_3gpuE13ELNS1_3repE0EEENS1_52radix_sort_onesweep_histogram_config_static_selectorELNS0_4arch9wavefront6targetE1EEEvSI_
	.globl	_ZN7rocprim17ROCPRIM_400000_NS6detail17trampoline_kernelINS0_14default_configENS1_35radix_sort_onesweep_config_selectorIbiEEZNS1_34radix_sort_onesweep_global_offsetsIS3_Lb1EN6thrust23THRUST_200600_302600_NS6detail15normal_iteratorINS8_10device_ptrIbEEEENSA_INSB_IiEEEEjNS0_19identity_decomposerEEE10hipError_tT1_T2_PT3_SK_jT4_jjP12ihipStream_tbEUlT_E0_NS1_11comp_targetILNS1_3genE6ELNS1_11target_archE950ELNS1_3gpuE13ELNS1_3repE0EEENS1_52radix_sort_onesweep_histogram_config_static_selectorELNS0_4arch9wavefront6targetE1EEEvSI_
	.p2align	8
	.type	_ZN7rocprim17ROCPRIM_400000_NS6detail17trampoline_kernelINS0_14default_configENS1_35radix_sort_onesweep_config_selectorIbiEEZNS1_34radix_sort_onesweep_global_offsetsIS3_Lb1EN6thrust23THRUST_200600_302600_NS6detail15normal_iteratorINS8_10device_ptrIbEEEENSA_INSB_IiEEEEjNS0_19identity_decomposerEEE10hipError_tT1_T2_PT3_SK_jT4_jjP12ihipStream_tbEUlT_E0_NS1_11comp_targetILNS1_3genE6ELNS1_11target_archE950ELNS1_3gpuE13ELNS1_3repE0EEENS1_52radix_sort_onesweep_histogram_config_static_selectorELNS0_4arch9wavefront6targetE1EEEvSI_,@function
_ZN7rocprim17ROCPRIM_400000_NS6detail17trampoline_kernelINS0_14default_configENS1_35radix_sort_onesweep_config_selectorIbiEEZNS1_34radix_sort_onesweep_global_offsetsIS3_Lb1EN6thrust23THRUST_200600_302600_NS6detail15normal_iteratorINS8_10device_ptrIbEEEENSA_INSB_IiEEEEjNS0_19identity_decomposerEEE10hipError_tT1_T2_PT3_SK_jT4_jjP12ihipStream_tbEUlT_E0_NS1_11comp_targetILNS1_3genE6ELNS1_11target_archE950ELNS1_3gpuE13ELNS1_3repE0EEENS1_52radix_sort_onesweep_histogram_config_static_selectorELNS0_4arch9wavefront6targetE1EEEvSI_: ; @_ZN7rocprim17ROCPRIM_400000_NS6detail17trampoline_kernelINS0_14default_configENS1_35radix_sort_onesweep_config_selectorIbiEEZNS1_34radix_sort_onesweep_global_offsetsIS3_Lb1EN6thrust23THRUST_200600_302600_NS6detail15normal_iteratorINS8_10device_ptrIbEEEENSA_INSB_IiEEEEjNS0_19identity_decomposerEEE10hipError_tT1_T2_PT3_SK_jT4_jjP12ihipStream_tbEUlT_E0_NS1_11comp_targetILNS1_3genE6ELNS1_11target_archE950ELNS1_3gpuE13ELNS1_3repE0EEENS1_52radix_sort_onesweep_histogram_config_static_selectorELNS0_4arch9wavefront6targetE1EEEvSI_
; %bb.0:
	s_load_dwordx2 s[0:1], s[0:1], 0x0
	s_lshl_b32 s2, s2, 8
	s_mov_b32 s3, 0
	s_lshl_b64 s[2:3], s[2:3], 2
	v_lshlrev_b32_e32 v1, 2, v0
	s_waitcnt lgkmcnt(0)
	s_add_u32 s10, s0, s2
	s_movk_i32 s0, 0x100
	s_addc_u32 s11, s1, s3
	v_cmp_gt_u32_e32 vcc, s0, v0
                                        ; implicit-def: $vgpr3
	s_and_saveexec_b64 s[0:1], vcc
	s_cbranch_execz .LBB2210_2
; %bb.1:
	global_load_dword v3, v1, s[10:11]
.LBB2210_2:
	s_or_b64 exec, exec, s[0:1]
	v_mbcnt_lo_u32_b32 v2, -1, 0
	v_mbcnt_hi_u32_b32 v2, -1, v2
	v_and_b32_e32 v4, 15, v2
	s_waitcnt vmcnt(0)
	v_mov_b32_dpp v5, v3 row_shr:1 row_mask:0xf bank_mask:0xf
	v_cmp_eq_u32_e64 s[0:1], 0, v4
	v_cmp_lt_u32_e64 s[2:3], 1, v4
	v_cmp_lt_u32_e64 s[4:5], 3, v4
	v_cndmask_b32_e64 v5, v5, 0, s[0:1]
	v_add_u32_e32 v3, v5, v3
	v_cmp_lt_u32_e64 s[6:7], 7, v4
	v_cmp_lt_u32_e64 s[8:9], 31, v2
	v_mov_b32_dpp v5, v3 row_shr:2 row_mask:0xf bank_mask:0xf
	v_cndmask_b32_e64 v5, 0, v5, s[2:3]
	v_add_u32_e32 v3, v3, v5
	s_nop 1
	v_mov_b32_dpp v5, v3 row_shr:4 row_mask:0xf bank_mask:0xf
	v_cndmask_b32_e64 v5, 0, v5, s[4:5]
	v_add_u32_e32 v3, v3, v5
	s_nop 1
	v_mov_b32_dpp v5, v3 row_shr:8 row_mask:0xf bank_mask:0xf
	v_cndmask_b32_e64 v4, 0, v5, s[6:7]
	v_add_u32_e32 v3, v3, v4
	v_bfe_i32 v5, v2, 4, 1
	s_nop 0
	v_mov_b32_dpp v4, v3 row_bcast:15 row_mask:0xf bank_mask:0xf
	v_and_b32_e32 v4, v5, v4
	v_add_u32_e32 v3, v3, v4
	v_and_b32_e32 v5, 63, v0
	s_nop 0
	v_mov_b32_dpp v4, v3 row_bcast:31 row_mask:0xf bank_mask:0xf
	v_cndmask_b32_e64 v4, 0, v4, s[8:9]
	v_add_u32_e32 v3, v3, v4
	v_lshrrev_b32_e32 v4, 6, v0
	v_cmp_eq_u32_e64 s[8:9], 63, v5
	s_and_saveexec_b64 s[12:13], s[8:9]
; %bb.3:
	v_lshlrev_b32_e32 v5, 2, v4
	ds_write_b32 v5, v3
; %bb.4:
	s_or_b64 exec, exec, s[12:13]
	v_cmp_gt_u32_e64 s[8:9], 16, v0
	s_waitcnt lgkmcnt(0)
	s_barrier
	s_and_saveexec_b64 s[12:13], s[8:9]
	s_cbranch_execz .LBB2210_6
; %bb.5:
	ds_read_b32 v5, v1
	s_waitcnt lgkmcnt(0)
	s_nop 0
	v_mov_b32_dpp v6, v5 row_shr:1 row_mask:0xf bank_mask:0xf
	v_cndmask_b32_e64 v6, v6, 0, s[0:1]
	v_add_u32_e32 v5, v6, v5
	s_nop 1
	v_mov_b32_dpp v6, v5 row_shr:2 row_mask:0xf bank_mask:0xf
	v_cndmask_b32_e64 v6, 0, v6, s[2:3]
	v_add_u32_e32 v5, v5, v6
	;; [unrolled: 4-line block ×4, first 2 shown]
	ds_write_b32 v1, v5
.LBB2210_6:
	s_or_b64 exec, exec, s[12:13]
	v_cmp_lt_u32_e64 s[0:1], 63, v0
	v_mov_b32_e32 v0, 0
	s_waitcnt lgkmcnt(0)
	s_barrier
	s_and_saveexec_b64 s[2:3], s[0:1]
; %bb.7:
	v_lshl_add_u32 v0, v4, 2, -4
	ds_read_b32 v0, v0
; %bb.8:
	s_or_b64 exec, exec, s[2:3]
	v_add_u32_e32 v4, -1, v2
	v_and_b32_e32 v5, 64, v2
	v_cmp_lt_i32_e64 s[0:1], v4, v5
	s_waitcnt lgkmcnt(0)
	v_add_u32_e32 v3, v0, v3
	v_cndmask_b32_e64 v4, v4, v2, s[0:1]
	v_lshlrev_b32_e32 v4, 2, v4
	ds_bpermute_b32 v3, v4, v3
	s_and_saveexec_b64 s[0:1], vcc
	s_cbranch_execz .LBB2210_10
; %bb.9:
	v_cmp_eq_u32_e32 vcc, 0, v2
	s_waitcnt lgkmcnt(0)
	s_nop 0
	v_cndmask_b32_e32 v0, v3, v0, vcc
	global_store_dword v1, v0, s[10:11]
.LBB2210_10:
	s_endpgm
	.section	.rodata,"a",@progbits
	.p2align	6, 0x0
	.amdhsa_kernel _ZN7rocprim17ROCPRIM_400000_NS6detail17trampoline_kernelINS0_14default_configENS1_35radix_sort_onesweep_config_selectorIbiEEZNS1_34radix_sort_onesweep_global_offsetsIS3_Lb1EN6thrust23THRUST_200600_302600_NS6detail15normal_iteratorINS8_10device_ptrIbEEEENSA_INSB_IiEEEEjNS0_19identity_decomposerEEE10hipError_tT1_T2_PT3_SK_jT4_jjP12ihipStream_tbEUlT_E0_NS1_11comp_targetILNS1_3genE6ELNS1_11target_archE950ELNS1_3gpuE13ELNS1_3repE0EEENS1_52radix_sort_onesweep_histogram_config_static_selectorELNS0_4arch9wavefront6targetE1EEEvSI_
		.amdhsa_group_segment_fixed_size 64
		.amdhsa_private_segment_fixed_size 0
		.amdhsa_kernarg_size 8
		.amdhsa_user_sgpr_count 2
		.amdhsa_user_sgpr_dispatch_ptr 0
		.amdhsa_user_sgpr_queue_ptr 0
		.amdhsa_user_sgpr_kernarg_segment_ptr 1
		.amdhsa_user_sgpr_dispatch_id 0
		.amdhsa_user_sgpr_kernarg_preload_length 0
		.amdhsa_user_sgpr_kernarg_preload_offset 0
		.amdhsa_user_sgpr_private_segment_size 0
		.amdhsa_uses_dynamic_stack 0
		.amdhsa_enable_private_segment 0
		.amdhsa_system_sgpr_workgroup_id_x 1
		.amdhsa_system_sgpr_workgroup_id_y 0
		.amdhsa_system_sgpr_workgroup_id_z 0
		.amdhsa_system_sgpr_workgroup_info 0
		.amdhsa_system_vgpr_workitem_id 0
		.amdhsa_next_free_vgpr 7
		.amdhsa_next_free_sgpr 14
		.amdhsa_accum_offset 8
		.amdhsa_reserve_vcc 1
		.amdhsa_float_round_mode_32 0
		.amdhsa_float_round_mode_16_64 0
		.amdhsa_float_denorm_mode_32 3
		.amdhsa_float_denorm_mode_16_64 3
		.amdhsa_dx10_clamp 1
		.amdhsa_ieee_mode 1
		.amdhsa_fp16_overflow 0
		.amdhsa_tg_split 0
		.amdhsa_exception_fp_ieee_invalid_op 0
		.amdhsa_exception_fp_denorm_src 0
		.amdhsa_exception_fp_ieee_div_zero 0
		.amdhsa_exception_fp_ieee_overflow 0
		.amdhsa_exception_fp_ieee_underflow 0
		.amdhsa_exception_fp_ieee_inexact 0
		.amdhsa_exception_int_div_zero 0
	.end_amdhsa_kernel
	.section	.text._ZN7rocprim17ROCPRIM_400000_NS6detail17trampoline_kernelINS0_14default_configENS1_35radix_sort_onesweep_config_selectorIbiEEZNS1_34radix_sort_onesweep_global_offsetsIS3_Lb1EN6thrust23THRUST_200600_302600_NS6detail15normal_iteratorINS8_10device_ptrIbEEEENSA_INSB_IiEEEEjNS0_19identity_decomposerEEE10hipError_tT1_T2_PT3_SK_jT4_jjP12ihipStream_tbEUlT_E0_NS1_11comp_targetILNS1_3genE6ELNS1_11target_archE950ELNS1_3gpuE13ELNS1_3repE0EEENS1_52radix_sort_onesweep_histogram_config_static_selectorELNS0_4arch9wavefront6targetE1EEEvSI_,"axG",@progbits,_ZN7rocprim17ROCPRIM_400000_NS6detail17trampoline_kernelINS0_14default_configENS1_35radix_sort_onesweep_config_selectorIbiEEZNS1_34radix_sort_onesweep_global_offsetsIS3_Lb1EN6thrust23THRUST_200600_302600_NS6detail15normal_iteratorINS8_10device_ptrIbEEEENSA_INSB_IiEEEEjNS0_19identity_decomposerEEE10hipError_tT1_T2_PT3_SK_jT4_jjP12ihipStream_tbEUlT_E0_NS1_11comp_targetILNS1_3genE6ELNS1_11target_archE950ELNS1_3gpuE13ELNS1_3repE0EEENS1_52radix_sort_onesweep_histogram_config_static_selectorELNS0_4arch9wavefront6targetE1EEEvSI_,comdat
.Lfunc_end2210:
	.size	_ZN7rocprim17ROCPRIM_400000_NS6detail17trampoline_kernelINS0_14default_configENS1_35radix_sort_onesweep_config_selectorIbiEEZNS1_34radix_sort_onesweep_global_offsetsIS3_Lb1EN6thrust23THRUST_200600_302600_NS6detail15normal_iteratorINS8_10device_ptrIbEEEENSA_INSB_IiEEEEjNS0_19identity_decomposerEEE10hipError_tT1_T2_PT3_SK_jT4_jjP12ihipStream_tbEUlT_E0_NS1_11comp_targetILNS1_3genE6ELNS1_11target_archE950ELNS1_3gpuE13ELNS1_3repE0EEENS1_52radix_sort_onesweep_histogram_config_static_selectorELNS0_4arch9wavefront6targetE1EEEvSI_, .Lfunc_end2210-_ZN7rocprim17ROCPRIM_400000_NS6detail17trampoline_kernelINS0_14default_configENS1_35radix_sort_onesweep_config_selectorIbiEEZNS1_34radix_sort_onesweep_global_offsetsIS3_Lb1EN6thrust23THRUST_200600_302600_NS6detail15normal_iteratorINS8_10device_ptrIbEEEENSA_INSB_IiEEEEjNS0_19identity_decomposerEEE10hipError_tT1_T2_PT3_SK_jT4_jjP12ihipStream_tbEUlT_E0_NS1_11comp_targetILNS1_3genE6ELNS1_11target_archE950ELNS1_3gpuE13ELNS1_3repE0EEENS1_52radix_sort_onesweep_histogram_config_static_selectorELNS0_4arch9wavefront6targetE1EEEvSI_
                                        ; -- End function
	.set _ZN7rocprim17ROCPRIM_400000_NS6detail17trampoline_kernelINS0_14default_configENS1_35radix_sort_onesweep_config_selectorIbiEEZNS1_34radix_sort_onesweep_global_offsetsIS3_Lb1EN6thrust23THRUST_200600_302600_NS6detail15normal_iteratorINS8_10device_ptrIbEEEENSA_INSB_IiEEEEjNS0_19identity_decomposerEEE10hipError_tT1_T2_PT3_SK_jT4_jjP12ihipStream_tbEUlT_E0_NS1_11comp_targetILNS1_3genE6ELNS1_11target_archE950ELNS1_3gpuE13ELNS1_3repE0EEENS1_52radix_sort_onesweep_histogram_config_static_selectorELNS0_4arch9wavefront6targetE1EEEvSI_.num_vgpr, 7
	.set _ZN7rocprim17ROCPRIM_400000_NS6detail17trampoline_kernelINS0_14default_configENS1_35radix_sort_onesweep_config_selectorIbiEEZNS1_34radix_sort_onesweep_global_offsetsIS3_Lb1EN6thrust23THRUST_200600_302600_NS6detail15normal_iteratorINS8_10device_ptrIbEEEENSA_INSB_IiEEEEjNS0_19identity_decomposerEEE10hipError_tT1_T2_PT3_SK_jT4_jjP12ihipStream_tbEUlT_E0_NS1_11comp_targetILNS1_3genE6ELNS1_11target_archE950ELNS1_3gpuE13ELNS1_3repE0EEENS1_52radix_sort_onesweep_histogram_config_static_selectorELNS0_4arch9wavefront6targetE1EEEvSI_.num_agpr, 0
	.set _ZN7rocprim17ROCPRIM_400000_NS6detail17trampoline_kernelINS0_14default_configENS1_35radix_sort_onesweep_config_selectorIbiEEZNS1_34radix_sort_onesweep_global_offsetsIS3_Lb1EN6thrust23THRUST_200600_302600_NS6detail15normal_iteratorINS8_10device_ptrIbEEEENSA_INSB_IiEEEEjNS0_19identity_decomposerEEE10hipError_tT1_T2_PT3_SK_jT4_jjP12ihipStream_tbEUlT_E0_NS1_11comp_targetILNS1_3genE6ELNS1_11target_archE950ELNS1_3gpuE13ELNS1_3repE0EEENS1_52radix_sort_onesweep_histogram_config_static_selectorELNS0_4arch9wavefront6targetE1EEEvSI_.numbered_sgpr, 14
	.set _ZN7rocprim17ROCPRIM_400000_NS6detail17trampoline_kernelINS0_14default_configENS1_35radix_sort_onesweep_config_selectorIbiEEZNS1_34radix_sort_onesweep_global_offsetsIS3_Lb1EN6thrust23THRUST_200600_302600_NS6detail15normal_iteratorINS8_10device_ptrIbEEEENSA_INSB_IiEEEEjNS0_19identity_decomposerEEE10hipError_tT1_T2_PT3_SK_jT4_jjP12ihipStream_tbEUlT_E0_NS1_11comp_targetILNS1_3genE6ELNS1_11target_archE950ELNS1_3gpuE13ELNS1_3repE0EEENS1_52radix_sort_onesweep_histogram_config_static_selectorELNS0_4arch9wavefront6targetE1EEEvSI_.num_named_barrier, 0
	.set _ZN7rocprim17ROCPRIM_400000_NS6detail17trampoline_kernelINS0_14default_configENS1_35radix_sort_onesweep_config_selectorIbiEEZNS1_34radix_sort_onesweep_global_offsetsIS3_Lb1EN6thrust23THRUST_200600_302600_NS6detail15normal_iteratorINS8_10device_ptrIbEEEENSA_INSB_IiEEEEjNS0_19identity_decomposerEEE10hipError_tT1_T2_PT3_SK_jT4_jjP12ihipStream_tbEUlT_E0_NS1_11comp_targetILNS1_3genE6ELNS1_11target_archE950ELNS1_3gpuE13ELNS1_3repE0EEENS1_52radix_sort_onesweep_histogram_config_static_selectorELNS0_4arch9wavefront6targetE1EEEvSI_.private_seg_size, 0
	.set _ZN7rocprim17ROCPRIM_400000_NS6detail17trampoline_kernelINS0_14default_configENS1_35radix_sort_onesweep_config_selectorIbiEEZNS1_34radix_sort_onesweep_global_offsetsIS3_Lb1EN6thrust23THRUST_200600_302600_NS6detail15normal_iteratorINS8_10device_ptrIbEEEENSA_INSB_IiEEEEjNS0_19identity_decomposerEEE10hipError_tT1_T2_PT3_SK_jT4_jjP12ihipStream_tbEUlT_E0_NS1_11comp_targetILNS1_3genE6ELNS1_11target_archE950ELNS1_3gpuE13ELNS1_3repE0EEENS1_52radix_sort_onesweep_histogram_config_static_selectorELNS0_4arch9wavefront6targetE1EEEvSI_.uses_vcc, 1
	.set _ZN7rocprim17ROCPRIM_400000_NS6detail17trampoline_kernelINS0_14default_configENS1_35radix_sort_onesweep_config_selectorIbiEEZNS1_34radix_sort_onesweep_global_offsetsIS3_Lb1EN6thrust23THRUST_200600_302600_NS6detail15normal_iteratorINS8_10device_ptrIbEEEENSA_INSB_IiEEEEjNS0_19identity_decomposerEEE10hipError_tT1_T2_PT3_SK_jT4_jjP12ihipStream_tbEUlT_E0_NS1_11comp_targetILNS1_3genE6ELNS1_11target_archE950ELNS1_3gpuE13ELNS1_3repE0EEENS1_52radix_sort_onesweep_histogram_config_static_selectorELNS0_4arch9wavefront6targetE1EEEvSI_.uses_flat_scratch, 0
	.set _ZN7rocprim17ROCPRIM_400000_NS6detail17trampoline_kernelINS0_14default_configENS1_35radix_sort_onesweep_config_selectorIbiEEZNS1_34radix_sort_onesweep_global_offsetsIS3_Lb1EN6thrust23THRUST_200600_302600_NS6detail15normal_iteratorINS8_10device_ptrIbEEEENSA_INSB_IiEEEEjNS0_19identity_decomposerEEE10hipError_tT1_T2_PT3_SK_jT4_jjP12ihipStream_tbEUlT_E0_NS1_11comp_targetILNS1_3genE6ELNS1_11target_archE950ELNS1_3gpuE13ELNS1_3repE0EEENS1_52radix_sort_onesweep_histogram_config_static_selectorELNS0_4arch9wavefront6targetE1EEEvSI_.has_dyn_sized_stack, 0
	.set _ZN7rocprim17ROCPRIM_400000_NS6detail17trampoline_kernelINS0_14default_configENS1_35radix_sort_onesweep_config_selectorIbiEEZNS1_34radix_sort_onesweep_global_offsetsIS3_Lb1EN6thrust23THRUST_200600_302600_NS6detail15normal_iteratorINS8_10device_ptrIbEEEENSA_INSB_IiEEEEjNS0_19identity_decomposerEEE10hipError_tT1_T2_PT3_SK_jT4_jjP12ihipStream_tbEUlT_E0_NS1_11comp_targetILNS1_3genE6ELNS1_11target_archE950ELNS1_3gpuE13ELNS1_3repE0EEENS1_52radix_sort_onesweep_histogram_config_static_selectorELNS0_4arch9wavefront6targetE1EEEvSI_.has_recursion, 0
	.set _ZN7rocprim17ROCPRIM_400000_NS6detail17trampoline_kernelINS0_14default_configENS1_35radix_sort_onesweep_config_selectorIbiEEZNS1_34radix_sort_onesweep_global_offsetsIS3_Lb1EN6thrust23THRUST_200600_302600_NS6detail15normal_iteratorINS8_10device_ptrIbEEEENSA_INSB_IiEEEEjNS0_19identity_decomposerEEE10hipError_tT1_T2_PT3_SK_jT4_jjP12ihipStream_tbEUlT_E0_NS1_11comp_targetILNS1_3genE6ELNS1_11target_archE950ELNS1_3gpuE13ELNS1_3repE0EEENS1_52radix_sort_onesweep_histogram_config_static_selectorELNS0_4arch9wavefront6targetE1EEEvSI_.has_indirect_call, 0
	.section	.AMDGPU.csdata,"",@progbits
; Kernel info:
; codeLenInByte = 572
; TotalNumSgprs: 20
; NumVgprs: 7
; NumAgprs: 0
; TotalNumVgprs: 7
; ScratchSize: 0
; MemoryBound: 0
; FloatMode: 240
; IeeeMode: 1
; LDSByteSize: 64 bytes/workgroup (compile time only)
; SGPRBlocks: 2
; VGPRBlocks: 0
; NumSGPRsForWavesPerEU: 20
; NumVGPRsForWavesPerEU: 7
; AccumOffset: 8
; Occupancy: 8
; WaveLimiterHint : 0
; COMPUTE_PGM_RSRC2:SCRATCH_EN: 0
; COMPUTE_PGM_RSRC2:USER_SGPR: 2
; COMPUTE_PGM_RSRC2:TRAP_HANDLER: 0
; COMPUTE_PGM_RSRC2:TGID_X_EN: 1
; COMPUTE_PGM_RSRC2:TGID_Y_EN: 0
; COMPUTE_PGM_RSRC2:TGID_Z_EN: 0
; COMPUTE_PGM_RSRC2:TIDIG_COMP_CNT: 0
; COMPUTE_PGM_RSRC3_GFX90A:ACCUM_OFFSET: 1
; COMPUTE_PGM_RSRC3_GFX90A:TG_SPLIT: 0
	.section	.text._ZN7rocprim17ROCPRIM_400000_NS6detail17trampoline_kernelINS0_14default_configENS1_35radix_sort_onesweep_config_selectorIbiEEZNS1_34radix_sort_onesweep_global_offsetsIS3_Lb1EN6thrust23THRUST_200600_302600_NS6detail15normal_iteratorINS8_10device_ptrIbEEEENSA_INSB_IiEEEEjNS0_19identity_decomposerEEE10hipError_tT1_T2_PT3_SK_jT4_jjP12ihipStream_tbEUlT_E0_NS1_11comp_targetILNS1_3genE5ELNS1_11target_archE942ELNS1_3gpuE9ELNS1_3repE0EEENS1_52radix_sort_onesweep_histogram_config_static_selectorELNS0_4arch9wavefront6targetE1EEEvSI_,"axG",@progbits,_ZN7rocprim17ROCPRIM_400000_NS6detail17trampoline_kernelINS0_14default_configENS1_35radix_sort_onesweep_config_selectorIbiEEZNS1_34radix_sort_onesweep_global_offsetsIS3_Lb1EN6thrust23THRUST_200600_302600_NS6detail15normal_iteratorINS8_10device_ptrIbEEEENSA_INSB_IiEEEEjNS0_19identity_decomposerEEE10hipError_tT1_T2_PT3_SK_jT4_jjP12ihipStream_tbEUlT_E0_NS1_11comp_targetILNS1_3genE5ELNS1_11target_archE942ELNS1_3gpuE9ELNS1_3repE0EEENS1_52radix_sort_onesweep_histogram_config_static_selectorELNS0_4arch9wavefront6targetE1EEEvSI_,comdat
	.protected	_ZN7rocprim17ROCPRIM_400000_NS6detail17trampoline_kernelINS0_14default_configENS1_35radix_sort_onesweep_config_selectorIbiEEZNS1_34radix_sort_onesweep_global_offsetsIS3_Lb1EN6thrust23THRUST_200600_302600_NS6detail15normal_iteratorINS8_10device_ptrIbEEEENSA_INSB_IiEEEEjNS0_19identity_decomposerEEE10hipError_tT1_T2_PT3_SK_jT4_jjP12ihipStream_tbEUlT_E0_NS1_11comp_targetILNS1_3genE5ELNS1_11target_archE942ELNS1_3gpuE9ELNS1_3repE0EEENS1_52radix_sort_onesweep_histogram_config_static_selectorELNS0_4arch9wavefront6targetE1EEEvSI_ ; -- Begin function _ZN7rocprim17ROCPRIM_400000_NS6detail17trampoline_kernelINS0_14default_configENS1_35radix_sort_onesweep_config_selectorIbiEEZNS1_34radix_sort_onesweep_global_offsetsIS3_Lb1EN6thrust23THRUST_200600_302600_NS6detail15normal_iteratorINS8_10device_ptrIbEEEENSA_INSB_IiEEEEjNS0_19identity_decomposerEEE10hipError_tT1_T2_PT3_SK_jT4_jjP12ihipStream_tbEUlT_E0_NS1_11comp_targetILNS1_3genE5ELNS1_11target_archE942ELNS1_3gpuE9ELNS1_3repE0EEENS1_52radix_sort_onesweep_histogram_config_static_selectorELNS0_4arch9wavefront6targetE1EEEvSI_
	.globl	_ZN7rocprim17ROCPRIM_400000_NS6detail17trampoline_kernelINS0_14default_configENS1_35radix_sort_onesweep_config_selectorIbiEEZNS1_34radix_sort_onesweep_global_offsetsIS3_Lb1EN6thrust23THRUST_200600_302600_NS6detail15normal_iteratorINS8_10device_ptrIbEEEENSA_INSB_IiEEEEjNS0_19identity_decomposerEEE10hipError_tT1_T2_PT3_SK_jT4_jjP12ihipStream_tbEUlT_E0_NS1_11comp_targetILNS1_3genE5ELNS1_11target_archE942ELNS1_3gpuE9ELNS1_3repE0EEENS1_52radix_sort_onesweep_histogram_config_static_selectorELNS0_4arch9wavefront6targetE1EEEvSI_
	.p2align	8
	.type	_ZN7rocprim17ROCPRIM_400000_NS6detail17trampoline_kernelINS0_14default_configENS1_35radix_sort_onesweep_config_selectorIbiEEZNS1_34radix_sort_onesweep_global_offsetsIS3_Lb1EN6thrust23THRUST_200600_302600_NS6detail15normal_iteratorINS8_10device_ptrIbEEEENSA_INSB_IiEEEEjNS0_19identity_decomposerEEE10hipError_tT1_T2_PT3_SK_jT4_jjP12ihipStream_tbEUlT_E0_NS1_11comp_targetILNS1_3genE5ELNS1_11target_archE942ELNS1_3gpuE9ELNS1_3repE0EEENS1_52radix_sort_onesweep_histogram_config_static_selectorELNS0_4arch9wavefront6targetE1EEEvSI_,@function
_ZN7rocprim17ROCPRIM_400000_NS6detail17trampoline_kernelINS0_14default_configENS1_35radix_sort_onesweep_config_selectorIbiEEZNS1_34radix_sort_onesweep_global_offsetsIS3_Lb1EN6thrust23THRUST_200600_302600_NS6detail15normal_iteratorINS8_10device_ptrIbEEEENSA_INSB_IiEEEEjNS0_19identity_decomposerEEE10hipError_tT1_T2_PT3_SK_jT4_jjP12ihipStream_tbEUlT_E0_NS1_11comp_targetILNS1_3genE5ELNS1_11target_archE942ELNS1_3gpuE9ELNS1_3repE0EEENS1_52radix_sort_onesweep_histogram_config_static_selectorELNS0_4arch9wavefront6targetE1EEEvSI_: ; @_ZN7rocprim17ROCPRIM_400000_NS6detail17trampoline_kernelINS0_14default_configENS1_35radix_sort_onesweep_config_selectorIbiEEZNS1_34radix_sort_onesweep_global_offsetsIS3_Lb1EN6thrust23THRUST_200600_302600_NS6detail15normal_iteratorINS8_10device_ptrIbEEEENSA_INSB_IiEEEEjNS0_19identity_decomposerEEE10hipError_tT1_T2_PT3_SK_jT4_jjP12ihipStream_tbEUlT_E0_NS1_11comp_targetILNS1_3genE5ELNS1_11target_archE942ELNS1_3gpuE9ELNS1_3repE0EEENS1_52radix_sort_onesweep_histogram_config_static_selectorELNS0_4arch9wavefront6targetE1EEEvSI_
; %bb.0:
	.section	.rodata,"a",@progbits
	.p2align	6, 0x0
	.amdhsa_kernel _ZN7rocprim17ROCPRIM_400000_NS6detail17trampoline_kernelINS0_14default_configENS1_35radix_sort_onesweep_config_selectorIbiEEZNS1_34radix_sort_onesweep_global_offsetsIS3_Lb1EN6thrust23THRUST_200600_302600_NS6detail15normal_iteratorINS8_10device_ptrIbEEEENSA_INSB_IiEEEEjNS0_19identity_decomposerEEE10hipError_tT1_T2_PT3_SK_jT4_jjP12ihipStream_tbEUlT_E0_NS1_11comp_targetILNS1_3genE5ELNS1_11target_archE942ELNS1_3gpuE9ELNS1_3repE0EEENS1_52radix_sort_onesweep_histogram_config_static_selectorELNS0_4arch9wavefront6targetE1EEEvSI_
		.amdhsa_group_segment_fixed_size 0
		.amdhsa_private_segment_fixed_size 0
		.amdhsa_kernarg_size 8
		.amdhsa_user_sgpr_count 2
		.amdhsa_user_sgpr_dispatch_ptr 0
		.amdhsa_user_sgpr_queue_ptr 0
		.amdhsa_user_sgpr_kernarg_segment_ptr 1
		.amdhsa_user_sgpr_dispatch_id 0
		.amdhsa_user_sgpr_kernarg_preload_length 0
		.amdhsa_user_sgpr_kernarg_preload_offset 0
		.amdhsa_user_sgpr_private_segment_size 0
		.amdhsa_uses_dynamic_stack 0
		.amdhsa_enable_private_segment 0
		.amdhsa_system_sgpr_workgroup_id_x 1
		.amdhsa_system_sgpr_workgroup_id_y 0
		.amdhsa_system_sgpr_workgroup_id_z 0
		.amdhsa_system_sgpr_workgroup_info 0
		.amdhsa_system_vgpr_workitem_id 0
		.amdhsa_next_free_vgpr 1
		.amdhsa_next_free_sgpr 0
		.amdhsa_accum_offset 4
		.amdhsa_reserve_vcc 0
		.amdhsa_float_round_mode_32 0
		.amdhsa_float_round_mode_16_64 0
		.amdhsa_float_denorm_mode_32 3
		.amdhsa_float_denorm_mode_16_64 3
		.amdhsa_dx10_clamp 1
		.amdhsa_ieee_mode 1
		.amdhsa_fp16_overflow 0
		.amdhsa_tg_split 0
		.amdhsa_exception_fp_ieee_invalid_op 0
		.amdhsa_exception_fp_denorm_src 0
		.amdhsa_exception_fp_ieee_div_zero 0
		.amdhsa_exception_fp_ieee_overflow 0
		.amdhsa_exception_fp_ieee_underflow 0
		.amdhsa_exception_fp_ieee_inexact 0
		.amdhsa_exception_int_div_zero 0
	.end_amdhsa_kernel
	.section	.text._ZN7rocprim17ROCPRIM_400000_NS6detail17trampoline_kernelINS0_14default_configENS1_35radix_sort_onesweep_config_selectorIbiEEZNS1_34radix_sort_onesweep_global_offsetsIS3_Lb1EN6thrust23THRUST_200600_302600_NS6detail15normal_iteratorINS8_10device_ptrIbEEEENSA_INSB_IiEEEEjNS0_19identity_decomposerEEE10hipError_tT1_T2_PT3_SK_jT4_jjP12ihipStream_tbEUlT_E0_NS1_11comp_targetILNS1_3genE5ELNS1_11target_archE942ELNS1_3gpuE9ELNS1_3repE0EEENS1_52radix_sort_onesweep_histogram_config_static_selectorELNS0_4arch9wavefront6targetE1EEEvSI_,"axG",@progbits,_ZN7rocprim17ROCPRIM_400000_NS6detail17trampoline_kernelINS0_14default_configENS1_35radix_sort_onesweep_config_selectorIbiEEZNS1_34radix_sort_onesweep_global_offsetsIS3_Lb1EN6thrust23THRUST_200600_302600_NS6detail15normal_iteratorINS8_10device_ptrIbEEEENSA_INSB_IiEEEEjNS0_19identity_decomposerEEE10hipError_tT1_T2_PT3_SK_jT4_jjP12ihipStream_tbEUlT_E0_NS1_11comp_targetILNS1_3genE5ELNS1_11target_archE942ELNS1_3gpuE9ELNS1_3repE0EEENS1_52radix_sort_onesweep_histogram_config_static_selectorELNS0_4arch9wavefront6targetE1EEEvSI_,comdat
.Lfunc_end2211:
	.size	_ZN7rocprim17ROCPRIM_400000_NS6detail17trampoline_kernelINS0_14default_configENS1_35radix_sort_onesweep_config_selectorIbiEEZNS1_34radix_sort_onesweep_global_offsetsIS3_Lb1EN6thrust23THRUST_200600_302600_NS6detail15normal_iteratorINS8_10device_ptrIbEEEENSA_INSB_IiEEEEjNS0_19identity_decomposerEEE10hipError_tT1_T2_PT3_SK_jT4_jjP12ihipStream_tbEUlT_E0_NS1_11comp_targetILNS1_3genE5ELNS1_11target_archE942ELNS1_3gpuE9ELNS1_3repE0EEENS1_52radix_sort_onesweep_histogram_config_static_selectorELNS0_4arch9wavefront6targetE1EEEvSI_, .Lfunc_end2211-_ZN7rocprim17ROCPRIM_400000_NS6detail17trampoline_kernelINS0_14default_configENS1_35radix_sort_onesweep_config_selectorIbiEEZNS1_34radix_sort_onesweep_global_offsetsIS3_Lb1EN6thrust23THRUST_200600_302600_NS6detail15normal_iteratorINS8_10device_ptrIbEEEENSA_INSB_IiEEEEjNS0_19identity_decomposerEEE10hipError_tT1_T2_PT3_SK_jT4_jjP12ihipStream_tbEUlT_E0_NS1_11comp_targetILNS1_3genE5ELNS1_11target_archE942ELNS1_3gpuE9ELNS1_3repE0EEENS1_52radix_sort_onesweep_histogram_config_static_selectorELNS0_4arch9wavefront6targetE1EEEvSI_
                                        ; -- End function
	.set _ZN7rocprim17ROCPRIM_400000_NS6detail17trampoline_kernelINS0_14default_configENS1_35radix_sort_onesweep_config_selectorIbiEEZNS1_34radix_sort_onesweep_global_offsetsIS3_Lb1EN6thrust23THRUST_200600_302600_NS6detail15normal_iteratorINS8_10device_ptrIbEEEENSA_INSB_IiEEEEjNS0_19identity_decomposerEEE10hipError_tT1_T2_PT3_SK_jT4_jjP12ihipStream_tbEUlT_E0_NS1_11comp_targetILNS1_3genE5ELNS1_11target_archE942ELNS1_3gpuE9ELNS1_3repE0EEENS1_52radix_sort_onesweep_histogram_config_static_selectorELNS0_4arch9wavefront6targetE1EEEvSI_.num_vgpr, 0
	.set _ZN7rocprim17ROCPRIM_400000_NS6detail17trampoline_kernelINS0_14default_configENS1_35radix_sort_onesweep_config_selectorIbiEEZNS1_34radix_sort_onesweep_global_offsetsIS3_Lb1EN6thrust23THRUST_200600_302600_NS6detail15normal_iteratorINS8_10device_ptrIbEEEENSA_INSB_IiEEEEjNS0_19identity_decomposerEEE10hipError_tT1_T2_PT3_SK_jT4_jjP12ihipStream_tbEUlT_E0_NS1_11comp_targetILNS1_3genE5ELNS1_11target_archE942ELNS1_3gpuE9ELNS1_3repE0EEENS1_52radix_sort_onesweep_histogram_config_static_selectorELNS0_4arch9wavefront6targetE1EEEvSI_.num_agpr, 0
	.set _ZN7rocprim17ROCPRIM_400000_NS6detail17trampoline_kernelINS0_14default_configENS1_35radix_sort_onesweep_config_selectorIbiEEZNS1_34radix_sort_onesweep_global_offsetsIS3_Lb1EN6thrust23THRUST_200600_302600_NS6detail15normal_iteratorINS8_10device_ptrIbEEEENSA_INSB_IiEEEEjNS0_19identity_decomposerEEE10hipError_tT1_T2_PT3_SK_jT4_jjP12ihipStream_tbEUlT_E0_NS1_11comp_targetILNS1_3genE5ELNS1_11target_archE942ELNS1_3gpuE9ELNS1_3repE0EEENS1_52radix_sort_onesweep_histogram_config_static_selectorELNS0_4arch9wavefront6targetE1EEEvSI_.numbered_sgpr, 0
	.set _ZN7rocprim17ROCPRIM_400000_NS6detail17trampoline_kernelINS0_14default_configENS1_35radix_sort_onesweep_config_selectorIbiEEZNS1_34radix_sort_onesweep_global_offsetsIS3_Lb1EN6thrust23THRUST_200600_302600_NS6detail15normal_iteratorINS8_10device_ptrIbEEEENSA_INSB_IiEEEEjNS0_19identity_decomposerEEE10hipError_tT1_T2_PT3_SK_jT4_jjP12ihipStream_tbEUlT_E0_NS1_11comp_targetILNS1_3genE5ELNS1_11target_archE942ELNS1_3gpuE9ELNS1_3repE0EEENS1_52radix_sort_onesweep_histogram_config_static_selectorELNS0_4arch9wavefront6targetE1EEEvSI_.num_named_barrier, 0
	.set _ZN7rocprim17ROCPRIM_400000_NS6detail17trampoline_kernelINS0_14default_configENS1_35radix_sort_onesweep_config_selectorIbiEEZNS1_34radix_sort_onesweep_global_offsetsIS3_Lb1EN6thrust23THRUST_200600_302600_NS6detail15normal_iteratorINS8_10device_ptrIbEEEENSA_INSB_IiEEEEjNS0_19identity_decomposerEEE10hipError_tT1_T2_PT3_SK_jT4_jjP12ihipStream_tbEUlT_E0_NS1_11comp_targetILNS1_3genE5ELNS1_11target_archE942ELNS1_3gpuE9ELNS1_3repE0EEENS1_52radix_sort_onesweep_histogram_config_static_selectorELNS0_4arch9wavefront6targetE1EEEvSI_.private_seg_size, 0
	.set _ZN7rocprim17ROCPRIM_400000_NS6detail17trampoline_kernelINS0_14default_configENS1_35radix_sort_onesweep_config_selectorIbiEEZNS1_34radix_sort_onesweep_global_offsetsIS3_Lb1EN6thrust23THRUST_200600_302600_NS6detail15normal_iteratorINS8_10device_ptrIbEEEENSA_INSB_IiEEEEjNS0_19identity_decomposerEEE10hipError_tT1_T2_PT3_SK_jT4_jjP12ihipStream_tbEUlT_E0_NS1_11comp_targetILNS1_3genE5ELNS1_11target_archE942ELNS1_3gpuE9ELNS1_3repE0EEENS1_52radix_sort_onesweep_histogram_config_static_selectorELNS0_4arch9wavefront6targetE1EEEvSI_.uses_vcc, 0
	.set _ZN7rocprim17ROCPRIM_400000_NS6detail17trampoline_kernelINS0_14default_configENS1_35radix_sort_onesweep_config_selectorIbiEEZNS1_34radix_sort_onesweep_global_offsetsIS3_Lb1EN6thrust23THRUST_200600_302600_NS6detail15normal_iteratorINS8_10device_ptrIbEEEENSA_INSB_IiEEEEjNS0_19identity_decomposerEEE10hipError_tT1_T2_PT3_SK_jT4_jjP12ihipStream_tbEUlT_E0_NS1_11comp_targetILNS1_3genE5ELNS1_11target_archE942ELNS1_3gpuE9ELNS1_3repE0EEENS1_52radix_sort_onesweep_histogram_config_static_selectorELNS0_4arch9wavefront6targetE1EEEvSI_.uses_flat_scratch, 0
	.set _ZN7rocprim17ROCPRIM_400000_NS6detail17trampoline_kernelINS0_14default_configENS1_35radix_sort_onesweep_config_selectorIbiEEZNS1_34radix_sort_onesweep_global_offsetsIS3_Lb1EN6thrust23THRUST_200600_302600_NS6detail15normal_iteratorINS8_10device_ptrIbEEEENSA_INSB_IiEEEEjNS0_19identity_decomposerEEE10hipError_tT1_T2_PT3_SK_jT4_jjP12ihipStream_tbEUlT_E0_NS1_11comp_targetILNS1_3genE5ELNS1_11target_archE942ELNS1_3gpuE9ELNS1_3repE0EEENS1_52radix_sort_onesweep_histogram_config_static_selectorELNS0_4arch9wavefront6targetE1EEEvSI_.has_dyn_sized_stack, 0
	.set _ZN7rocprim17ROCPRIM_400000_NS6detail17trampoline_kernelINS0_14default_configENS1_35radix_sort_onesweep_config_selectorIbiEEZNS1_34radix_sort_onesweep_global_offsetsIS3_Lb1EN6thrust23THRUST_200600_302600_NS6detail15normal_iteratorINS8_10device_ptrIbEEEENSA_INSB_IiEEEEjNS0_19identity_decomposerEEE10hipError_tT1_T2_PT3_SK_jT4_jjP12ihipStream_tbEUlT_E0_NS1_11comp_targetILNS1_3genE5ELNS1_11target_archE942ELNS1_3gpuE9ELNS1_3repE0EEENS1_52radix_sort_onesweep_histogram_config_static_selectorELNS0_4arch9wavefront6targetE1EEEvSI_.has_recursion, 0
	.set _ZN7rocprim17ROCPRIM_400000_NS6detail17trampoline_kernelINS0_14default_configENS1_35radix_sort_onesweep_config_selectorIbiEEZNS1_34radix_sort_onesweep_global_offsetsIS3_Lb1EN6thrust23THRUST_200600_302600_NS6detail15normal_iteratorINS8_10device_ptrIbEEEENSA_INSB_IiEEEEjNS0_19identity_decomposerEEE10hipError_tT1_T2_PT3_SK_jT4_jjP12ihipStream_tbEUlT_E0_NS1_11comp_targetILNS1_3genE5ELNS1_11target_archE942ELNS1_3gpuE9ELNS1_3repE0EEENS1_52radix_sort_onesweep_histogram_config_static_selectorELNS0_4arch9wavefront6targetE1EEEvSI_.has_indirect_call, 0
	.section	.AMDGPU.csdata,"",@progbits
; Kernel info:
; codeLenInByte = 0
; TotalNumSgprs: 6
; NumVgprs: 0
; NumAgprs: 0
; TotalNumVgprs: 0
; ScratchSize: 0
; MemoryBound: 0
; FloatMode: 240
; IeeeMode: 1
; LDSByteSize: 0 bytes/workgroup (compile time only)
; SGPRBlocks: 0
; VGPRBlocks: 0
; NumSGPRsForWavesPerEU: 6
; NumVGPRsForWavesPerEU: 1
; AccumOffset: 4
; Occupancy: 8
; WaveLimiterHint : 0
; COMPUTE_PGM_RSRC2:SCRATCH_EN: 0
; COMPUTE_PGM_RSRC2:USER_SGPR: 2
; COMPUTE_PGM_RSRC2:TRAP_HANDLER: 0
; COMPUTE_PGM_RSRC2:TGID_X_EN: 1
; COMPUTE_PGM_RSRC2:TGID_Y_EN: 0
; COMPUTE_PGM_RSRC2:TGID_Z_EN: 0
; COMPUTE_PGM_RSRC2:TIDIG_COMP_CNT: 0
; COMPUTE_PGM_RSRC3_GFX90A:ACCUM_OFFSET: 0
; COMPUTE_PGM_RSRC3_GFX90A:TG_SPLIT: 0
	.section	.text._ZN7rocprim17ROCPRIM_400000_NS6detail17trampoline_kernelINS0_14default_configENS1_35radix_sort_onesweep_config_selectorIbiEEZNS1_34radix_sort_onesweep_global_offsetsIS3_Lb1EN6thrust23THRUST_200600_302600_NS6detail15normal_iteratorINS8_10device_ptrIbEEEENSA_INSB_IiEEEEjNS0_19identity_decomposerEEE10hipError_tT1_T2_PT3_SK_jT4_jjP12ihipStream_tbEUlT_E0_NS1_11comp_targetILNS1_3genE2ELNS1_11target_archE906ELNS1_3gpuE6ELNS1_3repE0EEENS1_52radix_sort_onesweep_histogram_config_static_selectorELNS0_4arch9wavefront6targetE1EEEvSI_,"axG",@progbits,_ZN7rocprim17ROCPRIM_400000_NS6detail17trampoline_kernelINS0_14default_configENS1_35radix_sort_onesweep_config_selectorIbiEEZNS1_34radix_sort_onesweep_global_offsetsIS3_Lb1EN6thrust23THRUST_200600_302600_NS6detail15normal_iteratorINS8_10device_ptrIbEEEENSA_INSB_IiEEEEjNS0_19identity_decomposerEEE10hipError_tT1_T2_PT3_SK_jT4_jjP12ihipStream_tbEUlT_E0_NS1_11comp_targetILNS1_3genE2ELNS1_11target_archE906ELNS1_3gpuE6ELNS1_3repE0EEENS1_52radix_sort_onesweep_histogram_config_static_selectorELNS0_4arch9wavefront6targetE1EEEvSI_,comdat
	.protected	_ZN7rocprim17ROCPRIM_400000_NS6detail17trampoline_kernelINS0_14default_configENS1_35radix_sort_onesweep_config_selectorIbiEEZNS1_34radix_sort_onesweep_global_offsetsIS3_Lb1EN6thrust23THRUST_200600_302600_NS6detail15normal_iteratorINS8_10device_ptrIbEEEENSA_INSB_IiEEEEjNS0_19identity_decomposerEEE10hipError_tT1_T2_PT3_SK_jT4_jjP12ihipStream_tbEUlT_E0_NS1_11comp_targetILNS1_3genE2ELNS1_11target_archE906ELNS1_3gpuE6ELNS1_3repE0EEENS1_52radix_sort_onesweep_histogram_config_static_selectorELNS0_4arch9wavefront6targetE1EEEvSI_ ; -- Begin function _ZN7rocprim17ROCPRIM_400000_NS6detail17trampoline_kernelINS0_14default_configENS1_35radix_sort_onesweep_config_selectorIbiEEZNS1_34radix_sort_onesweep_global_offsetsIS3_Lb1EN6thrust23THRUST_200600_302600_NS6detail15normal_iteratorINS8_10device_ptrIbEEEENSA_INSB_IiEEEEjNS0_19identity_decomposerEEE10hipError_tT1_T2_PT3_SK_jT4_jjP12ihipStream_tbEUlT_E0_NS1_11comp_targetILNS1_3genE2ELNS1_11target_archE906ELNS1_3gpuE6ELNS1_3repE0EEENS1_52radix_sort_onesweep_histogram_config_static_selectorELNS0_4arch9wavefront6targetE1EEEvSI_
	.globl	_ZN7rocprim17ROCPRIM_400000_NS6detail17trampoline_kernelINS0_14default_configENS1_35radix_sort_onesweep_config_selectorIbiEEZNS1_34radix_sort_onesweep_global_offsetsIS3_Lb1EN6thrust23THRUST_200600_302600_NS6detail15normal_iteratorINS8_10device_ptrIbEEEENSA_INSB_IiEEEEjNS0_19identity_decomposerEEE10hipError_tT1_T2_PT3_SK_jT4_jjP12ihipStream_tbEUlT_E0_NS1_11comp_targetILNS1_3genE2ELNS1_11target_archE906ELNS1_3gpuE6ELNS1_3repE0EEENS1_52radix_sort_onesweep_histogram_config_static_selectorELNS0_4arch9wavefront6targetE1EEEvSI_
	.p2align	8
	.type	_ZN7rocprim17ROCPRIM_400000_NS6detail17trampoline_kernelINS0_14default_configENS1_35radix_sort_onesweep_config_selectorIbiEEZNS1_34radix_sort_onesweep_global_offsetsIS3_Lb1EN6thrust23THRUST_200600_302600_NS6detail15normal_iteratorINS8_10device_ptrIbEEEENSA_INSB_IiEEEEjNS0_19identity_decomposerEEE10hipError_tT1_T2_PT3_SK_jT4_jjP12ihipStream_tbEUlT_E0_NS1_11comp_targetILNS1_3genE2ELNS1_11target_archE906ELNS1_3gpuE6ELNS1_3repE0EEENS1_52radix_sort_onesweep_histogram_config_static_selectorELNS0_4arch9wavefront6targetE1EEEvSI_,@function
_ZN7rocprim17ROCPRIM_400000_NS6detail17trampoline_kernelINS0_14default_configENS1_35radix_sort_onesweep_config_selectorIbiEEZNS1_34radix_sort_onesweep_global_offsetsIS3_Lb1EN6thrust23THRUST_200600_302600_NS6detail15normal_iteratorINS8_10device_ptrIbEEEENSA_INSB_IiEEEEjNS0_19identity_decomposerEEE10hipError_tT1_T2_PT3_SK_jT4_jjP12ihipStream_tbEUlT_E0_NS1_11comp_targetILNS1_3genE2ELNS1_11target_archE906ELNS1_3gpuE6ELNS1_3repE0EEENS1_52radix_sort_onesweep_histogram_config_static_selectorELNS0_4arch9wavefront6targetE1EEEvSI_: ; @_ZN7rocprim17ROCPRIM_400000_NS6detail17trampoline_kernelINS0_14default_configENS1_35radix_sort_onesweep_config_selectorIbiEEZNS1_34radix_sort_onesweep_global_offsetsIS3_Lb1EN6thrust23THRUST_200600_302600_NS6detail15normal_iteratorINS8_10device_ptrIbEEEENSA_INSB_IiEEEEjNS0_19identity_decomposerEEE10hipError_tT1_T2_PT3_SK_jT4_jjP12ihipStream_tbEUlT_E0_NS1_11comp_targetILNS1_3genE2ELNS1_11target_archE906ELNS1_3gpuE6ELNS1_3repE0EEENS1_52radix_sort_onesweep_histogram_config_static_selectorELNS0_4arch9wavefront6targetE1EEEvSI_
; %bb.0:
	.section	.rodata,"a",@progbits
	.p2align	6, 0x0
	.amdhsa_kernel _ZN7rocprim17ROCPRIM_400000_NS6detail17trampoline_kernelINS0_14default_configENS1_35radix_sort_onesweep_config_selectorIbiEEZNS1_34radix_sort_onesweep_global_offsetsIS3_Lb1EN6thrust23THRUST_200600_302600_NS6detail15normal_iteratorINS8_10device_ptrIbEEEENSA_INSB_IiEEEEjNS0_19identity_decomposerEEE10hipError_tT1_T2_PT3_SK_jT4_jjP12ihipStream_tbEUlT_E0_NS1_11comp_targetILNS1_3genE2ELNS1_11target_archE906ELNS1_3gpuE6ELNS1_3repE0EEENS1_52radix_sort_onesweep_histogram_config_static_selectorELNS0_4arch9wavefront6targetE1EEEvSI_
		.amdhsa_group_segment_fixed_size 0
		.amdhsa_private_segment_fixed_size 0
		.amdhsa_kernarg_size 8
		.amdhsa_user_sgpr_count 2
		.amdhsa_user_sgpr_dispatch_ptr 0
		.amdhsa_user_sgpr_queue_ptr 0
		.amdhsa_user_sgpr_kernarg_segment_ptr 1
		.amdhsa_user_sgpr_dispatch_id 0
		.amdhsa_user_sgpr_kernarg_preload_length 0
		.amdhsa_user_sgpr_kernarg_preload_offset 0
		.amdhsa_user_sgpr_private_segment_size 0
		.amdhsa_uses_dynamic_stack 0
		.amdhsa_enable_private_segment 0
		.amdhsa_system_sgpr_workgroup_id_x 1
		.amdhsa_system_sgpr_workgroup_id_y 0
		.amdhsa_system_sgpr_workgroup_id_z 0
		.amdhsa_system_sgpr_workgroup_info 0
		.amdhsa_system_vgpr_workitem_id 0
		.amdhsa_next_free_vgpr 1
		.amdhsa_next_free_sgpr 0
		.amdhsa_accum_offset 4
		.amdhsa_reserve_vcc 0
		.amdhsa_float_round_mode_32 0
		.amdhsa_float_round_mode_16_64 0
		.amdhsa_float_denorm_mode_32 3
		.amdhsa_float_denorm_mode_16_64 3
		.amdhsa_dx10_clamp 1
		.amdhsa_ieee_mode 1
		.amdhsa_fp16_overflow 0
		.amdhsa_tg_split 0
		.amdhsa_exception_fp_ieee_invalid_op 0
		.amdhsa_exception_fp_denorm_src 0
		.amdhsa_exception_fp_ieee_div_zero 0
		.amdhsa_exception_fp_ieee_overflow 0
		.amdhsa_exception_fp_ieee_underflow 0
		.amdhsa_exception_fp_ieee_inexact 0
		.amdhsa_exception_int_div_zero 0
	.end_amdhsa_kernel
	.section	.text._ZN7rocprim17ROCPRIM_400000_NS6detail17trampoline_kernelINS0_14default_configENS1_35radix_sort_onesweep_config_selectorIbiEEZNS1_34radix_sort_onesweep_global_offsetsIS3_Lb1EN6thrust23THRUST_200600_302600_NS6detail15normal_iteratorINS8_10device_ptrIbEEEENSA_INSB_IiEEEEjNS0_19identity_decomposerEEE10hipError_tT1_T2_PT3_SK_jT4_jjP12ihipStream_tbEUlT_E0_NS1_11comp_targetILNS1_3genE2ELNS1_11target_archE906ELNS1_3gpuE6ELNS1_3repE0EEENS1_52radix_sort_onesweep_histogram_config_static_selectorELNS0_4arch9wavefront6targetE1EEEvSI_,"axG",@progbits,_ZN7rocprim17ROCPRIM_400000_NS6detail17trampoline_kernelINS0_14default_configENS1_35radix_sort_onesweep_config_selectorIbiEEZNS1_34radix_sort_onesweep_global_offsetsIS3_Lb1EN6thrust23THRUST_200600_302600_NS6detail15normal_iteratorINS8_10device_ptrIbEEEENSA_INSB_IiEEEEjNS0_19identity_decomposerEEE10hipError_tT1_T2_PT3_SK_jT4_jjP12ihipStream_tbEUlT_E0_NS1_11comp_targetILNS1_3genE2ELNS1_11target_archE906ELNS1_3gpuE6ELNS1_3repE0EEENS1_52radix_sort_onesweep_histogram_config_static_selectorELNS0_4arch9wavefront6targetE1EEEvSI_,comdat
.Lfunc_end2212:
	.size	_ZN7rocprim17ROCPRIM_400000_NS6detail17trampoline_kernelINS0_14default_configENS1_35radix_sort_onesweep_config_selectorIbiEEZNS1_34radix_sort_onesweep_global_offsetsIS3_Lb1EN6thrust23THRUST_200600_302600_NS6detail15normal_iteratorINS8_10device_ptrIbEEEENSA_INSB_IiEEEEjNS0_19identity_decomposerEEE10hipError_tT1_T2_PT3_SK_jT4_jjP12ihipStream_tbEUlT_E0_NS1_11comp_targetILNS1_3genE2ELNS1_11target_archE906ELNS1_3gpuE6ELNS1_3repE0EEENS1_52radix_sort_onesweep_histogram_config_static_selectorELNS0_4arch9wavefront6targetE1EEEvSI_, .Lfunc_end2212-_ZN7rocprim17ROCPRIM_400000_NS6detail17trampoline_kernelINS0_14default_configENS1_35radix_sort_onesweep_config_selectorIbiEEZNS1_34radix_sort_onesweep_global_offsetsIS3_Lb1EN6thrust23THRUST_200600_302600_NS6detail15normal_iteratorINS8_10device_ptrIbEEEENSA_INSB_IiEEEEjNS0_19identity_decomposerEEE10hipError_tT1_T2_PT3_SK_jT4_jjP12ihipStream_tbEUlT_E0_NS1_11comp_targetILNS1_3genE2ELNS1_11target_archE906ELNS1_3gpuE6ELNS1_3repE0EEENS1_52radix_sort_onesweep_histogram_config_static_selectorELNS0_4arch9wavefront6targetE1EEEvSI_
                                        ; -- End function
	.set _ZN7rocprim17ROCPRIM_400000_NS6detail17trampoline_kernelINS0_14default_configENS1_35radix_sort_onesweep_config_selectorIbiEEZNS1_34radix_sort_onesweep_global_offsetsIS3_Lb1EN6thrust23THRUST_200600_302600_NS6detail15normal_iteratorINS8_10device_ptrIbEEEENSA_INSB_IiEEEEjNS0_19identity_decomposerEEE10hipError_tT1_T2_PT3_SK_jT4_jjP12ihipStream_tbEUlT_E0_NS1_11comp_targetILNS1_3genE2ELNS1_11target_archE906ELNS1_3gpuE6ELNS1_3repE0EEENS1_52radix_sort_onesweep_histogram_config_static_selectorELNS0_4arch9wavefront6targetE1EEEvSI_.num_vgpr, 0
	.set _ZN7rocprim17ROCPRIM_400000_NS6detail17trampoline_kernelINS0_14default_configENS1_35radix_sort_onesweep_config_selectorIbiEEZNS1_34radix_sort_onesweep_global_offsetsIS3_Lb1EN6thrust23THRUST_200600_302600_NS6detail15normal_iteratorINS8_10device_ptrIbEEEENSA_INSB_IiEEEEjNS0_19identity_decomposerEEE10hipError_tT1_T2_PT3_SK_jT4_jjP12ihipStream_tbEUlT_E0_NS1_11comp_targetILNS1_3genE2ELNS1_11target_archE906ELNS1_3gpuE6ELNS1_3repE0EEENS1_52radix_sort_onesweep_histogram_config_static_selectorELNS0_4arch9wavefront6targetE1EEEvSI_.num_agpr, 0
	.set _ZN7rocprim17ROCPRIM_400000_NS6detail17trampoline_kernelINS0_14default_configENS1_35radix_sort_onesweep_config_selectorIbiEEZNS1_34radix_sort_onesweep_global_offsetsIS3_Lb1EN6thrust23THRUST_200600_302600_NS6detail15normal_iteratorINS8_10device_ptrIbEEEENSA_INSB_IiEEEEjNS0_19identity_decomposerEEE10hipError_tT1_T2_PT3_SK_jT4_jjP12ihipStream_tbEUlT_E0_NS1_11comp_targetILNS1_3genE2ELNS1_11target_archE906ELNS1_3gpuE6ELNS1_3repE0EEENS1_52radix_sort_onesweep_histogram_config_static_selectorELNS0_4arch9wavefront6targetE1EEEvSI_.numbered_sgpr, 0
	.set _ZN7rocprim17ROCPRIM_400000_NS6detail17trampoline_kernelINS0_14default_configENS1_35radix_sort_onesweep_config_selectorIbiEEZNS1_34radix_sort_onesweep_global_offsetsIS3_Lb1EN6thrust23THRUST_200600_302600_NS6detail15normal_iteratorINS8_10device_ptrIbEEEENSA_INSB_IiEEEEjNS0_19identity_decomposerEEE10hipError_tT1_T2_PT3_SK_jT4_jjP12ihipStream_tbEUlT_E0_NS1_11comp_targetILNS1_3genE2ELNS1_11target_archE906ELNS1_3gpuE6ELNS1_3repE0EEENS1_52radix_sort_onesweep_histogram_config_static_selectorELNS0_4arch9wavefront6targetE1EEEvSI_.num_named_barrier, 0
	.set _ZN7rocprim17ROCPRIM_400000_NS6detail17trampoline_kernelINS0_14default_configENS1_35radix_sort_onesweep_config_selectorIbiEEZNS1_34radix_sort_onesweep_global_offsetsIS3_Lb1EN6thrust23THRUST_200600_302600_NS6detail15normal_iteratorINS8_10device_ptrIbEEEENSA_INSB_IiEEEEjNS0_19identity_decomposerEEE10hipError_tT1_T2_PT3_SK_jT4_jjP12ihipStream_tbEUlT_E0_NS1_11comp_targetILNS1_3genE2ELNS1_11target_archE906ELNS1_3gpuE6ELNS1_3repE0EEENS1_52radix_sort_onesweep_histogram_config_static_selectorELNS0_4arch9wavefront6targetE1EEEvSI_.private_seg_size, 0
	.set _ZN7rocprim17ROCPRIM_400000_NS6detail17trampoline_kernelINS0_14default_configENS1_35radix_sort_onesweep_config_selectorIbiEEZNS1_34radix_sort_onesweep_global_offsetsIS3_Lb1EN6thrust23THRUST_200600_302600_NS6detail15normal_iteratorINS8_10device_ptrIbEEEENSA_INSB_IiEEEEjNS0_19identity_decomposerEEE10hipError_tT1_T2_PT3_SK_jT4_jjP12ihipStream_tbEUlT_E0_NS1_11comp_targetILNS1_3genE2ELNS1_11target_archE906ELNS1_3gpuE6ELNS1_3repE0EEENS1_52radix_sort_onesweep_histogram_config_static_selectorELNS0_4arch9wavefront6targetE1EEEvSI_.uses_vcc, 0
	.set _ZN7rocprim17ROCPRIM_400000_NS6detail17trampoline_kernelINS0_14default_configENS1_35radix_sort_onesweep_config_selectorIbiEEZNS1_34radix_sort_onesweep_global_offsetsIS3_Lb1EN6thrust23THRUST_200600_302600_NS6detail15normal_iteratorINS8_10device_ptrIbEEEENSA_INSB_IiEEEEjNS0_19identity_decomposerEEE10hipError_tT1_T2_PT3_SK_jT4_jjP12ihipStream_tbEUlT_E0_NS1_11comp_targetILNS1_3genE2ELNS1_11target_archE906ELNS1_3gpuE6ELNS1_3repE0EEENS1_52radix_sort_onesweep_histogram_config_static_selectorELNS0_4arch9wavefront6targetE1EEEvSI_.uses_flat_scratch, 0
	.set _ZN7rocprim17ROCPRIM_400000_NS6detail17trampoline_kernelINS0_14default_configENS1_35radix_sort_onesweep_config_selectorIbiEEZNS1_34radix_sort_onesweep_global_offsetsIS3_Lb1EN6thrust23THRUST_200600_302600_NS6detail15normal_iteratorINS8_10device_ptrIbEEEENSA_INSB_IiEEEEjNS0_19identity_decomposerEEE10hipError_tT1_T2_PT3_SK_jT4_jjP12ihipStream_tbEUlT_E0_NS1_11comp_targetILNS1_3genE2ELNS1_11target_archE906ELNS1_3gpuE6ELNS1_3repE0EEENS1_52radix_sort_onesweep_histogram_config_static_selectorELNS0_4arch9wavefront6targetE1EEEvSI_.has_dyn_sized_stack, 0
	.set _ZN7rocprim17ROCPRIM_400000_NS6detail17trampoline_kernelINS0_14default_configENS1_35radix_sort_onesweep_config_selectorIbiEEZNS1_34radix_sort_onesweep_global_offsetsIS3_Lb1EN6thrust23THRUST_200600_302600_NS6detail15normal_iteratorINS8_10device_ptrIbEEEENSA_INSB_IiEEEEjNS0_19identity_decomposerEEE10hipError_tT1_T2_PT3_SK_jT4_jjP12ihipStream_tbEUlT_E0_NS1_11comp_targetILNS1_3genE2ELNS1_11target_archE906ELNS1_3gpuE6ELNS1_3repE0EEENS1_52radix_sort_onesweep_histogram_config_static_selectorELNS0_4arch9wavefront6targetE1EEEvSI_.has_recursion, 0
	.set _ZN7rocprim17ROCPRIM_400000_NS6detail17trampoline_kernelINS0_14default_configENS1_35radix_sort_onesweep_config_selectorIbiEEZNS1_34radix_sort_onesweep_global_offsetsIS3_Lb1EN6thrust23THRUST_200600_302600_NS6detail15normal_iteratorINS8_10device_ptrIbEEEENSA_INSB_IiEEEEjNS0_19identity_decomposerEEE10hipError_tT1_T2_PT3_SK_jT4_jjP12ihipStream_tbEUlT_E0_NS1_11comp_targetILNS1_3genE2ELNS1_11target_archE906ELNS1_3gpuE6ELNS1_3repE0EEENS1_52radix_sort_onesweep_histogram_config_static_selectorELNS0_4arch9wavefront6targetE1EEEvSI_.has_indirect_call, 0
	.section	.AMDGPU.csdata,"",@progbits
; Kernel info:
; codeLenInByte = 0
; TotalNumSgprs: 6
; NumVgprs: 0
; NumAgprs: 0
; TotalNumVgprs: 0
; ScratchSize: 0
; MemoryBound: 0
; FloatMode: 240
; IeeeMode: 1
; LDSByteSize: 0 bytes/workgroup (compile time only)
; SGPRBlocks: 0
; VGPRBlocks: 0
; NumSGPRsForWavesPerEU: 6
; NumVGPRsForWavesPerEU: 1
; AccumOffset: 4
; Occupancy: 8
; WaveLimiterHint : 0
; COMPUTE_PGM_RSRC2:SCRATCH_EN: 0
; COMPUTE_PGM_RSRC2:USER_SGPR: 2
; COMPUTE_PGM_RSRC2:TRAP_HANDLER: 0
; COMPUTE_PGM_RSRC2:TGID_X_EN: 1
; COMPUTE_PGM_RSRC2:TGID_Y_EN: 0
; COMPUTE_PGM_RSRC2:TGID_Z_EN: 0
; COMPUTE_PGM_RSRC2:TIDIG_COMP_CNT: 0
; COMPUTE_PGM_RSRC3_GFX90A:ACCUM_OFFSET: 0
; COMPUTE_PGM_RSRC3_GFX90A:TG_SPLIT: 0
	.section	.text._ZN7rocprim17ROCPRIM_400000_NS6detail17trampoline_kernelINS0_14default_configENS1_35radix_sort_onesweep_config_selectorIbiEEZNS1_34radix_sort_onesweep_global_offsetsIS3_Lb1EN6thrust23THRUST_200600_302600_NS6detail15normal_iteratorINS8_10device_ptrIbEEEENSA_INSB_IiEEEEjNS0_19identity_decomposerEEE10hipError_tT1_T2_PT3_SK_jT4_jjP12ihipStream_tbEUlT_E0_NS1_11comp_targetILNS1_3genE4ELNS1_11target_archE910ELNS1_3gpuE8ELNS1_3repE0EEENS1_52radix_sort_onesweep_histogram_config_static_selectorELNS0_4arch9wavefront6targetE1EEEvSI_,"axG",@progbits,_ZN7rocprim17ROCPRIM_400000_NS6detail17trampoline_kernelINS0_14default_configENS1_35radix_sort_onesweep_config_selectorIbiEEZNS1_34radix_sort_onesweep_global_offsetsIS3_Lb1EN6thrust23THRUST_200600_302600_NS6detail15normal_iteratorINS8_10device_ptrIbEEEENSA_INSB_IiEEEEjNS0_19identity_decomposerEEE10hipError_tT1_T2_PT3_SK_jT4_jjP12ihipStream_tbEUlT_E0_NS1_11comp_targetILNS1_3genE4ELNS1_11target_archE910ELNS1_3gpuE8ELNS1_3repE0EEENS1_52radix_sort_onesweep_histogram_config_static_selectorELNS0_4arch9wavefront6targetE1EEEvSI_,comdat
	.protected	_ZN7rocprim17ROCPRIM_400000_NS6detail17trampoline_kernelINS0_14default_configENS1_35radix_sort_onesweep_config_selectorIbiEEZNS1_34radix_sort_onesweep_global_offsetsIS3_Lb1EN6thrust23THRUST_200600_302600_NS6detail15normal_iteratorINS8_10device_ptrIbEEEENSA_INSB_IiEEEEjNS0_19identity_decomposerEEE10hipError_tT1_T2_PT3_SK_jT4_jjP12ihipStream_tbEUlT_E0_NS1_11comp_targetILNS1_3genE4ELNS1_11target_archE910ELNS1_3gpuE8ELNS1_3repE0EEENS1_52radix_sort_onesweep_histogram_config_static_selectorELNS0_4arch9wavefront6targetE1EEEvSI_ ; -- Begin function _ZN7rocprim17ROCPRIM_400000_NS6detail17trampoline_kernelINS0_14default_configENS1_35radix_sort_onesweep_config_selectorIbiEEZNS1_34radix_sort_onesweep_global_offsetsIS3_Lb1EN6thrust23THRUST_200600_302600_NS6detail15normal_iteratorINS8_10device_ptrIbEEEENSA_INSB_IiEEEEjNS0_19identity_decomposerEEE10hipError_tT1_T2_PT3_SK_jT4_jjP12ihipStream_tbEUlT_E0_NS1_11comp_targetILNS1_3genE4ELNS1_11target_archE910ELNS1_3gpuE8ELNS1_3repE0EEENS1_52radix_sort_onesweep_histogram_config_static_selectorELNS0_4arch9wavefront6targetE1EEEvSI_
	.globl	_ZN7rocprim17ROCPRIM_400000_NS6detail17trampoline_kernelINS0_14default_configENS1_35radix_sort_onesweep_config_selectorIbiEEZNS1_34radix_sort_onesweep_global_offsetsIS3_Lb1EN6thrust23THRUST_200600_302600_NS6detail15normal_iteratorINS8_10device_ptrIbEEEENSA_INSB_IiEEEEjNS0_19identity_decomposerEEE10hipError_tT1_T2_PT3_SK_jT4_jjP12ihipStream_tbEUlT_E0_NS1_11comp_targetILNS1_3genE4ELNS1_11target_archE910ELNS1_3gpuE8ELNS1_3repE0EEENS1_52radix_sort_onesweep_histogram_config_static_selectorELNS0_4arch9wavefront6targetE1EEEvSI_
	.p2align	8
	.type	_ZN7rocprim17ROCPRIM_400000_NS6detail17trampoline_kernelINS0_14default_configENS1_35radix_sort_onesweep_config_selectorIbiEEZNS1_34radix_sort_onesweep_global_offsetsIS3_Lb1EN6thrust23THRUST_200600_302600_NS6detail15normal_iteratorINS8_10device_ptrIbEEEENSA_INSB_IiEEEEjNS0_19identity_decomposerEEE10hipError_tT1_T2_PT3_SK_jT4_jjP12ihipStream_tbEUlT_E0_NS1_11comp_targetILNS1_3genE4ELNS1_11target_archE910ELNS1_3gpuE8ELNS1_3repE0EEENS1_52radix_sort_onesweep_histogram_config_static_selectorELNS0_4arch9wavefront6targetE1EEEvSI_,@function
_ZN7rocprim17ROCPRIM_400000_NS6detail17trampoline_kernelINS0_14default_configENS1_35radix_sort_onesweep_config_selectorIbiEEZNS1_34radix_sort_onesweep_global_offsetsIS3_Lb1EN6thrust23THRUST_200600_302600_NS6detail15normal_iteratorINS8_10device_ptrIbEEEENSA_INSB_IiEEEEjNS0_19identity_decomposerEEE10hipError_tT1_T2_PT3_SK_jT4_jjP12ihipStream_tbEUlT_E0_NS1_11comp_targetILNS1_3genE4ELNS1_11target_archE910ELNS1_3gpuE8ELNS1_3repE0EEENS1_52radix_sort_onesweep_histogram_config_static_selectorELNS0_4arch9wavefront6targetE1EEEvSI_: ; @_ZN7rocprim17ROCPRIM_400000_NS6detail17trampoline_kernelINS0_14default_configENS1_35radix_sort_onesweep_config_selectorIbiEEZNS1_34radix_sort_onesweep_global_offsetsIS3_Lb1EN6thrust23THRUST_200600_302600_NS6detail15normal_iteratorINS8_10device_ptrIbEEEENSA_INSB_IiEEEEjNS0_19identity_decomposerEEE10hipError_tT1_T2_PT3_SK_jT4_jjP12ihipStream_tbEUlT_E0_NS1_11comp_targetILNS1_3genE4ELNS1_11target_archE910ELNS1_3gpuE8ELNS1_3repE0EEENS1_52radix_sort_onesweep_histogram_config_static_selectorELNS0_4arch9wavefront6targetE1EEEvSI_
; %bb.0:
	.section	.rodata,"a",@progbits
	.p2align	6, 0x0
	.amdhsa_kernel _ZN7rocprim17ROCPRIM_400000_NS6detail17trampoline_kernelINS0_14default_configENS1_35radix_sort_onesweep_config_selectorIbiEEZNS1_34radix_sort_onesweep_global_offsetsIS3_Lb1EN6thrust23THRUST_200600_302600_NS6detail15normal_iteratorINS8_10device_ptrIbEEEENSA_INSB_IiEEEEjNS0_19identity_decomposerEEE10hipError_tT1_T2_PT3_SK_jT4_jjP12ihipStream_tbEUlT_E0_NS1_11comp_targetILNS1_3genE4ELNS1_11target_archE910ELNS1_3gpuE8ELNS1_3repE0EEENS1_52radix_sort_onesweep_histogram_config_static_selectorELNS0_4arch9wavefront6targetE1EEEvSI_
		.amdhsa_group_segment_fixed_size 0
		.amdhsa_private_segment_fixed_size 0
		.amdhsa_kernarg_size 8
		.amdhsa_user_sgpr_count 2
		.amdhsa_user_sgpr_dispatch_ptr 0
		.amdhsa_user_sgpr_queue_ptr 0
		.amdhsa_user_sgpr_kernarg_segment_ptr 1
		.amdhsa_user_sgpr_dispatch_id 0
		.amdhsa_user_sgpr_kernarg_preload_length 0
		.amdhsa_user_sgpr_kernarg_preload_offset 0
		.amdhsa_user_sgpr_private_segment_size 0
		.amdhsa_uses_dynamic_stack 0
		.amdhsa_enable_private_segment 0
		.amdhsa_system_sgpr_workgroup_id_x 1
		.amdhsa_system_sgpr_workgroup_id_y 0
		.amdhsa_system_sgpr_workgroup_id_z 0
		.amdhsa_system_sgpr_workgroup_info 0
		.amdhsa_system_vgpr_workitem_id 0
		.amdhsa_next_free_vgpr 1
		.amdhsa_next_free_sgpr 0
		.amdhsa_accum_offset 4
		.amdhsa_reserve_vcc 0
		.amdhsa_float_round_mode_32 0
		.amdhsa_float_round_mode_16_64 0
		.amdhsa_float_denorm_mode_32 3
		.amdhsa_float_denorm_mode_16_64 3
		.amdhsa_dx10_clamp 1
		.amdhsa_ieee_mode 1
		.amdhsa_fp16_overflow 0
		.amdhsa_tg_split 0
		.amdhsa_exception_fp_ieee_invalid_op 0
		.amdhsa_exception_fp_denorm_src 0
		.amdhsa_exception_fp_ieee_div_zero 0
		.amdhsa_exception_fp_ieee_overflow 0
		.amdhsa_exception_fp_ieee_underflow 0
		.amdhsa_exception_fp_ieee_inexact 0
		.amdhsa_exception_int_div_zero 0
	.end_amdhsa_kernel
	.section	.text._ZN7rocprim17ROCPRIM_400000_NS6detail17trampoline_kernelINS0_14default_configENS1_35radix_sort_onesweep_config_selectorIbiEEZNS1_34radix_sort_onesweep_global_offsetsIS3_Lb1EN6thrust23THRUST_200600_302600_NS6detail15normal_iteratorINS8_10device_ptrIbEEEENSA_INSB_IiEEEEjNS0_19identity_decomposerEEE10hipError_tT1_T2_PT3_SK_jT4_jjP12ihipStream_tbEUlT_E0_NS1_11comp_targetILNS1_3genE4ELNS1_11target_archE910ELNS1_3gpuE8ELNS1_3repE0EEENS1_52radix_sort_onesweep_histogram_config_static_selectorELNS0_4arch9wavefront6targetE1EEEvSI_,"axG",@progbits,_ZN7rocprim17ROCPRIM_400000_NS6detail17trampoline_kernelINS0_14default_configENS1_35radix_sort_onesweep_config_selectorIbiEEZNS1_34radix_sort_onesweep_global_offsetsIS3_Lb1EN6thrust23THRUST_200600_302600_NS6detail15normal_iteratorINS8_10device_ptrIbEEEENSA_INSB_IiEEEEjNS0_19identity_decomposerEEE10hipError_tT1_T2_PT3_SK_jT4_jjP12ihipStream_tbEUlT_E0_NS1_11comp_targetILNS1_3genE4ELNS1_11target_archE910ELNS1_3gpuE8ELNS1_3repE0EEENS1_52radix_sort_onesweep_histogram_config_static_selectorELNS0_4arch9wavefront6targetE1EEEvSI_,comdat
.Lfunc_end2213:
	.size	_ZN7rocprim17ROCPRIM_400000_NS6detail17trampoline_kernelINS0_14default_configENS1_35radix_sort_onesweep_config_selectorIbiEEZNS1_34radix_sort_onesweep_global_offsetsIS3_Lb1EN6thrust23THRUST_200600_302600_NS6detail15normal_iteratorINS8_10device_ptrIbEEEENSA_INSB_IiEEEEjNS0_19identity_decomposerEEE10hipError_tT1_T2_PT3_SK_jT4_jjP12ihipStream_tbEUlT_E0_NS1_11comp_targetILNS1_3genE4ELNS1_11target_archE910ELNS1_3gpuE8ELNS1_3repE0EEENS1_52radix_sort_onesweep_histogram_config_static_selectorELNS0_4arch9wavefront6targetE1EEEvSI_, .Lfunc_end2213-_ZN7rocprim17ROCPRIM_400000_NS6detail17trampoline_kernelINS0_14default_configENS1_35radix_sort_onesweep_config_selectorIbiEEZNS1_34radix_sort_onesweep_global_offsetsIS3_Lb1EN6thrust23THRUST_200600_302600_NS6detail15normal_iteratorINS8_10device_ptrIbEEEENSA_INSB_IiEEEEjNS0_19identity_decomposerEEE10hipError_tT1_T2_PT3_SK_jT4_jjP12ihipStream_tbEUlT_E0_NS1_11comp_targetILNS1_3genE4ELNS1_11target_archE910ELNS1_3gpuE8ELNS1_3repE0EEENS1_52radix_sort_onesweep_histogram_config_static_selectorELNS0_4arch9wavefront6targetE1EEEvSI_
                                        ; -- End function
	.set _ZN7rocprim17ROCPRIM_400000_NS6detail17trampoline_kernelINS0_14default_configENS1_35radix_sort_onesweep_config_selectorIbiEEZNS1_34radix_sort_onesweep_global_offsetsIS3_Lb1EN6thrust23THRUST_200600_302600_NS6detail15normal_iteratorINS8_10device_ptrIbEEEENSA_INSB_IiEEEEjNS0_19identity_decomposerEEE10hipError_tT1_T2_PT3_SK_jT4_jjP12ihipStream_tbEUlT_E0_NS1_11comp_targetILNS1_3genE4ELNS1_11target_archE910ELNS1_3gpuE8ELNS1_3repE0EEENS1_52radix_sort_onesweep_histogram_config_static_selectorELNS0_4arch9wavefront6targetE1EEEvSI_.num_vgpr, 0
	.set _ZN7rocprim17ROCPRIM_400000_NS6detail17trampoline_kernelINS0_14default_configENS1_35radix_sort_onesweep_config_selectorIbiEEZNS1_34radix_sort_onesweep_global_offsetsIS3_Lb1EN6thrust23THRUST_200600_302600_NS6detail15normal_iteratorINS8_10device_ptrIbEEEENSA_INSB_IiEEEEjNS0_19identity_decomposerEEE10hipError_tT1_T2_PT3_SK_jT4_jjP12ihipStream_tbEUlT_E0_NS1_11comp_targetILNS1_3genE4ELNS1_11target_archE910ELNS1_3gpuE8ELNS1_3repE0EEENS1_52radix_sort_onesweep_histogram_config_static_selectorELNS0_4arch9wavefront6targetE1EEEvSI_.num_agpr, 0
	.set _ZN7rocprim17ROCPRIM_400000_NS6detail17trampoline_kernelINS0_14default_configENS1_35radix_sort_onesweep_config_selectorIbiEEZNS1_34radix_sort_onesweep_global_offsetsIS3_Lb1EN6thrust23THRUST_200600_302600_NS6detail15normal_iteratorINS8_10device_ptrIbEEEENSA_INSB_IiEEEEjNS0_19identity_decomposerEEE10hipError_tT1_T2_PT3_SK_jT4_jjP12ihipStream_tbEUlT_E0_NS1_11comp_targetILNS1_3genE4ELNS1_11target_archE910ELNS1_3gpuE8ELNS1_3repE0EEENS1_52radix_sort_onesweep_histogram_config_static_selectorELNS0_4arch9wavefront6targetE1EEEvSI_.numbered_sgpr, 0
	.set _ZN7rocprim17ROCPRIM_400000_NS6detail17trampoline_kernelINS0_14default_configENS1_35radix_sort_onesweep_config_selectorIbiEEZNS1_34radix_sort_onesweep_global_offsetsIS3_Lb1EN6thrust23THRUST_200600_302600_NS6detail15normal_iteratorINS8_10device_ptrIbEEEENSA_INSB_IiEEEEjNS0_19identity_decomposerEEE10hipError_tT1_T2_PT3_SK_jT4_jjP12ihipStream_tbEUlT_E0_NS1_11comp_targetILNS1_3genE4ELNS1_11target_archE910ELNS1_3gpuE8ELNS1_3repE0EEENS1_52radix_sort_onesweep_histogram_config_static_selectorELNS0_4arch9wavefront6targetE1EEEvSI_.num_named_barrier, 0
	.set _ZN7rocprim17ROCPRIM_400000_NS6detail17trampoline_kernelINS0_14default_configENS1_35radix_sort_onesweep_config_selectorIbiEEZNS1_34radix_sort_onesweep_global_offsetsIS3_Lb1EN6thrust23THRUST_200600_302600_NS6detail15normal_iteratorINS8_10device_ptrIbEEEENSA_INSB_IiEEEEjNS0_19identity_decomposerEEE10hipError_tT1_T2_PT3_SK_jT4_jjP12ihipStream_tbEUlT_E0_NS1_11comp_targetILNS1_3genE4ELNS1_11target_archE910ELNS1_3gpuE8ELNS1_3repE0EEENS1_52radix_sort_onesweep_histogram_config_static_selectorELNS0_4arch9wavefront6targetE1EEEvSI_.private_seg_size, 0
	.set _ZN7rocprim17ROCPRIM_400000_NS6detail17trampoline_kernelINS0_14default_configENS1_35radix_sort_onesweep_config_selectorIbiEEZNS1_34radix_sort_onesweep_global_offsetsIS3_Lb1EN6thrust23THRUST_200600_302600_NS6detail15normal_iteratorINS8_10device_ptrIbEEEENSA_INSB_IiEEEEjNS0_19identity_decomposerEEE10hipError_tT1_T2_PT3_SK_jT4_jjP12ihipStream_tbEUlT_E0_NS1_11comp_targetILNS1_3genE4ELNS1_11target_archE910ELNS1_3gpuE8ELNS1_3repE0EEENS1_52radix_sort_onesweep_histogram_config_static_selectorELNS0_4arch9wavefront6targetE1EEEvSI_.uses_vcc, 0
	.set _ZN7rocprim17ROCPRIM_400000_NS6detail17trampoline_kernelINS0_14default_configENS1_35radix_sort_onesweep_config_selectorIbiEEZNS1_34radix_sort_onesweep_global_offsetsIS3_Lb1EN6thrust23THRUST_200600_302600_NS6detail15normal_iteratorINS8_10device_ptrIbEEEENSA_INSB_IiEEEEjNS0_19identity_decomposerEEE10hipError_tT1_T2_PT3_SK_jT4_jjP12ihipStream_tbEUlT_E0_NS1_11comp_targetILNS1_3genE4ELNS1_11target_archE910ELNS1_3gpuE8ELNS1_3repE0EEENS1_52radix_sort_onesweep_histogram_config_static_selectorELNS0_4arch9wavefront6targetE1EEEvSI_.uses_flat_scratch, 0
	.set _ZN7rocprim17ROCPRIM_400000_NS6detail17trampoline_kernelINS0_14default_configENS1_35radix_sort_onesweep_config_selectorIbiEEZNS1_34radix_sort_onesweep_global_offsetsIS3_Lb1EN6thrust23THRUST_200600_302600_NS6detail15normal_iteratorINS8_10device_ptrIbEEEENSA_INSB_IiEEEEjNS0_19identity_decomposerEEE10hipError_tT1_T2_PT3_SK_jT4_jjP12ihipStream_tbEUlT_E0_NS1_11comp_targetILNS1_3genE4ELNS1_11target_archE910ELNS1_3gpuE8ELNS1_3repE0EEENS1_52radix_sort_onesweep_histogram_config_static_selectorELNS0_4arch9wavefront6targetE1EEEvSI_.has_dyn_sized_stack, 0
	.set _ZN7rocprim17ROCPRIM_400000_NS6detail17trampoline_kernelINS0_14default_configENS1_35radix_sort_onesweep_config_selectorIbiEEZNS1_34radix_sort_onesweep_global_offsetsIS3_Lb1EN6thrust23THRUST_200600_302600_NS6detail15normal_iteratorINS8_10device_ptrIbEEEENSA_INSB_IiEEEEjNS0_19identity_decomposerEEE10hipError_tT1_T2_PT3_SK_jT4_jjP12ihipStream_tbEUlT_E0_NS1_11comp_targetILNS1_3genE4ELNS1_11target_archE910ELNS1_3gpuE8ELNS1_3repE0EEENS1_52radix_sort_onesweep_histogram_config_static_selectorELNS0_4arch9wavefront6targetE1EEEvSI_.has_recursion, 0
	.set _ZN7rocprim17ROCPRIM_400000_NS6detail17trampoline_kernelINS0_14default_configENS1_35radix_sort_onesweep_config_selectorIbiEEZNS1_34radix_sort_onesweep_global_offsetsIS3_Lb1EN6thrust23THRUST_200600_302600_NS6detail15normal_iteratorINS8_10device_ptrIbEEEENSA_INSB_IiEEEEjNS0_19identity_decomposerEEE10hipError_tT1_T2_PT3_SK_jT4_jjP12ihipStream_tbEUlT_E0_NS1_11comp_targetILNS1_3genE4ELNS1_11target_archE910ELNS1_3gpuE8ELNS1_3repE0EEENS1_52radix_sort_onesweep_histogram_config_static_selectorELNS0_4arch9wavefront6targetE1EEEvSI_.has_indirect_call, 0
	.section	.AMDGPU.csdata,"",@progbits
; Kernel info:
; codeLenInByte = 0
; TotalNumSgprs: 6
; NumVgprs: 0
; NumAgprs: 0
; TotalNumVgprs: 0
; ScratchSize: 0
; MemoryBound: 0
; FloatMode: 240
; IeeeMode: 1
; LDSByteSize: 0 bytes/workgroup (compile time only)
; SGPRBlocks: 0
; VGPRBlocks: 0
; NumSGPRsForWavesPerEU: 6
; NumVGPRsForWavesPerEU: 1
; AccumOffset: 4
; Occupancy: 8
; WaveLimiterHint : 0
; COMPUTE_PGM_RSRC2:SCRATCH_EN: 0
; COMPUTE_PGM_RSRC2:USER_SGPR: 2
; COMPUTE_PGM_RSRC2:TRAP_HANDLER: 0
; COMPUTE_PGM_RSRC2:TGID_X_EN: 1
; COMPUTE_PGM_RSRC2:TGID_Y_EN: 0
; COMPUTE_PGM_RSRC2:TGID_Z_EN: 0
; COMPUTE_PGM_RSRC2:TIDIG_COMP_CNT: 0
; COMPUTE_PGM_RSRC3_GFX90A:ACCUM_OFFSET: 0
; COMPUTE_PGM_RSRC3_GFX90A:TG_SPLIT: 0
	.section	.text._ZN7rocprim17ROCPRIM_400000_NS6detail17trampoline_kernelINS0_14default_configENS1_35radix_sort_onesweep_config_selectorIbiEEZNS1_34radix_sort_onesweep_global_offsetsIS3_Lb1EN6thrust23THRUST_200600_302600_NS6detail15normal_iteratorINS8_10device_ptrIbEEEENSA_INSB_IiEEEEjNS0_19identity_decomposerEEE10hipError_tT1_T2_PT3_SK_jT4_jjP12ihipStream_tbEUlT_E0_NS1_11comp_targetILNS1_3genE3ELNS1_11target_archE908ELNS1_3gpuE7ELNS1_3repE0EEENS1_52radix_sort_onesweep_histogram_config_static_selectorELNS0_4arch9wavefront6targetE1EEEvSI_,"axG",@progbits,_ZN7rocprim17ROCPRIM_400000_NS6detail17trampoline_kernelINS0_14default_configENS1_35radix_sort_onesweep_config_selectorIbiEEZNS1_34radix_sort_onesweep_global_offsetsIS3_Lb1EN6thrust23THRUST_200600_302600_NS6detail15normal_iteratorINS8_10device_ptrIbEEEENSA_INSB_IiEEEEjNS0_19identity_decomposerEEE10hipError_tT1_T2_PT3_SK_jT4_jjP12ihipStream_tbEUlT_E0_NS1_11comp_targetILNS1_3genE3ELNS1_11target_archE908ELNS1_3gpuE7ELNS1_3repE0EEENS1_52radix_sort_onesweep_histogram_config_static_selectorELNS0_4arch9wavefront6targetE1EEEvSI_,comdat
	.protected	_ZN7rocprim17ROCPRIM_400000_NS6detail17trampoline_kernelINS0_14default_configENS1_35radix_sort_onesweep_config_selectorIbiEEZNS1_34radix_sort_onesweep_global_offsetsIS3_Lb1EN6thrust23THRUST_200600_302600_NS6detail15normal_iteratorINS8_10device_ptrIbEEEENSA_INSB_IiEEEEjNS0_19identity_decomposerEEE10hipError_tT1_T2_PT3_SK_jT4_jjP12ihipStream_tbEUlT_E0_NS1_11comp_targetILNS1_3genE3ELNS1_11target_archE908ELNS1_3gpuE7ELNS1_3repE0EEENS1_52radix_sort_onesweep_histogram_config_static_selectorELNS0_4arch9wavefront6targetE1EEEvSI_ ; -- Begin function _ZN7rocprim17ROCPRIM_400000_NS6detail17trampoline_kernelINS0_14default_configENS1_35radix_sort_onesweep_config_selectorIbiEEZNS1_34radix_sort_onesweep_global_offsetsIS3_Lb1EN6thrust23THRUST_200600_302600_NS6detail15normal_iteratorINS8_10device_ptrIbEEEENSA_INSB_IiEEEEjNS0_19identity_decomposerEEE10hipError_tT1_T2_PT3_SK_jT4_jjP12ihipStream_tbEUlT_E0_NS1_11comp_targetILNS1_3genE3ELNS1_11target_archE908ELNS1_3gpuE7ELNS1_3repE0EEENS1_52radix_sort_onesweep_histogram_config_static_selectorELNS0_4arch9wavefront6targetE1EEEvSI_
	.globl	_ZN7rocprim17ROCPRIM_400000_NS6detail17trampoline_kernelINS0_14default_configENS1_35radix_sort_onesweep_config_selectorIbiEEZNS1_34radix_sort_onesweep_global_offsetsIS3_Lb1EN6thrust23THRUST_200600_302600_NS6detail15normal_iteratorINS8_10device_ptrIbEEEENSA_INSB_IiEEEEjNS0_19identity_decomposerEEE10hipError_tT1_T2_PT3_SK_jT4_jjP12ihipStream_tbEUlT_E0_NS1_11comp_targetILNS1_3genE3ELNS1_11target_archE908ELNS1_3gpuE7ELNS1_3repE0EEENS1_52radix_sort_onesweep_histogram_config_static_selectorELNS0_4arch9wavefront6targetE1EEEvSI_
	.p2align	8
	.type	_ZN7rocprim17ROCPRIM_400000_NS6detail17trampoline_kernelINS0_14default_configENS1_35radix_sort_onesweep_config_selectorIbiEEZNS1_34radix_sort_onesweep_global_offsetsIS3_Lb1EN6thrust23THRUST_200600_302600_NS6detail15normal_iteratorINS8_10device_ptrIbEEEENSA_INSB_IiEEEEjNS0_19identity_decomposerEEE10hipError_tT1_T2_PT3_SK_jT4_jjP12ihipStream_tbEUlT_E0_NS1_11comp_targetILNS1_3genE3ELNS1_11target_archE908ELNS1_3gpuE7ELNS1_3repE0EEENS1_52radix_sort_onesweep_histogram_config_static_selectorELNS0_4arch9wavefront6targetE1EEEvSI_,@function
_ZN7rocprim17ROCPRIM_400000_NS6detail17trampoline_kernelINS0_14default_configENS1_35radix_sort_onesweep_config_selectorIbiEEZNS1_34radix_sort_onesweep_global_offsetsIS3_Lb1EN6thrust23THRUST_200600_302600_NS6detail15normal_iteratorINS8_10device_ptrIbEEEENSA_INSB_IiEEEEjNS0_19identity_decomposerEEE10hipError_tT1_T2_PT3_SK_jT4_jjP12ihipStream_tbEUlT_E0_NS1_11comp_targetILNS1_3genE3ELNS1_11target_archE908ELNS1_3gpuE7ELNS1_3repE0EEENS1_52radix_sort_onesweep_histogram_config_static_selectorELNS0_4arch9wavefront6targetE1EEEvSI_: ; @_ZN7rocprim17ROCPRIM_400000_NS6detail17trampoline_kernelINS0_14default_configENS1_35radix_sort_onesweep_config_selectorIbiEEZNS1_34radix_sort_onesweep_global_offsetsIS3_Lb1EN6thrust23THRUST_200600_302600_NS6detail15normal_iteratorINS8_10device_ptrIbEEEENSA_INSB_IiEEEEjNS0_19identity_decomposerEEE10hipError_tT1_T2_PT3_SK_jT4_jjP12ihipStream_tbEUlT_E0_NS1_11comp_targetILNS1_3genE3ELNS1_11target_archE908ELNS1_3gpuE7ELNS1_3repE0EEENS1_52radix_sort_onesweep_histogram_config_static_selectorELNS0_4arch9wavefront6targetE1EEEvSI_
; %bb.0:
	.section	.rodata,"a",@progbits
	.p2align	6, 0x0
	.amdhsa_kernel _ZN7rocprim17ROCPRIM_400000_NS6detail17trampoline_kernelINS0_14default_configENS1_35radix_sort_onesweep_config_selectorIbiEEZNS1_34radix_sort_onesweep_global_offsetsIS3_Lb1EN6thrust23THRUST_200600_302600_NS6detail15normal_iteratorINS8_10device_ptrIbEEEENSA_INSB_IiEEEEjNS0_19identity_decomposerEEE10hipError_tT1_T2_PT3_SK_jT4_jjP12ihipStream_tbEUlT_E0_NS1_11comp_targetILNS1_3genE3ELNS1_11target_archE908ELNS1_3gpuE7ELNS1_3repE0EEENS1_52radix_sort_onesweep_histogram_config_static_selectorELNS0_4arch9wavefront6targetE1EEEvSI_
		.amdhsa_group_segment_fixed_size 0
		.amdhsa_private_segment_fixed_size 0
		.amdhsa_kernarg_size 8
		.amdhsa_user_sgpr_count 2
		.amdhsa_user_sgpr_dispatch_ptr 0
		.amdhsa_user_sgpr_queue_ptr 0
		.amdhsa_user_sgpr_kernarg_segment_ptr 1
		.amdhsa_user_sgpr_dispatch_id 0
		.amdhsa_user_sgpr_kernarg_preload_length 0
		.amdhsa_user_sgpr_kernarg_preload_offset 0
		.amdhsa_user_sgpr_private_segment_size 0
		.amdhsa_uses_dynamic_stack 0
		.amdhsa_enable_private_segment 0
		.amdhsa_system_sgpr_workgroup_id_x 1
		.amdhsa_system_sgpr_workgroup_id_y 0
		.amdhsa_system_sgpr_workgroup_id_z 0
		.amdhsa_system_sgpr_workgroup_info 0
		.amdhsa_system_vgpr_workitem_id 0
		.amdhsa_next_free_vgpr 1
		.amdhsa_next_free_sgpr 0
		.amdhsa_accum_offset 4
		.amdhsa_reserve_vcc 0
		.amdhsa_float_round_mode_32 0
		.amdhsa_float_round_mode_16_64 0
		.amdhsa_float_denorm_mode_32 3
		.amdhsa_float_denorm_mode_16_64 3
		.amdhsa_dx10_clamp 1
		.amdhsa_ieee_mode 1
		.amdhsa_fp16_overflow 0
		.amdhsa_tg_split 0
		.amdhsa_exception_fp_ieee_invalid_op 0
		.amdhsa_exception_fp_denorm_src 0
		.amdhsa_exception_fp_ieee_div_zero 0
		.amdhsa_exception_fp_ieee_overflow 0
		.amdhsa_exception_fp_ieee_underflow 0
		.amdhsa_exception_fp_ieee_inexact 0
		.amdhsa_exception_int_div_zero 0
	.end_amdhsa_kernel
	.section	.text._ZN7rocprim17ROCPRIM_400000_NS6detail17trampoline_kernelINS0_14default_configENS1_35radix_sort_onesweep_config_selectorIbiEEZNS1_34radix_sort_onesweep_global_offsetsIS3_Lb1EN6thrust23THRUST_200600_302600_NS6detail15normal_iteratorINS8_10device_ptrIbEEEENSA_INSB_IiEEEEjNS0_19identity_decomposerEEE10hipError_tT1_T2_PT3_SK_jT4_jjP12ihipStream_tbEUlT_E0_NS1_11comp_targetILNS1_3genE3ELNS1_11target_archE908ELNS1_3gpuE7ELNS1_3repE0EEENS1_52radix_sort_onesweep_histogram_config_static_selectorELNS0_4arch9wavefront6targetE1EEEvSI_,"axG",@progbits,_ZN7rocprim17ROCPRIM_400000_NS6detail17trampoline_kernelINS0_14default_configENS1_35radix_sort_onesweep_config_selectorIbiEEZNS1_34radix_sort_onesweep_global_offsetsIS3_Lb1EN6thrust23THRUST_200600_302600_NS6detail15normal_iteratorINS8_10device_ptrIbEEEENSA_INSB_IiEEEEjNS0_19identity_decomposerEEE10hipError_tT1_T2_PT3_SK_jT4_jjP12ihipStream_tbEUlT_E0_NS1_11comp_targetILNS1_3genE3ELNS1_11target_archE908ELNS1_3gpuE7ELNS1_3repE0EEENS1_52radix_sort_onesweep_histogram_config_static_selectorELNS0_4arch9wavefront6targetE1EEEvSI_,comdat
.Lfunc_end2214:
	.size	_ZN7rocprim17ROCPRIM_400000_NS6detail17trampoline_kernelINS0_14default_configENS1_35radix_sort_onesweep_config_selectorIbiEEZNS1_34radix_sort_onesweep_global_offsetsIS3_Lb1EN6thrust23THRUST_200600_302600_NS6detail15normal_iteratorINS8_10device_ptrIbEEEENSA_INSB_IiEEEEjNS0_19identity_decomposerEEE10hipError_tT1_T2_PT3_SK_jT4_jjP12ihipStream_tbEUlT_E0_NS1_11comp_targetILNS1_3genE3ELNS1_11target_archE908ELNS1_3gpuE7ELNS1_3repE0EEENS1_52radix_sort_onesweep_histogram_config_static_selectorELNS0_4arch9wavefront6targetE1EEEvSI_, .Lfunc_end2214-_ZN7rocprim17ROCPRIM_400000_NS6detail17trampoline_kernelINS0_14default_configENS1_35radix_sort_onesweep_config_selectorIbiEEZNS1_34radix_sort_onesweep_global_offsetsIS3_Lb1EN6thrust23THRUST_200600_302600_NS6detail15normal_iteratorINS8_10device_ptrIbEEEENSA_INSB_IiEEEEjNS0_19identity_decomposerEEE10hipError_tT1_T2_PT3_SK_jT4_jjP12ihipStream_tbEUlT_E0_NS1_11comp_targetILNS1_3genE3ELNS1_11target_archE908ELNS1_3gpuE7ELNS1_3repE0EEENS1_52radix_sort_onesweep_histogram_config_static_selectorELNS0_4arch9wavefront6targetE1EEEvSI_
                                        ; -- End function
	.set _ZN7rocprim17ROCPRIM_400000_NS6detail17trampoline_kernelINS0_14default_configENS1_35radix_sort_onesweep_config_selectorIbiEEZNS1_34radix_sort_onesweep_global_offsetsIS3_Lb1EN6thrust23THRUST_200600_302600_NS6detail15normal_iteratorINS8_10device_ptrIbEEEENSA_INSB_IiEEEEjNS0_19identity_decomposerEEE10hipError_tT1_T2_PT3_SK_jT4_jjP12ihipStream_tbEUlT_E0_NS1_11comp_targetILNS1_3genE3ELNS1_11target_archE908ELNS1_3gpuE7ELNS1_3repE0EEENS1_52radix_sort_onesweep_histogram_config_static_selectorELNS0_4arch9wavefront6targetE1EEEvSI_.num_vgpr, 0
	.set _ZN7rocprim17ROCPRIM_400000_NS6detail17trampoline_kernelINS0_14default_configENS1_35radix_sort_onesweep_config_selectorIbiEEZNS1_34radix_sort_onesweep_global_offsetsIS3_Lb1EN6thrust23THRUST_200600_302600_NS6detail15normal_iteratorINS8_10device_ptrIbEEEENSA_INSB_IiEEEEjNS0_19identity_decomposerEEE10hipError_tT1_T2_PT3_SK_jT4_jjP12ihipStream_tbEUlT_E0_NS1_11comp_targetILNS1_3genE3ELNS1_11target_archE908ELNS1_3gpuE7ELNS1_3repE0EEENS1_52radix_sort_onesweep_histogram_config_static_selectorELNS0_4arch9wavefront6targetE1EEEvSI_.num_agpr, 0
	.set _ZN7rocprim17ROCPRIM_400000_NS6detail17trampoline_kernelINS0_14default_configENS1_35radix_sort_onesweep_config_selectorIbiEEZNS1_34radix_sort_onesweep_global_offsetsIS3_Lb1EN6thrust23THRUST_200600_302600_NS6detail15normal_iteratorINS8_10device_ptrIbEEEENSA_INSB_IiEEEEjNS0_19identity_decomposerEEE10hipError_tT1_T2_PT3_SK_jT4_jjP12ihipStream_tbEUlT_E0_NS1_11comp_targetILNS1_3genE3ELNS1_11target_archE908ELNS1_3gpuE7ELNS1_3repE0EEENS1_52radix_sort_onesweep_histogram_config_static_selectorELNS0_4arch9wavefront6targetE1EEEvSI_.numbered_sgpr, 0
	.set _ZN7rocprim17ROCPRIM_400000_NS6detail17trampoline_kernelINS0_14default_configENS1_35radix_sort_onesweep_config_selectorIbiEEZNS1_34radix_sort_onesweep_global_offsetsIS3_Lb1EN6thrust23THRUST_200600_302600_NS6detail15normal_iteratorINS8_10device_ptrIbEEEENSA_INSB_IiEEEEjNS0_19identity_decomposerEEE10hipError_tT1_T2_PT3_SK_jT4_jjP12ihipStream_tbEUlT_E0_NS1_11comp_targetILNS1_3genE3ELNS1_11target_archE908ELNS1_3gpuE7ELNS1_3repE0EEENS1_52radix_sort_onesweep_histogram_config_static_selectorELNS0_4arch9wavefront6targetE1EEEvSI_.num_named_barrier, 0
	.set _ZN7rocprim17ROCPRIM_400000_NS6detail17trampoline_kernelINS0_14default_configENS1_35radix_sort_onesweep_config_selectorIbiEEZNS1_34radix_sort_onesweep_global_offsetsIS3_Lb1EN6thrust23THRUST_200600_302600_NS6detail15normal_iteratorINS8_10device_ptrIbEEEENSA_INSB_IiEEEEjNS0_19identity_decomposerEEE10hipError_tT1_T2_PT3_SK_jT4_jjP12ihipStream_tbEUlT_E0_NS1_11comp_targetILNS1_3genE3ELNS1_11target_archE908ELNS1_3gpuE7ELNS1_3repE0EEENS1_52radix_sort_onesweep_histogram_config_static_selectorELNS0_4arch9wavefront6targetE1EEEvSI_.private_seg_size, 0
	.set _ZN7rocprim17ROCPRIM_400000_NS6detail17trampoline_kernelINS0_14default_configENS1_35radix_sort_onesweep_config_selectorIbiEEZNS1_34radix_sort_onesweep_global_offsetsIS3_Lb1EN6thrust23THRUST_200600_302600_NS6detail15normal_iteratorINS8_10device_ptrIbEEEENSA_INSB_IiEEEEjNS0_19identity_decomposerEEE10hipError_tT1_T2_PT3_SK_jT4_jjP12ihipStream_tbEUlT_E0_NS1_11comp_targetILNS1_3genE3ELNS1_11target_archE908ELNS1_3gpuE7ELNS1_3repE0EEENS1_52radix_sort_onesweep_histogram_config_static_selectorELNS0_4arch9wavefront6targetE1EEEvSI_.uses_vcc, 0
	.set _ZN7rocprim17ROCPRIM_400000_NS6detail17trampoline_kernelINS0_14default_configENS1_35radix_sort_onesweep_config_selectorIbiEEZNS1_34radix_sort_onesweep_global_offsetsIS3_Lb1EN6thrust23THRUST_200600_302600_NS6detail15normal_iteratorINS8_10device_ptrIbEEEENSA_INSB_IiEEEEjNS0_19identity_decomposerEEE10hipError_tT1_T2_PT3_SK_jT4_jjP12ihipStream_tbEUlT_E0_NS1_11comp_targetILNS1_3genE3ELNS1_11target_archE908ELNS1_3gpuE7ELNS1_3repE0EEENS1_52radix_sort_onesweep_histogram_config_static_selectorELNS0_4arch9wavefront6targetE1EEEvSI_.uses_flat_scratch, 0
	.set _ZN7rocprim17ROCPRIM_400000_NS6detail17trampoline_kernelINS0_14default_configENS1_35radix_sort_onesweep_config_selectorIbiEEZNS1_34radix_sort_onesweep_global_offsetsIS3_Lb1EN6thrust23THRUST_200600_302600_NS6detail15normal_iteratorINS8_10device_ptrIbEEEENSA_INSB_IiEEEEjNS0_19identity_decomposerEEE10hipError_tT1_T2_PT3_SK_jT4_jjP12ihipStream_tbEUlT_E0_NS1_11comp_targetILNS1_3genE3ELNS1_11target_archE908ELNS1_3gpuE7ELNS1_3repE0EEENS1_52radix_sort_onesweep_histogram_config_static_selectorELNS0_4arch9wavefront6targetE1EEEvSI_.has_dyn_sized_stack, 0
	.set _ZN7rocprim17ROCPRIM_400000_NS6detail17trampoline_kernelINS0_14default_configENS1_35radix_sort_onesweep_config_selectorIbiEEZNS1_34radix_sort_onesweep_global_offsetsIS3_Lb1EN6thrust23THRUST_200600_302600_NS6detail15normal_iteratorINS8_10device_ptrIbEEEENSA_INSB_IiEEEEjNS0_19identity_decomposerEEE10hipError_tT1_T2_PT3_SK_jT4_jjP12ihipStream_tbEUlT_E0_NS1_11comp_targetILNS1_3genE3ELNS1_11target_archE908ELNS1_3gpuE7ELNS1_3repE0EEENS1_52radix_sort_onesweep_histogram_config_static_selectorELNS0_4arch9wavefront6targetE1EEEvSI_.has_recursion, 0
	.set _ZN7rocprim17ROCPRIM_400000_NS6detail17trampoline_kernelINS0_14default_configENS1_35radix_sort_onesweep_config_selectorIbiEEZNS1_34radix_sort_onesweep_global_offsetsIS3_Lb1EN6thrust23THRUST_200600_302600_NS6detail15normal_iteratorINS8_10device_ptrIbEEEENSA_INSB_IiEEEEjNS0_19identity_decomposerEEE10hipError_tT1_T2_PT3_SK_jT4_jjP12ihipStream_tbEUlT_E0_NS1_11comp_targetILNS1_3genE3ELNS1_11target_archE908ELNS1_3gpuE7ELNS1_3repE0EEENS1_52radix_sort_onesweep_histogram_config_static_selectorELNS0_4arch9wavefront6targetE1EEEvSI_.has_indirect_call, 0
	.section	.AMDGPU.csdata,"",@progbits
; Kernel info:
; codeLenInByte = 0
; TotalNumSgprs: 6
; NumVgprs: 0
; NumAgprs: 0
; TotalNumVgprs: 0
; ScratchSize: 0
; MemoryBound: 0
; FloatMode: 240
; IeeeMode: 1
; LDSByteSize: 0 bytes/workgroup (compile time only)
; SGPRBlocks: 0
; VGPRBlocks: 0
; NumSGPRsForWavesPerEU: 6
; NumVGPRsForWavesPerEU: 1
; AccumOffset: 4
; Occupancy: 8
; WaveLimiterHint : 0
; COMPUTE_PGM_RSRC2:SCRATCH_EN: 0
; COMPUTE_PGM_RSRC2:USER_SGPR: 2
; COMPUTE_PGM_RSRC2:TRAP_HANDLER: 0
; COMPUTE_PGM_RSRC2:TGID_X_EN: 1
; COMPUTE_PGM_RSRC2:TGID_Y_EN: 0
; COMPUTE_PGM_RSRC2:TGID_Z_EN: 0
; COMPUTE_PGM_RSRC2:TIDIG_COMP_CNT: 0
; COMPUTE_PGM_RSRC3_GFX90A:ACCUM_OFFSET: 0
; COMPUTE_PGM_RSRC3_GFX90A:TG_SPLIT: 0
	.section	.text._ZN7rocprim17ROCPRIM_400000_NS6detail17trampoline_kernelINS0_14default_configENS1_35radix_sort_onesweep_config_selectorIbiEEZNS1_34radix_sort_onesweep_global_offsetsIS3_Lb1EN6thrust23THRUST_200600_302600_NS6detail15normal_iteratorINS8_10device_ptrIbEEEENSA_INSB_IiEEEEjNS0_19identity_decomposerEEE10hipError_tT1_T2_PT3_SK_jT4_jjP12ihipStream_tbEUlT_E0_NS1_11comp_targetILNS1_3genE10ELNS1_11target_archE1201ELNS1_3gpuE5ELNS1_3repE0EEENS1_52radix_sort_onesweep_histogram_config_static_selectorELNS0_4arch9wavefront6targetE1EEEvSI_,"axG",@progbits,_ZN7rocprim17ROCPRIM_400000_NS6detail17trampoline_kernelINS0_14default_configENS1_35radix_sort_onesweep_config_selectorIbiEEZNS1_34radix_sort_onesweep_global_offsetsIS3_Lb1EN6thrust23THRUST_200600_302600_NS6detail15normal_iteratorINS8_10device_ptrIbEEEENSA_INSB_IiEEEEjNS0_19identity_decomposerEEE10hipError_tT1_T2_PT3_SK_jT4_jjP12ihipStream_tbEUlT_E0_NS1_11comp_targetILNS1_3genE10ELNS1_11target_archE1201ELNS1_3gpuE5ELNS1_3repE0EEENS1_52radix_sort_onesweep_histogram_config_static_selectorELNS0_4arch9wavefront6targetE1EEEvSI_,comdat
	.protected	_ZN7rocprim17ROCPRIM_400000_NS6detail17trampoline_kernelINS0_14default_configENS1_35radix_sort_onesweep_config_selectorIbiEEZNS1_34radix_sort_onesweep_global_offsetsIS3_Lb1EN6thrust23THRUST_200600_302600_NS6detail15normal_iteratorINS8_10device_ptrIbEEEENSA_INSB_IiEEEEjNS0_19identity_decomposerEEE10hipError_tT1_T2_PT3_SK_jT4_jjP12ihipStream_tbEUlT_E0_NS1_11comp_targetILNS1_3genE10ELNS1_11target_archE1201ELNS1_3gpuE5ELNS1_3repE0EEENS1_52radix_sort_onesweep_histogram_config_static_selectorELNS0_4arch9wavefront6targetE1EEEvSI_ ; -- Begin function _ZN7rocprim17ROCPRIM_400000_NS6detail17trampoline_kernelINS0_14default_configENS1_35radix_sort_onesweep_config_selectorIbiEEZNS1_34radix_sort_onesweep_global_offsetsIS3_Lb1EN6thrust23THRUST_200600_302600_NS6detail15normal_iteratorINS8_10device_ptrIbEEEENSA_INSB_IiEEEEjNS0_19identity_decomposerEEE10hipError_tT1_T2_PT3_SK_jT4_jjP12ihipStream_tbEUlT_E0_NS1_11comp_targetILNS1_3genE10ELNS1_11target_archE1201ELNS1_3gpuE5ELNS1_3repE0EEENS1_52radix_sort_onesweep_histogram_config_static_selectorELNS0_4arch9wavefront6targetE1EEEvSI_
	.globl	_ZN7rocprim17ROCPRIM_400000_NS6detail17trampoline_kernelINS0_14default_configENS1_35radix_sort_onesweep_config_selectorIbiEEZNS1_34radix_sort_onesweep_global_offsetsIS3_Lb1EN6thrust23THRUST_200600_302600_NS6detail15normal_iteratorINS8_10device_ptrIbEEEENSA_INSB_IiEEEEjNS0_19identity_decomposerEEE10hipError_tT1_T2_PT3_SK_jT4_jjP12ihipStream_tbEUlT_E0_NS1_11comp_targetILNS1_3genE10ELNS1_11target_archE1201ELNS1_3gpuE5ELNS1_3repE0EEENS1_52radix_sort_onesweep_histogram_config_static_selectorELNS0_4arch9wavefront6targetE1EEEvSI_
	.p2align	8
	.type	_ZN7rocprim17ROCPRIM_400000_NS6detail17trampoline_kernelINS0_14default_configENS1_35radix_sort_onesweep_config_selectorIbiEEZNS1_34radix_sort_onesweep_global_offsetsIS3_Lb1EN6thrust23THRUST_200600_302600_NS6detail15normal_iteratorINS8_10device_ptrIbEEEENSA_INSB_IiEEEEjNS0_19identity_decomposerEEE10hipError_tT1_T2_PT3_SK_jT4_jjP12ihipStream_tbEUlT_E0_NS1_11comp_targetILNS1_3genE10ELNS1_11target_archE1201ELNS1_3gpuE5ELNS1_3repE0EEENS1_52radix_sort_onesweep_histogram_config_static_selectorELNS0_4arch9wavefront6targetE1EEEvSI_,@function
_ZN7rocprim17ROCPRIM_400000_NS6detail17trampoline_kernelINS0_14default_configENS1_35radix_sort_onesweep_config_selectorIbiEEZNS1_34radix_sort_onesweep_global_offsetsIS3_Lb1EN6thrust23THRUST_200600_302600_NS6detail15normal_iteratorINS8_10device_ptrIbEEEENSA_INSB_IiEEEEjNS0_19identity_decomposerEEE10hipError_tT1_T2_PT3_SK_jT4_jjP12ihipStream_tbEUlT_E0_NS1_11comp_targetILNS1_3genE10ELNS1_11target_archE1201ELNS1_3gpuE5ELNS1_3repE0EEENS1_52radix_sort_onesweep_histogram_config_static_selectorELNS0_4arch9wavefront6targetE1EEEvSI_: ; @_ZN7rocprim17ROCPRIM_400000_NS6detail17trampoline_kernelINS0_14default_configENS1_35radix_sort_onesweep_config_selectorIbiEEZNS1_34radix_sort_onesweep_global_offsetsIS3_Lb1EN6thrust23THRUST_200600_302600_NS6detail15normal_iteratorINS8_10device_ptrIbEEEENSA_INSB_IiEEEEjNS0_19identity_decomposerEEE10hipError_tT1_T2_PT3_SK_jT4_jjP12ihipStream_tbEUlT_E0_NS1_11comp_targetILNS1_3genE10ELNS1_11target_archE1201ELNS1_3gpuE5ELNS1_3repE0EEENS1_52radix_sort_onesweep_histogram_config_static_selectorELNS0_4arch9wavefront6targetE1EEEvSI_
; %bb.0:
	.section	.rodata,"a",@progbits
	.p2align	6, 0x0
	.amdhsa_kernel _ZN7rocprim17ROCPRIM_400000_NS6detail17trampoline_kernelINS0_14default_configENS1_35radix_sort_onesweep_config_selectorIbiEEZNS1_34radix_sort_onesweep_global_offsetsIS3_Lb1EN6thrust23THRUST_200600_302600_NS6detail15normal_iteratorINS8_10device_ptrIbEEEENSA_INSB_IiEEEEjNS0_19identity_decomposerEEE10hipError_tT1_T2_PT3_SK_jT4_jjP12ihipStream_tbEUlT_E0_NS1_11comp_targetILNS1_3genE10ELNS1_11target_archE1201ELNS1_3gpuE5ELNS1_3repE0EEENS1_52radix_sort_onesweep_histogram_config_static_selectorELNS0_4arch9wavefront6targetE1EEEvSI_
		.amdhsa_group_segment_fixed_size 0
		.amdhsa_private_segment_fixed_size 0
		.amdhsa_kernarg_size 8
		.amdhsa_user_sgpr_count 2
		.amdhsa_user_sgpr_dispatch_ptr 0
		.amdhsa_user_sgpr_queue_ptr 0
		.amdhsa_user_sgpr_kernarg_segment_ptr 1
		.amdhsa_user_sgpr_dispatch_id 0
		.amdhsa_user_sgpr_kernarg_preload_length 0
		.amdhsa_user_sgpr_kernarg_preload_offset 0
		.amdhsa_user_sgpr_private_segment_size 0
		.amdhsa_uses_dynamic_stack 0
		.amdhsa_enable_private_segment 0
		.amdhsa_system_sgpr_workgroup_id_x 1
		.amdhsa_system_sgpr_workgroup_id_y 0
		.amdhsa_system_sgpr_workgroup_id_z 0
		.amdhsa_system_sgpr_workgroup_info 0
		.amdhsa_system_vgpr_workitem_id 0
		.amdhsa_next_free_vgpr 1
		.amdhsa_next_free_sgpr 0
		.amdhsa_accum_offset 4
		.amdhsa_reserve_vcc 0
		.amdhsa_float_round_mode_32 0
		.amdhsa_float_round_mode_16_64 0
		.amdhsa_float_denorm_mode_32 3
		.amdhsa_float_denorm_mode_16_64 3
		.amdhsa_dx10_clamp 1
		.amdhsa_ieee_mode 1
		.amdhsa_fp16_overflow 0
		.amdhsa_tg_split 0
		.amdhsa_exception_fp_ieee_invalid_op 0
		.amdhsa_exception_fp_denorm_src 0
		.amdhsa_exception_fp_ieee_div_zero 0
		.amdhsa_exception_fp_ieee_overflow 0
		.amdhsa_exception_fp_ieee_underflow 0
		.amdhsa_exception_fp_ieee_inexact 0
		.amdhsa_exception_int_div_zero 0
	.end_amdhsa_kernel
	.section	.text._ZN7rocprim17ROCPRIM_400000_NS6detail17trampoline_kernelINS0_14default_configENS1_35radix_sort_onesweep_config_selectorIbiEEZNS1_34radix_sort_onesweep_global_offsetsIS3_Lb1EN6thrust23THRUST_200600_302600_NS6detail15normal_iteratorINS8_10device_ptrIbEEEENSA_INSB_IiEEEEjNS0_19identity_decomposerEEE10hipError_tT1_T2_PT3_SK_jT4_jjP12ihipStream_tbEUlT_E0_NS1_11comp_targetILNS1_3genE10ELNS1_11target_archE1201ELNS1_3gpuE5ELNS1_3repE0EEENS1_52radix_sort_onesweep_histogram_config_static_selectorELNS0_4arch9wavefront6targetE1EEEvSI_,"axG",@progbits,_ZN7rocprim17ROCPRIM_400000_NS6detail17trampoline_kernelINS0_14default_configENS1_35radix_sort_onesweep_config_selectorIbiEEZNS1_34radix_sort_onesweep_global_offsetsIS3_Lb1EN6thrust23THRUST_200600_302600_NS6detail15normal_iteratorINS8_10device_ptrIbEEEENSA_INSB_IiEEEEjNS0_19identity_decomposerEEE10hipError_tT1_T2_PT3_SK_jT4_jjP12ihipStream_tbEUlT_E0_NS1_11comp_targetILNS1_3genE10ELNS1_11target_archE1201ELNS1_3gpuE5ELNS1_3repE0EEENS1_52radix_sort_onesweep_histogram_config_static_selectorELNS0_4arch9wavefront6targetE1EEEvSI_,comdat
.Lfunc_end2215:
	.size	_ZN7rocprim17ROCPRIM_400000_NS6detail17trampoline_kernelINS0_14default_configENS1_35radix_sort_onesweep_config_selectorIbiEEZNS1_34radix_sort_onesweep_global_offsetsIS3_Lb1EN6thrust23THRUST_200600_302600_NS6detail15normal_iteratorINS8_10device_ptrIbEEEENSA_INSB_IiEEEEjNS0_19identity_decomposerEEE10hipError_tT1_T2_PT3_SK_jT4_jjP12ihipStream_tbEUlT_E0_NS1_11comp_targetILNS1_3genE10ELNS1_11target_archE1201ELNS1_3gpuE5ELNS1_3repE0EEENS1_52radix_sort_onesweep_histogram_config_static_selectorELNS0_4arch9wavefront6targetE1EEEvSI_, .Lfunc_end2215-_ZN7rocprim17ROCPRIM_400000_NS6detail17trampoline_kernelINS0_14default_configENS1_35radix_sort_onesweep_config_selectorIbiEEZNS1_34radix_sort_onesweep_global_offsetsIS3_Lb1EN6thrust23THRUST_200600_302600_NS6detail15normal_iteratorINS8_10device_ptrIbEEEENSA_INSB_IiEEEEjNS0_19identity_decomposerEEE10hipError_tT1_T2_PT3_SK_jT4_jjP12ihipStream_tbEUlT_E0_NS1_11comp_targetILNS1_3genE10ELNS1_11target_archE1201ELNS1_3gpuE5ELNS1_3repE0EEENS1_52radix_sort_onesweep_histogram_config_static_selectorELNS0_4arch9wavefront6targetE1EEEvSI_
                                        ; -- End function
	.set _ZN7rocprim17ROCPRIM_400000_NS6detail17trampoline_kernelINS0_14default_configENS1_35radix_sort_onesweep_config_selectorIbiEEZNS1_34radix_sort_onesweep_global_offsetsIS3_Lb1EN6thrust23THRUST_200600_302600_NS6detail15normal_iteratorINS8_10device_ptrIbEEEENSA_INSB_IiEEEEjNS0_19identity_decomposerEEE10hipError_tT1_T2_PT3_SK_jT4_jjP12ihipStream_tbEUlT_E0_NS1_11comp_targetILNS1_3genE10ELNS1_11target_archE1201ELNS1_3gpuE5ELNS1_3repE0EEENS1_52radix_sort_onesweep_histogram_config_static_selectorELNS0_4arch9wavefront6targetE1EEEvSI_.num_vgpr, 0
	.set _ZN7rocprim17ROCPRIM_400000_NS6detail17trampoline_kernelINS0_14default_configENS1_35radix_sort_onesweep_config_selectorIbiEEZNS1_34radix_sort_onesweep_global_offsetsIS3_Lb1EN6thrust23THRUST_200600_302600_NS6detail15normal_iteratorINS8_10device_ptrIbEEEENSA_INSB_IiEEEEjNS0_19identity_decomposerEEE10hipError_tT1_T2_PT3_SK_jT4_jjP12ihipStream_tbEUlT_E0_NS1_11comp_targetILNS1_3genE10ELNS1_11target_archE1201ELNS1_3gpuE5ELNS1_3repE0EEENS1_52radix_sort_onesweep_histogram_config_static_selectorELNS0_4arch9wavefront6targetE1EEEvSI_.num_agpr, 0
	.set _ZN7rocprim17ROCPRIM_400000_NS6detail17trampoline_kernelINS0_14default_configENS1_35radix_sort_onesweep_config_selectorIbiEEZNS1_34radix_sort_onesweep_global_offsetsIS3_Lb1EN6thrust23THRUST_200600_302600_NS6detail15normal_iteratorINS8_10device_ptrIbEEEENSA_INSB_IiEEEEjNS0_19identity_decomposerEEE10hipError_tT1_T2_PT3_SK_jT4_jjP12ihipStream_tbEUlT_E0_NS1_11comp_targetILNS1_3genE10ELNS1_11target_archE1201ELNS1_3gpuE5ELNS1_3repE0EEENS1_52radix_sort_onesweep_histogram_config_static_selectorELNS0_4arch9wavefront6targetE1EEEvSI_.numbered_sgpr, 0
	.set _ZN7rocprim17ROCPRIM_400000_NS6detail17trampoline_kernelINS0_14default_configENS1_35radix_sort_onesweep_config_selectorIbiEEZNS1_34radix_sort_onesweep_global_offsetsIS3_Lb1EN6thrust23THRUST_200600_302600_NS6detail15normal_iteratorINS8_10device_ptrIbEEEENSA_INSB_IiEEEEjNS0_19identity_decomposerEEE10hipError_tT1_T2_PT3_SK_jT4_jjP12ihipStream_tbEUlT_E0_NS1_11comp_targetILNS1_3genE10ELNS1_11target_archE1201ELNS1_3gpuE5ELNS1_3repE0EEENS1_52radix_sort_onesweep_histogram_config_static_selectorELNS0_4arch9wavefront6targetE1EEEvSI_.num_named_barrier, 0
	.set _ZN7rocprim17ROCPRIM_400000_NS6detail17trampoline_kernelINS0_14default_configENS1_35radix_sort_onesweep_config_selectorIbiEEZNS1_34radix_sort_onesweep_global_offsetsIS3_Lb1EN6thrust23THRUST_200600_302600_NS6detail15normal_iteratorINS8_10device_ptrIbEEEENSA_INSB_IiEEEEjNS0_19identity_decomposerEEE10hipError_tT1_T2_PT3_SK_jT4_jjP12ihipStream_tbEUlT_E0_NS1_11comp_targetILNS1_3genE10ELNS1_11target_archE1201ELNS1_3gpuE5ELNS1_3repE0EEENS1_52radix_sort_onesweep_histogram_config_static_selectorELNS0_4arch9wavefront6targetE1EEEvSI_.private_seg_size, 0
	.set _ZN7rocprim17ROCPRIM_400000_NS6detail17trampoline_kernelINS0_14default_configENS1_35radix_sort_onesweep_config_selectorIbiEEZNS1_34radix_sort_onesweep_global_offsetsIS3_Lb1EN6thrust23THRUST_200600_302600_NS6detail15normal_iteratorINS8_10device_ptrIbEEEENSA_INSB_IiEEEEjNS0_19identity_decomposerEEE10hipError_tT1_T2_PT3_SK_jT4_jjP12ihipStream_tbEUlT_E0_NS1_11comp_targetILNS1_3genE10ELNS1_11target_archE1201ELNS1_3gpuE5ELNS1_3repE0EEENS1_52radix_sort_onesweep_histogram_config_static_selectorELNS0_4arch9wavefront6targetE1EEEvSI_.uses_vcc, 0
	.set _ZN7rocprim17ROCPRIM_400000_NS6detail17trampoline_kernelINS0_14default_configENS1_35radix_sort_onesweep_config_selectorIbiEEZNS1_34radix_sort_onesweep_global_offsetsIS3_Lb1EN6thrust23THRUST_200600_302600_NS6detail15normal_iteratorINS8_10device_ptrIbEEEENSA_INSB_IiEEEEjNS0_19identity_decomposerEEE10hipError_tT1_T2_PT3_SK_jT4_jjP12ihipStream_tbEUlT_E0_NS1_11comp_targetILNS1_3genE10ELNS1_11target_archE1201ELNS1_3gpuE5ELNS1_3repE0EEENS1_52radix_sort_onesweep_histogram_config_static_selectorELNS0_4arch9wavefront6targetE1EEEvSI_.uses_flat_scratch, 0
	.set _ZN7rocprim17ROCPRIM_400000_NS6detail17trampoline_kernelINS0_14default_configENS1_35radix_sort_onesweep_config_selectorIbiEEZNS1_34radix_sort_onesweep_global_offsetsIS3_Lb1EN6thrust23THRUST_200600_302600_NS6detail15normal_iteratorINS8_10device_ptrIbEEEENSA_INSB_IiEEEEjNS0_19identity_decomposerEEE10hipError_tT1_T2_PT3_SK_jT4_jjP12ihipStream_tbEUlT_E0_NS1_11comp_targetILNS1_3genE10ELNS1_11target_archE1201ELNS1_3gpuE5ELNS1_3repE0EEENS1_52radix_sort_onesweep_histogram_config_static_selectorELNS0_4arch9wavefront6targetE1EEEvSI_.has_dyn_sized_stack, 0
	.set _ZN7rocprim17ROCPRIM_400000_NS6detail17trampoline_kernelINS0_14default_configENS1_35radix_sort_onesweep_config_selectorIbiEEZNS1_34radix_sort_onesweep_global_offsetsIS3_Lb1EN6thrust23THRUST_200600_302600_NS6detail15normal_iteratorINS8_10device_ptrIbEEEENSA_INSB_IiEEEEjNS0_19identity_decomposerEEE10hipError_tT1_T2_PT3_SK_jT4_jjP12ihipStream_tbEUlT_E0_NS1_11comp_targetILNS1_3genE10ELNS1_11target_archE1201ELNS1_3gpuE5ELNS1_3repE0EEENS1_52radix_sort_onesweep_histogram_config_static_selectorELNS0_4arch9wavefront6targetE1EEEvSI_.has_recursion, 0
	.set _ZN7rocprim17ROCPRIM_400000_NS6detail17trampoline_kernelINS0_14default_configENS1_35radix_sort_onesweep_config_selectorIbiEEZNS1_34radix_sort_onesweep_global_offsetsIS3_Lb1EN6thrust23THRUST_200600_302600_NS6detail15normal_iteratorINS8_10device_ptrIbEEEENSA_INSB_IiEEEEjNS0_19identity_decomposerEEE10hipError_tT1_T2_PT3_SK_jT4_jjP12ihipStream_tbEUlT_E0_NS1_11comp_targetILNS1_3genE10ELNS1_11target_archE1201ELNS1_3gpuE5ELNS1_3repE0EEENS1_52radix_sort_onesweep_histogram_config_static_selectorELNS0_4arch9wavefront6targetE1EEEvSI_.has_indirect_call, 0
	.section	.AMDGPU.csdata,"",@progbits
; Kernel info:
; codeLenInByte = 0
; TotalNumSgprs: 6
; NumVgprs: 0
; NumAgprs: 0
; TotalNumVgprs: 0
; ScratchSize: 0
; MemoryBound: 0
; FloatMode: 240
; IeeeMode: 1
; LDSByteSize: 0 bytes/workgroup (compile time only)
; SGPRBlocks: 0
; VGPRBlocks: 0
; NumSGPRsForWavesPerEU: 6
; NumVGPRsForWavesPerEU: 1
; AccumOffset: 4
; Occupancy: 8
; WaveLimiterHint : 0
; COMPUTE_PGM_RSRC2:SCRATCH_EN: 0
; COMPUTE_PGM_RSRC2:USER_SGPR: 2
; COMPUTE_PGM_RSRC2:TRAP_HANDLER: 0
; COMPUTE_PGM_RSRC2:TGID_X_EN: 1
; COMPUTE_PGM_RSRC2:TGID_Y_EN: 0
; COMPUTE_PGM_RSRC2:TGID_Z_EN: 0
; COMPUTE_PGM_RSRC2:TIDIG_COMP_CNT: 0
; COMPUTE_PGM_RSRC3_GFX90A:ACCUM_OFFSET: 0
; COMPUTE_PGM_RSRC3_GFX90A:TG_SPLIT: 0
	.section	.text._ZN7rocprim17ROCPRIM_400000_NS6detail17trampoline_kernelINS0_14default_configENS1_35radix_sort_onesweep_config_selectorIbiEEZNS1_34radix_sort_onesweep_global_offsetsIS3_Lb1EN6thrust23THRUST_200600_302600_NS6detail15normal_iteratorINS8_10device_ptrIbEEEENSA_INSB_IiEEEEjNS0_19identity_decomposerEEE10hipError_tT1_T2_PT3_SK_jT4_jjP12ihipStream_tbEUlT_E0_NS1_11comp_targetILNS1_3genE9ELNS1_11target_archE1100ELNS1_3gpuE3ELNS1_3repE0EEENS1_52radix_sort_onesweep_histogram_config_static_selectorELNS0_4arch9wavefront6targetE1EEEvSI_,"axG",@progbits,_ZN7rocprim17ROCPRIM_400000_NS6detail17trampoline_kernelINS0_14default_configENS1_35radix_sort_onesweep_config_selectorIbiEEZNS1_34radix_sort_onesweep_global_offsetsIS3_Lb1EN6thrust23THRUST_200600_302600_NS6detail15normal_iteratorINS8_10device_ptrIbEEEENSA_INSB_IiEEEEjNS0_19identity_decomposerEEE10hipError_tT1_T2_PT3_SK_jT4_jjP12ihipStream_tbEUlT_E0_NS1_11comp_targetILNS1_3genE9ELNS1_11target_archE1100ELNS1_3gpuE3ELNS1_3repE0EEENS1_52radix_sort_onesweep_histogram_config_static_selectorELNS0_4arch9wavefront6targetE1EEEvSI_,comdat
	.protected	_ZN7rocprim17ROCPRIM_400000_NS6detail17trampoline_kernelINS0_14default_configENS1_35radix_sort_onesweep_config_selectorIbiEEZNS1_34radix_sort_onesweep_global_offsetsIS3_Lb1EN6thrust23THRUST_200600_302600_NS6detail15normal_iteratorINS8_10device_ptrIbEEEENSA_INSB_IiEEEEjNS0_19identity_decomposerEEE10hipError_tT1_T2_PT3_SK_jT4_jjP12ihipStream_tbEUlT_E0_NS1_11comp_targetILNS1_3genE9ELNS1_11target_archE1100ELNS1_3gpuE3ELNS1_3repE0EEENS1_52radix_sort_onesweep_histogram_config_static_selectorELNS0_4arch9wavefront6targetE1EEEvSI_ ; -- Begin function _ZN7rocprim17ROCPRIM_400000_NS6detail17trampoline_kernelINS0_14default_configENS1_35radix_sort_onesweep_config_selectorIbiEEZNS1_34radix_sort_onesweep_global_offsetsIS3_Lb1EN6thrust23THRUST_200600_302600_NS6detail15normal_iteratorINS8_10device_ptrIbEEEENSA_INSB_IiEEEEjNS0_19identity_decomposerEEE10hipError_tT1_T2_PT3_SK_jT4_jjP12ihipStream_tbEUlT_E0_NS1_11comp_targetILNS1_3genE9ELNS1_11target_archE1100ELNS1_3gpuE3ELNS1_3repE0EEENS1_52radix_sort_onesweep_histogram_config_static_selectorELNS0_4arch9wavefront6targetE1EEEvSI_
	.globl	_ZN7rocprim17ROCPRIM_400000_NS6detail17trampoline_kernelINS0_14default_configENS1_35radix_sort_onesweep_config_selectorIbiEEZNS1_34radix_sort_onesweep_global_offsetsIS3_Lb1EN6thrust23THRUST_200600_302600_NS6detail15normal_iteratorINS8_10device_ptrIbEEEENSA_INSB_IiEEEEjNS0_19identity_decomposerEEE10hipError_tT1_T2_PT3_SK_jT4_jjP12ihipStream_tbEUlT_E0_NS1_11comp_targetILNS1_3genE9ELNS1_11target_archE1100ELNS1_3gpuE3ELNS1_3repE0EEENS1_52radix_sort_onesweep_histogram_config_static_selectorELNS0_4arch9wavefront6targetE1EEEvSI_
	.p2align	8
	.type	_ZN7rocprim17ROCPRIM_400000_NS6detail17trampoline_kernelINS0_14default_configENS1_35radix_sort_onesweep_config_selectorIbiEEZNS1_34radix_sort_onesweep_global_offsetsIS3_Lb1EN6thrust23THRUST_200600_302600_NS6detail15normal_iteratorINS8_10device_ptrIbEEEENSA_INSB_IiEEEEjNS0_19identity_decomposerEEE10hipError_tT1_T2_PT3_SK_jT4_jjP12ihipStream_tbEUlT_E0_NS1_11comp_targetILNS1_3genE9ELNS1_11target_archE1100ELNS1_3gpuE3ELNS1_3repE0EEENS1_52radix_sort_onesweep_histogram_config_static_selectorELNS0_4arch9wavefront6targetE1EEEvSI_,@function
_ZN7rocprim17ROCPRIM_400000_NS6detail17trampoline_kernelINS0_14default_configENS1_35radix_sort_onesweep_config_selectorIbiEEZNS1_34radix_sort_onesweep_global_offsetsIS3_Lb1EN6thrust23THRUST_200600_302600_NS6detail15normal_iteratorINS8_10device_ptrIbEEEENSA_INSB_IiEEEEjNS0_19identity_decomposerEEE10hipError_tT1_T2_PT3_SK_jT4_jjP12ihipStream_tbEUlT_E0_NS1_11comp_targetILNS1_3genE9ELNS1_11target_archE1100ELNS1_3gpuE3ELNS1_3repE0EEENS1_52radix_sort_onesweep_histogram_config_static_selectorELNS0_4arch9wavefront6targetE1EEEvSI_: ; @_ZN7rocprim17ROCPRIM_400000_NS6detail17trampoline_kernelINS0_14default_configENS1_35radix_sort_onesweep_config_selectorIbiEEZNS1_34radix_sort_onesweep_global_offsetsIS3_Lb1EN6thrust23THRUST_200600_302600_NS6detail15normal_iteratorINS8_10device_ptrIbEEEENSA_INSB_IiEEEEjNS0_19identity_decomposerEEE10hipError_tT1_T2_PT3_SK_jT4_jjP12ihipStream_tbEUlT_E0_NS1_11comp_targetILNS1_3genE9ELNS1_11target_archE1100ELNS1_3gpuE3ELNS1_3repE0EEENS1_52radix_sort_onesweep_histogram_config_static_selectorELNS0_4arch9wavefront6targetE1EEEvSI_
; %bb.0:
	.section	.rodata,"a",@progbits
	.p2align	6, 0x0
	.amdhsa_kernel _ZN7rocprim17ROCPRIM_400000_NS6detail17trampoline_kernelINS0_14default_configENS1_35radix_sort_onesweep_config_selectorIbiEEZNS1_34radix_sort_onesweep_global_offsetsIS3_Lb1EN6thrust23THRUST_200600_302600_NS6detail15normal_iteratorINS8_10device_ptrIbEEEENSA_INSB_IiEEEEjNS0_19identity_decomposerEEE10hipError_tT1_T2_PT3_SK_jT4_jjP12ihipStream_tbEUlT_E0_NS1_11comp_targetILNS1_3genE9ELNS1_11target_archE1100ELNS1_3gpuE3ELNS1_3repE0EEENS1_52radix_sort_onesweep_histogram_config_static_selectorELNS0_4arch9wavefront6targetE1EEEvSI_
		.amdhsa_group_segment_fixed_size 0
		.amdhsa_private_segment_fixed_size 0
		.amdhsa_kernarg_size 8
		.amdhsa_user_sgpr_count 2
		.amdhsa_user_sgpr_dispatch_ptr 0
		.amdhsa_user_sgpr_queue_ptr 0
		.amdhsa_user_sgpr_kernarg_segment_ptr 1
		.amdhsa_user_sgpr_dispatch_id 0
		.amdhsa_user_sgpr_kernarg_preload_length 0
		.amdhsa_user_sgpr_kernarg_preload_offset 0
		.amdhsa_user_sgpr_private_segment_size 0
		.amdhsa_uses_dynamic_stack 0
		.amdhsa_enable_private_segment 0
		.amdhsa_system_sgpr_workgroup_id_x 1
		.amdhsa_system_sgpr_workgroup_id_y 0
		.amdhsa_system_sgpr_workgroup_id_z 0
		.amdhsa_system_sgpr_workgroup_info 0
		.amdhsa_system_vgpr_workitem_id 0
		.amdhsa_next_free_vgpr 1
		.amdhsa_next_free_sgpr 0
		.amdhsa_accum_offset 4
		.amdhsa_reserve_vcc 0
		.amdhsa_float_round_mode_32 0
		.amdhsa_float_round_mode_16_64 0
		.amdhsa_float_denorm_mode_32 3
		.amdhsa_float_denorm_mode_16_64 3
		.amdhsa_dx10_clamp 1
		.amdhsa_ieee_mode 1
		.amdhsa_fp16_overflow 0
		.amdhsa_tg_split 0
		.amdhsa_exception_fp_ieee_invalid_op 0
		.amdhsa_exception_fp_denorm_src 0
		.amdhsa_exception_fp_ieee_div_zero 0
		.amdhsa_exception_fp_ieee_overflow 0
		.amdhsa_exception_fp_ieee_underflow 0
		.amdhsa_exception_fp_ieee_inexact 0
		.amdhsa_exception_int_div_zero 0
	.end_amdhsa_kernel
	.section	.text._ZN7rocprim17ROCPRIM_400000_NS6detail17trampoline_kernelINS0_14default_configENS1_35radix_sort_onesweep_config_selectorIbiEEZNS1_34radix_sort_onesweep_global_offsetsIS3_Lb1EN6thrust23THRUST_200600_302600_NS6detail15normal_iteratorINS8_10device_ptrIbEEEENSA_INSB_IiEEEEjNS0_19identity_decomposerEEE10hipError_tT1_T2_PT3_SK_jT4_jjP12ihipStream_tbEUlT_E0_NS1_11comp_targetILNS1_3genE9ELNS1_11target_archE1100ELNS1_3gpuE3ELNS1_3repE0EEENS1_52radix_sort_onesweep_histogram_config_static_selectorELNS0_4arch9wavefront6targetE1EEEvSI_,"axG",@progbits,_ZN7rocprim17ROCPRIM_400000_NS6detail17trampoline_kernelINS0_14default_configENS1_35radix_sort_onesweep_config_selectorIbiEEZNS1_34radix_sort_onesweep_global_offsetsIS3_Lb1EN6thrust23THRUST_200600_302600_NS6detail15normal_iteratorINS8_10device_ptrIbEEEENSA_INSB_IiEEEEjNS0_19identity_decomposerEEE10hipError_tT1_T2_PT3_SK_jT4_jjP12ihipStream_tbEUlT_E0_NS1_11comp_targetILNS1_3genE9ELNS1_11target_archE1100ELNS1_3gpuE3ELNS1_3repE0EEENS1_52radix_sort_onesweep_histogram_config_static_selectorELNS0_4arch9wavefront6targetE1EEEvSI_,comdat
.Lfunc_end2216:
	.size	_ZN7rocprim17ROCPRIM_400000_NS6detail17trampoline_kernelINS0_14default_configENS1_35radix_sort_onesweep_config_selectorIbiEEZNS1_34radix_sort_onesweep_global_offsetsIS3_Lb1EN6thrust23THRUST_200600_302600_NS6detail15normal_iteratorINS8_10device_ptrIbEEEENSA_INSB_IiEEEEjNS0_19identity_decomposerEEE10hipError_tT1_T2_PT3_SK_jT4_jjP12ihipStream_tbEUlT_E0_NS1_11comp_targetILNS1_3genE9ELNS1_11target_archE1100ELNS1_3gpuE3ELNS1_3repE0EEENS1_52radix_sort_onesweep_histogram_config_static_selectorELNS0_4arch9wavefront6targetE1EEEvSI_, .Lfunc_end2216-_ZN7rocprim17ROCPRIM_400000_NS6detail17trampoline_kernelINS0_14default_configENS1_35radix_sort_onesweep_config_selectorIbiEEZNS1_34radix_sort_onesweep_global_offsetsIS3_Lb1EN6thrust23THRUST_200600_302600_NS6detail15normal_iteratorINS8_10device_ptrIbEEEENSA_INSB_IiEEEEjNS0_19identity_decomposerEEE10hipError_tT1_T2_PT3_SK_jT4_jjP12ihipStream_tbEUlT_E0_NS1_11comp_targetILNS1_3genE9ELNS1_11target_archE1100ELNS1_3gpuE3ELNS1_3repE0EEENS1_52radix_sort_onesweep_histogram_config_static_selectorELNS0_4arch9wavefront6targetE1EEEvSI_
                                        ; -- End function
	.set _ZN7rocprim17ROCPRIM_400000_NS6detail17trampoline_kernelINS0_14default_configENS1_35radix_sort_onesweep_config_selectorIbiEEZNS1_34radix_sort_onesweep_global_offsetsIS3_Lb1EN6thrust23THRUST_200600_302600_NS6detail15normal_iteratorINS8_10device_ptrIbEEEENSA_INSB_IiEEEEjNS0_19identity_decomposerEEE10hipError_tT1_T2_PT3_SK_jT4_jjP12ihipStream_tbEUlT_E0_NS1_11comp_targetILNS1_3genE9ELNS1_11target_archE1100ELNS1_3gpuE3ELNS1_3repE0EEENS1_52radix_sort_onesweep_histogram_config_static_selectorELNS0_4arch9wavefront6targetE1EEEvSI_.num_vgpr, 0
	.set _ZN7rocprim17ROCPRIM_400000_NS6detail17trampoline_kernelINS0_14default_configENS1_35radix_sort_onesweep_config_selectorIbiEEZNS1_34radix_sort_onesweep_global_offsetsIS3_Lb1EN6thrust23THRUST_200600_302600_NS6detail15normal_iteratorINS8_10device_ptrIbEEEENSA_INSB_IiEEEEjNS0_19identity_decomposerEEE10hipError_tT1_T2_PT3_SK_jT4_jjP12ihipStream_tbEUlT_E0_NS1_11comp_targetILNS1_3genE9ELNS1_11target_archE1100ELNS1_3gpuE3ELNS1_3repE0EEENS1_52radix_sort_onesweep_histogram_config_static_selectorELNS0_4arch9wavefront6targetE1EEEvSI_.num_agpr, 0
	.set _ZN7rocprim17ROCPRIM_400000_NS6detail17trampoline_kernelINS0_14default_configENS1_35radix_sort_onesweep_config_selectorIbiEEZNS1_34radix_sort_onesweep_global_offsetsIS3_Lb1EN6thrust23THRUST_200600_302600_NS6detail15normal_iteratorINS8_10device_ptrIbEEEENSA_INSB_IiEEEEjNS0_19identity_decomposerEEE10hipError_tT1_T2_PT3_SK_jT4_jjP12ihipStream_tbEUlT_E0_NS1_11comp_targetILNS1_3genE9ELNS1_11target_archE1100ELNS1_3gpuE3ELNS1_3repE0EEENS1_52radix_sort_onesweep_histogram_config_static_selectorELNS0_4arch9wavefront6targetE1EEEvSI_.numbered_sgpr, 0
	.set _ZN7rocprim17ROCPRIM_400000_NS6detail17trampoline_kernelINS0_14default_configENS1_35radix_sort_onesweep_config_selectorIbiEEZNS1_34radix_sort_onesweep_global_offsetsIS3_Lb1EN6thrust23THRUST_200600_302600_NS6detail15normal_iteratorINS8_10device_ptrIbEEEENSA_INSB_IiEEEEjNS0_19identity_decomposerEEE10hipError_tT1_T2_PT3_SK_jT4_jjP12ihipStream_tbEUlT_E0_NS1_11comp_targetILNS1_3genE9ELNS1_11target_archE1100ELNS1_3gpuE3ELNS1_3repE0EEENS1_52radix_sort_onesweep_histogram_config_static_selectorELNS0_4arch9wavefront6targetE1EEEvSI_.num_named_barrier, 0
	.set _ZN7rocprim17ROCPRIM_400000_NS6detail17trampoline_kernelINS0_14default_configENS1_35radix_sort_onesweep_config_selectorIbiEEZNS1_34radix_sort_onesweep_global_offsetsIS3_Lb1EN6thrust23THRUST_200600_302600_NS6detail15normal_iteratorINS8_10device_ptrIbEEEENSA_INSB_IiEEEEjNS0_19identity_decomposerEEE10hipError_tT1_T2_PT3_SK_jT4_jjP12ihipStream_tbEUlT_E0_NS1_11comp_targetILNS1_3genE9ELNS1_11target_archE1100ELNS1_3gpuE3ELNS1_3repE0EEENS1_52radix_sort_onesweep_histogram_config_static_selectorELNS0_4arch9wavefront6targetE1EEEvSI_.private_seg_size, 0
	.set _ZN7rocprim17ROCPRIM_400000_NS6detail17trampoline_kernelINS0_14default_configENS1_35radix_sort_onesweep_config_selectorIbiEEZNS1_34radix_sort_onesweep_global_offsetsIS3_Lb1EN6thrust23THRUST_200600_302600_NS6detail15normal_iteratorINS8_10device_ptrIbEEEENSA_INSB_IiEEEEjNS0_19identity_decomposerEEE10hipError_tT1_T2_PT3_SK_jT4_jjP12ihipStream_tbEUlT_E0_NS1_11comp_targetILNS1_3genE9ELNS1_11target_archE1100ELNS1_3gpuE3ELNS1_3repE0EEENS1_52radix_sort_onesweep_histogram_config_static_selectorELNS0_4arch9wavefront6targetE1EEEvSI_.uses_vcc, 0
	.set _ZN7rocprim17ROCPRIM_400000_NS6detail17trampoline_kernelINS0_14default_configENS1_35radix_sort_onesweep_config_selectorIbiEEZNS1_34radix_sort_onesweep_global_offsetsIS3_Lb1EN6thrust23THRUST_200600_302600_NS6detail15normal_iteratorINS8_10device_ptrIbEEEENSA_INSB_IiEEEEjNS0_19identity_decomposerEEE10hipError_tT1_T2_PT3_SK_jT4_jjP12ihipStream_tbEUlT_E0_NS1_11comp_targetILNS1_3genE9ELNS1_11target_archE1100ELNS1_3gpuE3ELNS1_3repE0EEENS1_52radix_sort_onesweep_histogram_config_static_selectorELNS0_4arch9wavefront6targetE1EEEvSI_.uses_flat_scratch, 0
	.set _ZN7rocprim17ROCPRIM_400000_NS6detail17trampoline_kernelINS0_14default_configENS1_35radix_sort_onesweep_config_selectorIbiEEZNS1_34radix_sort_onesweep_global_offsetsIS3_Lb1EN6thrust23THRUST_200600_302600_NS6detail15normal_iteratorINS8_10device_ptrIbEEEENSA_INSB_IiEEEEjNS0_19identity_decomposerEEE10hipError_tT1_T2_PT3_SK_jT4_jjP12ihipStream_tbEUlT_E0_NS1_11comp_targetILNS1_3genE9ELNS1_11target_archE1100ELNS1_3gpuE3ELNS1_3repE0EEENS1_52radix_sort_onesweep_histogram_config_static_selectorELNS0_4arch9wavefront6targetE1EEEvSI_.has_dyn_sized_stack, 0
	.set _ZN7rocprim17ROCPRIM_400000_NS6detail17trampoline_kernelINS0_14default_configENS1_35radix_sort_onesweep_config_selectorIbiEEZNS1_34radix_sort_onesweep_global_offsetsIS3_Lb1EN6thrust23THRUST_200600_302600_NS6detail15normal_iteratorINS8_10device_ptrIbEEEENSA_INSB_IiEEEEjNS0_19identity_decomposerEEE10hipError_tT1_T2_PT3_SK_jT4_jjP12ihipStream_tbEUlT_E0_NS1_11comp_targetILNS1_3genE9ELNS1_11target_archE1100ELNS1_3gpuE3ELNS1_3repE0EEENS1_52radix_sort_onesweep_histogram_config_static_selectorELNS0_4arch9wavefront6targetE1EEEvSI_.has_recursion, 0
	.set _ZN7rocprim17ROCPRIM_400000_NS6detail17trampoline_kernelINS0_14default_configENS1_35radix_sort_onesweep_config_selectorIbiEEZNS1_34radix_sort_onesweep_global_offsetsIS3_Lb1EN6thrust23THRUST_200600_302600_NS6detail15normal_iteratorINS8_10device_ptrIbEEEENSA_INSB_IiEEEEjNS0_19identity_decomposerEEE10hipError_tT1_T2_PT3_SK_jT4_jjP12ihipStream_tbEUlT_E0_NS1_11comp_targetILNS1_3genE9ELNS1_11target_archE1100ELNS1_3gpuE3ELNS1_3repE0EEENS1_52radix_sort_onesweep_histogram_config_static_selectorELNS0_4arch9wavefront6targetE1EEEvSI_.has_indirect_call, 0
	.section	.AMDGPU.csdata,"",@progbits
; Kernel info:
; codeLenInByte = 0
; TotalNumSgprs: 6
; NumVgprs: 0
; NumAgprs: 0
; TotalNumVgprs: 0
; ScratchSize: 0
; MemoryBound: 0
; FloatMode: 240
; IeeeMode: 1
; LDSByteSize: 0 bytes/workgroup (compile time only)
; SGPRBlocks: 0
; VGPRBlocks: 0
; NumSGPRsForWavesPerEU: 6
; NumVGPRsForWavesPerEU: 1
; AccumOffset: 4
; Occupancy: 8
; WaveLimiterHint : 0
; COMPUTE_PGM_RSRC2:SCRATCH_EN: 0
; COMPUTE_PGM_RSRC2:USER_SGPR: 2
; COMPUTE_PGM_RSRC2:TRAP_HANDLER: 0
; COMPUTE_PGM_RSRC2:TGID_X_EN: 1
; COMPUTE_PGM_RSRC2:TGID_Y_EN: 0
; COMPUTE_PGM_RSRC2:TGID_Z_EN: 0
; COMPUTE_PGM_RSRC2:TIDIG_COMP_CNT: 0
; COMPUTE_PGM_RSRC3_GFX90A:ACCUM_OFFSET: 0
; COMPUTE_PGM_RSRC3_GFX90A:TG_SPLIT: 0
	.section	.text._ZN7rocprim17ROCPRIM_400000_NS6detail17trampoline_kernelINS0_14default_configENS1_35radix_sort_onesweep_config_selectorIbiEEZNS1_34radix_sort_onesweep_global_offsetsIS3_Lb1EN6thrust23THRUST_200600_302600_NS6detail15normal_iteratorINS8_10device_ptrIbEEEENSA_INSB_IiEEEEjNS0_19identity_decomposerEEE10hipError_tT1_T2_PT3_SK_jT4_jjP12ihipStream_tbEUlT_E0_NS1_11comp_targetILNS1_3genE8ELNS1_11target_archE1030ELNS1_3gpuE2ELNS1_3repE0EEENS1_52radix_sort_onesweep_histogram_config_static_selectorELNS0_4arch9wavefront6targetE1EEEvSI_,"axG",@progbits,_ZN7rocprim17ROCPRIM_400000_NS6detail17trampoline_kernelINS0_14default_configENS1_35radix_sort_onesweep_config_selectorIbiEEZNS1_34radix_sort_onesweep_global_offsetsIS3_Lb1EN6thrust23THRUST_200600_302600_NS6detail15normal_iteratorINS8_10device_ptrIbEEEENSA_INSB_IiEEEEjNS0_19identity_decomposerEEE10hipError_tT1_T2_PT3_SK_jT4_jjP12ihipStream_tbEUlT_E0_NS1_11comp_targetILNS1_3genE8ELNS1_11target_archE1030ELNS1_3gpuE2ELNS1_3repE0EEENS1_52radix_sort_onesweep_histogram_config_static_selectorELNS0_4arch9wavefront6targetE1EEEvSI_,comdat
	.protected	_ZN7rocprim17ROCPRIM_400000_NS6detail17trampoline_kernelINS0_14default_configENS1_35radix_sort_onesweep_config_selectorIbiEEZNS1_34radix_sort_onesweep_global_offsetsIS3_Lb1EN6thrust23THRUST_200600_302600_NS6detail15normal_iteratorINS8_10device_ptrIbEEEENSA_INSB_IiEEEEjNS0_19identity_decomposerEEE10hipError_tT1_T2_PT3_SK_jT4_jjP12ihipStream_tbEUlT_E0_NS1_11comp_targetILNS1_3genE8ELNS1_11target_archE1030ELNS1_3gpuE2ELNS1_3repE0EEENS1_52radix_sort_onesweep_histogram_config_static_selectorELNS0_4arch9wavefront6targetE1EEEvSI_ ; -- Begin function _ZN7rocprim17ROCPRIM_400000_NS6detail17trampoline_kernelINS0_14default_configENS1_35radix_sort_onesweep_config_selectorIbiEEZNS1_34radix_sort_onesweep_global_offsetsIS3_Lb1EN6thrust23THRUST_200600_302600_NS6detail15normal_iteratorINS8_10device_ptrIbEEEENSA_INSB_IiEEEEjNS0_19identity_decomposerEEE10hipError_tT1_T2_PT3_SK_jT4_jjP12ihipStream_tbEUlT_E0_NS1_11comp_targetILNS1_3genE8ELNS1_11target_archE1030ELNS1_3gpuE2ELNS1_3repE0EEENS1_52radix_sort_onesweep_histogram_config_static_selectorELNS0_4arch9wavefront6targetE1EEEvSI_
	.globl	_ZN7rocprim17ROCPRIM_400000_NS6detail17trampoline_kernelINS0_14default_configENS1_35radix_sort_onesweep_config_selectorIbiEEZNS1_34radix_sort_onesweep_global_offsetsIS3_Lb1EN6thrust23THRUST_200600_302600_NS6detail15normal_iteratorINS8_10device_ptrIbEEEENSA_INSB_IiEEEEjNS0_19identity_decomposerEEE10hipError_tT1_T2_PT3_SK_jT4_jjP12ihipStream_tbEUlT_E0_NS1_11comp_targetILNS1_3genE8ELNS1_11target_archE1030ELNS1_3gpuE2ELNS1_3repE0EEENS1_52radix_sort_onesweep_histogram_config_static_selectorELNS0_4arch9wavefront6targetE1EEEvSI_
	.p2align	8
	.type	_ZN7rocprim17ROCPRIM_400000_NS6detail17trampoline_kernelINS0_14default_configENS1_35radix_sort_onesweep_config_selectorIbiEEZNS1_34radix_sort_onesweep_global_offsetsIS3_Lb1EN6thrust23THRUST_200600_302600_NS6detail15normal_iteratorINS8_10device_ptrIbEEEENSA_INSB_IiEEEEjNS0_19identity_decomposerEEE10hipError_tT1_T2_PT3_SK_jT4_jjP12ihipStream_tbEUlT_E0_NS1_11comp_targetILNS1_3genE8ELNS1_11target_archE1030ELNS1_3gpuE2ELNS1_3repE0EEENS1_52radix_sort_onesweep_histogram_config_static_selectorELNS0_4arch9wavefront6targetE1EEEvSI_,@function
_ZN7rocprim17ROCPRIM_400000_NS6detail17trampoline_kernelINS0_14default_configENS1_35radix_sort_onesweep_config_selectorIbiEEZNS1_34radix_sort_onesweep_global_offsetsIS3_Lb1EN6thrust23THRUST_200600_302600_NS6detail15normal_iteratorINS8_10device_ptrIbEEEENSA_INSB_IiEEEEjNS0_19identity_decomposerEEE10hipError_tT1_T2_PT3_SK_jT4_jjP12ihipStream_tbEUlT_E0_NS1_11comp_targetILNS1_3genE8ELNS1_11target_archE1030ELNS1_3gpuE2ELNS1_3repE0EEENS1_52radix_sort_onesweep_histogram_config_static_selectorELNS0_4arch9wavefront6targetE1EEEvSI_: ; @_ZN7rocprim17ROCPRIM_400000_NS6detail17trampoline_kernelINS0_14default_configENS1_35radix_sort_onesweep_config_selectorIbiEEZNS1_34radix_sort_onesweep_global_offsetsIS3_Lb1EN6thrust23THRUST_200600_302600_NS6detail15normal_iteratorINS8_10device_ptrIbEEEENSA_INSB_IiEEEEjNS0_19identity_decomposerEEE10hipError_tT1_T2_PT3_SK_jT4_jjP12ihipStream_tbEUlT_E0_NS1_11comp_targetILNS1_3genE8ELNS1_11target_archE1030ELNS1_3gpuE2ELNS1_3repE0EEENS1_52radix_sort_onesweep_histogram_config_static_selectorELNS0_4arch9wavefront6targetE1EEEvSI_
; %bb.0:
	.section	.rodata,"a",@progbits
	.p2align	6, 0x0
	.amdhsa_kernel _ZN7rocprim17ROCPRIM_400000_NS6detail17trampoline_kernelINS0_14default_configENS1_35radix_sort_onesweep_config_selectorIbiEEZNS1_34radix_sort_onesweep_global_offsetsIS3_Lb1EN6thrust23THRUST_200600_302600_NS6detail15normal_iteratorINS8_10device_ptrIbEEEENSA_INSB_IiEEEEjNS0_19identity_decomposerEEE10hipError_tT1_T2_PT3_SK_jT4_jjP12ihipStream_tbEUlT_E0_NS1_11comp_targetILNS1_3genE8ELNS1_11target_archE1030ELNS1_3gpuE2ELNS1_3repE0EEENS1_52radix_sort_onesweep_histogram_config_static_selectorELNS0_4arch9wavefront6targetE1EEEvSI_
		.amdhsa_group_segment_fixed_size 0
		.amdhsa_private_segment_fixed_size 0
		.amdhsa_kernarg_size 8
		.amdhsa_user_sgpr_count 2
		.amdhsa_user_sgpr_dispatch_ptr 0
		.amdhsa_user_sgpr_queue_ptr 0
		.amdhsa_user_sgpr_kernarg_segment_ptr 1
		.amdhsa_user_sgpr_dispatch_id 0
		.amdhsa_user_sgpr_kernarg_preload_length 0
		.amdhsa_user_sgpr_kernarg_preload_offset 0
		.amdhsa_user_sgpr_private_segment_size 0
		.amdhsa_uses_dynamic_stack 0
		.amdhsa_enable_private_segment 0
		.amdhsa_system_sgpr_workgroup_id_x 1
		.amdhsa_system_sgpr_workgroup_id_y 0
		.amdhsa_system_sgpr_workgroup_id_z 0
		.amdhsa_system_sgpr_workgroup_info 0
		.amdhsa_system_vgpr_workitem_id 0
		.amdhsa_next_free_vgpr 1
		.amdhsa_next_free_sgpr 0
		.amdhsa_accum_offset 4
		.amdhsa_reserve_vcc 0
		.amdhsa_float_round_mode_32 0
		.amdhsa_float_round_mode_16_64 0
		.amdhsa_float_denorm_mode_32 3
		.amdhsa_float_denorm_mode_16_64 3
		.amdhsa_dx10_clamp 1
		.amdhsa_ieee_mode 1
		.amdhsa_fp16_overflow 0
		.amdhsa_tg_split 0
		.amdhsa_exception_fp_ieee_invalid_op 0
		.amdhsa_exception_fp_denorm_src 0
		.amdhsa_exception_fp_ieee_div_zero 0
		.amdhsa_exception_fp_ieee_overflow 0
		.amdhsa_exception_fp_ieee_underflow 0
		.amdhsa_exception_fp_ieee_inexact 0
		.amdhsa_exception_int_div_zero 0
	.end_amdhsa_kernel
	.section	.text._ZN7rocprim17ROCPRIM_400000_NS6detail17trampoline_kernelINS0_14default_configENS1_35radix_sort_onesweep_config_selectorIbiEEZNS1_34radix_sort_onesweep_global_offsetsIS3_Lb1EN6thrust23THRUST_200600_302600_NS6detail15normal_iteratorINS8_10device_ptrIbEEEENSA_INSB_IiEEEEjNS0_19identity_decomposerEEE10hipError_tT1_T2_PT3_SK_jT4_jjP12ihipStream_tbEUlT_E0_NS1_11comp_targetILNS1_3genE8ELNS1_11target_archE1030ELNS1_3gpuE2ELNS1_3repE0EEENS1_52radix_sort_onesweep_histogram_config_static_selectorELNS0_4arch9wavefront6targetE1EEEvSI_,"axG",@progbits,_ZN7rocprim17ROCPRIM_400000_NS6detail17trampoline_kernelINS0_14default_configENS1_35radix_sort_onesweep_config_selectorIbiEEZNS1_34radix_sort_onesweep_global_offsetsIS3_Lb1EN6thrust23THRUST_200600_302600_NS6detail15normal_iteratorINS8_10device_ptrIbEEEENSA_INSB_IiEEEEjNS0_19identity_decomposerEEE10hipError_tT1_T2_PT3_SK_jT4_jjP12ihipStream_tbEUlT_E0_NS1_11comp_targetILNS1_3genE8ELNS1_11target_archE1030ELNS1_3gpuE2ELNS1_3repE0EEENS1_52radix_sort_onesweep_histogram_config_static_selectorELNS0_4arch9wavefront6targetE1EEEvSI_,comdat
.Lfunc_end2217:
	.size	_ZN7rocprim17ROCPRIM_400000_NS6detail17trampoline_kernelINS0_14default_configENS1_35radix_sort_onesweep_config_selectorIbiEEZNS1_34radix_sort_onesweep_global_offsetsIS3_Lb1EN6thrust23THRUST_200600_302600_NS6detail15normal_iteratorINS8_10device_ptrIbEEEENSA_INSB_IiEEEEjNS0_19identity_decomposerEEE10hipError_tT1_T2_PT3_SK_jT4_jjP12ihipStream_tbEUlT_E0_NS1_11comp_targetILNS1_3genE8ELNS1_11target_archE1030ELNS1_3gpuE2ELNS1_3repE0EEENS1_52radix_sort_onesweep_histogram_config_static_selectorELNS0_4arch9wavefront6targetE1EEEvSI_, .Lfunc_end2217-_ZN7rocprim17ROCPRIM_400000_NS6detail17trampoline_kernelINS0_14default_configENS1_35radix_sort_onesweep_config_selectorIbiEEZNS1_34radix_sort_onesweep_global_offsetsIS3_Lb1EN6thrust23THRUST_200600_302600_NS6detail15normal_iteratorINS8_10device_ptrIbEEEENSA_INSB_IiEEEEjNS0_19identity_decomposerEEE10hipError_tT1_T2_PT3_SK_jT4_jjP12ihipStream_tbEUlT_E0_NS1_11comp_targetILNS1_3genE8ELNS1_11target_archE1030ELNS1_3gpuE2ELNS1_3repE0EEENS1_52radix_sort_onesweep_histogram_config_static_selectorELNS0_4arch9wavefront6targetE1EEEvSI_
                                        ; -- End function
	.set _ZN7rocprim17ROCPRIM_400000_NS6detail17trampoline_kernelINS0_14default_configENS1_35radix_sort_onesweep_config_selectorIbiEEZNS1_34radix_sort_onesweep_global_offsetsIS3_Lb1EN6thrust23THRUST_200600_302600_NS6detail15normal_iteratorINS8_10device_ptrIbEEEENSA_INSB_IiEEEEjNS0_19identity_decomposerEEE10hipError_tT1_T2_PT3_SK_jT4_jjP12ihipStream_tbEUlT_E0_NS1_11comp_targetILNS1_3genE8ELNS1_11target_archE1030ELNS1_3gpuE2ELNS1_3repE0EEENS1_52radix_sort_onesweep_histogram_config_static_selectorELNS0_4arch9wavefront6targetE1EEEvSI_.num_vgpr, 0
	.set _ZN7rocprim17ROCPRIM_400000_NS6detail17trampoline_kernelINS0_14default_configENS1_35radix_sort_onesweep_config_selectorIbiEEZNS1_34radix_sort_onesweep_global_offsetsIS3_Lb1EN6thrust23THRUST_200600_302600_NS6detail15normal_iteratorINS8_10device_ptrIbEEEENSA_INSB_IiEEEEjNS0_19identity_decomposerEEE10hipError_tT1_T2_PT3_SK_jT4_jjP12ihipStream_tbEUlT_E0_NS1_11comp_targetILNS1_3genE8ELNS1_11target_archE1030ELNS1_3gpuE2ELNS1_3repE0EEENS1_52radix_sort_onesweep_histogram_config_static_selectorELNS0_4arch9wavefront6targetE1EEEvSI_.num_agpr, 0
	.set _ZN7rocprim17ROCPRIM_400000_NS6detail17trampoline_kernelINS0_14default_configENS1_35radix_sort_onesweep_config_selectorIbiEEZNS1_34radix_sort_onesweep_global_offsetsIS3_Lb1EN6thrust23THRUST_200600_302600_NS6detail15normal_iteratorINS8_10device_ptrIbEEEENSA_INSB_IiEEEEjNS0_19identity_decomposerEEE10hipError_tT1_T2_PT3_SK_jT4_jjP12ihipStream_tbEUlT_E0_NS1_11comp_targetILNS1_3genE8ELNS1_11target_archE1030ELNS1_3gpuE2ELNS1_3repE0EEENS1_52radix_sort_onesweep_histogram_config_static_selectorELNS0_4arch9wavefront6targetE1EEEvSI_.numbered_sgpr, 0
	.set _ZN7rocprim17ROCPRIM_400000_NS6detail17trampoline_kernelINS0_14default_configENS1_35radix_sort_onesweep_config_selectorIbiEEZNS1_34radix_sort_onesweep_global_offsetsIS3_Lb1EN6thrust23THRUST_200600_302600_NS6detail15normal_iteratorINS8_10device_ptrIbEEEENSA_INSB_IiEEEEjNS0_19identity_decomposerEEE10hipError_tT1_T2_PT3_SK_jT4_jjP12ihipStream_tbEUlT_E0_NS1_11comp_targetILNS1_3genE8ELNS1_11target_archE1030ELNS1_3gpuE2ELNS1_3repE0EEENS1_52radix_sort_onesweep_histogram_config_static_selectorELNS0_4arch9wavefront6targetE1EEEvSI_.num_named_barrier, 0
	.set _ZN7rocprim17ROCPRIM_400000_NS6detail17trampoline_kernelINS0_14default_configENS1_35radix_sort_onesweep_config_selectorIbiEEZNS1_34radix_sort_onesweep_global_offsetsIS3_Lb1EN6thrust23THRUST_200600_302600_NS6detail15normal_iteratorINS8_10device_ptrIbEEEENSA_INSB_IiEEEEjNS0_19identity_decomposerEEE10hipError_tT1_T2_PT3_SK_jT4_jjP12ihipStream_tbEUlT_E0_NS1_11comp_targetILNS1_3genE8ELNS1_11target_archE1030ELNS1_3gpuE2ELNS1_3repE0EEENS1_52radix_sort_onesweep_histogram_config_static_selectorELNS0_4arch9wavefront6targetE1EEEvSI_.private_seg_size, 0
	.set _ZN7rocprim17ROCPRIM_400000_NS6detail17trampoline_kernelINS0_14default_configENS1_35radix_sort_onesweep_config_selectorIbiEEZNS1_34radix_sort_onesweep_global_offsetsIS3_Lb1EN6thrust23THRUST_200600_302600_NS6detail15normal_iteratorINS8_10device_ptrIbEEEENSA_INSB_IiEEEEjNS0_19identity_decomposerEEE10hipError_tT1_T2_PT3_SK_jT4_jjP12ihipStream_tbEUlT_E0_NS1_11comp_targetILNS1_3genE8ELNS1_11target_archE1030ELNS1_3gpuE2ELNS1_3repE0EEENS1_52radix_sort_onesweep_histogram_config_static_selectorELNS0_4arch9wavefront6targetE1EEEvSI_.uses_vcc, 0
	.set _ZN7rocprim17ROCPRIM_400000_NS6detail17trampoline_kernelINS0_14default_configENS1_35radix_sort_onesweep_config_selectorIbiEEZNS1_34radix_sort_onesweep_global_offsetsIS3_Lb1EN6thrust23THRUST_200600_302600_NS6detail15normal_iteratorINS8_10device_ptrIbEEEENSA_INSB_IiEEEEjNS0_19identity_decomposerEEE10hipError_tT1_T2_PT3_SK_jT4_jjP12ihipStream_tbEUlT_E0_NS1_11comp_targetILNS1_3genE8ELNS1_11target_archE1030ELNS1_3gpuE2ELNS1_3repE0EEENS1_52radix_sort_onesweep_histogram_config_static_selectorELNS0_4arch9wavefront6targetE1EEEvSI_.uses_flat_scratch, 0
	.set _ZN7rocprim17ROCPRIM_400000_NS6detail17trampoline_kernelINS0_14default_configENS1_35radix_sort_onesweep_config_selectorIbiEEZNS1_34radix_sort_onesweep_global_offsetsIS3_Lb1EN6thrust23THRUST_200600_302600_NS6detail15normal_iteratorINS8_10device_ptrIbEEEENSA_INSB_IiEEEEjNS0_19identity_decomposerEEE10hipError_tT1_T2_PT3_SK_jT4_jjP12ihipStream_tbEUlT_E0_NS1_11comp_targetILNS1_3genE8ELNS1_11target_archE1030ELNS1_3gpuE2ELNS1_3repE0EEENS1_52radix_sort_onesweep_histogram_config_static_selectorELNS0_4arch9wavefront6targetE1EEEvSI_.has_dyn_sized_stack, 0
	.set _ZN7rocprim17ROCPRIM_400000_NS6detail17trampoline_kernelINS0_14default_configENS1_35radix_sort_onesweep_config_selectorIbiEEZNS1_34radix_sort_onesweep_global_offsetsIS3_Lb1EN6thrust23THRUST_200600_302600_NS6detail15normal_iteratorINS8_10device_ptrIbEEEENSA_INSB_IiEEEEjNS0_19identity_decomposerEEE10hipError_tT1_T2_PT3_SK_jT4_jjP12ihipStream_tbEUlT_E0_NS1_11comp_targetILNS1_3genE8ELNS1_11target_archE1030ELNS1_3gpuE2ELNS1_3repE0EEENS1_52radix_sort_onesweep_histogram_config_static_selectorELNS0_4arch9wavefront6targetE1EEEvSI_.has_recursion, 0
	.set _ZN7rocprim17ROCPRIM_400000_NS6detail17trampoline_kernelINS0_14default_configENS1_35radix_sort_onesweep_config_selectorIbiEEZNS1_34radix_sort_onesweep_global_offsetsIS3_Lb1EN6thrust23THRUST_200600_302600_NS6detail15normal_iteratorINS8_10device_ptrIbEEEENSA_INSB_IiEEEEjNS0_19identity_decomposerEEE10hipError_tT1_T2_PT3_SK_jT4_jjP12ihipStream_tbEUlT_E0_NS1_11comp_targetILNS1_3genE8ELNS1_11target_archE1030ELNS1_3gpuE2ELNS1_3repE0EEENS1_52radix_sort_onesweep_histogram_config_static_selectorELNS0_4arch9wavefront6targetE1EEEvSI_.has_indirect_call, 0
	.section	.AMDGPU.csdata,"",@progbits
; Kernel info:
; codeLenInByte = 0
; TotalNumSgprs: 6
; NumVgprs: 0
; NumAgprs: 0
; TotalNumVgprs: 0
; ScratchSize: 0
; MemoryBound: 0
; FloatMode: 240
; IeeeMode: 1
; LDSByteSize: 0 bytes/workgroup (compile time only)
; SGPRBlocks: 0
; VGPRBlocks: 0
; NumSGPRsForWavesPerEU: 6
; NumVGPRsForWavesPerEU: 1
; AccumOffset: 4
; Occupancy: 8
; WaveLimiterHint : 0
; COMPUTE_PGM_RSRC2:SCRATCH_EN: 0
; COMPUTE_PGM_RSRC2:USER_SGPR: 2
; COMPUTE_PGM_RSRC2:TRAP_HANDLER: 0
; COMPUTE_PGM_RSRC2:TGID_X_EN: 1
; COMPUTE_PGM_RSRC2:TGID_Y_EN: 0
; COMPUTE_PGM_RSRC2:TGID_Z_EN: 0
; COMPUTE_PGM_RSRC2:TIDIG_COMP_CNT: 0
; COMPUTE_PGM_RSRC3_GFX90A:ACCUM_OFFSET: 0
; COMPUTE_PGM_RSRC3_GFX90A:TG_SPLIT: 0
	.section	.text._ZN7rocprim17ROCPRIM_400000_NS6detail17trampoline_kernelINS0_14default_configENS1_35radix_sort_onesweep_config_selectorIbiEEZZNS1_29radix_sort_onesweep_iterationIS3_Lb1EN6thrust23THRUST_200600_302600_NS6detail15normal_iteratorINS8_10device_ptrIbEEEESD_NSA_INSB_IiEEEESF_jNS0_19identity_decomposerENS1_16block_id_wrapperIjLb1EEEEE10hipError_tT1_PNSt15iterator_traitsISK_E10value_typeET2_T3_PNSL_ISQ_E10value_typeET4_T5_PSV_SW_PNS1_23onesweep_lookback_stateEbbT6_jjT7_P12ihipStream_tbENKUlT_T0_SK_SP_E_clISD_SD_SF_SF_EEDaS13_S14_SK_SP_EUlS13_E_NS1_11comp_targetILNS1_3genE0ELNS1_11target_archE4294967295ELNS1_3gpuE0ELNS1_3repE0EEENS1_47radix_sort_onesweep_sort_config_static_selectorELNS0_4arch9wavefront6targetE1EEEvSK_,"axG",@progbits,_ZN7rocprim17ROCPRIM_400000_NS6detail17trampoline_kernelINS0_14default_configENS1_35radix_sort_onesweep_config_selectorIbiEEZZNS1_29radix_sort_onesweep_iterationIS3_Lb1EN6thrust23THRUST_200600_302600_NS6detail15normal_iteratorINS8_10device_ptrIbEEEESD_NSA_INSB_IiEEEESF_jNS0_19identity_decomposerENS1_16block_id_wrapperIjLb1EEEEE10hipError_tT1_PNSt15iterator_traitsISK_E10value_typeET2_T3_PNSL_ISQ_E10value_typeET4_T5_PSV_SW_PNS1_23onesweep_lookback_stateEbbT6_jjT7_P12ihipStream_tbENKUlT_T0_SK_SP_E_clISD_SD_SF_SF_EEDaS13_S14_SK_SP_EUlS13_E_NS1_11comp_targetILNS1_3genE0ELNS1_11target_archE4294967295ELNS1_3gpuE0ELNS1_3repE0EEENS1_47radix_sort_onesweep_sort_config_static_selectorELNS0_4arch9wavefront6targetE1EEEvSK_,comdat
	.protected	_ZN7rocprim17ROCPRIM_400000_NS6detail17trampoline_kernelINS0_14default_configENS1_35radix_sort_onesweep_config_selectorIbiEEZZNS1_29radix_sort_onesweep_iterationIS3_Lb1EN6thrust23THRUST_200600_302600_NS6detail15normal_iteratorINS8_10device_ptrIbEEEESD_NSA_INSB_IiEEEESF_jNS0_19identity_decomposerENS1_16block_id_wrapperIjLb1EEEEE10hipError_tT1_PNSt15iterator_traitsISK_E10value_typeET2_T3_PNSL_ISQ_E10value_typeET4_T5_PSV_SW_PNS1_23onesweep_lookback_stateEbbT6_jjT7_P12ihipStream_tbENKUlT_T0_SK_SP_E_clISD_SD_SF_SF_EEDaS13_S14_SK_SP_EUlS13_E_NS1_11comp_targetILNS1_3genE0ELNS1_11target_archE4294967295ELNS1_3gpuE0ELNS1_3repE0EEENS1_47radix_sort_onesweep_sort_config_static_selectorELNS0_4arch9wavefront6targetE1EEEvSK_ ; -- Begin function _ZN7rocprim17ROCPRIM_400000_NS6detail17trampoline_kernelINS0_14default_configENS1_35radix_sort_onesweep_config_selectorIbiEEZZNS1_29radix_sort_onesweep_iterationIS3_Lb1EN6thrust23THRUST_200600_302600_NS6detail15normal_iteratorINS8_10device_ptrIbEEEESD_NSA_INSB_IiEEEESF_jNS0_19identity_decomposerENS1_16block_id_wrapperIjLb1EEEEE10hipError_tT1_PNSt15iterator_traitsISK_E10value_typeET2_T3_PNSL_ISQ_E10value_typeET4_T5_PSV_SW_PNS1_23onesweep_lookback_stateEbbT6_jjT7_P12ihipStream_tbENKUlT_T0_SK_SP_E_clISD_SD_SF_SF_EEDaS13_S14_SK_SP_EUlS13_E_NS1_11comp_targetILNS1_3genE0ELNS1_11target_archE4294967295ELNS1_3gpuE0ELNS1_3repE0EEENS1_47radix_sort_onesweep_sort_config_static_selectorELNS0_4arch9wavefront6targetE1EEEvSK_
	.globl	_ZN7rocprim17ROCPRIM_400000_NS6detail17trampoline_kernelINS0_14default_configENS1_35radix_sort_onesweep_config_selectorIbiEEZZNS1_29radix_sort_onesweep_iterationIS3_Lb1EN6thrust23THRUST_200600_302600_NS6detail15normal_iteratorINS8_10device_ptrIbEEEESD_NSA_INSB_IiEEEESF_jNS0_19identity_decomposerENS1_16block_id_wrapperIjLb1EEEEE10hipError_tT1_PNSt15iterator_traitsISK_E10value_typeET2_T3_PNSL_ISQ_E10value_typeET4_T5_PSV_SW_PNS1_23onesweep_lookback_stateEbbT6_jjT7_P12ihipStream_tbENKUlT_T0_SK_SP_E_clISD_SD_SF_SF_EEDaS13_S14_SK_SP_EUlS13_E_NS1_11comp_targetILNS1_3genE0ELNS1_11target_archE4294967295ELNS1_3gpuE0ELNS1_3repE0EEENS1_47radix_sort_onesweep_sort_config_static_selectorELNS0_4arch9wavefront6targetE1EEEvSK_
	.p2align	8
	.type	_ZN7rocprim17ROCPRIM_400000_NS6detail17trampoline_kernelINS0_14default_configENS1_35radix_sort_onesweep_config_selectorIbiEEZZNS1_29radix_sort_onesweep_iterationIS3_Lb1EN6thrust23THRUST_200600_302600_NS6detail15normal_iteratorINS8_10device_ptrIbEEEESD_NSA_INSB_IiEEEESF_jNS0_19identity_decomposerENS1_16block_id_wrapperIjLb1EEEEE10hipError_tT1_PNSt15iterator_traitsISK_E10value_typeET2_T3_PNSL_ISQ_E10value_typeET4_T5_PSV_SW_PNS1_23onesweep_lookback_stateEbbT6_jjT7_P12ihipStream_tbENKUlT_T0_SK_SP_E_clISD_SD_SF_SF_EEDaS13_S14_SK_SP_EUlS13_E_NS1_11comp_targetILNS1_3genE0ELNS1_11target_archE4294967295ELNS1_3gpuE0ELNS1_3repE0EEENS1_47radix_sort_onesweep_sort_config_static_selectorELNS0_4arch9wavefront6targetE1EEEvSK_,@function
_ZN7rocprim17ROCPRIM_400000_NS6detail17trampoline_kernelINS0_14default_configENS1_35radix_sort_onesweep_config_selectorIbiEEZZNS1_29radix_sort_onesweep_iterationIS3_Lb1EN6thrust23THRUST_200600_302600_NS6detail15normal_iteratorINS8_10device_ptrIbEEEESD_NSA_INSB_IiEEEESF_jNS0_19identity_decomposerENS1_16block_id_wrapperIjLb1EEEEE10hipError_tT1_PNSt15iterator_traitsISK_E10value_typeET2_T3_PNSL_ISQ_E10value_typeET4_T5_PSV_SW_PNS1_23onesweep_lookback_stateEbbT6_jjT7_P12ihipStream_tbENKUlT_T0_SK_SP_E_clISD_SD_SF_SF_EEDaS13_S14_SK_SP_EUlS13_E_NS1_11comp_targetILNS1_3genE0ELNS1_11target_archE4294967295ELNS1_3gpuE0ELNS1_3repE0EEENS1_47radix_sort_onesweep_sort_config_static_selectorELNS0_4arch9wavefront6targetE1EEEvSK_: ; @_ZN7rocprim17ROCPRIM_400000_NS6detail17trampoline_kernelINS0_14default_configENS1_35radix_sort_onesweep_config_selectorIbiEEZZNS1_29radix_sort_onesweep_iterationIS3_Lb1EN6thrust23THRUST_200600_302600_NS6detail15normal_iteratorINS8_10device_ptrIbEEEESD_NSA_INSB_IiEEEESF_jNS0_19identity_decomposerENS1_16block_id_wrapperIjLb1EEEEE10hipError_tT1_PNSt15iterator_traitsISK_E10value_typeET2_T3_PNSL_ISQ_E10value_typeET4_T5_PSV_SW_PNS1_23onesweep_lookback_stateEbbT6_jjT7_P12ihipStream_tbENKUlT_T0_SK_SP_E_clISD_SD_SF_SF_EEDaS13_S14_SK_SP_EUlS13_E_NS1_11comp_targetILNS1_3genE0ELNS1_11target_archE4294967295ELNS1_3gpuE0ELNS1_3repE0EEENS1_47radix_sort_onesweep_sort_config_static_selectorELNS0_4arch9wavefront6targetE1EEEvSK_
; %bb.0:
	.section	.rodata,"a",@progbits
	.p2align	6, 0x0
	.amdhsa_kernel _ZN7rocprim17ROCPRIM_400000_NS6detail17trampoline_kernelINS0_14default_configENS1_35radix_sort_onesweep_config_selectorIbiEEZZNS1_29radix_sort_onesweep_iterationIS3_Lb1EN6thrust23THRUST_200600_302600_NS6detail15normal_iteratorINS8_10device_ptrIbEEEESD_NSA_INSB_IiEEEESF_jNS0_19identity_decomposerENS1_16block_id_wrapperIjLb1EEEEE10hipError_tT1_PNSt15iterator_traitsISK_E10value_typeET2_T3_PNSL_ISQ_E10value_typeET4_T5_PSV_SW_PNS1_23onesweep_lookback_stateEbbT6_jjT7_P12ihipStream_tbENKUlT_T0_SK_SP_E_clISD_SD_SF_SF_EEDaS13_S14_SK_SP_EUlS13_E_NS1_11comp_targetILNS1_3genE0ELNS1_11target_archE4294967295ELNS1_3gpuE0ELNS1_3repE0EEENS1_47radix_sort_onesweep_sort_config_static_selectorELNS0_4arch9wavefront6targetE1EEEvSK_
		.amdhsa_group_segment_fixed_size 0
		.amdhsa_private_segment_fixed_size 0
		.amdhsa_kernarg_size 88
		.amdhsa_user_sgpr_count 2
		.amdhsa_user_sgpr_dispatch_ptr 0
		.amdhsa_user_sgpr_queue_ptr 0
		.amdhsa_user_sgpr_kernarg_segment_ptr 1
		.amdhsa_user_sgpr_dispatch_id 0
		.amdhsa_user_sgpr_kernarg_preload_length 0
		.amdhsa_user_sgpr_kernarg_preload_offset 0
		.amdhsa_user_sgpr_private_segment_size 0
		.amdhsa_uses_dynamic_stack 0
		.amdhsa_enable_private_segment 0
		.amdhsa_system_sgpr_workgroup_id_x 1
		.amdhsa_system_sgpr_workgroup_id_y 0
		.amdhsa_system_sgpr_workgroup_id_z 0
		.amdhsa_system_sgpr_workgroup_info 0
		.amdhsa_system_vgpr_workitem_id 0
		.amdhsa_next_free_vgpr 1
		.amdhsa_next_free_sgpr 0
		.amdhsa_accum_offset 4
		.amdhsa_reserve_vcc 0
		.amdhsa_float_round_mode_32 0
		.amdhsa_float_round_mode_16_64 0
		.amdhsa_float_denorm_mode_32 3
		.amdhsa_float_denorm_mode_16_64 3
		.amdhsa_dx10_clamp 1
		.amdhsa_ieee_mode 1
		.amdhsa_fp16_overflow 0
		.amdhsa_tg_split 0
		.amdhsa_exception_fp_ieee_invalid_op 0
		.amdhsa_exception_fp_denorm_src 0
		.amdhsa_exception_fp_ieee_div_zero 0
		.amdhsa_exception_fp_ieee_overflow 0
		.amdhsa_exception_fp_ieee_underflow 0
		.amdhsa_exception_fp_ieee_inexact 0
		.amdhsa_exception_int_div_zero 0
	.end_amdhsa_kernel
	.section	.text._ZN7rocprim17ROCPRIM_400000_NS6detail17trampoline_kernelINS0_14default_configENS1_35radix_sort_onesweep_config_selectorIbiEEZZNS1_29radix_sort_onesweep_iterationIS3_Lb1EN6thrust23THRUST_200600_302600_NS6detail15normal_iteratorINS8_10device_ptrIbEEEESD_NSA_INSB_IiEEEESF_jNS0_19identity_decomposerENS1_16block_id_wrapperIjLb1EEEEE10hipError_tT1_PNSt15iterator_traitsISK_E10value_typeET2_T3_PNSL_ISQ_E10value_typeET4_T5_PSV_SW_PNS1_23onesweep_lookback_stateEbbT6_jjT7_P12ihipStream_tbENKUlT_T0_SK_SP_E_clISD_SD_SF_SF_EEDaS13_S14_SK_SP_EUlS13_E_NS1_11comp_targetILNS1_3genE0ELNS1_11target_archE4294967295ELNS1_3gpuE0ELNS1_3repE0EEENS1_47radix_sort_onesweep_sort_config_static_selectorELNS0_4arch9wavefront6targetE1EEEvSK_,"axG",@progbits,_ZN7rocprim17ROCPRIM_400000_NS6detail17trampoline_kernelINS0_14default_configENS1_35radix_sort_onesweep_config_selectorIbiEEZZNS1_29radix_sort_onesweep_iterationIS3_Lb1EN6thrust23THRUST_200600_302600_NS6detail15normal_iteratorINS8_10device_ptrIbEEEESD_NSA_INSB_IiEEEESF_jNS0_19identity_decomposerENS1_16block_id_wrapperIjLb1EEEEE10hipError_tT1_PNSt15iterator_traitsISK_E10value_typeET2_T3_PNSL_ISQ_E10value_typeET4_T5_PSV_SW_PNS1_23onesweep_lookback_stateEbbT6_jjT7_P12ihipStream_tbENKUlT_T0_SK_SP_E_clISD_SD_SF_SF_EEDaS13_S14_SK_SP_EUlS13_E_NS1_11comp_targetILNS1_3genE0ELNS1_11target_archE4294967295ELNS1_3gpuE0ELNS1_3repE0EEENS1_47radix_sort_onesweep_sort_config_static_selectorELNS0_4arch9wavefront6targetE1EEEvSK_,comdat
.Lfunc_end2218:
	.size	_ZN7rocprim17ROCPRIM_400000_NS6detail17trampoline_kernelINS0_14default_configENS1_35radix_sort_onesweep_config_selectorIbiEEZZNS1_29radix_sort_onesweep_iterationIS3_Lb1EN6thrust23THRUST_200600_302600_NS6detail15normal_iteratorINS8_10device_ptrIbEEEESD_NSA_INSB_IiEEEESF_jNS0_19identity_decomposerENS1_16block_id_wrapperIjLb1EEEEE10hipError_tT1_PNSt15iterator_traitsISK_E10value_typeET2_T3_PNSL_ISQ_E10value_typeET4_T5_PSV_SW_PNS1_23onesweep_lookback_stateEbbT6_jjT7_P12ihipStream_tbENKUlT_T0_SK_SP_E_clISD_SD_SF_SF_EEDaS13_S14_SK_SP_EUlS13_E_NS1_11comp_targetILNS1_3genE0ELNS1_11target_archE4294967295ELNS1_3gpuE0ELNS1_3repE0EEENS1_47radix_sort_onesweep_sort_config_static_selectorELNS0_4arch9wavefront6targetE1EEEvSK_, .Lfunc_end2218-_ZN7rocprim17ROCPRIM_400000_NS6detail17trampoline_kernelINS0_14default_configENS1_35radix_sort_onesweep_config_selectorIbiEEZZNS1_29radix_sort_onesweep_iterationIS3_Lb1EN6thrust23THRUST_200600_302600_NS6detail15normal_iteratorINS8_10device_ptrIbEEEESD_NSA_INSB_IiEEEESF_jNS0_19identity_decomposerENS1_16block_id_wrapperIjLb1EEEEE10hipError_tT1_PNSt15iterator_traitsISK_E10value_typeET2_T3_PNSL_ISQ_E10value_typeET4_T5_PSV_SW_PNS1_23onesweep_lookback_stateEbbT6_jjT7_P12ihipStream_tbENKUlT_T0_SK_SP_E_clISD_SD_SF_SF_EEDaS13_S14_SK_SP_EUlS13_E_NS1_11comp_targetILNS1_3genE0ELNS1_11target_archE4294967295ELNS1_3gpuE0ELNS1_3repE0EEENS1_47radix_sort_onesweep_sort_config_static_selectorELNS0_4arch9wavefront6targetE1EEEvSK_
                                        ; -- End function
	.set _ZN7rocprim17ROCPRIM_400000_NS6detail17trampoline_kernelINS0_14default_configENS1_35radix_sort_onesweep_config_selectorIbiEEZZNS1_29radix_sort_onesweep_iterationIS3_Lb1EN6thrust23THRUST_200600_302600_NS6detail15normal_iteratorINS8_10device_ptrIbEEEESD_NSA_INSB_IiEEEESF_jNS0_19identity_decomposerENS1_16block_id_wrapperIjLb1EEEEE10hipError_tT1_PNSt15iterator_traitsISK_E10value_typeET2_T3_PNSL_ISQ_E10value_typeET4_T5_PSV_SW_PNS1_23onesweep_lookback_stateEbbT6_jjT7_P12ihipStream_tbENKUlT_T0_SK_SP_E_clISD_SD_SF_SF_EEDaS13_S14_SK_SP_EUlS13_E_NS1_11comp_targetILNS1_3genE0ELNS1_11target_archE4294967295ELNS1_3gpuE0ELNS1_3repE0EEENS1_47radix_sort_onesweep_sort_config_static_selectorELNS0_4arch9wavefront6targetE1EEEvSK_.num_vgpr, 0
	.set _ZN7rocprim17ROCPRIM_400000_NS6detail17trampoline_kernelINS0_14default_configENS1_35radix_sort_onesweep_config_selectorIbiEEZZNS1_29radix_sort_onesweep_iterationIS3_Lb1EN6thrust23THRUST_200600_302600_NS6detail15normal_iteratorINS8_10device_ptrIbEEEESD_NSA_INSB_IiEEEESF_jNS0_19identity_decomposerENS1_16block_id_wrapperIjLb1EEEEE10hipError_tT1_PNSt15iterator_traitsISK_E10value_typeET2_T3_PNSL_ISQ_E10value_typeET4_T5_PSV_SW_PNS1_23onesweep_lookback_stateEbbT6_jjT7_P12ihipStream_tbENKUlT_T0_SK_SP_E_clISD_SD_SF_SF_EEDaS13_S14_SK_SP_EUlS13_E_NS1_11comp_targetILNS1_3genE0ELNS1_11target_archE4294967295ELNS1_3gpuE0ELNS1_3repE0EEENS1_47radix_sort_onesweep_sort_config_static_selectorELNS0_4arch9wavefront6targetE1EEEvSK_.num_agpr, 0
	.set _ZN7rocprim17ROCPRIM_400000_NS6detail17trampoline_kernelINS0_14default_configENS1_35radix_sort_onesweep_config_selectorIbiEEZZNS1_29radix_sort_onesweep_iterationIS3_Lb1EN6thrust23THRUST_200600_302600_NS6detail15normal_iteratorINS8_10device_ptrIbEEEESD_NSA_INSB_IiEEEESF_jNS0_19identity_decomposerENS1_16block_id_wrapperIjLb1EEEEE10hipError_tT1_PNSt15iterator_traitsISK_E10value_typeET2_T3_PNSL_ISQ_E10value_typeET4_T5_PSV_SW_PNS1_23onesweep_lookback_stateEbbT6_jjT7_P12ihipStream_tbENKUlT_T0_SK_SP_E_clISD_SD_SF_SF_EEDaS13_S14_SK_SP_EUlS13_E_NS1_11comp_targetILNS1_3genE0ELNS1_11target_archE4294967295ELNS1_3gpuE0ELNS1_3repE0EEENS1_47radix_sort_onesweep_sort_config_static_selectorELNS0_4arch9wavefront6targetE1EEEvSK_.numbered_sgpr, 0
	.set _ZN7rocprim17ROCPRIM_400000_NS6detail17trampoline_kernelINS0_14default_configENS1_35radix_sort_onesweep_config_selectorIbiEEZZNS1_29radix_sort_onesweep_iterationIS3_Lb1EN6thrust23THRUST_200600_302600_NS6detail15normal_iteratorINS8_10device_ptrIbEEEESD_NSA_INSB_IiEEEESF_jNS0_19identity_decomposerENS1_16block_id_wrapperIjLb1EEEEE10hipError_tT1_PNSt15iterator_traitsISK_E10value_typeET2_T3_PNSL_ISQ_E10value_typeET4_T5_PSV_SW_PNS1_23onesweep_lookback_stateEbbT6_jjT7_P12ihipStream_tbENKUlT_T0_SK_SP_E_clISD_SD_SF_SF_EEDaS13_S14_SK_SP_EUlS13_E_NS1_11comp_targetILNS1_3genE0ELNS1_11target_archE4294967295ELNS1_3gpuE0ELNS1_3repE0EEENS1_47radix_sort_onesweep_sort_config_static_selectorELNS0_4arch9wavefront6targetE1EEEvSK_.num_named_barrier, 0
	.set _ZN7rocprim17ROCPRIM_400000_NS6detail17trampoline_kernelINS0_14default_configENS1_35radix_sort_onesweep_config_selectorIbiEEZZNS1_29radix_sort_onesweep_iterationIS3_Lb1EN6thrust23THRUST_200600_302600_NS6detail15normal_iteratorINS8_10device_ptrIbEEEESD_NSA_INSB_IiEEEESF_jNS0_19identity_decomposerENS1_16block_id_wrapperIjLb1EEEEE10hipError_tT1_PNSt15iterator_traitsISK_E10value_typeET2_T3_PNSL_ISQ_E10value_typeET4_T5_PSV_SW_PNS1_23onesweep_lookback_stateEbbT6_jjT7_P12ihipStream_tbENKUlT_T0_SK_SP_E_clISD_SD_SF_SF_EEDaS13_S14_SK_SP_EUlS13_E_NS1_11comp_targetILNS1_3genE0ELNS1_11target_archE4294967295ELNS1_3gpuE0ELNS1_3repE0EEENS1_47radix_sort_onesweep_sort_config_static_selectorELNS0_4arch9wavefront6targetE1EEEvSK_.private_seg_size, 0
	.set _ZN7rocprim17ROCPRIM_400000_NS6detail17trampoline_kernelINS0_14default_configENS1_35radix_sort_onesweep_config_selectorIbiEEZZNS1_29radix_sort_onesweep_iterationIS3_Lb1EN6thrust23THRUST_200600_302600_NS6detail15normal_iteratorINS8_10device_ptrIbEEEESD_NSA_INSB_IiEEEESF_jNS0_19identity_decomposerENS1_16block_id_wrapperIjLb1EEEEE10hipError_tT1_PNSt15iterator_traitsISK_E10value_typeET2_T3_PNSL_ISQ_E10value_typeET4_T5_PSV_SW_PNS1_23onesweep_lookback_stateEbbT6_jjT7_P12ihipStream_tbENKUlT_T0_SK_SP_E_clISD_SD_SF_SF_EEDaS13_S14_SK_SP_EUlS13_E_NS1_11comp_targetILNS1_3genE0ELNS1_11target_archE4294967295ELNS1_3gpuE0ELNS1_3repE0EEENS1_47radix_sort_onesweep_sort_config_static_selectorELNS0_4arch9wavefront6targetE1EEEvSK_.uses_vcc, 0
	.set _ZN7rocprim17ROCPRIM_400000_NS6detail17trampoline_kernelINS0_14default_configENS1_35radix_sort_onesweep_config_selectorIbiEEZZNS1_29radix_sort_onesweep_iterationIS3_Lb1EN6thrust23THRUST_200600_302600_NS6detail15normal_iteratorINS8_10device_ptrIbEEEESD_NSA_INSB_IiEEEESF_jNS0_19identity_decomposerENS1_16block_id_wrapperIjLb1EEEEE10hipError_tT1_PNSt15iterator_traitsISK_E10value_typeET2_T3_PNSL_ISQ_E10value_typeET4_T5_PSV_SW_PNS1_23onesweep_lookback_stateEbbT6_jjT7_P12ihipStream_tbENKUlT_T0_SK_SP_E_clISD_SD_SF_SF_EEDaS13_S14_SK_SP_EUlS13_E_NS1_11comp_targetILNS1_3genE0ELNS1_11target_archE4294967295ELNS1_3gpuE0ELNS1_3repE0EEENS1_47radix_sort_onesweep_sort_config_static_selectorELNS0_4arch9wavefront6targetE1EEEvSK_.uses_flat_scratch, 0
	.set _ZN7rocprim17ROCPRIM_400000_NS6detail17trampoline_kernelINS0_14default_configENS1_35radix_sort_onesweep_config_selectorIbiEEZZNS1_29radix_sort_onesweep_iterationIS3_Lb1EN6thrust23THRUST_200600_302600_NS6detail15normal_iteratorINS8_10device_ptrIbEEEESD_NSA_INSB_IiEEEESF_jNS0_19identity_decomposerENS1_16block_id_wrapperIjLb1EEEEE10hipError_tT1_PNSt15iterator_traitsISK_E10value_typeET2_T3_PNSL_ISQ_E10value_typeET4_T5_PSV_SW_PNS1_23onesweep_lookback_stateEbbT6_jjT7_P12ihipStream_tbENKUlT_T0_SK_SP_E_clISD_SD_SF_SF_EEDaS13_S14_SK_SP_EUlS13_E_NS1_11comp_targetILNS1_3genE0ELNS1_11target_archE4294967295ELNS1_3gpuE0ELNS1_3repE0EEENS1_47radix_sort_onesweep_sort_config_static_selectorELNS0_4arch9wavefront6targetE1EEEvSK_.has_dyn_sized_stack, 0
	.set _ZN7rocprim17ROCPRIM_400000_NS6detail17trampoline_kernelINS0_14default_configENS1_35radix_sort_onesweep_config_selectorIbiEEZZNS1_29radix_sort_onesweep_iterationIS3_Lb1EN6thrust23THRUST_200600_302600_NS6detail15normal_iteratorINS8_10device_ptrIbEEEESD_NSA_INSB_IiEEEESF_jNS0_19identity_decomposerENS1_16block_id_wrapperIjLb1EEEEE10hipError_tT1_PNSt15iterator_traitsISK_E10value_typeET2_T3_PNSL_ISQ_E10value_typeET4_T5_PSV_SW_PNS1_23onesweep_lookback_stateEbbT6_jjT7_P12ihipStream_tbENKUlT_T0_SK_SP_E_clISD_SD_SF_SF_EEDaS13_S14_SK_SP_EUlS13_E_NS1_11comp_targetILNS1_3genE0ELNS1_11target_archE4294967295ELNS1_3gpuE0ELNS1_3repE0EEENS1_47radix_sort_onesweep_sort_config_static_selectorELNS0_4arch9wavefront6targetE1EEEvSK_.has_recursion, 0
	.set _ZN7rocprim17ROCPRIM_400000_NS6detail17trampoline_kernelINS0_14default_configENS1_35radix_sort_onesweep_config_selectorIbiEEZZNS1_29radix_sort_onesweep_iterationIS3_Lb1EN6thrust23THRUST_200600_302600_NS6detail15normal_iteratorINS8_10device_ptrIbEEEESD_NSA_INSB_IiEEEESF_jNS0_19identity_decomposerENS1_16block_id_wrapperIjLb1EEEEE10hipError_tT1_PNSt15iterator_traitsISK_E10value_typeET2_T3_PNSL_ISQ_E10value_typeET4_T5_PSV_SW_PNS1_23onesweep_lookback_stateEbbT6_jjT7_P12ihipStream_tbENKUlT_T0_SK_SP_E_clISD_SD_SF_SF_EEDaS13_S14_SK_SP_EUlS13_E_NS1_11comp_targetILNS1_3genE0ELNS1_11target_archE4294967295ELNS1_3gpuE0ELNS1_3repE0EEENS1_47radix_sort_onesweep_sort_config_static_selectorELNS0_4arch9wavefront6targetE1EEEvSK_.has_indirect_call, 0
	.section	.AMDGPU.csdata,"",@progbits
; Kernel info:
; codeLenInByte = 0
; TotalNumSgprs: 6
; NumVgprs: 0
; NumAgprs: 0
; TotalNumVgprs: 0
; ScratchSize: 0
; MemoryBound: 0
; FloatMode: 240
; IeeeMode: 1
; LDSByteSize: 0 bytes/workgroup (compile time only)
; SGPRBlocks: 0
; VGPRBlocks: 0
; NumSGPRsForWavesPerEU: 6
; NumVGPRsForWavesPerEU: 1
; AccumOffset: 4
; Occupancy: 8
; WaveLimiterHint : 0
; COMPUTE_PGM_RSRC2:SCRATCH_EN: 0
; COMPUTE_PGM_RSRC2:USER_SGPR: 2
; COMPUTE_PGM_RSRC2:TRAP_HANDLER: 0
; COMPUTE_PGM_RSRC2:TGID_X_EN: 1
; COMPUTE_PGM_RSRC2:TGID_Y_EN: 0
; COMPUTE_PGM_RSRC2:TGID_Z_EN: 0
; COMPUTE_PGM_RSRC2:TIDIG_COMP_CNT: 0
; COMPUTE_PGM_RSRC3_GFX90A:ACCUM_OFFSET: 0
; COMPUTE_PGM_RSRC3_GFX90A:TG_SPLIT: 0
	.section	.text._ZN7rocprim17ROCPRIM_400000_NS6detail17trampoline_kernelINS0_14default_configENS1_35radix_sort_onesweep_config_selectorIbiEEZZNS1_29radix_sort_onesweep_iterationIS3_Lb1EN6thrust23THRUST_200600_302600_NS6detail15normal_iteratorINS8_10device_ptrIbEEEESD_NSA_INSB_IiEEEESF_jNS0_19identity_decomposerENS1_16block_id_wrapperIjLb1EEEEE10hipError_tT1_PNSt15iterator_traitsISK_E10value_typeET2_T3_PNSL_ISQ_E10value_typeET4_T5_PSV_SW_PNS1_23onesweep_lookback_stateEbbT6_jjT7_P12ihipStream_tbENKUlT_T0_SK_SP_E_clISD_SD_SF_SF_EEDaS13_S14_SK_SP_EUlS13_E_NS1_11comp_targetILNS1_3genE6ELNS1_11target_archE950ELNS1_3gpuE13ELNS1_3repE0EEENS1_47radix_sort_onesweep_sort_config_static_selectorELNS0_4arch9wavefront6targetE1EEEvSK_,"axG",@progbits,_ZN7rocprim17ROCPRIM_400000_NS6detail17trampoline_kernelINS0_14default_configENS1_35radix_sort_onesweep_config_selectorIbiEEZZNS1_29radix_sort_onesweep_iterationIS3_Lb1EN6thrust23THRUST_200600_302600_NS6detail15normal_iteratorINS8_10device_ptrIbEEEESD_NSA_INSB_IiEEEESF_jNS0_19identity_decomposerENS1_16block_id_wrapperIjLb1EEEEE10hipError_tT1_PNSt15iterator_traitsISK_E10value_typeET2_T3_PNSL_ISQ_E10value_typeET4_T5_PSV_SW_PNS1_23onesweep_lookback_stateEbbT6_jjT7_P12ihipStream_tbENKUlT_T0_SK_SP_E_clISD_SD_SF_SF_EEDaS13_S14_SK_SP_EUlS13_E_NS1_11comp_targetILNS1_3genE6ELNS1_11target_archE950ELNS1_3gpuE13ELNS1_3repE0EEENS1_47radix_sort_onesweep_sort_config_static_selectorELNS0_4arch9wavefront6targetE1EEEvSK_,comdat
	.protected	_ZN7rocprim17ROCPRIM_400000_NS6detail17trampoline_kernelINS0_14default_configENS1_35radix_sort_onesweep_config_selectorIbiEEZZNS1_29radix_sort_onesweep_iterationIS3_Lb1EN6thrust23THRUST_200600_302600_NS6detail15normal_iteratorINS8_10device_ptrIbEEEESD_NSA_INSB_IiEEEESF_jNS0_19identity_decomposerENS1_16block_id_wrapperIjLb1EEEEE10hipError_tT1_PNSt15iterator_traitsISK_E10value_typeET2_T3_PNSL_ISQ_E10value_typeET4_T5_PSV_SW_PNS1_23onesweep_lookback_stateEbbT6_jjT7_P12ihipStream_tbENKUlT_T0_SK_SP_E_clISD_SD_SF_SF_EEDaS13_S14_SK_SP_EUlS13_E_NS1_11comp_targetILNS1_3genE6ELNS1_11target_archE950ELNS1_3gpuE13ELNS1_3repE0EEENS1_47radix_sort_onesweep_sort_config_static_selectorELNS0_4arch9wavefront6targetE1EEEvSK_ ; -- Begin function _ZN7rocprim17ROCPRIM_400000_NS6detail17trampoline_kernelINS0_14default_configENS1_35radix_sort_onesweep_config_selectorIbiEEZZNS1_29radix_sort_onesweep_iterationIS3_Lb1EN6thrust23THRUST_200600_302600_NS6detail15normal_iteratorINS8_10device_ptrIbEEEESD_NSA_INSB_IiEEEESF_jNS0_19identity_decomposerENS1_16block_id_wrapperIjLb1EEEEE10hipError_tT1_PNSt15iterator_traitsISK_E10value_typeET2_T3_PNSL_ISQ_E10value_typeET4_T5_PSV_SW_PNS1_23onesweep_lookback_stateEbbT6_jjT7_P12ihipStream_tbENKUlT_T0_SK_SP_E_clISD_SD_SF_SF_EEDaS13_S14_SK_SP_EUlS13_E_NS1_11comp_targetILNS1_3genE6ELNS1_11target_archE950ELNS1_3gpuE13ELNS1_3repE0EEENS1_47radix_sort_onesweep_sort_config_static_selectorELNS0_4arch9wavefront6targetE1EEEvSK_
	.globl	_ZN7rocprim17ROCPRIM_400000_NS6detail17trampoline_kernelINS0_14default_configENS1_35radix_sort_onesweep_config_selectorIbiEEZZNS1_29radix_sort_onesweep_iterationIS3_Lb1EN6thrust23THRUST_200600_302600_NS6detail15normal_iteratorINS8_10device_ptrIbEEEESD_NSA_INSB_IiEEEESF_jNS0_19identity_decomposerENS1_16block_id_wrapperIjLb1EEEEE10hipError_tT1_PNSt15iterator_traitsISK_E10value_typeET2_T3_PNSL_ISQ_E10value_typeET4_T5_PSV_SW_PNS1_23onesweep_lookback_stateEbbT6_jjT7_P12ihipStream_tbENKUlT_T0_SK_SP_E_clISD_SD_SF_SF_EEDaS13_S14_SK_SP_EUlS13_E_NS1_11comp_targetILNS1_3genE6ELNS1_11target_archE950ELNS1_3gpuE13ELNS1_3repE0EEENS1_47radix_sort_onesweep_sort_config_static_selectorELNS0_4arch9wavefront6targetE1EEEvSK_
	.p2align	8
	.type	_ZN7rocprim17ROCPRIM_400000_NS6detail17trampoline_kernelINS0_14default_configENS1_35radix_sort_onesweep_config_selectorIbiEEZZNS1_29radix_sort_onesweep_iterationIS3_Lb1EN6thrust23THRUST_200600_302600_NS6detail15normal_iteratorINS8_10device_ptrIbEEEESD_NSA_INSB_IiEEEESF_jNS0_19identity_decomposerENS1_16block_id_wrapperIjLb1EEEEE10hipError_tT1_PNSt15iterator_traitsISK_E10value_typeET2_T3_PNSL_ISQ_E10value_typeET4_T5_PSV_SW_PNS1_23onesweep_lookback_stateEbbT6_jjT7_P12ihipStream_tbENKUlT_T0_SK_SP_E_clISD_SD_SF_SF_EEDaS13_S14_SK_SP_EUlS13_E_NS1_11comp_targetILNS1_3genE6ELNS1_11target_archE950ELNS1_3gpuE13ELNS1_3repE0EEENS1_47radix_sort_onesweep_sort_config_static_selectorELNS0_4arch9wavefront6targetE1EEEvSK_,@function
_ZN7rocprim17ROCPRIM_400000_NS6detail17trampoline_kernelINS0_14default_configENS1_35radix_sort_onesweep_config_selectorIbiEEZZNS1_29radix_sort_onesweep_iterationIS3_Lb1EN6thrust23THRUST_200600_302600_NS6detail15normal_iteratorINS8_10device_ptrIbEEEESD_NSA_INSB_IiEEEESF_jNS0_19identity_decomposerENS1_16block_id_wrapperIjLb1EEEEE10hipError_tT1_PNSt15iterator_traitsISK_E10value_typeET2_T3_PNSL_ISQ_E10value_typeET4_T5_PSV_SW_PNS1_23onesweep_lookback_stateEbbT6_jjT7_P12ihipStream_tbENKUlT_T0_SK_SP_E_clISD_SD_SF_SF_EEDaS13_S14_SK_SP_EUlS13_E_NS1_11comp_targetILNS1_3genE6ELNS1_11target_archE950ELNS1_3gpuE13ELNS1_3repE0EEENS1_47radix_sort_onesweep_sort_config_static_selectorELNS0_4arch9wavefront6targetE1EEEvSK_: ; @_ZN7rocprim17ROCPRIM_400000_NS6detail17trampoline_kernelINS0_14default_configENS1_35radix_sort_onesweep_config_selectorIbiEEZZNS1_29radix_sort_onesweep_iterationIS3_Lb1EN6thrust23THRUST_200600_302600_NS6detail15normal_iteratorINS8_10device_ptrIbEEEESD_NSA_INSB_IiEEEESF_jNS0_19identity_decomposerENS1_16block_id_wrapperIjLb1EEEEE10hipError_tT1_PNSt15iterator_traitsISK_E10value_typeET2_T3_PNSL_ISQ_E10value_typeET4_T5_PSV_SW_PNS1_23onesweep_lookback_stateEbbT6_jjT7_P12ihipStream_tbENKUlT_T0_SK_SP_E_clISD_SD_SF_SF_EEDaS13_S14_SK_SP_EUlS13_E_NS1_11comp_targetILNS1_3genE6ELNS1_11target_archE950ELNS1_3gpuE13ELNS1_3repE0EEENS1_47radix_sort_onesweep_sort_config_static_selectorELNS0_4arch9wavefront6targetE1EEEvSK_
; %bb.0:
	s_load_dwordx4 s[80:83], s[0:1], 0x28
	s_load_dwordx2 s[88:89], s[0:1], 0x38
	s_load_dwordx4 s[84:87], s[0:1], 0x44
	v_and_b32_e32 v16, 0x3ff, v0
	v_cmp_eq_u32_e64 s[66:67], 0, v16
	s_and_saveexec_b64 s[4:5], s[66:67]
	s_cbranch_execz .LBB2219_4
; %bb.1:
	s_mov_b64 s[8:9], exec
	v_mbcnt_lo_u32_b32 v1, s8, 0
	v_mbcnt_hi_u32_b32 v1, s9, v1
	v_cmp_eq_u32_e32 vcc, 0, v1
                                        ; implicit-def: $vgpr2
	s_and_saveexec_b64 s[6:7], vcc
	s_cbranch_execz .LBB2219_3
; %bb.2:
	s_load_dwordx2 s[10:11], s[0:1], 0x50
	s_bcnt1_i32_b64 s3, s[8:9]
	v_mov_b32_e32 v2, 0
	v_mov_b32_e32 v3, s3
	s_waitcnt lgkmcnt(0)
	global_atomic_add v2, v2, v3, s[10:11] sc0
.LBB2219_3:
	s_or_b64 exec, exec, s[6:7]
	s_waitcnt vmcnt(0)
	v_readfirstlane_b32 s3, v2
	v_mov_b32_e32 v2, 0
	s_nop 0
	v_add_u32_e32 v1, s3, v1
	ds_write_b32 v2, v1 offset:20544
.LBB2219_4:
	s_or_b64 exec, exec, s[4:5]
	v_mov_b32_e32 v3, 0
	s_load_dwordx8 s[72:79], s[0:1], 0x0
	s_load_dword s3, s[0:1], 0x20
	s_waitcnt lgkmcnt(0)
	s_barrier
	ds_read_b32 v1, v3 offset:20544
	s_mov_b64 s[4:5], -1
	v_mbcnt_lo_u32_b32 v12, -1, 0
	s_waitcnt lgkmcnt(0)
	s_barrier
	v_cmp_le_u32_e32 vcc, s86, v1
	v_readfirstlane_b32 s33, v1
	v_lshlrev_b32_e32 v1, 4, v16
	s_cbranch_vccz .LBB2219_198
; %bb.5:
	s_lshl_b32 s4, s86, 14
	s_sub_i32 s3, s3, s4
	s_lshl_b32 s86, s33, 14
	s_add_u32 s4, s72, s86
	v_mbcnt_hi_u32_b32 v10, -1, v12
	s_addc_u32 s5, s73, 0
	v_and_b32_e32 v2, 63, v10
	v_and_b32_e32 v4, 0x3c00, v1
	v_lshl_add_u64 v[6:7], s[4:5], 0, v[2:3]
	v_mov_b32_e32 v5, v3
	v_or_b32_e32 v25, v2, v4
	s_mov_b32 s87, 0
	v_lshl_add_u64 v[6:7], v[6:7], 0, v[4:5]
	v_cmp_gt_u32_e32 vcc, s3, v25
	v_mov_b32_e32 v23, v3
	v_mov_b32_e32 v8, v3
	;; [unrolled: 1-line block ×13, first 2 shown]
	s_and_saveexec_b64 s[4:5], vcc
	s_cbranch_execz .LBB2219_7
; %bb.6:
	global_load_ubyte v23, v[6:7], off
	v_mov_b32_e32 v5, v3
	v_mov_b32_e32 v8, v3
	;; [unrolled: 1-line block ×13, first 2 shown]
.LBB2219_7:
	s_or_b64 exec, exec, s[4:5]
	v_or_b32_e32 v24, 64, v25
	v_cmp_gt_u32_e64 s[4:5], s3, v24
	v_mov_b32_e32 v24, v3
	s_and_saveexec_b64 s[6:7], s[4:5]
	s_cbranch_execz .LBB2219_9
; %bb.8:
	global_load_ubyte v24, v[6:7], off offset:64
.LBB2219_9:
	s_or_b64 exec, exec, s[6:7]
	v_or_b32_e32 v26, 0x80, v25
	v_cmp_gt_u32_e64 s[6:7], s3, v26
	s_and_saveexec_b64 s[8:9], s[6:7]
	s_cbranch_execz .LBB2219_11
; %bb.10:
	global_load_ubyte v3, v[6:7], off offset:128
.LBB2219_11:
	s_or_b64 exec, exec, s[8:9]
	v_or_b32_e32 v26, 0xc0, v25
	v_cmp_gt_u32_e64 s[8:9], s3, v26
	;; [unrolled: 8-line block ×14, first 2 shown]
	s_and_saveexec_b64 s[36:37], s[34:35]
	s_cbranch_execz .LBB2219_37
; %bb.36:
	global_load_ubyte v22, v[6:7], off offset:960
.LBB2219_37:
	s_or_b64 exec, exec, s[36:37]
	s_load_dword s90, s[0:1], 0x58
	s_load_dword s38, s[0:1], 0x64
	s_waitcnt vmcnt(0)
	v_and_b32_e32 v6, 1, v23
	v_cmp_eq_u32_e64 s[36:37], 1, v6
	s_xor_b64 s[68:69], s[36:37], -1
	s_add_u32 s36, s0, 0x58
	s_addc_u32 s37, s1, 0
	s_waitcnt lgkmcnt(0)
	s_lshr_b32 s70, s38, 16
	s_cmp_lt_u32 s2, s90
	s_cselect_b32 s38, 12, 18
	s_add_u32 s36, s36, s38
	s_addc_u32 s37, s37, 0
	v_mov_b32_e32 v7, 0
	global_load_ushort v23, v7, s[36:37]
	v_and_b32_e32 v3, 1, v3
	v_and_b32_e32 v5, 1, v5
	v_cmp_eq_u32_e64 s[62:63], 1, v3
	v_cndmask_b32_e64 v3, 0, 1, s[68:69]
	v_and_b32_e32 v6, 1, v24
	v_cmp_eq_u32_e64 s[60:61], 1, v5
	v_lshrrev_b32_e32 v5, s84, v3
	s_lshl_b32 s68, -1, s85
	v_and_b32_e32 v8, 1, v8
	v_and_b32_e32 v9, 1, v9
	v_cmp_eq_u32_e64 s[64:65], 1, v6
	v_bitop3_b32 v6, v5, s68, v5 bitop3:0x30
	v_cmp_eq_u32_e64 s[58:59], 1, v8
	v_cmp_eq_u32_e64 s[56:57], 1, v9
	s_not_b32 s91, s68
	v_cmp_ne_u32_e64 s[68:69], 0, v6
	v_lshl_add_u64 v[8:9], v[6:7], 0, -1
	v_and_b32_e32 v13, 1, v13
	v_bfe_u32 v25, v0, 10, 10
	v_bfe_u32 v26, v0, 20, 10
	v_xor_b32_e32 v8, s68, v8
	v_and_b32_e32 v14, 1, v14
	v_and_b32_e32 v15, 1, v15
	;; [unrolled: 1-line block ×3, first 2 shown]
	v_cmp_eq_u32_e64 s[52:53], 1, v13
	v_mad_u32_u24 v13, v26, s70, v25
	v_mul_u32_u24_e32 v5, 0x44, v6
	v_xor_b32_e32 v6, s69, v9
	v_and_b32_e32 v8, exec_lo, v8
	v_cmp_eq_u32_e64 s[50:51], 1, v14
	v_cmp_eq_u32_e64 s[48:49], 1, v15
	v_and_b32_e32 v9, exec_hi, v6
	v_mbcnt_lo_u32_b32 v6, v8, 0
	v_mbcnt_hi_u32_b32 v38, v9, v6
	v_and_b32_e32 v24, 1, v11
	v_and_b32_e32 v18, 1, v18
	;; [unrolled: 1-line block ×6, first 2 shown]
	v_cmp_ne_u64_e64 s[68:69], 0, v[8:9]
	v_cmp_eq_u32_e64 s[70:71], 0, v38
	v_mul_u32_u24_e32 v11, 20, v16
	s_movk_i32 s92, 0x44
	v_cmp_eq_u32_e64 s[54:55], 1, v24
	v_cmp_eq_u32_e64 s[46:47], 1, v17
	;; [unrolled: 1-line block ×7, first 2 shown]
	s_and_b64 s[70:71], s[68:69], s[70:71]
	ds_write2_b32 v11, v7, v7 offset0:16 offset1:17
	ds_write2_b32 v11, v7, v7 offset0:18 offset1:19
	ds_write_b32 v11, v7 offset:80
	s_waitcnt lgkmcnt(0)
	s_barrier
	s_waitcnt vmcnt(0)
	; wave barrier
	v_mad_u64_u32 v[14:15], s[94:95], v13, v23, v[16:17]
	v_lshrrev_b32_e32 v6, 4, v14
	v_and_b32_e32 v48, 0xffffffc, v6
	v_add_u32_e32 v34, v48, v5
	s_and_saveexec_b64 s[68:69], s[70:71]
; %bb.38:
	v_bcnt_u32_b32 v5, v8, 0
	v_bcnt_u32_b32 v5, v9, v5
	ds_write_b32 v34, v5 offset:64
; %bb.39:
	s_or_b64 exec, exec, s[68:69]
	s_xor_b64 s[64:65], s[64:65], -1
	v_cndmask_b32_e64 v40, 0, 1, s[64:65]
	v_lshrrev_b32_e32 v5, s84, v40
	v_and_b32_e32 v6, s91, v5
	v_mul_u32_u24_e32 v8, 0x44, v6
	v_mad_u32_u24 v5, v6, s92, v48
	v_cmp_ne_u32_e64 s[64:65], 0, v6
	v_lshl_add_u64 v[6:7], v[6:7], 0, -1
	s_nop 0
	v_xor_b32_e32 v6, s64, v6
	; wave barrier
	ds_read_b32 v5, v5 offset:64
	v_xor_b32_e32 v7, s65, v7
	v_and_b32_e32 v6, exec_lo, v6
	v_and_b32_e32 v7, exec_hi, v7
	v_mbcnt_lo_u32_b32 v9, v6, 0
	v_mbcnt_hi_u32_b32 v13, v7, v9
	v_cmp_eq_u32_e64 s[64:65], 0, v13
	v_cmp_ne_u64_e64 s[68:69], 0, v[6:7]
	s_and_b64 s[68:69], s[68:69], s[64:65]
	v_add_u32_e32 v36, v48, v8
	; wave barrier
	s_and_saveexec_b64 s[64:65], s[68:69]
	s_cbranch_execz .LBB2219_41
; %bb.40:
	v_bcnt_u32_b32 v6, v6, 0
	v_bcnt_u32_b32 v6, v7, v6
	s_waitcnt lgkmcnt(0)
	v_add_u32_e32 v6, v5, v6
	ds_write_b32 v36, v6 offset:64
.LBB2219_41:
	s_or_b64 exec, exec, s[64:65]
	s_xor_b64 s[62:63], s[62:63], -1
	v_cndmask_b32_e64 v47, 0, 1, s[62:63]
	v_lshrrev_b32_e32 v6, s84, v47
	v_and_b32_e32 v6, s91, v6
	s_movk_i32 s68, 0x44
	v_mad_u32_u24 v7, v6, s68, v48
	; wave barrier
	ds_read_b32 v14, v7 offset:64
	v_mov_b32_e32 v7, 0
	v_cmp_ne_u32_e64 s[62:63], 0, v6
	v_lshl_add_u64 v[8:9], v[6:7], 0, -1
	v_mul_u32_u24_e32 v17, 0x44, v6
	v_xor_b32_e32 v8, s62, v8
	v_xor_b32_e32 v6, s63, v9
	v_and_b32_e32 v8, exec_lo, v8
	v_and_b32_e32 v9, exec_hi, v6
	v_mbcnt_lo_u32_b32 v6, v8, 0
	v_mbcnt_hi_u32_b32 v15, v9, v6
	v_cmp_eq_u32_e64 s[62:63], 0, v15
	v_cmp_ne_u64_e64 s[64:65], 0, v[8:9]
	s_and_b64 s[64:65], s[64:65], s[62:63]
	v_add_u32_e32 v49, v48, v17
	; wave barrier
	s_and_saveexec_b64 s[62:63], s[64:65]
	s_cbranch_execz .LBB2219_43
; %bb.42:
	v_bcnt_u32_b32 v6, v8, 0
	v_bcnt_u32_b32 v6, v9, v6
	s_waitcnt lgkmcnt(0)
	v_add_u32_e32 v6, v14, v6
	ds_write_b32 v49, v6 offset:64
.LBB2219_43:
	s_or_b64 exec, exec, s[62:63]
	s_xor_b64 s[60:61], s[60:61], -1
	v_cndmask_b32_e64 v54, 0, 1, s[60:61]
	v_lshrrev_b32_e32 v6, s84, v54
	v_and_b32_e32 v6, s91, v6
	v_mul_u32_u24_e32 v8, 0x44, v6
	v_mad_u32_u24 v9, v6, s68, v48
	v_cmp_ne_u32_e64 s[60:61], 0, v6
	v_lshl_add_u64 v[6:7], v[6:7], 0, -1
	s_nop 0
	v_xor_b32_e32 v6, s60, v6
	; wave barrier
	ds_read_b32 v17, v9 offset:64
	v_xor_b32_e32 v7, s61, v7
	v_and_b32_e32 v6, exec_lo, v6
	v_and_b32_e32 v7, exec_hi, v7
	v_mbcnt_lo_u32_b32 v9, v6, 0
	v_mbcnt_hi_u32_b32 v18, v7, v9
	v_cmp_eq_u32_e64 s[60:61], 0, v18
	v_cmp_ne_u64_e64 s[62:63], 0, v[6:7]
	s_and_b64 s[62:63], s[62:63], s[60:61]
	v_add_u32_e32 v50, v48, v8
	; wave barrier
	s_and_saveexec_b64 s[60:61], s[62:63]
	s_cbranch_execz .LBB2219_45
; %bb.44:
	v_bcnt_u32_b32 v6, v6, 0
	v_bcnt_u32_b32 v6, v7, v6
	s_waitcnt lgkmcnt(0)
	v_add_u32_e32 v6, v17, v6
	ds_write_b32 v50, v6 offset:64
.LBB2219_45:
	s_or_b64 exec, exec, s[60:61]
	s_xor_b64 s[58:59], s[58:59], -1
	v_cndmask_b32_e64 v64, 0, 1, s[58:59]
	v_lshrrev_b32_e32 v6, s84, v64
	v_and_b32_e32 v6, s91, v6
	s_movk_i32 s62, 0x44
	v_mad_u32_u24 v7, v6, s62, v48
	; wave barrier
	ds_read_b32 v19, v7 offset:64
	v_mov_b32_e32 v7, 0
	v_cmp_ne_u32_e64 s[58:59], 0, v6
	v_lshl_add_u64 v[8:9], v[6:7], 0, -1
	v_mul_u32_u24_e32 v21, 0x44, v6
	v_xor_b32_e32 v8, s58, v8
	v_xor_b32_e32 v6, s59, v9
	v_and_b32_e32 v8, exec_lo, v8
	v_and_b32_e32 v9, exec_hi, v6
	v_mbcnt_lo_u32_b32 v6, v8, 0
	v_mbcnt_hi_u32_b32 v20, v9, v6
	v_cmp_eq_u32_e64 s[58:59], 0, v20
	v_cmp_ne_u64_e64 s[60:61], 0, v[8:9]
	s_and_b64 s[60:61], s[60:61], s[58:59]
	v_add_u32_e32 v51, v48, v21
	; wave barrier
	s_and_saveexec_b64 s[58:59], s[60:61]
	s_cbranch_execz .LBB2219_47
; %bb.46:
	v_bcnt_u32_b32 v6, v8, 0
	v_bcnt_u32_b32 v6, v9, v6
	s_waitcnt lgkmcnt(0)
	v_add_u32_e32 v6, v19, v6
	ds_write_b32 v51, v6 offset:64
.LBB2219_47:
	s_or_b64 exec, exec, s[58:59]
	s_xor_b64 s[56:57], s[56:57], -1
	v_cndmask_b32_e64 v80, 0, 1, s[56:57]
	v_lshrrev_b32_e32 v6, s84, v80
	v_and_b32_e32 v6, s91, v6
	v_mul_u32_u24_e32 v8, 0x44, v6
	v_mad_u32_u24 v9, v6, s62, v48
	v_cmp_ne_u32_e64 s[56:57], 0, v6
	v_lshl_add_u64 v[6:7], v[6:7], 0, -1
	s_nop 0
	v_xor_b32_e32 v6, s56, v6
	; wave barrier
	ds_read_b32 v21, v9 offset:64
	v_xor_b32_e32 v7, s57, v7
	v_and_b32_e32 v6, exec_lo, v6
	v_and_b32_e32 v7, exec_hi, v7
	v_mbcnt_lo_u32_b32 v9, v6, 0
	v_mbcnt_hi_u32_b32 v22, v7, v9
	v_cmp_eq_u32_e64 s[56:57], 0, v22
	v_cmp_ne_u64_e64 s[58:59], 0, v[6:7]
	s_and_b64 s[58:59], s[58:59], s[56:57]
	v_add_u32_e32 v52, v48, v8
	; wave barrier
	s_and_saveexec_b64 s[56:57], s[58:59]
	s_cbranch_execz .LBB2219_49
; %bb.48:
	v_bcnt_u32_b32 v6, v6, 0
	v_bcnt_u32_b32 v6, v7, v6
	s_waitcnt lgkmcnt(0)
	v_add_u32_e32 v6, v21, v6
	ds_write_b32 v52, v6 offset:64
.LBB2219_49:
	s_or_b64 exec, exec, s[56:57]
	s_xor_b64 s[54:55], s[54:55], -1
	v_cndmask_b32_e64 v81, 0, 1, s[54:55]
	v_lshrrev_b32_e32 v6, s84, v81
	v_and_b32_e32 v6, s91, v6
	s_movk_i32 s58, 0x44
	v_mad_u32_u24 v7, v6, s58, v48
	; wave barrier
	ds_read_b32 v23, v7 offset:64
	v_mov_b32_e32 v7, 0
	v_cmp_ne_u32_e64 s[54:55], 0, v6
	v_lshl_add_u64 v[8:9], v[6:7], 0, -1
	v_mul_u32_u24_e32 v25, 0x44, v6
	v_xor_b32_e32 v8, s54, v8
	v_xor_b32_e32 v6, s55, v9
	v_and_b32_e32 v8, exec_lo, v8
	v_and_b32_e32 v9, exec_hi, v6
	v_mbcnt_lo_u32_b32 v6, v8, 0
	v_mbcnt_hi_u32_b32 v24, v9, v6
	v_cmp_eq_u32_e64 s[54:55], 0, v24
	v_cmp_ne_u64_e64 s[56:57], 0, v[8:9]
	s_and_b64 s[56:57], s[56:57], s[54:55]
	v_add_u32_e32 v53, v48, v25
	; wave barrier
	s_and_saveexec_b64 s[54:55], s[56:57]
	s_cbranch_execz .LBB2219_51
; %bb.50:
	v_bcnt_u32_b32 v6, v8, 0
	v_bcnt_u32_b32 v6, v9, v6
	s_waitcnt lgkmcnt(0)
	v_add_u32_e32 v6, v23, v6
	ds_write_b32 v53, v6 offset:64
.LBB2219_51:
	s_or_b64 exec, exec, s[54:55]
	s_xor_b64 s[52:53], s[52:53], -1
	v_cndmask_b32_e64 v82, 0, 1, s[52:53]
	v_lshrrev_b32_e32 v6, s84, v82
	v_and_b32_e32 v6, s91, v6
	v_mul_u32_u24_e32 v8, 0x44, v6
	v_mad_u32_u24 v9, v6, s58, v48
	v_cmp_ne_u32_e64 s[52:53], 0, v6
	v_lshl_add_u64 v[6:7], v[6:7], 0, -1
	s_nop 0
	v_xor_b32_e32 v6, s52, v6
	; wave barrier
	ds_read_b32 v25, v9 offset:64
	v_xor_b32_e32 v7, s53, v7
	v_and_b32_e32 v6, exec_lo, v6
	v_and_b32_e32 v7, exec_hi, v7
	v_mbcnt_lo_u32_b32 v9, v6, 0
	v_mbcnt_hi_u32_b32 v26, v7, v9
	v_cmp_eq_u32_e64 s[52:53], 0, v26
	v_cmp_ne_u64_e64 s[54:55], 0, v[6:7]
	s_and_b64 s[54:55], s[54:55], s[52:53]
	v_add_u32_e32 v55, v48, v8
	; wave barrier
	s_and_saveexec_b64 s[52:53], s[54:55]
	s_cbranch_execz .LBB2219_53
; %bb.52:
	v_bcnt_u32_b32 v6, v6, 0
	v_bcnt_u32_b32 v6, v7, v6
	s_waitcnt lgkmcnt(0)
	v_add_u32_e32 v6, v25, v6
	ds_write_b32 v55, v6 offset:64
.LBB2219_53:
	s_or_b64 exec, exec, s[52:53]
	s_xor_b64 s[50:51], s[50:51], -1
	v_cndmask_b32_e64 v83, 0, 1, s[50:51]
	v_lshrrev_b32_e32 v6, s84, v83
	v_and_b32_e32 v6, s91, v6
	s_movk_i32 s54, 0x44
	v_mad_u32_u24 v7, v6, s54, v48
	; wave barrier
	ds_read_b32 v27, v7 offset:64
	v_mov_b32_e32 v7, 0
	v_cmp_ne_u32_e64 s[50:51], 0, v6
	v_lshl_add_u64 v[8:9], v[6:7], 0, -1
	v_mul_u32_u24_e32 v29, 0x44, v6
	v_xor_b32_e32 v8, s50, v8
	v_xor_b32_e32 v6, s51, v9
	v_and_b32_e32 v8, exec_lo, v8
	v_and_b32_e32 v9, exec_hi, v6
	v_mbcnt_lo_u32_b32 v6, v8, 0
	v_mbcnt_hi_u32_b32 v28, v9, v6
	v_cmp_eq_u32_e64 s[50:51], 0, v28
	v_cmp_ne_u64_e64 s[52:53], 0, v[8:9]
	s_and_b64 s[52:53], s[52:53], s[50:51]
	v_add_u32_e32 v56, v48, v29
	; wave barrier
	s_and_saveexec_b64 s[50:51], s[52:53]
	s_cbranch_execz .LBB2219_55
; %bb.54:
	v_bcnt_u32_b32 v6, v8, 0
	v_bcnt_u32_b32 v6, v9, v6
	s_waitcnt lgkmcnt(0)
	v_add_u32_e32 v6, v27, v6
	ds_write_b32 v56, v6 offset:64
.LBB2219_55:
	s_or_b64 exec, exec, s[50:51]
	s_xor_b64 s[48:49], s[48:49], -1
	v_cndmask_b32_e64 v84, 0, 1, s[48:49]
	v_lshrrev_b32_e32 v6, s84, v84
	v_and_b32_e32 v6, s91, v6
	v_mul_u32_u24_e32 v8, 0x44, v6
	v_mad_u32_u24 v9, v6, s54, v48
	v_cmp_ne_u32_e64 s[48:49], 0, v6
	v_lshl_add_u64 v[6:7], v[6:7], 0, -1
	s_nop 0
	v_xor_b32_e32 v6, s48, v6
	; wave barrier
	ds_read_b32 v29, v9 offset:64
	v_xor_b32_e32 v7, s49, v7
	v_and_b32_e32 v6, exec_lo, v6
	v_and_b32_e32 v7, exec_hi, v7
	v_mbcnt_lo_u32_b32 v9, v6, 0
	v_mbcnt_hi_u32_b32 v30, v7, v9
	v_cmp_eq_u32_e64 s[48:49], 0, v30
	v_cmp_ne_u64_e64 s[50:51], 0, v[6:7]
	s_and_b64 s[50:51], s[50:51], s[48:49]
	v_add_u32_e32 v57, v48, v8
	; wave barrier
	s_and_saveexec_b64 s[48:49], s[50:51]
	s_cbranch_execz .LBB2219_57
; %bb.56:
	v_bcnt_u32_b32 v6, v6, 0
	v_bcnt_u32_b32 v6, v7, v6
	s_waitcnt lgkmcnt(0)
	v_add_u32_e32 v6, v29, v6
	ds_write_b32 v57, v6 offset:64
.LBB2219_57:
	s_or_b64 exec, exec, s[48:49]
	s_xor_b64 s[46:47], s[46:47], -1
	v_cndmask_b32_e64 v85, 0, 1, s[46:47]
	v_lshrrev_b32_e32 v6, s84, v85
	v_and_b32_e32 v6, s91, v6
	s_movk_i32 s50, 0x44
	v_mad_u32_u24 v7, v6, s50, v48
	; wave barrier
	ds_read_b32 v31, v7 offset:64
	v_mov_b32_e32 v7, 0
	v_cmp_ne_u32_e64 s[46:47], 0, v6
	v_lshl_add_u64 v[8:9], v[6:7], 0, -1
	v_mul_u32_u24_e32 v33, 0x44, v6
	v_xor_b32_e32 v8, s46, v8
	v_xor_b32_e32 v6, s47, v9
	v_and_b32_e32 v8, exec_lo, v8
	v_and_b32_e32 v9, exec_hi, v6
	v_mbcnt_lo_u32_b32 v6, v8, 0
	v_mbcnt_hi_u32_b32 v32, v9, v6
	v_cmp_eq_u32_e64 s[46:47], 0, v32
	v_cmp_ne_u64_e64 s[48:49], 0, v[8:9]
	s_and_b64 s[48:49], s[48:49], s[46:47]
	v_add_u32_e32 v58, v48, v33
	; wave barrier
	s_and_saveexec_b64 s[46:47], s[48:49]
	s_cbranch_execz .LBB2219_59
; %bb.58:
	v_bcnt_u32_b32 v6, v8, 0
	v_bcnt_u32_b32 v6, v9, v6
	s_waitcnt lgkmcnt(0)
	v_add_u32_e32 v6, v31, v6
	ds_write_b32 v58, v6 offset:64
.LBB2219_59:
	s_or_b64 exec, exec, s[46:47]
	s_xor_b64 s[44:45], s[44:45], -1
	v_cndmask_b32_e64 v86, 0, 1, s[44:45]
	v_lshrrev_b32_e32 v6, s84, v86
	v_and_b32_e32 v6, s91, v6
	v_mul_u32_u24_e32 v8, 0x44, v6
	v_mad_u32_u24 v9, v6, s50, v48
	v_cmp_ne_u32_e64 s[44:45], 0, v6
	v_lshl_add_u64 v[6:7], v[6:7], 0, -1
	s_nop 0
	v_xor_b32_e32 v6, s44, v6
	; wave barrier
	ds_read_b32 v33, v9 offset:64
	v_xor_b32_e32 v7, s45, v7
	v_and_b32_e32 v6, exec_lo, v6
	v_and_b32_e32 v7, exec_hi, v7
	v_mbcnt_lo_u32_b32 v9, v6, 0
	v_mbcnt_hi_u32_b32 v35, v7, v9
	v_cmp_eq_u32_e64 s[44:45], 0, v35
	v_cmp_ne_u64_e64 s[46:47], 0, v[6:7]
	s_and_b64 s[46:47], s[46:47], s[44:45]
	v_add_u32_e32 v59, v48, v8
	; wave barrier
	s_and_saveexec_b64 s[44:45], s[46:47]
	s_cbranch_execz .LBB2219_61
; %bb.60:
	v_bcnt_u32_b32 v6, v6, 0
	v_bcnt_u32_b32 v6, v7, v6
	s_waitcnt lgkmcnt(0)
	v_add_u32_e32 v6, v33, v6
	ds_write_b32 v59, v6 offset:64
.LBB2219_61:
	s_or_b64 exec, exec, s[44:45]
	s_xor_b64 s[42:43], s[42:43], -1
	v_cndmask_b32_e64 v87, 0, 1, s[42:43]
	v_lshrrev_b32_e32 v6, s84, v87
	v_and_b32_e32 v6, s91, v6
	s_movk_i32 s46, 0x44
	v_mad_u32_u24 v7, v6, s46, v48
	; wave barrier
	ds_read_b32 v37, v7 offset:64
	v_mov_b32_e32 v7, 0
	v_cmp_ne_u32_e64 s[42:43], 0, v6
	v_lshl_add_u64 v[8:9], v[6:7], 0, -1
	v_mul_u32_u24_e32 v41, 0x44, v6
	v_xor_b32_e32 v8, s42, v8
	v_xor_b32_e32 v6, s43, v9
	v_and_b32_e32 v8, exec_lo, v8
	v_and_b32_e32 v9, exec_hi, v6
	v_mbcnt_lo_u32_b32 v6, v8, 0
	v_mbcnt_hi_u32_b32 v39, v9, v6
	v_cmp_eq_u32_e64 s[42:43], 0, v39
	v_cmp_ne_u64_e64 s[44:45], 0, v[8:9]
	s_and_b64 s[44:45], s[44:45], s[42:43]
	v_add_u32_e32 v60, v48, v41
	; wave barrier
	s_and_saveexec_b64 s[42:43], s[44:45]
	s_cbranch_execz .LBB2219_63
; %bb.62:
	v_bcnt_u32_b32 v6, v8, 0
	v_bcnt_u32_b32 v6, v9, v6
	s_waitcnt lgkmcnt(0)
	v_add_u32_e32 v6, v37, v6
	ds_write_b32 v60, v6 offset:64
.LBB2219_63:
	s_or_b64 exec, exec, s[42:43]
	s_xor_b64 s[40:41], s[40:41], -1
	v_cndmask_b32_e64 v88, 0, 1, s[40:41]
	v_lshrrev_b32_e32 v6, s84, v88
	v_and_b32_e32 v6, s91, v6
	v_mul_u32_u24_e32 v8, 0x44, v6
	v_mad_u32_u24 v9, v6, s46, v48
	v_cmp_ne_u32_e64 s[40:41], 0, v6
	v_lshl_add_u64 v[6:7], v[6:7], 0, -1
	s_nop 0
	v_xor_b32_e32 v6, s40, v6
	; wave barrier
	ds_read_b32 v41, v9 offset:64
	v_xor_b32_e32 v7, s41, v7
	v_and_b32_e32 v6, exec_lo, v6
	v_and_b32_e32 v7, exec_hi, v7
	v_mbcnt_lo_u32_b32 v9, v6, 0
	v_mbcnt_hi_u32_b32 v42, v7, v9
	v_cmp_eq_u32_e64 s[40:41], 0, v42
	v_cmp_ne_u64_e64 s[42:43], 0, v[6:7]
	s_and_b64 s[42:43], s[42:43], s[40:41]
	v_add_u32_e32 v61, v48, v8
	; wave barrier
	s_and_saveexec_b64 s[40:41], s[42:43]
	s_cbranch_execz .LBB2219_65
; %bb.64:
	v_bcnt_u32_b32 v6, v6, 0
	v_bcnt_u32_b32 v6, v7, v6
	s_waitcnt lgkmcnt(0)
	v_add_u32_e32 v6, v41, v6
	ds_write_b32 v61, v6 offset:64
.LBB2219_65:
	s_or_b64 exec, exec, s[40:41]
	s_xor_b64 s[38:39], s[38:39], -1
	v_cndmask_b32_e64 v89, 0, 1, s[38:39]
	v_lshrrev_b32_e32 v6, s84, v89
	v_and_b32_e32 v6, s91, v6
	s_movk_i32 s42, 0x44
	v_mad_u32_u24 v7, v6, s42, v48
	; wave barrier
	ds_read_b32 v43, v7 offset:64
	v_mov_b32_e32 v7, 0
	v_cmp_ne_u32_e64 s[38:39], 0, v6
	v_lshl_add_u64 v[8:9], v[6:7], 0, -1
	v_mul_u32_u24_e32 v45, 0x44, v6
	v_xor_b32_e32 v8, s38, v8
	v_xor_b32_e32 v6, s39, v9
	v_and_b32_e32 v8, exec_lo, v8
	v_and_b32_e32 v9, exec_hi, v6
	v_mbcnt_lo_u32_b32 v6, v8, 0
	v_mbcnt_hi_u32_b32 v44, v9, v6
	v_cmp_eq_u32_e64 s[38:39], 0, v44
	v_cmp_ne_u64_e64 s[40:41], 0, v[8:9]
	s_and_b64 s[40:41], s[40:41], s[38:39]
	v_add_u32_e32 v62, v48, v45
	; wave barrier
	s_and_saveexec_b64 s[38:39], s[40:41]
	s_cbranch_execz .LBB2219_67
; %bb.66:
	v_bcnt_u32_b32 v6, v8, 0
	v_bcnt_u32_b32 v6, v9, v6
	s_waitcnt lgkmcnt(0)
	v_add_u32_e32 v6, v43, v6
	ds_write_b32 v62, v6 offset:64
.LBB2219_67:
	s_or_b64 exec, exec, s[38:39]
	s_xor_b64 s[36:37], s[36:37], -1
	v_cndmask_b32_e64 v90, 0, 1, s[36:37]
	v_lshrrev_b32_e32 v6, s84, v90
	v_and_b32_e32 v6, s91, v6
	v_mul_u32_u24_e32 v8, 0x44, v6
	v_mad_u32_u24 v9, v6, s42, v48
	v_cmp_ne_u32_e64 s[36:37], 0, v6
	v_lshl_add_u64 v[6:7], v[6:7], 0, -1
	s_nop 0
	v_xor_b32_e32 v6, s36, v6
	; wave barrier
	ds_read_b32 v45, v9 offset:64
	v_xor_b32_e32 v7, s37, v7
	v_and_b32_e32 v6, exec_lo, v6
	v_and_b32_e32 v7, exec_hi, v7
	v_mbcnt_lo_u32_b32 v9, v6, 0
	v_mbcnt_hi_u32_b32 v46, v7, v9
	v_cmp_eq_u32_e64 s[36:37], 0, v46
	v_cmp_ne_u64_e64 s[38:39], 0, v[6:7]
	s_and_b64 s[38:39], s[38:39], s[36:37]
	v_add_u32_e32 v63, v48, v8
	; wave barrier
	s_and_saveexec_b64 s[36:37], s[38:39]
	s_cbranch_execz .LBB2219_69
; %bb.68:
	v_bcnt_u32_b32 v6, v6, 0
	v_bcnt_u32_b32 v6, v7, v6
	s_waitcnt lgkmcnt(0)
	v_add_u32_e32 v6, v45, v6
	ds_write_b32 v63, v6 offset:64
.LBB2219_69:
	s_or_b64 exec, exec, s[36:37]
	; wave barrier
	s_waitcnt lgkmcnt(0)
	s_barrier
	ds_read2_b32 v[8:9], v11 offset0:16 offset1:17
	ds_read2_b32 v[6:7], v11 offset0:18 offset1:19
	ds_read_b32 v48, v11 offset:80
	v_cmp_lt_u32_e64 s[44:45], 31, v10
	s_waitcnt lgkmcnt(1)
	v_add3_u32 v65, v9, v8, v6
	s_waitcnt lgkmcnt(0)
	v_add3_u32 v48, v65, v7, v48
	v_and_b32_e32 v65, 15, v10
	v_cmp_eq_u32_e64 s[36:37], 0, v65
	v_mov_b32_dpp v66, v48 row_shr:1 row_mask:0xf bank_mask:0xf
	v_cmp_lt_u32_e64 s[38:39], 1, v65
	v_cndmask_b32_e64 v66, v66, 0, s[36:37]
	v_add_u32_e32 v48, v66, v48
	v_cmp_lt_u32_e64 s[40:41], 3, v65
	v_cmp_lt_u32_e64 s[42:43], 7, v65
	v_mov_b32_dpp v66, v48 row_shr:2 row_mask:0xf bank_mask:0xf
	v_cndmask_b32_e64 v66, 0, v66, s[38:39]
	v_add_u32_e32 v48, v48, v66
	s_nop 1
	v_mov_b32_dpp v66, v48 row_shr:4 row_mask:0xf bank_mask:0xf
	v_cndmask_b32_e64 v66, 0, v66, s[40:41]
	v_add_u32_e32 v48, v48, v66
	s_nop 1
	v_mov_b32_dpp v66, v48 row_shr:8 row_mask:0xf bank_mask:0xf
	v_cndmask_b32_e64 v65, 0, v66, s[42:43]
	v_add_u32_e32 v48, v48, v65
	v_bfe_i32 v66, v10, 4, 1
	s_nop 0
	v_mov_b32_dpp v65, v48 row_bcast:15 row_mask:0xf bank_mask:0xf
	v_and_b32_e32 v65, v66, v65
	v_add_u32_e32 v48, v48, v65
	v_and_b32_e32 v66, 63, v16
	s_nop 0
	v_mov_b32_dpp v65, v48 row_bcast:31 row_mask:0xf bank_mask:0xf
	v_cndmask_b32_e64 v65, 0, v65, s[44:45]
	v_add_u32_e32 v48, v48, v65
	v_lshrrev_b32_e32 v65, 6, v16
	v_cmp_eq_u32_e64 s[44:45], 63, v66
	s_and_saveexec_b64 s[46:47], s[44:45]
; %bb.70:
	v_lshlrev_b32_e32 v66, 2, v65
	ds_write_b32 v66, v48
; %bb.71:
	s_or_b64 exec, exec, s[46:47]
	v_cmp_gt_u32_e64 s[44:45], 16, v16
	s_waitcnt lgkmcnt(0)
	s_barrier
	s_and_saveexec_b64 s[46:47], s[44:45]
	s_cbranch_execz .LBB2219_73
; %bb.72:
	v_lshlrev_b32_e32 v66, 2, v16
	ds_read_b32 v67, v66
	s_waitcnt lgkmcnt(0)
	s_nop 0
	v_mov_b32_dpp v68, v67 row_shr:1 row_mask:0xf bank_mask:0xf
	v_cndmask_b32_e64 v68, v68, 0, s[36:37]
	v_add_u32_e32 v67, v68, v67
	s_nop 1
	v_mov_b32_dpp v68, v67 row_shr:2 row_mask:0xf bank_mask:0xf
	v_cndmask_b32_e64 v68, 0, v68, s[38:39]
	v_add_u32_e32 v67, v67, v68
	s_nop 1
	v_mov_b32_dpp v68, v67 row_shr:4 row_mask:0xf bank_mask:0xf
	v_cndmask_b32_e64 v68, 0, v68, s[40:41]
	v_add_u32_e32 v67, v67, v68
	s_nop 1
	v_mov_b32_dpp v68, v67 row_shr:8 row_mask:0xf bank_mask:0xf
	v_cndmask_b32_e64 v68, 0, v68, s[42:43]
	v_add_u32_e32 v67, v67, v68
	ds_write_b32 v66, v67
.LBB2219_73:
	s_or_b64 exec, exec, s[46:47]
	v_cmp_lt_u32_e64 s[36:37], 63, v16
	v_mov_b32_e32 v66, 0
	s_waitcnt lgkmcnt(0)
	s_barrier
	s_and_saveexec_b64 s[38:39], s[36:37]
; %bb.74:
	v_lshl_add_u32 v65, v65, 2, -4
	ds_read_b32 v66, v65
; %bb.75:
	s_or_b64 exec, exec, s[38:39]
	v_subrev_co_u32_e64 v65, s[36:37], 1, v10
	v_and_b32_e32 v67, 64, v10
	v_cmp_lt_i32_e64 s[38:39], v65, v67
	s_waitcnt lgkmcnt(0)
	v_add_u32_e32 v48, v66, v48
	s_movk_i32 s40, 0x100
	v_cndmask_b32_e64 v10, v65, v10, s[38:39]
	v_lshlrev_b32_e32 v10, 2, v10
	ds_bpermute_b32 v10, v10, v48
	v_cmp_gt_u32_e64 s[38:39], s40, v16
	s_waitcnt lgkmcnt(0)
	v_cndmask_b32_e64 v10, v10, v66, s[36:37]
	v_cndmask_b32_e64 v10, v10, 0, s[66:67]
	v_add_u32_e32 v8, v10, v8
	v_add_u32_e32 v9, v8, v9
	;; [unrolled: 1-line block ×4, first 2 shown]
	ds_write2_b32 v11, v10, v8 offset0:16 offset1:17
	ds_write2_b32 v11, v9, v6 offset0:18 offset1:19
	ds_write_b32 v11, v7 offset:80
	s_waitcnt lgkmcnt(0)
	s_barrier
	ds_read_b32 v6, v34 offset:64
	ds_read_b32 v48, v36 offset:64
	;; [unrolled: 1-line block ×16, first 2 shown]
	s_movk_i32 s36, 0xff
	v_cmp_lt_u32_e64 s[36:37], s36, v16
                                        ; implicit-def: $vgpr34
                                        ; implicit-def: $vgpr36
	s_and_saveexec_b64 s[42:43], s[38:39]
	s_cbranch_execz .LBB2219_79
; %bb.76:
	v_mul_u32_u24_e32 v7, 0x44, v16
	ds_read_b32 v34, v7 offset:64
	v_add_u32_e32 v8, 1, v16
	v_cmp_ne_u32_e64 s[40:41], s40, v8
	v_mov_b32_e32 v7, 0x4000
	s_and_saveexec_b64 s[44:45], s[40:41]
; %bb.77:
	v_mul_u32_u24_e32 v7, 0x44, v8
	ds_read_b32 v7, v7 offset:64
; %bb.78:
	s_or_b64 exec, exec, s[44:45]
	s_waitcnt lgkmcnt(0)
	v_sub_u32_e32 v36, v7, v34
.LBB2219_79:
	s_or_b64 exec, exec, s[42:43]
	s_waitcnt lgkmcnt(14)
	v_add_u32_e32 v38, v6, v38
	v_add3_u32 v65, v13, v5, v48
	s_waitcnt lgkmcnt(13)
	v_add3_u32 v66, v15, v14, v49
	s_waitcnt lgkmcnt(12)
	;; [unrolled: 2-line block ×14, first 2 shown]
	v_add3_u32 v79, v46, v45, v63
	s_barrier
	ds_write_b8 v38, v3 offset:1024
	ds_write_b8 v65, v40 offset:1024
	;; [unrolled: 1-line block ×16, first 2 shown]
	v_mov_b32_e32 v7, 0
	v_lshlrev_b32_e32 v40, 2, v16
	s_and_saveexec_b64 s[40:41], s[38:39]
	s_cbranch_execz .LBB2219_89
; %bb.80:
	v_lshl_add_u32 v6, s33, 8, v16
	v_lshl_add_u64 v[8:9], v[6:7], 2, s[88:89]
	v_or_b32_e32 v3, 2.0, v36
	global_store_dword v[8:9], v3, off sc1
	s_mov_b64 s[42:43], 0
	s_brev_b32 s48, -4
	s_mov_b32 s49, s33
	v_mov_b32_e32 v3, 0
                                        ; implicit-def: $sgpr38_sgpr39
	s_branch .LBB2219_83
.LBB2219_81:                            ;   in Loop: Header=BB2219_83 Depth=1
	s_or_b64 exec, exec, s[46:47]
.LBB2219_82:                            ;   in Loop: Header=BB2219_83 Depth=1
	s_or_b64 exec, exec, s[44:45]
	v_and_b32_e32 v10, 0x3fffffff, v6
	v_add_u32_e32 v3, v10, v3
	v_cmp_gt_i32_e64 s[38:39], -2.0, v6
	s_and_b64 s[44:45], exec, s[38:39]
	s_or_b64 s[42:43], s[44:45], s[42:43]
	s_andn2_b64 exec, exec, s[42:43]
	s_cbranch_execz .LBB2219_88
.LBB2219_83:                            ; =>This Loop Header: Depth=1
                                        ;     Child Loop BB2219_86 Depth 2
	s_or_b64 s[38:39], s[38:39], exec
	s_cmp_eq_u32 s49, 0
	s_cbranch_scc1 .LBB2219_87
; %bb.84:                               ;   in Loop: Header=BB2219_83 Depth=1
	s_add_i32 s49, s49, -1
	v_lshl_or_b32 v6, s49, 8, v16
	v_lshl_add_u64 v[10:11], v[6:7], 2, s[88:89]
	global_load_dword v6, v[10:11], off sc1
	s_waitcnt vmcnt(0)
	v_cmp_gt_u32_e64 s[38:39], 2.0, v6
	s_and_saveexec_b64 s[44:45], s[38:39]
	s_cbranch_execz .LBB2219_82
; %bb.85:                               ;   in Loop: Header=BB2219_83 Depth=1
	s_mov_b64 s[46:47], 0
.LBB2219_86:                            ;   Parent Loop BB2219_83 Depth=1
                                        ; =>  This Inner Loop Header: Depth=2
	global_load_dword v6, v[10:11], off sc1
	s_waitcnt vmcnt(0)
	v_cmp_lt_u32_e64 s[38:39], s48, v6
	s_or_b64 s[46:47], s[38:39], s[46:47]
	s_andn2_b64 exec, exec, s[46:47]
	s_cbranch_execnz .LBB2219_86
	s_branch .LBB2219_81
.LBB2219_87:                            ;   in Loop: Header=BB2219_83 Depth=1
                                        ; implicit-def: $sgpr49
	s_and_b64 s[44:45], exec, s[38:39]
	s_or_b64 s[42:43], s[44:45], s[42:43]
	s_andn2_b64 exec, exec, s[42:43]
	s_cbranch_execnz .LBB2219_83
.LBB2219_88:
	s_or_b64 exec, exec, s[42:43]
	v_add_u32_e32 v6, v3, v36
	v_or_b32_e32 v6, 0x80000000, v6
	global_store_dword v[8:9], v6, off sc1
	global_load_dword v6, v40, s[80:81]
	v_sub_u32_e32 v3, v3, v34
	s_waitcnt vmcnt(0)
	v_add_u32_e32 v3, v3, v6
	ds_write_b32 v40, v3
.LBB2219_89:
	s_or_b64 exec, exec, s[40:41]
	v_cmp_gt_u32_e64 s[38:39], s3, v16
	s_waitcnt lgkmcnt(0)
	s_barrier
	s_and_saveexec_b64 s[40:41], s[38:39]
	s_cbranch_execz .LBB2219_91
; %bb.90:
	ds_read_u8 v3, v16 offset:1024
	s_waitcnt lgkmcnt(0)
	v_and_b32_e32 v6, 1, v3
	v_lshrrev_b32_e32 v6, s84, v6
	v_and_b32_e32 v6, s91, v6
	v_lshlrev_b32_e32 v7, 2, v6
	ds_read_b32 v7, v7
	v_xor_b32_e32 v3, 1, v3
	s_waitcnt lgkmcnt(0)
	v_add_u32_e32 v7, v7, v16
	global_store_byte v7, v3, s[74:75]
	scratch_store_dword off, v6, off
.LBB2219_91:
	s_or_b64 exec, exec, s[40:41]
	v_or_b32_e32 v3, 0x400, v16
	v_cmp_gt_u32_e64 s[38:39], s3, v3
	s_and_saveexec_b64 s[40:41], s[38:39]
	s_cbranch_execz .LBB2219_93
; %bb.92:
	ds_read_u8 v6, v16 offset:2048
	s_waitcnt lgkmcnt(0)
	v_and_b32_e32 v7, 1, v6
	v_lshrrev_b32_e32 v7, s84, v7
	v_and_b32_e32 v7, s91, v7
	v_lshlrev_b32_e32 v8, 2, v7
	ds_read_b32 v8, v8
	v_xor_b32_e32 v6, 1, v6
	s_waitcnt lgkmcnt(0)
	v_add_u32_e32 v3, v8, v3
	global_store_byte v3, v6, s[74:75]
	scratch_store_dword off, v7, off offset:4
.LBB2219_93:
	s_or_b64 exec, exec, s[40:41]
	v_or_b32_e32 v3, 0x800, v16
	v_cmp_gt_u32_e64 s[38:39], s3, v3
	s_and_saveexec_b64 s[40:41], s[38:39]
	s_cbranch_execz .LBB2219_95
; %bb.94:
	ds_read_u8 v6, v16 offset:3072
	s_waitcnt lgkmcnt(0)
	v_and_b32_e32 v7, 1, v6
	v_lshrrev_b32_e32 v7, s84, v7
	v_and_b32_e32 v7, s91, v7
	v_lshlrev_b32_e32 v8, 2, v7
	ds_read_b32 v8, v8
	v_xor_b32_e32 v6, 1, v6
	s_waitcnt lgkmcnt(0)
	v_add_u32_e32 v3, v8, v3
	global_store_byte v3, v6, s[74:75]
	scratch_store_dword off, v7, off offset:8
.LBB2219_95:
	;; [unrolled: 19-line block ×15, first 2 shown]
	s_or_b64 exec, exec, s[40:41]
	s_lshl_b64 s[38:39], s[86:87], 2
	s_add_u32 s38, s76, s38
	s_addc_u32 s39, s77, s39
	v_lshlrev_b32_e32 v2, 2, v2
	v_mov_b32_e32 v3, 0
	v_lshl_add_u64 v[6:7], s[38:39], 0, v[2:3]
	v_lshlrev_b32_e32 v2, 2, v4
	v_lshl_add_u64 v[2:3], v[6:7], 0, v[2:3]
                                        ; implicit-def: $vgpr4
	s_and_saveexec_b64 s[38:39], vcc
	s_xor_b64 s[38:39], exec, s[38:39]
	s_cbranch_execz .LBB2219_137
; %bb.122:
	global_load_dword v4, v[2:3], off
	s_or_b64 exec, exec, s[38:39]
                                        ; implicit-def: $vgpr6
	s_and_saveexec_b64 s[38:39], s[4:5]
	s_cbranch_execnz .LBB2219_138
.LBB2219_123:
	s_or_b64 exec, exec, s[38:39]
                                        ; implicit-def: $vgpr7
	s_and_saveexec_b64 s[4:5], s[6:7]
	s_cbranch_execz .LBB2219_139
.LBB2219_124:
	global_load_dword v7, v[2:3], off offset:512
	s_or_b64 exec, exec, s[4:5]
                                        ; implicit-def: $vgpr8
	s_and_saveexec_b64 s[4:5], s[8:9]
	s_cbranch_execnz .LBB2219_140
.LBB2219_125:
	s_or_b64 exec, exec, s[4:5]
                                        ; implicit-def: $vgpr9
	s_and_saveexec_b64 s[4:5], s[10:11]
	s_cbranch_execz .LBB2219_141
.LBB2219_126:
	global_load_dword v9, v[2:3], off offset:1024
	s_or_b64 exec, exec, s[4:5]
                                        ; implicit-def: $vgpr10
	s_and_saveexec_b64 s[4:5], s[12:13]
	s_cbranch_execnz .LBB2219_142
.LBB2219_127:
	s_or_b64 exec, exec, s[4:5]
                                        ; implicit-def: $vgpr11
	s_and_saveexec_b64 s[4:5], s[14:15]
	s_cbranch_execz .LBB2219_143
.LBB2219_128:
	global_load_dword v11, v[2:3], off offset:1536
	s_or_b64 exec, exec, s[4:5]
                                        ; implicit-def: $vgpr47
	s_and_saveexec_b64 s[4:5], s[16:17]
	s_cbranch_execnz .LBB2219_144
.LBB2219_129:
	s_or_b64 exec, exec, s[4:5]
                                        ; implicit-def: $vgpr54
	s_and_saveexec_b64 s[4:5], s[18:19]
	s_cbranch_execz .LBB2219_145
.LBB2219_130:
	global_load_dword v54, v[2:3], off offset:2048
	s_or_b64 exec, exec, s[4:5]
                                        ; implicit-def: $vgpr64
	s_and_saveexec_b64 s[4:5], s[20:21]
	s_cbranch_execnz .LBB2219_146
.LBB2219_131:
	s_or_b64 exec, exec, s[4:5]
                                        ; implicit-def: $vgpr80
	s_and_saveexec_b64 s[4:5], s[22:23]
	s_cbranch_execz .LBB2219_147
.LBB2219_132:
	global_load_dword v80, v[2:3], off offset:2560
	s_or_b64 exec, exec, s[4:5]
                                        ; implicit-def: $vgpr81
	s_and_saveexec_b64 s[4:5], s[24:25]
	s_cbranch_execnz .LBB2219_148
.LBB2219_133:
	s_or_b64 exec, exec, s[4:5]
                                        ; implicit-def: $vgpr82
	s_and_saveexec_b64 s[4:5], s[26:27]
	s_cbranch_execz .LBB2219_149
.LBB2219_134:
	global_load_dword v82, v[2:3], off offset:3072
	s_or_b64 exec, exec, s[4:5]
                                        ; implicit-def: $vgpr83
	s_and_saveexec_b64 s[4:5], s[28:29]
	s_cbranch_execnz .LBB2219_150
.LBB2219_135:
	s_or_b64 exec, exec, s[4:5]
                                        ; implicit-def: $vgpr84
	s_and_saveexec_b64 s[4:5], s[30:31]
	s_cbranch_execz .LBB2219_151
.LBB2219_136:
	global_load_dword v84, v[2:3], off offset:3584
	s_or_b64 exec, exec, s[4:5]
                                        ; implicit-def: $vgpr85
	s_and_saveexec_b64 s[4:5], s[34:35]
	s_cbranch_execnz .LBB2219_152
	s_branch .LBB2219_153
.LBB2219_137:
	s_or_b64 exec, exec, s[38:39]
                                        ; implicit-def: $vgpr6
	s_and_saveexec_b64 s[38:39], s[4:5]
	s_cbranch_execz .LBB2219_123
.LBB2219_138:
	global_load_dword v6, v[2:3], off offset:256
	s_or_b64 exec, exec, s[38:39]
                                        ; implicit-def: $vgpr7
	s_and_saveexec_b64 s[4:5], s[6:7]
	s_cbranch_execnz .LBB2219_124
.LBB2219_139:
	s_or_b64 exec, exec, s[4:5]
                                        ; implicit-def: $vgpr8
	s_and_saveexec_b64 s[4:5], s[8:9]
	s_cbranch_execz .LBB2219_125
.LBB2219_140:
	global_load_dword v8, v[2:3], off offset:768
	s_or_b64 exec, exec, s[4:5]
                                        ; implicit-def: $vgpr9
	s_and_saveexec_b64 s[4:5], s[10:11]
	s_cbranch_execnz .LBB2219_126
.LBB2219_141:
	s_or_b64 exec, exec, s[4:5]
                                        ; implicit-def: $vgpr10
	s_and_saveexec_b64 s[4:5], s[12:13]
	s_cbranch_execz .LBB2219_127
.LBB2219_142:
	global_load_dword v10, v[2:3], off offset:1280
	s_or_b64 exec, exec, s[4:5]
                                        ; implicit-def: $vgpr11
	s_and_saveexec_b64 s[4:5], s[14:15]
	s_cbranch_execnz .LBB2219_128
.LBB2219_143:
	s_or_b64 exec, exec, s[4:5]
                                        ; implicit-def: $vgpr47
	s_and_saveexec_b64 s[4:5], s[16:17]
	s_cbranch_execz .LBB2219_129
.LBB2219_144:
	global_load_dword v47, v[2:3], off offset:1792
	s_or_b64 exec, exec, s[4:5]
                                        ; implicit-def: $vgpr54
	s_and_saveexec_b64 s[4:5], s[18:19]
	s_cbranch_execnz .LBB2219_130
.LBB2219_145:
	s_or_b64 exec, exec, s[4:5]
                                        ; implicit-def: $vgpr64
	s_and_saveexec_b64 s[4:5], s[20:21]
	s_cbranch_execz .LBB2219_131
.LBB2219_146:
	global_load_dword v64, v[2:3], off offset:2304
	s_or_b64 exec, exec, s[4:5]
                                        ; implicit-def: $vgpr80
	s_and_saveexec_b64 s[4:5], s[22:23]
	s_cbranch_execnz .LBB2219_132
.LBB2219_147:
	s_or_b64 exec, exec, s[4:5]
                                        ; implicit-def: $vgpr81
	s_and_saveexec_b64 s[4:5], s[24:25]
	s_cbranch_execz .LBB2219_133
.LBB2219_148:
	global_load_dword v81, v[2:3], off offset:2816
	s_or_b64 exec, exec, s[4:5]
                                        ; implicit-def: $vgpr82
	s_and_saveexec_b64 s[4:5], s[26:27]
	s_cbranch_execnz .LBB2219_134
.LBB2219_149:
	s_or_b64 exec, exec, s[4:5]
                                        ; implicit-def: $vgpr83
	s_and_saveexec_b64 s[4:5], s[28:29]
	s_cbranch_execz .LBB2219_135
.LBB2219_150:
	global_load_dword v83, v[2:3], off offset:3328
	s_or_b64 exec, exec, s[4:5]
                                        ; implicit-def: $vgpr84
	s_and_saveexec_b64 s[4:5], s[30:31]
	s_cbranch_execnz .LBB2219_136
.LBB2219_151:
	s_or_b64 exec, exec, s[4:5]
                                        ; implicit-def: $vgpr85
	s_and_saveexec_b64 s[4:5], s[34:35]
	s_cbranch_execz .LBB2219_153
.LBB2219_152:
	global_load_dword v85, v[2:3], off offset:3840
.LBB2219_153:
	s_or_b64 exec, exec, s[4:5]
	v_mov_b32_e32 v2, 0x400
	s_movk_i32 s6, 0x400
	v_lshl_add_u32 v79, v79, 2, v2
	v_add3_u32 v45, v46, v63, v45
	v_lshl_add_u32 v46, v78, 2, v2
	v_add3_u32 v43, v44, v62, v43
	;; [unrolled: 2-line block ×15, first 2 shown]
	v_lshl_add_u32 v13, v38, 2, v2
	s_mov_b32 s7, 0
	s_mov_b32 s8, 0
	s_movk_i32 s9, 0x1000
	v_mov_b32_e32 v3, 0
	s_movk_i32 s10, 0x800
	s_movk_i32 s11, 0xc00
	s_mov_b32 s12, 0
	v_mov_b32_e32 v48, v16
	s_barrier
	s_branch .LBB2219_155
.LBB2219_154:                           ;   in Loop: Header=BB2219_155 Depth=1
	s_or_b64 exec, exec, s[4:5]
	s_addk_i32 s12, 0xc000
	s_addk_i32 s8, 0xf000
	s_add_i32 s7, s7, 16
	s_cmp_eq_u32 s12, 0xffff0000
	v_add_u32_e32 v48, 0x1000, v48
	s_barrier
	s_cbranch_scc1 .LBB2219_195
.LBB2219_155:                           ; =>This Inner Loop Header: Depth=1
	v_add_u32_e32 v2, s8, v38
	v_cmp_gt_u32_e32 vcc, s9, v2
	s_and_saveexec_b64 s[4:5], vcc
	s_cbranch_execz .LBB2219_157
; %bb.156:                              ;   in Loop: Header=BB2219_155 Depth=1
	v_add_u32_e32 v2, s12, v13
	s_waitcnt vmcnt(0)
	ds_write_b32 v2, v4
.LBB2219_157:                           ;   in Loop: Header=BB2219_155 Depth=1
	s_or_b64 exec, exec, s[4:5]
	v_add_u32_e32 v2, s8, v5
	v_cmp_gt_u32_e32 vcc, s9, v2
	s_and_saveexec_b64 s[4:5], vcc
	s_cbranch_execz .LBB2219_159
; %bb.158:                              ;   in Loop: Header=BB2219_155 Depth=1
	v_add_u32_e32 v2, s12, v15
	s_waitcnt vmcnt(0)
	ds_write_b32 v2, v6
.LBB2219_159:                           ;   in Loop: Header=BB2219_155 Depth=1
	s_or_b64 exec, exec, s[4:5]
	;; [unrolled: 10-line block ×16, first 2 shown]
	v_cmp_gt_u32_e32 vcc, s3, v48
	s_waitcnt lgkmcnt(0)
	s_barrier
	s_and_saveexec_b64 s[4:5], vcc
	s_cbranch_execz .LBB2219_189
; %bb.188:                              ;   in Loop: Header=BB2219_155 Depth=1
	scratch_load_dword v2, off, s7
	s_waitcnt vmcnt(0)
	v_lshlrev_b32_e32 v2, 2, v2
	ds_read_b32 v2, v2
	ds_read_b32 v49, v40 offset:1024
	s_waitcnt lgkmcnt(1)
	v_add_u32_e32 v2, v48, v2
	v_lshl_add_u64 v[50:51], v[2:3], 2, s[78:79]
	s_waitcnt lgkmcnt(0)
	global_store_dword v[50:51], v49, off
.LBB2219_189:                           ;   in Loop: Header=BB2219_155 Depth=1
	s_or_b64 exec, exec, s[4:5]
	v_add_u32_e32 v2, 0x400, v48
	v_cmp_gt_u32_e32 vcc, s3, v2
	s_and_saveexec_b64 s[4:5], vcc
	s_cbranch_execz .LBB2219_191
; %bb.190:                              ;   in Loop: Header=BB2219_155 Depth=1
	s_add_i32 s13, s7, 4
	scratch_load_dword v2, off, s13
	s_waitcnt vmcnt(0)
	v_lshlrev_b32_e32 v2, 2, v2
	ds_read_b32 v2, v2
	ds_read_b32 v49, v40 offset:5120
	s_waitcnt lgkmcnt(1)
	v_add3_u32 v2, v48, v2, s6
	v_lshl_add_u64 v[50:51], v[2:3], 2, s[78:79]
	s_waitcnt lgkmcnt(0)
	global_store_dword v[50:51], v49, off
.LBB2219_191:                           ;   in Loop: Header=BB2219_155 Depth=1
	s_or_b64 exec, exec, s[4:5]
	v_add_u32_e32 v2, 0x800, v48
	v_cmp_gt_u32_e32 vcc, s3, v2
	s_and_saveexec_b64 s[4:5], vcc
	s_cbranch_execz .LBB2219_193
; %bb.192:                              ;   in Loop: Header=BB2219_155 Depth=1
	s_add_i32 s13, s7, 8
	scratch_load_dword v2, off, s13
	s_waitcnt vmcnt(0)
	v_lshlrev_b32_e32 v2, 2, v2
	ds_read_b32 v2, v2
	ds_read_b32 v49, v40 offset:9216
	s_waitcnt lgkmcnt(1)
	v_add3_u32 v2, v48, v2, s10
	v_lshl_add_u64 v[50:51], v[2:3], 2, s[78:79]
	s_waitcnt lgkmcnt(0)
	global_store_dword v[50:51], v49, off
.LBB2219_193:                           ;   in Loop: Header=BB2219_155 Depth=1
	s_or_b64 exec, exec, s[4:5]
	v_add_u32_e32 v2, 0xc00, v48
	v_cmp_gt_u32_e32 vcc, s3, v2
	s_and_saveexec_b64 s[4:5], vcc
	s_cbranch_execz .LBB2219_154
; %bb.194:                              ;   in Loop: Header=BB2219_155 Depth=1
	s_add_i32 s13, s7, 12
	scratch_load_dword v2, off, s13
	s_waitcnt vmcnt(0)
	v_lshlrev_b32_e32 v2, 2, v2
	ds_read_b32 v2, v2
	ds_read_b32 v49, v40 offset:13312
	s_waitcnt lgkmcnt(1)
	v_add3_u32 v2, v48, v2, s11
	v_lshl_add_u64 v[50:51], v[2:3], 2, s[78:79]
	s_waitcnt lgkmcnt(0)
	global_store_dword v[50:51], v49, off
	s_branch .LBB2219_154
.LBB2219_195:
	s_add_i32 s90, s90, -1
	s_cmp_eq_u32 s33, s90
	s_cselect_b64 s[4:5], -1, 0
	s_xor_b64 s[6:7], s[36:37], -1
	s_and_b64 s[6:7], s[6:7], s[4:5]
	s_and_saveexec_b64 s[4:5], s[6:7]
	s_cbranch_execz .LBB2219_197
; %bb.196:
	ds_read_b32 v2, v40
	s_waitcnt lgkmcnt(0)
	v_add3_u32 v2, v34, v36, v2
	global_store_dword v40, v2, s[82:83]
.LBB2219_197:
	s_or_b64 exec, exec, s[4:5]
	s_mov_b64 s[4:5], 0
.LBB2219_198:
	s_and_b64 vcc, exec, s[4:5]
	s_cbranch_vccz .LBB2219_287
; %bb.199:
	s_lshl_b32 s8, s33, 14
	s_add_u32 s4, s72, s8
	v_mbcnt_hi_u32_b32 v5, -1, v12
	s_addc_u32 s5, s73, 0
	v_and_b32_e32 v20, 63, v5
	v_mov_b32_e32 v21, 0
	v_and_b32_e32 v18, 0x3c00, v1
	v_lshl_add_u64 v[2:3], s[4:5], 0, v[20:21]
	v_mov_b32_e32 v19, v21
	s_waitcnt vmcnt(0)
	v_lshl_add_u64 v[6:7], v[2:3], 0, v[18:19]
	global_load_ubyte v1, v[6:7], off
	s_load_dword s12, s[0:1], 0x58
	s_load_dword s3, s[0:1], 0x64
	global_load_ubyte v3, v[6:7], off offset:64
	global_load_ubyte v2, v[6:7], off offset:128
	;; [unrolled: 1-line block ×7, first 2 shown]
	v_mov_b32_e32 v11, v21
	s_mov_b32 s9, 0
	v_mul_u32_u24_e32 v8, 20, v16
	s_waitcnt vmcnt(7)
	v_and_b32_e32 v1, 1, v1
	v_cmp_eq_u32_e32 vcc, 1, v1
	s_xor_b64 s[4:5], vcc, -1
	s_add_u32 s0, s0, 0x58
	s_addc_u32 s1, s1, 0
	s_waitcnt lgkmcnt(0)
	s_lshr_b32 s3, s3, 16
	s_cmp_lt_u32 s2, s12
	s_cselect_b32 s2, 12, 18
	s_add_u32 s0, s0, s2
	s_addc_u32 s1, s1, 0
	global_load_ushort v9, v21, s[0:1]
	global_load_ubyte v34, v[6:7], off offset:512
	global_load_ubyte v36, v[6:7], off offset:576
	;; [unrolled: 1-line block ×8, first 2 shown]
	v_cndmask_b32_e64 v4, 0, 1, s[4:5]
	v_lshrrev_b32_e32 v6, s84, v4
	s_lshl_b32 s0, -1, s85
	v_bfe_u32 v1, v0, 10, 10
	v_bfe_u32 v0, v0, 20, 10
	v_bitop3_b32 v10, v6, s0, v6 bitop3:0x30
	v_mad_u32_u24 v7, v0, s3, v1
	v_cmp_ne_u32_e32 vcc, 0, v10
	v_lshl_add_u64 v[0:1], v[10:11], 0, -1
	s_movk_i32 s2, 0x44
	v_xor_b32_e32 v0, vcc_lo, v0
	v_xor_b32_e32 v1, vcc_hi, v1
	v_and_b32_e32 v0, exec_lo, v0
	v_and_b32_e32 v1, exec_hi, v1
	v_mbcnt_lo_u32_b32 v6, v0, 0
	v_mbcnt_hi_u32_b32 v6, v1, v6
	s_not_b32 s13, s0
	v_cmp_ne_u64_e32 vcc, 0, v[0:1]
	v_cmp_eq_u32_e64 s[0:1], 0, v6
	ds_write2_b32 v8, v21, v21 offset0:16 offset1:17
	ds_write2_b32 v8, v21, v21 offset0:18 offset1:19
	ds_write_b32 v8, v21 offset:80
	s_waitcnt lgkmcnt(0)
	s_barrier
	s_waitcnt vmcnt(8)
	; wave barrier
	v_mad_u64_u32 v[22:23], s[4:5], v7, v9, v[16:17]
	v_lshrrev_b32_e32 v7, 6, v22
	v_lshlrev_b32_e32 v44, 2, v7
	v_mad_u32_u24 v10, v10, s2, v44
	s_and_b64 s[4:5], vcc, s[0:1]
	s_and_saveexec_b64 s[0:1], s[4:5]
; %bb.200:
	v_bcnt_u32_b32 v0, v0, 0
	v_bcnt_u32_b32 v0, v1, v0
	ds_write_b32 v10, v0 offset:64
; %bb.201:
	s_or_b64 exec, exec, s[0:1]
	v_and_b32_e32 v0, 1, v3
	v_cmp_eq_u32_e32 vcc, 1, v0
	s_xor_b64 s[0:1], vcc, -1
	v_cndmask_b32_e64 v7, 0, 1, s[0:1]
	v_lshrrev_b32_e32 v0, s84, v7
	v_and_b32_e32 v0, s13, v0
	v_mov_b32_e32 v1, v21
	v_mad_u32_u24 v11, v0, s2, v44
	v_cmp_ne_u32_e32 vcc, 0, v0
	v_lshl_add_u64 v[0:1], v[0:1], 0, -1
	s_nop 0
	v_xor_b32_e32 v0, vcc_lo, v0
	; wave barrier
	ds_read_b32 v17, v11 offset:64
	v_xor_b32_e32 v1, vcc_hi, v1
	v_and_b32_e32 v0, exec_lo, v0
	v_and_b32_e32 v1, exec_hi, v1
	v_mbcnt_lo_u32_b32 v3, v0, 0
	v_mbcnt_hi_u32_b32 v19, v1, v3
	v_cmp_eq_u32_e32 vcc, 0, v19
	v_cmp_ne_u64_e64 s[0:1], 0, v[0:1]
	s_and_b64 s[2:3], s[0:1], vcc
	; wave barrier
	s_and_saveexec_b64 s[0:1], s[2:3]
	s_cbranch_execz .LBB2219_203
; %bb.202:
	v_bcnt_u32_b32 v0, v0, 0
	v_bcnt_u32_b32 v0, v1, v0
	s_waitcnt lgkmcnt(0)
	v_add_u32_e32 v0, v17, v0
	ds_write_b32 v11, v0 offset:64
.LBB2219_203:
	s_or_b64 exec, exec, s[0:1]
	v_and_b32_e32 v0, 1, v2
	v_cmp_eq_u32_e32 vcc, 1, v0
	s_xor_b64 s[0:1], vcc, -1
	v_cndmask_b32_e64 v9, 0, 1, s[0:1]
	v_lshrrev_b32_e32 v0, s84, v9
	v_and_b32_e32 v0, s13, v0
	v_mov_b32_e32 v1, 0
	s_movk_i32 s2, 0x44
	v_cmp_ne_u32_e32 vcc, 0, v0
	v_lshl_add_u64 v[2:3], v[0:1], 0, -1
	v_mad_u32_u24 v14, v0, s2, v44
	v_xor_b32_e32 v2, vcc_lo, v2
	; wave barrier
	ds_read_b32 v22, v14 offset:64
	v_xor_b32_e32 v0, vcc_hi, v3
	v_and_b32_e32 v2, exec_lo, v2
	v_and_b32_e32 v3, exec_hi, v0
	v_mbcnt_lo_u32_b32 v0, v2, 0
	v_mbcnt_hi_u32_b32 v23, v3, v0
	v_cmp_eq_u32_e32 vcc, 0, v23
	v_cmp_ne_u64_e64 s[0:1], 0, v[2:3]
	s_and_b64 s[4:5], s[0:1], vcc
	; wave barrier
	s_and_saveexec_b64 s[0:1], s[4:5]
	s_cbranch_execz .LBB2219_205
; %bb.204:
	v_bcnt_u32_b32 v0, v2, 0
	v_bcnt_u32_b32 v0, v3, v0
	s_waitcnt lgkmcnt(0)
	v_add_u32_e32 v0, v22, v0
	ds_write_b32 v14, v0 offset:64
.LBB2219_205:
	s_or_b64 exec, exec, s[0:1]
	v_and_b32_e32 v0, 1, v12
	v_cmp_eq_u32_e32 vcc, 1, v0
	s_xor_b64 s[0:1], vcc, -1
	v_cndmask_b32_e64 v12, 0, 1, s[0:1]
	v_lshrrev_b32_e32 v0, s84, v12
	v_and_b32_e32 v0, s13, v0
	v_mad_u32_u24 v42, v0, s2, v44
	v_cmp_ne_u32_e32 vcc, 0, v0
	v_lshl_add_u64 v[0:1], v[0:1], 0, -1
	s_nop 0
	v_xor_b32_e32 v0, vcc_lo, v0
	; wave barrier
	ds_read_b32 v24, v42 offset:64
	v_xor_b32_e32 v1, vcc_hi, v1
	v_and_b32_e32 v0, exec_lo, v0
	v_and_b32_e32 v1, exec_hi, v1
	v_mbcnt_lo_u32_b32 v2, v0, 0
	v_mbcnt_hi_u32_b32 v25, v1, v2
	v_cmp_eq_u32_e32 vcc, 0, v25
	v_cmp_ne_u64_e64 s[0:1], 0, v[0:1]
	s_and_b64 s[2:3], s[0:1], vcc
	; wave barrier
	s_and_saveexec_b64 s[0:1], s[2:3]
	s_cbranch_execz .LBB2219_207
; %bb.206:
	v_bcnt_u32_b32 v0, v0, 0
	v_bcnt_u32_b32 v0, v1, v0
	s_waitcnt lgkmcnt(0)
	v_add_u32_e32 v0, v24, v0
	ds_write_b32 v42, v0 offset:64
.LBB2219_207:
	s_or_b64 exec, exec, s[0:1]
	v_and_b32_e32 v0, 1, v13
	v_cmp_eq_u32_e32 vcc, 1, v0
	s_xor_b64 s[0:1], vcc, -1
	v_cndmask_b32_e64 v13, 0, 1, s[0:1]
	v_lshrrev_b32_e32 v0, s84, v13
	v_and_b32_e32 v0, s13, v0
	v_mov_b32_e32 v1, 0
	s_movk_i32 s2, 0x44
	v_cmp_ne_u32_e32 vcc, 0, v0
	v_lshl_add_u64 v[2:3], v[0:1], 0, -1
	v_mad_u32_u24 v46, v0, s2, v44
	v_xor_b32_e32 v2, vcc_lo, v2
	; wave barrier
	ds_read_b32 v26, v46 offset:64
	v_xor_b32_e32 v0, vcc_hi, v3
	v_and_b32_e32 v2, exec_lo, v2
	v_and_b32_e32 v3, exec_hi, v0
	v_mbcnt_lo_u32_b32 v0, v2, 0
	v_mbcnt_hi_u32_b32 v27, v3, v0
	v_cmp_eq_u32_e32 vcc, 0, v27
	v_cmp_ne_u64_e64 s[0:1], 0, v[2:3]
	s_and_b64 s[4:5], s[0:1], vcc
	; wave barrier
	s_and_saveexec_b64 s[0:1], s[4:5]
	s_cbranch_execz .LBB2219_209
; %bb.208:
	v_bcnt_u32_b32 v0, v2, 0
	v_bcnt_u32_b32 v0, v3, v0
	s_waitcnt lgkmcnt(0)
	v_add_u32_e32 v0, v26, v0
	ds_write_b32 v46, v0 offset:64
.LBB2219_209:
	s_or_b64 exec, exec, s[0:1]
	v_and_b32_e32 v0, 1, v28
	v_cmp_eq_u32_e32 vcc, 1, v0
	s_xor_b64 s[0:1], vcc, -1
	v_cndmask_b32_e64 v21, 0, 1, s[0:1]
	v_lshrrev_b32_e32 v0, s84, v21
	v_and_b32_e32 v0, s13, v0
	v_mad_u32_u24 v58, v0, s2, v44
	v_cmp_ne_u32_e32 vcc, 0, v0
	v_lshl_add_u64 v[0:1], v[0:1], 0, -1
	s_nop 0
	v_xor_b32_e32 v0, vcc_lo, v0
	; wave barrier
	ds_read_b32 v28, v58 offset:64
	v_xor_b32_e32 v1, vcc_hi, v1
	v_and_b32_e32 v0, exec_lo, v0
	v_and_b32_e32 v1, exec_hi, v1
	v_mbcnt_lo_u32_b32 v2, v0, 0
	v_mbcnt_hi_u32_b32 v29, v1, v2
	v_cmp_eq_u32_e32 vcc, 0, v29
	v_cmp_ne_u64_e64 s[0:1], 0, v[0:1]
	s_and_b64 s[2:3], s[0:1], vcc
	; wave barrier
	s_and_saveexec_b64 s[0:1], s[2:3]
	s_cbranch_execz .LBB2219_211
; %bb.210:
	v_bcnt_u32_b32 v0, v0, 0
	v_bcnt_u32_b32 v0, v1, v0
	s_waitcnt lgkmcnt(0)
	v_add_u32_e32 v0, v28, v0
	ds_write_b32 v58, v0 offset:64
.LBB2219_211:
	s_or_b64 exec, exec, s[0:1]
	v_and_b32_e32 v0, 1, v30
	v_cmp_eq_u32_e32 vcc, 1, v0
	s_xor_b64 s[0:1], vcc, -1
	v_cndmask_b32_e64 v82, 0, 1, s[0:1]
	v_lshrrev_b32_e32 v0, s84, v82
	v_and_b32_e32 v0, s13, v0
	v_mov_b32_e32 v1, 0
	s_movk_i32 s2, 0x44
	v_cmp_ne_u32_e32 vcc, 0, v0
	v_lshl_add_u64 v[2:3], v[0:1], 0, -1
	v_mad_u32_u24 v59, v0, s2, v44
	v_xor_b32_e32 v2, vcc_lo, v2
	; wave barrier
	ds_read_b32 v30, v59 offset:64
	v_xor_b32_e32 v0, vcc_hi, v3
	v_and_b32_e32 v2, exec_lo, v2
	v_and_b32_e32 v3, exec_hi, v0
	v_mbcnt_lo_u32_b32 v0, v2, 0
	v_mbcnt_hi_u32_b32 v31, v3, v0
	v_cmp_eq_u32_e32 vcc, 0, v31
	v_cmp_ne_u64_e64 s[0:1], 0, v[2:3]
	s_and_b64 s[4:5], s[0:1], vcc
	; wave barrier
	s_and_saveexec_b64 s[0:1], s[4:5]
	s_cbranch_execz .LBB2219_213
; %bb.212:
	v_bcnt_u32_b32 v0, v2, 0
	v_bcnt_u32_b32 v0, v3, v0
	s_waitcnt lgkmcnt(0)
	v_add_u32_e32 v0, v30, v0
	ds_write_b32 v59, v0 offset:64
.LBB2219_213:
	s_or_b64 exec, exec, s[0:1]
	v_and_b32_e32 v0, 1, v32
	v_cmp_eq_u32_e32 vcc, 1, v0
	s_xor_b64 s[0:1], vcc, -1
	v_cndmask_b32_e64 v83, 0, 1, s[0:1]
	v_lshrrev_b32_e32 v0, s84, v83
	v_and_b32_e32 v0, s13, v0
	v_mad_u32_u24 v60, v0, s2, v44
	v_cmp_ne_u32_e32 vcc, 0, v0
	v_lshl_add_u64 v[0:1], v[0:1], 0, -1
	s_nop 0
	v_xor_b32_e32 v0, vcc_lo, v0
	; wave barrier
	ds_read_b32 v32, v60 offset:64
	v_xor_b32_e32 v1, vcc_hi, v1
	v_and_b32_e32 v0, exec_lo, v0
	v_and_b32_e32 v1, exec_hi, v1
	v_mbcnt_lo_u32_b32 v2, v0, 0
	v_mbcnt_hi_u32_b32 v33, v1, v2
	v_cmp_eq_u32_e32 vcc, 0, v33
	v_cmp_ne_u64_e64 s[0:1], 0, v[0:1]
	s_and_b64 s[2:3], s[0:1], vcc
	; wave barrier
	s_and_saveexec_b64 s[0:1], s[2:3]
	s_cbranch_execz .LBB2219_215
; %bb.214:
	v_bcnt_u32_b32 v0, v0, 0
	v_bcnt_u32_b32 v0, v1, v0
	s_waitcnt lgkmcnt(0)
	v_add_u32_e32 v0, v32, v0
	ds_write_b32 v60, v0 offset:64
.LBB2219_215:
	s_or_b64 exec, exec, s[0:1]
	s_waitcnt vmcnt(7)
	v_and_b32_e32 v0, 1, v34
	v_cmp_eq_u32_e32 vcc, 1, v0
	s_xor_b64 s[0:1], vcc, -1
	v_cndmask_b32_e64 v84, 0, 1, s[0:1]
	v_lshrrev_b32_e32 v0, s84, v84
	v_and_b32_e32 v0, s13, v0
	v_mov_b32_e32 v1, 0
	s_movk_i32 s2, 0x44
	v_cmp_ne_u32_e32 vcc, 0, v0
	v_lshl_add_u64 v[2:3], v[0:1], 0, -1
	v_mad_u32_u24 v61, v0, s2, v44
	v_xor_b32_e32 v2, vcc_lo, v2
	; wave barrier
	ds_read_b32 v34, v61 offset:64
	v_xor_b32_e32 v0, vcc_hi, v3
	v_and_b32_e32 v2, exec_lo, v2
	v_and_b32_e32 v3, exec_hi, v0
	v_mbcnt_lo_u32_b32 v0, v2, 0
	v_mbcnt_hi_u32_b32 v35, v3, v0
	v_cmp_eq_u32_e32 vcc, 0, v35
	v_cmp_ne_u64_e64 s[0:1], 0, v[2:3]
	s_and_b64 s[4:5], s[0:1], vcc
	; wave barrier
	s_and_saveexec_b64 s[0:1], s[4:5]
	s_cbranch_execz .LBB2219_217
; %bb.216:
	v_bcnt_u32_b32 v0, v2, 0
	v_bcnt_u32_b32 v0, v3, v0
	s_waitcnt lgkmcnt(0)
	v_add_u32_e32 v0, v34, v0
	ds_write_b32 v61, v0 offset:64
.LBB2219_217:
	s_or_b64 exec, exec, s[0:1]
	s_waitcnt vmcnt(6)
	v_and_b32_e32 v0, 1, v36
	v_cmp_eq_u32_e32 vcc, 1, v0
	s_xor_b64 s[0:1], vcc, -1
	v_cndmask_b32_e64 v85, 0, 1, s[0:1]
	v_lshrrev_b32_e32 v0, s84, v85
	v_and_b32_e32 v0, s13, v0
	v_mad_u32_u24 v62, v0, s2, v44
	v_cmp_ne_u32_e32 vcc, 0, v0
	v_lshl_add_u64 v[0:1], v[0:1], 0, -1
	s_nop 0
	v_xor_b32_e32 v0, vcc_lo, v0
	; wave barrier
	ds_read_b32 v36, v62 offset:64
	v_xor_b32_e32 v1, vcc_hi, v1
	v_and_b32_e32 v0, exec_lo, v0
	v_and_b32_e32 v1, exec_hi, v1
	v_mbcnt_lo_u32_b32 v2, v0, 0
	v_mbcnt_hi_u32_b32 v37, v1, v2
	v_cmp_eq_u32_e32 vcc, 0, v37
	v_cmp_ne_u64_e64 s[0:1], 0, v[0:1]
	s_and_b64 s[2:3], s[0:1], vcc
	; wave barrier
	s_and_saveexec_b64 s[0:1], s[2:3]
	s_cbranch_execz .LBB2219_219
; %bb.218:
	v_bcnt_u32_b32 v0, v0, 0
	v_bcnt_u32_b32 v0, v1, v0
	s_waitcnt lgkmcnt(0)
	v_add_u32_e32 v0, v36, v0
	ds_write_b32 v62, v0 offset:64
.LBB2219_219:
	s_or_b64 exec, exec, s[0:1]
	s_waitcnt vmcnt(5)
	v_and_b32_e32 v0, 1, v39
	v_cmp_eq_u32_e32 vcc, 1, v0
	s_xor_b64 s[0:1], vcc, -1
	v_cndmask_b32_e64 v86, 0, 1, s[0:1]
	v_lshrrev_b32_e32 v0, s84, v86
	v_and_b32_e32 v0, s13, v0
	v_mov_b32_e32 v1, 0
	s_movk_i32 s2, 0x44
	v_cmp_ne_u32_e32 vcc, 0, v0
	v_lshl_add_u64 v[2:3], v[0:1], 0, -1
	v_mad_u32_u24 v63, v0, s2, v44
	v_xor_b32_e32 v2, vcc_lo, v2
	; wave barrier
	ds_read_b32 v39, v63 offset:64
	v_xor_b32_e32 v0, vcc_hi, v3
	v_and_b32_e32 v2, exec_lo, v2
	v_and_b32_e32 v3, exec_hi, v0
	v_mbcnt_lo_u32_b32 v0, v2, 0
	v_mbcnt_hi_u32_b32 v40, v3, v0
	v_cmp_eq_u32_e32 vcc, 0, v40
	v_cmp_ne_u64_e64 s[0:1], 0, v[2:3]
	s_and_b64 s[4:5], s[0:1], vcc
	; wave barrier
	s_and_saveexec_b64 s[0:1], s[4:5]
	s_cbranch_execz .LBB2219_221
; %bb.220:
	v_bcnt_u32_b32 v0, v2, 0
	v_bcnt_u32_b32 v0, v3, v0
	s_waitcnt lgkmcnt(0)
	v_add_u32_e32 v0, v39, v0
	ds_write_b32 v63, v0 offset:64
.LBB2219_221:
	s_or_b64 exec, exec, s[0:1]
	s_waitcnt vmcnt(4)
	v_and_b32_e32 v0, 1, v41
	v_cmp_eq_u32_e32 vcc, 1, v0
	s_xor_b64 s[0:1], vcc, -1
	v_cndmask_b32_e64 v87, 0, 1, s[0:1]
	v_lshrrev_b32_e32 v0, s84, v87
	v_and_b32_e32 v0, s13, v0
	v_mad_u32_u24 v64, v0, s2, v44
	v_cmp_ne_u32_e32 vcc, 0, v0
	v_lshl_add_u64 v[0:1], v[0:1], 0, -1
	s_nop 0
	v_xor_b32_e32 v0, vcc_lo, v0
	; wave barrier
	ds_read_b32 v41, v64 offset:64
	v_xor_b32_e32 v1, vcc_hi, v1
	v_and_b32_e32 v0, exec_lo, v0
	v_and_b32_e32 v1, exec_hi, v1
	v_mbcnt_lo_u32_b32 v2, v0, 0
	v_mbcnt_hi_u32_b32 v43, v1, v2
	v_cmp_eq_u32_e32 vcc, 0, v43
	v_cmp_ne_u64_e64 s[0:1], 0, v[0:1]
	s_and_b64 s[2:3], s[0:1], vcc
	; wave barrier
	s_and_saveexec_b64 s[0:1], s[2:3]
	s_cbranch_execz .LBB2219_223
; %bb.222:
	v_bcnt_u32_b32 v0, v0, 0
	v_bcnt_u32_b32 v0, v1, v0
	s_waitcnt lgkmcnt(0)
	v_add_u32_e32 v0, v41, v0
	ds_write_b32 v64, v0 offset:64
.LBB2219_223:
	s_or_b64 exec, exec, s[0:1]
	s_waitcnt vmcnt(3)
	v_and_b32_e32 v0, 1, v45
	v_cmp_eq_u32_e32 vcc, 1, v0
	s_xor_b64 s[0:1], vcc, -1
	v_cndmask_b32_e64 v88, 0, 1, s[0:1]
	v_lshrrev_b32_e32 v0, s84, v88
	v_and_b32_e32 v0, s13, v0
	v_mov_b32_e32 v1, 0
	s_movk_i32 s2, 0x44
	v_cmp_ne_u32_e32 vcc, 0, v0
	v_lshl_add_u64 v[2:3], v[0:1], 0, -1
	v_mad_u32_u24 v65, v0, s2, v44
	v_xor_b32_e32 v2, vcc_lo, v2
	; wave barrier
	ds_read_b32 v45, v65 offset:64
	v_xor_b32_e32 v0, vcc_hi, v3
	v_and_b32_e32 v2, exec_lo, v2
	v_and_b32_e32 v3, exec_hi, v0
	v_mbcnt_lo_u32_b32 v0, v2, 0
	v_mbcnt_hi_u32_b32 v47, v3, v0
	v_cmp_eq_u32_e32 vcc, 0, v47
	v_cmp_ne_u64_e64 s[0:1], 0, v[2:3]
	s_and_b64 s[4:5], s[0:1], vcc
	; wave barrier
	s_and_saveexec_b64 s[0:1], s[4:5]
	s_cbranch_execz .LBB2219_225
; %bb.224:
	v_bcnt_u32_b32 v0, v2, 0
	v_bcnt_u32_b32 v0, v3, v0
	s_waitcnt lgkmcnt(0)
	v_add_u32_e32 v0, v45, v0
	ds_write_b32 v65, v0 offset:64
.LBB2219_225:
	s_or_b64 exec, exec, s[0:1]
	s_waitcnt vmcnt(2)
	v_and_b32_e32 v0, 1, v48
	v_cmp_eq_u32_e32 vcc, 1, v0
	s_xor_b64 s[0:1], vcc, -1
	v_cndmask_b32_e64 v89, 0, 1, s[0:1]
	v_lshrrev_b32_e32 v0, s84, v89
	v_and_b32_e32 v0, s13, v0
	v_mad_u32_u24 v66, v0, s2, v44
	v_cmp_ne_u32_e32 vcc, 0, v0
	v_lshl_add_u64 v[0:1], v[0:1], 0, -1
	s_nop 0
	v_xor_b32_e32 v0, vcc_lo, v0
	; wave barrier
	ds_read_b32 v48, v66 offset:64
	v_xor_b32_e32 v1, vcc_hi, v1
	v_and_b32_e32 v0, exec_lo, v0
	v_and_b32_e32 v1, exec_hi, v1
	v_mbcnt_lo_u32_b32 v2, v0, 0
	v_mbcnt_hi_u32_b32 v49, v1, v2
	v_cmp_eq_u32_e32 vcc, 0, v49
	v_cmp_ne_u64_e64 s[0:1], 0, v[0:1]
	s_and_b64 s[2:3], s[0:1], vcc
	; wave barrier
	s_and_saveexec_b64 s[0:1], s[2:3]
	s_cbranch_execz .LBB2219_227
; %bb.226:
	v_bcnt_u32_b32 v0, v0, 0
	v_bcnt_u32_b32 v0, v1, v0
	s_waitcnt lgkmcnt(0)
	v_add_u32_e32 v0, v48, v0
	ds_write_b32 v66, v0 offset:64
.LBB2219_227:
	s_or_b64 exec, exec, s[0:1]
	s_waitcnt vmcnt(1)
	v_and_b32_e32 v0, 1, v38
	v_cmp_eq_u32_e32 vcc, 1, v0
	s_xor_b64 s[0:1], vcc, -1
	v_cndmask_b32_e64 v90, 0, 1, s[0:1]
	v_lshrrev_b32_e32 v0, s84, v90
	v_and_b32_e32 v0, s13, v0
	v_mov_b32_e32 v1, 0
	s_movk_i32 s2, 0x44
	v_cmp_ne_u32_e32 vcc, 0, v0
	v_lshl_add_u64 v[2:3], v[0:1], 0, -1
	v_mad_u32_u24 v68, v0, s2, v44
	v_xor_b32_e32 v2, vcc_lo, v2
	; wave barrier
	ds_read_b32 v50, v68 offset:64
	v_xor_b32_e32 v0, vcc_hi, v3
	v_and_b32_e32 v2, exec_lo, v2
	v_and_b32_e32 v3, exec_hi, v0
	v_mbcnt_lo_u32_b32 v0, v2, 0
	v_mbcnt_hi_u32_b32 v51, v3, v0
	v_cmp_eq_u32_e32 vcc, 0, v51
	v_cmp_ne_u64_e64 s[0:1], 0, v[2:3]
	s_and_b64 s[4:5], s[0:1], vcc
	; wave barrier
	s_and_saveexec_b64 s[0:1], s[4:5]
	s_cbranch_execz .LBB2219_229
; %bb.228:
	v_bcnt_u32_b32 v0, v2, 0
	v_bcnt_u32_b32 v0, v3, v0
	s_waitcnt lgkmcnt(0)
	v_add_u32_e32 v0, v50, v0
	ds_write_b32 v68, v0 offset:64
.LBB2219_229:
	s_or_b64 exec, exec, s[0:1]
	s_waitcnt vmcnt(0)
	v_and_b32_e32 v0, 1, v15
	v_cmp_eq_u32_e32 vcc, 1, v0
	s_xor_b64 s[0:1], vcc, -1
	v_cndmask_b32_e64 v15, 0, 1, s[0:1]
	v_lshrrev_b32_e32 v0, s84, v15
	v_and_b32_e32 v0, s13, v0
	v_mad_u32_u24 v44, v0, s2, v44
	v_cmp_ne_u32_e32 vcc, 0, v0
	v_lshl_add_u64 v[0:1], v[0:1], 0, -1
	s_nop 0
	v_xor_b32_e32 v0, vcc_lo, v0
	; wave barrier
	ds_read_b32 v52, v44 offset:64
	v_xor_b32_e32 v1, vcc_hi, v1
	v_and_b32_e32 v0, exec_lo, v0
	v_and_b32_e32 v1, exec_hi, v1
	v_mbcnt_lo_u32_b32 v2, v0, 0
	v_mbcnt_hi_u32_b32 v53, v1, v2
	v_cmp_eq_u32_e32 vcc, 0, v53
	v_cmp_ne_u64_e64 s[0:1], 0, v[0:1]
	s_and_b64 s[2:3], s[0:1], vcc
	; wave barrier
	s_and_saveexec_b64 s[0:1], s[2:3]
	s_cbranch_execz .LBB2219_231
; %bb.230:
	v_bcnt_u32_b32 v0, v0, 0
	v_bcnt_u32_b32 v0, v1, v0
	s_waitcnt lgkmcnt(0)
	v_add_u32_e32 v0, v52, v0
	ds_write_b32 v44, v0 offset:64
.LBB2219_231:
	s_or_b64 exec, exec, s[0:1]
	; wave barrier
	s_waitcnt lgkmcnt(0)
	s_barrier
	ds_read2_b32 v[2:3], v8 offset0:16 offset1:17
	ds_read2_b32 v[0:1], v8 offset0:18 offset1:19
	ds_read_b32 v38, v8 offset:80
	v_cmp_lt_u32_e64 s[2:3], 31, v5
	s_waitcnt lgkmcnt(1)
	v_add3_u32 v54, v3, v2, v0
	s_waitcnt lgkmcnt(0)
	v_add3_u32 v38, v54, v1, v38
	v_and_b32_e32 v54, 15, v5
	v_cmp_eq_u32_e32 vcc, 0, v54
	v_mov_b32_dpp v55, v38 row_shr:1 row_mask:0xf bank_mask:0xf
	v_cmp_lt_u32_e64 s[0:1], 1, v54
	v_cndmask_b32_e64 v55, v55, 0, vcc
	v_add_u32_e32 v38, v55, v38
	v_cmp_lt_u32_e64 s[4:5], 3, v54
	v_cmp_lt_u32_e64 s[6:7], 7, v54
	v_mov_b32_dpp v55, v38 row_shr:2 row_mask:0xf bank_mask:0xf
	v_cndmask_b32_e64 v55, 0, v55, s[0:1]
	v_add_u32_e32 v38, v38, v55
	s_nop 1
	v_mov_b32_dpp v55, v38 row_shr:4 row_mask:0xf bank_mask:0xf
	v_cndmask_b32_e64 v55, 0, v55, s[4:5]
	v_add_u32_e32 v38, v38, v55
	s_nop 1
	v_mov_b32_dpp v55, v38 row_shr:8 row_mask:0xf bank_mask:0xf
	v_cndmask_b32_e64 v54, 0, v55, s[6:7]
	v_add_u32_e32 v38, v38, v54
	v_bfe_i32 v55, v5, 4, 1
	s_nop 0
	v_mov_b32_dpp v54, v38 row_bcast:15 row_mask:0xf bank_mask:0xf
	v_and_b32_e32 v54, v55, v54
	v_add_u32_e32 v38, v38, v54
	v_lshrrev_b32_e32 v55, 6, v16
	s_nop 0
	v_mov_b32_dpp v54, v38 row_bcast:31 row_mask:0xf bank_mask:0xf
	v_cndmask_b32_e64 v54, 0, v54, s[2:3]
	v_add_u32_e32 v54, v38, v54
	v_and_b32_e32 v38, 63, v16
	v_cmp_eq_u32_e64 s[2:3], 63, v38
	s_and_saveexec_b64 s[10:11], s[2:3]
; %bb.232:
	v_lshlrev_b32_e32 v38, 2, v55
	ds_write_b32 v38, v54
; %bb.233:
	s_or_b64 exec, exec, s[10:11]
	v_cmp_gt_u32_e64 s[2:3], 16, v16
	v_lshlrev_b32_e32 v38, 2, v16
	s_waitcnt lgkmcnt(0)
	s_barrier
	s_and_saveexec_b64 s[10:11], s[2:3]
	s_cbranch_execz .LBB2219_235
; %bb.234:
	ds_read_b32 v56, v38
	s_waitcnt lgkmcnt(0)
	s_nop 0
	v_mov_b32_dpp v57, v56 row_shr:1 row_mask:0xf bank_mask:0xf
	v_cndmask_b32_e64 v57, v57, 0, vcc
	v_add_u32_e32 v56, v57, v56
	s_nop 1
	v_mov_b32_dpp v57, v56 row_shr:2 row_mask:0xf bank_mask:0xf
	v_cndmask_b32_e64 v57, 0, v57, s[0:1]
	v_add_u32_e32 v56, v56, v57
	s_nop 1
	v_mov_b32_dpp v57, v56 row_shr:4 row_mask:0xf bank_mask:0xf
	v_cndmask_b32_e64 v57, 0, v57, s[4:5]
	;; [unrolled: 4-line block ×3, first 2 shown]
	v_add_u32_e32 v56, v56, v57
	ds_write_b32 v38, v56
.LBB2219_235:
	s_or_b64 exec, exec, s[10:11]
	v_cmp_lt_u32_e32 vcc, 63, v16
	v_mov_b32_e32 v56, 0
	s_waitcnt lgkmcnt(0)
	s_barrier
	s_and_saveexec_b64 s[0:1], vcc
; %bb.236:
	v_lshl_add_u32 v55, v55, 2, -4
	ds_read_b32 v56, v55
; %bb.237:
	s_or_b64 exec, exec, s[0:1]
	v_subrev_co_u32_e32 v55, vcc, 1, v5
	v_and_b32_e32 v57, 64, v5
	v_cmp_lt_i32_e64 s[0:1], v55, v57
	s_waitcnt lgkmcnt(0)
	v_add_u32_e32 v54, v56, v54
	s_movk_i32 s2, 0x100
	v_cndmask_b32_e64 v5, v55, v5, s[0:1]
	v_lshlrev_b32_e32 v5, 2, v5
	ds_bpermute_b32 v5, v5, v54
	s_movk_i32 s0, 0xff
	s_waitcnt lgkmcnt(0)
	v_cndmask_b32_e32 v5, v5, v56, vcc
	v_cndmask_b32_e64 v5, v5, 0, s[66:67]
	v_add_u32_e32 v2, v5, v2
	v_add_u32_e32 v3, v2, v3
	;; [unrolled: 1-line block ×4, first 2 shown]
	ds_write2_b32 v8, v5, v2 offset0:16 offset1:17
	ds_write2_b32 v8, v3, v0 offset0:18 offset1:19
	ds_write_b32 v8, v1 offset:80
	s_waitcnt lgkmcnt(0)
	s_barrier
	ds_read_b32 v0, v10 offset:64
	ds_read_b32 v54, v11 offset:64
	;; [unrolled: 1-line block ×16, first 2 shown]
	v_cmp_lt_u32_e32 vcc, s0, v16
	v_cmp_gt_u32_e64 s[0:1], s2, v16
                                        ; implicit-def: $vgpr42
                                        ; implicit-def: $vgpr44
	s_and_saveexec_b64 s[4:5], s[0:1]
	s_cbranch_execz .LBB2219_241
; %bb.238:
	v_mul_u32_u24_e32 v1, 0x44, v16
	ds_read_b32 v42, v1 offset:64
	v_add_u32_e32 v2, 1, v16
	v_cmp_ne_u32_e64 s[2:3], s2, v2
	v_mov_b32_e32 v1, 0x4000
	s_and_saveexec_b64 s[6:7], s[2:3]
; %bb.239:
	v_mul_u32_u24_e32 v1, 0x44, v2
	ds_read_b32 v1, v1 offset:64
; %bb.240:
	s_or_b64 exec, exec, s[6:7]
	s_waitcnt lgkmcnt(0)
	v_sub_u32_e32 v44, v1, v42
.LBB2219_241:
	s_or_b64 exec, exec, s[4:5]
	s_waitcnt lgkmcnt(14)
	v_add_u32_e32 v46, v0, v6
	v_add3_u32 v66, v19, v17, v54
	s_waitcnt lgkmcnt(13)
	v_add3_u32 v68, v23, v22, v55
	s_waitcnt lgkmcnt(12)
	;; [unrolled: 2-line block ×7, first 2 shown]
	s_barrier
	ds_write_b8 v46, v4 offset:1024
	v_add3_u32 v76, v35, v34, v61
	ds_write_b8 v66, v7 offset:1024
	v_add3_u32 v77, v37, v36, v62
	;; [unrolled: 2-line block ×8, first 2 shown]
	v_mov_b32_e32 v1, 0
	ds_write_b8 v76, v84 offset:1024
	ds_write_b8 v77, v85 offset:1024
	;; [unrolled: 1-line block ×8, first 2 shown]
	s_and_saveexec_b64 s[2:3], s[0:1]
	s_cbranch_execz .LBB2219_251
; %bb.242:
	v_lshl_add_u32 v0, s33, 8, v16
	v_lshl_add_u64 v[2:3], v[0:1], 2, s[88:89]
	v_or_b32_e32 v0, 2.0, v44
	s_mov_b64 s[4:5], 0
	s_brev_b32 s14, -4
	s_mov_b32 s15, s33
	v_mov_b32_e32 v6, 0
	global_store_dword v[2:3], v0, off sc1
                                        ; implicit-def: $sgpr0_sgpr1
	s_branch .LBB2219_245
.LBB2219_243:                           ;   in Loop: Header=BB2219_245 Depth=1
	s_or_b64 exec, exec, s[10:11]
.LBB2219_244:                           ;   in Loop: Header=BB2219_245 Depth=1
	s_or_b64 exec, exec, s[6:7]
	v_and_b32_e32 v4, 0x3fffffff, v0
	v_add_u32_e32 v6, v4, v6
	v_cmp_gt_i32_e64 s[0:1], -2.0, v0
	s_and_b64 s[6:7], exec, s[0:1]
	s_or_b64 s[4:5], s[6:7], s[4:5]
	s_andn2_b64 exec, exec, s[4:5]
	s_cbranch_execz .LBB2219_250
.LBB2219_245:                           ; =>This Loop Header: Depth=1
                                        ;     Child Loop BB2219_248 Depth 2
	s_or_b64 s[0:1], s[0:1], exec
	s_cmp_eq_u32 s15, 0
	s_cbranch_scc1 .LBB2219_249
; %bb.246:                              ;   in Loop: Header=BB2219_245 Depth=1
	s_add_i32 s15, s15, -1
	v_lshl_or_b32 v0, s15, 8, v16
	v_lshl_add_u64 v[4:5], v[0:1], 2, s[88:89]
	global_load_dword v0, v[4:5], off sc1
	s_waitcnt vmcnt(0)
	v_cmp_gt_u32_e64 s[0:1], 2.0, v0
	s_and_saveexec_b64 s[6:7], s[0:1]
	s_cbranch_execz .LBB2219_244
; %bb.247:                              ;   in Loop: Header=BB2219_245 Depth=1
	s_mov_b64 s[10:11], 0
.LBB2219_248:                           ;   Parent Loop BB2219_245 Depth=1
                                        ; =>  This Inner Loop Header: Depth=2
	global_load_dword v0, v[4:5], off sc1
	s_waitcnt vmcnt(0)
	v_cmp_lt_u32_e64 s[0:1], s14, v0
	s_or_b64 s[10:11], s[0:1], s[10:11]
	s_andn2_b64 exec, exec, s[10:11]
	s_cbranch_execnz .LBB2219_248
	s_branch .LBB2219_243
.LBB2219_249:                           ;   in Loop: Header=BB2219_245 Depth=1
                                        ; implicit-def: $sgpr15
	s_and_b64 s[6:7], exec, s[0:1]
	s_or_b64 s[4:5], s[6:7], s[4:5]
	s_andn2_b64 exec, exec, s[4:5]
	s_cbranch_execnz .LBB2219_245
.LBB2219_250:
	s_or_b64 exec, exec, s[4:5]
	v_add_u32_e32 v0, v6, v44
	v_or_b32_e32 v0, 0x80000000, v0
	global_store_dword v[2:3], v0, off sc1
	global_load_dword v0, v38, s[80:81]
	v_sub_u32_e32 v1, v6, v42
	s_waitcnt vmcnt(0)
	v_add_u32_e32 v0, v1, v0
	ds_write_b32 v38, v0
.LBB2219_251:
	s_or_b64 exec, exec, s[2:3]
	s_waitcnt lgkmcnt(0)
	s_barrier
	ds_read_u8 v1, v16 offset:1024
	ds_read_u8 v8, v16 offset:2048
	;; [unrolled: 1-line block ×8, first 2 shown]
	s_waitcnt lgkmcnt(7)
	v_and_b32_e32 v0, 1, v1
	v_xor_b32_e32 v15, 1, v1
	s_waitcnt lgkmcnt(6)
	v_and_b32_e32 v1, 1, v8
	s_waitcnt lgkmcnt(5)
	v_and_b32_e32 v2, 1, v9
	;; [unrolled: 2-line block ×7, first 2 shown]
	v_lshrrev_b32_e32 v0, s84, v0
	v_lshrrev_b32_e32 v1, s84, v1
	;; [unrolled: 1-line block ×8, first 2 shown]
	v_and_b32_e32 v0, s13, v0
	v_and_b32_e32 v1, s13, v1
	v_and_b32_e32 v2, s13, v2
	v_and_b32_e32 v3, s13, v3
	v_and_b32_e32 v4, s13, v4
	v_and_b32_e32 v5, s13, v5
	v_and_b32_e32 v6, s13, v6
	v_and_b32_e32 v7, s13, v7
	v_lshlrev_b32_e32 v21, 2, v0
	v_lshlrev_b32_e32 v84, 2, v1
	;; [unrolled: 1-line block ×8, first 2 shown]
	ds_read_b32 v21, v21
	ds_read_b32 v84, v84
	;; [unrolled: 1-line block ×8, first 2 shown]
	s_waitcnt lgkmcnt(7)
	v_add_u32_e32 v21, v21, v16
	s_movk_i32 s4, 0x400
	global_store_byte v21, v15, s[74:75]
	v_xor_b32_e32 v8, 1, v8
	s_waitcnt lgkmcnt(6)
	v_add3_u32 v15, v84, v16, s4
	s_movk_i32 s5, 0x800
	global_store_byte v15, v8, s[74:75]
	v_xor_b32_e32 v8, 1, v9
	s_waitcnt lgkmcnt(5)
	v_add3_u32 v9, v85, v16, s5
	;; [unrolled: 5-line block ×7, first 2 shown]
	global_store_byte v9, v8, s[74:75]
	ds_read_u8 v9, v16 offset:9216
	ds_read_u8 v21, v16 offset:10240
	;; [unrolled: 1-line block ×8, first 2 shown]
	s_waitcnt lgkmcnt(7)
	v_and_b32_e32 v8, 1, v9
	v_xor_b32_e32 v90, 1, v9
	s_waitcnt lgkmcnt(6)
	v_and_b32_e32 v9, 1, v21
	s_waitcnt lgkmcnt(5)
	v_and_b32_e32 v10, 1, v84
	s_waitcnt lgkmcnt(4)
	v_and_b32_e32 v11, 1, v85
	s_waitcnt lgkmcnt(3)
	v_and_b32_e32 v12, 1, v86
	s_waitcnt lgkmcnt(2)
	v_and_b32_e32 v13, 1, v87
	s_waitcnt lgkmcnt(1)
	v_and_b32_e32 v14, 1, v88
	s_waitcnt lgkmcnt(0)
	v_and_b32_e32 v15, 1, v89
	v_lshrrev_b32_e32 v8, s84, v8
	v_lshrrev_b32_e32 v9, s84, v9
	;; [unrolled: 1-line block ×8, first 2 shown]
	v_and_b32_e32 v8, s13, v8
	v_and_b32_e32 v9, s13, v9
	;; [unrolled: 1-line block ×8, first 2 shown]
	v_lshlrev_b32_e32 v91, 2, v8
	v_lshlrev_b32_e32 v92, 2, v9
	v_lshlrev_b32_e32 v93, 2, v10
	v_lshlrev_b32_e32 v94, 2, v11
	v_lshlrev_b32_e32 v95, 2, v12
	v_lshlrev_b32_e32 v96, 2, v13
	v_lshlrev_b32_e32 v97, 2, v14
	v_lshlrev_b32_e32 v98, 2, v15
	s_movk_i32 s0, 0x2000
	ds_read_b32 v91, v91
	ds_read_b32 v92, v92
	ds_read_b32 v93, v93
	ds_read_b32 v94, v94
	ds_read_b32 v95, v95
	ds_read_b32 v96, v96
	ds_read_b32 v97, v97
	ds_read_b32 v98, v98
	s_waitcnt lgkmcnt(7)
	v_add3_u32 v91, v91, v16, s0
	s_movk_i32 s0, 0x2400
	global_store_byte v91, v90, s[74:75]
	v_xor_b32_e32 v21, 1, v21
	s_waitcnt lgkmcnt(6)
	v_add3_u32 v90, v92, v16, s0
	s_movk_i32 s0, 0x2800
	global_store_byte v90, v21, s[74:75]
	v_xor_b32_e32 v21, 1, v84
	;; [unrolled: 5-line block ×6, first 2 shown]
	s_waitcnt lgkmcnt(1)
	v_add3_u32 v84, v97, v16, s0
	s_movk_i32 s0, 0x3c00
	global_store_byte v84, v21, s[74:75]
	s_waitcnt lgkmcnt(0)
	v_add3_u32 v84, v98, v16, s0
	s_lshl_b64 s[0:1], s[8:9], 2
	v_xor_b32_e32 v21, 1, v89
	s_add_u32 s0, s76, s0
	global_store_byte v84, v21, s[74:75]
	s_addc_u32 s1, s77, s1
	v_lshlrev_b32_e32 v20, 2, v20
	v_mov_b32_e32 v21, 0
	v_lshl_add_u64 v[84:85], s[0:1], 0, v[20:21]
	v_lshlrev_b32_e32 v20, 2, v18
	v_lshl_add_u64 v[98:99], v[84:85], 0, v[20:21]
	global_load_dword v18, v[98:99], off
	global_load_dword v84, v[98:99], off offset:256
	global_load_dword v85, v[98:99], off offset:512
	;; [unrolled: 1-line block ×14, first 2 shown]
	s_nop 0
	global_load_dword v98, v[98:99], off offset:3840
	v_mul_u32_u24_e32 v20, 3, v16
	v_mov_b32_e32 v99, 0x400
	scratch_store_dwordx4 off, v[0:3], off
	scratch_store_dwordx4 off, v[4:7], off offset:16
	scratch_store_dwordx4 off, v[8:11], off offset:32
	;; [unrolled: 1-line block ×3, first 2 shown]
	v_lshl_add_u32 v0, v83, 2, v99
	v_add3_u32 v1, v53, v73, v52
	v_lshl_add_u32 v2, v82, 2, v99
	v_add3_u32 v3, v51, v70, v50
	;; [unrolled: 2-line block ×15, first 2 shown]
	v_lshl_add_u32 v19, v46, 2, v99
	s_mov_b32 s8, 0
	s_mov_b32 s9, 0
	v_add_u32_e32 v35, v16, v20
	s_mov_b32 s10, 0
	s_barrier
	s_branch .LBB2219_253
.LBB2219_252:                           ;   in Loop: Header=BB2219_253 Depth=1
	s_or_b64 exec, exec, s[2:3]
	s_waitcnt lgkmcnt(0)
	s_barrier
	scratch_load_dwordx4 v[48:51], off, s8
	ds_read2st64_b32 v[36:37], v35 offset0:4 offset1:20
	ds_read2st64_b32 v[40:41], v35 offset0:36 offset1:52
	s_addk_i32 s10, 0xc000
	s_addk_i32 s9, 0xf000
	s_add_i32 s8, s8, 16
	s_cmp_eq_u32 s10, 0xffff0000
	s_waitcnt vmcnt(0)
	v_lshlrev_b32_e32 v20, 2, v48
	ds_read_b32 v20, v20
	v_lshlrev_b32_e32 v39, 2, v49
	v_lshlrev_b32_e32 v43, 2, v50
	;; [unrolled: 1-line block ×3, first 2 shown]
	ds_read_b32 v39, v39
	ds_read_b32 v43, v43
	;; [unrolled: 1-line block ×3, first 2 shown]
	s_waitcnt lgkmcnt(3)
	v_add_u32_e32 v20, v16, v20
	v_lshl_add_u64 v[48:49], v[20:21], 2, s[78:79]
	s_waitcnt lgkmcnt(2)
	v_add3_u32 v20, v16, v39, s4
	global_store_dword v[48:49], v36, off
	v_lshl_add_u64 v[48:49], v[20:21], 2, s[78:79]
	s_waitcnt lgkmcnt(1)
	v_add3_u32 v20, v16, v43, s5
	global_store_dword v[48:49], v37, off
	;; [unrolled: 4-line block ×3, first 2 shown]
	v_lshl_add_u64 v[36:37], v[20:21], 2, s[78:79]
	v_add_u32_e32 v16, 0x1000, v16
	global_store_dword v[36:37], v41, off
	s_barrier
	s_cbranch_scc1 .LBB2219_285
.LBB2219_253:                           ; =>This Inner Loop Header: Depth=1
	v_add_u32_e32 v20, s9, v46
	v_cmp_gt_u32_e64 s[0:1], s7, v20
	s_and_saveexec_b64 s[2:3], s[0:1]
	s_cbranch_execz .LBB2219_255
; %bb.254:                              ;   in Loop: Header=BB2219_253 Depth=1
	v_add_u32_e32 v20, s10, v19
	s_waitcnt vmcnt(19)
	ds_write_b32 v20, v18
.LBB2219_255:                           ;   in Loop: Header=BB2219_253 Depth=1
	s_or_b64 exec, exec, s[2:3]
	v_add_u32_e32 v20, s9, v17
	v_cmp_gt_u32_e64 s[0:1], s7, v20
	s_and_saveexec_b64 s[2:3], s[0:1]
	s_cbranch_execz .LBB2219_257
; %bb.256:                              ;   in Loop: Header=BB2219_253 Depth=1
	v_add_u32_e32 v20, s10, v23
	s_waitcnt vmcnt(18)
	ds_write_b32 v20, v84
.LBB2219_257:                           ;   in Loop: Header=BB2219_253 Depth=1
	s_or_b64 exec, exec, s[2:3]
	;; [unrolled: 10-line block ×15, first 2 shown]
	v_add_u32_e32 v20, s9, v1
	v_cmp_gt_u32_e64 s[0:1], s7, v20
	s_and_saveexec_b64 s[2:3], s[0:1]
	s_cbranch_execz .LBB2219_252
; %bb.284:                              ;   in Loop: Header=BB2219_253 Depth=1
	v_add_u32_e32 v20, s10, v0
	s_waitcnt vmcnt(4)
	ds_write_b32 v20, v98
	s_branch .LBB2219_252
.LBB2219_285:
	s_add_i32 s12, s12, -1
	s_cmp_eq_u32 s33, s12
	s_cselect_b64 s[0:1], -1, 0
	s_xor_b64 s[2:3], vcc, -1
	s_and_b64 s[0:1], s[2:3], s[0:1]
	s_and_saveexec_b64 s[2:3], s[0:1]
	s_cbranch_execz .LBB2219_287
; %bb.286:
	ds_read_b32 v0, v38
	s_waitcnt lgkmcnt(0)
	v_add3_u32 v0, v42, v44, v0
	global_store_dword v38, v0, s[82:83]
.LBB2219_287:
	s_endpgm
	.section	.rodata,"a",@progbits
	.p2align	6, 0x0
	.amdhsa_kernel _ZN7rocprim17ROCPRIM_400000_NS6detail17trampoline_kernelINS0_14default_configENS1_35radix_sort_onesweep_config_selectorIbiEEZZNS1_29radix_sort_onesweep_iterationIS3_Lb1EN6thrust23THRUST_200600_302600_NS6detail15normal_iteratorINS8_10device_ptrIbEEEESD_NSA_INSB_IiEEEESF_jNS0_19identity_decomposerENS1_16block_id_wrapperIjLb1EEEEE10hipError_tT1_PNSt15iterator_traitsISK_E10value_typeET2_T3_PNSL_ISQ_E10value_typeET4_T5_PSV_SW_PNS1_23onesweep_lookback_stateEbbT6_jjT7_P12ihipStream_tbENKUlT_T0_SK_SP_E_clISD_SD_SF_SF_EEDaS13_S14_SK_SP_EUlS13_E_NS1_11comp_targetILNS1_3genE6ELNS1_11target_archE950ELNS1_3gpuE13ELNS1_3repE0EEENS1_47radix_sort_onesweep_sort_config_static_selectorELNS0_4arch9wavefront6targetE1EEEvSK_
		.amdhsa_group_segment_fixed_size 20552
		.amdhsa_private_segment_fixed_size 80
		.amdhsa_kernarg_size 344
		.amdhsa_user_sgpr_count 2
		.amdhsa_user_sgpr_dispatch_ptr 0
		.amdhsa_user_sgpr_queue_ptr 0
		.amdhsa_user_sgpr_kernarg_segment_ptr 1
		.amdhsa_user_sgpr_dispatch_id 0
		.amdhsa_user_sgpr_kernarg_preload_length 0
		.amdhsa_user_sgpr_kernarg_preload_offset 0
		.amdhsa_user_sgpr_private_segment_size 0
		.amdhsa_uses_dynamic_stack 0
		.amdhsa_enable_private_segment 1
		.amdhsa_system_sgpr_workgroup_id_x 1
		.amdhsa_system_sgpr_workgroup_id_y 0
		.amdhsa_system_sgpr_workgroup_id_z 0
		.amdhsa_system_sgpr_workgroup_info 0
		.amdhsa_system_vgpr_workitem_id 2
		.amdhsa_next_free_vgpr 100
		.amdhsa_next_free_sgpr 96
		.amdhsa_accum_offset 100
		.amdhsa_reserve_vcc 1
		.amdhsa_float_round_mode_32 0
		.amdhsa_float_round_mode_16_64 0
		.amdhsa_float_denorm_mode_32 3
		.amdhsa_float_denorm_mode_16_64 3
		.amdhsa_dx10_clamp 1
		.amdhsa_ieee_mode 1
		.amdhsa_fp16_overflow 0
		.amdhsa_tg_split 0
		.amdhsa_exception_fp_ieee_invalid_op 0
		.amdhsa_exception_fp_denorm_src 0
		.amdhsa_exception_fp_ieee_div_zero 0
		.amdhsa_exception_fp_ieee_overflow 0
		.amdhsa_exception_fp_ieee_underflow 0
		.amdhsa_exception_fp_ieee_inexact 0
		.amdhsa_exception_int_div_zero 0
	.end_amdhsa_kernel
	.section	.text._ZN7rocprim17ROCPRIM_400000_NS6detail17trampoline_kernelINS0_14default_configENS1_35radix_sort_onesweep_config_selectorIbiEEZZNS1_29radix_sort_onesweep_iterationIS3_Lb1EN6thrust23THRUST_200600_302600_NS6detail15normal_iteratorINS8_10device_ptrIbEEEESD_NSA_INSB_IiEEEESF_jNS0_19identity_decomposerENS1_16block_id_wrapperIjLb1EEEEE10hipError_tT1_PNSt15iterator_traitsISK_E10value_typeET2_T3_PNSL_ISQ_E10value_typeET4_T5_PSV_SW_PNS1_23onesweep_lookback_stateEbbT6_jjT7_P12ihipStream_tbENKUlT_T0_SK_SP_E_clISD_SD_SF_SF_EEDaS13_S14_SK_SP_EUlS13_E_NS1_11comp_targetILNS1_3genE6ELNS1_11target_archE950ELNS1_3gpuE13ELNS1_3repE0EEENS1_47radix_sort_onesweep_sort_config_static_selectorELNS0_4arch9wavefront6targetE1EEEvSK_,"axG",@progbits,_ZN7rocprim17ROCPRIM_400000_NS6detail17trampoline_kernelINS0_14default_configENS1_35radix_sort_onesweep_config_selectorIbiEEZZNS1_29radix_sort_onesweep_iterationIS3_Lb1EN6thrust23THRUST_200600_302600_NS6detail15normal_iteratorINS8_10device_ptrIbEEEESD_NSA_INSB_IiEEEESF_jNS0_19identity_decomposerENS1_16block_id_wrapperIjLb1EEEEE10hipError_tT1_PNSt15iterator_traitsISK_E10value_typeET2_T3_PNSL_ISQ_E10value_typeET4_T5_PSV_SW_PNS1_23onesweep_lookback_stateEbbT6_jjT7_P12ihipStream_tbENKUlT_T0_SK_SP_E_clISD_SD_SF_SF_EEDaS13_S14_SK_SP_EUlS13_E_NS1_11comp_targetILNS1_3genE6ELNS1_11target_archE950ELNS1_3gpuE13ELNS1_3repE0EEENS1_47radix_sort_onesweep_sort_config_static_selectorELNS0_4arch9wavefront6targetE1EEEvSK_,comdat
.Lfunc_end2219:
	.size	_ZN7rocprim17ROCPRIM_400000_NS6detail17trampoline_kernelINS0_14default_configENS1_35radix_sort_onesweep_config_selectorIbiEEZZNS1_29radix_sort_onesweep_iterationIS3_Lb1EN6thrust23THRUST_200600_302600_NS6detail15normal_iteratorINS8_10device_ptrIbEEEESD_NSA_INSB_IiEEEESF_jNS0_19identity_decomposerENS1_16block_id_wrapperIjLb1EEEEE10hipError_tT1_PNSt15iterator_traitsISK_E10value_typeET2_T3_PNSL_ISQ_E10value_typeET4_T5_PSV_SW_PNS1_23onesweep_lookback_stateEbbT6_jjT7_P12ihipStream_tbENKUlT_T0_SK_SP_E_clISD_SD_SF_SF_EEDaS13_S14_SK_SP_EUlS13_E_NS1_11comp_targetILNS1_3genE6ELNS1_11target_archE950ELNS1_3gpuE13ELNS1_3repE0EEENS1_47radix_sort_onesweep_sort_config_static_selectorELNS0_4arch9wavefront6targetE1EEEvSK_, .Lfunc_end2219-_ZN7rocprim17ROCPRIM_400000_NS6detail17trampoline_kernelINS0_14default_configENS1_35radix_sort_onesweep_config_selectorIbiEEZZNS1_29radix_sort_onesweep_iterationIS3_Lb1EN6thrust23THRUST_200600_302600_NS6detail15normal_iteratorINS8_10device_ptrIbEEEESD_NSA_INSB_IiEEEESF_jNS0_19identity_decomposerENS1_16block_id_wrapperIjLb1EEEEE10hipError_tT1_PNSt15iterator_traitsISK_E10value_typeET2_T3_PNSL_ISQ_E10value_typeET4_T5_PSV_SW_PNS1_23onesweep_lookback_stateEbbT6_jjT7_P12ihipStream_tbENKUlT_T0_SK_SP_E_clISD_SD_SF_SF_EEDaS13_S14_SK_SP_EUlS13_E_NS1_11comp_targetILNS1_3genE6ELNS1_11target_archE950ELNS1_3gpuE13ELNS1_3repE0EEENS1_47radix_sort_onesweep_sort_config_static_selectorELNS0_4arch9wavefront6targetE1EEEvSK_
                                        ; -- End function
	.set _ZN7rocprim17ROCPRIM_400000_NS6detail17trampoline_kernelINS0_14default_configENS1_35radix_sort_onesweep_config_selectorIbiEEZZNS1_29radix_sort_onesweep_iterationIS3_Lb1EN6thrust23THRUST_200600_302600_NS6detail15normal_iteratorINS8_10device_ptrIbEEEESD_NSA_INSB_IiEEEESF_jNS0_19identity_decomposerENS1_16block_id_wrapperIjLb1EEEEE10hipError_tT1_PNSt15iterator_traitsISK_E10value_typeET2_T3_PNSL_ISQ_E10value_typeET4_T5_PSV_SW_PNS1_23onesweep_lookback_stateEbbT6_jjT7_P12ihipStream_tbENKUlT_T0_SK_SP_E_clISD_SD_SF_SF_EEDaS13_S14_SK_SP_EUlS13_E_NS1_11comp_targetILNS1_3genE6ELNS1_11target_archE950ELNS1_3gpuE13ELNS1_3repE0EEENS1_47radix_sort_onesweep_sort_config_static_selectorELNS0_4arch9wavefront6targetE1EEEvSK_.num_vgpr, 100
	.set _ZN7rocprim17ROCPRIM_400000_NS6detail17trampoline_kernelINS0_14default_configENS1_35radix_sort_onesweep_config_selectorIbiEEZZNS1_29radix_sort_onesweep_iterationIS3_Lb1EN6thrust23THRUST_200600_302600_NS6detail15normal_iteratorINS8_10device_ptrIbEEEESD_NSA_INSB_IiEEEESF_jNS0_19identity_decomposerENS1_16block_id_wrapperIjLb1EEEEE10hipError_tT1_PNSt15iterator_traitsISK_E10value_typeET2_T3_PNSL_ISQ_E10value_typeET4_T5_PSV_SW_PNS1_23onesweep_lookback_stateEbbT6_jjT7_P12ihipStream_tbENKUlT_T0_SK_SP_E_clISD_SD_SF_SF_EEDaS13_S14_SK_SP_EUlS13_E_NS1_11comp_targetILNS1_3genE6ELNS1_11target_archE950ELNS1_3gpuE13ELNS1_3repE0EEENS1_47radix_sort_onesweep_sort_config_static_selectorELNS0_4arch9wavefront6targetE1EEEvSK_.num_agpr, 0
	.set _ZN7rocprim17ROCPRIM_400000_NS6detail17trampoline_kernelINS0_14default_configENS1_35radix_sort_onesweep_config_selectorIbiEEZZNS1_29radix_sort_onesweep_iterationIS3_Lb1EN6thrust23THRUST_200600_302600_NS6detail15normal_iteratorINS8_10device_ptrIbEEEESD_NSA_INSB_IiEEEESF_jNS0_19identity_decomposerENS1_16block_id_wrapperIjLb1EEEEE10hipError_tT1_PNSt15iterator_traitsISK_E10value_typeET2_T3_PNSL_ISQ_E10value_typeET4_T5_PSV_SW_PNS1_23onesweep_lookback_stateEbbT6_jjT7_P12ihipStream_tbENKUlT_T0_SK_SP_E_clISD_SD_SF_SF_EEDaS13_S14_SK_SP_EUlS13_E_NS1_11comp_targetILNS1_3genE6ELNS1_11target_archE950ELNS1_3gpuE13ELNS1_3repE0EEENS1_47radix_sort_onesweep_sort_config_static_selectorELNS0_4arch9wavefront6targetE1EEEvSK_.numbered_sgpr, 96
	.set _ZN7rocprim17ROCPRIM_400000_NS6detail17trampoline_kernelINS0_14default_configENS1_35radix_sort_onesweep_config_selectorIbiEEZZNS1_29radix_sort_onesweep_iterationIS3_Lb1EN6thrust23THRUST_200600_302600_NS6detail15normal_iteratorINS8_10device_ptrIbEEEESD_NSA_INSB_IiEEEESF_jNS0_19identity_decomposerENS1_16block_id_wrapperIjLb1EEEEE10hipError_tT1_PNSt15iterator_traitsISK_E10value_typeET2_T3_PNSL_ISQ_E10value_typeET4_T5_PSV_SW_PNS1_23onesweep_lookback_stateEbbT6_jjT7_P12ihipStream_tbENKUlT_T0_SK_SP_E_clISD_SD_SF_SF_EEDaS13_S14_SK_SP_EUlS13_E_NS1_11comp_targetILNS1_3genE6ELNS1_11target_archE950ELNS1_3gpuE13ELNS1_3repE0EEENS1_47radix_sort_onesweep_sort_config_static_selectorELNS0_4arch9wavefront6targetE1EEEvSK_.num_named_barrier, 0
	.set _ZN7rocprim17ROCPRIM_400000_NS6detail17trampoline_kernelINS0_14default_configENS1_35radix_sort_onesweep_config_selectorIbiEEZZNS1_29radix_sort_onesweep_iterationIS3_Lb1EN6thrust23THRUST_200600_302600_NS6detail15normal_iteratorINS8_10device_ptrIbEEEESD_NSA_INSB_IiEEEESF_jNS0_19identity_decomposerENS1_16block_id_wrapperIjLb1EEEEE10hipError_tT1_PNSt15iterator_traitsISK_E10value_typeET2_T3_PNSL_ISQ_E10value_typeET4_T5_PSV_SW_PNS1_23onesweep_lookback_stateEbbT6_jjT7_P12ihipStream_tbENKUlT_T0_SK_SP_E_clISD_SD_SF_SF_EEDaS13_S14_SK_SP_EUlS13_E_NS1_11comp_targetILNS1_3genE6ELNS1_11target_archE950ELNS1_3gpuE13ELNS1_3repE0EEENS1_47radix_sort_onesweep_sort_config_static_selectorELNS0_4arch9wavefront6targetE1EEEvSK_.private_seg_size, 80
	.set _ZN7rocprim17ROCPRIM_400000_NS6detail17trampoline_kernelINS0_14default_configENS1_35radix_sort_onesweep_config_selectorIbiEEZZNS1_29radix_sort_onesweep_iterationIS3_Lb1EN6thrust23THRUST_200600_302600_NS6detail15normal_iteratorINS8_10device_ptrIbEEEESD_NSA_INSB_IiEEEESF_jNS0_19identity_decomposerENS1_16block_id_wrapperIjLb1EEEEE10hipError_tT1_PNSt15iterator_traitsISK_E10value_typeET2_T3_PNSL_ISQ_E10value_typeET4_T5_PSV_SW_PNS1_23onesweep_lookback_stateEbbT6_jjT7_P12ihipStream_tbENKUlT_T0_SK_SP_E_clISD_SD_SF_SF_EEDaS13_S14_SK_SP_EUlS13_E_NS1_11comp_targetILNS1_3genE6ELNS1_11target_archE950ELNS1_3gpuE13ELNS1_3repE0EEENS1_47radix_sort_onesweep_sort_config_static_selectorELNS0_4arch9wavefront6targetE1EEEvSK_.uses_vcc, 1
	.set _ZN7rocprim17ROCPRIM_400000_NS6detail17trampoline_kernelINS0_14default_configENS1_35radix_sort_onesweep_config_selectorIbiEEZZNS1_29radix_sort_onesweep_iterationIS3_Lb1EN6thrust23THRUST_200600_302600_NS6detail15normal_iteratorINS8_10device_ptrIbEEEESD_NSA_INSB_IiEEEESF_jNS0_19identity_decomposerENS1_16block_id_wrapperIjLb1EEEEE10hipError_tT1_PNSt15iterator_traitsISK_E10value_typeET2_T3_PNSL_ISQ_E10value_typeET4_T5_PSV_SW_PNS1_23onesweep_lookback_stateEbbT6_jjT7_P12ihipStream_tbENKUlT_T0_SK_SP_E_clISD_SD_SF_SF_EEDaS13_S14_SK_SP_EUlS13_E_NS1_11comp_targetILNS1_3genE6ELNS1_11target_archE950ELNS1_3gpuE13ELNS1_3repE0EEENS1_47radix_sort_onesweep_sort_config_static_selectorELNS0_4arch9wavefront6targetE1EEEvSK_.uses_flat_scratch, 0
	.set _ZN7rocprim17ROCPRIM_400000_NS6detail17trampoline_kernelINS0_14default_configENS1_35radix_sort_onesweep_config_selectorIbiEEZZNS1_29radix_sort_onesweep_iterationIS3_Lb1EN6thrust23THRUST_200600_302600_NS6detail15normal_iteratorINS8_10device_ptrIbEEEESD_NSA_INSB_IiEEEESF_jNS0_19identity_decomposerENS1_16block_id_wrapperIjLb1EEEEE10hipError_tT1_PNSt15iterator_traitsISK_E10value_typeET2_T3_PNSL_ISQ_E10value_typeET4_T5_PSV_SW_PNS1_23onesweep_lookback_stateEbbT6_jjT7_P12ihipStream_tbENKUlT_T0_SK_SP_E_clISD_SD_SF_SF_EEDaS13_S14_SK_SP_EUlS13_E_NS1_11comp_targetILNS1_3genE6ELNS1_11target_archE950ELNS1_3gpuE13ELNS1_3repE0EEENS1_47radix_sort_onesweep_sort_config_static_selectorELNS0_4arch9wavefront6targetE1EEEvSK_.has_dyn_sized_stack, 0
	.set _ZN7rocprim17ROCPRIM_400000_NS6detail17trampoline_kernelINS0_14default_configENS1_35radix_sort_onesweep_config_selectorIbiEEZZNS1_29radix_sort_onesweep_iterationIS3_Lb1EN6thrust23THRUST_200600_302600_NS6detail15normal_iteratorINS8_10device_ptrIbEEEESD_NSA_INSB_IiEEEESF_jNS0_19identity_decomposerENS1_16block_id_wrapperIjLb1EEEEE10hipError_tT1_PNSt15iterator_traitsISK_E10value_typeET2_T3_PNSL_ISQ_E10value_typeET4_T5_PSV_SW_PNS1_23onesweep_lookback_stateEbbT6_jjT7_P12ihipStream_tbENKUlT_T0_SK_SP_E_clISD_SD_SF_SF_EEDaS13_S14_SK_SP_EUlS13_E_NS1_11comp_targetILNS1_3genE6ELNS1_11target_archE950ELNS1_3gpuE13ELNS1_3repE0EEENS1_47radix_sort_onesweep_sort_config_static_selectorELNS0_4arch9wavefront6targetE1EEEvSK_.has_recursion, 0
	.set _ZN7rocprim17ROCPRIM_400000_NS6detail17trampoline_kernelINS0_14default_configENS1_35radix_sort_onesweep_config_selectorIbiEEZZNS1_29radix_sort_onesweep_iterationIS3_Lb1EN6thrust23THRUST_200600_302600_NS6detail15normal_iteratorINS8_10device_ptrIbEEEESD_NSA_INSB_IiEEEESF_jNS0_19identity_decomposerENS1_16block_id_wrapperIjLb1EEEEE10hipError_tT1_PNSt15iterator_traitsISK_E10value_typeET2_T3_PNSL_ISQ_E10value_typeET4_T5_PSV_SW_PNS1_23onesweep_lookback_stateEbbT6_jjT7_P12ihipStream_tbENKUlT_T0_SK_SP_E_clISD_SD_SF_SF_EEDaS13_S14_SK_SP_EUlS13_E_NS1_11comp_targetILNS1_3genE6ELNS1_11target_archE950ELNS1_3gpuE13ELNS1_3repE0EEENS1_47radix_sort_onesweep_sort_config_static_selectorELNS0_4arch9wavefront6targetE1EEEvSK_.has_indirect_call, 0
	.section	.AMDGPU.csdata,"",@progbits
; Kernel info:
; codeLenInByte = 15348
; TotalNumSgprs: 102
; NumVgprs: 100
; NumAgprs: 0
; TotalNumVgprs: 100
; ScratchSize: 80
; MemoryBound: 0
; FloatMode: 240
; IeeeMode: 1
; LDSByteSize: 20552 bytes/workgroup (compile time only)
; SGPRBlocks: 12
; VGPRBlocks: 12
; NumSGPRsForWavesPerEU: 102
; NumVGPRsForWavesPerEU: 100
; AccumOffset: 100
; Occupancy: 4
; WaveLimiterHint : 1
; COMPUTE_PGM_RSRC2:SCRATCH_EN: 1
; COMPUTE_PGM_RSRC2:USER_SGPR: 2
; COMPUTE_PGM_RSRC2:TRAP_HANDLER: 0
; COMPUTE_PGM_RSRC2:TGID_X_EN: 1
; COMPUTE_PGM_RSRC2:TGID_Y_EN: 0
; COMPUTE_PGM_RSRC2:TGID_Z_EN: 0
; COMPUTE_PGM_RSRC2:TIDIG_COMP_CNT: 2
; COMPUTE_PGM_RSRC3_GFX90A:ACCUM_OFFSET: 24
; COMPUTE_PGM_RSRC3_GFX90A:TG_SPLIT: 0
	.section	.text._ZN7rocprim17ROCPRIM_400000_NS6detail17trampoline_kernelINS0_14default_configENS1_35radix_sort_onesweep_config_selectorIbiEEZZNS1_29radix_sort_onesweep_iterationIS3_Lb1EN6thrust23THRUST_200600_302600_NS6detail15normal_iteratorINS8_10device_ptrIbEEEESD_NSA_INSB_IiEEEESF_jNS0_19identity_decomposerENS1_16block_id_wrapperIjLb1EEEEE10hipError_tT1_PNSt15iterator_traitsISK_E10value_typeET2_T3_PNSL_ISQ_E10value_typeET4_T5_PSV_SW_PNS1_23onesweep_lookback_stateEbbT6_jjT7_P12ihipStream_tbENKUlT_T0_SK_SP_E_clISD_SD_SF_SF_EEDaS13_S14_SK_SP_EUlS13_E_NS1_11comp_targetILNS1_3genE5ELNS1_11target_archE942ELNS1_3gpuE9ELNS1_3repE0EEENS1_47radix_sort_onesweep_sort_config_static_selectorELNS0_4arch9wavefront6targetE1EEEvSK_,"axG",@progbits,_ZN7rocprim17ROCPRIM_400000_NS6detail17trampoline_kernelINS0_14default_configENS1_35radix_sort_onesweep_config_selectorIbiEEZZNS1_29radix_sort_onesweep_iterationIS3_Lb1EN6thrust23THRUST_200600_302600_NS6detail15normal_iteratorINS8_10device_ptrIbEEEESD_NSA_INSB_IiEEEESF_jNS0_19identity_decomposerENS1_16block_id_wrapperIjLb1EEEEE10hipError_tT1_PNSt15iterator_traitsISK_E10value_typeET2_T3_PNSL_ISQ_E10value_typeET4_T5_PSV_SW_PNS1_23onesweep_lookback_stateEbbT6_jjT7_P12ihipStream_tbENKUlT_T0_SK_SP_E_clISD_SD_SF_SF_EEDaS13_S14_SK_SP_EUlS13_E_NS1_11comp_targetILNS1_3genE5ELNS1_11target_archE942ELNS1_3gpuE9ELNS1_3repE0EEENS1_47radix_sort_onesweep_sort_config_static_selectorELNS0_4arch9wavefront6targetE1EEEvSK_,comdat
	.protected	_ZN7rocprim17ROCPRIM_400000_NS6detail17trampoline_kernelINS0_14default_configENS1_35radix_sort_onesweep_config_selectorIbiEEZZNS1_29radix_sort_onesweep_iterationIS3_Lb1EN6thrust23THRUST_200600_302600_NS6detail15normal_iteratorINS8_10device_ptrIbEEEESD_NSA_INSB_IiEEEESF_jNS0_19identity_decomposerENS1_16block_id_wrapperIjLb1EEEEE10hipError_tT1_PNSt15iterator_traitsISK_E10value_typeET2_T3_PNSL_ISQ_E10value_typeET4_T5_PSV_SW_PNS1_23onesweep_lookback_stateEbbT6_jjT7_P12ihipStream_tbENKUlT_T0_SK_SP_E_clISD_SD_SF_SF_EEDaS13_S14_SK_SP_EUlS13_E_NS1_11comp_targetILNS1_3genE5ELNS1_11target_archE942ELNS1_3gpuE9ELNS1_3repE0EEENS1_47radix_sort_onesweep_sort_config_static_selectorELNS0_4arch9wavefront6targetE1EEEvSK_ ; -- Begin function _ZN7rocprim17ROCPRIM_400000_NS6detail17trampoline_kernelINS0_14default_configENS1_35radix_sort_onesweep_config_selectorIbiEEZZNS1_29radix_sort_onesweep_iterationIS3_Lb1EN6thrust23THRUST_200600_302600_NS6detail15normal_iteratorINS8_10device_ptrIbEEEESD_NSA_INSB_IiEEEESF_jNS0_19identity_decomposerENS1_16block_id_wrapperIjLb1EEEEE10hipError_tT1_PNSt15iterator_traitsISK_E10value_typeET2_T3_PNSL_ISQ_E10value_typeET4_T5_PSV_SW_PNS1_23onesweep_lookback_stateEbbT6_jjT7_P12ihipStream_tbENKUlT_T0_SK_SP_E_clISD_SD_SF_SF_EEDaS13_S14_SK_SP_EUlS13_E_NS1_11comp_targetILNS1_3genE5ELNS1_11target_archE942ELNS1_3gpuE9ELNS1_3repE0EEENS1_47radix_sort_onesweep_sort_config_static_selectorELNS0_4arch9wavefront6targetE1EEEvSK_
	.globl	_ZN7rocprim17ROCPRIM_400000_NS6detail17trampoline_kernelINS0_14default_configENS1_35radix_sort_onesweep_config_selectorIbiEEZZNS1_29radix_sort_onesweep_iterationIS3_Lb1EN6thrust23THRUST_200600_302600_NS6detail15normal_iteratorINS8_10device_ptrIbEEEESD_NSA_INSB_IiEEEESF_jNS0_19identity_decomposerENS1_16block_id_wrapperIjLb1EEEEE10hipError_tT1_PNSt15iterator_traitsISK_E10value_typeET2_T3_PNSL_ISQ_E10value_typeET4_T5_PSV_SW_PNS1_23onesweep_lookback_stateEbbT6_jjT7_P12ihipStream_tbENKUlT_T0_SK_SP_E_clISD_SD_SF_SF_EEDaS13_S14_SK_SP_EUlS13_E_NS1_11comp_targetILNS1_3genE5ELNS1_11target_archE942ELNS1_3gpuE9ELNS1_3repE0EEENS1_47radix_sort_onesweep_sort_config_static_selectorELNS0_4arch9wavefront6targetE1EEEvSK_
	.p2align	8
	.type	_ZN7rocprim17ROCPRIM_400000_NS6detail17trampoline_kernelINS0_14default_configENS1_35radix_sort_onesweep_config_selectorIbiEEZZNS1_29radix_sort_onesweep_iterationIS3_Lb1EN6thrust23THRUST_200600_302600_NS6detail15normal_iteratorINS8_10device_ptrIbEEEESD_NSA_INSB_IiEEEESF_jNS0_19identity_decomposerENS1_16block_id_wrapperIjLb1EEEEE10hipError_tT1_PNSt15iterator_traitsISK_E10value_typeET2_T3_PNSL_ISQ_E10value_typeET4_T5_PSV_SW_PNS1_23onesweep_lookback_stateEbbT6_jjT7_P12ihipStream_tbENKUlT_T0_SK_SP_E_clISD_SD_SF_SF_EEDaS13_S14_SK_SP_EUlS13_E_NS1_11comp_targetILNS1_3genE5ELNS1_11target_archE942ELNS1_3gpuE9ELNS1_3repE0EEENS1_47radix_sort_onesweep_sort_config_static_selectorELNS0_4arch9wavefront6targetE1EEEvSK_,@function
_ZN7rocprim17ROCPRIM_400000_NS6detail17trampoline_kernelINS0_14default_configENS1_35radix_sort_onesweep_config_selectorIbiEEZZNS1_29radix_sort_onesweep_iterationIS3_Lb1EN6thrust23THRUST_200600_302600_NS6detail15normal_iteratorINS8_10device_ptrIbEEEESD_NSA_INSB_IiEEEESF_jNS0_19identity_decomposerENS1_16block_id_wrapperIjLb1EEEEE10hipError_tT1_PNSt15iterator_traitsISK_E10value_typeET2_T3_PNSL_ISQ_E10value_typeET4_T5_PSV_SW_PNS1_23onesweep_lookback_stateEbbT6_jjT7_P12ihipStream_tbENKUlT_T0_SK_SP_E_clISD_SD_SF_SF_EEDaS13_S14_SK_SP_EUlS13_E_NS1_11comp_targetILNS1_3genE5ELNS1_11target_archE942ELNS1_3gpuE9ELNS1_3repE0EEENS1_47radix_sort_onesweep_sort_config_static_selectorELNS0_4arch9wavefront6targetE1EEEvSK_: ; @_ZN7rocprim17ROCPRIM_400000_NS6detail17trampoline_kernelINS0_14default_configENS1_35radix_sort_onesweep_config_selectorIbiEEZZNS1_29radix_sort_onesweep_iterationIS3_Lb1EN6thrust23THRUST_200600_302600_NS6detail15normal_iteratorINS8_10device_ptrIbEEEESD_NSA_INSB_IiEEEESF_jNS0_19identity_decomposerENS1_16block_id_wrapperIjLb1EEEEE10hipError_tT1_PNSt15iterator_traitsISK_E10value_typeET2_T3_PNSL_ISQ_E10value_typeET4_T5_PSV_SW_PNS1_23onesweep_lookback_stateEbbT6_jjT7_P12ihipStream_tbENKUlT_T0_SK_SP_E_clISD_SD_SF_SF_EEDaS13_S14_SK_SP_EUlS13_E_NS1_11comp_targetILNS1_3genE5ELNS1_11target_archE942ELNS1_3gpuE9ELNS1_3repE0EEENS1_47radix_sort_onesweep_sort_config_static_selectorELNS0_4arch9wavefront6targetE1EEEvSK_
; %bb.0:
	.section	.rodata,"a",@progbits
	.p2align	6, 0x0
	.amdhsa_kernel _ZN7rocprim17ROCPRIM_400000_NS6detail17trampoline_kernelINS0_14default_configENS1_35radix_sort_onesweep_config_selectorIbiEEZZNS1_29radix_sort_onesweep_iterationIS3_Lb1EN6thrust23THRUST_200600_302600_NS6detail15normal_iteratorINS8_10device_ptrIbEEEESD_NSA_INSB_IiEEEESF_jNS0_19identity_decomposerENS1_16block_id_wrapperIjLb1EEEEE10hipError_tT1_PNSt15iterator_traitsISK_E10value_typeET2_T3_PNSL_ISQ_E10value_typeET4_T5_PSV_SW_PNS1_23onesweep_lookback_stateEbbT6_jjT7_P12ihipStream_tbENKUlT_T0_SK_SP_E_clISD_SD_SF_SF_EEDaS13_S14_SK_SP_EUlS13_E_NS1_11comp_targetILNS1_3genE5ELNS1_11target_archE942ELNS1_3gpuE9ELNS1_3repE0EEENS1_47radix_sort_onesweep_sort_config_static_selectorELNS0_4arch9wavefront6targetE1EEEvSK_
		.amdhsa_group_segment_fixed_size 0
		.amdhsa_private_segment_fixed_size 0
		.amdhsa_kernarg_size 88
		.amdhsa_user_sgpr_count 2
		.amdhsa_user_sgpr_dispatch_ptr 0
		.amdhsa_user_sgpr_queue_ptr 0
		.amdhsa_user_sgpr_kernarg_segment_ptr 1
		.amdhsa_user_sgpr_dispatch_id 0
		.amdhsa_user_sgpr_kernarg_preload_length 0
		.amdhsa_user_sgpr_kernarg_preload_offset 0
		.amdhsa_user_sgpr_private_segment_size 0
		.amdhsa_uses_dynamic_stack 0
		.amdhsa_enable_private_segment 0
		.amdhsa_system_sgpr_workgroup_id_x 1
		.amdhsa_system_sgpr_workgroup_id_y 0
		.amdhsa_system_sgpr_workgroup_id_z 0
		.amdhsa_system_sgpr_workgroup_info 0
		.amdhsa_system_vgpr_workitem_id 0
		.amdhsa_next_free_vgpr 1
		.amdhsa_next_free_sgpr 0
		.amdhsa_accum_offset 4
		.amdhsa_reserve_vcc 0
		.amdhsa_float_round_mode_32 0
		.amdhsa_float_round_mode_16_64 0
		.amdhsa_float_denorm_mode_32 3
		.amdhsa_float_denorm_mode_16_64 3
		.amdhsa_dx10_clamp 1
		.amdhsa_ieee_mode 1
		.amdhsa_fp16_overflow 0
		.amdhsa_tg_split 0
		.amdhsa_exception_fp_ieee_invalid_op 0
		.amdhsa_exception_fp_denorm_src 0
		.amdhsa_exception_fp_ieee_div_zero 0
		.amdhsa_exception_fp_ieee_overflow 0
		.amdhsa_exception_fp_ieee_underflow 0
		.amdhsa_exception_fp_ieee_inexact 0
		.amdhsa_exception_int_div_zero 0
	.end_amdhsa_kernel
	.section	.text._ZN7rocprim17ROCPRIM_400000_NS6detail17trampoline_kernelINS0_14default_configENS1_35radix_sort_onesweep_config_selectorIbiEEZZNS1_29radix_sort_onesweep_iterationIS3_Lb1EN6thrust23THRUST_200600_302600_NS6detail15normal_iteratorINS8_10device_ptrIbEEEESD_NSA_INSB_IiEEEESF_jNS0_19identity_decomposerENS1_16block_id_wrapperIjLb1EEEEE10hipError_tT1_PNSt15iterator_traitsISK_E10value_typeET2_T3_PNSL_ISQ_E10value_typeET4_T5_PSV_SW_PNS1_23onesweep_lookback_stateEbbT6_jjT7_P12ihipStream_tbENKUlT_T0_SK_SP_E_clISD_SD_SF_SF_EEDaS13_S14_SK_SP_EUlS13_E_NS1_11comp_targetILNS1_3genE5ELNS1_11target_archE942ELNS1_3gpuE9ELNS1_3repE0EEENS1_47radix_sort_onesweep_sort_config_static_selectorELNS0_4arch9wavefront6targetE1EEEvSK_,"axG",@progbits,_ZN7rocprim17ROCPRIM_400000_NS6detail17trampoline_kernelINS0_14default_configENS1_35radix_sort_onesweep_config_selectorIbiEEZZNS1_29radix_sort_onesweep_iterationIS3_Lb1EN6thrust23THRUST_200600_302600_NS6detail15normal_iteratorINS8_10device_ptrIbEEEESD_NSA_INSB_IiEEEESF_jNS0_19identity_decomposerENS1_16block_id_wrapperIjLb1EEEEE10hipError_tT1_PNSt15iterator_traitsISK_E10value_typeET2_T3_PNSL_ISQ_E10value_typeET4_T5_PSV_SW_PNS1_23onesweep_lookback_stateEbbT6_jjT7_P12ihipStream_tbENKUlT_T0_SK_SP_E_clISD_SD_SF_SF_EEDaS13_S14_SK_SP_EUlS13_E_NS1_11comp_targetILNS1_3genE5ELNS1_11target_archE942ELNS1_3gpuE9ELNS1_3repE0EEENS1_47radix_sort_onesweep_sort_config_static_selectorELNS0_4arch9wavefront6targetE1EEEvSK_,comdat
.Lfunc_end2220:
	.size	_ZN7rocprim17ROCPRIM_400000_NS6detail17trampoline_kernelINS0_14default_configENS1_35radix_sort_onesweep_config_selectorIbiEEZZNS1_29radix_sort_onesweep_iterationIS3_Lb1EN6thrust23THRUST_200600_302600_NS6detail15normal_iteratorINS8_10device_ptrIbEEEESD_NSA_INSB_IiEEEESF_jNS0_19identity_decomposerENS1_16block_id_wrapperIjLb1EEEEE10hipError_tT1_PNSt15iterator_traitsISK_E10value_typeET2_T3_PNSL_ISQ_E10value_typeET4_T5_PSV_SW_PNS1_23onesweep_lookback_stateEbbT6_jjT7_P12ihipStream_tbENKUlT_T0_SK_SP_E_clISD_SD_SF_SF_EEDaS13_S14_SK_SP_EUlS13_E_NS1_11comp_targetILNS1_3genE5ELNS1_11target_archE942ELNS1_3gpuE9ELNS1_3repE0EEENS1_47radix_sort_onesweep_sort_config_static_selectorELNS0_4arch9wavefront6targetE1EEEvSK_, .Lfunc_end2220-_ZN7rocprim17ROCPRIM_400000_NS6detail17trampoline_kernelINS0_14default_configENS1_35radix_sort_onesweep_config_selectorIbiEEZZNS1_29radix_sort_onesweep_iterationIS3_Lb1EN6thrust23THRUST_200600_302600_NS6detail15normal_iteratorINS8_10device_ptrIbEEEESD_NSA_INSB_IiEEEESF_jNS0_19identity_decomposerENS1_16block_id_wrapperIjLb1EEEEE10hipError_tT1_PNSt15iterator_traitsISK_E10value_typeET2_T3_PNSL_ISQ_E10value_typeET4_T5_PSV_SW_PNS1_23onesweep_lookback_stateEbbT6_jjT7_P12ihipStream_tbENKUlT_T0_SK_SP_E_clISD_SD_SF_SF_EEDaS13_S14_SK_SP_EUlS13_E_NS1_11comp_targetILNS1_3genE5ELNS1_11target_archE942ELNS1_3gpuE9ELNS1_3repE0EEENS1_47radix_sort_onesweep_sort_config_static_selectorELNS0_4arch9wavefront6targetE1EEEvSK_
                                        ; -- End function
	.set _ZN7rocprim17ROCPRIM_400000_NS6detail17trampoline_kernelINS0_14default_configENS1_35radix_sort_onesweep_config_selectorIbiEEZZNS1_29radix_sort_onesweep_iterationIS3_Lb1EN6thrust23THRUST_200600_302600_NS6detail15normal_iteratorINS8_10device_ptrIbEEEESD_NSA_INSB_IiEEEESF_jNS0_19identity_decomposerENS1_16block_id_wrapperIjLb1EEEEE10hipError_tT1_PNSt15iterator_traitsISK_E10value_typeET2_T3_PNSL_ISQ_E10value_typeET4_T5_PSV_SW_PNS1_23onesweep_lookback_stateEbbT6_jjT7_P12ihipStream_tbENKUlT_T0_SK_SP_E_clISD_SD_SF_SF_EEDaS13_S14_SK_SP_EUlS13_E_NS1_11comp_targetILNS1_3genE5ELNS1_11target_archE942ELNS1_3gpuE9ELNS1_3repE0EEENS1_47radix_sort_onesweep_sort_config_static_selectorELNS0_4arch9wavefront6targetE1EEEvSK_.num_vgpr, 0
	.set _ZN7rocprim17ROCPRIM_400000_NS6detail17trampoline_kernelINS0_14default_configENS1_35radix_sort_onesweep_config_selectorIbiEEZZNS1_29radix_sort_onesweep_iterationIS3_Lb1EN6thrust23THRUST_200600_302600_NS6detail15normal_iteratorINS8_10device_ptrIbEEEESD_NSA_INSB_IiEEEESF_jNS0_19identity_decomposerENS1_16block_id_wrapperIjLb1EEEEE10hipError_tT1_PNSt15iterator_traitsISK_E10value_typeET2_T3_PNSL_ISQ_E10value_typeET4_T5_PSV_SW_PNS1_23onesweep_lookback_stateEbbT6_jjT7_P12ihipStream_tbENKUlT_T0_SK_SP_E_clISD_SD_SF_SF_EEDaS13_S14_SK_SP_EUlS13_E_NS1_11comp_targetILNS1_3genE5ELNS1_11target_archE942ELNS1_3gpuE9ELNS1_3repE0EEENS1_47radix_sort_onesweep_sort_config_static_selectorELNS0_4arch9wavefront6targetE1EEEvSK_.num_agpr, 0
	.set _ZN7rocprim17ROCPRIM_400000_NS6detail17trampoline_kernelINS0_14default_configENS1_35radix_sort_onesweep_config_selectorIbiEEZZNS1_29radix_sort_onesweep_iterationIS3_Lb1EN6thrust23THRUST_200600_302600_NS6detail15normal_iteratorINS8_10device_ptrIbEEEESD_NSA_INSB_IiEEEESF_jNS0_19identity_decomposerENS1_16block_id_wrapperIjLb1EEEEE10hipError_tT1_PNSt15iterator_traitsISK_E10value_typeET2_T3_PNSL_ISQ_E10value_typeET4_T5_PSV_SW_PNS1_23onesweep_lookback_stateEbbT6_jjT7_P12ihipStream_tbENKUlT_T0_SK_SP_E_clISD_SD_SF_SF_EEDaS13_S14_SK_SP_EUlS13_E_NS1_11comp_targetILNS1_3genE5ELNS1_11target_archE942ELNS1_3gpuE9ELNS1_3repE0EEENS1_47radix_sort_onesweep_sort_config_static_selectorELNS0_4arch9wavefront6targetE1EEEvSK_.numbered_sgpr, 0
	.set _ZN7rocprim17ROCPRIM_400000_NS6detail17trampoline_kernelINS0_14default_configENS1_35radix_sort_onesweep_config_selectorIbiEEZZNS1_29radix_sort_onesweep_iterationIS3_Lb1EN6thrust23THRUST_200600_302600_NS6detail15normal_iteratorINS8_10device_ptrIbEEEESD_NSA_INSB_IiEEEESF_jNS0_19identity_decomposerENS1_16block_id_wrapperIjLb1EEEEE10hipError_tT1_PNSt15iterator_traitsISK_E10value_typeET2_T3_PNSL_ISQ_E10value_typeET4_T5_PSV_SW_PNS1_23onesweep_lookback_stateEbbT6_jjT7_P12ihipStream_tbENKUlT_T0_SK_SP_E_clISD_SD_SF_SF_EEDaS13_S14_SK_SP_EUlS13_E_NS1_11comp_targetILNS1_3genE5ELNS1_11target_archE942ELNS1_3gpuE9ELNS1_3repE0EEENS1_47radix_sort_onesweep_sort_config_static_selectorELNS0_4arch9wavefront6targetE1EEEvSK_.num_named_barrier, 0
	.set _ZN7rocprim17ROCPRIM_400000_NS6detail17trampoline_kernelINS0_14default_configENS1_35radix_sort_onesweep_config_selectorIbiEEZZNS1_29radix_sort_onesweep_iterationIS3_Lb1EN6thrust23THRUST_200600_302600_NS6detail15normal_iteratorINS8_10device_ptrIbEEEESD_NSA_INSB_IiEEEESF_jNS0_19identity_decomposerENS1_16block_id_wrapperIjLb1EEEEE10hipError_tT1_PNSt15iterator_traitsISK_E10value_typeET2_T3_PNSL_ISQ_E10value_typeET4_T5_PSV_SW_PNS1_23onesweep_lookback_stateEbbT6_jjT7_P12ihipStream_tbENKUlT_T0_SK_SP_E_clISD_SD_SF_SF_EEDaS13_S14_SK_SP_EUlS13_E_NS1_11comp_targetILNS1_3genE5ELNS1_11target_archE942ELNS1_3gpuE9ELNS1_3repE0EEENS1_47radix_sort_onesweep_sort_config_static_selectorELNS0_4arch9wavefront6targetE1EEEvSK_.private_seg_size, 0
	.set _ZN7rocprim17ROCPRIM_400000_NS6detail17trampoline_kernelINS0_14default_configENS1_35radix_sort_onesweep_config_selectorIbiEEZZNS1_29radix_sort_onesweep_iterationIS3_Lb1EN6thrust23THRUST_200600_302600_NS6detail15normal_iteratorINS8_10device_ptrIbEEEESD_NSA_INSB_IiEEEESF_jNS0_19identity_decomposerENS1_16block_id_wrapperIjLb1EEEEE10hipError_tT1_PNSt15iterator_traitsISK_E10value_typeET2_T3_PNSL_ISQ_E10value_typeET4_T5_PSV_SW_PNS1_23onesweep_lookback_stateEbbT6_jjT7_P12ihipStream_tbENKUlT_T0_SK_SP_E_clISD_SD_SF_SF_EEDaS13_S14_SK_SP_EUlS13_E_NS1_11comp_targetILNS1_3genE5ELNS1_11target_archE942ELNS1_3gpuE9ELNS1_3repE0EEENS1_47radix_sort_onesweep_sort_config_static_selectorELNS0_4arch9wavefront6targetE1EEEvSK_.uses_vcc, 0
	.set _ZN7rocprim17ROCPRIM_400000_NS6detail17trampoline_kernelINS0_14default_configENS1_35radix_sort_onesweep_config_selectorIbiEEZZNS1_29radix_sort_onesweep_iterationIS3_Lb1EN6thrust23THRUST_200600_302600_NS6detail15normal_iteratorINS8_10device_ptrIbEEEESD_NSA_INSB_IiEEEESF_jNS0_19identity_decomposerENS1_16block_id_wrapperIjLb1EEEEE10hipError_tT1_PNSt15iterator_traitsISK_E10value_typeET2_T3_PNSL_ISQ_E10value_typeET4_T5_PSV_SW_PNS1_23onesweep_lookback_stateEbbT6_jjT7_P12ihipStream_tbENKUlT_T0_SK_SP_E_clISD_SD_SF_SF_EEDaS13_S14_SK_SP_EUlS13_E_NS1_11comp_targetILNS1_3genE5ELNS1_11target_archE942ELNS1_3gpuE9ELNS1_3repE0EEENS1_47radix_sort_onesweep_sort_config_static_selectorELNS0_4arch9wavefront6targetE1EEEvSK_.uses_flat_scratch, 0
	.set _ZN7rocprim17ROCPRIM_400000_NS6detail17trampoline_kernelINS0_14default_configENS1_35radix_sort_onesweep_config_selectorIbiEEZZNS1_29radix_sort_onesweep_iterationIS3_Lb1EN6thrust23THRUST_200600_302600_NS6detail15normal_iteratorINS8_10device_ptrIbEEEESD_NSA_INSB_IiEEEESF_jNS0_19identity_decomposerENS1_16block_id_wrapperIjLb1EEEEE10hipError_tT1_PNSt15iterator_traitsISK_E10value_typeET2_T3_PNSL_ISQ_E10value_typeET4_T5_PSV_SW_PNS1_23onesweep_lookback_stateEbbT6_jjT7_P12ihipStream_tbENKUlT_T0_SK_SP_E_clISD_SD_SF_SF_EEDaS13_S14_SK_SP_EUlS13_E_NS1_11comp_targetILNS1_3genE5ELNS1_11target_archE942ELNS1_3gpuE9ELNS1_3repE0EEENS1_47radix_sort_onesweep_sort_config_static_selectorELNS0_4arch9wavefront6targetE1EEEvSK_.has_dyn_sized_stack, 0
	.set _ZN7rocprim17ROCPRIM_400000_NS6detail17trampoline_kernelINS0_14default_configENS1_35radix_sort_onesweep_config_selectorIbiEEZZNS1_29radix_sort_onesweep_iterationIS3_Lb1EN6thrust23THRUST_200600_302600_NS6detail15normal_iteratorINS8_10device_ptrIbEEEESD_NSA_INSB_IiEEEESF_jNS0_19identity_decomposerENS1_16block_id_wrapperIjLb1EEEEE10hipError_tT1_PNSt15iterator_traitsISK_E10value_typeET2_T3_PNSL_ISQ_E10value_typeET4_T5_PSV_SW_PNS1_23onesweep_lookback_stateEbbT6_jjT7_P12ihipStream_tbENKUlT_T0_SK_SP_E_clISD_SD_SF_SF_EEDaS13_S14_SK_SP_EUlS13_E_NS1_11comp_targetILNS1_3genE5ELNS1_11target_archE942ELNS1_3gpuE9ELNS1_3repE0EEENS1_47radix_sort_onesweep_sort_config_static_selectorELNS0_4arch9wavefront6targetE1EEEvSK_.has_recursion, 0
	.set _ZN7rocprim17ROCPRIM_400000_NS6detail17trampoline_kernelINS0_14default_configENS1_35radix_sort_onesweep_config_selectorIbiEEZZNS1_29radix_sort_onesweep_iterationIS3_Lb1EN6thrust23THRUST_200600_302600_NS6detail15normal_iteratorINS8_10device_ptrIbEEEESD_NSA_INSB_IiEEEESF_jNS0_19identity_decomposerENS1_16block_id_wrapperIjLb1EEEEE10hipError_tT1_PNSt15iterator_traitsISK_E10value_typeET2_T3_PNSL_ISQ_E10value_typeET4_T5_PSV_SW_PNS1_23onesweep_lookback_stateEbbT6_jjT7_P12ihipStream_tbENKUlT_T0_SK_SP_E_clISD_SD_SF_SF_EEDaS13_S14_SK_SP_EUlS13_E_NS1_11comp_targetILNS1_3genE5ELNS1_11target_archE942ELNS1_3gpuE9ELNS1_3repE0EEENS1_47radix_sort_onesweep_sort_config_static_selectorELNS0_4arch9wavefront6targetE1EEEvSK_.has_indirect_call, 0
	.section	.AMDGPU.csdata,"",@progbits
; Kernel info:
; codeLenInByte = 0
; TotalNumSgprs: 6
; NumVgprs: 0
; NumAgprs: 0
; TotalNumVgprs: 0
; ScratchSize: 0
; MemoryBound: 0
; FloatMode: 240
; IeeeMode: 1
; LDSByteSize: 0 bytes/workgroup (compile time only)
; SGPRBlocks: 0
; VGPRBlocks: 0
; NumSGPRsForWavesPerEU: 6
; NumVGPRsForWavesPerEU: 1
; AccumOffset: 4
; Occupancy: 8
; WaveLimiterHint : 0
; COMPUTE_PGM_RSRC2:SCRATCH_EN: 0
; COMPUTE_PGM_RSRC2:USER_SGPR: 2
; COMPUTE_PGM_RSRC2:TRAP_HANDLER: 0
; COMPUTE_PGM_RSRC2:TGID_X_EN: 1
; COMPUTE_PGM_RSRC2:TGID_Y_EN: 0
; COMPUTE_PGM_RSRC2:TGID_Z_EN: 0
; COMPUTE_PGM_RSRC2:TIDIG_COMP_CNT: 0
; COMPUTE_PGM_RSRC3_GFX90A:ACCUM_OFFSET: 0
; COMPUTE_PGM_RSRC3_GFX90A:TG_SPLIT: 0
	.section	.text._ZN7rocprim17ROCPRIM_400000_NS6detail17trampoline_kernelINS0_14default_configENS1_35radix_sort_onesweep_config_selectorIbiEEZZNS1_29radix_sort_onesweep_iterationIS3_Lb1EN6thrust23THRUST_200600_302600_NS6detail15normal_iteratorINS8_10device_ptrIbEEEESD_NSA_INSB_IiEEEESF_jNS0_19identity_decomposerENS1_16block_id_wrapperIjLb1EEEEE10hipError_tT1_PNSt15iterator_traitsISK_E10value_typeET2_T3_PNSL_ISQ_E10value_typeET4_T5_PSV_SW_PNS1_23onesweep_lookback_stateEbbT6_jjT7_P12ihipStream_tbENKUlT_T0_SK_SP_E_clISD_SD_SF_SF_EEDaS13_S14_SK_SP_EUlS13_E_NS1_11comp_targetILNS1_3genE2ELNS1_11target_archE906ELNS1_3gpuE6ELNS1_3repE0EEENS1_47radix_sort_onesweep_sort_config_static_selectorELNS0_4arch9wavefront6targetE1EEEvSK_,"axG",@progbits,_ZN7rocprim17ROCPRIM_400000_NS6detail17trampoline_kernelINS0_14default_configENS1_35radix_sort_onesweep_config_selectorIbiEEZZNS1_29radix_sort_onesweep_iterationIS3_Lb1EN6thrust23THRUST_200600_302600_NS6detail15normal_iteratorINS8_10device_ptrIbEEEESD_NSA_INSB_IiEEEESF_jNS0_19identity_decomposerENS1_16block_id_wrapperIjLb1EEEEE10hipError_tT1_PNSt15iterator_traitsISK_E10value_typeET2_T3_PNSL_ISQ_E10value_typeET4_T5_PSV_SW_PNS1_23onesweep_lookback_stateEbbT6_jjT7_P12ihipStream_tbENKUlT_T0_SK_SP_E_clISD_SD_SF_SF_EEDaS13_S14_SK_SP_EUlS13_E_NS1_11comp_targetILNS1_3genE2ELNS1_11target_archE906ELNS1_3gpuE6ELNS1_3repE0EEENS1_47radix_sort_onesweep_sort_config_static_selectorELNS0_4arch9wavefront6targetE1EEEvSK_,comdat
	.protected	_ZN7rocprim17ROCPRIM_400000_NS6detail17trampoline_kernelINS0_14default_configENS1_35radix_sort_onesweep_config_selectorIbiEEZZNS1_29radix_sort_onesweep_iterationIS3_Lb1EN6thrust23THRUST_200600_302600_NS6detail15normal_iteratorINS8_10device_ptrIbEEEESD_NSA_INSB_IiEEEESF_jNS0_19identity_decomposerENS1_16block_id_wrapperIjLb1EEEEE10hipError_tT1_PNSt15iterator_traitsISK_E10value_typeET2_T3_PNSL_ISQ_E10value_typeET4_T5_PSV_SW_PNS1_23onesweep_lookback_stateEbbT6_jjT7_P12ihipStream_tbENKUlT_T0_SK_SP_E_clISD_SD_SF_SF_EEDaS13_S14_SK_SP_EUlS13_E_NS1_11comp_targetILNS1_3genE2ELNS1_11target_archE906ELNS1_3gpuE6ELNS1_3repE0EEENS1_47radix_sort_onesweep_sort_config_static_selectorELNS0_4arch9wavefront6targetE1EEEvSK_ ; -- Begin function _ZN7rocprim17ROCPRIM_400000_NS6detail17trampoline_kernelINS0_14default_configENS1_35radix_sort_onesweep_config_selectorIbiEEZZNS1_29radix_sort_onesweep_iterationIS3_Lb1EN6thrust23THRUST_200600_302600_NS6detail15normal_iteratorINS8_10device_ptrIbEEEESD_NSA_INSB_IiEEEESF_jNS0_19identity_decomposerENS1_16block_id_wrapperIjLb1EEEEE10hipError_tT1_PNSt15iterator_traitsISK_E10value_typeET2_T3_PNSL_ISQ_E10value_typeET4_T5_PSV_SW_PNS1_23onesweep_lookback_stateEbbT6_jjT7_P12ihipStream_tbENKUlT_T0_SK_SP_E_clISD_SD_SF_SF_EEDaS13_S14_SK_SP_EUlS13_E_NS1_11comp_targetILNS1_3genE2ELNS1_11target_archE906ELNS1_3gpuE6ELNS1_3repE0EEENS1_47radix_sort_onesweep_sort_config_static_selectorELNS0_4arch9wavefront6targetE1EEEvSK_
	.globl	_ZN7rocprim17ROCPRIM_400000_NS6detail17trampoline_kernelINS0_14default_configENS1_35radix_sort_onesweep_config_selectorIbiEEZZNS1_29radix_sort_onesweep_iterationIS3_Lb1EN6thrust23THRUST_200600_302600_NS6detail15normal_iteratorINS8_10device_ptrIbEEEESD_NSA_INSB_IiEEEESF_jNS0_19identity_decomposerENS1_16block_id_wrapperIjLb1EEEEE10hipError_tT1_PNSt15iterator_traitsISK_E10value_typeET2_T3_PNSL_ISQ_E10value_typeET4_T5_PSV_SW_PNS1_23onesweep_lookback_stateEbbT6_jjT7_P12ihipStream_tbENKUlT_T0_SK_SP_E_clISD_SD_SF_SF_EEDaS13_S14_SK_SP_EUlS13_E_NS1_11comp_targetILNS1_3genE2ELNS1_11target_archE906ELNS1_3gpuE6ELNS1_3repE0EEENS1_47radix_sort_onesweep_sort_config_static_selectorELNS0_4arch9wavefront6targetE1EEEvSK_
	.p2align	8
	.type	_ZN7rocprim17ROCPRIM_400000_NS6detail17trampoline_kernelINS0_14default_configENS1_35radix_sort_onesweep_config_selectorIbiEEZZNS1_29radix_sort_onesweep_iterationIS3_Lb1EN6thrust23THRUST_200600_302600_NS6detail15normal_iteratorINS8_10device_ptrIbEEEESD_NSA_INSB_IiEEEESF_jNS0_19identity_decomposerENS1_16block_id_wrapperIjLb1EEEEE10hipError_tT1_PNSt15iterator_traitsISK_E10value_typeET2_T3_PNSL_ISQ_E10value_typeET4_T5_PSV_SW_PNS1_23onesweep_lookback_stateEbbT6_jjT7_P12ihipStream_tbENKUlT_T0_SK_SP_E_clISD_SD_SF_SF_EEDaS13_S14_SK_SP_EUlS13_E_NS1_11comp_targetILNS1_3genE2ELNS1_11target_archE906ELNS1_3gpuE6ELNS1_3repE0EEENS1_47radix_sort_onesweep_sort_config_static_selectorELNS0_4arch9wavefront6targetE1EEEvSK_,@function
_ZN7rocprim17ROCPRIM_400000_NS6detail17trampoline_kernelINS0_14default_configENS1_35radix_sort_onesweep_config_selectorIbiEEZZNS1_29radix_sort_onesweep_iterationIS3_Lb1EN6thrust23THRUST_200600_302600_NS6detail15normal_iteratorINS8_10device_ptrIbEEEESD_NSA_INSB_IiEEEESF_jNS0_19identity_decomposerENS1_16block_id_wrapperIjLb1EEEEE10hipError_tT1_PNSt15iterator_traitsISK_E10value_typeET2_T3_PNSL_ISQ_E10value_typeET4_T5_PSV_SW_PNS1_23onesweep_lookback_stateEbbT6_jjT7_P12ihipStream_tbENKUlT_T0_SK_SP_E_clISD_SD_SF_SF_EEDaS13_S14_SK_SP_EUlS13_E_NS1_11comp_targetILNS1_3genE2ELNS1_11target_archE906ELNS1_3gpuE6ELNS1_3repE0EEENS1_47radix_sort_onesweep_sort_config_static_selectorELNS0_4arch9wavefront6targetE1EEEvSK_: ; @_ZN7rocprim17ROCPRIM_400000_NS6detail17trampoline_kernelINS0_14default_configENS1_35radix_sort_onesweep_config_selectorIbiEEZZNS1_29radix_sort_onesweep_iterationIS3_Lb1EN6thrust23THRUST_200600_302600_NS6detail15normal_iteratorINS8_10device_ptrIbEEEESD_NSA_INSB_IiEEEESF_jNS0_19identity_decomposerENS1_16block_id_wrapperIjLb1EEEEE10hipError_tT1_PNSt15iterator_traitsISK_E10value_typeET2_T3_PNSL_ISQ_E10value_typeET4_T5_PSV_SW_PNS1_23onesweep_lookback_stateEbbT6_jjT7_P12ihipStream_tbENKUlT_T0_SK_SP_E_clISD_SD_SF_SF_EEDaS13_S14_SK_SP_EUlS13_E_NS1_11comp_targetILNS1_3genE2ELNS1_11target_archE906ELNS1_3gpuE6ELNS1_3repE0EEENS1_47radix_sort_onesweep_sort_config_static_selectorELNS0_4arch9wavefront6targetE1EEEvSK_
; %bb.0:
	.section	.rodata,"a",@progbits
	.p2align	6, 0x0
	.amdhsa_kernel _ZN7rocprim17ROCPRIM_400000_NS6detail17trampoline_kernelINS0_14default_configENS1_35radix_sort_onesweep_config_selectorIbiEEZZNS1_29radix_sort_onesweep_iterationIS3_Lb1EN6thrust23THRUST_200600_302600_NS6detail15normal_iteratorINS8_10device_ptrIbEEEESD_NSA_INSB_IiEEEESF_jNS0_19identity_decomposerENS1_16block_id_wrapperIjLb1EEEEE10hipError_tT1_PNSt15iterator_traitsISK_E10value_typeET2_T3_PNSL_ISQ_E10value_typeET4_T5_PSV_SW_PNS1_23onesweep_lookback_stateEbbT6_jjT7_P12ihipStream_tbENKUlT_T0_SK_SP_E_clISD_SD_SF_SF_EEDaS13_S14_SK_SP_EUlS13_E_NS1_11comp_targetILNS1_3genE2ELNS1_11target_archE906ELNS1_3gpuE6ELNS1_3repE0EEENS1_47radix_sort_onesweep_sort_config_static_selectorELNS0_4arch9wavefront6targetE1EEEvSK_
		.amdhsa_group_segment_fixed_size 0
		.amdhsa_private_segment_fixed_size 0
		.amdhsa_kernarg_size 88
		.amdhsa_user_sgpr_count 2
		.amdhsa_user_sgpr_dispatch_ptr 0
		.amdhsa_user_sgpr_queue_ptr 0
		.amdhsa_user_sgpr_kernarg_segment_ptr 1
		.amdhsa_user_sgpr_dispatch_id 0
		.amdhsa_user_sgpr_kernarg_preload_length 0
		.amdhsa_user_sgpr_kernarg_preload_offset 0
		.amdhsa_user_sgpr_private_segment_size 0
		.amdhsa_uses_dynamic_stack 0
		.amdhsa_enable_private_segment 0
		.amdhsa_system_sgpr_workgroup_id_x 1
		.amdhsa_system_sgpr_workgroup_id_y 0
		.amdhsa_system_sgpr_workgroup_id_z 0
		.amdhsa_system_sgpr_workgroup_info 0
		.amdhsa_system_vgpr_workitem_id 0
		.amdhsa_next_free_vgpr 1
		.amdhsa_next_free_sgpr 0
		.amdhsa_accum_offset 4
		.amdhsa_reserve_vcc 0
		.amdhsa_float_round_mode_32 0
		.amdhsa_float_round_mode_16_64 0
		.amdhsa_float_denorm_mode_32 3
		.amdhsa_float_denorm_mode_16_64 3
		.amdhsa_dx10_clamp 1
		.amdhsa_ieee_mode 1
		.amdhsa_fp16_overflow 0
		.amdhsa_tg_split 0
		.amdhsa_exception_fp_ieee_invalid_op 0
		.amdhsa_exception_fp_denorm_src 0
		.amdhsa_exception_fp_ieee_div_zero 0
		.amdhsa_exception_fp_ieee_overflow 0
		.amdhsa_exception_fp_ieee_underflow 0
		.amdhsa_exception_fp_ieee_inexact 0
		.amdhsa_exception_int_div_zero 0
	.end_amdhsa_kernel
	.section	.text._ZN7rocprim17ROCPRIM_400000_NS6detail17trampoline_kernelINS0_14default_configENS1_35radix_sort_onesweep_config_selectorIbiEEZZNS1_29radix_sort_onesweep_iterationIS3_Lb1EN6thrust23THRUST_200600_302600_NS6detail15normal_iteratorINS8_10device_ptrIbEEEESD_NSA_INSB_IiEEEESF_jNS0_19identity_decomposerENS1_16block_id_wrapperIjLb1EEEEE10hipError_tT1_PNSt15iterator_traitsISK_E10value_typeET2_T3_PNSL_ISQ_E10value_typeET4_T5_PSV_SW_PNS1_23onesweep_lookback_stateEbbT6_jjT7_P12ihipStream_tbENKUlT_T0_SK_SP_E_clISD_SD_SF_SF_EEDaS13_S14_SK_SP_EUlS13_E_NS1_11comp_targetILNS1_3genE2ELNS1_11target_archE906ELNS1_3gpuE6ELNS1_3repE0EEENS1_47radix_sort_onesweep_sort_config_static_selectorELNS0_4arch9wavefront6targetE1EEEvSK_,"axG",@progbits,_ZN7rocprim17ROCPRIM_400000_NS6detail17trampoline_kernelINS0_14default_configENS1_35radix_sort_onesweep_config_selectorIbiEEZZNS1_29radix_sort_onesweep_iterationIS3_Lb1EN6thrust23THRUST_200600_302600_NS6detail15normal_iteratorINS8_10device_ptrIbEEEESD_NSA_INSB_IiEEEESF_jNS0_19identity_decomposerENS1_16block_id_wrapperIjLb1EEEEE10hipError_tT1_PNSt15iterator_traitsISK_E10value_typeET2_T3_PNSL_ISQ_E10value_typeET4_T5_PSV_SW_PNS1_23onesweep_lookback_stateEbbT6_jjT7_P12ihipStream_tbENKUlT_T0_SK_SP_E_clISD_SD_SF_SF_EEDaS13_S14_SK_SP_EUlS13_E_NS1_11comp_targetILNS1_3genE2ELNS1_11target_archE906ELNS1_3gpuE6ELNS1_3repE0EEENS1_47radix_sort_onesweep_sort_config_static_selectorELNS0_4arch9wavefront6targetE1EEEvSK_,comdat
.Lfunc_end2221:
	.size	_ZN7rocprim17ROCPRIM_400000_NS6detail17trampoline_kernelINS0_14default_configENS1_35radix_sort_onesweep_config_selectorIbiEEZZNS1_29radix_sort_onesweep_iterationIS3_Lb1EN6thrust23THRUST_200600_302600_NS6detail15normal_iteratorINS8_10device_ptrIbEEEESD_NSA_INSB_IiEEEESF_jNS0_19identity_decomposerENS1_16block_id_wrapperIjLb1EEEEE10hipError_tT1_PNSt15iterator_traitsISK_E10value_typeET2_T3_PNSL_ISQ_E10value_typeET4_T5_PSV_SW_PNS1_23onesweep_lookback_stateEbbT6_jjT7_P12ihipStream_tbENKUlT_T0_SK_SP_E_clISD_SD_SF_SF_EEDaS13_S14_SK_SP_EUlS13_E_NS1_11comp_targetILNS1_3genE2ELNS1_11target_archE906ELNS1_3gpuE6ELNS1_3repE0EEENS1_47radix_sort_onesweep_sort_config_static_selectorELNS0_4arch9wavefront6targetE1EEEvSK_, .Lfunc_end2221-_ZN7rocprim17ROCPRIM_400000_NS6detail17trampoline_kernelINS0_14default_configENS1_35radix_sort_onesweep_config_selectorIbiEEZZNS1_29radix_sort_onesweep_iterationIS3_Lb1EN6thrust23THRUST_200600_302600_NS6detail15normal_iteratorINS8_10device_ptrIbEEEESD_NSA_INSB_IiEEEESF_jNS0_19identity_decomposerENS1_16block_id_wrapperIjLb1EEEEE10hipError_tT1_PNSt15iterator_traitsISK_E10value_typeET2_T3_PNSL_ISQ_E10value_typeET4_T5_PSV_SW_PNS1_23onesweep_lookback_stateEbbT6_jjT7_P12ihipStream_tbENKUlT_T0_SK_SP_E_clISD_SD_SF_SF_EEDaS13_S14_SK_SP_EUlS13_E_NS1_11comp_targetILNS1_3genE2ELNS1_11target_archE906ELNS1_3gpuE6ELNS1_3repE0EEENS1_47radix_sort_onesweep_sort_config_static_selectorELNS0_4arch9wavefront6targetE1EEEvSK_
                                        ; -- End function
	.set _ZN7rocprim17ROCPRIM_400000_NS6detail17trampoline_kernelINS0_14default_configENS1_35radix_sort_onesweep_config_selectorIbiEEZZNS1_29radix_sort_onesweep_iterationIS3_Lb1EN6thrust23THRUST_200600_302600_NS6detail15normal_iteratorINS8_10device_ptrIbEEEESD_NSA_INSB_IiEEEESF_jNS0_19identity_decomposerENS1_16block_id_wrapperIjLb1EEEEE10hipError_tT1_PNSt15iterator_traitsISK_E10value_typeET2_T3_PNSL_ISQ_E10value_typeET4_T5_PSV_SW_PNS1_23onesweep_lookback_stateEbbT6_jjT7_P12ihipStream_tbENKUlT_T0_SK_SP_E_clISD_SD_SF_SF_EEDaS13_S14_SK_SP_EUlS13_E_NS1_11comp_targetILNS1_3genE2ELNS1_11target_archE906ELNS1_3gpuE6ELNS1_3repE0EEENS1_47radix_sort_onesweep_sort_config_static_selectorELNS0_4arch9wavefront6targetE1EEEvSK_.num_vgpr, 0
	.set _ZN7rocprim17ROCPRIM_400000_NS6detail17trampoline_kernelINS0_14default_configENS1_35radix_sort_onesweep_config_selectorIbiEEZZNS1_29radix_sort_onesweep_iterationIS3_Lb1EN6thrust23THRUST_200600_302600_NS6detail15normal_iteratorINS8_10device_ptrIbEEEESD_NSA_INSB_IiEEEESF_jNS0_19identity_decomposerENS1_16block_id_wrapperIjLb1EEEEE10hipError_tT1_PNSt15iterator_traitsISK_E10value_typeET2_T3_PNSL_ISQ_E10value_typeET4_T5_PSV_SW_PNS1_23onesweep_lookback_stateEbbT6_jjT7_P12ihipStream_tbENKUlT_T0_SK_SP_E_clISD_SD_SF_SF_EEDaS13_S14_SK_SP_EUlS13_E_NS1_11comp_targetILNS1_3genE2ELNS1_11target_archE906ELNS1_3gpuE6ELNS1_3repE0EEENS1_47radix_sort_onesweep_sort_config_static_selectorELNS0_4arch9wavefront6targetE1EEEvSK_.num_agpr, 0
	.set _ZN7rocprim17ROCPRIM_400000_NS6detail17trampoline_kernelINS0_14default_configENS1_35radix_sort_onesweep_config_selectorIbiEEZZNS1_29radix_sort_onesweep_iterationIS3_Lb1EN6thrust23THRUST_200600_302600_NS6detail15normal_iteratorINS8_10device_ptrIbEEEESD_NSA_INSB_IiEEEESF_jNS0_19identity_decomposerENS1_16block_id_wrapperIjLb1EEEEE10hipError_tT1_PNSt15iterator_traitsISK_E10value_typeET2_T3_PNSL_ISQ_E10value_typeET4_T5_PSV_SW_PNS1_23onesweep_lookback_stateEbbT6_jjT7_P12ihipStream_tbENKUlT_T0_SK_SP_E_clISD_SD_SF_SF_EEDaS13_S14_SK_SP_EUlS13_E_NS1_11comp_targetILNS1_3genE2ELNS1_11target_archE906ELNS1_3gpuE6ELNS1_3repE0EEENS1_47radix_sort_onesweep_sort_config_static_selectorELNS0_4arch9wavefront6targetE1EEEvSK_.numbered_sgpr, 0
	.set _ZN7rocprim17ROCPRIM_400000_NS6detail17trampoline_kernelINS0_14default_configENS1_35radix_sort_onesweep_config_selectorIbiEEZZNS1_29radix_sort_onesweep_iterationIS3_Lb1EN6thrust23THRUST_200600_302600_NS6detail15normal_iteratorINS8_10device_ptrIbEEEESD_NSA_INSB_IiEEEESF_jNS0_19identity_decomposerENS1_16block_id_wrapperIjLb1EEEEE10hipError_tT1_PNSt15iterator_traitsISK_E10value_typeET2_T3_PNSL_ISQ_E10value_typeET4_T5_PSV_SW_PNS1_23onesweep_lookback_stateEbbT6_jjT7_P12ihipStream_tbENKUlT_T0_SK_SP_E_clISD_SD_SF_SF_EEDaS13_S14_SK_SP_EUlS13_E_NS1_11comp_targetILNS1_3genE2ELNS1_11target_archE906ELNS1_3gpuE6ELNS1_3repE0EEENS1_47radix_sort_onesweep_sort_config_static_selectorELNS0_4arch9wavefront6targetE1EEEvSK_.num_named_barrier, 0
	.set _ZN7rocprim17ROCPRIM_400000_NS6detail17trampoline_kernelINS0_14default_configENS1_35radix_sort_onesweep_config_selectorIbiEEZZNS1_29radix_sort_onesweep_iterationIS3_Lb1EN6thrust23THRUST_200600_302600_NS6detail15normal_iteratorINS8_10device_ptrIbEEEESD_NSA_INSB_IiEEEESF_jNS0_19identity_decomposerENS1_16block_id_wrapperIjLb1EEEEE10hipError_tT1_PNSt15iterator_traitsISK_E10value_typeET2_T3_PNSL_ISQ_E10value_typeET4_T5_PSV_SW_PNS1_23onesweep_lookback_stateEbbT6_jjT7_P12ihipStream_tbENKUlT_T0_SK_SP_E_clISD_SD_SF_SF_EEDaS13_S14_SK_SP_EUlS13_E_NS1_11comp_targetILNS1_3genE2ELNS1_11target_archE906ELNS1_3gpuE6ELNS1_3repE0EEENS1_47radix_sort_onesweep_sort_config_static_selectorELNS0_4arch9wavefront6targetE1EEEvSK_.private_seg_size, 0
	.set _ZN7rocprim17ROCPRIM_400000_NS6detail17trampoline_kernelINS0_14default_configENS1_35radix_sort_onesweep_config_selectorIbiEEZZNS1_29radix_sort_onesweep_iterationIS3_Lb1EN6thrust23THRUST_200600_302600_NS6detail15normal_iteratorINS8_10device_ptrIbEEEESD_NSA_INSB_IiEEEESF_jNS0_19identity_decomposerENS1_16block_id_wrapperIjLb1EEEEE10hipError_tT1_PNSt15iterator_traitsISK_E10value_typeET2_T3_PNSL_ISQ_E10value_typeET4_T5_PSV_SW_PNS1_23onesweep_lookback_stateEbbT6_jjT7_P12ihipStream_tbENKUlT_T0_SK_SP_E_clISD_SD_SF_SF_EEDaS13_S14_SK_SP_EUlS13_E_NS1_11comp_targetILNS1_3genE2ELNS1_11target_archE906ELNS1_3gpuE6ELNS1_3repE0EEENS1_47radix_sort_onesweep_sort_config_static_selectorELNS0_4arch9wavefront6targetE1EEEvSK_.uses_vcc, 0
	.set _ZN7rocprim17ROCPRIM_400000_NS6detail17trampoline_kernelINS0_14default_configENS1_35radix_sort_onesweep_config_selectorIbiEEZZNS1_29radix_sort_onesweep_iterationIS3_Lb1EN6thrust23THRUST_200600_302600_NS6detail15normal_iteratorINS8_10device_ptrIbEEEESD_NSA_INSB_IiEEEESF_jNS0_19identity_decomposerENS1_16block_id_wrapperIjLb1EEEEE10hipError_tT1_PNSt15iterator_traitsISK_E10value_typeET2_T3_PNSL_ISQ_E10value_typeET4_T5_PSV_SW_PNS1_23onesweep_lookback_stateEbbT6_jjT7_P12ihipStream_tbENKUlT_T0_SK_SP_E_clISD_SD_SF_SF_EEDaS13_S14_SK_SP_EUlS13_E_NS1_11comp_targetILNS1_3genE2ELNS1_11target_archE906ELNS1_3gpuE6ELNS1_3repE0EEENS1_47radix_sort_onesweep_sort_config_static_selectorELNS0_4arch9wavefront6targetE1EEEvSK_.uses_flat_scratch, 0
	.set _ZN7rocprim17ROCPRIM_400000_NS6detail17trampoline_kernelINS0_14default_configENS1_35radix_sort_onesweep_config_selectorIbiEEZZNS1_29radix_sort_onesweep_iterationIS3_Lb1EN6thrust23THRUST_200600_302600_NS6detail15normal_iteratorINS8_10device_ptrIbEEEESD_NSA_INSB_IiEEEESF_jNS0_19identity_decomposerENS1_16block_id_wrapperIjLb1EEEEE10hipError_tT1_PNSt15iterator_traitsISK_E10value_typeET2_T3_PNSL_ISQ_E10value_typeET4_T5_PSV_SW_PNS1_23onesweep_lookback_stateEbbT6_jjT7_P12ihipStream_tbENKUlT_T0_SK_SP_E_clISD_SD_SF_SF_EEDaS13_S14_SK_SP_EUlS13_E_NS1_11comp_targetILNS1_3genE2ELNS1_11target_archE906ELNS1_3gpuE6ELNS1_3repE0EEENS1_47radix_sort_onesweep_sort_config_static_selectorELNS0_4arch9wavefront6targetE1EEEvSK_.has_dyn_sized_stack, 0
	.set _ZN7rocprim17ROCPRIM_400000_NS6detail17trampoline_kernelINS0_14default_configENS1_35radix_sort_onesweep_config_selectorIbiEEZZNS1_29radix_sort_onesweep_iterationIS3_Lb1EN6thrust23THRUST_200600_302600_NS6detail15normal_iteratorINS8_10device_ptrIbEEEESD_NSA_INSB_IiEEEESF_jNS0_19identity_decomposerENS1_16block_id_wrapperIjLb1EEEEE10hipError_tT1_PNSt15iterator_traitsISK_E10value_typeET2_T3_PNSL_ISQ_E10value_typeET4_T5_PSV_SW_PNS1_23onesweep_lookback_stateEbbT6_jjT7_P12ihipStream_tbENKUlT_T0_SK_SP_E_clISD_SD_SF_SF_EEDaS13_S14_SK_SP_EUlS13_E_NS1_11comp_targetILNS1_3genE2ELNS1_11target_archE906ELNS1_3gpuE6ELNS1_3repE0EEENS1_47radix_sort_onesweep_sort_config_static_selectorELNS0_4arch9wavefront6targetE1EEEvSK_.has_recursion, 0
	.set _ZN7rocprim17ROCPRIM_400000_NS6detail17trampoline_kernelINS0_14default_configENS1_35radix_sort_onesweep_config_selectorIbiEEZZNS1_29radix_sort_onesweep_iterationIS3_Lb1EN6thrust23THRUST_200600_302600_NS6detail15normal_iteratorINS8_10device_ptrIbEEEESD_NSA_INSB_IiEEEESF_jNS0_19identity_decomposerENS1_16block_id_wrapperIjLb1EEEEE10hipError_tT1_PNSt15iterator_traitsISK_E10value_typeET2_T3_PNSL_ISQ_E10value_typeET4_T5_PSV_SW_PNS1_23onesweep_lookback_stateEbbT6_jjT7_P12ihipStream_tbENKUlT_T0_SK_SP_E_clISD_SD_SF_SF_EEDaS13_S14_SK_SP_EUlS13_E_NS1_11comp_targetILNS1_3genE2ELNS1_11target_archE906ELNS1_3gpuE6ELNS1_3repE0EEENS1_47radix_sort_onesweep_sort_config_static_selectorELNS0_4arch9wavefront6targetE1EEEvSK_.has_indirect_call, 0
	.section	.AMDGPU.csdata,"",@progbits
; Kernel info:
; codeLenInByte = 0
; TotalNumSgprs: 6
; NumVgprs: 0
; NumAgprs: 0
; TotalNumVgprs: 0
; ScratchSize: 0
; MemoryBound: 0
; FloatMode: 240
; IeeeMode: 1
; LDSByteSize: 0 bytes/workgroup (compile time only)
; SGPRBlocks: 0
; VGPRBlocks: 0
; NumSGPRsForWavesPerEU: 6
; NumVGPRsForWavesPerEU: 1
; AccumOffset: 4
; Occupancy: 8
; WaveLimiterHint : 0
; COMPUTE_PGM_RSRC2:SCRATCH_EN: 0
; COMPUTE_PGM_RSRC2:USER_SGPR: 2
; COMPUTE_PGM_RSRC2:TRAP_HANDLER: 0
; COMPUTE_PGM_RSRC2:TGID_X_EN: 1
; COMPUTE_PGM_RSRC2:TGID_Y_EN: 0
; COMPUTE_PGM_RSRC2:TGID_Z_EN: 0
; COMPUTE_PGM_RSRC2:TIDIG_COMP_CNT: 0
; COMPUTE_PGM_RSRC3_GFX90A:ACCUM_OFFSET: 0
; COMPUTE_PGM_RSRC3_GFX90A:TG_SPLIT: 0
	.section	.text._ZN7rocprim17ROCPRIM_400000_NS6detail17trampoline_kernelINS0_14default_configENS1_35radix_sort_onesweep_config_selectorIbiEEZZNS1_29radix_sort_onesweep_iterationIS3_Lb1EN6thrust23THRUST_200600_302600_NS6detail15normal_iteratorINS8_10device_ptrIbEEEESD_NSA_INSB_IiEEEESF_jNS0_19identity_decomposerENS1_16block_id_wrapperIjLb1EEEEE10hipError_tT1_PNSt15iterator_traitsISK_E10value_typeET2_T3_PNSL_ISQ_E10value_typeET4_T5_PSV_SW_PNS1_23onesweep_lookback_stateEbbT6_jjT7_P12ihipStream_tbENKUlT_T0_SK_SP_E_clISD_SD_SF_SF_EEDaS13_S14_SK_SP_EUlS13_E_NS1_11comp_targetILNS1_3genE4ELNS1_11target_archE910ELNS1_3gpuE8ELNS1_3repE0EEENS1_47radix_sort_onesweep_sort_config_static_selectorELNS0_4arch9wavefront6targetE1EEEvSK_,"axG",@progbits,_ZN7rocprim17ROCPRIM_400000_NS6detail17trampoline_kernelINS0_14default_configENS1_35radix_sort_onesweep_config_selectorIbiEEZZNS1_29radix_sort_onesweep_iterationIS3_Lb1EN6thrust23THRUST_200600_302600_NS6detail15normal_iteratorINS8_10device_ptrIbEEEESD_NSA_INSB_IiEEEESF_jNS0_19identity_decomposerENS1_16block_id_wrapperIjLb1EEEEE10hipError_tT1_PNSt15iterator_traitsISK_E10value_typeET2_T3_PNSL_ISQ_E10value_typeET4_T5_PSV_SW_PNS1_23onesweep_lookback_stateEbbT6_jjT7_P12ihipStream_tbENKUlT_T0_SK_SP_E_clISD_SD_SF_SF_EEDaS13_S14_SK_SP_EUlS13_E_NS1_11comp_targetILNS1_3genE4ELNS1_11target_archE910ELNS1_3gpuE8ELNS1_3repE0EEENS1_47radix_sort_onesweep_sort_config_static_selectorELNS0_4arch9wavefront6targetE1EEEvSK_,comdat
	.protected	_ZN7rocprim17ROCPRIM_400000_NS6detail17trampoline_kernelINS0_14default_configENS1_35radix_sort_onesweep_config_selectorIbiEEZZNS1_29radix_sort_onesweep_iterationIS3_Lb1EN6thrust23THRUST_200600_302600_NS6detail15normal_iteratorINS8_10device_ptrIbEEEESD_NSA_INSB_IiEEEESF_jNS0_19identity_decomposerENS1_16block_id_wrapperIjLb1EEEEE10hipError_tT1_PNSt15iterator_traitsISK_E10value_typeET2_T3_PNSL_ISQ_E10value_typeET4_T5_PSV_SW_PNS1_23onesweep_lookback_stateEbbT6_jjT7_P12ihipStream_tbENKUlT_T0_SK_SP_E_clISD_SD_SF_SF_EEDaS13_S14_SK_SP_EUlS13_E_NS1_11comp_targetILNS1_3genE4ELNS1_11target_archE910ELNS1_3gpuE8ELNS1_3repE0EEENS1_47radix_sort_onesweep_sort_config_static_selectorELNS0_4arch9wavefront6targetE1EEEvSK_ ; -- Begin function _ZN7rocprim17ROCPRIM_400000_NS6detail17trampoline_kernelINS0_14default_configENS1_35radix_sort_onesweep_config_selectorIbiEEZZNS1_29radix_sort_onesweep_iterationIS3_Lb1EN6thrust23THRUST_200600_302600_NS6detail15normal_iteratorINS8_10device_ptrIbEEEESD_NSA_INSB_IiEEEESF_jNS0_19identity_decomposerENS1_16block_id_wrapperIjLb1EEEEE10hipError_tT1_PNSt15iterator_traitsISK_E10value_typeET2_T3_PNSL_ISQ_E10value_typeET4_T5_PSV_SW_PNS1_23onesweep_lookback_stateEbbT6_jjT7_P12ihipStream_tbENKUlT_T0_SK_SP_E_clISD_SD_SF_SF_EEDaS13_S14_SK_SP_EUlS13_E_NS1_11comp_targetILNS1_3genE4ELNS1_11target_archE910ELNS1_3gpuE8ELNS1_3repE0EEENS1_47radix_sort_onesweep_sort_config_static_selectorELNS0_4arch9wavefront6targetE1EEEvSK_
	.globl	_ZN7rocprim17ROCPRIM_400000_NS6detail17trampoline_kernelINS0_14default_configENS1_35radix_sort_onesweep_config_selectorIbiEEZZNS1_29radix_sort_onesweep_iterationIS3_Lb1EN6thrust23THRUST_200600_302600_NS6detail15normal_iteratorINS8_10device_ptrIbEEEESD_NSA_INSB_IiEEEESF_jNS0_19identity_decomposerENS1_16block_id_wrapperIjLb1EEEEE10hipError_tT1_PNSt15iterator_traitsISK_E10value_typeET2_T3_PNSL_ISQ_E10value_typeET4_T5_PSV_SW_PNS1_23onesweep_lookback_stateEbbT6_jjT7_P12ihipStream_tbENKUlT_T0_SK_SP_E_clISD_SD_SF_SF_EEDaS13_S14_SK_SP_EUlS13_E_NS1_11comp_targetILNS1_3genE4ELNS1_11target_archE910ELNS1_3gpuE8ELNS1_3repE0EEENS1_47radix_sort_onesweep_sort_config_static_selectorELNS0_4arch9wavefront6targetE1EEEvSK_
	.p2align	8
	.type	_ZN7rocprim17ROCPRIM_400000_NS6detail17trampoline_kernelINS0_14default_configENS1_35radix_sort_onesweep_config_selectorIbiEEZZNS1_29radix_sort_onesweep_iterationIS3_Lb1EN6thrust23THRUST_200600_302600_NS6detail15normal_iteratorINS8_10device_ptrIbEEEESD_NSA_INSB_IiEEEESF_jNS0_19identity_decomposerENS1_16block_id_wrapperIjLb1EEEEE10hipError_tT1_PNSt15iterator_traitsISK_E10value_typeET2_T3_PNSL_ISQ_E10value_typeET4_T5_PSV_SW_PNS1_23onesweep_lookback_stateEbbT6_jjT7_P12ihipStream_tbENKUlT_T0_SK_SP_E_clISD_SD_SF_SF_EEDaS13_S14_SK_SP_EUlS13_E_NS1_11comp_targetILNS1_3genE4ELNS1_11target_archE910ELNS1_3gpuE8ELNS1_3repE0EEENS1_47radix_sort_onesweep_sort_config_static_selectorELNS0_4arch9wavefront6targetE1EEEvSK_,@function
_ZN7rocprim17ROCPRIM_400000_NS6detail17trampoline_kernelINS0_14default_configENS1_35radix_sort_onesweep_config_selectorIbiEEZZNS1_29radix_sort_onesweep_iterationIS3_Lb1EN6thrust23THRUST_200600_302600_NS6detail15normal_iteratorINS8_10device_ptrIbEEEESD_NSA_INSB_IiEEEESF_jNS0_19identity_decomposerENS1_16block_id_wrapperIjLb1EEEEE10hipError_tT1_PNSt15iterator_traitsISK_E10value_typeET2_T3_PNSL_ISQ_E10value_typeET4_T5_PSV_SW_PNS1_23onesweep_lookback_stateEbbT6_jjT7_P12ihipStream_tbENKUlT_T0_SK_SP_E_clISD_SD_SF_SF_EEDaS13_S14_SK_SP_EUlS13_E_NS1_11comp_targetILNS1_3genE4ELNS1_11target_archE910ELNS1_3gpuE8ELNS1_3repE0EEENS1_47radix_sort_onesweep_sort_config_static_selectorELNS0_4arch9wavefront6targetE1EEEvSK_: ; @_ZN7rocprim17ROCPRIM_400000_NS6detail17trampoline_kernelINS0_14default_configENS1_35radix_sort_onesweep_config_selectorIbiEEZZNS1_29radix_sort_onesweep_iterationIS3_Lb1EN6thrust23THRUST_200600_302600_NS6detail15normal_iteratorINS8_10device_ptrIbEEEESD_NSA_INSB_IiEEEESF_jNS0_19identity_decomposerENS1_16block_id_wrapperIjLb1EEEEE10hipError_tT1_PNSt15iterator_traitsISK_E10value_typeET2_T3_PNSL_ISQ_E10value_typeET4_T5_PSV_SW_PNS1_23onesweep_lookback_stateEbbT6_jjT7_P12ihipStream_tbENKUlT_T0_SK_SP_E_clISD_SD_SF_SF_EEDaS13_S14_SK_SP_EUlS13_E_NS1_11comp_targetILNS1_3genE4ELNS1_11target_archE910ELNS1_3gpuE8ELNS1_3repE0EEENS1_47radix_sort_onesweep_sort_config_static_selectorELNS0_4arch9wavefront6targetE1EEEvSK_
; %bb.0:
	.section	.rodata,"a",@progbits
	.p2align	6, 0x0
	.amdhsa_kernel _ZN7rocprim17ROCPRIM_400000_NS6detail17trampoline_kernelINS0_14default_configENS1_35radix_sort_onesweep_config_selectorIbiEEZZNS1_29radix_sort_onesweep_iterationIS3_Lb1EN6thrust23THRUST_200600_302600_NS6detail15normal_iteratorINS8_10device_ptrIbEEEESD_NSA_INSB_IiEEEESF_jNS0_19identity_decomposerENS1_16block_id_wrapperIjLb1EEEEE10hipError_tT1_PNSt15iterator_traitsISK_E10value_typeET2_T3_PNSL_ISQ_E10value_typeET4_T5_PSV_SW_PNS1_23onesweep_lookback_stateEbbT6_jjT7_P12ihipStream_tbENKUlT_T0_SK_SP_E_clISD_SD_SF_SF_EEDaS13_S14_SK_SP_EUlS13_E_NS1_11comp_targetILNS1_3genE4ELNS1_11target_archE910ELNS1_3gpuE8ELNS1_3repE0EEENS1_47radix_sort_onesweep_sort_config_static_selectorELNS0_4arch9wavefront6targetE1EEEvSK_
		.amdhsa_group_segment_fixed_size 0
		.amdhsa_private_segment_fixed_size 0
		.amdhsa_kernarg_size 88
		.amdhsa_user_sgpr_count 2
		.amdhsa_user_sgpr_dispatch_ptr 0
		.amdhsa_user_sgpr_queue_ptr 0
		.amdhsa_user_sgpr_kernarg_segment_ptr 1
		.amdhsa_user_sgpr_dispatch_id 0
		.amdhsa_user_sgpr_kernarg_preload_length 0
		.amdhsa_user_sgpr_kernarg_preload_offset 0
		.amdhsa_user_sgpr_private_segment_size 0
		.amdhsa_uses_dynamic_stack 0
		.amdhsa_enable_private_segment 0
		.amdhsa_system_sgpr_workgroup_id_x 1
		.amdhsa_system_sgpr_workgroup_id_y 0
		.amdhsa_system_sgpr_workgroup_id_z 0
		.amdhsa_system_sgpr_workgroup_info 0
		.amdhsa_system_vgpr_workitem_id 0
		.amdhsa_next_free_vgpr 1
		.amdhsa_next_free_sgpr 0
		.amdhsa_accum_offset 4
		.amdhsa_reserve_vcc 0
		.amdhsa_float_round_mode_32 0
		.amdhsa_float_round_mode_16_64 0
		.amdhsa_float_denorm_mode_32 3
		.amdhsa_float_denorm_mode_16_64 3
		.amdhsa_dx10_clamp 1
		.amdhsa_ieee_mode 1
		.amdhsa_fp16_overflow 0
		.amdhsa_tg_split 0
		.amdhsa_exception_fp_ieee_invalid_op 0
		.amdhsa_exception_fp_denorm_src 0
		.amdhsa_exception_fp_ieee_div_zero 0
		.amdhsa_exception_fp_ieee_overflow 0
		.amdhsa_exception_fp_ieee_underflow 0
		.amdhsa_exception_fp_ieee_inexact 0
		.amdhsa_exception_int_div_zero 0
	.end_amdhsa_kernel
	.section	.text._ZN7rocprim17ROCPRIM_400000_NS6detail17trampoline_kernelINS0_14default_configENS1_35radix_sort_onesweep_config_selectorIbiEEZZNS1_29radix_sort_onesweep_iterationIS3_Lb1EN6thrust23THRUST_200600_302600_NS6detail15normal_iteratorINS8_10device_ptrIbEEEESD_NSA_INSB_IiEEEESF_jNS0_19identity_decomposerENS1_16block_id_wrapperIjLb1EEEEE10hipError_tT1_PNSt15iterator_traitsISK_E10value_typeET2_T3_PNSL_ISQ_E10value_typeET4_T5_PSV_SW_PNS1_23onesweep_lookback_stateEbbT6_jjT7_P12ihipStream_tbENKUlT_T0_SK_SP_E_clISD_SD_SF_SF_EEDaS13_S14_SK_SP_EUlS13_E_NS1_11comp_targetILNS1_3genE4ELNS1_11target_archE910ELNS1_3gpuE8ELNS1_3repE0EEENS1_47radix_sort_onesweep_sort_config_static_selectorELNS0_4arch9wavefront6targetE1EEEvSK_,"axG",@progbits,_ZN7rocprim17ROCPRIM_400000_NS6detail17trampoline_kernelINS0_14default_configENS1_35radix_sort_onesweep_config_selectorIbiEEZZNS1_29radix_sort_onesweep_iterationIS3_Lb1EN6thrust23THRUST_200600_302600_NS6detail15normal_iteratorINS8_10device_ptrIbEEEESD_NSA_INSB_IiEEEESF_jNS0_19identity_decomposerENS1_16block_id_wrapperIjLb1EEEEE10hipError_tT1_PNSt15iterator_traitsISK_E10value_typeET2_T3_PNSL_ISQ_E10value_typeET4_T5_PSV_SW_PNS1_23onesweep_lookback_stateEbbT6_jjT7_P12ihipStream_tbENKUlT_T0_SK_SP_E_clISD_SD_SF_SF_EEDaS13_S14_SK_SP_EUlS13_E_NS1_11comp_targetILNS1_3genE4ELNS1_11target_archE910ELNS1_3gpuE8ELNS1_3repE0EEENS1_47radix_sort_onesweep_sort_config_static_selectorELNS0_4arch9wavefront6targetE1EEEvSK_,comdat
.Lfunc_end2222:
	.size	_ZN7rocprim17ROCPRIM_400000_NS6detail17trampoline_kernelINS0_14default_configENS1_35radix_sort_onesweep_config_selectorIbiEEZZNS1_29radix_sort_onesweep_iterationIS3_Lb1EN6thrust23THRUST_200600_302600_NS6detail15normal_iteratorINS8_10device_ptrIbEEEESD_NSA_INSB_IiEEEESF_jNS0_19identity_decomposerENS1_16block_id_wrapperIjLb1EEEEE10hipError_tT1_PNSt15iterator_traitsISK_E10value_typeET2_T3_PNSL_ISQ_E10value_typeET4_T5_PSV_SW_PNS1_23onesweep_lookback_stateEbbT6_jjT7_P12ihipStream_tbENKUlT_T0_SK_SP_E_clISD_SD_SF_SF_EEDaS13_S14_SK_SP_EUlS13_E_NS1_11comp_targetILNS1_3genE4ELNS1_11target_archE910ELNS1_3gpuE8ELNS1_3repE0EEENS1_47radix_sort_onesweep_sort_config_static_selectorELNS0_4arch9wavefront6targetE1EEEvSK_, .Lfunc_end2222-_ZN7rocprim17ROCPRIM_400000_NS6detail17trampoline_kernelINS0_14default_configENS1_35radix_sort_onesweep_config_selectorIbiEEZZNS1_29radix_sort_onesweep_iterationIS3_Lb1EN6thrust23THRUST_200600_302600_NS6detail15normal_iteratorINS8_10device_ptrIbEEEESD_NSA_INSB_IiEEEESF_jNS0_19identity_decomposerENS1_16block_id_wrapperIjLb1EEEEE10hipError_tT1_PNSt15iterator_traitsISK_E10value_typeET2_T3_PNSL_ISQ_E10value_typeET4_T5_PSV_SW_PNS1_23onesweep_lookback_stateEbbT6_jjT7_P12ihipStream_tbENKUlT_T0_SK_SP_E_clISD_SD_SF_SF_EEDaS13_S14_SK_SP_EUlS13_E_NS1_11comp_targetILNS1_3genE4ELNS1_11target_archE910ELNS1_3gpuE8ELNS1_3repE0EEENS1_47radix_sort_onesweep_sort_config_static_selectorELNS0_4arch9wavefront6targetE1EEEvSK_
                                        ; -- End function
	.set _ZN7rocprim17ROCPRIM_400000_NS6detail17trampoline_kernelINS0_14default_configENS1_35radix_sort_onesweep_config_selectorIbiEEZZNS1_29radix_sort_onesweep_iterationIS3_Lb1EN6thrust23THRUST_200600_302600_NS6detail15normal_iteratorINS8_10device_ptrIbEEEESD_NSA_INSB_IiEEEESF_jNS0_19identity_decomposerENS1_16block_id_wrapperIjLb1EEEEE10hipError_tT1_PNSt15iterator_traitsISK_E10value_typeET2_T3_PNSL_ISQ_E10value_typeET4_T5_PSV_SW_PNS1_23onesweep_lookback_stateEbbT6_jjT7_P12ihipStream_tbENKUlT_T0_SK_SP_E_clISD_SD_SF_SF_EEDaS13_S14_SK_SP_EUlS13_E_NS1_11comp_targetILNS1_3genE4ELNS1_11target_archE910ELNS1_3gpuE8ELNS1_3repE0EEENS1_47radix_sort_onesweep_sort_config_static_selectorELNS0_4arch9wavefront6targetE1EEEvSK_.num_vgpr, 0
	.set _ZN7rocprim17ROCPRIM_400000_NS6detail17trampoline_kernelINS0_14default_configENS1_35radix_sort_onesweep_config_selectorIbiEEZZNS1_29radix_sort_onesweep_iterationIS3_Lb1EN6thrust23THRUST_200600_302600_NS6detail15normal_iteratorINS8_10device_ptrIbEEEESD_NSA_INSB_IiEEEESF_jNS0_19identity_decomposerENS1_16block_id_wrapperIjLb1EEEEE10hipError_tT1_PNSt15iterator_traitsISK_E10value_typeET2_T3_PNSL_ISQ_E10value_typeET4_T5_PSV_SW_PNS1_23onesweep_lookback_stateEbbT6_jjT7_P12ihipStream_tbENKUlT_T0_SK_SP_E_clISD_SD_SF_SF_EEDaS13_S14_SK_SP_EUlS13_E_NS1_11comp_targetILNS1_3genE4ELNS1_11target_archE910ELNS1_3gpuE8ELNS1_3repE0EEENS1_47radix_sort_onesweep_sort_config_static_selectorELNS0_4arch9wavefront6targetE1EEEvSK_.num_agpr, 0
	.set _ZN7rocprim17ROCPRIM_400000_NS6detail17trampoline_kernelINS0_14default_configENS1_35radix_sort_onesweep_config_selectorIbiEEZZNS1_29radix_sort_onesweep_iterationIS3_Lb1EN6thrust23THRUST_200600_302600_NS6detail15normal_iteratorINS8_10device_ptrIbEEEESD_NSA_INSB_IiEEEESF_jNS0_19identity_decomposerENS1_16block_id_wrapperIjLb1EEEEE10hipError_tT1_PNSt15iterator_traitsISK_E10value_typeET2_T3_PNSL_ISQ_E10value_typeET4_T5_PSV_SW_PNS1_23onesweep_lookback_stateEbbT6_jjT7_P12ihipStream_tbENKUlT_T0_SK_SP_E_clISD_SD_SF_SF_EEDaS13_S14_SK_SP_EUlS13_E_NS1_11comp_targetILNS1_3genE4ELNS1_11target_archE910ELNS1_3gpuE8ELNS1_3repE0EEENS1_47radix_sort_onesweep_sort_config_static_selectorELNS0_4arch9wavefront6targetE1EEEvSK_.numbered_sgpr, 0
	.set _ZN7rocprim17ROCPRIM_400000_NS6detail17trampoline_kernelINS0_14default_configENS1_35radix_sort_onesweep_config_selectorIbiEEZZNS1_29radix_sort_onesweep_iterationIS3_Lb1EN6thrust23THRUST_200600_302600_NS6detail15normal_iteratorINS8_10device_ptrIbEEEESD_NSA_INSB_IiEEEESF_jNS0_19identity_decomposerENS1_16block_id_wrapperIjLb1EEEEE10hipError_tT1_PNSt15iterator_traitsISK_E10value_typeET2_T3_PNSL_ISQ_E10value_typeET4_T5_PSV_SW_PNS1_23onesweep_lookback_stateEbbT6_jjT7_P12ihipStream_tbENKUlT_T0_SK_SP_E_clISD_SD_SF_SF_EEDaS13_S14_SK_SP_EUlS13_E_NS1_11comp_targetILNS1_3genE4ELNS1_11target_archE910ELNS1_3gpuE8ELNS1_3repE0EEENS1_47radix_sort_onesweep_sort_config_static_selectorELNS0_4arch9wavefront6targetE1EEEvSK_.num_named_barrier, 0
	.set _ZN7rocprim17ROCPRIM_400000_NS6detail17trampoline_kernelINS0_14default_configENS1_35radix_sort_onesweep_config_selectorIbiEEZZNS1_29radix_sort_onesweep_iterationIS3_Lb1EN6thrust23THRUST_200600_302600_NS6detail15normal_iteratorINS8_10device_ptrIbEEEESD_NSA_INSB_IiEEEESF_jNS0_19identity_decomposerENS1_16block_id_wrapperIjLb1EEEEE10hipError_tT1_PNSt15iterator_traitsISK_E10value_typeET2_T3_PNSL_ISQ_E10value_typeET4_T5_PSV_SW_PNS1_23onesweep_lookback_stateEbbT6_jjT7_P12ihipStream_tbENKUlT_T0_SK_SP_E_clISD_SD_SF_SF_EEDaS13_S14_SK_SP_EUlS13_E_NS1_11comp_targetILNS1_3genE4ELNS1_11target_archE910ELNS1_3gpuE8ELNS1_3repE0EEENS1_47radix_sort_onesweep_sort_config_static_selectorELNS0_4arch9wavefront6targetE1EEEvSK_.private_seg_size, 0
	.set _ZN7rocprim17ROCPRIM_400000_NS6detail17trampoline_kernelINS0_14default_configENS1_35radix_sort_onesweep_config_selectorIbiEEZZNS1_29radix_sort_onesweep_iterationIS3_Lb1EN6thrust23THRUST_200600_302600_NS6detail15normal_iteratorINS8_10device_ptrIbEEEESD_NSA_INSB_IiEEEESF_jNS0_19identity_decomposerENS1_16block_id_wrapperIjLb1EEEEE10hipError_tT1_PNSt15iterator_traitsISK_E10value_typeET2_T3_PNSL_ISQ_E10value_typeET4_T5_PSV_SW_PNS1_23onesweep_lookback_stateEbbT6_jjT7_P12ihipStream_tbENKUlT_T0_SK_SP_E_clISD_SD_SF_SF_EEDaS13_S14_SK_SP_EUlS13_E_NS1_11comp_targetILNS1_3genE4ELNS1_11target_archE910ELNS1_3gpuE8ELNS1_3repE0EEENS1_47radix_sort_onesweep_sort_config_static_selectorELNS0_4arch9wavefront6targetE1EEEvSK_.uses_vcc, 0
	.set _ZN7rocprim17ROCPRIM_400000_NS6detail17trampoline_kernelINS0_14default_configENS1_35radix_sort_onesweep_config_selectorIbiEEZZNS1_29radix_sort_onesweep_iterationIS3_Lb1EN6thrust23THRUST_200600_302600_NS6detail15normal_iteratorINS8_10device_ptrIbEEEESD_NSA_INSB_IiEEEESF_jNS0_19identity_decomposerENS1_16block_id_wrapperIjLb1EEEEE10hipError_tT1_PNSt15iterator_traitsISK_E10value_typeET2_T3_PNSL_ISQ_E10value_typeET4_T5_PSV_SW_PNS1_23onesweep_lookback_stateEbbT6_jjT7_P12ihipStream_tbENKUlT_T0_SK_SP_E_clISD_SD_SF_SF_EEDaS13_S14_SK_SP_EUlS13_E_NS1_11comp_targetILNS1_3genE4ELNS1_11target_archE910ELNS1_3gpuE8ELNS1_3repE0EEENS1_47radix_sort_onesweep_sort_config_static_selectorELNS0_4arch9wavefront6targetE1EEEvSK_.uses_flat_scratch, 0
	.set _ZN7rocprim17ROCPRIM_400000_NS6detail17trampoline_kernelINS0_14default_configENS1_35radix_sort_onesweep_config_selectorIbiEEZZNS1_29radix_sort_onesweep_iterationIS3_Lb1EN6thrust23THRUST_200600_302600_NS6detail15normal_iteratorINS8_10device_ptrIbEEEESD_NSA_INSB_IiEEEESF_jNS0_19identity_decomposerENS1_16block_id_wrapperIjLb1EEEEE10hipError_tT1_PNSt15iterator_traitsISK_E10value_typeET2_T3_PNSL_ISQ_E10value_typeET4_T5_PSV_SW_PNS1_23onesweep_lookback_stateEbbT6_jjT7_P12ihipStream_tbENKUlT_T0_SK_SP_E_clISD_SD_SF_SF_EEDaS13_S14_SK_SP_EUlS13_E_NS1_11comp_targetILNS1_3genE4ELNS1_11target_archE910ELNS1_3gpuE8ELNS1_3repE0EEENS1_47radix_sort_onesweep_sort_config_static_selectorELNS0_4arch9wavefront6targetE1EEEvSK_.has_dyn_sized_stack, 0
	.set _ZN7rocprim17ROCPRIM_400000_NS6detail17trampoline_kernelINS0_14default_configENS1_35radix_sort_onesweep_config_selectorIbiEEZZNS1_29radix_sort_onesweep_iterationIS3_Lb1EN6thrust23THRUST_200600_302600_NS6detail15normal_iteratorINS8_10device_ptrIbEEEESD_NSA_INSB_IiEEEESF_jNS0_19identity_decomposerENS1_16block_id_wrapperIjLb1EEEEE10hipError_tT1_PNSt15iterator_traitsISK_E10value_typeET2_T3_PNSL_ISQ_E10value_typeET4_T5_PSV_SW_PNS1_23onesweep_lookback_stateEbbT6_jjT7_P12ihipStream_tbENKUlT_T0_SK_SP_E_clISD_SD_SF_SF_EEDaS13_S14_SK_SP_EUlS13_E_NS1_11comp_targetILNS1_3genE4ELNS1_11target_archE910ELNS1_3gpuE8ELNS1_3repE0EEENS1_47radix_sort_onesweep_sort_config_static_selectorELNS0_4arch9wavefront6targetE1EEEvSK_.has_recursion, 0
	.set _ZN7rocprim17ROCPRIM_400000_NS6detail17trampoline_kernelINS0_14default_configENS1_35radix_sort_onesweep_config_selectorIbiEEZZNS1_29radix_sort_onesweep_iterationIS3_Lb1EN6thrust23THRUST_200600_302600_NS6detail15normal_iteratorINS8_10device_ptrIbEEEESD_NSA_INSB_IiEEEESF_jNS0_19identity_decomposerENS1_16block_id_wrapperIjLb1EEEEE10hipError_tT1_PNSt15iterator_traitsISK_E10value_typeET2_T3_PNSL_ISQ_E10value_typeET4_T5_PSV_SW_PNS1_23onesweep_lookback_stateEbbT6_jjT7_P12ihipStream_tbENKUlT_T0_SK_SP_E_clISD_SD_SF_SF_EEDaS13_S14_SK_SP_EUlS13_E_NS1_11comp_targetILNS1_3genE4ELNS1_11target_archE910ELNS1_3gpuE8ELNS1_3repE0EEENS1_47radix_sort_onesweep_sort_config_static_selectorELNS0_4arch9wavefront6targetE1EEEvSK_.has_indirect_call, 0
	.section	.AMDGPU.csdata,"",@progbits
; Kernel info:
; codeLenInByte = 0
; TotalNumSgprs: 6
; NumVgprs: 0
; NumAgprs: 0
; TotalNumVgprs: 0
; ScratchSize: 0
; MemoryBound: 0
; FloatMode: 240
; IeeeMode: 1
; LDSByteSize: 0 bytes/workgroup (compile time only)
; SGPRBlocks: 0
; VGPRBlocks: 0
; NumSGPRsForWavesPerEU: 6
; NumVGPRsForWavesPerEU: 1
; AccumOffset: 4
; Occupancy: 8
; WaveLimiterHint : 0
; COMPUTE_PGM_RSRC2:SCRATCH_EN: 0
; COMPUTE_PGM_RSRC2:USER_SGPR: 2
; COMPUTE_PGM_RSRC2:TRAP_HANDLER: 0
; COMPUTE_PGM_RSRC2:TGID_X_EN: 1
; COMPUTE_PGM_RSRC2:TGID_Y_EN: 0
; COMPUTE_PGM_RSRC2:TGID_Z_EN: 0
; COMPUTE_PGM_RSRC2:TIDIG_COMP_CNT: 0
; COMPUTE_PGM_RSRC3_GFX90A:ACCUM_OFFSET: 0
; COMPUTE_PGM_RSRC3_GFX90A:TG_SPLIT: 0
	.section	.text._ZN7rocprim17ROCPRIM_400000_NS6detail17trampoline_kernelINS0_14default_configENS1_35radix_sort_onesweep_config_selectorIbiEEZZNS1_29radix_sort_onesweep_iterationIS3_Lb1EN6thrust23THRUST_200600_302600_NS6detail15normal_iteratorINS8_10device_ptrIbEEEESD_NSA_INSB_IiEEEESF_jNS0_19identity_decomposerENS1_16block_id_wrapperIjLb1EEEEE10hipError_tT1_PNSt15iterator_traitsISK_E10value_typeET2_T3_PNSL_ISQ_E10value_typeET4_T5_PSV_SW_PNS1_23onesweep_lookback_stateEbbT6_jjT7_P12ihipStream_tbENKUlT_T0_SK_SP_E_clISD_SD_SF_SF_EEDaS13_S14_SK_SP_EUlS13_E_NS1_11comp_targetILNS1_3genE3ELNS1_11target_archE908ELNS1_3gpuE7ELNS1_3repE0EEENS1_47radix_sort_onesweep_sort_config_static_selectorELNS0_4arch9wavefront6targetE1EEEvSK_,"axG",@progbits,_ZN7rocprim17ROCPRIM_400000_NS6detail17trampoline_kernelINS0_14default_configENS1_35radix_sort_onesweep_config_selectorIbiEEZZNS1_29radix_sort_onesweep_iterationIS3_Lb1EN6thrust23THRUST_200600_302600_NS6detail15normal_iteratorINS8_10device_ptrIbEEEESD_NSA_INSB_IiEEEESF_jNS0_19identity_decomposerENS1_16block_id_wrapperIjLb1EEEEE10hipError_tT1_PNSt15iterator_traitsISK_E10value_typeET2_T3_PNSL_ISQ_E10value_typeET4_T5_PSV_SW_PNS1_23onesweep_lookback_stateEbbT6_jjT7_P12ihipStream_tbENKUlT_T0_SK_SP_E_clISD_SD_SF_SF_EEDaS13_S14_SK_SP_EUlS13_E_NS1_11comp_targetILNS1_3genE3ELNS1_11target_archE908ELNS1_3gpuE7ELNS1_3repE0EEENS1_47radix_sort_onesweep_sort_config_static_selectorELNS0_4arch9wavefront6targetE1EEEvSK_,comdat
	.protected	_ZN7rocprim17ROCPRIM_400000_NS6detail17trampoline_kernelINS0_14default_configENS1_35radix_sort_onesweep_config_selectorIbiEEZZNS1_29radix_sort_onesweep_iterationIS3_Lb1EN6thrust23THRUST_200600_302600_NS6detail15normal_iteratorINS8_10device_ptrIbEEEESD_NSA_INSB_IiEEEESF_jNS0_19identity_decomposerENS1_16block_id_wrapperIjLb1EEEEE10hipError_tT1_PNSt15iterator_traitsISK_E10value_typeET2_T3_PNSL_ISQ_E10value_typeET4_T5_PSV_SW_PNS1_23onesweep_lookback_stateEbbT6_jjT7_P12ihipStream_tbENKUlT_T0_SK_SP_E_clISD_SD_SF_SF_EEDaS13_S14_SK_SP_EUlS13_E_NS1_11comp_targetILNS1_3genE3ELNS1_11target_archE908ELNS1_3gpuE7ELNS1_3repE0EEENS1_47radix_sort_onesweep_sort_config_static_selectorELNS0_4arch9wavefront6targetE1EEEvSK_ ; -- Begin function _ZN7rocprim17ROCPRIM_400000_NS6detail17trampoline_kernelINS0_14default_configENS1_35radix_sort_onesweep_config_selectorIbiEEZZNS1_29radix_sort_onesweep_iterationIS3_Lb1EN6thrust23THRUST_200600_302600_NS6detail15normal_iteratorINS8_10device_ptrIbEEEESD_NSA_INSB_IiEEEESF_jNS0_19identity_decomposerENS1_16block_id_wrapperIjLb1EEEEE10hipError_tT1_PNSt15iterator_traitsISK_E10value_typeET2_T3_PNSL_ISQ_E10value_typeET4_T5_PSV_SW_PNS1_23onesweep_lookback_stateEbbT6_jjT7_P12ihipStream_tbENKUlT_T0_SK_SP_E_clISD_SD_SF_SF_EEDaS13_S14_SK_SP_EUlS13_E_NS1_11comp_targetILNS1_3genE3ELNS1_11target_archE908ELNS1_3gpuE7ELNS1_3repE0EEENS1_47radix_sort_onesweep_sort_config_static_selectorELNS0_4arch9wavefront6targetE1EEEvSK_
	.globl	_ZN7rocprim17ROCPRIM_400000_NS6detail17trampoline_kernelINS0_14default_configENS1_35radix_sort_onesweep_config_selectorIbiEEZZNS1_29radix_sort_onesweep_iterationIS3_Lb1EN6thrust23THRUST_200600_302600_NS6detail15normal_iteratorINS8_10device_ptrIbEEEESD_NSA_INSB_IiEEEESF_jNS0_19identity_decomposerENS1_16block_id_wrapperIjLb1EEEEE10hipError_tT1_PNSt15iterator_traitsISK_E10value_typeET2_T3_PNSL_ISQ_E10value_typeET4_T5_PSV_SW_PNS1_23onesweep_lookback_stateEbbT6_jjT7_P12ihipStream_tbENKUlT_T0_SK_SP_E_clISD_SD_SF_SF_EEDaS13_S14_SK_SP_EUlS13_E_NS1_11comp_targetILNS1_3genE3ELNS1_11target_archE908ELNS1_3gpuE7ELNS1_3repE0EEENS1_47radix_sort_onesweep_sort_config_static_selectorELNS0_4arch9wavefront6targetE1EEEvSK_
	.p2align	8
	.type	_ZN7rocprim17ROCPRIM_400000_NS6detail17trampoline_kernelINS0_14default_configENS1_35radix_sort_onesweep_config_selectorIbiEEZZNS1_29radix_sort_onesweep_iterationIS3_Lb1EN6thrust23THRUST_200600_302600_NS6detail15normal_iteratorINS8_10device_ptrIbEEEESD_NSA_INSB_IiEEEESF_jNS0_19identity_decomposerENS1_16block_id_wrapperIjLb1EEEEE10hipError_tT1_PNSt15iterator_traitsISK_E10value_typeET2_T3_PNSL_ISQ_E10value_typeET4_T5_PSV_SW_PNS1_23onesweep_lookback_stateEbbT6_jjT7_P12ihipStream_tbENKUlT_T0_SK_SP_E_clISD_SD_SF_SF_EEDaS13_S14_SK_SP_EUlS13_E_NS1_11comp_targetILNS1_3genE3ELNS1_11target_archE908ELNS1_3gpuE7ELNS1_3repE0EEENS1_47radix_sort_onesweep_sort_config_static_selectorELNS0_4arch9wavefront6targetE1EEEvSK_,@function
_ZN7rocprim17ROCPRIM_400000_NS6detail17trampoline_kernelINS0_14default_configENS1_35radix_sort_onesweep_config_selectorIbiEEZZNS1_29radix_sort_onesweep_iterationIS3_Lb1EN6thrust23THRUST_200600_302600_NS6detail15normal_iteratorINS8_10device_ptrIbEEEESD_NSA_INSB_IiEEEESF_jNS0_19identity_decomposerENS1_16block_id_wrapperIjLb1EEEEE10hipError_tT1_PNSt15iterator_traitsISK_E10value_typeET2_T3_PNSL_ISQ_E10value_typeET4_T5_PSV_SW_PNS1_23onesweep_lookback_stateEbbT6_jjT7_P12ihipStream_tbENKUlT_T0_SK_SP_E_clISD_SD_SF_SF_EEDaS13_S14_SK_SP_EUlS13_E_NS1_11comp_targetILNS1_3genE3ELNS1_11target_archE908ELNS1_3gpuE7ELNS1_3repE0EEENS1_47radix_sort_onesweep_sort_config_static_selectorELNS0_4arch9wavefront6targetE1EEEvSK_: ; @_ZN7rocprim17ROCPRIM_400000_NS6detail17trampoline_kernelINS0_14default_configENS1_35radix_sort_onesweep_config_selectorIbiEEZZNS1_29radix_sort_onesweep_iterationIS3_Lb1EN6thrust23THRUST_200600_302600_NS6detail15normal_iteratorINS8_10device_ptrIbEEEESD_NSA_INSB_IiEEEESF_jNS0_19identity_decomposerENS1_16block_id_wrapperIjLb1EEEEE10hipError_tT1_PNSt15iterator_traitsISK_E10value_typeET2_T3_PNSL_ISQ_E10value_typeET4_T5_PSV_SW_PNS1_23onesweep_lookback_stateEbbT6_jjT7_P12ihipStream_tbENKUlT_T0_SK_SP_E_clISD_SD_SF_SF_EEDaS13_S14_SK_SP_EUlS13_E_NS1_11comp_targetILNS1_3genE3ELNS1_11target_archE908ELNS1_3gpuE7ELNS1_3repE0EEENS1_47radix_sort_onesweep_sort_config_static_selectorELNS0_4arch9wavefront6targetE1EEEvSK_
; %bb.0:
	.section	.rodata,"a",@progbits
	.p2align	6, 0x0
	.amdhsa_kernel _ZN7rocprim17ROCPRIM_400000_NS6detail17trampoline_kernelINS0_14default_configENS1_35radix_sort_onesweep_config_selectorIbiEEZZNS1_29radix_sort_onesweep_iterationIS3_Lb1EN6thrust23THRUST_200600_302600_NS6detail15normal_iteratorINS8_10device_ptrIbEEEESD_NSA_INSB_IiEEEESF_jNS0_19identity_decomposerENS1_16block_id_wrapperIjLb1EEEEE10hipError_tT1_PNSt15iterator_traitsISK_E10value_typeET2_T3_PNSL_ISQ_E10value_typeET4_T5_PSV_SW_PNS1_23onesweep_lookback_stateEbbT6_jjT7_P12ihipStream_tbENKUlT_T0_SK_SP_E_clISD_SD_SF_SF_EEDaS13_S14_SK_SP_EUlS13_E_NS1_11comp_targetILNS1_3genE3ELNS1_11target_archE908ELNS1_3gpuE7ELNS1_3repE0EEENS1_47radix_sort_onesweep_sort_config_static_selectorELNS0_4arch9wavefront6targetE1EEEvSK_
		.amdhsa_group_segment_fixed_size 0
		.amdhsa_private_segment_fixed_size 0
		.amdhsa_kernarg_size 88
		.amdhsa_user_sgpr_count 2
		.amdhsa_user_sgpr_dispatch_ptr 0
		.amdhsa_user_sgpr_queue_ptr 0
		.amdhsa_user_sgpr_kernarg_segment_ptr 1
		.amdhsa_user_sgpr_dispatch_id 0
		.amdhsa_user_sgpr_kernarg_preload_length 0
		.amdhsa_user_sgpr_kernarg_preload_offset 0
		.amdhsa_user_sgpr_private_segment_size 0
		.amdhsa_uses_dynamic_stack 0
		.amdhsa_enable_private_segment 0
		.amdhsa_system_sgpr_workgroup_id_x 1
		.amdhsa_system_sgpr_workgroup_id_y 0
		.amdhsa_system_sgpr_workgroup_id_z 0
		.amdhsa_system_sgpr_workgroup_info 0
		.amdhsa_system_vgpr_workitem_id 0
		.amdhsa_next_free_vgpr 1
		.amdhsa_next_free_sgpr 0
		.amdhsa_accum_offset 4
		.amdhsa_reserve_vcc 0
		.amdhsa_float_round_mode_32 0
		.amdhsa_float_round_mode_16_64 0
		.amdhsa_float_denorm_mode_32 3
		.amdhsa_float_denorm_mode_16_64 3
		.amdhsa_dx10_clamp 1
		.amdhsa_ieee_mode 1
		.amdhsa_fp16_overflow 0
		.amdhsa_tg_split 0
		.amdhsa_exception_fp_ieee_invalid_op 0
		.amdhsa_exception_fp_denorm_src 0
		.amdhsa_exception_fp_ieee_div_zero 0
		.amdhsa_exception_fp_ieee_overflow 0
		.amdhsa_exception_fp_ieee_underflow 0
		.amdhsa_exception_fp_ieee_inexact 0
		.amdhsa_exception_int_div_zero 0
	.end_amdhsa_kernel
	.section	.text._ZN7rocprim17ROCPRIM_400000_NS6detail17trampoline_kernelINS0_14default_configENS1_35radix_sort_onesweep_config_selectorIbiEEZZNS1_29radix_sort_onesweep_iterationIS3_Lb1EN6thrust23THRUST_200600_302600_NS6detail15normal_iteratorINS8_10device_ptrIbEEEESD_NSA_INSB_IiEEEESF_jNS0_19identity_decomposerENS1_16block_id_wrapperIjLb1EEEEE10hipError_tT1_PNSt15iterator_traitsISK_E10value_typeET2_T3_PNSL_ISQ_E10value_typeET4_T5_PSV_SW_PNS1_23onesweep_lookback_stateEbbT6_jjT7_P12ihipStream_tbENKUlT_T0_SK_SP_E_clISD_SD_SF_SF_EEDaS13_S14_SK_SP_EUlS13_E_NS1_11comp_targetILNS1_3genE3ELNS1_11target_archE908ELNS1_3gpuE7ELNS1_3repE0EEENS1_47radix_sort_onesweep_sort_config_static_selectorELNS0_4arch9wavefront6targetE1EEEvSK_,"axG",@progbits,_ZN7rocprim17ROCPRIM_400000_NS6detail17trampoline_kernelINS0_14default_configENS1_35radix_sort_onesweep_config_selectorIbiEEZZNS1_29radix_sort_onesweep_iterationIS3_Lb1EN6thrust23THRUST_200600_302600_NS6detail15normal_iteratorINS8_10device_ptrIbEEEESD_NSA_INSB_IiEEEESF_jNS0_19identity_decomposerENS1_16block_id_wrapperIjLb1EEEEE10hipError_tT1_PNSt15iterator_traitsISK_E10value_typeET2_T3_PNSL_ISQ_E10value_typeET4_T5_PSV_SW_PNS1_23onesweep_lookback_stateEbbT6_jjT7_P12ihipStream_tbENKUlT_T0_SK_SP_E_clISD_SD_SF_SF_EEDaS13_S14_SK_SP_EUlS13_E_NS1_11comp_targetILNS1_3genE3ELNS1_11target_archE908ELNS1_3gpuE7ELNS1_3repE0EEENS1_47radix_sort_onesweep_sort_config_static_selectorELNS0_4arch9wavefront6targetE1EEEvSK_,comdat
.Lfunc_end2223:
	.size	_ZN7rocprim17ROCPRIM_400000_NS6detail17trampoline_kernelINS0_14default_configENS1_35radix_sort_onesweep_config_selectorIbiEEZZNS1_29radix_sort_onesweep_iterationIS3_Lb1EN6thrust23THRUST_200600_302600_NS6detail15normal_iteratorINS8_10device_ptrIbEEEESD_NSA_INSB_IiEEEESF_jNS0_19identity_decomposerENS1_16block_id_wrapperIjLb1EEEEE10hipError_tT1_PNSt15iterator_traitsISK_E10value_typeET2_T3_PNSL_ISQ_E10value_typeET4_T5_PSV_SW_PNS1_23onesweep_lookback_stateEbbT6_jjT7_P12ihipStream_tbENKUlT_T0_SK_SP_E_clISD_SD_SF_SF_EEDaS13_S14_SK_SP_EUlS13_E_NS1_11comp_targetILNS1_3genE3ELNS1_11target_archE908ELNS1_3gpuE7ELNS1_3repE0EEENS1_47radix_sort_onesweep_sort_config_static_selectorELNS0_4arch9wavefront6targetE1EEEvSK_, .Lfunc_end2223-_ZN7rocprim17ROCPRIM_400000_NS6detail17trampoline_kernelINS0_14default_configENS1_35radix_sort_onesweep_config_selectorIbiEEZZNS1_29radix_sort_onesweep_iterationIS3_Lb1EN6thrust23THRUST_200600_302600_NS6detail15normal_iteratorINS8_10device_ptrIbEEEESD_NSA_INSB_IiEEEESF_jNS0_19identity_decomposerENS1_16block_id_wrapperIjLb1EEEEE10hipError_tT1_PNSt15iterator_traitsISK_E10value_typeET2_T3_PNSL_ISQ_E10value_typeET4_T5_PSV_SW_PNS1_23onesweep_lookback_stateEbbT6_jjT7_P12ihipStream_tbENKUlT_T0_SK_SP_E_clISD_SD_SF_SF_EEDaS13_S14_SK_SP_EUlS13_E_NS1_11comp_targetILNS1_3genE3ELNS1_11target_archE908ELNS1_3gpuE7ELNS1_3repE0EEENS1_47radix_sort_onesweep_sort_config_static_selectorELNS0_4arch9wavefront6targetE1EEEvSK_
                                        ; -- End function
	.set _ZN7rocprim17ROCPRIM_400000_NS6detail17trampoline_kernelINS0_14default_configENS1_35radix_sort_onesweep_config_selectorIbiEEZZNS1_29radix_sort_onesweep_iterationIS3_Lb1EN6thrust23THRUST_200600_302600_NS6detail15normal_iteratorINS8_10device_ptrIbEEEESD_NSA_INSB_IiEEEESF_jNS0_19identity_decomposerENS1_16block_id_wrapperIjLb1EEEEE10hipError_tT1_PNSt15iterator_traitsISK_E10value_typeET2_T3_PNSL_ISQ_E10value_typeET4_T5_PSV_SW_PNS1_23onesweep_lookback_stateEbbT6_jjT7_P12ihipStream_tbENKUlT_T0_SK_SP_E_clISD_SD_SF_SF_EEDaS13_S14_SK_SP_EUlS13_E_NS1_11comp_targetILNS1_3genE3ELNS1_11target_archE908ELNS1_3gpuE7ELNS1_3repE0EEENS1_47radix_sort_onesweep_sort_config_static_selectorELNS0_4arch9wavefront6targetE1EEEvSK_.num_vgpr, 0
	.set _ZN7rocprim17ROCPRIM_400000_NS6detail17trampoline_kernelINS0_14default_configENS1_35radix_sort_onesweep_config_selectorIbiEEZZNS1_29radix_sort_onesweep_iterationIS3_Lb1EN6thrust23THRUST_200600_302600_NS6detail15normal_iteratorINS8_10device_ptrIbEEEESD_NSA_INSB_IiEEEESF_jNS0_19identity_decomposerENS1_16block_id_wrapperIjLb1EEEEE10hipError_tT1_PNSt15iterator_traitsISK_E10value_typeET2_T3_PNSL_ISQ_E10value_typeET4_T5_PSV_SW_PNS1_23onesweep_lookback_stateEbbT6_jjT7_P12ihipStream_tbENKUlT_T0_SK_SP_E_clISD_SD_SF_SF_EEDaS13_S14_SK_SP_EUlS13_E_NS1_11comp_targetILNS1_3genE3ELNS1_11target_archE908ELNS1_3gpuE7ELNS1_3repE0EEENS1_47radix_sort_onesweep_sort_config_static_selectorELNS0_4arch9wavefront6targetE1EEEvSK_.num_agpr, 0
	.set _ZN7rocprim17ROCPRIM_400000_NS6detail17trampoline_kernelINS0_14default_configENS1_35radix_sort_onesweep_config_selectorIbiEEZZNS1_29radix_sort_onesweep_iterationIS3_Lb1EN6thrust23THRUST_200600_302600_NS6detail15normal_iteratorINS8_10device_ptrIbEEEESD_NSA_INSB_IiEEEESF_jNS0_19identity_decomposerENS1_16block_id_wrapperIjLb1EEEEE10hipError_tT1_PNSt15iterator_traitsISK_E10value_typeET2_T3_PNSL_ISQ_E10value_typeET4_T5_PSV_SW_PNS1_23onesweep_lookback_stateEbbT6_jjT7_P12ihipStream_tbENKUlT_T0_SK_SP_E_clISD_SD_SF_SF_EEDaS13_S14_SK_SP_EUlS13_E_NS1_11comp_targetILNS1_3genE3ELNS1_11target_archE908ELNS1_3gpuE7ELNS1_3repE0EEENS1_47radix_sort_onesweep_sort_config_static_selectorELNS0_4arch9wavefront6targetE1EEEvSK_.numbered_sgpr, 0
	.set _ZN7rocprim17ROCPRIM_400000_NS6detail17trampoline_kernelINS0_14default_configENS1_35radix_sort_onesweep_config_selectorIbiEEZZNS1_29radix_sort_onesweep_iterationIS3_Lb1EN6thrust23THRUST_200600_302600_NS6detail15normal_iteratorINS8_10device_ptrIbEEEESD_NSA_INSB_IiEEEESF_jNS0_19identity_decomposerENS1_16block_id_wrapperIjLb1EEEEE10hipError_tT1_PNSt15iterator_traitsISK_E10value_typeET2_T3_PNSL_ISQ_E10value_typeET4_T5_PSV_SW_PNS1_23onesweep_lookback_stateEbbT6_jjT7_P12ihipStream_tbENKUlT_T0_SK_SP_E_clISD_SD_SF_SF_EEDaS13_S14_SK_SP_EUlS13_E_NS1_11comp_targetILNS1_3genE3ELNS1_11target_archE908ELNS1_3gpuE7ELNS1_3repE0EEENS1_47radix_sort_onesweep_sort_config_static_selectorELNS0_4arch9wavefront6targetE1EEEvSK_.num_named_barrier, 0
	.set _ZN7rocprim17ROCPRIM_400000_NS6detail17trampoline_kernelINS0_14default_configENS1_35radix_sort_onesweep_config_selectorIbiEEZZNS1_29radix_sort_onesweep_iterationIS3_Lb1EN6thrust23THRUST_200600_302600_NS6detail15normal_iteratorINS8_10device_ptrIbEEEESD_NSA_INSB_IiEEEESF_jNS0_19identity_decomposerENS1_16block_id_wrapperIjLb1EEEEE10hipError_tT1_PNSt15iterator_traitsISK_E10value_typeET2_T3_PNSL_ISQ_E10value_typeET4_T5_PSV_SW_PNS1_23onesweep_lookback_stateEbbT6_jjT7_P12ihipStream_tbENKUlT_T0_SK_SP_E_clISD_SD_SF_SF_EEDaS13_S14_SK_SP_EUlS13_E_NS1_11comp_targetILNS1_3genE3ELNS1_11target_archE908ELNS1_3gpuE7ELNS1_3repE0EEENS1_47radix_sort_onesweep_sort_config_static_selectorELNS0_4arch9wavefront6targetE1EEEvSK_.private_seg_size, 0
	.set _ZN7rocprim17ROCPRIM_400000_NS6detail17trampoline_kernelINS0_14default_configENS1_35radix_sort_onesweep_config_selectorIbiEEZZNS1_29radix_sort_onesweep_iterationIS3_Lb1EN6thrust23THRUST_200600_302600_NS6detail15normal_iteratorINS8_10device_ptrIbEEEESD_NSA_INSB_IiEEEESF_jNS0_19identity_decomposerENS1_16block_id_wrapperIjLb1EEEEE10hipError_tT1_PNSt15iterator_traitsISK_E10value_typeET2_T3_PNSL_ISQ_E10value_typeET4_T5_PSV_SW_PNS1_23onesweep_lookback_stateEbbT6_jjT7_P12ihipStream_tbENKUlT_T0_SK_SP_E_clISD_SD_SF_SF_EEDaS13_S14_SK_SP_EUlS13_E_NS1_11comp_targetILNS1_3genE3ELNS1_11target_archE908ELNS1_3gpuE7ELNS1_3repE0EEENS1_47radix_sort_onesweep_sort_config_static_selectorELNS0_4arch9wavefront6targetE1EEEvSK_.uses_vcc, 0
	.set _ZN7rocprim17ROCPRIM_400000_NS6detail17trampoline_kernelINS0_14default_configENS1_35radix_sort_onesweep_config_selectorIbiEEZZNS1_29radix_sort_onesweep_iterationIS3_Lb1EN6thrust23THRUST_200600_302600_NS6detail15normal_iteratorINS8_10device_ptrIbEEEESD_NSA_INSB_IiEEEESF_jNS0_19identity_decomposerENS1_16block_id_wrapperIjLb1EEEEE10hipError_tT1_PNSt15iterator_traitsISK_E10value_typeET2_T3_PNSL_ISQ_E10value_typeET4_T5_PSV_SW_PNS1_23onesweep_lookback_stateEbbT6_jjT7_P12ihipStream_tbENKUlT_T0_SK_SP_E_clISD_SD_SF_SF_EEDaS13_S14_SK_SP_EUlS13_E_NS1_11comp_targetILNS1_3genE3ELNS1_11target_archE908ELNS1_3gpuE7ELNS1_3repE0EEENS1_47radix_sort_onesweep_sort_config_static_selectorELNS0_4arch9wavefront6targetE1EEEvSK_.uses_flat_scratch, 0
	.set _ZN7rocprim17ROCPRIM_400000_NS6detail17trampoline_kernelINS0_14default_configENS1_35radix_sort_onesweep_config_selectorIbiEEZZNS1_29radix_sort_onesweep_iterationIS3_Lb1EN6thrust23THRUST_200600_302600_NS6detail15normal_iteratorINS8_10device_ptrIbEEEESD_NSA_INSB_IiEEEESF_jNS0_19identity_decomposerENS1_16block_id_wrapperIjLb1EEEEE10hipError_tT1_PNSt15iterator_traitsISK_E10value_typeET2_T3_PNSL_ISQ_E10value_typeET4_T5_PSV_SW_PNS1_23onesweep_lookback_stateEbbT6_jjT7_P12ihipStream_tbENKUlT_T0_SK_SP_E_clISD_SD_SF_SF_EEDaS13_S14_SK_SP_EUlS13_E_NS1_11comp_targetILNS1_3genE3ELNS1_11target_archE908ELNS1_3gpuE7ELNS1_3repE0EEENS1_47radix_sort_onesweep_sort_config_static_selectorELNS0_4arch9wavefront6targetE1EEEvSK_.has_dyn_sized_stack, 0
	.set _ZN7rocprim17ROCPRIM_400000_NS6detail17trampoline_kernelINS0_14default_configENS1_35radix_sort_onesweep_config_selectorIbiEEZZNS1_29radix_sort_onesweep_iterationIS3_Lb1EN6thrust23THRUST_200600_302600_NS6detail15normal_iteratorINS8_10device_ptrIbEEEESD_NSA_INSB_IiEEEESF_jNS0_19identity_decomposerENS1_16block_id_wrapperIjLb1EEEEE10hipError_tT1_PNSt15iterator_traitsISK_E10value_typeET2_T3_PNSL_ISQ_E10value_typeET4_T5_PSV_SW_PNS1_23onesweep_lookback_stateEbbT6_jjT7_P12ihipStream_tbENKUlT_T0_SK_SP_E_clISD_SD_SF_SF_EEDaS13_S14_SK_SP_EUlS13_E_NS1_11comp_targetILNS1_3genE3ELNS1_11target_archE908ELNS1_3gpuE7ELNS1_3repE0EEENS1_47radix_sort_onesweep_sort_config_static_selectorELNS0_4arch9wavefront6targetE1EEEvSK_.has_recursion, 0
	.set _ZN7rocprim17ROCPRIM_400000_NS6detail17trampoline_kernelINS0_14default_configENS1_35radix_sort_onesweep_config_selectorIbiEEZZNS1_29radix_sort_onesweep_iterationIS3_Lb1EN6thrust23THRUST_200600_302600_NS6detail15normal_iteratorINS8_10device_ptrIbEEEESD_NSA_INSB_IiEEEESF_jNS0_19identity_decomposerENS1_16block_id_wrapperIjLb1EEEEE10hipError_tT1_PNSt15iterator_traitsISK_E10value_typeET2_T3_PNSL_ISQ_E10value_typeET4_T5_PSV_SW_PNS1_23onesweep_lookback_stateEbbT6_jjT7_P12ihipStream_tbENKUlT_T0_SK_SP_E_clISD_SD_SF_SF_EEDaS13_S14_SK_SP_EUlS13_E_NS1_11comp_targetILNS1_3genE3ELNS1_11target_archE908ELNS1_3gpuE7ELNS1_3repE0EEENS1_47radix_sort_onesweep_sort_config_static_selectorELNS0_4arch9wavefront6targetE1EEEvSK_.has_indirect_call, 0
	.section	.AMDGPU.csdata,"",@progbits
; Kernel info:
; codeLenInByte = 0
; TotalNumSgprs: 6
; NumVgprs: 0
; NumAgprs: 0
; TotalNumVgprs: 0
; ScratchSize: 0
; MemoryBound: 0
; FloatMode: 240
; IeeeMode: 1
; LDSByteSize: 0 bytes/workgroup (compile time only)
; SGPRBlocks: 0
; VGPRBlocks: 0
; NumSGPRsForWavesPerEU: 6
; NumVGPRsForWavesPerEU: 1
; AccumOffset: 4
; Occupancy: 8
; WaveLimiterHint : 0
; COMPUTE_PGM_RSRC2:SCRATCH_EN: 0
; COMPUTE_PGM_RSRC2:USER_SGPR: 2
; COMPUTE_PGM_RSRC2:TRAP_HANDLER: 0
; COMPUTE_PGM_RSRC2:TGID_X_EN: 1
; COMPUTE_PGM_RSRC2:TGID_Y_EN: 0
; COMPUTE_PGM_RSRC2:TGID_Z_EN: 0
; COMPUTE_PGM_RSRC2:TIDIG_COMP_CNT: 0
; COMPUTE_PGM_RSRC3_GFX90A:ACCUM_OFFSET: 0
; COMPUTE_PGM_RSRC3_GFX90A:TG_SPLIT: 0
	.section	.text._ZN7rocprim17ROCPRIM_400000_NS6detail17trampoline_kernelINS0_14default_configENS1_35radix_sort_onesweep_config_selectorIbiEEZZNS1_29radix_sort_onesweep_iterationIS3_Lb1EN6thrust23THRUST_200600_302600_NS6detail15normal_iteratorINS8_10device_ptrIbEEEESD_NSA_INSB_IiEEEESF_jNS0_19identity_decomposerENS1_16block_id_wrapperIjLb1EEEEE10hipError_tT1_PNSt15iterator_traitsISK_E10value_typeET2_T3_PNSL_ISQ_E10value_typeET4_T5_PSV_SW_PNS1_23onesweep_lookback_stateEbbT6_jjT7_P12ihipStream_tbENKUlT_T0_SK_SP_E_clISD_SD_SF_SF_EEDaS13_S14_SK_SP_EUlS13_E_NS1_11comp_targetILNS1_3genE10ELNS1_11target_archE1201ELNS1_3gpuE5ELNS1_3repE0EEENS1_47radix_sort_onesweep_sort_config_static_selectorELNS0_4arch9wavefront6targetE1EEEvSK_,"axG",@progbits,_ZN7rocprim17ROCPRIM_400000_NS6detail17trampoline_kernelINS0_14default_configENS1_35radix_sort_onesweep_config_selectorIbiEEZZNS1_29radix_sort_onesweep_iterationIS3_Lb1EN6thrust23THRUST_200600_302600_NS6detail15normal_iteratorINS8_10device_ptrIbEEEESD_NSA_INSB_IiEEEESF_jNS0_19identity_decomposerENS1_16block_id_wrapperIjLb1EEEEE10hipError_tT1_PNSt15iterator_traitsISK_E10value_typeET2_T3_PNSL_ISQ_E10value_typeET4_T5_PSV_SW_PNS1_23onesweep_lookback_stateEbbT6_jjT7_P12ihipStream_tbENKUlT_T0_SK_SP_E_clISD_SD_SF_SF_EEDaS13_S14_SK_SP_EUlS13_E_NS1_11comp_targetILNS1_3genE10ELNS1_11target_archE1201ELNS1_3gpuE5ELNS1_3repE0EEENS1_47radix_sort_onesweep_sort_config_static_selectorELNS0_4arch9wavefront6targetE1EEEvSK_,comdat
	.protected	_ZN7rocprim17ROCPRIM_400000_NS6detail17trampoline_kernelINS0_14default_configENS1_35radix_sort_onesweep_config_selectorIbiEEZZNS1_29radix_sort_onesweep_iterationIS3_Lb1EN6thrust23THRUST_200600_302600_NS6detail15normal_iteratorINS8_10device_ptrIbEEEESD_NSA_INSB_IiEEEESF_jNS0_19identity_decomposerENS1_16block_id_wrapperIjLb1EEEEE10hipError_tT1_PNSt15iterator_traitsISK_E10value_typeET2_T3_PNSL_ISQ_E10value_typeET4_T5_PSV_SW_PNS1_23onesweep_lookback_stateEbbT6_jjT7_P12ihipStream_tbENKUlT_T0_SK_SP_E_clISD_SD_SF_SF_EEDaS13_S14_SK_SP_EUlS13_E_NS1_11comp_targetILNS1_3genE10ELNS1_11target_archE1201ELNS1_3gpuE5ELNS1_3repE0EEENS1_47radix_sort_onesweep_sort_config_static_selectorELNS0_4arch9wavefront6targetE1EEEvSK_ ; -- Begin function _ZN7rocprim17ROCPRIM_400000_NS6detail17trampoline_kernelINS0_14default_configENS1_35radix_sort_onesweep_config_selectorIbiEEZZNS1_29radix_sort_onesweep_iterationIS3_Lb1EN6thrust23THRUST_200600_302600_NS6detail15normal_iteratorINS8_10device_ptrIbEEEESD_NSA_INSB_IiEEEESF_jNS0_19identity_decomposerENS1_16block_id_wrapperIjLb1EEEEE10hipError_tT1_PNSt15iterator_traitsISK_E10value_typeET2_T3_PNSL_ISQ_E10value_typeET4_T5_PSV_SW_PNS1_23onesweep_lookback_stateEbbT6_jjT7_P12ihipStream_tbENKUlT_T0_SK_SP_E_clISD_SD_SF_SF_EEDaS13_S14_SK_SP_EUlS13_E_NS1_11comp_targetILNS1_3genE10ELNS1_11target_archE1201ELNS1_3gpuE5ELNS1_3repE0EEENS1_47radix_sort_onesweep_sort_config_static_selectorELNS0_4arch9wavefront6targetE1EEEvSK_
	.globl	_ZN7rocprim17ROCPRIM_400000_NS6detail17trampoline_kernelINS0_14default_configENS1_35radix_sort_onesweep_config_selectorIbiEEZZNS1_29radix_sort_onesweep_iterationIS3_Lb1EN6thrust23THRUST_200600_302600_NS6detail15normal_iteratorINS8_10device_ptrIbEEEESD_NSA_INSB_IiEEEESF_jNS0_19identity_decomposerENS1_16block_id_wrapperIjLb1EEEEE10hipError_tT1_PNSt15iterator_traitsISK_E10value_typeET2_T3_PNSL_ISQ_E10value_typeET4_T5_PSV_SW_PNS1_23onesweep_lookback_stateEbbT6_jjT7_P12ihipStream_tbENKUlT_T0_SK_SP_E_clISD_SD_SF_SF_EEDaS13_S14_SK_SP_EUlS13_E_NS1_11comp_targetILNS1_3genE10ELNS1_11target_archE1201ELNS1_3gpuE5ELNS1_3repE0EEENS1_47radix_sort_onesweep_sort_config_static_selectorELNS0_4arch9wavefront6targetE1EEEvSK_
	.p2align	8
	.type	_ZN7rocprim17ROCPRIM_400000_NS6detail17trampoline_kernelINS0_14default_configENS1_35radix_sort_onesweep_config_selectorIbiEEZZNS1_29radix_sort_onesweep_iterationIS3_Lb1EN6thrust23THRUST_200600_302600_NS6detail15normal_iteratorINS8_10device_ptrIbEEEESD_NSA_INSB_IiEEEESF_jNS0_19identity_decomposerENS1_16block_id_wrapperIjLb1EEEEE10hipError_tT1_PNSt15iterator_traitsISK_E10value_typeET2_T3_PNSL_ISQ_E10value_typeET4_T5_PSV_SW_PNS1_23onesweep_lookback_stateEbbT6_jjT7_P12ihipStream_tbENKUlT_T0_SK_SP_E_clISD_SD_SF_SF_EEDaS13_S14_SK_SP_EUlS13_E_NS1_11comp_targetILNS1_3genE10ELNS1_11target_archE1201ELNS1_3gpuE5ELNS1_3repE0EEENS1_47radix_sort_onesweep_sort_config_static_selectorELNS0_4arch9wavefront6targetE1EEEvSK_,@function
_ZN7rocprim17ROCPRIM_400000_NS6detail17trampoline_kernelINS0_14default_configENS1_35radix_sort_onesweep_config_selectorIbiEEZZNS1_29radix_sort_onesweep_iterationIS3_Lb1EN6thrust23THRUST_200600_302600_NS6detail15normal_iteratorINS8_10device_ptrIbEEEESD_NSA_INSB_IiEEEESF_jNS0_19identity_decomposerENS1_16block_id_wrapperIjLb1EEEEE10hipError_tT1_PNSt15iterator_traitsISK_E10value_typeET2_T3_PNSL_ISQ_E10value_typeET4_T5_PSV_SW_PNS1_23onesweep_lookback_stateEbbT6_jjT7_P12ihipStream_tbENKUlT_T0_SK_SP_E_clISD_SD_SF_SF_EEDaS13_S14_SK_SP_EUlS13_E_NS1_11comp_targetILNS1_3genE10ELNS1_11target_archE1201ELNS1_3gpuE5ELNS1_3repE0EEENS1_47radix_sort_onesweep_sort_config_static_selectorELNS0_4arch9wavefront6targetE1EEEvSK_: ; @_ZN7rocprim17ROCPRIM_400000_NS6detail17trampoline_kernelINS0_14default_configENS1_35radix_sort_onesweep_config_selectorIbiEEZZNS1_29radix_sort_onesweep_iterationIS3_Lb1EN6thrust23THRUST_200600_302600_NS6detail15normal_iteratorINS8_10device_ptrIbEEEESD_NSA_INSB_IiEEEESF_jNS0_19identity_decomposerENS1_16block_id_wrapperIjLb1EEEEE10hipError_tT1_PNSt15iterator_traitsISK_E10value_typeET2_T3_PNSL_ISQ_E10value_typeET4_T5_PSV_SW_PNS1_23onesweep_lookback_stateEbbT6_jjT7_P12ihipStream_tbENKUlT_T0_SK_SP_E_clISD_SD_SF_SF_EEDaS13_S14_SK_SP_EUlS13_E_NS1_11comp_targetILNS1_3genE10ELNS1_11target_archE1201ELNS1_3gpuE5ELNS1_3repE0EEENS1_47radix_sort_onesweep_sort_config_static_selectorELNS0_4arch9wavefront6targetE1EEEvSK_
; %bb.0:
	.section	.rodata,"a",@progbits
	.p2align	6, 0x0
	.amdhsa_kernel _ZN7rocprim17ROCPRIM_400000_NS6detail17trampoline_kernelINS0_14default_configENS1_35radix_sort_onesweep_config_selectorIbiEEZZNS1_29radix_sort_onesweep_iterationIS3_Lb1EN6thrust23THRUST_200600_302600_NS6detail15normal_iteratorINS8_10device_ptrIbEEEESD_NSA_INSB_IiEEEESF_jNS0_19identity_decomposerENS1_16block_id_wrapperIjLb1EEEEE10hipError_tT1_PNSt15iterator_traitsISK_E10value_typeET2_T3_PNSL_ISQ_E10value_typeET4_T5_PSV_SW_PNS1_23onesweep_lookback_stateEbbT6_jjT7_P12ihipStream_tbENKUlT_T0_SK_SP_E_clISD_SD_SF_SF_EEDaS13_S14_SK_SP_EUlS13_E_NS1_11comp_targetILNS1_3genE10ELNS1_11target_archE1201ELNS1_3gpuE5ELNS1_3repE0EEENS1_47radix_sort_onesweep_sort_config_static_selectorELNS0_4arch9wavefront6targetE1EEEvSK_
		.amdhsa_group_segment_fixed_size 0
		.amdhsa_private_segment_fixed_size 0
		.amdhsa_kernarg_size 88
		.amdhsa_user_sgpr_count 2
		.amdhsa_user_sgpr_dispatch_ptr 0
		.amdhsa_user_sgpr_queue_ptr 0
		.amdhsa_user_sgpr_kernarg_segment_ptr 1
		.amdhsa_user_sgpr_dispatch_id 0
		.amdhsa_user_sgpr_kernarg_preload_length 0
		.amdhsa_user_sgpr_kernarg_preload_offset 0
		.amdhsa_user_sgpr_private_segment_size 0
		.amdhsa_uses_dynamic_stack 0
		.amdhsa_enable_private_segment 0
		.amdhsa_system_sgpr_workgroup_id_x 1
		.amdhsa_system_sgpr_workgroup_id_y 0
		.amdhsa_system_sgpr_workgroup_id_z 0
		.amdhsa_system_sgpr_workgroup_info 0
		.amdhsa_system_vgpr_workitem_id 0
		.amdhsa_next_free_vgpr 1
		.amdhsa_next_free_sgpr 0
		.amdhsa_accum_offset 4
		.amdhsa_reserve_vcc 0
		.amdhsa_float_round_mode_32 0
		.amdhsa_float_round_mode_16_64 0
		.amdhsa_float_denorm_mode_32 3
		.amdhsa_float_denorm_mode_16_64 3
		.amdhsa_dx10_clamp 1
		.amdhsa_ieee_mode 1
		.amdhsa_fp16_overflow 0
		.amdhsa_tg_split 0
		.amdhsa_exception_fp_ieee_invalid_op 0
		.amdhsa_exception_fp_denorm_src 0
		.amdhsa_exception_fp_ieee_div_zero 0
		.amdhsa_exception_fp_ieee_overflow 0
		.amdhsa_exception_fp_ieee_underflow 0
		.amdhsa_exception_fp_ieee_inexact 0
		.amdhsa_exception_int_div_zero 0
	.end_amdhsa_kernel
	.section	.text._ZN7rocprim17ROCPRIM_400000_NS6detail17trampoline_kernelINS0_14default_configENS1_35radix_sort_onesweep_config_selectorIbiEEZZNS1_29radix_sort_onesweep_iterationIS3_Lb1EN6thrust23THRUST_200600_302600_NS6detail15normal_iteratorINS8_10device_ptrIbEEEESD_NSA_INSB_IiEEEESF_jNS0_19identity_decomposerENS1_16block_id_wrapperIjLb1EEEEE10hipError_tT1_PNSt15iterator_traitsISK_E10value_typeET2_T3_PNSL_ISQ_E10value_typeET4_T5_PSV_SW_PNS1_23onesweep_lookback_stateEbbT6_jjT7_P12ihipStream_tbENKUlT_T0_SK_SP_E_clISD_SD_SF_SF_EEDaS13_S14_SK_SP_EUlS13_E_NS1_11comp_targetILNS1_3genE10ELNS1_11target_archE1201ELNS1_3gpuE5ELNS1_3repE0EEENS1_47radix_sort_onesweep_sort_config_static_selectorELNS0_4arch9wavefront6targetE1EEEvSK_,"axG",@progbits,_ZN7rocprim17ROCPRIM_400000_NS6detail17trampoline_kernelINS0_14default_configENS1_35radix_sort_onesweep_config_selectorIbiEEZZNS1_29radix_sort_onesweep_iterationIS3_Lb1EN6thrust23THRUST_200600_302600_NS6detail15normal_iteratorINS8_10device_ptrIbEEEESD_NSA_INSB_IiEEEESF_jNS0_19identity_decomposerENS1_16block_id_wrapperIjLb1EEEEE10hipError_tT1_PNSt15iterator_traitsISK_E10value_typeET2_T3_PNSL_ISQ_E10value_typeET4_T5_PSV_SW_PNS1_23onesweep_lookback_stateEbbT6_jjT7_P12ihipStream_tbENKUlT_T0_SK_SP_E_clISD_SD_SF_SF_EEDaS13_S14_SK_SP_EUlS13_E_NS1_11comp_targetILNS1_3genE10ELNS1_11target_archE1201ELNS1_3gpuE5ELNS1_3repE0EEENS1_47radix_sort_onesweep_sort_config_static_selectorELNS0_4arch9wavefront6targetE1EEEvSK_,comdat
.Lfunc_end2224:
	.size	_ZN7rocprim17ROCPRIM_400000_NS6detail17trampoline_kernelINS0_14default_configENS1_35radix_sort_onesweep_config_selectorIbiEEZZNS1_29radix_sort_onesweep_iterationIS3_Lb1EN6thrust23THRUST_200600_302600_NS6detail15normal_iteratorINS8_10device_ptrIbEEEESD_NSA_INSB_IiEEEESF_jNS0_19identity_decomposerENS1_16block_id_wrapperIjLb1EEEEE10hipError_tT1_PNSt15iterator_traitsISK_E10value_typeET2_T3_PNSL_ISQ_E10value_typeET4_T5_PSV_SW_PNS1_23onesweep_lookback_stateEbbT6_jjT7_P12ihipStream_tbENKUlT_T0_SK_SP_E_clISD_SD_SF_SF_EEDaS13_S14_SK_SP_EUlS13_E_NS1_11comp_targetILNS1_3genE10ELNS1_11target_archE1201ELNS1_3gpuE5ELNS1_3repE0EEENS1_47radix_sort_onesweep_sort_config_static_selectorELNS0_4arch9wavefront6targetE1EEEvSK_, .Lfunc_end2224-_ZN7rocprim17ROCPRIM_400000_NS6detail17trampoline_kernelINS0_14default_configENS1_35radix_sort_onesweep_config_selectorIbiEEZZNS1_29radix_sort_onesweep_iterationIS3_Lb1EN6thrust23THRUST_200600_302600_NS6detail15normal_iteratorINS8_10device_ptrIbEEEESD_NSA_INSB_IiEEEESF_jNS0_19identity_decomposerENS1_16block_id_wrapperIjLb1EEEEE10hipError_tT1_PNSt15iterator_traitsISK_E10value_typeET2_T3_PNSL_ISQ_E10value_typeET4_T5_PSV_SW_PNS1_23onesweep_lookback_stateEbbT6_jjT7_P12ihipStream_tbENKUlT_T0_SK_SP_E_clISD_SD_SF_SF_EEDaS13_S14_SK_SP_EUlS13_E_NS1_11comp_targetILNS1_3genE10ELNS1_11target_archE1201ELNS1_3gpuE5ELNS1_3repE0EEENS1_47radix_sort_onesweep_sort_config_static_selectorELNS0_4arch9wavefront6targetE1EEEvSK_
                                        ; -- End function
	.set _ZN7rocprim17ROCPRIM_400000_NS6detail17trampoline_kernelINS0_14default_configENS1_35radix_sort_onesweep_config_selectorIbiEEZZNS1_29radix_sort_onesweep_iterationIS3_Lb1EN6thrust23THRUST_200600_302600_NS6detail15normal_iteratorINS8_10device_ptrIbEEEESD_NSA_INSB_IiEEEESF_jNS0_19identity_decomposerENS1_16block_id_wrapperIjLb1EEEEE10hipError_tT1_PNSt15iterator_traitsISK_E10value_typeET2_T3_PNSL_ISQ_E10value_typeET4_T5_PSV_SW_PNS1_23onesweep_lookback_stateEbbT6_jjT7_P12ihipStream_tbENKUlT_T0_SK_SP_E_clISD_SD_SF_SF_EEDaS13_S14_SK_SP_EUlS13_E_NS1_11comp_targetILNS1_3genE10ELNS1_11target_archE1201ELNS1_3gpuE5ELNS1_3repE0EEENS1_47radix_sort_onesweep_sort_config_static_selectorELNS0_4arch9wavefront6targetE1EEEvSK_.num_vgpr, 0
	.set _ZN7rocprim17ROCPRIM_400000_NS6detail17trampoline_kernelINS0_14default_configENS1_35radix_sort_onesweep_config_selectorIbiEEZZNS1_29radix_sort_onesweep_iterationIS3_Lb1EN6thrust23THRUST_200600_302600_NS6detail15normal_iteratorINS8_10device_ptrIbEEEESD_NSA_INSB_IiEEEESF_jNS0_19identity_decomposerENS1_16block_id_wrapperIjLb1EEEEE10hipError_tT1_PNSt15iterator_traitsISK_E10value_typeET2_T3_PNSL_ISQ_E10value_typeET4_T5_PSV_SW_PNS1_23onesweep_lookback_stateEbbT6_jjT7_P12ihipStream_tbENKUlT_T0_SK_SP_E_clISD_SD_SF_SF_EEDaS13_S14_SK_SP_EUlS13_E_NS1_11comp_targetILNS1_3genE10ELNS1_11target_archE1201ELNS1_3gpuE5ELNS1_3repE0EEENS1_47radix_sort_onesweep_sort_config_static_selectorELNS0_4arch9wavefront6targetE1EEEvSK_.num_agpr, 0
	.set _ZN7rocprim17ROCPRIM_400000_NS6detail17trampoline_kernelINS0_14default_configENS1_35radix_sort_onesweep_config_selectorIbiEEZZNS1_29radix_sort_onesweep_iterationIS3_Lb1EN6thrust23THRUST_200600_302600_NS6detail15normal_iteratorINS8_10device_ptrIbEEEESD_NSA_INSB_IiEEEESF_jNS0_19identity_decomposerENS1_16block_id_wrapperIjLb1EEEEE10hipError_tT1_PNSt15iterator_traitsISK_E10value_typeET2_T3_PNSL_ISQ_E10value_typeET4_T5_PSV_SW_PNS1_23onesweep_lookback_stateEbbT6_jjT7_P12ihipStream_tbENKUlT_T0_SK_SP_E_clISD_SD_SF_SF_EEDaS13_S14_SK_SP_EUlS13_E_NS1_11comp_targetILNS1_3genE10ELNS1_11target_archE1201ELNS1_3gpuE5ELNS1_3repE0EEENS1_47radix_sort_onesweep_sort_config_static_selectorELNS0_4arch9wavefront6targetE1EEEvSK_.numbered_sgpr, 0
	.set _ZN7rocprim17ROCPRIM_400000_NS6detail17trampoline_kernelINS0_14default_configENS1_35radix_sort_onesweep_config_selectorIbiEEZZNS1_29radix_sort_onesweep_iterationIS3_Lb1EN6thrust23THRUST_200600_302600_NS6detail15normal_iteratorINS8_10device_ptrIbEEEESD_NSA_INSB_IiEEEESF_jNS0_19identity_decomposerENS1_16block_id_wrapperIjLb1EEEEE10hipError_tT1_PNSt15iterator_traitsISK_E10value_typeET2_T3_PNSL_ISQ_E10value_typeET4_T5_PSV_SW_PNS1_23onesweep_lookback_stateEbbT6_jjT7_P12ihipStream_tbENKUlT_T0_SK_SP_E_clISD_SD_SF_SF_EEDaS13_S14_SK_SP_EUlS13_E_NS1_11comp_targetILNS1_3genE10ELNS1_11target_archE1201ELNS1_3gpuE5ELNS1_3repE0EEENS1_47radix_sort_onesweep_sort_config_static_selectorELNS0_4arch9wavefront6targetE1EEEvSK_.num_named_barrier, 0
	.set _ZN7rocprim17ROCPRIM_400000_NS6detail17trampoline_kernelINS0_14default_configENS1_35radix_sort_onesweep_config_selectorIbiEEZZNS1_29radix_sort_onesweep_iterationIS3_Lb1EN6thrust23THRUST_200600_302600_NS6detail15normal_iteratorINS8_10device_ptrIbEEEESD_NSA_INSB_IiEEEESF_jNS0_19identity_decomposerENS1_16block_id_wrapperIjLb1EEEEE10hipError_tT1_PNSt15iterator_traitsISK_E10value_typeET2_T3_PNSL_ISQ_E10value_typeET4_T5_PSV_SW_PNS1_23onesweep_lookback_stateEbbT6_jjT7_P12ihipStream_tbENKUlT_T0_SK_SP_E_clISD_SD_SF_SF_EEDaS13_S14_SK_SP_EUlS13_E_NS1_11comp_targetILNS1_3genE10ELNS1_11target_archE1201ELNS1_3gpuE5ELNS1_3repE0EEENS1_47radix_sort_onesweep_sort_config_static_selectorELNS0_4arch9wavefront6targetE1EEEvSK_.private_seg_size, 0
	.set _ZN7rocprim17ROCPRIM_400000_NS6detail17trampoline_kernelINS0_14default_configENS1_35radix_sort_onesweep_config_selectorIbiEEZZNS1_29radix_sort_onesweep_iterationIS3_Lb1EN6thrust23THRUST_200600_302600_NS6detail15normal_iteratorINS8_10device_ptrIbEEEESD_NSA_INSB_IiEEEESF_jNS0_19identity_decomposerENS1_16block_id_wrapperIjLb1EEEEE10hipError_tT1_PNSt15iterator_traitsISK_E10value_typeET2_T3_PNSL_ISQ_E10value_typeET4_T5_PSV_SW_PNS1_23onesweep_lookback_stateEbbT6_jjT7_P12ihipStream_tbENKUlT_T0_SK_SP_E_clISD_SD_SF_SF_EEDaS13_S14_SK_SP_EUlS13_E_NS1_11comp_targetILNS1_3genE10ELNS1_11target_archE1201ELNS1_3gpuE5ELNS1_3repE0EEENS1_47radix_sort_onesweep_sort_config_static_selectorELNS0_4arch9wavefront6targetE1EEEvSK_.uses_vcc, 0
	.set _ZN7rocprim17ROCPRIM_400000_NS6detail17trampoline_kernelINS0_14default_configENS1_35radix_sort_onesweep_config_selectorIbiEEZZNS1_29radix_sort_onesweep_iterationIS3_Lb1EN6thrust23THRUST_200600_302600_NS6detail15normal_iteratorINS8_10device_ptrIbEEEESD_NSA_INSB_IiEEEESF_jNS0_19identity_decomposerENS1_16block_id_wrapperIjLb1EEEEE10hipError_tT1_PNSt15iterator_traitsISK_E10value_typeET2_T3_PNSL_ISQ_E10value_typeET4_T5_PSV_SW_PNS1_23onesweep_lookback_stateEbbT6_jjT7_P12ihipStream_tbENKUlT_T0_SK_SP_E_clISD_SD_SF_SF_EEDaS13_S14_SK_SP_EUlS13_E_NS1_11comp_targetILNS1_3genE10ELNS1_11target_archE1201ELNS1_3gpuE5ELNS1_3repE0EEENS1_47radix_sort_onesweep_sort_config_static_selectorELNS0_4arch9wavefront6targetE1EEEvSK_.uses_flat_scratch, 0
	.set _ZN7rocprim17ROCPRIM_400000_NS6detail17trampoline_kernelINS0_14default_configENS1_35radix_sort_onesweep_config_selectorIbiEEZZNS1_29radix_sort_onesweep_iterationIS3_Lb1EN6thrust23THRUST_200600_302600_NS6detail15normal_iteratorINS8_10device_ptrIbEEEESD_NSA_INSB_IiEEEESF_jNS0_19identity_decomposerENS1_16block_id_wrapperIjLb1EEEEE10hipError_tT1_PNSt15iterator_traitsISK_E10value_typeET2_T3_PNSL_ISQ_E10value_typeET4_T5_PSV_SW_PNS1_23onesweep_lookback_stateEbbT6_jjT7_P12ihipStream_tbENKUlT_T0_SK_SP_E_clISD_SD_SF_SF_EEDaS13_S14_SK_SP_EUlS13_E_NS1_11comp_targetILNS1_3genE10ELNS1_11target_archE1201ELNS1_3gpuE5ELNS1_3repE0EEENS1_47radix_sort_onesweep_sort_config_static_selectorELNS0_4arch9wavefront6targetE1EEEvSK_.has_dyn_sized_stack, 0
	.set _ZN7rocprim17ROCPRIM_400000_NS6detail17trampoline_kernelINS0_14default_configENS1_35radix_sort_onesweep_config_selectorIbiEEZZNS1_29radix_sort_onesweep_iterationIS3_Lb1EN6thrust23THRUST_200600_302600_NS6detail15normal_iteratorINS8_10device_ptrIbEEEESD_NSA_INSB_IiEEEESF_jNS0_19identity_decomposerENS1_16block_id_wrapperIjLb1EEEEE10hipError_tT1_PNSt15iterator_traitsISK_E10value_typeET2_T3_PNSL_ISQ_E10value_typeET4_T5_PSV_SW_PNS1_23onesweep_lookback_stateEbbT6_jjT7_P12ihipStream_tbENKUlT_T0_SK_SP_E_clISD_SD_SF_SF_EEDaS13_S14_SK_SP_EUlS13_E_NS1_11comp_targetILNS1_3genE10ELNS1_11target_archE1201ELNS1_3gpuE5ELNS1_3repE0EEENS1_47radix_sort_onesweep_sort_config_static_selectorELNS0_4arch9wavefront6targetE1EEEvSK_.has_recursion, 0
	.set _ZN7rocprim17ROCPRIM_400000_NS6detail17trampoline_kernelINS0_14default_configENS1_35radix_sort_onesweep_config_selectorIbiEEZZNS1_29radix_sort_onesweep_iterationIS3_Lb1EN6thrust23THRUST_200600_302600_NS6detail15normal_iteratorINS8_10device_ptrIbEEEESD_NSA_INSB_IiEEEESF_jNS0_19identity_decomposerENS1_16block_id_wrapperIjLb1EEEEE10hipError_tT1_PNSt15iterator_traitsISK_E10value_typeET2_T3_PNSL_ISQ_E10value_typeET4_T5_PSV_SW_PNS1_23onesweep_lookback_stateEbbT6_jjT7_P12ihipStream_tbENKUlT_T0_SK_SP_E_clISD_SD_SF_SF_EEDaS13_S14_SK_SP_EUlS13_E_NS1_11comp_targetILNS1_3genE10ELNS1_11target_archE1201ELNS1_3gpuE5ELNS1_3repE0EEENS1_47radix_sort_onesweep_sort_config_static_selectorELNS0_4arch9wavefront6targetE1EEEvSK_.has_indirect_call, 0
	.section	.AMDGPU.csdata,"",@progbits
; Kernel info:
; codeLenInByte = 0
; TotalNumSgprs: 6
; NumVgprs: 0
; NumAgprs: 0
; TotalNumVgprs: 0
; ScratchSize: 0
; MemoryBound: 0
; FloatMode: 240
; IeeeMode: 1
; LDSByteSize: 0 bytes/workgroup (compile time only)
; SGPRBlocks: 0
; VGPRBlocks: 0
; NumSGPRsForWavesPerEU: 6
; NumVGPRsForWavesPerEU: 1
; AccumOffset: 4
; Occupancy: 8
; WaveLimiterHint : 0
; COMPUTE_PGM_RSRC2:SCRATCH_EN: 0
; COMPUTE_PGM_RSRC2:USER_SGPR: 2
; COMPUTE_PGM_RSRC2:TRAP_HANDLER: 0
; COMPUTE_PGM_RSRC2:TGID_X_EN: 1
; COMPUTE_PGM_RSRC2:TGID_Y_EN: 0
; COMPUTE_PGM_RSRC2:TGID_Z_EN: 0
; COMPUTE_PGM_RSRC2:TIDIG_COMP_CNT: 0
; COMPUTE_PGM_RSRC3_GFX90A:ACCUM_OFFSET: 0
; COMPUTE_PGM_RSRC3_GFX90A:TG_SPLIT: 0
	.section	.text._ZN7rocprim17ROCPRIM_400000_NS6detail17trampoline_kernelINS0_14default_configENS1_35radix_sort_onesweep_config_selectorIbiEEZZNS1_29radix_sort_onesweep_iterationIS3_Lb1EN6thrust23THRUST_200600_302600_NS6detail15normal_iteratorINS8_10device_ptrIbEEEESD_NSA_INSB_IiEEEESF_jNS0_19identity_decomposerENS1_16block_id_wrapperIjLb1EEEEE10hipError_tT1_PNSt15iterator_traitsISK_E10value_typeET2_T3_PNSL_ISQ_E10value_typeET4_T5_PSV_SW_PNS1_23onesweep_lookback_stateEbbT6_jjT7_P12ihipStream_tbENKUlT_T0_SK_SP_E_clISD_SD_SF_SF_EEDaS13_S14_SK_SP_EUlS13_E_NS1_11comp_targetILNS1_3genE9ELNS1_11target_archE1100ELNS1_3gpuE3ELNS1_3repE0EEENS1_47radix_sort_onesweep_sort_config_static_selectorELNS0_4arch9wavefront6targetE1EEEvSK_,"axG",@progbits,_ZN7rocprim17ROCPRIM_400000_NS6detail17trampoline_kernelINS0_14default_configENS1_35radix_sort_onesweep_config_selectorIbiEEZZNS1_29radix_sort_onesweep_iterationIS3_Lb1EN6thrust23THRUST_200600_302600_NS6detail15normal_iteratorINS8_10device_ptrIbEEEESD_NSA_INSB_IiEEEESF_jNS0_19identity_decomposerENS1_16block_id_wrapperIjLb1EEEEE10hipError_tT1_PNSt15iterator_traitsISK_E10value_typeET2_T3_PNSL_ISQ_E10value_typeET4_T5_PSV_SW_PNS1_23onesweep_lookback_stateEbbT6_jjT7_P12ihipStream_tbENKUlT_T0_SK_SP_E_clISD_SD_SF_SF_EEDaS13_S14_SK_SP_EUlS13_E_NS1_11comp_targetILNS1_3genE9ELNS1_11target_archE1100ELNS1_3gpuE3ELNS1_3repE0EEENS1_47radix_sort_onesweep_sort_config_static_selectorELNS0_4arch9wavefront6targetE1EEEvSK_,comdat
	.protected	_ZN7rocprim17ROCPRIM_400000_NS6detail17trampoline_kernelINS0_14default_configENS1_35radix_sort_onesweep_config_selectorIbiEEZZNS1_29radix_sort_onesweep_iterationIS3_Lb1EN6thrust23THRUST_200600_302600_NS6detail15normal_iteratorINS8_10device_ptrIbEEEESD_NSA_INSB_IiEEEESF_jNS0_19identity_decomposerENS1_16block_id_wrapperIjLb1EEEEE10hipError_tT1_PNSt15iterator_traitsISK_E10value_typeET2_T3_PNSL_ISQ_E10value_typeET4_T5_PSV_SW_PNS1_23onesweep_lookback_stateEbbT6_jjT7_P12ihipStream_tbENKUlT_T0_SK_SP_E_clISD_SD_SF_SF_EEDaS13_S14_SK_SP_EUlS13_E_NS1_11comp_targetILNS1_3genE9ELNS1_11target_archE1100ELNS1_3gpuE3ELNS1_3repE0EEENS1_47radix_sort_onesweep_sort_config_static_selectorELNS0_4arch9wavefront6targetE1EEEvSK_ ; -- Begin function _ZN7rocprim17ROCPRIM_400000_NS6detail17trampoline_kernelINS0_14default_configENS1_35radix_sort_onesweep_config_selectorIbiEEZZNS1_29radix_sort_onesweep_iterationIS3_Lb1EN6thrust23THRUST_200600_302600_NS6detail15normal_iteratorINS8_10device_ptrIbEEEESD_NSA_INSB_IiEEEESF_jNS0_19identity_decomposerENS1_16block_id_wrapperIjLb1EEEEE10hipError_tT1_PNSt15iterator_traitsISK_E10value_typeET2_T3_PNSL_ISQ_E10value_typeET4_T5_PSV_SW_PNS1_23onesweep_lookback_stateEbbT6_jjT7_P12ihipStream_tbENKUlT_T0_SK_SP_E_clISD_SD_SF_SF_EEDaS13_S14_SK_SP_EUlS13_E_NS1_11comp_targetILNS1_3genE9ELNS1_11target_archE1100ELNS1_3gpuE3ELNS1_3repE0EEENS1_47radix_sort_onesweep_sort_config_static_selectorELNS0_4arch9wavefront6targetE1EEEvSK_
	.globl	_ZN7rocprim17ROCPRIM_400000_NS6detail17trampoline_kernelINS0_14default_configENS1_35radix_sort_onesweep_config_selectorIbiEEZZNS1_29radix_sort_onesweep_iterationIS3_Lb1EN6thrust23THRUST_200600_302600_NS6detail15normal_iteratorINS8_10device_ptrIbEEEESD_NSA_INSB_IiEEEESF_jNS0_19identity_decomposerENS1_16block_id_wrapperIjLb1EEEEE10hipError_tT1_PNSt15iterator_traitsISK_E10value_typeET2_T3_PNSL_ISQ_E10value_typeET4_T5_PSV_SW_PNS1_23onesweep_lookback_stateEbbT6_jjT7_P12ihipStream_tbENKUlT_T0_SK_SP_E_clISD_SD_SF_SF_EEDaS13_S14_SK_SP_EUlS13_E_NS1_11comp_targetILNS1_3genE9ELNS1_11target_archE1100ELNS1_3gpuE3ELNS1_3repE0EEENS1_47radix_sort_onesweep_sort_config_static_selectorELNS0_4arch9wavefront6targetE1EEEvSK_
	.p2align	8
	.type	_ZN7rocprim17ROCPRIM_400000_NS6detail17trampoline_kernelINS0_14default_configENS1_35radix_sort_onesweep_config_selectorIbiEEZZNS1_29radix_sort_onesweep_iterationIS3_Lb1EN6thrust23THRUST_200600_302600_NS6detail15normal_iteratorINS8_10device_ptrIbEEEESD_NSA_INSB_IiEEEESF_jNS0_19identity_decomposerENS1_16block_id_wrapperIjLb1EEEEE10hipError_tT1_PNSt15iterator_traitsISK_E10value_typeET2_T3_PNSL_ISQ_E10value_typeET4_T5_PSV_SW_PNS1_23onesweep_lookback_stateEbbT6_jjT7_P12ihipStream_tbENKUlT_T0_SK_SP_E_clISD_SD_SF_SF_EEDaS13_S14_SK_SP_EUlS13_E_NS1_11comp_targetILNS1_3genE9ELNS1_11target_archE1100ELNS1_3gpuE3ELNS1_3repE0EEENS1_47radix_sort_onesweep_sort_config_static_selectorELNS0_4arch9wavefront6targetE1EEEvSK_,@function
_ZN7rocprim17ROCPRIM_400000_NS6detail17trampoline_kernelINS0_14default_configENS1_35radix_sort_onesweep_config_selectorIbiEEZZNS1_29radix_sort_onesweep_iterationIS3_Lb1EN6thrust23THRUST_200600_302600_NS6detail15normal_iteratorINS8_10device_ptrIbEEEESD_NSA_INSB_IiEEEESF_jNS0_19identity_decomposerENS1_16block_id_wrapperIjLb1EEEEE10hipError_tT1_PNSt15iterator_traitsISK_E10value_typeET2_T3_PNSL_ISQ_E10value_typeET4_T5_PSV_SW_PNS1_23onesweep_lookback_stateEbbT6_jjT7_P12ihipStream_tbENKUlT_T0_SK_SP_E_clISD_SD_SF_SF_EEDaS13_S14_SK_SP_EUlS13_E_NS1_11comp_targetILNS1_3genE9ELNS1_11target_archE1100ELNS1_3gpuE3ELNS1_3repE0EEENS1_47radix_sort_onesweep_sort_config_static_selectorELNS0_4arch9wavefront6targetE1EEEvSK_: ; @_ZN7rocprim17ROCPRIM_400000_NS6detail17trampoline_kernelINS0_14default_configENS1_35radix_sort_onesweep_config_selectorIbiEEZZNS1_29radix_sort_onesweep_iterationIS3_Lb1EN6thrust23THRUST_200600_302600_NS6detail15normal_iteratorINS8_10device_ptrIbEEEESD_NSA_INSB_IiEEEESF_jNS0_19identity_decomposerENS1_16block_id_wrapperIjLb1EEEEE10hipError_tT1_PNSt15iterator_traitsISK_E10value_typeET2_T3_PNSL_ISQ_E10value_typeET4_T5_PSV_SW_PNS1_23onesweep_lookback_stateEbbT6_jjT7_P12ihipStream_tbENKUlT_T0_SK_SP_E_clISD_SD_SF_SF_EEDaS13_S14_SK_SP_EUlS13_E_NS1_11comp_targetILNS1_3genE9ELNS1_11target_archE1100ELNS1_3gpuE3ELNS1_3repE0EEENS1_47radix_sort_onesweep_sort_config_static_selectorELNS0_4arch9wavefront6targetE1EEEvSK_
; %bb.0:
	.section	.rodata,"a",@progbits
	.p2align	6, 0x0
	.amdhsa_kernel _ZN7rocprim17ROCPRIM_400000_NS6detail17trampoline_kernelINS0_14default_configENS1_35radix_sort_onesweep_config_selectorIbiEEZZNS1_29radix_sort_onesweep_iterationIS3_Lb1EN6thrust23THRUST_200600_302600_NS6detail15normal_iteratorINS8_10device_ptrIbEEEESD_NSA_INSB_IiEEEESF_jNS0_19identity_decomposerENS1_16block_id_wrapperIjLb1EEEEE10hipError_tT1_PNSt15iterator_traitsISK_E10value_typeET2_T3_PNSL_ISQ_E10value_typeET4_T5_PSV_SW_PNS1_23onesweep_lookback_stateEbbT6_jjT7_P12ihipStream_tbENKUlT_T0_SK_SP_E_clISD_SD_SF_SF_EEDaS13_S14_SK_SP_EUlS13_E_NS1_11comp_targetILNS1_3genE9ELNS1_11target_archE1100ELNS1_3gpuE3ELNS1_3repE0EEENS1_47radix_sort_onesweep_sort_config_static_selectorELNS0_4arch9wavefront6targetE1EEEvSK_
		.amdhsa_group_segment_fixed_size 0
		.amdhsa_private_segment_fixed_size 0
		.amdhsa_kernarg_size 88
		.amdhsa_user_sgpr_count 2
		.amdhsa_user_sgpr_dispatch_ptr 0
		.amdhsa_user_sgpr_queue_ptr 0
		.amdhsa_user_sgpr_kernarg_segment_ptr 1
		.amdhsa_user_sgpr_dispatch_id 0
		.amdhsa_user_sgpr_kernarg_preload_length 0
		.amdhsa_user_sgpr_kernarg_preload_offset 0
		.amdhsa_user_sgpr_private_segment_size 0
		.amdhsa_uses_dynamic_stack 0
		.amdhsa_enable_private_segment 0
		.amdhsa_system_sgpr_workgroup_id_x 1
		.amdhsa_system_sgpr_workgroup_id_y 0
		.amdhsa_system_sgpr_workgroup_id_z 0
		.amdhsa_system_sgpr_workgroup_info 0
		.amdhsa_system_vgpr_workitem_id 0
		.amdhsa_next_free_vgpr 1
		.amdhsa_next_free_sgpr 0
		.amdhsa_accum_offset 4
		.amdhsa_reserve_vcc 0
		.amdhsa_float_round_mode_32 0
		.amdhsa_float_round_mode_16_64 0
		.amdhsa_float_denorm_mode_32 3
		.amdhsa_float_denorm_mode_16_64 3
		.amdhsa_dx10_clamp 1
		.amdhsa_ieee_mode 1
		.amdhsa_fp16_overflow 0
		.amdhsa_tg_split 0
		.amdhsa_exception_fp_ieee_invalid_op 0
		.amdhsa_exception_fp_denorm_src 0
		.amdhsa_exception_fp_ieee_div_zero 0
		.amdhsa_exception_fp_ieee_overflow 0
		.amdhsa_exception_fp_ieee_underflow 0
		.amdhsa_exception_fp_ieee_inexact 0
		.amdhsa_exception_int_div_zero 0
	.end_amdhsa_kernel
	.section	.text._ZN7rocprim17ROCPRIM_400000_NS6detail17trampoline_kernelINS0_14default_configENS1_35radix_sort_onesweep_config_selectorIbiEEZZNS1_29radix_sort_onesweep_iterationIS3_Lb1EN6thrust23THRUST_200600_302600_NS6detail15normal_iteratorINS8_10device_ptrIbEEEESD_NSA_INSB_IiEEEESF_jNS0_19identity_decomposerENS1_16block_id_wrapperIjLb1EEEEE10hipError_tT1_PNSt15iterator_traitsISK_E10value_typeET2_T3_PNSL_ISQ_E10value_typeET4_T5_PSV_SW_PNS1_23onesweep_lookback_stateEbbT6_jjT7_P12ihipStream_tbENKUlT_T0_SK_SP_E_clISD_SD_SF_SF_EEDaS13_S14_SK_SP_EUlS13_E_NS1_11comp_targetILNS1_3genE9ELNS1_11target_archE1100ELNS1_3gpuE3ELNS1_3repE0EEENS1_47radix_sort_onesweep_sort_config_static_selectorELNS0_4arch9wavefront6targetE1EEEvSK_,"axG",@progbits,_ZN7rocprim17ROCPRIM_400000_NS6detail17trampoline_kernelINS0_14default_configENS1_35radix_sort_onesweep_config_selectorIbiEEZZNS1_29radix_sort_onesweep_iterationIS3_Lb1EN6thrust23THRUST_200600_302600_NS6detail15normal_iteratorINS8_10device_ptrIbEEEESD_NSA_INSB_IiEEEESF_jNS0_19identity_decomposerENS1_16block_id_wrapperIjLb1EEEEE10hipError_tT1_PNSt15iterator_traitsISK_E10value_typeET2_T3_PNSL_ISQ_E10value_typeET4_T5_PSV_SW_PNS1_23onesweep_lookback_stateEbbT6_jjT7_P12ihipStream_tbENKUlT_T0_SK_SP_E_clISD_SD_SF_SF_EEDaS13_S14_SK_SP_EUlS13_E_NS1_11comp_targetILNS1_3genE9ELNS1_11target_archE1100ELNS1_3gpuE3ELNS1_3repE0EEENS1_47radix_sort_onesweep_sort_config_static_selectorELNS0_4arch9wavefront6targetE1EEEvSK_,comdat
.Lfunc_end2225:
	.size	_ZN7rocprim17ROCPRIM_400000_NS6detail17trampoline_kernelINS0_14default_configENS1_35radix_sort_onesweep_config_selectorIbiEEZZNS1_29radix_sort_onesweep_iterationIS3_Lb1EN6thrust23THRUST_200600_302600_NS6detail15normal_iteratorINS8_10device_ptrIbEEEESD_NSA_INSB_IiEEEESF_jNS0_19identity_decomposerENS1_16block_id_wrapperIjLb1EEEEE10hipError_tT1_PNSt15iterator_traitsISK_E10value_typeET2_T3_PNSL_ISQ_E10value_typeET4_T5_PSV_SW_PNS1_23onesweep_lookback_stateEbbT6_jjT7_P12ihipStream_tbENKUlT_T0_SK_SP_E_clISD_SD_SF_SF_EEDaS13_S14_SK_SP_EUlS13_E_NS1_11comp_targetILNS1_3genE9ELNS1_11target_archE1100ELNS1_3gpuE3ELNS1_3repE0EEENS1_47radix_sort_onesweep_sort_config_static_selectorELNS0_4arch9wavefront6targetE1EEEvSK_, .Lfunc_end2225-_ZN7rocprim17ROCPRIM_400000_NS6detail17trampoline_kernelINS0_14default_configENS1_35radix_sort_onesweep_config_selectorIbiEEZZNS1_29radix_sort_onesweep_iterationIS3_Lb1EN6thrust23THRUST_200600_302600_NS6detail15normal_iteratorINS8_10device_ptrIbEEEESD_NSA_INSB_IiEEEESF_jNS0_19identity_decomposerENS1_16block_id_wrapperIjLb1EEEEE10hipError_tT1_PNSt15iterator_traitsISK_E10value_typeET2_T3_PNSL_ISQ_E10value_typeET4_T5_PSV_SW_PNS1_23onesweep_lookback_stateEbbT6_jjT7_P12ihipStream_tbENKUlT_T0_SK_SP_E_clISD_SD_SF_SF_EEDaS13_S14_SK_SP_EUlS13_E_NS1_11comp_targetILNS1_3genE9ELNS1_11target_archE1100ELNS1_3gpuE3ELNS1_3repE0EEENS1_47radix_sort_onesweep_sort_config_static_selectorELNS0_4arch9wavefront6targetE1EEEvSK_
                                        ; -- End function
	.set _ZN7rocprim17ROCPRIM_400000_NS6detail17trampoline_kernelINS0_14default_configENS1_35radix_sort_onesweep_config_selectorIbiEEZZNS1_29radix_sort_onesweep_iterationIS3_Lb1EN6thrust23THRUST_200600_302600_NS6detail15normal_iteratorINS8_10device_ptrIbEEEESD_NSA_INSB_IiEEEESF_jNS0_19identity_decomposerENS1_16block_id_wrapperIjLb1EEEEE10hipError_tT1_PNSt15iterator_traitsISK_E10value_typeET2_T3_PNSL_ISQ_E10value_typeET4_T5_PSV_SW_PNS1_23onesweep_lookback_stateEbbT6_jjT7_P12ihipStream_tbENKUlT_T0_SK_SP_E_clISD_SD_SF_SF_EEDaS13_S14_SK_SP_EUlS13_E_NS1_11comp_targetILNS1_3genE9ELNS1_11target_archE1100ELNS1_3gpuE3ELNS1_3repE0EEENS1_47radix_sort_onesweep_sort_config_static_selectorELNS0_4arch9wavefront6targetE1EEEvSK_.num_vgpr, 0
	.set _ZN7rocprim17ROCPRIM_400000_NS6detail17trampoline_kernelINS0_14default_configENS1_35radix_sort_onesweep_config_selectorIbiEEZZNS1_29radix_sort_onesweep_iterationIS3_Lb1EN6thrust23THRUST_200600_302600_NS6detail15normal_iteratorINS8_10device_ptrIbEEEESD_NSA_INSB_IiEEEESF_jNS0_19identity_decomposerENS1_16block_id_wrapperIjLb1EEEEE10hipError_tT1_PNSt15iterator_traitsISK_E10value_typeET2_T3_PNSL_ISQ_E10value_typeET4_T5_PSV_SW_PNS1_23onesweep_lookback_stateEbbT6_jjT7_P12ihipStream_tbENKUlT_T0_SK_SP_E_clISD_SD_SF_SF_EEDaS13_S14_SK_SP_EUlS13_E_NS1_11comp_targetILNS1_3genE9ELNS1_11target_archE1100ELNS1_3gpuE3ELNS1_3repE0EEENS1_47radix_sort_onesweep_sort_config_static_selectorELNS0_4arch9wavefront6targetE1EEEvSK_.num_agpr, 0
	.set _ZN7rocprim17ROCPRIM_400000_NS6detail17trampoline_kernelINS0_14default_configENS1_35radix_sort_onesweep_config_selectorIbiEEZZNS1_29radix_sort_onesweep_iterationIS3_Lb1EN6thrust23THRUST_200600_302600_NS6detail15normal_iteratorINS8_10device_ptrIbEEEESD_NSA_INSB_IiEEEESF_jNS0_19identity_decomposerENS1_16block_id_wrapperIjLb1EEEEE10hipError_tT1_PNSt15iterator_traitsISK_E10value_typeET2_T3_PNSL_ISQ_E10value_typeET4_T5_PSV_SW_PNS1_23onesweep_lookback_stateEbbT6_jjT7_P12ihipStream_tbENKUlT_T0_SK_SP_E_clISD_SD_SF_SF_EEDaS13_S14_SK_SP_EUlS13_E_NS1_11comp_targetILNS1_3genE9ELNS1_11target_archE1100ELNS1_3gpuE3ELNS1_3repE0EEENS1_47radix_sort_onesweep_sort_config_static_selectorELNS0_4arch9wavefront6targetE1EEEvSK_.numbered_sgpr, 0
	.set _ZN7rocprim17ROCPRIM_400000_NS6detail17trampoline_kernelINS0_14default_configENS1_35radix_sort_onesweep_config_selectorIbiEEZZNS1_29radix_sort_onesweep_iterationIS3_Lb1EN6thrust23THRUST_200600_302600_NS6detail15normal_iteratorINS8_10device_ptrIbEEEESD_NSA_INSB_IiEEEESF_jNS0_19identity_decomposerENS1_16block_id_wrapperIjLb1EEEEE10hipError_tT1_PNSt15iterator_traitsISK_E10value_typeET2_T3_PNSL_ISQ_E10value_typeET4_T5_PSV_SW_PNS1_23onesweep_lookback_stateEbbT6_jjT7_P12ihipStream_tbENKUlT_T0_SK_SP_E_clISD_SD_SF_SF_EEDaS13_S14_SK_SP_EUlS13_E_NS1_11comp_targetILNS1_3genE9ELNS1_11target_archE1100ELNS1_3gpuE3ELNS1_3repE0EEENS1_47radix_sort_onesweep_sort_config_static_selectorELNS0_4arch9wavefront6targetE1EEEvSK_.num_named_barrier, 0
	.set _ZN7rocprim17ROCPRIM_400000_NS6detail17trampoline_kernelINS0_14default_configENS1_35radix_sort_onesweep_config_selectorIbiEEZZNS1_29radix_sort_onesweep_iterationIS3_Lb1EN6thrust23THRUST_200600_302600_NS6detail15normal_iteratorINS8_10device_ptrIbEEEESD_NSA_INSB_IiEEEESF_jNS0_19identity_decomposerENS1_16block_id_wrapperIjLb1EEEEE10hipError_tT1_PNSt15iterator_traitsISK_E10value_typeET2_T3_PNSL_ISQ_E10value_typeET4_T5_PSV_SW_PNS1_23onesweep_lookback_stateEbbT6_jjT7_P12ihipStream_tbENKUlT_T0_SK_SP_E_clISD_SD_SF_SF_EEDaS13_S14_SK_SP_EUlS13_E_NS1_11comp_targetILNS1_3genE9ELNS1_11target_archE1100ELNS1_3gpuE3ELNS1_3repE0EEENS1_47radix_sort_onesweep_sort_config_static_selectorELNS0_4arch9wavefront6targetE1EEEvSK_.private_seg_size, 0
	.set _ZN7rocprim17ROCPRIM_400000_NS6detail17trampoline_kernelINS0_14default_configENS1_35radix_sort_onesweep_config_selectorIbiEEZZNS1_29radix_sort_onesweep_iterationIS3_Lb1EN6thrust23THRUST_200600_302600_NS6detail15normal_iteratorINS8_10device_ptrIbEEEESD_NSA_INSB_IiEEEESF_jNS0_19identity_decomposerENS1_16block_id_wrapperIjLb1EEEEE10hipError_tT1_PNSt15iterator_traitsISK_E10value_typeET2_T3_PNSL_ISQ_E10value_typeET4_T5_PSV_SW_PNS1_23onesweep_lookback_stateEbbT6_jjT7_P12ihipStream_tbENKUlT_T0_SK_SP_E_clISD_SD_SF_SF_EEDaS13_S14_SK_SP_EUlS13_E_NS1_11comp_targetILNS1_3genE9ELNS1_11target_archE1100ELNS1_3gpuE3ELNS1_3repE0EEENS1_47radix_sort_onesweep_sort_config_static_selectorELNS0_4arch9wavefront6targetE1EEEvSK_.uses_vcc, 0
	.set _ZN7rocprim17ROCPRIM_400000_NS6detail17trampoline_kernelINS0_14default_configENS1_35radix_sort_onesweep_config_selectorIbiEEZZNS1_29radix_sort_onesweep_iterationIS3_Lb1EN6thrust23THRUST_200600_302600_NS6detail15normal_iteratorINS8_10device_ptrIbEEEESD_NSA_INSB_IiEEEESF_jNS0_19identity_decomposerENS1_16block_id_wrapperIjLb1EEEEE10hipError_tT1_PNSt15iterator_traitsISK_E10value_typeET2_T3_PNSL_ISQ_E10value_typeET4_T5_PSV_SW_PNS1_23onesweep_lookback_stateEbbT6_jjT7_P12ihipStream_tbENKUlT_T0_SK_SP_E_clISD_SD_SF_SF_EEDaS13_S14_SK_SP_EUlS13_E_NS1_11comp_targetILNS1_3genE9ELNS1_11target_archE1100ELNS1_3gpuE3ELNS1_3repE0EEENS1_47radix_sort_onesweep_sort_config_static_selectorELNS0_4arch9wavefront6targetE1EEEvSK_.uses_flat_scratch, 0
	.set _ZN7rocprim17ROCPRIM_400000_NS6detail17trampoline_kernelINS0_14default_configENS1_35radix_sort_onesweep_config_selectorIbiEEZZNS1_29radix_sort_onesweep_iterationIS3_Lb1EN6thrust23THRUST_200600_302600_NS6detail15normal_iteratorINS8_10device_ptrIbEEEESD_NSA_INSB_IiEEEESF_jNS0_19identity_decomposerENS1_16block_id_wrapperIjLb1EEEEE10hipError_tT1_PNSt15iterator_traitsISK_E10value_typeET2_T3_PNSL_ISQ_E10value_typeET4_T5_PSV_SW_PNS1_23onesweep_lookback_stateEbbT6_jjT7_P12ihipStream_tbENKUlT_T0_SK_SP_E_clISD_SD_SF_SF_EEDaS13_S14_SK_SP_EUlS13_E_NS1_11comp_targetILNS1_3genE9ELNS1_11target_archE1100ELNS1_3gpuE3ELNS1_3repE0EEENS1_47radix_sort_onesweep_sort_config_static_selectorELNS0_4arch9wavefront6targetE1EEEvSK_.has_dyn_sized_stack, 0
	.set _ZN7rocprim17ROCPRIM_400000_NS6detail17trampoline_kernelINS0_14default_configENS1_35radix_sort_onesweep_config_selectorIbiEEZZNS1_29radix_sort_onesweep_iterationIS3_Lb1EN6thrust23THRUST_200600_302600_NS6detail15normal_iteratorINS8_10device_ptrIbEEEESD_NSA_INSB_IiEEEESF_jNS0_19identity_decomposerENS1_16block_id_wrapperIjLb1EEEEE10hipError_tT1_PNSt15iterator_traitsISK_E10value_typeET2_T3_PNSL_ISQ_E10value_typeET4_T5_PSV_SW_PNS1_23onesweep_lookback_stateEbbT6_jjT7_P12ihipStream_tbENKUlT_T0_SK_SP_E_clISD_SD_SF_SF_EEDaS13_S14_SK_SP_EUlS13_E_NS1_11comp_targetILNS1_3genE9ELNS1_11target_archE1100ELNS1_3gpuE3ELNS1_3repE0EEENS1_47radix_sort_onesweep_sort_config_static_selectorELNS0_4arch9wavefront6targetE1EEEvSK_.has_recursion, 0
	.set _ZN7rocprim17ROCPRIM_400000_NS6detail17trampoline_kernelINS0_14default_configENS1_35radix_sort_onesweep_config_selectorIbiEEZZNS1_29radix_sort_onesweep_iterationIS3_Lb1EN6thrust23THRUST_200600_302600_NS6detail15normal_iteratorINS8_10device_ptrIbEEEESD_NSA_INSB_IiEEEESF_jNS0_19identity_decomposerENS1_16block_id_wrapperIjLb1EEEEE10hipError_tT1_PNSt15iterator_traitsISK_E10value_typeET2_T3_PNSL_ISQ_E10value_typeET4_T5_PSV_SW_PNS1_23onesweep_lookback_stateEbbT6_jjT7_P12ihipStream_tbENKUlT_T0_SK_SP_E_clISD_SD_SF_SF_EEDaS13_S14_SK_SP_EUlS13_E_NS1_11comp_targetILNS1_3genE9ELNS1_11target_archE1100ELNS1_3gpuE3ELNS1_3repE0EEENS1_47radix_sort_onesweep_sort_config_static_selectorELNS0_4arch9wavefront6targetE1EEEvSK_.has_indirect_call, 0
	.section	.AMDGPU.csdata,"",@progbits
; Kernel info:
; codeLenInByte = 0
; TotalNumSgprs: 6
; NumVgprs: 0
; NumAgprs: 0
; TotalNumVgprs: 0
; ScratchSize: 0
; MemoryBound: 0
; FloatMode: 240
; IeeeMode: 1
; LDSByteSize: 0 bytes/workgroup (compile time only)
; SGPRBlocks: 0
; VGPRBlocks: 0
; NumSGPRsForWavesPerEU: 6
; NumVGPRsForWavesPerEU: 1
; AccumOffset: 4
; Occupancy: 8
; WaveLimiterHint : 0
; COMPUTE_PGM_RSRC2:SCRATCH_EN: 0
; COMPUTE_PGM_RSRC2:USER_SGPR: 2
; COMPUTE_PGM_RSRC2:TRAP_HANDLER: 0
; COMPUTE_PGM_RSRC2:TGID_X_EN: 1
; COMPUTE_PGM_RSRC2:TGID_Y_EN: 0
; COMPUTE_PGM_RSRC2:TGID_Z_EN: 0
; COMPUTE_PGM_RSRC2:TIDIG_COMP_CNT: 0
; COMPUTE_PGM_RSRC3_GFX90A:ACCUM_OFFSET: 0
; COMPUTE_PGM_RSRC3_GFX90A:TG_SPLIT: 0
	.section	.text._ZN7rocprim17ROCPRIM_400000_NS6detail17trampoline_kernelINS0_14default_configENS1_35radix_sort_onesweep_config_selectorIbiEEZZNS1_29radix_sort_onesweep_iterationIS3_Lb1EN6thrust23THRUST_200600_302600_NS6detail15normal_iteratorINS8_10device_ptrIbEEEESD_NSA_INSB_IiEEEESF_jNS0_19identity_decomposerENS1_16block_id_wrapperIjLb1EEEEE10hipError_tT1_PNSt15iterator_traitsISK_E10value_typeET2_T3_PNSL_ISQ_E10value_typeET4_T5_PSV_SW_PNS1_23onesweep_lookback_stateEbbT6_jjT7_P12ihipStream_tbENKUlT_T0_SK_SP_E_clISD_SD_SF_SF_EEDaS13_S14_SK_SP_EUlS13_E_NS1_11comp_targetILNS1_3genE8ELNS1_11target_archE1030ELNS1_3gpuE2ELNS1_3repE0EEENS1_47radix_sort_onesweep_sort_config_static_selectorELNS0_4arch9wavefront6targetE1EEEvSK_,"axG",@progbits,_ZN7rocprim17ROCPRIM_400000_NS6detail17trampoline_kernelINS0_14default_configENS1_35radix_sort_onesweep_config_selectorIbiEEZZNS1_29radix_sort_onesweep_iterationIS3_Lb1EN6thrust23THRUST_200600_302600_NS6detail15normal_iteratorINS8_10device_ptrIbEEEESD_NSA_INSB_IiEEEESF_jNS0_19identity_decomposerENS1_16block_id_wrapperIjLb1EEEEE10hipError_tT1_PNSt15iterator_traitsISK_E10value_typeET2_T3_PNSL_ISQ_E10value_typeET4_T5_PSV_SW_PNS1_23onesweep_lookback_stateEbbT6_jjT7_P12ihipStream_tbENKUlT_T0_SK_SP_E_clISD_SD_SF_SF_EEDaS13_S14_SK_SP_EUlS13_E_NS1_11comp_targetILNS1_3genE8ELNS1_11target_archE1030ELNS1_3gpuE2ELNS1_3repE0EEENS1_47radix_sort_onesweep_sort_config_static_selectorELNS0_4arch9wavefront6targetE1EEEvSK_,comdat
	.protected	_ZN7rocprim17ROCPRIM_400000_NS6detail17trampoline_kernelINS0_14default_configENS1_35radix_sort_onesweep_config_selectorIbiEEZZNS1_29radix_sort_onesweep_iterationIS3_Lb1EN6thrust23THRUST_200600_302600_NS6detail15normal_iteratorINS8_10device_ptrIbEEEESD_NSA_INSB_IiEEEESF_jNS0_19identity_decomposerENS1_16block_id_wrapperIjLb1EEEEE10hipError_tT1_PNSt15iterator_traitsISK_E10value_typeET2_T3_PNSL_ISQ_E10value_typeET4_T5_PSV_SW_PNS1_23onesweep_lookback_stateEbbT6_jjT7_P12ihipStream_tbENKUlT_T0_SK_SP_E_clISD_SD_SF_SF_EEDaS13_S14_SK_SP_EUlS13_E_NS1_11comp_targetILNS1_3genE8ELNS1_11target_archE1030ELNS1_3gpuE2ELNS1_3repE0EEENS1_47radix_sort_onesweep_sort_config_static_selectorELNS0_4arch9wavefront6targetE1EEEvSK_ ; -- Begin function _ZN7rocprim17ROCPRIM_400000_NS6detail17trampoline_kernelINS0_14default_configENS1_35radix_sort_onesweep_config_selectorIbiEEZZNS1_29radix_sort_onesweep_iterationIS3_Lb1EN6thrust23THRUST_200600_302600_NS6detail15normal_iteratorINS8_10device_ptrIbEEEESD_NSA_INSB_IiEEEESF_jNS0_19identity_decomposerENS1_16block_id_wrapperIjLb1EEEEE10hipError_tT1_PNSt15iterator_traitsISK_E10value_typeET2_T3_PNSL_ISQ_E10value_typeET4_T5_PSV_SW_PNS1_23onesweep_lookback_stateEbbT6_jjT7_P12ihipStream_tbENKUlT_T0_SK_SP_E_clISD_SD_SF_SF_EEDaS13_S14_SK_SP_EUlS13_E_NS1_11comp_targetILNS1_3genE8ELNS1_11target_archE1030ELNS1_3gpuE2ELNS1_3repE0EEENS1_47radix_sort_onesweep_sort_config_static_selectorELNS0_4arch9wavefront6targetE1EEEvSK_
	.globl	_ZN7rocprim17ROCPRIM_400000_NS6detail17trampoline_kernelINS0_14default_configENS1_35radix_sort_onesweep_config_selectorIbiEEZZNS1_29radix_sort_onesweep_iterationIS3_Lb1EN6thrust23THRUST_200600_302600_NS6detail15normal_iteratorINS8_10device_ptrIbEEEESD_NSA_INSB_IiEEEESF_jNS0_19identity_decomposerENS1_16block_id_wrapperIjLb1EEEEE10hipError_tT1_PNSt15iterator_traitsISK_E10value_typeET2_T3_PNSL_ISQ_E10value_typeET4_T5_PSV_SW_PNS1_23onesweep_lookback_stateEbbT6_jjT7_P12ihipStream_tbENKUlT_T0_SK_SP_E_clISD_SD_SF_SF_EEDaS13_S14_SK_SP_EUlS13_E_NS1_11comp_targetILNS1_3genE8ELNS1_11target_archE1030ELNS1_3gpuE2ELNS1_3repE0EEENS1_47radix_sort_onesweep_sort_config_static_selectorELNS0_4arch9wavefront6targetE1EEEvSK_
	.p2align	8
	.type	_ZN7rocprim17ROCPRIM_400000_NS6detail17trampoline_kernelINS0_14default_configENS1_35radix_sort_onesweep_config_selectorIbiEEZZNS1_29radix_sort_onesweep_iterationIS3_Lb1EN6thrust23THRUST_200600_302600_NS6detail15normal_iteratorINS8_10device_ptrIbEEEESD_NSA_INSB_IiEEEESF_jNS0_19identity_decomposerENS1_16block_id_wrapperIjLb1EEEEE10hipError_tT1_PNSt15iterator_traitsISK_E10value_typeET2_T3_PNSL_ISQ_E10value_typeET4_T5_PSV_SW_PNS1_23onesweep_lookback_stateEbbT6_jjT7_P12ihipStream_tbENKUlT_T0_SK_SP_E_clISD_SD_SF_SF_EEDaS13_S14_SK_SP_EUlS13_E_NS1_11comp_targetILNS1_3genE8ELNS1_11target_archE1030ELNS1_3gpuE2ELNS1_3repE0EEENS1_47radix_sort_onesweep_sort_config_static_selectorELNS0_4arch9wavefront6targetE1EEEvSK_,@function
_ZN7rocprim17ROCPRIM_400000_NS6detail17trampoline_kernelINS0_14default_configENS1_35radix_sort_onesweep_config_selectorIbiEEZZNS1_29radix_sort_onesweep_iterationIS3_Lb1EN6thrust23THRUST_200600_302600_NS6detail15normal_iteratorINS8_10device_ptrIbEEEESD_NSA_INSB_IiEEEESF_jNS0_19identity_decomposerENS1_16block_id_wrapperIjLb1EEEEE10hipError_tT1_PNSt15iterator_traitsISK_E10value_typeET2_T3_PNSL_ISQ_E10value_typeET4_T5_PSV_SW_PNS1_23onesweep_lookback_stateEbbT6_jjT7_P12ihipStream_tbENKUlT_T0_SK_SP_E_clISD_SD_SF_SF_EEDaS13_S14_SK_SP_EUlS13_E_NS1_11comp_targetILNS1_3genE8ELNS1_11target_archE1030ELNS1_3gpuE2ELNS1_3repE0EEENS1_47radix_sort_onesweep_sort_config_static_selectorELNS0_4arch9wavefront6targetE1EEEvSK_: ; @_ZN7rocprim17ROCPRIM_400000_NS6detail17trampoline_kernelINS0_14default_configENS1_35radix_sort_onesweep_config_selectorIbiEEZZNS1_29radix_sort_onesweep_iterationIS3_Lb1EN6thrust23THRUST_200600_302600_NS6detail15normal_iteratorINS8_10device_ptrIbEEEESD_NSA_INSB_IiEEEESF_jNS0_19identity_decomposerENS1_16block_id_wrapperIjLb1EEEEE10hipError_tT1_PNSt15iterator_traitsISK_E10value_typeET2_T3_PNSL_ISQ_E10value_typeET4_T5_PSV_SW_PNS1_23onesweep_lookback_stateEbbT6_jjT7_P12ihipStream_tbENKUlT_T0_SK_SP_E_clISD_SD_SF_SF_EEDaS13_S14_SK_SP_EUlS13_E_NS1_11comp_targetILNS1_3genE8ELNS1_11target_archE1030ELNS1_3gpuE2ELNS1_3repE0EEENS1_47radix_sort_onesweep_sort_config_static_selectorELNS0_4arch9wavefront6targetE1EEEvSK_
; %bb.0:
	.section	.rodata,"a",@progbits
	.p2align	6, 0x0
	.amdhsa_kernel _ZN7rocprim17ROCPRIM_400000_NS6detail17trampoline_kernelINS0_14default_configENS1_35radix_sort_onesweep_config_selectorIbiEEZZNS1_29radix_sort_onesweep_iterationIS3_Lb1EN6thrust23THRUST_200600_302600_NS6detail15normal_iteratorINS8_10device_ptrIbEEEESD_NSA_INSB_IiEEEESF_jNS0_19identity_decomposerENS1_16block_id_wrapperIjLb1EEEEE10hipError_tT1_PNSt15iterator_traitsISK_E10value_typeET2_T3_PNSL_ISQ_E10value_typeET4_T5_PSV_SW_PNS1_23onesweep_lookback_stateEbbT6_jjT7_P12ihipStream_tbENKUlT_T0_SK_SP_E_clISD_SD_SF_SF_EEDaS13_S14_SK_SP_EUlS13_E_NS1_11comp_targetILNS1_3genE8ELNS1_11target_archE1030ELNS1_3gpuE2ELNS1_3repE0EEENS1_47radix_sort_onesweep_sort_config_static_selectorELNS0_4arch9wavefront6targetE1EEEvSK_
		.amdhsa_group_segment_fixed_size 0
		.amdhsa_private_segment_fixed_size 0
		.amdhsa_kernarg_size 88
		.amdhsa_user_sgpr_count 2
		.amdhsa_user_sgpr_dispatch_ptr 0
		.amdhsa_user_sgpr_queue_ptr 0
		.amdhsa_user_sgpr_kernarg_segment_ptr 1
		.amdhsa_user_sgpr_dispatch_id 0
		.amdhsa_user_sgpr_kernarg_preload_length 0
		.amdhsa_user_sgpr_kernarg_preload_offset 0
		.amdhsa_user_sgpr_private_segment_size 0
		.amdhsa_uses_dynamic_stack 0
		.amdhsa_enable_private_segment 0
		.amdhsa_system_sgpr_workgroup_id_x 1
		.amdhsa_system_sgpr_workgroup_id_y 0
		.amdhsa_system_sgpr_workgroup_id_z 0
		.amdhsa_system_sgpr_workgroup_info 0
		.amdhsa_system_vgpr_workitem_id 0
		.amdhsa_next_free_vgpr 1
		.amdhsa_next_free_sgpr 0
		.amdhsa_accum_offset 4
		.amdhsa_reserve_vcc 0
		.amdhsa_float_round_mode_32 0
		.amdhsa_float_round_mode_16_64 0
		.amdhsa_float_denorm_mode_32 3
		.amdhsa_float_denorm_mode_16_64 3
		.amdhsa_dx10_clamp 1
		.amdhsa_ieee_mode 1
		.amdhsa_fp16_overflow 0
		.amdhsa_tg_split 0
		.amdhsa_exception_fp_ieee_invalid_op 0
		.amdhsa_exception_fp_denorm_src 0
		.amdhsa_exception_fp_ieee_div_zero 0
		.amdhsa_exception_fp_ieee_overflow 0
		.amdhsa_exception_fp_ieee_underflow 0
		.amdhsa_exception_fp_ieee_inexact 0
		.amdhsa_exception_int_div_zero 0
	.end_amdhsa_kernel
	.section	.text._ZN7rocprim17ROCPRIM_400000_NS6detail17trampoline_kernelINS0_14default_configENS1_35radix_sort_onesweep_config_selectorIbiEEZZNS1_29radix_sort_onesweep_iterationIS3_Lb1EN6thrust23THRUST_200600_302600_NS6detail15normal_iteratorINS8_10device_ptrIbEEEESD_NSA_INSB_IiEEEESF_jNS0_19identity_decomposerENS1_16block_id_wrapperIjLb1EEEEE10hipError_tT1_PNSt15iterator_traitsISK_E10value_typeET2_T3_PNSL_ISQ_E10value_typeET4_T5_PSV_SW_PNS1_23onesweep_lookback_stateEbbT6_jjT7_P12ihipStream_tbENKUlT_T0_SK_SP_E_clISD_SD_SF_SF_EEDaS13_S14_SK_SP_EUlS13_E_NS1_11comp_targetILNS1_3genE8ELNS1_11target_archE1030ELNS1_3gpuE2ELNS1_3repE0EEENS1_47radix_sort_onesweep_sort_config_static_selectorELNS0_4arch9wavefront6targetE1EEEvSK_,"axG",@progbits,_ZN7rocprim17ROCPRIM_400000_NS6detail17trampoline_kernelINS0_14default_configENS1_35radix_sort_onesweep_config_selectorIbiEEZZNS1_29radix_sort_onesweep_iterationIS3_Lb1EN6thrust23THRUST_200600_302600_NS6detail15normal_iteratorINS8_10device_ptrIbEEEESD_NSA_INSB_IiEEEESF_jNS0_19identity_decomposerENS1_16block_id_wrapperIjLb1EEEEE10hipError_tT1_PNSt15iterator_traitsISK_E10value_typeET2_T3_PNSL_ISQ_E10value_typeET4_T5_PSV_SW_PNS1_23onesweep_lookback_stateEbbT6_jjT7_P12ihipStream_tbENKUlT_T0_SK_SP_E_clISD_SD_SF_SF_EEDaS13_S14_SK_SP_EUlS13_E_NS1_11comp_targetILNS1_3genE8ELNS1_11target_archE1030ELNS1_3gpuE2ELNS1_3repE0EEENS1_47radix_sort_onesweep_sort_config_static_selectorELNS0_4arch9wavefront6targetE1EEEvSK_,comdat
.Lfunc_end2226:
	.size	_ZN7rocprim17ROCPRIM_400000_NS6detail17trampoline_kernelINS0_14default_configENS1_35radix_sort_onesweep_config_selectorIbiEEZZNS1_29radix_sort_onesweep_iterationIS3_Lb1EN6thrust23THRUST_200600_302600_NS6detail15normal_iteratorINS8_10device_ptrIbEEEESD_NSA_INSB_IiEEEESF_jNS0_19identity_decomposerENS1_16block_id_wrapperIjLb1EEEEE10hipError_tT1_PNSt15iterator_traitsISK_E10value_typeET2_T3_PNSL_ISQ_E10value_typeET4_T5_PSV_SW_PNS1_23onesweep_lookback_stateEbbT6_jjT7_P12ihipStream_tbENKUlT_T0_SK_SP_E_clISD_SD_SF_SF_EEDaS13_S14_SK_SP_EUlS13_E_NS1_11comp_targetILNS1_3genE8ELNS1_11target_archE1030ELNS1_3gpuE2ELNS1_3repE0EEENS1_47radix_sort_onesweep_sort_config_static_selectorELNS0_4arch9wavefront6targetE1EEEvSK_, .Lfunc_end2226-_ZN7rocprim17ROCPRIM_400000_NS6detail17trampoline_kernelINS0_14default_configENS1_35radix_sort_onesweep_config_selectorIbiEEZZNS1_29radix_sort_onesweep_iterationIS3_Lb1EN6thrust23THRUST_200600_302600_NS6detail15normal_iteratorINS8_10device_ptrIbEEEESD_NSA_INSB_IiEEEESF_jNS0_19identity_decomposerENS1_16block_id_wrapperIjLb1EEEEE10hipError_tT1_PNSt15iterator_traitsISK_E10value_typeET2_T3_PNSL_ISQ_E10value_typeET4_T5_PSV_SW_PNS1_23onesweep_lookback_stateEbbT6_jjT7_P12ihipStream_tbENKUlT_T0_SK_SP_E_clISD_SD_SF_SF_EEDaS13_S14_SK_SP_EUlS13_E_NS1_11comp_targetILNS1_3genE8ELNS1_11target_archE1030ELNS1_3gpuE2ELNS1_3repE0EEENS1_47radix_sort_onesweep_sort_config_static_selectorELNS0_4arch9wavefront6targetE1EEEvSK_
                                        ; -- End function
	.set _ZN7rocprim17ROCPRIM_400000_NS6detail17trampoline_kernelINS0_14default_configENS1_35radix_sort_onesweep_config_selectorIbiEEZZNS1_29radix_sort_onesweep_iterationIS3_Lb1EN6thrust23THRUST_200600_302600_NS6detail15normal_iteratorINS8_10device_ptrIbEEEESD_NSA_INSB_IiEEEESF_jNS0_19identity_decomposerENS1_16block_id_wrapperIjLb1EEEEE10hipError_tT1_PNSt15iterator_traitsISK_E10value_typeET2_T3_PNSL_ISQ_E10value_typeET4_T5_PSV_SW_PNS1_23onesweep_lookback_stateEbbT6_jjT7_P12ihipStream_tbENKUlT_T0_SK_SP_E_clISD_SD_SF_SF_EEDaS13_S14_SK_SP_EUlS13_E_NS1_11comp_targetILNS1_3genE8ELNS1_11target_archE1030ELNS1_3gpuE2ELNS1_3repE0EEENS1_47radix_sort_onesweep_sort_config_static_selectorELNS0_4arch9wavefront6targetE1EEEvSK_.num_vgpr, 0
	.set _ZN7rocprim17ROCPRIM_400000_NS6detail17trampoline_kernelINS0_14default_configENS1_35radix_sort_onesweep_config_selectorIbiEEZZNS1_29radix_sort_onesweep_iterationIS3_Lb1EN6thrust23THRUST_200600_302600_NS6detail15normal_iteratorINS8_10device_ptrIbEEEESD_NSA_INSB_IiEEEESF_jNS0_19identity_decomposerENS1_16block_id_wrapperIjLb1EEEEE10hipError_tT1_PNSt15iterator_traitsISK_E10value_typeET2_T3_PNSL_ISQ_E10value_typeET4_T5_PSV_SW_PNS1_23onesweep_lookback_stateEbbT6_jjT7_P12ihipStream_tbENKUlT_T0_SK_SP_E_clISD_SD_SF_SF_EEDaS13_S14_SK_SP_EUlS13_E_NS1_11comp_targetILNS1_3genE8ELNS1_11target_archE1030ELNS1_3gpuE2ELNS1_3repE0EEENS1_47radix_sort_onesweep_sort_config_static_selectorELNS0_4arch9wavefront6targetE1EEEvSK_.num_agpr, 0
	.set _ZN7rocprim17ROCPRIM_400000_NS6detail17trampoline_kernelINS0_14default_configENS1_35radix_sort_onesweep_config_selectorIbiEEZZNS1_29radix_sort_onesweep_iterationIS3_Lb1EN6thrust23THRUST_200600_302600_NS6detail15normal_iteratorINS8_10device_ptrIbEEEESD_NSA_INSB_IiEEEESF_jNS0_19identity_decomposerENS1_16block_id_wrapperIjLb1EEEEE10hipError_tT1_PNSt15iterator_traitsISK_E10value_typeET2_T3_PNSL_ISQ_E10value_typeET4_T5_PSV_SW_PNS1_23onesweep_lookback_stateEbbT6_jjT7_P12ihipStream_tbENKUlT_T0_SK_SP_E_clISD_SD_SF_SF_EEDaS13_S14_SK_SP_EUlS13_E_NS1_11comp_targetILNS1_3genE8ELNS1_11target_archE1030ELNS1_3gpuE2ELNS1_3repE0EEENS1_47radix_sort_onesweep_sort_config_static_selectorELNS0_4arch9wavefront6targetE1EEEvSK_.numbered_sgpr, 0
	.set _ZN7rocprim17ROCPRIM_400000_NS6detail17trampoline_kernelINS0_14default_configENS1_35radix_sort_onesweep_config_selectorIbiEEZZNS1_29radix_sort_onesweep_iterationIS3_Lb1EN6thrust23THRUST_200600_302600_NS6detail15normal_iteratorINS8_10device_ptrIbEEEESD_NSA_INSB_IiEEEESF_jNS0_19identity_decomposerENS1_16block_id_wrapperIjLb1EEEEE10hipError_tT1_PNSt15iterator_traitsISK_E10value_typeET2_T3_PNSL_ISQ_E10value_typeET4_T5_PSV_SW_PNS1_23onesweep_lookback_stateEbbT6_jjT7_P12ihipStream_tbENKUlT_T0_SK_SP_E_clISD_SD_SF_SF_EEDaS13_S14_SK_SP_EUlS13_E_NS1_11comp_targetILNS1_3genE8ELNS1_11target_archE1030ELNS1_3gpuE2ELNS1_3repE0EEENS1_47radix_sort_onesweep_sort_config_static_selectorELNS0_4arch9wavefront6targetE1EEEvSK_.num_named_barrier, 0
	.set _ZN7rocprim17ROCPRIM_400000_NS6detail17trampoline_kernelINS0_14default_configENS1_35radix_sort_onesweep_config_selectorIbiEEZZNS1_29radix_sort_onesweep_iterationIS3_Lb1EN6thrust23THRUST_200600_302600_NS6detail15normal_iteratorINS8_10device_ptrIbEEEESD_NSA_INSB_IiEEEESF_jNS0_19identity_decomposerENS1_16block_id_wrapperIjLb1EEEEE10hipError_tT1_PNSt15iterator_traitsISK_E10value_typeET2_T3_PNSL_ISQ_E10value_typeET4_T5_PSV_SW_PNS1_23onesweep_lookback_stateEbbT6_jjT7_P12ihipStream_tbENKUlT_T0_SK_SP_E_clISD_SD_SF_SF_EEDaS13_S14_SK_SP_EUlS13_E_NS1_11comp_targetILNS1_3genE8ELNS1_11target_archE1030ELNS1_3gpuE2ELNS1_3repE0EEENS1_47radix_sort_onesweep_sort_config_static_selectorELNS0_4arch9wavefront6targetE1EEEvSK_.private_seg_size, 0
	.set _ZN7rocprim17ROCPRIM_400000_NS6detail17trampoline_kernelINS0_14default_configENS1_35radix_sort_onesweep_config_selectorIbiEEZZNS1_29radix_sort_onesweep_iterationIS3_Lb1EN6thrust23THRUST_200600_302600_NS6detail15normal_iteratorINS8_10device_ptrIbEEEESD_NSA_INSB_IiEEEESF_jNS0_19identity_decomposerENS1_16block_id_wrapperIjLb1EEEEE10hipError_tT1_PNSt15iterator_traitsISK_E10value_typeET2_T3_PNSL_ISQ_E10value_typeET4_T5_PSV_SW_PNS1_23onesweep_lookback_stateEbbT6_jjT7_P12ihipStream_tbENKUlT_T0_SK_SP_E_clISD_SD_SF_SF_EEDaS13_S14_SK_SP_EUlS13_E_NS1_11comp_targetILNS1_3genE8ELNS1_11target_archE1030ELNS1_3gpuE2ELNS1_3repE0EEENS1_47radix_sort_onesweep_sort_config_static_selectorELNS0_4arch9wavefront6targetE1EEEvSK_.uses_vcc, 0
	.set _ZN7rocprim17ROCPRIM_400000_NS6detail17trampoline_kernelINS0_14default_configENS1_35radix_sort_onesweep_config_selectorIbiEEZZNS1_29radix_sort_onesweep_iterationIS3_Lb1EN6thrust23THRUST_200600_302600_NS6detail15normal_iteratorINS8_10device_ptrIbEEEESD_NSA_INSB_IiEEEESF_jNS0_19identity_decomposerENS1_16block_id_wrapperIjLb1EEEEE10hipError_tT1_PNSt15iterator_traitsISK_E10value_typeET2_T3_PNSL_ISQ_E10value_typeET4_T5_PSV_SW_PNS1_23onesweep_lookback_stateEbbT6_jjT7_P12ihipStream_tbENKUlT_T0_SK_SP_E_clISD_SD_SF_SF_EEDaS13_S14_SK_SP_EUlS13_E_NS1_11comp_targetILNS1_3genE8ELNS1_11target_archE1030ELNS1_3gpuE2ELNS1_3repE0EEENS1_47radix_sort_onesweep_sort_config_static_selectorELNS0_4arch9wavefront6targetE1EEEvSK_.uses_flat_scratch, 0
	.set _ZN7rocprim17ROCPRIM_400000_NS6detail17trampoline_kernelINS0_14default_configENS1_35radix_sort_onesweep_config_selectorIbiEEZZNS1_29radix_sort_onesweep_iterationIS3_Lb1EN6thrust23THRUST_200600_302600_NS6detail15normal_iteratorINS8_10device_ptrIbEEEESD_NSA_INSB_IiEEEESF_jNS0_19identity_decomposerENS1_16block_id_wrapperIjLb1EEEEE10hipError_tT1_PNSt15iterator_traitsISK_E10value_typeET2_T3_PNSL_ISQ_E10value_typeET4_T5_PSV_SW_PNS1_23onesweep_lookback_stateEbbT6_jjT7_P12ihipStream_tbENKUlT_T0_SK_SP_E_clISD_SD_SF_SF_EEDaS13_S14_SK_SP_EUlS13_E_NS1_11comp_targetILNS1_3genE8ELNS1_11target_archE1030ELNS1_3gpuE2ELNS1_3repE0EEENS1_47radix_sort_onesweep_sort_config_static_selectorELNS0_4arch9wavefront6targetE1EEEvSK_.has_dyn_sized_stack, 0
	.set _ZN7rocprim17ROCPRIM_400000_NS6detail17trampoline_kernelINS0_14default_configENS1_35radix_sort_onesweep_config_selectorIbiEEZZNS1_29radix_sort_onesweep_iterationIS3_Lb1EN6thrust23THRUST_200600_302600_NS6detail15normal_iteratorINS8_10device_ptrIbEEEESD_NSA_INSB_IiEEEESF_jNS0_19identity_decomposerENS1_16block_id_wrapperIjLb1EEEEE10hipError_tT1_PNSt15iterator_traitsISK_E10value_typeET2_T3_PNSL_ISQ_E10value_typeET4_T5_PSV_SW_PNS1_23onesweep_lookback_stateEbbT6_jjT7_P12ihipStream_tbENKUlT_T0_SK_SP_E_clISD_SD_SF_SF_EEDaS13_S14_SK_SP_EUlS13_E_NS1_11comp_targetILNS1_3genE8ELNS1_11target_archE1030ELNS1_3gpuE2ELNS1_3repE0EEENS1_47radix_sort_onesweep_sort_config_static_selectorELNS0_4arch9wavefront6targetE1EEEvSK_.has_recursion, 0
	.set _ZN7rocprim17ROCPRIM_400000_NS6detail17trampoline_kernelINS0_14default_configENS1_35radix_sort_onesweep_config_selectorIbiEEZZNS1_29radix_sort_onesweep_iterationIS3_Lb1EN6thrust23THRUST_200600_302600_NS6detail15normal_iteratorINS8_10device_ptrIbEEEESD_NSA_INSB_IiEEEESF_jNS0_19identity_decomposerENS1_16block_id_wrapperIjLb1EEEEE10hipError_tT1_PNSt15iterator_traitsISK_E10value_typeET2_T3_PNSL_ISQ_E10value_typeET4_T5_PSV_SW_PNS1_23onesweep_lookback_stateEbbT6_jjT7_P12ihipStream_tbENKUlT_T0_SK_SP_E_clISD_SD_SF_SF_EEDaS13_S14_SK_SP_EUlS13_E_NS1_11comp_targetILNS1_3genE8ELNS1_11target_archE1030ELNS1_3gpuE2ELNS1_3repE0EEENS1_47radix_sort_onesweep_sort_config_static_selectorELNS0_4arch9wavefront6targetE1EEEvSK_.has_indirect_call, 0
	.section	.AMDGPU.csdata,"",@progbits
; Kernel info:
; codeLenInByte = 0
; TotalNumSgprs: 6
; NumVgprs: 0
; NumAgprs: 0
; TotalNumVgprs: 0
; ScratchSize: 0
; MemoryBound: 0
; FloatMode: 240
; IeeeMode: 1
; LDSByteSize: 0 bytes/workgroup (compile time only)
; SGPRBlocks: 0
; VGPRBlocks: 0
; NumSGPRsForWavesPerEU: 6
; NumVGPRsForWavesPerEU: 1
; AccumOffset: 4
; Occupancy: 8
; WaveLimiterHint : 0
; COMPUTE_PGM_RSRC2:SCRATCH_EN: 0
; COMPUTE_PGM_RSRC2:USER_SGPR: 2
; COMPUTE_PGM_RSRC2:TRAP_HANDLER: 0
; COMPUTE_PGM_RSRC2:TGID_X_EN: 1
; COMPUTE_PGM_RSRC2:TGID_Y_EN: 0
; COMPUTE_PGM_RSRC2:TGID_Z_EN: 0
; COMPUTE_PGM_RSRC2:TIDIG_COMP_CNT: 0
; COMPUTE_PGM_RSRC3_GFX90A:ACCUM_OFFSET: 0
; COMPUTE_PGM_RSRC3_GFX90A:TG_SPLIT: 0
	.section	.text._ZN7rocprim17ROCPRIM_400000_NS6detail17trampoline_kernelINS0_14default_configENS1_35radix_sort_onesweep_config_selectorIbiEEZZNS1_29radix_sort_onesweep_iterationIS3_Lb1EN6thrust23THRUST_200600_302600_NS6detail15normal_iteratorINS8_10device_ptrIbEEEESD_NSA_INSB_IiEEEESF_jNS0_19identity_decomposerENS1_16block_id_wrapperIjLb1EEEEE10hipError_tT1_PNSt15iterator_traitsISK_E10value_typeET2_T3_PNSL_ISQ_E10value_typeET4_T5_PSV_SW_PNS1_23onesweep_lookback_stateEbbT6_jjT7_P12ihipStream_tbENKUlT_T0_SK_SP_E_clISD_PbSF_PiEEDaS13_S14_SK_SP_EUlS13_E_NS1_11comp_targetILNS1_3genE0ELNS1_11target_archE4294967295ELNS1_3gpuE0ELNS1_3repE0EEENS1_47radix_sort_onesweep_sort_config_static_selectorELNS0_4arch9wavefront6targetE1EEEvSK_,"axG",@progbits,_ZN7rocprim17ROCPRIM_400000_NS6detail17trampoline_kernelINS0_14default_configENS1_35radix_sort_onesweep_config_selectorIbiEEZZNS1_29radix_sort_onesweep_iterationIS3_Lb1EN6thrust23THRUST_200600_302600_NS6detail15normal_iteratorINS8_10device_ptrIbEEEESD_NSA_INSB_IiEEEESF_jNS0_19identity_decomposerENS1_16block_id_wrapperIjLb1EEEEE10hipError_tT1_PNSt15iterator_traitsISK_E10value_typeET2_T3_PNSL_ISQ_E10value_typeET4_T5_PSV_SW_PNS1_23onesweep_lookback_stateEbbT6_jjT7_P12ihipStream_tbENKUlT_T0_SK_SP_E_clISD_PbSF_PiEEDaS13_S14_SK_SP_EUlS13_E_NS1_11comp_targetILNS1_3genE0ELNS1_11target_archE4294967295ELNS1_3gpuE0ELNS1_3repE0EEENS1_47radix_sort_onesweep_sort_config_static_selectorELNS0_4arch9wavefront6targetE1EEEvSK_,comdat
	.protected	_ZN7rocprim17ROCPRIM_400000_NS6detail17trampoline_kernelINS0_14default_configENS1_35radix_sort_onesweep_config_selectorIbiEEZZNS1_29radix_sort_onesweep_iterationIS3_Lb1EN6thrust23THRUST_200600_302600_NS6detail15normal_iteratorINS8_10device_ptrIbEEEESD_NSA_INSB_IiEEEESF_jNS0_19identity_decomposerENS1_16block_id_wrapperIjLb1EEEEE10hipError_tT1_PNSt15iterator_traitsISK_E10value_typeET2_T3_PNSL_ISQ_E10value_typeET4_T5_PSV_SW_PNS1_23onesweep_lookback_stateEbbT6_jjT7_P12ihipStream_tbENKUlT_T0_SK_SP_E_clISD_PbSF_PiEEDaS13_S14_SK_SP_EUlS13_E_NS1_11comp_targetILNS1_3genE0ELNS1_11target_archE4294967295ELNS1_3gpuE0ELNS1_3repE0EEENS1_47radix_sort_onesweep_sort_config_static_selectorELNS0_4arch9wavefront6targetE1EEEvSK_ ; -- Begin function _ZN7rocprim17ROCPRIM_400000_NS6detail17trampoline_kernelINS0_14default_configENS1_35radix_sort_onesweep_config_selectorIbiEEZZNS1_29radix_sort_onesweep_iterationIS3_Lb1EN6thrust23THRUST_200600_302600_NS6detail15normal_iteratorINS8_10device_ptrIbEEEESD_NSA_INSB_IiEEEESF_jNS0_19identity_decomposerENS1_16block_id_wrapperIjLb1EEEEE10hipError_tT1_PNSt15iterator_traitsISK_E10value_typeET2_T3_PNSL_ISQ_E10value_typeET4_T5_PSV_SW_PNS1_23onesweep_lookback_stateEbbT6_jjT7_P12ihipStream_tbENKUlT_T0_SK_SP_E_clISD_PbSF_PiEEDaS13_S14_SK_SP_EUlS13_E_NS1_11comp_targetILNS1_3genE0ELNS1_11target_archE4294967295ELNS1_3gpuE0ELNS1_3repE0EEENS1_47radix_sort_onesweep_sort_config_static_selectorELNS0_4arch9wavefront6targetE1EEEvSK_
	.globl	_ZN7rocprim17ROCPRIM_400000_NS6detail17trampoline_kernelINS0_14default_configENS1_35radix_sort_onesweep_config_selectorIbiEEZZNS1_29radix_sort_onesweep_iterationIS3_Lb1EN6thrust23THRUST_200600_302600_NS6detail15normal_iteratorINS8_10device_ptrIbEEEESD_NSA_INSB_IiEEEESF_jNS0_19identity_decomposerENS1_16block_id_wrapperIjLb1EEEEE10hipError_tT1_PNSt15iterator_traitsISK_E10value_typeET2_T3_PNSL_ISQ_E10value_typeET4_T5_PSV_SW_PNS1_23onesweep_lookback_stateEbbT6_jjT7_P12ihipStream_tbENKUlT_T0_SK_SP_E_clISD_PbSF_PiEEDaS13_S14_SK_SP_EUlS13_E_NS1_11comp_targetILNS1_3genE0ELNS1_11target_archE4294967295ELNS1_3gpuE0ELNS1_3repE0EEENS1_47radix_sort_onesweep_sort_config_static_selectorELNS0_4arch9wavefront6targetE1EEEvSK_
	.p2align	8
	.type	_ZN7rocprim17ROCPRIM_400000_NS6detail17trampoline_kernelINS0_14default_configENS1_35radix_sort_onesweep_config_selectorIbiEEZZNS1_29radix_sort_onesweep_iterationIS3_Lb1EN6thrust23THRUST_200600_302600_NS6detail15normal_iteratorINS8_10device_ptrIbEEEESD_NSA_INSB_IiEEEESF_jNS0_19identity_decomposerENS1_16block_id_wrapperIjLb1EEEEE10hipError_tT1_PNSt15iterator_traitsISK_E10value_typeET2_T3_PNSL_ISQ_E10value_typeET4_T5_PSV_SW_PNS1_23onesweep_lookback_stateEbbT6_jjT7_P12ihipStream_tbENKUlT_T0_SK_SP_E_clISD_PbSF_PiEEDaS13_S14_SK_SP_EUlS13_E_NS1_11comp_targetILNS1_3genE0ELNS1_11target_archE4294967295ELNS1_3gpuE0ELNS1_3repE0EEENS1_47radix_sort_onesweep_sort_config_static_selectorELNS0_4arch9wavefront6targetE1EEEvSK_,@function
_ZN7rocprim17ROCPRIM_400000_NS6detail17trampoline_kernelINS0_14default_configENS1_35radix_sort_onesweep_config_selectorIbiEEZZNS1_29radix_sort_onesweep_iterationIS3_Lb1EN6thrust23THRUST_200600_302600_NS6detail15normal_iteratorINS8_10device_ptrIbEEEESD_NSA_INSB_IiEEEESF_jNS0_19identity_decomposerENS1_16block_id_wrapperIjLb1EEEEE10hipError_tT1_PNSt15iterator_traitsISK_E10value_typeET2_T3_PNSL_ISQ_E10value_typeET4_T5_PSV_SW_PNS1_23onesweep_lookback_stateEbbT6_jjT7_P12ihipStream_tbENKUlT_T0_SK_SP_E_clISD_PbSF_PiEEDaS13_S14_SK_SP_EUlS13_E_NS1_11comp_targetILNS1_3genE0ELNS1_11target_archE4294967295ELNS1_3gpuE0ELNS1_3repE0EEENS1_47radix_sort_onesweep_sort_config_static_selectorELNS0_4arch9wavefront6targetE1EEEvSK_: ; @_ZN7rocprim17ROCPRIM_400000_NS6detail17trampoline_kernelINS0_14default_configENS1_35radix_sort_onesweep_config_selectorIbiEEZZNS1_29radix_sort_onesweep_iterationIS3_Lb1EN6thrust23THRUST_200600_302600_NS6detail15normal_iteratorINS8_10device_ptrIbEEEESD_NSA_INSB_IiEEEESF_jNS0_19identity_decomposerENS1_16block_id_wrapperIjLb1EEEEE10hipError_tT1_PNSt15iterator_traitsISK_E10value_typeET2_T3_PNSL_ISQ_E10value_typeET4_T5_PSV_SW_PNS1_23onesweep_lookback_stateEbbT6_jjT7_P12ihipStream_tbENKUlT_T0_SK_SP_E_clISD_PbSF_PiEEDaS13_S14_SK_SP_EUlS13_E_NS1_11comp_targetILNS1_3genE0ELNS1_11target_archE4294967295ELNS1_3gpuE0ELNS1_3repE0EEENS1_47radix_sort_onesweep_sort_config_static_selectorELNS0_4arch9wavefront6targetE1EEEvSK_
; %bb.0:
	.section	.rodata,"a",@progbits
	.p2align	6, 0x0
	.amdhsa_kernel _ZN7rocprim17ROCPRIM_400000_NS6detail17trampoline_kernelINS0_14default_configENS1_35radix_sort_onesweep_config_selectorIbiEEZZNS1_29radix_sort_onesweep_iterationIS3_Lb1EN6thrust23THRUST_200600_302600_NS6detail15normal_iteratorINS8_10device_ptrIbEEEESD_NSA_INSB_IiEEEESF_jNS0_19identity_decomposerENS1_16block_id_wrapperIjLb1EEEEE10hipError_tT1_PNSt15iterator_traitsISK_E10value_typeET2_T3_PNSL_ISQ_E10value_typeET4_T5_PSV_SW_PNS1_23onesweep_lookback_stateEbbT6_jjT7_P12ihipStream_tbENKUlT_T0_SK_SP_E_clISD_PbSF_PiEEDaS13_S14_SK_SP_EUlS13_E_NS1_11comp_targetILNS1_3genE0ELNS1_11target_archE4294967295ELNS1_3gpuE0ELNS1_3repE0EEENS1_47radix_sort_onesweep_sort_config_static_selectorELNS0_4arch9wavefront6targetE1EEEvSK_
		.amdhsa_group_segment_fixed_size 0
		.amdhsa_private_segment_fixed_size 0
		.amdhsa_kernarg_size 88
		.amdhsa_user_sgpr_count 2
		.amdhsa_user_sgpr_dispatch_ptr 0
		.amdhsa_user_sgpr_queue_ptr 0
		.amdhsa_user_sgpr_kernarg_segment_ptr 1
		.amdhsa_user_sgpr_dispatch_id 0
		.amdhsa_user_sgpr_kernarg_preload_length 0
		.amdhsa_user_sgpr_kernarg_preload_offset 0
		.amdhsa_user_sgpr_private_segment_size 0
		.amdhsa_uses_dynamic_stack 0
		.amdhsa_enable_private_segment 0
		.amdhsa_system_sgpr_workgroup_id_x 1
		.amdhsa_system_sgpr_workgroup_id_y 0
		.amdhsa_system_sgpr_workgroup_id_z 0
		.amdhsa_system_sgpr_workgroup_info 0
		.amdhsa_system_vgpr_workitem_id 0
		.amdhsa_next_free_vgpr 1
		.amdhsa_next_free_sgpr 0
		.amdhsa_accum_offset 4
		.amdhsa_reserve_vcc 0
		.amdhsa_float_round_mode_32 0
		.amdhsa_float_round_mode_16_64 0
		.amdhsa_float_denorm_mode_32 3
		.amdhsa_float_denorm_mode_16_64 3
		.amdhsa_dx10_clamp 1
		.amdhsa_ieee_mode 1
		.amdhsa_fp16_overflow 0
		.amdhsa_tg_split 0
		.amdhsa_exception_fp_ieee_invalid_op 0
		.amdhsa_exception_fp_denorm_src 0
		.amdhsa_exception_fp_ieee_div_zero 0
		.amdhsa_exception_fp_ieee_overflow 0
		.amdhsa_exception_fp_ieee_underflow 0
		.amdhsa_exception_fp_ieee_inexact 0
		.amdhsa_exception_int_div_zero 0
	.end_amdhsa_kernel
	.section	.text._ZN7rocprim17ROCPRIM_400000_NS6detail17trampoline_kernelINS0_14default_configENS1_35radix_sort_onesweep_config_selectorIbiEEZZNS1_29radix_sort_onesweep_iterationIS3_Lb1EN6thrust23THRUST_200600_302600_NS6detail15normal_iteratorINS8_10device_ptrIbEEEESD_NSA_INSB_IiEEEESF_jNS0_19identity_decomposerENS1_16block_id_wrapperIjLb1EEEEE10hipError_tT1_PNSt15iterator_traitsISK_E10value_typeET2_T3_PNSL_ISQ_E10value_typeET4_T5_PSV_SW_PNS1_23onesweep_lookback_stateEbbT6_jjT7_P12ihipStream_tbENKUlT_T0_SK_SP_E_clISD_PbSF_PiEEDaS13_S14_SK_SP_EUlS13_E_NS1_11comp_targetILNS1_3genE0ELNS1_11target_archE4294967295ELNS1_3gpuE0ELNS1_3repE0EEENS1_47radix_sort_onesweep_sort_config_static_selectorELNS0_4arch9wavefront6targetE1EEEvSK_,"axG",@progbits,_ZN7rocprim17ROCPRIM_400000_NS6detail17trampoline_kernelINS0_14default_configENS1_35radix_sort_onesweep_config_selectorIbiEEZZNS1_29radix_sort_onesweep_iterationIS3_Lb1EN6thrust23THRUST_200600_302600_NS6detail15normal_iteratorINS8_10device_ptrIbEEEESD_NSA_INSB_IiEEEESF_jNS0_19identity_decomposerENS1_16block_id_wrapperIjLb1EEEEE10hipError_tT1_PNSt15iterator_traitsISK_E10value_typeET2_T3_PNSL_ISQ_E10value_typeET4_T5_PSV_SW_PNS1_23onesweep_lookback_stateEbbT6_jjT7_P12ihipStream_tbENKUlT_T0_SK_SP_E_clISD_PbSF_PiEEDaS13_S14_SK_SP_EUlS13_E_NS1_11comp_targetILNS1_3genE0ELNS1_11target_archE4294967295ELNS1_3gpuE0ELNS1_3repE0EEENS1_47radix_sort_onesweep_sort_config_static_selectorELNS0_4arch9wavefront6targetE1EEEvSK_,comdat
.Lfunc_end2227:
	.size	_ZN7rocprim17ROCPRIM_400000_NS6detail17trampoline_kernelINS0_14default_configENS1_35radix_sort_onesweep_config_selectorIbiEEZZNS1_29radix_sort_onesweep_iterationIS3_Lb1EN6thrust23THRUST_200600_302600_NS6detail15normal_iteratorINS8_10device_ptrIbEEEESD_NSA_INSB_IiEEEESF_jNS0_19identity_decomposerENS1_16block_id_wrapperIjLb1EEEEE10hipError_tT1_PNSt15iterator_traitsISK_E10value_typeET2_T3_PNSL_ISQ_E10value_typeET4_T5_PSV_SW_PNS1_23onesweep_lookback_stateEbbT6_jjT7_P12ihipStream_tbENKUlT_T0_SK_SP_E_clISD_PbSF_PiEEDaS13_S14_SK_SP_EUlS13_E_NS1_11comp_targetILNS1_3genE0ELNS1_11target_archE4294967295ELNS1_3gpuE0ELNS1_3repE0EEENS1_47radix_sort_onesweep_sort_config_static_selectorELNS0_4arch9wavefront6targetE1EEEvSK_, .Lfunc_end2227-_ZN7rocprim17ROCPRIM_400000_NS6detail17trampoline_kernelINS0_14default_configENS1_35radix_sort_onesweep_config_selectorIbiEEZZNS1_29radix_sort_onesweep_iterationIS3_Lb1EN6thrust23THRUST_200600_302600_NS6detail15normal_iteratorINS8_10device_ptrIbEEEESD_NSA_INSB_IiEEEESF_jNS0_19identity_decomposerENS1_16block_id_wrapperIjLb1EEEEE10hipError_tT1_PNSt15iterator_traitsISK_E10value_typeET2_T3_PNSL_ISQ_E10value_typeET4_T5_PSV_SW_PNS1_23onesweep_lookback_stateEbbT6_jjT7_P12ihipStream_tbENKUlT_T0_SK_SP_E_clISD_PbSF_PiEEDaS13_S14_SK_SP_EUlS13_E_NS1_11comp_targetILNS1_3genE0ELNS1_11target_archE4294967295ELNS1_3gpuE0ELNS1_3repE0EEENS1_47radix_sort_onesweep_sort_config_static_selectorELNS0_4arch9wavefront6targetE1EEEvSK_
                                        ; -- End function
	.set _ZN7rocprim17ROCPRIM_400000_NS6detail17trampoline_kernelINS0_14default_configENS1_35radix_sort_onesweep_config_selectorIbiEEZZNS1_29radix_sort_onesweep_iterationIS3_Lb1EN6thrust23THRUST_200600_302600_NS6detail15normal_iteratorINS8_10device_ptrIbEEEESD_NSA_INSB_IiEEEESF_jNS0_19identity_decomposerENS1_16block_id_wrapperIjLb1EEEEE10hipError_tT1_PNSt15iterator_traitsISK_E10value_typeET2_T3_PNSL_ISQ_E10value_typeET4_T5_PSV_SW_PNS1_23onesweep_lookback_stateEbbT6_jjT7_P12ihipStream_tbENKUlT_T0_SK_SP_E_clISD_PbSF_PiEEDaS13_S14_SK_SP_EUlS13_E_NS1_11comp_targetILNS1_3genE0ELNS1_11target_archE4294967295ELNS1_3gpuE0ELNS1_3repE0EEENS1_47radix_sort_onesweep_sort_config_static_selectorELNS0_4arch9wavefront6targetE1EEEvSK_.num_vgpr, 0
	.set _ZN7rocprim17ROCPRIM_400000_NS6detail17trampoline_kernelINS0_14default_configENS1_35radix_sort_onesweep_config_selectorIbiEEZZNS1_29radix_sort_onesweep_iterationIS3_Lb1EN6thrust23THRUST_200600_302600_NS6detail15normal_iteratorINS8_10device_ptrIbEEEESD_NSA_INSB_IiEEEESF_jNS0_19identity_decomposerENS1_16block_id_wrapperIjLb1EEEEE10hipError_tT1_PNSt15iterator_traitsISK_E10value_typeET2_T3_PNSL_ISQ_E10value_typeET4_T5_PSV_SW_PNS1_23onesweep_lookback_stateEbbT6_jjT7_P12ihipStream_tbENKUlT_T0_SK_SP_E_clISD_PbSF_PiEEDaS13_S14_SK_SP_EUlS13_E_NS1_11comp_targetILNS1_3genE0ELNS1_11target_archE4294967295ELNS1_3gpuE0ELNS1_3repE0EEENS1_47radix_sort_onesweep_sort_config_static_selectorELNS0_4arch9wavefront6targetE1EEEvSK_.num_agpr, 0
	.set _ZN7rocprim17ROCPRIM_400000_NS6detail17trampoline_kernelINS0_14default_configENS1_35radix_sort_onesweep_config_selectorIbiEEZZNS1_29radix_sort_onesweep_iterationIS3_Lb1EN6thrust23THRUST_200600_302600_NS6detail15normal_iteratorINS8_10device_ptrIbEEEESD_NSA_INSB_IiEEEESF_jNS0_19identity_decomposerENS1_16block_id_wrapperIjLb1EEEEE10hipError_tT1_PNSt15iterator_traitsISK_E10value_typeET2_T3_PNSL_ISQ_E10value_typeET4_T5_PSV_SW_PNS1_23onesweep_lookback_stateEbbT6_jjT7_P12ihipStream_tbENKUlT_T0_SK_SP_E_clISD_PbSF_PiEEDaS13_S14_SK_SP_EUlS13_E_NS1_11comp_targetILNS1_3genE0ELNS1_11target_archE4294967295ELNS1_3gpuE0ELNS1_3repE0EEENS1_47radix_sort_onesweep_sort_config_static_selectorELNS0_4arch9wavefront6targetE1EEEvSK_.numbered_sgpr, 0
	.set _ZN7rocprim17ROCPRIM_400000_NS6detail17trampoline_kernelINS0_14default_configENS1_35radix_sort_onesweep_config_selectorIbiEEZZNS1_29radix_sort_onesweep_iterationIS3_Lb1EN6thrust23THRUST_200600_302600_NS6detail15normal_iteratorINS8_10device_ptrIbEEEESD_NSA_INSB_IiEEEESF_jNS0_19identity_decomposerENS1_16block_id_wrapperIjLb1EEEEE10hipError_tT1_PNSt15iterator_traitsISK_E10value_typeET2_T3_PNSL_ISQ_E10value_typeET4_T5_PSV_SW_PNS1_23onesweep_lookback_stateEbbT6_jjT7_P12ihipStream_tbENKUlT_T0_SK_SP_E_clISD_PbSF_PiEEDaS13_S14_SK_SP_EUlS13_E_NS1_11comp_targetILNS1_3genE0ELNS1_11target_archE4294967295ELNS1_3gpuE0ELNS1_3repE0EEENS1_47radix_sort_onesweep_sort_config_static_selectorELNS0_4arch9wavefront6targetE1EEEvSK_.num_named_barrier, 0
	.set _ZN7rocprim17ROCPRIM_400000_NS6detail17trampoline_kernelINS0_14default_configENS1_35radix_sort_onesweep_config_selectorIbiEEZZNS1_29radix_sort_onesweep_iterationIS3_Lb1EN6thrust23THRUST_200600_302600_NS6detail15normal_iteratorINS8_10device_ptrIbEEEESD_NSA_INSB_IiEEEESF_jNS0_19identity_decomposerENS1_16block_id_wrapperIjLb1EEEEE10hipError_tT1_PNSt15iterator_traitsISK_E10value_typeET2_T3_PNSL_ISQ_E10value_typeET4_T5_PSV_SW_PNS1_23onesweep_lookback_stateEbbT6_jjT7_P12ihipStream_tbENKUlT_T0_SK_SP_E_clISD_PbSF_PiEEDaS13_S14_SK_SP_EUlS13_E_NS1_11comp_targetILNS1_3genE0ELNS1_11target_archE4294967295ELNS1_3gpuE0ELNS1_3repE0EEENS1_47radix_sort_onesweep_sort_config_static_selectorELNS0_4arch9wavefront6targetE1EEEvSK_.private_seg_size, 0
	.set _ZN7rocprim17ROCPRIM_400000_NS6detail17trampoline_kernelINS0_14default_configENS1_35radix_sort_onesweep_config_selectorIbiEEZZNS1_29radix_sort_onesweep_iterationIS3_Lb1EN6thrust23THRUST_200600_302600_NS6detail15normal_iteratorINS8_10device_ptrIbEEEESD_NSA_INSB_IiEEEESF_jNS0_19identity_decomposerENS1_16block_id_wrapperIjLb1EEEEE10hipError_tT1_PNSt15iterator_traitsISK_E10value_typeET2_T3_PNSL_ISQ_E10value_typeET4_T5_PSV_SW_PNS1_23onesweep_lookback_stateEbbT6_jjT7_P12ihipStream_tbENKUlT_T0_SK_SP_E_clISD_PbSF_PiEEDaS13_S14_SK_SP_EUlS13_E_NS1_11comp_targetILNS1_3genE0ELNS1_11target_archE4294967295ELNS1_3gpuE0ELNS1_3repE0EEENS1_47radix_sort_onesweep_sort_config_static_selectorELNS0_4arch9wavefront6targetE1EEEvSK_.uses_vcc, 0
	.set _ZN7rocprim17ROCPRIM_400000_NS6detail17trampoline_kernelINS0_14default_configENS1_35radix_sort_onesweep_config_selectorIbiEEZZNS1_29radix_sort_onesweep_iterationIS3_Lb1EN6thrust23THRUST_200600_302600_NS6detail15normal_iteratorINS8_10device_ptrIbEEEESD_NSA_INSB_IiEEEESF_jNS0_19identity_decomposerENS1_16block_id_wrapperIjLb1EEEEE10hipError_tT1_PNSt15iterator_traitsISK_E10value_typeET2_T3_PNSL_ISQ_E10value_typeET4_T5_PSV_SW_PNS1_23onesweep_lookback_stateEbbT6_jjT7_P12ihipStream_tbENKUlT_T0_SK_SP_E_clISD_PbSF_PiEEDaS13_S14_SK_SP_EUlS13_E_NS1_11comp_targetILNS1_3genE0ELNS1_11target_archE4294967295ELNS1_3gpuE0ELNS1_3repE0EEENS1_47radix_sort_onesweep_sort_config_static_selectorELNS0_4arch9wavefront6targetE1EEEvSK_.uses_flat_scratch, 0
	.set _ZN7rocprim17ROCPRIM_400000_NS6detail17trampoline_kernelINS0_14default_configENS1_35radix_sort_onesweep_config_selectorIbiEEZZNS1_29radix_sort_onesweep_iterationIS3_Lb1EN6thrust23THRUST_200600_302600_NS6detail15normal_iteratorINS8_10device_ptrIbEEEESD_NSA_INSB_IiEEEESF_jNS0_19identity_decomposerENS1_16block_id_wrapperIjLb1EEEEE10hipError_tT1_PNSt15iterator_traitsISK_E10value_typeET2_T3_PNSL_ISQ_E10value_typeET4_T5_PSV_SW_PNS1_23onesweep_lookback_stateEbbT6_jjT7_P12ihipStream_tbENKUlT_T0_SK_SP_E_clISD_PbSF_PiEEDaS13_S14_SK_SP_EUlS13_E_NS1_11comp_targetILNS1_3genE0ELNS1_11target_archE4294967295ELNS1_3gpuE0ELNS1_3repE0EEENS1_47radix_sort_onesweep_sort_config_static_selectorELNS0_4arch9wavefront6targetE1EEEvSK_.has_dyn_sized_stack, 0
	.set _ZN7rocprim17ROCPRIM_400000_NS6detail17trampoline_kernelINS0_14default_configENS1_35radix_sort_onesweep_config_selectorIbiEEZZNS1_29radix_sort_onesweep_iterationIS3_Lb1EN6thrust23THRUST_200600_302600_NS6detail15normal_iteratorINS8_10device_ptrIbEEEESD_NSA_INSB_IiEEEESF_jNS0_19identity_decomposerENS1_16block_id_wrapperIjLb1EEEEE10hipError_tT1_PNSt15iterator_traitsISK_E10value_typeET2_T3_PNSL_ISQ_E10value_typeET4_T5_PSV_SW_PNS1_23onesweep_lookback_stateEbbT6_jjT7_P12ihipStream_tbENKUlT_T0_SK_SP_E_clISD_PbSF_PiEEDaS13_S14_SK_SP_EUlS13_E_NS1_11comp_targetILNS1_3genE0ELNS1_11target_archE4294967295ELNS1_3gpuE0ELNS1_3repE0EEENS1_47radix_sort_onesweep_sort_config_static_selectorELNS0_4arch9wavefront6targetE1EEEvSK_.has_recursion, 0
	.set _ZN7rocprim17ROCPRIM_400000_NS6detail17trampoline_kernelINS0_14default_configENS1_35radix_sort_onesweep_config_selectorIbiEEZZNS1_29radix_sort_onesweep_iterationIS3_Lb1EN6thrust23THRUST_200600_302600_NS6detail15normal_iteratorINS8_10device_ptrIbEEEESD_NSA_INSB_IiEEEESF_jNS0_19identity_decomposerENS1_16block_id_wrapperIjLb1EEEEE10hipError_tT1_PNSt15iterator_traitsISK_E10value_typeET2_T3_PNSL_ISQ_E10value_typeET4_T5_PSV_SW_PNS1_23onesweep_lookback_stateEbbT6_jjT7_P12ihipStream_tbENKUlT_T0_SK_SP_E_clISD_PbSF_PiEEDaS13_S14_SK_SP_EUlS13_E_NS1_11comp_targetILNS1_3genE0ELNS1_11target_archE4294967295ELNS1_3gpuE0ELNS1_3repE0EEENS1_47radix_sort_onesweep_sort_config_static_selectorELNS0_4arch9wavefront6targetE1EEEvSK_.has_indirect_call, 0
	.section	.AMDGPU.csdata,"",@progbits
; Kernel info:
; codeLenInByte = 0
; TotalNumSgprs: 6
; NumVgprs: 0
; NumAgprs: 0
; TotalNumVgprs: 0
; ScratchSize: 0
; MemoryBound: 0
; FloatMode: 240
; IeeeMode: 1
; LDSByteSize: 0 bytes/workgroup (compile time only)
; SGPRBlocks: 0
; VGPRBlocks: 0
; NumSGPRsForWavesPerEU: 6
; NumVGPRsForWavesPerEU: 1
; AccumOffset: 4
; Occupancy: 8
; WaveLimiterHint : 0
; COMPUTE_PGM_RSRC2:SCRATCH_EN: 0
; COMPUTE_PGM_RSRC2:USER_SGPR: 2
; COMPUTE_PGM_RSRC2:TRAP_HANDLER: 0
; COMPUTE_PGM_RSRC2:TGID_X_EN: 1
; COMPUTE_PGM_RSRC2:TGID_Y_EN: 0
; COMPUTE_PGM_RSRC2:TGID_Z_EN: 0
; COMPUTE_PGM_RSRC2:TIDIG_COMP_CNT: 0
; COMPUTE_PGM_RSRC3_GFX90A:ACCUM_OFFSET: 0
; COMPUTE_PGM_RSRC3_GFX90A:TG_SPLIT: 0
	.section	.text._ZN7rocprim17ROCPRIM_400000_NS6detail17trampoline_kernelINS0_14default_configENS1_35radix_sort_onesweep_config_selectorIbiEEZZNS1_29radix_sort_onesweep_iterationIS3_Lb1EN6thrust23THRUST_200600_302600_NS6detail15normal_iteratorINS8_10device_ptrIbEEEESD_NSA_INSB_IiEEEESF_jNS0_19identity_decomposerENS1_16block_id_wrapperIjLb1EEEEE10hipError_tT1_PNSt15iterator_traitsISK_E10value_typeET2_T3_PNSL_ISQ_E10value_typeET4_T5_PSV_SW_PNS1_23onesweep_lookback_stateEbbT6_jjT7_P12ihipStream_tbENKUlT_T0_SK_SP_E_clISD_PbSF_PiEEDaS13_S14_SK_SP_EUlS13_E_NS1_11comp_targetILNS1_3genE6ELNS1_11target_archE950ELNS1_3gpuE13ELNS1_3repE0EEENS1_47radix_sort_onesweep_sort_config_static_selectorELNS0_4arch9wavefront6targetE1EEEvSK_,"axG",@progbits,_ZN7rocprim17ROCPRIM_400000_NS6detail17trampoline_kernelINS0_14default_configENS1_35radix_sort_onesweep_config_selectorIbiEEZZNS1_29radix_sort_onesweep_iterationIS3_Lb1EN6thrust23THRUST_200600_302600_NS6detail15normal_iteratorINS8_10device_ptrIbEEEESD_NSA_INSB_IiEEEESF_jNS0_19identity_decomposerENS1_16block_id_wrapperIjLb1EEEEE10hipError_tT1_PNSt15iterator_traitsISK_E10value_typeET2_T3_PNSL_ISQ_E10value_typeET4_T5_PSV_SW_PNS1_23onesweep_lookback_stateEbbT6_jjT7_P12ihipStream_tbENKUlT_T0_SK_SP_E_clISD_PbSF_PiEEDaS13_S14_SK_SP_EUlS13_E_NS1_11comp_targetILNS1_3genE6ELNS1_11target_archE950ELNS1_3gpuE13ELNS1_3repE0EEENS1_47radix_sort_onesweep_sort_config_static_selectorELNS0_4arch9wavefront6targetE1EEEvSK_,comdat
	.protected	_ZN7rocprim17ROCPRIM_400000_NS6detail17trampoline_kernelINS0_14default_configENS1_35radix_sort_onesweep_config_selectorIbiEEZZNS1_29radix_sort_onesweep_iterationIS3_Lb1EN6thrust23THRUST_200600_302600_NS6detail15normal_iteratorINS8_10device_ptrIbEEEESD_NSA_INSB_IiEEEESF_jNS0_19identity_decomposerENS1_16block_id_wrapperIjLb1EEEEE10hipError_tT1_PNSt15iterator_traitsISK_E10value_typeET2_T3_PNSL_ISQ_E10value_typeET4_T5_PSV_SW_PNS1_23onesweep_lookback_stateEbbT6_jjT7_P12ihipStream_tbENKUlT_T0_SK_SP_E_clISD_PbSF_PiEEDaS13_S14_SK_SP_EUlS13_E_NS1_11comp_targetILNS1_3genE6ELNS1_11target_archE950ELNS1_3gpuE13ELNS1_3repE0EEENS1_47radix_sort_onesweep_sort_config_static_selectorELNS0_4arch9wavefront6targetE1EEEvSK_ ; -- Begin function _ZN7rocprim17ROCPRIM_400000_NS6detail17trampoline_kernelINS0_14default_configENS1_35radix_sort_onesweep_config_selectorIbiEEZZNS1_29radix_sort_onesweep_iterationIS3_Lb1EN6thrust23THRUST_200600_302600_NS6detail15normal_iteratorINS8_10device_ptrIbEEEESD_NSA_INSB_IiEEEESF_jNS0_19identity_decomposerENS1_16block_id_wrapperIjLb1EEEEE10hipError_tT1_PNSt15iterator_traitsISK_E10value_typeET2_T3_PNSL_ISQ_E10value_typeET4_T5_PSV_SW_PNS1_23onesweep_lookback_stateEbbT6_jjT7_P12ihipStream_tbENKUlT_T0_SK_SP_E_clISD_PbSF_PiEEDaS13_S14_SK_SP_EUlS13_E_NS1_11comp_targetILNS1_3genE6ELNS1_11target_archE950ELNS1_3gpuE13ELNS1_3repE0EEENS1_47radix_sort_onesweep_sort_config_static_selectorELNS0_4arch9wavefront6targetE1EEEvSK_
	.globl	_ZN7rocprim17ROCPRIM_400000_NS6detail17trampoline_kernelINS0_14default_configENS1_35radix_sort_onesweep_config_selectorIbiEEZZNS1_29radix_sort_onesweep_iterationIS3_Lb1EN6thrust23THRUST_200600_302600_NS6detail15normal_iteratorINS8_10device_ptrIbEEEESD_NSA_INSB_IiEEEESF_jNS0_19identity_decomposerENS1_16block_id_wrapperIjLb1EEEEE10hipError_tT1_PNSt15iterator_traitsISK_E10value_typeET2_T3_PNSL_ISQ_E10value_typeET4_T5_PSV_SW_PNS1_23onesweep_lookback_stateEbbT6_jjT7_P12ihipStream_tbENKUlT_T0_SK_SP_E_clISD_PbSF_PiEEDaS13_S14_SK_SP_EUlS13_E_NS1_11comp_targetILNS1_3genE6ELNS1_11target_archE950ELNS1_3gpuE13ELNS1_3repE0EEENS1_47radix_sort_onesweep_sort_config_static_selectorELNS0_4arch9wavefront6targetE1EEEvSK_
	.p2align	8
	.type	_ZN7rocprim17ROCPRIM_400000_NS6detail17trampoline_kernelINS0_14default_configENS1_35radix_sort_onesweep_config_selectorIbiEEZZNS1_29radix_sort_onesweep_iterationIS3_Lb1EN6thrust23THRUST_200600_302600_NS6detail15normal_iteratorINS8_10device_ptrIbEEEESD_NSA_INSB_IiEEEESF_jNS0_19identity_decomposerENS1_16block_id_wrapperIjLb1EEEEE10hipError_tT1_PNSt15iterator_traitsISK_E10value_typeET2_T3_PNSL_ISQ_E10value_typeET4_T5_PSV_SW_PNS1_23onesweep_lookback_stateEbbT6_jjT7_P12ihipStream_tbENKUlT_T0_SK_SP_E_clISD_PbSF_PiEEDaS13_S14_SK_SP_EUlS13_E_NS1_11comp_targetILNS1_3genE6ELNS1_11target_archE950ELNS1_3gpuE13ELNS1_3repE0EEENS1_47radix_sort_onesweep_sort_config_static_selectorELNS0_4arch9wavefront6targetE1EEEvSK_,@function
_ZN7rocprim17ROCPRIM_400000_NS6detail17trampoline_kernelINS0_14default_configENS1_35radix_sort_onesweep_config_selectorIbiEEZZNS1_29radix_sort_onesweep_iterationIS3_Lb1EN6thrust23THRUST_200600_302600_NS6detail15normal_iteratorINS8_10device_ptrIbEEEESD_NSA_INSB_IiEEEESF_jNS0_19identity_decomposerENS1_16block_id_wrapperIjLb1EEEEE10hipError_tT1_PNSt15iterator_traitsISK_E10value_typeET2_T3_PNSL_ISQ_E10value_typeET4_T5_PSV_SW_PNS1_23onesweep_lookback_stateEbbT6_jjT7_P12ihipStream_tbENKUlT_T0_SK_SP_E_clISD_PbSF_PiEEDaS13_S14_SK_SP_EUlS13_E_NS1_11comp_targetILNS1_3genE6ELNS1_11target_archE950ELNS1_3gpuE13ELNS1_3repE0EEENS1_47radix_sort_onesweep_sort_config_static_selectorELNS0_4arch9wavefront6targetE1EEEvSK_: ; @_ZN7rocprim17ROCPRIM_400000_NS6detail17trampoline_kernelINS0_14default_configENS1_35radix_sort_onesweep_config_selectorIbiEEZZNS1_29radix_sort_onesweep_iterationIS3_Lb1EN6thrust23THRUST_200600_302600_NS6detail15normal_iteratorINS8_10device_ptrIbEEEESD_NSA_INSB_IiEEEESF_jNS0_19identity_decomposerENS1_16block_id_wrapperIjLb1EEEEE10hipError_tT1_PNSt15iterator_traitsISK_E10value_typeET2_T3_PNSL_ISQ_E10value_typeET4_T5_PSV_SW_PNS1_23onesweep_lookback_stateEbbT6_jjT7_P12ihipStream_tbENKUlT_T0_SK_SP_E_clISD_PbSF_PiEEDaS13_S14_SK_SP_EUlS13_E_NS1_11comp_targetILNS1_3genE6ELNS1_11target_archE950ELNS1_3gpuE13ELNS1_3repE0EEENS1_47radix_sort_onesweep_sort_config_static_selectorELNS0_4arch9wavefront6targetE1EEEvSK_
; %bb.0:
	s_load_dwordx4 s[80:83], s[0:1], 0x28
	s_load_dwordx2 s[88:89], s[0:1], 0x38
	s_load_dwordx4 s[84:87], s[0:1], 0x44
	v_and_b32_e32 v16, 0x3ff, v0
	v_cmp_eq_u32_e64 s[66:67], 0, v16
	s_and_saveexec_b64 s[4:5], s[66:67]
	s_cbranch_execz .LBB2228_4
; %bb.1:
	s_mov_b64 s[8:9], exec
	v_mbcnt_lo_u32_b32 v1, s8, 0
	v_mbcnt_hi_u32_b32 v1, s9, v1
	v_cmp_eq_u32_e32 vcc, 0, v1
                                        ; implicit-def: $vgpr2
	s_and_saveexec_b64 s[6:7], vcc
	s_cbranch_execz .LBB2228_3
; %bb.2:
	s_load_dwordx2 s[10:11], s[0:1], 0x50
	s_bcnt1_i32_b64 s3, s[8:9]
	v_mov_b32_e32 v2, 0
	v_mov_b32_e32 v3, s3
	s_waitcnt lgkmcnt(0)
	global_atomic_add v2, v2, v3, s[10:11] sc0
.LBB2228_3:
	s_or_b64 exec, exec, s[6:7]
	s_waitcnt vmcnt(0)
	v_readfirstlane_b32 s3, v2
	v_mov_b32_e32 v2, 0
	s_nop 0
	v_add_u32_e32 v1, s3, v1
	ds_write_b32 v2, v1 offset:20544
.LBB2228_4:
	s_or_b64 exec, exec, s[4:5]
	v_mov_b32_e32 v3, 0
	s_load_dwordx8 s[72:79], s[0:1], 0x0
	s_load_dword s3, s[0:1], 0x20
	s_waitcnt lgkmcnt(0)
	s_barrier
	ds_read_b32 v1, v3 offset:20544
	s_mov_b64 s[4:5], -1
	v_mbcnt_lo_u32_b32 v12, -1, 0
	s_waitcnt lgkmcnt(0)
	s_barrier
	v_cmp_le_u32_e32 vcc, s86, v1
	v_readfirstlane_b32 s33, v1
	v_lshlrev_b32_e32 v1, 4, v16
	s_cbranch_vccz .LBB2228_198
; %bb.5:
	s_lshl_b32 s4, s86, 14
	s_sub_i32 s3, s3, s4
	s_lshl_b32 s86, s33, 14
	s_add_u32 s4, s72, s86
	v_mbcnt_hi_u32_b32 v10, -1, v12
	s_addc_u32 s5, s73, 0
	v_and_b32_e32 v2, 63, v10
	v_and_b32_e32 v4, 0x3c00, v1
	v_lshl_add_u64 v[6:7], s[4:5], 0, v[2:3]
	v_mov_b32_e32 v5, v3
	v_or_b32_e32 v25, v2, v4
	s_mov_b32 s87, 0
	v_lshl_add_u64 v[6:7], v[6:7], 0, v[4:5]
	v_cmp_gt_u32_e32 vcc, s3, v25
	v_mov_b32_e32 v23, v3
	v_mov_b32_e32 v8, v3
	;; [unrolled: 1-line block ×13, first 2 shown]
	s_and_saveexec_b64 s[4:5], vcc
	s_cbranch_execz .LBB2228_7
; %bb.6:
	global_load_ubyte v23, v[6:7], off
	v_mov_b32_e32 v5, v3
	v_mov_b32_e32 v8, v3
	;; [unrolled: 1-line block ×13, first 2 shown]
.LBB2228_7:
	s_or_b64 exec, exec, s[4:5]
	v_or_b32_e32 v24, 64, v25
	v_cmp_gt_u32_e64 s[4:5], s3, v24
	v_mov_b32_e32 v24, v3
	s_and_saveexec_b64 s[6:7], s[4:5]
	s_cbranch_execz .LBB2228_9
; %bb.8:
	global_load_ubyte v24, v[6:7], off offset:64
.LBB2228_9:
	s_or_b64 exec, exec, s[6:7]
	v_or_b32_e32 v26, 0x80, v25
	v_cmp_gt_u32_e64 s[6:7], s3, v26
	s_and_saveexec_b64 s[8:9], s[6:7]
	s_cbranch_execz .LBB2228_11
; %bb.10:
	global_load_ubyte v3, v[6:7], off offset:128
.LBB2228_11:
	s_or_b64 exec, exec, s[8:9]
	v_or_b32_e32 v26, 0xc0, v25
	v_cmp_gt_u32_e64 s[8:9], s3, v26
	s_and_saveexec_b64 s[10:11], s[8:9]
	s_cbranch_execz .LBB2228_13
; %bb.12:
	global_load_ubyte v5, v[6:7], off offset:192
.LBB2228_13:
	s_or_b64 exec, exec, s[10:11]
	v_or_b32_e32 v26, 0x100, v25
	v_cmp_gt_u32_e64 s[10:11], s3, v26
	s_and_saveexec_b64 s[12:13], s[10:11]
	s_cbranch_execz .LBB2228_15
; %bb.14:
	global_load_ubyte v8, v[6:7], off offset:256
.LBB2228_15:
	s_or_b64 exec, exec, s[12:13]
	v_or_b32_e32 v26, 0x140, v25
	v_cmp_gt_u32_e64 s[12:13], s3, v26
	s_and_saveexec_b64 s[14:15], s[12:13]
	s_cbranch_execz .LBB2228_17
; %bb.16:
	global_load_ubyte v9, v[6:7], off offset:320
.LBB2228_17:
	s_or_b64 exec, exec, s[14:15]
	v_or_b32_e32 v26, 0x180, v25
	v_cmp_gt_u32_e64 s[14:15], s3, v26
	s_and_saveexec_b64 s[16:17], s[14:15]
	s_cbranch_execz .LBB2228_19
; %bb.18:
	global_load_ubyte v11, v[6:7], off offset:384
.LBB2228_19:
	s_or_b64 exec, exec, s[16:17]
	v_or_b32_e32 v26, 0x1c0, v25
	v_cmp_gt_u32_e64 s[16:17], s3, v26
	s_and_saveexec_b64 s[18:19], s[16:17]
	s_cbranch_execz .LBB2228_21
; %bb.20:
	global_load_ubyte v13, v[6:7], off offset:448
.LBB2228_21:
	s_or_b64 exec, exec, s[18:19]
	v_or_b32_e32 v26, 0x200, v25
	v_cmp_gt_u32_e64 s[18:19], s3, v26
	s_and_saveexec_b64 s[20:21], s[18:19]
	s_cbranch_execz .LBB2228_23
; %bb.22:
	global_load_ubyte v14, v[6:7], off offset:512
.LBB2228_23:
	s_or_b64 exec, exec, s[20:21]
	v_or_b32_e32 v26, 0x240, v25
	v_cmp_gt_u32_e64 s[20:21], s3, v26
	s_and_saveexec_b64 s[22:23], s[20:21]
	s_cbranch_execz .LBB2228_25
; %bb.24:
	global_load_ubyte v15, v[6:7], off offset:576
.LBB2228_25:
	s_or_b64 exec, exec, s[22:23]
	v_or_b32_e32 v26, 0x280, v25
	v_cmp_gt_u32_e64 s[22:23], s3, v26
	s_and_saveexec_b64 s[24:25], s[22:23]
	s_cbranch_execz .LBB2228_27
; %bb.26:
	global_load_ubyte v17, v[6:7], off offset:640
.LBB2228_27:
	s_or_b64 exec, exec, s[24:25]
	v_or_b32_e32 v26, 0x2c0, v25
	v_cmp_gt_u32_e64 s[24:25], s3, v26
	s_and_saveexec_b64 s[26:27], s[24:25]
	s_cbranch_execz .LBB2228_29
; %bb.28:
	global_load_ubyte v18, v[6:7], off offset:704
.LBB2228_29:
	s_or_b64 exec, exec, s[26:27]
	v_or_b32_e32 v26, 0x300, v25
	v_cmp_gt_u32_e64 s[26:27], s3, v26
	s_and_saveexec_b64 s[28:29], s[26:27]
	s_cbranch_execz .LBB2228_31
; %bb.30:
	global_load_ubyte v19, v[6:7], off offset:768
.LBB2228_31:
	s_or_b64 exec, exec, s[28:29]
	v_or_b32_e32 v26, 0x340, v25
	v_cmp_gt_u32_e64 s[28:29], s3, v26
	s_and_saveexec_b64 s[30:31], s[28:29]
	s_cbranch_execz .LBB2228_33
; %bb.32:
	global_load_ubyte v20, v[6:7], off offset:832
.LBB2228_33:
	s_or_b64 exec, exec, s[30:31]
	v_or_b32_e32 v26, 0x380, v25
	v_cmp_gt_u32_e64 s[30:31], s3, v26
	s_and_saveexec_b64 s[34:35], s[30:31]
	s_cbranch_execz .LBB2228_35
; %bb.34:
	global_load_ubyte v21, v[6:7], off offset:896
.LBB2228_35:
	s_or_b64 exec, exec, s[34:35]
	v_or_b32_e32 v25, 0x3c0, v25
	v_cmp_gt_u32_e64 s[34:35], s3, v25
	s_and_saveexec_b64 s[36:37], s[34:35]
	s_cbranch_execz .LBB2228_37
; %bb.36:
	global_load_ubyte v22, v[6:7], off offset:960
.LBB2228_37:
	s_or_b64 exec, exec, s[36:37]
	s_load_dword s90, s[0:1], 0x58
	s_load_dword s38, s[0:1], 0x64
	s_waitcnt vmcnt(0)
	v_and_b32_e32 v6, 1, v23
	v_cmp_eq_u32_e64 s[36:37], 1, v6
	s_xor_b64 s[68:69], s[36:37], -1
	s_add_u32 s36, s0, 0x58
	s_addc_u32 s37, s1, 0
	s_waitcnt lgkmcnt(0)
	s_lshr_b32 s70, s38, 16
	s_cmp_lt_u32 s2, s90
	s_cselect_b32 s38, 12, 18
	s_add_u32 s36, s36, s38
	s_addc_u32 s37, s37, 0
	v_mov_b32_e32 v7, 0
	global_load_ushort v23, v7, s[36:37]
	v_and_b32_e32 v3, 1, v3
	v_and_b32_e32 v5, 1, v5
	v_cmp_eq_u32_e64 s[62:63], 1, v3
	v_cndmask_b32_e64 v3, 0, 1, s[68:69]
	v_and_b32_e32 v6, 1, v24
	v_cmp_eq_u32_e64 s[60:61], 1, v5
	v_lshrrev_b32_e32 v5, s84, v3
	s_lshl_b32 s68, -1, s85
	v_and_b32_e32 v8, 1, v8
	v_and_b32_e32 v9, 1, v9
	v_cmp_eq_u32_e64 s[64:65], 1, v6
	v_bitop3_b32 v6, v5, s68, v5 bitop3:0x30
	v_cmp_eq_u32_e64 s[58:59], 1, v8
	v_cmp_eq_u32_e64 s[56:57], 1, v9
	s_not_b32 s91, s68
	v_cmp_ne_u32_e64 s[68:69], 0, v6
	v_lshl_add_u64 v[8:9], v[6:7], 0, -1
	v_and_b32_e32 v13, 1, v13
	v_bfe_u32 v25, v0, 10, 10
	v_bfe_u32 v26, v0, 20, 10
	v_xor_b32_e32 v8, s68, v8
	v_and_b32_e32 v14, 1, v14
	v_and_b32_e32 v15, 1, v15
	;; [unrolled: 1-line block ×3, first 2 shown]
	v_cmp_eq_u32_e64 s[52:53], 1, v13
	v_mad_u32_u24 v13, v26, s70, v25
	v_mul_u32_u24_e32 v5, 0x44, v6
	v_xor_b32_e32 v6, s69, v9
	v_and_b32_e32 v8, exec_lo, v8
	v_cmp_eq_u32_e64 s[50:51], 1, v14
	v_cmp_eq_u32_e64 s[48:49], 1, v15
	v_and_b32_e32 v9, exec_hi, v6
	v_mbcnt_lo_u32_b32 v6, v8, 0
	v_mbcnt_hi_u32_b32 v38, v9, v6
	v_and_b32_e32 v24, 1, v11
	v_and_b32_e32 v18, 1, v18
	;; [unrolled: 1-line block ×6, first 2 shown]
	v_cmp_ne_u64_e64 s[68:69], 0, v[8:9]
	v_cmp_eq_u32_e64 s[70:71], 0, v38
	v_mul_u32_u24_e32 v11, 20, v16
	s_movk_i32 s92, 0x44
	v_cmp_eq_u32_e64 s[54:55], 1, v24
	v_cmp_eq_u32_e64 s[46:47], 1, v17
	;; [unrolled: 1-line block ×7, first 2 shown]
	s_and_b64 s[70:71], s[68:69], s[70:71]
	ds_write2_b32 v11, v7, v7 offset0:16 offset1:17
	ds_write2_b32 v11, v7, v7 offset0:18 offset1:19
	ds_write_b32 v11, v7 offset:80
	s_waitcnt lgkmcnt(0)
	s_barrier
	s_waitcnt vmcnt(0)
	; wave barrier
	v_mad_u64_u32 v[14:15], s[94:95], v13, v23, v[16:17]
	v_lshrrev_b32_e32 v6, 4, v14
	v_and_b32_e32 v48, 0xffffffc, v6
	v_add_u32_e32 v34, v48, v5
	s_and_saveexec_b64 s[68:69], s[70:71]
; %bb.38:
	v_bcnt_u32_b32 v5, v8, 0
	v_bcnt_u32_b32 v5, v9, v5
	ds_write_b32 v34, v5 offset:64
; %bb.39:
	s_or_b64 exec, exec, s[68:69]
	s_xor_b64 s[64:65], s[64:65], -1
	v_cndmask_b32_e64 v40, 0, 1, s[64:65]
	v_lshrrev_b32_e32 v5, s84, v40
	v_and_b32_e32 v6, s91, v5
	v_mul_u32_u24_e32 v8, 0x44, v6
	v_mad_u32_u24 v5, v6, s92, v48
	v_cmp_ne_u32_e64 s[64:65], 0, v6
	v_lshl_add_u64 v[6:7], v[6:7], 0, -1
	s_nop 0
	v_xor_b32_e32 v6, s64, v6
	; wave barrier
	ds_read_b32 v5, v5 offset:64
	v_xor_b32_e32 v7, s65, v7
	v_and_b32_e32 v6, exec_lo, v6
	v_and_b32_e32 v7, exec_hi, v7
	v_mbcnt_lo_u32_b32 v9, v6, 0
	v_mbcnt_hi_u32_b32 v13, v7, v9
	v_cmp_eq_u32_e64 s[64:65], 0, v13
	v_cmp_ne_u64_e64 s[68:69], 0, v[6:7]
	s_and_b64 s[68:69], s[68:69], s[64:65]
	v_add_u32_e32 v36, v48, v8
	; wave barrier
	s_and_saveexec_b64 s[64:65], s[68:69]
	s_cbranch_execz .LBB2228_41
; %bb.40:
	v_bcnt_u32_b32 v6, v6, 0
	v_bcnt_u32_b32 v6, v7, v6
	s_waitcnt lgkmcnt(0)
	v_add_u32_e32 v6, v5, v6
	ds_write_b32 v36, v6 offset:64
.LBB2228_41:
	s_or_b64 exec, exec, s[64:65]
	s_xor_b64 s[62:63], s[62:63], -1
	v_cndmask_b32_e64 v47, 0, 1, s[62:63]
	v_lshrrev_b32_e32 v6, s84, v47
	v_and_b32_e32 v6, s91, v6
	s_movk_i32 s68, 0x44
	v_mad_u32_u24 v7, v6, s68, v48
	; wave barrier
	ds_read_b32 v14, v7 offset:64
	v_mov_b32_e32 v7, 0
	v_cmp_ne_u32_e64 s[62:63], 0, v6
	v_lshl_add_u64 v[8:9], v[6:7], 0, -1
	v_mul_u32_u24_e32 v17, 0x44, v6
	v_xor_b32_e32 v8, s62, v8
	v_xor_b32_e32 v6, s63, v9
	v_and_b32_e32 v8, exec_lo, v8
	v_and_b32_e32 v9, exec_hi, v6
	v_mbcnt_lo_u32_b32 v6, v8, 0
	v_mbcnt_hi_u32_b32 v15, v9, v6
	v_cmp_eq_u32_e64 s[62:63], 0, v15
	v_cmp_ne_u64_e64 s[64:65], 0, v[8:9]
	s_and_b64 s[64:65], s[64:65], s[62:63]
	v_add_u32_e32 v49, v48, v17
	; wave barrier
	s_and_saveexec_b64 s[62:63], s[64:65]
	s_cbranch_execz .LBB2228_43
; %bb.42:
	v_bcnt_u32_b32 v6, v8, 0
	v_bcnt_u32_b32 v6, v9, v6
	s_waitcnt lgkmcnt(0)
	v_add_u32_e32 v6, v14, v6
	ds_write_b32 v49, v6 offset:64
.LBB2228_43:
	s_or_b64 exec, exec, s[62:63]
	s_xor_b64 s[60:61], s[60:61], -1
	v_cndmask_b32_e64 v54, 0, 1, s[60:61]
	v_lshrrev_b32_e32 v6, s84, v54
	v_and_b32_e32 v6, s91, v6
	v_mul_u32_u24_e32 v8, 0x44, v6
	v_mad_u32_u24 v9, v6, s68, v48
	v_cmp_ne_u32_e64 s[60:61], 0, v6
	v_lshl_add_u64 v[6:7], v[6:7], 0, -1
	s_nop 0
	v_xor_b32_e32 v6, s60, v6
	; wave barrier
	ds_read_b32 v17, v9 offset:64
	v_xor_b32_e32 v7, s61, v7
	v_and_b32_e32 v6, exec_lo, v6
	v_and_b32_e32 v7, exec_hi, v7
	v_mbcnt_lo_u32_b32 v9, v6, 0
	v_mbcnt_hi_u32_b32 v18, v7, v9
	v_cmp_eq_u32_e64 s[60:61], 0, v18
	v_cmp_ne_u64_e64 s[62:63], 0, v[6:7]
	s_and_b64 s[62:63], s[62:63], s[60:61]
	v_add_u32_e32 v50, v48, v8
	; wave barrier
	s_and_saveexec_b64 s[60:61], s[62:63]
	s_cbranch_execz .LBB2228_45
; %bb.44:
	v_bcnt_u32_b32 v6, v6, 0
	v_bcnt_u32_b32 v6, v7, v6
	s_waitcnt lgkmcnt(0)
	v_add_u32_e32 v6, v17, v6
	ds_write_b32 v50, v6 offset:64
.LBB2228_45:
	s_or_b64 exec, exec, s[60:61]
	s_xor_b64 s[58:59], s[58:59], -1
	v_cndmask_b32_e64 v64, 0, 1, s[58:59]
	v_lshrrev_b32_e32 v6, s84, v64
	v_and_b32_e32 v6, s91, v6
	s_movk_i32 s62, 0x44
	v_mad_u32_u24 v7, v6, s62, v48
	; wave barrier
	ds_read_b32 v19, v7 offset:64
	v_mov_b32_e32 v7, 0
	v_cmp_ne_u32_e64 s[58:59], 0, v6
	v_lshl_add_u64 v[8:9], v[6:7], 0, -1
	v_mul_u32_u24_e32 v21, 0x44, v6
	v_xor_b32_e32 v8, s58, v8
	v_xor_b32_e32 v6, s59, v9
	v_and_b32_e32 v8, exec_lo, v8
	v_and_b32_e32 v9, exec_hi, v6
	v_mbcnt_lo_u32_b32 v6, v8, 0
	v_mbcnt_hi_u32_b32 v20, v9, v6
	v_cmp_eq_u32_e64 s[58:59], 0, v20
	v_cmp_ne_u64_e64 s[60:61], 0, v[8:9]
	s_and_b64 s[60:61], s[60:61], s[58:59]
	v_add_u32_e32 v51, v48, v21
	; wave barrier
	s_and_saveexec_b64 s[58:59], s[60:61]
	s_cbranch_execz .LBB2228_47
; %bb.46:
	v_bcnt_u32_b32 v6, v8, 0
	v_bcnt_u32_b32 v6, v9, v6
	s_waitcnt lgkmcnt(0)
	v_add_u32_e32 v6, v19, v6
	ds_write_b32 v51, v6 offset:64
.LBB2228_47:
	s_or_b64 exec, exec, s[58:59]
	s_xor_b64 s[56:57], s[56:57], -1
	v_cndmask_b32_e64 v80, 0, 1, s[56:57]
	v_lshrrev_b32_e32 v6, s84, v80
	v_and_b32_e32 v6, s91, v6
	v_mul_u32_u24_e32 v8, 0x44, v6
	v_mad_u32_u24 v9, v6, s62, v48
	v_cmp_ne_u32_e64 s[56:57], 0, v6
	v_lshl_add_u64 v[6:7], v[6:7], 0, -1
	s_nop 0
	v_xor_b32_e32 v6, s56, v6
	; wave barrier
	ds_read_b32 v21, v9 offset:64
	v_xor_b32_e32 v7, s57, v7
	v_and_b32_e32 v6, exec_lo, v6
	v_and_b32_e32 v7, exec_hi, v7
	v_mbcnt_lo_u32_b32 v9, v6, 0
	v_mbcnt_hi_u32_b32 v22, v7, v9
	v_cmp_eq_u32_e64 s[56:57], 0, v22
	v_cmp_ne_u64_e64 s[58:59], 0, v[6:7]
	s_and_b64 s[58:59], s[58:59], s[56:57]
	v_add_u32_e32 v52, v48, v8
	; wave barrier
	s_and_saveexec_b64 s[56:57], s[58:59]
	s_cbranch_execz .LBB2228_49
; %bb.48:
	v_bcnt_u32_b32 v6, v6, 0
	v_bcnt_u32_b32 v6, v7, v6
	s_waitcnt lgkmcnt(0)
	v_add_u32_e32 v6, v21, v6
	ds_write_b32 v52, v6 offset:64
.LBB2228_49:
	s_or_b64 exec, exec, s[56:57]
	s_xor_b64 s[54:55], s[54:55], -1
	v_cndmask_b32_e64 v81, 0, 1, s[54:55]
	v_lshrrev_b32_e32 v6, s84, v81
	v_and_b32_e32 v6, s91, v6
	s_movk_i32 s58, 0x44
	v_mad_u32_u24 v7, v6, s58, v48
	; wave barrier
	ds_read_b32 v23, v7 offset:64
	v_mov_b32_e32 v7, 0
	v_cmp_ne_u32_e64 s[54:55], 0, v6
	v_lshl_add_u64 v[8:9], v[6:7], 0, -1
	v_mul_u32_u24_e32 v25, 0x44, v6
	v_xor_b32_e32 v8, s54, v8
	v_xor_b32_e32 v6, s55, v9
	v_and_b32_e32 v8, exec_lo, v8
	v_and_b32_e32 v9, exec_hi, v6
	v_mbcnt_lo_u32_b32 v6, v8, 0
	v_mbcnt_hi_u32_b32 v24, v9, v6
	v_cmp_eq_u32_e64 s[54:55], 0, v24
	v_cmp_ne_u64_e64 s[56:57], 0, v[8:9]
	s_and_b64 s[56:57], s[56:57], s[54:55]
	v_add_u32_e32 v53, v48, v25
	; wave barrier
	s_and_saveexec_b64 s[54:55], s[56:57]
	s_cbranch_execz .LBB2228_51
; %bb.50:
	v_bcnt_u32_b32 v6, v8, 0
	v_bcnt_u32_b32 v6, v9, v6
	s_waitcnt lgkmcnt(0)
	v_add_u32_e32 v6, v23, v6
	ds_write_b32 v53, v6 offset:64
.LBB2228_51:
	s_or_b64 exec, exec, s[54:55]
	s_xor_b64 s[52:53], s[52:53], -1
	v_cndmask_b32_e64 v82, 0, 1, s[52:53]
	v_lshrrev_b32_e32 v6, s84, v82
	v_and_b32_e32 v6, s91, v6
	v_mul_u32_u24_e32 v8, 0x44, v6
	v_mad_u32_u24 v9, v6, s58, v48
	v_cmp_ne_u32_e64 s[52:53], 0, v6
	v_lshl_add_u64 v[6:7], v[6:7], 0, -1
	s_nop 0
	v_xor_b32_e32 v6, s52, v6
	; wave barrier
	ds_read_b32 v25, v9 offset:64
	v_xor_b32_e32 v7, s53, v7
	v_and_b32_e32 v6, exec_lo, v6
	v_and_b32_e32 v7, exec_hi, v7
	v_mbcnt_lo_u32_b32 v9, v6, 0
	v_mbcnt_hi_u32_b32 v26, v7, v9
	v_cmp_eq_u32_e64 s[52:53], 0, v26
	v_cmp_ne_u64_e64 s[54:55], 0, v[6:7]
	s_and_b64 s[54:55], s[54:55], s[52:53]
	v_add_u32_e32 v55, v48, v8
	; wave barrier
	s_and_saveexec_b64 s[52:53], s[54:55]
	s_cbranch_execz .LBB2228_53
; %bb.52:
	v_bcnt_u32_b32 v6, v6, 0
	v_bcnt_u32_b32 v6, v7, v6
	s_waitcnt lgkmcnt(0)
	v_add_u32_e32 v6, v25, v6
	ds_write_b32 v55, v6 offset:64
.LBB2228_53:
	s_or_b64 exec, exec, s[52:53]
	s_xor_b64 s[50:51], s[50:51], -1
	v_cndmask_b32_e64 v83, 0, 1, s[50:51]
	v_lshrrev_b32_e32 v6, s84, v83
	v_and_b32_e32 v6, s91, v6
	s_movk_i32 s54, 0x44
	v_mad_u32_u24 v7, v6, s54, v48
	; wave barrier
	ds_read_b32 v27, v7 offset:64
	v_mov_b32_e32 v7, 0
	v_cmp_ne_u32_e64 s[50:51], 0, v6
	v_lshl_add_u64 v[8:9], v[6:7], 0, -1
	v_mul_u32_u24_e32 v29, 0x44, v6
	v_xor_b32_e32 v8, s50, v8
	v_xor_b32_e32 v6, s51, v9
	v_and_b32_e32 v8, exec_lo, v8
	v_and_b32_e32 v9, exec_hi, v6
	v_mbcnt_lo_u32_b32 v6, v8, 0
	v_mbcnt_hi_u32_b32 v28, v9, v6
	v_cmp_eq_u32_e64 s[50:51], 0, v28
	v_cmp_ne_u64_e64 s[52:53], 0, v[8:9]
	s_and_b64 s[52:53], s[52:53], s[50:51]
	v_add_u32_e32 v56, v48, v29
	; wave barrier
	s_and_saveexec_b64 s[50:51], s[52:53]
	s_cbranch_execz .LBB2228_55
; %bb.54:
	v_bcnt_u32_b32 v6, v8, 0
	v_bcnt_u32_b32 v6, v9, v6
	s_waitcnt lgkmcnt(0)
	v_add_u32_e32 v6, v27, v6
	ds_write_b32 v56, v6 offset:64
.LBB2228_55:
	s_or_b64 exec, exec, s[50:51]
	s_xor_b64 s[48:49], s[48:49], -1
	v_cndmask_b32_e64 v84, 0, 1, s[48:49]
	v_lshrrev_b32_e32 v6, s84, v84
	v_and_b32_e32 v6, s91, v6
	v_mul_u32_u24_e32 v8, 0x44, v6
	v_mad_u32_u24 v9, v6, s54, v48
	v_cmp_ne_u32_e64 s[48:49], 0, v6
	v_lshl_add_u64 v[6:7], v[6:7], 0, -1
	s_nop 0
	v_xor_b32_e32 v6, s48, v6
	; wave barrier
	ds_read_b32 v29, v9 offset:64
	v_xor_b32_e32 v7, s49, v7
	v_and_b32_e32 v6, exec_lo, v6
	v_and_b32_e32 v7, exec_hi, v7
	v_mbcnt_lo_u32_b32 v9, v6, 0
	v_mbcnt_hi_u32_b32 v30, v7, v9
	v_cmp_eq_u32_e64 s[48:49], 0, v30
	v_cmp_ne_u64_e64 s[50:51], 0, v[6:7]
	s_and_b64 s[50:51], s[50:51], s[48:49]
	v_add_u32_e32 v57, v48, v8
	; wave barrier
	s_and_saveexec_b64 s[48:49], s[50:51]
	s_cbranch_execz .LBB2228_57
; %bb.56:
	v_bcnt_u32_b32 v6, v6, 0
	v_bcnt_u32_b32 v6, v7, v6
	s_waitcnt lgkmcnt(0)
	v_add_u32_e32 v6, v29, v6
	ds_write_b32 v57, v6 offset:64
.LBB2228_57:
	s_or_b64 exec, exec, s[48:49]
	s_xor_b64 s[46:47], s[46:47], -1
	v_cndmask_b32_e64 v85, 0, 1, s[46:47]
	v_lshrrev_b32_e32 v6, s84, v85
	v_and_b32_e32 v6, s91, v6
	s_movk_i32 s50, 0x44
	v_mad_u32_u24 v7, v6, s50, v48
	; wave barrier
	ds_read_b32 v31, v7 offset:64
	v_mov_b32_e32 v7, 0
	v_cmp_ne_u32_e64 s[46:47], 0, v6
	v_lshl_add_u64 v[8:9], v[6:7], 0, -1
	v_mul_u32_u24_e32 v33, 0x44, v6
	v_xor_b32_e32 v8, s46, v8
	v_xor_b32_e32 v6, s47, v9
	v_and_b32_e32 v8, exec_lo, v8
	v_and_b32_e32 v9, exec_hi, v6
	v_mbcnt_lo_u32_b32 v6, v8, 0
	v_mbcnt_hi_u32_b32 v32, v9, v6
	v_cmp_eq_u32_e64 s[46:47], 0, v32
	v_cmp_ne_u64_e64 s[48:49], 0, v[8:9]
	s_and_b64 s[48:49], s[48:49], s[46:47]
	v_add_u32_e32 v58, v48, v33
	; wave barrier
	s_and_saveexec_b64 s[46:47], s[48:49]
	s_cbranch_execz .LBB2228_59
; %bb.58:
	v_bcnt_u32_b32 v6, v8, 0
	v_bcnt_u32_b32 v6, v9, v6
	s_waitcnt lgkmcnt(0)
	v_add_u32_e32 v6, v31, v6
	ds_write_b32 v58, v6 offset:64
.LBB2228_59:
	s_or_b64 exec, exec, s[46:47]
	s_xor_b64 s[44:45], s[44:45], -1
	v_cndmask_b32_e64 v86, 0, 1, s[44:45]
	v_lshrrev_b32_e32 v6, s84, v86
	v_and_b32_e32 v6, s91, v6
	v_mul_u32_u24_e32 v8, 0x44, v6
	v_mad_u32_u24 v9, v6, s50, v48
	v_cmp_ne_u32_e64 s[44:45], 0, v6
	v_lshl_add_u64 v[6:7], v[6:7], 0, -1
	s_nop 0
	v_xor_b32_e32 v6, s44, v6
	; wave barrier
	ds_read_b32 v33, v9 offset:64
	v_xor_b32_e32 v7, s45, v7
	v_and_b32_e32 v6, exec_lo, v6
	v_and_b32_e32 v7, exec_hi, v7
	v_mbcnt_lo_u32_b32 v9, v6, 0
	v_mbcnt_hi_u32_b32 v35, v7, v9
	v_cmp_eq_u32_e64 s[44:45], 0, v35
	v_cmp_ne_u64_e64 s[46:47], 0, v[6:7]
	s_and_b64 s[46:47], s[46:47], s[44:45]
	v_add_u32_e32 v59, v48, v8
	; wave barrier
	s_and_saveexec_b64 s[44:45], s[46:47]
	s_cbranch_execz .LBB2228_61
; %bb.60:
	v_bcnt_u32_b32 v6, v6, 0
	v_bcnt_u32_b32 v6, v7, v6
	s_waitcnt lgkmcnt(0)
	v_add_u32_e32 v6, v33, v6
	ds_write_b32 v59, v6 offset:64
.LBB2228_61:
	s_or_b64 exec, exec, s[44:45]
	s_xor_b64 s[42:43], s[42:43], -1
	v_cndmask_b32_e64 v87, 0, 1, s[42:43]
	v_lshrrev_b32_e32 v6, s84, v87
	v_and_b32_e32 v6, s91, v6
	s_movk_i32 s46, 0x44
	v_mad_u32_u24 v7, v6, s46, v48
	; wave barrier
	ds_read_b32 v37, v7 offset:64
	v_mov_b32_e32 v7, 0
	v_cmp_ne_u32_e64 s[42:43], 0, v6
	v_lshl_add_u64 v[8:9], v[6:7], 0, -1
	v_mul_u32_u24_e32 v41, 0x44, v6
	v_xor_b32_e32 v8, s42, v8
	v_xor_b32_e32 v6, s43, v9
	v_and_b32_e32 v8, exec_lo, v8
	v_and_b32_e32 v9, exec_hi, v6
	v_mbcnt_lo_u32_b32 v6, v8, 0
	v_mbcnt_hi_u32_b32 v39, v9, v6
	v_cmp_eq_u32_e64 s[42:43], 0, v39
	v_cmp_ne_u64_e64 s[44:45], 0, v[8:9]
	s_and_b64 s[44:45], s[44:45], s[42:43]
	v_add_u32_e32 v60, v48, v41
	; wave barrier
	s_and_saveexec_b64 s[42:43], s[44:45]
	s_cbranch_execz .LBB2228_63
; %bb.62:
	v_bcnt_u32_b32 v6, v8, 0
	v_bcnt_u32_b32 v6, v9, v6
	s_waitcnt lgkmcnt(0)
	v_add_u32_e32 v6, v37, v6
	ds_write_b32 v60, v6 offset:64
.LBB2228_63:
	s_or_b64 exec, exec, s[42:43]
	s_xor_b64 s[40:41], s[40:41], -1
	v_cndmask_b32_e64 v88, 0, 1, s[40:41]
	v_lshrrev_b32_e32 v6, s84, v88
	v_and_b32_e32 v6, s91, v6
	v_mul_u32_u24_e32 v8, 0x44, v6
	v_mad_u32_u24 v9, v6, s46, v48
	v_cmp_ne_u32_e64 s[40:41], 0, v6
	v_lshl_add_u64 v[6:7], v[6:7], 0, -1
	s_nop 0
	v_xor_b32_e32 v6, s40, v6
	; wave barrier
	ds_read_b32 v41, v9 offset:64
	v_xor_b32_e32 v7, s41, v7
	v_and_b32_e32 v6, exec_lo, v6
	v_and_b32_e32 v7, exec_hi, v7
	v_mbcnt_lo_u32_b32 v9, v6, 0
	v_mbcnt_hi_u32_b32 v42, v7, v9
	v_cmp_eq_u32_e64 s[40:41], 0, v42
	v_cmp_ne_u64_e64 s[42:43], 0, v[6:7]
	s_and_b64 s[42:43], s[42:43], s[40:41]
	v_add_u32_e32 v61, v48, v8
	; wave barrier
	s_and_saveexec_b64 s[40:41], s[42:43]
	s_cbranch_execz .LBB2228_65
; %bb.64:
	v_bcnt_u32_b32 v6, v6, 0
	v_bcnt_u32_b32 v6, v7, v6
	s_waitcnt lgkmcnt(0)
	v_add_u32_e32 v6, v41, v6
	ds_write_b32 v61, v6 offset:64
.LBB2228_65:
	s_or_b64 exec, exec, s[40:41]
	s_xor_b64 s[38:39], s[38:39], -1
	v_cndmask_b32_e64 v89, 0, 1, s[38:39]
	v_lshrrev_b32_e32 v6, s84, v89
	v_and_b32_e32 v6, s91, v6
	s_movk_i32 s42, 0x44
	v_mad_u32_u24 v7, v6, s42, v48
	; wave barrier
	ds_read_b32 v43, v7 offset:64
	v_mov_b32_e32 v7, 0
	v_cmp_ne_u32_e64 s[38:39], 0, v6
	v_lshl_add_u64 v[8:9], v[6:7], 0, -1
	v_mul_u32_u24_e32 v45, 0x44, v6
	v_xor_b32_e32 v8, s38, v8
	v_xor_b32_e32 v6, s39, v9
	v_and_b32_e32 v8, exec_lo, v8
	v_and_b32_e32 v9, exec_hi, v6
	v_mbcnt_lo_u32_b32 v6, v8, 0
	v_mbcnt_hi_u32_b32 v44, v9, v6
	v_cmp_eq_u32_e64 s[38:39], 0, v44
	v_cmp_ne_u64_e64 s[40:41], 0, v[8:9]
	s_and_b64 s[40:41], s[40:41], s[38:39]
	v_add_u32_e32 v62, v48, v45
	; wave barrier
	s_and_saveexec_b64 s[38:39], s[40:41]
	s_cbranch_execz .LBB2228_67
; %bb.66:
	v_bcnt_u32_b32 v6, v8, 0
	v_bcnt_u32_b32 v6, v9, v6
	s_waitcnt lgkmcnt(0)
	v_add_u32_e32 v6, v43, v6
	ds_write_b32 v62, v6 offset:64
.LBB2228_67:
	s_or_b64 exec, exec, s[38:39]
	s_xor_b64 s[36:37], s[36:37], -1
	v_cndmask_b32_e64 v90, 0, 1, s[36:37]
	v_lshrrev_b32_e32 v6, s84, v90
	v_and_b32_e32 v6, s91, v6
	v_mul_u32_u24_e32 v8, 0x44, v6
	v_mad_u32_u24 v9, v6, s42, v48
	v_cmp_ne_u32_e64 s[36:37], 0, v6
	v_lshl_add_u64 v[6:7], v[6:7], 0, -1
	s_nop 0
	v_xor_b32_e32 v6, s36, v6
	; wave barrier
	ds_read_b32 v45, v9 offset:64
	v_xor_b32_e32 v7, s37, v7
	v_and_b32_e32 v6, exec_lo, v6
	v_and_b32_e32 v7, exec_hi, v7
	v_mbcnt_lo_u32_b32 v9, v6, 0
	v_mbcnt_hi_u32_b32 v46, v7, v9
	v_cmp_eq_u32_e64 s[36:37], 0, v46
	v_cmp_ne_u64_e64 s[38:39], 0, v[6:7]
	s_and_b64 s[38:39], s[38:39], s[36:37]
	v_add_u32_e32 v63, v48, v8
	; wave barrier
	s_and_saveexec_b64 s[36:37], s[38:39]
	s_cbranch_execz .LBB2228_69
; %bb.68:
	v_bcnt_u32_b32 v6, v6, 0
	v_bcnt_u32_b32 v6, v7, v6
	s_waitcnt lgkmcnt(0)
	v_add_u32_e32 v6, v45, v6
	ds_write_b32 v63, v6 offset:64
.LBB2228_69:
	s_or_b64 exec, exec, s[36:37]
	; wave barrier
	s_waitcnt lgkmcnt(0)
	s_barrier
	ds_read2_b32 v[8:9], v11 offset0:16 offset1:17
	ds_read2_b32 v[6:7], v11 offset0:18 offset1:19
	ds_read_b32 v48, v11 offset:80
	v_cmp_lt_u32_e64 s[44:45], 31, v10
	s_waitcnt lgkmcnt(1)
	v_add3_u32 v65, v9, v8, v6
	s_waitcnt lgkmcnt(0)
	v_add3_u32 v48, v65, v7, v48
	v_and_b32_e32 v65, 15, v10
	v_cmp_eq_u32_e64 s[36:37], 0, v65
	v_mov_b32_dpp v66, v48 row_shr:1 row_mask:0xf bank_mask:0xf
	v_cmp_lt_u32_e64 s[38:39], 1, v65
	v_cndmask_b32_e64 v66, v66, 0, s[36:37]
	v_add_u32_e32 v48, v66, v48
	v_cmp_lt_u32_e64 s[40:41], 3, v65
	v_cmp_lt_u32_e64 s[42:43], 7, v65
	v_mov_b32_dpp v66, v48 row_shr:2 row_mask:0xf bank_mask:0xf
	v_cndmask_b32_e64 v66, 0, v66, s[38:39]
	v_add_u32_e32 v48, v48, v66
	s_nop 1
	v_mov_b32_dpp v66, v48 row_shr:4 row_mask:0xf bank_mask:0xf
	v_cndmask_b32_e64 v66, 0, v66, s[40:41]
	v_add_u32_e32 v48, v48, v66
	s_nop 1
	v_mov_b32_dpp v66, v48 row_shr:8 row_mask:0xf bank_mask:0xf
	v_cndmask_b32_e64 v65, 0, v66, s[42:43]
	v_add_u32_e32 v48, v48, v65
	v_bfe_i32 v66, v10, 4, 1
	s_nop 0
	v_mov_b32_dpp v65, v48 row_bcast:15 row_mask:0xf bank_mask:0xf
	v_and_b32_e32 v65, v66, v65
	v_add_u32_e32 v48, v48, v65
	v_and_b32_e32 v66, 63, v16
	s_nop 0
	v_mov_b32_dpp v65, v48 row_bcast:31 row_mask:0xf bank_mask:0xf
	v_cndmask_b32_e64 v65, 0, v65, s[44:45]
	v_add_u32_e32 v48, v48, v65
	v_lshrrev_b32_e32 v65, 6, v16
	v_cmp_eq_u32_e64 s[44:45], 63, v66
	s_and_saveexec_b64 s[46:47], s[44:45]
; %bb.70:
	v_lshlrev_b32_e32 v66, 2, v65
	ds_write_b32 v66, v48
; %bb.71:
	s_or_b64 exec, exec, s[46:47]
	v_cmp_gt_u32_e64 s[44:45], 16, v16
	s_waitcnt lgkmcnt(0)
	s_barrier
	s_and_saveexec_b64 s[46:47], s[44:45]
	s_cbranch_execz .LBB2228_73
; %bb.72:
	v_lshlrev_b32_e32 v66, 2, v16
	ds_read_b32 v67, v66
	s_waitcnt lgkmcnt(0)
	s_nop 0
	v_mov_b32_dpp v68, v67 row_shr:1 row_mask:0xf bank_mask:0xf
	v_cndmask_b32_e64 v68, v68, 0, s[36:37]
	v_add_u32_e32 v67, v68, v67
	s_nop 1
	v_mov_b32_dpp v68, v67 row_shr:2 row_mask:0xf bank_mask:0xf
	v_cndmask_b32_e64 v68, 0, v68, s[38:39]
	v_add_u32_e32 v67, v67, v68
	;; [unrolled: 4-line block ×4, first 2 shown]
	ds_write_b32 v66, v67
.LBB2228_73:
	s_or_b64 exec, exec, s[46:47]
	v_cmp_lt_u32_e64 s[36:37], 63, v16
	v_mov_b32_e32 v66, 0
	s_waitcnt lgkmcnt(0)
	s_barrier
	s_and_saveexec_b64 s[38:39], s[36:37]
; %bb.74:
	v_lshl_add_u32 v65, v65, 2, -4
	ds_read_b32 v66, v65
; %bb.75:
	s_or_b64 exec, exec, s[38:39]
	v_subrev_co_u32_e64 v65, s[36:37], 1, v10
	v_and_b32_e32 v67, 64, v10
	v_cmp_lt_i32_e64 s[38:39], v65, v67
	s_waitcnt lgkmcnt(0)
	v_add_u32_e32 v48, v66, v48
	s_movk_i32 s40, 0x100
	v_cndmask_b32_e64 v10, v65, v10, s[38:39]
	v_lshlrev_b32_e32 v10, 2, v10
	ds_bpermute_b32 v10, v10, v48
	v_cmp_gt_u32_e64 s[38:39], s40, v16
	s_waitcnt lgkmcnt(0)
	v_cndmask_b32_e64 v10, v10, v66, s[36:37]
	v_cndmask_b32_e64 v10, v10, 0, s[66:67]
	v_add_u32_e32 v8, v10, v8
	v_add_u32_e32 v9, v8, v9
	;; [unrolled: 1-line block ×4, first 2 shown]
	ds_write2_b32 v11, v10, v8 offset0:16 offset1:17
	ds_write2_b32 v11, v9, v6 offset0:18 offset1:19
	ds_write_b32 v11, v7 offset:80
	s_waitcnt lgkmcnt(0)
	s_barrier
	ds_read_b32 v6, v34 offset:64
	ds_read_b32 v48, v36 offset:64
	;; [unrolled: 1-line block ×16, first 2 shown]
	s_movk_i32 s36, 0xff
	v_cmp_lt_u32_e64 s[36:37], s36, v16
                                        ; implicit-def: $vgpr34
                                        ; implicit-def: $vgpr36
	s_and_saveexec_b64 s[42:43], s[38:39]
	s_cbranch_execz .LBB2228_79
; %bb.76:
	v_mul_u32_u24_e32 v7, 0x44, v16
	ds_read_b32 v34, v7 offset:64
	v_add_u32_e32 v8, 1, v16
	v_cmp_ne_u32_e64 s[40:41], s40, v8
	v_mov_b32_e32 v7, 0x4000
	s_and_saveexec_b64 s[44:45], s[40:41]
; %bb.77:
	v_mul_u32_u24_e32 v7, 0x44, v8
	ds_read_b32 v7, v7 offset:64
; %bb.78:
	s_or_b64 exec, exec, s[44:45]
	s_waitcnt lgkmcnt(0)
	v_sub_u32_e32 v36, v7, v34
.LBB2228_79:
	s_or_b64 exec, exec, s[42:43]
	s_waitcnt lgkmcnt(14)
	v_add_u32_e32 v38, v6, v38
	v_add3_u32 v65, v13, v5, v48
	s_waitcnt lgkmcnt(13)
	v_add3_u32 v66, v15, v14, v49
	s_waitcnt lgkmcnt(12)
	;; [unrolled: 2-line block ×14, first 2 shown]
	v_add3_u32 v79, v46, v45, v63
	s_barrier
	ds_write_b8 v38, v3 offset:1024
	ds_write_b8 v65, v40 offset:1024
	;; [unrolled: 1-line block ×16, first 2 shown]
	v_mov_b32_e32 v7, 0
	v_lshlrev_b32_e32 v40, 2, v16
	s_and_saveexec_b64 s[40:41], s[38:39]
	s_cbranch_execz .LBB2228_89
; %bb.80:
	v_lshl_add_u32 v6, s33, 8, v16
	v_lshl_add_u64 v[8:9], v[6:7], 2, s[88:89]
	v_or_b32_e32 v3, 2.0, v36
	global_store_dword v[8:9], v3, off sc1
	s_mov_b64 s[42:43], 0
	s_brev_b32 s48, -4
	s_mov_b32 s49, s33
	v_mov_b32_e32 v3, 0
                                        ; implicit-def: $sgpr38_sgpr39
	s_branch .LBB2228_83
.LBB2228_81:                            ;   in Loop: Header=BB2228_83 Depth=1
	s_or_b64 exec, exec, s[46:47]
.LBB2228_82:                            ;   in Loop: Header=BB2228_83 Depth=1
	s_or_b64 exec, exec, s[44:45]
	v_and_b32_e32 v10, 0x3fffffff, v6
	v_add_u32_e32 v3, v10, v3
	v_cmp_gt_i32_e64 s[38:39], -2.0, v6
	s_and_b64 s[44:45], exec, s[38:39]
	s_or_b64 s[42:43], s[44:45], s[42:43]
	s_andn2_b64 exec, exec, s[42:43]
	s_cbranch_execz .LBB2228_88
.LBB2228_83:                            ; =>This Loop Header: Depth=1
                                        ;     Child Loop BB2228_86 Depth 2
	s_or_b64 s[38:39], s[38:39], exec
	s_cmp_eq_u32 s49, 0
	s_cbranch_scc1 .LBB2228_87
; %bb.84:                               ;   in Loop: Header=BB2228_83 Depth=1
	s_add_i32 s49, s49, -1
	v_lshl_or_b32 v6, s49, 8, v16
	v_lshl_add_u64 v[10:11], v[6:7], 2, s[88:89]
	global_load_dword v6, v[10:11], off sc1
	s_waitcnt vmcnt(0)
	v_cmp_gt_u32_e64 s[38:39], 2.0, v6
	s_and_saveexec_b64 s[44:45], s[38:39]
	s_cbranch_execz .LBB2228_82
; %bb.85:                               ;   in Loop: Header=BB2228_83 Depth=1
	s_mov_b64 s[46:47], 0
.LBB2228_86:                            ;   Parent Loop BB2228_83 Depth=1
                                        ; =>  This Inner Loop Header: Depth=2
	global_load_dword v6, v[10:11], off sc1
	s_waitcnt vmcnt(0)
	v_cmp_lt_u32_e64 s[38:39], s48, v6
	s_or_b64 s[46:47], s[38:39], s[46:47]
	s_andn2_b64 exec, exec, s[46:47]
	s_cbranch_execnz .LBB2228_86
	s_branch .LBB2228_81
.LBB2228_87:                            ;   in Loop: Header=BB2228_83 Depth=1
                                        ; implicit-def: $sgpr49
	s_and_b64 s[44:45], exec, s[38:39]
	s_or_b64 s[42:43], s[44:45], s[42:43]
	s_andn2_b64 exec, exec, s[42:43]
	s_cbranch_execnz .LBB2228_83
.LBB2228_88:
	s_or_b64 exec, exec, s[42:43]
	v_add_u32_e32 v6, v3, v36
	v_or_b32_e32 v6, 0x80000000, v6
	global_store_dword v[8:9], v6, off sc1
	global_load_dword v6, v40, s[80:81]
	v_sub_u32_e32 v3, v3, v34
	s_waitcnt vmcnt(0)
	v_add_u32_e32 v3, v3, v6
	ds_write_b32 v40, v3
.LBB2228_89:
	s_or_b64 exec, exec, s[40:41]
	v_cmp_gt_u32_e64 s[38:39], s3, v16
	s_waitcnt lgkmcnt(0)
	s_barrier
	s_and_saveexec_b64 s[40:41], s[38:39]
	s_cbranch_execz .LBB2228_91
; %bb.90:
	ds_read_u8 v3, v16 offset:1024
	s_waitcnt lgkmcnt(0)
	v_and_b32_e32 v6, 1, v3
	v_lshrrev_b32_e32 v6, s84, v6
	v_and_b32_e32 v6, s91, v6
	v_lshlrev_b32_e32 v7, 2, v6
	ds_read_b32 v7, v7
	v_xor_b32_e32 v3, 1, v3
	s_waitcnt lgkmcnt(0)
	v_add_u32_e32 v7, v7, v16
	global_store_byte v7, v3, s[74:75]
	scratch_store_dword off, v6, off
.LBB2228_91:
	s_or_b64 exec, exec, s[40:41]
	v_or_b32_e32 v3, 0x400, v16
	v_cmp_gt_u32_e64 s[38:39], s3, v3
	s_and_saveexec_b64 s[40:41], s[38:39]
	s_cbranch_execz .LBB2228_93
; %bb.92:
	ds_read_u8 v6, v16 offset:2048
	s_waitcnt lgkmcnt(0)
	v_and_b32_e32 v7, 1, v6
	v_lshrrev_b32_e32 v7, s84, v7
	v_and_b32_e32 v7, s91, v7
	v_lshlrev_b32_e32 v8, 2, v7
	ds_read_b32 v8, v8
	v_xor_b32_e32 v6, 1, v6
	s_waitcnt lgkmcnt(0)
	v_add_u32_e32 v3, v8, v3
	global_store_byte v3, v6, s[74:75]
	scratch_store_dword off, v7, off offset:4
.LBB2228_93:
	s_or_b64 exec, exec, s[40:41]
	v_or_b32_e32 v3, 0x800, v16
	v_cmp_gt_u32_e64 s[38:39], s3, v3
	s_and_saveexec_b64 s[40:41], s[38:39]
	s_cbranch_execz .LBB2228_95
; %bb.94:
	ds_read_u8 v6, v16 offset:3072
	s_waitcnt lgkmcnt(0)
	v_and_b32_e32 v7, 1, v6
	v_lshrrev_b32_e32 v7, s84, v7
	v_and_b32_e32 v7, s91, v7
	v_lshlrev_b32_e32 v8, 2, v7
	ds_read_b32 v8, v8
	v_xor_b32_e32 v6, 1, v6
	s_waitcnt lgkmcnt(0)
	v_add_u32_e32 v3, v8, v3
	global_store_byte v3, v6, s[74:75]
	scratch_store_dword off, v7, off offset:8
.LBB2228_95:
	;; [unrolled: 19-line block ×15, first 2 shown]
	s_or_b64 exec, exec, s[40:41]
	s_lshl_b64 s[38:39], s[86:87], 2
	s_add_u32 s38, s76, s38
	s_addc_u32 s39, s77, s39
	v_lshlrev_b32_e32 v2, 2, v2
	v_mov_b32_e32 v3, 0
	v_lshl_add_u64 v[6:7], s[38:39], 0, v[2:3]
	v_lshlrev_b32_e32 v2, 2, v4
	v_lshl_add_u64 v[2:3], v[6:7], 0, v[2:3]
                                        ; implicit-def: $vgpr4
	s_and_saveexec_b64 s[38:39], vcc
	s_xor_b64 s[38:39], exec, s[38:39]
	s_cbranch_execz .LBB2228_137
; %bb.122:
	global_load_dword v4, v[2:3], off
	s_or_b64 exec, exec, s[38:39]
                                        ; implicit-def: $vgpr6
	s_and_saveexec_b64 s[38:39], s[4:5]
	s_cbranch_execnz .LBB2228_138
.LBB2228_123:
	s_or_b64 exec, exec, s[38:39]
                                        ; implicit-def: $vgpr7
	s_and_saveexec_b64 s[4:5], s[6:7]
	s_cbranch_execz .LBB2228_139
.LBB2228_124:
	global_load_dword v7, v[2:3], off offset:512
	s_or_b64 exec, exec, s[4:5]
                                        ; implicit-def: $vgpr8
	s_and_saveexec_b64 s[4:5], s[8:9]
	s_cbranch_execnz .LBB2228_140
.LBB2228_125:
	s_or_b64 exec, exec, s[4:5]
                                        ; implicit-def: $vgpr9
	s_and_saveexec_b64 s[4:5], s[10:11]
	s_cbranch_execz .LBB2228_141
.LBB2228_126:
	global_load_dword v9, v[2:3], off offset:1024
	s_or_b64 exec, exec, s[4:5]
                                        ; implicit-def: $vgpr10
	s_and_saveexec_b64 s[4:5], s[12:13]
	s_cbranch_execnz .LBB2228_142
.LBB2228_127:
	s_or_b64 exec, exec, s[4:5]
                                        ; implicit-def: $vgpr11
	s_and_saveexec_b64 s[4:5], s[14:15]
	s_cbranch_execz .LBB2228_143
.LBB2228_128:
	global_load_dword v11, v[2:3], off offset:1536
	s_or_b64 exec, exec, s[4:5]
                                        ; implicit-def: $vgpr47
	s_and_saveexec_b64 s[4:5], s[16:17]
	s_cbranch_execnz .LBB2228_144
.LBB2228_129:
	s_or_b64 exec, exec, s[4:5]
                                        ; implicit-def: $vgpr54
	s_and_saveexec_b64 s[4:5], s[18:19]
	s_cbranch_execz .LBB2228_145
.LBB2228_130:
	global_load_dword v54, v[2:3], off offset:2048
	s_or_b64 exec, exec, s[4:5]
                                        ; implicit-def: $vgpr64
	s_and_saveexec_b64 s[4:5], s[20:21]
	s_cbranch_execnz .LBB2228_146
.LBB2228_131:
	s_or_b64 exec, exec, s[4:5]
                                        ; implicit-def: $vgpr80
	s_and_saveexec_b64 s[4:5], s[22:23]
	s_cbranch_execz .LBB2228_147
.LBB2228_132:
	global_load_dword v80, v[2:3], off offset:2560
	s_or_b64 exec, exec, s[4:5]
                                        ; implicit-def: $vgpr81
	s_and_saveexec_b64 s[4:5], s[24:25]
	s_cbranch_execnz .LBB2228_148
.LBB2228_133:
	s_or_b64 exec, exec, s[4:5]
                                        ; implicit-def: $vgpr82
	s_and_saveexec_b64 s[4:5], s[26:27]
	s_cbranch_execz .LBB2228_149
.LBB2228_134:
	global_load_dword v82, v[2:3], off offset:3072
	s_or_b64 exec, exec, s[4:5]
                                        ; implicit-def: $vgpr83
	s_and_saveexec_b64 s[4:5], s[28:29]
	s_cbranch_execnz .LBB2228_150
.LBB2228_135:
	s_or_b64 exec, exec, s[4:5]
                                        ; implicit-def: $vgpr84
	s_and_saveexec_b64 s[4:5], s[30:31]
	s_cbranch_execz .LBB2228_151
.LBB2228_136:
	global_load_dword v84, v[2:3], off offset:3584
	s_or_b64 exec, exec, s[4:5]
                                        ; implicit-def: $vgpr85
	s_and_saveexec_b64 s[4:5], s[34:35]
	s_cbranch_execnz .LBB2228_152
	s_branch .LBB2228_153
.LBB2228_137:
	s_or_b64 exec, exec, s[38:39]
                                        ; implicit-def: $vgpr6
	s_and_saveexec_b64 s[38:39], s[4:5]
	s_cbranch_execz .LBB2228_123
.LBB2228_138:
	global_load_dword v6, v[2:3], off offset:256
	s_or_b64 exec, exec, s[38:39]
                                        ; implicit-def: $vgpr7
	s_and_saveexec_b64 s[4:5], s[6:7]
	s_cbranch_execnz .LBB2228_124
.LBB2228_139:
	s_or_b64 exec, exec, s[4:5]
                                        ; implicit-def: $vgpr8
	s_and_saveexec_b64 s[4:5], s[8:9]
	s_cbranch_execz .LBB2228_125
.LBB2228_140:
	global_load_dword v8, v[2:3], off offset:768
	s_or_b64 exec, exec, s[4:5]
                                        ; implicit-def: $vgpr9
	s_and_saveexec_b64 s[4:5], s[10:11]
	s_cbranch_execnz .LBB2228_126
.LBB2228_141:
	s_or_b64 exec, exec, s[4:5]
                                        ; implicit-def: $vgpr10
	s_and_saveexec_b64 s[4:5], s[12:13]
	s_cbranch_execz .LBB2228_127
.LBB2228_142:
	global_load_dword v10, v[2:3], off offset:1280
	s_or_b64 exec, exec, s[4:5]
                                        ; implicit-def: $vgpr11
	s_and_saveexec_b64 s[4:5], s[14:15]
	s_cbranch_execnz .LBB2228_128
.LBB2228_143:
	s_or_b64 exec, exec, s[4:5]
                                        ; implicit-def: $vgpr47
	s_and_saveexec_b64 s[4:5], s[16:17]
	s_cbranch_execz .LBB2228_129
.LBB2228_144:
	global_load_dword v47, v[2:3], off offset:1792
	s_or_b64 exec, exec, s[4:5]
                                        ; implicit-def: $vgpr54
	s_and_saveexec_b64 s[4:5], s[18:19]
	s_cbranch_execnz .LBB2228_130
.LBB2228_145:
	s_or_b64 exec, exec, s[4:5]
                                        ; implicit-def: $vgpr64
	s_and_saveexec_b64 s[4:5], s[20:21]
	s_cbranch_execz .LBB2228_131
.LBB2228_146:
	global_load_dword v64, v[2:3], off offset:2304
	s_or_b64 exec, exec, s[4:5]
                                        ; implicit-def: $vgpr80
	s_and_saveexec_b64 s[4:5], s[22:23]
	s_cbranch_execnz .LBB2228_132
.LBB2228_147:
	s_or_b64 exec, exec, s[4:5]
                                        ; implicit-def: $vgpr81
	s_and_saveexec_b64 s[4:5], s[24:25]
	s_cbranch_execz .LBB2228_133
.LBB2228_148:
	global_load_dword v81, v[2:3], off offset:2816
	s_or_b64 exec, exec, s[4:5]
                                        ; implicit-def: $vgpr82
	s_and_saveexec_b64 s[4:5], s[26:27]
	s_cbranch_execnz .LBB2228_134
.LBB2228_149:
	s_or_b64 exec, exec, s[4:5]
                                        ; implicit-def: $vgpr83
	s_and_saveexec_b64 s[4:5], s[28:29]
	s_cbranch_execz .LBB2228_135
.LBB2228_150:
	global_load_dword v83, v[2:3], off offset:3328
	s_or_b64 exec, exec, s[4:5]
                                        ; implicit-def: $vgpr84
	s_and_saveexec_b64 s[4:5], s[30:31]
	s_cbranch_execnz .LBB2228_136
.LBB2228_151:
	s_or_b64 exec, exec, s[4:5]
                                        ; implicit-def: $vgpr85
	s_and_saveexec_b64 s[4:5], s[34:35]
	s_cbranch_execz .LBB2228_153
.LBB2228_152:
	global_load_dword v85, v[2:3], off offset:3840
.LBB2228_153:
	s_or_b64 exec, exec, s[4:5]
	v_mov_b32_e32 v2, 0x400
	s_movk_i32 s6, 0x400
	v_lshl_add_u32 v79, v79, 2, v2
	v_add3_u32 v45, v46, v63, v45
	v_lshl_add_u32 v46, v78, 2, v2
	v_add3_u32 v43, v44, v62, v43
	;; [unrolled: 2-line block ×15, first 2 shown]
	v_lshl_add_u32 v13, v38, 2, v2
	s_mov_b32 s7, 0
	s_mov_b32 s8, 0
	s_movk_i32 s9, 0x1000
	v_mov_b32_e32 v3, 0
	s_movk_i32 s10, 0x800
	s_movk_i32 s11, 0xc00
	s_mov_b32 s12, 0
	v_mov_b32_e32 v48, v16
	s_barrier
	s_branch .LBB2228_155
.LBB2228_154:                           ;   in Loop: Header=BB2228_155 Depth=1
	s_or_b64 exec, exec, s[4:5]
	s_addk_i32 s12, 0xc000
	s_addk_i32 s8, 0xf000
	s_add_i32 s7, s7, 16
	s_cmp_eq_u32 s12, 0xffff0000
	v_add_u32_e32 v48, 0x1000, v48
	s_barrier
	s_cbranch_scc1 .LBB2228_195
.LBB2228_155:                           ; =>This Inner Loop Header: Depth=1
	v_add_u32_e32 v2, s8, v38
	v_cmp_gt_u32_e32 vcc, s9, v2
	s_and_saveexec_b64 s[4:5], vcc
	s_cbranch_execz .LBB2228_157
; %bb.156:                              ;   in Loop: Header=BB2228_155 Depth=1
	v_add_u32_e32 v2, s12, v13
	s_waitcnt vmcnt(0)
	ds_write_b32 v2, v4
.LBB2228_157:                           ;   in Loop: Header=BB2228_155 Depth=1
	s_or_b64 exec, exec, s[4:5]
	v_add_u32_e32 v2, s8, v5
	v_cmp_gt_u32_e32 vcc, s9, v2
	s_and_saveexec_b64 s[4:5], vcc
	s_cbranch_execz .LBB2228_159
; %bb.158:                              ;   in Loop: Header=BB2228_155 Depth=1
	v_add_u32_e32 v2, s12, v15
	s_waitcnt vmcnt(0)
	ds_write_b32 v2, v6
.LBB2228_159:                           ;   in Loop: Header=BB2228_155 Depth=1
	s_or_b64 exec, exec, s[4:5]
	;; [unrolled: 10-line block ×16, first 2 shown]
	v_cmp_gt_u32_e32 vcc, s3, v48
	s_waitcnt lgkmcnt(0)
	s_barrier
	s_and_saveexec_b64 s[4:5], vcc
	s_cbranch_execz .LBB2228_189
; %bb.188:                              ;   in Loop: Header=BB2228_155 Depth=1
	scratch_load_dword v2, off, s7
	s_waitcnt vmcnt(0)
	v_lshlrev_b32_e32 v2, 2, v2
	ds_read_b32 v2, v2
	ds_read_b32 v49, v40 offset:1024
	s_waitcnt lgkmcnt(1)
	v_add_u32_e32 v2, v48, v2
	v_lshl_add_u64 v[50:51], v[2:3], 2, s[78:79]
	s_waitcnt lgkmcnt(0)
	global_store_dword v[50:51], v49, off
.LBB2228_189:                           ;   in Loop: Header=BB2228_155 Depth=1
	s_or_b64 exec, exec, s[4:5]
	v_add_u32_e32 v2, 0x400, v48
	v_cmp_gt_u32_e32 vcc, s3, v2
	s_and_saveexec_b64 s[4:5], vcc
	s_cbranch_execz .LBB2228_191
; %bb.190:                              ;   in Loop: Header=BB2228_155 Depth=1
	s_add_i32 s13, s7, 4
	scratch_load_dword v2, off, s13
	s_waitcnt vmcnt(0)
	v_lshlrev_b32_e32 v2, 2, v2
	ds_read_b32 v2, v2
	ds_read_b32 v49, v40 offset:5120
	s_waitcnt lgkmcnt(1)
	v_add3_u32 v2, v48, v2, s6
	v_lshl_add_u64 v[50:51], v[2:3], 2, s[78:79]
	s_waitcnt lgkmcnt(0)
	global_store_dword v[50:51], v49, off
.LBB2228_191:                           ;   in Loop: Header=BB2228_155 Depth=1
	s_or_b64 exec, exec, s[4:5]
	v_add_u32_e32 v2, 0x800, v48
	v_cmp_gt_u32_e32 vcc, s3, v2
	s_and_saveexec_b64 s[4:5], vcc
	s_cbranch_execz .LBB2228_193
; %bb.192:                              ;   in Loop: Header=BB2228_155 Depth=1
	s_add_i32 s13, s7, 8
	scratch_load_dword v2, off, s13
	s_waitcnt vmcnt(0)
	v_lshlrev_b32_e32 v2, 2, v2
	ds_read_b32 v2, v2
	ds_read_b32 v49, v40 offset:9216
	s_waitcnt lgkmcnt(1)
	v_add3_u32 v2, v48, v2, s10
	v_lshl_add_u64 v[50:51], v[2:3], 2, s[78:79]
	s_waitcnt lgkmcnt(0)
	global_store_dword v[50:51], v49, off
.LBB2228_193:                           ;   in Loop: Header=BB2228_155 Depth=1
	s_or_b64 exec, exec, s[4:5]
	v_add_u32_e32 v2, 0xc00, v48
	v_cmp_gt_u32_e32 vcc, s3, v2
	s_and_saveexec_b64 s[4:5], vcc
	s_cbranch_execz .LBB2228_154
; %bb.194:                              ;   in Loop: Header=BB2228_155 Depth=1
	s_add_i32 s13, s7, 12
	scratch_load_dword v2, off, s13
	s_waitcnt vmcnt(0)
	v_lshlrev_b32_e32 v2, 2, v2
	ds_read_b32 v2, v2
	ds_read_b32 v49, v40 offset:13312
	s_waitcnt lgkmcnt(1)
	v_add3_u32 v2, v48, v2, s11
	v_lshl_add_u64 v[50:51], v[2:3], 2, s[78:79]
	s_waitcnt lgkmcnt(0)
	global_store_dword v[50:51], v49, off
	s_branch .LBB2228_154
.LBB2228_195:
	s_add_i32 s90, s90, -1
	s_cmp_eq_u32 s33, s90
	s_cselect_b64 s[4:5], -1, 0
	s_xor_b64 s[6:7], s[36:37], -1
	s_and_b64 s[6:7], s[6:7], s[4:5]
	s_and_saveexec_b64 s[4:5], s[6:7]
	s_cbranch_execz .LBB2228_197
; %bb.196:
	ds_read_b32 v2, v40
	s_waitcnt lgkmcnt(0)
	v_add3_u32 v2, v34, v36, v2
	global_store_dword v40, v2, s[82:83]
.LBB2228_197:
	s_or_b64 exec, exec, s[4:5]
	s_mov_b64 s[4:5], 0
.LBB2228_198:
	s_and_b64 vcc, exec, s[4:5]
	s_cbranch_vccz .LBB2228_287
; %bb.199:
	s_lshl_b32 s8, s33, 14
	s_add_u32 s4, s72, s8
	v_mbcnt_hi_u32_b32 v5, -1, v12
	s_addc_u32 s5, s73, 0
	v_and_b32_e32 v20, 63, v5
	v_mov_b32_e32 v21, 0
	v_and_b32_e32 v18, 0x3c00, v1
	v_lshl_add_u64 v[2:3], s[4:5], 0, v[20:21]
	v_mov_b32_e32 v19, v21
	s_waitcnt vmcnt(0)
	v_lshl_add_u64 v[6:7], v[2:3], 0, v[18:19]
	global_load_ubyte v1, v[6:7], off
	s_load_dword s12, s[0:1], 0x58
	s_load_dword s3, s[0:1], 0x64
	global_load_ubyte v3, v[6:7], off offset:64
	global_load_ubyte v2, v[6:7], off offset:128
	;; [unrolled: 1-line block ×7, first 2 shown]
	v_mov_b32_e32 v11, v21
	s_mov_b32 s9, 0
	v_mul_u32_u24_e32 v8, 20, v16
	s_waitcnt vmcnt(7)
	v_and_b32_e32 v1, 1, v1
	v_cmp_eq_u32_e32 vcc, 1, v1
	s_xor_b64 s[4:5], vcc, -1
	s_add_u32 s0, s0, 0x58
	s_addc_u32 s1, s1, 0
	s_waitcnt lgkmcnt(0)
	s_lshr_b32 s3, s3, 16
	s_cmp_lt_u32 s2, s12
	s_cselect_b32 s2, 12, 18
	s_add_u32 s0, s0, s2
	s_addc_u32 s1, s1, 0
	global_load_ushort v9, v21, s[0:1]
	global_load_ubyte v34, v[6:7], off offset:512
	global_load_ubyte v36, v[6:7], off offset:576
	;; [unrolled: 1-line block ×8, first 2 shown]
	v_cndmask_b32_e64 v4, 0, 1, s[4:5]
	v_lshrrev_b32_e32 v6, s84, v4
	s_lshl_b32 s0, -1, s85
	v_bfe_u32 v1, v0, 10, 10
	v_bfe_u32 v0, v0, 20, 10
	v_bitop3_b32 v10, v6, s0, v6 bitop3:0x30
	v_mad_u32_u24 v7, v0, s3, v1
	v_cmp_ne_u32_e32 vcc, 0, v10
	v_lshl_add_u64 v[0:1], v[10:11], 0, -1
	s_movk_i32 s2, 0x44
	v_xor_b32_e32 v0, vcc_lo, v0
	v_xor_b32_e32 v1, vcc_hi, v1
	v_and_b32_e32 v0, exec_lo, v0
	v_and_b32_e32 v1, exec_hi, v1
	v_mbcnt_lo_u32_b32 v6, v0, 0
	v_mbcnt_hi_u32_b32 v6, v1, v6
	s_not_b32 s13, s0
	v_cmp_ne_u64_e32 vcc, 0, v[0:1]
	v_cmp_eq_u32_e64 s[0:1], 0, v6
	ds_write2_b32 v8, v21, v21 offset0:16 offset1:17
	ds_write2_b32 v8, v21, v21 offset0:18 offset1:19
	ds_write_b32 v8, v21 offset:80
	s_waitcnt lgkmcnt(0)
	s_barrier
	s_waitcnt vmcnt(8)
	; wave barrier
	v_mad_u64_u32 v[22:23], s[4:5], v7, v9, v[16:17]
	v_lshrrev_b32_e32 v7, 6, v22
	v_lshlrev_b32_e32 v44, 2, v7
	v_mad_u32_u24 v10, v10, s2, v44
	s_and_b64 s[4:5], vcc, s[0:1]
	s_and_saveexec_b64 s[0:1], s[4:5]
; %bb.200:
	v_bcnt_u32_b32 v0, v0, 0
	v_bcnt_u32_b32 v0, v1, v0
	ds_write_b32 v10, v0 offset:64
; %bb.201:
	s_or_b64 exec, exec, s[0:1]
	v_and_b32_e32 v0, 1, v3
	v_cmp_eq_u32_e32 vcc, 1, v0
	s_xor_b64 s[0:1], vcc, -1
	v_cndmask_b32_e64 v7, 0, 1, s[0:1]
	v_lshrrev_b32_e32 v0, s84, v7
	v_and_b32_e32 v0, s13, v0
	v_mov_b32_e32 v1, v21
	v_mad_u32_u24 v11, v0, s2, v44
	v_cmp_ne_u32_e32 vcc, 0, v0
	v_lshl_add_u64 v[0:1], v[0:1], 0, -1
	s_nop 0
	v_xor_b32_e32 v0, vcc_lo, v0
	; wave barrier
	ds_read_b32 v17, v11 offset:64
	v_xor_b32_e32 v1, vcc_hi, v1
	v_and_b32_e32 v0, exec_lo, v0
	v_and_b32_e32 v1, exec_hi, v1
	v_mbcnt_lo_u32_b32 v3, v0, 0
	v_mbcnt_hi_u32_b32 v19, v1, v3
	v_cmp_eq_u32_e32 vcc, 0, v19
	v_cmp_ne_u64_e64 s[0:1], 0, v[0:1]
	s_and_b64 s[2:3], s[0:1], vcc
	; wave barrier
	s_and_saveexec_b64 s[0:1], s[2:3]
	s_cbranch_execz .LBB2228_203
; %bb.202:
	v_bcnt_u32_b32 v0, v0, 0
	v_bcnt_u32_b32 v0, v1, v0
	s_waitcnt lgkmcnt(0)
	v_add_u32_e32 v0, v17, v0
	ds_write_b32 v11, v0 offset:64
.LBB2228_203:
	s_or_b64 exec, exec, s[0:1]
	v_and_b32_e32 v0, 1, v2
	v_cmp_eq_u32_e32 vcc, 1, v0
	s_xor_b64 s[0:1], vcc, -1
	v_cndmask_b32_e64 v9, 0, 1, s[0:1]
	v_lshrrev_b32_e32 v0, s84, v9
	v_and_b32_e32 v0, s13, v0
	v_mov_b32_e32 v1, 0
	s_movk_i32 s2, 0x44
	v_cmp_ne_u32_e32 vcc, 0, v0
	v_lshl_add_u64 v[2:3], v[0:1], 0, -1
	v_mad_u32_u24 v14, v0, s2, v44
	v_xor_b32_e32 v2, vcc_lo, v2
	; wave barrier
	ds_read_b32 v22, v14 offset:64
	v_xor_b32_e32 v0, vcc_hi, v3
	v_and_b32_e32 v2, exec_lo, v2
	v_and_b32_e32 v3, exec_hi, v0
	v_mbcnt_lo_u32_b32 v0, v2, 0
	v_mbcnt_hi_u32_b32 v23, v3, v0
	v_cmp_eq_u32_e32 vcc, 0, v23
	v_cmp_ne_u64_e64 s[0:1], 0, v[2:3]
	s_and_b64 s[4:5], s[0:1], vcc
	; wave barrier
	s_and_saveexec_b64 s[0:1], s[4:5]
	s_cbranch_execz .LBB2228_205
; %bb.204:
	v_bcnt_u32_b32 v0, v2, 0
	v_bcnt_u32_b32 v0, v3, v0
	s_waitcnt lgkmcnt(0)
	v_add_u32_e32 v0, v22, v0
	ds_write_b32 v14, v0 offset:64
.LBB2228_205:
	s_or_b64 exec, exec, s[0:1]
	v_and_b32_e32 v0, 1, v12
	v_cmp_eq_u32_e32 vcc, 1, v0
	s_xor_b64 s[0:1], vcc, -1
	v_cndmask_b32_e64 v12, 0, 1, s[0:1]
	v_lshrrev_b32_e32 v0, s84, v12
	v_and_b32_e32 v0, s13, v0
	v_mad_u32_u24 v42, v0, s2, v44
	v_cmp_ne_u32_e32 vcc, 0, v0
	v_lshl_add_u64 v[0:1], v[0:1], 0, -1
	s_nop 0
	v_xor_b32_e32 v0, vcc_lo, v0
	; wave barrier
	ds_read_b32 v24, v42 offset:64
	v_xor_b32_e32 v1, vcc_hi, v1
	v_and_b32_e32 v0, exec_lo, v0
	v_and_b32_e32 v1, exec_hi, v1
	v_mbcnt_lo_u32_b32 v2, v0, 0
	v_mbcnt_hi_u32_b32 v25, v1, v2
	v_cmp_eq_u32_e32 vcc, 0, v25
	v_cmp_ne_u64_e64 s[0:1], 0, v[0:1]
	s_and_b64 s[2:3], s[0:1], vcc
	; wave barrier
	s_and_saveexec_b64 s[0:1], s[2:3]
	s_cbranch_execz .LBB2228_207
; %bb.206:
	v_bcnt_u32_b32 v0, v0, 0
	v_bcnt_u32_b32 v0, v1, v0
	s_waitcnt lgkmcnt(0)
	v_add_u32_e32 v0, v24, v0
	ds_write_b32 v42, v0 offset:64
.LBB2228_207:
	s_or_b64 exec, exec, s[0:1]
	v_and_b32_e32 v0, 1, v13
	v_cmp_eq_u32_e32 vcc, 1, v0
	s_xor_b64 s[0:1], vcc, -1
	v_cndmask_b32_e64 v13, 0, 1, s[0:1]
	v_lshrrev_b32_e32 v0, s84, v13
	v_and_b32_e32 v0, s13, v0
	v_mov_b32_e32 v1, 0
	s_movk_i32 s2, 0x44
	v_cmp_ne_u32_e32 vcc, 0, v0
	v_lshl_add_u64 v[2:3], v[0:1], 0, -1
	v_mad_u32_u24 v46, v0, s2, v44
	v_xor_b32_e32 v2, vcc_lo, v2
	; wave barrier
	ds_read_b32 v26, v46 offset:64
	v_xor_b32_e32 v0, vcc_hi, v3
	v_and_b32_e32 v2, exec_lo, v2
	v_and_b32_e32 v3, exec_hi, v0
	v_mbcnt_lo_u32_b32 v0, v2, 0
	v_mbcnt_hi_u32_b32 v27, v3, v0
	v_cmp_eq_u32_e32 vcc, 0, v27
	v_cmp_ne_u64_e64 s[0:1], 0, v[2:3]
	s_and_b64 s[4:5], s[0:1], vcc
	; wave barrier
	s_and_saveexec_b64 s[0:1], s[4:5]
	s_cbranch_execz .LBB2228_209
; %bb.208:
	v_bcnt_u32_b32 v0, v2, 0
	v_bcnt_u32_b32 v0, v3, v0
	s_waitcnt lgkmcnt(0)
	v_add_u32_e32 v0, v26, v0
	ds_write_b32 v46, v0 offset:64
.LBB2228_209:
	s_or_b64 exec, exec, s[0:1]
	v_and_b32_e32 v0, 1, v28
	v_cmp_eq_u32_e32 vcc, 1, v0
	s_xor_b64 s[0:1], vcc, -1
	v_cndmask_b32_e64 v21, 0, 1, s[0:1]
	v_lshrrev_b32_e32 v0, s84, v21
	v_and_b32_e32 v0, s13, v0
	v_mad_u32_u24 v58, v0, s2, v44
	v_cmp_ne_u32_e32 vcc, 0, v0
	v_lshl_add_u64 v[0:1], v[0:1], 0, -1
	s_nop 0
	v_xor_b32_e32 v0, vcc_lo, v0
	; wave barrier
	ds_read_b32 v28, v58 offset:64
	v_xor_b32_e32 v1, vcc_hi, v1
	v_and_b32_e32 v0, exec_lo, v0
	v_and_b32_e32 v1, exec_hi, v1
	v_mbcnt_lo_u32_b32 v2, v0, 0
	v_mbcnt_hi_u32_b32 v29, v1, v2
	v_cmp_eq_u32_e32 vcc, 0, v29
	v_cmp_ne_u64_e64 s[0:1], 0, v[0:1]
	s_and_b64 s[2:3], s[0:1], vcc
	; wave barrier
	s_and_saveexec_b64 s[0:1], s[2:3]
	s_cbranch_execz .LBB2228_211
; %bb.210:
	v_bcnt_u32_b32 v0, v0, 0
	v_bcnt_u32_b32 v0, v1, v0
	s_waitcnt lgkmcnt(0)
	v_add_u32_e32 v0, v28, v0
	ds_write_b32 v58, v0 offset:64
.LBB2228_211:
	s_or_b64 exec, exec, s[0:1]
	v_and_b32_e32 v0, 1, v30
	v_cmp_eq_u32_e32 vcc, 1, v0
	s_xor_b64 s[0:1], vcc, -1
	v_cndmask_b32_e64 v82, 0, 1, s[0:1]
	v_lshrrev_b32_e32 v0, s84, v82
	v_and_b32_e32 v0, s13, v0
	v_mov_b32_e32 v1, 0
	s_movk_i32 s2, 0x44
	v_cmp_ne_u32_e32 vcc, 0, v0
	v_lshl_add_u64 v[2:3], v[0:1], 0, -1
	v_mad_u32_u24 v59, v0, s2, v44
	v_xor_b32_e32 v2, vcc_lo, v2
	; wave barrier
	ds_read_b32 v30, v59 offset:64
	v_xor_b32_e32 v0, vcc_hi, v3
	v_and_b32_e32 v2, exec_lo, v2
	v_and_b32_e32 v3, exec_hi, v0
	v_mbcnt_lo_u32_b32 v0, v2, 0
	v_mbcnt_hi_u32_b32 v31, v3, v0
	v_cmp_eq_u32_e32 vcc, 0, v31
	v_cmp_ne_u64_e64 s[0:1], 0, v[2:3]
	s_and_b64 s[4:5], s[0:1], vcc
	; wave barrier
	s_and_saveexec_b64 s[0:1], s[4:5]
	s_cbranch_execz .LBB2228_213
; %bb.212:
	v_bcnt_u32_b32 v0, v2, 0
	v_bcnt_u32_b32 v0, v3, v0
	s_waitcnt lgkmcnt(0)
	v_add_u32_e32 v0, v30, v0
	ds_write_b32 v59, v0 offset:64
.LBB2228_213:
	s_or_b64 exec, exec, s[0:1]
	v_and_b32_e32 v0, 1, v32
	v_cmp_eq_u32_e32 vcc, 1, v0
	s_xor_b64 s[0:1], vcc, -1
	v_cndmask_b32_e64 v83, 0, 1, s[0:1]
	v_lshrrev_b32_e32 v0, s84, v83
	v_and_b32_e32 v0, s13, v0
	v_mad_u32_u24 v60, v0, s2, v44
	v_cmp_ne_u32_e32 vcc, 0, v0
	v_lshl_add_u64 v[0:1], v[0:1], 0, -1
	s_nop 0
	v_xor_b32_e32 v0, vcc_lo, v0
	; wave barrier
	ds_read_b32 v32, v60 offset:64
	v_xor_b32_e32 v1, vcc_hi, v1
	v_and_b32_e32 v0, exec_lo, v0
	v_and_b32_e32 v1, exec_hi, v1
	v_mbcnt_lo_u32_b32 v2, v0, 0
	v_mbcnt_hi_u32_b32 v33, v1, v2
	v_cmp_eq_u32_e32 vcc, 0, v33
	v_cmp_ne_u64_e64 s[0:1], 0, v[0:1]
	s_and_b64 s[2:3], s[0:1], vcc
	; wave barrier
	s_and_saveexec_b64 s[0:1], s[2:3]
	s_cbranch_execz .LBB2228_215
; %bb.214:
	v_bcnt_u32_b32 v0, v0, 0
	v_bcnt_u32_b32 v0, v1, v0
	s_waitcnt lgkmcnt(0)
	v_add_u32_e32 v0, v32, v0
	ds_write_b32 v60, v0 offset:64
.LBB2228_215:
	s_or_b64 exec, exec, s[0:1]
	s_waitcnt vmcnt(7)
	v_and_b32_e32 v0, 1, v34
	v_cmp_eq_u32_e32 vcc, 1, v0
	s_xor_b64 s[0:1], vcc, -1
	v_cndmask_b32_e64 v84, 0, 1, s[0:1]
	v_lshrrev_b32_e32 v0, s84, v84
	v_and_b32_e32 v0, s13, v0
	v_mov_b32_e32 v1, 0
	s_movk_i32 s2, 0x44
	v_cmp_ne_u32_e32 vcc, 0, v0
	v_lshl_add_u64 v[2:3], v[0:1], 0, -1
	v_mad_u32_u24 v61, v0, s2, v44
	v_xor_b32_e32 v2, vcc_lo, v2
	; wave barrier
	ds_read_b32 v34, v61 offset:64
	v_xor_b32_e32 v0, vcc_hi, v3
	v_and_b32_e32 v2, exec_lo, v2
	v_and_b32_e32 v3, exec_hi, v0
	v_mbcnt_lo_u32_b32 v0, v2, 0
	v_mbcnt_hi_u32_b32 v35, v3, v0
	v_cmp_eq_u32_e32 vcc, 0, v35
	v_cmp_ne_u64_e64 s[0:1], 0, v[2:3]
	s_and_b64 s[4:5], s[0:1], vcc
	; wave barrier
	s_and_saveexec_b64 s[0:1], s[4:5]
	s_cbranch_execz .LBB2228_217
; %bb.216:
	v_bcnt_u32_b32 v0, v2, 0
	v_bcnt_u32_b32 v0, v3, v0
	s_waitcnt lgkmcnt(0)
	v_add_u32_e32 v0, v34, v0
	ds_write_b32 v61, v0 offset:64
.LBB2228_217:
	s_or_b64 exec, exec, s[0:1]
	s_waitcnt vmcnt(6)
	v_and_b32_e32 v0, 1, v36
	v_cmp_eq_u32_e32 vcc, 1, v0
	s_xor_b64 s[0:1], vcc, -1
	v_cndmask_b32_e64 v85, 0, 1, s[0:1]
	v_lshrrev_b32_e32 v0, s84, v85
	v_and_b32_e32 v0, s13, v0
	v_mad_u32_u24 v62, v0, s2, v44
	v_cmp_ne_u32_e32 vcc, 0, v0
	v_lshl_add_u64 v[0:1], v[0:1], 0, -1
	s_nop 0
	v_xor_b32_e32 v0, vcc_lo, v0
	; wave barrier
	ds_read_b32 v36, v62 offset:64
	v_xor_b32_e32 v1, vcc_hi, v1
	v_and_b32_e32 v0, exec_lo, v0
	v_and_b32_e32 v1, exec_hi, v1
	v_mbcnt_lo_u32_b32 v2, v0, 0
	v_mbcnt_hi_u32_b32 v37, v1, v2
	v_cmp_eq_u32_e32 vcc, 0, v37
	v_cmp_ne_u64_e64 s[0:1], 0, v[0:1]
	s_and_b64 s[2:3], s[0:1], vcc
	; wave barrier
	s_and_saveexec_b64 s[0:1], s[2:3]
	s_cbranch_execz .LBB2228_219
; %bb.218:
	v_bcnt_u32_b32 v0, v0, 0
	v_bcnt_u32_b32 v0, v1, v0
	s_waitcnt lgkmcnt(0)
	v_add_u32_e32 v0, v36, v0
	ds_write_b32 v62, v0 offset:64
.LBB2228_219:
	s_or_b64 exec, exec, s[0:1]
	s_waitcnt vmcnt(5)
	v_and_b32_e32 v0, 1, v39
	v_cmp_eq_u32_e32 vcc, 1, v0
	s_xor_b64 s[0:1], vcc, -1
	v_cndmask_b32_e64 v86, 0, 1, s[0:1]
	v_lshrrev_b32_e32 v0, s84, v86
	v_and_b32_e32 v0, s13, v0
	v_mov_b32_e32 v1, 0
	s_movk_i32 s2, 0x44
	v_cmp_ne_u32_e32 vcc, 0, v0
	v_lshl_add_u64 v[2:3], v[0:1], 0, -1
	v_mad_u32_u24 v63, v0, s2, v44
	v_xor_b32_e32 v2, vcc_lo, v2
	; wave barrier
	ds_read_b32 v39, v63 offset:64
	v_xor_b32_e32 v0, vcc_hi, v3
	v_and_b32_e32 v2, exec_lo, v2
	v_and_b32_e32 v3, exec_hi, v0
	v_mbcnt_lo_u32_b32 v0, v2, 0
	v_mbcnt_hi_u32_b32 v40, v3, v0
	v_cmp_eq_u32_e32 vcc, 0, v40
	v_cmp_ne_u64_e64 s[0:1], 0, v[2:3]
	s_and_b64 s[4:5], s[0:1], vcc
	; wave barrier
	s_and_saveexec_b64 s[0:1], s[4:5]
	s_cbranch_execz .LBB2228_221
; %bb.220:
	v_bcnt_u32_b32 v0, v2, 0
	v_bcnt_u32_b32 v0, v3, v0
	s_waitcnt lgkmcnt(0)
	v_add_u32_e32 v0, v39, v0
	ds_write_b32 v63, v0 offset:64
.LBB2228_221:
	s_or_b64 exec, exec, s[0:1]
	s_waitcnt vmcnt(4)
	v_and_b32_e32 v0, 1, v41
	v_cmp_eq_u32_e32 vcc, 1, v0
	s_xor_b64 s[0:1], vcc, -1
	v_cndmask_b32_e64 v87, 0, 1, s[0:1]
	v_lshrrev_b32_e32 v0, s84, v87
	v_and_b32_e32 v0, s13, v0
	v_mad_u32_u24 v64, v0, s2, v44
	v_cmp_ne_u32_e32 vcc, 0, v0
	v_lshl_add_u64 v[0:1], v[0:1], 0, -1
	s_nop 0
	v_xor_b32_e32 v0, vcc_lo, v0
	; wave barrier
	ds_read_b32 v41, v64 offset:64
	v_xor_b32_e32 v1, vcc_hi, v1
	v_and_b32_e32 v0, exec_lo, v0
	v_and_b32_e32 v1, exec_hi, v1
	v_mbcnt_lo_u32_b32 v2, v0, 0
	v_mbcnt_hi_u32_b32 v43, v1, v2
	v_cmp_eq_u32_e32 vcc, 0, v43
	v_cmp_ne_u64_e64 s[0:1], 0, v[0:1]
	s_and_b64 s[2:3], s[0:1], vcc
	; wave barrier
	s_and_saveexec_b64 s[0:1], s[2:3]
	s_cbranch_execz .LBB2228_223
; %bb.222:
	v_bcnt_u32_b32 v0, v0, 0
	v_bcnt_u32_b32 v0, v1, v0
	s_waitcnt lgkmcnt(0)
	v_add_u32_e32 v0, v41, v0
	ds_write_b32 v64, v0 offset:64
.LBB2228_223:
	s_or_b64 exec, exec, s[0:1]
	s_waitcnt vmcnt(3)
	v_and_b32_e32 v0, 1, v45
	v_cmp_eq_u32_e32 vcc, 1, v0
	s_xor_b64 s[0:1], vcc, -1
	v_cndmask_b32_e64 v88, 0, 1, s[0:1]
	v_lshrrev_b32_e32 v0, s84, v88
	v_and_b32_e32 v0, s13, v0
	v_mov_b32_e32 v1, 0
	s_movk_i32 s2, 0x44
	v_cmp_ne_u32_e32 vcc, 0, v0
	v_lshl_add_u64 v[2:3], v[0:1], 0, -1
	v_mad_u32_u24 v65, v0, s2, v44
	v_xor_b32_e32 v2, vcc_lo, v2
	; wave barrier
	ds_read_b32 v45, v65 offset:64
	v_xor_b32_e32 v0, vcc_hi, v3
	v_and_b32_e32 v2, exec_lo, v2
	v_and_b32_e32 v3, exec_hi, v0
	v_mbcnt_lo_u32_b32 v0, v2, 0
	v_mbcnt_hi_u32_b32 v47, v3, v0
	v_cmp_eq_u32_e32 vcc, 0, v47
	v_cmp_ne_u64_e64 s[0:1], 0, v[2:3]
	s_and_b64 s[4:5], s[0:1], vcc
	; wave barrier
	s_and_saveexec_b64 s[0:1], s[4:5]
	s_cbranch_execz .LBB2228_225
; %bb.224:
	v_bcnt_u32_b32 v0, v2, 0
	v_bcnt_u32_b32 v0, v3, v0
	s_waitcnt lgkmcnt(0)
	v_add_u32_e32 v0, v45, v0
	ds_write_b32 v65, v0 offset:64
.LBB2228_225:
	s_or_b64 exec, exec, s[0:1]
	s_waitcnt vmcnt(2)
	v_and_b32_e32 v0, 1, v48
	v_cmp_eq_u32_e32 vcc, 1, v0
	s_xor_b64 s[0:1], vcc, -1
	v_cndmask_b32_e64 v89, 0, 1, s[0:1]
	v_lshrrev_b32_e32 v0, s84, v89
	v_and_b32_e32 v0, s13, v0
	v_mad_u32_u24 v66, v0, s2, v44
	v_cmp_ne_u32_e32 vcc, 0, v0
	v_lshl_add_u64 v[0:1], v[0:1], 0, -1
	s_nop 0
	v_xor_b32_e32 v0, vcc_lo, v0
	; wave barrier
	ds_read_b32 v48, v66 offset:64
	v_xor_b32_e32 v1, vcc_hi, v1
	v_and_b32_e32 v0, exec_lo, v0
	v_and_b32_e32 v1, exec_hi, v1
	v_mbcnt_lo_u32_b32 v2, v0, 0
	v_mbcnt_hi_u32_b32 v49, v1, v2
	v_cmp_eq_u32_e32 vcc, 0, v49
	v_cmp_ne_u64_e64 s[0:1], 0, v[0:1]
	s_and_b64 s[2:3], s[0:1], vcc
	; wave barrier
	s_and_saveexec_b64 s[0:1], s[2:3]
	s_cbranch_execz .LBB2228_227
; %bb.226:
	v_bcnt_u32_b32 v0, v0, 0
	v_bcnt_u32_b32 v0, v1, v0
	s_waitcnt lgkmcnt(0)
	v_add_u32_e32 v0, v48, v0
	ds_write_b32 v66, v0 offset:64
.LBB2228_227:
	s_or_b64 exec, exec, s[0:1]
	s_waitcnt vmcnt(1)
	v_and_b32_e32 v0, 1, v38
	v_cmp_eq_u32_e32 vcc, 1, v0
	s_xor_b64 s[0:1], vcc, -1
	v_cndmask_b32_e64 v90, 0, 1, s[0:1]
	v_lshrrev_b32_e32 v0, s84, v90
	v_and_b32_e32 v0, s13, v0
	v_mov_b32_e32 v1, 0
	s_movk_i32 s2, 0x44
	v_cmp_ne_u32_e32 vcc, 0, v0
	v_lshl_add_u64 v[2:3], v[0:1], 0, -1
	v_mad_u32_u24 v68, v0, s2, v44
	v_xor_b32_e32 v2, vcc_lo, v2
	; wave barrier
	ds_read_b32 v50, v68 offset:64
	v_xor_b32_e32 v0, vcc_hi, v3
	v_and_b32_e32 v2, exec_lo, v2
	v_and_b32_e32 v3, exec_hi, v0
	v_mbcnt_lo_u32_b32 v0, v2, 0
	v_mbcnt_hi_u32_b32 v51, v3, v0
	v_cmp_eq_u32_e32 vcc, 0, v51
	v_cmp_ne_u64_e64 s[0:1], 0, v[2:3]
	s_and_b64 s[4:5], s[0:1], vcc
	; wave barrier
	s_and_saveexec_b64 s[0:1], s[4:5]
	s_cbranch_execz .LBB2228_229
; %bb.228:
	v_bcnt_u32_b32 v0, v2, 0
	v_bcnt_u32_b32 v0, v3, v0
	s_waitcnt lgkmcnt(0)
	v_add_u32_e32 v0, v50, v0
	ds_write_b32 v68, v0 offset:64
.LBB2228_229:
	s_or_b64 exec, exec, s[0:1]
	s_waitcnt vmcnt(0)
	v_and_b32_e32 v0, 1, v15
	v_cmp_eq_u32_e32 vcc, 1, v0
	s_xor_b64 s[0:1], vcc, -1
	v_cndmask_b32_e64 v15, 0, 1, s[0:1]
	v_lshrrev_b32_e32 v0, s84, v15
	v_and_b32_e32 v0, s13, v0
	v_mad_u32_u24 v44, v0, s2, v44
	v_cmp_ne_u32_e32 vcc, 0, v0
	v_lshl_add_u64 v[0:1], v[0:1], 0, -1
	s_nop 0
	v_xor_b32_e32 v0, vcc_lo, v0
	; wave barrier
	ds_read_b32 v52, v44 offset:64
	v_xor_b32_e32 v1, vcc_hi, v1
	v_and_b32_e32 v0, exec_lo, v0
	v_and_b32_e32 v1, exec_hi, v1
	v_mbcnt_lo_u32_b32 v2, v0, 0
	v_mbcnt_hi_u32_b32 v53, v1, v2
	v_cmp_eq_u32_e32 vcc, 0, v53
	v_cmp_ne_u64_e64 s[0:1], 0, v[0:1]
	s_and_b64 s[2:3], s[0:1], vcc
	; wave barrier
	s_and_saveexec_b64 s[0:1], s[2:3]
	s_cbranch_execz .LBB2228_231
; %bb.230:
	v_bcnt_u32_b32 v0, v0, 0
	v_bcnt_u32_b32 v0, v1, v0
	s_waitcnt lgkmcnt(0)
	v_add_u32_e32 v0, v52, v0
	ds_write_b32 v44, v0 offset:64
.LBB2228_231:
	s_or_b64 exec, exec, s[0:1]
	; wave barrier
	s_waitcnt lgkmcnt(0)
	s_barrier
	ds_read2_b32 v[2:3], v8 offset0:16 offset1:17
	ds_read2_b32 v[0:1], v8 offset0:18 offset1:19
	ds_read_b32 v38, v8 offset:80
	v_cmp_lt_u32_e64 s[2:3], 31, v5
	s_waitcnt lgkmcnt(1)
	v_add3_u32 v54, v3, v2, v0
	s_waitcnt lgkmcnt(0)
	v_add3_u32 v38, v54, v1, v38
	v_and_b32_e32 v54, 15, v5
	v_cmp_eq_u32_e32 vcc, 0, v54
	v_mov_b32_dpp v55, v38 row_shr:1 row_mask:0xf bank_mask:0xf
	v_cmp_lt_u32_e64 s[0:1], 1, v54
	v_cndmask_b32_e64 v55, v55, 0, vcc
	v_add_u32_e32 v38, v55, v38
	v_cmp_lt_u32_e64 s[4:5], 3, v54
	v_cmp_lt_u32_e64 s[6:7], 7, v54
	v_mov_b32_dpp v55, v38 row_shr:2 row_mask:0xf bank_mask:0xf
	v_cndmask_b32_e64 v55, 0, v55, s[0:1]
	v_add_u32_e32 v38, v38, v55
	s_nop 1
	v_mov_b32_dpp v55, v38 row_shr:4 row_mask:0xf bank_mask:0xf
	v_cndmask_b32_e64 v55, 0, v55, s[4:5]
	v_add_u32_e32 v38, v38, v55
	s_nop 1
	v_mov_b32_dpp v55, v38 row_shr:8 row_mask:0xf bank_mask:0xf
	v_cndmask_b32_e64 v54, 0, v55, s[6:7]
	v_add_u32_e32 v38, v38, v54
	v_bfe_i32 v55, v5, 4, 1
	s_nop 0
	v_mov_b32_dpp v54, v38 row_bcast:15 row_mask:0xf bank_mask:0xf
	v_and_b32_e32 v54, v55, v54
	v_add_u32_e32 v38, v38, v54
	v_lshrrev_b32_e32 v55, 6, v16
	s_nop 0
	v_mov_b32_dpp v54, v38 row_bcast:31 row_mask:0xf bank_mask:0xf
	v_cndmask_b32_e64 v54, 0, v54, s[2:3]
	v_add_u32_e32 v54, v38, v54
	v_and_b32_e32 v38, 63, v16
	v_cmp_eq_u32_e64 s[2:3], 63, v38
	s_and_saveexec_b64 s[10:11], s[2:3]
; %bb.232:
	v_lshlrev_b32_e32 v38, 2, v55
	ds_write_b32 v38, v54
; %bb.233:
	s_or_b64 exec, exec, s[10:11]
	v_cmp_gt_u32_e64 s[2:3], 16, v16
	v_lshlrev_b32_e32 v38, 2, v16
	s_waitcnt lgkmcnt(0)
	s_barrier
	s_and_saveexec_b64 s[10:11], s[2:3]
	s_cbranch_execz .LBB2228_235
; %bb.234:
	ds_read_b32 v56, v38
	s_waitcnt lgkmcnt(0)
	s_nop 0
	v_mov_b32_dpp v57, v56 row_shr:1 row_mask:0xf bank_mask:0xf
	v_cndmask_b32_e64 v57, v57, 0, vcc
	v_add_u32_e32 v56, v57, v56
	s_nop 1
	v_mov_b32_dpp v57, v56 row_shr:2 row_mask:0xf bank_mask:0xf
	v_cndmask_b32_e64 v57, 0, v57, s[0:1]
	v_add_u32_e32 v56, v56, v57
	s_nop 1
	v_mov_b32_dpp v57, v56 row_shr:4 row_mask:0xf bank_mask:0xf
	v_cndmask_b32_e64 v57, 0, v57, s[4:5]
	v_add_u32_e32 v56, v56, v57
	s_nop 1
	v_mov_b32_dpp v57, v56 row_shr:8 row_mask:0xf bank_mask:0xf
	v_cndmask_b32_e64 v57, 0, v57, s[6:7]
	v_add_u32_e32 v56, v56, v57
	ds_write_b32 v38, v56
.LBB2228_235:
	s_or_b64 exec, exec, s[10:11]
	v_cmp_lt_u32_e32 vcc, 63, v16
	v_mov_b32_e32 v56, 0
	s_waitcnt lgkmcnt(0)
	s_barrier
	s_and_saveexec_b64 s[0:1], vcc
; %bb.236:
	v_lshl_add_u32 v55, v55, 2, -4
	ds_read_b32 v56, v55
; %bb.237:
	s_or_b64 exec, exec, s[0:1]
	v_subrev_co_u32_e32 v55, vcc, 1, v5
	v_and_b32_e32 v57, 64, v5
	v_cmp_lt_i32_e64 s[0:1], v55, v57
	s_waitcnt lgkmcnt(0)
	v_add_u32_e32 v54, v56, v54
	s_movk_i32 s2, 0x100
	v_cndmask_b32_e64 v5, v55, v5, s[0:1]
	v_lshlrev_b32_e32 v5, 2, v5
	ds_bpermute_b32 v5, v5, v54
	s_movk_i32 s0, 0xff
	s_waitcnt lgkmcnt(0)
	v_cndmask_b32_e32 v5, v5, v56, vcc
	v_cndmask_b32_e64 v5, v5, 0, s[66:67]
	v_add_u32_e32 v2, v5, v2
	v_add_u32_e32 v3, v2, v3
	;; [unrolled: 1-line block ×4, first 2 shown]
	ds_write2_b32 v8, v5, v2 offset0:16 offset1:17
	ds_write2_b32 v8, v3, v0 offset0:18 offset1:19
	ds_write_b32 v8, v1 offset:80
	s_waitcnt lgkmcnt(0)
	s_barrier
	ds_read_b32 v0, v10 offset:64
	ds_read_b32 v54, v11 offset:64
	;; [unrolled: 1-line block ×16, first 2 shown]
	v_cmp_lt_u32_e32 vcc, s0, v16
	v_cmp_gt_u32_e64 s[0:1], s2, v16
                                        ; implicit-def: $vgpr42
                                        ; implicit-def: $vgpr44
	s_and_saveexec_b64 s[4:5], s[0:1]
	s_cbranch_execz .LBB2228_241
; %bb.238:
	v_mul_u32_u24_e32 v1, 0x44, v16
	ds_read_b32 v42, v1 offset:64
	v_add_u32_e32 v2, 1, v16
	v_cmp_ne_u32_e64 s[2:3], s2, v2
	v_mov_b32_e32 v1, 0x4000
	s_and_saveexec_b64 s[6:7], s[2:3]
; %bb.239:
	v_mul_u32_u24_e32 v1, 0x44, v2
	ds_read_b32 v1, v1 offset:64
; %bb.240:
	s_or_b64 exec, exec, s[6:7]
	s_waitcnt lgkmcnt(0)
	v_sub_u32_e32 v44, v1, v42
.LBB2228_241:
	s_or_b64 exec, exec, s[4:5]
	s_waitcnt lgkmcnt(14)
	v_add_u32_e32 v46, v0, v6
	v_add3_u32 v66, v19, v17, v54
	s_waitcnt lgkmcnt(13)
	v_add3_u32 v68, v23, v22, v55
	s_waitcnt lgkmcnt(12)
	;; [unrolled: 2-line block ×7, first 2 shown]
	s_barrier
	ds_write_b8 v46, v4 offset:1024
	v_add3_u32 v76, v35, v34, v61
	ds_write_b8 v66, v7 offset:1024
	v_add3_u32 v77, v37, v36, v62
	;; [unrolled: 2-line block ×8, first 2 shown]
	v_mov_b32_e32 v1, 0
	ds_write_b8 v76, v84 offset:1024
	ds_write_b8 v77, v85 offset:1024
	;; [unrolled: 1-line block ×8, first 2 shown]
	s_and_saveexec_b64 s[2:3], s[0:1]
	s_cbranch_execz .LBB2228_251
; %bb.242:
	v_lshl_add_u32 v0, s33, 8, v16
	v_lshl_add_u64 v[2:3], v[0:1], 2, s[88:89]
	v_or_b32_e32 v0, 2.0, v44
	s_mov_b64 s[4:5], 0
	s_brev_b32 s14, -4
	s_mov_b32 s15, s33
	v_mov_b32_e32 v6, 0
	global_store_dword v[2:3], v0, off sc1
                                        ; implicit-def: $sgpr0_sgpr1
	s_branch .LBB2228_245
.LBB2228_243:                           ;   in Loop: Header=BB2228_245 Depth=1
	s_or_b64 exec, exec, s[10:11]
.LBB2228_244:                           ;   in Loop: Header=BB2228_245 Depth=1
	s_or_b64 exec, exec, s[6:7]
	v_and_b32_e32 v4, 0x3fffffff, v0
	v_add_u32_e32 v6, v4, v6
	v_cmp_gt_i32_e64 s[0:1], -2.0, v0
	s_and_b64 s[6:7], exec, s[0:1]
	s_or_b64 s[4:5], s[6:7], s[4:5]
	s_andn2_b64 exec, exec, s[4:5]
	s_cbranch_execz .LBB2228_250
.LBB2228_245:                           ; =>This Loop Header: Depth=1
                                        ;     Child Loop BB2228_248 Depth 2
	s_or_b64 s[0:1], s[0:1], exec
	s_cmp_eq_u32 s15, 0
	s_cbranch_scc1 .LBB2228_249
; %bb.246:                              ;   in Loop: Header=BB2228_245 Depth=1
	s_add_i32 s15, s15, -1
	v_lshl_or_b32 v0, s15, 8, v16
	v_lshl_add_u64 v[4:5], v[0:1], 2, s[88:89]
	global_load_dword v0, v[4:5], off sc1
	s_waitcnt vmcnt(0)
	v_cmp_gt_u32_e64 s[0:1], 2.0, v0
	s_and_saveexec_b64 s[6:7], s[0:1]
	s_cbranch_execz .LBB2228_244
; %bb.247:                              ;   in Loop: Header=BB2228_245 Depth=1
	s_mov_b64 s[10:11], 0
.LBB2228_248:                           ;   Parent Loop BB2228_245 Depth=1
                                        ; =>  This Inner Loop Header: Depth=2
	global_load_dword v0, v[4:5], off sc1
	s_waitcnt vmcnt(0)
	v_cmp_lt_u32_e64 s[0:1], s14, v0
	s_or_b64 s[10:11], s[0:1], s[10:11]
	s_andn2_b64 exec, exec, s[10:11]
	s_cbranch_execnz .LBB2228_248
	s_branch .LBB2228_243
.LBB2228_249:                           ;   in Loop: Header=BB2228_245 Depth=1
                                        ; implicit-def: $sgpr15
	s_and_b64 s[6:7], exec, s[0:1]
	s_or_b64 s[4:5], s[6:7], s[4:5]
	s_andn2_b64 exec, exec, s[4:5]
	s_cbranch_execnz .LBB2228_245
.LBB2228_250:
	s_or_b64 exec, exec, s[4:5]
	v_add_u32_e32 v0, v6, v44
	v_or_b32_e32 v0, 0x80000000, v0
	global_store_dword v[2:3], v0, off sc1
	global_load_dword v0, v38, s[80:81]
	v_sub_u32_e32 v1, v6, v42
	s_waitcnt vmcnt(0)
	v_add_u32_e32 v0, v1, v0
	ds_write_b32 v38, v0
.LBB2228_251:
	s_or_b64 exec, exec, s[2:3]
	s_waitcnt lgkmcnt(0)
	s_barrier
	ds_read_u8 v1, v16 offset:1024
	ds_read_u8 v8, v16 offset:2048
	;; [unrolled: 1-line block ×8, first 2 shown]
	s_waitcnt lgkmcnt(7)
	v_and_b32_e32 v0, 1, v1
	v_xor_b32_e32 v15, 1, v1
	s_waitcnt lgkmcnt(6)
	v_and_b32_e32 v1, 1, v8
	s_waitcnt lgkmcnt(5)
	v_and_b32_e32 v2, 1, v9
	;; [unrolled: 2-line block ×7, first 2 shown]
	v_lshrrev_b32_e32 v0, s84, v0
	v_lshrrev_b32_e32 v1, s84, v1
	;; [unrolled: 1-line block ×8, first 2 shown]
	v_and_b32_e32 v0, s13, v0
	v_and_b32_e32 v1, s13, v1
	;; [unrolled: 1-line block ×8, first 2 shown]
	v_lshlrev_b32_e32 v21, 2, v0
	v_lshlrev_b32_e32 v84, 2, v1
	;; [unrolled: 1-line block ×8, first 2 shown]
	ds_read_b32 v21, v21
	ds_read_b32 v84, v84
	;; [unrolled: 1-line block ×8, first 2 shown]
	s_waitcnt lgkmcnt(7)
	v_add_u32_e32 v21, v21, v16
	s_movk_i32 s4, 0x400
	global_store_byte v21, v15, s[74:75]
	v_xor_b32_e32 v8, 1, v8
	s_waitcnt lgkmcnt(6)
	v_add3_u32 v15, v84, v16, s4
	s_movk_i32 s5, 0x800
	global_store_byte v15, v8, s[74:75]
	v_xor_b32_e32 v8, 1, v9
	s_waitcnt lgkmcnt(5)
	v_add3_u32 v9, v85, v16, s5
	;; [unrolled: 5-line block ×7, first 2 shown]
	global_store_byte v9, v8, s[74:75]
	ds_read_u8 v9, v16 offset:9216
	ds_read_u8 v21, v16 offset:10240
	;; [unrolled: 1-line block ×8, first 2 shown]
	s_waitcnt lgkmcnt(7)
	v_and_b32_e32 v8, 1, v9
	v_xor_b32_e32 v90, 1, v9
	s_waitcnt lgkmcnt(6)
	v_and_b32_e32 v9, 1, v21
	s_waitcnt lgkmcnt(5)
	v_and_b32_e32 v10, 1, v84
	s_waitcnt lgkmcnt(4)
	v_and_b32_e32 v11, 1, v85
	s_waitcnt lgkmcnt(3)
	v_and_b32_e32 v12, 1, v86
	s_waitcnt lgkmcnt(2)
	v_and_b32_e32 v13, 1, v87
	s_waitcnt lgkmcnt(1)
	v_and_b32_e32 v14, 1, v88
	s_waitcnt lgkmcnt(0)
	v_and_b32_e32 v15, 1, v89
	v_lshrrev_b32_e32 v8, s84, v8
	v_lshrrev_b32_e32 v9, s84, v9
	;; [unrolled: 1-line block ×8, first 2 shown]
	v_and_b32_e32 v8, s13, v8
	v_and_b32_e32 v9, s13, v9
	;; [unrolled: 1-line block ×8, first 2 shown]
	v_lshlrev_b32_e32 v91, 2, v8
	v_lshlrev_b32_e32 v92, 2, v9
	;; [unrolled: 1-line block ×8, first 2 shown]
	s_movk_i32 s0, 0x2000
	ds_read_b32 v91, v91
	ds_read_b32 v92, v92
	;; [unrolled: 1-line block ×8, first 2 shown]
	s_waitcnt lgkmcnt(7)
	v_add3_u32 v91, v91, v16, s0
	s_movk_i32 s0, 0x2400
	global_store_byte v91, v90, s[74:75]
	v_xor_b32_e32 v21, 1, v21
	s_waitcnt lgkmcnt(6)
	v_add3_u32 v90, v92, v16, s0
	s_movk_i32 s0, 0x2800
	global_store_byte v90, v21, s[74:75]
	v_xor_b32_e32 v21, 1, v84
	;; [unrolled: 5-line block ×6, first 2 shown]
	s_waitcnt lgkmcnt(1)
	v_add3_u32 v84, v97, v16, s0
	s_movk_i32 s0, 0x3c00
	global_store_byte v84, v21, s[74:75]
	s_waitcnt lgkmcnt(0)
	v_add3_u32 v84, v98, v16, s0
	s_lshl_b64 s[0:1], s[8:9], 2
	v_xor_b32_e32 v21, 1, v89
	s_add_u32 s0, s76, s0
	global_store_byte v84, v21, s[74:75]
	s_addc_u32 s1, s77, s1
	v_lshlrev_b32_e32 v20, 2, v20
	v_mov_b32_e32 v21, 0
	v_lshl_add_u64 v[84:85], s[0:1], 0, v[20:21]
	v_lshlrev_b32_e32 v20, 2, v18
	v_lshl_add_u64 v[98:99], v[84:85], 0, v[20:21]
	global_load_dword v18, v[98:99], off
	global_load_dword v84, v[98:99], off offset:256
	global_load_dword v85, v[98:99], off offset:512
	global_load_dword v86, v[98:99], off offset:768
	global_load_dword v87, v[98:99], off offset:1024
	global_load_dword v88, v[98:99], off offset:1280
	global_load_dword v89, v[98:99], off offset:1536
	global_load_dword v90, v[98:99], off offset:1792
	global_load_dword v91, v[98:99], off offset:2048
	global_load_dword v92, v[98:99], off offset:2304
	global_load_dword v93, v[98:99], off offset:2560
	global_load_dword v94, v[98:99], off offset:2816
	global_load_dword v95, v[98:99], off offset:3072
	global_load_dword v96, v[98:99], off offset:3328
	global_load_dword v97, v[98:99], off offset:3584
	s_nop 0
	global_load_dword v98, v[98:99], off offset:3840
	v_mul_u32_u24_e32 v20, 3, v16
	v_mov_b32_e32 v99, 0x400
	scratch_store_dwordx4 off, v[0:3], off
	scratch_store_dwordx4 off, v[4:7], off offset:16
	scratch_store_dwordx4 off, v[8:11], off offset:32
	;; [unrolled: 1-line block ×3, first 2 shown]
	v_lshl_add_u32 v0, v83, 2, v99
	v_add3_u32 v1, v53, v73, v52
	v_lshl_add_u32 v2, v82, 2, v99
	v_add3_u32 v3, v51, v70, v50
	;; [unrolled: 2-line block ×15, first 2 shown]
	v_lshl_add_u32 v19, v46, 2, v99
	s_mov_b32 s8, 0
	s_mov_b32 s9, 0
	v_add_u32_e32 v35, v16, v20
	s_mov_b32 s10, 0
	s_barrier
	s_branch .LBB2228_253
.LBB2228_252:                           ;   in Loop: Header=BB2228_253 Depth=1
	s_or_b64 exec, exec, s[2:3]
	s_waitcnt lgkmcnt(0)
	s_barrier
	scratch_load_dwordx4 v[48:51], off, s8
	ds_read2st64_b32 v[36:37], v35 offset0:4 offset1:20
	ds_read2st64_b32 v[40:41], v35 offset0:36 offset1:52
	s_addk_i32 s10, 0xc000
	s_addk_i32 s9, 0xf000
	s_add_i32 s8, s8, 16
	s_cmp_eq_u32 s10, 0xffff0000
	s_waitcnt vmcnt(0)
	v_lshlrev_b32_e32 v20, 2, v48
	ds_read_b32 v20, v20
	v_lshlrev_b32_e32 v39, 2, v49
	v_lshlrev_b32_e32 v43, 2, v50
	;; [unrolled: 1-line block ×3, first 2 shown]
	ds_read_b32 v39, v39
	ds_read_b32 v43, v43
	;; [unrolled: 1-line block ×3, first 2 shown]
	s_waitcnt lgkmcnt(3)
	v_add_u32_e32 v20, v16, v20
	v_lshl_add_u64 v[48:49], v[20:21], 2, s[78:79]
	s_waitcnt lgkmcnt(2)
	v_add3_u32 v20, v16, v39, s4
	global_store_dword v[48:49], v36, off
	v_lshl_add_u64 v[48:49], v[20:21], 2, s[78:79]
	s_waitcnt lgkmcnt(1)
	v_add3_u32 v20, v16, v43, s5
	global_store_dword v[48:49], v37, off
	;; [unrolled: 4-line block ×3, first 2 shown]
	v_lshl_add_u64 v[36:37], v[20:21], 2, s[78:79]
	v_add_u32_e32 v16, 0x1000, v16
	global_store_dword v[36:37], v41, off
	s_barrier
	s_cbranch_scc1 .LBB2228_285
.LBB2228_253:                           ; =>This Inner Loop Header: Depth=1
	v_add_u32_e32 v20, s9, v46
	v_cmp_gt_u32_e64 s[0:1], s7, v20
	s_and_saveexec_b64 s[2:3], s[0:1]
	s_cbranch_execz .LBB2228_255
; %bb.254:                              ;   in Loop: Header=BB2228_253 Depth=1
	v_add_u32_e32 v20, s10, v19
	s_waitcnt vmcnt(19)
	ds_write_b32 v20, v18
.LBB2228_255:                           ;   in Loop: Header=BB2228_253 Depth=1
	s_or_b64 exec, exec, s[2:3]
	v_add_u32_e32 v20, s9, v17
	v_cmp_gt_u32_e64 s[0:1], s7, v20
	s_and_saveexec_b64 s[2:3], s[0:1]
	s_cbranch_execz .LBB2228_257
; %bb.256:                              ;   in Loop: Header=BB2228_253 Depth=1
	v_add_u32_e32 v20, s10, v23
	s_waitcnt vmcnt(18)
	ds_write_b32 v20, v84
.LBB2228_257:                           ;   in Loop: Header=BB2228_253 Depth=1
	s_or_b64 exec, exec, s[2:3]
	;; [unrolled: 10-line block ×15, first 2 shown]
	v_add_u32_e32 v20, s9, v1
	v_cmp_gt_u32_e64 s[0:1], s7, v20
	s_and_saveexec_b64 s[2:3], s[0:1]
	s_cbranch_execz .LBB2228_252
; %bb.284:                              ;   in Loop: Header=BB2228_253 Depth=1
	v_add_u32_e32 v20, s10, v0
	s_waitcnt vmcnt(4)
	ds_write_b32 v20, v98
	s_branch .LBB2228_252
.LBB2228_285:
	s_add_i32 s12, s12, -1
	s_cmp_eq_u32 s33, s12
	s_cselect_b64 s[0:1], -1, 0
	s_xor_b64 s[2:3], vcc, -1
	s_and_b64 s[0:1], s[2:3], s[0:1]
	s_and_saveexec_b64 s[2:3], s[0:1]
	s_cbranch_execz .LBB2228_287
; %bb.286:
	ds_read_b32 v0, v38
	s_waitcnt lgkmcnt(0)
	v_add3_u32 v0, v42, v44, v0
	global_store_dword v38, v0, s[82:83]
.LBB2228_287:
	s_endpgm
	.section	.rodata,"a",@progbits
	.p2align	6, 0x0
	.amdhsa_kernel _ZN7rocprim17ROCPRIM_400000_NS6detail17trampoline_kernelINS0_14default_configENS1_35radix_sort_onesweep_config_selectorIbiEEZZNS1_29radix_sort_onesweep_iterationIS3_Lb1EN6thrust23THRUST_200600_302600_NS6detail15normal_iteratorINS8_10device_ptrIbEEEESD_NSA_INSB_IiEEEESF_jNS0_19identity_decomposerENS1_16block_id_wrapperIjLb1EEEEE10hipError_tT1_PNSt15iterator_traitsISK_E10value_typeET2_T3_PNSL_ISQ_E10value_typeET4_T5_PSV_SW_PNS1_23onesweep_lookback_stateEbbT6_jjT7_P12ihipStream_tbENKUlT_T0_SK_SP_E_clISD_PbSF_PiEEDaS13_S14_SK_SP_EUlS13_E_NS1_11comp_targetILNS1_3genE6ELNS1_11target_archE950ELNS1_3gpuE13ELNS1_3repE0EEENS1_47radix_sort_onesweep_sort_config_static_selectorELNS0_4arch9wavefront6targetE1EEEvSK_
		.amdhsa_group_segment_fixed_size 20552
		.amdhsa_private_segment_fixed_size 80
		.amdhsa_kernarg_size 344
		.amdhsa_user_sgpr_count 2
		.amdhsa_user_sgpr_dispatch_ptr 0
		.amdhsa_user_sgpr_queue_ptr 0
		.amdhsa_user_sgpr_kernarg_segment_ptr 1
		.amdhsa_user_sgpr_dispatch_id 0
		.amdhsa_user_sgpr_kernarg_preload_length 0
		.amdhsa_user_sgpr_kernarg_preload_offset 0
		.amdhsa_user_sgpr_private_segment_size 0
		.amdhsa_uses_dynamic_stack 0
		.amdhsa_enable_private_segment 1
		.amdhsa_system_sgpr_workgroup_id_x 1
		.amdhsa_system_sgpr_workgroup_id_y 0
		.amdhsa_system_sgpr_workgroup_id_z 0
		.amdhsa_system_sgpr_workgroup_info 0
		.amdhsa_system_vgpr_workitem_id 2
		.amdhsa_next_free_vgpr 100
		.amdhsa_next_free_sgpr 96
		.amdhsa_accum_offset 100
		.amdhsa_reserve_vcc 1
		.amdhsa_float_round_mode_32 0
		.amdhsa_float_round_mode_16_64 0
		.amdhsa_float_denorm_mode_32 3
		.amdhsa_float_denorm_mode_16_64 3
		.amdhsa_dx10_clamp 1
		.amdhsa_ieee_mode 1
		.amdhsa_fp16_overflow 0
		.amdhsa_tg_split 0
		.amdhsa_exception_fp_ieee_invalid_op 0
		.amdhsa_exception_fp_denorm_src 0
		.amdhsa_exception_fp_ieee_div_zero 0
		.amdhsa_exception_fp_ieee_overflow 0
		.amdhsa_exception_fp_ieee_underflow 0
		.amdhsa_exception_fp_ieee_inexact 0
		.amdhsa_exception_int_div_zero 0
	.end_amdhsa_kernel
	.section	.text._ZN7rocprim17ROCPRIM_400000_NS6detail17trampoline_kernelINS0_14default_configENS1_35radix_sort_onesweep_config_selectorIbiEEZZNS1_29radix_sort_onesweep_iterationIS3_Lb1EN6thrust23THRUST_200600_302600_NS6detail15normal_iteratorINS8_10device_ptrIbEEEESD_NSA_INSB_IiEEEESF_jNS0_19identity_decomposerENS1_16block_id_wrapperIjLb1EEEEE10hipError_tT1_PNSt15iterator_traitsISK_E10value_typeET2_T3_PNSL_ISQ_E10value_typeET4_T5_PSV_SW_PNS1_23onesweep_lookback_stateEbbT6_jjT7_P12ihipStream_tbENKUlT_T0_SK_SP_E_clISD_PbSF_PiEEDaS13_S14_SK_SP_EUlS13_E_NS1_11comp_targetILNS1_3genE6ELNS1_11target_archE950ELNS1_3gpuE13ELNS1_3repE0EEENS1_47radix_sort_onesweep_sort_config_static_selectorELNS0_4arch9wavefront6targetE1EEEvSK_,"axG",@progbits,_ZN7rocprim17ROCPRIM_400000_NS6detail17trampoline_kernelINS0_14default_configENS1_35radix_sort_onesweep_config_selectorIbiEEZZNS1_29radix_sort_onesweep_iterationIS3_Lb1EN6thrust23THRUST_200600_302600_NS6detail15normal_iteratorINS8_10device_ptrIbEEEESD_NSA_INSB_IiEEEESF_jNS0_19identity_decomposerENS1_16block_id_wrapperIjLb1EEEEE10hipError_tT1_PNSt15iterator_traitsISK_E10value_typeET2_T3_PNSL_ISQ_E10value_typeET4_T5_PSV_SW_PNS1_23onesweep_lookback_stateEbbT6_jjT7_P12ihipStream_tbENKUlT_T0_SK_SP_E_clISD_PbSF_PiEEDaS13_S14_SK_SP_EUlS13_E_NS1_11comp_targetILNS1_3genE6ELNS1_11target_archE950ELNS1_3gpuE13ELNS1_3repE0EEENS1_47radix_sort_onesweep_sort_config_static_selectorELNS0_4arch9wavefront6targetE1EEEvSK_,comdat
.Lfunc_end2228:
	.size	_ZN7rocprim17ROCPRIM_400000_NS6detail17trampoline_kernelINS0_14default_configENS1_35radix_sort_onesweep_config_selectorIbiEEZZNS1_29radix_sort_onesweep_iterationIS3_Lb1EN6thrust23THRUST_200600_302600_NS6detail15normal_iteratorINS8_10device_ptrIbEEEESD_NSA_INSB_IiEEEESF_jNS0_19identity_decomposerENS1_16block_id_wrapperIjLb1EEEEE10hipError_tT1_PNSt15iterator_traitsISK_E10value_typeET2_T3_PNSL_ISQ_E10value_typeET4_T5_PSV_SW_PNS1_23onesweep_lookback_stateEbbT6_jjT7_P12ihipStream_tbENKUlT_T0_SK_SP_E_clISD_PbSF_PiEEDaS13_S14_SK_SP_EUlS13_E_NS1_11comp_targetILNS1_3genE6ELNS1_11target_archE950ELNS1_3gpuE13ELNS1_3repE0EEENS1_47radix_sort_onesweep_sort_config_static_selectorELNS0_4arch9wavefront6targetE1EEEvSK_, .Lfunc_end2228-_ZN7rocprim17ROCPRIM_400000_NS6detail17trampoline_kernelINS0_14default_configENS1_35radix_sort_onesweep_config_selectorIbiEEZZNS1_29radix_sort_onesweep_iterationIS3_Lb1EN6thrust23THRUST_200600_302600_NS6detail15normal_iteratorINS8_10device_ptrIbEEEESD_NSA_INSB_IiEEEESF_jNS0_19identity_decomposerENS1_16block_id_wrapperIjLb1EEEEE10hipError_tT1_PNSt15iterator_traitsISK_E10value_typeET2_T3_PNSL_ISQ_E10value_typeET4_T5_PSV_SW_PNS1_23onesweep_lookback_stateEbbT6_jjT7_P12ihipStream_tbENKUlT_T0_SK_SP_E_clISD_PbSF_PiEEDaS13_S14_SK_SP_EUlS13_E_NS1_11comp_targetILNS1_3genE6ELNS1_11target_archE950ELNS1_3gpuE13ELNS1_3repE0EEENS1_47radix_sort_onesweep_sort_config_static_selectorELNS0_4arch9wavefront6targetE1EEEvSK_
                                        ; -- End function
	.set _ZN7rocprim17ROCPRIM_400000_NS6detail17trampoline_kernelINS0_14default_configENS1_35radix_sort_onesweep_config_selectorIbiEEZZNS1_29radix_sort_onesweep_iterationIS3_Lb1EN6thrust23THRUST_200600_302600_NS6detail15normal_iteratorINS8_10device_ptrIbEEEESD_NSA_INSB_IiEEEESF_jNS0_19identity_decomposerENS1_16block_id_wrapperIjLb1EEEEE10hipError_tT1_PNSt15iterator_traitsISK_E10value_typeET2_T3_PNSL_ISQ_E10value_typeET4_T5_PSV_SW_PNS1_23onesweep_lookback_stateEbbT6_jjT7_P12ihipStream_tbENKUlT_T0_SK_SP_E_clISD_PbSF_PiEEDaS13_S14_SK_SP_EUlS13_E_NS1_11comp_targetILNS1_3genE6ELNS1_11target_archE950ELNS1_3gpuE13ELNS1_3repE0EEENS1_47radix_sort_onesweep_sort_config_static_selectorELNS0_4arch9wavefront6targetE1EEEvSK_.num_vgpr, 100
	.set _ZN7rocprim17ROCPRIM_400000_NS6detail17trampoline_kernelINS0_14default_configENS1_35radix_sort_onesweep_config_selectorIbiEEZZNS1_29radix_sort_onesweep_iterationIS3_Lb1EN6thrust23THRUST_200600_302600_NS6detail15normal_iteratorINS8_10device_ptrIbEEEESD_NSA_INSB_IiEEEESF_jNS0_19identity_decomposerENS1_16block_id_wrapperIjLb1EEEEE10hipError_tT1_PNSt15iterator_traitsISK_E10value_typeET2_T3_PNSL_ISQ_E10value_typeET4_T5_PSV_SW_PNS1_23onesweep_lookback_stateEbbT6_jjT7_P12ihipStream_tbENKUlT_T0_SK_SP_E_clISD_PbSF_PiEEDaS13_S14_SK_SP_EUlS13_E_NS1_11comp_targetILNS1_3genE6ELNS1_11target_archE950ELNS1_3gpuE13ELNS1_3repE0EEENS1_47radix_sort_onesweep_sort_config_static_selectorELNS0_4arch9wavefront6targetE1EEEvSK_.num_agpr, 0
	.set _ZN7rocprim17ROCPRIM_400000_NS6detail17trampoline_kernelINS0_14default_configENS1_35radix_sort_onesweep_config_selectorIbiEEZZNS1_29radix_sort_onesweep_iterationIS3_Lb1EN6thrust23THRUST_200600_302600_NS6detail15normal_iteratorINS8_10device_ptrIbEEEESD_NSA_INSB_IiEEEESF_jNS0_19identity_decomposerENS1_16block_id_wrapperIjLb1EEEEE10hipError_tT1_PNSt15iterator_traitsISK_E10value_typeET2_T3_PNSL_ISQ_E10value_typeET4_T5_PSV_SW_PNS1_23onesweep_lookback_stateEbbT6_jjT7_P12ihipStream_tbENKUlT_T0_SK_SP_E_clISD_PbSF_PiEEDaS13_S14_SK_SP_EUlS13_E_NS1_11comp_targetILNS1_3genE6ELNS1_11target_archE950ELNS1_3gpuE13ELNS1_3repE0EEENS1_47radix_sort_onesweep_sort_config_static_selectorELNS0_4arch9wavefront6targetE1EEEvSK_.numbered_sgpr, 96
	.set _ZN7rocprim17ROCPRIM_400000_NS6detail17trampoline_kernelINS0_14default_configENS1_35radix_sort_onesweep_config_selectorIbiEEZZNS1_29radix_sort_onesweep_iterationIS3_Lb1EN6thrust23THRUST_200600_302600_NS6detail15normal_iteratorINS8_10device_ptrIbEEEESD_NSA_INSB_IiEEEESF_jNS0_19identity_decomposerENS1_16block_id_wrapperIjLb1EEEEE10hipError_tT1_PNSt15iterator_traitsISK_E10value_typeET2_T3_PNSL_ISQ_E10value_typeET4_T5_PSV_SW_PNS1_23onesweep_lookback_stateEbbT6_jjT7_P12ihipStream_tbENKUlT_T0_SK_SP_E_clISD_PbSF_PiEEDaS13_S14_SK_SP_EUlS13_E_NS1_11comp_targetILNS1_3genE6ELNS1_11target_archE950ELNS1_3gpuE13ELNS1_3repE0EEENS1_47radix_sort_onesweep_sort_config_static_selectorELNS0_4arch9wavefront6targetE1EEEvSK_.num_named_barrier, 0
	.set _ZN7rocprim17ROCPRIM_400000_NS6detail17trampoline_kernelINS0_14default_configENS1_35radix_sort_onesweep_config_selectorIbiEEZZNS1_29radix_sort_onesweep_iterationIS3_Lb1EN6thrust23THRUST_200600_302600_NS6detail15normal_iteratorINS8_10device_ptrIbEEEESD_NSA_INSB_IiEEEESF_jNS0_19identity_decomposerENS1_16block_id_wrapperIjLb1EEEEE10hipError_tT1_PNSt15iterator_traitsISK_E10value_typeET2_T3_PNSL_ISQ_E10value_typeET4_T5_PSV_SW_PNS1_23onesweep_lookback_stateEbbT6_jjT7_P12ihipStream_tbENKUlT_T0_SK_SP_E_clISD_PbSF_PiEEDaS13_S14_SK_SP_EUlS13_E_NS1_11comp_targetILNS1_3genE6ELNS1_11target_archE950ELNS1_3gpuE13ELNS1_3repE0EEENS1_47radix_sort_onesweep_sort_config_static_selectorELNS0_4arch9wavefront6targetE1EEEvSK_.private_seg_size, 80
	.set _ZN7rocprim17ROCPRIM_400000_NS6detail17trampoline_kernelINS0_14default_configENS1_35radix_sort_onesweep_config_selectorIbiEEZZNS1_29radix_sort_onesweep_iterationIS3_Lb1EN6thrust23THRUST_200600_302600_NS6detail15normal_iteratorINS8_10device_ptrIbEEEESD_NSA_INSB_IiEEEESF_jNS0_19identity_decomposerENS1_16block_id_wrapperIjLb1EEEEE10hipError_tT1_PNSt15iterator_traitsISK_E10value_typeET2_T3_PNSL_ISQ_E10value_typeET4_T5_PSV_SW_PNS1_23onesweep_lookback_stateEbbT6_jjT7_P12ihipStream_tbENKUlT_T0_SK_SP_E_clISD_PbSF_PiEEDaS13_S14_SK_SP_EUlS13_E_NS1_11comp_targetILNS1_3genE6ELNS1_11target_archE950ELNS1_3gpuE13ELNS1_3repE0EEENS1_47radix_sort_onesweep_sort_config_static_selectorELNS0_4arch9wavefront6targetE1EEEvSK_.uses_vcc, 1
	.set _ZN7rocprim17ROCPRIM_400000_NS6detail17trampoline_kernelINS0_14default_configENS1_35radix_sort_onesweep_config_selectorIbiEEZZNS1_29radix_sort_onesweep_iterationIS3_Lb1EN6thrust23THRUST_200600_302600_NS6detail15normal_iteratorINS8_10device_ptrIbEEEESD_NSA_INSB_IiEEEESF_jNS0_19identity_decomposerENS1_16block_id_wrapperIjLb1EEEEE10hipError_tT1_PNSt15iterator_traitsISK_E10value_typeET2_T3_PNSL_ISQ_E10value_typeET4_T5_PSV_SW_PNS1_23onesweep_lookback_stateEbbT6_jjT7_P12ihipStream_tbENKUlT_T0_SK_SP_E_clISD_PbSF_PiEEDaS13_S14_SK_SP_EUlS13_E_NS1_11comp_targetILNS1_3genE6ELNS1_11target_archE950ELNS1_3gpuE13ELNS1_3repE0EEENS1_47radix_sort_onesweep_sort_config_static_selectorELNS0_4arch9wavefront6targetE1EEEvSK_.uses_flat_scratch, 0
	.set _ZN7rocprim17ROCPRIM_400000_NS6detail17trampoline_kernelINS0_14default_configENS1_35radix_sort_onesweep_config_selectorIbiEEZZNS1_29radix_sort_onesweep_iterationIS3_Lb1EN6thrust23THRUST_200600_302600_NS6detail15normal_iteratorINS8_10device_ptrIbEEEESD_NSA_INSB_IiEEEESF_jNS0_19identity_decomposerENS1_16block_id_wrapperIjLb1EEEEE10hipError_tT1_PNSt15iterator_traitsISK_E10value_typeET2_T3_PNSL_ISQ_E10value_typeET4_T5_PSV_SW_PNS1_23onesweep_lookback_stateEbbT6_jjT7_P12ihipStream_tbENKUlT_T0_SK_SP_E_clISD_PbSF_PiEEDaS13_S14_SK_SP_EUlS13_E_NS1_11comp_targetILNS1_3genE6ELNS1_11target_archE950ELNS1_3gpuE13ELNS1_3repE0EEENS1_47radix_sort_onesweep_sort_config_static_selectorELNS0_4arch9wavefront6targetE1EEEvSK_.has_dyn_sized_stack, 0
	.set _ZN7rocprim17ROCPRIM_400000_NS6detail17trampoline_kernelINS0_14default_configENS1_35radix_sort_onesweep_config_selectorIbiEEZZNS1_29radix_sort_onesweep_iterationIS3_Lb1EN6thrust23THRUST_200600_302600_NS6detail15normal_iteratorINS8_10device_ptrIbEEEESD_NSA_INSB_IiEEEESF_jNS0_19identity_decomposerENS1_16block_id_wrapperIjLb1EEEEE10hipError_tT1_PNSt15iterator_traitsISK_E10value_typeET2_T3_PNSL_ISQ_E10value_typeET4_T5_PSV_SW_PNS1_23onesweep_lookback_stateEbbT6_jjT7_P12ihipStream_tbENKUlT_T0_SK_SP_E_clISD_PbSF_PiEEDaS13_S14_SK_SP_EUlS13_E_NS1_11comp_targetILNS1_3genE6ELNS1_11target_archE950ELNS1_3gpuE13ELNS1_3repE0EEENS1_47radix_sort_onesweep_sort_config_static_selectorELNS0_4arch9wavefront6targetE1EEEvSK_.has_recursion, 0
	.set _ZN7rocprim17ROCPRIM_400000_NS6detail17trampoline_kernelINS0_14default_configENS1_35radix_sort_onesweep_config_selectorIbiEEZZNS1_29radix_sort_onesweep_iterationIS3_Lb1EN6thrust23THRUST_200600_302600_NS6detail15normal_iteratorINS8_10device_ptrIbEEEESD_NSA_INSB_IiEEEESF_jNS0_19identity_decomposerENS1_16block_id_wrapperIjLb1EEEEE10hipError_tT1_PNSt15iterator_traitsISK_E10value_typeET2_T3_PNSL_ISQ_E10value_typeET4_T5_PSV_SW_PNS1_23onesweep_lookback_stateEbbT6_jjT7_P12ihipStream_tbENKUlT_T0_SK_SP_E_clISD_PbSF_PiEEDaS13_S14_SK_SP_EUlS13_E_NS1_11comp_targetILNS1_3genE6ELNS1_11target_archE950ELNS1_3gpuE13ELNS1_3repE0EEENS1_47radix_sort_onesweep_sort_config_static_selectorELNS0_4arch9wavefront6targetE1EEEvSK_.has_indirect_call, 0
	.section	.AMDGPU.csdata,"",@progbits
; Kernel info:
; codeLenInByte = 15348
; TotalNumSgprs: 102
; NumVgprs: 100
; NumAgprs: 0
; TotalNumVgprs: 100
; ScratchSize: 80
; MemoryBound: 0
; FloatMode: 240
; IeeeMode: 1
; LDSByteSize: 20552 bytes/workgroup (compile time only)
; SGPRBlocks: 12
; VGPRBlocks: 12
; NumSGPRsForWavesPerEU: 102
; NumVGPRsForWavesPerEU: 100
; AccumOffset: 100
; Occupancy: 4
; WaveLimiterHint : 1
; COMPUTE_PGM_RSRC2:SCRATCH_EN: 1
; COMPUTE_PGM_RSRC2:USER_SGPR: 2
; COMPUTE_PGM_RSRC2:TRAP_HANDLER: 0
; COMPUTE_PGM_RSRC2:TGID_X_EN: 1
; COMPUTE_PGM_RSRC2:TGID_Y_EN: 0
; COMPUTE_PGM_RSRC2:TGID_Z_EN: 0
; COMPUTE_PGM_RSRC2:TIDIG_COMP_CNT: 2
; COMPUTE_PGM_RSRC3_GFX90A:ACCUM_OFFSET: 24
; COMPUTE_PGM_RSRC3_GFX90A:TG_SPLIT: 0
	.section	.text._ZN7rocprim17ROCPRIM_400000_NS6detail17trampoline_kernelINS0_14default_configENS1_35radix_sort_onesweep_config_selectorIbiEEZZNS1_29radix_sort_onesweep_iterationIS3_Lb1EN6thrust23THRUST_200600_302600_NS6detail15normal_iteratorINS8_10device_ptrIbEEEESD_NSA_INSB_IiEEEESF_jNS0_19identity_decomposerENS1_16block_id_wrapperIjLb1EEEEE10hipError_tT1_PNSt15iterator_traitsISK_E10value_typeET2_T3_PNSL_ISQ_E10value_typeET4_T5_PSV_SW_PNS1_23onesweep_lookback_stateEbbT6_jjT7_P12ihipStream_tbENKUlT_T0_SK_SP_E_clISD_PbSF_PiEEDaS13_S14_SK_SP_EUlS13_E_NS1_11comp_targetILNS1_3genE5ELNS1_11target_archE942ELNS1_3gpuE9ELNS1_3repE0EEENS1_47radix_sort_onesweep_sort_config_static_selectorELNS0_4arch9wavefront6targetE1EEEvSK_,"axG",@progbits,_ZN7rocprim17ROCPRIM_400000_NS6detail17trampoline_kernelINS0_14default_configENS1_35radix_sort_onesweep_config_selectorIbiEEZZNS1_29radix_sort_onesweep_iterationIS3_Lb1EN6thrust23THRUST_200600_302600_NS6detail15normal_iteratorINS8_10device_ptrIbEEEESD_NSA_INSB_IiEEEESF_jNS0_19identity_decomposerENS1_16block_id_wrapperIjLb1EEEEE10hipError_tT1_PNSt15iterator_traitsISK_E10value_typeET2_T3_PNSL_ISQ_E10value_typeET4_T5_PSV_SW_PNS1_23onesweep_lookback_stateEbbT6_jjT7_P12ihipStream_tbENKUlT_T0_SK_SP_E_clISD_PbSF_PiEEDaS13_S14_SK_SP_EUlS13_E_NS1_11comp_targetILNS1_3genE5ELNS1_11target_archE942ELNS1_3gpuE9ELNS1_3repE0EEENS1_47radix_sort_onesweep_sort_config_static_selectorELNS0_4arch9wavefront6targetE1EEEvSK_,comdat
	.protected	_ZN7rocprim17ROCPRIM_400000_NS6detail17trampoline_kernelINS0_14default_configENS1_35radix_sort_onesweep_config_selectorIbiEEZZNS1_29radix_sort_onesweep_iterationIS3_Lb1EN6thrust23THRUST_200600_302600_NS6detail15normal_iteratorINS8_10device_ptrIbEEEESD_NSA_INSB_IiEEEESF_jNS0_19identity_decomposerENS1_16block_id_wrapperIjLb1EEEEE10hipError_tT1_PNSt15iterator_traitsISK_E10value_typeET2_T3_PNSL_ISQ_E10value_typeET4_T5_PSV_SW_PNS1_23onesweep_lookback_stateEbbT6_jjT7_P12ihipStream_tbENKUlT_T0_SK_SP_E_clISD_PbSF_PiEEDaS13_S14_SK_SP_EUlS13_E_NS1_11comp_targetILNS1_3genE5ELNS1_11target_archE942ELNS1_3gpuE9ELNS1_3repE0EEENS1_47radix_sort_onesweep_sort_config_static_selectorELNS0_4arch9wavefront6targetE1EEEvSK_ ; -- Begin function _ZN7rocprim17ROCPRIM_400000_NS6detail17trampoline_kernelINS0_14default_configENS1_35radix_sort_onesweep_config_selectorIbiEEZZNS1_29radix_sort_onesweep_iterationIS3_Lb1EN6thrust23THRUST_200600_302600_NS6detail15normal_iteratorINS8_10device_ptrIbEEEESD_NSA_INSB_IiEEEESF_jNS0_19identity_decomposerENS1_16block_id_wrapperIjLb1EEEEE10hipError_tT1_PNSt15iterator_traitsISK_E10value_typeET2_T3_PNSL_ISQ_E10value_typeET4_T5_PSV_SW_PNS1_23onesweep_lookback_stateEbbT6_jjT7_P12ihipStream_tbENKUlT_T0_SK_SP_E_clISD_PbSF_PiEEDaS13_S14_SK_SP_EUlS13_E_NS1_11comp_targetILNS1_3genE5ELNS1_11target_archE942ELNS1_3gpuE9ELNS1_3repE0EEENS1_47radix_sort_onesweep_sort_config_static_selectorELNS0_4arch9wavefront6targetE1EEEvSK_
	.globl	_ZN7rocprim17ROCPRIM_400000_NS6detail17trampoline_kernelINS0_14default_configENS1_35radix_sort_onesweep_config_selectorIbiEEZZNS1_29radix_sort_onesweep_iterationIS3_Lb1EN6thrust23THRUST_200600_302600_NS6detail15normal_iteratorINS8_10device_ptrIbEEEESD_NSA_INSB_IiEEEESF_jNS0_19identity_decomposerENS1_16block_id_wrapperIjLb1EEEEE10hipError_tT1_PNSt15iterator_traitsISK_E10value_typeET2_T3_PNSL_ISQ_E10value_typeET4_T5_PSV_SW_PNS1_23onesweep_lookback_stateEbbT6_jjT7_P12ihipStream_tbENKUlT_T0_SK_SP_E_clISD_PbSF_PiEEDaS13_S14_SK_SP_EUlS13_E_NS1_11comp_targetILNS1_3genE5ELNS1_11target_archE942ELNS1_3gpuE9ELNS1_3repE0EEENS1_47radix_sort_onesweep_sort_config_static_selectorELNS0_4arch9wavefront6targetE1EEEvSK_
	.p2align	8
	.type	_ZN7rocprim17ROCPRIM_400000_NS6detail17trampoline_kernelINS0_14default_configENS1_35radix_sort_onesweep_config_selectorIbiEEZZNS1_29radix_sort_onesweep_iterationIS3_Lb1EN6thrust23THRUST_200600_302600_NS6detail15normal_iteratorINS8_10device_ptrIbEEEESD_NSA_INSB_IiEEEESF_jNS0_19identity_decomposerENS1_16block_id_wrapperIjLb1EEEEE10hipError_tT1_PNSt15iterator_traitsISK_E10value_typeET2_T3_PNSL_ISQ_E10value_typeET4_T5_PSV_SW_PNS1_23onesweep_lookback_stateEbbT6_jjT7_P12ihipStream_tbENKUlT_T0_SK_SP_E_clISD_PbSF_PiEEDaS13_S14_SK_SP_EUlS13_E_NS1_11comp_targetILNS1_3genE5ELNS1_11target_archE942ELNS1_3gpuE9ELNS1_3repE0EEENS1_47radix_sort_onesweep_sort_config_static_selectorELNS0_4arch9wavefront6targetE1EEEvSK_,@function
_ZN7rocprim17ROCPRIM_400000_NS6detail17trampoline_kernelINS0_14default_configENS1_35radix_sort_onesweep_config_selectorIbiEEZZNS1_29radix_sort_onesweep_iterationIS3_Lb1EN6thrust23THRUST_200600_302600_NS6detail15normal_iteratorINS8_10device_ptrIbEEEESD_NSA_INSB_IiEEEESF_jNS0_19identity_decomposerENS1_16block_id_wrapperIjLb1EEEEE10hipError_tT1_PNSt15iterator_traitsISK_E10value_typeET2_T3_PNSL_ISQ_E10value_typeET4_T5_PSV_SW_PNS1_23onesweep_lookback_stateEbbT6_jjT7_P12ihipStream_tbENKUlT_T0_SK_SP_E_clISD_PbSF_PiEEDaS13_S14_SK_SP_EUlS13_E_NS1_11comp_targetILNS1_3genE5ELNS1_11target_archE942ELNS1_3gpuE9ELNS1_3repE0EEENS1_47radix_sort_onesweep_sort_config_static_selectorELNS0_4arch9wavefront6targetE1EEEvSK_: ; @_ZN7rocprim17ROCPRIM_400000_NS6detail17trampoline_kernelINS0_14default_configENS1_35radix_sort_onesweep_config_selectorIbiEEZZNS1_29radix_sort_onesweep_iterationIS3_Lb1EN6thrust23THRUST_200600_302600_NS6detail15normal_iteratorINS8_10device_ptrIbEEEESD_NSA_INSB_IiEEEESF_jNS0_19identity_decomposerENS1_16block_id_wrapperIjLb1EEEEE10hipError_tT1_PNSt15iterator_traitsISK_E10value_typeET2_T3_PNSL_ISQ_E10value_typeET4_T5_PSV_SW_PNS1_23onesweep_lookback_stateEbbT6_jjT7_P12ihipStream_tbENKUlT_T0_SK_SP_E_clISD_PbSF_PiEEDaS13_S14_SK_SP_EUlS13_E_NS1_11comp_targetILNS1_3genE5ELNS1_11target_archE942ELNS1_3gpuE9ELNS1_3repE0EEENS1_47radix_sort_onesweep_sort_config_static_selectorELNS0_4arch9wavefront6targetE1EEEvSK_
; %bb.0:
	.section	.rodata,"a",@progbits
	.p2align	6, 0x0
	.amdhsa_kernel _ZN7rocprim17ROCPRIM_400000_NS6detail17trampoline_kernelINS0_14default_configENS1_35radix_sort_onesweep_config_selectorIbiEEZZNS1_29radix_sort_onesweep_iterationIS3_Lb1EN6thrust23THRUST_200600_302600_NS6detail15normal_iteratorINS8_10device_ptrIbEEEESD_NSA_INSB_IiEEEESF_jNS0_19identity_decomposerENS1_16block_id_wrapperIjLb1EEEEE10hipError_tT1_PNSt15iterator_traitsISK_E10value_typeET2_T3_PNSL_ISQ_E10value_typeET4_T5_PSV_SW_PNS1_23onesweep_lookback_stateEbbT6_jjT7_P12ihipStream_tbENKUlT_T0_SK_SP_E_clISD_PbSF_PiEEDaS13_S14_SK_SP_EUlS13_E_NS1_11comp_targetILNS1_3genE5ELNS1_11target_archE942ELNS1_3gpuE9ELNS1_3repE0EEENS1_47radix_sort_onesweep_sort_config_static_selectorELNS0_4arch9wavefront6targetE1EEEvSK_
		.amdhsa_group_segment_fixed_size 0
		.amdhsa_private_segment_fixed_size 0
		.amdhsa_kernarg_size 88
		.amdhsa_user_sgpr_count 2
		.amdhsa_user_sgpr_dispatch_ptr 0
		.amdhsa_user_sgpr_queue_ptr 0
		.amdhsa_user_sgpr_kernarg_segment_ptr 1
		.amdhsa_user_sgpr_dispatch_id 0
		.amdhsa_user_sgpr_kernarg_preload_length 0
		.amdhsa_user_sgpr_kernarg_preload_offset 0
		.amdhsa_user_sgpr_private_segment_size 0
		.amdhsa_uses_dynamic_stack 0
		.amdhsa_enable_private_segment 0
		.amdhsa_system_sgpr_workgroup_id_x 1
		.amdhsa_system_sgpr_workgroup_id_y 0
		.amdhsa_system_sgpr_workgroup_id_z 0
		.amdhsa_system_sgpr_workgroup_info 0
		.amdhsa_system_vgpr_workitem_id 0
		.amdhsa_next_free_vgpr 1
		.amdhsa_next_free_sgpr 0
		.amdhsa_accum_offset 4
		.amdhsa_reserve_vcc 0
		.amdhsa_float_round_mode_32 0
		.amdhsa_float_round_mode_16_64 0
		.amdhsa_float_denorm_mode_32 3
		.amdhsa_float_denorm_mode_16_64 3
		.amdhsa_dx10_clamp 1
		.amdhsa_ieee_mode 1
		.amdhsa_fp16_overflow 0
		.amdhsa_tg_split 0
		.amdhsa_exception_fp_ieee_invalid_op 0
		.amdhsa_exception_fp_denorm_src 0
		.amdhsa_exception_fp_ieee_div_zero 0
		.amdhsa_exception_fp_ieee_overflow 0
		.amdhsa_exception_fp_ieee_underflow 0
		.amdhsa_exception_fp_ieee_inexact 0
		.amdhsa_exception_int_div_zero 0
	.end_amdhsa_kernel
	.section	.text._ZN7rocprim17ROCPRIM_400000_NS6detail17trampoline_kernelINS0_14default_configENS1_35radix_sort_onesweep_config_selectorIbiEEZZNS1_29radix_sort_onesweep_iterationIS3_Lb1EN6thrust23THRUST_200600_302600_NS6detail15normal_iteratorINS8_10device_ptrIbEEEESD_NSA_INSB_IiEEEESF_jNS0_19identity_decomposerENS1_16block_id_wrapperIjLb1EEEEE10hipError_tT1_PNSt15iterator_traitsISK_E10value_typeET2_T3_PNSL_ISQ_E10value_typeET4_T5_PSV_SW_PNS1_23onesweep_lookback_stateEbbT6_jjT7_P12ihipStream_tbENKUlT_T0_SK_SP_E_clISD_PbSF_PiEEDaS13_S14_SK_SP_EUlS13_E_NS1_11comp_targetILNS1_3genE5ELNS1_11target_archE942ELNS1_3gpuE9ELNS1_3repE0EEENS1_47radix_sort_onesweep_sort_config_static_selectorELNS0_4arch9wavefront6targetE1EEEvSK_,"axG",@progbits,_ZN7rocprim17ROCPRIM_400000_NS6detail17trampoline_kernelINS0_14default_configENS1_35radix_sort_onesweep_config_selectorIbiEEZZNS1_29radix_sort_onesweep_iterationIS3_Lb1EN6thrust23THRUST_200600_302600_NS6detail15normal_iteratorINS8_10device_ptrIbEEEESD_NSA_INSB_IiEEEESF_jNS0_19identity_decomposerENS1_16block_id_wrapperIjLb1EEEEE10hipError_tT1_PNSt15iterator_traitsISK_E10value_typeET2_T3_PNSL_ISQ_E10value_typeET4_T5_PSV_SW_PNS1_23onesweep_lookback_stateEbbT6_jjT7_P12ihipStream_tbENKUlT_T0_SK_SP_E_clISD_PbSF_PiEEDaS13_S14_SK_SP_EUlS13_E_NS1_11comp_targetILNS1_3genE5ELNS1_11target_archE942ELNS1_3gpuE9ELNS1_3repE0EEENS1_47radix_sort_onesweep_sort_config_static_selectorELNS0_4arch9wavefront6targetE1EEEvSK_,comdat
.Lfunc_end2229:
	.size	_ZN7rocprim17ROCPRIM_400000_NS6detail17trampoline_kernelINS0_14default_configENS1_35radix_sort_onesweep_config_selectorIbiEEZZNS1_29radix_sort_onesweep_iterationIS3_Lb1EN6thrust23THRUST_200600_302600_NS6detail15normal_iteratorINS8_10device_ptrIbEEEESD_NSA_INSB_IiEEEESF_jNS0_19identity_decomposerENS1_16block_id_wrapperIjLb1EEEEE10hipError_tT1_PNSt15iterator_traitsISK_E10value_typeET2_T3_PNSL_ISQ_E10value_typeET4_T5_PSV_SW_PNS1_23onesweep_lookback_stateEbbT6_jjT7_P12ihipStream_tbENKUlT_T0_SK_SP_E_clISD_PbSF_PiEEDaS13_S14_SK_SP_EUlS13_E_NS1_11comp_targetILNS1_3genE5ELNS1_11target_archE942ELNS1_3gpuE9ELNS1_3repE0EEENS1_47radix_sort_onesweep_sort_config_static_selectorELNS0_4arch9wavefront6targetE1EEEvSK_, .Lfunc_end2229-_ZN7rocprim17ROCPRIM_400000_NS6detail17trampoline_kernelINS0_14default_configENS1_35radix_sort_onesweep_config_selectorIbiEEZZNS1_29radix_sort_onesweep_iterationIS3_Lb1EN6thrust23THRUST_200600_302600_NS6detail15normal_iteratorINS8_10device_ptrIbEEEESD_NSA_INSB_IiEEEESF_jNS0_19identity_decomposerENS1_16block_id_wrapperIjLb1EEEEE10hipError_tT1_PNSt15iterator_traitsISK_E10value_typeET2_T3_PNSL_ISQ_E10value_typeET4_T5_PSV_SW_PNS1_23onesweep_lookback_stateEbbT6_jjT7_P12ihipStream_tbENKUlT_T0_SK_SP_E_clISD_PbSF_PiEEDaS13_S14_SK_SP_EUlS13_E_NS1_11comp_targetILNS1_3genE5ELNS1_11target_archE942ELNS1_3gpuE9ELNS1_3repE0EEENS1_47radix_sort_onesweep_sort_config_static_selectorELNS0_4arch9wavefront6targetE1EEEvSK_
                                        ; -- End function
	.set _ZN7rocprim17ROCPRIM_400000_NS6detail17trampoline_kernelINS0_14default_configENS1_35radix_sort_onesweep_config_selectorIbiEEZZNS1_29radix_sort_onesweep_iterationIS3_Lb1EN6thrust23THRUST_200600_302600_NS6detail15normal_iteratorINS8_10device_ptrIbEEEESD_NSA_INSB_IiEEEESF_jNS0_19identity_decomposerENS1_16block_id_wrapperIjLb1EEEEE10hipError_tT1_PNSt15iterator_traitsISK_E10value_typeET2_T3_PNSL_ISQ_E10value_typeET4_T5_PSV_SW_PNS1_23onesweep_lookback_stateEbbT6_jjT7_P12ihipStream_tbENKUlT_T0_SK_SP_E_clISD_PbSF_PiEEDaS13_S14_SK_SP_EUlS13_E_NS1_11comp_targetILNS1_3genE5ELNS1_11target_archE942ELNS1_3gpuE9ELNS1_3repE0EEENS1_47radix_sort_onesweep_sort_config_static_selectorELNS0_4arch9wavefront6targetE1EEEvSK_.num_vgpr, 0
	.set _ZN7rocprim17ROCPRIM_400000_NS6detail17trampoline_kernelINS0_14default_configENS1_35radix_sort_onesweep_config_selectorIbiEEZZNS1_29radix_sort_onesweep_iterationIS3_Lb1EN6thrust23THRUST_200600_302600_NS6detail15normal_iteratorINS8_10device_ptrIbEEEESD_NSA_INSB_IiEEEESF_jNS0_19identity_decomposerENS1_16block_id_wrapperIjLb1EEEEE10hipError_tT1_PNSt15iterator_traitsISK_E10value_typeET2_T3_PNSL_ISQ_E10value_typeET4_T5_PSV_SW_PNS1_23onesweep_lookback_stateEbbT6_jjT7_P12ihipStream_tbENKUlT_T0_SK_SP_E_clISD_PbSF_PiEEDaS13_S14_SK_SP_EUlS13_E_NS1_11comp_targetILNS1_3genE5ELNS1_11target_archE942ELNS1_3gpuE9ELNS1_3repE0EEENS1_47radix_sort_onesweep_sort_config_static_selectorELNS0_4arch9wavefront6targetE1EEEvSK_.num_agpr, 0
	.set _ZN7rocprim17ROCPRIM_400000_NS6detail17trampoline_kernelINS0_14default_configENS1_35radix_sort_onesweep_config_selectorIbiEEZZNS1_29radix_sort_onesweep_iterationIS3_Lb1EN6thrust23THRUST_200600_302600_NS6detail15normal_iteratorINS8_10device_ptrIbEEEESD_NSA_INSB_IiEEEESF_jNS0_19identity_decomposerENS1_16block_id_wrapperIjLb1EEEEE10hipError_tT1_PNSt15iterator_traitsISK_E10value_typeET2_T3_PNSL_ISQ_E10value_typeET4_T5_PSV_SW_PNS1_23onesweep_lookback_stateEbbT6_jjT7_P12ihipStream_tbENKUlT_T0_SK_SP_E_clISD_PbSF_PiEEDaS13_S14_SK_SP_EUlS13_E_NS1_11comp_targetILNS1_3genE5ELNS1_11target_archE942ELNS1_3gpuE9ELNS1_3repE0EEENS1_47radix_sort_onesweep_sort_config_static_selectorELNS0_4arch9wavefront6targetE1EEEvSK_.numbered_sgpr, 0
	.set _ZN7rocprim17ROCPRIM_400000_NS6detail17trampoline_kernelINS0_14default_configENS1_35radix_sort_onesweep_config_selectorIbiEEZZNS1_29radix_sort_onesweep_iterationIS3_Lb1EN6thrust23THRUST_200600_302600_NS6detail15normal_iteratorINS8_10device_ptrIbEEEESD_NSA_INSB_IiEEEESF_jNS0_19identity_decomposerENS1_16block_id_wrapperIjLb1EEEEE10hipError_tT1_PNSt15iterator_traitsISK_E10value_typeET2_T3_PNSL_ISQ_E10value_typeET4_T5_PSV_SW_PNS1_23onesweep_lookback_stateEbbT6_jjT7_P12ihipStream_tbENKUlT_T0_SK_SP_E_clISD_PbSF_PiEEDaS13_S14_SK_SP_EUlS13_E_NS1_11comp_targetILNS1_3genE5ELNS1_11target_archE942ELNS1_3gpuE9ELNS1_3repE0EEENS1_47radix_sort_onesweep_sort_config_static_selectorELNS0_4arch9wavefront6targetE1EEEvSK_.num_named_barrier, 0
	.set _ZN7rocprim17ROCPRIM_400000_NS6detail17trampoline_kernelINS0_14default_configENS1_35radix_sort_onesweep_config_selectorIbiEEZZNS1_29radix_sort_onesweep_iterationIS3_Lb1EN6thrust23THRUST_200600_302600_NS6detail15normal_iteratorINS8_10device_ptrIbEEEESD_NSA_INSB_IiEEEESF_jNS0_19identity_decomposerENS1_16block_id_wrapperIjLb1EEEEE10hipError_tT1_PNSt15iterator_traitsISK_E10value_typeET2_T3_PNSL_ISQ_E10value_typeET4_T5_PSV_SW_PNS1_23onesweep_lookback_stateEbbT6_jjT7_P12ihipStream_tbENKUlT_T0_SK_SP_E_clISD_PbSF_PiEEDaS13_S14_SK_SP_EUlS13_E_NS1_11comp_targetILNS1_3genE5ELNS1_11target_archE942ELNS1_3gpuE9ELNS1_3repE0EEENS1_47radix_sort_onesweep_sort_config_static_selectorELNS0_4arch9wavefront6targetE1EEEvSK_.private_seg_size, 0
	.set _ZN7rocprim17ROCPRIM_400000_NS6detail17trampoline_kernelINS0_14default_configENS1_35radix_sort_onesweep_config_selectorIbiEEZZNS1_29radix_sort_onesweep_iterationIS3_Lb1EN6thrust23THRUST_200600_302600_NS6detail15normal_iteratorINS8_10device_ptrIbEEEESD_NSA_INSB_IiEEEESF_jNS0_19identity_decomposerENS1_16block_id_wrapperIjLb1EEEEE10hipError_tT1_PNSt15iterator_traitsISK_E10value_typeET2_T3_PNSL_ISQ_E10value_typeET4_T5_PSV_SW_PNS1_23onesweep_lookback_stateEbbT6_jjT7_P12ihipStream_tbENKUlT_T0_SK_SP_E_clISD_PbSF_PiEEDaS13_S14_SK_SP_EUlS13_E_NS1_11comp_targetILNS1_3genE5ELNS1_11target_archE942ELNS1_3gpuE9ELNS1_3repE0EEENS1_47radix_sort_onesweep_sort_config_static_selectorELNS0_4arch9wavefront6targetE1EEEvSK_.uses_vcc, 0
	.set _ZN7rocprim17ROCPRIM_400000_NS6detail17trampoline_kernelINS0_14default_configENS1_35radix_sort_onesweep_config_selectorIbiEEZZNS1_29radix_sort_onesweep_iterationIS3_Lb1EN6thrust23THRUST_200600_302600_NS6detail15normal_iteratorINS8_10device_ptrIbEEEESD_NSA_INSB_IiEEEESF_jNS0_19identity_decomposerENS1_16block_id_wrapperIjLb1EEEEE10hipError_tT1_PNSt15iterator_traitsISK_E10value_typeET2_T3_PNSL_ISQ_E10value_typeET4_T5_PSV_SW_PNS1_23onesweep_lookback_stateEbbT6_jjT7_P12ihipStream_tbENKUlT_T0_SK_SP_E_clISD_PbSF_PiEEDaS13_S14_SK_SP_EUlS13_E_NS1_11comp_targetILNS1_3genE5ELNS1_11target_archE942ELNS1_3gpuE9ELNS1_3repE0EEENS1_47radix_sort_onesweep_sort_config_static_selectorELNS0_4arch9wavefront6targetE1EEEvSK_.uses_flat_scratch, 0
	.set _ZN7rocprim17ROCPRIM_400000_NS6detail17trampoline_kernelINS0_14default_configENS1_35radix_sort_onesweep_config_selectorIbiEEZZNS1_29radix_sort_onesweep_iterationIS3_Lb1EN6thrust23THRUST_200600_302600_NS6detail15normal_iteratorINS8_10device_ptrIbEEEESD_NSA_INSB_IiEEEESF_jNS0_19identity_decomposerENS1_16block_id_wrapperIjLb1EEEEE10hipError_tT1_PNSt15iterator_traitsISK_E10value_typeET2_T3_PNSL_ISQ_E10value_typeET4_T5_PSV_SW_PNS1_23onesweep_lookback_stateEbbT6_jjT7_P12ihipStream_tbENKUlT_T0_SK_SP_E_clISD_PbSF_PiEEDaS13_S14_SK_SP_EUlS13_E_NS1_11comp_targetILNS1_3genE5ELNS1_11target_archE942ELNS1_3gpuE9ELNS1_3repE0EEENS1_47radix_sort_onesweep_sort_config_static_selectorELNS0_4arch9wavefront6targetE1EEEvSK_.has_dyn_sized_stack, 0
	.set _ZN7rocprim17ROCPRIM_400000_NS6detail17trampoline_kernelINS0_14default_configENS1_35radix_sort_onesweep_config_selectorIbiEEZZNS1_29radix_sort_onesweep_iterationIS3_Lb1EN6thrust23THRUST_200600_302600_NS6detail15normal_iteratorINS8_10device_ptrIbEEEESD_NSA_INSB_IiEEEESF_jNS0_19identity_decomposerENS1_16block_id_wrapperIjLb1EEEEE10hipError_tT1_PNSt15iterator_traitsISK_E10value_typeET2_T3_PNSL_ISQ_E10value_typeET4_T5_PSV_SW_PNS1_23onesweep_lookback_stateEbbT6_jjT7_P12ihipStream_tbENKUlT_T0_SK_SP_E_clISD_PbSF_PiEEDaS13_S14_SK_SP_EUlS13_E_NS1_11comp_targetILNS1_3genE5ELNS1_11target_archE942ELNS1_3gpuE9ELNS1_3repE0EEENS1_47radix_sort_onesweep_sort_config_static_selectorELNS0_4arch9wavefront6targetE1EEEvSK_.has_recursion, 0
	.set _ZN7rocprim17ROCPRIM_400000_NS6detail17trampoline_kernelINS0_14default_configENS1_35radix_sort_onesweep_config_selectorIbiEEZZNS1_29radix_sort_onesweep_iterationIS3_Lb1EN6thrust23THRUST_200600_302600_NS6detail15normal_iteratorINS8_10device_ptrIbEEEESD_NSA_INSB_IiEEEESF_jNS0_19identity_decomposerENS1_16block_id_wrapperIjLb1EEEEE10hipError_tT1_PNSt15iterator_traitsISK_E10value_typeET2_T3_PNSL_ISQ_E10value_typeET4_T5_PSV_SW_PNS1_23onesweep_lookback_stateEbbT6_jjT7_P12ihipStream_tbENKUlT_T0_SK_SP_E_clISD_PbSF_PiEEDaS13_S14_SK_SP_EUlS13_E_NS1_11comp_targetILNS1_3genE5ELNS1_11target_archE942ELNS1_3gpuE9ELNS1_3repE0EEENS1_47radix_sort_onesweep_sort_config_static_selectorELNS0_4arch9wavefront6targetE1EEEvSK_.has_indirect_call, 0
	.section	.AMDGPU.csdata,"",@progbits
; Kernel info:
; codeLenInByte = 0
; TotalNumSgprs: 6
; NumVgprs: 0
; NumAgprs: 0
; TotalNumVgprs: 0
; ScratchSize: 0
; MemoryBound: 0
; FloatMode: 240
; IeeeMode: 1
; LDSByteSize: 0 bytes/workgroup (compile time only)
; SGPRBlocks: 0
; VGPRBlocks: 0
; NumSGPRsForWavesPerEU: 6
; NumVGPRsForWavesPerEU: 1
; AccumOffset: 4
; Occupancy: 8
; WaveLimiterHint : 0
; COMPUTE_PGM_RSRC2:SCRATCH_EN: 0
; COMPUTE_PGM_RSRC2:USER_SGPR: 2
; COMPUTE_PGM_RSRC2:TRAP_HANDLER: 0
; COMPUTE_PGM_RSRC2:TGID_X_EN: 1
; COMPUTE_PGM_RSRC2:TGID_Y_EN: 0
; COMPUTE_PGM_RSRC2:TGID_Z_EN: 0
; COMPUTE_PGM_RSRC2:TIDIG_COMP_CNT: 0
; COMPUTE_PGM_RSRC3_GFX90A:ACCUM_OFFSET: 0
; COMPUTE_PGM_RSRC3_GFX90A:TG_SPLIT: 0
	.section	.text._ZN7rocprim17ROCPRIM_400000_NS6detail17trampoline_kernelINS0_14default_configENS1_35radix_sort_onesweep_config_selectorIbiEEZZNS1_29radix_sort_onesweep_iterationIS3_Lb1EN6thrust23THRUST_200600_302600_NS6detail15normal_iteratorINS8_10device_ptrIbEEEESD_NSA_INSB_IiEEEESF_jNS0_19identity_decomposerENS1_16block_id_wrapperIjLb1EEEEE10hipError_tT1_PNSt15iterator_traitsISK_E10value_typeET2_T3_PNSL_ISQ_E10value_typeET4_T5_PSV_SW_PNS1_23onesweep_lookback_stateEbbT6_jjT7_P12ihipStream_tbENKUlT_T0_SK_SP_E_clISD_PbSF_PiEEDaS13_S14_SK_SP_EUlS13_E_NS1_11comp_targetILNS1_3genE2ELNS1_11target_archE906ELNS1_3gpuE6ELNS1_3repE0EEENS1_47radix_sort_onesweep_sort_config_static_selectorELNS0_4arch9wavefront6targetE1EEEvSK_,"axG",@progbits,_ZN7rocprim17ROCPRIM_400000_NS6detail17trampoline_kernelINS0_14default_configENS1_35radix_sort_onesweep_config_selectorIbiEEZZNS1_29radix_sort_onesweep_iterationIS3_Lb1EN6thrust23THRUST_200600_302600_NS6detail15normal_iteratorINS8_10device_ptrIbEEEESD_NSA_INSB_IiEEEESF_jNS0_19identity_decomposerENS1_16block_id_wrapperIjLb1EEEEE10hipError_tT1_PNSt15iterator_traitsISK_E10value_typeET2_T3_PNSL_ISQ_E10value_typeET4_T5_PSV_SW_PNS1_23onesweep_lookback_stateEbbT6_jjT7_P12ihipStream_tbENKUlT_T0_SK_SP_E_clISD_PbSF_PiEEDaS13_S14_SK_SP_EUlS13_E_NS1_11comp_targetILNS1_3genE2ELNS1_11target_archE906ELNS1_3gpuE6ELNS1_3repE0EEENS1_47radix_sort_onesweep_sort_config_static_selectorELNS0_4arch9wavefront6targetE1EEEvSK_,comdat
	.protected	_ZN7rocprim17ROCPRIM_400000_NS6detail17trampoline_kernelINS0_14default_configENS1_35radix_sort_onesweep_config_selectorIbiEEZZNS1_29radix_sort_onesweep_iterationIS3_Lb1EN6thrust23THRUST_200600_302600_NS6detail15normal_iteratorINS8_10device_ptrIbEEEESD_NSA_INSB_IiEEEESF_jNS0_19identity_decomposerENS1_16block_id_wrapperIjLb1EEEEE10hipError_tT1_PNSt15iterator_traitsISK_E10value_typeET2_T3_PNSL_ISQ_E10value_typeET4_T5_PSV_SW_PNS1_23onesweep_lookback_stateEbbT6_jjT7_P12ihipStream_tbENKUlT_T0_SK_SP_E_clISD_PbSF_PiEEDaS13_S14_SK_SP_EUlS13_E_NS1_11comp_targetILNS1_3genE2ELNS1_11target_archE906ELNS1_3gpuE6ELNS1_3repE0EEENS1_47radix_sort_onesweep_sort_config_static_selectorELNS0_4arch9wavefront6targetE1EEEvSK_ ; -- Begin function _ZN7rocprim17ROCPRIM_400000_NS6detail17trampoline_kernelINS0_14default_configENS1_35radix_sort_onesweep_config_selectorIbiEEZZNS1_29radix_sort_onesweep_iterationIS3_Lb1EN6thrust23THRUST_200600_302600_NS6detail15normal_iteratorINS8_10device_ptrIbEEEESD_NSA_INSB_IiEEEESF_jNS0_19identity_decomposerENS1_16block_id_wrapperIjLb1EEEEE10hipError_tT1_PNSt15iterator_traitsISK_E10value_typeET2_T3_PNSL_ISQ_E10value_typeET4_T5_PSV_SW_PNS1_23onesweep_lookback_stateEbbT6_jjT7_P12ihipStream_tbENKUlT_T0_SK_SP_E_clISD_PbSF_PiEEDaS13_S14_SK_SP_EUlS13_E_NS1_11comp_targetILNS1_3genE2ELNS1_11target_archE906ELNS1_3gpuE6ELNS1_3repE0EEENS1_47radix_sort_onesweep_sort_config_static_selectorELNS0_4arch9wavefront6targetE1EEEvSK_
	.globl	_ZN7rocprim17ROCPRIM_400000_NS6detail17trampoline_kernelINS0_14default_configENS1_35radix_sort_onesweep_config_selectorIbiEEZZNS1_29radix_sort_onesweep_iterationIS3_Lb1EN6thrust23THRUST_200600_302600_NS6detail15normal_iteratorINS8_10device_ptrIbEEEESD_NSA_INSB_IiEEEESF_jNS0_19identity_decomposerENS1_16block_id_wrapperIjLb1EEEEE10hipError_tT1_PNSt15iterator_traitsISK_E10value_typeET2_T3_PNSL_ISQ_E10value_typeET4_T5_PSV_SW_PNS1_23onesweep_lookback_stateEbbT6_jjT7_P12ihipStream_tbENKUlT_T0_SK_SP_E_clISD_PbSF_PiEEDaS13_S14_SK_SP_EUlS13_E_NS1_11comp_targetILNS1_3genE2ELNS1_11target_archE906ELNS1_3gpuE6ELNS1_3repE0EEENS1_47radix_sort_onesweep_sort_config_static_selectorELNS0_4arch9wavefront6targetE1EEEvSK_
	.p2align	8
	.type	_ZN7rocprim17ROCPRIM_400000_NS6detail17trampoline_kernelINS0_14default_configENS1_35radix_sort_onesweep_config_selectorIbiEEZZNS1_29radix_sort_onesweep_iterationIS3_Lb1EN6thrust23THRUST_200600_302600_NS6detail15normal_iteratorINS8_10device_ptrIbEEEESD_NSA_INSB_IiEEEESF_jNS0_19identity_decomposerENS1_16block_id_wrapperIjLb1EEEEE10hipError_tT1_PNSt15iterator_traitsISK_E10value_typeET2_T3_PNSL_ISQ_E10value_typeET4_T5_PSV_SW_PNS1_23onesweep_lookback_stateEbbT6_jjT7_P12ihipStream_tbENKUlT_T0_SK_SP_E_clISD_PbSF_PiEEDaS13_S14_SK_SP_EUlS13_E_NS1_11comp_targetILNS1_3genE2ELNS1_11target_archE906ELNS1_3gpuE6ELNS1_3repE0EEENS1_47radix_sort_onesweep_sort_config_static_selectorELNS0_4arch9wavefront6targetE1EEEvSK_,@function
_ZN7rocprim17ROCPRIM_400000_NS6detail17trampoline_kernelINS0_14default_configENS1_35radix_sort_onesweep_config_selectorIbiEEZZNS1_29radix_sort_onesweep_iterationIS3_Lb1EN6thrust23THRUST_200600_302600_NS6detail15normal_iteratorINS8_10device_ptrIbEEEESD_NSA_INSB_IiEEEESF_jNS0_19identity_decomposerENS1_16block_id_wrapperIjLb1EEEEE10hipError_tT1_PNSt15iterator_traitsISK_E10value_typeET2_T3_PNSL_ISQ_E10value_typeET4_T5_PSV_SW_PNS1_23onesweep_lookback_stateEbbT6_jjT7_P12ihipStream_tbENKUlT_T0_SK_SP_E_clISD_PbSF_PiEEDaS13_S14_SK_SP_EUlS13_E_NS1_11comp_targetILNS1_3genE2ELNS1_11target_archE906ELNS1_3gpuE6ELNS1_3repE0EEENS1_47radix_sort_onesweep_sort_config_static_selectorELNS0_4arch9wavefront6targetE1EEEvSK_: ; @_ZN7rocprim17ROCPRIM_400000_NS6detail17trampoline_kernelINS0_14default_configENS1_35radix_sort_onesweep_config_selectorIbiEEZZNS1_29radix_sort_onesweep_iterationIS3_Lb1EN6thrust23THRUST_200600_302600_NS6detail15normal_iteratorINS8_10device_ptrIbEEEESD_NSA_INSB_IiEEEESF_jNS0_19identity_decomposerENS1_16block_id_wrapperIjLb1EEEEE10hipError_tT1_PNSt15iterator_traitsISK_E10value_typeET2_T3_PNSL_ISQ_E10value_typeET4_T5_PSV_SW_PNS1_23onesweep_lookback_stateEbbT6_jjT7_P12ihipStream_tbENKUlT_T0_SK_SP_E_clISD_PbSF_PiEEDaS13_S14_SK_SP_EUlS13_E_NS1_11comp_targetILNS1_3genE2ELNS1_11target_archE906ELNS1_3gpuE6ELNS1_3repE0EEENS1_47radix_sort_onesweep_sort_config_static_selectorELNS0_4arch9wavefront6targetE1EEEvSK_
; %bb.0:
	.section	.rodata,"a",@progbits
	.p2align	6, 0x0
	.amdhsa_kernel _ZN7rocprim17ROCPRIM_400000_NS6detail17trampoline_kernelINS0_14default_configENS1_35radix_sort_onesweep_config_selectorIbiEEZZNS1_29radix_sort_onesweep_iterationIS3_Lb1EN6thrust23THRUST_200600_302600_NS6detail15normal_iteratorINS8_10device_ptrIbEEEESD_NSA_INSB_IiEEEESF_jNS0_19identity_decomposerENS1_16block_id_wrapperIjLb1EEEEE10hipError_tT1_PNSt15iterator_traitsISK_E10value_typeET2_T3_PNSL_ISQ_E10value_typeET4_T5_PSV_SW_PNS1_23onesweep_lookback_stateEbbT6_jjT7_P12ihipStream_tbENKUlT_T0_SK_SP_E_clISD_PbSF_PiEEDaS13_S14_SK_SP_EUlS13_E_NS1_11comp_targetILNS1_3genE2ELNS1_11target_archE906ELNS1_3gpuE6ELNS1_3repE0EEENS1_47radix_sort_onesweep_sort_config_static_selectorELNS0_4arch9wavefront6targetE1EEEvSK_
		.amdhsa_group_segment_fixed_size 0
		.amdhsa_private_segment_fixed_size 0
		.amdhsa_kernarg_size 88
		.amdhsa_user_sgpr_count 2
		.amdhsa_user_sgpr_dispatch_ptr 0
		.amdhsa_user_sgpr_queue_ptr 0
		.amdhsa_user_sgpr_kernarg_segment_ptr 1
		.amdhsa_user_sgpr_dispatch_id 0
		.amdhsa_user_sgpr_kernarg_preload_length 0
		.amdhsa_user_sgpr_kernarg_preload_offset 0
		.amdhsa_user_sgpr_private_segment_size 0
		.amdhsa_uses_dynamic_stack 0
		.amdhsa_enable_private_segment 0
		.amdhsa_system_sgpr_workgroup_id_x 1
		.amdhsa_system_sgpr_workgroup_id_y 0
		.amdhsa_system_sgpr_workgroup_id_z 0
		.amdhsa_system_sgpr_workgroup_info 0
		.amdhsa_system_vgpr_workitem_id 0
		.amdhsa_next_free_vgpr 1
		.amdhsa_next_free_sgpr 0
		.amdhsa_accum_offset 4
		.amdhsa_reserve_vcc 0
		.amdhsa_float_round_mode_32 0
		.amdhsa_float_round_mode_16_64 0
		.amdhsa_float_denorm_mode_32 3
		.amdhsa_float_denorm_mode_16_64 3
		.amdhsa_dx10_clamp 1
		.amdhsa_ieee_mode 1
		.amdhsa_fp16_overflow 0
		.amdhsa_tg_split 0
		.amdhsa_exception_fp_ieee_invalid_op 0
		.amdhsa_exception_fp_denorm_src 0
		.amdhsa_exception_fp_ieee_div_zero 0
		.amdhsa_exception_fp_ieee_overflow 0
		.amdhsa_exception_fp_ieee_underflow 0
		.amdhsa_exception_fp_ieee_inexact 0
		.amdhsa_exception_int_div_zero 0
	.end_amdhsa_kernel
	.section	.text._ZN7rocprim17ROCPRIM_400000_NS6detail17trampoline_kernelINS0_14default_configENS1_35radix_sort_onesweep_config_selectorIbiEEZZNS1_29radix_sort_onesweep_iterationIS3_Lb1EN6thrust23THRUST_200600_302600_NS6detail15normal_iteratorINS8_10device_ptrIbEEEESD_NSA_INSB_IiEEEESF_jNS0_19identity_decomposerENS1_16block_id_wrapperIjLb1EEEEE10hipError_tT1_PNSt15iterator_traitsISK_E10value_typeET2_T3_PNSL_ISQ_E10value_typeET4_T5_PSV_SW_PNS1_23onesweep_lookback_stateEbbT6_jjT7_P12ihipStream_tbENKUlT_T0_SK_SP_E_clISD_PbSF_PiEEDaS13_S14_SK_SP_EUlS13_E_NS1_11comp_targetILNS1_3genE2ELNS1_11target_archE906ELNS1_3gpuE6ELNS1_3repE0EEENS1_47radix_sort_onesweep_sort_config_static_selectorELNS0_4arch9wavefront6targetE1EEEvSK_,"axG",@progbits,_ZN7rocprim17ROCPRIM_400000_NS6detail17trampoline_kernelINS0_14default_configENS1_35radix_sort_onesweep_config_selectorIbiEEZZNS1_29radix_sort_onesweep_iterationIS3_Lb1EN6thrust23THRUST_200600_302600_NS6detail15normal_iteratorINS8_10device_ptrIbEEEESD_NSA_INSB_IiEEEESF_jNS0_19identity_decomposerENS1_16block_id_wrapperIjLb1EEEEE10hipError_tT1_PNSt15iterator_traitsISK_E10value_typeET2_T3_PNSL_ISQ_E10value_typeET4_T5_PSV_SW_PNS1_23onesweep_lookback_stateEbbT6_jjT7_P12ihipStream_tbENKUlT_T0_SK_SP_E_clISD_PbSF_PiEEDaS13_S14_SK_SP_EUlS13_E_NS1_11comp_targetILNS1_3genE2ELNS1_11target_archE906ELNS1_3gpuE6ELNS1_3repE0EEENS1_47radix_sort_onesweep_sort_config_static_selectorELNS0_4arch9wavefront6targetE1EEEvSK_,comdat
.Lfunc_end2230:
	.size	_ZN7rocprim17ROCPRIM_400000_NS6detail17trampoline_kernelINS0_14default_configENS1_35radix_sort_onesweep_config_selectorIbiEEZZNS1_29radix_sort_onesweep_iterationIS3_Lb1EN6thrust23THRUST_200600_302600_NS6detail15normal_iteratorINS8_10device_ptrIbEEEESD_NSA_INSB_IiEEEESF_jNS0_19identity_decomposerENS1_16block_id_wrapperIjLb1EEEEE10hipError_tT1_PNSt15iterator_traitsISK_E10value_typeET2_T3_PNSL_ISQ_E10value_typeET4_T5_PSV_SW_PNS1_23onesweep_lookback_stateEbbT6_jjT7_P12ihipStream_tbENKUlT_T0_SK_SP_E_clISD_PbSF_PiEEDaS13_S14_SK_SP_EUlS13_E_NS1_11comp_targetILNS1_3genE2ELNS1_11target_archE906ELNS1_3gpuE6ELNS1_3repE0EEENS1_47radix_sort_onesweep_sort_config_static_selectorELNS0_4arch9wavefront6targetE1EEEvSK_, .Lfunc_end2230-_ZN7rocprim17ROCPRIM_400000_NS6detail17trampoline_kernelINS0_14default_configENS1_35radix_sort_onesweep_config_selectorIbiEEZZNS1_29radix_sort_onesweep_iterationIS3_Lb1EN6thrust23THRUST_200600_302600_NS6detail15normal_iteratorINS8_10device_ptrIbEEEESD_NSA_INSB_IiEEEESF_jNS0_19identity_decomposerENS1_16block_id_wrapperIjLb1EEEEE10hipError_tT1_PNSt15iterator_traitsISK_E10value_typeET2_T3_PNSL_ISQ_E10value_typeET4_T5_PSV_SW_PNS1_23onesweep_lookback_stateEbbT6_jjT7_P12ihipStream_tbENKUlT_T0_SK_SP_E_clISD_PbSF_PiEEDaS13_S14_SK_SP_EUlS13_E_NS1_11comp_targetILNS1_3genE2ELNS1_11target_archE906ELNS1_3gpuE6ELNS1_3repE0EEENS1_47radix_sort_onesweep_sort_config_static_selectorELNS0_4arch9wavefront6targetE1EEEvSK_
                                        ; -- End function
	.set _ZN7rocprim17ROCPRIM_400000_NS6detail17trampoline_kernelINS0_14default_configENS1_35radix_sort_onesweep_config_selectorIbiEEZZNS1_29radix_sort_onesweep_iterationIS3_Lb1EN6thrust23THRUST_200600_302600_NS6detail15normal_iteratorINS8_10device_ptrIbEEEESD_NSA_INSB_IiEEEESF_jNS0_19identity_decomposerENS1_16block_id_wrapperIjLb1EEEEE10hipError_tT1_PNSt15iterator_traitsISK_E10value_typeET2_T3_PNSL_ISQ_E10value_typeET4_T5_PSV_SW_PNS1_23onesweep_lookback_stateEbbT6_jjT7_P12ihipStream_tbENKUlT_T0_SK_SP_E_clISD_PbSF_PiEEDaS13_S14_SK_SP_EUlS13_E_NS1_11comp_targetILNS1_3genE2ELNS1_11target_archE906ELNS1_3gpuE6ELNS1_3repE0EEENS1_47radix_sort_onesweep_sort_config_static_selectorELNS0_4arch9wavefront6targetE1EEEvSK_.num_vgpr, 0
	.set _ZN7rocprim17ROCPRIM_400000_NS6detail17trampoline_kernelINS0_14default_configENS1_35radix_sort_onesweep_config_selectorIbiEEZZNS1_29radix_sort_onesweep_iterationIS3_Lb1EN6thrust23THRUST_200600_302600_NS6detail15normal_iteratorINS8_10device_ptrIbEEEESD_NSA_INSB_IiEEEESF_jNS0_19identity_decomposerENS1_16block_id_wrapperIjLb1EEEEE10hipError_tT1_PNSt15iterator_traitsISK_E10value_typeET2_T3_PNSL_ISQ_E10value_typeET4_T5_PSV_SW_PNS1_23onesweep_lookback_stateEbbT6_jjT7_P12ihipStream_tbENKUlT_T0_SK_SP_E_clISD_PbSF_PiEEDaS13_S14_SK_SP_EUlS13_E_NS1_11comp_targetILNS1_3genE2ELNS1_11target_archE906ELNS1_3gpuE6ELNS1_3repE0EEENS1_47radix_sort_onesweep_sort_config_static_selectorELNS0_4arch9wavefront6targetE1EEEvSK_.num_agpr, 0
	.set _ZN7rocprim17ROCPRIM_400000_NS6detail17trampoline_kernelINS0_14default_configENS1_35radix_sort_onesweep_config_selectorIbiEEZZNS1_29radix_sort_onesweep_iterationIS3_Lb1EN6thrust23THRUST_200600_302600_NS6detail15normal_iteratorINS8_10device_ptrIbEEEESD_NSA_INSB_IiEEEESF_jNS0_19identity_decomposerENS1_16block_id_wrapperIjLb1EEEEE10hipError_tT1_PNSt15iterator_traitsISK_E10value_typeET2_T3_PNSL_ISQ_E10value_typeET4_T5_PSV_SW_PNS1_23onesweep_lookback_stateEbbT6_jjT7_P12ihipStream_tbENKUlT_T0_SK_SP_E_clISD_PbSF_PiEEDaS13_S14_SK_SP_EUlS13_E_NS1_11comp_targetILNS1_3genE2ELNS1_11target_archE906ELNS1_3gpuE6ELNS1_3repE0EEENS1_47radix_sort_onesweep_sort_config_static_selectorELNS0_4arch9wavefront6targetE1EEEvSK_.numbered_sgpr, 0
	.set _ZN7rocprim17ROCPRIM_400000_NS6detail17trampoline_kernelINS0_14default_configENS1_35radix_sort_onesweep_config_selectorIbiEEZZNS1_29radix_sort_onesweep_iterationIS3_Lb1EN6thrust23THRUST_200600_302600_NS6detail15normal_iteratorINS8_10device_ptrIbEEEESD_NSA_INSB_IiEEEESF_jNS0_19identity_decomposerENS1_16block_id_wrapperIjLb1EEEEE10hipError_tT1_PNSt15iterator_traitsISK_E10value_typeET2_T3_PNSL_ISQ_E10value_typeET4_T5_PSV_SW_PNS1_23onesweep_lookback_stateEbbT6_jjT7_P12ihipStream_tbENKUlT_T0_SK_SP_E_clISD_PbSF_PiEEDaS13_S14_SK_SP_EUlS13_E_NS1_11comp_targetILNS1_3genE2ELNS1_11target_archE906ELNS1_3gpuE6ELNS1_3repE0EEENS1_47radix_sort_onesweep_sort_config_static_selectorELNS0_4arch9wavefront6targetE1EEEvSK_.num_named_barrier, 0
	.set _ZN7rocprim17ROCPRIM_400000_NS6detail17trampoline_kernelINS0_14default_configENS1_35radix_sort_onesweep_config_selectorIbiEEZZNS1_29radix_sort_onesweep_iterationIS3_Lb1EN6thrust23THRUST_200600_302600_NS6detail15normal_iteratorINS8_10device_ptrIbEEEESD_NSA_INSB_IiEEEESF_jNS0_19identity_decomposerENS1_16block_id_wrapperIjLb1EEEEE10hipError_tT1_PNSt15iterator_traitsISK_E10value_typeET2_T3_PNSL_ISQ_E10value_typeET4_T5_PSV_SW_PNS1_23onesweep_lookback_stateEbbT6_jjT7_P12ihipStream_tbENKUlT_T0_SK_SP_E_clISD_PbSF_PiEEDaS13_S14_SK_SP_EUlS13_E_NS1_11comp_targetILNS1_3genE2ELNS1_11target_archE906ELNS1_3gpuE6ELNS1_3repE0EEENS1_47radix_sort_onesweep_sort_config_static_selectorELNS0_4arch9wavefront6targetE1EEEvSK_.private_seg_size, 0
	.set _ZN7rocprim17ROCPRIM_400000_NS6detail17trampoline_kernelINS0_14default_configENS1_35radix_sort_onesweep_config_selectorIbiEEZZNS1_29radix_sort_onesweep_iterationIS3_Lb1EN6thrust23THRUST_200600_302600_NS6detail15normal_iteratorINS8_10device_ptrIbEEEESD_NSA_INSB_IiEEEESF_jNS0_19identity_decomposerENS1_16block_id_wrapperIjLb1EEEEE10hipError_tT1_PNSt15iterator_traitsISK_E10value_typeET2_T3_PNSL_ISQ_E10value_typeET4_T5_PSV_SW_PNS1_23onesweep_lookback_stateEbbT6_jjT7_P12ihipStream_tbENKUlT_T0_SK_SP_E_clISD_PbSF_PiEEDaS13_S14_SK_SP_EUlS13_E_NS1_11comp_targetILNS1_3genE2ELNS1_11target_archE906ELNS1_3gpuE6ELNS1_3repE0EEENS1_47radix_sort_onesweep_sort_config_static_selectorELNS0_4arch9wavefront6targetE1EEEvSK_.uses_vcc, 0
	.set _ZN7rocprim17ROCPRIM_400000_NS6detail17trampoline_kernelINS0_14default_configENS1_35radix_sort_onesweep_config_selectorIbiEEZZNS1_29radix_sort_onesweep_iterationIS3_Lb1EN6thrust23THRUST_200600_302600_NS6detail15normal_iteratorINS8_10device_ptrIbEEEESD_NSA_INSB_IiEEEESF_jNS0_19identity_decomposerENS1_16block_id_wrapperIjLb1EEEEE10hipError_tT1_PNSt15iterator_traitsISK_E10value_typeET2_T3_PNSL_ISQ_E10value_typeET4_T5_PSV_SW_PNS1_23onesweep_lookback_stateEbbT6_jjT7_P12ihipStream_tbENKUlT_T0_SK_SP_E_clISD_PbSF_PiEEDaS13_S14_SK_SP_EUlS13_E_NS1_11comp_targetILNS1_3genE2ELNS1_11target_archE906ELNS1_3gpuE6ELNS1_3repE0EEENS1_47radix_sort_onesweep_sort_config_static_selectorELNS0_4arch9wavefront6targetE1EEEvSK_.uses_flat_scratch, 0
	.set _ZN7rocprim17ROCPRIM_400000_NS6detail17trampoline_kernelINS0_14default_configENS1_35radix_sort_onesweep_config_selectorIbiEEZZNS1_29radix_sort_onesweep_iterationIS3_Lb1EN6thrust23THRUST_200600_302600_NS6detail15normal_iteratorINS8_10device_ptrIbEEEESD_NSA_INSB_IiEEEESF_jNS0_19identity_decomposerENS1_16block_id_wrapperIjLb1EEEEE10hipError_tT1_PNSt15iterator_traitsISK_E10value_typeET2_T3_PNSL_ISQ_E10value_typeET4_T5_PSV_SW_PNS1_23onesweep_lookback_stateEbbT6_jjT7_P12ihipStream_tbENKUlT_T0_SK_SP_E_clISD_PbSF_PiEEDaS13_S14_SK_SP_EUlS13_E_NS1_11comp_targetILNS1_3genE2ELNS1_11target_archE906ELNS1_3gpuE6ELNS1_3repE0EEENS1_47radix_sort_onesweep_sort_config_static_selectorELNS0_4arch9wavefront6targetE1EEEvSK_.has_dyn_sized_stack, 0
	.set _ZN7rocprim17ROCPRIM_400000_NS6detail17trampoline_kernelINS0_14default_configENS1_35radix_sort_onesweep_config_selectorIbiEEZZNS1_29radix_sort_onesweep_iterationIS3_Lb1EN6thrust23THRUST_200600_302600_NS6detail15normal_iteratorINS8_10device_ptrIbEEEESD_NSA_INSB_IiEEEESF_jNS0_19identity_decomposerENS1_16block_id_wrapperIjLb1EEEEE10hipError_tT1_PNSt15iterator_traitsISK_E10value_typeET2_T3_PNSL_ISQ_E10value_typeET4_T5_PSV_SW_PNS1_23onesweep_lookback_stateEbbT6_jjT7_P12ihipStream_tbENKUlT_T0_SK_SP_E_clISD_PbSF_PiEEDaS13_S14_SK_SP_EUlS13_E_NS1_11comp_targetILNS1_3genE2ELNS1_11target_archE906ELNS1_3gpuE6ELNS1_3repE0EEENS1_47radix_sort_onesweep_sort_config_static_selectorELNS0_4arch9wavefront6targetE1EEEvSK_.has_recursion, 0
	.set _ZN7rocprim17ROCPRIM_400000_NS6detail17trampoline_kernelINS0_14default_configENS1_35radix_sort_onesweep_config_selectorIbiEEZZNS1_29radix_sort_onesweep_iterationIS3_Lb1EN6thrust23THRUST_200600_302600_NS6detail15normal_iteratorINS8_10device_ptrIbEEEESD_NSA_INSB_IiEEEESF_jNS0_19identity_decomposerENS1_16block_id_wrapperIjLb1EEEEE10hipError_tT1_PNSt15iterator_traitsISK_E10value_typeET2_T3_PNSL_ISQ_E10value_typeET4_T5_PSV_SW_PNS1_23onesweep_lookback_stateEbbT6_jjT7_P12ihipStream_tbENKUlT_T0_SK_SP_E_clISD_PbSF_PiEEDaS13_S14_SK_SP_EUlS13_E_NS1_11comp_targetILNS1_3genE2ELNS1_11target_archE906ELNS1_3gpuE6ELNS1_3repE0EEENS1_47radix_sort_onesweep_sort_config_static_selectorELNS0_4arch9wavefront6targetE1EEEvSK_.has_indirect_call, 0
	.section	.AMDGPU.csdata,"",@progbits
; Kernel info:
; codeLenInByte = 0
; TotalNumSgprs: 6
; NumVgprs: 0
; NumAgprs: 0
; TotalNumVgprs: 0
; ScratchSize: 0
; MemoryBound: 0
; FloatMode: 240
; IeeeMode: 1
; LDSByteSize: 0 bytes/workgroup (compile time only)
; SGPRBlocks: 0
; VGPRBlocks: 0
; NumSGPRsForWavesPerEU: 6
; NumVGPRsForWavesPerEU: 1
; AccumOffset: 4
; Occupancy: 8
; WaveLimiterHint : 0
; COMPUTE_PGM_RSRC2:SCRATCH_EN: 0
; COMPUTE_PGM_RSRC2:USER_SGPR: 2
; COMPUTE_PGM_RSRC2:TRAP_HANDLER: 0
; COMPUTE_PGM_RSRC2:TGID_X_EN: 1
; COMPUTE_PGM_RSRC2:TGID_Y_EN: 0
; COMPUTE_PGM_RSRC2:TGID_Z_EN: 0
; COMPUTE_PGM_RSRC2:TIDIG_COMP_CNT: 0
; COMPUTE_PGM_RSRC3_GFX90A:ACCUM_OFFSET: 0
; COMPUTE_PGM_RSRC3_GFX90A:TG_SPLIT: 0
	.section	.text._ZN7rocprim17ROCPRIM_400000_NS6detail17trampoline_kernelINS0_14default_configENS1_35radix_sort_onesweep_config_selectorIbiEEZZNS1_29radix_sort_onesweep_iterationIS3_Lb1EN6thrust23THRUST_200600_302600_NS6detail15normal_iteratorINS8_10device_ptrIbEEEESD_NSA_INSB_IiEEEESF_jNS0_19identity_decomposerENS1_16block_id_wrapperIjLb1EEEEE10hipError_tT1_PNSt15iterator_traitsISK_E10value_typeET2_T3_PNSL_ISQ_E10value_typeET4_T5_PSV_SW_PNS1_23onesweep_lookback_stateEbbT6_jjT7_P12ihipStream_tbENKUlT_T0_SK_SP_E_clISD_PbSF_PiEEDaS13_S14_SK_SP_EUlS13_E_NS1_11comp_targetILNS1_3genE4ELNS1_11target_archE910ELNS1_3gpuE8ELNS1_3repE0EEENS1_47radix_sort_onesweep_sort_config_static_selectorELNS0_4arch9wavefront6targetE1EEEvSK_,"axG",@progbits,_ZN7rocprim17ROCPRIM_400000_NS6detail17trampoline_kernelINS0_14default_configENS1_35radix_sort_onesweep_config_selectorIbiEEZZNS1_29radix_sort_onesweep_iterationIS3_Lb1EN6thrust23THRUST_200600_302600_NS6detail15normal_iteratorINS8_10device_ptrIbEEEESD_NSA_INSB_IiEEEESF_jNS0_19identity_decomposerENS1_16block_id_wrapperIjLb1EEEEE10hipError_tT1_PNSt15iterator_traitsISK_E10value_typeET2_T3_PNSL_ISQ_E10value_typeET4_T5_PSV_SW_PNS1_23onesweep_lookback_stateEbbT6_jjT7_P12ihipStream_tbENKUlT_T0_SK_SP_E_clISD_PbSF_PiEEDaS13_S14_SK_SP_EUlS13_E_NS1_11comp_targetILNS1_3genE4ELNS1_11target_archE910ELNS1_3gpuE8ELNS1_3repE0EEENS1_47radix_sort_onesweep_sort_config_static_selectorELNS0_4arch9wavefront6targetE1EEEvSK_,comdat
	.protected	_ZN7rocprim17ROCPRIM_400000_NS6detail17trampoline_kernelINS0_14default_configENS1_35radix_sort_onesweep_config_selectorIbiEEZZNS1_29radix_sort_onesweep_iterationIS3_Lb1EN6thrust23THRUST_200600_302600_NS6detail15normal_iteratorINS8_10device_ptrIbEEEESD_NSA_INSB_IiEEEESF_jNS0_19identity_decomposerENS1_16block_id_wrapperIjLb1EEEEE10hipError_tT1_PNSt15iterator_traitsISK_E10value_typeET2_T3_PNSL_ISQ_E10value_typeET4_T5_PSV_SW_PNS1_23onesweep_lookback_stateEbbT6_jjT7_P12ihipStream_tbENKUlT_T0_SK_SP_E_clISD_PbSF_PiEEDaS13_S14_SK_SP_EUlS13_E_NS1_11comp_targetILNS1_3genE4ELNS1_11target_archE910ELNS1_3gpuE8ELNS1_3repE0EEENS1_47radix_sort_onesweep_sort_config_static_selectorELNS0_4arch9wavefront6targetE1EEEvSK_ ; -- Begin function _ZN7rocprim17ROCPRIM_400000_NS6detail17trampoline_kernelINS0_14default_configENS1_35radix_sort_onesweep_config_selectorIbiEEZZNS1_29radix_sort_onesweep_iterationIS3_Lb1EN6thrust23THRUST_200600_302600_NS6detail15normal_iteratorINS8_10device_ptrIbEEEESD_NSA_INSB_IiEEEESF_jNS0_19identity_decomposerENS1_16block_id_wrapperIjLb1EEEEE10hipError_tT1_PNSt15iterator_traitsISK_E10value_typeET2_T3_PNSL_ISQ_E10value_typeET4_T5_PSV_SW_PNS1_23onesweep_lookback_stateEbbT6_jjT7_P12ihipStream_tbENKUlT_T0_SK_SP_E_clISD_PbSF_PiEEDaS13_S14_SK_SP_EUlS13_E_NS1_11comp_targetILNS1_3genE4ELNS1_11target_archE910ELNS1_3gpuE8ELNS1_3repE0EEENS1_47radix_sort_onesweep_sort_config_static_selectorELNS0_4arch9wavefront6targetE1EEEvSK_
	.globl	_ZN7rocprim17ROCPRIM_400000_NS6detail17trampoline_kernelINS0_14default_configENS1_35radix_sort_onesweep_config_selectorIbiEEZZNS1_29radix_sort_onesweep_iterationIS3_Lb1EN6thrust23THRUST_200600_302600_NS6detail15normal_iteratorINS8_10device_ptrIbEEEESD_NSA_INSB_IiEEEESF_jNS0_19identity_decomposerENS1_16block_id_wrapperIjLb1EEEEE10hipError_tT1_PNSt15iterator_traitsISK_E10value_typeET2_T3_PNSL_ISQ_E10value_typeET4_T5_PSV_SW_PNS1_23onesweep_lookback_stateEbbT6_jjT7_P12ihipStream_tbENKUlT_T0_SK_SP_E_clISD_PbSF_PiEEDaS13_S14_SK_SP_EUlS13_E_NS1_11comp_targetILNS1_3genE4ELNS1_11target_archE910ELNS1_3gpuE8ELNS1_3repE0EEENS1_47radix_sort_onesweep_sort_config_static_selectorELNS0_4arch9wavefront6targetE1EEEvSK_
	.p2align	8
	.type	_ZN7rocprim17ROCPRIM_400000_NS6detail17trampoline_kernelINS0_14default_configENS1_35radix_sort_onesweep_config_selectorIbiEEZZNS1_29radix_sort_onesweep_iterationIS3_Lb1EN6thrust23THRUST_200600_302600_NS6detail15normal_iteratorINS8_10device_ptrIbEEEESD_NSA_INSB_IiEEEESF_jNS0_19identity_decomposerENS1_16block_id_wrapperIjLb1EEEEE10hipError_tT1_PNSt15iterator_traitsISK_E10value_typeET2_T3_PNSL_ISQ_E10value_typeET4_T5_PSV_SW_PNS1_23onesweep_lookback_stateEbbT6_jjT7_P12ihipStream_tbENKUlT_T0_SK_SP_E_clISD_PbSF_PiEEDaS13_S14_SK_SP_EUlS13_E_NS1_11comp_targetILNS1_3genE4ELNS1_11target_archE910ELNS1_3gpuE8ELNS1_3repE0EEENS1_47radix_sort_onesweep_sort_config_static_selectorELNS0_4arch9wavefront6targetE1EEEvSK_,@function
_ZN7rocprim17ROCPRIM_400000_NS6detail17trampoline_kernelINS0_14default_configENS1_35radix_sort_onesweep_config_selectorIbiEEZZNS1_29radix_sort_onesweep_iterationIS3_Lb1EN6thrust23THRUST_200600_302600_NS6detail15normal_iteratorINS8_10device_ptrIbEEEESD_NSA_INSB_IiEEEESF_jNS0_19identity_decomposerENS1_16block_id_wrapperIjLb1EEEEE10hipError_tT1_PNSt15iterator_traitsISK_E10value_typeET2_T3_PNSL_ISQ_E10value_typeET4_T5_PSV_SW_PNS1_23onesweep_lookback_stateEbbT6_jjT7_P12ihipStream_tbENKUlT_T0_SK_SP_E_clISD_PbSF_PiEEDaS13_S14_SK_SP_EUlS13_E_NS1_11comp_targetILNS1_3genE4ELNS1_11target_archE910ELNS1_3gpuE8ELNS1_3repE0EEENS1_47radix_sort_onesweep_sort_config_static_selectorELNS0_4arch9wavefront6targetE1EEEvSK_: ; @_ZN7rocprim17ROCPRIM_400000_NS6detail17trampoline_kernelINS0_14default_configENS1_35radix_sort_onesweep_config_selectorIbiEEZZNS1_29radix_sort_onesweep_iterationIS3_Lb1EN6thrust23THRUST_200600_302600_NS6detail15normal_iteratorINS8_10device_ptrIbEEEESD_NSA_INSB_IiEEEESF_jNS0_19identity_decomposerENS1_16block_id_wrapperIjLb1EEEEE10hipError_tT1_PNSt15iterator_traitsISK_E10value_typeET2_T3_PNSL_ISQ_E10value_typeET4_T5_PSV_SW_PNS1_23onesweep_lookback_stateEbbT6_jjT7_P12ihipStream_tbENKUlT_T0_SK_SP_E_clISD_PbSF_PiEEDaS13_S14_SK_SP_EUlS13_E_NS1_11comp_targetILNS1_3genE4ELNS1_11target_archE910ELNS1_3gpuE8ELNS1_3repE0EEENS1_47radix_sort_onesweep_sort_config_static_selectorELNS0_4arch9wavefront6targetE1EEEvSK_
; %bb.0:
	.section	.rodata,"a",@progbits
	.p2align	6, 0x0
	.amdhsa_kernel _ZN7rocprim17ROCPRIM_400000_NS6detail17trampoline_kernelINS0_14default_configENS1_35radix_sort_onesweep_config_selectorIbiEEZZNS1_29radix_sort_onesweep_iterationIS3_Lb1EN6thrust23THRUST_200600_302600_NS6detail15normal_iteratorINS8_10device_ptrIbEEEESD_NSA_INSB_IiEEEESF_jNS0_19identity_decomposerENS1_16block_id_wrapperIjLb1EEEEE10hipError_tT1_PNSt15iterator_traitsISK_E10value_typeET2_T3_PNSL_ISQ_E10value_typeET4_T5_PSV_SW_PNS1_23onesweep_lookback_stateEbbT6_jjT7_P12ihipStream_tbENKUlT_T0_SK_SP_E_clISD_PbSF_PiEEDaS13_S14_SK_SP_EUlS13_E_NS1_11comp_targetILNS1_3genE4ELNS1_11target_archE910ELNS1_3gpuE8ELNS1_3repE0EEENS1_47radix_sort_onesweep_sort_config_static_selectorELNS0_4arch9wavefront6targetE1EEEvSK_
		.amdhsa_group_segment_fixed_size 0
		.amdhsa_private_segment_fixed_size 0
		.amdhsa_kernarg_size 88
		.amdhsa_user_sgpr_count 2
		.amdhsa_user_sgpr_dispatch_ptr 0
		.amdhsa_user_sgpr_queue_ptr 0
		.amdhsa_user_sgpr_kernarg_segment_ptr 1
		.amdhsa_user_sgpr_dispatch_id 0
		.amdhsa_user_sgpr_kernarg_preload_length 0
		.amdhsa_user_sgpr_kernarg_preload_offset 0
		.amdhsa_user_sgpr_private_segment_size 0
		.amdhsa_uses_dynamic_stack 0
		.amdhsa_enable_private_segment 0
		.amdhsa_system_sgpr_workgroup_id_x 1
		.amdhsa_system_sgpr_workgroup_id_y 0
		.amdhsa_system_sgpr_workgroup_id_z 0
		.amdhsa_system_sgpr_workgroup_info 0
		.amdhsa_system_vgpr_workitem_id 0
		.amdhsa_next_free_vgpr 1
		.amdhsa_next_free_sgpr 0
		.amdhsa_accum_offset 4
		.amdhsa_reserve_vcc 0
		.amdhsa_float_round_mode_32 0
		.amdhsa_float_round_mode_16_64 0
		.amdhsa_float_denorm_mode_32 3
		.amdhsa_float_denorm_mode_16_64 3
		.amdhsa_dx10_clamp 1
		.amdhsa_ieee_mode 1
		.amdhsa_fp16_overflow 0
		.amdhsa_tg_split 0
		.amdhsa_exception_fp_ieee_invalid_op 0
		.amdhsa_exception_fp_denorm_src 0
		.amdhsa_exception_fp_ieee_div_zero 0
		.amdhsa_exception_fp_ieee_overflow 0
		.amdhsa_exception_fp_ieee_underflow 0
		.amdhsa_exception_fp_ieee_inexact 0
		.amdhsa_exception_int_div_zero 0
	.end_amdhsa_kernel
	.section	.text._ZN7rocprim17ROCPRIM_400000_NS6detail17trampoline_kernelINS0_14default_configENS1_35radix_sort_onesweep_config_selectorIbiEEZZNS1_29radix_sort_onesweep_iterationIS3_Lb1EN6thrust23THRUST_200600_302600_NS6detail15normal_iteratorINS8_10device_ptrIbEEEESD_NSA_INSB_IiEEEESF_jNS0_19identity_decomposerENS1_16block_id_wrapperIjLb1EEEEE10hipError_tT1_PNSt15iterator_traitsISK_E10value_typeET2_T3_PNSL_ISQ_E10value_typeET4_T5_PSV_SW_PNS1_23onesweep_lookback_stateEbbT6_jjT7_P12ihipStream_tbENKUlT_T0_SK_SP_E_clISD_PbSF_PiEEDaS13_S14_SK_SP_EUlS13_E_NS1_11comp_targetILNS1_3genE4ELNS1_11target_archE910ELNS1_3gpuE8ELNS1_3repE0EEENS1_47radix_sort_onesweep_sort_config_static_selectorELNS0_4arch9wavefront6targetE1EEEvSK_,"axG",@progbits,_ZN7rocprim17ROCPRIM_400000_NS6detail17trampoline_kernelINS0_14default_configENS1_35radix_sort_onesweep_config_selectorIbiEEZZNS1_29radix_sort_onesweep_iterationIS3_Lb1EN6thrust23THRUST_200600_302600_NS6detail15normal_iteratorINS8_10device_ptrIbEEEESD_NSA_INSB_IiEEEESF_jNS0_19identity_decomposerENS1_16block_id_wrapperIjLb1EEEEE10hipError_tT1_PNSt15iterator_traitsISK_E10value_typeET2_T3_PNSL_ISQ_E10value_typeET4_T5_PSV_SW_PNS1_23onesweep_lookback_stateEbbT6_jjT7_P12ihipStream_tbENKUlT_T0_SK_SP_E_clISD_PbSF_PiEEDaS13_S14_SK_SP_EUlS13_E_NS1_11comp_targetILNS1_3genE4ELNS1_11target_archE910ELNS1_3gpuE8ELNS1_3repE0EEENS1_47radix_sort_onesweep_sort_config_static_selectorELNS0_4arch9wavefront6targetE1EEEvSK_,comdat
.Lfunc_end2231:
	.size	_ZN7rocprim17ROCPRIM_400000_NS6detail17trampoline_kernelINS0_14default_configENS1_35radix_sort_onesweep_config_selectorIbiEEZZNS1_29radix_sort_onesweep_iterationIS3_Lb1EN6thrust23THRUST_200600_302600_NS6detail15normal_iteratorINS8_10device_ptrIbEEEESD_NSA_INSB_IiEEEESF_jNS0_19identity_decomposerENS1_16block_id_wrapperIjLb1EEEEE10hipError_tT1_PNSt15iterator_traitsISK_E10value_typeET2_T3_PNSL_ISQ_E10value_typeET4_T5_PSV_SW_PNS1_23onesweep_lookback_stateEbbT6_jjT7_P12ihipStream_tbENKUlT_T0_SK_SP_E_clISD_PbSF_PiEEDaS13_S14_SK_SP_EUlS13_E_NS1_11comp_targetILNS1_3genE4ELNS1_11target_archE910ELNS1_3gpuE8ELNS1_3repE0EEENS1_47radix_sort_onesweep_sort_config_static_selectorELNS0_4arch9wavefront6targetE1EEEvSK_, .Lfunc_end2231-_ZN7rocprim17ROCPRIM_400000_NS6detail17trampoline_kernelINS0_14default_configENS1_35radix_sort_onesweep_config_selectorIbiEEZZNS1_29radix_sort_onesweep_iterationIS3_Lb1EN6thrust23THRUST_200600_302600_NS6detail15normal_iteratorINS8_10device_ptrIbEEEESD_NSA_INSB_IiEEEESF_jNS0_19identity_decomposerENS1_16block_id_wrapperIjLb1EEEEE10hipError_tT1_PNSt15iterator_traitsISK_E10value_typeET2_T3_PNSL_ISQ_E10value_typeET4_T5_PSV_SW_PNS1_23onesweep_lookback_stateEbbT6_jjT7_P12ihipStream_tbENKUlT_T0_SK_SP_E_clISD_PbSF_PiEEDaS13_S14_SK_SP_EUlS13_E_NS1_11comp_targetILNS1_3genE4ELNS1_11target_archE910ELNS1_3gpuE8ELNS1_3repE0EEENS1_47radix_sort_onesweep_sort_config_static_selectorELNS0_4arch9wavefront6targetE1EEEvSK_
                                        ; -- End function
	.set _ZN7rocprim17ROCPRIM_400000_NS6detail17trampoline_kernelINS0_14default_configENS1_35radix_sort_onesweep_config_selectorIbiEEZZNS1_29radix_sort_onesweep_iterationIS3_Lb1EN6thrust23THRUST_200600_302600_NS6detail15normal_iteratorINS8_10device_ptrIbEEEESD_NSA_INSB_IiEEEESF_jNS0_19identity_decomposerENS1_16block_id_wrapperIjLb1EEEEE10hipError_tT1_PNSt15iterator_traitsISK_E10value_typeET2_T3_PNSL_ISQ_E10value_typeET4_T5_PSV_SW_PNS1_23onesweep_lookback_stateEbbT6_jjT7_P12ihipStream_tbENKUlT_T0_SK_SP_E_clISD_PbSF_PiEEDaS13_S14_SK_SP_EUlS13_E_NS1_11comp_targetILNS1_3genE4ELNS1_11target_archE910ELNS1_3gpuE8ELNS1_3repE0EEENS1_47radix_sort_onesweep_sort_config_static_selectorELNS0_4arch9wavefront6targetE1EEEvSK_.num_vgpr, 0
	.set _ZN7rocprim17ROCPRIM_400000_NS6detail17trampoline_kernelINS0_14default_configENS1_35radix_sort_onesweep_config_selectorIbiEEZZNS1_29radix_sort_onesweep_iterationIS3_Lb1EN6thrust23THRUST_200600_302600_NS6detail15normal_iteratorINS8_10device_ptrIbEEEESD_NSA_INSB_IiEEEESF_jNS0_19identity_decomposerENS1_16block_id_wrapperIjLb1EEEEE10hipError_tT1_PNSt15iterator_traitsISK_E10value_typeET2_T3_PNSL_ISQ_E10value_typeET4_T5_PSV_SW_PNS1_23onesweep_lookback_stateEbbT6_jjT7_P12ihipStream_tbENKUlT_T0_SK_SP_E_clISD_PbSF_PiEEDaS13_S14_SK_SP_EUlS13_E_NS1_11comp_targetILNS1_3genE4ELNS1_11target_archE910ELNS1_3gpuE8ELNS1_3repE0EEENS1_47radix_sort_onesweep_sort_config_static_selectorELNS0_4arch9wavefront6targetE1EEEvSK_.num_agpr, 0
	.set _ZN7rocprim17ROCPRIM_400000_NS6detail17trampoline_kernelINS0_14default_configENS1_35radix_sort_onesweep_config_selectorIbiEEZZNS1_29radix_sort_onesweep_iterationIS3_Lb1EN6thrust23THRUST_200600_302600_NS6detail15normal_iteratorINS8_10device_ptrIbEEEESD_NSA_INSB_IiEEEESF_jNS0_19identity_decomposerENS1_16block_id_wrapperIjLb1EEEEE10hipError_tT1_PNSt15iterator_traitsISK_E10value_typeET2_T3_PNSL_ISQ_E10value_typeET4_T5_PSV_SW_PNS1_23onesweep_lookback_stateEbbT6_jjT7_P12ihipStream_tbENKUlT_T0_SK_SP_E_clISD_PbSF_PiEEDaS13_S14_SK_SP_EUlS13_E_NS1_11comp_targetILNS1_3genE4ELNS1_11target_archE910ELNS1_3gpuE8ELNS1_3repE0EEENS1_47radix_sort_onesweep_sort_config_static_selectorELNS0_4arch9wavefront6targetE1EEEvSK_.numbered_sgpr, 0
	.set _ZN7rocprim17ROCPRIM_400000_NS6detail17trampoline_kernelINS0_14default_configENS1_35radix_sort_onesweep_config_selectorIbiEEZZNS1_29radix_sort_onesweep_iterationIS3_Lb1EN6thrust23THRUST_200600_302600_NS6detail15normal_iteratorINS8_10device_ptrIbEEEESD_NSA_INSB_IiEEEESF_jNS0_19identity_decomposerENS1_16block_id_wrapperIjLb1EEEEE10hipError_tT1_PNSt15iterator_traitsISK_E10value_typeET2_T3_PNSL_ISQ_E10value_typeET4_T5_PSV_SW_PNS1_23onesweep_lookback_stateEbbT6_jjT7_P12ihipStream_tbENKUlT_T0_SK_SP_E_clISD_PbSF_PiEEDaS13_S14_SK_SP_EUlS13_E_NS1_11comp_targetILNS1_3genE4ELNS1_11target_archE910ELNS1_3gpuE8ELNS1_3repE0EEENS1_47radix_sort_onesweep_sort_config_static_selectorELNS0_4arch9wavefront6targetE1EEEvSK_.num_named_barrier, 0
	.set _ZN7rocprim17ROCPRIM_400000_NS6detail17trampoline_kernelINS0_14default_configENS1_35radix_sort_onesweep_config_selectorIbiEEZZNS1_29radix_sort_onesweep_iterationIS3_Lb1EN6thrust23THRUST_200600_302600_NS6detail15normal_iteratorINS8_10device_ptrIbEEEESD_NSA_INSB_IiEEEESF_jNS0_19identity_decomposerENS1_16block_id_wrapperIjLb1EEEEE10hipError_tT1_PNSt15iterator_traitsISK_E10value_typeET2_T3_PNSL_ISQ_E10value_typeET4_T5_PSV_SW_PNS1_23onesweep_lookback_stateEbbT6_jjT7_P12ihipStream_tbENKUlT_T0_SK_SP_E_clISD_PbSF_PiEEDaS13_S14_SK_SP_EUlS13_E_NS1_11comp_targetILNS1_3genE4ELNS1_11target_archE910ELNS1_3gpuE8ELNS1_3repE0EEENS1_47radix_sort_onesweep_sort_config_static_selectorELNS0_4arch9wavefront6targetE1EEEvSK_.private_seg_size, 0
	.set _ZN7rocprim17ROCPRIM_400000_NS6detail17trampoline_kernelINS0_14default_configENS1_35radix_sort_onesweep_config_selectorIbiEEZZNS1_29radix_sort_onesweep_iterationIS3_Lb1EN6thrust23THRUST_200600_302600_NS6detail15normal_iteratorINS8_10device_ptrIbEEEESD_NSA_INSB_IiEEEESF_jNS0_19identity_decomposerENS1_16block_id_wrapperIjLb1EEEEE10hipError_tT1_PNSt15iterator_traitsISK_E10value_typeET2_T3_PNSL_ISQ_E10value_typeET4_T5_PSV_SW_PNS1_23onesweep_lookback_stateEbbT6_jjT7_P12ihipStream_tbENKUlT_T0_SK_SP_E_clISD_PbSF_PiEEDaS13_S14_SK_SP_EUlS13_E_NS1_11comp_targetILNS1_3genE4ELNS1_11target_archE910ELNS1_3gpuE8ELNS1_3repE0EEENS1_47radix_sort_onesweep_sort_config_static_selectorELNS0_4arch9wavefront6targetE1EEEvSK_.uses_vcc, 0
	.set _ZN7rocprim17ROCPRIM_400000_NS6detail17trampoline_kernelINS0_14default_configENS1_35radix_sort_onesweep_config_selectorIbiEEZZNS1_29radix_sort_onesweep_iterationIS3_Lb1EN6thrust23THRUST_200600_302600_NS6detail15normal_iteratorINS8_10device_ptrIbEEEESD_NSA_INSB_IiEEEESF_jNS0_19identity_decomposerENS1_16block_id_wrapperIjLb1EEEEE10hipError_tT1_PNSt15iterator_traitsISK_E10value_typeET2_T3_PNSL_ISQ_E10value_typeET4_T5_PSV_SW_PNS1_23onesweep_lookback_stateEbbT6_jjT7_P12ihipStream_tbENKUlT_T0_SK_SP_E_clISD_PbSF_PiEEDaS13_S14_SK_SP_EUlS13_E_NS1_11comp_targetILNS1_3genE4ELNS1_11target_archE910ELNS1_3gpuE8ELNS1_3repE0EEENS1_47radix_sort_onesweep_sort_config_static_selectorELNS0_4arch9wavefront6targetE1EEEvSK_.uses_flat_scratch, 0
	.set _ZN7rocprim17ROCPRIM_400000_NS6detail17trampoline_kernelINS0_14default_configENS1_35radix_sort_onesweep_config_selectorIbiEEZZNS1_29radix_sort_onesweep_iterationIS3_Lb1EN6thrust23THRUST_200600_302600_NS6detail15normal_iteratorINS8_10device_ptrIbEEEESD_NSA_INSB_IiEEEESF_jNS0_19identity_decomposerENS1_16block_id_wrapperIjLb1EEEEE10hipError_tT1_PNSt15iterator_traitsISK_E10value_typeET2_T3_PNSL_ISQ_E10value_typeET4_T5_PSV_SW_PNS1_23onesweep_lookback_stateEbbT6_jjT7_P12ihipStream_tbENKUlT_T0_SK_SP_E_clISD_PbSF_PiEEDaS13_S14_SK_SP_EUlS13_E_NS1_11comp_targetILNS1_3genE4ELNS1_11target_archE910ELNS1_3gpuE8ELNS1_3repE0EEENS1_47radix_sort_onesweep_sort_config_static_selectorELNS0_4arch9wavefront6targetE1EEEvSK_.has_dyn_sized_stack, 0
	.set _ZN7rocprim17ROCPRIM_400000_NS6detail17trampoline_kernelINS0_14default_configENS1_35radix_sort_onesweep_config_selectorIbiEEZZNS1_29radix_sort_onesweep_iterationIS3_Lb1EN6thrust23THRUST_200600_302600_NS6detail15normal_iteratorINS8_10device_ptrIbEEEESD_NSA_INSB_IiEEEESF_jNS0_19identity_decomposerENS1_16block_id_wrapperIjLb1EEEEE10hipError_tT1_PNSt15iterator_traitsISK_E10value_typeET2_T3_PNSL_ISQ_E10value_typeET4_T5_PSV_SW_PNS1_23onesweep_lookback_stateEbbT6_jjT7_P12ihipStream_tbENKUlT_T0_SK_SP_E_clISD_PbSF_PiEEDaS13_S14_SK_SP_EUlS13_E_NS1_11comp_targetILNS1_3genE4ELNS1_11target_archE910ELNS1_3gpuE8ELNS1_3repE0EEENS1_47radix_sort_onesweep_sort_config_static_selectorELNS0_4arch9wavefront6targetE1EEEvSK_.has_recursion, 0
	.set _ZN7rocprim17ROCPRIM_400000_NS6detail17trampoline_kernelINS0_14default_configENS1_35radix_sort_onesweep_config_selectorIbiEEZZNS1_29radix_sort_onesweep_iterationIS3_Lb1EN6thrust23THRUST_200600_302600_NS6detail15normal_iteratorINS8_10device_ptrIbEEEESD_NSA_INSB_IiEEEESF_jNS0_19identity_decomposerENS1_16block_id_wrapperIjLb1EEEEE10hipError_tT1_PNSt15iterator_traitsISK_E10value_typeET2_T3_PNSL_ISQ_E10value_typeET4_T5_PSV_SW_PNS1_23onesweep_lookback_stateEbbT6_jjT7_P12ihipStream_tbENKUlT_T0_SK_SP_E_clISD_PbSF_PiEEDaS13_S14_SK_SP_EUlS13_E_NS1_11comp_targetILNS1_3genE4ELNS1_11target_archE910ELNS1_3gpuE8ELNS1_3repE0EEENS1_47radix_sort_onesweep_sort_config_static_selectorELNS0_4arch9wavefront6targetE1EEEvSK_.has_indirect_call, 0
	.section	.AMDGPU.csdata,"",@progbits
; Kernel info:
; codeLenInByte = 0
; TotalNumSgprs: 6
; NumVgprs: 0
; NumAgprs: 0
; TotalNumVgprs: 0
; ScratchSize: 0
; MemoryBound: 0
; FloatMode: 240
; IeeeMode: 1
; LDSByteSize: 0 bytes/workgroup (compile time only)
; SGPRBlocks: 0
; VGPRBlocks: 0
; NumSGPRsForWavesPerEU: 6
; NumVGPRsForWavesPerEU: 1
; AccumOffset: 4
; Occupancy: 8
; WaveLimiterHint : 0
; COMPUTE_PGM_RSRC2:SCRATCH_EN: 0
; COMPUTE_PGM_RSRC2:USER_SGPR: 2
; COMPUTE_PGM_RSRC2:TRAP_HANDLER: 0
; COMPUTE_PGM_RSRC2:TGID_X_EN: 1
; COMPUTE_PGM_RSRC2:TGID_Y_EN: 0
; COMPUTE_PGM_RSRC2:TGID_Z_EN: 0
; COMPUTE_PGM_RSRC2:TIDIG_COMP_CNT: 0
; COMPUTE_PGM_RSRC3_GFX90A:ACCUM_OFFSET: 0
; COMPUTE_PGM_RSRC3_GFX90A:TG_SPLIT: 0
	.section	.text._ZN7rocprim17ROCPRIM_400000_NS6detail17trampoline_kernelINS0_14default_configENS1_35radix_sort_onesweep_config_selectorIbiEEZZNS1_29radix_sort_onesweep_iterationIS3_Lb1EN6thrust23THRUST_200600_302600_NS6detail15normal_iteratorINS8_10device_ptrIbEEEESD_NSA_INSB_IiEEEESF_jNS0_19identity_decomposerENS1_16block_id_wrapperIjLb1EEEEE10hipError_tT1_PNSt15iterator_traitsISK_E10value_typeET2_T3_PNSL_ISQ_E10value_typeET4_T5_PSV_SW_PNS1_23onesweep_lookback_stateEbbT6_jjT7_P12ihipStream_tbENKUlT_T0_SK_SP_E_clISD_PbSF_PiEEDaS13_S14_SK_SP_EUlS13_E_NS1_11comp_targetILNS1_3genE3ELNS1_11target_archE908ELNS1_3gpuE7ELNS1_3repE0EEENS1_47radix_sort_onesweep_sort_config_static_selectorELNS0_4arch9wavefront6targetE1EEEvSK_,"axG",@progbits,_ZN7rocprim17ROCPRIM_400000_NS6detail17trampoline_kernelINS0_14default_configENS1_35radix_sort_onesweep_config_selectorIbiEEZZNS1_29radix_sort_onesweep_iterationIS3_Lb1EN6thrust23THRUST_200600_302600_NS6detail15normal_iteratorINS8_10device_ptrIbEEEESD_NSA_INSB_IiEEEESF_jNS0_19identity_decomposerENS1_16block_id_wrapperIjLb1EEEEE10hipError_tT1_PNSt15iterator_traitsISK_E10value_typeET2_T3_PNSL_ISQ_E10value_typeET4_T5_PSV_SW_PNS1_23onesweep_lookback_stateEbbT6_jjT7_P12ihipStream_tbENKUlT_T0_SK_SP_E_clISD_PbSF_PiEEDaS13_S14_SK_SP_EUlS13_E_NS1_11comp_targetILNS1_3genE3ELNS1_11target_archE908ELNS1_3gpuE7ELNS1_3repE0EEENS1_47radix_sort_onesweep_sort_config_static_selectorELNS0_4arch9wavefront6targetE1EEEvSK_,comdat
	.protected	_ZN7rocprim17ROCPRIM_400000_NS6detail17trampoline_kernelINS0_14default_configENS1_35radix_sort_onesweep_config_selectorIbiEEZZNS1_29radix_sort_onesweep_iterationIS3_Lb1EN6thrust23THRUST_200600_302600_NS6detail15normal_iteratorINS8_10device_ptrIbEEEESD_NSA_INSB_IiEEEESF_jNS0_19identity_decomposerENS1_16block_id_wrapperIjLb1EEEEE10hipError_tT1_PNSt15iterator_traitsISK_E10value_typeET2_T3_PNSL_ISQ_E10value_typeET4_T5_PSV_SW_PNS1_23onesweep_lookback_stateEbbT6_jjT7_P12ihipStream_tbENKUlT_T0_SK_SP_E_clISD_PbSF_PiEEDaS13_S14_SK_SP_EUlS13_E_NS1_11comp_targetILNS1_3genE3ELNS1_11target_archE908ELNS1_3gpuE7ELNS1_3repE0EEENS1_47radix_sort_onesweep_sort_config_static_selectorELNS0_4arch9wavefront6targetE1EEEvSK_ ; -- Begin function _ZN7rocprim17ROCPRIM_400000_NS6detail17trampoline_kernelINS0_14default_configENS1_35radix_sort_onesweep_config_selectorIbiEEZZNS1_29radix_sort_onesweep_iterationIS3_Lb1EN6thrust23THRUST_200600_302600_NS6detail15normal_iteratorINS8_10device_ptrIbEEEESD_NSA_INSB_IiEEEESF_jNS0_19identity_decomposerENS1_16block_id_wrapperIjLb1EEEEE10hipError_tT1_PNSt15iterator_traitsISK_E10value_typeET2_T3_PNSL_ISQ_E10value_typeET4_T5_PSV_SW_PNS1_23onesweep_lookback_stateEbbT6_jjT7_P12ihipStream_tbENKUlT_T0_SK_SP_E_clISD_PbSF_PiEEDaS13_S14_SK_SP_EUlS13_E_NS1_11comp_targetILNS1_3genE3ELNS1_11target_archE908ELNS1_3gpuE7ELNS1_3repE0EEENS1_47radix_sort_onesweep_sort_config_static_selectorELNS0_4arch9wavefront6targetE1EEEvSK_
	.globl	_ZN7rocprim17ROCPRIM_400000_NS6detail17trampoline_kernelINS0_14default_configENS1_35radix_sort_onesweep_config_selectorIbiEEZZNS1_29radix_sort_onesweep_iterationIS3_Lb1EN6thrust23THRUST_200600_302600_NS6detail15normal_iteratorINS8_10device_ptrIbEEEESD_NSA_INSB_IiEEEESF_jNS0_19identity_decomposerENS1_16block_id_wrapperIjLb1EEEEE10hipError_tT1_PNSt15iterator_traitsISK_E10value_typeET2_T3_PNSL_ISQ_E10value_typeET4_T5_PSV_SW_PNS1_23onesweep_lookback_stateEbbT6_jjT7_P12ihipStream_tbENKUlT_T0_SK_SP_E_clISD_PbSF_PiEEDaS13_S14_SK_SP_EUlS13_E_NS1_11comp_targetILNS1_3genE3ELNS1_11target_archE908ELNS1_3gpuE7ELNS1_3repE0EEENS1_47radix_sort_onesweep_sort_config_static_selectorELNS0_4arch9wavefront6targetE1EEEvSK_
	.p2align	8
	.type	_ZN7rocprim17ROCPRIM_400000_NS6detail17trampoline_kernelINS0_14default_configENS1_35radix_sort_onesweep_config_selectorIbiEEZZNS1_29radix_sort_onesweep_iterationIS3_Lb1EN6thrust23THRUST_200600_302600_NS6detail15normal_iteratorINS8_10device_ptrIbEEEESD_NSA_INSB_IiEEEESF_jNS0_19identity_decomposerENS1_16block_id_wrapperIjLb1EEEEE10hipError_tT1_PNSt15iterator_traitsISK_E10value_typeET2_T3_PNSL_ISQ_E10value_typeET4_T5_PSV_SW_PNS1_23onesweep_lookback_stateEbbT6_jjT7_P12ihipStream_tbENKUlT_T0_SK_SP_E_clISD_PbSF_PiEEDaS13_S14_SK_SP_EUlS13_E_NS1_11comp_targetILNS1_3genE3ELNS1_11target_archE908ELNS1_3gpuE7ELNS1_3repE0EEENS1_47radix_sort_onesweep_sort_config_static_selectorELNS0_4arch9wavefront6targetE1EEEvSK_,@function
_ZN7rocprim17ROCPRIM_400000_NS6detail17trampoline_kernelINS0_14default_configENS1_35radix_sort_onesweep_config_selectorIbiEEZZNS1_29radix_sort_onesweep_iterationIS3_Lb1EN6thrust23THRUST_200600_302600_NS6detail15normal_iteratorINS8_10device_ptrIbEEEESD_NSA_INSB_IiEEEESF_jNS0_19identity_decomposerENS1_16block_id_wrapperIjLb1EEEEE10hipError_tT1_PNSt15iterator_traitsISK_E10value_typeET2_T3_PNSL_ISQ_E10value_typeET4_T5_PSV_SW_PNS1_23onesweep_lookback_stateEbbT6_jjT7_P12ihipStream_tbENKUlT_T0_SK_SP_E_clISD_PbSF_PiEEDaS13_S14_SK_SP_EUlS13_E_NS1_11comp_targetILNS1_3genE3ELNS1_11target_archE908ELNS1_3gpuE7ELNS1_3repE0EEENS1_47radix_sort_onesweep_sort_config_static_selectorELNS0_4arch9wavefront6targetE1EEEvSK_: ; @_ZN7rocprim17ROCPRIM_400000_NS6detail17trampoline_kernelINS0_14default_configENS1_35radix_sort_onesweep_config_selectorIbiEEZZNS1_29radix_sort_onesweep_iterationIS3_Lb1EN6thrust23THRUST_200600_302600_NS6detail15normal_iteratorINS8_10device_ptrIbEEEESD_NSA_INSB_IiEEEESF_jNS0_19identity_decomposerENS1_16block_id_wrapperIjLb1EEEEE10hipError_tT1_PNSt15iterator_traitsISK_E10value_typeET2_T3_PNSL_ISQ_E10value_typeET4_T5_PSV_SW_PNS1_23onesweep_lookback_stateEbbT6_jjT7_P12ihipStream_tbENKUlT_T0_SK_SP_E_clISD_PbSF_PiEEDaS13_S14_SK_SP_EUlS13_E_NS1_11comp_targetILNS1_3genE3ELNS1_11target_archE908ELNS1_3gpuE7ELNS1_3repE0EEENS1_47radix_sort_onesweep_sort_config_static_selectorELNS0_4arch9wavefront6targetE1EEEvSK_
; %bb.0:
	.section	.rodata,"a",@progbits
	.p2align	6, 0x0
	.amdhsa_kernel _ZN7rocprim17ROCPRIM_400000_NS6detail17trampoline_kernelINS0_14default_configENS1_35radix_sort_onesweep_config_selectorIbiEEZZNS1_29radix_sort_onesweep_iterationIS3_Lb1EN6thrust23THRUST_200600_302600_NS6detail15normal_iteratorINS8_10device_ptrIbEEEESD_NSA_INSB_IiEEEESF_jNS0_19identity_decomposerENS1_16block_id_wrapperIjLb1EEEEE10hipError_tT1_PNSt15iterator_traitsISK_E10value_typeET2_T3_PNSL_ISQ_E10value_typeET4_T5_PSV_SW_PNS1_23onesweep_lookback_stateEbbT6_jjT7_P12ihipStream_tbENKUlT_T0_SK_SP_E_clISD_PbSF_PiEEDaS13_S14_SK_SP_EUlS13_E_NS1_11comp_targetILNS1_3genE3ELNS1_11target_archE908ELNS1_3gpuE7ELNS1_3repE0EEENS1_47radix_sort_onesweep_sort_config_static_selectorELNS0_4arch9wavefront6targetE1EEEvSK_
		.amdhsa_group_segment_fixed_size 0
		.amdhsa_private_segment_fixed_size 0
		.amdhsa_kernarg_size 88
		.amdhsa_user_sgpr_count 2
		.amdhsa_user_sgpr_dispatch_ptr 0
		.amdhsa_user_sgpr_queue_ptr 0
		.amdhsa_user_sgpr_kernarg_segment_ptr 1
		.amdhsa_user_sgpr_dispatch_id 0
		.amdhsa_user_sgpr_kernarg_preload_length 0
		.amdhsa_user_sgpr_kernarg_preload_offset 0
		.amdhsa_user_sgpr_private_segment_size 0
		.amdhsa_uses_dynamic_stack 0
		.amdhsa_enable_private_segment 0
		.amdhsa_system_sgpr_workgroup_id_x 1
		.amdhsa_system_sgpr_workgroup_id_y 0
		.amdhsa_system_sgpr_workgroup_id_z 0
		.amdhsa_system_sgpr_workgroup_info 0
		.amdhsa_system_vgpr_workitem_id 0
		.amdhsa_next_free_vgpr 1
		.amdhsa_next_free_sgpr 0
		.amdhsa_accum_offset 4
		.amdhsa_reserve_vcc 0
		.amdhsa_float_round_mode_32 0
		.amdhsa_float_round_mode_16_64 0
		.amdhsa_float_denorm_mode_32 3
		.amdhsa_float_denorm_mode_16_64 3
		.amdhsa_dx10_clamp 1
		.amdhsa_ieee_mode 1
		.amdhsa_fp16_overflow 0
		.amdhsa_tg_split 0
		.amdhsa_exception_fp_ieee_invalid_op 0
		.amdhsa_exception_fp_denorm_src 0
		.amdhsa_exception_fp_ieee_div_zero 0
		.amdhsa_exception_fp_ieee_overflow 0
		.amdhsa_exception_fp_ieee_underflow 0
		.amdhsa_exception_fp_ieee_inexact 0
		.amdhsa_exception_int_div_zero 0
	.end_amdhsa_kernel
	.section	.text._ZN7rocprim17ROCPRIM_400000_NS6detail17trampoline_kernelINS0_14default_configENS1_35radix_sort_onesweep_config_selectorIbiEEZZNS1_29radix_sort_onesweep_iterationIS3_Lb1EN6thrust23THRUST_200600_302600_NS6detail15normal_iteratorINS8_10device_ptrIbEEEESD_NSA_INSB_IiEEEESF_jNS0_19identity_decomposerENS1_16block_id_wrapperIjLb1EEEEE10hipError_tT1_PNSt15iterator_traitsISK_E10value_typeET2_T3_PNSL_ISQ_E10value_typeET4_T5_PSV_SW_PNS1_23onesweep_lookback_stateEbbT6_jjT7_P12ihipStream_tbENKUlT_T0_SK_SP_E_clISD_PbSF_PiEEDaS13_S14_SK_SP_EUlS13_E_NS1_11comp_targetILNS1_3genE3ELNS1_11target_archE908ELNS1_3gpuE7ELNS1_3repE0EEENS1_47radix_sort_onesweep_sort_config_static_selectorELNS0_4arch9wavefront6targetE1EEEvSK_,"axG",@progbits,_ZN7rocprim17ROCPRIM_400000_NS6detail17trampoline_kernelINS0_14default_configENS1_35radix_sort_onesweep_config_selectorIbiEEZZNS1_29radix_sort_onesweep_iterationIS3_Lb1EN6thrust23THRUST_200600_302600_NS6detail15normal_iteratorINS8_10device_ptrIbEEEESD_NSA_INSB_IiEEEESF_jNS0_19identity_decomposerENS1_16block_id_wrapperIjLb1EEEEE10hipError_tT1_PNSt15iterator_traitsISK_E10value_typeET2_T3_PNSL_ISQ_E10value_typeET4_T5_PSV_SW_PNS1_23onesweep_lookback_stateEbbT6_jjT7_P12ihipStream_tbENKUlT_T0_SK_SP_E_clISD_PbSF_PiEEDaS13_S14_SK_SP_EUlS13_E_NS1_11comp_targetILNS1_3genE3ELNS1_11target_archE908ELNS1_3gpuE7ELNS1_3repE0EEENS1_47radix_sort_onesweep_sort_config_static_selectorELNS0_4arch9wavefront6targetE1EEEvSK_,comdat
.Lfunc_end2232:
	.size	_ZN7rocprim17ROCPRIM_400000_NS6detail17trampoline_kernelINS0_14default_configENS1_35radix_sort_onesweep_config_selectorIbiEEZZNS1_29radix_sort_onesweep_iterationIS3_Lb1EN6thrust23THRUST_200600_302600_NS6detail15normal_iteratorINS8_10device_ptrIbEEEESD_NSA_INSB_IiEEEESF_jNS0_19identity_decomposerENS1_16block_id_wrapperIjLb1EEEEE10hipError_tT1_PNSt15iterator_traitsISK_E10value_typeET2_T3_PNSL_ISQ_E10value_typeET4_T5_PSV_SW_PNS1_23onesweep_lookback_stateEbbT6_jjT7_P12ihipStream_tbENKUlT_T0_SK_SP_E_clISD_PbSF_PiEEDaS13_S14_SK_SP_EUlS13_E_NS1_11comp_targetILNS1_3genE3ELNS1_11target_archE908ELNS1_3gpuE7ELNS1_3repE0EEENS1_47radix_sort_onesweep_sort_config_static_selectorELNS0_4arch9wavefront6targetE1EEEvSK_, .Lfunc_end2232-_ZN7rocprim17ROCPRIM_400000_NS6detail17trampoline_kernelINS0_14default_configENS1_35radix_sort_onesweep_config_selectorIbiEEZZNS1_29radix_sort_onesweep_iterationIS3_Lb1EN6thrust23THRUST_200600_302600_NS6detail15normal_iteratorINS8_10device_ptrIbEEEESD_NSA_INSB_IiEEEESF_jNS0_19identity_decomposerENS1_16block_id_wrapperIjLb1EEEEE10hipError_tT1_PNSt15iterator_traitsISK_E10value_typeET2_T3_PNSL_ISQ_E10value_typeET4_T5_PSV_SW_PNS1_23onesweep_lookback_stateEbbT6_jjT7_P12ihipStream_tbENKUlT_T0_SK_SP_E_clISD_PbSF_PiEEDaS13_S14_SK_SP_EUlS13_E_NS1_11comp_targetILNS1_3genE3ELNS1_11target_archE908ELNS1_3gpuE7ELNS1_3repE0EEENS1_47radix_sort_onesweep_sort_config_static_selectorELNS0_4arch9wavefront6targetE1EEEvSK_
                                        ; -- End function
	.set _ZN7rocprim17ROCPRIM_400000_NS6detail17trampoline_kernelINS0_14default_configENS1_35radix_sort_onesweep_config_selectorIbiEEZZNS1_29radix_sort_onesweep_iterationIS3_Lb1EN6thrust23THRUST_200600_302600_NS6detail15normal_iteratorINS8_10device_ptrIbEEEESD_NSA_INSB_IiEEEESF_jNS0_19identity_decomposerENS1_16block_id_wrapperIjLb1EEEEE10hipError_tT1_PNSt15iterator_traitsISK_E10value_typeET2_T3_PNSL_ISQ_E10value_typeET4_T5_PSV_SW_PNS1_23onesweep_lookback_stateEbbT6_jjT7_P12ihipStream_tbENKUlT_T0_SK_SP_E_clISD_PbSF_PiEEDaS13_S14_SK_SP_EUlS13_E_NS1_11comp_targetILNS1_3genE3ELNS1_11target_archE908ELNS1_3gpuE7ELNS1_3repE0EEENS1_47radix_sort_onesweep_sort_config_static_selectorELNS0_4arch9wavefront6targetE1EEEvSK_.num_vgpr, 0
	.set _ZN7rocprim17ROCPRIM_400000_NS6detail17trampoline_kernelINS0_14default_configENS1_35radix_sort_onesweep_config_selectorIbiEEZZNS1_29radix_sort_onesweep_iterationIS3_Lb1EN6thrust23THRUST_200600_302600_NS6detail15normal_iteratorINS8_10device_ptrIbEEEESD_NSA_INSB_IiEEEESF_jNS0_19identity_decomposerENS1_16block_id_wrapperIjLb1EEEEE10hipError_tT1_PNSt15iterator_traitsISK_E10value_typeET2_T3_PNSL_ISQ_E10value_typeET4_T5_PSV_SW_PNS1_23onesweep_lookback_stateEbbT6_jjT7_P12ihipStream_tbENKUlT_T0_SK_SP_E_clISD_PbSF_PiEEDaS13_S14_SK_SP_EUlS13_E_NS1_11comp_targetILNS1_3genE3ELNS1_11target_archE908ELNS1_3gpuE7ELNS1_3repE0EEENS1_47radix_sort_onesweep_sort_config_static_selectorELNS0_4arch9wavefront6targetE1EEEvSK_.num_agpr, 0
	.set _ZN7rocprim17ROCPRIM_400000_NS6detail17trampoline_kernelINS0_14default_configENS1_35radix_sort_onesweep_config_selectorIbiEEZZNS1_29radix_sort_onesweep_iterationIS3_Lb1EN6thrust23THRUST_200600_302600_NS6detail15normal_iteratorINS8_10device_ptrIbEEEESD_NSA_INSB_IiEEEESF_jNS0_19identity_decomposerENS1_16block_id_wrapperIjLb1EEEEE10hipError_tT1_PNSt15iterator_traitsISK_E10value_typeET2_T3_PNSL_ISQ_E10value_typeET4_T5_PSV_SW_PNS1_23onesweep_lookback_stateEbbT6_jjT7_P12ihipStream_tbENKUlT_T0_SK_SP_E_clISD_PbSF_PiEEDaS13_S14_SK_SP_EUlS13_E_NS1_11comp_targetILNS1_3genE3ELNS1_11target_archE908ELNS1_3gpuE7ELNS1_3repE0EEENS1_47radix_sort_onesweep_sort_config_static_selectorELNS0_4arch9wavefront6targetE1EEEvSK_.numbered_sgpr, 0
	.set _ZN7rocprim17ROCPRIM_400000_NS6detail17trampoline_kernelINS0_14default_configENS1_35radix_sort_onesweep_config_selectorIbiEEZZNS1_29radix_sort_onesweep_iterationIS3_Lb1EN6thrust23THRUST_200600_302600_NS6detail15normal_iteratorINS8_10device_ptrIbEEEESD_NSA_INSB_IiEEEESF_jNS0_19identity_decomposerENS1_16block_id_wrapperIjLb1EEEEE10hipError_tT1_PNSt15iterator_traitsISK_E10value_typeET2_T3_PNSL_ISQ_E10value_typeET4_T5_PSV_SW_PNS1_23onesweep_lookback_stateEbbT6_jjT7_P12ihipStream_tbENKUlT_T0_SK_SP_E_clISD_PbSF_PiEEDaS13_S14_SK_SP_EUlS13_E_NS1_11comp_targetILNS1_3genE3ELNS1_11target_archE908ELNS1_3gpuE7ELNS1_3repE0EEENS1_47radix_sort_onesweep_sort_config_static_selectorELNS0_4arch9wavefront6targetE1EEEvSK_.num_named_barrier, 0
	.set _ZN7rocprim17ROCPRIM_400000_NS6detail17trampoline_kernelINS0_14default_configENS1_35radix_sort_onesweep_config_selectorIbiEEZZNS1_29radix_sort_onesweep_iterationIS3_Lb1EN6thrust23THRUST_200600_302600_NS6detail15normal_iteratorINS8_10device_ptrIbEEEESD_NSA_INSB_IiEEEESF_jNS0_19identity_decomposerENS1_16block_id_wrapperIjLb1EEEEE10hipError_tT1_PNSt15iterator_traitsISK_E10value_typeET2_T3_PNSL_ISQ_E10value_typeET4_T5_PSV_SW_PNS1_23onesweep_lookback_stateEbbT6_jjT7_P12ihipStream_tbENKUlT_T0_SK_SP_E_clISD_PbSF_PiEEDaS13_S14_SK_SP_EUlS13_E_NS1_11comp_targetILNS1_3genE3ELNS1_11target_archE908ELNS1_3gpuE7ELNS1_3repE0EEENS1_47radix_sort_onesweep_sort_config_static_selectorELNS0_4arch9wavefront6targetE1EEEvSK_.private_seg_size, 0
	.set _ZN7rocprim17ROCPRIM_400000_NS6detail17trampoline_kernelINS0_14default_configENS1_35radix_sort_onesweep_config_selectorIbiEEZZNS1_29radix_sort_onesweep_iterationIS3_Lb1EN6thrust23THRUST_200600_302600_NS6detail15normal_iteratorINS8_10device_ptrIbEEEESD_NSA_INSB_IiEEEESF_jNS0_19identity_decomposerENS1_16block_id_wrapperIjLb1EEEEE10hipError_tT1_PNSt15iterator_traitsISK_E10value_typeET2_T3_PNSL_ISQ_E10value_typeET4_T5_PSV_SW_PNS1_23onesweep_lookback_stateEbbT6_jjT7_P12ihipStream_tbENKUlT_T0_SK_SP_E_clISD_PbSF_PiEEDaS13_S14_SK_SP_EUlS13_E_NS1_11comp_targetILNS1_3genE3ELNS1_11target_archE908ELNS1_3gpuE7ELNS1_3repE0EEENS1_47radix_sort_onesweep_sort_config_static_selectorELNS0_4arch9wavefront6targetE1EEEvSK_.uses_vcc, 0
	.set _ZN7rocprim17ROCPRIM_400000_NS6detail17trampoline_kernelINS0_14default_configENS1_35radix_sort_onesweep_config_selectorIbiEEZZNS1_29radix_sort_onesweep_iterationIS3_Lb1EN6thrust23THRUST_200600_302600_NS6detail15normal_iteratorINS8_10device_ptrIbEEEESD_NSA_INSB_IiEEEESF_jNS0_19identity_decomposerENS1_16block_id_wrapperIjLb1EEEEE10hipError_tT1_PNSt15iterator_traitsISK_E10value_typeET2_T3_PNSL_ISQ_E10value_typeET4_T5_PSV_SW_PNS1_23onesweep_lookback_stateEbbT6_jjT7_P12ihipStream_tbENKUlT_T0_SK_SP_E_clISD_PbSF_PiEEDaS13_S14_SK_SP_EUlS13_E_NS1_11comp_targetILNS1_3genE3ELNS1_11target_archE908ELNS1_3gpuE7ELNS1_3repE0EEENS1_47radix_sort_onesweep_sort_config_static_selectorELNS0_4arch9wavefront6targetE1EEEvSK_.uses_flat_scratch, 0
	.set _ZN7rocprim17ROCPRIM_400000_NS6detail17trampoline_kernelINS0_14default_configENS1_35radix_sort_onesweep_config_selectorIbiEEZZNS1_29radix_sort_onesweep_iterationIS3_Lb1EN6thrust23THRUST_200600_302600_NS6detail15normal_iteratorINS8_10device_ptrIbEEEESD_NSA_INSB_IiEEEESF_jNS0_19identity_decomposerENS1_16block_id_wrapperIjLb1EEEEE10hipError_tT1_PNSt15iterator_traitsISK_E10value_typeET2_T3_PNSL_ISQ_E10value_typeET4_T5_PSV_SW_PNS1_23onesweep_lookback_stateEbbT6_jjT7_P12ihipStream_tbENKUlT_T0_SK_SP_E_clISD_PbSF_PiEEDaS13_S14_SK_SP_EUlS13_E_NS1_11comp_targetILNS1_3genE3ELNS1_11target_archE908ELNS1_3gpuE7ELNS1_3repE0EEENS1_47radix_sort_onesweep_sort_config_static_selectorELNS0_4arch9wavefront6targetE1EEEvSK_.has_dyn_sized_stack, 0
	.set _ZN7rocprim17ROCPRIM_400000_NS6detail17trampoline_kernelINS0_14default_configENS1_35radix_sort_onesweep_config_selectorIbiEEZZNS1_29radix_sort_onesweep_iterationIS3_Lb1EN6thrust23THRUST_200600_302600_NS6detail15normal_iteratorINS8_10device_ptrIbEEEESD_NSA_INSB_IiEEEESF_jNS0_19identity_decomposerENS1_16block_id_wrapperIjLb1EEEEE10hipError_tT1_PNSt15iterator_traitsISK_E10value_typeET2_T3_PNSL_ISQ_E10value_typeET4_T5_PSV_SW_PNS1_23onesweep_lookback_stateEbbT6_jjT7_P12ihipStream_tbENKUlT_T0_SK_SP_E_clISD_PbSF_PiEEDaS13_S14_SK_SP_EUlS13_E_NS1_11comp_targetILNS1_3genE3ELNS1_11target_archE908ELNS1_3gpuE7ELNS1_3repE0EEENS1_47radix_sort_onesweep_sort_config_static_selectorELNS0_4arch9wavefront6targetE1EEEvSK_.has_recursion, 0
	.set _ZN7rocprim17ROCPRIM_400000_NS6detail17trampoline_kernelINS0_14default_configENS1_35radix_sort_onesweep_config_selectorIbiEEZZNS1_29radix_sort_onesweep_iterationIS3_Lb1EN6thrust23THRUST_200600_302600_NS6detail15normal_iteratorINS8_10device_ptrIbEEEESD_NSA_INSB_IiEEEESF_jNS0_19identity_decomposerENS1_16block_id_wrapperIjLb1EEEEE10hipError_tT1_PNSt15iterator_traitsISK_E10value_typeET2_T3_PNSL_ISQ_E10value_typeET4_T5_PSV_SW_PNS1_23onesweep_lookback_stateEbbT6_jjT7_P12ihipStream_tbENKUlT_T0_SK_SP_E_clISD_PbSF_PiEEDaS13_S14_SK_SP_EUlS13_E_NS1_11comp_targetILNS1_3genE3ELNS1_11target_archE908ELNS1_3gpuE7ELNS1_3repE0EEENS1_47radix_sort_onesweep_sort_config_static_selectorELNS0_4arch9wavefront6targetE1EEEvSK_.has_indirect_call, 0
	.section	.AMDGPU.csdata,"",@progbits
; Kernel info:
; codeLenInByte = 0
; TotalNumSgprs: 6
; NumVgprs: 0
; NumAgprs: 0
; TotalNumVgprs: 0
; ScratchSize: 0
; MemoryBound: 0
; FloatMode: 240
; IeeeMode: 1
; LDSByteSize: 0 bytes/workgroup (compile time only)
; SGPRBlocks: 0
; VGPRBlocks: 0
; NumSGPRsForWavesPerEU: 6
; NumVGPRsForWavesPerEU: 1
; AccumOffset: 4
; Occupancy: 8
; WaveLimiterHint : 0
; COMPUTE_PGM_RSRC2:SCRATCH_EN: 0
; COMPUTE_PGM_RSRC2:USER_SGPR: 2
; COMPUTE_PGM_RSRC2:TRAP_HANDLER: 0
; COMPUTE_PGM_RSRC2:TGID_X_EN: 1
; COMPUTE_PGM_RSRC2:TGID_Y_EN: 0
; COMPUTE_PGM_RSRC2:TGID_Z_EN: 0
; COMPUTE_PGM_RSRC2:TIDIG_COMP_CNT: 0
; COMPUTE_PGM_RSRC3_GFX90A:ACCUM_OFFSET: 0
; COMPUTE_PGM_RSRC3_GFX90A:TG_SPLIT: 0
	.section	.text._ZN7rocprim17ROCPRIM_400000_NS6detail17trampoline_kernelINS0_14default_configENS1_35radix_sort_onesweep_config_selectorIbiEEZZNS1_29radix_sort_onesweep_iterationIS3_Lb1EN6thrust23THRUST_200600_302600_NS6detail15normal_iteratorINS8_10device_ptrIbEEEESD_NSA_INSB_IiEEEESF_jNS0_19identity_decomposerENS1_16block_id_wrapperIjLb1EEEEE10hipError_tT1_PNSt15iterator_traitsISK_E10value_typeET2_T3_PNSL_ISQ_E10value_typeET4_T5_PSV_SW_PNS1_23onesweep_lookback_stateEbbT6_jjT7_P12ihipStream_tbENKUlT_T0_SK_SP_E_clISD_PbSF_PiEEDaS13_S14_SK_SP_EUlS13_E_NS1_11comp_targetILNS1_3genE10ELNS1_11target_archE1201ELNS1_3gpuE5ELNS1_3repE0EEENS1_47radix_sort_onesweep_sort_config_static_selectorELNS0_4arch9wavefront6targetE1EEEvSK_,"axG",@progbits,_ZN7rocprim17ROCPRIM_400000_NS6detail17trampoline_kernelINS0_14default_configENS1_35radix_sort_onesweep_config_selectorIbiEEZZNS1_29radix_sort_onesweep_iterationIS3_Lb1EN6thrust23THRUST_200600_302600_NS6detail15normal_iteratorINS8_10device_ptrIbEEEESD_NSA_INSB_IiEEEESF_jNS0_19identity_decomposerENS1_16block_id_wrapperIjLb1EEEEE10hipError_tT1_PNSt15iterator_traitsISK_E10value_typeET2_T3_PNSL_ISQ_E10value_typeET4_T5_PSV_SW_PNS1_23onesweep_lookback_stateEbbT6_jjT7_P12ihipStream_tbENKUlT_T0_SK_SP_E_clISD_PbSF_PiEEDaS13_S14_SK_SP_EUlS13_E_NS1_11comp_targetILNS1_3genE10ELNS1_11target_archE1201ELNS1_3gpuE5ELNS1_3repE0EEENS1_47radix_sort_onesweep_sort_config_static_selectorELNS0_4arch9wavefront6targetE1EEEvSK_,comdat
	.protected	_ZN7rocprim17ROCPRIM_400000_NS6detail17trampoline_kernelINS0_14default_configENS1_35radix_sort_onesweep_config_selectorIbiEEZZNS1_29radix_sort_onesweep_iterationIS3_Lb1EN6thrust23THRUST_200600_302600_NS6detail15normal_iteratorINS8_10device_ptrIbEEEESD_NSA_INSB_IiEEEESF_jNS0_19identity_decomposerENS1_16block_id_wrapperIjLb1EEEEE10hipError_tT1_PNSt15iterator_traitsISK_E10value_typeET2_T3_PNSL_ISQ_E10value_typeET4_T5_PSV_SW_PNS1_23onesweep_lookback_stateEbbT6_jjT7_P12ihipStream_tbENKUlT_T0_SK_SP_E_clISD_PbSF_PiEEDaS13_S14_SK_SP_EUlS13_E_NS1_11comp_targetILNS1_3genE10ELNS1_11target_archE1201ELNS1_3gpuE5ELNS1_3repE0EEENS1_47radix_sort_onesweep_sort_config_static_selectorELNS0_4arch9wavefront6targetE1EEEvSK_ ; -- Begin function _ZN7rocprim17ROCPRIM_400000_NS6detail17trampoline_kernelINS0_14default_configENS1_35radix_sort_onesweep_config_selectorIbiEEZZNS1_29radix_sort_onesweep_iterationIS3_Lb1EN6thrust23THRUST_200600_302600_NS6detail15normal_iteratorINS8_10device_ptrIbEEEESD_NSA_INSB_IiEEEESF_jNS0_19identity_decomposerENS1_16block_id_wrapperIjLb1EEEEE10hipError_tT1_PNSt15iterator_traitsISK_E10value_typeET2_T3_PNSL_ISQ_E10value_typeET4_T5_PSV_SW_PNS1_23onesweep_lookback_stateEbbT6_jjT7_P12ihipStream_tbENKUlT_T0_SK_SP_E_clISD_PbSF_PiEEDaS13_S14_SK_SP_EUlS13_E_NS1_11comp_targetILNS1_3genE10ELNS1_11target_archE1201ELNS1_3gpuE5ELNS1_3repE0EEENS1_47radix_sort_onesweep_sort_config_static_selectorELNS0_4arch9wavefront6targetE1EEEvSK_
	.globl	_ZN7rocprim17ROCPRIM_400000_NS6detail17trampoline_kernelINS0_14default_configENS1_35radix_sort_onesweep_config_selectorIbiEEZZNS1_29radix_sort_onesweep_iterationIS3_Lb1EN6thrust23THRUST_200600_302600_NS6detail15normal_iteratorINS8_10device_ptrIbEEEESD_NSA_INSB_IiEEEESF_jNS0_19identity_decomposerENS1_16block_id_wrapperIjLb1EEEEE10hipError_tT1_PNSt15iterator_traitsISK_E10value_typeET2_T3_PNSL_ISQ_E10value_typeET4_T5_PSV_SW_PNS1_23onesweep_lookback_stateEbbT6_jjT7_P12ihipStream_tbENKUlT_T0_SK_SP_E_clISD_PbSF_PiEEDaS13_S14_SK_SP_EUlS13_E_NS1_11comp_targetILNS1_3genE10ELNS1_11target_archE1201ELNS1_3gpuE5ELNS1_3repE0EEENS1_47radix_sort_onesweep_sort_config_static_selectorELNS0_4arch9wavefront6targetE1EEEvSK_
	.p2align	8
	.type	_ZN7rocprim17ROCPRIM_400000_NS6detail17trampoline_kernelINS0_14default_configENS1_35radix_sort_onesweep_config_selectorIbiEEZZNS1_29radix_sort_onesweep_iterationIS3_Lb1EN6thrust23THRUST_200600_302600_NS6detail15normal_iteratorINS8_10device_ptrIbEEEESD_NSA_INSB_IiEEEESF_jNS0_19identity_decomposerENS1_16block_id_wrapperIjLb1EEEEE10hipError_tT1_PNSt15iterator_traitsISK_E10value_typeET2_T3_PNSL_ISQ_E10value_typeET4_T5_PSV_SW_PNS1_23onesweep_lookback_stateEbbT6_jjT7_P12ihipStream_tbENKUlT_T0_SK_SP_E_clISD_PbSF_PiEEDaS13_S14_SK_SP_EUlS13_E_NS1_11comp_targetILNS1_3genE10ELNS1_11target_archE1201ELNS1_3gpuE5ELNS1_3repE0EEENS1_47radix_sort_onesweep_sort_config_static_selectorELNS0_4arch9wavefront6targetE1EEEvSK_,@function
_ZN7rocprim17ROCPRIM_400000_NS6detail17trampoline_kernelINS0_14default_configENS1_35radix_sort_onesweep_config_selectorIbiEEZZNS1_29radix_sort_onesweep_iterationIS3_Lb1EN6thrust23THRUST_200600_302600_NS6detail15normal_iteratorINS8_10device_ptrIbEEEESD_NSA_INSB_IiEEEESF_jNS0_19identity_decomposerENS1_16block_id_wrapperIjLb1EEEEE10hipError_tT1_PNSt15iterator_traitsISK_E10value_typeET2_T3_PNSL_ISQ_E10value_typeET4_T5_PSV_SW_PNS1_23onesweep_lookback_stateEbbT6_jjT7_P12ihipStream_tbENKUlT_T0_SK_SP_E_clISD_PbSF_PiEEDaS13_S14_SK_SP_EUlS13_E_NS1_11comp_targetILNS1_3genE10ELNS1_11target_archE1201ELNS1_3gpuE5ELNS1_3repE0EEENS1_47radix_sort_onesweep_sort_config_static_selectorELNS0_4arch9wavefront6targetE1EEEvSK_: ; @_ZN7rocprim17ROCPRIM_400000_NS6detail17trampoline_kernelINS0_14default_configENS1_35radix_sort_onesweep_config_selectorIbiEEZZNS1_29radix_sort_onesweep_iterationIS3_Lb1EN6thrust23THRUST_200600_302600_NS6detail15normal_iteratorINS8_10device_ptrIbEEEESD_NSA_INSB_IiEEEESF_jNS0_19identity_decomposerENS1_16block_id_wrapperIjLb1EEEEE10hipError_tT1_PNSt15iterator_traitsISK_E10value_typeET2_T3_PNSL_ISQ_E10value_typeET4_T5_PSV_SW_PNS1_23onesweep_lookback_stateEbbT6_jjT7_P12ihipStream_tbENKUlT_T0_SK_SP_E_clISD_PbSF_PiEEDaS13_S14_SK_SP_EUlS13_E_NS1_11comp_targetILNS1_3genE10ELNS1_11target_archE1201ELNS1_3gpuE5ELNS1_3repE0EEENS1_47radix_sort_onesweep_sort_config_static_selectorELNS0_4arch9wavefront6targetE1EEEvSK_
; %bb.0:
	.section	.rodata,"a",@progbits
	.p2align	6, 0x0
	.amdhsa_kernel _ZN7rocprim17ROCPRIM_400000_NS6detail17trampoline_kernelINS0_14default_configENS1_35radix_sort_onesweep_config_selectorIbiEEZZNS1_29radix_sort_onesweep_iterationIS3_Lb1EN6thrust23THRUST_200600_302600_NS6detail15normal_iteratorINS8_10device_ptrIbEEEESD_NSA_INSB_IiEEEESF_jNS0_19identity_decomposerENS1_16block_id_wrapperIjLb1EEEEE10hipError_tT1_PNSt15iterator_traitsISK_E10value_typeET2_T3_PNSL_ISQ_E10value_typeET4_T5_PSV_SW_PNS1_23onesweep_lookback_stateEbbT6_jjT7_P12ihipStream_tbENKUlT_T0_SK_SP_E_clISD_PbSF_PiEEDaS13_S14_SK_SP_EUlS13_E_NS1_11comp_targetILNS1_3genE10ELNS1_11target_archE1201ELNS1_3gpuE5ELNS1_3repE0EEENS1_47radix_sort_onesweep_sort_config_static_selectorELNS0_4arch9wavefront6targetE1EEEvSK_
		.amdhsa_group_segment_fixed_size 0
		.amdhsa_private_segment_fixed_size 0
		.amdhsa_kernarg_size 88
		.amdhsa_user_sgpr_count 2
		.amdhsa_user_sgpr_dispatch_ptr 0
		.amdhsa_user_sgpr_queue_ptr 0
		.amdhsa_user_sgpr_kernarg_segment_ptr 1
		.amdhsa_user_sgpr_dispatch_id 0
		.amdhsa_user_sgpr_kernarg_preload_length 0
		.amdhsa_user_sgpr_kernarg_preload_offset 0
		.amdhsa_user_sgpr_private_segment_size 0
		.amdhsa_uses_dynamic_stack 0
		.amdhsa_enable_private_segment 0
		.amdhsa_system_sgpr_workgroup_id_x 1
		.amdhsa_system_sgpr_workgroup_id_y 0
		.amdhsa_system_sgpr_workgroup_id_z 0
		.amdhsa_system_sgpr_workgroup_info 0
		.amdhsa_system_vgpr_workitem_id 0
		.amdhsa_next_free_vgpr 1
		.amdhsa_next_free_sgpr 0
		.amdhsa_accum_offset 4
		.amdhsa_reserve_vcc 0
		.amdhsa_float_round_mode_32 0
		.amdhsa_float_round_mode_16_64 0
		.amdhsa_float_denorm_mode_32 3
		.amdhsa_float_denorm_mode_16_64 3
		.amdhsa_dx10_clamp 1
		.amdhsa_ieee_mode 1
		.amdhsa_fp16_overflow 0
		.amdhsa_tg_split 0
		.amdhsa_exception_fp_ieee_invalid_op 0
		.amdhsa_exception_fp_denorm_src 0
		.amdhsa_exception_fp_ieee_div_zero 0
		.amdhsa_exception_fp_ieee_overflow 0
		.amdhsa_exception_fp_ieee_underflow 0
		.amdhsa_exception_fp_ieee_inexact 0
		.amdhsa_exception_int_div_zero 0
	.end_amdhsa_kernel
	.section	.text._ZN7rocprim17ROCPRIM_400000_NS6detail17trampoline_kernelINS0_14default_configENS1_35radix_sort_onesweep_config_selectorIbiEEZZNS1_29radix_sort_onesweep_iterationIS3_Lb1EN6thrust23THRUST_200600_302600_NS6detail15normal_iteratorINS8_10device_ptrIbEEEESD_NSA_INSB_IiEEEESF_jNS0_19identity_decomposerENS1_16block_id_wrapperIjLb1EEEEE10hipError_tT1_PNSt15iterator_traitsISK_E10value_typeET2_T3_PNSL_ISQ_E10value_typeET4_T5_PSV_SW_PNS1_23onesweep_lookback_stateEbbT6_jjT7_P12ihipStream_tbENKUlT_T0_SK_SP_E_clISD_PbSF_PiEEDaS13_S14_SK_SP_EUlS13_E_NS1_11comp_targetILNS1_3genE10ELNS1_11target_archE1201ELNS1_3gpuE5ELNS1_3repE0EEENS1_47radix_sort_onesweep_sort_config_static_selectorELNS0_4arch9wavefront6targetE1EEEvSK_,"axG",@progbits,_ZN7rocprim17ROCPRIM_400000_NS6detail17trampoline_kernelINS0_14default_configENS1_35radix_sort_onesweep_config_selectorIbiEEZZNS1_29radix_sort_onesweep_iterationIS3_Lb1EN6thrust23THRUST_200600_302600_NS6detail15normal_iteratorINS8_10device_ptrIbEEEESD_NSA_INSB_IiEEEESF_jNS0_19identity_decomposerENS1_16block_id_wrapperIjLb1EEEEE10hipError_tT1_PNSt15iterator_traitsISK_E10value_typeET2_T3_PNSL_ISQ_E10value_typeET4_T5_PSV_SW_PNS1_23onesweep_lookback_stateEbbT6_jjT7_P12ihipStream_tbENKUlT_T0_SK_SP_E_clISD_PbSF_PiEEDaS13_S14_SK_SP_EUlS13_E_NS1_11comp_targetILNS1_3genE10ELNS1_11target_archE1201ELNS1_3gpuE5ELNS1_3repE0EEENS1_47radix_sort_onesweep_sort_config_static_selectorELNS0_4arch9wavefront6targetE1EEEvSK_,comdat
.Lfunc_end2233:
	.size	_ZN7rocprim17ROCPRIM_400000_NS6detail17trampoline_kernelINS0_14default_configENS1_35radix_sort_onesweep_config_selectorIbiEEZZNS1_29radix_sort_onesweep_iterationIS3_Lb1EN6thrust23THRUST_200600_302600_NS6detail15normal_iteratorINS8_10device_ptrIbEEEESD_NSA_INSB_IiEEEESF_jNS0_19identity_decomposerENS1_16block_id_wrapperIjLb1EEEEE10hipError_tT1_PNSt15iterator_traitsISK_E10value_typeET2_T3_PNSL_ISQ_E10value_typeET4_T5_PSV_SW_PNS1_23onesweep_lookback_stateEbbT6_jjT7_P12ihipStream_tbENKUlT_T0_SK_SP_E_clISD_PbSF_PiEEDaS13_S14_SK_SP_EUlS13_E_NS1_11comp_targetILNS1_3genE10ELNS1_11target_archE1201ELNS1_3gpuE5ELNS1_3repE0EEENS1_47radix_sort_onesweep_sort_config_static_selectorELNS0_4arch9wavefront6targetE1EEEvSK_, .Lfunc_end2233-_ZN7rocprim17ROCPRIM_400000_NS6detail17trampoline_kernelINS0_14default_configENS1_35radix_sort_onesweep_config_selectorIbiEEZZNS1_29radix_sort_onesweep_iterationIS3_Lb1EN6thrust23THRUST_200600_302600_NS6detail15normal_iteratorINS8_10device_ptrIbEEEESD_NSA_INSB_IiEEEESF_jNS0_19identity_decomposerENS1_16block_id_wrapperIjLb1EEEEE10hipError_tT1_PNSt15iterator_traitsISK_E10value_typeET2_T3_PNSL_ISQ_E10value_typeET4_T5_PSV_SW_PNS1_23onesweep_lookback_stateEbbT6_jjT7_P12ihipStream_tbENKUlT_T0_SK_SP_E_clISD_PbSF_PiEEDaS13_S14_SK_SP_EUlS13_E_NS1_11comp_targetILNS1_3genE10ELNS1_11target_archE1201ELNS1_3gpuE5ELNS1_3repE0EEENS1_47radix_sort_onesweep_sort_config_static_selectorELNS0_4arch9wavefront6targetE1EEEvSK_
                                        ; -- End function
	.set _ZN7rocprim17ROCPRIM_400000_NS6detail17trampoline_kernelINS0_14default_configENS1_35radix_sort_onesweep_config_selectorIbiEEZZNS1_29radix_sort_onesweep_iterationIS3_Lb1EN6thrust23THRUST_200600_302600_NS6detail15normal_iteratorINS8_10device_ptrIbEEEESD_NSA_INSB_IiEEEESF_jNS0_19identity_decomposerENS1_16block_id_wrapperIjLb1EEEEE10hipError_tT1_PNSt15iterator_traitsISK_E10value_typeET2_T3_PNSL_ISQ_E10value_typeET4_T5_PSV_SW_PNS1_23onesweep_lookback_stateEbbT6_jjT7_P12ihipStream_tbENKUlT_T0_SK_SP_E_clISD_PbSF_PiEEDaS13_S14_SK_SP_EUlS13_E_NS1_11comp_targetILNS1_3genE10ELNS1_11target_archE1201ELNS1_3gpuE5ELNS1_3repE0EEENS1_47radix_sort_onesweep_sort_config_static_selectorELNS0_4arch9wavefront6targetE1EEEvSK_.num_vgpr, 0
	.set _ZN7rocprim17ROCPRIM_400000_NS6detail17trampoline_kernelINS0_14default_configENS1_35radix_sort_onesweep_config_selectorIbiEEZZNS1_29radix_sort_onesweep_iterationIS3_Lb1EN6thrust23THRUST_200600_302600_NS6detail15normal_iteratorINS8_10device_ptrIbEEEESD_NSA_INSB_IiEEEESF_jNS0_19identity_decomposerENS1_16block_id_wrapperIjLb1EEEEE10hipError_tT1_PNSt15iterator_traitsISK_E10value_typeET2_T3_PNSL_ISQ_E10value_typeET4_T5_PSV_SW_PNS1_23onesweep_lookback_stateEbbT6_jjT7_P12ihipStream_tbENKUlT_T0_SK_SP_E_clISD_PbSF_PiEEDaS13_S14_SK_SP_EUlS13_E_NS1_11comp_targetILNS1_3genE10ELNS1_11target_archE1201ELNS1_3gpuE5ELNS1_3repE0EEENS1_47radix_sort_onesweep_sort_config_static_selectorELNS0_4arch9wavefront6targetE1EEEvSK_.num_agpr, 0
	.set _ZN7rocprim17ROCPRIM_400000_NS6detail17trampoline_kernelINS0_14default_configENS1_35radix_sort_onesweep_config_selectorIbiEEZZNS1_29radix_sort_onesweep_iterationIS3_Lb1EN6thrust23THRUST_200600_302600_NS6detail15normal_iteratorINS8_10device_ptrIbEEEESD_NSA_INSB_IiEEEESF_jNS0_19identity_decomposerENS1_16block_id_wrapperIjLb1EEEEE10hipError_tT1_PNSt15iterator_traitsISK_E10value_typeET2_T3_PNSL_ISQ_E10value_typeET4_T5_PSV_SW_PNS1_23onesweep_lookback_stateEbbT6_jjT7_P12ihipStream_tbENKUlT_T0_SK_SP_E_clISD_PbSF_PiEEDaS13_S14_SK_SP_EUlS13_E_NS1_11comp_targetILNS1_3genE10ELNS1_11target_archE1201ELNS1_3gpuE5ELNS1_3repE0EEENS1_47radix_sort_onesweep_sort_config_static_selectorELNS0_4arch9wavefront6targetE1EEEvSK_.numbered_sgpr, 0
	.set _ZN7rocprim17ROCPRIM_400000_NS6detail17trampoline_kernelINS0_14default_configENS1_35radix_sort_onesweep_config_selectorIbiEEZZNS1_29radix_sort_onesweep_iterationIS3_Lb1EN6thrust23THRUST_200600_302600_NS6detail15normal_iteratorINS8_10device_ptrIbEEEESD_NSA_INSB_IiEEEESF_jNS0_19identity_decomposerENS1_16block_id_wrapperIjLb1EEEEE10hipError_tT1_PNSt15iterator_traitsISK_E10value_typeET2_T3_PNSL_ISQ_E10value_typeET4_T5_PSV_SW_PNS1_23onesweep_lookback_stateEbbT6_jjT7_P12ihipStream_tbENKUlT_T0_SK_SP_E_clISD_PbSF_PiEEDaS13_S14_SK_SP_EUlS13_E_NS1_11comp_targetILNS1_3genE10ELNS1_11target_archE1201ELNS1_3gpuE5ELNS1_3repE0EEENS1_47radix_sort_onesweep_sort_config_static_selectorELNS0_4arch9wavefront6targetE1EEEvSK_.num_named_barrier, 0
	.set _ZN7rocprim17ROCPRIM_400000_NS6detail17trampoline_kernelINS0_14default_configENS1_35radix_sort_onesweep_config_selectorIbiEEZZNS1_29radix_sort_onesweep_iterationIS3_Lb1EN6thrust23THRUST_200600_302600_NS6detail15normal_iteratorINS8_10device_ptrIbEEEESD_NSA_INSB_IiEEEESF_jNS0_19identity_decomposerENS1_16block_id_wrapperIjLb1EEEEE10hipError_tT1_PNSt15iterator_traitsISK_E10value_typeET2_T3_PNSL_ISQ_E10value_typeET4_T5_PSV_SW_PNS1_23onesweep_lookback_stateEbbT6_jjT7_P12ihipStream_tbENKUlT_T0_SK_SP_E_clISD_PbSF_PiEEDaS13_S14_SK_SP_EUlS13_E_NS1_11comp_targetILNS1_3genE10ELNS1_11target_archE1201ELNS1_3gpuE5ELNS1_3repE0EEENS1_47radix_sort_onesweep_sort_config_static_selectorELNS0_4arch9wavefront6targetE1EEEvSK_.private_seg_size, 0
	.set _ZN7rocprim17ROCPRIM_400000_NS6detail17trampoline_kernelINS0_14default_configENS1_35radix_sort_onesweep_config_selectorIbiEEZZNS1_29radix_sort_onesweep_iterationIS3_Lb1EN6thrust23THRUST_200600_302600_NS6detail15normal_iteratorINS8_10device_ptrIbEEEESD_NSA_INSB_IiEEEESF_jNS0_19identity_decomposerENS1_16block_id_wrapperIjLb1EEEEE10hipError_tT1_PNSt15iterator_traitsISK_E10value_typeET2_T3_PNSL_ISQ_E10value_typeET4_T5_PSV_SW_PNS1_23onesweep_lookback_stateEbbT6_jjT7_P12ihipStream_tbENKUlT_T0_SK_SP_E_clISD_PbSF_PiEEDaS13_S14_SK_SP_EUlS13_E_NS1_11comp_targetILNS1_3genE10ELNS1_11target_archE1201ELNS1_3gpuE5ELNS1_3repE0EEENS1_47radix_sort_onesweep_sort_config_static_selectorELNS0_4arch9wavefront6targetE1EEEvSK_.uses_vcc, 0
	.set _ZN7rocprim17ROCPRIM_400000_NS6detail17trampoline_kernelINS0_14default_configENS1_35radix_sort_onesweep_config_selectorIbiEEZZNS1_29radix_sort_onesweep_iterationIS3_Lb1EN6thrust23THRUST_200600_302600_NS6detail15normal_iteratorINS8_10device_ptrIbEEEESD_NSA_INSB_IiEEEESF_jNS0_19identity_decomposerENS1_16block_id_wrapperIjLb1EEEEE10hipError_tT1_PNSt15iterator_traitsISK_E10value_typeET2_T3_PNSL_ISQ_E10value_typeET4_T5_PSV_SW_PNS1_23onesweep_lookback_stateEbbT6_jjT7_P12ihipStream_tbENKUlT_T0_SK_SP_E_clISD_PbSF_PiEEDaS13_S14_SK_SP_EUlS13_E_NS1_11comp_targetILNS1_3genE10ELNS1_11target_archE1201ELNS1_3gpuE5ELNS1_3repE0EEENS1_47radix_sort_onesweep_sort_config_static_selectorELNS0_4arch9wavefront6targetE1EEEvSK_.uses_flat_scratch, 0
	.set _ZN7rocprim17ROCPRIM_400000_NS6detail17trampoline_kernelINS0_14default_configENS1_35radix_sort_onesweep_config_selectorIbiEEZZNS1_29radix_sort_onesweep_iterationIS3_Lb1EN6thrust23THRUST_200600_302600_NS6detail15normal_iteratorINS8_10device_ptrIbEEEESD_NSA_INSB_IiEEEESF_jNS0_19identity_decomposerENS1_16block_id_wrapperIjLb1EEEEE10hipError_tT1_PNSt15iterator_traitsISK_E10value_typeET2_T3_PNSL_ISQ_E10value_typeET4_T5_PSV_SW_PNS1_23onesweep_lookback_stateEbbT6_jjT7_P12ihipStream_tbENKUlT_T0_SK_SP_E_clISD_PbSF_PiEEDaS13_S14_SK_SP_EUlS13_E_NS1_11comp_targetILNS1_3genE10ELNS1_11target_archE1201ELNS1_3gpuE5ELNS1_3repE0EEENS1_47radix_sort_onesweep_sort_config_static_selectorELNS0_4arch9wavefront6targetE1EEEvSK_.has_dyn_sized_stack, 0
	.set _ZN7rocprim17ROCPRIM_400000_NS6detail17trampoline_kernelINS0_14default_configENS1_35radix_sort_onesweep_config_selectorIbiEEZZNS1_29radix_sort_onesweep_iterationIS3_Lb1EN6thrust23THRUST_200600_302600_NS6detail15normal_iteratorINS8_10device_ptrIbEEEESD_NSA_INSB_IiEEEESF_jNS0_19identity_decomposerENS1_16block_id_wrapperIjLb1EEEEE10hipError_tT1_PNSt15iterator_traitsISK_E10value_typeET2_T3_PNSL_ISQ_E10value_typeET4_T5_PSV_SW_PNS1_23onesweep_lookback_stateEbbT6_jjT7_P12ihipStream_tbENKUlT_T0_SK_SP_E_clISD_PbSF_PiEEDaS13_S14_SK_SP_EUlS13_E_NS1_11comp_targetILNS1_3genE10ELNS1_11target_archE1201ELNS1_3gpuE5ELNS1_3repE0EEENS1_47radix_sort_onesweep_sort_config_static_selectorELNS0_4arch9wavefront6targetE1EEEvSK_.has_recursion, 0
	.set _ZN7rocprim17ROCPRIM_400000_NS6detail17trampoline_kernelINS0_14default_configENS1_35radix_sort_onesweep_config_selectorIbiEEZZNS1_29radix_sort_onesweep_iterationIS3_Lb1EN6thrust23THRUST_200600_302600_NS6detail15normal_iteratorINS8_10device_ptrIbEEEESD_NSA_INSB_IiEEEESF_jNS0_19identity_decomposerENS1_16block_id_wrapperIjLb1EEEEE10hipError_tT1_PNSt15iterator_traitsISK_E10value_typeET2_T3_PNSL_ISQ_E10value_typeET4_T5_PSV_SW_PNS1_23onesweep_lookback_stateEbbT6_jjT7_P12ihipStream_tbENKUlT_T0_SK_SP_E_clISD_PbSF_PiEEDaS13_S14_SK_SP_EUlS13_E_NS1_11comp_targetILNS1_3genE10ELNS1_11target_archE1201ELNS1_3gpuE5ELNS1_3repE0EEENS1_47radix_sort_onesweep_sort_config_static_selectorELNS0_4arch9wavefront6targetE1EEEvSK_.has_indirect_call, 0
	.section	.AMDGPU.csdata,"",@progbits
; Kernel info:
; codeLenInByte = 0
; TotalNumSgprs: 6
; NumVgprs: 0
; NumAgprs: 0
; TotalNumVgprs: 0
; ScratchSize: 0
; MemoryBound: 0
; FloatMode: 240
; IeeeMode: 1
; LDSByteSize: 0 bytes/workgroup (compile time only)
; SGPRBlocks: 0
; VGPRBlocks: 0
; NumSGPRsForWavesPerEU: 6
; NumVGPRsForWavesPerEU: 1
; AccumOffset: 4
; Occupancy: 8
; WaveLimiterHint : 0
; COMPUTE_PGM_RSRC2:SCRATCH_EN: 0
; COMPUTE_PGM_RSRC2:USER_SGPR: 2
; COMPUTE_PGM_RSRC2:TRAP_HANDLER: 0
; COMPUTE_PGM_RSRC2:TGID_X_EN: 1
; COMPUTE_PGM_RSRC2:TGID_Y_EN: 0
; COMPUTE_PGM_RSRC2:TGID_Z_EN: 0
; COMPUTE_PGM_RSRC2:TIDIG_COMP_CNT: 0
; COMPUTE_PGM_RSRC3_GFX90A:ACCUM_OFFSET: 0
; COMPUTE_PGM_RSRC3_GFX90A:TG_SPLIT: 0
	.section	.text._ZN7rocprim17ROCPRIM_400000_NS6detail17trampoline_kernelINS0_14default_configENS1_35radix_sort_onesweep_config_selectorIbiEEZZNS1_29radix_sort_onesweep_iterationIS3_Lb1EN6thrust23THRUST_200600_302600_NS6detail15normal_iteratorINS8_10device_ptrIbEEEESD_NSA_INSB_IiEEEESF_jNS0_19identity_decomposerENS1_16block_id_wrapperIjLb1EEEEE10hipError_tT1_PNSt15iterator_traitsISK_E10value_typeET2_T3_PNSL_ISQ_E10value_typeET4_T5_PSV_SW_PNS1_23onesweep_lookback_stateEbbT6_jjT7_P12ihipStream_tbENKUlT_T0_SK_SP_E_clISD_PbSF_PiEEDaS13_S14_SK_SP_EUlS13_E_NS1_11comp_targetILNS1_3genE9ELNS1_11target_archE1100ELNS1_3gpuE3ELNS1_3repE0EEENS1_47radix_sort_onesweep_sort_config_static_selectorELNS0_4arch9wavefront6targetE1EEEvSK_,"axG",@progbits,_ZN7rocprim17ROCPRIM_400000_NS6detail17trampoline_kernelINS0_14default_configENS1_35radix_sort_onesweep_config_selectorIbiEEZZNS1_29radix_sort_onesweep_iterationIS3_Lb1EN6thrust23THRUST_200600_302600_NS6detail15normal_iteratorINS8_10device_ptrIbEEEESD_NSA_INSB_IiEEEESF_jNS0_19identity_decomposerENS1_16block_id_wrapperIjLb1EEEEE10hipError_tT1_PNSt15iterator_traitsISK_E10value_typeET2_T3_PNSL_ISQ_E10value_typeET4_T5_PSV_SW_PNS1_23onesweep_lookback_stateEbbT6_jjT7_P12ihipStream_tbENKUlT_T0_SK_SP_E_clISD_PbSF_PiEEDaS13_S14_SK_SP_EUlS13_E_NS1_11comp_targetILNS1_3genE9ELNS1_11target_archE1100ELNS1_3gpuE3ELNS1_3repE0EEENS1_47radix_sort_onesweep_sort_config_static_selectorELNS0_4arch9wavefront6targetE1EEEvSK_,comdat
	.protected	_ZN7rocprim17ROCPRIM_400000_NS6detail17trampoline_kernelINS0_14default_configENS1_35radix_sort_onesweep_config_selectorIbiEEZZNS1_29radix_sort_onesweep_iterationIS3_Lb1EN6thrust23THRUST_200600_302600_NS6detail15normal_iteratorINS8_10device_ptrIbEEEESD_NSA_INSB_IiEEEESF_jNS0_19identity_decomposerENS1_16block_id_wrapperIjLb1EEEEE10hipError_tT1_PNSt15iterator_traitsISK_E10value_typeET2_T3_PNSL_ISQ_E10value_typeET4_T5_PSV_SW_PNS1_23onesweep_lookback_stateEbbT6_jjT7_P12ihipStream_tbENKUlT_T0_SK_SP_E_clISD_PbSF_PiEEDaS13_S14_SK_SP_EUlS13_E_NS1_11comp_targetILNS1_3genE9ELNS1_11target_archE1100ELNS1_3gpuE3ELNS1_3repE0EEENS1_47radix_sort_onesweep_sort_config_static_selectorELNS0_4arch9wavefront6targetE1EEEvSK_ ; -- Begin function _ZN7rocprim17ROCPRIM_400000_NS6detail17trampoline_kernelINS0_14default_configENS1_35radix_sort_onesweep_config_selectorIbiEEZZNS1_29radix_sort_onesweep_iterationIS3_Lb1EN6thrust23THRUST_200600_302600_NS6detail15normal_iteratorINS8_10device_ptrIbEEEESD_NSA_INSB_IiEEEESF_jNS0_19identity_decomposerENS1_16block_id_wrapperIjLb1EEEEE10hipError_tT1_PNSt15iterator_traitsISK_E10value_typeET2_T3_PNSL_ISQ_E10value_typeET4_T5_PSV_SW_PNS1_23onesweep_lookback_stateEbbT6_jjT7_P12ihipStream_tbENKUlT_T0_SK_SP_E_clISD_PbSF_PiEEDaS13_S14_SK_SP_EUlS13_E_NS1_11comp_targetILNS1_3genE9ELNS1_11target_archE1100ELNS1_3gpuE3ELNS1_3repE0EEENS1_47radix_sort_onesweep_sort_config_static_selectorELNS0_4arch9wavefront6targetE1EEEvSK_
	.globl	_ZN7rocprim17ROCPRIM_400000_NS6detail17trampoline_kernelINS0_14default_configENS1_35radix_sort_onesweep_config_selectorIbiEEZZNS1_29radix_sort_onesweep_iterationIS3_Lb1EN6thrust23THRUST_200600_302600_NS6detail15normal_iteratorINS8_10device_ptrIbEEEESD_NSA_INSB_IiEEEESF_jNS0_19identity_decomposerENS1_16block_id_wrapperIjLb1EEEEE10hipError_tT1_PNSt15iterator_traitsISK_E10value_typeET2_T3_PNSL_ISQ_E10value_typeET4_T5_PSV_SW_PNS1_23onesweep_lookback_stateEbbT6_jjT7_P12ihipStream_tbENKUlT_T0_SK_SP_E_clISD_PbSF_PiEEDaS13_S14_SK_SP_EUlS13_E_NS1_11comp_targetILNS1_3genE9ELNS1_11target_archE1100ELNS1_3gpuE3ELNS1_3repE0EEENS1_47radix_sort_onesweep_sort_config_static_selectorELNS0_4arch9wavefront6targetE1EEEvSK_
	.p2align	8
	.type	_ZN7rocprim17ROCPRIM_400000_NS6detail17trampoline_kernelINS0_14default_configENS1_35radix_sort_onesweep_config_selectorIbiEEZZNS1_29radix_sort_onesweep_iterationIS3_Lb1EN6thrust23THRUST_200600_302600_NS6detail15normal_iteratorINS8_10device_ptrIbEEEESD_NSA_INSB_IiEEEESF_jNS0_19identity_decomposerENS1_16block_id_wrapperIjLb1EEEEE10hipError_tT1_PNSt15iterator_traitsISK_E10value_typeET2_T3_PNSL_ISQ_E10value_typeET4_T5_PSV_SW_PNS1_23onesweep_lookback_stateEbbT6_jjT7_P12ihipStream_tbENKUlT_T0_SK_SP_E_clISD_PbSF_PiEEDaS13_S14_SK_SP_EUlS13_E_NS1_11comp_targetILNS1_3genE9ELNS1_11target_archE1100ELNS1_3gpuE3ELNS1_3repE0EEENS1_47radix_sort_onesweep_sort_config_static_selectorELNS0_4arch9wavefront6targetE1EEEvSK_,@function
_ZN7rocprim17ROCPRIM_400000_NS6detail17trampoline_kernelINS0_14default_configENS1_35radix_sort_onesweep_config_selectorIbiEEZZNS1_29radix_sort_onesweep_iterationIS3_Lb1EN6thrust23THRUST_200600_302600_NS6detail15normal_iteratorINS8_10device_ptrIbEEEESD_NSA_INSB_IiEEEESF_jNS0_19identity_decomposerENS1_16block_id_wrapperIjLb1EEEEE10hipError_tT1_PNSt15iterator_traitsISK_E10value_typeET2_T3_PNSL_ISQ_E10value_typeET4_T5_PSV_SW_PNS1_23onesweep_lookback_stateEbbT6_jjT7_P12ihipStream_tbENKUlT_T0_SK_SP_E_clISD_PbSF_PiEEDaS13_S14_SK_SP_EUlS13_E_NS1_11comp_targetILNS1_3genE9ELNS1_11target_archE1100ELNS1_3gpuE3ELNS1_3repE0EEENS1_47radix_sort_onesweep_sort_config_static_selectorELNS0_4arch9wavefront6targetE1EEEvSK_: ; @_ZN7rocprim17ROCPRIM_400000_NS6detail17trampoline_kernelINS0_14default_configENS1_35radix_sort_onesweep_config_selectorIbiEEZZNS1_29radix_sort_onesweep_iterationIS3_Lb1EN6thrust23THRUST_200600_302600_NS6detail15normal_iteratorINS8_10device_ptrIbEEEESD_NSA_INSB_IiEEEESF_jNS0_19identity_decomposerENS1_16block_id_wrapperIjLb1EEEEE10hipError_tT1_PNSt15iterator_traitsISK_E10value_typeET2_T3_PNSL_ISQ_E10value_typeET4_T5_PSV_SW_PNS1_23onesweep_lookback_stateEbbT6_jjT7_P12ihipStream_tbENKUlT_T0_SK_SP_E_clISD_PbSF_PiEEDaS13_S14_SK_SP_EUlS13_E_NS1_11comp_targetILNS1_3genE9ELNS1_11target_archE1100ELNS1_3gpuE3ELNS1_3repE0EEENS1_47radix_sort_onesweep_sort_config_static_selectorELNS0_4arch9wavefront6targetE1EEEvSK_
; %bb.0:
	.section	.rodata,"a",@progbits
	.p2align	6, 0x0
	.amdhsa_kernel _ZN7rocprim17ROCPRIM_400000_NS6detail17trampoline_kernelINS0_14default_configENS1_35radix_sort_onesweep_config_selectorIbiEEZZNS1_29radix_sort_onesweep_iterationIS3_Lb1EN6thrust23THRUST_200600_302600_NS6detail15normal_iteratorINS8_10device_ptrIbEEEESD_NSA_INSB_IiEEEESF_jNS0_19identity_decomposerENS1_16block_id_wrapperIjLb1EEEEE10hipError_tT1_PNSt15iterator_traitsISK_E10value_typeET2_T3_PNSL_ISQ_E10value_typeET4_T5_PSV_SW_PNS1_23onesweep_lookback_stateEbbT6_jjT7_P12ihipStream_tbENKUlT_T0_SK_SP_E_clISD_PbSF_PiEEDaS13_S14_SK_SP_EUlS13_E_NS1_11comp_targetILNS1_3genE9ELNS1_11target_archE1100ELNS1_3gpuE3ELNS1_3repE0EEENS1_47radix_sort_onesweep_sort_config_static_selectorELNS0_4arch9wavefront6targetE1EEEvSK_
		.amdhsa_group_segment_fixed_size 0
		.amdhsa_private_segment_fixed_size 0
		.amdhsa_kernarg_size 88
		.amdhsa_user_sgpr_count 2
		.amdhsa_user_sgpr_dispatch_ptr 0
		.amdhsa_user_sgpr_queue_ptr 0
		.amdhsa_user_sgpr_kernarg_segment_ptr 1
		.amdhsa_user_sgpr_dispatch_id 0
		.amdhsa_user_sgpr_kernarg_preload_length 0
		.amdhsa_user_sgpr_kernarg_preload_offset 0
		.amdhsa_user_sgpr_private_segment_size 0
		.amdhsa_uses_dynamic_stack 0
		.amdhsa_enable_private_segment 0
		.amdhsa_system_sgpr_workgroup_id_x 1
		.amdhsa_system_sgpr_workgroup_id_y 0
		.amdhsa_system_sgpr_workgroup_id_z 0
		.amdhsa_system_sgpr_workgroup_info 0
		.amdhsa_system_vgpr_workitem_id 0
		.amdhsa_next_free_vgpr 1
		.amdhsa_next_free_sgpr 0
		.amdhsa_accum_offset 4
		.amdhsa_reserve_vcc 0
		.amdhsa_float_round_mode_32 0
		.amdhsa_float_round_mode_16_64 0
		.amdhsa_float_denorm_mode_32 3
		.amdhsa_float_denorm_mode_16_64 3
		.amdhsa_dx10_clamp 1
		.amdhsa_ieee_mode 1
		.amdhsa_fp16_overflow 0
		.amdhsa_tg_split 0
		.amdhsa_exception_fp_ieee_invalid_op 0
		.amdhsa_exception_fp_denorm_src 0
		.amdhsa_exception_fp_ieee_div_zero 0
		.amdhsa_exception_fp_ieee_overflow 0
		.amdhsa_exception_fp_ieee_underflow 0
		.amdhsa_exception_fp_ieee_inexact 0
		.amdhsa_exception_int_div_zero 0
	.end_amdhsa_kernel
	.section	.text._ZN7rocprim17ROCPRIM_400000_NS6detail17trampoline_kernelINS0_14default_configENS1_35radix_sort_onesweep_config_selectorIbiEEZZNS1_29radix_sort_onesweep_iterationIS3_Lb1EN6thrust23THRUST_200600_302600_NS6detail15normal_iteratorINS8_10device_ptrIbEEEESD_NSA_INSB_IiEEEESF_jNS0_19identity_decomposerENS1_16block_id_wrapperIjLb1EEEEE10hipError_tT1_PNSt15iterator_traitsISK_E10value_typeET2_T3_PNSL_ISQ_E10value_typeET4_T5_PSV_SW_PNS1_23onesweep_lookback_stateEbbT6_jjT7_P12ihipStream_tbENKUlT_T0_SK_SP_E_clISD_PbSF_PiEEDaS13_S14_SK_SP_EUlS13_E_NS1_11comp_targetILNS1_3genE9ELNS1_11target_archE1100ELNS1_3gpuE3ELNS1_3repE0EEENS1_47radix_sort_onesweep_sort_config_static_selectorELNS0_4arch9wavefront6targetE1EEEvSK_,"axG",@progbits,_ZN7rocprim17ROCPRIM_400000_NS6detail17trampoline_kernelINS0_14default_configENS1_35radix_sort_onesweep_config_selectorIbiEEZZNS1_29radix_sort_onesweep_iterationIS3_Lb1EN6thrust23THRUST_200600_302600_NS6detail15normal_iteratorINS8_10device_ptrIbEEEESD_NSA_INSB_IiEEEESF_jNS0_19identity_decomposerENS1_16block_id_wrapperIjLb1EEEEE10hipError_tT1_PNSt15iterator_traitsISK_E10value_typeET2_T3_PNSL_ISQ_E10value_typeET4_T5_PSV_SW_PNS1_23onesweep_lookback_stateEbbT6_jjT7_P12ihipStream_tbENKUlT_T0_SK_SP_E_clISD_PbSF_PiEEDaS13_S14_SK_SP_EUlS13_E_NS1_11comp_targetILNS1_3genE9ELNS1_11target_archE1100ELNS1_3gpuE3ELNS1_3repE0EEENS1_47radix_sort_onesweep_sort_config_static_selectorELNS0_4arch9wavefront6targetE1EEEvSK_,comdat
.Lfunc_end2234:
	.size	_ZN7rocprim17ROCPRIM_400000_NS6detail17trampoline_kernelINS0_14default_configENS1_35radix_sort_onesweep_config_selectorIbiEEZZNS1_29radix_sort_onesweep_iterationIS3_Lb1EN6thrust23THRUST_200600_302600_NS6detail15normal_iteratorINS8_10device_ptrIbEEEESD_NSA_INSB_IiEEEESF_jNS0_19identity_decomposerENS1_16block_id_wrapperIjLb1EEEEE10hipError_tT1_PNSt15iterator_traitsISK_E10value_typeET2_T3_PNSL_ISQ_E10value_typeET4_T5_PSV_SW_PNS1_23onesweep_lookback_stateEbbT6_jjT7_P12ihipStream_tbENKUlT_T0_SK_SP_E_clISD_PbSF_PiEEDaS13_S14_SK_SP_EUlS13_E_NS1_11comp_targetILNS1_3genE9ELNS1_11target_archE1100ELNS1_3gpuE3ELNS1_3repE0EEENS1_47radix_sort_onesweep_sort_config_static_selectorELNS0_4arch9wavefront6targetE1EEEvSK_, .Lfunc_end2234-_ZN7rocprim17ROCPRIM_400000_NS6detail17trampoline_kernelINS0_14default_configENS1_35radix_sort_onesweep_config_selectorIbiEEZZNS1_29radix_sort_onesweep_iterationIS3_Lb1EN6thrust23THRUST_200600_302600_NS6detail15normal_iteratorINS8_10device_ptrIbEEEESD_NSA_INSB_IiEEEESF_jNS0_19identity_decomposerENS1_16block_id_wrapperIjLb1EEEEE10hipError_tT1_PNSt15iterator_traitsISK_E10value_typeET2_T3_PNSL_ISQ_E10value_typeET4_T5_PSV_SW_PNS1_23onesweep_lookback_stateEbbT6_jjT7_P12ihipStream_tbENKUlT_T0_SK_SP_E_clISD_PbSF_PiEEDaS13_S14_SK_SP_EUlS13_E_NS1_11comp_targetILNS1_3genE9ELNS1_11target_archE1100ELNS1_3gpuE3ELNS1_3repE0EEENS1_47radix_sort_onesweep_sort_config_static_selectorELNS0_4arch9wavefront6targetE1EEEvSK_
                                        ; -- End function
	.set _ZN7rocprim17ROCPRIM_400000_NS6detail17trampoline_kernelINS0_14default_configENS1_35radix_sort_onesweep_config_selectorIbiEEZZNS1_29radix_sort_onesweep_iterationIS3_Lb1EN6thrust23THRUST_200600_302600_NS6detail15normal_iteratorINS8_10device_ptrIbEEEESD_NSA_INSB_IiEEEESF_jNS0_19identity_decomposerENS1_16block_id_wrapperIjLb1EEEEE10hipError_tT1_PNSt15iterator_traitsISK_E10value_typeET2_T3_PNSL_ISQ_E10value_typeET4_T5_PSV_SW_PNS1_23onesweep_lookback_stateEbbT6_jjT7_P12ihipStream_tbENKUlT_T0_SK_SP_E_clISD_PbSF_PiEEDaS13_S14_SK_SP_EUlS13_E_NS1_11comp_targetILNS1_3genE9ELNS1_11target_archE1100ELNS1_3gpuE3ELNS1_3repE0EEENS1_47radix_sort_onesweep_sort_config_static_selectorELNS0_4arch9wavefront6targetE1EEEvSK_.num_vgpr, 0
	.set _ZN7rocprim17ROCPRIM_400000_NS6detail17trampoline_kernelINS0_14default_configENS1_35radix_sort_onesweep_config_selectorIbiEEZZNS1_29radix_sort_onesweep_iterationIS3_Lb1EN6thrust23THRUST_200600_302600_NS6detail15normal_iteratorINS8_10device_ptrIbEEEESD_NSA_INSB_IiEEEESF_jNS0_19identity_decomposerENS1_16block_id_wrapperIjLb1EEEEE10hipError_tT1_PNSt15iterator_traitsISK_E10value_typeET2_T3_PNSL_ISQ_E10value_typeET4_T5_PSV_SW_PNS1_23onesweep_lookback_stateEbbT6_jjT7_P12ihipStream_tbENKUlT_T0_SK_SP_E_clISD_PbSF_PiEEDaS13_S14_SK_SP_EUlS13_E_NS1_11comp_targetILNS1_3genE9ELNS1_11target_archE1100ELNS1_3gpuE3ELNS1_3repE0EEENS1_47radix_sort_onesweep_sort_config_static_selectorELNS0_4arch9wavefront6targetE1EEEvSK_.num_agpr, 0
	.set _ZN7rocprim17ROCPRIM_400000_NS6detail17trampoline_kernelINS0_14default_configENS1_35radix_sort_onesweep_config_selectorIbiEEZZNS1_29radix_sort_onesweep_iterationIS3_Lb1EN6thrust23THRUST_200600_302600_NS6detail15normal_iteratorINS8_10device_ptrIbEEEESD_NSA_INSB_IiEEEESF_jNS0_19identity_decomposerENS1_16block_id_wrapperIjLb1EEEEE10hipError_tT1_PNSt15iterator_traitsISK_E10value_typeET2_T3_PNSL_ISQ_E10value_typeET4_T5_PSV_SW_PNS1_23onesweep_lookback_stateEbbT6_jjT7_P12ihipStream_tbENKUlT_T0_SK_SP_E_clISD_PbSF_PiEEDaS13_S14_SK_SP_EUlS13_E_NS1_11comp_targetILNS1_3genE9ELNS1_11target_archE1100ELNS1_3gpuE3ELNS1_3repE0EEENS1_47radix_sort_onesweep_sort_config_static_selectorELNS0_4arch9wavefront6targetE1EEEvSK_.numbered_sgpr, 0
	.set _ZN7rocprim17ROCPRIM_400000_NS6detail17trampoline_kernelINS0_14default_configENS1_35radix_sort_onesweep_config_selectorIbiEEZZNS1_29radix_sort_onesweep_iterationIS3_Lb1EN6thrust23THRUST_200600_302600_NS6detail15normal_iteratorINS8_10device_ptrIbEEEESD_NSA_INSB_IiEEEESF_jNS0_19identity_decomposerENS1_16block_id_wrapperIjLb1EEEEE10hipError_tT1_PNSt15iterator_traitsISK_E10value_typeET2_T3_PNSL_ISQ_E10value_typeET4_T5_PSV_SW_PNS1_23onesweep_lookback_stateEbbT6_jjT7_P12ihipStream_tbENKUlT_T0_SK_SP_E_clISD_PbSF_PiEEDaS13_S14_SK_SP_EUlS13_E_NS1_11comp_targetILNS1_3genE9ELNS1_11target_archE1100ELNS1_3gpuE3ELNS1_3repE0EEENS1_47radix_sort_onesweep_sort_config_static_selectorELNS0_4arch9wavefront6targetE1EEEvSK_.num_named_barrier, 0
	.set _ZN7rocprim17ROCPRIM_400000_NS6detail17trampoline_kernelINS0_14default_configENS1_35radix_sort_onesweep_config_selectorIbiEEZZNS1_29radix_sort_onesweep_iterationIS3_Lb1EN6thrust23THRUST_200600_302600_NS6detail15normal_iteratorINS8_10device_ptrIbEEEESD_NSA_INSB_IiEEEESF_jNS0_19identity_decomposerENS1_16block_id_wrapperIjLb1EEEEE10hipError_tT1_PNSt15iterator_traitsISK_E10value_typeET2_T3_PNSL_ISQ_E10value_typeET4_T5_PSV_SW_PNS1_23onesweep_lookback_stateEbbT6_jjT7_P12ihipStream_tbENKUlT_T0_SK_SP_E_clISD_PbSF_PiEEDaS13_S14_SK_SP_EUlS13_E_NS1_11comp_targetILNS1_3genE9ELNS1_11target_archE1100ELNS1_3gpuE3ELNS1_3repE0EEENS1_47radix_sort_onesweep_sort_config_static_selectorELNS0_4arch9wavefront6targetE1EEEvSK_.private_seg_size, 0
	.set _ZN7rocprim17ROCPRIM_400000_NS6detail17trampoline_kernelINS0_14default_configENS1_35radix_sort_onesweep_config_selectorIbiEEZZNS1_29radix_sort_onesweep_iterationIS3_Lb1EN6thrust23THRUST_200600_302600_NS6detail15normal_iteratorINS8_10device_ptrIbEEEESD_NSA_INSB_IiEEEESF_jNS0_19identity_decomposerENS1_16block_id_wrapperIjLb1EEEEE10hipError_tT1_PNSt15iterator_traitsISK_E10value_typeET2_T3_PNSL_ISQ_E10value_typeET4_T5_PSV_SW_PNS1_23onesweep_lookback_stateEbbT6_jjT7_P12ihipStream_tbENKUlT_T0_SK_SP_E_clISD_PbSF_PiEEDaS13_S14_SK_SP_EUlS13_E_NS1_11comp_targetILNS1_3genE9ELNS1_11target_archE1100ELNS1_3gpuE3ELNS1_3repE0EEENS1_47radix_sort_onesweep_sort_config_static_selectorELNS0_4arch9wavefront6targetE1EEEvSK_.uses_vcc, 0
	.set _ZN7rocprim17ROCPRIM_400000_NS6detail17trampoline_kernelINS0_14default_configENS1_35radix_sort_onesweep_config_selectorIbiEEZZNS1_29radix_sort_onesweep_iterationIS3_Lb1EN6thrust23THRUST_200600_302600_NS6detail15normal_iteratorINS8_10device_ptrIbEEEESD_NSA_INSB_IiEEEESF_jNS0_19identity_decomposerENS1_16block_id_wrapperIjLb1EEEEE10hipError_tT1_PNSt15iterator_traitsISK_E10value_typeET2_T3_PNSL_ISQ_E10value_typeET4_T5_PSV_SW_PNS1_23onesweep_lookback_stateEbbT6_jjT7_P12ihipStream_tbENKUlT_T0_SK_SP_E_clISD_PbSF_PiEEDaS13_S14_SK_SP_EUlS13_E_NS1_11comp_targetILNS1_3genE9ELNS1_11target_archE1100ELNS1_3gpuE3ELNS1_3repE0EEENS1_47radix_sort_onesweep_sort_config_static_selectorELNS0_4arch9wavefront6targetE1EEEvSK_.uses_flat_scratch, 0
	.set _ZN7rocprim17ROCPRIM_400000_NS6detail17trampoline_kernelINS0_14default_configENS1_35radix_sort_onesweep_config_selectorIbiEEZZNS1_29radix_sort_onesweep_iterationIS3_Lb1EN6thrust23THRUST_200600_302600_NS6detail15normal_iteratorINS8_10device_ptrIbEEEESD_NSA_INSB_IiEEEESF_jNS0_19identity_decomposerENS1_16block_id_wrapperIjLb1EEEEE10hipError_tT1_PNSt15iterator_traitsISK_E10value_typeET2_T3_PNSL_ISQ_E10value_typeET4_T5_PSV_SW_PNS1_23onesweep_lookback_stateEbbT6_jjT7_P12ihipStream_tbENKUlT_T0_SK_SP_E_clISD_PbSF_PiEEDaS13_S14_SK_SP_EUlS13_E_NS1_11comp_targetILNS1_3genE9ELNS1_11target_archE1100ELNS1_3gpuE3ELNS1_3repE0EEENS1_47radix_sort_onesweep_sort_config_static_selectorELNS0_4arch9wavefront6targetE1EEEvSK_.has_dyn_sized_stack, 0
	.set _ZN7rocprim17ROCPRIM_400000_NS6detail17trampoline_kernelINS0_14default_configENS1_35radix_sort_onesweep_config_selectorIbiEEZZNS1_29radix_sort_onesweep_iterationIS3_Lb1EN6thrust23THRUST_200600_302600_NS6detail15normal_iteratorINS8_10device_ptrIbEEEESD_NSA_INSB_IiEEEESF_jNS0_19identity_decomposerENS1_16block_id_wrapperIjLb1EEEEE10hipError_tT1_PNSt15iterator_traitsISK_E10value_typeET2_T3_PNSL_ISQ_E10value_typeET4_T5_PSV_SW_PNS1_23onesweep_lookback_stateEbbT6_jjT7_P12ihipStream_tbENKUlT_T0_SK_SP_E_clISD_PbSF_PiEEDaS13_S14_SK_SP_EUlS13_E_NS1_11comp_targetILNS1_3genE9ELNS1_11target_archE1100ELNS1_3gpuE3ELNS1_3repE0EEENS1_47radix_sort_onesweep_sort_config_static_selectorELNS0_4arch9wavefront6targetE1EEEvSK_.has_recursion, 0
	.set _ZN7rocprim17ROCPRIM_400000_NS6detail17trampoline_kernelINS0_14default_configENS1_35radix_sort_onesweep_config_selectorIbiEEZZNS1_29radix_sort_onesweep_iterationIS3_Lb1EN6thrust23THRUST_200600_302600_NS6detail15normal_iteratorINS8_10device_ptrIbEEEESD_NSA_INSB_IiEEEESF_jNS0_19identity_decomposerENS1_16block_id_wrapperIjLb1EEEEE10hipError_tT1_PNSt15iterator_traitsISK_E10value_typeET2_T3_PNSL_ISQ_E10value_typeET4_T5_PSV_SW_PNS1_23onesweep_lookback_stateEbbT6_jjT7_P12ihipStream_tbENKUlT_T0_SK_SP_E_clISD_PbSF_PiEEDaS13_S14_SK_SP_EUlS13_E_NS1_11comp_targetILNS1_3genE9ELNS1_11target_archE1100ELNS1_3gpuE3ELNS1_3repE0EEENS1_47radix_sort_onesweep_sort_config_static_selectorELNS0_4arch9wavefront6targetE1EEEvSK_.has_indirect_call, 0
	.section	.AMDGPU.csdata,"",@progbits
; Kernel info:
; codeLenInByte = 0
; TotalNumSgprs: 6
; NumVgprs: 0
; NumAgprs: 0
; TotalNumVgprs: 0
; ScratchSize: 0
; MemoryBound: 0
; FloatMode: 240
; IeeeMode: 1
; LDSByteSize: 0 bytes/workgroup (compile time only)
; SGPRBlocks: 0
; VGPRBlocks: 0
; NumSGPRsForWavesPerEU: 6
; NumVGPRsForWavesPerEU: 1
; AccumOffset: 4
; Occupancy: 8
; WaveLimiterHint : 0
; COMPUTE_PGM_RSRC2:SCRATCH_EN: 0
; COMPUTE_PGM_RSRC2:USER_SGPR: 2
; COMPUTE_PGM_RSRC2:TRAP_HANDLER: 0
; COMPUTE_PGM_RSRC2:TGID_X_EN: 1
; COMPUTE_PGM_RSRC2:TGID_Y_EN: 0
; COMPUTE_PGM_RSRC2:TGID_Z_EN: 0
; COMPUTE_PGM_RSRC2:TIDIG_COMP_CNT: 0
; COMPUTE_PGM_RSRC3_GFX90A:ACCUM_OFFSET: 0
; COMPUTE_PGM_RSRC3_GFX90A:TG_SPLIT: 0
	.section	.text._ZN7rocprim17ROCPRIM_400000_NS6detail17trampoline_kernelINS0_14default_configENS1_35radix_sort_onesweep_config_selectorIbiEEZZNS1_29radix_sort_onesweep_iterationIS3_Lb1EN6thrust23THRUST_200600_302600_NS6detail15normal_iteratorINS8_10device_ptrIbEEEESD_NSA_INSB_IiEEEESF_jNS0_19identity_decomposerENS1_16block_id_wrapperIjLb1EEEEE10hipError_tT1_PNSt15iterator_traitsISK_E10value_typeET2_T3_PNSL_ISQ_E10value_typeET4_T5_PSV_SW_PNS1_23onesweep_lookback_stateEbbT6_jjT7_P12ihipStream_tbENKUlT_T0_SK_SP_E_clISD_PbSF_PiEEDaS13_S14_SK_SP_EUlS13_E_NS1_11comp_targetILNS1_3genE8ELNS1_11target_archE1030ELNS1_3gpuE2ELNS1_3repE0EEENS1_47radix_sort_onesweep_sort_config_static_selectorELNS0_4arch9wavefront6targetE1EEEvSK_,"axG",@progbits,_ZN7rocprim17ROCPRIM_400000_NS6detail17trampoline_kernelINS0_14default_configENS1_35radix_sort_onesweep_config_selectorIbiEEZZNS1_29radix_sort_onesweep_iterationIS3_Lb1EN6thrust23THRUST_200600_302600_NS6detail15normal_iteratorINS8_10device_ptrIbEEEESD_NSA_INSB_IiEEEESF_jNS0_19identity_decomposerENS1_16block_id_wrapperIjLb1EEEEE10hipError_tT1_PNSt15iterator_traitsISK_E10value_typeET2_T3_PNSL_ISQ_E10value_typeET4_T5_PSV_SW_PNS1_23onesweep_lookback_stateEbbT6_jjT7_P12ihipStream_tbENKUlT_T0_SK_SP_E_clISD_PbSF_PiEEDaS13_S14_SK_SP_EUlS13_E_NS1_11comp_targetILNS1_3genE8ELNS1_11target_archE1030ELNS1_3gpuE2ELNS1_3repE0EEENS1_47radix_sort_onesweep_sort_config_static_selectorELNS0_4arch9wavefront6targetE1EEEvSK_,comdat
	.protected	_ZN7rocprim17ROCPRIM_400000_NS6detail17trampoline_kernelINS0_14default_configENS1_35radix_sort_onesweep_config_selectorIbiEEZZNS1_29radix_sort_onesweep_iterationIS3_Lb1EN6thrust23THRUST_200600_302600_NS6detail15normal_iteratorINS8_10device_ptrIbEEEESD_NSA_INSB_IiEEEESF_jNS0_19identity_decomposerENS1_16block_id_wrapperIjLb1EEEEE10hipError_tT1_PNSt15iterator_traitsISK_E10value_typeET2_T3_PNSL_ISQ_E10value_typeET4_T5_PSV_SW_PNS1_23onesweep_lookback_stateEbbT6_jjT7_P12ihipStream_tbENKUlT_T0_SK_SP_E_clISD_PbSF_PiEEDaS13_S14_SK_SP_EUlS13_E_NS1_11comp_targetILNS1_3genE8ELNS1_11target_archE1030ELNS1_3gpuE2ELNS1_3repE0EEENS1_47radix_sort_onesweep_sort_config_static_selectorELNS0_4arch9wavefront6targetE1EEEvSK_ ; -- Begin function _ZN7rocprim17ROCPRIM_400000_NS6detail17trampoline_kernelINS0_14default_configENS1_35radix_sort_onesweep_config_selectorIbiEEZZNS1_29radix_sort_onesweep_iterationIS3_Lb1EN6thrust23THRUST_200600_302600_NS6detail15normal_iteratorINS8_10device_ptrIbEEEESD_NSA_INSB_IiEEEESF_jNS0_19identity_decomposerENS1_16block_id_wrapperIjLb1EEEEE10hipError_tT1_PNSt15iterator_traitsISK_E10value_typeET2_T3_PNSL_ISQ_E10value_typeET4_T5_PSV_SW_PNS1_23onesweep_lookback_stateEbbT6_jjT7_P12ihipStream_tbENKUlT_T0_SK_SP_E_clISD_PbSF_PiEEDaS13_S14_SK_SP_EUlS13_E_NS1_11comp_targetILNS1_3genE8ELNS1_11target_archE1030ELNS1_3gpuE2ELNS1_3repE0EEENS1_47radix_sort_onesweep_sort_config_static_selectorELNS0_4arch9wavefront6targetE1EEEvSK_
	.globl	_ZN7rocprim17ROCPRIM_400000_NS6detail17trampoline_kernelINS0_14default_configENS1_35radix_sort_onesweep_config_selectorIbiEEZZNS1_29radix_sort_onesweep_iterationIS3_Lb1EN6thrust23THRUST_200600_302600_NS6detail15normal_iteratorINS8_10device_ptrIbEEEESD_NSA_INSB_IiEEEESF_jNS0_19identity_decomposerENS1_16block_id_wrapperIjLb1EEEEE10hipError_tT1_PNSt15iterator_traitsISK_E10value_typeET2_T3_PNSL_ISQ_E10value_typeET4_T5_PSV_SW_PNS1_23onesweep_lookback_stateEbbT6_jjT7_P12ihipStream_tbENKUlT_T0_SK_SP_E_clISD_PbSF_PiEEDaS13_S14_SK_SP_EUlS13_E_NS1_11comp_targetILNS1_3genE8ELNS1_11target_archE1030ELNS1_3gpuE2ELNS1_3repE0EEENS1_47radix_sort_onesweep_sort_config_static_selectorELNS0_4arch9wavefront6targetE1EEEvSK_
	.p2align	8
	.type	_ZN7rocprim17ROCPRIM_400000_NS6detail17trampoline_kernelINS0_14default_configENS1_35radix_sort_onesweep_config_selectorIbiEEZZNS1_29radix_sort_onesweep_iterationIS3_Lb1EN6thrust23THRUST_200600_302600_NS6detail15normal_iteratorINS8_10device_ptrIbEEEESD_NSA_INSB_IiEEEESF_jNS0_19identity_decomposerENS1_16block_id_wrapperIjLb1EEEEE10hipError_tT1_PNSt15iterator_traitsISK_E10value_typeET2_T3_PNSL_ISQ_E10value_typeET4_T5_PSV_SW_PNS1_23onesweep_lookback_stateEbbT6_jjT7_P12ihipStream_tbENKUlT_T0_SK_SP_E_clISD_PbSF_PiEEDaS13_S14_SK_SP_EUlS13_E_NS1_11comp_targetILNS1_3genE8ELNS1_11target_archE1030ELNS1_3gpuE2ELNS1_3repE0EEENS1_47radix_sort_onesweep_sort_config_static_selectorELNS0_4arch9wavefront6targetE1EEEvSK_,@function
_ZN7rocprim17ROCPRIM_400000_NS6detail17trampoline_kernelINS0_14default_configENS1_35radix_sort_onesweep_config_selectorIbiEEZZNS1_29radix_sort_onesweep_iterationIS3_Lb1EN6thrust23THRUST_200600_302600_NS6detail15normal_iteratorINS8_10device_ptrIbEEEESD_NSA_INSB_IiEEEESF_jNS0_19identity_decomposerENS1_16block_id_wrapperIjLb1EEEEE10hipError_tT1_PNSt15iterator_traitsISK_E10value_typeET2_T3_PNSL_ISQ_E10value_typeET4_T5_PSV_SW_PNS1_23onesweep_lookback_stateEbbT6_jjT7_P12ihipStream_tbENKUlT_T0_SK_SP_E_clISD_PbSF_PiEEDaS13_S14_SK_SP_EUlS13_E_NS1_11comp_targetILNS1_3genE8ELNS1_11target_archE1030ELNS1_3gpuE2ELNS1_3repE0EEENS1_47radix_sort_onesweep_sort_config_static_selectorELNS0_4arch9wavefront6targetE1EEEvSK_: ; @_ZN7rocprim17ROCPRIM_400000_NS6detail17trampoline_kernelINS0_14default_configENS1_35radix_sort_onesweep_config_selectorIbiEEZZNS1_29radix_sort_onesweep_iterationIS3_Lb1EN6thrust23THRUST_200600_302600_NS6detail15normal_iteratorINS8_10device_ptrIbEEEESD_NSA_INSB_IiEEEESF_jNS0_19identity_decomposerENS1_16block_id_wrapperIjLb1EEEEE10hipError_tT1_PNSt15iterator_traitsISK_E10value_typeET2_T3_PNSL_ISQ_E10value_typeET4_T5_PSV_SW_PNS1_23onesweep_lookback_stateEbbT6_jjT7_P12ihipStream_tbENKUlT_T0_SK_SP_E_clISD_PbSF_PiEEDaS13_S14_SK_SP_EUlS13_E_NS1_11comp_targetILNS1_3genE8ELNS1_11target_archE1030ELNS1_3gpuE2ELNS1_3repE0EEENS1_47radix_sort_onesweep_sort_config_static_selectorELNS0_4arch9wavefront6targetE1EEEvSK_
; %bb.0:
	.section	.rodata,"a",@progbits
	.p2align	6, 0x0
	.amdhsa_kernel _ZN7rocprim17ROCPRIM_400000_NS6detail17trampoline_kernelINS0_14default_configENS1_35radix_sort_onesweep_config_selectorIbiEEZZNS1_29radix_sort_onesweep_iterationIS3_Lb1EN6thrust23THRUST_200600_302600_NS6detail15normal_iteratorINS8_10device_ptrIbEEEESD_NSA_INSB_IiEEEESF_jNS0_19identity_decomposerENS1_16block_id_wrapperIjLb1EEEEE10hipError_tT1_PNSt15iterator_traitsISK_E10value_typeET2_T3_PNSL_ISQ_E10value_typeET4_T5_PSV_SW_PNS1_23onesweep_lookback_stateEbbT6_jjT7_P12ihipStream_tbENKUlT_T0_SK_SP_E_clISD_PbSF_PiEEDaS13_S14_SK_SP_EUlS13_E_NS1_11comp_targetILNS1_3genE8ELNS1_11target_archE1030ELNS1_3gpuE2ELNS1_3repE0EEENS1_47radix_sort_onesweep_sort_config_static_selectorELNS0_4arch9wavefront6targetE1EEEvSK_
		.amdhsa_group_segment_fixed_size 0
		.amdhsa_private_segment_fixed_size 0
		.amdhsa_kernarg_size 88
		.amdhsa_user_sgpr_count 2
		.amdhsa_user_sgpr_dispatch_ptr 0
		.amdhsa_user_sgpr_queue_ptr 0
		.amdhsa_user_sgpr_kernarg_segment_ptr 1
		.amdhsa_user_sgpr_dispatch_id 0
		.amdhsa_user_sgpr_kernarg_preload_length 0
		.amdhsa_user_sgpr_kernarg_preload_offset 0
		.amdhsa_user_sgpr_private_segment_size 0
		.amdhsa_uses_dynamic_stack 0
		.amdhsa_enable_private_segment 0
		.amdhsa_system_sgpr_workgroup_id_x 1
		.amdhsa_system_sgpr_workgroup_id_y 0
		.amdhsa_system_sgpr_workgroup_id_z 0
		.amdhsa_system_sgpr_workgroup_info 0
		.amdhsa_system_vgpr_workitem_id 0
		.amdhsa_next_free_vgpr 1
		.amdhsa_next_free_sgpr 0
		.amdhsa_accum_offset 4
		.amdhsa_reserve_vcc 0
		.amdhsa_float_round_mode_32 0
		.amdhsa_float_round_mode_16_64 0
		.amdhsa_float_denorm_mode_32 3
		.amdhsa_float_denorm_mode_16_64 3
		.amdhsa_dx10_clamp 1
		.amdhsa_ieee_mode 1
		.amdhsa_fp16_overflow 0
		.amdhsa_tg_split 0
		.amdhsa_exception_fp_ieee_invalid_op 0
		.amdhsa_exception_fp_denorm_src 0
		.amdhsa_exception_fp_ieee_div_zero 0
		.amdhsa_exception_fp_ieee_overflow 0
		.amdhsa_exception_fp_ieee_underflow 0
		.amdhsa_exception_fp_ieee_inexact 0
		.amdhsa_exception_int_div_zero 0
	.end_amdhsa_kernel
	.section	.text._ZN7rocprim17ROCPRIM_400000_NS6detail17trampoline_kernelINS0_14default_configENS1_35radix_sort_onesweep_config_selectorIbiEEZZNS1_29radix_sort_onesweep_iterationIS3_Lb1EN6thrust23THRUST_200600_302600_NS6detail15normal_iteratorINS8_10device_ptrIbEEEESD_NSA_INSB_IiEEEESF_jNS0_19identity_decomposerENS1_16block_id_wrapperIjLb1EEEEE10hipError_tT1_PNSt15iterator_traitsISK_E10value_typeET2_T3_PNSL_ISQ_E10value_typeET4_T5_PSV_SW_PNS1_23onesweep_lookback_stateEbbT6_jjT7_P12ihipStream_tbENKUlT_T0_SK_SP_E_clISD_PbSF_PiEEDaS13_S14_SK_SP_EUlS13_E_NS1_11comp_targetILNS1_3genE8ELNS1_11target_archE1030ELNS1_3gpuE2ELNS1_3repE0EEENS1_47radix_sort_onesweep_sort_config_static_selectorELNS0_4arch9wavefront6targetE1EEEvSK_,"axG",@progbits,_ZN7rocprim17ROCPRIM_400000_NS6detail17trampoline_kernelINS0_14default_configENS1_35radix_sort_onesweep_config_selectorIbiEEZZNS1_29radix_sort_onesweep_iterationIS3_Lb1EN6thrust23THRUST_200600_302600_NS6detail15normal_iteratorINS8_10device_ptrIbEEEESD_NSA_INSB_IiEEEESF_jNS0_19identity_decomposerENS1_16block_id_wrapperIjLb1EEEEE10hipError_tT1_PNSt15iterator_traitsISK_E10value_typeET2_T3_PNSL_ISQ_E10value_typeET4_T5_PSV_SW_PNS1_23onesweep_lookback_stateEbbT6_jjT7_P12ihipStream_tbENKUlT_T0_SK_SP_E_clISD_PbSF_PiEEDaS13_S14_SK_SP_EUlS13_E_NS1_11comp_targetILNS1_3genE8ELNS1_11target_archE1030ELNS1_3gpuE2ELNS1_3repE0EEENS1_47radix_sort_onesweep_sort_config_static_selectorELNS0_4arch9wavefront6targetE1EEEvSK_,comdat
.Lfunc_end2235:
	.size	_ZN7rocprim17ROCPRIM_400000_NS6detail17trampoline_kernelINS0_14default_configENS1_35radix_sort_onesweep_config_selectorIbiEEZZNS1_29radix_sort_onesweep_iterationIS3_Lb1EN6thrust23THRUST_200600_302600_NS6detail15normal_iteratorINS8_10device_ptrIbEEEESD_NSA_INSB_IiEEEESF_jNS0_19identity_decomposerENS1_16block_id_wrapperIjLb1EEEEE10hipError_tT1_PNSt15iterator_traitsISK_E10value_typeET2_T3_PNSL_ISQ_E10value_typeET4_T5_PSV_SW_PNS1_23onesweep_lookback_stateEbbT6_jjT7_P12ihipStream_tbENKUlT_T0_SK_SP_E_clISD_PbSF_PiEEDaS13_S14_SK_SP_EUlS13_E_NS1_11comp_targetILNS1_3genE8ELNS1_11target_archE1030ELNS1_3gpuE2ELNS1_3repE0EEENS1_47radix_sort_onesweep_sort_config_static_selectorELNS0_4arch9wavefront6targetE1EEEvSK_, .Lfunc_end2235-_ZN7rocprim17ROCPRIM_400000_NS6detail17trampoline_kernelINS0_14default_configENS1_35radix_sort_onesweep_config_selectorIbiEEZZNS1_29radix_sort_onesweep_iterationIS3_Lb1EN6thrust23THRUST_200600_302600_NS6detail15normal_iteratorINS8_10device_ptrIbEEEESD_NSA_INSB_IiEEEESF_jNS0_19identity_decomposerENS1_16block_id_wrapperIjLb1EEEEE10hipError_tT1_PNSt15iterator_traitsISK_E10value_typeET2_T3_PNSL_ISQ_E10value_typeET4_T5_PSV_SW_PNS1_23onesweep_lookback_stateEbbT6_jjT7_P12ihipStream_tbENKUlT_T0_SK_SP_E_clISD_PbSF_PiEEDaS13_S14_SK_SP_EUlS13_E_NS1_11comp_targetILNS1_3genE8ELNS1_11target_archE1030ELNS1_3gpuE2ELNS1_3repE0EEENS1_47radix_sort_onesweep_sort_config_static_selectorELNS0_4arch9wavefront6targetE1EEEvSK_
                                        ; -- End function
	.set _ZN7rocprim17ROCPRIM_400000_NS6detail17trampoline_kernelINS0_14default_configENS1_35radix_sort_onesweep_config_selectorIbiEEZZNS1_29radix_sort_onesweep_iterationIS3_Lb1EN6thrust23THRUST_200600_302600_NS6detail15normal_iteratorINS8_10device_ptrIbEEEESD_NSA_INSB_IiEEEESF_jNS0_19identity_decomposerENS1_16block_id_wrapperIjLb1EEEEE10hipError_tT1_PNSt15iterator_traitsISK_E10value_typeET2_T3_PNSL_ISQ_E10value_typeET4_T5_PSV_SW_PNS1_23onesweep_lookback_stateEbbT6_jjT7_P12ihipStream_tbENKUlT_T0_SK_SP_E_clISD_PbSF_PiEEDaS13_S14_SK_SP_EUlS13_E_NS1_11comp_targetILNS1_3genE8ELNS1_11target_archE1030ELNS1_3gpuE2ELNS1_3repE0EEENS1_47radix_sort_onesweep_sort_config_static_selectorELNS0_4arch9wavefront6targetE1EEEvSK_.num_vgpr, 0
	.set _ZN7rocprim17ROCPRIM_400000_NS6detail17trampoline_kernelINS0_14default_configENS1_35radix_sort_onesweep_config_selectorIbiEEZZNS1_29radix_sort_onesweep_iterationIS3_Lb1EN6thrust23THRUST_200600_302600_NS6detail15normal_iteratorINS8_10device_ptrIbEEEESD_NSA_INSB_IiEEEESF_jNS0_19identity_decomposerENS1_16block_id_wrapperIjLb1EEEEE10hipError_tT1_PNSt15iterator_traitsISK_E10value_typeET2_T3_PNSL_ISQ_E10value_typeET4_T5_PSV_SW_PNS1_23onesweep_lookback_stateEbbT6_jjT7_P12ihipStream_tbENKUlT_T0_SK_SP_E_clISD_PbSF_PiEEDaS13_S14_SK_SP_EUlS13_E_NS1_11comp_targetILNS1_3genE8ELNS1_11target_archE1030ELNS1_3gpuE2ELNS1_3repE0EEENS1_47radix_sort_onesweep_sort_config_static_selectorELNS0_4arch9wavefront6targetE1EEEvSK_.num_agpr, 0
	.set _ZN7rocprim17ROCPRIM_400000_NS6detail17trampoline_kernelINS0_14default_configENS1_35radix_sort_onesweep_config_selectorIbiEEZZNS1_29radix_sort_onesweep_iterationIS3_Lb1EN6thrust23THRUST_200600_302600_NS6detail15normal_iteratorINS8_10device_ptrIbEEEESD_NSA_INSB_IiEEEESF_jNS0_19identity_decomposerENS1_16block_id_wrapperIjLb1EEEEE10hipError_tT1_PNSt15iterator_traitsISK_E10value_typeET2_T3_PNSL_ISQ_E10value_typeET4_T5_PSV_SW_PNS1_23onesweep_lookback_stateEbbT6_jjT7_P12ihipStream_tbENKUlT_T0_SK_SP_E_clISD_PbSF_PiEEDaS13_S14_SK_SP_EUlS13_E_NS1_11comp_targetILNS1_3genE8ELNS1_11target_archE1030ELNS1_3gpuE2ELNS1_3repE0EEENS1_47radix_sort_onesweep_sort_config_static_selectorELNS0_4arch9wavefront6targetE1EEEvSK_.numbered_sgpr, 0
	.set _ZN7rocprim17ROCPRIM_400000_NS6detail17trampoline_kernelINS0_14default_configENS1_35radix_sort_onesweep_config_selectorIbiEEZZNS1_29radix_sort_onesweep_iterationIS3_Lb1EN6thrust23THRUST_200600_302600_NS6detail15normal_iteratorINS8_10device_ptrIbEEEESD_NSA_INSB_IiEEEESF_jNS0_19identity_decomposerENS1_16block_id_wrapperIjLb1EEEEE10hipError_tT1_PNSt15iterator_traitsISK_E10value_typeET2_T3_PNSL_ISQ_E10value_typeET4_T5_PSV_SW_PNS1_23onesweep_lookback_stateEbbT6_jjT7_P12ihipStream_tbENKUlT_T0_SK_SP_E_clISD_PbSF_PiEEDaS13_S14_SK_SP_EUlS13_E_NS1_11comp_targetILNS1_3genE8ELNS1_11target_archE1030ELNS1_3gpuE2ELNS1_3repE0EEENS1_47radix_sort_onesweep_sort_config_static_selectorELNS0_4arch9wavefront6targetE1EEEvSK_.num_named_barrier, 0
	.set _ZN7rocprim17ROCPRIM_400000_NS6detail17trampoline_kernelINS0_14default_configENS1_35radix_sort_onesweep_config_selectorIbiEEZZNS1_29radix_sort_onesweep_iterationIS3_Lb1EN6thrust23THRUST_200600_302600_NS6detail15normal_iteratorINS8_10device_ptrIbEEEESD_NSA_INSB_IiEEEESF_jNS0_19identity_decomposerENS1_16block_id_wrapperIjLb1EEEEE10hipError_tT1_PNSt15iterator_traitsISK_E10value_typeET2_T3_PNSL_ISQ_E10value_typeET4_T5_PSV_SW_PNS1_23onesweep_lookback_stateEbbT6_jjT7_P12ihipStream_tbENKUlT_T0_SK_SP_E_clISD_PbSF_PiEEDaS13_S14_SK_SP_EUlS13_E_NS1_11comp_targetILNS1_3genE8ELNS1_11target_archE1030ELNS1_3gpuE2ELNS1_3repE0EEENS1_47radix_sort_onesweep_sort_config_static_selectorELNS0_4arch9wavefront6targetE1EEEvSK_.private_seg_size, 0
	.set _ZN7rocprim17ROCPRIM_400000_NS6detail17trampoline_kernelINS0_14default_configENS1_35radix_sort_onesweep_config_selectorIbiEEZZNS1_29radix_sort_onesweep_iterationIS3_Lb1EN6thrust23THRUST_200600_302600_NS6detail15normal_iteratorINS8_10device_ptrIbEEEESD_NSA_INSB_IiEEEESF_jNS0_19identity_decomposerENS1_16block_id_wrapperIjLb1EEEEE10hipError_tT1_PNSt15iterator_traitsISK_E10value_typeET2_T3_PNSL_ISQ_E10value_typeET4_T5_PSV_SW_PNS1_23onesweep_lookback_stateEbbT6_jjT7_P12ihipStream_tbENKUlT_T0_SK_SP_E_clISD_PbSF_PiEEDaS13_S14_SK_SP_EUlS13_E_NS1_11comp_targetILNS1_3genE8ELNS1_11target_archE1030ELNS1_3gpuE2ELNS1_3repE0EEENS1_47radix_sort_onesweep_sort_config_static_selectorELNS0_4arch9wavefront6targetE1EEEvSK_.uses_vcc, 0
	.set _ZN7rocprim17ROCPRIM_400000_NS6detail17trampoline_kernelINS0_14default_configENS1_35radix_sort_onesweep_config_selectorIbiEEZZNS1_29radix_sort_onesweep_iterationIS3_Lb1EN6thrust23THRUST_200600_302600_NS6detail15normal_iteratorINS8_10device_ptrIbEEEESD_NSA_INSB_IiEEEESF_jNS0_19identity_decomposerENS1_16block_id_wrapperIjLb1EEEEE10hipError_tT1_PNSt15iterator_traitsISK_E10value_typeET2_T3_PNSL_ISQ_E10value_typeET4_T5_PSV_SW_PNS1_23onesweep_lookback_stateEbbT6_jjT7_P12ihipStream_tbENKUlT_T0_SK_SP_E_clISD_PbSF_PiEEDaS13_S14_SK_SP_EUlS13_E_NS1_11comp_targetILNS1_3genE8ELNS1_11target_archE1030ELNS1_3gpuE2ELNS1_3repE0EEENS1_47radix_sort_onesweep_sort_config_static_selectorELNS0_4arch9wavefront6targetE1EEEvSK_.uses_flat_scratch, 0
	.set _ZN7rocprim17ROCPRIM_400000_NS6detail17trampoline_kernelINS0_14default_configENS1_35radix_sort_onesweep_config_selectorIbiEEZZNS1_29radix_sort_onesweep_iterationIS3_Lb1EN6thrust23THRUST_200600_302600_NS6detail15normal_iteratorINS8_10device_ptrIbEEEESD_NSA_INSB_IiEEEESF_jNS0_19identity_decomposerENS1_16block_id_wrapperIjLb1EEEEE10hipError_tT1_PNSt15iterator_traitsISK_E10value_typeET2_T3_PNSL_ISQ_E10value_typeET4_T5_PSV_SW_PNS1_23onesweep_lookback_stateEbbT6_jjT7_P12ihipStream_tbENKUlT_T0_SK_SP_E_clISD_PbSF_PiEEDaS13_S14_SK_SP_EUlS13_E_NS1_11comp_targetILNS1_3genE8ELNS1_11target_archE1030ELNS1_3gpuE2ELNS1_3repE0EEENS1_47radix_sort_onesweep_sort_config_static_selectorELNS0_4arch9wavefront6targetE1EEEvSK_.has_dyn_sized_stack, 0
	.set _ZN7rocprim17ROCPRIM_400000_NS6detail17trampoline_kernelINS0_14default_configENS1_35radix_sort_onesweep_config_selectorIbiEEZZNS1_29radix_sort_onesweep_iterationIS3_Lb1EN6thrust23THRUST_200600_302600_NS6detail15normal_iteratorINS8_10device_ptrIbEEEESD_NSA_INSB_IiEEEESF_jNS0_19identity_decomposerENS1_16block_id_wrapperIjLb1EEEEE10hipError_tT1_PNSt15iterator_traitsISK_E10value_typeET2_T3_PNSL_ISQ_E10value_typeET4_T5_PSV_SW_PNS1_23onesweep_lookback_stateEbbT6_jjT7_P12ihipStream_tbENKUlT_T0_SK_SP_E_clISD_PbSF_PiEEDaS13_S14_SK_SP_EUlS13_E_NS1_11comp_targetILNS1_3genE8ELNS1_11target_archE1030ELNS1_3gpuE2ELNS1_3repE0EEENS1_47radix_sort_onesweep_sort_config_static_selectorELNS0_4arch9wavefront6targetE1EEEvSK_.has_recursion, 0
	.set _ZN7rocprim17ROCPRIM_400000_NS6detail17trampoline_kernelINS0_14default_configENS1_35radix_sort_onesweep_config_selectorIbiEEZZNS1_29radix_sort_onesweep_iterationIS3_Lb1EN6thrust23THRUST_200600_302600_NS6detail15normal_iteratorINS8_10device_ptrIbEEEESD_NSA_INSB_IiEEEESF_jNS0_19identity_decomposerENS1_16block_id_wrapperIjLb1EEEEE10hipError_tT1_PNSt15iterator_traitsISK_E10value_typeET2_T3_PNSL_ISQ_E10value_typeET4_T5_PSV_SW_PNS1_23onesweep_lookback_stateEbbT6_jjT7_P12ihipStream_tbENKUlT_T0_SK_SP_E_clISD_PbSF_PiEEDaS13_S14_SK_SP_EUlS13_E_NS1_11comp_targetILNS1_3genE8ELNS1_11target_archE1030ELNS1_3gpuE2ELNS1_3repE0EEENS1_47radix_sort_onesweep_sort_config_static_selectorELNS0_4arch9wavefront6targetE1EEEvSK_.has_indirect_call, 0
	.section	.AMDGPU.csdata,"",@progbits
; Kernel info:
; codeLenInByte = 0
; TotalNumSgprs: 6
; NumVgprs: 0
; NumAgprs: 0
; TotalNumVgprs: 0
; ScratchSize: 0
; MemoryBound: 0
; FloatMode: 240
; IeeeMode: 1
; LDSByteSize: 0 bytes/workgroup (compile time only)
; SGPRBlocks: 0
; VGPRBlocks: 0
; NumSGPRsForWavesPerEU: 6
; NumVGPRsForWavesPerEU: 1
; AccumOffset: 4
; Occupancy: 8
; WaveLimiterHint : 0
; COMPUTE_PGM_RSRC2:SCRATCH_EN: 0
; COMPUTE_PGM_RSRC2:USER_SGPR: 2
; COMPUTE_PGM_RSRC2:TRAP_HANDLER: 0
; COMPUTE_PGM_RSRC2:TGID_X_EN: 1
; COMPUTE_PGM_RSRC2:TGID_Y_EN: 0
; COMPUTE_PGM_RSRC2:TGID_Z_EN: 0
; COMPUTE_PGM_RSRC2:TIDIG_COMP_CNT: 0
; COMPUTE_PGM_RSRC3_GFX90A:ACCUM_OFFSET: 0
; COMPUTE_PGM_RSRC3_GFX90A:TG_SPLIT: 0
	.section	.text._ZN7rocprim17ROCPRIM_400000_NS6detail17trampoline_kernelINS0_14default_configENS1_35radix_sort_onesweep_config_selectorIbiEEZZNS1_29radix_sort_onesweep_iterationIS3_Lb1EN6thrust23THRUST_200600_302600_NS6detail15normal_iteratorINS8_10device_ptrIbEEEESD_NSA_INSB_IiEEEESF_jNS0_19identity_decomposerENS1_16block_id_wrapperIjLb1EEEEE10hipError_tT1_PNSt15iterator_traitsISK_E10value_typeET2_T3_PNSL_ISQ_E10value_typeET4_T5_PSV_SW_PNS1_23onesweep_lookback_stateEbbT6_jjT7_P12ihipStream_tbENKUlT_T0_SK_SP_E_clIPbSD_PiSF_EEDaS13_S14_SK_SP_EUlS13_E_NS1_11comp_targetILNS1_3genE0ELNS1_11target_archE4294967295ELNS1_3gpuE0ELNS1_3repE0EEENS1_47radix_sort_onesweep_sort_config_static_selectorELNS0_4arch9wavefront6targetE1EEEvSK_,"axG",@progbits,_ZN7rocprim17ROCPRIM_400000_NS6detail17trampoline_kernelINS0_14default_configENS1_35radix_sort_onesweep_config_selectorIbiEEZZNS1_29radix_sort_onesweep_iterationIS3_Lb1EN6thrust23THRUST_200600_302600_NS6detail15normal_iteratorINS8_10device_ptrIbEEEESD_NSA_INSB_IiEEEESF_jNS0_19identity_decomposerENS1_16block_id_wrapperIjLb1EEEEE10hipError_tT1_PNSt15iterator_traitsISK_E10value_typeET2_T3_PNSL_ISQ_E10value_typeET4_T5_PSV_SW_PNS1_23onesweep_lookback_stateEbbT6_jjT7_P12ihipStream_tbENKUlT_T0_SK_SP_E_clIPbSD_PiSF_EEDaS13_S14_SK_SP_EUlS13_E_NS1_11comp_targetILNS1_3genE0ELNS1_11target_archE4294967295ELNS1_3gpuE0ELNS1_3repE0EEENS1_47radix_sort_onesweep_sort_config_static_selectorELNS0_4arch9wavefront6targetE1EEEvSK_,comdat
	.protected	_ZN7rocprim17ROCPRIM_400000_NS6detail17trampoline_kernelINS0_14default_configENS1_35radix_sort_onesweep_config_selectorIbiEEZZNS1_29radix_sort_onesweep_iterationIS3_Lb1EN6thrust23THRUST_200600_302600_NS6detail15normal_iteratorINS8_10device_ptrIbEEEESD_NSA_INSB_IiEEEESF_jNS0_19identity_decomposerENS1_16block_id_wrapperIjLb1EEEEE10hipError_tT1_PNSt15iterator_traitsISK_E10value_typeET2_T3_PNSL_ISQ_E10value_typeET4_T5_PSV_SW_PNS1_23onesweep_lookback_stateEbbT6_jjT7_P12ihipStream_tbENKUlT_T0_SK_SP_E_clIPbSD_PiSF_EEDaS13_S14_SK_SP_EUlS13_E_NS1_11comp_targetILNS1_3genE0ELNS1_11target_archE4294967295ELNS1_3gpuE0ELNS1_3repE0EEENS1_47radix_sort_onesweep_sort_config_static_selectorELNS0_4arch9wavefront6targetE1EEEvSK_ ; -- Begin function _ZN7rocprim17ROCPRIM_400000_NS6detail17trampoline_kernelINS0_14default_configENS1_35radix_sort_onesweep_config_selectorIbiEEZZNS1_29radix_sort_onesweep_iterationIS3_Lb1EN6thrust23THRUST_200600_302600_NS6detail15normal_iteratorINS8_10device_ptrIbEEEESD_NSA_INSB_IiEEEESF_jNS0_19identity_decomposerENS1_16block_id_wrapperIjLb1EEEEE10hipError_tT1_PNSt15iterator_traitsISK_E10value_typeET2_T3_PNSL_ISQ_E10value_typeET4_T5_PSV_SW_PNS1_23onesweep_lookback_stateEbbT6_jjT7_P12ihipStream_tbENKUlT_T0_SK_SP_E_clIPbSD_PiSF_EEDaS13_S14_SK_SP_EUlS13_E_NS1_11comp_targetILNS1_3genE0ELNS1_11target_archE4294967295ELNS1_3gpuE0ELNS1_3repE0EEENS1_47radix_sort_onesweep_sort_config_static_selectorELNS0_4arch9wavefront6targetE1EEEvSK_
	.globl	_ZN7rocprim17ROCPRIM_400000_NS6detail17trampoline_kernelINS0_14default_configENS1_35radix_sort_onesweep_config_selectorIbiEEZZNS1_29radix_sort_onesweep_iterationIS3_Lb1EN6thrust23THRUST_200600_302600_NS6detail15normal_iteratorINS8_10device_ptrIbEEEESD_NSA_INSB_IiEEEESF_jNS0_19identity_decomposerENS1_16block_id_wrapperIjLb1EEEEE10hipError_tT1_PNSt15iterator_traitsISK_E10value_typeET2_T3_PNSL_ISQ_E10value_typeET4_T5_PSV_SW_PNS1_23onesweep_lookback_stateEbbT6_jjT7_P12ihipStream_tbENKUlT_T0_SK_SP_E_clIPbSD_PiSF_EEDaS13_S14_SK_SP_EUlS13_E_NS1_11comp_targetILNS1_3genE0ELNS1_11target_archE4294967295ELNS1_3gpuE0ELNS1_3repE0EEENS1_47radix_sort_onesweep_sort_config_static_selectorELNS0_4arch9wavefront6targetE1EEEvSK_
	.p2align	8
	.type	_ZN7rocprim17ROCPRIM_400000_NS6detail17trampoline_kernelINS0_14default_configENS1_35radix_sort_onesweep_config_selectorIbiEEZZNS1_29radix_sort_onesweep_iterationIS3_Lb1EN6thrust23THRUST_200600_302600_NS6detail15normal_iteratorINS8_10device_ptrIbEEEESD_NSA_INSB_IiEEEESF_jNS0_19identity_decomposerENS1_16block_id_wrapperIjLb1EEEEE10hipError_tT1_PNSt15iterator_traitsISK_E10value_typeET2_T3_PNSL_ISQ_E10value_typeET4_T5_PSV_SW_PNS1_23onesweep_lookback_stateEbbT6_jjT7_P12ihipStream_tbENKUlT_T0_SK_SP_E_clIPbSD_PiSF_EEDaS13_S14_SK_SP_EUlS13_E_NS1_11comp_targetILNS1_3genE0ELNS1_11target_archE4294967295ELNS1_3gpuE0ELNS1_3repE0EEENS1_47radix_sort_onesweep_sort_config_static_selectorELNS0_4arch9wavefront6targetE1EEEvSK_,@function
_ZN7rocprim17ROCPRIM_400000_NS6detail17trampoline_kernelINS0_14default_configENS1_35radix_sort_onesweep_config_selectorIbiEEZZNS1_29radix_sort_onesweep_iterationIS3_Lb1EN6thrust23THRUST_200600_302600_NS6detail15normal_iteratorINS8_10device_ptrIbEEEESD_NSA_INSB_IiEEEESF_jNS0_19identity_decomposerENS1_16block_id_wrapperIjLb1EEEEE10hipError_tT1_PNSt15iterator_traitsISK_E10value_typeET2_T3_PNSL_ISQ_E10value_typeET4_T5_PSV_SW_PNS1_23onesweep_lookback_stateEbbT6_jjT7_P12ihipStream_tbENKUlT_T0_SK_SP_E_clIPbSD_PiSF_EEDaS13_S14_SK_SP_EUlS13_E_NS1_11comp_targetILNS1_3genE0ELNS1_11target_archE4294967295ELNS1_3gpuE0ELNS1_3repE0EEENS1_47radix_sort_onesweep_sort_config_static_selectorELNS0_4arch9wavefront6targetE1EEEvSK_: ; @_ZN7rocprim17ROCPRIM_400000_NS6detail17trampoline_kernelINS0_14default_configENS1_35radix_sort_onesweep_config_selectorIbiEEZZNS1_29radix_sort_onesweep_iterationIS3_Lb1EN6thrust23THRUST_200600_302600_NS6detail15normal_iteratorINS8_10device_ptrIbEEEESD_NSA_INSB_IiEEEESF_jNS0_19identity_decomposerENS1_16block_id_wrapperIjLb1EEEEE10hipError_tT1_PNSt15iterator_traitsISK_E10value_typeET2_T3_PNSL_ISQ_E10value_typeET4_T5_PSV_SW_PNS1_23onesweep_lookback_stateEbbT6_jjT7_P12ihipStream_tbENKUlT_T0_SK_SP_E_clIPbSD_PiSF_EEDaS13_S14_SK_SP_EUlS13_E_NS1_11comp_targetILNS1_3genE0ELNS1_11target_archE4294967295ELNS1_3gpuE0ELNS1_3repE0EEENS1_47radix_sort_onesweep_sort_config_static_selectorELNS0_4arch9wavefront6targetE1EEEvSK_
; %bb.0:
	.section	.rodata,"a",@progbits
	.p2align	6, 0x0
	.amdhsa_kernel _ZN7rocprim17ROCPRIM_400000_NS6detail17trampoline_kernelINS0_14default_configENS1_35radix_sort_onesweep_config_selectorIbiEEZZNS1_29radix_sort_onesweep_iterationIS3_Lb1EN6thrust23THRUST_200600_302600_NS6detail15normal_iteratorINS8_10device_ptrIbEEEESD_NSA_INSB_IiEEEESF_jNS0_19identity_decomposerENS1_16block_id_wrapperIjLb1EEEEE10hipError_tT1_PNSt15iterator_traitsISK_E10value_typeET2_T3_PNSL_ISQ_E10value_typeET4_T5_PSV_SW_PNS1_23onesweep_lookback_stateEbbT6_jjT7_P12ihipStream_tbENKUlT_T0_SK_SP_E_clIPbSD_PiSF_EEDaS13_S14_SK_SP_EUlS13_E_NS1_11comp_targetILNS1_3genE0ELNS1_11target_archE4294967295ELNS1_3gpuE0ELNS1_3repE0EEENS1_47radix_sort_onesweep_sort_config_static_selectorELNS0_4arch9wavefront6targetE1EEEvSK_
		.amdhsa_group_segment_fixed_size 0
		.amdhsa_private_segment_fixed_size 0
		.amdhsa_kernarg_size 88
		.amdhsa_user_sgpr_count 2
		.amdhsa_user_sgpr_dispatch_ptr 0
		.amdhsa_user_sgpr_queue_ptr 0
		.amdhsa_user_sgpr_kernarg_segment_ptr 1
		.amdhsa_user_sgpr_dispatch_id 0
		.amdhsa_user_sgpr_kernarg_preload_length 0
		.amdhsa_user_sgpr_kernarg_preload_offset 0
		.amdhsa_user_sgpr_private_segment_size 0
		.amdhsa_uses_dynamic_stack 0
		.amdhsa_enable_private_segment 0
		.amdhsa_system_sgpr_workgroup_id_x 1
		.amdhsa_system_sgpr_workgroup_id_y 0
		.amdhsa_system_sgpr_workgroup_id_z 0
		.amdhsa_system_sgpr_workgroup_info 0
		.amdhsa_system_vgpr_workitem_id 0
		.amdhsa_next_free_vgpr 1
		.amdhsa_next_free_sgpr 0
		.amdhsa_accum_offset 4
		.amdhsa_reserve_vcc 0
		.amdhsa_float_round_mode_32 0
		.amdhsa_float_round_mode_16_64 0
		.amdhsa_float_denorm_mode_32 3
		.amdhsa_float_denorm_mode_16_64 3
		.amdhsa_dx10_clamp 1
		.amdhsa_ieee_mode 1
		.amdhsa_fp16_overflow 0
		.amdhsa_tg_split 0
		.amdhsa_exception_fp_ieee_invalid_op 0
		.amdhsa_exception_fp_denorm_src 0
		.amdhsa_exception_fp_ieee_div_zero 0
		.amdhsa_exception_fp_ieee_overflow 0
		.amdhsa_exception_fp_ieee_underflow 0
		.amdhsa_exception_fp_ieee_inexact 0
		.amdhsa_exception_int_div_zero 0
	.end_amdhsa_kernel
	.section	.text._ZN7rocprim17ROCPRIM_400000_NS6detail17trampoline_kernelINS0_14default_configENS1_35radix_sort_onesweep_config_selectorIbiEEZZNS1_29radix_sort_onesweep_iterationIS3_Lb1EN6thrust23THRUST_200600_302600_NS6detail15normal_iteratorINS8_10device_ptrIbEEEESD_NSA_INSB_IiEEEESF_jNS0_19identity_decomposerENS1_16block_id_wrapperIjLb1EEEEE10hipError_tT1_PNSt15iterator_traitsISK_E10value_typeET2_T3_PNSL_ISQ_E10value_typeET4_T5_PSV_SW_PNS1_23onesweep_lookback_stateEbbT6_jjT7_P12ihipStream_tbENKUlT_T0_SK_SP_E_clIPbSD_PiSF_EEDaS13_S14_SK_SP_EUlS13_E_NS1_11comp_targetILNS1_3genE0ELNS1_11target_archE4294967295ELNS1_3gpuE0ELNS1_3repE0EEENS1_47radix_sort_onesweep_sort_config_static_selectorELNS0_4arch9wavefront6targetE1EEEvSK_,"axG",@progbits,_ZN7rocprim17ROCPRIM_400000_NS6detail17trampoline_kernelINS0_14default_configENS1_35radix_sort_onesweep_config_selectorIbiEEZZNS1_29radix_sort_onesweep_iterationIS3_Lb1EN6thrust23THRUST_200600_302600_NS6detail15normal_iteratorINS8_10device_ptrIbEEEESD_NSA_INSB_IiEEEESF_jNS0_19identity_decomposerENS1_16block_id_wrapperIjLb1EEEEE10hipError_tT1_PNSt15iterator_traitsISK_E10value_typeET2_T3_PNSL_ISQ_E10value_typeET4_T5_PSV_SW_PNS1_23onesweep_lookback_stateEbbT6_jjT7_P12ihipStream_tbENKUlT_T0_SK_SP_E_clIPbSD_PiSF_EEDaS13_S14_SK_SP_EUlS13_E_NS1_11comp_targetILNS1_3genE0ELNS1_11target_archE4294967295ELNS1_3gpuE0ELNS1_3repE0EEENS1_47radix_sort_onesweep_sort_config_static_selectorELNS0_4arch9wavefront6targetE1EEEvSK_,comdat
.Lfunc_end2236:
	.size	_ZN7rocprim17ROCPRIM_400000_NS6detail17trampoline_kernelINS0_14default_configENS1_35radix_sort_onesweep_config_selectorIbiEEZZNS1_29radix_sort_onesweep_iterationIS3_Lb1EN6thrust23THRUST_200600_302600_NS6detail15normal_iteratorINS8_10device_ptrIbEEEESD_NSA_INSB_IiEEEESF_jNS0_19identity_decomposerENS1_16block_id_wrapperIjLb1EEEEE10hipError_tT1_PNSt15iterator_traitsISK_E10value_typeET2_T3_PNSL_ISQ_E10value_typeET4_T5_PSV_SW_PNS1_23onesweep_lookback_stateEbbT6_jjT7_P12ihipStream_tbENKUlT_T0_SK_SP_E_clIPbSD_PiSF_EEDaS13_S14_SK_SP_EUlS13_E_NS1_11comp_targetILNS1_3genE0ELNS1_11target_archE4294967295ELNS1_3gpuE0ELNS1_3repE0EEENS1_47radix_sort_onesweep_sort_config_static_selectorELNS0_4arch9wavefront6targetE1EEEvSK_, .Lfunc_end2236-_ZN7rocprim17ROCPRIM_400000_NS6detail17trampoline_kernelINS0_14default_configENS1_35radix_sort_onesweep_config_selectorIbiEEZZNS1_29radix_sort_onesweep_iterationIS3_Lb1EN6thrust23THRUST_200600_302600_NS6detail15normal_iteratorINS8_10device_ptrIbEEEESD_NSA_INSB_IiEEEESF_jNS0_19identity_decomposerENS1_16block_id_wrapperIjLb1EEEEE10hipError_tT1_PNSt15iterator_traitsISK_E10value_typeET2_T3_PNSL_ISQ_E10value_typeET4_T5_PSV_SW_PNS1_23onesweep_lookback_stateEbbT6_jjT7_P12ihipStream_tbENKUlT_T0_SK_SP_E_clIPbSD_PiSF_EEDaS13_S14_SK_SP_EUlS13_E_NS1_11comp_targetILNS1_3genE0ELNS1_11target_archE4294967295ELNS1_3gpuE0ELNS1_3repE0EEENS1_47radix_sort_onesweep_sort_config_static_selectorELNS0_4arch9wavefront6targetE1EEEvSK_
                                        ; -- End function
	.set _ZN7rocprim17ROCPRIM_400000_NS6detail17trampoline_kernelINS0_14default_configENS1_35radix_sort_onesweep_config_selectorIbiEEZZNS1_29radix_sort_onesweep_iterationIS3_Lb1EN6thrust23THRUST_200600_302600_NS6detail15normal_iteratorINS8_10device_ptrIbEEEESD_NSA_INSB_IiEEEESF_jNS0_19identity_decomposerENS1_16block_id_wrapperIjLb1EEEEE10hipError_tT1_PNSt15iterator_traitsISK_E10value_typeET2_T3_PNSL_ISQ_E10value_typeET4_T5_PSV_SW_PNS1_23onesweep_lookback_stateEbbT6_jjT7_P12ihipStream_tbENKUlT_T0_SK_SP_E_clIPbSD_PiSF_EEDaS13_S14_SK_SP_EUlS13_E_NS1_11comp_targetILNS1_3genE0ELNS1_11target_archE4294967295ELNS1_3gpuE0ELNS1_3repE0EEENS1_47radix_sort_onesweep_sort_config_static_selectorELNS0_4arch9wavefront6targetE1EEEvSK_.num_vgpr, 0
	.set _ZN7rocprim17ROCPRIM_400000_NS6detail17trampoline_kernelINS0_14default_configENS1_35radix_sort_onesweep_config_selectorIbiEEZZNS1_29radix_sort_onesweep_iterationIS3_Lb1EN6thrust23THRUST_200600_302600_NS6detail15normal_iteratorINS8_10device_ptrIbEEEESD_NSA_INSB_IiEEEESF_jNS0_19identity_decomposerENS1_16block_id_wrapperIjLb1EEEEE10hipError_tT1_PNSt15iterator_traitsISK_E10value_typeET2_T3_PNSL_ISQ_E10value_typeET4_T5_PSV_SW_PNS1_23onesweep_lookback_stateEbbT6_jjT7_P12ihipStream_tbENKUlT_T0_SK_SP_E_clIPbSD_PiSF_EEDaS13_S14_SK_SP_EUlS13_E_NS1_11comp_targetILNS1_3genE0ELNS1_11target_archE4294967295ELNS1_3gpuE0ELNS1_3repE0EEENS1_47radix_sort_onesweep_sort_config_static_selectorELNS0_4arch9wavefront6targetE1EEEvSK_.num_agpr, 0
	.set _ZN7rocprim17ROCPRIM_400000_NS6detail17trampoline_kernelINS0_14default_configENS1_35radix_sort_onesweep_config_selectorIbiEEZZNS1_29radix_sort_onesweep_iterationIS3_Lb1EN6thrust23THRUST_200600_302600_NS6detail15normal_iteratorINS8_10device_ptrIbEEEESD_NSA_INSB_IiEEEESF_jNS0_19identity_decomposerENS1_16block_id_wrapperIjLb1EEEEE10hipError_tT1_PNSt15iterator_traitsISK_E10value_typeET2_T3_PNSL_ISQ_E10value_typeET4_T5_PSV_SW_PNS1_23onesweep_lookback_stateEbbT6_jjT7_P12ihipStream_tbENKUlT_T0_SK_SP_E_clIPbSD_PiSF_EEDaS13_S14_SK_SP_EUlS13_E_NS1_11comp_targetILNS1_3genE0ELNS1_11target_archE4294967295ELNS1_3gpuE0ELNS1_3repE0EEENS1_47radix_sort_onesweep_sort_config_static_selectorELNS0_4arch9wavefront6targetE1EEEvSK_.numbered_sgpr, 0
	.set _ZN7rocprim17ROCPRIM_400000_NS6detail17trampoline_kernelINS0_14default_configENS1_35radix_sort_onesweep_config_selectorIbiEEZZNS1_29radix_sort_onesweep_iterationIS3_Lb1EN6thrust23THRUST_200600_302600_NS6detail15normal_iteratorINS8_10device_ptrIbEEEESD_NSA_INSB_IiEEEESF_jNS0_19identity_decomposerENS1_16block_id_wrapperIjLb1EEEEE10hipError_tT1_PNSt15iterator_traitsISK_E10value_typeET2_T3_PNSL_ISQ_E10value_typeET4_T5_PSV_SW_PNS1_23onesweep_lookback_stateEbbT6_jjT7_P12ihipStream_tbENKUlT_T0_SK_SP_E_clIPbSD_PiSF_EEDaS13_S14_SK_SP_EUlS13_E_NS1_11comp_targetILNS1_3genE0ELNS1_11target_archE4294967295ELNS1_3gpuE0ELNS1_3repE0EEENS1_47radix_sort_onesweep_sort_config_static_selectorELNS0_4arch9wavefront6targetE1EEEvSK_.num_named_barrier, 0
	.set _ZN7rocprim17ROCPRIM_400000_NS6detail17trampoline_kernelINS0_14default_configENS1_35radix_sort_onesweep_config_selectorIbiEEZZNS1_29radix_sort_onesweep_iterationIS3_Lb1EN6thrust23THRUST_200600_302600_NS6detail15normal_iteratorINS8_10device_ptrIbEEEESD_NSA_INSB_IiEEEESF_jNS0_19identity_decomposerENS1_16block_id_wrapperIjLb1EEEEE10hipError_tT1_PNSt15iterator_traitsISK_E10value_typeET2_T3_PNSL_ISQ_E10value_typeET4_T5_PSV_SW_PNS1_23onesweep_lookback_stateEbbT6_jjT7_P12ihipStream_tbENKUlT_T0_SK_SP_E_clIPbSD_PiSF_EEDaS13_S14_SK_SP_EUlS13_E_NS1_11comp_targetILNS1_3genE0ELNS1_11target_archE4294967295ELNS1_3gpuE0ELNS1_3repE0EEENS1_47radix_sort_onesweep_sort_config_static_selectorELNS0_4arch9wavefront6targetE1EEEvSK_.private_seg_size, 0
	.set _ZN7rocprim17ROCPRIM_400000_NS6detail17trampoline_kernelINS0_14default_configENS1_35radix_sort_onesweep_config_selectorIbiEEZZNS1_29radix_sort_onesweep_iterationIS3_Lb1EN6thrust23THRUST_200600_302600_NS6detail15normal_iteratorINS8_10device_ptrIbEEEESD_NSA_INSB_IiEEEESF_jNS0_19identity_decomposerENS1_16block_id_wrapperIjLb1EEEEE10hipError_tT1_PNSt15iterator_traitsISK_E10value_typeET2_T3_PNSL_ISQ_E10value_typeET4_T5_PSV_SW_PNS1_23onesweep_lookback_stateEbbT6_jjT7_P12ihipStream_tbENKUlT_T0_SK_SP_E_clIPbSD_PiSF_EEDaS13_S14_SK_SP_EUlS13_E_NS1_11comp_targetILNS1_3genE0ELNS1_11target_archE4294967295ELNS1_3gpuE0ELNS1_3repE0EEENS1_47radix_sort_onesweep_sort_config_static_selectorELNS0_4arch9wavefront6targetE1EEEvSK_.uses_vcc, 0
	.set _ZN7rocprim17ROCPRIM_400000_NS6detail17trampoline_kernelINS0_14default_configENS1_35radix_sort_onesweep_config_selectorIbiEEZZNS1_29radix_sort_onesweep_iterationIS3_Lb1EN6thrust23THRUST_200600_302600_NS6detail15normal_iteratorINS8_10device_ptrIbEEEESD_NSA_INSB_IiEEEESF_jNS0_19identity_decomposerENS1_16block_id_wrapperIjLb1EEEEE10hipError_tT1_PNSt15iterator_traitsISK_E10value_typeET2_T3_PNSL_ISQ_E10value_typeET4_T5_PSV_SW_PNS1_23onesweep_lookback_stateEbbT6_jjT7_P12ihipStream_tbENKUlT_T0_SK_SP_E_clIPbSD_PiSF_EEDaS13_S14_SK_SP_EUlS13_E_NS1_11comp_targetILNS1_3genE0ELNS1_11target_archE4294967295ELNS1_3gpuE0ELNS1_3repE0EEENS1_47radix_sort_onesweep_sort_config_static_selectorELNS0_4arch9wavefront6targetE1EEEvSK_.uses_flat_scratch, 0
	.set _ZN7rocprim17ROCPRIM_400000_NS6detail17trampoline_kernelINS0_14default_configENS1_35radix_sort_onesweep_config_selectorIbiEEZZNS1_29radix_sort_onesweep_iterationIS3_Lb1EN6thrust23THRUST_200600_302600_NS6detail15normal_iteratorINS8_10device_ptrIbEEEESD_NSA_INSB_IiEEEESF_jNS0_19identity_decomposerENS1_16block_id_wrapperIjLb1EEEEE10hipError_tT1_PNSt15iterator_traitsISK_E10value_typeET2_T3_PNSL_ISQ_E10value_typeET4_T5_PSV_SW_PNS1_23onesweep_lookback_stateEbbT6_jjT7_P12ihipStream_tbENKUlT_T0_SK_SP_E_clIPbSD_PiSF_EEDaS13_S14_SK_SP_EUlS13_E_NS1_11comp_targetILNS1_3genE0ELNS1_11target_archE4294967295ELNS1_3gpuE0ELNS1_3repE0EEENS1_47radix_sort_onesweep_sort_config_static_selectorELNS0_4arch9wavefront6targetE1EEEvSK_.has_dyn_sized_stack, 0
	.set _ZN7rocprim17ROCPRIM_400000_NS6detail17trampoline_kernelINS0_14default_configENS1_35radix_sort_onesweep_config_selectorIbiEEZZNS1_29radix_sort_onesweep_iterationIS3_Lb1EN6thrust23THRUST_200600_302600_NS6detail15normal_iteratorINS8_10device_ptrIbEEEESD_NSA_INSB_IiEEEESF_jNS0_19identity_decomposerENS1_16block_id_wrapperIjLb1EEEEE10hipError_tT1_PNSt15iterator_traitsISK_E10value_typeET2_T3_PNSL_ISQ_E10value_typeET4_T5_PSV_SW_PNS1_23onesweep_lookback_stateEbbT6_jjT7_P12ihipStream_tbENKUlT_T0_SK_SP_E_clIPbSD_PiSF_EEDaS13_S14_SK_SP_EUlS13_E_NS1_11comp_targetILNS1_3genE0ELNS1_11target_archE4294967295ELNS1_3gpuE0ELNS1_3repE0EEENS1_47radix_sort_onesweep_sort_config_static_selectorELNS0_4arch9wavefront6targetE1EEEvSK_.has_recursion, 0
	.set _ZN7rocprim17ROCPRIM_400000_NS6detail17trampoline_kernelINS0_14default_configENS1_35radix_sort_onesweep_config_selectorIbiEEZZNS1_29radix_sort_onesweep_iterationIS3_Lb1EN6thrust23THRUST_200600_302600_NS6detail15normal_iteratorINS8_10device_ptrIbEEEESD_NSA_INSB_IiEEEESF_jNS0_19identity_decomposerENS1_16block_id_wrapperIjLb1EEEEE10hipError_tT1_PNSt15iterator_traitsISK_E10value_typeET2_T3_PNSL_ISQ_E10value_typeET4_T5_PSV_SW_PNS1_23onesweep_lookback_stateEbbT6_jjT7_P12ihipStream_tbENKUlT_T0_SK_SP_E_clIPbSD_PiSF_EEDaS13_S14_SK_SP_EUlS13_E_NS1_11comp_targetILNS1_3genE0ELNS1_11target_archE4294967295ELNS1_3gpuE0ELNS1_3repE0EEENS1_47radix_sort_onesweep_sort_config_static_selectorELNS0_4arch9wavefront6targetE1EEEvSK_.has_indirect_call, 0
	.section	.AMDGPU.csdata,"",@progbits
; Kernel info:
; codeLenInByte = 0
; TotalNumSgprs: 6
; NumVgprs: 0
; NumAgprs: 0
; TotalNumVgprs: 0
; ScratchSize: 0
; MemoryBound: 0
; FloatMode: 240
; IeeeMode: 1
; LDSByteSize: 0 bytes/workgroup (compile time only)
; SGPRBlocks: 0
; VGPRBlocks: 0
; NumSGPRsForWavesPerEU: 6
; NumVGPRsForWavesPerEU: 1
; AccumOffset: 4
; Occupancy: 8
; WaveLimiterHint : 0
; COMPUTE_PGM_RSRC2:SCRATCH_EN: 0
; COMPUTE_PGM_RSRC2:USER_SGPR: 2
; COMPUTE_PGM_RSRC2:TRAP_HANDLER: 0
; COMPUTE_PGM_RSRC2:TGID_X_EN: 1
; COMPUTE_PGM_RSRC2:TGID_Y_EN: 0
; COMPUTE_PGM_RSRC2:TGID_Z_EN: 0
; COMPUTE_PGM_RSRC2:TIDIG_COMP_CNT: 0
; COMPUTE_PGM_RSRC3_GFX90A:ACCUM_OFFSET: 0
; COMPUTE_PGM_RSRC3_GFX90A:TG_SPLIT: 0
	.section	.text._ZN7rocprim17ROCPRIM_400000_NS6detail17trampoline_kernelINS0_14default_configENS1_35radix_sort_onesweep_config_selectorIbiEEZZNS1_29radix_sort_onesweep_iterationIS3_Lb1EN6thrust23THRUST_200600_302600_NS6detail15normal_iteratorINS8_10device_ptrIbEEEESD_NSA_INSB_IiEEEESF_jNS0_19identity_decomposerENS1_16block_id_wrapperIjLb1EEEEE10hipError_tT1_PNSt15iterator_traitsISK_E10value_typeET2_T3_PNSL_ISQ_E10value_typeET4_T5_PSV_SW_PNS1_23onesweep_lookback_stateEbbT6_jjT7_P12ihipStream_tbENKUlT_T0_SK_SP_E_clIPbSD_PiSF_EEDaS13_S14_SK_SP_EUlS13_E_NS1_11comp_targetILNS1_3genE6ELNS1_11target_archE950ELNS1_3gpuE13ELNS1_3repE0EEENS1_47radix_sort_onesweep_sort_config_static_selectorELNS0_4arch9wavefront6targetE1EEEvSK_,"axG",@progbits,_ZN7rocprim17ROCPRIM_400000_NS6detail17trampoline_kernelINS0_14default_configENS1_35radix_sort_onesweep_config_selectorIbiEEZZNS1_29radix_sort_onesweep_iterationIS3_Lb1EN6thrust23THRUST_200600_302600_NS6detail15normal_iteratorINS8_10device_ptrIbEEEESD_NSA_INSB_IiEEEESF_jNS0_19identity_decomposerENS1_16block_id_wrapperIjLb1EEEEE10hipError_tT1_PNSt15iterator_traitsISK_E10value_typeET2_T3_PNSL_ISQ_E10value_typeET4_T5_PSV_SW_PNS1_23onesweep_lookback_stateEbbT6_jjT7_P12ihipStream_tbENKUlT_T0_SK_SP_E_clIPbSD_PiSF_EEDaS13_S14_SK_SP_EUlS13_E_NS1_11comp_targetILNS1_3genE6ELNS1_11target_archE950ELNS1_3gpuE13ELNS1_3repE0EEENS1_47radix_sort_onesweep_sort_config_static_selectorELNS0_4arch9wavefront6targetE1EEEvSK_,comdat
	.protected	_ZN7rocprim17ROCPRIM_400000_NS6detail17trampoline_kernelINS0_14default_configENS1_35radix_sort_onesweep_config_selectorIbiEEZZNS1_29radix_sort_onesweep_iterationIS3_Lb1EN6thrust23THRUST_200600_302600_NS6detail15normal_iteratorINS8_10device_ptrIbEEEESD_NSA_INSB_IiEEEESF_jNS0_19identity_decomposerENS1_16block_id_wrapperIjLb1EEEEE10hipError_tT1_PNSt15iterator_traitsISK_E10value_typeET2_T3_PNSL_ISQ_E10value_typeET4_T5_PSV_SW_PNS1_23onesweep_lookback_stateEbbT6_jjT7_P12ihipStream_tbENKUlT_T0_SK_SP_E_clIPbSD_PiSF_EEDaS13_S14_SK_SP_EUlS13_E_NS1_11comp_targetILNS1_3genE6ELNS1_11target_archE950ELNS1_3gpuE13ELNS1_3repE0EEENS1_47radix_sort_onesweep_sort_config_static_selectorELNS0_4arch9wavefront6targetE1EEEvSK_ ; -- Begin function _ZN7rocprim17ROCPRIM_400000_NS6detail17trampoline_kernelINS0_14default_configENS1_35radix_sort_onesweep_config_selectorIbiEEZZNS1_29radix_sort_onesweep_iterationIS3_Lb1EN6thrust23THRUST_200600_302600_NS6detail15normal_iteratorINS8_10device_ptrIbEEEESD_NSA_INSB_IiEEEESF_jNS0_19identity_decomposerENS1_16block_id_wrapperIjLb1EEEEE10hipError_tT1_PNSt15iterator_traitsISK_E10value_typeET2_T3_PNSL_ISQ_E10value_typeET4_T5_PSV_SW_PNS1_23onesweep_lookback_stateEbbT6_jjT7_P12ihipStream_tbENKUlT_T0_SK_SP_E_clIPbSD_PiSF_EEDaS13_S14_SK_SP_EUlS13_E_NS1_11comp_targetILNS1_3genE6ELNS1_11target_archE950ELNS1_3gpuE13ELNS1_3repE0EEENS1_47radix_sort_onesweep_sort_config_static_selectorELNS0_4arch9wavefront6targetE1EEEvSK_
	.globl	_ZN7rocprim17ROCPRIM_400000_NS6detail17trampoline_kernelINS0_14default_configENS1_35radix_sort_onesweep_config_selectorIbiEEZZNS1_29radix_sort_onesweep_iterationIS3_Lb1EN6thrust23THRUST_200600_302600_NS6detail15normal_iteratorINS8_10device_ptrIbEEEESD_NSA_INSB_IiEEEESF_jNS0_19identity_decomposerENS1_16block_id_wrapperIjLb1EEEEE10hipError_tT1_PNSt15iterator_traitsISK_E10value_typeET2_T3_PNSL_ISQ_E10value_typeET4_T5_PSV_SW_PNS1_23onesweep_lookback_stateEbbT6_jjT7_P12ihipStream_tbENKUlT_T0_SK_SP_E_clIPbSD_PiSF_EEDaS13_S14_SK_SP_EUlS13_E_NS1_11comp_targetILNS1_3genE6ELNS1_11target_archE950ELNS1_3gpuE13ELNS1_3repE0EEENS1_47radix_sort_onesweep_sort_config_static_selectorELNS0_4arch9wavefront6targetE1EEEvSK_
	.p2align	8
	.type	_ZN7rocprim17ROCPRIM_400000_NS6detail17trampoline_kernelINS0_14default_configENS1_35radix_sort_onesweep_config_selectorIbiEEZZNS1_29radix_sort_onesweep_iterationIS3_Lb1EN6thrust23THRUST_200600_302600_NS6detail15normal_iteratorINS8_10device_ptrIbEEEESD_NSA_INSB_IiEEEESF_jNS0_19identity_decomposerENS1_16block_id_wrapperIjLb1EEEEE10hipError_tT1_PNSt15iterator_traitsISK_E10value_typeET2_T3_PNSL_ISQ_E10value_typeET4_T5_PSV_SW_PNS1_23onesweep_lookback_stateEbbT6_jjT7_P12ihipStream_tbENKUlT_T0_SK_SP_E_clIPbSD_PiSF_EEDaS13_S14_SK_SP_EUlS13_E_NS1_11comp_targetILNS1_3genE6ELNS1_11target_archE950ELNS1_3gpuE13ELNS1_3repE0EEENS1_47radix_sort_onesweep_sort_config_static_selectorELNS0_4arch9wavefront6targetE1EEEvSK_,@function
_ZN7rocprim17ROCPRIM_400000_NS6detail17trampoline_kernelINS0_14default_configENS1_35radix_sort_onesweep_config_selectorIbiEEZZNS1_29radix_sort_onesweep_iterationIS3_Lb1EN6thrust23THRUST_200600_302600_NS6detail15normal_iteratorINS8_10device_ptrIbEEEESD_NSA_INSB_IiEEEESF_jNS0_19identity_decomposerENS1_16block_id_wrapperIjLb1EEEEE10hipError_tT1_PNSt15iterator_traitsISK_E10value_typeET2_T3_PNSL_ISQ_E10value_typeET4_T5_PSV_SW_PNS1_23onesweep_lookback_stateEbbT6_jjT7_P12ihipStream_tbENKUlT_T0_SK_SP_E_clIPbSD_PiSF_EEDaS13_S14_SK_SP_EUlS13_E_NS1_11comp_targetILNS1_3genE6ELNS1_11target_archE950ELNS1_3gpuE13ELNS1_3repE0EEENS1_47radix_sort_onesweep_sort_config_static_selectorELNS0_4arch9wavefront6targetE1EEEvSK_: ; @_ZN7rocprim17ROCPRIM_400000_NS6detail17trampoline_kernelINS0_14default_configENS1_35radix_sort_onesweep_config_selectorIbiEEZZNS1_29radix_sort_onesweep_iterationIS3_Lb1EN6thrust23THRUST_200600_302600_NS6detail15normal_iteratorINS8_10device_ptrIbEEEESD_NSA_INSB_IiEEEESF_jNS0_19identity_decomposerENS1_16block_id_wrapperIjLb1EEEEE10hipError_tT1_PNSt15iterator_traitsISK_E10value_typeET2_T3_PNSL_ISQ_E10value_typeET4_T5_PSV_SW_PNS1_23onesweep_lookback_stateEbbT6_jjT7_P12ihipStream_tbENKUlT_T0_SK_SP_E_clIPbSD_PiSF_EEDaS13_S14_SK_SP_EUlS13_E_NS1_11comp_targetILNS1_3genE6ELNS1_11target_archE950ELNS1_3gpuE13ELNS1_3repE0EEENS1_47radix_sort_onesweep_sort_config_static_selectorELNS0_4arch9wavefront6targetE1EEEvSK_
; %bb.0:
	s_load_dwordx4 s[80:83], s[0:1], 0x28
	s_load_dwordx2 s[88:89], s[0:1], 0x38
	s_load_dwordx4 s[84:87], s[0:1], 0x44
	v_and_b32_e32 v16, 0x3ff, v0
	v_cmp_eq_u32_e64 s[66:67], 0, v16
	s_and_saveexec_b64 s[4:5], s[66:67]
	s_cbranch_execz .LBB2237_4
; %bb.1:
	s_mov_b64 s[8:9], exec
	v_mbcnt_lo_u32_b32 v1, s8, 0
	v_mbcnt_hi_u32_b32 v1, s9, v1
	v_cmp_eq_u32_e32 vcc, 0, v1
                                        ; implicit-def: $vgpr2
	s_and_saveexec_b64 s[6:7], vcc
	s_cbranch_execz .LBB2237_3
; %bb.2:
	s_load_dwordx2 s[10:11], s[0:1], 0x50
	s_bcnt1_i32_b64 s3, s[8:9]
	v_mov_b32_e32 v2, 0
	v_mov_b32_e32 v3, s3
	s_waitcnt lgkmcnt(0)
	global_atomic_add v2, v2, v3, s[10:11] sc0
.LBB2237_3:
	s_or_b64 exec, exec, s[6:7]
	s_waitcnt vmcnt(0)
	v_readfirstlane_b32 s3, v2
	v_mov_b32_e32 v2, 0
	s_nop 0
	v_add_u32_e32 v1, s3, v1
	ds_write_b32 v2, v1 offset:20544
.LBB2237_4:
	s_or_b64 exec, exec, s[4:5]
	v_mov_b32_e32 v3, 0
	s_load_dwordx8 s[72:79], s[0:1], 0x0
	s_load_dword s3, s[0:1], 0x20
	s_waitcnt lgkmcnt(0)
	s_barrier
	ds_read_b32 v1, v3 offset:20544
	s_mov_b64 s[4:5], -1
	v_mbcnt_lo_u32_b32 v12, -1, 0
	s_waitcnt lgkmcnt(0)
	s_barrier
	v_cmp_le_u32_e32 vcc, s86, v1
	v_readfirstlane_b32 s33, v1
	v_lshlrev_b32_e32 v1, 4, v16
	s_cbranch_vccz .LBB2237_198
; %bb.5:
	s_lshl_b32 s4, s86, 14
	s_sub_i32 s3, s3, s4
	s_lshl_b32 s86, s33, 14
	s_add_u32 s4, s72, s86
	v_mbcnt_hi_u32_b32 v10, -1, v12
	s_addc_u32 s5, s73, 0
	v_and_b32_e32 v2, 63, v10
	v_and_b32_e32 v4, 0x3c00, v1
	v_lshl_add_u64 v[6:7], s[4:5], 0, v[2:3]
	v_mov_b32_e32 v5, v3
	v_or_b32_e32 v25, v2, v4
	s_mov_b32 s87, 0
	v_lshl_add_u64 v[6:7], v[6:7], 0, v[4:5]
	v_cmp_gt_u32_e32 vcc, s3, v25
	v_mov_b32_e32 v23, v3
	v_mov_b32_e32 v8, v3
	;; [unrolled: 1-line block ×13, first 2 shown]
	s_and_saveexec_b64 s[4:5], vcc
	s_cbranch_execz .LBB2237_7
; %bb.6:
	global_load_ubyte v23, v[6:7], off
	v_mov_b32_e32 v5, v3
	v_mov_b32_e32 v8, v3
	;; [unrolled: 1-line block ×13, first 2 shown]
.LBB2237_7:
	s_or_b64 exec, exec, s[4:5]
	v_or_b32_e32 v24, 64, v25
	v_cmp_gt_u32_e64 s[4:5], s3, v24
	v_mov_b32_e32 v24, v3
	s_and_saveexec_b64 s[6:7], s[4:5]
	s_cbranch_execz .LBB2237_9
; %bb.8:
	global_load_ubyte v24, v[6:7], off offset:64
.LBB2237_9:
	s_or_b64 exec, exec, s[6:7]
	v_or_b32_e32 v26, 0x80, v25
	v_cmp_gt_u32_e64 s[6:7], s3, v26
	s_and_saveexec_b64 s[8:9], s[6:7]
	s_cbranch_execz .LBB2237_11
; %bb.10:
	global_load_ubyte v3, v[6:7], off offset:128
.LBB2237_11:
	s_or_b64 exec, exec, s[8:9]
	v_or_b32_e32 v26, 0xc0, v25
	v_cmp_gt_u32_e64 s[8:9], s3, v26
	;; [unrolled: 8-line block ×14, first 2 shown]
	s_and_saveexec_b64 s[36:37], s[34:35]
	s_cbranch_execz .LBB2237_37
; %bb.36:
	global_load_ubyte v22, v[6:7], off offset:960
.LBB2237_37:
	s_or_b64 exec, exec, s[36:37]
	s_load_dword s90, s[0:1], 0x58
	s_load_dword s38, s[0:1], 0x64
	s_waitcnt vmcnt(0)
	v_and_b32_e32 v6, 1, v23
	v_cmp_eq_u32_e64 s[36:37], 1, v6
	s_xor_b64 s[68:69], s[36:37], -1
	s_add_u32 s36, s0, 0x58
	s_addc_u32 s37, s1, 0
	s_waitcnt lgkmcnt(0)
	s_lshr_b32 s70, s38, 16
	s_cmp_lt_u32 s2, s90
	s_cselect_b32 s38, 12, 18
	s_add_u32 s36, s36, s38
	s_addc_u32 s37, s37, 0
	v_mov_b32_e32 v7, 0
	global_load_ushort v23, v7, s[36:37]
	v_and_b32_e32 v3, 1, v3
	v_and_b32_e32 v5, 1, v5
	v_cmp_eq_u32_e64 s[62:63], 1, v3
	v_cndmask_b32_e64 v3, 0, 1, s[68:69]
	v_and_b32_e32 v6, 1, v24
	v_cmp_eq_u32_e64 s[60:61], 1, v5
	v_lshrrev_b32_e32 v5, s84, v3
	s_lshl_b32 s68, -1, s85
	v_and_b32_e32 v8, 1, v8
	v_and_b32_e32 v9, 1, v9
	v_cmp_eq_u32_e64 s[64:65], 1, v6
	v_bitop3_b32 v6, v5, s68, v5 bitop3:0x30
	v_cmp_eq_u32_e64 s[58:59], 1, v8
	v_cmp_eq_u32_e64 s[56:57], 1, v9
	s_not_b32 s91, s68
	v_cmp_ne_u32_e64 s[68:69], 0, v6
	v_lshl_add_u64 v[8:9], v[6:7], 0, -1
	v_and_b32_e32 v13, 1, v13
	v_bfe_u32 v25, v0, 10, 10
	v_bfe_u32 v26, v0, 20, 10
	v_xor_b32_e32 v8, s68, v8
	v_and_b32_e32 v14, 1, v14
	v_and_b32_e32 v15, 1, v15
	;; [unrolled: 1-line block ×3, first 2 shown]
	v_cmp_eq_u32_e64 s[52:53], 1, v13
	v_mad_u32_u24 v13, v26, s70, v25
	v_mul_u32_u24_e32 v5, 0x44, v6
	v_xor_b32_e32 v6, s69, v9
	v_and_b32_e32 v8, exec_lo, v8
	v_cmp_eq_u32_e64 s[50:51], 1, v14
	v_cmp_eq_u32_e64 s[48:49], 1, v15
	v_and_b32_e32 v9, exec_hi, v6
	v_mbcnt_lo_u32_b32 v6, v8, 0
	v_mbcnt_hi_u32_b32 v38, v9, v6
	v_and_b32_e32 v24, 1, v11
	v_and_b32_e32 v18, 1, v18
	;; [unrolled: 1-line block ×6, first 2 shown]
	v_cmp_ne_u64_e64 s[68:69], 0, v[8:9]
	v_cmp_eq_u32_e64 s[70:71], 0, v38
	v_mul_u32_u24_e32 v11, 20, v16
	s_movk_i32 s92, 0x44
	v_cmp_eq_u32_e64 s[54:55], 1, v24
	v_cmp_eq_u32_e64 s[46:47], 1, v17
	;; [unrolled: 1-line block ×7, first 2 shown]
	s_and_b64 s[70:71], s[68:69], s[70:71]
	ds_write2_b32 v11, v7, v7 offset0:16 offset1:17
	ds_write2_b32 v11, v7, v7 offset0:18 offset1:19
	ds_write_b32 v11, v7 offset:80
	s_waitcnt lgkmcnt(0)
	s_barrier
	s_waitcnt vmcnt(0)
	; wave barrier
	v_mad_u64_u32 v[14:15], s[94:95], v13, v23, v[16:17]
	v_lshrrev_b32_e32 v6, 4, v14
	v_and_b32_e32 v48, 0xffffffc, v6
	v_add_u32_e32 v34, v48, v5
	s_and_saveexec_b64 s[68:69], s[70:71]
; %bb.38:
	v_bcnt_u32_b32 v5, v8, 0
	v_bcnt_u32_b32 v5, v9, v5
	ds_write_b32 v34, v5 offset:64
; %bb.39:
	s_or_b64 exec, exec, s[68:69]
	s_xor_b64 s[64:65], s[64:65], -1
	v_cndmask_b32_e64 v40, 0, 1, s[64:65]
	v_lshrrev_b32_e32 v5, s84, v40
	v_and_b32_e32 v6, s91, v5
	v_mul_u32_u24_e32 v8, 0x44, v6
	v_mad_u32_u24 v5, v6, s92, v48
	v_cmp_ne_u32_e64 s[64:65], 0, v6
	v_lshl_add_u64 v[6:7], v[6:7], 0, -1
	s_nop 0
	v_xor_b32_e32 v6, s64, v6
	; wave barrier
	ds_read_b32 v5, v5 offset:64
	v_xor_b32_e32 v7, s65, v7
	v_and_b32_e32 v6, exec_lo, v6
	v_and_b32_e32 v7, exec_hi, v7
	v_mbcnt_lo_u32_b32 v9, v6, 0
	v_mbcnt_hi_u32_b32 v13, v7, v9
	v_cmp_eq_u32_e64 s[64:65], 0, v13
	v_cmp_ne_u64_e64 s[68:69], 0, v[6:7]
	s_and_b64 s[68:69], s[68:69], s[64:65]
	v_add_u32_e32 v36, v48, v8
	; wave barrier
	s_and_saveexec_b64 s[64:65], s[68:69]
	s_cbranch_execz .LBB2237_41
; %bb.40:
	v_bcnt_u32_b32 v6, v6, 0
	v_bcnt_u32_b32 v6, v7, v6
	s_waitcnt lgkmcnt(0)
	v_add_u32_e32 v6, v5, v6
	ds_write_b32 v36, v6 offset:64
.LBB2237_41:
	s_or_b64 exec, exec, s[64:65]
	s_xor_b64 s[62:63], s[62:63], -1
	v_cndmask_b32_e64 v47, 0, 1, s[62:63]
	v_lshrrev_b32_e32 v6, s84, v47
	v_and_b32_e32 v6, s91, v6
	s_movk_i32 s68, 0x44
	v_mad_u32_u24 v7, v6, s68, v48
	; wave barrier
	ds_read_b32 v14, v7 offset:64
	v_mov_b32_e32 v7, 0
	v_cmp_ne_u32_e64 s[62:63], 0, v6
	v_lshl_add_u64 v[8:9], v[6:7], 0, -1
	v_mul_u32_u24_e32 v17, 0x44, v6
	v_xor_b32_e32 v8, s62, v8
	v_xor_b32_e32 v6, s63, v9
	v_and_b32_e32 v8, exec_lo, v8
	v_and_b32_e32 v9, exec_hi, v6
	v_mbcnt_lo_u32_b32 v6, v8, 0
	v_mbcnt_hi_u32_b32 v15, v9, v6
	v_cmp_eq_u32_e64 s[62:63], 0, v15
	v_cmp_ne_u64_e64 s[64:65], 0, v[8:9]
	s_and_b64 s[64:65], s[64:65], s[62:63]
	v_add_u32_e32 v49, v48, v17
	; wave barrier
	s_and_saveexec_b64 s[62:63], s[64:65]
	s_cbranch_execz .LBB2237_43
; %bb.42:
	v_bcnt_u32_b32 v6, v8, 0
	v_bcnt_u32_b32 v6, v9, v6
	s_waitcnt lgkmcnt(0)
	v_add_u32_e32 v6, v14, v6
	ds_write_b32 v49, v6 offset:64
.LBB2237_43:
	s_or_b64 exec, exec, s[62:63]
	s_xor_b64 s[60:61], s[60:61], -1
	v_cndmask_b32_e64 v54, 0, 1, s[60:61]
	v_lshrrev_b32_e32 v6, s84, v54
	v_and_b32_e32 v6, s91, v6
	v_mul_u32_u24_e32 v8, 0x44, v6
	v_mad_u32_u24 v9, v6, s68, v48
	v_cmp_ne_u32_e64 s[60:61], 0, v6
	v_lshl_add_u64 v[6:7], v[6:7], 0, -1
	s_nop 0
	v_xor_b32_e32 v6, s60, v6
	; wave barrier
	ds_read_b32 v17, v9 offset:64
	v_xor_b32_e32 v7, s61, v7
	v_and_b32_e32 v6, exec_lo, v6
	v_and_b32_e32 v7, exec_hi, v7
	v_mbcnt_lo_u32_b32 v9, v6, 0
	v_mbcnt_hi_u32_b32 v18, v7, v9
	v_cmp_eq_u32_e64 s[60:61], 0, v18
	v_cmp_ne_u64_e64 s[62:63], 0, v[6:7]
	s_and_b64 s[62:63], s[62:63], s[60:61]
	v_add_u32_e32 v50, v48, v8
	; wave barrier
	s_and_saveexec_b64 s[60:61], s[62:63]
	s_cbranch_execz .LBB2237_45
; %bb.44:
	v_bcnt_u32_b32 v6, v6, 0
	v_bcnt_u32_b32 v6, v7, v6
	s_waitcnt lgkmcnt(0)
	v_add_u32_e32 v6, v17, v6
	ds_write_b32 v50, v6 offset:64
.LBB2237_45:
	s_or_b64 exec, exec, s[60:61]
	s_xor_b64 s[58:59], s[58:59], -1
	v_cndmask_b32_e64 v64, 0, 1, s[58:59]
	v_lshrrev_b32_e32 v6, s84, v64
	v_and_b32_e32 v6, s91, v6
	s_movk_i32 s62, 0x44
	v_mad_u32_u24 v7, v6, s62, v48
	; wave barrier
	ds_read_b32 v19, v7 offset:64
	v_mov_b32_e32 v7, 0
	v_cmp_ne_u32_e64 s[58:59], 0, v6
	v_lshl_add_u64 v[8:9], v[6:7], 0, -1
	v_mul_u32_u24_e32 v21, 0x44, v6
	v_xor_b32_e32 v8, s58, v8
	v_xor_b32_e32 v6, s59, v9
	v_and_b32_e32 v8, exec_lo, v8
	v_and_b32_e32 v9, exec_hi, v6
	v_mbcnt_lo_u32_b32 v6, v8, 0
	v_mbcnt_hi_u32_b32 v20, v9, v6
	v_cmp_eq_u32_e64 s[58:59], 0, v20
	v_cmp_ne_u64_e64 s[60:61], 0, v[8:9]
	s_and_b64 s[60:61], s[60:61], s[58:59]
	v_add_u32_e32 v51, v48, v21
	; wave barrier
	s_and_saveexec_b64 s[58:59], s[60:61]
	s_cbranch_execz .LBB2237_47
; %bb.46:
	v_bcnt_u32_b32 v6, v8, 0
	v_bcnt_u32_b32 v6, v9, v6
	s_waitcnt lgkmcnt(0)
	v_add_u32_e32 v6, v19, v6
	ds_write_b32 v51, v6 offset:64
.LBB2237_47:
	s_or_b64 exec, exec, s[58:59]
	s_xor_b64 s[56:57], s[56:57], -1
	v_cndmask_b32_e64 v80, 0, 1, s[56:57]
	v_lshrrev_b32_e32 v6, s84, v80
	v_and_b32_e32 v6, s91, v6
	v_mul_u32_u24_e32 v8, 0x44, v6
	v_mad_u32_u24 v9, v6, s62, v48
	v_cmp_ne_u32_e64 s[56:57], 0, v6
	v_lshl_add_u64 v[6:7], v[6:7], 0, -1
	s_nop 0
	v_xor_b32_e32 v6, s56, v6
	; wave barrier
	ds_read_b32 v21, v9 offset:64
	v_xor_b32_e32 v7, s57, v7
	v_and_b32_e32 v6, exec_lo, v6
	v_and_b32_e32 v7, exec_hi, v7
	v_mbcnt_lo_u32_b32 v9, v6, 0
	v_mbcnt_hi_u32_b32 v22, v7, v9
	v_cmp_eq_u32_e64 s[56:57], 0, v22
	v_cmp_ne_u64_e64 s[58:59], 0, v[6:7]
	s_and_b64 s[58:59], s[58:59], s[56:57]
	v_add_u32_e32 v52, v48, v8
	; wave barrier
	s_and_saveexec_b64 s[56:57], s[58:59]
	s_cbranch_execz .LBB2237_49
; %bb.48:
	v_bcnt_u32_b32 v6, v6, 0
	v_bcnt_u32_b32 v6, v7, v6
	s_waitcnt lgkmcnt(0)
	v_add_u32_e32 v6, v21, v6
	ds_write_b32 v52, v6 offset:64
.LBB2237_49:
	s_or_b64 exec, exec, s[56:57]
	s_xor_b64 s[54:55], s[54:55], -1
	v_cndmask_b32_e64 v81, 0, 1, s[54:55]
	v_lshrrev_b32_e32 v6, s84, v81
	v_and_b32_e32 v6, s91, v6
	s_movk_i32 s58, 0x44
	v_mad_u32_u24 v7, v6, s58, v48
	; wave barrier
	ds_read_b32 v23, v7 offset:64
	v_mov_b32_e32 v7, 0
	v_cmp_ne_u32_e64 s[54:55], 0, v6
	v_lshl_add_u64 v[8:9], v[6:7], 0, -1
	v_mul_u32_u24_e32 v25, 0x44, v6
	v_xor_b32_e32 v8, s54, v8
	v_xor_b32_e32 v6, s55, v9
	v_and_b32_e32 v8, exec_lo, v8
	v_and_b32_e32 v9, exec_hi, v6
	v_mbcnt_lo_u32_b32 v6, v8, 0
	v_mbcnt_hi_u32_b32 v24, v9, v6
	v_cmp_eq_u32_e64 s[54:55], 0, v24
	v_cmp_ne_u64_e64 s[56:57], 0, v[8:9]
	s_and_b64 s[56:57], s[56:57], s[54:55]
	v_add_u32_e32 v53, v48, v25
	; wave barrier
	s_and_saveexec_b64 s[54:55], s[56:57]
	s_cbranch_execz .LBB2237_51
; %bb.50:
	v_bcnt_u32_b32 v6, v8, 0
	v_bcnt_u32_b32 v6, v9, v6
	s_waitcnt lgkmcnt(0)
	v_add_u32_e32 v6, v23, v6
	ds_write_b32 v53, v6 offset:64
.LBB2237_51:
	s_or_b64 exec, exec, s[54:55]
	s_xor_b64 s[52:53], s[52:53], -1
	v_cndmask_b32_e64 v82, 0, 1, s[52:53]
	v_lshrrev_b32_e32 v6, s84, v82
	v_and_b32_e32 v6, s91, v6
	v_mul_u32_u24_e32 v8, 0x44, v6
	v_mad_u32_u24 v9, v6, s58, v48
	v_cmp_ne_u32_e64 s[52:53], 0, v6
	v_lshl_add_u64 v[6:7], v[6:7], 0, -1
	s_nop 0
	v_xor_b32_e32 v6, s52, v6
	; wave barrier
	ds_read_b32 v25, v9 offset:64
	v_xor_b32_e32 v7, s53, v7
	v_and_b32_e32 v6, exec_lo, v6
	v_and_b32_e32 v7, exec_hi, v7
	v_mbcnt_lo_u32_b32 v9, v6, 0
	v_mbcnt_hi_u32_b32 v26, v7, v9
	v_cmp_eq_u32_e64 s[52:53], 0, v26
	v_cmp_ne_u64_e64 s[54:55], 0, v[6:7]
	s_and_b64 s[54:55], s[54:55], s[52:53]
	v_add_u32_e32 v55, v48, v8
	; wave barrier
	s_and_saveexec_b64 s[52:53], s[54:55]
	s_cbranch_execz .LBB2237_53
; %bb.52:
	v_bcnt_u32_b32 v6, v6, 0
	v_bcnt_u32_b32 v6, v7, v6
	s_waitcnt lgkmcnt(0)
	v_add_u32_e32 v6, v25, v6
	ds_write_b32 v55, v6 offset:64
.LBB2237_53:
	s_or_b64 exec, exec, s[52:53]
	s_xor_b64 s[50:51], s[50:51], -1
	v_cndmask_b32_e64 v83, 0, 1, s[50:51]
	v_lshrrev_b32_e32 v6, s84, v83
	v_and_b32_e32 v6, s91, v6
	s_movk_i32 s54, 0x44
	v_mad_u32_u24 v7, v6, s54, v48
	; wave barrier
	ds_read_b32 v27, v7 offset:64
	v_mov_b32_e32 v7, 0
	v_cmp_ne_u32_e64 s[50:51], 0, v6
	v_lshl_add_u64 v[8:9], v[6:7], 0, -1
	v_mul_u32_u24_e32 v29, 0x44, v6
	v_xor_b32_e32 v8, s50, v8
	v_xor_b32_e32 v6, s51, v9
	v_and_b32_e32 v8, exec_lo, v8
	v_and_b32_e32 v9, exec_hi, v6
	v_mbcnt_lo_u32_b32 v6, v8, 0
	v_mbcnt_hi_u32_b32 v28, v9, v6
	v_cmp_eq_u32_e64 s[50:51], 0, v28
	v_cmp_ne_u64_e64 s[52:53], 0, v[8:9]
	s_and_b64 s[52:53], s[52:53], s[50:51]
	v_add_u32_e32 v56, v48, v29
	; wave barrier
	s_and_saveexec_b64 s[50:51], s[52:53]
	s_cbranch_execz .LBB2237_55
; %bb.54:
	v_bcnt_u32_b32 v6, v8, 0
	v_bcnt_u32_b32 v6, v9, v6
	s_waitcnt lgkmcnt(0)
	v_add_u32_e32 v6, v27, v6
	ds_write_b32 v56, v6 offset:64
.LBB2237_55:
	s_or_b64 exec, exec, s[50:51]
	s_xor_b64 s[48:49], s[48:49], -1
	v_cndmask_b32_e64 v84, 0, 1, s[48:49]
	v_lshrrev_b32_e32 v6, s84, v84
	v_and_b32_e32 v6, s91, v6
	v_mul_u32_u24_e32 v8, 0x44, v6
	v_mad_u32_u24 v9, v6, s54, v48
	v_cmp_ne_u32_e64 s[48:49], 0, v6
	v_lshl_add_u64 v[6:7], v[6:7], 0, -1
	s_nop 0
	v_xor_b32_e32 v6, s48, v6
	; wave barrier
	ds_read_b32 v29, v9 offset:64
	v_xor_b32_e32 v7, s49, v7
	v_and_b32_e32 v6, exec_lo, v6
	v_and_b32_e32 v7, exec_hi, v7
	v_mbcnt_lo_u32_b32 v9, v6, 0
	v_mbcnt_hi_u32_b32 v30, v7, v9
	v_cmp_eq_u32_e64 s[48:49], 0, v30
	v_cmp_ne_u64_e64 s[50:51], 0, v[6:7]
	s_and_b64 s[50:51], s[50:51], s[48:49]
	v_add_u32_e32 v57, v48, v8
	; wave barrier
	s_and_saveexec_b64 s[48:49], s[50:51]
	s_cbranch_execz .LBB2237_57
; %bb.56:
	v_bcnt_u32_b32 v6, v6, 0
	v_bcnt_u32_b32 v6, v7, v6
	s_waitcnt lgkmcnt(0)
	v_add_u32_e32 v6, v29, v6
	ds_write_b32 v57, v6 offset:64
.LBB2237_57:
	s_or_b64 exec, exec, s[48:49]
	s_xor_b64 s[46:47], s[46:47], -1
	v_cndmask_b32_e64 v85, 0, 1, s[46:47]
	v_lshrrev_b32_e32 v6, s84, v85
	v_and_b32_e32 v6, s91, v6
	s_movk_i32 s50, 0x44
	v_mad_u32_u24 v7, v6, s50, v48
	; wave barrier
	ds_read_b32 v31, v7 offset:64
	v_mov_b32_e32 v7, 0
	v_cmp_ne_u32_e64 s[46:47], 0, v6
	v_lshl_add_u64 v[8:9], v[6:7], 0, -1
	v_mul_u32_u24_e32 v33, 0x44, v6
	v_xor_b32_e32 v8, s46, v8
	v_xor_b32_e32 v6, s47, v9
	v_and_b32_e32 v8, exec_lo, v8
	v_and_b32_e32 v9, exec_hi, v6
	v_mbcnt_lo_u32_b32 v6, v8, 0
	v_mbcnt_hi_u32_b32 v32, v9, v6
	v_cmp_eq_u32_e64 s[46:47], 0, v32
	v_cmp_ne_u64_e64 s[48:49], 0, v[8:9]
	s_and_b64 s[48:49], s[48:49], s[46:47]
	v_add_u32_e32 v58, v48, v33
	; wave barrier
	s_and_saveexec_b64 s[46:47], s[48:49]
	s_cbranch_execz .LBB2237_59
; %bb.58:
	v_bcnt_u32_b32 v6, v8, 0
	v_bcnt_u32_b32 v6, v9, v6
	s_waitcnt lgkmcnt(0)
	v_add_u32_e32 v6, v31, v6
	ds_write_b32 v58, v6 offset:64
.LBB2237_59:
	s_or_b64 exec, exec, s[46:47]
	s_xor_b64 s[44:45], s[44:45], -1
	v_cndmask_b32_e64 v86, 0, 1, s[44:45]
	v_lshrrev_b32_e32 v6, s84, v86
	v_and_b32_e32 v6, s91, v6
	v_mul_u32_u24_e32 v8, 0x44, v6
	v_mad_u32_u24 v9, v6, s50, v48
	v_cmp_ne_u32_e64 s[44:45], 0, v6
	v_lshl_add_u64 v[6:7], v[6:7], 0, -1
	s_nop 0
	v_xor_b32_e32 v6, s44, v6
	; wave barrier
	ds_read_b32 v33, v9 offset:64
	v_xor_b32_e32 v7, s45, v7
	v_and_b32_e32 v6, exec_lo, v6
	v_and_b32_e32 v7, exec_hi, v7
	v_mbcnt_lo_u32_b32 v9, v6, 0
	v_mbcnt_hi_u32_b32 v35, v7, v9
	v_cmp_eq_u32_e64 s[44:45], 0, v35
	v_cmp_ne_u64_e64 s[46:47], 0, v[6:7]
	s_and_b64 s[46:47], s[46:47], s[44:45]
	v_add_u32_e32 v59, v48, v8
	; wave barrier
	s_and_saveexec_b64 s[44:45], s[46:47]
	s_cbranch_execz .LBB2237_61
; %bb.60:
	v_bcnt_u32_b32 v6, v6, 0
	v_bcnt_u32_b32 v6, v7, v6
	s_waitcnt lgkmcnt(0)
	v_add_u32_e32 v6, v33, v6
	ds_write_b32 v59, v6 offset:64
.LBB2237_61:
	s_or_b64 exec, exec, s[44:45]
	s_xor_b64 s[42:43], s[42:43], -1
	v_cndmask_b32_e64 v87, 0, 1, s[42:43]
	v_lshrrev_b32_e32 v6, s84, v87
	v_and_b32_e32 v6, s91, v6
	s_movk_i32 s46, 0x44
	v_mad_u32_u24 v7, v6, s46, v48
	; wave barrier
	ds_read_b32 v37, v7 offset:64
	v_mov_b32_e32 v7, 0
	v_cmp_ne_u32_e64 s[42:43], 0, v6
	v_lshl_add_u64 v[8:9], v[6:7], 0, -1
	v_mul_u32_u24_e32 v41, 0x44, v6
	v_xor_b32_e32 v8, s42, v8
	v_xor_b32_e32 v6, s43, v9
	v_and_b32_e32 v8, exec_lo, v8
	v_and_b32_e32 v9, exec_hi, v6
	v_mbcnt_lo_u32_b32 v6, v8, 0
	v_mbcnt_hi_u32_b32 v39, v9, v6
	v_cmp_eq_u32_e64 s[42:43], 0, v39
	v_cmp_ne_u64_e64 s[44:45], 0, v[8:9]
	s_and_b64 s[44:45], s[44:45], s[42:43]
	v_add_u32_e32 v60, v48, v41
	; wave barrier
	s_and_saveexec_b64 s[42:43], s[44:45]
	s_cbranch_execz .LBB2237_63
; %bb.62:
	v_bcnt_u32_b32 v6, v8, 0
	v_bcnt_u32_b32 v6, v9, v6
	s_waitcnt lgkmcnt(0)
	v_add_u32_e32 v6, v37, v6
	ds_write_b32 v60, v6 offset:64
.LBB2237_63:
	s_or_b64 exec, exec, s[42:43]
	s_xor_b64 s[40:41], s[40:41], -1
	v_cndmask_b32_e64 v88, 0, 1, s[40:41]
	v_lshrrev_b32_e32 v6, s84, v88
	v_and_b32_e32 v6, s91, v6
	v_mul_u32_u24_e32 v8, 0x44, v6
	v_mad_u32_u24 v9, v6, s46, v48
	v_cmp_ne_u32_e64 s[40:41], 0, v6
	v_lshl_add_u64 v[6:7], v[6:7], 0, -1
	s_nop 0
	v_xor_b32_e32 v6, s40, v6
	; wave barrier
	ds_read_b32 v41, v9 offset:64
	v_xor_b32_e32 v7, s41, v7
	v_and_b32_e32 v6, exec_lo, v6
	v_and_b32_e32 v7, exec_hi, v7
	v_mbcnt_lo_u32_b32 v9, v6, 0
	v_mbcnt_hi_u32_b32 v42, v7, v9
	v_cmp_eq_u32_e64 s[40:41], 0, v42
	v_cmp_ne_u64_e64 s[42:43], 0, v[6:7]
	s_and_b64 s[42:43], s[42:43], s[40:41]
	v_add_u32_e32 v61, v48, v8
	; wave barrier
	s_and_saveexec_b64 s[40:41], s[42:43]
	s_cbranch_execz .LBB2237_65
; %bb.64:
	v_bcnt_u32_b32 v6, v6, 0
	v_bcnt_u32_b32 v6, v7, v6
	s_waitcnt lgkmcnt(0)
	v_add_u32_e32 v6, v41, v6
	ds_write_b32 v61, v6 offset:64
.LBB2237_65:
	s_or_b64 exec, exec, s[40:41]
	s_xor_b64 s[38:39], s[38:39], -1
	v_cndmask_b32_e64 v89, 0, 1, s[38:39]
	v_lshrrev_b32_e32 v6, s84, v89
	v_and_b32_e32 v6, s91, v6
	s_movk_i32 s42, 0x44
	v_mad_u32_u24 v7, v6, s42, v48
	; wave barrier
	ds_read_b32 v43, v7 offset:64
	v_mov_b32_e32 v7, 0
	v_cmp_ne_u32_e64 s[38:39], 0, v6
	v_lshl_add_u64 v[8:9], v[6:7], 0, -1
	v_mul_u32_u24_e32 v45, 0x44, v6
	v_xor_b32_e32 v8, s38, v8
	v_xor_b32_e32 v6, s39, v9
	v_and_b32_e32 v8, exec_lo, v8
	v_and_b32_e32 v9, exec_hi, v6
	v_mbcnt_lo_u32_b32 v6, v8, 0
	v_mbcnt_hi_u32_b32 v44, v9, v6
	v_cmp_eq_u32_e64 s[38:39], 0, v44
	v_cmp_ne_u64_e64 s[40:41], 0, v[8:9]
	s_and_b64 s[40:41], s[40:41], s[38:39]
	v_add_u32_e32 v62, v48, v45
	; wave barrier
	s_and_saveexec_b64 s[38:39], s[40:41]
	s_cbranch_execz .LBB2237_67
; %bb.66:
	v_bcnt_u32_b32 v6, v8, 0
	v_bcnt_u32_b32 v6, v9, v6
	s_waitcnt lgkmcnt(0)
	v_add_u32_e32 v6, v43, v6
	ds_write_b32 v62, v6 offset:64
.LBB2237_67:
	s_or_b64 exec, exec, s[38:39]
	s_xor_b64 s[36:37], s[36:37], -1
	v_cndmask_b32_e64 v90, 0, 1, s[36:37]
	v_lshrrev_b32_e32 v6, s84, v90
	v_and_b32_e32 v6, s91, v6
	v_mul_u32_u24_e32 v8, 0x44, v6
	v_mad_u32_u24 v9, v6, s42, v48
	v_cmp_ne_u32_e64 s[36:37], 0, v6
	v_lshl_add_u64 v[6:7], v[6:7], 0, -1
	s_nop 0
	v_xor_b32_e32 v6, s36, v6
	; wave barrier
	ds_read_b32 v45, v9 offset:64
	v_xor_b32_e32 v7, s37, v7
	v_and_b32_e32 v6, exec_lo, v6
	v_and_b32_e32 v7, exec_hi, v7
	v_mbcnt_lo_u32_b32 v9, v6, 0
	v_mbcnt_hi_u32_b32 v46, v7, v9
	v_cmp_eq_u32_e64 s[36:37], 0, v46
	v_cmp_ne_u64_e64 s[38:39], 0, v[6:7]
	s_and_b64 s[38:39], s[38:39], s[36:37]
	v_add_u32_e32 v63, v48, v8
	; wave barrier
	s_and_saveexec_b64 s[36:37], s[38:39]
	s_cbranch_execz .LBB2237_69
; %bb.68:
	v_bcnt_u32_b32 v6, v6, 0
	v_bcnt_u32_b32 v6, v7, v6
	s_waitcnt lgkmcnt(0)
	v_add_u32_e32 v6, v45, v6
	ds_write_b32 v63, v6 offset:64
.LBB2237_69:
	s_or_b64 exec, exec, s[36:37]
	; wave barrier
	s_waitcnt lgkmcnt(0)
	s_barrier
	ds_read2_b32 v[8:9], v11 offset0:16 offset1:17
	ds_read2_b32 v[6:7], v11 offset0:18 offset1:19
	ds_read_b32 v48, v11 offset:80
	v_cmp_lt_u32_e64 s[44:45], 31, v10
	s_waitcnt lgkmcnt(1)
	v_add3_u32 v65, v9, v8, v6
	s_waitcnt lgkmcnt(0)
	v_add3_u32 v48, v65, v7, v48
	v_and_b32_e32 v65, 15, v10
	v_cmp_eq_u32_e64 s[36:37], 0, v65
	v_mov_b32_dpp v66, v48 row_shr:1 row_mask:0xf bank_mask:0xf
	v_cmp_lt_u32_e64 s[38:39], 1, v65
	v_cndmask_b32_e64 v66, v66, 0, s[36:37]
	v_add_u32_e32 v48, v66, v48
	v_cmp_lt_u32_e64 s[40:41], 3, v65
	v_cmp_lt_u32_e64 s[42:43], 7, v65
	v_mov_b32_dpp v66, v48 row_shr:2 row_mask:0xf bank_mask:0xf
	v_cndmask_b32_e64 v66, 0, v66, s[38:39]
	v_add_u32_e32 v48, v48, v66
	s_nop 1
	v_mov_b32_dpp v66, v48 row_shr:4 row_mask:0xf bank_mask:0xf
	v_cndmask_b32_e64 v66, 0, v66, s[40:41]
	v_add_u32_e32 v48, v48, v66
	s_nop 1
	v_mov_b32_dpp v66, v48 row_shr:8 row_mask:0xf bank_mask:0xf
	v_cndmask_b32_e64 v65, 0, v66, s[42:43]
	v_add_u32_e32 v48, v48, v65
	v_bfe_i32 v66, v10, 4, 1
	s_nop 0
	v_mov_b32_dpp v65, v48 row_bcast:15 row_mask:0xf bank_mask:0xf
	v_and_b32_e32 v65, v66, v65
	v_add_u32_e32 v48, v48, v65
	v_and_b32_e32 v66, 63, v16
	s_nop 0
	v_mov_b32_dpp v65, v48 row_bcast:31 row_mask:0xf bank_mask:0xf
	v_cndmask_b32_e64 v65, 0, v65, s[44:45]
	v_add_u32_e32 v48, v48, v65
	v_lshrrev_b32_e32 v65, 6, v16
	v_cmp_eq_u32_e64 s[44:45], 63, v66
	s_and_saveexec_b64 s[46:47], s[44:45]
; %bb.70:
	v_lshlrev_b32_e32 v66, 2, v65
	ds_write_b32 v66, v48
; %bb.71:
	s_or_b64 exec, exec, s[46:47]
	v_cmp_gt_u32_e64 s[44:45], 16, v16
	s_waitcnt lgkmcnt(0)
	s_barrier
	s_and_saveexec_b64 s[46:47], s[44:45]
	s_cbranch_execz .LBB2237_73
; %bb.72:
	v_lshlrev_b32_e32 v66, 2, v16
	ds_read_b32 v67, v66
	s_waitcnt lgkmcnt(0)
	s_nop 0
	v_mov_b32_dpp v68, v67 row_shr:1 row_mask:0xf bank_mask:0xf
	v_cndmask_b32_e64 v68, v68, 0, s[36:37]
	v_add_u32_e32 v67, v68, v67
	s_nop 1
	v_mov_b32_dpp v68, v67 row_shr:2 row_mask:0xf bank_mask:0xf
	v_cndmask_b32_e64 v68, 0, v68, s[38:39]
	v_add_u32_e32 v67, v67, v68
	;; [unrolled: 4-line block ×4, first 2 shown]
	ds_write_b32 v66, v67
.LBB2237_73:
	s_or_b64 exec, exec, s[46:47]
	v_cmp_lt_u32_e64 s[36:37], 63, v16
	v_mov_b32_e32 v66, 0
	s_waitcnt lgkmcnt(0)
	s_barrier
	s_and_saveexec_b64 s[38:39], s[36:37]
; %bb.74:
	v_lshl_add_u32 v65, v65, 2, -4
	ds_read_b32 v66, v65
; %bb.75:
	s_or_b64 exec, exec, s[38:39]
	v_subrev_co_u32_e64 v65, s[36:37], 1, v10
	v_and_b32_e32 v67, 64, v10
	v_cmp_lt_i32_e64 s[38:39], v65, v67
	s_waitcnt lgkmcnt(0)
	v_add_u32_e32 v48, v66, v48
	s_movk_i32 s40, 0x100
	v_cndmask_b32_e64 v10, v65, v10, s[38:39]
	v_lshlrev_b32_e32 v10, 2, v10
	ds_bpermute_b32 v10, v10, v48
	v_cmp_gt_u32_e64 s[38:39], s40, v16
	s_waitcnt lgkmcnt(0)
	v_cndmask_b32_e64 v10, v10, v66, s[36:37]
	v_cndmask_b32_e64 v10, v10, 0, s[66:67]
	v_add_u32_e32 v8, v10, v8
	v_add_u32_e32 v9, v8, v9
	;; [unrolled: 1-line block ×4, first 2 shown]
	ds_write2_b32 v11, v10, v8 offset0:16 offset1:17
	ds_write2_b32 v11, v9, v6 offset0:18 offset1:19
	ds_write_b32 v11, v7 offset:80
	s_waitcnt lgkmcnt(0)
	s_barrier
	ds_read_b32 v6, v34 offset:64
	ds_read_b32 v48, v36 offset:64
	;; [unrolled: 1-line block ×16, first 2 shown]
	s_movk_i32 s36, 0xff
	v_cmp_lt_u32_e64 s[36:37], s36, v16
                                        ; implicit-def: $vgpr34
                                        ; implicit-def: $vgpr36
	s_and_saveexec_b64 s[42:43], s[38:39]
	s_cbranch_execz .LBB2237_79
; %bb.76:
	v_mul_u32_u24_e32 v7, 0x44, v16
	ds_read_b32 v34, v7 offset:64
	v_add_u32_e32 v8, 1, v16
	v_cmp_ne_u32_e64 s[40:41], s40, v8
	v_mov_b32_e32 v7, 0x4000
	s_and_saveexec_b64 s[44:45], s[40:41]
; %bb.77:
	v_mul_u32_u24_e32 v7, 0x44, v8
	ds_read_b32 v7, v7 offset:64
; %bb.78:
	s_or_b64 exec, exec, s[44:45]
	s_waitcnt lgkmcnt(0)
	v_sub_u32_e32 v36, v7, v34
.LBB2237_79:
	s_or_b64 exec, exec, s[42:43]
	s_waitcnt lgkmcnt(14)
	v_add_u32_e32 v38, v6, v38
	v_add3_u32 v65, v13, v5, v48
	s_waitcnt lgkmcnt(13)
	v_add3_u32 v66, v15, v14, v49
	s_waitcnt lgkmcnt(12)
	;; [unrolled: 2-line block ×14, first 2 shown]
	v_add3_u32 v79, v46, v45, v63
	s_barrier
	ds_write_b8 v38, v3 offset:1024
	ds_write_b8 v65, v40 offset:1024
	;; [unrolled: 1-line block ×16, first 2 shown]
	v_mov_b32_e32 v7, 0
	v_lshlrev_b32_e32 v40, 2, v16
	s_and_saveexec_b64 s[40:41], s[38:39]
	s_cbranch_execz .LBB2237_89
; %bb.80:
	v_lshl_add_u32 v6, s33, 8, v16
	v_lshl_add_u64 v[8:9], v[6:7], 2, s[88:89]
	v_or_b32_e32 v3, 2.0, v36
	global_store_dword v[8:9], v3, off sc1
	s_mov_b64 s[42:43], 0
	s_brev_b32 s48, -4
	s_mov_b32 s49, s33
	v_mov_b32_e32 v3, 0
                                        ; implicit-def: $sgpr38_sgpr39
	s_branch .LBB2237_83
.LBB2237_81:                            ;   in Loop: Header=BB2237_83 Depth=1
	s_or_b64 exec, exec, s[46:47]
.LBB2237_82:                            ;   in Loop: Header=BB2237_83 Depth=1
	s_or_b64 exec, exec, s[44:45]
	v_and_b32_e32 v10, 0x3fffffff, v6
	v_add_u32_e32 v3, v10, v3
	v_cmp_gt_i32_e64 s[38:39], -2.0, v6
	s_and_b64 s[44:45], exec, s[38:39]
	s_or_b64 s[42:43], s[44:45], s[42:43]
	s_andn2_b64 exec, exec, s[42:43]
	s_cbranch_execz .LBB2237_88
.LBB2237_83:                            ; =>This Loop Header: Depth=1
                                        ;     Child Loop BB2237_86 Depth 2
	s_or_b64 s[38:39], s[38:39], exec
	s_cmp_eq_u32 s49, 0
	s_cbranch_scc1 .LBB2237_87
; %bb.84:                               ;   in Loop: Header=BB2237_83 Depth=1
	s_add_i32 s49, s49, -1
	v_lshl_or_b32 v6, s49, 8, v16
	v_lshl_add_u64 v[10:11], v[6:7], 2, s[88:89]
	global_load_dword v6, v[10:11], off sc1
	s_waitcnt vmcnt(0)
	v_cmp_gt_u32_e64 s[38:39], 2.0, v6
	s_and_saveexec_b64 s[44:45], s[38:39]
	s_cbranch_execz .LBB2237_82
; %bb.85:                               ;   in Loop: Header=BB2237_83 Depth=1
	s_mov_b64 s[46:47], 0
.LBB2237_86:                            ;   Parent Loop BB2237_83 Depth=1
                                        ; =>  This Inner Loop Header: Depth=2
	global_load_dword v6, v[10:11], off sc1
	s_waitcnt vmcnt(0)
	v_cmp_lt_u32_e64 s[38:39], s48, v6
	s_or_b64 s[46:47], s[38:39], s[46:47]
	s_andn2_b64 exec, exec, s[46:47]
	s_cbranch_execnz .LBB2237_86
	s_branch .LBB2237_81
.LBB2237_87:                            ;   in Loop: Header=BB2237_83 Depth=1
                                        ; implicit-def: $sgpr49
	s_and_b64 s[44:45], exec, s[38:39]
	s_or_b64 s[42:43], s[44:45], s[42:43]
	s_andn2_b64 exec, exec, s[42:43]
	s_cbranch_execnz .LBB2237_83
.LBB2237_88:
	s_or_b64 exec, exec, s[42:43]
	v_add_u32_e32 v6, v3, v36
	v_or_b32_e32 v6, 0x80000000, v6
	global_store_dword v[8:9], v6, off sc1
	global_load_dword v6, v40, s[80:81]
	v_sub_u32_e32 v3, v3, v34
	s_waitcnt vmcnt(0)
	v_add_u32_e32 v3, v3, v6
	ds_write_b32 v40, v3
.LBB2237_89:
	s_or_b64 exec, exec, s[40:41]
	v_cmp_gt_u32_e64 s[38:39], s3, v16
	s_waitcnt lgkmcnt(0)
	s_barrier
	s_and_saveexec_b64 s[40:41], s[38:39]
	s_cbranch_execz .LBB2237_91
; %bb.90:
	ds_read_u8 v3, v16 offset:1024
	s_waitcnt lgkmcnt(0)
	v_and_b32_e32 v6, 1, v3
	v_lshrrev_b32_e32 v6, s84, v6
	v_and_b32_e32 v6, s91, v6
	v_lshlrev_b32_e32 v7, 2, v6
	ds_read_b32 v7, v7
	v_xor_b32_e32 v3, 1, v3
	s_waitcnt lgkmcnt(0)
	v_add_u32_e32 v7, v7, v16
	global_store_byte v7, v3, s[74:75]
	scratch_store_dword off, v6, off
.LBB2237_91:
	s_or_b64 exec, exec, s[40:41]
	v_or_b32_e32 v3, 0x400, v16
	v_cmp_gt_u32_e64 s[38:39], s3, v3
	s_and_saveexec_b64 s[40:41], s[38:39]
	s_cbranch_execz .LBB2237_93
; %bb.92:
	ds_read_u8 v6, v16 offset:2048
	s_waitcnt lgkmcnt(0)
	v_and_b32_e32 v7, 1, v6
	v_lshrrev_b32_e32 v7, s84, v7
	v_and_b32_e32 v7, s91, v7
	v_lshlrev_b32_e32 v8, 2, v7
	ds_read_b32 v8, v8
	v_xor_b32_e32 v6, 1, v6
	s_waitcnt lgkmcnt(0)
	v_add_u32_e32 v3, v8, v3
	global_store_byte v3, v6, s[74:75]
	scratch_store_dword off, v7, off offset:4
.LBB2237_93:
	s_or_b64 exec, exec, s[40:41]
	v_or_b32_e32 v3, 0x800, v16
	v_cmp_gt_u32_e64 s[38:39], s3, v3
	s_and_saveexec_b64 s[40:41], s[38:39]
	s_cbranch_execz .LBB2237_95
; %bb.94:
	ds_read_u8 v6, v16 offset:3072
	s_waitcnt lgkmcnt(0)
	v_and_b32_e32 v7, 1, v6
	v_lshrrev_b32_e32 v7, s84, v7
	v_and_b32_e32 v7, s91, v7
	v_lshlrev_b32_e32 v8, 2, v7
	ds_read_b32 v8, v8
	v_xor_b32_e32 v6, 1, v6
	s_waitcnt lgkmcnt(0)
	v_add_u32_e32 v3, v8, v3
	global_store_byte v3, v6, s[74:75]
	scratch_store_dword off, v7, off offset:8
.LBB2237_95:
	;; [unrolled: 19-line block ×15, first 2 shown]
	s_or_b64 exec, exec, s[40:41]
	s_lshl_b64 s[38:39], s[86:87], 2
	s_add_u32 s38, s76, s38
	s_addc_u32 s39, s77, s39
	v_lshlrev_b32_e32 v2, 2, v2
	v_mov_b32_e32 v3, 0
	v_lshl_add_u64 v[6:7], s[38:39], 0, v[2:3]
	v_lshlrev_b32_e32 v2, 2, v4
	v_lshl_add_u64 v[2:3], v[6:7], 0, v[2:3]
                                        ; implicit-def: $vgpr4
	s_and_saveexec_b64 s[38:39], vcc
	s_xor_b64 s[38:39], exec, s[38:39]
	s_cbranch_execz .LBB2237_137
; %bb.122:
	global_load_dword v4, v[2:3], off
	s_or_b64 exec, exec, s[38:39]
                                        ; implicit-def: $vgpr6
	s_and_saveexec_b64 s[38:39], s[4:5]
	s_cbranch_execnz .LBB2237_138
.LBB2237_123:
	s_or_b64 exec, exec, s[38:39]
                                        ; implicit-def: $vgpr7
	s_and_saveexec_b64 s[4:5], s[6:7]
	s_cbranch_execz .LBB2237_139
.LBB2237_124:
	global_load_dword v7, v[2:3], off offset:512
	s_or_b64 exec, exec, s[4:5]
                                        ; implicit-def: $vgpr8
	s_and_saveexec_b64 s[4:5], s[8:9]
	s_cbranch_execnz .LBB2237_140
.LBB2237_125:
	s_or_b64 exec, exec, s[4:5]
                                        ; implicit-def: $vgpr9
	s_and_saveexec_b64 s[4:5], s[10:11]
	s_cbranch_execz .LBB2237_141
.LBB2237_126:
	global_load_dword v9, v[2:3], off offset:1024
	s_or_b64 exec, exec, s[4:5]
                                        ; implicit-def: $vgpr10
	s_and_saveexec_b64 s[4:5], s[12:13]
	s_cbranch_execnz .LBB2237_142
.LBB2237_127:
	s_or_b64 exec, exec, s[4:5]
                                        ; implicit-def: $vgpr11
	s_and_saveexec_b64 s[4:5], s[14:15]
	s_cbranch_execz .LBB2237_143
.LBB2237_128:
	global_load_dword v11, v[2:3], off offset:1536
	s_or_b64 exec, exec, s[4:5]
                                        ; implicit-def: $vgpr47
	s_and_saveexec_b64 s[4:5], s[16:17]
	s_cbranch_execnz .LBB2237_144
.LBB2237_129:
	s_or_b64 exec, exec, s[4:5]
                                        ; implicit-def: $vgpr54
	s_and_saveexec_b64 s[4:5], s[18:19]
	s_cbranch_execz .LBB2237_145
.LBB2237_130:
	global_load_dword v54, v[2:3], off offset:2048
	s_or_b64 exec, exec, s[4:5]
                                        ; implicit-def: $vgpr64
	s_and_saveexec_b64 s[4:5], s[20:21]
	s_cbranch_execnz .LBB2237_146
.LBB2237_131:
	s_or_b64 exec, exec, s[4:5]
                                        ; implicit-def: $vgpr80
	s_and_saveexec_b64 s[4:5], s[22:23]
	s_cbranch_execz .LBB2237_147
.LBB2237_132:
	global_load_dword v80, v[2:3], off offset:2560
	s_or_b64 exec, exec, s[4:5]
                                        ; implicit-def: $vgpr81
	s_and_saveexec_b64 s[4:5], s[24:25]
	s_cbranch_execnz .LBB2237_148
.LBB2237_133:
	s_or_b64 exec, exec, s[4:5]
                                        ; implicit-def: $vgpr82
	s_and_saveexec_b64 s[4:5], s[26:27]
	s_cbranch_execz .LBB2237_149
.LBB2237_134:
	global_load_dword v82, v[2:3], off offset:3072
	s_or_b64 exec, exec, s[4:5]
                                        ; implicit-def: $vgpr83
	s_and_saveexec_b64 s[4:5], s[28:29]
	s_cbranch_execnz .LBB2237_150
.LBB2237_135:
	s_or_b64 exec, exec, s[4:5]
                                        ; implicit-def: $vgpr84
	s_and_saveexec_b64 s[4:5], s[30:31]
	s_cbranch_execz .LBB2237_151
.LBB2237_136:
	global_load_dword v84, v[2:3], off offset:3584
	s_or_b64 exec, exec, s[4:5]
                                        ; implicit-def: $vgpr85
	s_and_saveexec_b64 s[4:5], s[34:35]
	s_cbranch_execnz .LBB2237_152
	s_branch .LBB2237_153
.LBB2237_137:
	s_or_b64 exec, exec, s[38:39]
                                        ; implicit-def: $vgpr6
	s_and_saveexec_b64 s[38:39], s[4:5]
	s_cbranch_execz .LBB2237_123
.LBB2237_138:
	global_load_dword v6, v[2:3], off offset:256
	s_or_b64 exec, exec, s[38:39]
                                        ; implicit-def: $vgpr7
	s_and_saveexec_b64 s[4:5], s[6:7]
	s_cbranch_execnz .LBB2237_124
.LBB2237_139:
	s_or_b64 exec, exec, s[4:5]
                                        ; implicit-def: $vgpr8
	s_and_saveexec_b64 s[4:5], s[8:9]
	s_cbranch_execz .LBB2237_125
.LBB2237_140:
	global_load_dword v8, v[2:3], off offset:768
	s_or_b64 exec, exec, s[4:5]
                                        ; implicit-def: $vgpr9
	s_and_saveexec_b64 s[4:5], s[10:11]
	s_cbranch_execnz .LBB2237_126
.LBB2237_141:
	s_or_b64 exec, exec, s[4:5]
                                        ; implicit-def: $vgpr10
	s_and_saveexec_b64 s[4:5], s[12:13]
	s_cbranch_execz .LBB2237_127
.LBB2237_142:
	global_load_dword v10, v[2:3], off offset:1280
	s_or_b64 exec, exec, s[4:5]
                                        ; implicit-def: $vgpr11
	s_and_saveexec_b64 s[4:5], s[14:15]
	s_cbranch_execnz .LBB2237_128
.LBB2237_143:
	s_or_b64 exec, exec, s[4:5]
                                        ; implicit-def: $vgpr47
	s_and_saveexec_b64 s[4:5], s[16:17]
	s_cbranch_execz .LBB2237_129
.LBB2237_144:
	global_load_dword v47, v[2:3], off offset:1792
	s_or_b64 exec, exec, s[4:5]
                                        ; implicit-def: $vgpr54
	s_and_saveexec_b64 s[4:5], s[18:19]
	s_cbranch_execnz .LBB2237_130
.LBB2237_145:
	s_or_b64 exec, exec, s[4:5]
                                        ; implicit-def: $vgpr64
	s_and_saveexec_b64 s[4:5], s[20:21]
	s_cbranch_execz .LBB2237_131
.LBB2237_146:
	global_load_dword v64, v[2:3], off offset:2304
	s_or_b64 exec, exec, s[4:5]
                                        ; implicit-def: $vgpr80
	s_and_saveexec_b64 s[4:5], s[22:23]
	s_cbranch_execnz .LBB2237_132
.LBB2237_147:
	s_or_b64 exec, exec, s[4:5]
                                        ; implicit-def: $vgpr81
	s_and_saveexec_b64 s[4:5], s[24:25]
	s_cbranch_execz .LBB2237_133
.LBB2237_148:
	global_load_dword v81, v[2:3], off offset:2816
	s_or_b64 exec, exec, s[4:5]
                                        ; implicit-def: $vgpr82
	s_and_saveexec_b64 s[4:5], s[26:27]
	s_cbranch_execnz .LBB2237_134
.LBB2237_149:
	s_or_b64 exec, exec, s[4:5]
                                        ; implicit-def: $vgpr83
	s_and_saveexec_b64 s[4:5], s[28:29]
	s_cbranch_execz .LBB2237_135
.LBB2237_150:
	global_load_dword v83, v[2:3], off offset:3328
	s_or_b64 exec, exec, s[4:5]
                                        ; implicit-def: $vgpr84
	s_and_saveexec_b64 s[4:5], s[30:31]
	s_cbranch_execnz .LBB2237_136
.LBB2237_151:
	s_or_b64 exec, exec, s[4:5]
                                        ; implicit-def: $vgpr85
	s_and_saveexec_b64 s[4:5], s[34:35]
	s_cbranch_execz .LBB2237_153
.LBB2237_152:
	global_load_dword v85, v[2:3], off offset:3840
.LBB2237_153:
	s_or_b64 exec, exec, s[4:5]
	v_mov_b32_e32 v2, 0x400
	s_movk_i32 s6, 0x400
	v_lshl_add_u32 v79, v79, 2, v2
	v_add3_u32 v45, v46, v63, v45
	v_lshl_add_u32 v46, v78, 2, v2
	v_add3_u32 v43, v44, v62, v43
	;; [unrolled: 2-line block ×15, first 2 shown]
	v_lshl_add_u32 v13, v38, 2, v2
	s_mov_b32 s7, 0
	s_mov_b32 s8, 0
	s_movk_i32 s9, 0x1000
	v_mov_b32_e32 v3, 0
	s_movk_i32 s10, 0x800
	s_movk_i32 s11, 0xc00
	s_mov_b32 s12, 0
	v_mov_b32_e32 v48, v16
	s_barrier
	s_branch .LBB2237_155
.LBB2237_154:                           ;   in Loop: Header=BB2237_155 Depth=1
	s_or_b64 exec, exec, s[4:5]
	s_addk_i32 s12, 0xc000
	s_addk_i32 s8, 0xf000
	s_add_i32 s7, s7, 16
	s_cmp_eq_u32 s12, 0xffff0000
	v_add_u32_e32 v48, 0x1000, v48
	s_barrier
	s_cbranch_scc1 .LBB2237_195
.LBB2237_155:                           ; =>This Inner Loop Header: Depth=1
	v_add_u32_e32 v2, s8, v38
	v_cmp_gt_u32_e32 vcc, s9, v2
	s_and_saveexec_b64 s[4:5], vcc
	s_cbranch_execz .LBB2237_157
; %bb.156:                              ;   in Loop: Header=BB2237_155 Depth=1
	v_add_u32_e32 v2, s12, v13
	s_waitcnt vmcnt(0)
	ds_write_b32 v2, v4
.LBB2237_157:                           ;   in Loop: Header=BB2237_155 Depth=1
	s_or_b64 exec, exec, s[4:5]
	v_add_u32_e32 v2, s8, v5
	v_cmp_gt_u32_e32 vcc, s9, v2
	s_and_saveexec_b64 s[4:5], vcc
	s_cbranch_execz .LBB2237_159
; %bb.158:                              ;   in Loop: Header=BB2237_155 Depth=1
	v_add_u32_e32 v2, s12, v15
	s_waitcnt vmcnt(0)
	ds_write_b32 v2, v6
.LBB2237_159:                           ;   in Loop: Header=BB2237_155 Depth=1
	s_or_b64 exec, exec, s[4:5]
	;; [unrolled: 10-line block ×16, first 2 shown]
	v_cmp_gt_u32_e32 vcc, s3, v48
	s_waitcnt lgkmcnt(0)
	s_barrier
	s_and_saveexec_b64 s[4:5], vcc
	s_cbranch_execz .LBB2237_189
; %bb.188:                              ;   in Loop: Header=BB2237_155 Depth=1
	scratch_load_dword v2, off, s7
	s_waitcnt vmcnt(0)
	v_lshlrev_b32_e32 v2, 2, v2
	ds_read_b32 v2, v2
	ds_read_b32 v49, v40 offset:1024
	s_waitcnt lgkmcnt(1)
	v_add_u32_e32 v2, v48, v2
	v_lshl_add_u64 v[50:51], v[2:3], 2, s[78:79]
	s_waitcnt lgkmcnt(0)
	global_store_dword v[50:51], v49, off
.LBB2237_189:                           ;   in Loop: Header=BB2237_155 Depth=1
	s_or_b64 exec, exec, s[4:5]
	v_add_u32_e32 v2, 0x400, v48
	v_cmp_gt_u32_e32 vcc, s3, v2
	s_and_saveexec_b64 s[4:5], vcc
	s_cbranch_execz .LBB2237_191
; %bb.190:                              ;   in Loop: Header=BB2237_155 Depth=1
	s_add_i32 s13, s7, 4
	scratch_load_dword v2, off, s13
	s_waitcnt vmcnt(0)
	v_lshlrev_b32_e32 v2, 2, v2
	ds_read_b32 v2, v2
	ds_read_b32 v49, v40 offset:5120
	s_waitcnt lgkmcnt(1)
	v_add3_u32 v2, v48, v2, s6
	v_lshl_add_u64 v[50:51], v[2:3], 2, s[78:79]
	s_waitcnt lgkmcnt(0)
	global_store_dword v[50:51], v49, off
.LBB2237_191:                           ;   in Loop: Header=BB2237_155 Depth=1
	s_or_b64 exec, exec, s[4:5]
	v_add_u32_e32 v2, 0x800, v48
	v_cmp_gt_u32_e32 vcc, s3, v2
	s_and_saveexec_b64 s[4:5], vcc
	s_cbranch_execz .LBB2237_193
; %bb.192:                              ;   in Loop: Header=BB2237_155 Depth=1
	s_add_i32 s13, s7, 8
	scratch_load_dword v2, off, s13
	s_waitcnt vmcnt(0)
	v_lshlrev_b32_e32 v2, 2, v2
	ds_read_b32 v2, v2
	ds_read_b32 v49, v40 offset:9216
	s_waitcnt lgkmcnt(1)
	v_add3_u32 v2, v48, v2, s10
	v_lshl_add_u64 v[50:51], v[2:3], 2, s[78:79]
	s_waitcnt lgkmcnt(0)
	global_store_dword v[50:51], v49, off
.LBB2237_193:                           ;   in Loop: Header=BB2237_155 Depth=1
	s_or_b64 exec, exec, s[4:5]
	v_add_u32_e32 v2, 0xc00, v48
	v_cmp_gt_u32_e32 vcc, s3, v2
	s_and_saveexec_b64 s[4:5], vcc
	s_cbranch_execz .LBB2237_154
; %bb.194:                              ;   in Loop: Header=BB2237_155 Depth=1
	s_add_i32 s13, s7, 12
	scratch_load_dword v2, off, s13
	s_waitcnt vmcnt(0)
	v_lshlrev_b32_e32 v2, 2, v2
	ds_read_b32 v2, v2
	ds_read_b32 v49, v40 offset:13312
	s_waitcnt lgkmcnt(1)
	v_add3_u32 v2, v48, v2, s11
	v_lshl_add_u64 v[50:51], v[2:3], 2, s[78:79]
	s_waitcnt lgkmcnt(0)
	global_store_dword v[50:51], v49, off
	s_branch .LBB2237_154
.LBB2237_195:
	s_add_i32 s90, s90, -1
	s_cmp_eq_u32 s33, s90
	s_cselect_b64 s[4:5], -1, 0
	s_xor_b64 s[6:7], s[36:37], -1
	s_and_b64 s[6:7], s[6:7], s[4:5]
	s_and_saveexec_b64 s[4:5], s[6:7]
	s_cbranch_execz .LBB2237_197
; %bb.196:
	ds_read_b32 v2, v40
	s_waitcnt lgkmcnt(0)
	v_add3_u32 v2, v34, v36, v2
	global_store_dword v40, v2, s[82:83]
.LBB2237_197:
	s_or_b64 exec, exec, s[4:5]
	s_mov_b64 s[4:5], 0
.LBB2237_198:
	s_and_b64 vcc, exec, s[4:5]
	s_cbranch_vccz .LBB2237_287
; %bb.199:
	s_lshl_b32 s8, s33, 14
	s_add_u32 s4, s72, s8
	v_mbcnt_hi_u32_b32 v5, -1, v12
	s_addc_u32 s5, s73, 0
	v_and_b32_e32 v20, 63, v5
	v_mov_b32_e32 v21, 0
	v_and_b32_e32 v18, 0x3c00, v1
	v_lshl_add_u64 v[2:3], s[4:5], 0, v[20:21]
	v_mov_b32_e32 v19, v21
	s_waitcnt vmcnt(0)
	v_lshl_add_u64 v[6:7], v[2:3], 0, v[18:19]
	global_load_ubyte v1, v[6:7], off
	s_load_dword s12, s[0:1], 0x58
	s_load_dword s3, s[0:1], 0x64
	global_load_ubyte v3, v[6:7], off offset:64
	global_load_ubyte v2, v[6:7], off offset:128
	;; [unrolled: 1-line block ×7, first 2 shown]
	v_mov_b32_e32 v11, v21
	s_mov_b32 s9, 0
	v_mul_u32_u24_e32 v8, 20, v16
	s_waitcnt vmcnt(7)
	v_and_b32_e32 v1, 1, v1
	v_cmp_eq_u32_e32 vcc, 1, v1
	s_xor_b64 s[4:5], vcc, -1
	s_add_u32 s0, s0, 0x58
	s_addc_u32 s1, s1, 0
	s_waitcnt lgkmcnt(0)
	s_lshr_b32 s3, s3, 16
	s_cmp_lt_u32 s2, s12
	s_cselect_b32 s2, 12, 18
	s_add_u32 s0, s0, s2
	s_addc_u32 s1, s1, 0
	global_load_ushort v9, v21, s[0:1]
	global_load_ubyte v34, v[6:7], off offset:512
	global_load_ubyte v36, v[6:7], off offset:576
	;; [unrolled: 1-line block ×8, first 2 shown]
	v_cndmask_b32_e64 v4, 0, 1, s[4:5]
	v_lshrrev_b32_e32 v6, s84, v4
	s_lshl_b32 s0, -1, s85
	v_bfe_u32 v1, v0, 10, 10
	v_bfe_u32 v0, v0, 20, 10
	v_bitop3_b32 v10, v6, s0, v6 bitop3:0x30
	v_mad_u32_u24 v7, v0, s3, v1
	v_cmp_ne_u32_e32 vcc, 0, v10
	v_lshl_add_u64 v[0:1], v[10:11], 0, -1
	s_movk_i32 s2, 0x44
	v_xor_b32_e32 v0, vcc_lo, v0
	v_xor_b32_e32 v1, vcc_hi, v1
	v_and_b32_e32 v0, exec_lo, v0
	v_and_b32_e32 v1, exec_hi, v1
	v_mbcnt_lo_u32_b32 v6, v0, 0
	v_mbcnt_hi_u32_b32 v6, v1, v6
	s_not_b32 s13, s0
	v_cmp_ne_u64_e32 vcc, 0, v[0:1]
	v_cmp_eq_u32_e64 s[0:1], 0, v6
	ds_write2_b32 v8, v21, v21 offset0:16 offset1:17
	ds_write2_b32 v8, v21, v21 offset0:18 offset1:19
	ds_write_b32 v8, v21 offset:80
	s_waitcnt lgkmcnt(0)
	s_barrier
	s_waitcnt vmcnt(8)
	; wave barrier
	v_mad_u64_u32 v[22:23], s[4:5], v7, v9, v[16:17]
	v_lshrrev_b32_e32 v7, 6, v22
	v_lshlrev_b32_e32 v44, 2, v7
	v_mad_u32_u24 v10, v10, s2, v44
	s_and_b64 s[4:5], vcc, s[0:1]
	s_and_saveexec_b64 s[0:1], s[4:5]
; %bb.200:
	v_bcnt_u32_b32 v0, v0, 0
	v_bcnt_u32_b32 v0, v1, v0
	ds_write_b32 v10, v0 offset:64
; %bb.201:
	s_or_b64 exec, exec, s[0:1]
	v_and_b32_e32 v0, 1, v3
	v_cmp_eq_u32_e32 vcc, 1, v0
	s_xor_b64 s[0:1], vcc, -1
	v_cndmask_b32_e64 v7, 0, 1, s[0:1]
	v_lshrrev_b32_e32 v0, s84, v7
	v_and_b32_e32 v0, s13, v0
	v_mov_b32_e32 v1, v21
	v_mad_u32_u24 v11, v0, s2, v44
	v_cmp_ne_u32_e32 vcc, 0, v0
	v_lshl_add_u64 v[0:1], v[0:1], 0, -1
	s_nop 0
	v_xor_b32_e32 v0, vcc_lo, v0
	; wave barrier
	ds_read_b32 v17, v11 offset:64
	v_xor_b32_e32 v1, vcc_hi, v1
	v_and_b32_e32 v0, exec_lo, v0
	v_and_b32_e32 v1, exec_hi, v1
	v_mbcnt_lo_u32_b32 v3, v0, 0
	v_mbcnt_hi_u32_b32 v19, v1, v3
	v_cmp_eq_u32_e32 vcc, 0, v19
	v_cmp_ne_u64_e64 s[0:1], 0, v[0:1]
	s_and_b64 s[2:3], s[0:1], vcc
	; wave barrier
	s_and_saveexec_b64 s[0:1], s[2:3]
	s_cbranch_execz .LBB2237_203
; %bb.202:
	v_bcnt_u32_b32 v0, v0, 0
	v_bcnt_u32_b32 v0, v1, v0
	s_waitcnt lgkmcnt(0)
	v_add_u32_e32 v0, v17, v0
	ds_write_b32 v11, v0 offset:64
.LBB2237_203:
	s_or_b64 exec, exec, s[0:1]
	v_and_b32_e32 v0, 1, v2
	v_cmp_eq_u32_e32 vcc, 1, v0
	s_xor_b64 s[0:1], vcc, -1
	v_cndmask_b32_e64 v9, 0, 1, s[0:1]
	v_lshrrev_b32_e32 v0, s84, v9
	v_and_b32_e32 v0, s13, v0
	v_mov_b32_e32 v1, 0
	s_movk_i32 s2, 0x44
	v_cmp_ne_u32_e32 vcc, 0, v0
	v_lshl_add_u64 v[2:3], v[0:1], 0, -1
	v_mad_u32_u24 v14, v0, s2, v44
	v_xor_b32_e32 v2, vcc_lo, v2
	; wave barrier
	ds_read_b32 v22, v14 offset:64
	v_xor_b32_e32 v0, vcc_hi, v3
	v_and_b32_e32 v2, exec_lo, v2
	v_and_b32_e32 v3, exec_hi, v0
	v_mbcnt_lo_u32_b32 v0, v2, 0
	v_mbcnt_hi_u32_b32 v23, v3, v0
	v_cmp_eq_u32_e32 vcc, 0, v23
	v_cmp_ne_u64_e64 s[0:1], 0, v[2:3]
	s_and_b64 s[4:5], s[0:1], vcc
	; wave barrier
	s_and_saveexec_b64 s[0:1], s[4:5]
	s_cbranch_execz .LBB2237_205
; %bb.204:
	v_bcnt_u32_b32 v0, v2, 0
	v_bcnt_u32_b32 v0, v3, v0
	s_waitcnt lgkmcnt(0)
	v_add_u32_e32 v0, v22, v0
	ds_write_b32 v14, v0 offset:64
.LBB2237_205:
	s_or_b64 exec, exec, s[0:1]
	v_and_b32_e32 v0, 1, v12
	v_cmp_eq_u32_e32 vcc, 1, v0
	s_xor_b64 s[0:1], vcc, -1
	v_cndmask_b32_e64 v12, 0, 1, s[0:1]
	v_lshrrev_b32_e32 v0, s84, v12
	v_and_b32_e32 v0, s13, v0
	v_mad_u32_u24 v42, v0, s2, v44
	v_cmp_ne_u32_e32 vcc, 0, v0
	v_lshl_add_u64 v[0:1], v[0:1], 0, -1
	s_nop 0
	v_xor_b32_e32 v0, vcc_lo, v0
	; wave barrier
	ds_read_b32 v24, v42 offset:64
	v_xor_b32_e32 v1, vcc_hi, v1
	v_and_b32_e32 v0, exec_lo, v0
	v_and_b32_e32 v1, exec_hi, v1
	v_mbcnt_lo_u32_b32 v2, v0, 0
	v_mbcnt_hi_u32_b32 v25, v1, v2
	v_cmp_eq_u32_e32 vcc, 0, v25
	v_cmp_ne_u64_e64 s[0:1], 0, v[0:1]
	s_and_b64 s[2:3], s[0:1], vcc
	; wave barrier
	s_and_saveexec_b64 s[0:1], s[2:3]
	s_cbranch_execz .LBB2237_207
; %bb.206:
	v_bcnt_u32_b32 v0, v0, 0
	v_bcnt_u32_b32 v0, v1, v0
	s_waitcnt lgkmcnt(0)
	v_add_u32_e32 v0, v24, v0
	ds_write_b32 v42, v0 offset:64
.LBB2237_207:
	s_or_b64 exec, exec, s[0:1]
	v_and_b32_e32 v0, 1, v13
	v_cmp_eq_u32_e32 vcc, 1, v0
	s_xor_b64 s[0:1], vcc, -1
	v_cndmask_b32_e64 v13, 0, 1, s[0:1]
	v_lshrrev_b32_e32 v0, s84, v13
	v_and_b32_e32 v0, s13, v0
	v_mov_b32_e32 v1, 0
	s_movk_i32 s2, 0x44
	v_cmp_ne_u32_e32 vcc, 0, v0
	v_lshl_add_u64 v[2:3], v[0:1], 0, -1
	v_mad_u32_u24 v46, v0, s2, v44
	v_xor_b32_e32 v2, vcc_lo, v2
	; wave barrier
	ds_read_b32 v26, v46 offset:64
	v_xor_b32_e32 v0, vcc_hi, v3
	v_and_b32_e32 v2, exec_lo, v2
	v_and_b32_e32 v3, exec_hi, v0
	v_mbcnt_lo_u32_b32 v0, v2, 0
	v_mbcnt_hi_u32_b32 v27, v3, v0
	v_cmp_eq_u32_e32 vcc, 0, v27
	v_cmp_ne_u64_e64 s[0:1], 0, v[2:3]
	s_and_b64 s[4:5], s[0:1], vcc
	; wave barrier
	s_and_saveexec_b64 s[0:1], s[4:5]
	s_cbranch_execz .LBB2237_209
; %bb.208:
	v_bcnt_u32_b32 v0, v2, 0
	v_bcnt_u32_b32 v0, v3, v0
	s_waitcnt lgkmcnt(0)
	v_add_u32_e32 v0, v26, v0
	ds_write_b32 v46, v0 offset:64
.LBB2237_209:
	s_or_b64 exec, exec, s[0:1]
	v_and_b32_e32 v0, 1, v28
	v_cmp_eq_u32_e32 vcc, 1, v0
	s_xor_b64 s[0:1], vcc, -1
	v_cndmask_b32_e64 v21, 0, 1, s[0:1]
	v_lshrrev_b32_e32 v0, s84, v21
	v_and_b32_e32 v0, s13, v0
	v_mad_u32_u24 v58, v0, s2, v44
	v_cmp_ne_u32_e32 vcc, 0, v0
	v_lshl_add_u64 v[0:1], v[0:1], 0, -1
	s_nop 0
	v_xor_b32_e32 v0, vcc_lo, v0
	; wave barrier
	ds_read_b32 v28, v58 offset:64
	v_xor_b32_e32 v1, vcc_hi, v1
	v_and_b32_e32 v0, exec_lo, v0
	v_and_b32_e32 v1, exec_hi, v1
	v_mbcnt_lo_u32_b32 v2, v0, 0
	v_mbcnt_hi_u32_b32 v29, v1, v2
	v_cmp_eq_u32_e32 vcc, 0, v29
	v_cmp_ne_u64_e64 s[0:1], 0, v[0:1]
	s_and_b64 s[2:3], s[0:1], vcc
	; wave barrier
	s_and_saveexec_b64 s[0:1], s[2:3]
	s_cbranch_execz .LBB2237_211
; %bb.210:
	v_bcnt_u32_b32 v0, v0, 0
	v_bcnt_u32_b32 v0, v1, v0
	s_waitcnt lgkmcnt(0)
	v_add_u32_e32 v0, v28, v0
	ds_write_b32 v58, v0 offset:64
.LBB2237_211:
	s_or_b64 exec, exec, s[0:1]
	v_and_b32_e32 v0, 1, v30
	v_cmp_eq_u32_e32 vcc, 1, v0
	s_xor_b64 s[0:1], vcc, -1
	v_cndmask_b32_e64 v82, 0, 1, s[0:1]
	v_lshrrev_b32_e32 v0, s84, v82
	v_and_b32_e32 v0, s13, v0
	v_mov_b32_e32 v1, 0
	s_movk_i32 s2, 0x44
	v_cmp_ne_u32_e32 vcc, 0, v0
	v_lshl_add_u64 v[2:3], v[0:1], 0, -1
	v_mad_u32_u24 v59, v0, s2, v44
	v_xor_b32_e32 v2, vcc_lo, v2
	; wave barrier
	ds_read_b32 v30, v59 offset:64
	v_xor_b32_e32 v0, vcc_hi, v3
	v_and_b32_e32 v2, exec_lo, v2
	v_and_b32_e32 v3, exec_hi, v0
	v_mbcnt_lo_u32_b32 v0, v2, 0
	v_mbcnt_hi_u32_b32 v31, v3, v0
	v_cmp_eq_u32_e32 vcc, 0, v31
	v_cmp_ne_u64_e64 s[0:1], 0, v[2:3]
	s_and_b64 s[4:5], s[0:1], vcc
	; wave barrier
	s_and_saveexec_b64 s[0:1], s[4:5]
	s_cbranch_execz .LBB2237_213
; %bb.212:
	v_bcnt_u32_b32 v0, v2, 0
	v_bcnt_u32_b32 v0, v3, v0
	s_waitcnt lgkmcnt(0)
	v_add_u32_e32 v0, v30, v0
	ds_write_b32 v59, v0 offset:64
.LBB2237_213:
	s_or_b64 exec, exec, s[0:1]
	v_and_b32_e32 v0, 1, v32
	v_cmp_eq_u32_e32 vcc, 1, v0
	s_xor_b64 s[0:1], vcc, -1
	v_cndmask_b32_e64 v83, 0, 1, s[0:1]
	v_lshrrev_b32_e32 v0, s84, v83
	v_and_b32_e32 v0, s13, v0
	v_mad_u32_u24 v60, v0, s2, v44
	v_cmp_ne_u32_e32 vcc, 0, v0
	v_lshl_add_u64 v[0:1], v[0:1], 0, -1
	s_nop 0
	v_xor_b32_e32 v0, vcc_lo, v0
	; wave barrier
	ds_read_b32 v32, v60 offset:64
	v_xor_b32_e32 v1, vcc_hi, v1
	v_and_b32_e32 v0, exec_lo, v0
	v_and_b32_e32 v1, exec_hi, v1
	v_mbcnt_lo_u32_b32 v2, v0, 0
	v_mbcnt_hi_u32_b32 v33, v1, v2
	v_cmp_eq_u32_e32 vcc, 0, v33
	v_cmp_ne_u64_e64 s[0:1], 0, v[0:1]
	s_and_b64 s[2:3], s[0:1], vcc
	; wave barrier
	s_and_saveexec_b64 s[0:1], s[2:3]
	s_cbranch_execz .LBB2237_215
; %bb.214:
	v_bcnt_u32_b32 v0, v0, 0
	v_bcnt_u32_b32 v0, v1, v0
	s_waitcnt lgkmcnt(0)
	v_add_u32_e32 v0, v32, v0
	ds_write_b32 v60, v0 offset:64
.LBB2237_215:
	s_or_b64 exec, exec, s[0:1]
	s_waitcnt vmcnt(7)
	v_and_b32_e32 v0, 1, v34
	v_cmp_eq_u32_e32 vcc, 1, v0
	s_xor_b64 s[0:1], vcc, -1
	v_cndmask_b32_e64 v84, 0, 1, s[0:1]
	v_lshrrev_b32_e32 v0, s84, v84
	v_and_b32_e32 v0, s13, v0
	v_mov_b32_e32 v1, 0
	s_movk_i32 s2, 0x44
	v_cmp_ne_u32_e32 vcc, 0, v0
	v_lshl_add_u64 v[2:3], v[0:1], 0, -1
	v_mad_u32_u24 v61, v0, s2, v44
	v_xor_b32_e32 v2, vcc_lo, v2
	; wave barrier
	ds_read_b32 v34, v61 offset:64
	v_xor_b32_e32 v0, vcc_hi, v3
	v_and_b32_e32 v2, exec_lo, v2
	v_and_b32_e32 v3, exec_hi, v0
	v_mbcnt_lo_u32_b32 v0, v2, 0
	v_mbcnt_hi_u32_b32 v35, v3, v0
	v_cmp_eq_u32_e32 vcc, 0, v35
	v_cmp_ne_u64_e64 s[0:1], 0, v[2:3]
	s_and_b64 s[4:5], s[0:1], vcc
	; wave barrier
	s_and_saveexec_b64 s[0:1], s[4:5]
	s_cbranch_execz .LBB2237_217
; %bb.216:
	v_bcnt_u32_b32 v0, v2, 0
	v_bcnt_u32_b32 v0, v3, v0
	s_waitcnt lgkmcnt(0)
	v_add_u32_e32 v0, v34, v0
	ds_write_b32 v61, v0 offset:64
.LBB2237_217:
	s_or_b64 exec, exec, s[0:1]
	s_waitcnt vmcnt(6)
	v_and_b32_e32 v0, 1, v36
	v_cmp_eq_u32_e32 vcc, 1, v0
	s_xor_b64 s[0:1], vcc, -1
	v_cndmask_b32_e64 v85, 0, 1, s[0:1]
	v_lshrrev_b32_e32 v0, s84, v85
	v_and_b32_e32 v0, s13, v0
	v_mad_u32_u24 v62, v0, s2, v44
	v_cmp_ne_u32_e32 vcc, 0, v0
	v_lshl_add_u64 v[0:1], v[0:1], 0, -1
	s_nop 0
	v_xor_b32_e32 v0, vcc_lo, v0
	; wave barrier
	ds_read_b32 v36, v62 offset:64
	v_xor_b32_e32 v1, vcc_hi, v1
	v_and_b32_e32 v0, exec_lo, v0
	v_and_b32_e32 v1, exec_hi, v1
	v_mbcnt_lo_u32_b32 v2, v0, 0
	v_mbcnt_hi_u32_b32 v37, v1, v2
	v_cmp_eq_u32_e32 vcc, 0, v37
	v_cmp_ne_u64_e64 s[0:1], 0, v[0:1]
	s_and_b64 s[2:3], s[0:1], vcc
	; wave barrier
	s_and_saveexec_b64 s[0:1], s[2:3]
	s_cbranch_execz .LBB2237_219
; %bb.218:
	v_bcnt_u32_b32 v0, v0, 0
	v_bcnt_u32_b32 v0, v1, v0
	s_waitcnt lgkmcnt(0)
	v_add_u32_e32 v0, v36, v0
	ds_write_b32 v62, v0 offset:64
.LBB2237_219:
	s_or_b64 exec, exec, s[0:1]
	s_waitcnt vmcnt(5)
	v_and_b32_e32 v0, 1, v39
	v_cmp_eq_u32_e32 vcc, 1, v0
	s_xor_b64 s[0:1], vcc, -1
	v_cndmask_b32_e64 v86, 0, 1, s[0:1]
	v_lshrrev_b32_e32 v0, s84, v86
	v_and_b32_e32 v0, s13, v0
	v_mov_b32_e32 v1, 0
	s_movk_i32 s2, 0x44
	v_cmp_ne_u32_e32 vcc, 0, v0
	v_lshl_add_u64 v[2:3], v[0:1], 0, -1
	v_mad_u32_u24 v63, v0, s2, v44
	v_xor_b32_e32 v2, vcc_lo, v2
	; wave barrier
	ds_read_b32 v39, v63 offset:64
	v_xor_b32_e32 v0, vcc_hi, v3
	v_and_b32_e32 v2, exec_lo, v2
	v_and_b32_e32 v3, exec_hi, v0
	v_mbcnt_lo_u32_b32 v0, v2, 0
	v_mbcnt_hi_u32_b32 v40, v3, v0
	v_cmp_eq_u32_e32 vcc, 0, v40
	v_cmp_ne_u64_e64 s[0:1], 0, v[2:3]
	s_and_b64 s[4:5], s[0:1], vcc
	; wave barrier
	s_and_saveexec_b64 s[0:1], s[4:5]
	s_cbranch_execz .LBB2237_221
; %bb.220:
	v_bcnt_u32_b32 v0, v2, 0
	v_bcnt_u32_b32 v0, v3, v0
	s_waitcnt lgkmcnt(0)
	v_add_u32_e32 v0, v39, v0
	ds_write_b32 v63, v0 offset:64
.LBB2237_221:
	s_or_b64 exec, exec, s[0:1]
	s_waitcnt vmcnt(4)
	v_and_b32_e32 v0, 1, v41
	v_cmp_eq_u32_e32 vcc, 1, v0
	s_xor_b64 s[0:1], vcc, -1
	v_cndmask_b32_e64 v87, 0, 1, s[0:1]
	v_lshrrev_b32_e32 v0, s84, v87
	v_and_b32_e32 v0, s13, v0
	v_mad_u32_u24 v64, v0, s2, v44
	v_cmp_ne_u32_e32 vcc, 0, v0
	v_lshl_add_u64 v[0:1], v[0:1], 0, -1
	s_nop 0
	v_xor_b32_e32 v0, vcc_lo, v0
	; wave barrier
	ds_read_b32 v41, v64 offset:64
	v_xor_b32_e32 v1, vcc_hi, v1
	v_and_b32_e32 v0, exec_lo, v0
	v_and_b32_e32 v1, exec_hi, v1
	v_mbcnt_lo_u32_b32 v2, v0, 0
	v_mbcnt_hi_u32_b32 v43, v1, v2
	v_cmp_eq_u32_e32 vcc, 0, v43
	v_cmp_ne_u64_e64 s[0:1], 0, v[0:1]
	s_and_b64 s[2:3], s[0:1], vcc
	; wave barrier
	s_and_saveexec_b64 s[0:1], s[2:3]
	s_cbranch_execz .LBB2237_223
; %bb.222:
	v_bcnt_u32_b32 v0, v0, 0
	v_bcnt_u32_b32 v0, v1, v0
	s_waitcnt lgkmcnt(0)
	v_add_u32_e32 v0, v41, v0
	ds_write_b32 v64, v0 offset:64
.LBB2237_223:
	s_or_b64 exec, exec, s[0:1]
	s_waitcnt vmcnt(3)
	v_and_b32_e32 v0, 1, v45
	v_cmp_eq_u32_e32 vcc, 1, v0
	s_xor_b64 s[0:1], vcc, -1
	v_cndmask_b32_e64 v88, 0, 1, s[0:1]
	v_lshrrev_b32_e32 v0, s84, v88
	v_and_b32_e32 v0, s13, v0
	v_mov_b32_e32 v1, 0
	s_movk_i32 s2, 0x44
	v_cmp_ne_u32_e32 vcc, 0, v0
	v_lshl_add_u64 v[2:3], v[0:1], 0, -1
	v_mad_u32_u24 v65, v0, s2, v44
	v_xor_b32_e32 v2, vcc_lo, v2
	; wave barrier
	ds_read_b32 v45, v65 offset:64
	v_xor_b32_e32 v0, vcc_hi, v3
	v_and_b32_e32 v2, exec_lo, v2
	v_and_b32_e32 v3, exec_hi, v0
	v_mbcnt_lo_u32_b32 v0, v2, 0
	v_mbcnt_hi_u32_b32 v47, v3, v0
	v_cmp_eq_u32_e32 vcc, 0, v47
	v_cmp_ne_u64_e64 s[0:1], 0, v[2:3]
	s_and_b64 s[4:5], s[0:1], vcc
	; wave barrier
	s_and_saveexec_b64 s[0:1], s[4:5]
	s_cbranch_execz .LBB2237_225
; %bb.224:
	v_bcnt_u32_b32 v0, v2, 0
	v_bcnt_u32_b32 v0, v3, v0
	s_waitcnt lgkmcnt(0)
	v_add_u32_e32 v0, v45, v0
	ds_write_b32 v65, v0 offset:64
.LBB2237_225:
	s_or_b64 exec, exec, s[0:1]
	s_waitcnt vmcnt(2)
	v_and_b32_e32 v0, 1, v48
	v_cmp_eq_u32_e32 vcc, 1, v0
	s_xor_b64 s[0:1], vcc, -1
	v_cndmask_b32_e64 v89, 0, 1, s[0:1]
	v_lshrrev_b32_e32 v0, s84, v89
	v_and_b32_e32 v0, s13, v0
	v_mad_u32_u24 v66, v0, s2, v44
	v_cmp_ne_u32_e32 vcc, 0, v0
	v_lshl_add_u64 v[0:1], v[0:1], 0, -1
	s_nop 0
	v_xor_b32_e32 v0, vcc_lo, v0
	; wave barrier
	ds_read_b32 v48, v66 offset:64
	v_xor_b32_e32 v1, vcc_hi, v1
	v_and_b32_e32 v0, exec_lo, v0
	v_and_b32_e32 v1, exec_hi, v1
	v_mbcnt_lo_u32_b32 v2, v0, 0
	v_mbcnt_hi_u32_b32 v49, v1, v2
	v_cmp_eq_u32_e32 vcc, 0, v49
	v_cmp_ne_u64_e64 s[0:1], 0, v[0:1]
	s_and_b64 s[2:3], s[0:1], vcc
	; wave barrier
	s_and_saveexec_b64 s[0:1], s[2:3]
	s_cbranch_execz .LBB2237_227
; %bb.226:
	v_bcnt_u32_b32 v0, v0, 0
	v_bcnt_u32_b32 v0, v1, v0
	s_waitcnt lgkmcnt(0)
	v_add_u32_e32 v0, v48, v0
	ds_write_b32 v66, v0 offset:64
.LBB2237_227:
	s_or_b64 exec, exec, s[0:1]
	s_waitcnt vmcnt(1)
	v_and_b32_e32 v0, 1, v38
	v_cmp_eq_u32_e32 vcc, 1, v0
	s_xor_b64 s[0:1], vcc, -1
	v_cndmask_b32_e64 v90, 0, 1, s[0:1]
	v_lshrrev_b32_e32 v0, s84, v90
	v_and_b32_e32 v0, s13, v0
	v_mov_b32_e32 v1, 0
	s_movk_i32 s2, 0x44
	v_cmp_ne_u32_e32 vcc, 0, v0
	v_lshl_add_u64 v[2:3], v[0:1], 0, -1
	v_mad_u32_u24 v68, v0, s2, v44
	v_xor_b32_e32 v2, vcc_lo, v2
	; wave barrier
	ds_read_b32 v50, v68 offset:64
	v_xor_b32_e32 v0, vcc_hi, v3
	v_and_b32_e32 v2, exec_lo, v2
	v_and_b32_e32 v3, exec_hi, v0
	v_mbcnt_lo_u32_b32 v0, v2, 0
	v_mbcnt_hi_u32_b32 v51, v3, v0
	v_cmp_eq_u32_e32 vcc, 0, v51
	v_cmp_ne_u64_e64 s[0:1], 0, v[2:3]
	s_and_b64 s[4:5], s[0:1], vcc
	; wave barrier
	s_and_saveexec_b64 s[0:1], s[4:5]
	s_cbranch_execz .LBB2237_229
; %bb.228:
	v_bcnt_u32_b32 v0, v2, 0
	v_bcnt_u32_b32 v0, v3, v0
	s_waitcnt lgkmcnt(0)
	v_add_u32_e32 v0, v50, v0
	ds_write_b32 v68, v0 offset:64
.LBB2237_229:
	s_or_b64 exec, exec, s[0:1]
	s_waitcnt vmcnt(0)
	v_and_b32_e32 v0, 1, v15
	v_cmp_eq_u32_e32 vcc, 1, v0
	s_xor_b64 s[0:1], vcc, -1
	v_cndmask_b32_e64 v15, 0, 1, s[0:1]
	v_lshrrev_b32_e32 v0, s84, v15
	v_and_b32_e32 v0, s13, v0
	v_mad_u32_u24 v44, v0, s2, v44
	v_cmp_ne_u32_e32 vcc, 0, v0
	v_lshl_add_u64 v[0:1], v[0:1], 0, -1
	s_nop 0
	v_xor_b32_e32 v0, vcc_lo, v0
	; wave barrier
	ds_read_b32 v52, v44 offset:64
	v_xor_b32_e32 v1, vcc_hi, v1
	v_and_b32_e32 v0, exec_lo, v0
	v_and_b32_e32 v1, exec_hi, v1
	v_mbcnt_lo_u32_b32 v2, v0, 0
	v_mbcnt_hi_u32_b32 v53, v1, v2
	v_cmp_eq_u32_e32 vcc, 0, v53
	v_cmp_ne_u64_e64 s[0:1], 0, v[0:1]
	s_and_b64 s[2:3], s[0:1], vcc
	; wave barrier
	s_and_saveexec_b64 s[0:1], s[2:3]
	s_cbranch_execz .LBB2237_231
; %bb.230:
	v_bcnt_u32_b32 v0, v0, 0
	v_bcnt_u32_b32 v0, v1, v0
	s_waitcnt lgkmcnt(0)
	v_add_u32_e32 v0, v52, v0
	ds_write_b32 v44, v0 offset:64
.LBB2237_231:
	s_or_b64 exec, exec, s[0:1]
	; wave barrier
	s_waitcnt lgkmcnt(0)
	s_barrier
	ds_read2_b32 v[2:3], v8 offset0:16 offset1:17
	ds_read2_b32 v[0:1], v8 offset0:18 offset1:19
	ds_read_b32 v38, v8 offset:80
	v_cmp_lt_u32_e64 s[2:3], 31, v5
	s_waitcnt lgkmcnt(1)
	v_add3_u32 v54, v3, v2, v0
	s_waitcnt lgkmcnt(0)
	v_add3_u32 v38, v54, v1, v38
	v_and_b32_e32 v54, 15, v5
	v_cmp_eq_u32_e32 vcc, 0, v54
	v_mov_b32_dpp v55, v38 row_shr:1 row_mask:0xf bank_mask:0xf
	v_cmp_lt_u32_e64 s[0:1], 1, v54
	v_cndmask_b32_e64 v55, v55, 0, vcc
	v_add_u32_e32 v38, v55, v38
	v_cmp_lt_u32_e64 s[4:5], 3, v54
	v_cmp_lt_u32_e64 s[6:7], 7, v54
	v_mov_b32_dpp v55, v38 row_shr:2 row_mask:0xf bank_mask:0xf
	v_cndmask_b32_e64 v55, 0, v55, s[0:1]
	v_add_u32_e32 v38, v38, v55
	s_nop 1
	v_mov_b32_dpp v55, v38 row_shr:4 row_mask:0xf bank_mask:0xf
	v_cndmask_b32_e64 v55, 0, v55, s[4:5]
	v_add_u32_e32 v38, v38, v55
	s_nop 1
	v_mov_b32_dpp v55, v38 row_shr:8 row_mask:0xf bank_mask:0xf
	v_cndmask_b32_e64 v54, 0, v55, s[6:7]
	v_add_u32_e32 v38, v38, v54
	v_bfe_i32 v55, v5, 4, 1
	s_nop 0
	v_mov_b32_dpp v54, v38 row_bcast:15 row_mask:0xf bank_mask:0xf
	v_and_b32_e32 v54, v55, v54
	v_add_u32_e32 v38, v38, v54
	v_lshrrev_b32_e32 v55, 6, v16
	s_nop 0
	v_mov_b32_dpp v54, v38 row_bcast:31 row_mask:0xf bank_mask:0xf
	v_cndmask_b32_e64 v54, 0, v54, s[2:3]
	v_add_u32_e32 v54, v38, v54
	v_and_b32_e32 v38, 63, v16
	v_cmp_eq_u32_e64 s[2:3], 63, v38
	s_and_saveexec_b64 s[10:11], s[2:3]
; %bb.232:
	v_lshlrev_b32_e32 v38, 2, v55
	ds_write_b32 v38, v54
; %bb.233:
	s_or_b64 exec, exec, s[10:11]
	v_cmp_gt_u32_e64 s[2:3], 16, v16
	v_lshlrev_b32_e32 v38, 2, v16
	s_waitcnt lgkmcnt(0)
	s_barrier
	s_and_saveexec_b64 s[10:11], s[2:3]
	s_cbranch_execz .LBB2237_235
; %bb.234:
	ds_read_b32 v56, v38
	s_waitcnt lgkmcnt(0)
	s_nop 0
	v_mov_b32_dpp v57, v56 row_shr:1 row_mask:0xf bank_mask:0xf
	v_cndmask_b32_e64 v57, v57, 0, vcc
	v_add_u32_e32 v56, v57, v56
	s_nop 1
	v_mov_b32_dpp v57, v56 row_shr:2 row_mask:0xf bank_mask:0xf
	v_cndmask_b32_e64 v57, 0, v57, s[0:1]
	v_add_u32_e32 v56, v56, v57
	s_nop 1
	v_mov_b32_dpp v57, v56 row_shr:4 row_mask:0xf bank_mask:0xf
	v_cndmask_b32_e64 v57, 0, v57, s[4:5]
	;; [unrolled: 4-line block ×3, first 2 shown]
	v_add_u32_e32 v56, v56, v57
	ds_write_b32 v38, v56
.LBB2237_235:
	s_or_b64 exec, exec, s[10:11]
	v_cmp_lt_u32_e32 vcc, 63, v16
	v_mov_b32_e32 v56, 0
	s_waitcnt lgkmcnt(0)
	s_barrier
	s_and_saveexec_b64 s[0:1], vcc
; %bb.236:
	v_lshl_add_u32 v55, v55, 2, -4
	ds_read_b32 v56, v55
; %bb.237:
	s_or_b64 exec, exec, s[0:1]
	v_subrev_co_u32_e32 v55, vcc, 1, v5
	v_and_b32_e32 v57, 64, v5
	v_cmp_lt_i32_e64 s[0:1], v55, v57
	s_waitcnt lgkmcnt(0)
	v_add_u32_e32 v54, v56, v54
	s_movk_i32 s2, 0x100
	v_cndmask_b32_e64 v5, v55, v5, s[0:1]
	v_lshlrev_b32_e32 v5, 2, v5
	ds_bpermute_b32 v5, v5, v54
	s_movk_i32 s0, 0xff
	s_waitcnt lgkmcnt(0)
	v_cndmask_b32_e32 v5, v5, v56, vcc
	v_cndmask_b32_e64 v5, v5, 0, s[66:67]
	v_add_u32_e32 v2, v5, v2
	v_add_u32_e32 v3, v2, v3
	;; [unrolled: 1-line block ×4, first 2 shown]
	ds_write2_b32 v8, v5, v2 offset0:16 offset1:17
	ds_write2_b32 v8, v3, v0 offset0:18 offset1:19
	ds_write_b32 v8, v1 offset:80
	s_waitcnt lgkmcnt(0)
	s_barrier
	ds_read_b32 v0, v10 offset:64
	ds_read_b32 v54, v11 offset:64
	ds_read_b32 v55, v14 offset:64
	ds_read_b32 v56, v42 offset:64
	ds_read_b32 v57, v46 offset:64
	ds_read_b32 v58, v58 offset:64
	ds_read_b32 v59, v59 offset:64
	ds_read_b32 v60, v60 offset:64
	ds_read_b32 v61, v61 offset:64
	ds_read_b32 v62, v62 offset:64
	ds_read_b32 v63, v63 offset:64
	ds_read_b32 v64, v64 offset:64
	ds_read_b32 v65, v65 offset:64
	ds_read_b32 v67, v66 offset:64
	ds_read_b32 v70, v68 offset:64
	ds_read_b32 v73, v44 offset:64
	v_cmp_lt_u32_e32 vcc, s0, v16
	v_cmp_gt_u32_e64 s[0:1], s2, v16
                                        ; implicit-def: $vgpr42
                                        ; implicit-def: $vgpr44
	s_and_saveexec_b64 s[4:5], s[0:1]
	s_cbranch_execz .LBB2237_241
; %bb.238:
	v_mul_u32_u24_e32 v1, 0x44, v16
	ds_read_b32 v42, v1 offset:64
	v_add_u32_e32 v2, 1, v16
	v_cmp_ne_u32_e64 s[2:3], s2, v2
	v_mov_b32_e32 v1, 0x4000
	s_and_saveexec_b64 s[6:7], s[2:3]
; %bb.239:
	v_mul_u32_u24_e32 v1, 0x44, v2
	ds_read_b32 v1, v1 offset:64
; %bb.240:
	s_or_b64 exec, exec, s[6:7]
	s_waitcnt lgkmcnt(0)
	v_sub_u32_e32 v44, v1, v42
.LBB2237_241:
	s_or_b64 exec, exec, s[4:5]
	s_waitcnt lgkmcnt(14)
	v_add_u32_e32 v46, v0, v6
	v_add3_u32 v66, v19, v17, v54
	s_waitcnt lgkmcnt(13)
	v_add3_u32 v68, v23, v22, v55
	s_waitcnt lgkmcnt(12)
	;; [unrolled: 2-line block ×7, first 2 shown]
	s_barrier
	ds_write_b8 v46, v4 offset:1024
	v_add3_u32 v76, v35, v34, v61
	ds_write_b8 v66, v7 offset:1024
	v_add3_u32 v77, v37, v36, v62
	;; [unrolled: 2-line block ×8, first 2 shown]
	v_mov_b32_e32 v1, 0
	ds_write_b8 v76, v84 offset:1024
	ds_write_b8 v77, v85 offset:1024
	;; [unrolled: 1-line block ×8, first 2 shown]
	s_and_saveexec_b64 s[2:3], s[0:1]
	s_cbranch_execz .LBB2237_251
; %bb.242:
	v_lshl_add_u32 v0, s33, 8, v16
	v_lshl_add_u64 v[2:3], v[0:1], 2, s[88:89]
	v_or_b32_e32 v0, 2.0, v44
	s_mov_b64 s[4:5], 0
	s_brev_b32 s14, -4
	s_mov_b32 s15, s33
	v_mov_b32_e32 v6, 0
	global_store_dword v[2:3], v0, off sc1
                                        ; implicit-def: $sgpr0_sgpr1
	s_branch .LBB2237_245
.LBB2237_243:                           ;   in Loop: Header=BB2237_245 Depth=1
	s_or_b64 exec, exec, s[10:11]
.LBB2237_244:                           ;   in Loop: Header=BB2237_245 Depth=1
	s_or_b64 exec, exec, s[6:7]
	v_and_b32_e32 v4, 0x3fffffff, v0
	v_add_u32_e32 v6, v4, v6
	v_cmp_gt_i32_e64 s[0:1], -2.0, v0
	s_and_b64 s[6:7], exec, s[0:1]
	s_or_b64 s[4:5], s[6:7], s[4:5]
	s_andn2_b64 exec, exec, s[4:5]
	s_cbranch_execz .LBB2237_250
.LBB2237_245:                           ; =>This Loop Header: Depth=1
                                        ;     Child Loop BB2237_248 Depth 2
	s_or_b64 s[0:1], s[0:1], exec
	s_cmp_eq_u32 s15, 0
	s_cbranch_scc1 .LBB2237_249
; %bb.246:                              ;   in Loop: Header=BB2237_245 Depth=1
	s_add_i32 s15, s15, -1
	v_lshl_or_b32 v0, s15, 8, v16
	v_lshl_add_u64 v[4:5], v[0:1], 2, s[88:89]
	global_load_dword v0, v[4:5], off sc1
	s_waitcnt vmcnt(0)
	v_cmp_gt_u32_e64 s[0:1], 2.0, v0
	s_and_saveexec_b64 s[6:7], s[0:1]
	s_cbranch_execz .LBB2237_244
; %bb.247:                              ;   in Loop: Header=BB2237_245 Depth=1
	s_mov_b64 s[10:11], 0
.LBB2237_248:                           ;   Parent Loop BB2237_245 Depth=1
                                        ; =>  This Inner Loop Header: Depth=2
	global_load_dword v0, v[4:5], off sc1
	s_waitcnt vmcnt(0)
	v_cmp_lt_u32_e64 s[0:1], s14, v0
	s_or_b64 s[10:11], s[0:1], s[10:11]
	s_andn2_b64 exec, exec, s[10:11]
	s_cbranch_execnz .LBB2237_248
	s_branch .LBB2237_243
.LBB2237_249:                           ;   in Loop: Header=BB2237_245 Depth=1
                                        ; implicit-def: $sgpr15
	s_and_b64 s[6:7], exec, s[0:1]
	s_or_b64 s[4:5], s[6:7], s[4:5]
	s_andn2_b64 exec, exec, s[4:5]
	s_cbranch_execnz .LBB2237_245
.LBB2237_250:
	s_or_b64 exec, exec, s[4:5]
	v_add_u32_e32 v0, v6, v44
	v_or_b32_e32 v0, 0x80000000, v0
	global_store_dword v[2:3], v0, off sc1
	global_load_dword v0, v38, s[80:81]
	v_sub_u32_e32 v1, v6, v42
	s_waitcnt vmcnt(0)
	v_add_u32_e32 v0, v1, v0
	ds_write_b32 v38, v0
.LBB2237_251:
	s_or_b64 exec, exec, s[2:3]
	s_waitcnt lgkmcnt(0)
	s_barrier
	ds_read_u8 v1, v16 offset:1024
	ds_read_u8 v8, v16 offset:2048
	;; [unrolled: 1-line block ×8, first 2 shown]
	s_waitcnt lgkmcnt(7)
	v_and_b32_e32 v0, 1, v1
	v_xor_b32_e32 v15, 1, v1
	s_waitcnt lgkmcnt(6)
	v_and_b32_e32 v1, 1, v8
	s_waitcnt lgkmcnt(5)
	v_and_b32_e32 v2, 1, v9
	;; [unrolled: 2-line block ×7, first 2 shown]
	v_lshrrev_b32_e32 v0, s84, v0
	v_lshrrev_b32_e32 v1, s84, v1
	;; [unrolled: 1-line block ×8, first 2 shown]
	v_and_b32_e32 v0, s13, v0
	v_and_b32_e32 v1, s13, v1
	;; [unrolled: 1-line block ×8, first 2 shown]
	v_lshlrev_b32_e32 v21, 2, v0
	v_lshlrev_b32_e32 v84, 2, v1
	;; [unrolled: 1-line block ×8, first 2 shown]
	ds_read_b32 v21, v21
	ds_read_b32 v84, v84
	;; [unrolled: 1-line block ×8, first 2 shown]
	s_waitcnt lgkmcnt(7)
	v_add_u32_e32 v21, v21, v16
	s_movk_i32 s4, 0x400
	global_store_byte v21, v15, s[74:75]
	v_xor_b32_e32 v8, 1, v8
	s_waitcnt lgkmcnt(6)
	v_add3_u32 v15, v84, v16, s4
	s_movk_i32 s5, 0x800
	global_store_byte v15, v8, s[74:75]
	v_xor_b32_e32 v8, 1, v9
	s_waitcnt lgkmcnt(5)
	v_add3_u32 v9, v85, v16, s5
	;; [unrolled: 5-line block ×7, first 2 shown]
	global_store_byte v9, v8, s[74:75]
	ds_read_u8 v9, v16 offset:9216
	ds_read_u8 v21, v16 offset:10240
	;; [unrolled: 1-line block ×8, first 2 shown]
	s_waitcnt lgkmcnt(7)
	v_and_b32_e32 v8, 1, v9
	v_xor_b32_e32 v90, 1, v9
	s_waitcnt lgkmcnt(6)
	v_and_b32_e32 v9, 1, v21
	s_waitcnt lgkmcnt(5)
	v_and_b32_e32 v10, 1, v84
	;; [unrolled: 2-line block ×7, first 2 shown]
	v_lshrrev_b32_e32 v8, s84, v8
	v_lshrrev_b32_e32 v9, s84, v9
	;; [unrolled: 1-line block ×8, first 2 shown]
	v_and_b32_e32 v8, s13, v8
	v_and_b32_e32 v9, s13, v9
	v_and_b32_e32 v10, s13, v10
	v_and_b32_e32 v11, s13, v11
	v_and_b32_e32 v12, s13, v12
	v_and_b32_e32 v13, s13, v13
	v_and_b32_e32 v14, s13, v14
	v_and_b32_e32 v15, s13, v15
	v_lshlrev_b32_e32 v91, 2, v8
	v_lshlrev_b32_e32 v92, 2, v9
	;; [unrolled: 1-line block ×8, first 2 shown]
	s_movk_i32 s0, 0x2000
	ds_read_b32 v91, v91
	ds_read_b32 v92, v92
	;; [unrolled: 1-line block ×8, first 2 shown]
	s_waitcnt lgkmcnt(7)
	v_add3_u32 v91, v91, v16, s0
	s_movk_i32 s0, 0x2400
	global_store_byte v91, v90, s[74:75]
	v_xor_b32_e32 v21, 1, v21
	s_waitcnt lgkmcnt(6)
	v_add3_u32 v90, v92, v16, s0
	s_movk_i32 s0, 0x2800
	global_store_byte v90, v21, s[74:75]
	v_xor_b32_e32 v21, 1, v84
	;; [unrolled: 5-line block ×6, first 2 shown]
	s_waitcnt lgkmcnt(1)
	v_add3_u32 v84, v97, v16, s0
	s_movk_i32 s0, 0x3c00
	global_store_byte v84, v21, s[74:75]
	s_waitcnt lgkmcnt(0)
	v_add3_u32 v84, v98, v16, s0
	s_lshl_b64 s[0:1], s[8:9], 2
	v_xor_b32_e32 v21, 1, v89
	s_add_u32 s0, s76, s0
	global_store_byte v84, v21, s[74:75]
	s_addc_u32 s1, s77, s1
	v_lshlrev_b32_e32 v20, 2, v20
	v_mov_b32_e32 v21, 0
	v_lshl_add_u64 v[84:85], s[0:1], 0, v[20:21]
	v_lshlrev_b32_e32 v20, 2, v18
	v_lshl_add_u64 v[98:99], v[84:85], 0, v[20:21]
	global_load_dword v18, v[98:99], off
	global_load_dword v84, v[98:99], off offset:256
	global_load_dword v85, v[98:99], off offset:512
	;; [unrolled: 1-line block ×14, first 2 shown]
	s_nop 0
	global_load_dword v98, v[98:99], off offset:3840
	v_mul_u32_u24_e32 v20, 3, v16
	v_mov_b32_e32 v99, 0x400
	scratch_store_dwordx4 off, v[0:3], off
	scratch_store_dwordx4 off, v[4:7], off offset:16
	scratch_store_dwordx4 off, v[8:11], off offset:32
	;; [unrolled: 1-line block ×3, first 2 shown]
	v_lshl_add_u32 v0, v83, 2, v99
	v_add3_u32 v1, v53, v73, v52
	v_lshl_add_u32 v2, v82, 2, v99
	v_add3_u32 v3, v51, v70, v50
	;; [unrolled: 2-line block ×15, first 2 shown]
	v_lshl_add_u32 v19, v46, 2, v99
	s_mov_b32 s8, 0
	s_mov_b32 s9, 0
	v_add_u32_e32 v35, v16, v20
	s_mov_b32 s10, 0
	s_barrier
	s_branch .LBB2237_253
.LBB2237_252:                           ;   in Loop: Header=BB2237_253 Depth=1
	s_or_b64 exec, exec, s[2:3]
	s_waitcnt lgkmcnt(0)
	s_barrier
	scratch_load_dwordx4 v[48:51], off, s8
	ds_read2st64_b32 v[36:37], v35 offset0:4 offset1:20
	ds_read2st64_b32 v[40:41], v35 offset0:36 offset1:52
	s_addk_i32 s10, 0xc000
	s_addk_i32 s9, 0xf000
	s_add_i32 s8, s8, 16
	s_cmp_eq_u32 s10, 0xffff0000
	s_waitcnt vmcnt(0)
	v_lshlrev_b32_e32 v20, 2, v48
	ds_read_b32 v20, v20
	v_lshlrev_b32_e32 v39, 2, v49
	v_lshlrev_b32_e32 v43, 2, v50
	;; [unrolled: 1-line block ×3, first 2 shown]
	ds_read_b32 v39, v39
	ds_read_b32 v43, v43
	;; [unrolled: 1-line block ×3, first 2 shown]
	s_waitcnt lgkmcnt(3)
	v_add_u32_e32 v20, v16, v20
	v_lshl_add_u64 v[48:49], v[20:21], 2, s[78:79]
	s_waitcnt lgkmcnt(2)
	v_add3_u32 v20, v16, v39, s4
	global_store_dword v[48:49], v36, off
	v_lshl_add_u64 v[48:49], v[20:21], 2, s[78:79]
	s_waitcnt lgkmcnt(1)
	v_add3_u32 v20, v16, v43, s5
	global_store_dword v[48:49], v37, off
	;; [unrolled: 4-line block ×3, first 2 shown]
	v_lshl_add_u64 v[36:37], v[20:21], 2, s[78:79]
	v_add_u32_e32 v16, 0x1000, v16
	global_store_dword v[36:37], v41, off
	s_barrier
	s_cbranch_scc1 .LBB2237_285
.LBB2237_253:                           ; =>This Inner Loop Header: Depth=1
	v_add_u32_e32 v20, s9, v46
	v_cmp_gt_u32_e64 s[0:1], s7, v20
	s_and_saveexec_b64 s[2:3], s[0:1]
	s_cbranch_execz .LBB2237_255
; %bb.254:                              ;   in Loop: Header=BB2237_253 Depth=1
	v_add_u32_e32 v20, s10, v19
	s_waitcnt vmcnt(19)
	ds_write_b32 v20, v18
.LBB2237_255:                           ;   in Loop: Header=BB2237_253 Depth=1
	s_or_b64 exec, exec, s[2:3]
	v_add_u32_e32 v20, s9, v17
	v_cmp_gt_u32_e64 s[0:1], s7, v20
	s_and_saveexec_b64 s[2:3], s[0:1]
	s_cbranch_execz .LBB2237_257
; %bb.256:                              ;   in Loop: Header=BB2237_253 Depth=1
	v_add_u32_e32 v20, s10, v23
	s_waitcnt vmcnt(18)
	ds_write_b32 v20, v84
.LBB2237_257:                           ;   in Loop: Header=BB2237_253 Depth=1
	s_or_b64 exec, exec, s[2:3]
	;; [unrolled: 10-line block ×15, first 2 shown]
	v_add_u32_e32 v20, s9, v1
	v_cmp_gt_u32_e64 s[0:1], s7, v20
	s_and_saveexec_b64 s[2:3], s[0:1]
	s_cbranch_execz .LBB2237_252
; %bb.284:                              ;   in Loop: Header=BB2237_253 Depth=1
	v_add_u32_e32 v20, s10, v0
	s_waitcnt vmcnt(4)
	ds_write_b32 v20, v98
	s_branch .LBB2237_252
.LBB2237_285:
	s_add_i32 s12, s12, -1
	s_cmp_eq_u32 s33, s12
	s_cselect_b64 s[0:1], -1, 0
	s_xor_b64 s[2:3], vcc, -1
	s_and_b64 s[0:1], s[2:3], s[0:1]
	s_and_saveexec_b64 s[2:3], s[0:1]
	s_cbranch_execz .LBB2237_287
; %bb.286:
	ds_read_b32 v0, v38
	s_waitcnt lgkmcnt(0)
	v_add3_u32 v0, v42, v44, v0
	global_store_dword v38, v0, s[82:83]
.LBB2237_287:
	s_endpgm
	.section	.rodata,"a",@progbits
	.p2align	6, 0x0
	.amdhsa_kernel _ZN7rocprim17ROCPRIM_400000_NS6detail17trampoline_kernelINS0_14default_configENS1_35radix_sort_onesweep_config_selectorIbiEEZZNS1_29radix_sort_onesweep_iterationIS3_Lb1EN6thrust23THRUST_200600_302600_NS6detail15normal_iteratorINS8_10device_ptrIbEEEESD_NSA_INSB_IiEEEESF_jNS0_19identity_decomposerENS1_16block_id_wrapperIjLb1EEEEE10hipError_tT1_PNSt15iterator_traitsISK_E10value_typeET2_T3_PNSL_ISQ_E10value_typeET4_T5_PSV_SW_PNS1_23onesweep_lookback_stateEbbT6_jjT7_P12ihipStream_tbENKUlT_T0_SK_SP_E_clIPbSD_PiSF_EEDaS13_S14_SK_SP_EUlS13_E_NS1_11comp_targetILNS1_3genE6ELNS1_11target_archE950ELNS1_3gpuE13ELNS1_3repE0EEENS1_47radix_sort_onesweep_sort_config_static_selectorELNS0_4arch9wavefront6targetE1EEEvSK_
		.amdhsa_group_segment_fixed_size 20552
		.amdhsa_private_segment_fixed_size 80
		.amdhsa_kernarg_size 344
		.amdhsa_user_sgpr_count 2
		.amdhsa_user_sgpr_dispatch_ptr 0
		.amdhsa_user_sgpr_queue_ptr 0
		.amdhsa_user_sgpr_kernarg_segment_ptr 1
		.amdhsa_user_sgpr_dispatch_id 0
		.amdhsa_user_sgpr_kernarg_preload_length 0
		.amdhsa_user_sgpr_kernarg_preload_offset 0
		.amdhsa_user_sgpr_private_segment_size 0
		.amdhsa_uses_dynamic_stack 0
		.amdhsa_enable_private_segment 1
		.amdhsa_system_sgpr_workgroup_id_x 1
		.amdhsa_system_sgpr_workgroup_id_y 0
		.amdhsa_system_sgpr_workgroup_id_z 0
		.amdhsa_system_sgpr_workgroup_info 0
		.amdhsa_system_vgpr_workitem_id 2
		.amdhsa_next_free_vgpr 100
		.amdhsa_next_free_sgpr 96
		.amdhsa_accum_offset 100
		.amdhsa_reserve_vcc 1
		.amdhsa_float_round_mode_32 0
		.amdhsa_float_round_mode_16_64 0
		.amdhsa_float_denorm_mode_32 3
		.amdhsa_float_denorm_mode_16_64 3
		.amdhsa_dx10_clamp 1
		.amdhsa_ieee_mode 1
		.amdhsa_fp16_overflow 0
		.amdhsa_tg_split 0
		.amdhsa_exception_fp_ieee_invalid_op 0
		.amdhsa_exception_fp_denorm_src 0
		.amdhsa_exception_fp_ieee_div_zero 0
		.amdhsa_exception_fp_ieee_overflow 0
		.amdhsa_exception_fp_ieee_underflow 0
		.amdhsa_exception_fp_ieee_inexact 0
		.amdhsa_exception_int_div_zero 0
	.end_amdhsa_kernel
	.section	.text._ZN7rocprim17ROCPRIM_400000_NS6detail17trampoline_kernelINS0_14default_configENS1_35radix_sort_onesweep_config_selectorIbiEEZZNS1_29radix_sort_onesweep_iterationIS3_Lb1EN6thrust23THRUST_200600_302600_NS6detail15normal_iteratorINS8_10device_ptrIbEEEESD_NSA_INSB_IiEEEESF_jNS0_19identity_decomposerENS1_16block_id_wrapperIjLb1EEEEE10hipError_tT1_PNSt15iterator_traitsISK_E10value_typeET2_T3_PNSL_ISQ_E10value_typeET4_T5_PSV_SW_PNS1_23onesweep_lookback_stateEbbT6_jjT7_P12ihipStream_tbENKUlT_T0_SK_SP_E_clIPbSD_PiSF_EEDaS13_S14_SK_SP_EUlS13_E_NS1_11comp_targetILNS1_3genE6ELNS1_11target_archE950ELNS1_3gpuE13ELNS1_3repE0EEENS1_47radix_sort_onesweep_sort_config_static_selectorELNS0_4arch9wavefront6targetE1EEEvSK_,"axG",@progbits,_ZN7rocprim17ROCPRIM_400000_NS6detail17trampoline_kernelINS0_14default_configENS1_35radix_sort_onesweep_config_selectorIbiEEZZNS1_29radix_sort_onesweep_iterationIS3_Lb1EN6thrust23THRUST_200600_302600_NS6detail15normal_iteratorINS8_10device_ptrIbEEEESD_NSA_INSB_IiEEEESF_jNS0_19identity_decomposerENS1_16block_id_wrapperIjLb1EEEEE10hipError_tT1_PNSt15iterator_traitsISK_E10value_typeET2_T3_PNSL_ISQ_E10value_typeET4_T5_PSV_SW_PNS1_23onesweep_lookback_stateEbbT6_jjT7_P12ihipStream_tbENKUlT_T0_SK_SP_E_clIPbSD_PiSF_EEDaS13_S14_SK_SP_EUlS13_E_NS1_11comp_targetILNS1_3genE6ELNS1_11target_archE950ELNS1_3gpuE13ELNS1_3repE0EEENS1_47radix_sort_onesweep_sort_config_static_selectorELNS0_4arch9wavefront6targetE1EEEvSK_,comdat
.Lfunc_end2237:
	.size	_ZN7rocprim17ROCPRIM_400000_NS6detail17trampoline_kernelINS0_14default_configENS1_35radix_sort_onesweep_config_selectorIbiEEZZNS1_29radix_sort_onesweep_iterationIS3_Lb1EN6thrust23THRUST_200600_302600_NS6detail15normal_iteratorINS8_10device_ptrIbEEEESD_NSA_INSB_IiEEEESF_jNS0_19identity_decomposerENS1_16block_id_wrapperIjLb1EEEEE10hipError_tT1_PNSt15iterator_traitsISK_E10value_typeET2_T3_PNSL_ISQ_E10value_typeET4_T5_PSV_SW_PNS1_23onesweep_lookback_stateEbbT6_jjT7_P12ihipStream_tbENKUlT_T0_SK_SP_E_clIPbSD_PiSF_EEDaS13_S14_SK_SP_EUlS13_E_NS1_11comp_targetILNS1_3genE6ELNS1_11target_archE950ELNS1_3gpuE13ELNS1_3repE0EEENS1_47radix_sort_onesweep_sort_config_static_selectorELNS0_4arch9wavefront6targetE1EEEvSK_, .Lfunc_end2237-_ZN7rocprim17ROCPRIM_400000_NS6detail17trampoline_kernelINS0_14default_configENS1_35radix_sort_onesweep_config_selectorIbiEEZZNS1_29radix_sort_onesweep_iterationIS3_Lb1EN6thrust23THRUST_200600_302600_NS6detail15normal_iteratorINS8_10device_ptrIbEEEESD_NSA_INSB_IiEEEESF_jNS0_19identity_decomposerENS1_16block_id_wrapperIjLb1EEEEE10hipError_tT1_PNSt15iterator_traitsISK_E10value_typeET2_T3_PNSL_ISQ_E10value_typeET4_T5_PSV_SW_PNS1_23onesweep_lookback_stateEbbT6_jjT7_P12ihipStream_tbENKUlT_T0_SK_SP_E_clIPbSD_PiSF_EEDaS13_S14_SK_SP_EUlS13_E_NS1_11comp_targetILNS1_3genE6ELNS1_11target_archE950ELNS1_3gpuE13ELNS1_3repE0EEENS1_47radix_sort_onesweep_sort_config_static_selectorELNS0_4arch9wavefront6targetE1EEEvSK_
                                        ; -- End function
	.set _ZN7rocprim17ROCPRIM_400000_NS6detail17trampoline_kernelINS0_14default_configENS1_35radix_sort_onesweep_config_selectorIbiEEZZNS1_29radix_sort_onesweep_iterationIS3_Lb1EN6thrust23THRUST_200600_302600_NS6detail15normal_iteratorINS8_10device_ptrIbEEEESD_NSA_INSB_IiEEEESF_jNS0_19identity_decomposerENS1_16block_id_wrapperIjLb1EEEEE10hipError_tT1_PNSt15iterator_traitsISK_E10value_typeET2_T3_PNSL_ISQ_E10value_typeET4_T5_PSV_SW_PNS1_23onesweep_lookback_stateEbbT6_jjT7_P12ihipStream_tbENKUlT_T0_SK_SP_E_clIPbSD_PiSF_EEDaS13_S14_SK_SP_EUlS13_E_NS1_11comp_targetILNS1_3genE6ELNS1_11target_archE950ELNS1_3gpuE13ELNS1_3repE0EEENS1_47radix_sort_onesweep_sort_config_static_selectorELNS0_4arch9wavefront6targetE1EEEvSK_.num_vgpr, 100
	.set _ZN7rocprim17ROCPRIM_400000_NS6detail17trampoline_kernelINS0_14default_configENS1_35radix_sort_onesweep_config_selectorIbiEEZZNS1_29radix_sort_onesweep_iterationIS3_Lb1EN6thrust23THRUST_200600_302600_NS6detail15normal_iteratorINS8_10device_ptrIbEEEESD_NSA_INSB_IiEEEESF_jNS0_19identity_decomposerENS1_16block_id_wrapperIjLb1EEEEE10hipError_tT1_PNSt15iterator_traitsISK_E10value_typeET2_T3_PNSL_ISQ_E10value_typeET4_T5_PSV_SW_PNS1_23onesweep_lookback_stateEbbT6_jjT7_P12ihipStream_tbENKUlT_T0_SK_SP_E_clIPbSD_PiSF_EEDaS13_S14_SK_SP_EUlS13_E_NS1_11comp_targetILNS1_3genE6ELNS1_11target_archE950ELNS1_3gpuE13ELNS1_3repE0EEENS1_47radix_sort_onesweep_sort_config_static_selectorELNS0_4arch9wavefront6targetE1EEEvSK_.num_agpr, 0
	.set _ZN7rocprim17ROCPRIM_400000_NS6detail17trampoline_kernelINS0_14default_configENS1_35radix_sort_onesweep_config_selectorIbiEEZZNS1_29radix_sort_onesweep_iterationIS3_Lb1EN6thrust23THRUST_200600_302600_NS6detail15normal_iteratorINS8_10device_ptrIbEEEESD_NSA_INSB_IiEEEESF_jNS0_19identity_decomposerENS1_16block_id_wrapperIjLb1EEEEE10hipError_tT1_PNSt15iterator_traitsISK_E10value_typeET2_T3_PNSL_ISQ_E10value_typeET4_T5_PSV_SW_PNS1_23onesweep_lookback_stateEbbT6_jjT7_P12ihipStream_tbENKUlT_T0_SK_SP_E_clIPbSD_PiSF_EEDaS13_S14_SK_SP_EUlS13_E_NS1_11comp_targetILNS1_3genE6ELNS1_11target_archE950ELNS1_3gpuE13ELNS1_3repE0EEENS1_47radix_sort_onesweep_sort_config_static_selectorELNS0_4arch9wavefront6targetE1EEEvSK_.numbered_sgpr, 96
	.set _ZN7rocprim17ROCPRIM_400000_NS6detail17trampoline_kernelINS0_14default_configENS1_35radix_sort_onesweep_config_selectorIbiEEZZNS1_29radix_sort_onesweep_iterationIS3_Lb1EN6thrust23THRUST_200600_302600_NS6detail15normal_iteratorINS8_10device_ptrIbEEEESD_NSA_INSB_IiEEEESF_jNS0_19identity_decomposerENS1_16block_id_wrapperIjLb1EEEEE10hipError_tT1_PNSt15iterator_traitsISK_E10value_typeET2_T3_PNSL_ISQ_E10value_typeET4_T5_PSV_SW_PNS1_23onesweep_lookback_stateEbbT6_jjT7_P12ihipStream_tbENKUlT_T0_SK_SP_E_clIPbSD_PiSF_EEDaS13_S14_SK_SP_EUlS13_E_NS1_11comp_targetILNS1_3genE6ELNS1_11target_archE950ELNS1_3gpuE13ELNS1_3repE0EEENS1_47radix_sort_onesweep_sort_config_static_selectorELNS0_4arch9wavefront6targetE1EEEvSK_.num_named_barrier, 0
	.set _ZN7rocprim17ROCPRIM_400000_NS6detail17trampoline_kernelINS0_14default_configENS1_35radix_sort_onesweep_config_selectorIbiEEZZNS1_29radix_sort_onesweep_iterationIS3_Lb1EN6thrust23THRUST_200600_302600_NS6detail15normal_iteratorINS8_10device_ptrIbEEEESD_NSA_INSB_IiEEEESF_jNS0_19identity_decomposerENS1_16block_id_wrapperIjLb1EEEEE10hipError_tT1_PNSt15iterator_traitsISK_E10value_typeET2_T3_PNSL_ISQ_E10value_typeET4_T5_PSV_SW_PNS1_23onesweep_lookback_stateEbbT6_jjT7_P12ihipStream_tbENKUlT_T0_SK_SP_E_clIPbSD_PiSF_EEDaS13_S14_SK_SP_EUlS13_E_NS1_11comp_targetILNS1_3genE6ELNS1_11target_archE950ELNS1_3gpuE13ELNS1_3repE0EEENS1_47radix_sort_onesweep_sort_config_static_selectorELNS0_4arch9wavefront6targetE1EEEvSK_.private_seg_size, 80
	.set _ZN7rocprim17ROCPRIM_400000_NS6detail17trampoline_kernelINS0_14default_configENS1_35radix_sort_onesweep_config_selectorIbiEEZZNS1_29radix_sort_onesweep_iterationIS3_Lb1EN6thrust23THRUST_200600_302600_NS6detail15normal_iteratorINS8_10device_ptrIbEEEESD_NSA_INSB_IiEEEESF_jNS0_19identity_decomposerENS1_16block_id_wrapperIjLb1EEEEE10hipError_tT1_PNSt15iterator_traitsISK_E10value_typeET2_T3_PNSL_ISQ_E10value_typeET4_T5_PSV_SW_PNS1_23onesweep_lookback_stateEbbT6_jjT7_P12ihipStream_tbENKUlT_T0_SK_SP_E_clIPbSD_PiSF_EEDaS13_S14_SK_SP_EUlS13_E_NS1_11comp_targetILNS1_3genE6ELNS1_11target_archE950ELNS1_3gpuE13ELNS1_3repE0EEENS1_47radix_sort_onesweep_sort_config_static_selectorELNS0_4arch9wavefront6targetE1EEEvSK_.uses_vcc, 1
	.set _ZN7rocprim17ROCPRIM_400000_NS6detail17trampoline_kernelINS0_14default_configENS1_35radix_sort_onesweep_config_selectorIbiEEZZNS1_29radix_sort_onesweep_iterationIS3_Lb1EN6thrust23THRUST_200600_302600_NS6detail15normal_iteratorINS8_10device_ptrIbEEEESD_NSA_INSB_IiEEEESF_jNS0_19identity_decomposerENS1_16block_id_wrapperIjLb1EEEEE10hipError_tT1_PNSt15iterator_traitsISK_E10value_typeET2_T3_PNSL_ISQ_E10value_typeET4_T5_PSV_SW_PNS1_23onesweep_lookback_stateEbbT6_jjT7_P12ihipStream_tbENKUlT_T0_SK_SP_E_clIPbSD_PiSF_EEDaS13_S14_SK_SP_EUlS13_E_NS1_11comp_targetILNS1_3genE6ELNS1_11target_archE950ELNS1_3gpuE13ELNS1_3repE0EEENS1_47radix_sort_onesweep_sort_config_static_selectorELNS0_4arch9wavefront6targetE1EEEvSK_.uses_flat_scratch, 0
	.set _ZN7rocprim17ROCPRIM_400000_NS6detail17trampoline_kernelINS0_14default_configENS1_35radix_sort_onesweep_config_selectorIbiEEZZNS1_29radix_sort_onesweep_iterationIS3_Lb1EN6thrust23THRUST_200600_302600_NS6detail15normal_iteratorINS8_10device_ptrIbEEEESD_NSA_INSB_IiEEEESF_jNS0_19identity_decomposerENS1_16block_id_wrapperIjLb1EEEEE10hipError_tT1_PNSt15iterator_traitsISK_E10value_typeET2_T3_PNSL_ISQ_E10value_typeET4_T5_PSV_SW_PNS1_23onesweep_lookback_stateEbbT6_jjT7_P12ihipStream_tbENKUlT_T0_SK_SP_E_clIPbSD_PiSF_EEDaS13_S14_SK_SP_EUlS13_E_NS1_11comp_targetILNS1_3genE6ELNS1_11target_archE950ELNS1_3gpuE13ELNS1_3repE0EEENS1_47radix_sort_onesweep_sort_config_static_selectorELNS0_4arch9wavefront6targetE1EEEvSK_.has_dyn_sized_stack, 0
	.set _ZN7rocprim17ROCPRIM_400000_NS6detail17trampoline_kernelINS0_14default_configENS1_35radix_sort_onesweep_config_selectorIbiEEZZNS1_29radix_sort_onesweep_iterationIS3_Lb1EN6thrust23THRUST_200600_302600_NS6detail15normal_iteratorINS8_10device_ptrIbEEEESD_NSA_INSB_IiEEEESF_jNS0_19identity_decomposerENS1_16block_id_wrapperIjLb1EEEEE10hipError_tT1_PNSt15iterator_traitsISK_E10value_typeET2_T3_PNSL_ISQ_E10value_typeET4_T5_PSV_SW_PNS1_23onesweep_lookback_stateEbbT6_jjT7_P12ihipStream_tbENKUlT_T0_SK_SP_E_clIPbSD_PiSF_EEDaS13_S14_SK_SP_EUlS13_E_NS1_11comp_targetILNS1_3genE6ELNS1_11target_archE950ELNS1_3gpuE13ELNS1_3repE0EEENS1_47radix_sort_onesweep_sort_config_static_selectorELNS0_4arch9wavefront6targetE1EEEvSK_.has_recursion, 0
	.set _ZN7rocprim17ROCPRIM_400000_NS6detail17trampoline_kernelINS0_14default_configENS1_35radix_sort_onesweep_config_selectorIbiEEZZNS1_29radix_sort_onesweep_iterationIS3_Lb1EN6thrust23THRUST_200600_302600_NS6detail15normal_iteratorINS8_10device_ptrIbEEEESD_NSA_INSB_IiEEEESF_jNS0_19identity_decomposerENS1_16block_id_wrapperIjLb1EEEEE10hipError_tT1_PNSt15iterator_traitsISK_E10value_typeET2_T3_PNSL_ISQ_E10value_typeET4_T5_PSV_SW_PNS1_23onesweep_lookback_stateEbbT6_jjT7_P12ihipStream_tbENKUlT_T0_SK_SP_E_clIPbSD_PiSF_EEDaS13_S14_SK_SP_EUlS13_E_NS1_11comp_targetILNS1_3genE6ELNS1_11target_archE950ELNS1_3gpuE13ELNS1_3repE0EEENS1_47radix_sort_onesweep_sort_config_static_selectorELNS0_4arch9wavefront6targetE1EEEvSK_.has_indirect_call, 0
	.section	.AMDGPU.csdata,"",@progbits
; Kernel info:
; codeLenInByte = 15348
; TotalNumSgprs: 102
; NumVgprs: 100
; NumAgprs: 0
; TotalNumVgprs: 100
; ScratchSize: 80
; MemoryBound: 0
; FloatMode: 240
; IeeeMode: 1
; LDSByteSize: 20552 bytes/workgroup (compile time only)
; SGPRBlocks: 12
; VGPRBlocks: 12
; NumSGPRsForWavesPerEU: 102
; NumVGPRsForWavesPerEU: 100
; AccumOffset: 100
; Occupancy: 4
; WaveLimiterHint : 1
; COMPUTE_PGM_RSRC2:SCRATCH_EN: 1
; COMPUTE_PGM_RSRC2:USER_SGPR: 2
; COMPUTE_PGM_RSRC2:TRAP_HANDLER: 0
; COMPUTE_PGM_RSRC2:TGID_X_EN: 1
; COMPUTE_PGM_RSRC2:TGID_Y_EN: 0
; COMPUTE_PGM_RSRC2:TGID_Z_EN: 0
; COMPUTE_PGM_RSRC2:TIDIG_COMP_CNT: 2
; COMPUTE_PGM_RSRC3_GFX90A:ACCUM_OFFSET: 24
; COMPUTE_PGM_RSRC3_GFX90A:TG_SPLIT: 0
	.section	.text._ZN7rocprim17ROCPRIM_400000_NS6detail17trampoline_kernelINS0_14default_configENS1_35radix_sort_onesweep_config_selectorIbiEEZZNS1_29radix_sort_onesweep_iterationIS3_Lb1EN6thrust23THRUST_200600_302600_NS6detail15normal_iteratorINS8_10device_ptrIbEEEESD_NSA_INSB_IiEEEESF_jNS0_19identity_decomposerENS1_16block_id_wrapperIjLb1EEEEE10hipError_tT1_PNSt15iterator_traitsISK_E10value_typeET2_T3_PNSL_ISQ_E10value_typeET4_T5_PSV_SW_PNS1_23onesweep_lookback_stateEbbT6_jjT7_P12ihipStream_tbENKUlT_T0_SK_SP_E_clIPbSD_PiSF_EEDaS13_S14_SK_SP_EUlS13_E_NS1_11comp_targetILNS1_3genE5ELNS1_11target_archE942ELNS1_3gpuE9ELNS1_3repE0EEENS1_47radix_sort_onesweep_sort_config_static_selectorELNS0_4arch9wavefront6targetE1EEEvSK_,"axG",@progbits,_ZN7rocprim17ROCPRIM_400000_NS6detail17trampoline_kernelINS0_14default_configENS1_35radix_sort_onesweep_config_selectorIbiEEZZNS1_29radix_sort_onesweep_iterationIS3_Lb1EN6thrust23THRUST_200600_302600_NS6detail15normal_iteratorINS8_10device_ptrIbEEEESD_NSA_INSB_IiEEEESF_jNS0_19identity_decomposerENS1_16block_id_wrapperIjLb1EEEEE10hipError_tT1_PNSt15iterator_traitsISK_E10value_typeET2_T3_PNSL_ISQ_E10value_typeET4_T5_PSV_SW_PNS1_23onesweep_lookback_stateEbbT6_jjT7_P12ihipStream_tbENKUlT_T0_SK_SP_E_clIPbSD_PiSF_EEDaS13_S14_SK_SP_EUlS13_E_NS1_11comp_targetILNS1_3genE5ELNS1_11target_archE942ELNS1_3gpuE9ELNS1_3repE0EEENS1_47radix_sort_onesweep_sort_config_static_selectorELNS0_4arch9wavefront6targetE1EEEvSK_,comdat
	.protected	_ZN7rocprim17ROCPRIM_400000_NS6detail17trampoline_kernelINS0_14default_configENS1_35radix_sort_onesweep_config_selectorIbiEEZZNS1_29radix_sort_onesweep_iterationIS3_Lb1EN6thrust23THRUST_200600_302600_NS6detail15normal_iteratorINS8_10device_ptrIbEEEESD_NSA_INSB_IiEEEESF_jNS0_19identity_decomposerENS1_16block_id_wrapperIjLb1EEEEE10hipError_tT1_PNSt15iterator_traitsISK_E10value_typeET2_T3_PNSL_ISQ_E10value_typeET4_T5_PSV_SW_PNS1_23onesweep_lookback_stateEbbT6_jjT7_P12ihipStream_tbENKUlT_T0_SK_SP_E_clIPbSD_PiSF_EEDaS13_S14_SK_SP_EUlS13_E_NS1_11comp_targetILNS1_3genE5ELNS1_11target_archE942ELNS1_3gpuE9ELNS1_3repE0EEENS1_47radix_sort_onesweep_sort_config_static_selectorELNS0_4arch9wavefront6targetE1EEEvSK_ ; -- Begin function _ZN7rocprim17ROCPRIM_400000_NS6detail17trampoline_kernelINS0_14default_configENS1_35radix_sort_onesweep_config_selectorIbiEEZZNS1_29radix_sort_onesweep_iterationIS3_Lb1EN6thrust23THRUST_200600_302600_NS6detail15normal_iteratorINS8_10device_ptrIbEEEESD_NSA_INSB_IiEEEESF_jNS0_19identity_decomposerENS1_16block_id_wrapperIjLb1EEEEE10hipError_tT1_PNSt15iterator_traitsISK_E10value_typeET2_T3_PNSL_ISQ_E10value_typeET4_T5_PSV_SW_PNS1_23onesweep_lookback_stateEbbT6_jjT7_P12ihipStream_tbENKUlT_T0_SK_SP_E_clIPbSD_PiSF_EEDaS13_S14_SK_SP_EUlS13_E_NS1_11comp_targetILNS1_3genE5ELNS1_11target_archE942ELNS1_3gpuE9ELNS1_3repE0EEENS1_47radix_sort_onesweep_sort_config_static_selectorELNS0_4arch9wavefront6targetE1EEEvSK_
	.globl	_ZN7rocprim17ROCPRIM_400000_NS6detail17trampoline_kernelINS0_14default_configENS1_35radix_sort_onesweep_config_selectorIbiEEZZNS1_29radix_sort_onesweep_iterationIS3_Lb1EN6thrust23THRUST_200600_302600_NS6detail15normal_iteratorINS8_10device_ptrIbEEEESD_NSA_INSB_IiEEEESF_jNS0_19identity_decomposerENS1_16block_id_wrapperIjLb1EEEEE10hipError_tT1_PNSt15iterator_traitsISK_E10value_typeET2_T3_PNSL_ISQ_E10value_typeET4_T5_PSV_SW_PNS1_23onesweep_lookback_stateEbbT6_jjT7_P12ihipStream_tbENKUlT_T0_SK_SP_E_clIPbSD_PiSF_EEDaS13_S14_SK_SP_EUlS13_E_NS1_11comp_targetILNS1_3genE5ELNS1_11target_archE942ELNS1_3gpuE9ELNS1_3repE0EEENS1_47radix_sort_onesweep_sort_config_static_selectorELNS0_4arch9wavefront6targetE1EEEvSK_
	.p2align	8
	.type	_ZN7rocprim17ROCPRIM_400000_NS6detail17trampoline_kernelINS0_14default_configENS1_35radix_sort_onesweep_config_selectorIbiEEZZNS1_29radix_sort_onesweep_iterationIS3_Lb1EN6thrust23THRUST_200600_302600_NS6detail15normal_iteratorINS8_10device_ptrIbEEEESD_NSA_INSB_IiEEEESF_jNS0_19identity_decomposerENS1_16block_id_wrapperIjLb1EEEEE10hipError_tT1_PNSt15iterator_traitsISK_E10value_typeET2_T3_PNSL_ISQ_E10value_typeET4_T5_PSV_SW_PNS1_23onesweep_lookback_stateEbbT6_jjT7_P12ihipStream_tbENKUlT_T0_SK_SP_E_clIPbSD_PiSF_EEDaS13_S14_SK_SP_EUlS13_E_NS1_11comp_targetILNS1_3genE5ELNS1_11target_archE942ELNS1_3gpuE9ELNS1_3repE0EEENS1_47radix_sort_onesweep_sort_config_static_selectorELNS0_4arch9wavefront6targetE1EEEvSK_,@function
_ZN7rocprim17ROCPRIM_400000_NS6detail17trampoline_kernelINS0_14default_configENS1_35radix_sort_onesweep_config_selectorIbiEEZZNS1_29radix_sort_onesweep_iterationIS3_Lb1EN6thrust23THRUST_200600_302600_NS6detail15normal_iteratorINS8_10device_ptrIbEEEESD_NSA_INSB_IiEEEESF_jNS0_19identity_decomposerENS1_16block_id_wrapperIjLb1EEEEE10hipError_tT1_PNSt15iterator_traitsISK_E10value_typeET2_T3_PNSL_ISQ_E10value_typeET4_T5_PSV_SW_PNS1_23onesweep_lookback_stateEbbT6_jjT7_P12ihipStream_tbENKUlT_T0_SK_SP_E_clIPbSD_PiSF_EEDaS13_S14_SK_SP_EUlS13_E_NS1_11comp_targetILNS1_3genE5ELNS1_11target_archE942ELNS1_3gpuE9ELNS1_3repE0EEENS1_47radix_sort_onesweep_sort_config_static_selectorELNS0_4arch9wavefront6targetE1EEEvSK_: ; @_ZN7rocprim17ROCPRIM_400000_NS6detail17trampoline_kernelINS0_14default_configENS1_35radix_sort_onesweep_config_selectorIbiEEZZNS1_29radix_sort_onesweep_iterationIS3_Lb1EN6thrust23THRUST_200600_302600_NS6detail15normal_iteratorINS8_10device_ptrIbEEEESD_NSA_INSB_IiEEEESF_jNS0_19identity_decomposerENS1_16block_id_wrapperIjLb1EEEEE10hipError_tT1_PNSt15iterator_traitsISK_E10value_typeET2_T3_PNSL_ISQ_E10value_typeET4_T5_PSV_SW_PNS1_23onesweep_lookback_stateEbbT6_jjT7_P12ihipStream_tbENKUlT_T0_SK_SP_E_clIPbSD_PiSF_EEDaS13_S14_SK_SP_EUlS13_E_NS1_11comp_targetILNS1_3genE5ELNS1_11target_archE942ELNS1_3gpuE9ELNS1_3repE0EEENS1_47radix_sort_onesweep_sort_config_static_selectorELNS0_4arch9wavefront6targetE1EEEvSK_
; %bb.0:
	.section	.rodata,"a",@progbits
	.p2align	6, 0x0
	.amdhsa_kernel _ZN7rocprim17ROCPRIM_400000_NS6detail17trampoline_kernelINS0_14default_configENS1_35radix_sort_onesweep_config_selectorIbiEEZZNS1_29radix_sort_onesweep_iterationIS3_Lb1EN6thrust23THRUST_200600_302600_NS6detail15normal_iteratorINS8_10device_ptrIbEEEESD_NSA_INSB_IiEEEESF_jNS0_19identity_decomposerENS1_16block_id_wrapperIjLb1EEEEE10hipError_tT1_PNSt15iterator_traitsISK_E10value_typeET2_T3_PNSL_ISQ_E10value_typeET4_T5_PSV_SW_PNS1_23onesweep_lookback_stateEbbT6_jjT7_P12ihipStream_tbENKUlT_T0_SK_SP_E_clIPbSD_PiSF_EEDaS13_S14_SK_SP_EUlS13_E_NS1_11comp_targetILNS1_3genE5ELNS1_11target_archE942ELNS1_3gpuE9ELNS1_3repE0EEENS1_47radix_sort_onesweep_sort_config_static_selectorELNS0_4arch9wavefront6targetE1EEEvSK_
		.amdhsa_group_segment_fixed_size 0
		.amdhsa_private_segment_fixed_size 0
		.amdhsa_kernarg_size 88
		.amdhsa_user_sgpr_count 2
		.amdhsa_user_sgpr_dispatch_ptr 0
		.amdhsa_user_sgpr_queue_ptr 0
		.amdhsa_user_sgpr_kernarg_segment_ptr 1
		.amdhsa_user_sgpr_dispatch_id 0
		.amdhsa_user_sgpr_kernarg_preload_length 0
		.amdhsa_user_sgpr_kernarg_preload_offset 0
		.amdhsa_user_sgpr_private_segment_size 0
		.amdhsa_uses_dynamic_stack 0
		.amdhsa_enable_private_segment 0
		.amdhsa_system_sgpr_workgroup_id_x 1
		.amdhsa_system_sgpr_workgroup_id_y 0
		.amdhsa_system_sgpr_workgroup_id_z 0
		.amdhsa_system_sgpr_workgroup_info 0
		.amdhsa_system_vgpr_workitem_id 0
		.amdhsa_next_free_vgpr 1
		.amdhsa_next_free_sgpr 0
		.amdhsa_accum_offset 4
		.amdhsa_reserve_vcc 0
		.amdhsa_float_round_mode_32 0
		.amdhsa_float_round_mode_16_64 0
		.amdhsa_float_denorm_mode_32 3
		.amdhsa_float_denorm_mode_16_64 3
		.amdhsa_dx10_clamp 1
		.amdhsa_ieee_mode 1
		.amdhsa_fp16_overflow 0
		.amdhsa_tg_split 0
		.amdhsa_exception_fp_ieee_invalid_op 0
		.amdhsa_exception_fp_denorm_src 0
		.amdhsa_exception_fp_ieee_div_zero 0
		.amdhsa_exception_fp_ieee_overflow 0
		.amdhsa_exception_fp_ieee_underflow 0
		.amdhsa_exception_fp_ieee_inexact 0
		.amdhsa_exception_int_div_zero 0
	.end_amdhsa_kernel
	.section	.text._ZN7rocprim17ROCPRIM_400000_NS6detail17trampoline_kernelINS0_14default_configENS1_35radix_sort_onesweep_config_selectorIbiEEZZNS1_29radix_sort_onesweep_iterationIS3_Lb1EN6thrust23THRUST_200600_302600_NS6detail15normal_iteratorINS8_10device_ptrIbEEEESD_NSA_INSB_IiEEEESF_jNS0_19identity_decomposerENS1_16block_id_wrapperIjLb1EEEEE10hipError_tT1_PNSt15iterator_traitsISK_E10value_typeET2_T3_PNSL_ISQ_E10value_typeET4_T5_PSV_SW_PNS1_23onesweep_lookback_stateEbbT6_jjT7_P12ihipStream_tbENKUlT_T0_SK_SP_E_clIPbSD_PiSF_EEDaS13_S14_SK_SP_EUlS13_E_NS1_11comp_targetILNS1_3genE5ELNS1_11target_archE942ELNS1_3gpuE9ELNS1_3repE0EEENS1_47radix_sort_onesweep_sort_config_static_selectorELNS0_4arch9wavefront6targetE1EEEvSK_,"axG",@progbits,_ZN7rocprim17ROCPRIM_400000_NS6detail17trampoline_kernelINS0_14default_configENS1_35radix_sort_onesweep_config_selectorIbiEEZZNS1_29radix_sort_onesweep_iterationIS3_Lb1EN6thrust23THRUST_200600_302600_NS6detail15normal_iteratorINS8_10device_ptrIbEEEESD_NSA_INSB_IiEEEESF_jNS0_19identity_decomposerENS1_16block_id_wrapperIjLb1EEEEE10hipError_tT1_PNSt15iterator_traitsISK_E10value_typeET2_T3_PNSL_ISQ_E10value_typeET4_T5_PSV_SW_PNS1_23onesweep_lookback_stateEbbT6_jjT7_P12ihipStream_tbENKUlT_T0_SK_SP_E_clIPbSD_PiSF_EEDaS13_S14_SK_SP_EUlS13_E_NS1_11comp_targetILNS1_3genE5ELNS1_11target_archE942ELNS1_3gpuE9ELNS1_3repE0EEENS1_47radix_sort_onesweep_sort_config_static_selectorELNS0_4arch9wavefront6targetE1EEEvSK_,comdat
.Lfunc_end2238:
	.size	_ZN7rocprim17ROCPRIM_400000_NS6detail17trampoline_kernelINS0_14default_configENS1_35radix_sort_onesweep_config_selectorIbiEEZZNS1_29radix_sort_onesweep_iterationIS3_Lb1EN6thrust23THRUST_200600_302600_NS6detail15normal_iteratorINS8_10device_ptrIbEEEESD_NSA_INSB_IiEEEESF_jNS0_19identity_decomposerENS1_16block_id_wrapperIjLb1EEEEE10hipError_tT1_PNSt15iterator_traitsISK_E10value_typeET2_T3_PNSL_ISQ_E10value_typeET4_T5_PSV_SW_PNS1_23onesweep_lookback_stateEbbT6_jjT7_P12ihipStream_tbENKUlT_T0_SK_SP_E_clIPbSD_PiSF_EEDaS13_S14_SK_SP_EUlS13_E_NS1_11comp_targetILNS1_3genE5ELNS1_11target_archE942ELNS1_3gpuE9ELNS1_3repE0EEENS1_47radix_sort_onesweep_sort_config_static_selectorELNS0_4arch9wavefront6targetE1EEEvSK_, .Lfunc_end2238-_ZN7rocprim17ROCPRIM_400000_NS6detail17trampoline_kernelINS0_14default_configENS1_35radix_sort_onesweep_config_selectorIbiEEZZNS1_29radix_sort_onesweep_iterationIS3_Lb1EN6thrust23THRUST_200600_302600_NS6detail15normal_iteratorINS8_10device_ptrIbEEEESD_NSA_INSB_IiEEEESF_jNS0_19identity_decomposerENS1_16block_id_wrapperIjLb1EEEEE10hipError_tT1_PNSt15iterator_traitsISK_E10value_typeET2_T3_PNSL_ISQ_E10value_typeET4_T5_PSV_SW_PNS1_23onesweep_lookback_stateEbbT6_jjT7_P12ihipStream_tbENKUlT_T0_SK_SP_E_clIPbSD_PiSF_EEDaS13_S14_SK_SP_EUlS13_E_NS1_11comp_targetILNS1_3genE5ELNS1_11target_archE942ELNS1_3gpuE9ELNS1_3repE0EEENS1_47radix_sort_onesweep_sort_config_static_selectorELNS0_4arch9wavefront6targetE1EEEvSK_
                                        ; -- End function
	.set _ZN7rocprim17ROCPRIM_400000_NS6detail17trampoline_kernelINS0_14default_configENS1_35radix_sort_onesweep_config_selectorIbiEEZZNS1_29radix_sort_onesweep_iterationIS3_Lb1EN6thrust23THRUST_200600_302600_NS6detail15normal_iteratorINS8_10device_ptrIbEEEESD_NSA_INSB_IiEEEESF_jNS0_19identity_decomposerENS1_16block_id_wrapperIjLb1EEEEE10hipError_tT1_PNSt15iterator_traitsISK_E10value_typeET2_T3_PNSL_ISQ_E10value_typeET4_T5_PSV_SW_PNS1_23onesweep_lookback_stateEbbT6_jjT7_P12ihipStream_tbENKUlT_T0_SK_SP_E_clIPbSD_PiSF_EEDaS13_S14_SK_SP_EUlS13_E_NS1_11comp_targetILNS1_3genE5ELNS1_11target_archE942ELNS1_3gpuE9ELNS1_3repE0EEENS1_47radix_sort_onesweep_sort_config_static_selectorELNS0_4arch9wavefront6targetE1EEEvSK_.num_vgpr, 0
	.set _ZN7rocprim17ROCPRIM_400000_NS6detail17trampoline_kernelINS0_14default_configENS1_35radix_sort_onesweep_config_selectorIbiEEZZNS1_29radix_sort_onesweep_iterationIS3_Lb1EN6thrust23THRUST_200600_302600_NS6detail15normal_iteratorINS8_10device_ptrIbEEEESD_NSA_INSB_IiEEEESF_jNS0_19identity_decomposerENS1_16block_id_wrapperIjLb1EEEEE10hipError_tT1_PNSt15iterator_traitsISK_E10value_typeET2_T3_PNSL_ISQ_E10value_typeET4_T5_PSV_SW_PNS1_23onesweep_lookback_stateEbbT6_jjT7_P12ihipStream_tbENKUlT_T0_SK_SP_E_clIPbSD_PiSF_EEDaS13_S14_SK_SP_EUlS13_E_NS1_11comp_targetILNS1_3genE5ELNS1_11target_archE942ELNS1_3gpuE9ELNS1_3repE0EEENS1_47radix_sort_onesweep_sort_config_static_selectorELNS0_4arch9wavefront6targetE1EEEvSK_.num_agpr, 0
	.set _ZN7rocprim17ROCPRIM_400000_NS6detail17trampoline_kernelINS0_14default_configENS1_35radix_sort_onesweep_config_selectorIbiEEZZNS1_29radix_sort_onesweep_iterationIS3_Lb1EN6thrust23THRUST_200600_302600_NS6detail15normal_iteratorINS8_10device_ptrIbEEEESD_NSA_INSB_IiEEEESF_jNS0_19identity_decomposerENS1_16block_id_wrapperIjLb1EEEEE10hipError_tT1_PNSt15iterator_traitsISK_E10value_typeET2_T3_PNSL_ISQ_E10value_typeET4_T5_PSV_SW_PNS1_23onesweep_lookback_stateEbbT6_jjT7_P12ihipStream_tbENKUlT_T0_SK_SP_E_clIPbSD_PiSF_EEDaS13_S14_SK_SP_EUlS13_E_NS1_11comp_targetILNS1_3genE5ELNS1_11target_archE942ELNS1_3gpuE9ELNS1_3repE0EEENS1_47radix_sort_onesweep_sort_config_static_selectorELNS0_4arch9wavefront6targetE1EEEvSK_.numbered_sgpr, 0
	.set _ZN7rocprim17ROCPRIM_400000_NS6detail17trampoline_kernelINS0_14default_configENS1_35radix_sort_onesweep_config_selectorIbiEEZZNS1_29radix_sort_onesweep_iterationIS3_Lb1EN6thrust23THRUST_200600_302600_NS6detail15normal_iteratorINS8_10device_ptrIbEEEESD_NSA_INSB_IiEEEESF_jNS0_19identity_decomposerENS1_16block_id_wrapperIjLb1EEEEE10hipError_tT1_PNSt15iterator_traitsISK_E10value_typeET2_T3_PNSL_ISQ_E10value_typeET4_T5_PSV_SW_PNS1_23onesweep_lookback_stateEbbT6_jjT7_P12ihipStream_tbENKUlT_T0_SK_SP_E_clIPbSD_PiSF_EEDaS13_S14_SK_SP_EUlS13_E_NS1_11comp_targetILNS1_3genE5ELNS1_11target_archE942ELNS1_3gpuE9ELNS1_3repE0EEENS1_47radix_sort_onesweep_sort_config_static_selectorELNS0_4arch9wavefront6targetE1EEEvSK_.num_named_barrier, 0
	.set _ZN7rocprim17ROCPRIM_400000_NS6detail17trampoline_kernelINS0_14default_configENS1_35radix_sort_onesweep_config_selectorIbiEEZZNS1_29radix_sort_onesweep_iterationIS3_Lb1EN6thrust23THRUST_200600_302600_NS6detail15normal_iteratorINS8_10device_ptrIbEEEESD_NSA_INSB_IiEEEESF_jNS0_19identity_decomposerENS1_16block_id_wrapperIjLb1EEEEE10hipError_tT1_PNSt15iterator_traitsISK_E10value_typeET2_T3_PNSL_ISQ_E10value_typeET4_T5_PSV_SW_PNS1_23onesweep_lookback_stateEbbT6_jjT7_P12ihipStream_tbENKUlT_T0_SK_SP_E_clIPbSD_PiSF_EEDaS13_S14_SK_SP_EUlS13_E_NS1_11comp_targetILNS1_3genE5ELNS1_11target_archE942ELNS1_3gpuE9ELNS1_3repE0EEENS1_47radix_sort_onesweep_sort_config_static_selectorELNS0_4arch9wavefront6targetE1EEEvSK_.private_seg_size, 0
	.set _ZN7rocprim17ROCPRIM_400000_NS6detail17trampoline_kernelINS0_14default_configENS1_35radix_sort_onesweep_config_selectorIbiEEZZNS1_29radix_sort_onesweep_iterationIS3_Lb1EN6thrust23THRUST_200600_302600_NS6detail15normal_iteratorINS8_10device_ptrIbEEEESD_NSA_INSB_IiEEEESF_jNS0_19identity_decomposerENS1_16block_id_wrapperIjLb1EEEEE10hipError_tT1_PNSt15iterator_traitsISK_E10value_typeET2_T3_PNSL_ISQ_E10value_typeET4_T5_PSV_SW_PNS1_23onesweep_lookback_stateEbbT6_jjT7_P12ihipStream_tbENKUlT_T0_SK_SP_E_clIPbSD_PiSF_EEDaS13_S14_SK_SP_EUlS13_E_NS1_11comp_targetILNS1_3genE5ELNS1_11target_archE942ELNS1_3gpuE9ELNS1_3repE0EEENS1_47radix_sort_onesweep_sort_config_static_selectorELNS0_4arch9wavefront6targetE1EEEvSK_.uses_vcc, 0
	.set _ZN7rocprim17ROCPRIM_400000_NS6detail17trampoline_kernelINS0_14default_configENS1_35radix_sort_onesweep_config_selectorIbiEEZZNS1_29radix_sort_onesweep_iterationIS3_Lb1EN6thrust23THRUST_200600_302600_NS6detail15normal_iteratorINS8_10device_ptrIbEEEESD_NSA_INSB_IiEEEESF_jNS0_19identity_decomposerENS1_16block_id_wrapperIjLb1EEEEE10hipError_tT1_PNSt15iterator_traitsISK_E10value_typeET2_T3_PNSL_ISQ_E10value_typeET4_T5_PSV_SW_PNS1_23onesweep_lookback_stateEbbT6_jjT7_P12ihipStream_tbENKUlT_T0_SK_SP_E_clIPbSD_PiSF_EEDaS13_S14_SK_SP_EUlS13_E_NS1_11comp_targetILNS1_3genE5ELNS1_11target_archE942ELNS1_3gpuE9ELNS1_3repE0EEENS1_47radix_sort_onesweep_sort_config_static_selectorELNS0_4arch9wavefront6targetE1EEEvSK_.uses_flat_scratch, 0
	.set _ZN7rocprim17ROCPRIM_400000_NS6detail17trampoline_kernelINS0_14default_configENS1_35radix_sort_onesweep_config_selectorIbiEEZZNS1_29radix_sort_onesweep_iterationIS3_Lb1EN6thrust23THRUST_200600_302600_NS6detail15normal_iteratorINS8_10device_ptrIbEEEESD_NSA_INSB_IiEEEESF_jNS0_19identity_decomposerENS1_16block_id_wrapperIjLb1EEEEE10hipError_tT1_PNSt15iterator_traitsISK_E10value_typeET2_T3_PNSL_ISQ_E10value_typeET4_T5_PSV_SW_PNS1_23onesweep_lookback_stateEbbT6_jjT7_P12ihipStream_tbENKUlT_T0_SK_SP_E_clIPbSD_PiSF_EEDaS13_S14_SK_SP_EUlS13_E_NS1_11comp_targetILNS1_3genE5ELNS1_11target_archE942ELNS1_3gpuE9ELNS1_3repE0EEENS1_47radix_sort_onesweep_sort_config_static_selectorELNS0_4arch9wavefront6targetE1EEEvSK_.has_dyn_sized_stack, 0
	.set _ZN7rocprim17ROCPRIM_400000_NS6detail17trampoline_kernelINS0_14default_configENS1_35radix_sort_onesweep_config_selectorIbiEEZZNS1_29radix_sort_onesweep_iterationIS3_Lb1EN6thrust23THRUST_200600_302600_NS6detail15normal_iteratorINS8_10device_ptrIbEEEESD_NSA_INSB_IiEEEESF_jNS0_19identity_decomposerENS1_16block_id_wrapperIjLb1EEEEE10hipError_tT1_PNSt15iterator_traitsISK_E10value_typeET2_T3_PNSL_ISQ_E10value_typeET4_T5_PSV_SW_PNS1_23onesweep_lookback_stateEbbT6_jjT7_P12ihipStream_tbENKUlT_T0_SK_SP_E_clIPbSD_PiSF_EEDaS13_S14_SK_SP_EUlS13_E_NS1_11comp_targetILNS1_3genE5ELNS1_11target_archE942ELNS1_3gpuE9ELNS1_3repE0EEENS1_47radix_sort_onesweep_sort_config_static_selectorELNS0_4arch9wavefront6targetE1EEEvSK_.has_recursion, 0
	.set _ZN7rocprim17ROCPRIM_400000_NS6detail17trampoline_kernelINS0_14default_configENS1_35radix_sort_onesweep_config_selectorIbiEEZZNS1_29radix_sort_onesweep_iterationIS3_Lb1EN6thrust23THRUST_200600_302600_NS6detail15normal_iteratorINS8_10device_ptrIbEEEESD_NSA_INSB_IiEEEESF_jNS0_19identity_decomposerENS1_16block_id_wrapperIjLb1EEEEE10hipError_tT1_PNSt15iterator_traitsISK_E10value_typeET2_T3_PNSL_ISQ_E10value_typeET4_T5_PSV_SW_PNS1_23onesweep_lookback_stateEbbT6_jjT7_P12ihipStream_tbENKUlT_T0_SK_SP_E_clIPbSD_PiSF_EEDaS13_S14_SK_SP_EUlS13_E_NS1_11comp_targetILNS1_3genE5ELNS1_11target_archE942ELNS1_3gpuE9ELNS1_3repE0EEENS1_47radix_sort_onesweep_sort_config_static_selectorELNS0_4arch9wavefront6targetE1EEEvSK_.has_indirect_call, 0
	.section	.AMDGPU.csdata,"",@progbits
; Kernel info:
; codeLenInByte = 0
; TotalNumSgprs: 6
; NumVgprs: 0
; NumAgprs: 0
; TotalNumVgprs: 0
; ScratchSize: 0
; MemoryBound: 0
; FloatMode: 240
; IeeeMode: 1
; LDSByteSize: 0 bytes/workgroup (compile time only)
; SGPRBlocks: 0
; VGPRBlocks: 0
; NumSGPRsForWavesPerEU: 6
; NumVGPRsForWavesPerEU: 1
; AccumOffset: 4
; Occupancy: 8
; WaveLimiterHint : 0
; COMPUTE_PGM_RSRC2:SCRATCH_EN: 0
; COMPUTE_PGM_RSRC2:USER_SGPR: 2
; COMPUTE_PGM_RSRC2:TRAP_HANDLER: 0
; COMPUTE_PGM_RSRC2:TGID_X_EN: 1
; COMPUTE_PGM_RSRC2:TGID_Y_EN: 0
; COMPUTE_PGM_RSRC2:TGID_Z_EN: 0
; COMPUTE_PGM_RSRC2:TIDIG_COMP_CNT: 0
; COMPUTE_PGM_RSRC3_GFX90A:ACCUM_OFFSET: 0
; COMPUTE_PGM_RSRC3_GFX90A:TG_SPLIT: 0
	.section	.text._ZN7rocprim17ROCPRIM_400000_NS6detail17trampoline_kernelINS0_14default_configENS1_35radix_sort_onesweep_config_selectorIbiEEZZNS1_29radix_sort_onesweep_iterationIS3_Lb1EN6thrust23THRUST_200600_302600_NS6detail15normal_iteratorINS8_10device_ptrIbEEEESD_NSA_INSB_IiEEEESF_jNS0_19identity_decomposerENS1_16block_id_wrapperIjLb1EEEEE10hipError_tT1_PNSt15iterator_traitsISK_E10value_typeET2_T3_PNSL_ISQ_E10value_typeET4_T5_PSV_SW_PNS1_23onesweep_lookback_stateEbbT6_jjT7_P12ihipStream_tbENKUlT_T0_SK_SP_E_clIPbSD_PiSF_EEDaS13_S14_SK_SP_EUlS13_E_NS1_11comp_targetILNS1_3genE2ELNS1_11target_archE906ELNS1_3gpuE6ELNS1_3repE0EEENS1_47radix_sort_onesweep_sort_config_static_selectorELNS0_4arch9wavefront6targetE1EEEvSK_,"axG",@progbits,_ZN7rocprim17ROCPRIM_400000_NS6detail17trampoline_kernelINS0_14default_configENS1_35radix_sort_onesweep_config_selectorIbiEEZZNS1_29radix_sort_onesweep_iterationIS3_Lb1EN6thrust23THRUST_200600_302600_NS6detail15normal_iteratorINS8_10device_ptrIbEEEESD_NSA_INSB_IiEEEESF_jNS0_19identity_decomposerENS1_16block_id_wrapperIjLb1EEEEE10hipError_tT1_PNSt15iterator_traitsISK_E10value_typeET2_T3_PNSL_ISQ_E10value_typeET4_T5_PSV_SW_PNS1_23onesweep_lookback_stateEbbT6_jjT7_P12ihipStream_tbENKUlT_T0_SK_SP_E_clIPbSD_PiSF_EEDaS13_S14_SK_SP_EUlS13_E_NS1_11comp_targetILNS1_3genE2ELNS1_11target_archE906ELNS1_3gpuE6ELNS1_3repE0EEENS1_47radix_sort_onesweep_sort_config_static_selectorELNS0_4arch9wavefront6targetE1EEEvSK_,comdat
	.protected	_ZN7rocprim17ROCPRIM_400000_NS6detail17trampoline_kernelINS0_14default_configENS1_35radix_sort_onesweep_config_selectorIbiEEZZNS1_29radix_sort_onesweep_iterationIS3_Lb1EN6thrust23THRUST_200600_302600_NS6detail15normal_iteratorINS8_10device_ptrIbEEEESD_NSA_INSB_IiEEEESF_jNS0_19identity_decomposerENS1_16block_id_wrapperIjLb1EEEEE10hipError_tT1_PNSt15iterator_traitsISK_E10value_typeET2_T3_PNSL_ISQ_E10value_typeET4_T5_PSV_SW_PNS1_23onesweep_lookback_stateEbbT6_jjT7_P12ihipStream_tbENKUlT_T0_SK_SP_E_clIPbSD_PiSF_EEDaS13_S14_SK_SP_EUlS13_E_NS1_11comp_targetILNS1_3genE2ELNS1_11target_archE906ELNS1_3gpuE6ELNS1_3repE0EEENS1_47radix_sort_onesweep_sort_config_static_selectorELNS0_4arch9wavefront6targetE1EEEvSK_ ; -- Begin function _ZN7rocprim17ROCPRIM_400000_NS6detail17trampoline_kernelINS0_14default_configENS1_35radix_sort_onesweep_config_selectorIbiEEZZNS1_29radix_sort_onesweep_iterationIS3_Lb1EN6thrust23THRUST_200600_302600_NS6detail15normal_iteratorINS8_10device_ptrIbEEEESD_NSA_INSB_IiEEEESF_jNS0_19identity_decomposerENS1_16block_id_wrapperIjLb1EEEEE10hipError_tT1_PNSt15iterator_traitsISK_E10value_typeET2_T3_PNSL_ISQ_E10value_typeET4_T5_PSV_SW_PNS1_23onesweep_lookback_stateEbbT6_jjT7_P12ihipStream_tbENKUlT_T0_SK_SP_E_clIPbSD_PiSF_EEDaS13_S14_SK_SP_EUlS13_E_NS1_11comp_targetILNS1_3genE2ELNS1_11target_archE906ELNS1_3gpuE6ELNS1_3repE0EEENS1_47radix_sort_onesweep_sort_config_static_selectorELNS0_4arch9wavefront6targetE1EEEvSK_
	.globl	_ZN7rocprim17ROCPRIM_400000_NS6detail17trampoline_kernelINS0_14default_configENS1_35radix_sort_onesweep_config_selectorIbiEEZZNS1_29radix_sort_onesweep_iterationIS3_Lb1EN6thrust23THRUST_200600_302600_NS6detail15normal_iteratorINS8_10device_ptrIbEEEESD_NSA_INSB_IiEEEESF_jNS0_19identity_decomposerENS1_16block_id_wrapperIjLb1EEEEE10hipError_tT1_PNSt15iterator_traitsISK_E10value_typeET2_T3_PNSL_ISQ_E10value_typeET4_T5_PSV_SW_PNS1_23onesweep_lookback_stateEbbT6_jjT7_P12ihipStream_tbENKUlT_T0_SK_SP_E_clIPbSD_PiSF_EEDaS13_S14_SK_SP_EUlS13_E_NS1_11comp_targetILNS1_3genE2ELNS1_11target_archE906ELNS1_3gpuE6ELNS1_3repE0EEENS1_47radix_sort_onesweep_sort_config_static_selectorELNS0_4arch9wavefront6targetE1EEEvSK_
	.p2align	8
	.type	_ZN7rocprim17ROCPRIM_400000_NS6detail17trampoline_kernelINS0_14default_configENS1_35radix_sort_onesweep_config_selectorIbiEEZZNS1_29radix_sort_onesweep_iterationIS3_Lb1EN6thrust23THRUST_200600_302600_NS6detail15normal_iteratorINS8_10device_ptrIbEEEESD_NSA_INSB_IiEEEESF_jNS0_19identity_decomposerENS1_16block_id_wrapperIjLb1EEEEE10hipError_tT1_PNSt15iterator_traitsISK_E10value_typeET2_T3_PNSL_ISQ_E10value_typeET4_T5_PSV_SW_PNS1_23onesweep_lookback_stateEbbT6_jjT7_P12ihipStream_tbENKUlT_T0_SK_SP_E_clIPbSD_PiSF_EEDaS13_S14_SK_SP_EUlS13_E_NS1_11comp_targetILNS1_3genE2ELNS1_11target_archE906ELNS1_3gpuE6ELNS1_3repE0EEENS1_47radix_sort_onesweep_sort_config_static_selectorELNS0_4arch9wavefront6targetE1EEEvSK_,@function
_ZN7rocprim17ROCPRIM_400000_NS6detail17trampoline_kernelINS0_14default_configENS1_35radix_sort_onesweep_config_selectorIbiEEZZNS1_29radix_sort_onesweep_iterationIS3_Lb1EN6thrust23THRUST_200600_302600_NS6detail15normal_iteratorINS8_10device_ptrIbEEEESD_NSA_INSB_IiEEEESF_jNS0_19identity_decomposerENS1_16block_id_wrapperIjLb1EEEEE10hipError_tT1_PNSt15iterator_traitsISK_E10value_typeET2_T3_PNSL_ISQ_E10value_typeET4_T5_PSV_SW_PNS1_23onesweep_lookback_stateEbbT6_jjT7_P12ihipStream_tbENKUlT_T0_SK_SP_E_clIPbSD_PiSF_EEDaS13_S14_SK_SP_EUlS13_E_NS1_11comp_targetILNS1_3genE2ELNS1_11target_archE906ELNS1_3gpuE6ELNS1_3repE0EEENS1_47radix_sort_onesweep_sort_config_static_selectorELNS0_4arch9wavefront6targetE1EEEvSK_: ; @_ZN7rocprim17ROCPRIM_400000_NS6detail17trampoline_kernelINS0_14default_configENS1_35radix_sort_onesweep_config_selectorIbiEEZZNS1_29radix_sort_onesweep_iterationIS3_Lb1EN6thrust23THRUST_200600_302600_NS6detail15normal_iteratorINS8_10device_ptrIbEEEESD_NSA_INSB_IiEEEESF_jNS0_19identity_decomposerENS1_16block_id_wrapperIjLb1EEEEE10hipError_tT1_PNSt15iterator_traitsISK_E10value_typeET2_T3_PNSL_ISQ_E10value_typeET4_T5_PSV_SW_PNS1_23onesweep_lookback_stateEbbT6_jjT7_P12ihipStream_tbENKUlT_T0_SK_SP_E_clIPbSD_PiSF_EEDaS13_S14_SK_SP_EUlS13_E_NS1_11comp_targetILNS1_3genE2ELNS1_11target_archE906ELNS1_3gpuE6ELNS1_3repE0EEENS1_47radix_sort_onesweep_sort_config_static_selectorELNS0_4arch9wavefront6targetE1EEEvSK_
; %bb.0:
	.section	.rodata,"a",@progbits
	.p2align	6, 0x0
	.amdhsa_kernel _ZN7rocprim17ROCPRIM_400000_NS6detail17trampoline_kernelINS0_14default_configENS1_35radix_sort_onesweep_config_selectorIbiEEZZNS1_29radix_sort_onesweep_iterationIS3_Lb1EN6thrust23THRUST_200600_302600_NS6detail15normal_iteratorINS8_10device_ptrIbEEEESD_NSA_INSB_IiEEEESF_jNS0_19identity_decomposerENS1_16block_id_wrapperIjLb1EEEEE10hipError_tT1_PNSt15iterator_traitsISK_E10value_typeET2_T3_PNSL_ISQ_E10value_typeET4_T5_PSV_SW_PNS1_23onesweep_lookback_stateEbbT6_jjT7_P12ihipStream_tbENKUlT_T0_SK_SP_E_clIPbSD_PiSF_EEDaS13_S14_SK_SP_EUlS13_E_NS1_11comp_targetILNS1_3genE2ELNS1_11target_archE906ELNS1_3gpuE6ELNS1_3repE0EEENS1_47radix_sort_onesweep_sort_config_static_selectorELNS0_4arch9wavefront6targetE1EEEvSK_
		.amdhsa_group_segment_fixed_size 0
		.amdhsa_private_segment_fixed_size 0
		.amdhsa_kernarg_size 88
		.amdhsa_user_sgpr_count 2
		.amdhsa_user_sgpr_dispatch_ptr 0
		.amdhsa_user_sgpr_queue_ptr 0
		.amdhsa_user_sgpr_kernarg_segment_ptr 1
		.amdhsa_user_sgpr_dispatch_id 0
		.amdhsa_user_sgpr_kernarg_preload_length 0
		.amdhsa_user_sgpr_kernarg_preload_offset 0
		.amdhsa_user_sgpr_private_segment_size 0
		.amdhsa_uses_dynamic_stack 0
		.amdhsa_enable_private_segment 0
		.amdhsa_system_sgpr_workgroup_id_x 1
		.amdhsa_system_sgpr_workgroup_id_y 0
		.amdhsa_system_sgpr_workgroup_id_z 0
		.amdhsa_system_sgpr_workgroup_info 0
		.amdhsa_system_vgpr_workitem_id 0
		.amdhsa_next_free_vgpr 1
		.amdhsa_next_free_sgpr 0
		.amdhsa_accum_offset 4
		.amdhsa_reserve_vcc 0
		.amdhsa_float_round_mode_32 0
		.amdhsa_float_round_mode_16_64 0
		.amdhsa_float_denorm_mode_32 3
		.amdhsa_float_denorm_mode_16_64 3
		.amdhsa_dx10_clamp 1
		.amdhsa_ieee_mode 1
		.amdhsa_fp16_overflow 0
		.amdhsa_tg_split 0
		.amdhsa_exception_fp_ieee_invalid_op 0
		.amdhsa_exception_fp_denorm_src 0
		.amdhsa_exception_fp_ieee_div_zero 0
		.amdhsa_exception_fp_ieee_overflow 0
		.amdhsa_exception_fp_ieee_underflow 0
		.amdhsa_exception_fp_ieee_inexact 0
		.amdhsa_exception_int_div_zero 0
	.end_amdhsa_kernel
	.section	.text._ZN7rocprim17ROCPRIM_400000_NS6detail17trampoline_kernelINS0_14default_configENS1_35radix_sort_onesweep_config_selectorIbiEEZZNS1_29radix_sort_onesweep_iterationIS3_Lb1EN6thrust23THRUST_200600_302600_NS6detail15normal_iteratorINS8_10device_ptrIbEEEESD_NSA_INSB_IiEEEESF_jNS0_19identity_decomposerENS1_16block_id_wrapperIjLb1EEEEE10hipError_tT1_PNSt15iterator_traitsISK_E10value_typeET2_T3_PNSL_ISQ_E10value_typeET4_T5_PSV_SW_PNS1_23onesweep_lookback_stateEbbT6_jjT7_P12ihipStream_tbENKUlT_T0_SK_SP_E_clIPbSD_PiSF_EEDaS13_S14_SK_SP_EUlS13_E_NS1_11comp_targetILNS1_3genE2ELNS1_11target_archE906ELNS1_3gpuE6ELNS1_3repE0EEENS1_47radix_sort_onesweep_sort_config_static_selectorELNS0_4arch9wavefront6targetE1EEEvSK_,"axG",@progbits,_ZN7rocprim17ROCPRIM_400000_NS6detail17trampoline_kernelINS0_14default_configENS1_35radix_sort_onesweep_config_selectorIbiEEZZNS1_29radix_sort_onesweep_iterationIS3_Lb1EN6thrust23THRUST_200600_302600_NS6detail15normal_iteratorINS8_10device_ptrIbEEEESD_NSA_INSB_IiEEEESF_jNS0_19identity_decomposerENS1_16block_id_wrapperIjLb1EEEEE10hipError_tT1_PNSt15iterator_traitsISK_E10value_typeET2_T3_PNSL_ISQ_E10value_typeET4_T5_PSV_SW_PNS1_23onesweep_lookback_stateEbbT6_jjT7_P12ihipStream_tbENKUlT_T0_SK_SP_E_clIPbSD_PiSF_EEDaS13_S14_SK_SP_EUlS13_E_NS1_11comp_targetILNS1_3genE2ELNS1_11target_archE906ELNS1_3gpuE6ELNS1_3repE0EEENS1_47radix_sort_onesweep_sort_config_static_selectorELNS0_4arch9wavefront6targetE1EEEvSK_,comdat
.Lfunc_end2239:
	.size	_ZN7rocprim17ROCPRIM_400000_NS6detail17trampoline_kernelINS0_14default_configENS1_35radix_sort_onesweep_config_selectorIbiEEZZNS1_29radix_sort_onesweep_iterationIS3_Lb1EN6thrust23THRUST_200600_302600_NS6detail15normal_iteratorINS8_10device_ptrIbEEEESD_NSA_INSB_IiEEEESF_jNS0_19identity_decomposerENS1_16block_id_wrapperIjLb1EEEEE10hipError_tT1_PNSt15iterator_traitsISK_E10value_typeET2_T3_PNSL_ISQ_E10value_typeET4_T5_PSV_SW_PNS1_23onesweep_lookback_stateEbbT6_jjT7_P12ihipStream_tbENKUlT_T0_SK_SP_E_clIPbSD_PiSF_EEDaS13_S14_SK_SP_EUlS13_E_NS1_11comp_targetILNS1_3genE2ELNS1_11target_archE906ELNS1_3gpuE6ELNS1_3repE0EEENS1_47radix_sort_onesweep_sort_config_static_selectorELNS0_4arch9wavefront6targetE1EEEvSK_, .Lfunc_end2239-_ZN7rocprim17ROCPRIM_400000_NS6detail17trampoline_kernelINS0_14default_configENS1_35radix_sort_onesweep_config_selectorIbiEEZZNS1_29radix_sort_onesweep_iterationIS3_Lb1EN6thrust23THRUST_200600_302600_NS6detail15normal_iteratorINS8_10device_ptrIbEEEESD_NSA_INSB_IiEEEESF_jNS0_19identity_decomposerENS1_16block_id_wrapperIjLb1EEEEE10hipError_tT1_PNSt15iterator_traitsISK_E10value_typeET2_T3_PNSL_ISQ_E10value_typeET4_T5_PSV_SW_PNS1_23onesweep_lookback_stateEbbT6_jjT7_P12ihipStream_tbENKUlT_T0_SK_SP_E_clIPbSD_PiSF_EEDaS13_S14_SK_SP_EUlS13_E_NS1_11comp_targetILNS1_3genE2ELNS1_11target_archE906ELNS1_3gpuE6ELNS1_3repE0EEENS1_47radix_sort_onesweep_sort_config_static_selectorELNS0_4arch9wavefront6targetE1EEEvSK_
                                        ; -- End function
	.set _ZN7rocprim17ROCPRIM_400000_NS6detail17trampoline_kernelINS0_14default_configENS1_35radix_sort_onesweep_config_selectorIbiEEZZNS1_29radix_sort_onesweep_iterationIS3_Lb1EN6thrust23THRUST_200600_302600_NS6detail15normal_iteratorINS8_10device_ptrIbEEEESD_NSA_INSB_IiEEEESF_jNS0_19identity_decomposerENS1_16block_id_wrapperIjLb1EEEEE10hipError_tT1_PNSt15iterator_traitsISK_E10value_typeET2_T3_PNSL_ISQ_E10value_typeET4_T5_PSV_SW_PNS1_23onesweep_lookback_stateEbbT6_jjT7_P12ihipStream_tbENKUlT_T0_SK_SP_E_clIPbSD_PiSF_EEDaS13_S14_SK_SP_EUlS13_E_NS1_11comp_targetILNS1_3genE2ELNS1_11target_archE906ELNS1_3gpuE6ELNS1_3repE0EEENS1_47radix_sort_onesweep_sort_config_static_selectorELNS0_4arch9wavefront6targetE1EEEvSK_.num_vgpr, 0
	.set _ZN7rocprim17ROCPRIM_400000_NS6detail17trampoline_kernelINS0_14default_configENS1_35radix_sort_onesweep_config_selectorIbiEEZZNS1_29radix_sort_onesweep_iterationIS3_Lb1EN6thrust23THRUST_200600_302600_NS6detail15normal_iteratorINS8_10device_ptrIbEEEESD_NSA_INSB_IiEEEESF_jNS0_19identity_decomposerENS1_16block_id_wrapperIjLb1EEEEE10hipError_tT1_PNSt15iterator_traitsISK_E10value_typeET2_T3_PNSL_ISQ_E10value_typeET4_T5_PSV_SW_PNS1_23onesweep_lookback_stateEbbT6_jjT7_P12ihipStream_tbENKUlT_T0_SK_SP_E_clIPbSD_PiSF_EEDaS13_S14_SK_SP_EUlS13_E_NS1_11comp_targetILNS1_3genE2ELNS1_11target_archE906ELNS1_3gpuE6ELNS1_3repE0EEENS1_47radix_sort_onesweep_sort_config_static_selectorELNS0_4arch9wavefront6targetE1EEEvSK_.num_agpr, 0
	.set _ZN7rocprim17ROCPRIM_400000_NS6detail17trampoline_kernelINS0_14default_configENS1_35radix_sort_onesweep_config_selectorIbiEEZZNS1_29radix_sort_onesweep_iterationIS3_Lb1EN6thrust23THRUST_200600_302600_NS6detail15normal_iteratorINS8_10device_ptrIbEEEESD_NSA_INSB_IiEEEESF_jNS0_19identity_decomposerENS1_16block_id_wrapperIjLb1EEEEE10hipError_tT1_PNSt15iterator_traitsISK_E10value_typeET2_T3_PNSL_ISQ_E10value_typeET4_T5_PSV_SW_PNS1_23onesweep_lookback_stateEbbT6_jjT7_P12ihipStream_tbENKUlT_T0_SK_SP_E_clIPbSD_PiSF_EEDaS13_S14_SK_SP_EUlS13_E_NS1_11comp_targetILNS1_3genE2ELNS1_11target_archE906ELNS1_3gpuE6ELNS1_3repE0EEENS1_47radix_sort_onesweep_sort_config_static_selectorELNS0_4arch9wavefront6targetE1EEEvSK_.numbered_sgpr, 0
	.set _ZN7rocprim17ROCPRIM_400000_NS6detail17trampoline_kernelINS0_14default_configENS1_35radix_sort_onesweep_config_selectorIbiEEZZNS1_29radix_sort_onesweep_iterationIS3_Lb1EN6thrust23THRUST_200600_302600_NS6detail15normal_iteratorINS8_10device_ptrIbEEEESD_NSA_INSB_IiEEEESF_jNS0_19identity_decomposerENS1_16block_id_wrapperIjLb1EEEEE10hipError_tT1_PNSt15iterator_traitsISK_E10value_typeET2_T3_PNSL_ISQ_E10value_typeET4_T5_PSV_SW_PNS1_23onesweep_lookback_stateEbbT6_jjT7_P12ihipStream_tbENKUlT_T0_SK_SP_E_clIPbSD_PiSF_EEDaS13_S14_SK_SP_EUlS13_E_NS1_11comp_targetILNS1_3genE2ELNS1_11target_archE906ELNS1_3gpuE6ELNS1_3repE0EEENS1_47radix_sort_onesweep_sort_config_static_selectorELNS0_4arch9wavefront6targetE1EEEvSK_.num_named_barrier, 0
	.set _ZN7rocprim17ROCPRIM_400000_NS6detail17trampoline_kernelINS0_14default_configENS1_35radix_sort_onesweep_config_selectorIbiEEZZNS1_29radix_sort_onesweep_iterationIS3_Lb1EN6thrust23THRUST_200600_302600_NS6detail15normal_iteratorINS8_10device_ptrIbEEEESD_NSA_INSB_IiEEEESF_jNS0_19identity_decomposerENS1_16block_id_wrapperIjLb1EEEEE10hipError_tT1_PNSt15iterator_traitsISK_E10value_typeET2_T3_PNSL_ISQ_E10value_typeET4_T5_PSV_SW_PNS1_23onesweep_lookback_stateEbbT6_jjT7_P12ihipStream_tbENKUlT_T0_SK_SP_E_clIPbSD_PiSF_EEDaS13_S14_SK_SP_EUlS13_E_NS1_11comp_targetILNS1_3genE2ELNS1_11target_archE906ELNS1_3gpuE6ELNS1_3repE0EEENS1_47radix_sort_onesweep_sort_config_static_selectorELNS0_4arch9wavefront6targetE1EEEvSK_.private_seg_size, 0
	.set _ZN7rocprim17ROCPRIM_400000_NS6detail17trampoline_kernelINS0_14default_configENS1_35radix_sort_onesweep_config_selectorIbiEEZZNS1_29radix_sort_onesweep_iterationIS3_Lb1EN6thrust23THRUST_200600_302600_NS6detail15normal_iteratorINS8_10device_ptrIbEEEESD_NSA_INSB_IiEEEESF_jNS0_19identity_decomposerENS1_16block_id_wrapperIjLb1EEEEE10hipError_tT1_PNSt15iterator_traitsISK_E10value_typeET2_T3_PNSL_ISQ_E10value_typeET4_T5_PSV_SW_PNS1_23onesweep_lookback_stateEbbT6_jjT7_P12ihipStream_tbENKUlT_T0_SK_SP_E_clIPbSD_PiSF_EEDaS13_S14_SK_SP_EUlS13_E_NS1_11comp_targetILNS1_3genE2ELNS1_11target_archE906ELNS1_3gpuE6ELNS1_3repE0EEENS1_47radix_sort_onesweep_sort_config_static_selectorELNS0_4arch9wavefront6targetE1EEEvSK_.uses_vcc, 0
	.set _ZN7rocprim17ROCPRIM_400000_NS6detail17trampoline_kernelINS0_14default_configENS1_35radix_sort_onesweep_config_selectorIbiEEZZNS1_29radix_sort_onesweep_iterationIS3_Lb1EN6thrust23THRUST_200600_302600_NS6detail15normal_iteratorINS8_10device_ptrIbEEEESD_NSA_INSB_IiEEEESF_jNS0_19identity_decomposerENS1_16block_id_wrapperIjLb1EEEEE10hipError_tT1_PNSt15iterator_traitsISK_E10value_typeET2_T3_PNSL_ISQ_E10value_typeET4_T5_PSV_SW_PNS1_23onesweep_lookback_stateEbbT6_jjT7_P12ihipStream_tbENKUlT_T0_SK_SP_E_clIPbSD_PiSF_EEDaS13_S14_SK_SP_EUlS13_E_NS1_11comp_targetILNS1_3genE2ELNS1_11target_archE906ELNS1_3gpuE6ELNS1_3repE0EEENS1_47radix_sort_onesweep_sort_config_static_selectorELNS0_4arch9wavefront6targetE1EEEvSK_.uses_flat_scratch, 0
	.set _ZN7rocprim17ROCPRIM_400000_NS6detail17trampoline_kernelINS0_14default_configENS1_35radix_sort_onesweep_config_selectorIbiEEZZNS1_29radix_sort_onesweep_iterationIS3_Lb1EN6thrust23THRUST_200600_302600_NS6detail15normal_iteratorINS8_10device_ptrIbEEEESD_NSA_INSB_IiEEEESF_jNS0_19identity_decomposerENS1_16block_id_wrapperIjLb1EEEEE10hipError_tT1_PNSt15iterator_traitsISK_E10value_typeET2_T3_PNSL_ISQ_E10value_typeET4_T5_PSV_SW_PNS1_23onesweep_lookback_stateEbbT6_jjT7_P12ihipStream_tbENKUlT_T0_SK_SP_E_clIPbSD_PiSF_EEDaS13_S14_SK_SP_EUlS13_E_NS1_11comp_targetILNS1_3genE2ELNS1_11target_archE906ELNS1_3gpuE6ELNS1_3repE0EEENS1_47radix_sort_onesweep_sort_config_static_selectorELNS0_4arch9wavefront6targetE1EEEvSK_.has_dyn_sized_stack, 0
	.set _ZN7rocprim17ROCPRIM_400000_NS6detail17trampoline_kernelINS0_14default_configENS1_35radix_sort_onesweep_config_selectorIbiEEZZNS1_29radix_sort_onesweep_iterationIS3_Lb1EN6thrust23THRUST_200600_302600_NS6detail15normal_iteratorINS8_10device_ptrIbEEEESD_NSA_INSB_IiEEEESF_jNS0_19identity_decomposerENS1_16block_id_wrapperIjLb1EEEEE10hipError_tT1_PNSt15iterator_traitsISK_E10value_typeET2_T3_PNSL_ISQ_E10value_typeET4_T5_PSV_SW_PNS1_23onesweep_lookback_stateEbbT6_jjT7_P12ihipStream_tbENKUlT_T0_SK_SP_E_clIPbSD_PiSF_EEDaS13_S14_SK_SP_EUlS13_E_NS1_11comp_targetILNS1_3genE2ELNS1_11target_archE906ELNS1_3gpuE6ELNS1_3repE0EEENS1_47radix_sort_onesweep_sort_config_static_selectorELNS0_4arch9wavefront6targetE1EEEvSK_.has_recursion, 0
	.set _ZN7rocprim17ROCPRIM_400000_NS6detail17trampoline_kernelINS0_14default_configENS1_35radix_sort_onesweep_config_selectorIbiEEZZNS1_29radix_sort_onesweep_iterationIS3_Lb1EN6thrust23THRUST_200600_302600_NS6detail15normal_iteratorINS8_10device_ptrIbEEEESD_NSA_INSB_IiEEEESF_jNS0_19identity_decomposerENS1_16block_id_wrapperIjLb1EEEEE10hipError_tT1_PNSt15iterator_traitsISK_E10value_typeET2_T3_PNSL_ISQ_E10value_typeET4_T5_PSV_SW_PNS1_23onesweep_lookback_stateEbbT6_jjT7_P12ihipStream_tbENKUlT_T0_SK_SP_E_clIPbSD_PiSF_EEDaS13_S14_SK_SP_EUlS13_E_NS1_11comp_targetILNS1_3genE2ELNS1_11target_archE906ELNS1_3gpuE6ELNS1_3repE0EEENS1_47radix_sort_onesweep_sort_config_static_selectorELNS0_4arch9wavefront6targetE1EEEvSK_.has_indirect_call, 0
	.section	.AMDGPU.csdata,"",@progbits
; Kernel info:
; codeLenInByte = 0
; TotalNumSgprs: 6
; NumVgprs: 0
; NumAgprs: 0
; TotalNumVgprs: 0
; ScratchSize: 0
; MemoryBound: 0
; FloatMode: 240
; IeeeMode: 1
; LDSByteSize: 0 bytes/workgroup (compile time only)
; SGPRBlocks: 0
; VGPRBlocks: 0
; NumSGPRsForWavesPerEU: 6
; NumVGPRsForWavesPerEU: 1
; AccumOffset: 4
; Occupancy: 8
; WaveLimiterHint : 0
; COMPUTE_PGM_RSRC2:SCRATCH_EN: 0
; COMPUTE_PGM_RSRC2:USER_SGPR: 2
; COMPUTE_PGM_RSRC2:TRAP_HANDLER: 0
; COMPUTE_PGM_RSRC2:TGID_X_EN: 1
; COMPUTE_PGM_RSRC2:TGID_Y_EN: 0
; COMPUTE_PGM_RSRC2:TGID_Z_EN: 0
; COMPUTE_PGM_RSRC2:TIDIG_COMP_CNT: 0
; COMPUTE_PGM_RSRC3_GFX90A:ACCUM_OFFSET: 0
; COMPUTE_PGM_RSRC3_GFX90A:TG_SPLIT: 0
	.section	.text._ZN7rocprim17ROCPRIM_400000_NS6detail17trampoline_kernelINS0_14default_configENS1_35radix_sort_onesweep_config_selectorIbiEEZZNS1_29radix_sort_onesweep_iterationIS3_Lb1EN6thrust23THRUST_200600_302600_NS6detail15normal_iteratorINS8_10device_ptrIbEEEESD_NSA_INSB_IiEEEESF_jNS0_19identity_decomposerENS1_16block_id_wrapperIjLb1EEEEE10hipError_tT1_PNSt15iterator_traitsISK_E10value_typeET2_T3_PNSL_ISQ_E10value_typeET4_T5_PSV_SW_PNS1_23onesweep_lookback_stateEbbT6_jjT7_P12ihipStream_tbENKUlT_T0_SK_SP_E_clIPbSD_PiSF_EEDaS13_S14_SK_SP_EUlS13_E_NS1_11comp_targetILNS1_3genE4ELNS1_11target_archE910ELNS1_3gpuE8ELNS1_3repE0EEENS1_47radix_sort_onesweep_sort_config_static_selectorELNS0_4arch9wavefront6targetE1EEEvSK_,"axG",@progbits,_ZN7rocprim17ROCPRIM_400000_NS6detail17trampoline_kernelINS0_14default_configENS1_35radix_sort_onesweep_config_selectorIbiEEZZNS1_29radix_sort_onesweep_iterationIS3_Lb1EN6thrust23THRUST_200600_302600_NS6detail15normal_iteratorINS8_10device_ptrIbEEEESD_NSA_INSB_IiEEEESF_jNS0_19identity_decomposerENS1_16block_id_wrapperIjLb1EEEEE10hipError_tT1_PNSt15iterator_traitsISK_E10value_typeET2_T3_PNSL_ISQ_E10value_typeET4_T5_PSV_SW_PNS1_23onesweep_lookback_stateEbbT6_jjT7_P12ihipStream_tbENKUlT_T0_SK_SP_E_clIPbSD_PiSF_EEDaS13_S14_SK_SP_EUlS13_E_NS1_11comp_targetILNS1_3genE4ELNS1_11target_archE910ELNS1_3gpuE8ELNS1_3repE0EEENS1_47radix_sort_onesweep_sort_config_static_selectorELNS0_4arch9wavefront6targetE1EEEvSK_,comdat
	.protected	_ZN7rocprim17ROCPRIM_400000_NS6detail17trampoline_kernelINS0_14default_configENS1_35radix_sort_onesweep_config_selectorIbiEEZZNS1_29radix_sort_onesweep_iterationIS3_Lb1EN6thrust23THRUST_200600_302600_NS6detail15normal_iteratorINS8_10device_ptrIbEEEESD_NSA_INSB_IiEEEESF_jNS0_19identity_decomposerENS1_16block_id_wrapperIjLb1EEEEE10hipError_tT1_PNSt15iterator_traitsISK_E10value_typeET2_T3_PNSL_ISQ_E10value_typeET4_T5_PSV_SW_PNS1_23onesweep_lookback_stateEbbT6_jjT7_P12ihipStream_tbENKUlT_T0_SK_SP_E_clIPbSD_PiSF_EEDaS13_S14_SK_SP_EUlS13_E_NS1_11comp_targetILNS1_3genE4ELNS1_11target_archE910ELNS1_3gpuE8ELNS1_3repE0EEENS1_47radix_sort_onesweep_sort_config_static_selectorELNS0_4arch9wavefront6targetE1EEEvSK_ ; -- Begin function _ZN7rocprim17ROCPRIM_400000_NS6detail17trampoline_kernelINS0_14default_configENS1_35radix_sort_onesweep_config_selectorIbiEEZZNS1_29radix_sort_onesweep_iterationIS3_Lb1EN6thrust23THRUST_200600_302600_NS6detail15normal_iteratorINS8_10device_ptrIbEEEESD_NSA_INSB_IiEEEESF_jNS0_19identity_decomposerENS1_16block_id_wrapperIjLb1EEEEE10hipError_tT1_PNSt15iterator_traitsISK_E10value_typeET2_T3_PNSL_ISQ_E10value_typeET4_T5_PSV_SW_PNS1_23onesweep_lookback_stateEbbT6_jjT7_P12ihipStream_tbENKUlT_T0_SK_SP_E_clIPbSD_PiSF_EEDaS13_S14_SK_SP_EUlS13_E_NS1_11comp_targetILNS1_3genE4ELNS1_11target_archE910ELNS1_3gpuE8ELNS1_3repE0EEENS1_47radix_sort_onesweep_sort_config_static_selectorELNS0_4arch9wavefront6targetE1EEEvSK_
	.globl	_ZN7rocprim17ROCPRIM_400000_NS6detail17trampoline_kernelINS0_14default_configENS1_35radix_sort_onesweep_config_selectorIbiEEZZNS1_29radix_sort_onesweep_iterationIS3_Lb1EN6thrust23THRUST_200600_302600_NS6detail15normal_iteratorINS8_10device_ptrIbEEEESD_NSA_INSB_IiEEEESF_jNS0_19identity_decomposerENS1_16block_id_wrapperIjLb1EEEEE10hipError_tT1_PNSt15iterator_traitsISK_E10value_typeET2_T3_PNSL_ISQ_E10value_typeET4_T5_PSV_SW_PNS1_23onesweep_lookback_stateEbbT6_jjT7_P12ihipStream_tbENKUlT_T0_SK_SP_E_clIPbSD_PiSF_EEDaS13_S14_SK_SP_EUlS13_E_NS1_11comp_targetILNS1_3genE4ELNS1_11target_archE910ELNS1_3gpuE8ELNS1_3repE0EEENS1_47radix_sort_onesweep_sort_config_static_selectorELNS0_4arch9wavefront6targetE1EEEvSK_
	.p2align	8
	.type	_ZN7rocprim17ROCPRIM_400000_NS6detail17trampoline_kernelINS0_14default_configENS1_35radix_sort_onesweep_config_selectorIbiEEZZNS1_29radix_sort_onesweep_iterationIS3_Lb1EN6thrust23THRUST_200600_302600_NS6detail15normal_iteratorINS8_10device_ptrIbEEEESD_NSA_INSB_IiEEEESF_jNS0_19identity_decomposerENS1_16block_id_wrapperIjLb1EEEEE10hipError_tT1_PNSt15iterator_traitsISK_E10value_typeET2_T3_PNSL_ISQ_E10value_typeET4_T5_PSV_SW_PNS1_23onesweep_lookback_stateEbbT6_jjT7_P12ihipStream_tbENKUlT_T0_SK_SP_E_clIPbSD_PiSF_EEDaS13_S14_SK_SP_EUlS13_E_NS1_11comp_targetILNS1_3genE4ELNS1_11target_archE910ELNS1_3gpuE8ELNS1_3repE0EEENS1_47radix_sort_onesweep_sort_config_static_selectorELNS0_4arch9wavefront6targetE1EEEvSK_,@function
_ZN7rocprim17ROCPRIM_400000_NS6detail17trampoline_kernelINS0_14default_configENS1_35radix_sort_onesweep_config_selectorIbiEEZZNS1_29radix_sort_onesweep_iterationIS3_Lb1EN6thrust23THRUST_200600_302600_NS6detail15normal_iteratorINS8_10device_ptrIbEEEESD_NSA_INSB_IiEEEESF_jNS0_19identity_decomposerENS1_16block_id_wrapperIjLb1EEEEE10hipError_tT1_PNSt15iterator_traitsISK_E10value_typeET2_T3_PNSL_ISQ_E10value_typeET4_T5_PSV_SW_PNS1_23onesweep_lookback_stateEbbT6_jjT7_P12ihipStream_tbENKUlT_T0_SK_SP_E_clIPbSD_PiSF_EEDaS13_S14_SK_SP_EUlS13_E_NS1_11comp_targetILNS1_3genE4ELNS1_11target_archE910ELNS1_3gpuE8ELNS1_3repE0EEENS1_47radix_sort_onesweep_sort_config_static_selectorELNS0_4arch9wavefront6targetE1EEEvSK_: ; @_ZN7rocprim17ROCPRIM_400000_NS6detail17trampoline_kernelINS0_14default_configENS1_35radix_sort_onesweep_config_selectorIbiEEZZNS1_29radix_sort_onesweep_iterationIS3_Lb1EN6thrust23THRUST_200600_302600_NS6detail15normal_iteratorINS8_10device_ptrIbEEEESD_NSA_INSB_IiEEEESF_jNS0_19identity_decomposerENS1_16block_id_wrapperIjLb1EEEEE10hipError_tT1_PNSt15iterator_traitsISK_E10value_typeET2_T3_PNSL_ISQ_E10value_typeET4_T5_PSV_SW_PNS1_23onesweep_lookback_stateEbbT6_jjT7_P12ihipStream_tbENKUlT_T0_SK_SP_E_clIPbSD_PiSF_EEDaS13_S14_SK_SP_EUlS13_E_NS1_11comp_targetILNS1_3genE4ELNS1_11target_archE910ELNS1_3gpuE8ELNS1_3repE0EEENS1_47radix_sort_onesweep_sort_config_static_selectorELNS0_4arch9wavefront6targetE1EEEvSK_
; %bb.0:
	.section	.rodata,"a",@progbits
	.p2align	6, 0x0
	.amdhsa_kernel _ZN7rocprim17ROCPRIM_400000_NS6detail17trampoline_kernelINS0_14default_configENS1_35radix_sort_onesweep_config_selectorIbiEEZZNS1_29radix_sort_onesweep_iterationIS3_Lb1EN6thrust23THRUST_200600_302600_NS6detail15normal_iteratorINS8_10device_ptrIbEEEESD_NSA_INSB_IiEEEESF_jNS0_19identity_decomposerENS1_16block_id_wrapperIjLb1EEEEE10hipError_tT1_PNSt15iterator_traitsISK_E10value_typeET2_T3_PNSL_ISQ_E10value_typeET4_T5_PSV_SW_PNS1_23onesweep_lookback_stateEbbT6_jjT7_P12ihipStream_tbENKUlT_T0_SK_SP_E_clIPbSD_PiSF_EEDaS13_S14_SK_SP_EUlS13_E_NS1_11comp_targetILNS1_3genE4ELNS1_11target_archE910ELNS1_3gpuE8ELNS1_3repE0EEENS1_47radix_sort_onesweep_sort_config_static_selectorELNS0_4arch9wavefront6targetE1EEEvSK_
		.amdhsa_group_segment_fixed_size 0
		.amdhsa_private_segment_fixed_size 0
		.amdhsa_kernarg_size 88
		.amdhsa_user_sgpr_count 2
		.amdhsa_user_sgpr_dispatch_ptr 0
		.amdhsa_user_sgpr_queue_ptr 0
		.amdhsa_user_sgpr_kernarg_segment_ptr 1
		.amdhsa_user_sgpr_dispatch_id 0
		.amdhsa_user_sgpr_kernarg_preload_length 0
		.amdhsa_user_sgpr_kernarg_preload_offset 0
		.amdhsa_user_sgpr_private_segment_size 0
		.amdhsa_uses_dynamic_stack 0
		.amdhsa_enable_private_segment 0
		.amdhsa_system_sgpr_workgroup_id_x 1
		.amdhsa_system_sgpr_workgroup_id_y 0
		.amdhsa_system_sgpr_workgroup_id_z 0
		.amdhsa_system_sgpr_workgroup_info 0
		.amdhsa_system_vgpr_workitem_id 0
		.amdhsa_next_free_vgpr 1
		.amdhsa_next_free_sgpr 0
		.amdhsa_accum_offset 4
		.amdhsa_reserve_vcc 0
		.amdhsa_float_round_mode_32 0
		.amdhsa_float_round_mode_16_64 0
		.amdhsa_float_denorm_mode_32 3
		.amdhsa_float_denorm_mode_16_64 3
		.amdhsa_dx10_clamp 1
		.amdhsa_ieee_mode 1
		.amdhsa_fp16_overflow 0
		.amdhsa_tg_split 0
		.amdhsa_exception_fp_ieee_invalid_op 0
		.amdhsa_exception_fp_denorm_src 0
		.amdhsa_exception_fp_ieee_div_zero 0
		.amdhsa_exception_fp_ieee_overflow 0
		.amdhsa_exception_fp_ieee_underflow 0
		.amdhsa_exception_fp_ieee_inexact 0
		.amdhsa_exception_int_div_zero 0
	.end_amdhsa_kernel
	.section	.text._ZN7rocprim17ROCPRIM_400000_NS6detail17trampoline_kernelINS0_14default_configENS1_35radix_sort_onesweep_config_selectorIbiEEZZNS1_29radix_sort_onesweep_iterationIS3_Lb1EN6thrust23THRUST_200600_302600_NS6detail15normal_iteratorINS8_10device_ptrIbEEEESD_NSA_INSB_IiEEEESF_jNS0_19identity_decomposerENS1_16block_id_wrapperIjLb1EEEEE10hipError_tT1_PNSt15iterator_traitsISK_E10value_typeET2_T3_PNSL_ISQ_E10value_typeET4_T5_PSV_SW_PNS1_23onesweep_lookback_stateEbbT6_jjT7_P12ihipStream_tbENKUlT_T0_SK_SP_E_clIPbSD_PiSF_EEDaS13_S14_SK_SP_EUlS13_E_NS1_11comp_targetILNS1_3genE4ELNS1_11target_archE910ELNS1_3gpuE8ELNS1_3repE0EEENS1_47radix_sort_onesweep_sort_config_static_selectorELNS0_4arch9wavefront6targetE1EEEvSK_,"axG",@progbits,_ZN7rocprim17ROCPRIM_400000_NS6detail17trampoline_kernelINS0_14default_configENS1_35radix_sort_onesweep_config_selectorIbiEEZZNS1_29radix_sort_onesweep_iterationIS3_Lb1EN6thrust23THRUST_200600_302600_NS6detail15normal_iteratorINS8_10device_ptrIbEEEESD_NSA_INSB_IiEEEESF_jNS0_19identity_decomposerENS1_16block_id_wrapperIjLb1EEEEE10hipError_tT1_PNSt15iterator_traitsISK_E10value_typeET2_T3_PNSL_ISQ_E10value_typeET4_T5_PSV_SW_PNS1_23onesweep_lookback_stateEbbT6_jjT7_P12ihipStream_tbENKUlT_T0_SK_SP_E_clIPbSD_PiSF_EEDaS13_S14_SK_SP_EUlS13_E_NS1_11comp_targetILNS1_3genE4ELNS1_11target_archE910ELNS1_3gpuE8ELNS1_3repE0EEENS1_47radix_sort_onesweep_sort_config_static_selectorELNS0_4arch9wavefront6targetE1EEEvSK_,comdat
.Lfunc_end2240:
	.size	_ZN7rocprim17ROCPRIM_400000_NS6detail17trampoline_kernelINS0_14default_configENS1_35radix_sort_onesweep_config_selectorIbiEEZZNS1_29radix_sort_onesweep_iterationIS3_Lb1EN6thrust23THRUST_200600_302600_NS6detail15normal_iteratorINS8_10device_ptrIbEEEESD_NSA_INSB_IiEEEESF_jNS0_19identity_decomposerENS1_16block_id_wrapperIjLb1EEEEE10hipError_tT1_PNSt15iterator_traitsISK_E10value_typeET2_T3_PNSL_ISQ_E10value_typeET4_T5_PSV_SW_PNS1_23onesweep_lookback_stateEbbT6_jjT7_P12ihipStream_tbENKUlT_T0_SK_SP_E_clIPbSD_PiSF_EEDaS13_S14_SK_SP_EUlS13_E_NS1_11comp_targetILNS1_3genE4ELNS1_11target_archE910ELNS1_3gpuE8ELNS1_3repE0EEENS1_47radix_sort_onesweep_sort_config_static_selectorELNS0_4arch9wavefront6targetE1EEEvSK_, .Lfunc_end2240-_ZN7rocprim17ROCPRIM_400000_NS6detail17trampoline_kernelINS0_14default_configENS1_35radix_sort_onesweep_config_selectorIbiEEZZNS1_29radix_sort_onesweep_iterationIS3_Lb1EN6thrust23THRUST_200600_302600_NS6detail15normal_iteratorINS8_10device_ptrIbEEEESD_NSA_INSB_IiEEEESF_jNS0_19identity_decomposerENS1_16block_id_wrapperIjLb1EEEEE10hipError_tT1_PNSt15iterator_traitsISK_E10value_typeET2_T3_PNSL_ISQ_E10value_typeET4_T5_PSV_SW_PNS1_23onesweep_lookback_stateEbbT6_jjT7_P12ihipStream_tbENKUlT_T0_SK_SP_E_clIPbSD_PiSF_EEDaS13_S14_SK_SP_EUlS13_E_NS1_11comp_targetILNS1_3genE4ELNS1_11target_archE910ELNS1_3gpuE8ELNS1_3repE0EEENS1_47radix_sort_onesweep_sort_config_static_selectorELNS0_4arch9wavefront6targetE1EEEvSK_
                                        ; -- End function
	.set _ZN7rocprim17ROCPRIM_400000_NS6detail17trampoline_kernelINS0_14default_configENS1_35radix_sort_onesweep_config_selectorIbiEEZZNS1_29radix_sort_onesweep_iterationIS3_Lb1EN6thrust23THRUST_200600_302600_NS6detail15normal_iteratorINS8_10device_ptrIbEEEESD_NSA_INSB_IiEEEESF_jNS0_19identity_decomposerENS1_16block_id_wrapperIjLb1EEEEE10hipError_tT1_PNSt15iterator_traitsISK_E10value_typeET2_T3_PNSL_ISQ_E10value_typeET4_T5_PSV_SW_PNS1_23onesweep_lookback_stateEbbT6_jjT7_P12ihipStream_tbENKUlT_T0_SK_SP_E_clIPbSD_PiSF_EEDaS13_S14_SK_SP_EUlS13_E_NS1_11comp_targetILNS1_3genE4ELNS1_11target_archE910ELNS1_3gpuE8ELNS1_3repE0EEENS1_47radix_sort_onesweep_sort_config_static_selectorELNS0_4arch9wavefront6targetE1EEEvSK_.num_vgpr, 0
	.set _ZN7rocprim17ROCPRIM_400000_NS6detail17trampoline_kernelINS0_14default_configENS1_35radix_sort_onesweep_config_selectorIbiEEZZNS1_29radix_sort_onesweep_iterationIS3_Lb1EN6thrust23THRUST_200600_302600_NS6detail15normal_iteratorINS8_10device_ptrIbEEEESD_NSA_INSB_IiEEEESF_jNS0_19identity_decomposerENS1_16block_id_wrapperIjLb1EEEEE10hipError_tT1_PNSt15iterator_traitsISK_E10value_typeET2_T3_PNSL_ISQ_E10value_typeET4_T5_PSV_SW_PNS1_23onesweep_lookback_stateEbbT6_jjT7_P12ihipStream_tbENKUlT_T0_SK_SP_E_clIPbSD_PiSF_EEDaS13_S14_SK_SP_EUlS13_E_NS1_11comp_targetILNS1_3genE4ELNS1_11target_archE910ELNS1_3gpuE8ELNS1_3repE0EEENS1_47radix_sort_onesweep_sort_config_static_selectorELNS0_4arch9wavefront6targetE1EEEvSK_.num_agpr, 0
	.set _ZN7rocprim17ROCPRIM_400000_NS6detail17trampoline_kernelINS0_14default_configENS1_35radix_sort_onesweep_config_selectorIbiEEZZNS1_29radix_sort_onesweep_iterationIS3_Lb1EN6thrust23THRUST_200600_302600_NS6detail15normal_iteratorINS8_10device_ptrIbEEEESD_NSA_INSB_IiEEEESF_jNS0_19identity_decomposerENS1_16block_id_wrapperIjLb1EEEEE10hipError_tT1_PNSt15iterator_traitsISK_E10value_typeET2_T3_PNSL_ISQ_E10value_typeET4_T5_PSV_SW_PNS1_23onesweep_lookback_stateEbbT6_jjT7_P12ihipStream_tbENKUlT_T0_SK_SP_E_clIPbSD_PiSF_EEDaS13_S14_SK_SP_EUlS13_E_NS1_11comp_targetILNS1_3genE4ELNS1_11target_archE910ELNS1_3gpuE8ELNS1_3repE0EEENS1_47radix_sort_onesweep_sort_config_static_selectorELNS0_4arch9wavefront6targetE1EEEvSK_.numbered_sgpr, 0
	.set _ZN7rocprim17ROCPRIM_400000_NS6detail17trampoline_kernelINS0_14default_configENS1_35radix_sort_onesweep_config_selectorIbiEEZZNS1_29radix_sort_onesweep_iterationIS3_Lb1EN6thrust23THRUST_200600_302600_NS6detail15normal_iteratorINS8_10device_ptrIbEEEESD_NSA_INSB_IiEEEESF_jNS0_19identity_decomposerENS1_16block_id_wrapperIjLb1EEEEE10hipError_tT1_PNSt15iterator_traitsISK_E10value_typeET2_T3_PNSL_ISQ_E10value_typeET4_T5_PSV_SW_PNS1_23onesweep_lookback_stateEbbT6_jjT7_P12ihipStream_tbENKUlT_T0_SK_SP_E_clIPbSD_PiSF_EEDaS13_S14_SK_SP_EUlS13_E_NS1_11comp_targetILNS1_3genE4ELNS1_11target_archE910ELNS1_3gpuE8ELNS1_3repE0EEENS1_47radix_sort_onesweep_sort_config_static_selectorELNS0_4arch9wavefront6targetE1EEEvSK_.num_named_barrier, 0
	.set _ZN7rocprim17ROCPRIM_400000_NS6detail17trampoline_kernelINS0_14default_configENS1_35radix_sort_onesweep_config_selectorIbiEEZZNS1_29radix_sort_onesweep_iterationIS3_Lb1EN6thrust23THRUST_200600_302600_NS6detail15normal_iteratorINS8_10device_ptrIbEEEESD_NSA_INSB_IiEEEESF_jNS0_19identity_decomposerENS1_16block_id_wrapperIjLb1EEEEE10hipError_tT1_PNSt15iterator_traitsISK_E10value_typeET2_T3_PNSL_ISQ_E10value_typeET4_T5_PSV_SW_PNS1_23onesweep_lookback_stateEbbT6_jjT7_P12ihipStream_tbENKUlT_T0_SK_SP_E_clIPbSD_PiSF_EEDaS13_S14_SK_SP_EUlS13_E_NS1_11comp_targetILNS1_3genE4ELNS1_11target_archE910ELNS1_3gpuE8ELNS1_3repE0EEENS1_47radix_sort_onesweep_sort_config_static_selectorELNS0_4arch9wavefront6targetE1EEEvSK_.private_seg_size, 0
	.set _ZN7rocprim17ROCPRIM_400000_NS6detail17trampoline_kernelINS0_14default_configENS1_35radix_sort_onesweep_config_selectorIbiEEZZNS1_29radix_sort_onesweep_iterationIS3_Lb1EN6thrust23THRUST_200600_302600_NS6detail15normal_iteratorINS8_10device_ptrIbEEEESD_NSA_INSB_IiEEEESF_jNS0_19identity_decomposerENS1_16block_id_wrapperIjLb1EEEEE10hipError_tT1_PNSt15iterator_traitsISK_E10value_typeET2_T3_PNSL_ISQ_E10value_typeET4_T5_PSV_SW_PNS1_23onesweep_lookback_stateEbbT6_jjT7_P12ihipStream_tbENKUlT_T0_SK_SP_E_clIPbSD_PiSF_EEDaS13_S14_SK_SP_EUlS13_E_NS1_11comp_targetILNS1_3genE4ELNS1_11target_archE910ELNS1_3gpuE8ELNS1_3repE0EEENS1_47radix_sort_onesweep_sort_config_static_selectorELNS0_4arch9wavefront6targetE1EEEvSK_.uses_vcc, 0
	.set _ZN7rocprim17ROCPRIM_400000_NS6detail17trampoline_kernelINS0_14default_configENS1_35radix_sort_onesweep_config_selectorIbiEEZZNS1_29radix_sort_onesweep_iterationIS3_Lb1EN6thrust23THRUST_200600_302600_NS6detail15normal_iteratorINS8_10device_ptrIbEEEESD_NSA_INSB_IiEEEESF_jNS0_19identity_decomposerENS1_16block_id_wrapperIjLb1EEEEE10hipError_tT1_PNSt15iterator_traitsISK_E10value_typeET2_T3_PNSL_ISQ_E10value_typeET4_T5_PSV_SW_PNS1_23onesweep_lookback_stateEbbT6_jjT7_P12ihipStream_tbENKUlT_T0_SK_SP_E_clIPbSD_PiSF_EEDaS13_S14_SK_SP_EUlS13_E_NS1_11comp_targetILNS1_3genE4ELNS1_11target_archE910ELNS1_3gpuE8ELNS1_3repE0EEENS1_47radix_sort_onesweep_sort_config_static_selectorELNS0_4arch9wavefront6targetE1EEEvSK_.uses_flat_scratch, 0
	.set _ZN7rocprim17ROCPRIM_400000_NS6detail17trampoline_kernelINS0_14default_configENS1_35radix_sort_onesweep_config_selectorIbiEEZZNS1_29radix_sort_onesweep_iterationIS3_Lb1EN6thrust23THRUST_200600_302600_NS6detail15normal_iteratorINS8_10device_ptrIbEEEESD_NSA_INSB_IiEEEESF_jNS0_19identity_decomposerENS1_16block_id_wrapperIjLb1EEEEE10hipError_tT1_PNSt15iterator_traitsISK_E10value_typeET2_T3_PNSL_ISQ_E10value_typeET4_T5_PSV_SW_PNS1_23onesweep_lookback_stateEbbT6_jjT7_P12ihipStream_tbENKUlT_T0_SK_SP_E_clIPbSD_PiSF_EEDaS13_S14_SK_SP_EUlS13_E_NS1_11comp_targetILNS1_3genE4ELNS1_11target_archE910ELNS1_3gpuE8ELNS1_3repE0EEENS1_47radix_sort_onesweep_sort_config_static_selectorELNS0_4arch9wavefront6targetE1EEEvSK_.has_dyn_sized_stack, 0
	.set _ZN7rocprim17ROCPRIM_400000_NS6detail17trampoline_kernelINS0_14default_configENS1_35radix_sort_onesweep_config_selectorIbiEEZZNS1_29radix_sort_onesweep_iterationIS3_Lb1EN6thrust23THRUST_200600_302600_NS6detail15normal_iteratorINS8_10device_ptrIbEEEESD_NSA_INSB_IiEEEESF_jNS0_19identity_decomposerENS1_16block_id_wrapperIjLb1EEEEE10hipError_tT1_PNSt15iterator_traitsISK_E10value_typeET2_T3_PNSL_ISQ_E10value_typeET4_T5_PSV_SW_PNS1_23onesweep_lookback_stateEbbT6_jjT7_P12ihipStream_tbENKUlT_T0_SK_SP_E_clIPbSD_PiSF_EEDaS13_S14_SK_SP_EUlS13_E_NS1_11comp_targetILNS1_3genE4ELNS1_11target_archE910ELNS1_3gpuE8ELNS1_3repE0EEENS1_47radix_sort_onesweep_sort_config_static_selectorELNS0_4arch9wavefront6targetE1EEEvSK_.has_recursion, 0
	.set _ZN7rocprim17ROCPRIM_400000_NS6detail17trampoline_kernelINS0_14default_configENS1_35radix_sort_onesweep_config_selectorIbiEEZZNS1_29radix_sort_onesweep_iterationIS3_Lb1EN6thrust23THRUST_200600_302600_NS6detail15normal_iteratorINS8_10device_ptrIbEEEESD_NSA_INSB_IiEEEESF_jNS0_19identity_decomposerENS1_16block_id_wrapperIjLb1EEEEE10hipError_tT1_PNSt15iterator_traitsISK_E10value_typeET2_T3_PNSL_ISQ_E10value_typeET4_T5_PSV_SW_PNS1_23onesweep_lookback_stateEbbT6_jjT7_P12ihipStream_tbENKUlT_T0_SK_SP_E_clIPbSD_PiSF_EEDaS13_S14_SK_SP_EUlS13_E_NS1_11comp_targetILNS1_3genE4ELNS1_11target_archE910ELNS1_3gpuE8ELNS1_3repE0EEENS1_47radix_sort_onesweep_sort_config_static_selectorELNS0_4arch9wavefront6targetE1EEEvSK_.has_indirect_call, 0
	.section	.AMDGPU.csdata,"",@progbits
; Kernel info:
; codeLenInByte = 0
; TotalNumSgprs: 6
; NumVgprs: 0
; NumAgprs: 0
; TotalNumVgprs: 0
; ScratchSize: 0
; MemoryBound: 0
; FloatMode: 240
; IeeeMode: 1
; LDSByteSize: 0 bytes/workgroup (compile time only)
; SGPRBlocks: 0
; VGPRBlocks: 0
; NumSGPRsForWavesPerEU: 6
; NumVGPRsForWavesPerEU: 1
; AccumOffset: 4
; Occupancy: 8
; WaveLimiterHint : 0
; COMPUTE_PGM_RSRC2:SCRATCH_EN: 0
; COMPUTE_PGM_RSRC2:USER_SGPR: 2
; COMPUTE_PGM_RSRC2:TRAP_HANDLER: 0
; COMPUTE_PGM_RSRC2:TGID_X_EN: 1
; COMPUTE_PGM_RSRC2:TGID_Y_EN: 0
; COMPUTE_PGM_RSRC2:TGID_Z_EN: 0
; COMPUTE_PGM_RSRC2:TIDIG_COMP_CNT: 0
; COMPUTE_PGM_RSRC3_GFX90A:ACCUM_OFFSET: 0
; COMPUTE_PGM_RSRC3_GFX90A:TG_SPLIT: 0
	.section	.text._ZN7rocprim17ROCPRIM_400000_NS6detail17trampoline_kernelINS0_14default_configENS1_35radix_sort_onesweep_config_selectorIbiEEZZNS1_29radix_sort_onesweep_iterationIS3_Lb1EN6thrust23THRUST_200600_302600_NS6detail15normal_iteratorINS8_10device_ptrIbEEEESD_NSA_INSB_IiEEEESF_jNS0_19identity_decomposerENS1_16block_id_wrapperIjLb1EEEEE10hipError_tT1_PNSt15iterator_traitsISK_E10value_typeET2_T3_PNSL_ISQ_E10value_typeET4_T5_PSV_SW_PNS1_23onesweep_lookback_stateEbbT6_jjT7_P12ihipStream_tbENKUlT_T0_SK_SP_E_clIPbSD_PiSF_EEDaS13_S14_SK_SP_EUlS13_E_NS1_11comp_targetILNS1_3genE3ELNS1_11target_archE908ELNS1_3gpuE7ELNS1_3repE0EEENS1_47radix_sort_onesweep_sort_config_static_selectorELNS0_4arch9wavefront6targetE1EEEvSK_,"axG",@progbits,_ZN7rocprim17ROCPRIM_400000_NS6detail17trampoline_kernelINS0_14default_configENS1_35radix_sort_onesweep_config_selectorIbiEEZZNS1_29radix_sort_onesweep_iterationIS3_Lb1EN6thrust23THRUST_200600_302600_NS6detail15normal_iteratorINS8_10device_ptrIbEEEESD_NSA_INSB_IiEEEESF_jNS0_19identity_decomposerENS1_16block_id_wrapperIjLb1EEEEE10hipError_tT1_PNSt15iterator_traitsISK_E10value_typeET2_T3_PNSL_ISQ_E10value_typeET4_T5_PSV_SW_PNS1_23onesweep_lookback_stateEbbT6_jjT7_P12ihipStream_tbENKUlT_T0_SK_SP_E_clIPbSD_PiSF_EEDaS13_S14_SK_SP_EUlS13_E_NS1_11comp_targetILNS1_3genE3ELNS1_11target_archE908ELNS1_3gpuE7ELNS1_3repE0EEENS1_47radix_sort_onesweep_sort_config_static_selectorELNS0_4arch9wavefront6targetE1EEEvSK_,comdat
	.protected	_ZN7rocprim17ROCPRIM_400000_NS6detail17trampoline_kernelINS0_14default_configENS1_35radix_sort_onesweep_config_selectorIbiEEZZNS1_29radix_sort_onesweep_iterationIS3_Lb1EN6thrust23THRUST_200600_302600_NS6detail15normal_iteratorINS8_10device_ptrIbEEEESD_NSA_INSB_IiEEEESF_jNS0_19identity_decomposerENS1_16block_id_wrapperIjLb1EEEEE10hipError_tT1_PNSt15iterator_traitsISK_E10value_typeET2_T3_PNSL_ISQ_E10value_typeET4_T5_PSV_SW_PNS1_23onesweep_lookback_stateEbbT6_jjT7_P12ihipStream_tbENKUlT_T0_SK_SP_E_clIPbSD_PiSF_EEDaS13_S14_SK_SP_EUlS13_E_NS1_11comp_targetILNS1_3genE3ELNS1_11target_archE908ELNS1_3gpuE7ELNS1_3repE0EEENS1_47radix_sort_onesweep_sort_config_static_selectorELNS0_4arch9wavefront6targetE1EEEvSK_ ; -- Begin function _ZN7rocprim17ROCPRIM_400000_NS6detail17trampoline_kernelINS0_14default_configENS1_35radix_sort_onesweep_config_selectorIbiEEZZNS1_29radix_sort_onesweep_iterationIS3_Lb1EN6thrust23THRUST_200600_302600_NS6detail15normal_iteratorINS8_10device_ptrIbEEEESD_NSA_INSB_IiEEEESF_jNS0_19identity_decomposerENS1_16block_id_wrapperIjLb1EEEEE10hipError_tT1_PNSt15iterator_traitsISK_E10value_typeET2_T3_PNSL_ISQ_E10value_typeET4_T5_PSV_SW_PNS1_23onesweep_lookback_stateEbbT6_jjT7_P12ihipStream_tbENKUlT_T0_SK_SP_E_clIPbSD_PiSF_EEDaS13_S14_SK_SP_EUlS13_E_NS1_11comp_targetILNS1_3genE3ELNS1_11target_archE908ELNS1_3gpuE7ELNS1_3repE0EEENS1_47radix_sort_onesweep_sort_config_static_selectorELNS0_4arch9wavefront6targetE1EEEvSK_
	.globl	_ZN7rocprim17ROCPRIM_400000_NS6detail17trampoline_kernelINS0_14default_configENS1_35radix_sort_onesweep_config_selectorIbiEEZZNS1_29radix_sort_onesweep_iterationIS3_Lb1EN6thrust23THRUST_200600_302600_NS6detail15normal_iteratorINS8_10device_ptrIbEEEESD_NSA_INSB_IiEEEESF_jNS0_19identity_decomposerENS1_16block_id_wrapperIjLb1EEEEE10hipError_tT1_PNSt15iterator_traitsISK_E10value_typeET2_T3_PNSL_ISQ_E10value_typeET4_T5_PSV_SW_PNS1_23onesweep_lookback_stateEbbT6_jjT7_P12ihipStream_tbENKUlT_T0_SK_SP_E_clIPbSD_PiSF_EEDaS13_S14_SK_SP_EUlS13_E_NS1_11comp_targetILNS1_3genE3ELNS1_11target_archE908ELNS1_3gpuE7ELNS1_3repE0EEENS1_47radix_sort_onesweep_sort_config_static_selectorELNS0_4arch9wavefront6targetE1EEEvSK_
	.p2align	8
	.type	_ZN7rocprim17ROCPRIM_400000_NS6detail17trampoline_kernelINS0_14default_configENS1_35radix_sort_onesweep_config_selectorIbiEEZZNS1_29radix_sort_onesweep_iterationIS3_Lb1EN6thrust23THRUST_200600_302600_NS6detail15normal_iteratorINS8_10device_ptrIbEEEESD_NSA_INSB_IiEEEESF_jNS0_19identity_decomposerENS1_16block_id_wrapperIjLb1EEEEE10hipError_tT1_PNSt15iterator_traitsISK_E10value_typeET2_T3_PNSL_ISQ_E10value_typeET4_T5_PSV_SW_PNS1_23onesweep_lookback_stateEbbT6_jjT7_P12ihipStream_tbENKUlT_T0_SK_SP_E_clIPbSD_PiSF_EEDaS13_S14_SK_SP_EUlS13_E_NS1_11comp_targetILNS1_3genE3ELNS1_11target_archE908ELNS1_3gpuE7ELNS1_3repE0EEENS1_47radix_sort_onesweep_sort_config_static_selectorELNS0_4arch9wavefront6targetE1EEEvSK_,@function
_ZN7rocprim17ROCPRIM_400000_NS6detail17trampoline_kernelINS0_14default_configENS1_35radix_sort_onesweep_config_selectorIbiEEZZNS1_29radix_sort_onesweep_iterationIS3_Lb1EN6thrust23THRUST_200600_302600_NS6detail15normal_iteratorINS8_10device_ptrIbEEEESD_NSA_INSB_IiEEEESF_jNS0_19identity_decomposerENS1_16block_id_wrapperIjLb1EEEEE10hipError_tT1_PNSt15iterator_traitsISK_E10value_typeET2_T3_PNSL_ISQ_E10value_typeET4_T5_PSV_SW_PNS1_23onesweep_lookback_stateEbbT6_jjT7_P12ihipStream_tbENKUlT_T0_SK_SP_E_clIPbSD_PiSF_EEDaS13_S14_SK_SP_EUlS13_E_NS1_11comp_targetILNS1_3genE3ELNS1_11target_archE908ELNS1_3gpuE7ELNS1_3repE0EEENS1_47radix_sort_onesweep_sort_config_static_selectorELNS0_4arch9wavefront6targetE1EEEvSK_: ; @_ZN7rocprim17ROCPRIM_400000_NS6detail17trampoline_kernelINS0_14default_configENS1_35radix_sort_onesweep_config_selectorIbiEEZZNS1_29radix_sort_onesweep_iterationIS3_Lb1EN6thrust23THRUST_200600_302600_NS6detail15normal_iteratorINS8_10device_ptrIbEEEESD_NSA_INSB_IiEEEESF_jNS0_19identity_decomposerENS1_16block_id_wrapperIjLb1EEEEE10hipError_tT1_PNSt15iterator_traitsISK_E10value_typeET2_T3_PNSL_ISQ_E10value_typeET4_T5_PSV_SW_PNS1_23onesweep_lookback_stateEbbT6_jjT7_P12ihipStream_tbENKUlT_T0_SK_SP_E_clIPbSD_PiSF_EEDaS13_S14_SK_SP_EUlS13_E_NS1_11comp_targetILNS1_3genE3ELNS1_11target_archE908ELNS1_3gpuE7ELNS1_3repE0EEENS1_47radix_sort_onesweep_sort_config_static_selectorELNS0_4arch9wavefront6targetE1EEEvSK_
; %bb.0:
	.section	.rodata,"a",@progbits
	.p2align	6, 0x0
	.amdhsa_kernel _ZN7rocprim17ROCPRIM_400000_NS6detail17trampoline_kernelINS0_14default_configENS1_35radix_sort_onesweep_config_selectorIbiEEZZNS1_29radix_sort_onesweep_iterationIS3_Lb1EN6thrust23THRUST_200600_302600_NS6detail15normal_iteratorINS8_10device_ptrIbEEEESD_NSA_INSB_IiEEEESF_jNS0_19identity_decomposerENS1_16block_id_wrapperIjLb1EEEEE10hipError_tT1_PNSt15iterator_traitsISK_E10value_typeET2_T3_PNSL_ISQ_E10value_typeET4_T5_PSV_SW_PNS1_23onesweep_lookback_stateEbbT6_jjT7_P12ihipStream_tbENKUlT_T0_SK_SP_E_clIPbSD_PiSF_EEDaS13_S14_SK_SP_EUlS13_E_NS1_11comp_targetILNS1_3genE3ELNS1_11target_archE908ELNS1_3gpuE7ELNS1_3repE0EEENS1_47radix_sort_onesweep_sort_config_static_selectorELNS0_4arch9wavefront6targetE1EEEvSK_
		.amdhsa_group_segment_fixed_size 0
		.amdhsa_private_segment_fixed_size 0
		.amdhsa_kernarg_size 88
		.amdhsa_user_sgpr_count 2
		.amdhsa_user_sgpr_dispatch_ptr 0
		.amdhsa_user_sgpr_queue_ptr 0
		.amdhsa_user_sgpr_kernarg_segment_ptr 1
		.amdhsa_user_sgpr_dispatch_id 0
		.amdhsa_user_sgpr_kernarg_preload_length 0
		.amdhsa_user_sgpr_kernarg_preload_offset 0
		.amdhsa_user_sgpr_private_segment_size 0
		.amdhsa_uses_dynamic_stack 0
		.amdhsa_enable_private_segment 0
		.amdhsa_system_sgpr_workgroup_id_x 1
		.amdhsa_system_sgpr_workgroup_id_y 0
		.amdhsa_system_sgpr_workgroup_id_z 0
		.amdhsa_system_sgpr_workgroup_info 0
		.amdhsa_system_vgpr_workitem_id 0
		.amdhsa_next_free_vgpr 1
		.amdhsa_next_free_sgpr 0
		.amdhsa_accum_offset 4
		.amdhsa_reserve_vcc 0
		.amdhsa_float_round_mode_32 0
		.amdhsa_float_round_mode_16_64 0
		.amdhsa_float_denorm_mode_32 3
		.amdhsa_float_denorm_mode_16_64 3
		.amdhsa_dx10_clamp 1
		.amdhsa_ieee_mode 1
		.amdhsa_fp16_overflow 0
		.amdhsa_tg_split 0
		.amdhsa_exception_fp_ieee_invalid_op 0
		.amdhsa_exception_fp_denorm_src 0
		.amdhsa_exception_fp_ieee_div_zero 0
		.amdhsa_exception_fp_ieee_overflow 0
		.amdhsa_exception_fp_ieee_underflow 0
		.amdhsa_exception_fp_ieee_inexact 0
		.amdhsa_exception_int_div_zero 0
	.end_amdhsa_kernel
	.section	.text._ZN7rocprim17ROCPRIM_400000_NS6detail17trampoline_kernelINS0_14default_configENS1_35radix_sort_onesweep_config_selectorIbiEEZZNS1_29radix_sort_onesweep_iterationIS3_Lb1EN6thrust23THRUST_200600_302600_NS6detail15normal_iteratorINS8_10device_ptrIbEEEESD_NSA_INSB_IiEEEESF_jNS0_19identity_decomposerENS1_16block_id_wrapperIjLb1EEEEE10hipError_tT1_PNSt15iterator_traitsISK_E10value_typeET2_T3_PNSL_ISQ_E10value_typeET4_T5_PSV_SW_PNS1_23onesweep_lookback_stateEbbT6_jjT7_P12ihipStream_tbENKUlT_T0_SK_SP_E_clIPbSD_PiSF_EEDaS13_S14_SK_SP_EUlS13_E_NS1_11comp_targetILNS1_3genE3ELNS1_11target_archE908ELNS1_3gpuE7ELNS1_3repE0EEENS1_47radix_sort_onesweep_sort_config_static_selectorELNS0_4arch9wavefront6targetE1EEEvSK_,"axG",@progbits,_ZN7rocprim17ROCPRIM_400000_NS6detail17trampoline_kernelINS0_14default_configENS1_35radix_sort_onesweep_config_selectorIbiEEZZNS1_29radix_sort_onesweep_iterationIS3_Lb1EN6thrust23THRUST_200600_302600_NS6detail15normal_iteratorINS8_10device_ptrIbEEEESD_NSA_INSB_IiEEEESF_jNS0_19identity_decomposerENS1_16block_id_wrapperIjLb1EEEEE10hipError_tT1_PNSt15iterator_traitsISK_E10value_typeET2_T3_PNSL_ISQ_E10value_typeET4_T5_PSV_SW_PNS1_23onesweep_lookback_stateEbbT6_jjT7_P12ihipStream_tbENKUlT_T0_SK_SP_E_clIPbSD_PiSF_EEDaS13_S14_SK_SP_EUlS13_E_NS1_11comp_targetILNS1_3genE3ELNS1_11target_archE908ELNS1_3gpuE7ELNS1_3repE0EEENS1_47radix_sort_onesweep_sort_config_static_selectorELNS0_4arch9wavefront6targetE1EEEvSK_,comdat
.Lfunc_end2241:
	.size	_ZN7rocprim17ROCPRIM_400000_NS6detail17trampoline_kernelINS0_14default_configENS1_35radix_sort_onesweep_config_selectorIbiEEZZNS1_29radix_sort_onesweep_iterationIS3_Lb1EN6thrust23THRUST_200600_302600_NS6detail15normal_iteratorINS8_10device_ptrIbEEEESD_NSA_INSB_IiEEEESF_jNS0_19identity_decomposerENS1_16block_id_wrapperIjLb1EEEEE10hipError_tT1_PNSt15iterator_traitsISK_E10value_typeET2_T3_PNSL_ISQ_E10value_typeET4_T5_PSV_SW_PNS1_23onesweep_lookback_stateEbbT6_jjT7_P12ihipStream_tbENKUlT_T0_SK_SP_E_clIPbSD_PiSF_EEDaS13_S14_SK_SP_EUlS13_E_NS1_11comp_targetILNS1_3genE3ELNS1_11target_archE908ELNS1_3gpuE7ELNS1_3repE0EEENS1_47radix_sort_onesweep_sort_config_static_selectorELNS0_4arch9wavefront6targetE1EEEvSK_, .Lfunc_end2241-_ZN7rocprim17ROCPRIM_400000_NS6detail17trampoline_kernelINS0_14default_configENS1_35radix_sort_onesweep_config_selectorIbiEEZZNS1_29radix_sort_onesweep_iterationIS3_Lb1EN6thrust23THRUST_200600_302600_NS6detail15normal_iteratorINS8_10device_ptrIbEEEESD_NSA_INSB_IiEEEESF_jNS0_19identity_decomposerENS1_16block_id_wrapperIjLb1EEEEE10hipError_tT1_PNSt15iterator_traitsISK_E10value_typeET2_T3_PNSL_ISQ_E10value_typeET4_T5_PSV_SW_PNS1_23onesweep_lookback_stateEbbT6_jjT7_P12ihipStream_tbENKUlT_T0_SK_SP_E_clIPbSD_PiSF_EEDaS13_S14_SK_SP_EUlS13_E_NS1_11comp_targetILNS1_3genE3ELNS1_11target_archE908ELNS1_3gpuE7ELNS1_3repE0EEENS1_47radix_sort_onesweep_sort_config_static_selectorELNS0_4arch9wavefront6targetE1EEEvSK_
                                        ; -- End function
	.set _ZN7rocprim17ROCPRIM_400000_NS6detail17trampoline_kernelINS0_14default_configENS1_35radix_sort_onesweep_config_selectorIbiEEZZNS1_29radix_sort_onesweep_iterationIS3_Lb1EN6thrust23THRUST_200600_302600_NS6detail15normal_iteratorINS8_10device_ptrIbEEEESD_NSA_INSB_IiEEEESF_jNS0_19identity_decomposerENS1_16block_id_wrapperIjLb1EEEEE10hipError_tT1_PNSt15iterator_traitsISK_E10value_typeET2_T3_PNSL_ISQ_E10value_typeET4_T5_PSV_SW_PNS1_23onesweep_lookback_stateEbbT6_jjT7_P12ihipStream_tbENKUlT_T0_SK_SP_E_clIPbSD_PiSF_EEDaS13_S14_SK_SP_EUlS13_E_NS1_11comp_targetILNS1_3genE3ELNS1_11target_archE908ELNS1_3gpuE7ELNS1_3repE0EEENS1_47radix_sort_onesweep_sort_config_static_selectorELNS0_4arch9wavefront6targetE1EEEvSK_.num_vgpr, 0
	.set _ZN7rocprim17ROCPRIM_400000_NS6detail17trampoline_kernelINS0_14default_configENS1_35radix_sort_onesweep_config_selectorIbiEEZZNS1_29radix_sort_onesweep_iterationIS3_Lb1EN6thrust23THRUST_200600_302600_NS6detail15normal_iteratorINS8_10device_ptrIbEEEESD_NSA_INSB_IiEEEESF_jNS0_19identity_decomposerENS1_16block_id_wrapperIjLb1EEEEE10hipError_tT1_PNSt15iterator_traitsISK_E10value_typeET2_T3_PNSL_ISQ_E10value_typeET4_T5_PSV_SW_PNS1_23onesweep_lookback_stateEbbT6_jjT7_P12ihipStream_tbENKUlT_T0_SK_SP_E_clIPbSD_PiSF_EEDaS13_S14_SK_SP_EUlS13_E_NS1_11comp_targetILNS1_3genE3ELNS1_11target_archE908ELNS1_3gpuE7ELNS1_3repE0EEENS1_47radix_sort_onesweep_sort_config_static_selectorELNS0_4arch9wavefront6targetE1EEEvSK_.num_agpr, 0
	.set _ZN7rocprim17ROCPRIM_400000_NS6detail17trampoline_kernelINS0_14default_configENS1_35radix_sort_onesweep_config_selectorIbiEEZZNS1_29radix_sort_onesweep_iterationIS3_Lb1EN6thrust23THRUST_200600_302600_NS6detail15normal_iteratorINS8_10device_ptrIbEEEESD_NSA_INSB_IiEEEESF_jNS0_19identity_decomposerENS1_16block_id_wrapperIjLb1EEEEE10hipError_tT1_PNSt15iterator_traitsISK_E10value_typeET2_T3_PNSL_ISQ_E10value_typeET4_T5_PSV_SW_PNS1_23onesweep_lookback_stateEbbT6_jjT7_P12ihipStream_tbENKUlT_T0_SK_SP_E_clIPbSD_PiSF_EEDaS13_S14_SK_SP_EUlS13_E_NS1_11comp_targetILNS1_3genE3ELNS1_11target_archE908ELNS1_3gpuE7ELNS1_3repE0EEENS1_47radix_sort_onesweep_sort_config_static_selectorELNS0_4arch9wavefront6targetE1EEEvSK_.numbered_sgpr, 0
	.set _ZN7rocprim17ROCPRIM_400000_NS6detail17trampoline_kernelINS0_14default_configENS1_35radix_sort_onesweep_config_selectorIbiEEZZNS1_29radix_sort_onesweep_iterationIS3_Lb1EN6thrust23THRUST_200600_302600_NS6detail15normal_iteratorINS8_10device_ptrIbEEEESD_NSA_INSB_IiEEEESF_jNS0_19identity_decomposerENS1_16block_id_wrapperIjLb1EEEEE10hipError_tT1_PNSt15iterator_traitsISK_E10value_typeET2_T3_PNSL_ISQ_E10value_typeET4_T5_PSV_SW_PNS1_23onesweep_lookback_stateEbbT6_jjT7_P12ihipStream_tbENKUlT_T0_SK_SP_E_clIPbSD_PiSF_EEDaS13_S14_SK_SP_EUlS13_E_NS1_11comp_targetILNS1_3genE3ELNS1_11target_archE908ELNS1_3gpuE7ELNS1_3repE0EEENS1_47radix_sort_onesweep_sort_config_static_selectorELNS0_4arch9wavefront6targetE1EEEvSK_.num_named_barrier, 0
	.set _ZN7rocprim17ROCPRIM_400000_NS6detail17trampoline_kernelINS0_14default_configENS1_35radix_sort_onesweep_config_selectorIbiEEZZNS1_29radix_sort_onesweep_iterationIS3_Lb1EN6thrust23THRUST_200600_302600_NS6detail15normal_iteratorINS8_10device_ptrIbEEEESD_NSA_INSB_IiEEEESF_jNS0_19identity_decomposerENS1_16block_id_wrapperIjLb1EEEEE10hipError_tT1_PNSt15iterator_traitsISK_E10value_typeET2_T3_PNSL_ISQ_E10value_typeET4_T5_PSV_SW_PNS1_23onesweep_lookback_stateEbbT6_jjT7_P12ihipStream_tbENKUlT_T0_SK_SP_E_clIPbSD_PiSF_EEDaS13_S14_SK_SP_EUlS13_E_NS1_11comp_targetILNS1_3genE3ELNS1_11target_archE908ELNS1_3gpuE7ELNS1_3repE0EEENS1_47radix_sort_onesweep_sort_config_static_selectorELNS0_4arch9wavefront6targetE1EEEvSK_.private_seg_size, 0
	.set _ZN7rocprim17ROCPRIM_400000_NS6detail17trampoline_kernelINS0_14default_configENS1_35radix_sort_onesweep_config_selectorIbiEEZZNS1_29radix_sort_onesweep_iterationIS3_Lb1EN6thrust23THRUST_200600_302600_NS6detail15normal_iteratorINS8_10device_ptrIbEEEESD_NSA_INSB_IiEEEESF_jNS0_19identity_decomposerENS1_16block_id_wrapperIjLb1EEEEE10hipError_tT1_PNSt15iterator_traitsISK_E10value_typeET2_T3_PNSL_ISQ_E10value_typeET4_T5_PSV_SW_PNS1_23onesweep_lookback_stateEbbT6_jjT7_P12ihipStream_tbENKUlT_T0_SK_SP_E_clIPbSD_PiSF_EEDaS13_S14_SK_SP_EUlS13_E_NS1_11comp_targetILNS1_3genE3ELNS1_11target_archE908ELNS1_3gpuE7ELNS1_3repE0EEENS1_47radix_sort_onesweep_sort_config_static_selectorELNS0_4arch9wavefront6targetE1EEEvSK_.uses_vcc, 0
	.set _ZN7rocprim17ROCPRIM_400000_NS6detail17trampoline_kernelINS0_14default_configENS1_35radix_sort_onesweep_config_selectorIbiEEZZNS1_29radix_sort_onesweep_iterationIS3_Lb1EN6thrust23THRUST_200600_302600_NS6detail15normal_iteratorINS8_10device_ptrIbEEEESD_NSA_INSB_IiEEEESF_jNS0_19identity_decomposerENS1_16block_id_wrapperIjLb1EEEEE10hipError_tT1_PNSt15iterator_traitsISK_E10value_typeET2_T3_PNSL_ISQ_E10value_typeET4_T5_PSV_SW_PNS1_23onesweep_lookback_stateEbbT6_jjT7_P12ihipStream_tbENKUlT_T0_SK_SP_E_clIPbSD_PiSF_EEDaS13_S14_SK_SP_EUlS13_E_NS1_11comp_targetILNS1_3genE3ELNS1_11target_archE908ELNS1_3gpuE7ELNS1_3repE0EEENS1_47radix_sort_onesweep_sort_config_static_selectorELNS0_4arch9wavefront6targetE1EEEvSK_.uses_flat_scratch, 0
	.set _ZN7rocprim17ROCPRIM_400000_NS6detail17trampoline_kernelINS0_14default_configENS1_35radix_sort_onesweep_config_selectorIbiEEZZNS1_29radix_sort_onesweep_iterationIS3_Lb1EN6thrust23THRUST_200600_302600_NS6detail15normal_iteratorINS8_10device_ptrIbEEEESD_NSA_INSB_IiEEEESF_jNS0_19identity_decomposerENS1_16block_id_wrapperIjLb1EEEEE10hipError_tT1_PNSt15iterator_traitsISK_E10value_typeET2_T3_PNSL_ISQ_E10value_typeET4_T5_PSV_SW_PNS1_23onesweep_lookback_stateEbbT6_jjT7_P12ihipStream_tbENKUlT_T0_SK_SP_E_clIPbSD_PiSF_EEDaS13_S14_SK_SP_EUlS13_E_NS1_11comp_targetILNS1_3genE3ELNS1_11target_archE908ELNS1_3gpuE7ELNS1_3repE0EEENS1_47radix_sort_onesweep_sort_config_static_selectorELNS0_4arch9wavefront6targetE1EEEvSK_.has_dyn_sized_stack, 0
	.set _ZN7rocprim17ROCPRIM_400000_NS6detail17trampoline_kernelINS0_14default_configENS1_35radix_sort_onesweep_config_selectorIbiEEZZNS1_29radix_sort_onesweep_iterationIS3_Lb1EN6thrust23THRUST_200600_302600_NS6detail15normal_iteratorINS8_10device_ptrIbEEEESD_NSA_INSB_IiEEEESF_jNS0_19identity_decomposerENS1_16block_id_wrapperIjLb1EEEEE10hipError_tT1_PNSt15iterator_traitsISK_E10value_typeET2_T3_PNSL_ISQ_E10value_typeET4_T5_PSV_SW_PNS1_23onesweep_lookback_stateEbbT6_jjT7_P12ihipStream_tbENKUlT_T0_SK_SP_E_clIPbSD_PiSF_EEDaS13_S14_SK_SP_EUlS13_E_NS1_11comp_targetILNS1_3genE3ELNS1_11target_archE908ELNS1_3gpuE7ELNS1_3repE0EEENS1_47radix_sort_onesweep_sort_config_static_selectorELNS0_4arch9wavefront6targetE1EEEvSK_.has_recursion, 0
	.set _ZN7rocprim17ROCPRIM_400000_NS6detail17trampoline_kernelINS0_14default_configENS1_35radix_sort_onesweep_config_selectorIbiEEZZNS1_29radix_sort_onesweep_iterationIS3_Lb1EN6thrust23THRUST_200600_302600_NS6detail15normal_iteratorINS8_10device_ptrIbEEEESD_NSA_INSB_IiEEEESF_jNS0_19identity_decomposerENS1_16block_id_wrapperIjLb1EEEEE10hipError_tT1_PNSt15iterator_traitsISK_E10value_typeET2_T3_PNSL_ISQ_E10value_typeET4_T5_PSV_SW_PNS1_23onesweep_lookback_stateEbbT6_jjT7_P12ihipStream_tbENKUlT_T0_SK_SP_E_clIPbSD_PiSF_EEDaS13_S14_SK_SP_EUlS13_E_NS1_11comp_targetILNS1_3genE3ELNS1_11target_archE908ELNS1_3gpuE7ELNS1_3repE0EEENS1_47radix_sort_onesweep_sort_config_static_selectorELNS0_4arch9wavefront6targetE1EEEvSK_.has_indirect_call, 0
	.section	.AMDGPU.csdata,"",@progbits
; Kernel info:
; codeLenInByte = 0
; TotalNumSgprs: 6
; NumVgprs: 0
; NumAgprs: 0
; TotalNumVgprs: 0
; ScratchSize: 0
; MemoryBound: 0
; FloatMode: 240
; IeeeMode: 1
; LDSByteSize: 0 bytes/workgroup (compile time only)
; SGPRBlocks: 0
; VGPRBlocks: 0
; NumSGPRsForWavesPerEU: 6
; NumVGPRsForWavesPerEU: 1
; AccumOffset: 4
; Occupancy: 8
; WaveLimiterHint : 0
; COMPUTE_PGM_RSRC2:SCRATCH_EN: 0
; COMPUTE_PGM_RSRC2:USER_SGPR: 2
; COMPUTE_PGM_RSRC2:TRAP_HANDLER: 0
; COMPUTE_PGM_RSRC2:TGID_X_EN: 1
; COMPUTE_PGM_RSRC2:TGID_Y_EN: 0
; COMPUTE_PGM_RSRC2:TGID_Z_EN: 0
; COMPUTE_PGM_RSRC2:TIDIG_COMP_CNT: 0
; COMPUTE_PGM_RSRC3_GFX90A:ACCUM_OFFSET: 0
; COMPUTE_PGM_RSRC3_GFX90A:TG_SPLIT: 0
	.section	.text._ZN7rocprim17ROCPRIM_400000_NS6detail17trampoline_kernelINS0_14default_configENS1_35radix_sort_onesweep_config_selectorIbiEEZZNS1_29radix_sort_onesweep_iterationIS3_Lb1EN6thrust23THRUST_200600_302600_NS6detail15normal_iteratorINS8_10device_ptrIbEEEESD_NSA_INSB_IiEEEESF_jNS0_19identity_decomposerENS1_16block_id_wrapperIjLb1EEEEE10hipError_tT1_PNSt15iterator_traitsISK_E10value_typeET2_T3_PNSL_ISQ_E10value_typeET4_T5_PSV_SW_PNS1_23onesweep_lookback_stateEbbT6_jjT7_P12ihipStream_tbENKUlT_T0_SK_SP_E_clIPbSD_PiSF_EEDaS13_S14_SK_SP_EUlS13_E_NS1_11comp_targetILNS1_3genE10ELNS1_11target_archE1201ELNS1_3gpuE5ELNS1_3repE0EEENS1_47radix_sort_onesweep_sort_config_static_selectorELNS0_4arch9wavefront6targetE1EEEvSK_,"axG",@progbits,_ZN7rocprim17ROCPRIM_400000_NS6detail17trampoline_kernelINS0_14default_configENS1_35radix_sort_onesweep_config_selectorIbiEEZZNS1_29radix_sort_onesweep_iterationIS3_Lb1EN6thrust23THRUST_200600_302600_NS6detail15normal_iteratorINS8_10device_ptrIbEEEESD_NSA_INSB_IiEEEESF_jNS0_19identity_decomposerENS1_16block_id_wrapperIjLb1EEEEE10hipError_tT1_PNSt15iterator_traitsISK_E10value_typeET2_T3_PNSL_ISQ_E10value_typeET4_T5_PSV_SW_PNS1_23onesweep_lookback_stateEbbT6_jjT7_P12ihipStream_tbENKUlT_T0_SK_SP_E_clIPbSD_PiSF_EEDaS13_S14_SK_SP_EUlS13_E_NS1_11comp_targetILNS1_3genE10ELNS1_11target_archE1201ELNS1_3gpuE5ELNS1_3repE0EEENS1_47radix_sort_onesweep_sort_config_static_selectorELNS0_4arch9wavefront6targetE1EEEvSK_,comdat
	.protected	_ZN7rocprim17ROCPRIM_400000_NS6detail17trampoline_kernelINS0_14default_configENS1_35radix_sort_onesweep_config_selectorIbiEEZZNS1_29radix_sort_onesweep_iterationIS3_Lb1EN6thrust23THRUST_200600_302600_NS6detail15normal_iteratorINS8_10device_ptrIbEEEESD_NSA_INSB_IiEEEESF_jNS0_19identity_decomposerENS1_16block_id_wrapperIjLb1EEEEE10hipError_tT1_PNSt15iterator_traitsISK_E10value_typeET2_T3_PNSL_ISQ_E10value_typeET4_T5_PSV_SW_PNS1_23onesweep_lookback_stateEbbT6_jjT7_P12ihipStream_tbENKUlT_T0_SK_SP_E_clIPbSD_PiSF_EEDaS13_S14_SK_SP_EUlS13_E_NS1_11comp_targetILNS1_3genE10ELNS1_11target_archE1201ELNS1_3gpuE5ELNS1_3repE0EEENS1_47radix_sort_onesweep_sort_config_static_selectorELNS0_4arch9wavefront6targetE1EEEvSK_ ; -- Begin function _ZN7rocprim17ROCPRIM_400000_NS6detail17trampoline_kernelINS0_14default_configENS1_35radix_sort_onesweep_config_selectorIbiEEZZNS1_29radix_sort_onesweep_iterationIS3_Lb1EN6thrust23THRUST_200600_302600_NS6detail15normal_iteratorINS8_10device_ptrIbEEEESD_NSA_INSB_IiEEEESF_jNS0_19identity_decomposerENS1_16block_id_wrapperIjLb1EEEEE10hipError_tT1_PNSt15iterator_traitsISK_E10value_typeET2_T3_PNSL_ISQ_E10value_typeET4_T5_PSV_SW_PNS1_23onesweep_lookback_stateEbbT6_jjT7_P12ihipStream_tbENKUlT_T0_SK_SP_E_clIPbSD_PiSF_EEDaS13_S14_SK_SP_EUlS13_E_NS1_11comp_targetILNS1_3genE10ELNS1_11target_archE1201ELNS1_3gpuE5ELNS1_3repE0EEENS1_47radix_sort_onesweep_sort_config_static_selectorELNS0_4arch9wavefront6targetE1EEEvSK_
	.globl	_ZN7rocprim17ROCPRIM_400000_NS6detail17trampoline_kernelINS0_14default_configENS1_35radix_sort_onesweep_config_selectorIbiEEZZNS1_29radix_sort_onesweep_iterationIS3_Lb1EN6thrust23THRUST_200600_302600_NS6detail15normal_iteratorINS8_10device_ptrIbEEEESD_NSA_INSB_IiEEEESF_jNS0_19identity_decomposerENS1_16block_id_wrapperIjLb1EEEEE10hipError_tT1_PNSt15iterator_traitsISK_E10value_typeET2_T3_PNSL_ISQ_E10value_typeET4_T5_PSV_SW_PNS1_23onesweep_lookback_stateEbbT6_jjT7_P12ihipStream_tbENKUlT_T0_SK_SP_E_clIPbSD_PiSF_EEDaS13_S14_SK_SP_EUlS13_E_NS1_11comp_targetILNS1_3genE10ELNS1_11target_archE1201ELNS1_3gpuE5ELNS1_3repE0EEENS1_47radix_sort_onesweep_sort_config_static_selectorELNS0_4arch9wavefront6targetE1EEEvSK_
	.p2align	8
	.type	_ZN7rocprim17ROCPRIM_400000_NS6detail17trampoline_kernelINS0_14default_configENS1_35radix_sort_onesweep_config_selectorIbiEEZZNS1_29radix_sort_onesweep_iterationIS3_Lb1EN6thrust23THRUST_200600_302600_NS6detail15normal_iteratorINS8_10device_ptrIbEEEESD_NSA_INSB_IiEEEESF_jNS0_19identity_decomposerENS1_16block_id_wrapperIjLb1EEEEE10hipError_tT1_PNSt15iterator_traitsISK_E10value_typeET2_T3_PNSL_ISQ_E10value_typeET4_T5_PSV_SW_PNS1_23onesweep_lookback_stateEbbT6_jjT7_P12ihipStream_tbENKUlT_T0_SK_SP_E_clIPbSD_PiSF_EEDaS13_S14_SK_SP_EUlS13_E_NS1_11comp_targetILNS1_3genE10ELNS1_11target_archE1201ELNS1_3gpuE5ELNS1_3repE0EEENS1_47radix_sort_onesweep_sort_config_static_selectorELNS0_4arch9wavefront6targetE1EEEvSK_,@function
_ZN7rocprim17ROCPRIM_400000_NS6detail17trampoline_kernelINS0_14default_configENS1_35radix_sort_onesweep_config_selectorIbiEEZZNS1_29radix_sort_onesweep_iterationIS3_Lb1EN6thrust23THRUST_200600_302600_NS6detail15normal_iteratorINS8_10device_ptrIbEEEESD_NSA_INSB_IiEEEESF_jNS0_19identity_decomposerENS1_16block_id_wrapperIjLb1EEEEE10hipError_tT1_PNSt15iterator_traitsISK_E10value_typeET2_T3_PNSL_ISQ_E10value_typeET4_T5_PSV_SW_PNS1_23onesweep_lookback_stateEbbT6_jjT7_P12ihipStream_tbENKUlT_T0_SK_SP_E_clIPbSD_PiSF_EEDaS13_S14_SK_SP_EUlS13_E_NS1_11comp_targetILNS1_3genE10ELNS1_11target_archE1201ELNS1_3gpuE5ELNS1_3repE0EEENS1_47radix_sort_onesweep_sort_config_static_selectorELNS0_4arch9wavefront6targetE1EEEvSK_: ; @_ZN7rocprim17ROCPRIM_400000_NS6detail17trampoline_kernelINS0_14default_configENS1_35radix_sort_onesweep_config_selectorIbiEEZZNS1_29radix_sort_onesweep_iterationIS3_Lb1EN6thrust23THRUST_200600_302600_NS6detail15normal_iteratorINS8_10device_ptrIbEEEESD_NSA_INSB_IiEEEESF_jNS0_19identity_decomposerENS1_16block_id_wrapperIjLb1EEEEE10hipError_tT1_PNSt15iterator_traitsISK_E10value_typeET2_T3_PNSL_ISQ_E10value_typeET4_T5_PSV_SW_PNS1_23onesweep_lookback_stateEbbT6_jjT7_P12ihipStream_tbENKUlT_T0_SK_SP_E_clIPbSD_PiSF_EEDaS13_S14_SK_SP_EUlS13_E_NS1_11comp_targetILNS1_3genE10ELNS1_11target_archE1201ELNS1_3gpuE5ELNS1_3repE0EEENS1_47radix_sort_onesweep_sort_config_static_selectorELNS0_4arch9wavefront6targetE1EEEvSK_
; %bb.0:
	.section	.rodata,"a",@progbits
	.p2align	6, 0x0
	.amdhsa_kernel _ZN7rocprim17ROCPRIM_400000_NS6detail17trampoline_kernelINS0_14default_configENS1_35radix_sort_onesweep_config_selectorIbiEEZZNS1_29radix_sort_onesweep_iterationIS3_Lb1EN6thrust23THRUST_200600_302600_NS6detail15normal_iteratorINS8_10device_ptrIbEEEESD_NSA_INSB_IiEEEESF_jNS0_19identity_decomposerENS1_16block_id_wrapperIjLb1EEEEE10hipError_tT1_PNSt15iterator_traitsISK_E10value_typeET2_T3_PNSL_ISQ_E10value_typeET4_T5_PSV_SW_PNS1_23onesweep_lookback_stateEbbT6_jjT7_P12ihipStream_tbENKUlT_T0_SK_SP_E_clIPbSD_PiSF_EEDaS13_S14_SK_SP_EUlS13_E_NS1_11comp_targetILNS1_3genE10ELNS1_11target_archE1201ELNS1_3gpuE5ELNS1_3repE0EEENS1_47radix_sort_onesweep_sort_config_static_selectorELNS0_4arch9wavefront6targetE1EEEvSK_
		.amdhsa_group_segment_fixed_size 0
		.amdhsa_private_segment_fixed_size 0
		.amdhsa_kernarg_size 88
		.amdhsa_user_sgpr_count 2
		.amdhsa_user_sgpr_dispatch_ptr 0
		.amdhsa_user_sgpr_queue_ptr 0
		.amdhsa_user_sgpr_kernarg_segment_ptr 1
		.amdhsa_user_sgpr_dispatch_id 0
		.amdhsa_user_sgpr_kernarg_preload_length 0
		.amdhsa_user_sgpr_kernarg_preload_offset 0
		.amdhsa_user_sgpr_private_segment_size 0
		.amdhsa_uses_dynamic_stack 0
		.amdhsa_enable_private_segment 0
		.amdhsa_system_sgpr_workgroup_id_x 1
		.amdhsa_system_sgpr_workgroup_id_y 0
		.amdhsa_system_sgpr_workgroup_id_z 0
		.amdhsa_system_sgpr_workgroup_info 0
		.amdhsa_system_vgpr_workitem_id 0
		.amdhsa_next_free_vgpr 1
		.amdhsa_next_free_sgpr 0
		.amdhsa_accum_offset 4
		.amdhsa_reserve_vcc 0
		.amdhsa_float_round_mode_32 0
		.amdhsa_float_round_mode_16_64 0
		.amdhsa_float_denorm_mode_32 3
		.amdhsa_float_denorm_mode_16_64 3
		.amdhsa_dx10_clamp 1
		.amdhsa_ieee_mode 1
		.amdhsa_fp16_overflow 0
		.amdhsa_tg_split 0
		.amdhsa_exception_fp_ieee_invalid_op 0
		.amdhsa_exception_fp_denorm_src 0
		.amdhsa_exception_fp_ieee_div_zero 0
		.amdhsa_exception_fp_ieee_overflow 0
		.amdhsa_exception_fp_ieee_underflow 0
		.amdhsa_exception_fp_ieee_inexact 0
		.amdhsa_exception_int_div_zero 0
	.end_amdhsa_kernel
	.section	.text._ZN7rocprim17ROCPRIM_400000_NS6detail17trampoline_kernelINS0_14default_configENS1_35radix_sort_onesweep_config_selectorIbiEEZZNS1_29radix_sort_onesweep_iterationIS3_Lb1EN6thrust23THRUST_200600_302600_NS6detail15normal_iteratorINS8_10device_ptrIbEEEESD_NSA_INSB_IiEEEESF_jNS0_19identity_decomposerENS1_16block_id_wrapperIjLb1EEEEE10hipError_tT1_PNSt15iterator_traitsISK_E10value_typeET2_T3_PNSL_ISQ_E10value_typeET4_T5_PSV_SW_PNS1_23onesweep_lookback_stateEbbT6_jjT7_P12ihipStream_tbENKUlT_T0_SK_SP_E_clIPbSD_PiSF_EEDaS13_S14_SK_SP_EUlS13_E_NS1_11comp_targetILNS1_3genE10ELNS1_11target_archE1201ELNS1_3gpuE5ELNS1_3repE0EEENS1_47radix_sort_onesweep_sort_config_static_selectorELNS0_4arch9wavefront6targetE1EEEvSK_,"axG",@progbits,_ZN7rocprim17ROCPRIM_400000_NS6detail17trampoline_kernelINS0_14default_configENS1_35radix_sort_onesweep_config_selectorIbiEEZZNS1_29radix_sort_onesweep_iterationIS3_Lb1EN6thrust23THRUST_200600_302600_NS6detail15normal_iteratorINS8_10device_ptrIbEEEESD_NSA_INSB_IiEEEESF_jNS0_19identity_decomposerENS1_16block_id_wrapperIjLb1EEEEE10hipError_tT1_PNSt15iterator_traitsISK_E10value_typeET2_T3_PNSL_ISQ_E10value_typeET4_T5_PSV_SW_PNS1_23onesweep_lookback_stateEbbT6_jjT7_P12ihipStream_tbENKUlT_T0_SK_SP_E_clIPbSD_PiSF_EEDaS13_S14_SK_SP_EUlS13_E_NS1_11comp_targetILNS1_3genE10ELNS1_11target_archE1201ELNS1_3gpuE5ELNS1_3repE0EEENS1_47radix_sort_onesweep_sort_config_static_selectorELNS0_4arch9wavefront6targetE1EEEvSK_,comdat
.Lfunc_end2242:
	.size	_ZN7rocprim17ROCPRIM_400000_NS6detail17trampoline_kernelINS0_14default_configENS1_35radix_sort_onesweep_config_selectorIbiEEZZNS1_29radix_sort_onesweep_iterationIS3_Lb1EN6thrust23THRUST_200600_302600_NS6detail15normal_iteratorINS8_10device_ptrIbEEEESD_NSA_INSB_IiEEEESF_jNS0_19identity_decomposerENS1_16block_id_wrapperIjLb1EEEEE10hipError_tT1_PNSt15iterator_traitsISK_E10value_typeET2_T3_PNSL_ISQ_E10value_typeET4_T5_PSV_SW_PNS1_23onesweep_lookback_stateEbbT6_jjT7_P12ihipStream_tbENKUlT_T0_SK_SP_E_clIPbSD_PiSF_EEDaS13_S14_SK_SP_EUlS13_E_NS1_11comp_targetILNS1_3genE10ELNS1_11target_archE1201ELNS1_3gpuE5ELNS1_3repE0EEENS1_47radix_sort_onesweep_sort_config_static_selectorELNS0_4arch9wavefront6targetE1EEEvSK_, .Lfunc_end2242-_ZN7rocprim17ROCPRIM_400000_NS6detail17trampoline_kernelINS0_14default_configENS1_35radix_sort_onesweep_config_selectorIbiEEZZNS1_29radix_sort_onesweep_iterationIS3_Lb1EN6thrust23THRUST_200600_302600_NS6detail15normal_iteratorINS8_10device_ptrIbEEEESD_NSA_INSB_IiEEEESF_jNS0_19identity_decomposerENS1_16block_id_wrapperIjLb1EEEEE10hipError_tT1_PNSt15iterator_traitsISK_E10value_typeET2_T3_PNSL_ISQ_E10value_typeET4_T5_PSV_SW_PNS1_23onesweep_lookback_stateEbbT6_jjT7_P12ihipStream_tbENKUlT_T0_SK_SP_E_clIPbSD_PiSF_EEDaS13_S14_SK_SP_EUlS13_E_NS1_11comp_targetILNS1_3genE10ELNS1_11target_archE1201ELNS1_3gpuE5ELNS1_3repE0EEENS1_47radix_sort_onesweep_sort_config_static_selectorELNS0_4arch9wavefront6targetE1EEEvSK_
                                        ; -- End function
	.set _ZN7rocprim17ROCPRIM_400000_NS6detail17trampoline_kernelINS0_14default_configENS1_35radix_sort_onesweep_config_selectorIbiEEZZNS1_29radix_sort_onesweep_iterationIS3_Lb1EN6thrust23THRUST_200600_302600_NS6detail15normal_iteratorINS8_10device_ptrIbEEEESD_NSA_INSB_IiEEEESF_jNS0_19identity_decomposerENS1_16block_id_wrapperIjLb1EEEEE10hipError_tT1_PNSt15iterator_traitsISK_E10value_typeET2_T3_PNSL_ISQ_E10value_typeET4_T5_PSV_SW_PNS1_23onesweep_lookback_stateEbbT6_jjT7_P12ihipStream_tbENKUlT_T0_SK_SP_E_clIPbSD_PiSF_EEDaS13_S14_SK_SP_EUlS13_E_NS1_11comp_targetILNS1_3genE10ELNS1_11target_archE1201ELNS1_3gpuE5ELNS1_3repE0EEENS1_47radix_sort_onesweep_sort_config_static_selectorELNS0_4arch9wavefront6targetE1EEEvSK_.num_vgpr, 0
	.set _ZN7rocprim17ROCPRIM_400000_NS6detail17trampoline_kernelINS0_14default_configENS1_35radix_sort_onesweep_config_selectorIbiEEZZNS1_29radix_sort_onesweep_iterationIS3_Lb1EN6thrust23THRUST_200600_302600_NS6detail15normal_iteratorINS8_10device_ptrIbEEEESD_NSA_INSB_IiEEEESF_jNS0_19identity_decomposerENS1_16block_id_wrapperIjLb1EEEEE10hipError_tT1_PNSt15iterator_traitsISK_E10value_typeET2_T3_PNSL_ISQ_E10value_typeET4_T5_PSV_SW_PNS1_23onesweep_lookback_stateEbbT6_jjT7_P12ihipStream_tbENKUlT_T0_SK_SP_E_clIPbSD_PiSF_EEDaS13_S14_SK_SP_EUlS13_E_NS1_11comp_targetILNS1_3genE10ELNS1_11target_archE1201ELNS1_3gpuE5ELNS1_3repE0EEENS1_47radix_sort_onesweep_sort_config_static_selectorELNS0_4arch9wavefront6targetE1EEEvSK_.num_agpr, 0
	.set _ZN7rocprim17ROCPRIM_400000_NS6detail17trampoline_kernelINS0_14default_configENS1_35radix_sort_onesweep_config_selectorIbiEEZZNS1_29radix_sort_onesweep_iterationIS3_Lb1EN6thrust23THRUST_200600_302600_NS6detail15normal_iteratorINS8_10device_ptrIbEEEESD_NSA_INSB_IiEEEESF_jNS0_19identity_decomposerENS1_16block_id_wrapperIjLb1EEEEE10hipError_tT1_PNSt15iterator_traitsISK_E10value_typeET2_T3_PNSL_ISQ_E10value_typeET4_T5_PSV_SW_PNS1_23onesweep_lookback_stateEbbT6_jjT7_P12ihipStream_tbENKUlT_T0_SK_SP_E_clIPbSD_PiSF_EEDaS13_S14_SK_SP_EUlS13_E_NS1_11comp_targetILNS1_3genE10ELNS1_11target_archE1201ELNS1_3gpuE5ELNS1_3repE0EEENS1_47radix_sort_onesweep_sort_config_static_selectorELNS0_4arch9wavefront6targetE1EEEvSK_.numbered_sgpr, 0
	.set _ZN7rocprim17ROCPRIM_400000_NS6detail17trampoline_kernelINS0_14default_configENS1_35radix_sort_onesweep_config_selectorIbiEEZZNS1_29radix_sort_onesweep_iterationIS3_Lb1EN6thrust23THRUST_200600_302600_NS6detail15normal_iteratorINS8_10device_ptrIbEEEESD_NSA_INSB_IiEEEESF_jNS0_19identity_decomposerENS1_16block_id_wrapperIjLb1EEEEE10hipError_tT1_PNSt15iterator_traitsISK_E10value_typeET2_T3_PNSL_ISQ_E10value_typeET4_T5_PSV_SW_PNS1_23onesweep_lookback_stateEbbT6_jjT7_P12ihipStream_tbENKUlT_T0_SK_SP_E_clIPbSD_PiSF_EEDaS13_S14_SK_SP_EUlS13_E_NS1_11comp_targetILNS1_3genE10ELNS1_11target_archE1201ELNS1_3gpuE5ELNS1_3repE0EEENS1_47radix_sort_onesweep_sort_config_static_selectorELNS0_4arch9wavefront6targetE1EEEvSK_.num_named_barrier, 0
	.set _ZN7rocprim17ROCPRIM_400000_NS6detail17trampoline_kernelINS0_14default_configENS1_35radix_sort_onesweep_config_selectorIbiEEZZNS1_29radix_sort_onesweep_iterationIS3_Lb1EN6thrust23THRUST_200600_302600_NS6detail15normal_iteratorINS8_10device_ptrIbEEEESD_NSA_INSB_IiEEEESF_jNS0_19identity_decomposerENS1_16block_id_wrapperIjLb1EEEEE10hipError_tT1_PNSt15iterator_traitsISK_E10value_typeET2_T3_PNSL_ISQ_E10value_typeET4_T5_PSV_SW_PNS1_23onesweep_lookback_stateEbbT6_jjT7_P12ihipStream_tbENKUlT_T0_SK_SP_E_clIPbSD_PiSF_EEDaS13_S14_SK_SP_EUlS13_E_NS1_11comp_targetILNS1_3genE10ELNS1_11target_archE1201ELNS1_3gpuE5ELNS1_3repE0EEENS1_47radix_sort_onesweep_sort_config_static_selectorELNS0_4arch9wavefront6targetE1EEEvSK_.private_seg_size, 0
	.set _ZN7rocprim17ROCPRIM_400000_NS6detail17trampoline_kernelINS0_14default_configENS1_35radix_sort_onesweep_config_selectorIbiEEZZNS1_29radix_sort_onesweep_iterationIS3_Lb1EN6thrust23THRUST_200600_302600_NS6detail15normal_iteratorINS8_10device_ptrIbEEEESD_NSA_INSB_IiEEEESF_jNS0_19identity_decomposerENS1_16block_id_wrapperIjLb1EEEEE10hipError_tT1_PNSt15iterator_traitsISK_E10value_typeET2_T3_PNSL_ISQ_E10value_typeET4_T5_PSV_SW_PNS1_23onesweep_lookback_stateEbbT6_jjT7_P12ihipStream_tbENKUlT_T0_SK_SP_E_clIPbSD_PiSF_EEDaS13_S14_SK_SP_EUlS13_E_NS1_11comp_targetILNS1_3genE10ELNS1_11target_archE1201ELNS1_3gpuE5ELNS1_3repE0EEENS1_47radix_sort_onesweep_sort_config_static_selectorELNS0_4arch9wavefront6targetE1EEEvSK_.uses_vcc, 0
	.set _ZN7rocprim17ROCPRIM_400000_NS6detail17trampoline_kernelINS0_14default_configENS1_35radix_sort_onesweep_config_selectorIbiEEZZNS1_29radix_sort_onesweep_iterationIS3_Lb1EN6thrust23THRUST_200600_302600_NS6detail15normal_iteratorINS8_10device_ptrIbEEEESD_NSA_INSB_IiEEEESF_jNS0_19identity_decomposerENS1_16block_id_wrapperIjLb1EEEEE10hipError_tT1_PNSt15iterator_traitsISK_E10value_typeET2_T3_PNSL_ISQ_E10value_typeET4_T5_PSV_SW_PNS1_23onesweep_lookback_stateEbbT6_jjT7_P12ihipStream_tbENKUlT_T0_SK_SP_E_clIPbSD_PiSF_EEDaS13_S14_SK_SP_EUlS13_E_NS1_11comp_targetILNS1_3genE10ELNS1_11target_archE1201ELNS1_3gpuE5ELNS1_3repE0EEENS1_47radix_sort_onesweep_sort_config_static_selectorELNS0_4arch9wavefront6targetE1EEEvSK_.uses_flat_scratch, 0
	.set _ZN7rocprim17ROCPRIM_400000_NS6detail17trampoline_kernelINS0_14default_configENS1_35radix_sort_onesweep_config_selectorIbiEEZZNS1_29radix_sort_onesweep_iterationIS3_Lb1EN6thrust23THRUST_200600_302600_NS6detail15normal_iteratorINS8_10device_ptrIbEEEESD_NSA_INSB_IiEEEESF_jNS0_19identity_decomposerENS1_16block_id_wrapperIjLb1EEEEE10hipError_tT1_PNSt15iterator_traitsISK_E10value_typeET2_T3_PNSL_ISQ_E10value_typeET4_T5_PSV_SW_PNS1_23onesweep_lookback_stateEbbT6_jjT7_P12ihipStream_tbENKUlT_T0_SK_SP_E_clIPbSD_PiSF_EEDaS13_S14_SK_SP_EUlS13_E_NS1_11comp_targetILNS1_3genE10ELNS1_11target_archE1201ELNS1_3gpuE5ELNS1_3repE0EEENS1_47radix_sort_onesweep_sort_config_static_selectorELNS0_4arch9wavefront6targetE1EEEvSK_.has_dyn_sized_stack, 0
	.set _ZN7rocprim17ROCPRIM_400000_NS6detail17trampoline_kernelINS0_14default_configENS1_35radix_sort_onesweep_config_selectorIbiEEZZNS1_29radix_sort_onesweep_iterationIS3_Lb1EN6thrust23THRUST_200600_302600_NS6detail15normal_iteratorINS8_10device_ptrIbEEEESD_NSA_INSB_IiEEEESF_jNS0_19identity_decomposerENS1_16block_id_wrapperIjLb1EEEEE10hipError_tT1_PNSt15iterator_traitsISK_E10value_typeET2_T3_PNSL_ISQ_E10value_typeET4_T5_PSV_SW_PNS1_23onesweep_lookback_stateEbbT6_jjT7_P12ihipStream_tbENKUlT_T0_SK_SP_E_clIPbSD_PiSF_EEDaS13_S14_SK_SP_EUlS13_E_NS1_11comp_targetILNS1_3genE10ELNS1_11target_archE1201ELNS1_3gpuE5ELNS1_3repE0EEENS1_47radix_sort_onesweep_sort_config_static_selectorELNS0_4arch9wavefront6targetE1EEEvSK_.has_recursion, 0
	.set _ZN7rocprim17ROCPRIM_400000_NS6detail17trampoline_kernelINS0_14default_configENS1_35radix_sort_onesweep_config_selectorIbiEEZZNS1_29radix_sort_onesweep_iterationIS3_Lb1EN6thrust23THRUST_200600_302600_NS6detail15normal_iteratorINS8_10device_ptrIbEEEESD_NSA_INSB_IiEEEESF_jNS0_19identity_decomposerENS1_16block_id_wrapperIjLb1EEEEE10hipError_tT1_PNSt15iterator_traitsISK_E10value_typeET2_T3_PNSL_ISQ_E10value_typeET4_T5_PSV_SW_PNS1_23onesweep_lookback_stateEbbT6_jjT7_P12ihipStream_tbENKUlT_T0_SK_SP_E_clIPbSD_PiSF_EEDaS13_S14_SK_SP_EUlS13_E_NS1_11comp_targetILNS1_3genE10ELNS1_11target_archE1201ELNS1_3gpuE5ELNS1_3repE0EEENS1_47radix_sort_onesweep_sort_config_static_selectorELNS0_4arch9wavefront6targetE1EEEvSK_.has_indirect_call, 0
	.section	.AMDGPU.csdata,"",@progbits
; Kernel info:
; codeLenInByte = 0
; TotalNumSgprs: 6
; NumVgprs: 0
; NumAgprs: 0
; TotalNumVgprs: 0
; ScratchSize: 0
; MemoryBound: 0
; FloatMode: 240
; IeeeMode: 1
; LDSByteSize: 0 bytes/workgroup (compile time only)
; SGPRBlocks: 0
; VGPRBlocks: 0
; NumSGPRsForWavesPerEU: 6
; NumVGPRsForWavesPerEU: 1
; AccumOffset: 4
; Occupancy: 8
; WaveLimiterHint : 0
; COMPUTE_PGM_RSRC2:SCRATCH_EN: 0
; COMPUTE_PGM_RSRC2:USER_SGPR: 2
; COMPUTE_PGM_RSRC2:TRAP_HANDLER: 0
; COMPUTE_PGM_RSRC2:TGID_X_EN: 1
; COMPUTE_PGM_RSRC2:TGID_Y_EN: 0
; COMPUTE_PGM_RSRC2:TGID_Z_EN: 0
; COMPUTE_PGM_RSRC2:TIDIG_COMP_CNT: 0
; COMPUTE_PGM_RSRC3_GFX90A:ACCUM_OFFSET: 0
; COMPUTE_PGM_RSRC3_GFX90A:TG_SPLIT: 0
	.section	.text._ZN7rocprim17ROCPRIM_400000_NS6detail17trampoline_kernelINS0_14default_configENS1_35radix_sort_onesweep_config_selectorIbiEEZZNS1_29radix_sort_onesweep_iterationIS3_Lb1EN6thrust23THRUST_200600_302600_NS6detail15normal_iteratorINS8_10device_ptrIbEEEESD_NSA_INSB_IiEEEESF_jNS0_19identity_decomposerENS1_16block_id_wrapperIjLb1EEEEE10hipError_tT1_PNSt15iterator_traitsISK_E10value_typeET2_T3_PNSL_ISQ_E10value_typeET4_T5_PSV_SW_PNS1_23onesweep_lookback_stateEbbT6_jjT7_P12ihipStream_tbENKUlT_T0_SK_SP_E_clIPbSD_PiSF_EEDaS13_S14_SK_SP_EUlS13_E_NS1_11comp_targetILNS1_3genE9ELNS1_11target_archE1100ELNS1_3gpuE3ELNS1_3repE0EEENS1_47radix_sort_onesweep_sort_config_static_selectorELNS0_4arch9wavefront6targetE1EEEvSK_,"axG",@progbits,_ZN7rocprim17ROCPRIM_400000_NS6detail17trampoline_kernelINS0_14default_configENS1_35radix_sort_onesweep_config_selectorIbiEEZZNS1_29radix_sort_onesweep_iterationIS3_Lb1EN6thrust23THRUST_200600_302600_NS6detail15normal_iteratorINS8_10device_ptrIbEEEESD_NSA_INSB_IiEEEESF_jNS0_19identity_decomposerENS1_16block_id_wrapperIjLb1EEEEE10hipError_tT1_PNSt15iterator_traitsISK_E10value_typeET2_T3_PNSL_ISQ_E10value_typeET4_T5_PSV_SW_PNS1_23onesweep_lookback_stateEbbT6_jjT7_P12ihipStream_tbENKUlT_T0_SK_SP_E_clIPbSD_PiSF_EEDaS13_S14_SK_SP_EUlS13_E_NS1_11comp_targetILNS1_3genE9ELNS1_11target_archE1100ELNS1_3gpuE3ELNS1_3repE0EEENS1_47radix_sort_onesweep_sort_config_static_selectorELNS0_4arch9wavefront6targetE1EEEvSK_,comdat
	.protected	_ZN7rocprim17ROCPRIM_400000_NS6detail17trampoline_kernelINS0_14default_configENS1_35radix_sort_onesweep_config_selectorIbiEEZZNS1_29radix_sort_onesweep_iterationIS3_Lb1EN6thrust23THRUST_200600_302600_NS6detail15normal_iteratorINS8_10device_ptrIbEEEESD_NSA_INSB_IiEEEESF_jNS0_19identity_decomposerENS1_16block_id_wrapperIjLb1EEEEE10hipError_tT1_PNSt15iterator_traitsISK_E10value_typeET2_T3_PNSL_ISQ_E10value_typeET4_T5_PSV_SW_PNS1_23onesweep_lookback_stateEbbT6_jjT7_P12ihipStream_tbENKUlT_T0_SK_SP_E_clIPbSD_PiSF_EEDaS13_S14_SK_SP_EUlS13_E_NS1_11comp_targetILNS1_3genE9ELNS1_11target_archE1100ELNS1_3gpuE3ELNS1_3repE0EEENS1_47radix_sort_onesweep_sort_config_static_selectorELNS0_4arch9wavefront6targetE1EEEvSK_ ; -- Begin function _ZN7rocprim17ROCPRIM_400000_NS6detail17trampoline_kernelINS0_14default_configENS1_35radix_sort_onesweep_config_selectorIbiEEZZNS1_29radix_sort_onesweep_iterationIS3_Lb1EN6thrust23THRUST_200600_302600_NS6detail15normal_iteratorINS8_10device_ptrIbEEEESD_NSA_INSB_IiEEEESF_jNS0_19identity_decomposerENS1_16block_id_wrapperIjLb1EEEEE10hipError_tT1_PNSt15iterator_traitsISK_E10value_typeET2_T3_PNSL_ISQ_E10value_typeET4_T5_PSV_SW_PNS1_23onesweep_lookback_stateEbbT6_jjT7_P12ihipStream_tbENKUlT_T0_SK_SP_E_clIPbSD_PiSF_EEDaS13_S14_SK_SP_EUlS13_E_NS1_11comp_targetILNS1_3genE9ELNS1_11target_archE1100ELNS1_3gpuE3ELNS1_3repE0EEENS1_47radix_sort_onesweep_sort_config_static_selectorELNS0_4arch9wavefront6targetE1EEEvSK_
	.globl	_ZN7rocprim17ROCPRIM_400000_NS6detail17trampoline_kernelINS0_14default_configENS1_35radix_sort_onesweep_config_selectorIbiEEZZNS1_29radix_sort_onesweep_iterationIS3_Lb1EN6thrust23THRUST_200600_302600_NS6detail15normal_iteratorINS8_10device_ptrIbEEEESD_NSA_INSB_IiEEEESF_jNS0_19identity_decomposerENS1_16block_id_wrapperIjLb1EEEEE10hipError_tT1_PNSt15iterator_traitsISK_E10value_typeET2_T3_PNSL_ISQ_E10value_typeET4_T5_PSV_SW_PNS1_23onesweep_lookback_stateEbbT6_jjT7_P12ihipStream_tbENKUlT_T0_SK_SP_E_clIPbSD_PiSF_EEDaS13_S14_SK_SP_EUlS13_E_NS1_11comp_targetILNS1_3genE9ELNS1_11target_archE1100ELNS1_3gpuE3ELNS1_3repE0EEENS1_47radix_sort_onesweep_sort_config_static_selectorELNS0_4arch9wavefront6targetE1EEEvSK_
	.p2align	8
	.type	_ZN7rocprim17ROCPRIM_400000_NS6detail17trampoline_kernelINS0_14default_configENS1_35radix_sort_onesweep_config_selectorIbiEEZZNS1_29radix_sort_onesweep_iterationIS3_Lb1EN6thrust23THRUST_200600_302600_NS6detail15normal_iteratorINS8_10device_ptrIbEEEESD_NSA_INSB_IiEEEESF_jNS0_19identity_decomposerENS1_16block_id_wrapperIjLb1EEEEE10hipError_tT1_PNSt15iterator_traitsISK_E10value_typeET2_T3_PNSL_ISQ_E10value_typeET4_T5_PSV_SW_PNS1_23onesweep_lookback_stateEbbT6_jjT7_P12ihipStream_tbENKUlT_T0_SK_SP_E_clIPbSD_PiSF_EEDaS13_S14_SK_SP_EUlS13_E_NS1_11comp_targetILNS1_3genE9ELNS1_11target_archE1100ELNS1_3gpuE3ELNS1_3repE0EEENS1_47radix_sort_onesweep_sort_config_static_selectorELNS0_4arch9wavefront6targetE1EEEvSK_,@function
_ZN7rocprim17ROCPRIM_400000_NS6detail17trampoline_kernelINS0_14default_configENS1_35radix_sort_onesweep_config_selectorIbiEEZZNS1_29radix_sort_onesweep_iterationIS3_Lb1EN6thrust23THRUST_200600_302600_NS6detail15normal_iteratorINS8_10device_ptrIbEEEESD_NSA_INSB_IiEEEESF_jNS0_19identity_decomposerENS1_16block_id_wrapperIjLb1EEEEE10hipError_tT1_PNSt15iterator_traitsISK_E10value_typeET2_T3_PNSL_ISQ_E10value_typeET4_T5_PSV_SW_PNS1_23onesweep_lookback_stateEbbT6_jjT7_P12ihipStream_tbENKUlT_T0_SK_SP_E_clIPbSD_PiSF_EEDaS13_S14_SK_SP_EUlS13_E_NS1_11comp_targetILNS1_3genE9ELNS1_11target_archE1100ELNS1_3gpuE3ELNS1_3repE0EEENS1_47radix_sort_onesweep_sort_config_static_selectorELNS0_4arch9wavefront6targetE1EEEvSK_: ; @_ZN7rocprim17ROCPRIM_400000_NS6detail17trampoline_kernelINS0_14default_configENS1_35radix_sort_onesweep_config_selectorIbiEEZZNS1_29radix_sort_onesweep_iterationIS3_Lb1EN6thrust23THRUST_200600_302600_NS6detail15normal_iteratorINS8_10device_ptrIbEEEESD_NSA_INSB_IiEEEESF_jNS0_19identity_decomposerENS1_16block_id_wrapperIjLb1EEEEE10hipError_tT1_PNSt15iterator_traitsISK_E10value_typeET2_T3_PNSL_ISQ_E10value_typeET4_T5_PSV_SW_PNS1_23onesweep_lookback_stateEbbT6_jjT7_P12ihipStream_tbENKUlT_T0_SK_SP_E_clIPbSD_PiSF_EEDaS13_S14_SK_SP_EUlS13_E_NS1_11comp_targetILNS1_3genE9ELNS1_11target_archE1100ELNS1_3gpuE3ELNS1_3repE0EEENS1_47radix_sort_onesweep_sort_config_static_selectorELNS0_4arch9wavefront6targetE1EEEvSK_
; %bb.0:
	.section	.rodata,"a",@progbits
	.p2align	6, 0x0
	.amdhsa_kernel _ZN7rocprim17ROCPRIM_400000_NS6detail17trampoline_kernelINS0_14default_configENS1_35radix_sort_onesweep_config_selectorIbiEEZZNS1_29radix_sort_onesweep_iterationIS3_Lb1EN6thrust23THRUST_200600_302600_NS6detail15normal_iteratorINS8_10device_ptrIbEEEESD_NSA_INSB_IiEEEESF_jNS0_19identity_decomposerENS1_16block_id_wrapperIjLb1EEEEE10hipError_tT1_PNSt15iterator_traitsISK_E10value_typeET2_T3_PNSL_ISQ_E10value_typeET4_T5_PSV_SW_PNS1_23onesweep_lookback_stateEbbT6_jjT7_P12ihipStream_tbENKUlT_T0_SK_SP_E_clIPbSD_PiSF_EEDaS13_S14_SK_SP_EUlS13_E_NS1_11comp_targetILNS1_3genE9ELNS1_11target_archE1100ELNS1_3gpuE3ELNS1_3repE0EEENS1_47radix_sort_onesweep_sort_config_static_selectorELNS0_4arch9wavefront6targetE1EEEvSK_
		.amdhsa_group_segment_fixed_size 0
		.amdhsa_private_segment_fixed_size 0
		.amdhsa_kernarg_size 88
		.amdhsa_user_sgpr_count 2
		.amdhsa_user_sgpr_dispatch_ptr 0
		.amdhsa_user_sgpr_queue_ptr 0
		.amdhsa_user_sgpr_kernarg_segment_ptr 1
		.amdhsa_user_sgpr_dispatch_id 0
		.amdhsa_user_sgpr_kernarg_preload_length 0
		.amdhsa_user_sgpr_kernarg_preload_offset 0
		.amdhsa_user_sgpr_private_segment_size 0
		.amdhsa_uses_dynamic_stack 0
		.amdhsa_enable_private_segment 0
		.amdhsa_system_sgpr_workgroup_id_x 1
		.amdhsa_system_sgpr_workgroup_id_y 0
		.amdhsa_system_sgpr_workgroup_id_z 0
		.amdhsa_system_sgpr_workgroup_info 0
		.amdhsa_system_vgpr_workitem_id 0
		.amdhsa_next_free_vgpr 1
		.amdhsa_next_free_sgpr 0
		.amdhsa_accum_offset 4
		.amdhsa_reserve_vcc 0
		.amdhsa_float_round_mode_32 0
		.amdhsa_float_round_mode_16_64 0
		.amdhsa_float_denorm_mode_32 3
		.amdhsa_float_denorm_mode_16_64 3
		.amdhsa_dx10_clamp 1
		.amdhsa_ieee_mode 1
		.amdhsa_fp16_overflow 0
		.amdhsa_tg_split 0
		.amdhsa_exception_fp_ieee_invalid_op 0
		.amdhsa_exception_fp_denorm_src 0
		.amdhsa_exception_fp_ieee_div_zero 0
		.amdhsa_exception_fp_ieee_overflow 0
		.amdhsa_exception_fp_ieee_underflow 0
		.amdhsa_exception_fp_ieee_inexact 0
		.amdhsa_exception_int_div_zero 0
	.end_amdhsa_kernel
	.section	.text._ZN7rocprim17ROCPRIM_400000_NS6detail17trampoline_kernelINS0_14default_configENS1_35radix_sort_onesweep_config_selectorIbiEEZZNS1_29radix_sort_onesweep_iterationIS3_Lb1EN6thrust23THRUST_200600_302600_NS6detail15normal_iteratorINS8_10device_ptrIbEEEESD_NSA_INSB_IiEEEESF_jNS0_19identity_decomposerENS1_16block_id_wrapperIjLb1EEEEE10hipError_tT1_PNSt15iterator_traitsISK_E10value_typeET2_T3_PNSL_ISQ_E10value_typeET4_T5_PSV_SW_PNS1_23onesweep_lookback_stateEbbT6_jjT7_P12ihipStream_tbENKUlT_T0_SK_SP_E_clIPbSD_PiSF_EEDaS13_S14_SK_SP_EUlS13_E_NS1_11comp_targetILNS1_3genE9ELNS1_11target_archE1100ELNS1_3gpuE3ELNS1_3repE0EEENS1_47radix_sort_onesweep_sort_config_static_selectorELNS0_4arch9wavefront6targetE1EEEvSK_,"axG",@progbits,_ZN7rocprim17ROCPRIM_400000_NS6detail17trampoline_kernelINS0_14default_configENS1_35radix_sort_onesweep_config_selectorIbiEEZZNS1_29radix_sort_onesweep_iterationIS3_Lb1EN6thrust23THRUST_200600_302600_NS6detail15normal_iteratorINS8_10device_ptrIbEEEESD_NSA_INSB_IiEEEESF_jNS0_19identity_decomposerENS1_16block_id_wrapperIjLb1EEEEE10hipError_tT1_PNSt15iterator_traitsISK_E10value_typeET2_T3_PNSL_ISQ_E10value_typeET4_T5_PSV_SW_PNS1_23onesweep_lookback_stateEbbT6_jjT7_P12ihipStream_tbENKUlT_T0_SK_SP_E_clIPbSD_PiSF_EEDaS13_S14_SK_SP_EUlS13_E_NS1_11comp_targetILNS1_3genE9ELNS1_11target_archE1100ELNS1_3gpuE3ELNS1_3repE0EEENS1_47radix_sort_onesweep_sort_config_static_selectorELNS0_4arch9wavefront6targetE1EEEvSK_,comdat
.Lfunc_end2243:
	.size	_ZN7rocprim17ROCPRIM_400000_NS6detail17trampoline_kernelINS0_14default_configENS1_35radix_sort_onesweep_config_selectorIbiEEZZNS1_29radix_sort_onesweep_iterationIS3_Lb1EN6thrust23THRUST_200600_302600_NS6detail15normal_iteratorINS8_10device_ptrIbEEEESD_NSA_INSB_IiEEEESF_jNS0_19identity_decomposerENS1_16block_id_wrapperIjLb1EEEEE10hipError_tT1_PNSt15iterator_traitsISK_E10value_typeET2_T3_PNSL_ISQ_E10value_typeET4_T5_PSV_SW_PNS1_23onesweep_lookback_stateEbbT6_jjT7_P12ihipStream_tbENKUlT_T0_SK_SP_E_clIPbSD_PiSF_EEDaS13_S14_SK_SP_EUlS13_E_NS1_11comp_targetILNS1_3genE9ELNS1_11target_archE1100ELNS1_3gpuE3ELNS1_3repE0EEENS1_47radix_sort_onesweep_sort_config_static_selectorELNS0_4arch9wavefront6targetE1EEEvSK_, .Lfunc_end2243-_ZN7rocprim17ROCPRIM_400000_NS6detail17trampoline_kernelINS0_14default_configENS1_35radix_sort_onesweep_config_selectorIbiEEZZNS1_29radix_sort_onesweep_iterationIS3_Lb1EN6thrust23THRUST_200600_302600_NS6detail15normal_iteratorINS8_10device_ptrIbEEEESD_NSA_INSB_IiEEEESF_jNS0_19identity_decomposerENS1_16block_id_wrapperIjLb1EEEEE10hipError_tT1_PNSt15iterator_traitsISK_E10value_typeET2_T3_PNSL_ISQ_E10value_typeET4_T5_PSV_SW_PNS1_23onesweep_lookback_stateEbbT6_jjT7_P12ihipStream_tbENKUlT_T0_SK_SP_E_clIPbSD_PiSF_EEDaS13_S14_SK_SP_EUlS13_E_NS1_11comp_targetILNS1_3genE9ELNS1_11target_archE1100ELNS1_3gpuE3ELNS1_3repE0EEENS1_47radix_sort_onesweep_sort_config_static_selectorELNS0_4arch9wavefront6targetE1EEEvSK_
                                        ; -- End function
	.set _ZN7rocprim17ROCPRIM_400000_NS6detail17trampoline_kernelINS0_14default_configENS1_35radix_sort_onesweep_config_selectorIbiEEZZNS1_29radix_sort_onesweep_iterationIS3_Lb1EN6thrust23THRUST_200600_302600_NS6detail15normal_iteratorINS8_10device_ptrIbEEEESD_NSA_INSB_IiEEEESF_jNS0_19identity_decomposerENS1_16block_id_wrapperIjLb1EEEEE10hipError_tT1_PNSt15iterator_traitsISK_E10value_typeET2_T3_PNSL_ISQ_E10value_typeET4_T5_PSV_SW_PNS1_23onesweep_lookback_stateEbbT6_jjT7_P12ihipStream_tbENKUlT_T0_SK_SP_E_clIPbSD_PiSF_EEDaS13_S14_SK_SP_EUlS13_E_NS1_11comp_targetILNS1_3genE9ELNS1_11target_archE1100ELNS1_3gpuE3ELNS1_3repE0EEENS1_47radix_sort_onesweep_sort_config_static_selectorELNS0_4arch9wavefront6targetE1EEEvSK_.num_vgpr, 0
	.set _ZN7rocprim17ROCPRIM_400000_NS6detail17trampoline_kernelINS0_14default_configENS1_35radix_sort_onesweep_config_selectorIbiEEZZNS1_29radix_sort_onesweep_iterationIS3_Lb1EN6thrust23THRUST_200600_302600_NS6detail15normal_iteratorINS8_10device_ptrIbEEEESD_NSA_INSB_IiEEEESF_jNS0_19identity_decomposerENS1_16block_id_wrapperIjLb1EEEEE10hipError_tT1_PNSt15iterator_traitsISK_E10value_typeET2_T3_PNSL_ISQ_E10value_typeET4_T5_PSV_SW_PNS1_23onesweep_lookback_stateEbbT6_jjT7_P12ihipStream_tbENKUlT_T0_SK_SP_E_clIPbSD_PiSF_EEDaS13_S14_SK_SP_EUlS13_E_NS1_11comp_targetILNS1_3genE9ELNS1_11target_archE1100ELNS1_3gpuE3ELNS1_3repE0EEENS1_47radix_sort_onesweep_sort_config_static_selectorELNS0_4arch9wavefront6targetE1EEEvSK_.num_agpr, 0
	.set _ZN7rocprim17ROCPRIM_400000_NS6detail17trampoline_kernelINS0_14default_configENS1_35radix_sort_onesweep_config_selectorIbiEEZZNS1_29radix_sort_onesweep_iterationIS3_Lb1EN6thrust23THRUST_200600_302600_NS6detail15normal_iteratorINS8_10device_ptrIbEEEESD_NSA_INSB_IiEEEESF_jNS0_19identity_decomposerENS1_16block_id_wrapperIjLb1EEEEE10hipError_tT1_PNSt15iterator_traitsISK_E10value_typeET2_T3_PNSL_ISQ_E10value_typeET4_T5_PSV_SW_PNS1_23onesweep_lookback_stateEbbT6_jjT7_P12ihipStream_tbENKUlT_T0_SK_SP_E_clIPbSD_PiSF_EEDaS13_S14_SK_SP_EUlS13_E_NS1_11comp_targetILNS1_3genE9ELNS1_11target_archE1100ELNS1_3gpuE3ELNS1_3repE0EEENS1_47radix_sort_onesweep_sort_config_static_selectorELNS0_4arch9wavefront6targetE1EEEvSK_.numbered_sgpr, 0
	.set _ZN7rocprim17ROCPRIM_400000_NS6detail17trampoline_kernelINS0_14default_configENS1_35radix_sort_onesweep_config_selectorIbiEEZZNS1_29radix_sort_onesweep_iterationIS3_Lb1EN6thrust23THRUST_200600_302600_NS6detail15normal_iteratorINS8_10device_ptrIbEEEESD_NSA_INSB_IiEEEESF_jNS0_19identity_decomposerENS1_16block_id_wrapperIjLb1EEEEE10hipError_tT1_PNSt15iterator_traitsISK_E10value_typeET2_T3_PNSL_ISQ_E10value_typeET4_T5_PSV_SW_PNS1_23onesweep_lookback_stateEbbT6_jjT7_P12ihipStream_tbENKUlT_T0_SK_SP_E_clIPbSD_PiSF_EEDaS13_S14_SK_SP_EUlS13_E_NS1_11comp_targetILNS1_3genE9ELNS1_11target_archE1100ELNS1_3gpuE3ELNS1_3repE0EEENS1_47radix_sort_onesweep_sort_config_static_selectorELNS0_4arch9wavefront6targetE1EEEvSK_.num_named_barrier, 0
	.set _ZN7rocprim17ROCPRIM_400000_NS6detail17trampoline_kernelINS0_14default_configENS1_35radix_sort_onesweep_config_selectorIbiEEZZNS1_29radix_sort_onesweep_iterationIS3_Lb1EN6thrust23THRUST_200600_302600_NS6detail15normal_iteratorINS8_10device_ptrIbEEEESD_NSA_INSB_IiEEEESF_jNS0_19identity_decomposerENS1_16block_id_wrapperIjLb1EEEEE10hipError_tT1_PNSt15iterator_traitsISK_E10value_typeET2_T3_PNSL_ISQ_E10value_typeET4_T5_PSV_SW_PNS1_23onesweep_lookback_stateEbbT6_jjT7_P12ihipStream_tbENKUlT_T0_SK_SP_E_clIPbSD_PiSF_EEDaS13_S14_SK_SP_EUlS13_E_NS1_11comp_targetILNS1_3genE9ELNS1_11target_archE1100ELNS1_3gpuE3ELNS1_3repE0EEENS1_47radix_sort_onesweep_sort_config_static_selectorELNS0_4arch9wavefront6targetE1EEEvSK_.private_seg_size, 0
	.set _ZN7rocprim17ROCPRIM_400000_NS6detail17trampoline_kernelINS0_14default_configENS1_35radix_sort_onesweep_config_selectorIbiEEZZNS1_29radix_sort_onesweep_iterationIS3_Lb1EN6thrust23THRUST_200600_302600_NS6detail15normal_iteratorINS8_10device_ptrIbEEEESD_NSA_INSB_IiEEEESF_jNS0_19identity_decomposerENS1_16block_id_wrapperIjLb1EEEEE10hipError_tT1_PNSt15iterator_traitsISK_E10value_typeET2_T3_PNSL_ISQ_E10value_typeET4_T5_PSV_SW_PNS1_23onesweep_lookback_stateEbbT6_jjT7_P12ihipStream_tbENKUlT_T0_SK_SP_E_clIPbSD_PiSF_EEDaS13_S14_SK_SP_EUlS13_E_NS1_11comp_targetILNS1_3genE9ELNS1_11target_archE1100ELNS1_3gpuE3ELNS1_3repE0EEENS1_47radix_sort_onesweep_sort_config_static_selectorELNS0_4arch9wavefront6targetE1EEEvSK_.uses_vcc, 0
	.set _ZN7rocprim17ROCPRIM_400000_NS6detail17trampoline_kernelINS0_14default_configENS1_35radix_sort_onesweep_config_selectorIbiEEZZNS1_29radix_sort_onesweep_iterationIS3_Lb1EN6thrust23THRUST_200600_302600_NS6detail15normal_iteratorINS8_10device_ptrIbEEEESD_NSA_INSB_IiEEEESF_jNS0_19identity_decomposerENS1_16block_id_wrapperIjLb1EEEEE10hipError_tT1_PNSt15iterator_traitsISK_E10value_typeET2_T3_PNSL_ISQ_E10value_typeET4_T5_PSV_SW_PNS1_23onesweep_lookback_stateEbbT6_jjT7_P12ihipStream_tbENKUlT_T0_SK_SP_E_clIPbSD_PiSF_EEDaS13_S14_SK_SP_EUlS13_E_NS1_11comp_targetILNS1_3genE9ELNS1_11target_archE1100ELNS1_3gpuE3ELNS1_3repE0EEENS1_47radix_sort_onesweep_sort_config_static_selectorELNS0_4arch9wavefront6targetE1EEEvSK_.uses_flat_scratch, 0
	.set _ZN7rocprim17ROCPRIM_400000_NS6detail17trampoline_kernelINS0_14default_configENS1_35radix_sort_onesweep_config_selectorIbiEEZZNS1_29radix_sort_onesweep_iterationIS3_Lb1EN6thrust23THRUST_200600_302600_NS6detail15normal_iteratorINS8_10device_ptrIbEEEESD_NSA_INSB_IiEEEESF_jNS0_19identity_decomposerENS1_16block_id_wrapperIjLb1EEEEE10hipError_tT1_PNSt15iterator_traitsISK_E10value_typeET2_T3_PNSL_ISQ_E10value_typeET4_T5_PSV_SW_PNS1_23onesweep_lookback_stateEbbT6_jjT7_P12ihipStream_tbENKUlT_T0_SK_SP_E_clIPbSD_PiSF_EEDaS13_S14_SK_SP_EUlS13_E_NS1_11comp_targetILNS1_3genE9ELNS1_11target_archE1100ELNS1_3gpuE3ELNS1_3repE0EEENS1_47radix_sort_onesweep_sort_config_static_selectorELNS0_4arch9wavefront6targetE1EEEvSK_.has_dyn_sized_stack, 0
	.set _ZN7rocprim17ROCPRIM_400000_NS6detail17trampoline_kernelINS0_14default_configENS1_35radix_sort_onesweep_config_selectorIbiEEZZNS1_29radix_sort_onesweep_iterationIS3_Lb1EN6thrust23THRUST_200600_302600_NS6detail15normal_iteratorINS8_10device_ptrIbEEEESD_NSA_INSB_IiEEEESF_jNS0_19identity_decomposerENS1_16block_id_wrapperIjLb1EEEEE10hipError_tT1_PNSt15iterator_traitsISK_E10value_typeET2_T3_PNSL_ISQ_E10value_typeET4_T5_PSV_SW_PNS1_23onesweep_lookback_stateEbbT6_jjT7_P12ihipStream_tbENKUlT_T0_SK_SP_E_clIPbSD_PiSF_EEDaS13_S14_SK_SP_EUlS13_E_NS1_11comp_targetILNS1_3genE9ELNS1_11target_archE1100ELNS1_3gpuE3ELNS1_3repE0EEENS1_47radix_sort_onesweep_sort_config_static_selectorELNS0_4arch9wavefront6targetE1EEEvSK_.has_recursion, 0
	.set _ZN7rocprim17ROCPRIM_400000_NS6detail17trampoline_kernelINS0_14default_configENS1_35radix_sort_onesweep_config_selectorIbiEEZZNS1_29radix_sort_onesweep_iterationIS3_Lb1EN6thrust23THRUST_200600_302600_NS6detail15normal_iteratorINS8_10device_ptrIbEEEESD_NSA_INSB_IiEEEESF_jNS0_19identity_decomposerENS1_16block_id_wrapperIjLb1EEEEE10hipError_tT1_PNSt15iterator_traitsISK_E10value_typeET2_T3_PNSL_ISQ_E10value_typeET4_T5_PSV_SW_PNS1_23onesweep_lookback_stateEbbT6_jjT7_P12ihipStream_tbENKUlT_T0_SK_SP_E_clIPbSD_PiSF_EEDaS13_S14_SK_SP_EUlS13_E_NS1_11comp_targetILNS1_3genE9ELNS1_11target_archE1100ELNS1_3gpuE3ELNS1_3repE0EEENS1_47radix_sort_onesweep_sort_config_static_selectorELNS0_4arch9wavefront6targetE1EEEvSK_.has_indirect_call, 0
	.section	.AMDGPU.csdata,"",@progbits
; Kernel info:
; codeLenInByte = 0
; TotalNumSgprs: 6
; NumVgprs: 0
; NumAgprs: 0
; TotalNumVgprs: 0
; ScratchSize: 0
; MemoryBound: 0
; FloatMode: 240
; IeeeMode: 1
; LDSByteSize: 0 bytes/workgroup (compile time only)
; SGPRBlocks: 0
; VGPRBlocks: 0
; NumSGPRsForWavesPerEU: 6
; NumVGPRsForWavesPerEU: 1
; AccumOffset: 4
; Occupancy: 8
; WaveLimiterHint : 0
; COMPUTE_PGM_RSRC2:SCRATCH_EN: 0
; COMPUTE_PGM_RSRC2:USER_SGPR: 2
; COMPUTE_PGM_RSRC2:TRAP_HANDLER: 0
; COMPUTE_PGM_RSRC2:TGID_X_EN: 1
; COMPUTE_PGM_RSRC2:TGID_Y_EN: 0
; COMPUTE_PGM_RSRC2:TGID_Z_EN: 0
; COMPUTE_PGM_RSRC2:TIDIG_COMP_CNT: 0
; COMPUTE_PGM_RSRC3_GFX90A:ACCUM_OFFSET: 0
; COMPUTE_PGM_RSRC3_GFX90A:TG_SPLIT: 0
	.section	.text._ZN7rocprim17ROCPRIM_400000_NS6detail17trampoline_kernelINS0_14default_configENS1_35radix_sort_onesweep_config_selectorIbiEEZZNS1_29radix_sort_onesweep_iterationIS3_Lb1EN6thrust23THRUST_200600_302600_NS6detail15normal_iteratorINS8_10device_ptrIbEEEESD_NSA_INSB_IiEEEESF_jNS0_19identity_decomposerENS1_16block_id_wrapperIjLb1EEEEE10hipError_tT1_PNSt15iterator_traitsISK_E10value_typeET2_T3_PNSL_ISQ_E10value_typeET4_T5_PSV_SW_PNS1_23onesweep_lookback_stateEbbT6_jjT7_P12ihipStream_tbENKUlT_T0_SK_SP_E_clIPbSD_PiSF_EEDaS13_S14_SK_SP_EUlS13_E_NS1_11comp_targetILNS1_3genE8ELNS1_11target_archE1030ELNS1_3gpuE2ELNS1_3repE0EEENS1_47radix_sort_onesweep_sort_config_static_selectorELNS0_4arch9wavefront6targetE1EEEvSK_,"axG",@progbits,_ZN7rocprim17ROCPRIM_400000_NS6detail17trampoline_kernelINS0_14default_configENS1_35radix_sort_onesweep_config_selectorIbiEEZZNS1_29radix_sort_onesweep_iterationIS3_Lb1EN6thrust23THRUST_200600_302600_NS6detail15normal_iteratorINS8_10device_ptrIbEEEESD_NSA_INSB_IiEEEESF_jNS0_19identity_decomposerENS1_16block_id_wrapperIjLb1EEEEE10hipError_tT1_PNSt15iterator_traitsISK_E10value_typeET2_T3_PNSL_ISQ_E10value_typeET4_T5_PSV_SW_PNS1_23onesweep_lookback_stateEbbT6_jjT7_P12ihipStream_tbENKUlT_T0_SK_SP_E_clIPbSD_PiSF_EEDaS13_S14_SK_SP_EUlS13_E_NS1_11comp_targetILNS1_3genE8ELNS1_11target_archE1030ELNS1_3gpuE2ELNS1_3repE0EEENS1_47radix_sort_onesweep_sort_config_static_selectorELNS0_4arch9wavefront6targetE1EEEvSK_,comdat
	.protected	_ZN7rocprim17ROCPRIM_400000_NS6detail17trampoline_kernelINS0_14default_configENS1_35radix_sort_onesweep_config_selectorIbiEEZZNS1_29radix_sort_onesweep_iterationIS3_Lb1EN6thrust23THRUST_200600_302600_NS6detail15normal_iteratorINS8_10device_ptrIbEEEESD_NSA_INSB_IiEEEESF_jNS0_19identity_decomposerENS1_16block_id_wrapperIjLb1EEEEE10hipError_tT1_PNSt15iterator_traitsISK_E10value_typeET2_T3_PNSL_ISQ_E10value_typeET4_T5_PSV_SW_PNS1_23onesweep_lookback_stateEbbT6_jjT7_P12ihipStream_tbENKUlT_T0_SK_SP_E_clIPbSD_PiSF_EEDaS13_S14_SK_SP_EUlS13_E_NS1_11comp_targetILNS1_3genE8ELNS1_11target_archE1030ELNS1_3gpuE2ELNS1_3repE0EEENS1_47radix_sort_onesweep_sort_config_static_selectorELNS0_4arch9wavefront6targetE1EEEvSK_ ; -- Begin function _ZN7rocprim17ROCPRIM_400000_NS6detail17trampoline_kernelINS0_14default_configENS1_35radix_sort_onesweep_config_selectorIbiEEZZNS1_29radix_sort_onesweep_iterationIS3_Lb1EN6thrust23THRUST_200600_302600_NS6detail15normal_iteratorINS8_10device_ptrIbEEEESD_NSA_INSB_IiEEEESF_jNS0_19identity_decomposerENS1_16block_id_wrapperIjLb1EEEEE10hipError_tT1_PNSt15iterator_traitsISK_E10value_typeET2_T3_PNSL_ISQ_E10value_typeET4_T5_PSV_SW_PNS1_23onesweep_lookback_stateEbbT6_jjT7_P12ihipStream_tbENKUlT_T0_SK_SP_E_clIPbSD_PiSF_EEDaS13_S14_SK_SP_EUlS13_E_NS1_11comp_targetILNS1_3genE8ELNS1_11target_archE1030ELNS1_3gpuE2ELNS1_3repE0EEENS1_47radix_sort_onesweep_sort_config_static_selectorELNS0_4arch9wavefront6targetE1EEEvSK_
	.globl	_ZN7rocprim17ROCPRIM_400000_NS6detail17trampoline_kernelINS0_14default_configENS1_35radix_sort_onesweep_config_selectorIbiEEZZNS1_29radix_sort_onesweep_iterationIS3_Lb1EN6thrust23THRUST_200600_302600_NS6detail15normal_iteratorINS8_10device_ptrIbEEEESD_NSA_INSB_IiEEEESF_jNS0_19identity_decomposerENS1_16block_id_wrapperIjLb1EEEEE10hipError_tT1_PNSt15iterator_traitsISK_E10value_typeET2_T3_PNSL_ISQ_E10value_typeET4_T5_PSV_SW_PNS1_23onesweep_lookback_stateEbbT6_jjT7_P12ihipStream_tbENKUlT_T0_SK_SP_E_clIPbSD_PiSF_EEDaS13_S14_SK_SP_EUlS13_E_NS1_11comp_targetILNS1_3genE8ELNS1_11target_archE1030ELNS1_3gpuE2ELNS1_3repE0EEENS1_47radix_sort_onesweep_sort_config_static_selectorELNS0_4arch9wavefront6targetE1EEEvSK_
	.p2align	8
	.type	_ZN7rocprim17ROCPRIM_400000_NS6detail17trampoline_kernelINS0_14default_configENS1_35radix_sort_onesweep_config_selectorIbiEEZZNS1_29radix_sort_onesweep_iterationIS3_Lb1EN6thrust23THRUST_200600_302600_NS6detail15normal_iteratorINS8_10device_ptrIbEEEESD_NSA_INSB_IiEEEESF_jNS0_19identity_decomposerENS1_16block_id_wrapperIjLb1EEEEE10hipError_tT1_PNSt15iterator_traitsISK_E10value_typeET2_T3_PNSL_ISQ_E10value_typeET4_T5_PSV_SW_PNS1_23onesweep_lookback_stateEbbT6_jjT7_P12ihipStream_tbENKUlT_T0_SK_SP_E_clIPbSD_PiSF_EEDaS13_S14_SK_SP_EUlS13_E_NS1_11comp_targetILNS1_3genE8ELNS1_11target_archE1030ELNS1_3gpuE2ELNS1_3repE0EEENS1_47radix_sort_onesweep_sort_config_static_selectorELNS0_4arch9wavefront6targetE1EEEvSK_,@function
_ZN7rocprim17ROCPRIM_400000_NS6detail17trampoline_kernelINS0_14default_configENS1_35radix_sort_onesweep_config_selectorIbiEEZZNS1_29radix_sort_onesweep_iterationIS3_Lb1EN6thrust23THRUST_200600_302600_NS6detail15normal_iteratorINS8_10device_ptrIbEEEESD_NSA_INSB_IiEEEESF_jNS0_19identity_decomposerENS1_16block_id_wrapperIjLb1EEEEE10hipError_tT1_PNSt15iterator_traitsISK_E10value_typeET2_T3_PNSL_ISQ_E10value_typeET4_T5_PSV_SW_PNS1_23onesweep_lookback_stateEbbT6_jjT7_P12ihipStream_tbENKUlT_T0_SK_SP_E_clIPbSD_PiSF_EEDaS13_S14_SK_SP_EUlS13_E_NS1_11comp_targetILNS1_3genE8ELNS1_11target_archE1030ELNS1_3gpuE2ELNS1_3repE0EEENS1_47radix_sort_onesweep_sort_config_static_selectorELNS0_4arch9wavefront6targetE1EEEvSK_: ; @_ZN7rocprim17ROCPRIM_400000_NS6detail17trampoline_kernelINS0_14default_configENS1_35radix_sort_onesweep_config_selectorIbiEEZZNS1_29radix_sort_onesweep_iterationIS3_Lb1EN6thrust23THRUST_200600_302600_NS6detail15normal_iteratorINS8_10device_ptrIbEEEESD_NSA_INSB_IiEEEESF_jNS0_19identity_decomposerENS1_16block_id_wrapperIjLb1EEEEE10hipError_tT1_PNSt15iterator_traitsISK_E10value_typeET2_T3_PNSL_ISQ_E10value_typeET4_T5_PSV_SW_PNS1_23onesweep_lookback_stateEbbT6_jjT7_P12ihipStream_tbENKUlT_T0_SK_SP_E_clIPbSD_PiSF_EEDaS13_S14_SK_SP_EUlS13_E_NS1_11comp_targetILNS1_3genE8ELNS1_11target_archE1030ELNS1_3gpuE2ELNS1_3repE0EEENS1_47radix_sort_onesweep_sort_config_static_selectorELNS0_4arch9wavefront6targetE1EEEvSK_
; %bb.0:
	.section	.rodata,"a",@progbits
	.p2align	6, 0x0
	.amdhsa_kernel _ZN7rocprim17ROCPRIM_400000_NS6detail17trampoline_kernelINS0_14default_configENS1_35radix_sort_onesweep_config_selectorIbiEEZZNS1_29radix_sort_onesweep_iterationIS3_Lb1EN6thrust23THRUST_200600_302600_NS6detail15normal_iteratorINS8_10device_ptrIbEEEESD_NSA_INSB_IiEEEESF_jNS0_19identity_decomposerENS1_16block_id_wrapperIjLb1EEEEE10hipError_tT1_PNSt15iterator_traitsISK_E10value_typeET2_T3_PNSL_ISQ_E10value_typeET4_T5_PSV_SW_PNS1_23onesweep_lookback_stateEbbT6_jjT7_P12ihipStream_tbENKUlT_T0_SK_SP_E_clIPbSD_PiSF_EEDaS13_S14_SK_SP_EUlS13_E_NS1_11comp_targetILNS1_3genE8ELNS1_11target_archE1030ELNS1_3gpuE2ELNS1_3repE0EEENS1_47radix_sort_onesweep_sort_config_static_selectorELNS0_4arch9wavefront6targetE1EEEvSK_
		.amdhsa_group_segment_fixed_size 0
		.amdhsa_private_segment_fixed_size 0
		.amdhsa_kernarg_size 88
		.amdhsa_user_sgpr_count 2
		.amdhsa_user_sgpr_dispatch_ptr 0
		.amdhsa_user_sgpr_queue_ptr 0
		.amdhsa_user_sgpr_kernarg_segment_ptr 1
		.amdhsa_user_sgpr_dispatch_id 0
		.amdhsa_user_sgpr_kernarg_preload_length 0
		.amdhsa_user_sgpr_kernarg_preload_offset 0
		.amdhsa_user_sgpr_private_segment_size 0
		.amdhsa_uses_dynamic_stack 0
		.amdhsa_enable_private_segment 0
		.amdhsa_system_sgpr_workgroup_id_x 1
		.amdhsa_system_sgpr_workgroup_id_y 0
		.amdhsa_system_sgpr_workgroup_id_z 0
		.amdhsa_system_sgpr_workgroup_info 0
		.amdhsa_system_vgpr_workitem_id 0
		.amdhsa_next_free_vgpr 1
		.amdhsa_next_free_sgpr 0
		.amdhsa_accum_offset 4
		.amdhsa_reserve_vcc 0
		.amdhsa_float_round_mode_32 0
		.amdhsa_float_round_mode_16_64 0
		.amdhsa_float_denorm_mode_32 3
		.amdhsa_float_denorm_mode_16_64 3
		.amdhsa_dx10_clamp 1
		.amdhsa_ieee_mode 1
		.amdhsa_fp16_overflow 0
		.amdhsa_tg_split 0
		.amdhsa_exception_fp_ieee_invalid_op 0
		.amdhsa_exception_fp_denorm_src 0
		.amdhsa_exception_fp_ieee_div_zero 0
		.amdhsa_exception_fp_ieee_overflow 0
		.amdhsa_exception_fp_ieee_underflow 0
		.amdhsa_exception_fp_ieee_inexact 0
		.amdhsa_exception_int_div_zero 0
	.end_amdhsa_kernel
	.section	.text._ZN7rocprim17ROCPRIM_400000_NS6detail17trampoline_kernelINS0_14default_configENS1_35radix_sort_onesweep_config_selectorIbiEEZZNS1_29radix_sort_onesweep_iterationIS3_Lb1EN6thrust23THRUST_200600_302600_NS6detail15normal_iteratorINS8_10device_ptrIbEEEESD_NSA_INSB_IiEEEESF_jNS0_19identity_decomposerENS1_16block_id_wrapperIjLb1EEEEE10hipError_tT1_PNSt15iterator_traitsISK_E10value_typeET2_T3_PNSL_ISQ_E10value_typeET4_T5_PSV_SW_PNS1_23onesweep_lookback_stateEbbT6_jjT7_P12ihipStream_tbENKUlT_T0_SK_SP_E_clIPbSD_PiSF_EEDaS13_S14_SK_SP_EUlS13_E_NS1_11comp_targetILNS1_3genE8ELNS1_11target_archE1030ELNS1_3gpuE2ELNS1_3repE0EEENS1_47radix_sort_onesweep_sort_config_static_selectorELNS0_4arch9wavefront6targetE1EEEvSK_,"axG",@progbits,_ZN7rocprim17ROCPRIM_400000_NS6detail17trampoline_kernelINS0_14default_configENS1_35radix_sort_onesweep_config_selectorIbiEEZZNS1_29radix_sort_onesweep_iterationIS3_Lb1EN6thrust23THRUST_200600_302600_NS6detail15normal_iteratorINS8_10device_ptrIbEEEESD_NSA_INSB_IiEEEESF_jNS0_19identity_decomposerENS1_16block_id_wrapperIjLb1EEEEE10hipError_tT1_PNSt15iterator_traitsISK_E10value_typeET2_T3_PNSL_ISQ_E10value_typeET4_T5_PSV_SW_PNS1_23onesweep_lookback_stateEbbT6_jjT7_P12ihipStream_tbENKUlT_T0_SK_SP_E_clIPbSD_PiSF_EEDaS13_S14_SK_SP_EUlS13_E_NS1_11comp_targetILNS1_3genE8ELNS1_11target_archE1030ELNS1_3gpuE2ELNS1_3repE0EEENS1_47radix_sort_onesweep_sort_config_static_selectorELNS0_4arch9wavefront6targetE1EEEvSK_,comdat
.Lfunc_end2244:
	.size	_ZN7rocprim17ROCPRIM_400000_NS6detail17trampoline_kernelINS0_14default_configENS1_35radix_sort_onesweep_config_selectorIbiEEZZNS1_29radix_sort_onesweep_iterationIS3_Lb1EN6thrust23THRUST_200600_302600_NS6detail15normal_iteratorINS8_10device_ptrIbEEEESD_NSA_INSB_IiEEEESF_jNS0_19identity_decomposerENS1_16block_id_wrapperIjLb1EEEEE10hipError_tT1_PNSt15iterator_traitsISK_E10value_typeET2_T3_PNSL_ISQ_E10value_typeET4_T5_PSV_SW_PNS1_23onesweep_lookback_stateEbbT6_jjT7_P12ihipStream_tbENKUlT_T0_SK_SP_E_clIPbSD_PiSF_EEDaS13_S14_SK_SP_EUlS13_E_NS1_11comp_targetILNS1_3genE8ELNS1_11target_archE1030ELNS1_3gpuE2ELNS1_3repE0EEENS1_47radix_sort_onesweep_sort_config_static_selectorELNS0_4arch9wavefront6targetE1EEEvSK_, .Lfunc_end2244-_ZN7rocprim17ROCPRIM_400000_NS6detail17trampoline_kernelINS0_14default_configENS1_35radix_sort_onesweep_config_selectorIbiEEZZNS1_29radix_sort_onesweep_iterationIS3_Lb1EN6thrust23THRUST_200600_302600_NS6detail15normal_iteratorINS8_10device_ptrIbEEEESD_NSA_INSB_IiEEEESF_jNS0_19identity_decomposerENS1_16block_id_wrapperIjLb1EEEEE10hipError_tT1_PNSt15iterator_traitsISK_E10value_typeET2_T3_PNSL_ISQ_E10value_typeET4_T5_PSV_SW_PNS1_23onesweep_lookback_stateEbbT6_jjT7_P12ihipStream_tbENKUlT_T0_SK_SP_E_clIPbSD_PiSF_EEDaS13_S14_SK_SP_EUlS13_E_NS1_11comp_targetILNS1_3genE8ELNS1_11target_archE1030ELNS1_3gpuE2ELNS1_3repE0EEENS1_47radix_sort_onesweep_sort_config_static_selectorELNS0_4arch9wavefront6targetE1EEEvSK_
                                        ; -- End function
	.set _ZN7rocprim17ROCPRIM_400000_NS6detail17trampoline_kernelINS0_14default_configENS1_35radix_sort_onesweep_config_selectorIbiEEZZNS1_29radix_sort_onesweep_iterationIS3_Lb1EN6thrust23THRUST_200600_302600_NS6detail15normal_iteratorINS8_10device_ptrIbEEEESD_NSA_INSB_IiEEEESF_jNS0_19identity_decomposerENS1_16block_id_wrapperIjLb1EEEEE10hipError_tT1_PNSt15iterator_traitsISK_E10value_typeET2_T3_PNSL_ISQ_E10value_typeET4_T5_PSV_SW_PNS1_23onesweep_lookback_stateEbbT6_jjT7_P12ihipStream_tbENKUlT_T0_SK_SP_E_clIPbSD_PiSF_EEDaS13_S14_SK_SP_EUlS13_E_NS1_11comp_targetILNS1_3genE8ELNS1_11target_archE1030ELNS1_3gpuE2ELNS1_3repE0EEENS1_47radix_sort_onesweep_sort_config_static_selectorELNS0_4arch9wavefront6targetE1EEEvSK_.num_vgpr, 0
	.set _ZN7rocprim17ROCPRIM_400000_NS6detail17trampoline_kernelINS0_14default_configENS1_35radix_sort_onesweep_config_selectorIbiEEZZNS1_29radix_sort_onesweep_iterationIS3_Lb1EN6thrust23THRUST_200600_302600_NS6detail15normal_iteratorINS8_10device_ptrIbEEEESD_NSA_INSB_IiEEEESF_jNS0_19identity_decomposerENS1_16block_id_wrapperIjLb1EEEEE10hipError_tT1_PNSt15iterator_traitsISK_E10value_typeET2_T3_PNSL_ISQ_E10value_typeET4_T5_PSV_SW_PNS1_23onesweep_lookback_stateEbbT6_jjT7_P12ihipStream_tbENKUlT_T0_SK_SP_E_clIPbSD_PiSF_EEDaS13_S14_SK_SP_EUlS13_E_NS1_11comp_targetILNS1_3genE8ELNS1_11target_archE1030ELNS1_3gpuE2ELNS1_3repE0EEENS1_47radix_sort_onesweep_sort_config_static_selectorELNS0_4arch9wavefront6targetE1EEEvSK_.num_agpr, 0
	.set _ZN7rocprim17ROCPRIM_400000_NS6detail17trampoline_kernelINS0_14default_configENS1_35radix_sort_onesweep_config_selectorIbiEEZZNS1_29radix_sort_onesweep_iterationIS3_Lb1EN6thrust23THRUST_200600_302600_NS6detail15normal_iteratorINS8_10device_ptrIbEEEESD_NSA_INSB_IiEEEESF_jNS0_19identity_decomposerENS1_16block_id_wrapperIjLb1EEEEE10hipError_tT1_PNSt15iterator_traitsISK_E10value_typeET2_T3_PNSL_ISQ_E10value_typeET4_T5_PSV_SW_PNS1_23onesweep_lookback_stateEbbT6_jjT7_P12ihipStream_tbENKUlT_T0_SK_SP_E_clIPbSD_PiSF_EEDaS13_S14_SK_SP_EUlS13_E_NS1_11comp_targetILNS1_3genE8ELNS1_11target_archE1030ELNS1_3gpuE2ELNS1_3repE0EEENS1_47radix_sort_onesweep_sort_config_static_selectorELNS0_4arch9wavefront6targetE1EEEvSK_.numbered_sgpr, 0
	.set _ZN7rocprim17ROCPRIM_400000_NS6detail17trampoline_kernelINS0_14default_configENS1_35radix_sort_onesweep_config_selectorIbiEEZZNS1_29radix_sort_onesweep_iterationIS3_Lb1EN6thrust23THRUST_200600_302600_NS6detail15normal_iteratorINS8_10device_ptrIbEEEESD_NSA_INSB_IiEEEESF_jNS0_19identity_decomposerENS1_16block_id_wrapperIjLb1EEEEE10hipError_tT1_PNSt15iterator_traitsISK_E10value_typeET2_T3_PNSL_ISQ_E10value_typeET4_T5_PSV_SW_PNS1_23onesweep_lookback_stateEbbT6_jjT7_P12ihipStream_tbENKUlT_T0_SK_SP_E_clIPbSD_PiSF_EEDaS13_S14_SK_SP_EUlS13_E_NS1_11comp_targetILNS1_3genE8ELNS1_11target_archE1030ELNS1_3gpuE2ELNS1_3repE0EEENS1_47radix_sort_onesweep_sort_config_static_selectorELNS0_4arch9wavefront6targetE1EEEvSK_.num_named_barrier, 0
	.set _ZN7rocprim17ROCPRIM_400000_NS6detail17trampoline_kernelINS0_14default_configENS1_35radix_sort_onesweep_config_selectorIbiEEZZNS1_29radix_sort_onesweep_iterationIS3_Lb1EN6thrust23THRUST_200600_302600_NS6detail15normal_iteratorINS8_10device_ptrIbEEEESD_NSA_INSB_IiEEEESF_jNS0_19identity_decomposerENS1_16block_id_wrapperIjLb1EEEEE10hipError_tT1_PNSt15iterator_traitsISK_E10value_typeET2_T3_PNSL_ISQ_E10value_typeET4_T5_PSV_SW_PNS1_23onesweep_lookback_stateEbbT6_jjT7_P12ihipStream_tbENKUlT_T0_SK_SP_E_clIPbSD_PiSF_EEDaS13_S14_SK_SP_EUlS13_E_NS1_11comp_targetILNS1_3genE8ELNS1_11target_archE1030ELNS1_3gpuE2ELNS1_3repE0EEENS1_47radix_sort_onesweep_sort_config_static_selectorELNS0_4arch9wavefront6targetE1EEEvSK_.private_seg_size, 0
	.set _ZN7rocprim17ROCPRIM_400000_NS6detail17trampoline_kernelINS0_14default_configENS1_35radix_sort_onesweep_config_selectorIbiEEZZNS1_29radix_sort_onesweep_iterationIS3_Lb1EN6thrust23THRUST_200600_302600_NS6detail15normal_iteratorINS8_10device_ptrIbEEEESD_NSA_INSB_IiEEEESF_jNS0_19identity_decomposerENS1_16block_id_wrapperIjLb1EEEEE10hipError_tT1_PNSt15iterator_traitsISK_E10value_typeET2_T3_PNSL_ISQ_E10value_typeET4_T5_PSV_SW_PNS1_23onesweep_lookback_stateEbbT6_jjT7_P12ihipStream_tbENKUlT_T0_SK_SP_E_clIPbSD_PiSF_EEDaS13_S14_SK_SP_EUlS13_E_NS1_11comp_targetILNS1_3genE8ELNS1_11target_archE1030ELNS1_3gpuE2ELNS1_3repE0EEENS1_47radix_sort_onesweep_sort_config_static_selectorELNS0_4arch9wavefront6targetE1EEEvSK_.uses_vcc, 0
	.set _ZN7rocprim17ROCPRIM_400000_NS6detail17trampoline_kernelINS0_14default_configENS1_35radix_sort_onesweep_config_selectorIbiEEZZNS1_29radix_sort_onesweep_iterationIS3_Lb1EN6thrust23THRUST_200600_302600_NS6detail15normal_iteratorINS8_10device_ptrIbEEEESD_NSA_INSB_IiEEEESF_jNS0_19identity_decomposerENS1_16block_id_wrapperIjLb1EEEEE10hipError_tT1_PNSt15iterator_traitsISK_E10value_typeET2_T3_PNSL_ISQ_E10value_typeET4_T5_PSV_SW_PNS1_23onesweep_lookback_stateEbbT6_jjT7_P12ihipStream_tbENKUlT_T0_SK_SP_E_clIPbSD_PiSF_EEDaS13_S14_SK_SP_EUlS13_E_NS1_11comp_targetILNS1_3genE8ELNS1_11target_archE1030ELNS1_3gpuE2ELNS1_3repE0EEENS1_47radix_sort_onesweep_sort_config_static_selectorELNS0_4arch9wavefront6targetE1EEEvSK_.uses_flat_scratch, 0
	.set _ZN7rocprim17ROCPRIM_400000_NS6detail17trampoline_kernelINS0_14default_configENS1_35radix_sort_onesweep_config_selectorIbiEEZZNS1_29radix_sort_onesweep_iterationIS3_Lb1EN6thrust23THRUST_200600_302600_NS6detail15normal_iteratorINS8_10device_ptrIbEEEESD_NSA_INSB_IiEEEESF_jNS0_19identity_decomposerENS1_16block_id_wrapperIjLb1EEEEE10hipError_tT1_PNSt15iterator_traitsISK_E10value_typeET2_T3_PNSL_ISQ_E10value_typeET4_T5_PSV_SW_PNS1_23onesweep_lookback_stateEbbT6_jjT7_P12ihipStream_tbENKUlT_T0_SK_SP_E_clIPbSD_PiSF_EEDaS13_S14_SK_SP_EUlS13_E_NS1_11comp_targetILNS1_3genE8ELNS1_11target_archE1030ELNS1_3gpuE2ELNS1_3repE0EEENS1_47radix_sort_onesweep_sort_config_static_selectorELNS0_4arch9wavefront6targetE1EEEvSK_.has_dyn_sized_stack, 0
	.set _ZN7rocprim17ROCPRIM_400000_NS6detail17trampoline_kernelINS0_14default_configENS1_35radix_sort_onesweep_config_selectorIbiEEZZNS1_29radix_sort_onesweep_iterationIS3_Lb1EN6thrust23THRUST_200600_302600_NS6detail15normal_iteratorINS8_10device_ptrIbEEEESD_NSA_INSB_IiEEEESF_jNS0_19identity_decomposerENS1_16block_id_wrapperIjLb1EEEEE10hipError_tT1_PNSt15iterator_traitsISK_E10value_typeET2_T3_PNSL_ISQ_E10value_typeET4_T5_PSV_SW_PNS1_23onesweep_lookback_stateEbbT6_jjT7_P12ihipStream_tbENKUlT_T0_SK_SP_E_clIPbSD_PiSF_EEDaS13_S14_SK_SP_EUlS13_E_NS1_11comp_targetILNS1_3genE8ELNS1_11target_archE1030ELNS1_3gpuE2ELNS1_3repE0EEENS1_47radix_sort_onesweep_sort_config_static_selectorELNS0_4arch9wavefront6targetE1EEEvSK_.has_recursion, 0
	.set _ZN7rocprim17ROCPRIM_400000_NS6detail17trampoline_kernelINS0_14default_configENS1_35radix_sort_onesweep_config_selectorIbiEEZZNS1_29radix_sort_onesweep_iterationIS3_Lb1EN6thrust23THRUST_200600_302600_NS6detail15normal_iteratorINS8_10device_ptrIbEEEESD_NSA_INSB_IiEEEESF_jNS0_19identity_decomposerENS1_16block_id_wrapperIjLb1EEEEE10hipError_tT1_PNSt15iterator_traitsISK_E10value_typeET2_T3_PNSL_ISQ_E10value_typeET4_T5_PSV_SW_PNS1_23onesweep_lookback_stateEbbT6_jjT7_P12ihipStream_tbENKUlT_T0_SK_SP_E_clIPbSD_PiSF_EEDaS13_S14_SK_SP_EUlS13_E_NS1_11comp_targetILNS1_3genE8ELNS1_11target_archE1030ELNS1_3gpuE2ELNS1_3repE0EEENS1_47radix_sort_onesweep_sort_config_static_selectorELNS0_4arch9wavefront6targetE1EEEvSK_.has_indirect_call, 0
	.section	.AMDGPU.csdata,"",@progbits
; Kernel info:
; codeLenInByte = 0
; TotalNumSgprs: 6
; NumVgprs: 0
; NumAgprs: 0
; TotalNumVgprs: 0
; ScratchSize: 0
; MemoryBound: 0
; FloatMode: 240
; IeeeMode: 1
; LDSByteSize: 0 bytes/workgroup (compile time only)
; SGPRBlocks: 0
; VGPRBlocks: 0
; NumSGPRsForWavesPerEU: 6
; NumVGPRsForWavesPerEU: 1
; AccumOffset: 4
; Occupancy: 8
; WaveLimiterHint : 0
; COMPUTE_PGM_RSRC2:SCRATCH_EN: 0
; COMPUTE_PGM_RSRC2:USER_SGPR: 2
; COMPUTE_PGM_RSRC2:TRAP_HANDLER: 0
; COMPUTE_PGM_RSRC2:TGID_X_EN: 1
; COMPUTE_PGM_RSRC2:TGID_Y_EN: 0
; COMPUTE_PGM_RSRC2:TGID_Z_EN: 0
; COMPUTE_PGM_RSRC2:TIDIG_COMP_CNT: 0
; COMPUTE_PGM_RSRC3_GFX90A:ACCUM_OFFSET: 0
; COMPUTE_PGM_RSRC3_GFX90A:TG_SPLIT: 0
	.section	.text._ZN7rocprim17ROCPRIM_400000_NS6detail17trampoline_kernelINS0_14default_configENS1_35radix_sort_onesweep_config_selectorIbiEEZZNS1_29radix_sort_onesweep_iterationIS3_Lb1EN6thrust23THRUST_200600_302600_NS6detail15normal_iteratorINS8_10device_ptrIbEEEESD_NSA_INSB_IiEEEESF_jNS0_19identity_decomposerENS1_16block_id_wrapperIjLb0EEEEE10hipError_tT1_PNSt15iterator_traitsISK_E10value_typeET2_T3_PNSL_ISQ_E10value_typeET4_T5_PSV_SW_PNS1_23onesweep_lookback_stateEbbT6_jjT7_P12ihipStream_tbENKUlT_T0_SK_SP_E_clISD_SD_SF_SF_EEDaS13_S14_SK_SP_EUlS13_E_NS1_11comp_targetILNS1_3genE0ELNS1_11target_archE4294967295ELNS1_3gpuE0ELNS1_3repE0EEENS1_47radix_sort_onesweep_sort_config_static_selectorELNS0_4arch9wavefront6targetE1EEEvSK_,"axG",@progbits,_ZN7rocprim17ROCPRIM_400000_NS6detail17trampoline_kernelINS0_14default_configENS1_35radix_sort_onesweep_config_selectorIbiEEZZNS1_29radix_sort_onesweep_iterationIS3_Lb1EN6thrust23THRUST_200600_302600_NS6detail15normal_iteratorINS8_10device_ptrIbEEEESD_NSA_INSB_IiEEEESF_jNS0_19identity_decomposerENS1_16block_id_wrapperIjLb0EEEEE10hipError_tT1_PNSt15iterator_traitsISK_E10value_typeET2_T3_PNSL_ISQ_E10value_typeET4_T5_PSV_SW_PNS1_23onesweep_lookback_stateEbbT6_jjT7_P12ihipStream_tbENKUlT_T0_SK_SP_E_clISD_SD_SF_SF_EEDaS13_S14_SK_SP_EUlS13_E_NS1_11comp_targetILNS1_3genE0ELNS1_11target_archE4294967295ELNS1_3gpuE0ELNS1_3repE0EEENS1_47radix_sort_onesweep_sort_config_static_selectorELNS0_4arch9wavefront6targetE1EEEvSK_,comdat
	.protected	_ZN7rocprim17ROCPRIM_400000_NS6detail17trampoline_kernelINS0_14default_configENS1_35radix_sort_onesweep_config_selectorIbiEEZZNS1_29radix_sort_onesweep_iterationIS3_Lb1EN6thrust23THRUST_200600_302600_NS6detail15normal_iteratorINS8_10device_ptrIbEEEESD_NSA_INSB_IiEEEESF_jNS0_19identity_decomposerENS1_16block_id_wrapperIjLb0EEEEE10hipError_tT1_PNSt15iterator_traitsISK_E10value_typeET2_T3_PNSL_ISQ_E10value_typeET4_T5_PSV_SW_PNS1_23onesweep_lookback_stateEbbT6_jjT7_P12ihipStream_tbENKUlT_T0_SK_SP_E_clISD_SD_SF_SF_EEDaS13_S14_SK_SP_EUlS13_E_NS1_11comp_targetILNS1_3genE0ELNS1_11target_archE4294967295ELNS1_3gpuE0ELNS1_3repE0EEENS1_47radix_sort_onesweep_sort_config_static_selectorELNS0_4arch9wavefront6targetE1EEEvSK_ ; -- Begin function _ZN7rocprim17ROCPRIM_400000_NS6detail17trampoline_kernelINS0_14default_configENS1_35radix_sort_onesweep_config_selectorIbiEEZZNS1_29radix_sort_onesweep_iterationIS3_Lb1EN6thrust23THRUST_200600_302600_NS6detail15normal_iteratorINS8_10device_ptrIbEEEESD_NSA_INSB_IiEEEESF_jNS0_19identity_decomposerENS1_16block_id_wrapperIjLb0EEEEE10hipError_tT1_PNSt15iterator_traitsISK_E10value_typeET2_T3_PNSL_ISQ_E10value_typeET4_T5_PSV_SW_PNS1_23onesweep_lookback_stateEbbT6_jjT7_P12ihipStream_tbENKUlT_T0_SK_SP_E_clISD_SD_SF_SF_EEDaS13_S14_SK_SP_EUlS13_E_NS1_11comp_targetILNS1_3genE0ELNS1_11target_archE4294967295ELNS1_3gpuE0ELNS1_3repE0EEENS1_47radix_sort_onesweep_sort_config_static_selectorELNS0_4arch9wavefront6targetE1EEEvSK_
	.globl	_ZN7rocprim17ROCPRIM_400000_NS6detail17trampoline_kernelINS0_14default_configENS1_35radix_sort_onesweep_config_selectorIbiEEZZNS1_29radix_sort_onesweep_iterationIS3_Lb1EN6thrust23THRUST_200600_302600_NS6detail15normal_iteratorINS8_10device_ptrIbEEEESD_NSA_INSB_IiEEEESF_jNS0_19identity_decomposerENS1_16block_id_wrapperIjLb0EEEEE10hipError_tT1_PNSt15iterator_traitsISK_E10value_typeET2_T3_PNSL_ISQ_E10value_typeET4_T5_PSV_SW_PNS1_23onesweep_lookback_stateEbbT6_jjT7_P12ihipStream_tbENKUlT_T0_SK_SP_E_clISD_SD_SF_SF_EEDaS13_S14_SK_SP_EUlS13_E_NS1_11comp_targetILNS1_3genE0ELNS1_11target_archE4294967295ELNS1_3gpuE0ELNS1_3repE0EEENS1_47radix_sort_onesweep_sort_config_static_selectorELNS0_4arch9wavefront6targetE1EEEvSK_
	.p2align	8
	.type	_ZN7rocprim17ROCPRIM_400000_NS6detail17trampoline_kernelINS0_14default_configENS1_35radix_sort_onesweep_config_selectorIbiEEZZNS1_29radix_sort_onesweep_iterationIS3_Lb1EN6thrust23THRUST_200600_302600_NS6detail15normal_iteratorINS8_10device_ptrIbEEEESD_NSA_INSB_IiEEEESF_jNS0_19identity_decomposerENS1_16block_id_wrapperIjLb0EEEEE10hipError_tT1_PNSt15iterator_traitsISK_E10value_typeET2_T3_PNSL_ISQ_E10value_typeET4_T5_PSV_SW_PNS1_23onesweep_lookback_stateEbbT6_jjT7_P12ihipStream_tbENKUlT_T0_SK_SP_E_clISD_SD_SF_SF_EEDaS13_S14_SK_SP_EUlS13_E_NS1_11comp_targetILNS1_3genE0ELNS1_11target_archE4294967295ELNS1_3gpuE0ELNS1_3repE0EEENS1_47radix_sort_onesweep_sort_config_static_selectorELNS0_4arch9wavefront6targetE1EEEvSK_,@function
_ZN7rocprim17ROCPRIM_400000_NS6detail17trampoline_kernelINS0_14default_configENS1_35radix_sort_onesweep_config_selectorIbiEEZZNS1_29radix_sort_onesweep_iterationIS3_Lb1EN6thrust23THRUST_200600_302600_NS6detail15normal_iteratorINS8_10device_ptrIbEEEESD_NSA_INSB_IiEEEESF_jNS0_19identity_decomposerENS1_16block_id_wrapperIjLb0EEEEE10hipError_tT1_PNSt15iterator_traitsISK_E10value_typeET2_T3_PNSL_ISQ_E10value_typeET4_T5_PSV_SW_PNS1_23onesweep_lookback_stateEbbT6_jjT7_P12ihipStream_tbENKUlT_T0_SK_SP_E_clISD_SD_SF_SF_EEDaS13_S14_SK_SP_EUlS13_E_NS1_11comp_targetILNS1_3genE0ELNS1_11target_archE4294967295ELNS1_3gpuE0ELNS1_3repE0EEENS1_47radix_sort_onesweep_sort_config_static_selectorELNS0_4arch9wavefront6targetE1EEEvSK_: ; @_ZN7rocprim17ROCPRIM_400000_NS6detail17trampoline_kernelINS0_14default_configENS1_35radix_sort_onesweep_config_selectorIbiEEZZNS1_29radix_sort_onesweep_iterationIS3_Lb1EN6thrust23THRUST_200600_302600_NS6detail15normal_iteratorINS8_10device_ptrIbEEEESD_NSA_INSB_IiEEEESF_jNS0_19identity_decomposerENS1_16block_id_wrapperIjLb0EEEEE10hipError_tT1_PNSt15iterator_traitsISK_E10value_typeET2_T3_PNSL_ISQ_E10value_typeET4_T5_PSV_SW_PNS1_23onesweep_lookback_stateEbbT6_jjT7_P12ihipStream_tbENKUlT_T0_SK_SP_E_clISD_SD_SF_SF_EEDaS13_S14_SK_SP_EUlS13_E_NS1_11comp_targetILNS1_3genE0ELNS1_11target_archE4294967295ELNS1_3gpuE0ELNS1_3repE0EEENS1_47radix_sort_onesweep_sort_config_static_selectorELNS0_4arch9wavefront6targetE1EEEvSK_
; %bb.0:
	.section	.rodata,"a",@progbits
	.p2align	6, 0x0
	.amdhsa_kernel _ZN7rocprim17ROCPRIM_400000_NS6detail17trampoline_kernelINS0_14default_configENS1_35radix_sort_onesweep_config_selectorIbiEEZZNS1_29radix_sort_onesweep_iterationIS3_Lb1EN6thrust23THRUST_200600_302600_NS6detail15normal_iteratorINS8_10device_ptrIbEEEESD_NSA_INSB_IiEEEESF_jNS0_19identity_decomposerENS1_16block_id_wrapperIjLb0EEEEE10hipError_tT1_PNSt15iterator_traitsISK_E10value_typeET2_T3_PNSL_ISQ_E10value_typeET4_T5_PSV_SW_PNS1_23onesweep_lookback_stateEbbT6_jjT7_P12ihipStream_tbENKUlT_T0_SK_SP_E_clISD_SD_SF_SF_EEDaS13_S14_SK_SP_EUlS13_E_NS1_11comp_targetILNS1_3genE0ELNS1_11target_archE4294967295ELNS1_3gpuE0ELNS1_3repE0EEENS1_47radix_sort_onesweep_sort_config_static_selectorELNS0_4arch9wavefront6targetE1EEEvSK_
		.amdhsa_group_segment_fixed_size 0
		.amdhsa_private_segment_fixed_size 0
		.amdhsa_kernarg_size 88
		.amdhsa_user_sgpr_count 2
		.amdhsa_user_sgpr_dispatch_ptr 0
		.amdhsa_user_sgpr_queue_ptr 0
		.amdhsa_user_sgpr_kernarg_segment_ptr 1
		.amdhsa_user_sgpr_dispatch_id 0
		.amdhsa_user_sgpr_kernarg_preload_length 0
		.amdhsa_user_sgpr_kernarg_preload_offset 0
		.amdhsa_user_sgpr_private_segment_size 0
		.amdhsa_uses_dynamic_stack 0
		.amdhsa_enable_private_segment 0
		.amdhsa_system_sgpr_workgroup_id_x 1
		.amdhsa_system_sgpr_workgroup_id_y 0
		.amdhsa_system_sgpr_workgroup_id_z 0
		.amdhsa_system_sgpr_workgroup_info 0
		.amdhsa_system_vgpr_workitem_id 0
		.amdhsa_next_free_vgpr 1
		.amdhsa_next_free_sgpr 0
		.amdhsa_accum_offset 4
		.amdhsa_reserve_vcc 0
		.amdhsa_float_round_mode_32 0
		.amdhsa_float_round_mode_16_64 0
		.amdhsa_float_denorm_mode_32 3
		.amdhsa_float_denorm_mode_16_64 3
		.amdhsa_dx10_clamp 1
		.amdhsa_ieee_mode 1
		.amdhsa_fp16_overflow 0
		.amdhsa_tg_split 0
		.amdhsa_exception_fp_ieee_invalid_op 0
		.amdhsa_exception_fp_denorm_src 0
		.amdhsa_exception_fp_ieee_div_zero 0
		.amdhsa_exception_fp_ieee_overflow 0
		.amdhsa_exception_fp_ieee_underflow 0
		.amdhsa_exception_fp_ieee_inexact 0
		.amdhsa_exception_int_div_zero 0
	.end_amdhsa_kernel
	.section	.text._ZN7rocprim17ROCPRIM_400000_NS6detail17trampoline_kernelINS0_14default_configENS1_35radix_sort_onesweep_config_selectorIbiEEZZNS1_29radix_sort_onesweep_iterationIS3_Lb1EN6thrust23THRUST_200600_302600_NS6detail15normal_iteratorINS8_10device_ptrIbEEEESD_NSA_INSB_IiEEEESF_jNS0_19identity_decomposerENS1_16block_id_wrapperIjLb0EEEEE10hipError_tT1_PNSt15iterator_traitsISK_E10value_typeET2_T3_PNSL_ISQ_E10value_typeET4_T5_PSV_SW_PNS1_23onesweep_lookback_stateEbbT6_jjT7_P12ihipStream_tbENKUlT_T0_SK_SP_E_clISD_SD_SF_SF_EEDaS13_S14_SK_SP_EUlS13_E_NS1_11comp_targetILNS1_3genE0ELNS1_11target_archE4294967295ELNS1_3gpuE0ELNS1_3repE0EEENS1_47radix_sort_onesweep_sort_config_static_selectorELNS0_4arch9wavefront6targetE1EEEvSK_,"axG",@progbits,_ZN7rocprim17ROCPRIM_400000_NS6detail17trampoline_kernelINS0_14default_configENS1_35radix_sort_onesweep_config_selectorIbiEEZZNS1_29radix_sort_onesweep_iterationIS3_Lb1EN6thrust23THRUST_200600_302600_NS6detail15normal_iteratorINS8_10device_ptrIbEEEESD_NSA_INSB_IiEEEESF_jNS0_19identity_decomposerENS1_16block_id_wrapperIjLb0EEEEE10hipError_tT1_PNSt15iterator_traitsISK_E10value_typeET2_T3_PNSL_ISQ_E10value_typeET4_T5_PSV_SW_PNS1_23onesweep_lookback_stateEbbT6_jjT7_P12ihipStream_tbENKUlT_T0_SK_SP_E_clISD_SD_SF_SF_EEDaS13_S14_SK_SP_EUlS13_E_NS1_11comp_targetILNS1_3genE0ELNS1_11target_archE4294967295ELNS1_3gpuE0ELNS1_3repE0EEENS1_47radix_sort_onesweep_sort_config_static_selectorELNS0_4arch9wavefront6targetE1EEEvSK_,comdat
.Lfunc_end2245:
	.size	_ZN7rocprim17ROCPRIM_400000_NS6detail17trampoline_kernelINS0_14default_configENS1_35radix_sort_onesweep_config_selectorIbiEEZZNS1_29radix_sort_onesweep_iterationIS3_Lb1EN6thrust23THRUST_200600_302600_NS6detail15normal_iteratorINS8_10device_ptrIbEEEESD_NSA_INSB_IiEEEESF_jNS0_19identity_decomposerENS1_16block_id_wrapperIjLb0EEEEE10hipError_tT1_PNSt15iterator_traitsISK_E10value_typeET2_T3_PNSL_ISQ_E10value_typeET4_T5_PSV_SW_PNS1_23onesweep_lookback_stateEbbT6_jjT7_P12ihipStream_tbENKUlT_T0_SK_SP_E_clISD_SD_SF_SF_EEDaS13_S14_SK_SP_EUlS13_E_NS1_11comp_targetILNS1_3genE0ELNS1_11target_archE4294967295ELNS1_3gpuE0ELNS1_3repE0EEENS1_47radix_sort_onesweep_sort_config_static_selectorELNS0_4arch9wavefront6targetE1EEEvSK_, .Lfunc_end2245-_ZN7rocprim17ROCPRIM_400000_NS6detail17trampoline_kernelINS0_14default_configENS1_35radix_sort_onesweep_config_selectorIbiEEZZNS1_29radix_sort_onesweep_iterationIS3_Lb1EN6thrust23THRUST_200600_302600_NS6detail15normal_iteratorINS8_10device_ptrIbEEEESD_NSA_INSB_IiEEEESF_jNS0_19identity_decomposerENS1_16block_id_wrapperIjLb0EEEEE10hipError_tT1_PNSt15iterator_traitsISK_E10value_typeET2_T3_PNSL_ISQ_E10value_typeET4_T5_PSV_SW_PNS1_23onesweep_lookback_stateEbbT6_jjT7_P12ihipStream_tbENKUlT_T0_SK_SP_E_clISD_SD_SF_SF_EEDaS13_S14_SK_SP_EUlS13_E_NS1_11comp_targetILNS1_3genE0ELNS1_11target_archE4294967295ELNS1_3gpuE0ELNS1_3repE0EEENS1_47radix_sort_onesweep_sort_config_static_selectorELNS0_4arch9wavefront6targetE1EEEvSK_
                                        ; -- End function
	.set _ZN7rocprim17ROCPRIM_400000_NS6detail17trampoline_kernelINS0_14default_configENS1_35radix_sort_onesweep_config_selectorIbiEEZZNS1_29radix_sort_onesweep_iterationIS3_Lb1EN6thrust23THRUST_200600_302600_NS6detail15normal_iteratorINS8_10device_ptrIbEEEESD_NSA_INSB_IiEEEESF_jNS0_19identity_decomposerENS1_16block_id_wrapperIjLb0EEEEE10hipError_tT1_PNSt15iterator_traitsISK_E10value_typeET2_T3_PNSL_ISQ_E10value_typeET4_T5_PSV_SW_PNS1_23onesweep_lookback_stateEbbT6_jjT7_P12ihipStream_tbENKUlT_T0_SK_SP_E_clISD_SD_SF_SF_EEDaS13_S14_SK_SP_EUlS13_E_NS1_11comp_targetILNS1_3genE0ELNS1_11target_archE4294967295ELNS1_3gpuE0ELNS1_3repE0EEENS1_47radix_sort_onesweep_sort_config_static_selectorELNS0_4arch9wavefront6targetE1EEEvSK_.num_vgpr, 0
	.set _ZN7rocprim17ROCPRIM_400000_NS6detail17trampoline_kernelINS0_14default_configENS1_35radix_sort_onesweep_config_selectorIbiEEZZNS1_29radix_sort_onesweep_iterationIS3_Lb1EN6thrust23THRUST_200600_302600_NS6detail15normal_iteratorINS8_10device_ptrIbEEEESD_NSA_INSB_IiEEEESF_jNS0_19identity_decomposerENS1_16block_id_wrapperIjLb0EEEEE10hipError_tT1_PNSt15iterator_traitsISK_E10value_typeET2_T3_PNSL_ISQ_E10value_typeET4_T5_PSV_SW_PNS1_23onesweep_lookback_stateEbbT6_jjT7_P12ihipStream_tbENKUlT_T0_SK_SP_E_clISD_SD_SF_SF_EEDaS13_S14_SK_SP_EUlS13_E_NS1_11comp_targetILNS1_3genE0ELNS1_11target_archE4294967295ELNS1_3gpuE0ELNS1_3repE0EEENS1_47radix_sort_onesweep_sort_config_static_selectorELNS0_4arch9wavefront6targetE1EEEvSK_.num_agpr, 0
	.set _ZN7rocprim17ROCPRIM_400000_NS6detail17trampoline_kernelINS0_14default_configENS1_35radix_sort_onesweep_config_selectorIbiEEZZNS1_29radix_sort_onesweep_iterationIS3_Lb1EN6thrust23THRUST_200600_302600_NS6detail15normal_iteratorINS8_10device_ptrIbEEEESD_NSA_INSB_IiEEEESF_jNS0_19identity_decomposerENS1_16block_id_wrapperIjLb0EEEEE10hipError_tT1_PNSt15iterator_traitsISK_E10value_typeET2_T3_PNSL_ISQ_E10value_typeET4_T5_PSV_SW_PNS1_23onesweep_lookback_stateEbbT6_jjT7_P12ihipStream_tbENKUlT_T0_SK_SP_E_clISD_SD_SF_SF_EEDaS13_S14_SK_SP_EUlS13_E_NS1_11comp_targetILNS1_3genE0ELNS1_11target_archE4294967295ELNS1_3gpuE0ELNS1_3repE0EEENS1_47radix_sort_onesweep_sort_config_static_selectorELNS0_4arch9wavefront6targetE1EEEvSK_.numbered_sgpr, 0
	.set _ZN7rocprim17ROCPRIM_400000_NS6detail17trampoline_kernelINS0_14default_configENS1_35radix_sort_onesweep_config_selectorIbiEEZZNS1_29radix_sort_onesweep_iterationIS3_Lb1EN6thrust23THRUST_200600_302600_NS6detail15normal_iteratorINS8_10device_ptrIbEEEESD_NSA_INSB_IiEEEESF_jNS0_19identity_decomposerENS1_16block_id_wrapperIjLb0EEEEE10hipError_tT1_PNSt15iterator_traitsISK_E10value_typeET2_T3_PNSL_ISQ_E10value_typeET4_T5_PSV_SW_PNS1_23onesweep_lookback_stateEbbT6_jjT7_P12ihipStream_tbENKUlT_T0_SK_SP_E_clISD_SD_SF_SF_EEDaS13_S14_SK_SP_EUlS13_E_NS1_11comp_targetILNS1_3genE0ELNS1_11target_archE4294967295ELNS1_3gpuE0ELNS1_3repE0EEENS1_47radix_sort_onesweep_sort_config_static_selectorELNS0_4arch9wavefront6targetE1EEEvSK_.num_named_barrier, 0
	.set _ZN7rocprim17ROCPRIM_400000_NS6detail17trampoline_kernelINS0_14default_configENS1_35radix_sort_onesweep_config_selectorIbiEEZZNS1_29radix_sort_onesweep_iterationIS3_Lb1EN6thrust23THRUST_200600_302600_NS6detail15normal_iteratorINS8_10device_ptrIbEEEESD_NSA_INSB_IiEEEESF_jNS0_19identity_decomposerENS1_16block_id_wrapperIjLb0EEEEE10hipError_tT1_PNSt15iterator_traitsISK_E10value_typeET2_T3_PNSL_ISQ_E10value_typeET4_T5_PSV_SW_PNS1_23onesweep_lookback_stateEbbT6_jjT7_P12ihipStream_tbENKUlT_T0_SK_SP_E_clISD_SD_SF_SF_EEDaS13_S14_SK_SP_EUlS13_E_NS1_11comp_targetILNS1_3genE0ELNS1_11target_archE4294967295ELNS1_3gpuE0ELNS1_3repE0EEENS1_47radix_sort_onesweep_sort_config_static_selectorELNS0_4arch9wavefront6targetE1EEEvSK_.private_seg_size, 0
	.set _ZN7rocprim17ROCPRIM_400000_NS6detail17trampoline_kernelINS0_14default_configENS1_35radix_sort_onesweep_config_selectorIbiEEZZNS1_29radix_sort_onesweep_iterationIS3_Lb1EN6thrust23THRUST_200600_302600_NS6detail15normal_iteratorINS8_10device_ptrIbEEEESD_NSA_INSB_IiEEEESF_jNS0_19identity_decomposerENS1_16block_id_wrapperIjLb0EEEEE10hipError_tT1_PNSt15iterator_traitsISK_E10value_typeET2_T3_PNSL_ISQ_E10value_typeET4_T5_PSV_SW_PNS1_23onesweep_lookback_stateEbbT6_jjT7_P12ihipStream_tbENKUlT_T0_SK_SP_E_clISD_SD_SF_SF_EEDaS13_S14_SK_SP_EUlS13_E_NS1_11comp_targetILNS1_3genE0ELNS1_11target_archE4294967295ELNS1_3gpuE0ELNS1_3repE0EEENS1_47radix_sort_onesweep_sort_config_static_selectorELNS0_4arch9wavefront6targetE1EEEvSK_.uses_vcc, 0
	.set _ZN7rocprim17ROCPRIM_400000_NS6detail17trampoline_kernelINS0_14default_configENS1_35radix_sort_onesweep_config_selectorIbiEEZZNS1_29radix_sort_onesweep_iterationIS3_Lb1EN6thrust23THRUST_200600_302600_NS6detail15normal_iteratorINS8_10device_ptrIbEEEESD_NSA_INSB_IiEEEESF_jNS0_19identity_decomposerENS1_16block_id_wrapperIjLb0EEEEE10hipError_tT1_PNSt15iterator_traitsISK_E10value_typeET2_T3_PNSL_ISQ_E10value_typeET4_T5_PSV_SW_PNS1_23onesweep_lookback_stateEbbT6_jjT7_P12ihipStream_tbENKUlT_T0_SK_SP_E_clISD_SD_SF_SF_EEDaS13_S14_SK_SP_EUlS13_E_NS1_11comp_targetILNS1_3genE0ELNS1_11target_archE4294967295ELNS1_3gpuE0ELNS1_3repE0EEENS1_47radix_sort_onesweep_sort_config_static_selectorELNS0_4arch9wavefront6targetE1EEEvSK_.uses_flat_scratch, 0
	.set _ZN7rocprim17ROCPRIM_400000_NS6detail17trampoline_kernelINS0_14default_configENS1_35radix_sort_onesweep_config_selectorIbiEEZZNS1_29radix_sort_onesweep_iterationIS3_Lb1EN6thrust23THRUST_200600_302600_NS6detail15normal_iteratorINS8_10device_ptrIbEEEESD_NSA_INSB_IiEEEESF_jNS0_19identity_decomposerENS1_16block_id_wrapperIjLb0EEEEE10hipError_tT1_PNSt15iterator_traitsISK_E10value_typeET2_T3_PNSL_ISQ_E10value_typeET4_T5_PSV_SW_PNS1_23onesweep_lookback_stateEbbT6_jjT7_P12ihipStream_tbENKUlT_T0_SK_SP_E_clISD_SD_SF_SF_EEDaS13_S14_SK_SP_EUlS13_E_NS1_11comp_targetILNS1_3genE0ELNS1_11target_archE4294967295ELNS1_3gpuE0ELNS1_3repE0EEENS1_47radix_sort_onesweep_sort_config_static_selectorELNS0_4arch9wavefront6targetE1EEEvSK_.has_dyn_sized_stack, 0
	.set _ZN7rocprim17ROCPRIM_400000_NS6detail17trampoline_kernelINS0_14default_configENS1_35radix_sort_onesweep_config_selectorIbiEEZZNS1_29radix_sort_onesweep_iterationIS3_Lb1EN6thrust23THRUST_200600_302600_NS6detail15normal_iteratorINS8_10device_ptrIbEEEESD_NSA_INSB_IiEEEESF_jNS0_19identity_decomposerENS1_16block_id_wrapperIjLb0EEEEE10hipError_tT1_PNSt15iterator_traitsISK_E10value_typeET2_T3_PNSL_ISQ_E10value_typeET4_T5_PSV_SW_PNS1_23onesweep_lookback_stateEbbT6_jjT7_P12ihipStream_tbENKUlT_T0_SK_SP_E_clISD_SD_SF_SF_EEDaS13_S14_SK_SP_EUlS13_E_NS1_11comp_targetILNS1_3genE0ELNS1_11target_archE4294967295ELNS1_3gpuE0ELNS1_3repE0EEENS1_47radix_sort_onesweep_sort_config_static_selectorELNS0_4arch9wavefront6targetE1EEEvSK_.has_recursion, 0
	.set _ZN7rocprim17ROCPRIM_400000_NS6detail17trampoline_kernelINS0_14default_configENS1_35radix_sort_onesweep_config_selectorIbiEEZZNS1_29radix_sort_onesweep_iterationIS3_Lb1EN6thrust23THRUST_200600_302600_NS6detail15normal_iteratorINS8_10device_ptrIbEEEESD_NSA_INSB_IiEEEESF_jNS0_19identity_decomposerENS1_16block_id_wrapperIjLb0EEEEE10hipError_tT1_PNSt15iterator_traitsISK_E10value_typeET2_T3_PNSL_ISQ_E10value_typeET4_T5_PSV_SW_PNS1_23onesweep_lookback_stateEbbT6_jjT7_P12ihipStream_tbENKUlT_T0_SK_SP_E_clISD_SD_SF_SF_EEDaS13_S14_SK_SP_EUlS13_E_NS1_11comp_targetILNS1_3genE0ELNS1_11target_archE4294967295ELNS1_3gpuE0ELNS1_3repE0EEENS1_47radix_sort_onesweep_sort_config_static_selectorELNS0_4arch9wavefront6targetE1EEEvSK_.has_indirect_call, 0
	.section	.AMDGPU.csdata,"",@progbits
; Kernel info:
; codeLenInByte = 0
; TotalNumSgprs: 6
; NumVgprs: 0
; NumAgprs: 0
; TotalNumVgprs: 0
; ScratchSize: 0
; MemoryBound: 0
; FloatMode: 240
; IeeeMode: 1
; LDSByteSize: 0 bytes/workgroup (compile time only)
; SGPRBlocks: 0
; VGPRBlocks: 0
; NumSGPRsForWavesPerEU: 6
; NumVGPRsForWavesPerEU: 1
; AccumOffset: 4
; Occupancy: 8
; WaveLimiterHint : 0
; COMPUTE_PGM_RSRC2:SCRATCH_EN: 0
; COMPUTE_PGM_RSRC2:USER_SGPR: 2
; COMPUTE_PGM_RSRC2:TRAP_HANDLER: 0
; COMPUTE_PGM_RSRC2:TGID_X_EN: 1
; COMPUTE_PGM_RSRC2:TGID_Y_EN: 0
; COMPUTE_PGM_RSRC2:TGID_Z_EN: 0
; COMPUTE_PGM_RSRC2:TIDIG_COMP_CNT: 0
; COMPUTE_PGM_RSRC3_GFX90A:ACCUM_OFFSET: 0
; COMPUTE_PGM_RSRC3_GFX90A:TG_SPLIT: 0
	.section	.text._ZN7rocprim17ROCPRIM_400000_NS6detail17trampoline_kernelINS0_14default_configENS1_35radix_sort_onesweep_config_selectorIbiEEZZNS1_29radix_sort_onesweep_iterationIS3_Lb1EN6thrust23THRUST_200600_302600_NS6detail15normal_iteratorINS8_10device_ptrIbEEEESD_NSA_INSB_IiEEEESF_jNS0_19identity_decomposerENS1_16block_id_wrapperIjLb0EEEEE10hipError_tT1_PNSt15iterator_traitsISK_E10value_typeET2_T3_PNSL_ISQ_E10value_typeET4_T5_PSV_SW_PNS1_23onesweep_lookback_stateEbbT6_jjT7_P12ihipStream_tbENKUlT_T0_SK_SP_E_clISD_SD_SF_SF_EEDaS13_S14_SK_SP_EUlS13_E_NS1_11comp_targetILNS1_3genE6ELNS1_11target_archE950ELNS1_3gpuE13ELNS1_3repE0EEENS1_47radix_sort_onesweep_sort_config_static_selectorELNS0_4arch9wavefront6targetE1EEEvSK_,"axG",@progbits,_ZN7rocprim17ROCPRIM_400000_NS6detail17trampoline_kernelINS0_14default_configENS1_35radix_sort_onesweep_config_selectorIbiEEZZNS1_29radix_sort_onesweep_iterationIS3_Lb1EN6thrust23THRUST_200600_302600_NS6detail15normal_iteratorINS8_10device_ptrIbEEEESD_NSA_INSB_IiEEEESF_jNS0_19identity_decomposerENS1_16block_id_wrapperIjLb0EEEEE10hipError_tT1_PNSt15iterator_traitsISK_E10value_typeET2_T3_PNSL_ISQ_E10value_typeET4_T5_PSV_SW_PNS1_23onesweep_lookback_stateEbbT6_jjT7_P12ihipStream_tbENKUlT_T0_SK_SP_E_clISD_SD_SF_SF_EEDaS13_S14_SK_SP_EUlS13_E_NS1_11comp_targetILNS1_3genE6ELNS1_11target_archE950ELNS1_3gpuE13ELNS1_3repE0EEENS1_47radix_sort_onesweep_sort_config_static_selectorELNS0_4arch9wavefront6targetE1EEEvSK_,comdat
	.protected	_ZN7rocprim17ROCPRIM_400000_NS6detail17trampoline_kernelINS0_14default_configENS1_35radix_sort_onesweep_config_selectorIbiEEZZNS1_29radix_sort_onesweep_iterationIS3_Lb1EN6thrust23THRUST_200600_302600_NS6detail15normal_iteratorINS8_10device_ptrIbEEEESD_NSA_INSB_IiEEEESF_jNS0_19identity_decomposerENS1_16block_id_wrapperIjLb0EEEEE10hipError_tT1_PNSt15iterator_traitsISK_E10value_typeET2_T3_PNSL_ISQ_E10value_typeET4_T5_PSV_SW_PNS1_23onesweep_lookback_stateEbbT6_jjT7_P12ihipStream_tbENKUlT_T0_SK_SP_E_clISD_SD_SF_SF_EEDaS13_S14_SK_SP_EUlS13_E_NS1_11comp_targetILNS1_3genE6ELNS1_11target_archE950ELNS1_3gpuE13ELNS1_3repE0EEENS1_47radix_sort_onesweep_sort_config_static_selectorELNS0_4arch9wavefront6targetE1EEEvSK_ ; -- Begin function _ZN7rocprim17ROCPRIM_400000_NS6detail17trampoline_kernelINS0_14default_configENS1_35radix_sort_onesweep_config_selectorIbiEEZZNS1_29radix_sort_onesweep_iterationIS3_Lb1EN6thrust23THRUST_200600_302600_NS6detail15normal_iteratorINS8_10device_ptrIbEEEESD_NSA_INSB_IiEEEESF_jNS0_19identity_decomposerENS1_16block_id_wrapperIjLb0EEEEE10hipError_tT1_PNSt15iterator_traitsISK_E10value_typeET2_T3_PNSL_ISQ_E10value_typeET4_T5_PSV_SW_PNS1_23onesweep_lookback_stateEbbT6_jjT7_P12ihipStream_tbENKUlT_T0_SK_SP_E_clISD_SD_SF_SF_EEDaS13_S14_SK_SP_EUlS13_E_NS1_11comp_targetILNS1_3genE6ELNS1_11target_archE950ELNS1_3gpuE13ELNS1_3repE0EEENS1_47radix_sort_onesweep_sort_config_static_selectorELNS0_4arch9wavefront6targetE1EEEvSK_
	.globl	_ZN7rocprim17ROCPRIM_400000_NS6detail17trampoline_kernelINS0_14default_configENS1_35radix_sort_onesweep_config_selectorIbiEEZZNS1_29radix_sort_onesweep_iterationIS3_Lb1EN6thrust23THRUST_200600_302600_NS6detail15normal_iteratorINS8_10device_ptrIbEEEESD_NSA_INSB_IiEEEESF_jNS0_19identity_decomposerENS1_16block_id_wrapperIjLb0EEEEE10hipError_tT1_PNSt15iterator_traitsISK_E10value_typeET2_T3_PNSL_ISQ_E10value_typeET4_T5_PSV_SW_PNS1_23onesweep_lookback_stateEbbT6_jjT7_P12ihipStream_tbENKUlT_T0_SK_SP_E_clISD_SD_SF_SF_EEDaS13_S14_SK_SP_EUlS13_E_NS1_11comp_targetILNS1_3genE6ELNS1_11target_archE950ELNS1_3gpuE13ELNS1_3repE0EEENS1_47radix_sort_onesweep_sort_config_static_selectorELNS0_4arch9wavefront6targetE1EEEvSK_
	.p2align	8
	.type	_ZN7rocprim17ROCPRIM_400000_NS6detail17trampoline_kernelINS0_14default_configENS1_35radix_sort_onesweep_config_selectorIbiEEZZNS1_29radix_sort_onesweep_iterationIS3_Lb1EN6thrust23THRUST_200600_302600_NS6detail15normal_iteratorINS8_10device_ptrIbEEEESD_NSA_INSB_IiEEEESF_jNS0_19identity_decomposerENS1_16block_id_wrapperIjLb0EEEEE10hipError_tT1_PNSt15iterator_traitsISK_E10value_typeET2_T3_PNSL_ISQ_E10value_typeET4_T5_PSV_SW_PNS1_23onesweep_lookback_stateEbbT6_jjT7_P12ihipStream_tbENKUlT_T0_SK_SP_E_clISD_SD_SF_SF_EEDaS13_S14_SK_SP_EUlS13_E_NS1_11comp_targetILNS1_3genE6ELNS1_11target_archE950ELNS1_3gpuE13ELNS1_3repE0EEENS1_47radix_sort_onesweep_sort_config_static_selectorELNS0_4arch9wavefront6targetE1EEEvSK_,@function
_ZN7rocprim17ROCPRIM_400000_NS6detail17trampoline_kernelINS0_14default_configENS1_35radix_sort_onesweep_config_selectorIbiEEZZNS1_29radix_sort_onesweep_iterationIS3_Lb1EN6thrust23THRUST_200600_302600_NS6detail15normal_iteratorINS8_10device_ptrIbEEEESD_NSA_INSB_IiEEEESF_jNS0_19identity_decomposerENS1_16block_id_wrapperIjLb0EEEEE10hipError_tT1_PNSt15iterator_traitsISK_E10value_typeET2_T3_PNSL_ISQ_E10value_typeET4_T5_PSV_SW_PNS1_23onesweep_lookback_stateEbbT6_jjT7_P12ihipStream_tbENKUlT_T0_SK_SP_E_clISD_SD_SF_SF_EEDaS13_S14_SK_SP_EUlS13_E_NS1_11comp_targetILNS1_3genE6ELNS1_11target_archE950ELNS1_3gpuE13ELNS1_3repE0EEENS1_47radix_sort_onesweep_sort_config_static_selectorELNS0_4arch9wavefront6targetE1EEEvSK_: ; @_ZN7rocprim17ROCPRIM_400000_NS6detail17trampoline_kernelINS0_14default_configENS1_35radix_sort_onesweep_config_selectorIbiEEZZNS1_29radix_sort_onesweep_iterationIS3_Lb1EN6thrust23THRUST_200600_302600_NS6detail15normal_iteratorINS8_10device_ptrIbEEEESD_NSA_INSB_IiEEEESF_jNS0_19identity_decomposerENS1_16block_id_wrapperIjLb0EEEEE10hipError_tT1_PNSt15iterator_traitsISK_E10value_typeET2_T3_PNSL_ISQ_E10value_typeET4_T5_PSV_SW_PNS1_23onesweep_lookback_stateEbbT6_jjT7_P12ihipStream_tbENKUlT_T0_SK_SP_E_clISD_SD_SF_SF_EEDaS13_S14_SK_SP_EUlS13_E_NS1_11comp_targetILNS1_3genE6ELNS1_11target_archE950ELNS1_3gpuE13ELNS1_3repE0EEENS1_47radix_sort_onesweep_sort_config_static_selectorELNS0_4arch9wavefront6targetE1EEEvSK_
; %bb.0:
	s_load_dwordx8 s[72:79], s[0:1], 0x0
	s_load_dwordx4 s[84:87], s[0:1], 0x44
	s_load_dwordx4 s[80:83], s[0:1], 0x28
	s_load_dwordx2 s[70:71], s[0:1], 0x38
	s_mov_b64 s[4:5], -1
	v_mbcnt_lo_u32_b32 v1, -1, 0
	s_waitcnt lgkmcnt(0)
	s_cmp_ge_u32 s2, s86
	s_cbranch_scc0 .LBB2246_194
; %bb.1:
	s_load_dword s3, s[0:1], 0x20
	s_lshl_b32 s4, s86, 14
	v_and_b32_e32 v2, 0x3ff, v0
	s_lshl_b32 s86, s2, 14
	v_mbcnt_hi_u32_b32 v3, -1, v1
	s_waitcnt lgkmcnt(0)
	s_sub_i32 s3, s3, s4
	s_add_u32 s4, s72, s86
	v_lshlrev_b32_e32 v4, 4, v2
	s_addc_u32 s5, s73, 0
	v_and_b32_e32 v6, 63, v3
	v_and_b32_e32 v4, 0x3c00, v4
	v_mov_b32_e32 v7, 0
	v_lshl_add_u64 v[8:9], s[4:5], 0, v[6:7]
	v_mov_b32_e32 v5, v7
	v_or_b32_e32 v24, v6, v4
	s_mov_b32 s87, 0
	v_lshl_add_u64 v[8:9], v[8:9], 0, v[4:5]
	v_cmp_gt_u32_e32 vcc, s3, v24
	v_mov_b32_e32 v22, v7
	v_mov_b32_e32 v10, v7
	;; [unrolled: 1-line block ×13, first 2 shown]
	s_and_saveexec_b64 s[4:5], vcc
	s_cbranch_execz .LBB2246_3
; %bb.2:
	global_load_ubyte v22, v[8:9], off
	v_mov_b32_e32 v5, v7
	v_mov_b32_e32 v10, v7
	;; [unrolled: 1-line block ×13, first 2 shown]
.LBB2246_3:
	s_or_b64 exec, exec, s[4:5]
	v_or_b32_e32 v23, 64, v24
	v_cmp_gt_u32_e64 s[64:65], s3, v23
	v_mov_b32_e32 v23, v7
	s_and_saveexec_b64 s[4:5], s[64:65]
	s_cbranch_execz .LBB2246_5
; %bb.4:
	global_load_ubyte v23, v[8:9], off offset:64
.LBB2246_5:
	s_or_b64 exec, exec, s[4:5]
	v_or_b32_e32 v25, 0x80, v24
	v_cmp_gt_u32_e64 s[4:5], s3, v25
	s_and_saveexec_b64 s[6:7], s[4:5]
	s_cbranch_execz .LBB2246_7
; %bb.6:
	global_load_ubyte v7, v[8:9], off offset:128
.LBB2246_7:
	s_or_b64 exec, exec, s[6:7]
	v_or_b32_e32 v25, 0xc0, v24
	v_cmp_gt_u32_e64 s[6:7], s3, v25
	;; [unrolled: 8-line block ×14, first 2 shown]
	s_and_saveexec_b64 s[34:35], s[30:31]
	s_cbranch_execz .LBB2246_33
; %bb.32:
	global_load_ubyte v21, v[8:9], off offset:960
.LBB2246_33:
	s_or_b64 exec, exec, s[34:35]
	s_load_dword s33, s[0:1], 0x58
	s_load_dword s36, s[0:1], 0x64
	s_waitcnt vmcnt(0)
	v_and_b32_e32 v8, 1, v22
	v_cmp_eq_u32_e64 s[34:35], 1, v8
	s_xor_b64 s[66:67], s[34:35], -1
	s_add_u32 s34, s0, 0x58
	s_addc_u32 s35, s1, 0
	s_waitcnt lgkmcnt(0)
	s_lshr_b32 s68, s36, 16
	s_cmp_lt_u32 s2, s33
	s_cselect_b32 s36, 12, 18
	s_add_u32 s34, s34, s36
	s_addc_u32 s35, s35, 0
	v_mov_b32_e32 v9, 0
	global_load_ushort v22, v9, s[34:35]
	v_and_b32_e32 v5, 1, v5
	v_and_b32_e32 v7, 1, v7
	v_cmp_eq_u32_e64 s[58:59], 1, v5
	v_cndmask_b32_e64 v5, 0, 1, s[66:67]
	v_and_b32_e32 v8, 1, v23
	v_cmp_eq_u32_e64 s[60:61], 1, v7
	v_lshrrev_b32_e32 v7, s84, v5
	s_lshl_b32 s66, -1, s85
	v_and_b32_e32 v10, 1, v10
	v_and_b32_e32 v11, 1, v11
	v_cmp_eq_u32_e64 s[62:63], 1, v8
	v_bitop3_b32 v8, v7, s66, v7 bitop3:0x30
	v_cmp_eq_u32_e64 s[56:57], 1, v10
	v_cmp_eq_u32_e64 s[54:55], 1, v11
	s_not_b32 s88, s66
	v_cmp_ne_u32_e64 s[66:67], 0, v8
	v_lshl_add_u64 v[10:11], v[8:9], 0, -1
	v_and_b32_e32 v14, 1, v14
	v_bfe_u32 v24, v0, 10, 10
	v_bfe_u32 v25, v0, 20, 10
	v_xor_b32_e32 v10, s66, v10
	v_and_b32_e32 v15, 1, v15
	v_cmp_eq_u32_e64 s[48:49], 1, v14
	v_mad_u32_u24 v14, v25, s68, v24
	v_mul_u32_u24_e32 v7, 0x44, v8
	v_xor_b32_e32 v8, s67, v11
	v_and_b32_e32 v10, exec_lo, v10
	v_and_b32_e32 v13, 1, v13
	v_cmp_eq_u32_e64 s[46:47], 1, v15
	v_and_b32_e32 v11, exec_hi, v8
	v_mbcnt_lo_u32_b32 v8, v10, 0
	v_cmp_eq_u32_e64 s[50:51], 1, v13
	v_mbcnt_hi_u32_b32 v13, v11, v8
	v_and_b32_e32 v23, 1, v12
	v_and_b32_e32 v16, 1, v16
	;; [unrolled: 1-line block ×7, first 2 shown]
	v_cmp_ne_u64_e64 s[66:67], 0, v[10:11]
	v_cmp_eq_u32_e64 s[68:69], 0, v13
	v_mul_u32_u24_e32 v12, 20, v2
	s_movk_i32 s89, 0x44
	v_cmp_eq_u32_e64 s[52:53], 1, v23
	v_cmp_eq_u32_e64 s[44:45], 1, v16
	;; [unrolled: 1-line block ×7, first 2 shown]
	s_and_b64 s[68:69], s[66:67], s[68:69]
	ds_write2_b32 v12, v9, v9 offset0:16 offset1:17
	ds_write2_b32 v12, v9, v9 offset0:18 offset1:19
	ds_write_b32 v12, v9 offset:80
	s_waitcnt lgkmcnt(0)
	s_barrier
	s_waitcnt vmcnt(0)
	; wave barrier
	v_mad_u64_u32 v[14:15], s[90:91], v14, v22, v[2:3]
	v_lshrrev_b32_e32 v8, 4, v14
	v_and_b32_e32 v30, 0xffffffc, v8
	v_add_u32_e32 v36, v30, v7
	s_and_saveexec_b64 s[66:67], s[68:69]
; %bb.34:
	v_bcnt_u32_b32 v7, v10, 0
	v_bcnt_u32_b32 v7, v11, v7
	ds_write_b32 v36, v7 offset:64
; %bb.35:
	s_or_b64 exec, exec, s[66:67]
	s_xor_b64 s[62:63], s[62:63], -1
	v_cndmask_b32_e64 v46, 0, 1, s[62:63]
	v_lshrrev_b32_e32 v7, s84, v46
	v_and_b32_e32 v8, s88, v7
	v_mul_u32_u24_e32 v10, 0x44, v8
	v_mad_u32_u24 v7, v8, s89, v30
	v_cmp_ne_u32_e64 s[62:63], 0, v8
	v_lshl_add_u64 v[8:9], v[8:9], 0, -1
	s_nop 0
	v_xor_b32_e32 v8, s62, v8
	; wave barrier
	ds_read_b32 v7, v7 offset:64
	v_xor_b32_e32 v9, s63, v9
	v_and_b32_e32 v8, exec_lo, v8
	v_and_b32_e32 v9, exec_hi, v9
	v_mbcnt_lo_u32_b32 v11, v8, 0
	v_mbcnt_hi_u32_b32 v14, v9, v11
	v_cmp_eq_u32_e64 s[62:63], 0, v14
	v_cmp_ne_u64_e64 s[66:67], 0, v[8:9]
	s_and_b64 s[66:67], s[66:67], s[62:63]
	v_add_u32_e32 v38, v30, v10
	; wave barrier
	s_and_saveexec_b64 s[62:63], s[66:67]
	s_cbranch_execz .LBB2246_37
; %bb.36:
	v_bcnt_u32_b32 v8, v8, 0
	v_bcnt_u32_b32 v8, v9, v8
	s_waitcnt lgkmcnt(0)
	v_add_u32_e32 v8, v7, v8
	ds_write_b32 v38, v8 offset:64
.LBB2246_37:
	s_or_b64 exec, exec, s[62:63]
	s_xor_b64 s[60:61], s[60:61], -1
	v_cndmask_b32_e64 v47, 0, 1, s[60:61]
	v_lshrrev_b32_e32 v8, s84, v47
	v_and_b32_e32 v8, s88, v8
	s_movk_i32 s66, 0x44
	v_mad_u32_u24 v9, v8, s66, v30
	; wave barrier
	ds_read_b32 v15, v9 offset:64
	v_mov_b32_e32 v9, 0
	v_cmp_ne_u32_e64 s[60:61], 0, v8
	v_lshl_add_u64 v[10:11], v[8:9], 0, -1
	v_mul_u32_u24_e32 v17, 0x44, v8
	v_xor_b32_e32 v10, s60, v10
	v_xor_b32_e32 v8, s61, v11
	v_and_b32_e32 v10, exec_lo, v10
	v_and_b32_e32 v11, exec_hi, v8
	v_mbcnt_lo_u32_b32 v8, v10, 0
	v_mbcnt_hi_u32_b32 v16, v11, v8
	v_cmp_eq_u32_e64 s[60:61], 0, v16
	v_cmp_ne_u64_e64 s[62:63], 0, v[10:11]
	s_and_b64 s[62:63], s[62:63], s[60:61]
	v_add_u32_e32 v49, v30, v17
	; wave barrier
	s_and_saveexec_b64 s[60:61], s[62:63]
	s_cbranch_execz .LBB2246_39
; %bb.38:
	v_bcnt_u32_b32 v8, v10, 0
	v_bcnt_u32_b32 v8, v11, v8
	s_waitcnt lgkmcnt(0)
	v_add_u32_e32 v8, v15, v8
	ds_write_b32 v49, v8 offset:64
.LBB2246_39:
	s_or_b64 exec, exec, s[60:61]
	s_xor_b64 s[58:59], s[58:59], -1
	v_cndmask_b32_e64 v53, 0, 1, s[58:59]
	v_lshrrev_b32_e32 v8, s84, v53
	v_and_b32_e32 v8, s88, v8
	v_mul_u32_u24_e32 v10, 0x44, v8
	v_mad_u32_u24 v11, v8, s66, v30
	v_cmp_ne_u32_e64 s[58:59], 0, v8
	v_lshl_add_u64 v[8:9], v[8:9], 0, -1
	s_nop 0
	v_xor_b32_e32 v8, s58, v8
	; wave barrier
	ds_read_b32 v17, v11 offset:64
	v_xor_b32_e32 v9, s59, v9
	v_and_b32_e32 v8, exec_lo, v8
	v_and_b32_e32 v9, exec_hi, v9
	v_mbcnt_lo_u32_b32 v11, v8, 0
	v_mbcnt_hi_u32_b32 v18, v9, v11
	v_cmp_eq_u32_e64 s[58:59], 0, v18
	v_cmp_ne_u64_e64 s[60:61], 0, v[8:9]
	s_and_b64 s[60:61], s[60:61], s[58:59]
	v_add_u32_e32 v50, v30, v10
	; wave barrier
	s_and_saveexec_b64 s[58:59], s[60:61]
	s_cbranch_execz .LBB2246_41
; %bb.40:
	v_bcnt_u32_b32 v8, v8, 0
	v_bcnt_u32_b32 v8, v9, v8
	s_waitcnt lgkmcnt(0)
	v_add_u32_e32 v8, v17, v8
	ds_write_b32 v50, v8 offset:64
.LBB2246_41:
	s_or_b64 exec, exec, s[58:59]
	s_xor_b64 s[56:57], s[56:57], -1
	v_cndmask_b32_e64 v64, 0, 1, s[56:57]
	v_lshrrev_b32_e32 v8, s84, v64
	v_and_b32_e32 v8, s88, v8
	s_movk_i32 s60, 0x44
	v_mad_u32_u24 v9, v8, s60, v30
	; wave barrier
	ds_read_b32 v19, v9 offset:64
	v_mov_b32_e32 v9, 0
	v_cmp_ne_u32_e64 s[56:57], 0, v8
	v_lshl_add_u64 v[10:11], v[8:9], 0, -1
	v_mul_u32_u24_e32 v21, 0x44, v8
	v_xor_b32_e32 v10, s56, v10
	v_xor_b32_e32 v8, s57, v11
	v_and_b32_e32 v10, exec_lo, v10
	v_and_b32_e32 v11, exec_hi, v8
	v_mbcnt_lo_u32_b32 v8, v10, 0
	v_mbcnt_hi_u32_b32 v20, v11, v8
	v_cmp_eq_u32_e64 s[56:57], 0, v20
	v_cmp_ne_u64_e64 s[58:59], 0, v[10:11]
	s_and_b64 s[58:59], s[58:59], s[56:57]
	v_add_u32_e32 v51, v30, v21
	; wave barrier
	s_and_saveexec_b64 s[56:57], s[58:59]
	s_cbranch_execz .LBB2246_43
; %bb.42:
	v_bcnt_u32_b32 v8, v10, 0
	v_bcnt_u32_b32 v8, v11, v8
	s_waitcnt lgkmcnt(0)
	v_add_u32_e32 v8, v19, v8
	ds_write_b32 v51, v8 offset:64
.LBB2246_43:
	s_or_b64 exec, exec, s[56:57]
	s_xor_b64 s[54:55], s[54:55], -1
	v_cndmask_b32_e64 v79, 0, 1, s[54:55]
	v_lshrrev_b32_e32 v8, s84, v79
	v_and_b32_e32 v8, s88, v8
	v_mul_u32_u24_e32 v10, 0x44, v8
	v_mad_u32_u24 v11, v8, s60, v30
	v_cmp_ne_u32_e64 s[54:55], 0, v8
	v_lshl_add_u64 v[8:9], v[8:9], 0, -1
	s_nop 0
	v_xor_b32_e32 v8, s54, v8
	; wave barrier
	ds_read_b32 v21, v11 offset:64
	v_xor_b32_e32 v9, s55, v9
	v_and_b32_e32 v8, exec_lo, v8
	v_and_b32_e32 v9, exec_hi, v9
	v_mbcnt_lo_u32_b32 v11, v8, 0
	v_mbcnt_hi_u32_b32 v22, v9, v11
	v_cmp_eq_u32_e64 s[54:55], 0, v22
	v_cmp_ne_u64_e64 s[56:57], 0, v[8:9]
	s_and_b64 s[56:57], s[56:57], s[54:55]
	v_add_u32_e32 v52, v30, v10
	; wave barrier
	s_and_saveexec_b64 s[54:55], s[56:57]
	s_cbranch_execz .LBB2246_45
; %bb.44:
	v_bcnt_u32_b32 v8, v8, 0
	v_bcnt_u32_b32 v8, v9, v8
	s_waitcnt lgkmcnt(0)
	v_add_u32_e32 v8, v21, v8
	ds_write_b32 v52, v8 offset:64
.LBB2246_45:
	s_or_b64 exec, exec, s[54:55]
	s_xor_b64 s[52:53], s[52:53], -1
	v_cndmask_b32_e64 v81, 0, 1, s[52:53]
	v_lshrrev_b32_e32 v8, s84, v81
	v_and_b32_e32 v8, s88, v8
	s_movk_i32 s56, 0x44
	v_mad_u32_u24 v9, v8, s56, v30
	; wave barrier
	ds_read_b32 v23, v9 offset:64
	v_mov_b32_e32 v9, 0
	v_cmp_ne_u32_e64 s[52:53], 0, v8
	v_lshl_add_u64 v[10:11], v[8:9], 0, -1
	v_mul_u32_u24_e32 v25, 0x44, v8
	v_xor_b32_e32 v10, s52, v10
	v_xor_b32_e32 v8, s53, v11
	v_and_b32_e32 v10, exec_lo, v10
	v_and_b32_e32 v11, exec_hi, v8
	v_mbcnt_lo_u32_b32 v8, v10, 0
	v_mbcnt_hi_u32_b32 v24, v11, v8
	v_cmp_eq_u32_e64 s[52:53], 0, v24
	v_cmp_ne_u64_e64 s[54:55], 0, v[10:11]
	s_and_b64 s[54:55], s[54:55], s[52:53]
	v_add_u32_e32 v54, v30, v25
	; wave barrier
	s_and_saveexec_b64 s[52:53], s[54:55]
	s_cbranch_execz .LBB2246_47
; %bb.46:
	v_bcnt_u32_b32 v8, v10, 0
	v_bcnt_u32_b32 v8, v11, v8
	s_waitcnt lgkmcnt(0)
	v_add_u32_e32 v8, v23, v8
	ds_write_b32 v54, v8 offset:64
.LBB2246_47:
	s_or_b64 exec, exec, s[52:53]
	s_xor_b64 s[50:51], s[50:51], -1
	v_cndmask_b32_e64 v82, 0, 1, s[50:51]
	v_lshrrev_b32_e32 v8, s84, v82
	v_and_b32_e32 v8, s88, v8
	v_mul_u32_u24_e32 v10, 0x44, v8
	v_mad_u32_u24 v11, v8, s56, v30
	v_cmp_ne_u32_e64 s[50:51], 0, v8
	v_lshl_add_u64 v[8:9], v[8:9], 0, -1
	s_nop 0
	v_xor_b32_e32 v8, s50, v8
	; wave barrier
	ds_read_b32 v25, v11 offset:64
	v_xor_b32_e32 v9, s51, v9
	v_and_b32_e32 v8, exec_lo, v8
	v_and_b32_e32 v9, exec_hi, v9
	v_mbcnt_lo_u32_b32 v11, v8, 0
	v_mbcnt_hi_u32_b32 v26, v9, v11
	v_cmp_eq_u32_e64 s[50:51], 0, v26
	v_cmp_ne_u64_e64 s[52:53], 0, v[8:9]
	s_and_b64 s[52:53], s[52:53], s[50:51]
	v_add_u32_e32 v55, v30, v10
	; wave barrier
	s_and_saveexec_b64 s[50:51], s[52:53]
	s_cbranch_execz .LBB2246_49
; %bb.48:
	v_bcnt_u32_b32 v8, v8, 0
	v_bcnt_u32_b32 v8, v9, v8
	s_waitcnt lgkmcnt(0)
	v_add_u32_e32 v8, v25, v8
	ds_write_b32 v55, v8 offset:64
.LBB2246_49:
	s_or_b64 exec, exec, s[50:51]
	s_xor_b64 s[48:49], s[48:49], -1
	v_cndmask_b32_e64 v83, 0, 1, s[48:49]
	v_lshrrev_b32_e32 v8, s84, v83
	v_and_b32_e32 v8, s88, v8
	s_movk_i32 s52, 0x44
	v_mad_u32_u24 v9, v8, s52, v30
	; wave barrier
	ds_read_b32 v27, v9 offset:64
	v_mov_b32_e32 v9, 0
	v_cmp_ne_u32_e64 s[48:49], 0, v8
	v_lshl_add_u64 v[10:11], v[8:9], 0, -1
	v_mul_u32_u24_e32 v29, 0x44, v8
	v_xor_b32_e32 v10, s48, v10
	v_xor_b32_e32 v8, s49, v11
	v_and_b32_e32 v10, exec_lo, v10
	v_and_b32_e32 v11, exec_hi, v8
	v_mbcnt_lo_u32_b32 v8, v10, 0
	v_mbcnt_hi_u32_b32 v28, v11, v8
	v_cmp_eq_u32_e64 s[48:49], 0, v28
	v_cmp_ne_u64_e64 s[50:51], 0, v[10:11]
	s_and_b64 s[50:51], s[50:51], s[48:49]
	v_add_u32_e32 v56, v30, v29
	; wave barrier
	s_and_saveexec_b64 s[48:49], s[50:51]
	s_cbranch_execz .LBB2246_51
; %bb.50:
	v_bcnt_u32_b32 v8, v10, 0
	v_bcnt_u32_b32 v8, v11, v8
	s_waitcnt lgkmcnt(0)
	v_add_u32_e32 v8, v27, v8
	ds_write_b32 v56, v8 offset:64
.LBB2246_51:
	s_or_b64 exec, exec, s[48:49]
	s_xor_b64 s[46:47], s[46:47], -1
	v_cndmask_b32_e64 v84, 0, 1, s[46:47]
	v_lshrrev_b32_e32 v8, s84, v84
	v_and_b32_e32 v8, s88, v8
	v_mul_u32_u24_e32 v10, 0x44, v8
	v_mad_u32_u24 v11, v8, s52, v30
	v_cmp_ne_u32_e64 s[46:47], 0, v8
	v_lshl_add_u64 v[8:9], v[8:9], 0, -1
	s_nop 0
	v_xor_b32_e32 v8, s46, v8
	; wave barrier
	ds_read_b32 v29, v11 offset:64
	v_xor_b32_e32 v9, s47, v9
	v_and_b32_e32 v8, exec_lo, v8
	v_and_b32_e32 v9, exec_hi, v9
	v_mbcnt_lo_u32_b32 v11, v8, 0
	v_mbcnt_hi_u32_b32 v31, v9, v11
	v_cmp_eq_u32_e64 s[46:47], 0, v31
	v_cmp_ne_u64_e64 s[48:49], 0, v[8:9]
	s_and_b64 s[48:49], s[48:49], s[46:47]
	v_add_u32_e32 v57, v30, v10
	; wave barrier
	s_and_saveexec_b64 s[46:47], s[48:49]
	s_cbranch_execz .LBB2246_53
; %bb.52:
	v_bcnt_u32_b32 v8, v8, 0
	v_bcnt_u32_b32 v8, v9, v8
	s_waitcnt lgkmcnt(0)
	v_add_u32_e32 v8, v29, v8
	ds_write_b32 v57, v8 offset:64
.LBB2246_53:
	s_or_b64 exec, exec, s[46:47]
	s_xor_b64 s[44:45], s[44:45], -1
	v_cndmask_b32_e64 v85, 0, 1, s[44:45]
	v_lshrrev_b32_e32 v8, s84, v85
	v_and_b32_e32 v8, s88, v8
	s_movk_i32 s48, 0x44
	v_mad_u32_u24 v9, v8, s48, v30
	; wave barrier
	ds_read_b32 v32, v9 offset:64
	v_mov_b32_e32 v9, 0
	v_cmp_ne_u32_e64 s[44:45], 0, v8
	v_lshl_add_u64 v[10:11], v[8:9], 0, -1
	v_mul_u32_u24_e32 v34, 0x44, v8
	v_xor_b32_e32 v10, s44, v10
	v_xor_b32_e32 v8, s45, v11
	v_and_b32_e32 v10, exec_lo, v10
	v_and_b32_e32 v11, exec_hi, v8
	v_mbcnt_lo_u32_b32 v8, v10, 0
	v_mbcnt_hi_u32_b32 v33, v11, v8
	v_cmp_eq_u32_e64 s[44:45], 0, v33
	v_cmp_ne_u64_e64 s[46:47], 0, v[10:11]
	s_and_b64 s[46:47], s[46:47], s[44:45]
	v_add_u32_e32 v58, v30, v34
	; wave barrier
	s_and_saveexec_b64 s[44:45], s[46:47]
	s_cbranch_execz .LBB2246_55
; %bb.54:
	v_bcnt_u32_b32 v8, v10, 0
	v_bcnt_u32_b32 v8, v11, v8
	s_waitcnt lgkmcnt(0)
	v_add_u32_e32 v8, v32, v8
	ds_write_b32 v58, v8 offset:64
.LBB2246_55:
	s_or_b64 exec, exec, s[44:45]
	s_xor_b64 s[42:43], s[42:43], -1
	v_cndmask_b32_e64 v86, 0, 1, s[42:43]
	v_lshrrev_b32_e32 v8, s84, v86
	v_and_b32_e32 v8, s88, v8
	v_mul_u32_u24_e32 v10, 0x44, v8
	v_mad_u32_u24 v11, v8, s48, v30
	v_cmp_ne_u32_e64 s[42:43], 0, v8
	v_lshl_add_u64 v[8:9], v[8:9], 0, -1
	s_nop 0
	v_xor_b32_e32 v8, s42, v8
	; wave barrier
	ds_read_b32 v34, v11 offset:64
	v_xor_b32_e32 v9, s43, v9
	v_and_b32_e32 v8, exec_lo, v8
	v_and_b32_e32 v9, exec_hi, v9
	v_mbcnt_lo_u32_b32 v11, v8, 0
	v_mbcnt_hi_u32_b32 v35, v9, v11
	v_cmp_eq_u32_e64 s[42:43], 0, v35
	v_cmp_ne_u64_e64 s[44:45], 0, v[8:9]
	s_and_b64 s[44:45], s[44:45], s[42:43]
	v_add_u32_e32 v59, v30, v10
	; wave barrier
	s_and_saveexec_b64 s[42:43], s[44:45]
	s_cbranch_execz .LBB2246_57
; %bb.56:
	v_bcnt_u32_b32 v8, v8, 0
	v_bcnt_u32_b32 v8, v9, v8
	s_waitcnt lgkmcnt(0)
	v_add_u32_e32 v8, v34, v8
	ds_write_b32 v59, v8 offset:64
.LBB2246_57:
	s_or_b64 exec, exec, s[42:43]
	s_xor_b64 s[40:41], s[40:41], -1
	v_cndmask_b32_e64 v87, 0, 1, s[40:41]
	v_lshrrev_b32_e32 v8, s84, v87
	v_and_b32_e32 v8, s88, v8
	s_movk_i32 s44, 0x44
	v_mad_u32_u24 v9, v8, s44, v30
	; wave barrier
	ds_read_b32 v37, v9 offset:64
	v_mov_b32_e32 v9, 0
	v_cmp_ne_u32_e64 s[40:41], 0, v8
	v_lshl_add_u64 v[10:11], v[8:9], 0, -1
	v_mul_u32_u24_e32 v40, 0x44, v8
	v_xor_b32_e32 v10, s40, v10
	v_xor_b32_e32 v8, s41, v11
	v_and_b32_e32 v10, exec_lo, v10
	v_and_b32_e32 v11, exec_hi, v8
	v_mbcnt_lo_u32_b32 v8, v10, 0
	v_mbcnt_hi_u32_b32 v39, v11, v8
	v_cmp_eq_u32_e64 s[40:41], 0, v39
	v_cmp_ne_u64_e64 s[42:43], 0, v[10:11]
	s_and_b64 s[42:43], s[42:43], s[40:41]
	v_add_u32_e32 v60, v30, v40
	; wave barrier
	s_and_saveexec_b64 s[40:41], s[42:43]
	s_cbranch_execz .LBB2246_59
; %bb.58:
	v_bcnt_u32_b32 v8, v10, 0
	v_bcnt_u32_b32 v8, v11, v8
	s_waitcnt lgkmcnt(0)
	v_add_u32_e32 v8, v37, v8
	ds_write_b32 v60, v8 offset:64
.LBB2246_59:
	s_or_b64 exec, exec, s[40:41]
	s_xor_b64 s[38:39], s[38:39], -1
	v_cndmask_b32_e64 v88, 0, 1, s[38:39]
	v_lshrrev_b32_e32 v8, s84, v88
	v_and_b32_e32 v8, s88, v8
	v_mul_u32_u24_e32 v10, 0x44, v8
	v_mad_u32_u24 v11, v8, s44, v30
	v_cmp_ne_u32_e64 s[38:39], 0, v8
	v_lshl_add_u64 v[8:9], v[8:9], 0, -1
	s_nop 0
	v_xor_b32_e32 v8, s38, v8
	; wave barrier
	ds_read_b32 v40, v11 offset:64
	v_xor_b32_e32 v9, s39, v9
	v_and_b32_e32 v8, exec_lo, v8
	v_and_b32_e32 v9, exec_hi, v9
	v_mbcnt_lo_u32_b32 v11, v8, 0
	v_mbcnt_hi_u32_b32 v41, v9, v11
	v_cmp_eq_u32_e64 s[38:39], 0, v41
	v_cmp_ne_u64_e64 s[40:41], 0, v[8:9]
	s_and_b64 s[40:41], s[40:41], s[38:39]
	v_add_u32_e32 v61, v30, v10
	; wave barrier
	s_and_saveexec_b64 s[38:39], s[40:41]
	s_cbranch_execz .LBB2246_61
; %bb.60:
	v_bcnt_u32_b32 v8, v8, 0
	v_bcnt_u32_b32 v8, v9, v8
	s_waitcnt lgkmcnt(0)
	v_add_u32_e32 v8, v40, v8
	ds_write_b32 v61, v8 offset:64
.LBB2246_61:
	s_or_b64 exec, exec, s[38:39]
	s_xor_b64 s[36:37], s[36:37], -1
	v_cndmask_b32_e64 v89, 0, 1, s[36:37]
	v_lshrrev_b32_e32 v8, s84, v89
	v_and_b32_e32 v8, s88, v8
	s_movk_i32 s40, 0x44
	v_mad_u32_u24 v9, v8, s40, v30
	; wave barrier
	ds_read_b32 v42, v9 offset:64
	v_mov_b32_e32 v9, 0
	v_cmp_ne_u32_e64 s[36:37], 0, v8
	v_lshl_add_u64 v[10:11], v[8:9], 0, -1
	v_mul_u32_u24_e32 v44, 0x44, v8
	v_xor_b32_e32 v10, s36, v10
	v_xor_b32_e32 v8, s37, v11
	v_and_b32_e32 v10, exec_lo, v10
	v_and_b32_e32 v11, exec_hi, v8
	v_mbcnt_lo_u32_b32 v8, v10, 0
	v_mbcnt_hi_u32_b32 v43, v11, v8
	v_cmp_eq_u32_e64 s[36:37], 0, v43
	v_cmp_ne_u64_e64 s[38:39], 0, v[10:11]
	s_and_b64 s[38:39], s[38:39], s[36:37]
	v_add_u32_e32 v62, v30, v44
	; wave barrier
	s_and_saveexec_b64 s[36:37], s[38:39]
	s_cbranch_execz .LBB2246_63
; %bb.62:
	v_bcnt_u32_b32 v8, v10, 0
	v_bcnt_u32_b32 v8, v11, v8
	s_waitcnt lgkmcnt(0)
	v_add_u32_e32 v8, v42, v8
	ds_write_b32 v62, v8 offset:64
.LBB2246_63:
	s_or_b64 exec, exec, s[36:37]
	s_xor_b64 s[34:35], s[34:35], -1
	v_cndmask_b32_e64 v90, 0, 1, s[34:35]
	v_lshrrev_b32_e32 v8, s84, v90
	v_and_b32_e32 v8, s88, v8
	v_mul_u32_u24_e32 v10, 0x44, v8
	v_mad_u32_u24 v11, v8, s40, v30
	v_cmp_ne_u32_e64 s[34:35], 0, v8
	v_lshl_add_u64 v[8:9], v[8:9], 0, -1
	s_nop 0
	v_xor_b32_e32 v8, s34, v8
	; wave barrier
	ds_read_b32 v44, v11 offset:64
	v_xor_b32_e32 v9, s35, v9
	v_and_b32_e32 v8, exec_lo, v8
	v_and_b32_e32 v9, exec_hi, v9
	v_mbcnt_lo_u32_b32 v11, v8, 0
	v_mbcnt_hi_u32_b32 v45, v9, v11
	v_cmp_eq_u32_e64 s[34:35], 0, v45
	v_cmp_ne_u64_e64 s[36:37], 0, v[8:9]
	s_and_b64 s[36:37], s[36:37], s[34:35]
	v_add_u32_e32 v63, v30, v10
	; wave barrier
	s_and_saveexec_b64 s[34:35], s[36:37]
	s_cbranch_execz .LBB2246_65
; %bb.64:
	v_bcnt_u32_b32 v8, v8, 0
	v_bcnt_u32_b32 v8, v9, v8
	s_waitcnt lgkmcnt(0)
	v_add_u32_e32 v8, v44, v8
	ds_write_b32 v63, v8 offset:64
.LBB2246_65:
	s_or_b64 exec, exec, s[34:35]
	; wave barrier
	s_waitcnt lgkmcnt(0)
	s_barrier
	ds_read2_b32 v[10:11], v12 offset0:16 offset1:17
	ds_read2_b32 v[8:9], v12 offset0:18 offset1:19
	ds_read_b32 v30, v12 offset:80
	v_cmp_lt_u32_e64 s[42:43], 31, v3
	s_waitcnt lgkmcnt(1)
	v_add3_u32 v48, v11, v10, v8
	s_waitcnt lgkmcnt(0)
	v_add3_u32 v30, v48, v9, v30
	v_and_b32_e32 v48, 15, v3
	v_cmp_eq_u32_e64 s[34:35], 0, v48
	v_mov_b32_dpp v65, v30 row_shr:1 row_mask:0xf bank_mask:0xf
	v_cmp_lt_u32_e64 s[36:37], 1, v48
	v_cndmask_b32_e64 v65, v65, 0, s[34:35]
	v_add_u32_e32 v30, v65, v30
	v_cmp_lt_u32_e64 s[38:39], 3, v48
	v_cmp_lt_u32_e64 s[40:41], 7, v48
	v_mov_b32_dpp v65, v30 row_shr:2 row_mask:0xf bank_mask:0xf
	v_cndmask_b32_e64 v65, 0, v65, s[36:37]
	v_add_u32_e32 v30, v30, v65
	s_nop 1
	v_mov_b32_dpp v65, v30 row_shr:4 row_mask:0xf bank_mask:0xf
	v_cndmask_b32_e64 v65, 0, v65, s[38:39]
	v_add_u32_e32 v30, v30, v65
	s_nop 1
	v_mov_b32_dpp v65, v30 row_shr:8 row_mask:0xf bank_mask:0xf
	v_cndmask_b32_e64 v48, 0, v65, s[40:41]
	v_add_u32_e32 v30, v30, v48
	v_bfe_i32 v65, v3, 4, 1
	s_nop 0
	v_mov_b32_dpp v48, v30 row_bcast:15 row_mask:0xf bank_mask:0xf
	v_and_b32_e32 v48, v65, v48
	v_add_u32_e32 v30, v30, v48
	v_lshrrev_b32_e32 v65, 6, v2
	s_nop 0
	v_mov_b32_dpp v48, v30 row_bcast:31 row_mask:0xf bank_mask:0xf
	v_cndmask_b32_e64 v48, 0, v48, s[42:43]
	v_add_u32_e32 v48, v30, v48
	v_and_b32_e32 v30, 63, v2
	v_cmp_eq_u32_e64 s[42:43], 63, v30
	s_and_saveexec_b64 s[44:45], s[42:43]
; %bb.66:
	v_lshlrev_b32_e32 v30, 2, v65
	ds_write_b32 v30, v48
; %bb.67:
	s_or_b64 exec, exec, s[44:45]
	v_cmp_gt_u32_e64 s[42:43], 16, v2
	v_lshlrev_b32_e32 v30, 2, v2
	s_waitcnt lgkmcnt(0)
	s_barrier
	s_and_saveexec_b64 s[44:45], s[42:43]
	s_cbranch_execz .LBB2246_69
; %bb.68:
	ds_read_b32 v66, v30
	s_waitcnt lgkmcnt(0)
	s_nop 0
	v_mov_b32_dpp v67, v66 row_shr:1 row_mask:0xf bank_mask:0xf
	v_cndmask_b32_e64 v67, v67, 0, s[34:35]
	v_add_u32_e32 v66, v67, v66
	s_nop 1
	v_mov_b32_dpp v67, v66 row_shr:2 row_mask:0xf bank_mask:0xf
	v_cndmask_b32_e64 v67, 0, v67, s[36:37]
	v_add_u32_e32 v66, v66, v67
	;; [unrolled: 4-line block ×4, first 2 shown]
	ds_write_b32 v30, v66
.LBB2246_69:
	s_or_b64 exec, exec, s[44:45]
	v_cmp_lt_u32_e64 s[34:35], 63, v2
	v_mov_b32_e32 v66, 0
	s_waitcnt lgkmcnt(0)
	s_barrier
	s_and_saveexec_b64 s[36:37], s[34:35]
; %bb.70:
	v_lshl_add_u32 v65, v65, 2, -4
	ds_read_b32 v66, v65
; %bb.71:
	s_or_b64 exec, exec, s[36:37]
	v_subrev_co_u32_e64 v65, s[34:35], 1, v3
	v_and_b32_e32 v67, 64, v3
	v_cmp_lt_i32_e64 s[36:37], v65, v67
	s_waitcnt lgkmcnt(0)
	v_add_u32_e32 v48, v66, v48
	s_movk_i32 s38, 0x100
	v_cndmask_b32_e64 v3, v65, v3, s[36:37]
	v_lshlrev_b32_e32 v3, 2, v3
	ds_bpermute_b32 v3, v3, v48
	v_cmp_gt_u32_e64 s[36:37], s38, v2
	s_waitcnt lgkmcnt(0)
	v_cndmask_b32_e64 v3, v3, v66, s[34:35]
	v_cmp_ne_u32_e64 s[34:35], 0, v2
	s_nop 1
	v_cndmask_b32_e64 v3, 0, v3, s[34:35]
	v_add_u32_e32 v10, v3, v10
	v_add_u32_e32 v11, v10, v11
	;; [unrolled: 1-line block ×4, first 2 shown]
	ds_write2_b32 v12, v3, v10 offset0:16 offset1:17
	ds_write2_b32 v12, v11, v8 offset0:18 offset1:19
	ds_write_b32 v12, v9 offset:80
	s_waitcnt lgkmcnt(0)
	s_barrier
	ds_read_b32 v8, v36 offset:64
	ds_read_b32 v48, v38 offset:64
	ds_read_b32 v49, v49 offset:64
	ds_read_b32 v50, v50 offset:64
	ds_read_b32 v51, v51 offset:64
	ds_read_b32 v52, v52 offset:64
	ds_read_b32 v54, v54 offset:64
	ds_read_b32 v55, v55 offset:64
	ds_read_b32 v56, v56 offset:64
	ds_read_b32 v57, v57 offset:64
	ds_read_b32 v58, v58 offset:64
	ds_read_b32 v59, v59 offset:64
	ds_read_b32 v60, v60 offset:64
	ds_read_b32 v61, v61 offset:64
	ds_read_b32 v62, v62 offset:64
	ds_read_b32 v63, v63 offset:64
	s_movk_i32 s34, 0xff
	v_cmp_lt_u32_e64 s[34:35], s34, v2
                                        ; implicit-def: $vgpr3
                                        ; implicit-def: $vgpr36
	s_and_saveexec_b64 s[40:41], s[36:37]
	s_cbranch_execz .LBB2246_75
; %bb.72:
	v_mul_u32_u24_e32 v3, 0x44, v2
	ds_read_b32 v3, v3 offset:64
	v_add_u32_e32 v10, 1, v2
	v_cmp_ne_u32_e64 s[38:39], s38, v10
	v_mov_b32_e32 v9, 0x4000
	s_and_saveexec_b64 s[42:43], s[38:39]
; %bb.73:
	v_mul_u32_u24_e32 v9, 0x44, v10
	ds_read_b32 v9, v9 offset:64
; %bb.74:
	s_or_b64 exec, exec, s[42:43]
	s_waitcnt lgkmcnt(0)
	v_sub_u32_e32 v36, v9, v3
.LBB2246_75:
	s_or_b64 exec, exec, s[40:41]
	s_waitcnt lgkmcnt(14)
	v_add_u32_e32 v38, v8, v13
	v_add3_u32 v65, v14, v7, v48
	s_waitcnt lgkmcnt(13)
	v_add3_u32 v66, v16, v15, v49
	s_waitcnt lgkmcnt(12)
	;; [unrolled: 2-line block ×14, first 2 shown]
	v_add3_u32 v80, v45, v44, v63
	v_mov_b32_e32 v9, 0
	s_barrier
	ds_write_b8 v38, v5 offset:1024
	ds_write_b8 v65, v46 offset:1024
	;; [unrolled: 1-line block ×16, first 2 shown]
	s_and_saveexec_b64 s[38:39], s[36:37]
	s_cbranch_execz .LBB2246_85
; %bb.76:
	v_lshl_add_u32 v8, s2, 8, v2
	v_lshl_add_u64 v[10:11], v[8:9], 2, s[70:71]
	v_or_b32_e32 v5, 2.0, v36
	global_store_dword v[10:11], v5, off sc1
	s_mov_b64 s[40:41], 0
	s_brev_b32 s46, -4
	s_mov_b32 s47, s2
	v_mov_b32_e32 v5, 0
                                        ; implicit-def: $sgpr36_sgpr37
	s_branch .LBB2246_79
.LBB2246_77:                            ;   in Loop: Header=BB2246_79 Depth=1
	s_or_b64 exec, exec, s[44:45]
.LBB2246_78:                            ;   in Loop: Header=BB2246_79 Depth=1
	s_or_b64 exec, exec, s[42:43]
	v_and_b32_e32 v12, 0x3fffffff, v8
	v_add_u32_e32 v5, v12, v5
	v_cmp_gt_i32_e64 s[36:37], -2.0, v8
	s_and_b64 s[42:43], exec, s[36:37]
	s_or_b64 s[40:41], s[42:43], s[40:41]
	s_andn2_b64 exec, exec, s[40:41]
	s_cbranch_execz .LBB2246_84
.LBB2246_79:                            ; =>This Loop Header: Depth=1
                                        ;     Child Loop BB2246_82 Depth 2
	s_or_b64 s[36:37], s[36:37], exec
	s_cmp_eq_u32 s47, 0
	s_cbranch_scc1 .LBB2246_83
; %bb.80:                               ;   in Loop: Header=BB2246_79 Depth=1
	s_add_i32 s47, s47, -1
	v_lshl_or_b32 v8, s47, 8, v2
	v_lshl_add_u64 v[12:13], v[8:9], 2, s[70:71]
	global_load_dword v8, v[12:13], off sc1
	s_waitcnt vmcnt(0)
	v_cmp_gt_u32_e64 s[36:37], 2.0, v8
	s_and_saveexec_b64 s[42:43], s[36:37]
	s_cbranch_execz .LBB2246_78
; %bb.81:                               ;   in Loop: Header=BB2246_79 Depth=1
	s_mov_b64 s[44:45], 0
.LBB2246_82:                            ;   Parent Loop BB2246_79 Depth=1
                                        ; =>  This Inner Loop Header: Depth=2
	global_load_dword v8, v[12:13], off sc1
	s_waitcnt vmcnt(0)
	v_cmp_lt_u32_e64 s[36:37], s46, v8
	s_or_b64 s[44:45], s[36:37], s[44:45]
	s_andn2_b64 exec, exec, s[44:45]
	s_cbranch_execnz .LBB2246_82
	s_branch .LBB2246_77
.LBB2246_83:                            ;   in Loop: Header=BB2246_79 Depth=1
                                        ; implicit-def: $sgpr47
	s_and_b64 s[42:43], exec, s[36:37]
	s_or_b64 s[40:41], s[42:43], s[40:41]
	s_andn2_b64 exec, exec, s[40:41]
	s_cbranch_execnz .LBB2246_79
.LBB2246_84:
	s_or_b64 exec, exec, s[40:41]
	v_add_u32_e32 v8, v5, v36
	v_or_b32_e32 v8, 0x80000000, v8
	global_store_dword v[10:11], v8, off sc1
	global_load_dword v8, v30, s[80:81]
	v_sub_u32_e32 v5, v5, v3
	s_waitcnt vmcnt(0)
	v_add_u32_e32 v5, v5, v8
	ds_write_b32 v30, v5
.LBB2246_85:
	s_or_b64 exec, exec, s[38:39]
	v_cmp_gt_u32_e64 s[36:37], s3, v2
	s_waitcnt lgkmcnt(0)
	s_barrier
	s_and_saveexec_b64 s[38:39], s[36:37]
	s_cbranch_execz .LBB2246_87
; %bb.86:
	ds_read_u8 v5, v2 offset:1024
	s_waitcnt lgkmcnt(0)
	v_and_b32_e32 v8, 1, v5
	v_lshrrev_b32_e32 v8, s84, v8
	v_and_b32_e32 v8, s88, v8
	v_lshlrev_b32_e32 v9, 2, v8
	ds_read_b32 v9, v9
	v_xor_b32_e32 v5, 1, v5
	s_waitcnt lgkmcnt(0)
	v_add_u32_e32 v9, v9, v2
	global_store_byte v9, v5, s[74:75]
	scratch_store_dword off, v8, off
.LBB2246_87:
	s_or_b64 exec, exec, s[38:39]
	v_or_b32_e32 v5, 0x400, v2
	v_cmp_gt_u32_e64 s[36:37], s3, v5
	s_and_saveexec_b64 s[38:39], s[36:37]
	s_cbranch_execz .LBB2246_89
; %bb.88:
	ds_read_u8 v8, v2 offset:2048
	s_waitcnt lgkmcnt(0)
	v_and_b32_e32 v9, 1, v8
	v_lshrrev_b32_e32 v9, s84, v9
	v_and_b32_e32 v9, s88, v9
	v_lshlrev_b32_e32 v10, 2, v9
	ds_read_b32 v10, v10
	v_xor_b32_e32 v8, 1, v8
	s_waitcnt lgkmcnt(0)
	v_add_u32_e32 v5, v10, v5
	global_store_byte v5, v8, s[74:75]
	scratch_store_dword off, v9, off offset:4
.LBB2246_89:
	s_or_b64 exec, exec, s[38:39]
	v_or_b32_e32 v5, 0x800, v2
	v_cmp_gt_u32_e64 s[36:37], s3, v5
	s_and_saveexec_b64 s[38:39], s[36:37]
	s_cbranch_execz .LBB2246_91
; %bb.90:
	ds_read_u8 v8, v2 offset:3072
	s_waitcnt lgkmcnt(0)
	v_and_b32_e32 v9, 1, v8
	v_lshrrev_b32_e32 v9, s84, v9
	v_and_b32_e32 v9, s88, v9
	v_lshlrev_b32_e32 v10, 2, v9
	ds_read_b32 v10, v10
	v_xor_b32_e32 v8, 1, v8
	s_waitcnt lgkmcnt(0)
	v_add_u32_e32 v5, v10, v5
	global_store_byte v5, v8, s[74:75]
	scratch_store_dword off, v9, off offset:8
.LBB2246_91:
	;; [unrolled: 19-line block ×15, first 2 shown]
	s_or_b64 exec, exec, s[38:39]
	s_lshl_b64 s[36:37], s[86:87], 2
	s_add_u32 s36, s76, s36
	s_addc_u32 s37, s77, s37
	v_lshlrev_b32_e32 v8, 2, v6
	v_mov_b32_e32 v9, 0
	v_lshl_add_u64 v[10:11], s[36:37], 0, v[8:9]
	v_lshlrev_b32_e32 v8, 2, v4
	v_lshl_add_u64 v[4:5], v[10:11], 0, v[8:9]
                                        ; implicit-def: $vgpr6
	s_and_saveexec_b64 s[36:37], vcc
	s_xor_b64 s[36:37], exec, s[36:37]
	s_cbranch_execz .LBB2246_133
; %bb.118:
	global_load_dword v6, v[4:5], off
	s_or_b64 exec, exec, s[36:37]
                                        ; implicit-def: $vgpr8
	s_and_saveexec_b64 s[36:37], s[64:65]
	s_cbranch_execnz .LBB2246_134
.LBB2246_119:
	s_or_b64 exec, exec, s[36:37]
                                        ; implicit-def: $vgpr9
	s_and_saveexec_b64 s[36:37], s[4:5]
	s_cbranch_execz .LBB2246_135
.LBB2246_120:
	global_load_dword v9, v[4:5], off offset:512
	s_or_b64 exec, exec, s[36:37]
                                        ; implicit-def: $vgpr10
	s_and_saveexec_b64 s[4:5], s[6:7]
	s_cbranch_execnz .LBB2246_136
.LBB2246_121:
	s_or_b64 exec, exec, s[4:5]
                                        ; implicit-def: $vgpr11
	s_and_saveexec_b64 s[4:5], s[8:9]
	s_cbranch_execz .LBB2246_137
.LBB2246_122:
	global_load_dword v11, v[4:5], off offset:1024
	s_or_b64 exec, exec, s[4:5]
                                        ; implicit-def: $vgpr12
	s_and_saveexec_b64 s[4:5], s[10:11]
	s_cbranch_execnz .LBB2246_138
.LBB2246_123:
	s_or_b64 exec, exec, s[4:5]
                                        ; implicit-def: $vgpr13
	s_and_saveexec_b64 s[4:5], s[12:13]
	s_cbranch_execz .LBB2246_139
.LBB2246_124:
	global_load_dword v13, v[4:5], off offset:1536
	s_or_b64 exec, exec, s[4:5]
                                        ; implicit-def: $vgpr46
	s_and_saveexec_b64 s[4:5], s[14:15]
	s_cbranch_execnz .LBB2246_140
.LBB2246_125:
	s_or_b64 exec, exec, s[4:5]
                                        ; implicit-def: $vgpr47
	s_and_saveexec_b64 s[4:5], s[16:17]
	s_cbranch_execz .LBB2246_141
.LBB2246_126:
	global_load_dword v47, v[4:5], off offset:2048
	s_or_b64 exec, exec, s[4:5]
                                        ; implicit-def: $vgpr53
	s_and_saveexec_b64 s[4:5], s[18:19]
	s_cbranch_execnz .LBB2246_142
.LBB2246_127:
	s_or_b64 exec, exec, s[4:5]
                                        ; implicit-def: $vgpr64
	s_and_saveexec_b64 s[4:5], s[20:21]
	s_cbranch_execz .LBB2246_143
.LBB2246_128:
	global_load_dword v64, v[4:5], off offset:2560
	s_or_b64 exec, exec, s[4:5]
                                        ; implicit-def: $vgpr79
	s_and_saveexec_b64 s[4:5], s[22:23]
	s_cbranch_execnz .LBB2246_144
.LBB2246_129:
	s_or_b64 exec, exec, s[4:5]
                                        ; implicit-def: $vgpr81
	s_and_saveexec_b64 s[4:5], s[24:25]
	s_cbranch_execz .LBB2246_145
.LBB2246_130:
	global_load_dword v81, v[4:5], off offset:3072
	s_or_b64 exec, exec, s[4:5]
                                        ; implicit-def: $vgpr82
	s_and_saveexec_b64 s[4:5], s[26:27]
	s_cbranch_execnz .LBB2246_146
.LBB2246_131:
	s_or_b64 exec, exec, s[4:5]
                                        ; implicit-def: $vgpr83
	s_and_saveexec_b64 s[4:5], s[28:29]
	s_cbranch_execz .LBB2246_147
.LBB2246_132:
	global_load_dword v83, v[4:5], off offset:3584
	s_or_b64 exec, exec, s[4:5]
                                        ; implicit-def: $vgpr84
	s_and_saveexec_b64 s[4:5], s[30:31]
	s_cbranch_execnz .LBB2246_148
	s_branch .LBB2246_149
.LBB2246_133:
	s_or_b64 exec, exec, s[36:37]
                                        ; implicit-def: $vgpr8
	s_and_saveexec_b64 s[36:37], s[64:65]
	s_cbranch_execz .LBB2246_119
.LBB2246_134:
	global_load_dword v8, v[4:5], off offset:256
	s_or_b64 exec, exec, s[36:37]
                                        ; implicit-def: $vgpr9
	s_and_saveexec_b64 s[36:37], s[4:5]
	s_cbranch_execnz .LBB2246_120
.LBB2246_135:
	s_or_b64 exec, exec, s[36:37]
                                        ; implicit-def: $vgpr10
	s_and_saveexec_b64 s[4:5], s[6:7]
	s_cbranch_execz .LBB2246_121
.LBB2246_136:
	global_load_dword v10, v[4:5], off offset:768
	s_or_b64 exec, exec, s[4:5]
                                        ; implicit-def: $vgpr11
	s_and_saveexec_b64 s[4:5], s[8:9]
	s_cbranch_execnz .LBB2246_122
.LBB2246_137:
	s_or_b64 exec, exec, s[4:5]
                                        ; implicit-def: $vgpr12
	s_and_saveexec_b64 s[4:5], s[10:11]
	s_cbranch_execz .LBB2246_123
.LBB2246_138:
	global_load_dword v12, v[4:5], off offset:1280
	s_or_b64 exec, exec, s[4:5]
                                        ; implicit-def: $vgpr13
	s_and_saveexec_b64 s[4:5], s[12:13]
	s_cbranch_execnz .LBB2246_124
.LBB2246_139:
	s_or_b64 exec, exec, s[4:5]
                                        ; implicit-def: $vgpr46
	s_and_saveexec_b64 s[4:5], s[14:15]
	s_cbranch_execz .LBB2246_125
.LBB2246_140:
	global_load_dword v46, v[4:5], off offset:1792
	s_or_b64 exec, exec, s[4:5]
                                        ; implicit-def: $vgpr47
	s_and_saveexec_b64 s[4:5], s[16:17]
	s_cbranch_execnz .LBB2246_126
.LBB2246_141:
	s_or_b64 exec, exec, s[4:5]
                                        ; implicit-def: $vgpr53
	s_and_saveexec_b64 s[4:5], s[18:19]
	s_cbranch_execz .LBB2246_127
.LBB2246_142:
	global_load_dword v53, v[4:5], off offset:2304
	s_or_b64 exec, exec, s[4:5]
                                        ; implicit-def: $vgpr64
	s_and_saveexec_b64 s[4:5], s[20:21]
	s_cbranch_execnz .LBB2246_128
.LBB2246_143:
	s_or_b64 exec, exec, s[4:5]
                                        ; implicit-def: $vgpr79
	s_and_saveexec_b64 s[4:5], s[22:23]
	s_cbranch_execz .LBB2246_129
.LBB2246_144:
	global_load_dword v79, v[4:5], off offset:2816
	s_or_b64 exec, exec, s[4:5]
                                        ; implicit-def: $vgpr81
	s_and_saveexec_b64 s[4:5], s[24:25]
	s_cbranch_execnz .LBB2246_130
.LBB2246_145:
	s_or_b64 exec, exec, s[4:5]
                                        ; implicit-def: $vgpr82
	s_and_saveexec_b64 s[4:5], s[26:27]
	s_cbranch_execz .LBB2246_131
.LBB2246_146:
	global_load_dword v82, v[4:5], off offset:3328
	s_or_b64 exec, exec, s[4:5]
                                        ; implicit-def: $vgpr83
	s_and_saveexec_b64 s[4:5], s[28:29]
	s_cbranch_execnz .LBB2246_132
.LBB2246_147:
	s_or_b64 exec, exec, s[4:5]
                                        ; implicit-def: $vgpr84
	s_and_saveexec_b64 s[4:5], s[30:31]
	s_cbranch_execz .LBB2246_149
.LBB2246_148:
	global_load_dword v84, v[4:5], off offset:3840
.LBB2246_149:
	s_or_b64 exec, exec, s[4:5]
	v_mov_b32_e32 v4, 0x400
	s_movk_i32 s6, 0x400
	v_lshl_add_u32 v80, v80, 2, v4
	v_add3_u32 v44, v45, v63, v44
	v_lshl_add_u32 v45, v78, 2, v4
	v_add3_u32 v42, v43, v62, v42
	;; [unrolled: 2-line block ×15, first 2 shown]
	v_lshl_add_u32 v14, v38, 2, v4
	s_mov_b32 s7, 0
	s_mov_b32 s8, 0
	s_movk_i32 s9, 0x1000
	v_mov_b32_e32 v5, 0
	s_movk_i32 s10, 0x800
	s_movk_i32 s11, 0xc00
	s_mov_b32 s12, 0
	s_barrier
	s_branch .LBB2246_151
.LBB2246_150:                           ;   in Loop: Header=BB2246_151 Depth=1
	s_or_b64 exec, exec, s[4:5]
	s_addk_i32 s12, 0xc000
	s_addk_i32 s8, 0xf000
	s_add_i32 s7, s7, 16
	s_cmp_eq_u32 s12, 0xffff0000
	v_add_u32_e32 v2, 0x1000, v2
	s_barrier
	s_cbranch_scc1 .LBB2246_191
.LBB2246_151:                           ; =>This Inner Loop Header: Depth=1
	v_add_u32_e32 v4, s8, v38
	v_cmp_gt_u32_e32 vcc, s9, v4
	s_and_saveexec_b64 s[4:5], vcc
	s_cbranch_execz .LBB2246_153
; %bb.152:                              ;   in Loop: Header=BB2246_151 Depth=1
	v_add_u32_e32 v4, s12, v14
	s_waitcnt vmcnt(0)
	ds_write_b32 v4, v6
.LBB2246_153:                           ;   in Loop: Header=BB2246_151 Depth=1
	s_or_b64 exec, exec, s[4:5]
	v_add_u32_e32 v4, s8, v7
	v_cmp_gt_u32_e32 vcc, s9, v4
	s_and_saveexec_b64 s[4:5], vcc
	s_cbranch_execz .LBB2246_155
; %bb.154:                              ;   in Loop: Header=BB2246_151 Depth=1
	v_add_u32_e32 v4, s12, v16
	s_waitcnt vmcnt(0)
	ds_write_b32 v4, v8
.LBB2246_155:                           ;   in Loop: Header=BB2246_151 Depth=1
	s_or_b64 exec, exec, s[4:5]
	;; [unrolled: 10-line block ×16, first 2 shown]
	v_cmp_gt_u32_e32 vcc, s3, v2
	s_waitcnt lgkmcnt(0)
	s_barrier
	s_and_saveexec_b64 s[4:5], vcc
	s_cbranch_execz .LBB2246_185
; %bb.184:                              ;   in Loop: Header=BB2246_151 Depth=1
	scratch_load_dword v4, off, s7
	s_waitcnt vmcnt(0)
	v_lshlrev_b32_e32 v4, 2, v4
	ds_read_b32 v4, v4
	ds_read_b32 v50, v30 offset:1024
	s_waitcnt lgkmcnt(1)
	v_add_u32_e32 v4, v2, v4
	v_lshl_add_u64 v[48:49], v[4:5], 2, s[78:79]
	s_waitcnt lgkmcnt(0)
	global_store_dword v[48:49], v50, off
.LBB2246_185:                           ;   in Loop: Header=BB2246_151 Depth=1
	s_or_b64 exec, exec, s[4:5]
	v_add_u32_e32 v4, 0x400, v2
	v_cmp_gt_u32_e32 vcc, s3, v4
	s_and_saveexec_b64 s[4:5], vcc
	s_cbranch_execz .LBB2246_187
; %bb.186:                              ;   in Loop: Header=BB2246_151 Depth=1
	s_add_i32 s13, s7, 4
	scratch_load_dword v4, off, s13
	s_waitcnt vmcnt(0)
	v_lshlrev_b32_e32 v4, 2, v4
	ds_read_b32 v4, v4
	ds_read_b32 v50, v30 offset:5120
	s_waitcnt lgkmcnt(1)
	v_add3_u32 v4, v2, v4, s6
	v_lshl_add_u64 v[48:49], v[4:5], 2, s[78:79]
	s_waitcnt lgkmcnt(0)
	global_store_dword v[48:49], v50, off
.LBB2246_187:                           ;   in Loop: Header=BB2246_151 Depth=1
	s_or_b64 exec, exec, s[4:5]
	v_add_u32_e32 v4, 0x800, v2
	v_cmp_gt_u32_e32 vcc, s3, v4
	s_and_saveexec_b64 s[4:5], vcc
	s_cbranch_execz .LBB2246_189
; %bb.188:                              ;   in Loop: Header=BB2246_151 Depth=1
	s_add_i32 s13, s7, 8
	scratch_load_dword v4, off, s13
	s_waitcnt vmcnt(0)
	v_lshlrev_b32_e32 v4, 2, v4
	ds_read_b32 v4, v4
	ds_read_b32 v50, v30 offset:9216
	s_waitcnt lgkmcnt(1)
	v_add3_u32 v4, v2, v4, s10
	v_lshl_add_u64 v[48:49], v[4:5], 2, s[78:79]
	s_waitcnt lgkmcnt(0)
	global_store_dword v[48:49], v50, off
.LBB2246_189:                           ;   in Loop: Header=BB2246_151 Depth=1
	s_or_b64 exec, exec, s[4:5]
	v_add_u32_e32 v4, 0xc00, v2
	v_cmp_gt_u32_e32 vcc, s3, v4
	s_and_saveexec_b64 s[4:5], vcc
	s_cbranch_execz .LBB2246_150
; %bb.190:                              ;   in Loop: Header=BB2246_151 Depth=1
	s_add_i32 s13, s7, 12
	scratch_load_dword v4, off, s13
	s_waitcnt vmcnt(0)
	v_lshlrev_b32_e32 v4, 2, v4
	ds_read_b32 v4, v4
	ds_read_b32 v50, v30 offset:13312
	s_waitcnt lgkmcnt(1)
	v_add3_u32 v4, v2, v4, s11
	v_lshl_add_u64 v[48:49], v[4:5], 2, s[78:79]
	s_waitcnt lgkmcnt(0)
	global_store_dword v[48:49], v50, off
	s_branch .LBB2246_150
.LBB2246_191:
	s_add_i32 s33, s33, -1
	s_cmp_eq_u32 s2, s33
	s_cselect_b64 s[4:5], -1, 0
	s_xor_b64 s[6:7], s[34:35], -1
	s_and_b64 s[6:7], s[6:7], s[4:5]
	s_and_saveexec_b64 s[4:5], s[6:7]
	s_cbranch_execz .LBB2246_193
; %bb.192:
	ds_read_b32 v2, v30
	s_waitcnt lgkmcnt(0)
	v_add3_u32 v2, v3, v36, v2
	global_store_dword v30, v2, s[82:83]
.LBB2246_193:
	s_or_b64 exec, exec, s[4:5]
	s_mov_b64 s[4:5], 0
.LBB2246_194:
	s_and_b64 vcc, exec, s[4:5]
	s_cbranch_vccz .LBB2246_283
; %bb.195:
	s_lshl_b32 s10, s2, 14
	v_and_b32_e32 v16, 0x3ff, v0
	s_add_u32 s4, s72, s10
	v_mbcnt_hi_u32_b32 v5, -1, v1
	s_addc_u32 s5, s73, 0
	v_and_b32_e32 v20, 63, v5
	v_lshlrev_b32_e32 v1, 4, v16
	v_mov_b32_e32 v21, 0
	v_and_b32_e32 v18, 0x3c00, v1
	v_lshl_add_u64 v[2:3], s[4:5], 0, v[20:21]
	v_mov_b32_e32 v19, v21
	s_waitcnt vmcnt(0)
	v_lshl_add_u64 v[6:7], v[2:3], 0, v[18:19]
	global_load_ubyte v1, v[6:7], off
	s_load_dword s3, s[0:1], 0x58
	s_load_dword s4, s[0:1], 0x64
	global_load_ubyte v3, v[6:7], off offset:64
	global_load_ubyte v2, v[6:7], off offset:128
	;; [unrolled: 1-line block ×7, first 2 shown]
	v_mov_b32_e32 v11, v21
	s_mov_b32 s11, 0
	v_mul_u32_u24_e32 v8, 20, v16
	s_waitcnt vmcnt(7)
	v_and_b32_e32 v1, 1, v1
	v_cmp_eq_u32_e32 vcc, 1, v1
	s_xor_b64 s[6:7], vcc, -1
	s_add_u32 s0, s0, 0x58
	s_addc_u32 s1, s1, 0
	s_waitcnt lgkmcnt(0)
	s_lshr_b32 s5, s4, 16
	s_cmp_lt_u32 s2, s3
	s_cselect_b32 s4, 12, 18
	s_add_u32 s0, s0, s4
	s_addc_u32 s1, s1, 0
	global_load_ushort v9, v21, s[0:1]
	global_load_ubyte v34, v[6:7], off offset:512
	global_load_ubyte v36, v[6:7], off offset:576
	;; [unrolled: 1-line block ×8, first 2 shown]
	v_cndmask_b32_e64 v4, 0, 1, s[6:7]
	v_lshrrev_b32_e32 v6, s84, v4
	s_lshl_b32 s0, -1, s85
	v_bfe_u32 v1, v0, 10, 10
	v_bfe_u32 v0, v0, 20, 10
	v_bitop3_b32 v10, v6, s0, v6 bitop3:0x30
	v_mad_u32_u24 v7, v0, s5, v1
	v_cmp_ne_u32_e32 vcc, 0, v10
	v_lshl_add_u64 v[0:1], v[10:11], 0, -1
	s_movk_i32 s4, 0x44
	v_xor_b32_e32 v0, vcc_lo, v0
	v_xor_b32_e32 v1, vcc_hi, v1
	v_and_b32_e32 v0, exec_lo, v0
	v_and_b32_e32 v1, exec_hi, v1
	v_mbcnt_lo_u32_b32 v6, v0, 0
	v_mbcnt_hi_u32_b32 v6, v1, v6
	s_not_b32 s14, s0
	v_cmp_ne_u64_e32 vcc, 0, v[0:1]
	v_cmp_eq_u32_e64 s[0:1], 0, v6
	ds_write2_b32 v8, v21, v21 offset0:16 offset1:17
	ds_write2_b32 v8, v21, v21 offset0:18 offset1:19
	ds_write_b32 v8, v21 offset:80
	s_waitcnt lgkmcnt(0)
	s_barrier
	s_waitcnt vmcnt(8)
	; wave barrier
	v_mad_u64_u32 v[22:23], s[6:7], v7, v9, v[16:17]
	v_lshrrev_b32_e32 v7, 6, v22
	v_lshlrev_b32_e32 v44, 2, v7
	v_mad_u32_u24 v10, v10, s4, v44
	s_and_b64 s[6:7], vcc, s[0:1]
	s_and_saveexec_b64 s[0:1], s[6:7]
; %bb.196:
	v_bcnt_u32_b32 v0, v0, 0
	v_bcnt_u32_b32 v0, v1, v0
	ds_write_b32 v10, v0 offset:64
; %bb.197:
	s_or_b64 exec, exec, s[0:1]
	v_and_b32_e32 v0, 1, v3
	v_cmp_eq_u32_e32 vcc, 1, v0
	s_xor_b64 s[0:1], vcc, -1
	v_cndmask_b32_e64 v7, 0, 1, s[0:1]
	v_lshrrev_b32_e32 v0, s84, v7
	v_and_b32_e32 v0, s14, v0
	v_mov_b32_e32 v1, v21
	v_mad_u32_u24 v11, v0, s4, v44
	v_cmp_ne_u32_e32 vcc, 0, v0
	v_lshl_add_u64 v[0:1], v[0:1], 0, -1
	s_nop 0
	v_xor_b32_e32 v0, vcc_lo, v0
	; wave barrier
	ds_read_b32 v17, v11 offset:64
	v_xor_b32_e32 v1, vcc_hi, v1
	v_and_b32_e32 v0, exec_lo, v0
	v_and_b32_e32 v1, exec_hi, v1
	v_mbcnt_lo_u32_b32 v3, v0, 0
	v_mbcnt_hi_u32_b32 v19, v1, v3
	v_cmp_eq_u32_e32 vcc, 0, v19
	v_cmp_ne_u64_e64 s[0:1], 0, v[0:1]
	s_and_b64 s[4:5], s[0:1], vcc
	; wave barrier
	s_and_saveexec_b64 s[0:1], s[4:5]
	s_cbranch_execz .LBB2246_199
; %bb.198:
	v_bcnt_u32_b32 v0, v0, 0
	v_bcnt_u32_b32 v0, v1, v0
	s_waitcnt lgkmcnt(0)
	v_add_u32_e32 v0, v17, v0
	ds_write_b32 v11, v0 offset:64
.LBB2246_199:
	s_or_b64 exec, exec, s[0:1]
	v_and_b32_e32 v0, 1, v2
	v_cmp_eq_u32_e32 vcc, 1, v0
	s_xor_b64 s[0:1], vcc, -1
	v_cndmask_b32_e64 v9, 0, 1, s[0:1]
	v_lshrrev_b32_e32 v0, s84, v9
	v_and_b32_e32 v0, s14, v0
	v_mov_b32_e32 v1, 0
	s_movk_i32 s4, 0x44
	v_cmp_ne_u32_e32 vcc, 0, v0
	v_lshl_add_u64 v[2:3], v[0:1], 0, -1
	v_mad_u32_u24 v14, v0, s4, v44
	v_xor_b32_e32 v2, vcc_lo, v2
	; wave barrier
	ds_read_b32 v22, v14 offset:64
	v_xor_b32_e32 v0, vcc_hi, v3
	v_and_b32_e32 v2, exec_lo, v2
	v_and_b32_e32 v3, exec_hi, v0
	v_mbcnt_lo_u32_b32 v0, v2, 0
	v_mbcnt_hi_u32_b32 v23, v3, v0
	v_cmp_eq_u32_e32 vcc, 0, v23
	v_cmp_ne_u64_e64 s[0:1], 0, v[2:3]
	s_and_b64 s[6:7], s[0:1], vcc
	; wave barrier
	s_and_saveexec_b64 s[0:1], s[6:7]
	s_cbranch_execz .LBB2246_201
; %bb.200:
	v_bcnt_u32_b32 v0, v2, 0
	v_bcnt_u32_b32 v0, v3, v0
	s_waitcnt lgkmcnt(0)
	v_add_u32_e32 v0, v22, v0
	ds_write_b32 v14, v0 offset:64
.LBB2246_201:
	s_or_b64 exec, exec, s[0:1]
	v_and_b32_e32 v0, 1, v12
	v_cmp_eq_u32_e32 vcc, 1, v0
	s_xor_b64 s[0:1], vcc, -1
	v_cndmask_b32_e64 v12, 0, 1, s[0:1]
	v_lshrrev_b32_e32 v0, s84, v12
	v_and_b32_e32 v0, s14, v0
	v_mad_u32_u24 v42, v0, s4, v44
	v_cmp_ne_u32_e32 vcc, 0, v0
	v_lshl_add_u64 v[0:1], v[0:1], 0, -1
	s_nop 0
	v_xor_b32_e32 v0, vcc_lo, v0
	; wave barrier
	ds_read_b32 v24, v42 offset:64
	v_xor_b32_e32 v1, vcc_hi, v1
	v_and_b32_e32 v0, exec_lo, v0
	v_and_b32_e32 v1, exec_hi, v1
	v_mbcnt_lo_u32_b32 v2, v0, 0
	v_mbcnt_hi_u32_b32 v25, v1, v2
	v_cmp_eq_u32_e32 vcc, 0, v25
	v_cmp_ne_u64_e64 s[0:1], 0, v[0:1]
	s_and_b64 s[4:5], s[0:1], vcc
	; wave barrier
	s_and_saveexec_b64 s[0:1], s[4:5]
	s_cbranch_execz .LBB2246_203
; %bb.202:
	v_bcnt_u32_b32 v0, v0, 0
	v_bcnt_u32_b32 v0, v1, v0
	s_waitcnt lgkmcnt(0)
	v_add_u32_e32 v0, v24, v0
	ds_write_b32 v42, v0 offset:64
.LBB2246_203:
	s_or_b64 exec, exec, s[0:1]
	v_and_b32_e32 v0, 1, v13
	v_cmp_eq_u32_e32 vcc, 1, v0
	s_xor_b64 s[0:1], vcc, -1
	v_cndmask_b32_e64 v13, 0, 1, s[0:1]
	v_lshrrev_b32_e32 v0, s84, v13
	v_and_b32_e32 v0, s14, v0
	v_mov_b32_e32 v1, 0
	s_movk_i32 s4, 0x44
	v_cmp_ne_u32_e32 vcc, 0, v0
	v_lshl_add_u64 v[2:3], v[0:1], 0, -1
	v_mad_u32_u24 v46, v0, s4, v44
	v_xor_b32_e32 v2, vcc_lo, v2
	; wave barrier
	ds_read_b32 v26, v46 offset:64
	v_xor_b32_e32 v0, vcc_hi, v3
	v_and_b32_e32 v2, exec_lo, v2
	v_and_b32_e32 v3, exec_hi, v0
	v_mbcnt_lo_u32_b32 v0, v2, 0
	v_mbcnt_hi_u32_b32 v27, v3, v0
	v_cmp_eq_u32_e32 vcc, 0, v27
	v_cmp_ne_u64_e64 s[0:1], 0, v[2:3]
	s_and_b64 s[6:7], s[0:1], vcc
	; wave barrier
	s_and_saveexec_b64 s[0:1], s[6:7]
	s_cbranch_execz .LBB2246_205
; %bb.204:
	v_bcnt_u32_b32 v0, v2, 0
	v_bcnt_u32_b32 v0, v3, v0
	s_waitcnt lgkmcnt(0)
	v_add_u32_e32 v0, v26, v0
	ds_write_b32 v46, v0 offset:64
.LBB2246_205:
	s_or_b64 exec, exec, s[0:1]
	v_and_b32_e32 v0, 1, v28
	v_cmp_eq_u32_e32 vcc, 1, v0
	s_xor_b64 s[0:1], vcc, -1
	v_cndmask_b32_e64 v21, 0, 1, s[0:1]
	v_lshrrev_b32_e32 v0, s84, v21
	v_and_b32_e32 v0, s14, v0
	v_mad_u32_u24 v58, v0, s4, v44
	v_cmp_ne_u32_e32 vcc, 0, v0
	v_lshl_add_u64 v[0:1], v[0:1], 0, -1
	s_nop 0
	v_xor_b32_e32 v0, vcc_lo, v0
	; wave barrier
	ds_read_b32 v28, v58 offset:64
	v_xor_b32_e32 v1, vcc_hi, v1
	v_and_b32_e32 v0, exec_lo, v0
	v_and_b32_e32 v1, exec_hi, v1
	v_mbcnt_lo_u32_b32 v2, v0, 0
	v_mbcnt_hi_u32_b32 v29, v1, v2
	v_cmp_eq_u32_e32 vcc, 0, v29
	v_cmp_ne_u64_e64 s[0:1], 0, v[0:1]
	s_and_b64 s[4:5], s[0:1], vcc
	; wave barrier
	s_and_saveexec_b64 s[0:1], s[4:5]
	s_cbranch_execz .LBB2246_207
; %bb.206:
	v_bcnt_u32_b32 v0, v0, 0
	v_bcnt_u32_b32 v0, v1, v0
	s_waitcnt lgkmcnt(0)
	v_add_u32_e32 v0, v28, v0
	ds_write_b32 v58, v0 offset:64
.LBB2246_207:
	s_or_b64 exec, exec, s[0:1]
	v_and_b32_e32 v0, 1, v30
	v_cmp_eq_u32_e32 vcc, 1, v0
	s_xor_b64 s[0:1], vcc, -1
	v_cndmask_b32_e64 v82, 0, 1, s[0:1]
	v_lshrrev_b32_e32 v0, s84, v82
	v_and_b32_e32 v0, s14, v0
	v_mov_b32_e32 v1, 0
	s_movk_i32 s4, 0x44
	v_cmp_ne_u32_e32 vcc, 0, v0
	v_lshl_add_u64 v[2:3], v[0:1], 0, -1
	v_mad_u32_u24 v59, v0, s4, v44
	v_xor_b32_e32 v2, vcc_lo, v2
	; wave barrier
	ds_read_b32 v30, v59 offset:64
	v_xor_b32_e32 v0, vcc_hi, v3
	v_and_b32_e32 v2, exec_lo, v2
	v_and_b32_e32 v3, exec_hi, v0
	v_mbcnt_lo_u32_b32 v0, v2, 0
	v_mbcnt_hi_u32_b32 v31, v3, v0
	v_cmp_eq_u32_e32 vcc, 0, v31
	v_cmp_ne_u64_e64 s[0:1], 0, v[2:3]
	s_and_b64 s[6:7], s[0:1], vcc
	; wave barrier
	s_and_saveexec_b64 s[0:1], s[6:7]
	s_cbranch_execz .LBB2246_209
; %bb.208:
	v_bcnt_u32_b32 v0, v2, 0
	v_bcnt_u32_b32 v0, v3, v0
	s_waitcnt lgkmcnt(0)
	v_add_u32_e32 v0, v30, v0
	ds_write_b32 v59, v0 offset:64
.LBB2246_209:
	s_or_b64 exec, exec, s[0:1]
	v_and_b32_e32 v0, 1, v32
	v_cmp_eq_u32_e32 vcc, 1, v0
	s_xor_b64 s[0:1], vcc, -1
	v_cndmask_b32_e64 v83, 0, 1, s[0:1]
	v_lshrrev_b32_e32 v0, s84, v83
	v_and_b32_e32 v0, s14, v0
	v_mad_u32_u24 v60, v0, s4, v44
	v_cmp_ne_u32_e32 vcc, 0, v0
	v_lshl_add_u64 v[0:1], v[0:1], 0, -1
	s_nop 0
	v_xor_b32_e32 v0, vcc_lo, v0
	; wave barrier
	ds_read_b32 v32, v60 offset:64
	v_xor_b32_e32 v1, vcc_hi, v1
	v_and_b32_e32 v0, exec_lo, v0
	v_and_b32_e32 v1, exec_hi, v1
	v_mbcnt_lo_u32_b32 v2, v0, 0
	v_mbcnt_hi_u32_b32 v33, v1, v2
	v_cmp_eq_u32_e32 vcc, 0, v33
	v_cmp_ne_u64_e64 s[0:1], 0, v[0:1]
	s_and_b64 s[4:5], s[0:1], vcc
	; wave barrier
	s_and_saveexec_b64 s[0:1], s[4:5]
	s_cbranch_execz .LBB2246_211
; %bb.210:
	v_bcnt_u32_b32 v0, v0, 0
	v_bcnt_u32_b32 v0, v1, v0
	s_waitcnt lgkmcnt(0)
	v_add_u32_e32 v0, v32, v0
	ds_write_b32 v60, v0 offset:64
.LBB2246_211:
	s_or_b64 exec, exec, s[0:1]
	s_waitcnt vmcnt(7)
	v_and_b32_e32 v0, 1, v34
	v_cmp_eq_u32_e32 vcc, 1, v0
	s_xor_b64 s[0:1], vcc, -1
	v_cndmask_b32_e64 v84, 0, 1, s[0:1]
	v_lshrrev_b32_e32 v0, s84, v84
	v_and_b32_e32 v0, s14, v0
	v_mov_b32_e32 v1, 0
	s_movk_i32 s4, 0x44
	v_cmp_ne_u32_e32 vcc, 0, v0
	v_lshl_add_u64 v[2:3], v[0:1], 0, -1
	v_mad_u32_u24 v61, v0, s4, v44
	v_xor_b32_e32 v2, vcc_lo, v2
	; wave barrier
	ds_read_b32 v34, v61 offset:64
	v_xor_b32_e32 v0, vcc_hi, v3
	v_and_b32_e32 v2, exec_lo, v2
	v_and_b32_e32 v3, exec_hi, v0
	v_mbcnt_lo_u32_b32 v0, v2, 0
	v_mbcnt_hi_u32_b32 v35, v3, v0
	v_cmp_eq_u32_e32 vcc, 0, v35
	v_cmp_ne_u64_e64 s[0:1], 0, v[2:3]
	s_and_b64 s[6:7], s[0:1], vcc
	; wave barrier
	s_and_saveexec_b64 s[0:1], s[6:7]
	s_cbranch_execz .LBB2246_213
; %bb.212:
	v_bcnt_u32_b32 v0, v2, 0
	v_bcnt_u32_b32 v0, v3, v0
	s_waitcnt lgkmcnt(0)
	v_add_u32_e32 v0, v34, v0
	ds_write_b32 v61, v0 offset:64
.LBB2246_213:
	s_or_b64 exec, exec, s[0:1]
	s_waitcnt vmcnt(6)
	v_and_b32_e32 v0, 1, v36
	v_cmp_eq_u32_e32 vcc, 1, v0
	s_xor_b64 s[0:1], vcc, -1
	v_cndmask_b32_e64 v85, 0, 1, s[0:1]
	v_lshrrev_b32_e32 v0, s84, v85
	v_and_b32_e32 v0, s14, v0
	v_mad_u32_u24 v62, v0, s4, v44
	v_cmp_ne_u32_e32 vcc, 0, v0
	v_lshl_add_u64 v[0:1], v[0:1], 0, -1
	s_nop 0
	v_xor_b32_e32 v0, vcc_lo, v0
	; wave barrier
	ds_read_b32 v36, v62 offset:64
	v_xor_b32_e32 v1, vcc_hi, v1
	v_and_b32_e32 v0, exec_lo, v0
	v_and_b32_e32 v1, exec_hi, v1
	v_mbcnt_lo_u32_b32 v2, v0, 0
	v_mbcnt_hi_u32_b32 v37, v1, v2
	v_cmp_eq_u32_e32 vcc, 0, v37
	v_cmp_ne_u64_e64 s[0:1], 0, v[0:1]
	s_and_b64 s[4:5], s[0:1], vcc
	; wave barrier
	s_and_saveexec_b64 s[0:1], s[4:5]
	s_cbranch_execz .LBB2246_215
; %bb.214:
	v_bcnt_u32_b32 v0, v0, 0
	v_bcnt_u32_b32 v0, v1, v0
	s_waitcnt lgkmcnt(0)
	v_add_u32_e32 v0, v36, v0
	ds_write_b32 v62, v0 offset:64
.LBB2246_215:
	s_or_b64 exec, exec, s[0:1]
	s_waitcnt vmcnt(5)
	v_and_b32_e32 v0, 1, v39
	v_cmp_eq_u32_e32 vcc, 1, v0
	s_xor_b64 s[0:1], vcc, -1
	v_cndmask_b32_e64 v86, 0, 1, s[0:1]
	v_lshrrev_b32_e32 v0, s84, v86
	v_and_b32_e32 v0, s14, v0
	v_mov_b32_e32 v1, 0
	s_movk_i32 s4, 0x44
	v_cmp_ne_u32_e32 vcc, 0, v0
	v_lshl_add_u64 v[2:3], v[0:1], 0, -1
	v_mad_u32_u24 v63, v0, s4, v44
	v_xor_b32_e32 v2, vcc_lo, v2
	; wave barrier
	ds_read_b32 v39, v63 offset:64
	v_xor_b32_e32 v0, vcc_hi, v3
	v_and_b32_e32 v2, exec_lo, v2
	v_and_b32_e32 v3, exec_hi, v0
	v_mbcnt_lo_u32_b32 v0, v2, 0
	v_mbcnt_hi_u32_b32 v40, v3, v0
	v_cmp_eq_u32_e32 vcc, 0, v40
	v_cmp_ne_u64_e64 s[0:1], 0, v[2:3]
	s_and_b64 s[6:7], s[0:1], vcc
	; wave barrier
	s_and_saveexec_b64 s[0:1], s[6:7]
	s_cbranch_execz .LBB2246_217
; %bb.216:
	v_bcnt_u32_b32 v0, v2, 0
	v_bcnt_u32_b32 v0, v3, v0
	s_waitcnt lgkmcnt(0)
	v_add_u32_e32 v0, v39, v0
	ds_write_b32 v63, v0 offset:64
.LBB2246_217:
	s_or_b64 exec, exec, s[0:1]
	s_waitcnt vmcnt(4)
	v_and_b32_e32 v0, 1, v41
	v_cmp_eq_u32_e32 vcc, 1, v0
	s_xor_b64 s[0:1], vcc, -1
	v_cndmask_b32_e64 v87, 0, 1, s[0:1]
	v_lshrrev_b32_e32 v0, s84, v87
	v_and_b32_e32 v0, s14, v0
	v_mad_u32_u24 v64, v0, s4, v44
	v_cmp_ne_u32_e32 vcc, 0, v0
	v_lshl_add_u64 v[0:1], v[0:1], 0, -1
	s_nop 0
	v_xor_b32_e32 v0, vcc_lo, v0
	; wave barrier
	ds_read_b32 v41, v64 offset:64
	v_xor_b32_e32 v1, vcc_hi, v1
	v_and_b32_e32 v0, exec_lo, v0
	v_and_b32_e32 v1, exec_hi, v1
	v_mbcnt_lo_u32_b32 v2, v0, 0
	v_mbcnt_hi_u32_b32 v43, v1, v2
	v_cmp_eq_u32_e32 vcc, 0, v43
	v_cmp_ne_u64_e64 s[0:1], 0, v[0:1]
	s_and_b64 s[4:5], s[0:1], vcc
	; wave barrier
	s_and_saveexec_b64 s[0:1], s[4:5]
	s_cbranch_execz .LBB2246_219
; %bb.218:
	v_bcnt_u32_b32 v0, v0, 0
	v_bcnt_u32_b32 v0, v1, v0
	s_waitcnt lgkmcnt(0)
	v_add_u32_e32 v0, v41, v0
	ds_write_b32 v64, v0 offset:64
.LBB2246_219:
	s_or_b64 exec, exec, s[0:1]
	s_waitcnt vmcnt(3)
	v_and_b32_e32 v0, 1, v45
	v_cmp_eq_u32_e32 vcc, 1, v0
	s_xor_b64 s[0:1], vcc, -1
	v_cndmask_b32_e64 v88, 0, 1, s[0:1]
	v_lshrrev_b32_e32 v0, s84, v88
	v_and_b32_e32 v0, s14, v0
	v_mov_b32_e32 v1, 0
	s_movk_i32 s4, 0x44
	v_cmp_ne_u32_e32 vcc, 0, v0
	v_lshl_add_u64 v[2:3], v[0:1], 0, -1
	v_mad_u32_u24 v65, v0, s4, v44
	v_xor_b32_e32 v2, vcc_lo, v2
	; wave barrier
	ds_read_b32 v45, v65 offset:64
	v_xor_b32_e32 v0, vcc_hi, v3
	v_and_b32_e32 v2, exec_lo, v2
	v_and_b32_e32 v3, exec_hi, v0
	v_mbcnt_lo_u32_b32 v0, v2, 0
	v_mbcnt_hi_u32_b32 v47, v3, v0
	v_cmp_eq_u32_e32 vcc, 0, v47
	v_cmp_ne_u64_e64 s[0:1], 0, v[2:3]
	s_and_b64 s[6:7], s[0:1], vcc
	; wave barrier
	s_and_saveexec_b64 s[0:1], s[6:7]
	s_cbranch_execz .LBB2246_221
; %bb.220:
	v_bcnt_u32_b32 v0, v2, 0
	v_bcnt_u32_b32 v0, v3, v0
	s_waitcnt lgkmcnt(0)
	v_add_u32_e32 v0, v45, v0
	ds_write_b32 v65, v0 offset:64
.LBB2246_221:
	s_or_b64 exec, exec, s[0:1]
	s_waitcnt vmcnt(2)
	v_and_b32_e32 v0, 1, v48
	v_cmp_eq_u32_e32 vcc, 1, v0
	s_xor_b64 s[0:1], vcc, -1
	v_cndmask_b32_e64 v89, 0, 1, s[0:1]
	v_lshrrev_b32_e32 v0, s84, v89
	v_and_b32_e32 v0, s14, v0
	v_mad_u32_u24 v66, v0, s4, v44
	v_cmp_ne_u32_e32 vcc, 0, v0
	v_lshl_add_u64 v[0:1], v[0:1], 0, -1
	s_nop 0
	v_xor_b32_e32 v0, vcc_lo, v0
	; wave barrier
	ds_read_b32 v48, v66 offset:64
	v_xor_b32_e32 v1, vcc_hi, v1
	v_and_b32_e32 v0, exec_lo, v0
	v_and_b32_e32 v1, exec_hi, v1
	v_mbcnt_lo_u32_b32 v2, v0, 0
	v_mbcnt_hi_u32_b32 v49, v1, v2
	v_cmp_eq_u32_e32 vcc, 0, v49
	v_cmp_ne_u64_e64 s[0:1], 0, v[0:1]
	s_and_b64 s[4:5], s[0:1], vcc
	; wave barrier
	s_and_saveexec_b64 s[0:1], s[4:5]
	s_cbranch_execz .LBB2246_223
; %bb.222:
	v_bcnt_u32_b32 v0, v0, 0
	v_bcnt_u32_b32 v0, v1, v0
	s_waitcnt lgkmcnt(0)
	v_add_u32_e32 v0, v48, v0
	ds_write_b32 v66, v0 offset:64
.LBB2246_223:
	s_or_b64 exec, exec, s[0:1]
	s_waitcnt vmcnt(1)
	v_and_b32_e32 v0, 1, v38
	v_cmp_eq_u32_e32 vcc, 1, v0
	s_xor_b64 s[0:1], vcc, -1
	v_cndmask_b32_e64 v90, 0, 1, s[0:1]
	v_lshrrev_b32_e32 v0, s84, v90
	v_and_b32_e32 v0, s14, v0
	v_mov_b32_e32 v1, 0
	s_movk_i32 s4, 0x44
	v_cmp_ne_u32_e32 vcc, 0, v0
	v_lshl_add_u64 v[2:3], v[0:1], 0, -1
	v_mad_u32_u24 v68, v0, s4, v44
	v_xor_b32_e32 v2, vcc_lo, v2
	; wave barrier
	ds_read_b32 v50, v68 offset:64
	v_xor_b32_e32 v0, vcc_hi, v3
	v_and_b32_e32 v2, exec_lo, v2
	v_and_b32_e32 v3, exec_hi, v0
	v_mbcnt_lo_u32_b32 v0, v2, 0
	v_mbcnt_hi_u32_b32 v51, v3, v0
	v_cmp_eq_u32_e32 vcc, 0, v51
	v_cmp_ne_u64_e64 s[0:1], 0, v[2:3]
	s_and_b64 s[6:7], s[0:1], vcc
	; wave barrier
	s_and_saveexec_b64 s[0:1], s[6:7]
	s_cbranch_execz .LBB2246_225
; %bb.224:
	v_bcnt_u32_b32 v0, v2, 0
	v_bcnt_u32_b32 v0, v3, v0
	s_waitcnt lgkmcnt(0)
	v_add_u32_e32 v0, v50, v0
	ds_write_b32 v68, v0 offset:64
.LBB2246_225:
	s_or_b64 exec, exec, s[0:1]
	s_waitcnt vmcnt(0)
	v_and_b32_e32 v0, 1, v15
	v_cmp_eq_u32_e32 vcc, 1, v0
	s_xor_b64 s[0:1], vcc, -1
	v_cndmask_b32_e64 v15, 0, 1, s[0:1]
	v_lshrrev_b32_e32 v0, s84, v15
	v_and_b32_e32 v0, s14, v0
	v_mad_u32_u24 v44, v0, s4, v44
	v_cmp_ne_u32_e32 vcc, 0, v0
	v_lshl_add_u64 v[0:1], v[0:1], 0, -1
	s_nop 0
	v_xor_b32_e32 v0, vcc_lo, v0
	; wave barrier
	ds_read_b32 v52, v44 offset:64
	v_xor_b32_e32 v1, vcc_hi, v1
	v_and_b32_e32 v0, exec_lo, v0
	v_and_b32_e32 v1, exec_hi, v1
	v_mbcnt_lo_u32_b32 v2, v0, 0
	v_mbcnt_hi_u32_b32 v53, v1, v2
	v_cmp_eq_u32_e32 vcc, 0, v53
	v_cmp_ne_u64_e64 s[0:1], 0, v[0:1]
	s_and_b64 s[4:5], s[0:1], vcc
	; wave barrier
	s_and_saveexec_b64 s[0:1], s[4:5]
	s_cbranch_execz .LBB2246_227
; %bb.226:
	v_bcnt_u32_b32 v0, v0, 0
	v_bcnt_u32_b32 v0, v1, v0
	s_waitcnt lgkmcnt(0)
	v_add_u32_e32 v0, v52, v0
	ds_write_b32 v44, v0 offset:64
.LBB2246_227:
	s_or_b64 exec, exec, s[0:1]
	; wave barrier
	s_waitcnt lgkmcnt(0)
	s_barrier
	ds_read2_b32 v[2:3], v8 offset0:16 offset1:17
	ds_read2_b32 v[0:1], v8 offset0:18 offset1:19
	ds_read_b32 v38, v8 offset:80
	v_cmp_lt_u32_e64 s[8:9], 31, v5
	s_waitcnt lgkmcnt(1)
	v_add3_u32 v54, v3, v2, v0
	s_waitcnt lgkmcnt(0)
	v_add3_u32 v38, v54, v1, v38
	v_and_b32_e32 v54, 15, v5
	v_cmp_eq_u32_e32 vcc, 0, v54
	v_mov_b32_dpp v55, v38 row_shr:1 row_mask:0xf bank_mask:0xf
	v_cmp_lt_u32_e64 s[0:1], 1, v54
	v_cndmask_b32_e64 v55, v55, 0, vcc
	v_add_u32_e32 v38, v55, v38
	v_cmp_lt_u32_e64 s[6:7], 3, v54
	v_cmp_lt_u32_e64 s[4:5], 7, v54
	v_mov_b32_dpp v55, v38 row_shr:2 row_mask:0xf bank_mask:0xf
	v_cndmask_b32_e64 v55, 0, v55, s[0:1]
	v_add_u32_e32 v38, v38, v55
	s_nop 1
	v_mov_b32_dpp v55, v38 row_shr:4 row_mask:0xf bank_mask:0xf
	v_cndmask_b32_e64 v55, 0, v55, s[6:7]
	v_add_u32_e32 v38, v38, v55
	s_nop 1
	v_mov_b32_dpp v55, v38 row_shr:8 row_mask:0xf bank_mask:0xf
	v_cndmask_b32_e64 v54, 0, v55, s[4:5]
	v_add_u32_e32 v38, v38, v54
	v_bfe_i32 v55, v5, 4, 1
	s_nop 0
	v_mov_b32_dpp v54, v38 row_bcast:15 row_mask:0xf bank_mask:0xf
	v_and_b32_e32 v54, v55, v54
	v_add_u32_e32 v38, v38, v54
	v_lshrrev_b32_e32 v55, 6, v16
	s_nop 0
	v_mov_b32_dpp v54, v38 row_bcast:31 row_mask:0xf bank_mask:0xf
	v_cndmask_b32_e64 v54, 0, v54, s[8:9]
	v_add_u32_e32 v54, v38, v54
	v_and_b32_e32 v38, 63, v16
	v_cmp_eq_u32_e64 s[8:9], 63, v38
	s_and_saveexec_b64 s[12:13], s[8:9]
; %bb.228:
	v_lshlrev_b32_e32 v38, 2, v55
	ds_write_b32 v38, v54
; %bb.229:
	s_or_b64 exec, exec, s[12:13]
	v_cmp_gt_u32_e64 s[8:9], 16, v16
	v_lshlrev_b32_e32 v38, 2, v16
	s_waitcnt lgkmcnt(0)
	s_barrier
	s_and_saveexec_b64 s[12:13], s[8:9]
	s_cbranch_execz .LBB2246_231
; %bb.230:
	ds_read_b32 v56, v38
	s_waitcnt lgkmcnt(0)
	s_nop 0
	v_mov_b32_dpp v57, v56 row_shr:1 row_mask:0xf bank_mask:0xf
	v_cndmask_b32_e64 v57, v57, 0, vcc
	v_add_u32_e32 v56, v57, v56
	s_nop 1
	v_mov_b32_dpp v57, v56 row_shr:2 row_mask:0xf bank_mask:0xf
	v_cndmask_b32_e64 v57, 0, v57, s[0:1]
	v_add_u32_e32 v56, v56, v57
	s_nop 1
	v_mov_b32_dpp v57, v56 row_shr:4 row_mask:0xf bank_mask:0xf
	v_cndmask_b32_e64 v57, 0, v57, s[6:7]
	;; [unrolled: 4-line block ×3, first 2 shown]
	v_add_u32_e32 v56, v56, v57
	ds_write_b32 v38, v56
.LBB2246_231:
	s_or_b64 exec, exec, s[12:13]
	v_cmp_lt_u32_e32 vcc, 63, v16
	v_mov_b32_e32 v56, 0
	s_waitcnt lgkmcnt(0)
	s_barrier
	s_and_saveexec_b64 s[0:1], vcc
; %bb.232:
	v_lshl_add_u32 v55, v55, 2, -4
	ds_read_b32 v56, v55
; %bb.233:
	s_or_b64 exec, exec, s[0:1]
	v_subrev_co_u32_e32 v55, vcc, 1, v5
	v_and_b32_e32 v57, 64, v5
	v_cmp_lt_i32_e64 s[0:1], v55, v57
	s_waitcnt lgkmcnt(0)
	v_add_u32_e32 v54, v56, v54
	s_movk_i32 s4, 0x100
	v_cndmask_b32_e64 v5, v55, v5, s[0:1]
	v_lshlrev_b32_e32 v5, 2, v5
	ds_bpermute_b32 v5, v5, v54
	s_movk_i32 s0, 0xff
	s_waitcnt lgkmcnt(0)
	v_cndmask_b32_e32 v5, v5, v56, vcc
	v_cmp_ne_u32_e32 vcc, 0, v16
	s_nop 1
	v_cndmask_b32_e32 v5, 0, v5, vcc
	v_add_u32_e32 v2, v5, v2
	v_add_u32_e32 v3, v2, v3
	;; [unrolled: 1-line block ×4, first 2 shown]
	ds_write2_b32 v8, v5, v2 offset0:16 offset1:17
	ds_write2_b32 v8, v3, v0 offset0:18 offset1:19
	ds_write_b32 v8, v1 offset:80
	s_waitcnt lgkmcnt(0)
	s_barrier
	ds_read_b32 v0, v10 offset:64
	ds_read_b32 v54, v11 offset:64
	;; [unrolled: 1-line block ×16, first 2 shown]
	v_cmp_lt_u32_e32 vcc, s0, v16
	v_cmp_gt_u32_e64 s[0:1], s4, v16
                                        ; implicit-def: $vgpr42
                                        ; implicit-def: $vgpr44
	s_and_saveexec_b64 s[6:7], s[0:1]
	s_cbranch_execz .LBB2246_237
; %bb.234:
	v_mul_u32_u24_e32 v1, 0x44, v16
	ds_read_b32 v42, v1 offset:64
	v_add_u32_e32 v2, 1, v16
	v_cmp_ne_u32_e64 s[4:5], s4, v2
	v_mov_b32_e32 v1, 0x4000
	s_and_saveexec_b64 s[8:9], s[4:5]
; %bb.235:
	v_mul_u32_u24_e32 v1, 0x44, v2
	ds_read_b32 v1, v1 offset:64
; %bb.236:
	s_or_b64 exec, exec, s[8:9]
	s_waitcnt lgkmcnt(0)
	v_sub_u32_e32 v44, v1, v42
.LBB2246_237:
	s_or_b64 exec, exec, s[6:7]
	s_waitcnt lgkmcnt(14)
	v_add_u32_e32 v46, v0, v6
	v_add3_u32 v66, v19, v17, v54
	s_waitcnt lgkmcnt(13)
	v_add3_u32 v68, v23, v22, v55
	s_waitcnt lgkmcnt(12)
	;; [unrolled: 2-line block ×7, first 2 shown]
	s_barrier
	ds_write_b8 v46, v4 offset:1024
	v_add3_u32 v76, v35, v34, v61
	ds_write_b8 v66, v7 offset:1024
	v_add3_u32 v77, v37, v36, v62
	;; [unrolled: 2-line block ×8, first 2 shown]
	v_mov_b32_e32 v1, 0
	ds_write_b8 v76, v84 offset:1024
	ds_write_b8 v77, v85 offset:1024
	;; [unrolled: 1-line block ×8, first 2 shown]
	s_and_saveexec_b64 s[4:5], s[0:1]
	s_cbranch_execz .LBB2246_247
; %bb.238:
	v_lshl_add_u32 v0, s2, 8, v16
	v_lshl_add_u64 v[2:3], v[0:1], 2, s[70:71]
	v_or_b32_e32 v0, 2.0, v44
	s_mov_b64 s[6:7], 0
	s_brev_b32 s15, -4
	s_mov_b32 s16, s2
	v_mov_b32_e32 v6, 0
	global_store_dword v[2:3], v0, off sc1
                                        ; implicit-def: $sgpr0_sgpr1
	s_branch .LBB2246_241
.LBB2246_239:                           ;   in Loop: Header=BB2246_241 Depth=1
	s_or_b64 exec, exec, s[12:13]
.LBB2246_240:                           ;   in Loop: Header=BB2246_241 Depth=1
	s_or_b64 exec, exec, s[8:9]
	v_and_b32_e32 v4, 0x3fffffff, v0
	v_add_u32_e32 v6, v4, v6
	v_cmp_gt_i32_e64 s[0:1], -2.0, v0
	s_and_b64 s[8:9], exec, s[0:1]
	s_or_b64 s[6:7], s[8:9], s[6:7]
	s_andn2_b64 exec, exec, s[6:7]
	s_cbranch_execz .LBB2246_246
.LBB2246_241:                           ; =>This Loop Header: Depth=1
                                        ;     Child Loop BB2246_244 Depth 2
	s_or_b64 s[0:1], s[0:1], exec
	s_cmp_eq_u32 s16, 0
	s_cbranch_scc1 .LBB2246_245
; %bb.242:                              ;   in Loop: Header=BB2246_241 Depth=1
	s_add_i32 s16, s16, -1
	v_lshl_or_b32 v0, s16, 8, v16
	v_lshl_add_u64 v[4:5], v[0:1], 2, s[70:71]
	global_load_dword v0, v[4:5], off sc1
	s_waitcnt vmcnt(0)
	v_cmp_gt_u32_e64 s[0:1], 2.0, v0
	s_and_saveexec_b64 s[8:9], s[0:1]
	s_cbranch_execz .LBB2246_240
; %bb.243:                              ;   in Loop: Header=BB2246_241 Depth=1
	s_mov_b64 s[12:13], 0
.LBB2246_244:                           ;   Parent Loop BB2246_241 Depth=1
                                        ; =>  This Inner Loop Header: Depth=2
	global_load_dword v0, v[4:5], off sc1
	s_waitcnt vmcnt(0)
	v_cmp_lt_u32_e64 s[0:1], s15, v0
	s_or_b64 s[12:13], s[0:1], s[12:13]
	s_andn2_b64 exec, exec, s[12:13]
	s_cbranch_execnz .LBB2246_244
	s_branch .LBB2246_239
.LBB2246_245:                           ;   in Loop: Header=BB2246_241 Depth=1
                                        ; implicit-def: $sgpr16
	s_and_b64 s[8:9], exec, s[0:1]
	s_or_b64 s[6:7], s[8:9], s[6:7]
	s_andn2_b64 exec, exec, s[6:7]
	s_cbranch_execnz .LBB2246_241
.LBB2246_246:
	s_or_b64 exec, exec, s[6:7]
	v_add_u32_e32 v0, v6, v44
	v_or_b32_e32 v0, 0x80000000, v0
	global_store_dword v[2:3], v0, off sc1
	global_load_dword v0, v38, s[80:81]
	v_sub_u32_e32 v1, v6, v42
	s_waitcnt vmcnt(0)
	v_add_u32_e32 v0, v1, v0
	ds_write_b32 v38, v0
.LBB2246_247:
	s_or_b64 exec, exec, s[4:5]
	s_waitcnt lgkmcnt(0)
	s_barrier
	ds_read_u8 v1, v16 offset:1024
	ds_read_u8 v8, v16 offset:2048
	;; [unrolled: 1-line block ×8, first 2 shown]
	s_waitcnt lgkmcnt(7)
	v_and_b32_e32 v0, 1, v1
	v_xor_b32_e32 v15, 1, v1
	s_waitcnt lgkmcnt(6)
	v_and_b32_e32 v1, 1, v8
	s_waitcnt lgkmcnt(5)
	v_and_b32_e32 v2, 1, v9
	;; [unrolled: 2-line block ×7, first 2 shown]
	v_lshrrev_b32_e32 v0, s84, v0
	v_lshrrev_b32_e32 v1, s84, v1
	;; [unrolled: 1-line block ×8, first 2 shown]
	v_and_b32_e32 v0, s14, v0
	v_and_b32_e32 v1, s14, v1
	;; [unrolled: 1-line block ×8, first 2 shown]
	v_lshlrev_b32_e32 v21, 2, v0
	v_lshlrev_b32_e32 v84, 2, v1
	;; [unrolled: 1-line block ×8, first 2 shown]
	ds_read_b32 v21, v21
	ds_read_b32 v84, v84
	;; [unrolled: 1-line block ×8, first 2 shown]
	s_waitcnt lgkmcnt(7)
	v_add_u32_e32 v21, v21, v16
	s_movk_i32 s6, 0x400
	global_store_byte v21, v15, s[74:75]
	v_xor_b32_e32 v8, 1, v8
	s_waitcnt lgkmcnt(6)
	v_add3_u32 v15, v84, v16, s6
	s_movk_i32 s7, 0x800
	global_store_byte v15, v8, s[74:75]
	v_xor_b32_e32 v8, 1, v9
	s_waitcnt lgkmcnt(5)
	v_add3_u32 v9, v85, v16, s7
	s_movk_i32 s8, 0xc00
	global_store_byte v9, v8, s[74:75]
	v_xor_b32_e32 v8, 1, v10
	s_waitcnt lgkmcnt(4)
	v_add3_u32 v9, v86, v16, s8
	s_movk_i32 s9, 0x1000
	global_store_byte v9, v8, s[74:75]
	v_xor_b32_e32 v8, 1, v11
	s_waitcnt lgkmcnt(3)
	v_add3_u32 v9, v87, v16, s9
	s_movk_i32 s0, 0x1400
	global_store_byte v9, v8, s[74:75]
	v_xor_b32_e32 v8, 1, v12
	s_waitcnt lgkmcnt(2)
	v_add3_u32 v9, v88, v16, s0
	s_movk_i32 s0, 0x1800
	global_store_byte v9, v8, s[74:75]
	v_xor_b32_e32 v8, 1, v13
	s_waitcnt lgkmcnt(1)
	v_add3_u32 v9, v89, v16, s0
	s_movk_i32 s0, 0x1c00
	global_store_byte v9, v8, s[74:75]
	v_xor_b32_e32 v8, 1, v14
	s_waitcnt lgkmcnt(0)
	v_add3_u32 v9, v90, v16, s0
	global_store_byte v9, v8, s[74:75]
	ds_read_u8 v9, v16 offset:9216
	ds_read_u8 v21, v16 offset:10240
	ds_read_u8 v84, v16 offset:11264
	ds_read_u8 v85, v16 offset:12288
	ds_read_u8 v86, v16 offset:13312
	ds_read_u8 v87, v16 offset:14336
	ds_read_u8 v88, v16 offset:15360
	ds_read_u8 v89, v16 offset:16384
	s_waitcnt lgkmcnt(7)
	v_and_b32_e32 v8, 1, v9
	v_xor_b32_e32 v90, 1, v9
	s_waitcnt lgkmcnt(6)
	v_and_b32_e32 v9, 1, v21
	s_waitcnt lgkmcnt(5)
	v_and_b32_e32 v10, 1, v84
	;; [unrolled: 2-line block ×7, first 2 shown]
	v_lshrrev_b32_e32 v8, s84, v8
	v_lshrrev_b32_e32 v9, s84, v9
	;; [unrolled: 1-line block ×8, first 2 shown]
	v_and_b32_e32 v8, s14, v8
	v_and_b32_e32 v9, s14, v9
	;; [unrolled: 1-line block ×8, first 2 shown]
	v_lshlrev_b32_e32 v91, 2, v8
	v_lshlrev_b32_e32 v92, 2, v9
	;; [unrolled: 1-line block ×8, first 2 shown]
	s_movk_i32 s0, 0x2000
	ds_read_b32 v91, v91
	ds_read_b32 v92, v92
	;; [unrolled: 1-line block ×8, first 2 shown]
	s_waitcnt lgkmcnt(7)
	v_add3_u32 v91, v91, v16, s0
	s_movk_i32 s0, 0x2400
	global_store_byte v91, v90, s[74:75]
	v_xor_b32_e32 v21, 1, v21
	s_waitcnt lgkmcnt(6)
	v_add3_u32 v90, v92, v16, s0
	s_movk_i32 s0, 0x2800
	global_store_byte v90, v21, s[74:75]
	v_xor_b32_e32 v21, 1, v84
	;; [unrolled: 5-line block ×6, first 2 shown]
	s_waitcnt lgkmcnt(1)
	v_add3_u32 v84, v97, v16, s0
	s_movk_i32 s0, 0x3c00
	global_store_byte v84, v21, s[74:75]
	s_waitcnt lgkmcnt(0)
	v_add3_u32 v84, v98, v16, s0
	s_lshl_b64 s[0:1], s[10:11], 2
	v_xor_b32_e32 v21, 1, v89
	s_add_u32 s0, s76, s0
	global_store_byte v84, v21, s[74:75]
	s_addc_u32 s1, s77, s1
	v_lshlrev_b32_e32 v20, 2, v20
	v_mov_b32_e32 v21, 0
	v_lshl_add_u64 v[84:85], s[0:1], 0, v[20:21]
	v_lshlrev_b32_e32 v20, 2, v18
	v_lshl_add_u64 v[98:99], v[84:85], 0, v[20:21]
	global_load_dword v18, v[98:99], off
	global_load_dword v84, v[98:99], off offset:256
	global_load_dword v85, v[98:99], off offset:512
	;; [unrolled: 1-line block ×14, first 2 shown]
	s_nop 0
	global_load_dword v98, v[98:99], off offset:3840
	v_mul_u32_u24_e32 v20, 3, v16
	v_mov_b32_e32 v99, 0x400
	scratch_store_dwordx4 off, v[0:3], off
	scratch_store_dwordx4 off, v[4:7], off offset:16
	scratch_store_dwordx4 off, v[8:11], off offset:32
	;; [unrolled: 1-line block ×3, first 2 shown]
	v_lshl_add_u32 v0, v83, 2, v99
	v_add3_u32 v1, v53, v73, v52
	v_lshl_add_u32 v2, v82, 2, v99
	v_add3_u32 v3, v51, v70, v50
	;; [unrolled: 2-line block ×15, first 2 shown]
	v_lshl_add_u32 v19, v46, 2, v99
	s_mov_b32 s10, 0
	s_mov_b32 s11, 0
	v_add_u32_e32 v35, v16, v20
	s_mov_b32 s12, 0
	s_barrier
	s_branch .LBB2246_249
.LBB2246_248:                           ;   in Loop: Header=BB2246_249 Depth=1
	s_or_b64 exec, exec, s[4:5]
	s_waitcnt lgkmcnt(0)
	s_barrier
	scratch_load_dwordx4 v[48:51], off, s10
	ds_read2st64_b32 v[36:37], v35 offset0:4 offset1:20
	ds_read2st64_b32 v[40:41], v35 offset0:36 offset1:52
	s_addk_i32 s12, 0xc000
	s_addk_i32 s11, 0xf000
	s_add_i32 s10, s10, 16
	s_cmp_eq_u32 s12, 0xffff0000
	s_waitcnt vmcnt(0)
	v_lshlrev_b32_e32 v20, 2, v48
	ds_read_b32 v20, v20
	v_lshlrev_b32_e32 v39, 2, v49
	v_lshlrev_b32_e32 v43, 2, v50
	;; [unrolled: 1-line block ×3, first 2 shown]
	ds_read_b32 v39, v39
	ds_read_b32 v43, v43
	;; [unrolled: 1-line block ×3, first 2 shown]
	s_waitcnt lgkmcnt(3)
	v_add_u32_e32 v20, v16, v20
	v_lshl_add_u64 v[48:49], v[20:21], 2, s[78:79]
	s_waitcnt lgkmcnt(2)
	v_add3_u32 v20, v16, v39, s6
	global_store_dword v[48:49], v36, off
	v_lshl_add_u64 v[48:49], v[20:21], 2, s[78:79]
	s_waitcnt lgkmcnt(1)
	v_add3_u32 v20, v16, v43, s7
	global_store_dword v[48:49], v37, off
	;; [unrolled: 4-line block ×3, first 2 shown]
	v_lshl_add_u64 v[36:37], v[20:21], 2, s[78:79]
	v_add_u32_e32 v16, 0x1000, v16
	global_store_dword v[36:37], v41, off
	s_barrier
	s_cbranch_scc1 .LBB2246_281
.LBB2246_249:                           ; =>This Inner Loop Header: Depth=1
	v_add_u32_e32 v20, s11, v46
	v_cmp_gt_u32_e64 s[0:1], s9, v20
	s_and_saveexec_b64 s[4:5], s[0:1]
	s_cbranch_execz .LBB2246_251
; %bb.250:                              ;   in Loop: Header=BB2246_249 Depth=1
	v_add_u32_e32 v20, s12, v19
	s_waitcnt vmcnt(19)
	ds_write_b32 v20, v18
.LBB2246_251:                           ;   in Loop: Header=BB2246_249 Depth=1
	s_or_b64 exec, exec, s[4:5]
	v_add_u32_e32 v20, s11, v17
	v_cmp_gt_u32_e64 s[0:1], s9, v20
	s_and_saveexec_b64 s[4:5], s[0:1]
	s_cbranch_execz .LBB2246_253
; %bb.252:                              ;   in Loop: Header=BB2246_249 Depth=1
	v_add_u32_e32 v20, s12, v23
	s_waitcnt vmcnt(18)
	ds_write_b32 v20, v84
.LBB2246_253:                           ;   in Loop: Header=BB2246_249 Depth=1
	s_or_b64 exec, exec, s[4:5]
	;; [unrolled: 10-line block ×15, first 2 shown]
	v_add_u32_e32 v20, s11, v1
	v_cmp_gt_u32_e64 s[0:1], s9, v20
	s_and_saveexec_b64 s[4:5], s[0:1]
	s_cbranch_execz .LBB2246_248
; %bb.280:                              ;   in Loop: Header=BB2246_249 Depth=1
	v_add_u32_e32 v20, s12, v0
	s_waitcnt vmcnt(4)
	ds_write_b32 v20, v98
	s_branch .LBB2246_248
.LBB2246_281:
	s_add_i32 s3, s3, -1
	s_cmp_eq_u32 s2, s3
	s_cselect_b64 s[0:1], -1, 0
	s_xor_b64 s[2:3], vcc, -1
	s_and_b64 s[0:1], s[2:3], s[0:1]
	s_and_saveexec_b64 s[2:3], s[0:1]
	s_cbranch_execz .LBB2246_283
; %bb.282:
	ds_read_b32 v0, v38
	s_waitcnt lgkmcnt(0)
	v_add3_u32 v0, v42, v44, v0
	global_store_dword v38, v0, s[82:83]
.LBB2246_283:
	s_endpgm
	.section	.rodata,"a",@progbits
	.p2align	6, 0x0
	.amdhsa_kernel _ZN7rocprim17ROCPRIM_400000_NS6detail17trampoline_kernelINS0_14default_configENS1_35radix_sort_onesweep_config_selectorIbiEEZZNS1_29radix_sort_onesweep_iterationIS3_Lb1EN6thrust23THRUST_200600_302600_NS6detail15normal_iteratorINS8_10device_ptrIbEEEESD_NSA_INSB_IiEEEESF_jNS0_19identity_decomposerENS1_16block_id_wrapperIjLb0EEEEE10hipError_tT1_PNSt15iterator_traitsISK_E10value_typeET2_T3_PNSL_ISQ_E10value_typeET4_T5_PSV_SW_PNS1_23onesweep_lookback_stateEbbT6_jjT7_P12ihipStream_tbENKUlT_T0_SK_SP_E_clISD_SD_SF_SF_EEDaS13_S14_SK_SP_EUlS13_E_NS1_11comp_targetILNS1_3genE6ELNS1_11target_archE950ELNS1_3gpuE13ELNS1_3repE0EEENS1_47radix_sort_onesweep_sort_config_static_selectorELNS0_4arch9wavefront6targetE1EEEvSK_
		.amdhsa_group_segment_fixed_size 20552
		.amdhsa_private_segment_fixed_size 80
		.amdhsa_kernarg_size 344
		.amdhsa_user_sgpr_count 2
		.amdhsa_user_sgpr_dispatch_ptr 0
		.amdhsa_user_sgpr_queue_ptr 0
		.amdhsa_user_sgpr_kernarg_segment_ptr 1
		.amdhsa_user_sgpr_dispatch_id 0
		.amdhsa_user_sgpr_kernarg_preload_length 0
		.amdhsa_user_sgpr_kernarg_preload_offset 0
		.amdhsa_user_sgpr_private_segment_size 0
		.amdhsa_uses_dynamic_stack 0
		.amdhsa_enable_private_segment 1
		.amdhsa_system_sgpr_workgroup_id_x 1
		.amdhsa_system_sgpr_workgroup_id_y 0
		.amdhsa_system_sgpr_workgroup_id_z 0
		.amdhsa_system_sgpr_workgroup_info 0
		.amdhsa_system_vgpr_workitem_id 2
		.amdhsa_next_free_vgpr 100
		.amdhsa_next_free_sgpr 92
		.amdhsa_accum_offset 100
		.amdhsa_reserve_vcc 1
		.amdhsa_float_round_mode_32 0
		.amdhsa_float_round_mode_16_64 0
		.amdhsa_float_denorm_mode_32 3
		.amdhsa_float_denorm_mode_16_64 3
		.amdhsa_dx10_clamp 1
		.amdhsa_ieee_mode 1
		.amdhsa_fp16_overflow 0
		.amdhsa_tg_split 0
		.amdhsa_exception_fp_ieee_invalid_op 0
		.amdhsa_exception_fp_denorm_src 0
		.amdhsa_exception_fp_ieee_div_zero 0
		.amdhsa_exception_fp_ieee_overflow 0
		.amdhsa_exception_fp_ieee_underflow 0
		.amdhsa_exception_fp_ieee_inexact 0
		.amdhsa_exception_int_div_zero 0
	.end_amdhsa_kernel
	.section	.text._ZN7rocprim17ROCPRIM_400000_NS6detail17trampoline_kernelINS0_14default_configENS1_35radix_sort_onesweep_config_selectorIbiEEZZNS1_29radix_sort_onesweep_iterationIS3_Lb1EN6thrust23THRUST_200600_302600_NS6detail15normal_iteratorINS8_10device_ptrIbEEEESD_NSA_INSB_IiEEEESF_jNS0_19identity_decomposerENS1_16block_id_wrapperIjLb0EEEEE10hipError_tT1_PNSt15iterator_traitsISK_E10value_typeET2_T3_PNSL_ISQ_E10value_typeET4_T5_PSV_SW_PNS1_23onesweep_lookback_stateEbbT6_jjT7_P12ihipStream_tbENKUlT_T0_SK_SP_E_clISD_SD_SF_SF_EEDaS13_S14_SK_SP_EUlS13_E_NS1_11comp_targetILNS1_3genE6ELNS1_11target_archE950ELNS1_3gpuE13ELNS1_3repE0EEENS1_47radix_sort_onesweep_sort_config_static_selectorELNS0_4arch9wavefront6targetE1EEEvSK_,"axG",@progbits,_ZN7rocprim17ROCPRIM_400000_NS6detail17trampoline_kernelINS0_14default_configENS1_35radix_sort_onesweep_config_selectorIbiEEZZNS1_29radix_sort_onesweep_iterationIS3_Lb1EN6thrust23THRUST_200600_302600_NS6detail15normal_iteratorINS8_10device_ptrIbEEEESD_NSA_INSB_IiEEEESF_jNS0_19identity_decomposerENS1_16block_id_wrapperIjLb0EEEEE10hipError_tT1_PNSt15iterator_traitsISK_E10value_typeET2_T3_PNSL_ISQ_E10value_typeET4_T5_PSV_SW_PNS1_23onesweep_lookback_stateEbbT6_jjT7_P12ihipStream_tbENKUlT_T0_SK_SP_E_clISD_SD_SF_SF_EEDaS13_S14_SK_SP_EUlS13_E_NS1_11comp_targetILNS1_3genE6ELNS1_11target_archE950ELNS1_3gpuE13ELNS1_3repE0EEENS1_47radix_sort_onesweep_sort_config_static_selectorELNS0_4arch9wavefront6targetE1EEEvSK_,comdat
.Lfunc_end2246:
	.size	_ZN7rocprim17ROCPRIM_400000_NS6detail17trampoline_kernelINS0_14default_configENS1_35radix_sort_onesweep_config_selectorIbiEEZZNS1_29radix_sort_onesweep_iterationIS3_Lb1EN6thrust23THRUST_200600_302600_NS6detail15normal_iteratorINS8_10device_ptrIbEEEESD_NSA_INSB_IiEEEESF_jNS0_19identity_decomposerENS1_16block_id_wrapperIjLb0EEEEE10hipError_tT1_PNSt15iterator_traitsISK_E10value_typeET2_T3_PNSL_ISQ_E10value_typeET4_T5_PSV_SW_PNS1_23onesweep_lookback_stateEbbT6_jjT7_P12ihipStream_tbENKUlT_T0_SK_SP_E_clISD_SD_SF_SF_EEDaS13_S14_SK_SP_EUlS13_E_NS1_11comp_targetILNS1_3genE6ELNS1_11target_archE950ELNS1_3gpuE13ELNS1_3repE0EEENS1_47radix_sort_onesweep_sort_config_static_selectorELNS0_4arch9wavefront6targetE1EEEvSK_, .Lfunc_end2246-_ZN7rocprim17ROCPRIM_400000_NS6detail17trampoline_kernelINS0_14default_configENS1_35radix_sort_onesweep_config_selectorIbiEEZZNS1_29radix_sort_onesweep_iterationIS3_Lb1EN6thrust23THRUST_200600_302600_NS6detail15normal_iteratorINS8_10device_ptrIbEEEESD_NSA_INSB_IiEEEESF_jNS0_19identity_decomposerENS1_16block_id_wrapperIjLb0EEEEE10hipError_tT1_PNSt15iterator_traitsISK_E10value_typeET2_T3_PNSL_ISQ_E10value_typeET4_T5_PSV_SW_PNS1_23onesweep_lookback_stateEbbT6_jjT7_P12ihipStream_tbENKUlT_T0_SK_SP_E_clISD_SD_SF_SF_EEDaS13_S14_SK_SP_EUlS13_E_NS1_11comp_targetILNS1_3genE6ELNS1_11target_archE950ELNS1_3gpuE13ELNS1_3repE0EEENS1_47radix_sort_onesweep_sort_config_static_selectorELNS0_4arch9wavefront6targetE1EEEvSK_
                                        ; -- End function
	.set _ZN7rocprim17ROCPRIM_400000_NS6detail17trampoline_kernelINS0_14default_configENS1_35radix_sort_onesweep_config_selectorIbiEEZZNS1_29radix_sort_onesweep_iterationIS3_Lb1EN6thrust23THRUST_200600_302600_NS6detail15normal_iteratorINS8_10device_ptrIbEEEESD_NSA_INSB_IiEEEESF_jNS0_19identity_decomposerENS1_16block_id_wrapperIjLb0EEEEE10hipError_tT1_PNSt15iterator_traitsISK_E10value_typeET2_T3_PNSL_ISQ_E10value_typeET4_T5_PSV_SW_PNS1_23onesweep_lookback_stateEbbT6_jjT7_P12ihipStream_tbENKUlT_T0_SK_SP_E_clISD_SD_SF_SF_EEDaS13_S14_SK_SP_EUlS13_E_NS1_11comp_targetILNS1_3genE6ELNS1_11target_archE950ELNS1_3gpuE13ELNS1_3repE0EEENS1_47radix_sort_onesweep_sort_config_static_selectorELNS0_4arch9wavefront6targetE1EEEvSK_.num_vgpr, 100
	.set _ZN7rocprim17ROCPRIM_400000_NS6detail17trampoline_kernelINS0_14default_configENS1_35radix_sort_onesweep_config_selectorIbiEEZZNS1_29radix_sort_onesweep_iterationIS3_Lb1EN6thrust23THRUST_200600_302600_NS6detail15normal_iteratorINS8_10device_ptrIbEEEESD_NSA_INSB_IiEEEESF_jNS0_19identity_decomposerENS1_16block_id_wrapperIjLb0EEEEE10hipError_tT1_PNSt15iterator_traitsISK_E10value_typeET2_T3_PNSL_ISQ_E10value_typeET4_T5_PSV_SW_PNS1_23onesweep_lookback_stateEbbT6_jjT7_P12ihipStream_tbENKUlT_T0_SK_SP_E_clISD_SD_SF_SF_EEDaS13_S14_SK_SP_EUlS13_E_NS1_11comp_targetILNS1_3genE6ELNS1_11target_archE950ELNS1_3gpuE13ELNS1_3repE0EEENS1_47radix_sort_onesweep_sort_config_static_selectorELNS0_4arch9wavefront6targetE1EEEvSK_.num_agpr, 0
	.set _ZN7rocprim17ROCPRIM_400000_NS6detail17trampoline_kernelINS0_14default_configENS1_35radix_sort_onesweep_config_selectorIbiEEZZNS1_29radix_sort_onesweep_iterationIS3_Lb1EN6thrust23THRUST_200600_302600_NS6detail15normal_iteratorINS8_10device_ptrIbEEEESD_NSA_INSB_IiEEEESF_jNS0_19identity_decomposerENS1_16block_id_wrapperIjLb0EEEEE10hipError_tT1_PNSt15iterator_traitsISK_E10value_typeET2_T3_PNSL_ISQ_E10value_typeET4_T5_PSV_SW_PNS1_23onesweep_lookback_stateEbbT6_jjT7_P12ihipStream_tbENKUlT_T0_SK_SP_E_clISD_SD_SF_SF_EEDaS13_S14_SK_SP_EUlS13_E_NS1_11comp_targetILNS1_3genE6ELNS1_11target_archE950ELNS1_3gpuE13ELNS1_3repE0EEENS1_47radix_sort_onesweep_sort_config_static_selectorELNS0_4arch9wavefront6targetE1EEEvSK_.numbered_sgpr, 92
	.set _ZN7rocprim17ROCPRIM_400000_NS6detail17trampoline_kernelINS0_14default_configENS1_35radix_sort_onesweep_config_selectorIbiEEZZNS1_29radix_sort_onesweep_iterationIS3_Lb1EN6thrust23THRUST_200600_302600_NS6detail15normal_iteratorINS8_10device_ptrIbEEEESD_NSA_INSB_IiEEEESF_jNS0_19identity_decomposerENS1_16block_id_wrapperIjLb0EEEEE10hipError_tT1_PNSt15iterator_traitsISK_E10value_typeET2_T3_PNSL_ISQ_E10value_typeET4_T5_PSV_SW_PNS1_23onesweep_lookback_stateEbbT6_jjT7_P12ihipStream_tbENKUlT_T0_SK_SP_E_clISD_SD_SF_SF_EEDaS13_S14_SK_SP_EUlS13_E_NS1_11comp_targetILNS1_3genE6ELNS1_11target_archE950ELNS1_3gpuE13ELNS1_3repE0EEENS1_47radix_sort_onesweep_sort_config_static_selectorELNS0_4arch9wavefront6targetE1EEEvSK_.num_named_barrier, 0
	.set _ZN7rocprim17ROCPRIM_400000_NS6detail17trampoline_kernelINS0_14default_configENS1_35radix_sort_onesweep_config_selectorIbiEEZZNS1_29radix_sort_onesweep_iterationIS3_Lb1EN6thrust23THRUST_200600_302600_NS6detail15normal_iteratorINS8_10device_ptrIbEEEESD_NSA_INSB_IiEEEESF_jNS0_19identity_decomposerENS1_16block_id_wrapperIjLb0EEEEE10hipError_tT1_PNSt15iterator_traitsISK_E10value_typeET2_T3_PNSL_ISQ_E10value_typeET4_T5_PSV_SW_PNS1_23onesweep_lookback_stateEbbT6_jjT7_P12ihipStream_tbENKUlT_T0_SK_SP_E_clISD_SD_SF_SF_EEDaS13_S14_SK_SP_EUlS13_E_NS1_11comp_targetILNS1_3genE6ELNS1_11target_archE950ELNS1_3gpuE13ELNS1_3repE0EEENS1_47radix_sort_onesweep_sort_config_static_selectorELNS0_4arch9wavefront6targetE1EEEvSK_.private_seg_size, 80
	.set _ZN7rocprim17ROCPRIM_400000_NS6detail17trampoline_kernelINS0_14default_configENS1_35radix_sort_onesweep_config_selectorIbiEEZZNS1_29radix_sort_onesweep_iterationIS3_Lb1EN6thrust23THRUST_200600_302600_NS6detail15normal_iteratorINS8_10device_ptrIbEEEESD_NSA_INSB_IiEEEESF_jNS0_19identity_decomposerENS1_16block_id_wrapperIjLb0EEEEE10hipError_tT1_PNSt15iterator_traitsISK_E10value_typeET2_T3_PNSL_ISQ_E10value_typeET4_T5_PSV_SW_PNS1_23onesweep_lookback_stateEbbT6_jjT7_P12ihipStream_tbENKUlT_T0_SK_SP_E_clISD_SD_SF_SF_EEDaS13_S14_SK_SP_EUlS13_E_NS1_11comp_targetILNS1_3genE6ELNS1_11target_archE950ELNS1_3gpuE13ELNS1_3repE0EEENS1_47radix_sort_onesweep_sort_config_static_selectorELNS0_4arch9wavefront6targetE1EEEvSK_.uses_vcc, 1
	.set _ZN7rocprim17ROCPRIM_400000_NS6detail17trampoline_kernelINS0_14default_configENS1_35radix_sort_onesweep_config_selectorIbiEEZZNS1_29radix_sort_onesweep_iterationIS3_Lb1EN6thrust23THRUST_200600_302600_NS6detail15normal_iteratorINS8_10device_ptrIbEEEESD_NSA_INSB_IiEEEESF_jNS0_19identity_decomposerENS1_16block_id_wrapperIjLb0EEEEE10hipError_tT1_PNSt15iterator_traitsISK_E10value_typeET2_T3_PNSL_ISQ_E10value_typeET4_T5_PSV_SW_PNS1_23onesweep_lookback_stateEbbT6_jjT7_P12ihipStream_tbENKUlT_T0_SK_SP_E_clISD_SD_SF_SF_EEDaS13_S14_SK_SP_EUlS13_E_NS1_11comp_targetILNS1_3genE6ELNS1_11target_archE950ELNS1_3gpuE13ELNS1_3repE0EEENS1_47radix_sort_onesweep_sort_config_static_selectorELNS0_4arch9wavefront6targetE1EEEvSK_.uses_flat_scratch, 0
	.set _ZN7rocprim17ROCPRIM_400000_NS6detail17trampoline_kernelINS0_14default_configENS1_35radix_sort_onesweep_config_selectorIbiEEZZNS1_29radix_sort_onesweep_iterationIS3_Lb1EN6thrust23THRUST_200600_302600_NS6detail15normal_iteratorINS8_10device_ptrIbEEEESD_NSA_INSB_IiEEEESF_jNS0_19identity_decomposerENS1_16block_id_wrapperIjLb0EEEEE10hipError_tT1_PNSt15iterator_traitsISK_E10value_typeET2_T3_PNSL_ISQ_E10value_typeET4_T5_PSV_SW_PNS1_23onesweep_lookback_stateEbbT6_jjT7_P12ihipStream_tbENKUlT_T0_SK_SP_E_clISD_SD_SF_SF_EEDaS13_S14_SK_SP_EUlS13_E_NS1_11comp_targetILNS1_3genE6ELNS1_11target_archE950ELNS1_3gpuE13ELNS1_3repE0EEENS1_47radix_sort_onesweep_sort_config_static_selectorELNS0_4arch9wavefront6targetE1EEEvSK_.has_dyn_sized_stack, 0
	.set _ZN7rocprim17ROCPRIM_400000_NS6detail17trampoline_kernelINS0_14default_configENS1_35radix_sort_onesweep_config_selectorIbiEEZZNS1_29radix_sort_onesweep_iterationIS3_Lb1EN6thrust23THRUST_200600_302600_NS6detail15normal_iteratorINS8_10device_ptrIbEEEESD_NSA_INSB_IiEEEESF_jNS0_19identity_decomposerENS1_16block_id_wrapperIjLb0EEEEE10hipError_tT1_PNSt15iterator_traitsISK_E10value_typeET2_T3_PNSL_ISQ_E10value_typeET4_T5_PSV_SW_PNS1_23onesweep_lookback_stateEbbT6_jjT7_P12ihipStream_tbENKUlT_T0_SK_SP_E_clISD_SD_SF_SF_EEDaS13_S14_SK_SP_EUlS13_E_NS1_11comp_targetILNS1_3genE6ELNS1_11target_archE950ELNS1_3gpuE13ELNS1_3repE0EEENS1_47radix_sort_onesweep_sort_config_static_selectorELNS0_4arch9wavefront6targetE1EEEvSK_.has_recursion, 0
	.set _ZN7rocprim17ROCPRIM_400000_NS6detail17trampoline_kernelINS0_14default_configENS1_35radix_sort_onesweep_config_selectorIbiEEZZNS1_29radix_sort_onesweep_iterationIS3_Lb1EN6thrust23THRUST_200600_302600_NS6detail15normal_iteratorINS8_10device_ptrIbEEEESD_NSA_INSB_IiEEEESF_jNS0_19identity_decomposerENS1_16block_id_wrapperIjLb0EEEEE10hipError_tT1_PNSt15iterator_traitsISK_E10value_typeET2_T3_PNSL_ISQ_E10value_typeET4_T5_PSV_SW_PNS1_23onesweep_lookback_stateEbbT6_jjT7_P12ihipStream_tbENKUlT_T0_SK_SP_E_clISD_SD_SF_SF_EEDaS13_S14_SK_SP_EUlS13_E_NS1_11comp_targetILNS1_3genE6ELNS1_11target_archE950ELNS1_3gpuE13ELNS1_3repE0EEENS1_47radix_sort_onesweep_sort_config_static_selectorELNS0_4arch9wavefront6targetE1EEEvSK_.has_indirect_call, 0
	.section	.AMDGPU.csdata,"",@progbits
; Kernel info:
; codeLenInByte = 15232
; TotalNumSgprs: 98
; NumVgprs: 100
; NumAgprs: 0
; TotalNumVgprs: 100
; ScratchSize: 80
; MemoryBound: 0
; FloatMode: 240
; IeeeMode: 1
; LDSByteSize: 20552 bytes/workgroup (compile time only)
; SGPRBlocks: 12
; VGPRBlocks: 12
; NumSGPRsForWavesPerEU: 98
; NumVGPRsForWavesPerEU: 100
; AccumOffset: 100
; Occupancy: 4
; WaveLimiterHint : 1
; COMPUTE_PGM_RSRC2:SCRATCH_EN: 1
; COMPUTE_PGM_RSRC2:USER_SGPR: 2
; COMPUTE_PGM_RSRC2:TRAP_HANDLER: 0
; COMPUTE_PGM_RSRC2:TGID_X_EN: 1
; COMPUTE_PGM_RSRC2:TGID_Y_EN: 0
; COMPUTE_PGM_RSRC2:TGID_Z_EN: 0
; COMPUTE_PGM_RSRC2:TIDIG_COMP_CNT: 2
; COMPUTE_PGM_RSRC3_GFX90A:ACCUM_OFFSET: 24
; COMPUTE_PGM_RSRC3_GFX90A:TG_SPLIT: 0
	.section	.text._ZN7rocprim17ROCPRIM_400000_NS6detail17trampoline_kernelINS0_14default_configENS1_35radix_sort_onesweep_config_selectorIbiEEZZNS1_29radix_sort_onesweep_iterationIS3_Lb1EN6thrust23THRUST_200600_302600_NS6detail15normal_iteratorINS8_10device_ptrIbEEEESD_NSA_INSB_IiEEEESF_jNS0_19identity_decomposerENS1_16block_id_wrapperIjLb0EEEEE10hipError_tT1_PNSt15iterator_traitsISK_E10value_typeET2_T3_PNSL_ISQ_E10value_typeET4_T5_PSV_SW_PNS1_23onesweep_lookback_stateEbbT6_jjT7_P12ihipStream_tbENKUlT_T0_SK_SP_E_clISD_SD_SF_SF_EEDaS13_S14_SK_SP_EUlS13_E_NS1_11comp_targetILNS1_3genE5ELNS1_11target_archE942ELNS1_3gpuE9ELNS1_3repE0EEENS1_47radix_sort_onesweep_sort_config_static_selectorELNS0_4arch9wavefront6targetE1EEEvSK_,"axG",@progbits,_ZN7rocprim17ROCPRIM_400000_NS6detail17trampoline_kernelINS0_14default_configENS1_35radix_sort_onesweep_config_selectorIbiEEZZNS1_29radix_sort_onesweep_iterationIS3_Lb1EN6thrust23THRUST_200600_302600_NS6detail15normal_iteratorINS8_10device_ptrIbEEEESD_NSA_INSB_IiEEEESF_jNS0_19identity_decomposerENS1_16block_id_wrapperIjLb0EEEEE10hipError_tT1_PNSt15iterator_traitsISK_E10value_typeET2_T3_PNSL_ISQ_E10value_typeET4_T5_PSV_SW_PNS1_23onesweep_lookback_stateEbbT6_jjT7_P12ihipStream_tbENKUlT_T0_SK_SP_E_clISD_SD_SF_SF_EEDaS13_S14_SK_SP_EUlS13_E_NS1_11comp_targetILNS1_3genE5ELNS1_11target_archE942ELNS1_3gpuE9ELNS1_3repE0EEENS1_47radix_sort_onesweep_sort_config_static_selectorELNS0_4arch9wavefront6targetE1EEEvSK_,comdat
	.protected	_ZN7rocprim17ROCPRIM_400000_NS6detail17trampoline_kernelINS0_14default_configENS1_35radix_sort_onesweep_config_selectorIbiEEZZNS1_29radix_sort_onesweep_iterationIS3_Lb1EN6thrust23THRUST_200600_302600_NS6detail15normal_iteratorINS8_10device_ptrIbEEEESD_NSA_INSB_IiEEEESF_jNS0_19identity_decomposerENS1_16block_id_wrapperIjLb0EEEEE10hipError_tT1_PNSt15iterator_traitsISK_E10value_typeET2_T3_PNSL_ISQ_E10value_typeET4_T5_PSV_SW_PNS1_23onesweep_lookback_stateEbbT6_jjT7_P12ihipStream_tbENKUlT_T0_SK_SP_E_clISD_SD_SF_SF_EEDaS13_S14_SK_SP_EUlS13_E_NS1_11comp_targetILNS1_3genE5ELNS1_11target_archE942ELNS1_3gpuE9ELNS1_3repE0EEENS1_47radix_sort_onesweep_sort_config_static_selectorELNS0_4arch9wavefront6targetE1EEEvSK_ ; -- Begin function _ZN7rocprim17ROCPRIM_400000_NS6detail17trampoline_kernelINS0_14default_configENS1_35radix_sort_onesweep_config_selectorIbiEEZZNS1_29radix_sort_onesweep_iterationIS3_Lb1EN6thrust23THRUST_200600_302600_NS6detail15normal_iteratorINS8_10device_ptrIbEEEESD_NSA_INSB_IiEEEESF_jNS0_19identity_decomposerENS1_16block_id_wrapperIjLb0EEEEE10hipError_tT1_PNSt15iterator_traitsISK_E10value_typeET2_T3_PNSL_ISQ_E10value_typeET4_T5_PSV_SW_PNS1_23onesweep_lookback_stateEbbT6_jjT7_P12ihipStream_tbENKUlT_T0_SK_SP_E_clISD_SD_SF_SF_EEDaS13_S14_SK_SP_EUlS13_E_NS1_11comp_targetILNS1_3genE5ELNS1_11target_archE942ELNS1_3gpuE9ELNS1_3repE0EEENS1_47radix_sort_onesweep_sort_config_static_selectorELNS0_4arch9wavefront6targetE1EEEvSK_
	.globl	_ZN7rocprim17ROCPRIM_400000_NS6detail17trampoline_kernelINS0_14default_configENS1_35radix_sort_onesweep_config_selectorIbiEEZZNS1_29radix_sort_onesweep_iterationIS3_Lb1EN6thrust23THRUST_200600_302600_NS6detail15normal_iteratorINS8_10device_ptrIbEEEESD_NSA_INSB_IiEEEESF_jNS0_19identity_decomposerENS1_16block_id_wrapperIjLb0EEEEE10hipError_tT1_PNSt15iterator_traitsISK_E10value_typeET2_T3_PNSL_ISQ_E10value_typeET4_T5_PSV_SW_PNS1_23onesweep_lookback_stateEbbT6_jjT7_P12ihipStream_tbENKUlT_T0_SK_SP_E_clISD_SD_SF_SF_EEDaS13_S14_SK_SP_EUlS13_E_NS1_11comp_targetILNS1_3genE5ELNS1_11target_archE942ELNS1_3gpuE9ELNS1_3repE0EEENS1_47radix_sort_onesweep_sort_config_static_selectorELNS0_4arch9wavefront6targetE1EEEvSK_
	.p2align	8
	.type	_ZN7rocprim17ROCPRIM_400000_NS6detail17trampoline_kernelINS0_14default_configENS1_35radix_sort_onesweep_config_selectorIbiEEZZNS1_29radix_sort_onesweep_iterationIS3_Lb1EN6thrust23THRUST_200600_302600_NS6detail15normal_iteratorINS8_10device_ptrIbEEEESD_NSA_INSB_IiEEEESF_jNS0_19identity_decomposerENS1_16block_id_wrapperIjLb0EEEEE10hipError_tT1_PNSt15iterator_traitsISK_E10value_typeET2_T3_PNSL_ISQ_E10value_typeET4_T5_PSV_SW_PNS1_23onesweep_lookback_stateEbbT6_jjT7_P12ihipStream_tbENKUlT_T0_SK_SP_E_clISD_SD_SF_SF_EEDaS13_S14_SK_SP_EUlS13_E_NS1_11comp_targetILNS1_3genE5ELNS1_11target_archE942ELNS1_3gpuE9ELNS1_3repE0EEENS1_47radix_sort_onesweep_sort_config_static_selectorELNS0_4arch9wavefront6targetE1EEEvSK_,@function
_ZN7rocprim17ROCPRIM_400000_NS6detail17trampoline_kernelINS0_14default_configENS1_35radix_sort_onesweep_config_selectorIbiEEZZNS1_29radix_sort_onesweep_iterationIS3_Lb1EN6thrust23THRUST_200600_302600_NS6detail15normal_iteratorINS8_10device_ptrIbEEEESD_NSA_INSB_IiEEEESF_jNS0_19identity_decomposerENS1_16block_id_wrapperIjLb0EEEEE10hipError_tT1_PNSt15iterator_traitsISK_E10value_typeET2_T3_PNSL_ISQ_E10value_typeET4_T5_PSV_SW_PNS1_23onesweep_lookback_stateEbbT6_jjT7_P12ihipStream_tbENKUlT_T0_SK_SP_E_clISD_SD_SF_SF_EEDaS13_S14_SK_SP_EUlS13_E_NS1_11comp_targetILNS1_3genE5ELNS1_11target_archE942ELNS1_3gpuE9ELNS1_3repE0EEENS1_47radix_sort_onesweep_sort_config_static_selectorELNS0_4arch9wavefront6targetE1EEEvSK_: ; @_ZN7rocprim17ROCPRIM_400000_NS6detail17trampoline_kernelINS0_14default_configENS1_35radix_sort_onesweep_config_selectorIbiEEZZNS1_29radix_sort_onesweep_iterationIS3_Lb1EN6thrust23THRUST_200600_302600_NS6detail15normal_iteratorINS8_10device_ptrIbEEEESD_NSA_INSB_IiEEEESF_jNS0_19identity_decomposerENS1_16block_id_wrapperIjLb0EEEEE10hipError_tT1_PNSt15iterator_traitsISK_E10value_typeET2_T3_PNSL_ISQ_E10value_typeET4_T5_PSV_SW_PNS1_23onesweep_lookback_stateEbbT6_jjT7_P12ihipStream_tbENKUlT_T0_SK_SP_E_clISD_SD_SF_SF_EEDaS13_S14_SK_SP_EUlS13_E_NS1_11comp_targetILNS1_3genE5ELNS1_11target_archE942ELNS1_3gpuE9ELNS1_3repE0EEENS1_47radix_sort_onesweep_sort_config_static_selectorELNS0_4arch9wavefront6targetE1EEEvSK_
; %bb.0:
	.section	.rodata,"a",@progbits
	.p2align	6, 0x0
	.amdhsa_kernel _ZN7rocprim17ROCPRIM_400000_NS6detail17trampoline_kernelINS0_14default_configENS1_35radix_sort_onesweep_config_selectorIbiEEZZNS1_29radix_sort_onesweep_iterationIS3_Lb1EN6thrust23THRUST_200600_302600_NS6detail15normal_iteratorINS8_10device_ptrIbEEEESD_NSA_INSB_IiEEEESF_jNS0_19identity_decomposerENS1_16block_id_wrapperIjLb0EEEEE10hipError_tT1_PNSt15iterator_traitsISK_E10value_typeET2_T3_PNSL_ISQ_E10value_typeET4_T5_PSV_SW_PNS1_23onesweep_lookback_stateEbbT6_jjT7_P12ihipStream_tbENKUlT_T0_SK_SP_E_clISD_SD_SF_SF_EEDaS13_S14_SK_SP_EUlS13_E_NS1_11comp_targetILNS1_3genE5ELNS1_11target_archE942ELNS1_3gpuE9ELNS1_3repE0EEENS1_47radix_sort_onesweep_sort_config_static_selectorELNS0_4arch9wavefront6targetE1EEEvSK_
		.amdhsa_group_segment_fixed_size 0
		.amdhsa_private_segment_fixed_size 0
		.amdhsa_kernarg_size 88
		.amdhsa_user_sgpr_count 2
		.amdhsa_user_sgpr_dispatch_ptr 0
		.amdhsa_user_sgpr_queue_ptr 0
		.amdhsa_user_sgpr_kernarg_segment_ptr 1
		.amdhsa_user_sgpr_dispatch_id 0
		.amdhsa_user_sgpr_kernarg_preload_length 0
		.amdhsa_user_sgpr_kernarg_preload_offset 0
		.amdhsa_user_sgpr_private_segment_size 0
		.amdhsa_uses_dynamic_stack 0
		.amdhsa_enable_private_segment 0
		.amdhsa_system_sgpr_workgroup_id_x 1
		.amdhsa_system_sgpr_workgroup_id_y 0
		.amdhsa_system_sgpr_workgroup_id_z 0
		.amdhsa_system_sgpr_workgroup_info 0
		.amdhsa_system_vgpr_workitem_id 0
		.amdhsa_next_free_vgpr 1
		.amdhsa_next_free_sgpr 0
		.amdhsa_accum_offset 4
		.amdhsa_reserve_vcc 0
		.amdhsa_float_round_mode_32 0
		.amdhsa_float_round_mode_16_64 0
		.amdhsa_float_denorm_mode_32 3
		.amdhsa_float_denorm_mode_16_64 3
		.amdhsa_dx10_clamp 1
		.amdhsa_ieee_mode 1
		.amdhsa_fp16_overflow 0
		.amdhsa_tg_split 0
		.amdhsa_exception_fp_ieee_invalid_op 0
		.amdhsa_exception_fp_denorm_src 0
		.amdhsa_exception_fp_ieee_div_zero 0
		.amdhsa_exception_fp_ieee_overflow 0
		.amdhsa_exception_fp_ieee_underflow 0
		.amdhsa_exception_fp_ieee_inexact 0
		.amdhsa_exception_int_div_zero 0
	.end_amdhsa_kernel
	.section	.text._ZN7rocprim17ROCPRIM_400000_NS6detail17trampoline_kernelINS0_14default_configENS1_35radix_sort_onesweep_config_selectorIbiEEZZNS1_29radix_sort_onesweep_iterationIS3_Lb1EN6thrust23THRUST_200600_302600_NS6detail15normal_iteratorINS8_10device_ptrIbEEEESD_NSA_INSB_IiEEEESF_jNS0_19identity_decomposerENS1_16block_id_wrapperIjLb0EEEEE10hipError_tT1_PNSt15iterator_traitsISK_E10value_typeET2_T3_PNSL_ISQ_E10value_typeET4_T5_PSV_SW_PNS1_23onesweep_lookback_stateEbbT6_jjT7_P12ihipStream_tbENKUlT_T0_SK_SP_E_clISD_SD_SF_SF_EEDaS13_S14_SK_SP_EUlS13_E_NS1_11comp_targetILNS1_3genE5ELNS1_11target_archE942ELNS1_3gpuE9ELNS1_3repE0EEENS1_47radix_sort_onesweep_sort_config_static_selectorELNS0_4arch9wavefront6targetE1EEEvSK_,"axG",@progbits,_ZN7rocprim17ROCPRIM_400000_NS6detail17trampoline_kernelINS0_14default_configENS1_35radix_sort_onesweep_config_selectorIbiEEZZNS1_29radix_sort_onesweep_iterationIS3_Lb1EN6thrust23THRUST_200600_302600_NS6detail15normal_iteratorINS8_10device_ptrIbEEEESD_NSA_INSB_IiEEEESF_jNS0_19identity_decomposerENS1_16block_id_wrapperIjLb0EEEEE10hipError_tT1_PNSt15iterator_traitsISK_E10value_typeET2_T3_PNSL_ISQ_E10value_typeET4_T5_PSV_SW_PNS1_23onesweep_lookback_stateEbbT6_jjT7_P12ihipStream_tbENKUlT_T0_SK_SP_E_clISD_SD_SF_SF_EEDaS13_S14_SK_SP_EUlS13_E_NS1_11comp_targetILNS1_3genE5ELNS1_11target_archE942ELNS1_3gpuE9ELNS1_3repE0EEENS1_47radix_sort_onesweep_sort_config_static_selectorELNS0_4arch9wavefront6targetE1EEEvSK_,comdat
.Lfunc_end2247:
	.size	_ZN7rocprim17ROCPRIM_400000_NS6detail17trampoline_kernelINS0_14default_configENS1_35radix_sort_onesweep_config_selectorIbiEEZZNS1_29radix_sort_onesweep_iterationIS3_Lb1EN6thrust23THRUST_200600_302600_NS6detail15normal_iteratorINS8_10device_ptrIbEEEESD_NSA_INSB_IiEEEESF_jNS0_19identity_decomposerENS1_16block_id_wrapperIjLb0EEEEE10hipError_tT1_PNSt15iterator_traitsISK_E10value_typeET2_T3_PNSL_ISQ_E10value_typeET4_T5_PSV_SW_PNS1_23onesweep_lookback_stateEbbT6_jjT7_P12ihipStream_tbENKUlT_T0_SK_SP_E_clISD_SD_SF_SF_EEDaS13_S14_SK_SP_EUlS13_E_NS1_11comp_targetILNS1_3genE5ELNS1_11target_archE942ELNS1_3gpuE9ELNS1_3repE0EEENS1_47radix_sort_onesweep_sort_config_static_selectorELNS0_4arch9wavefront6targetE1EEEvSK_, .Lfunc_end2247-_ZN7rocprim17ROCPRIM_400000_NS6detail17trampoline_kernelINS0_14default_configENS1_35radix_sort_onesweep_config_selectorIbiEEZZNS1_29radix_sort_onesweep_iterationIS3_Lb1EN6thrust23THRUST_200600_302600_NS6detail15normal_iteratorINS8_10device_ptrIbEEEESD_NSA_INSB_IiEEEESF_jNS0_19identity_decomposerENS1_16block_id_wrapperIjLb0EEEEE10hipError_tT1_PNSt15iterator_traitsISK_E10value_typeET2_T3_PNSL_ISQ_E10value_typeET4_T5_PSV_SW_PNS1_23onesweep_lookback_stateEbbT6_jjT7_P12ihipStream_tbENKUlT_T0_SK_SP_E_clISD_SD_SF_SF_EEDaS13_S14_SK_SP_EUlS13_E_NS1_11comp_targetILNS1_3genE5ELNS1_11target_archE942ELNS1_3gpuE9ELNS1_3repE0EEENS1_47radix_sort_onesweep_sort_config_static_selectorELNS0_4arch9wavefront6targetE1EEEvSK_
                                        ; -- End function
	.set _ZN7rocprim17ROCPRIM_400000_NS6detail17trampoline_kernelINS0_14default_configENS1_35radix_sort_onesweep_config_selectorIbiEEZZNS1_29radix_sort_onesweep_iterationIS3_Lb1EN6thrust23THRUST_200600_302600_NS6detail15normal_iteratorINS8_10device_ptrIbEEEESD_NSA_INSB_IiEEEESF_jNS0_19identity_decomposerENS1_16block_id_wrapperIjLb0EEEEE10hipError_tT1_PNSt15iterator_traitsISK_E10value_typeET2_T3_PNSL_ISQ_E10value_typeET4_T5_PSV_SW_PNS1_23onesweep_lookback_stateEbbT6_jjT7_P12ihipStream_tbENKUlT_T0_SK_SP_E_clISD_SD_SF_SF_EEDaS13_S14_SK_SP_EUlS13_E_NS1_11comp_targetILNS1_3genE5ELNS1_11target_archE942ELNS1_3gpuE9ELNS1_3repE0EEENS1_47radix_sort_onesweep_sort_config_static_selectorELNS0_4arch9wavefront6targetE1EEEvSK_.num_vgpr, 0
	.set _ZN7rocprim17ROCPRIM_400000_NS6detail17trampoline_kernelINS0_14default_configENS1_35radix_sort_onesweep_config_selectorIbiEEZZNS1_29radix_sort_onesweep_iterationIS3_Lb1EN6thrust23THRUST_200600_302600_NS6detail15normal_iteratorINS8_10device_ptrIbEEEESD_NSA_INSB_IiEEEESF_jNS0_19identity_decomposerENS1_16block_id_wrapperIjLb0EEEEE10hipError_tT1_PNSt15iterator_traitsISK_E10value_typeET2_T3_PNSL_ISQ_E10value_typeET4_T5_PSV_SW_PNS1_23onesweep_lookback_stateEbbT6_jjT7_P12ihipStream_tbENKUlT_T0_SK_SP_E_clISD_SD_SF_SF_EEDaS13_S14_SK_SP_EUlS13_E_NS1_11comp_targetILNS1_3genE5ELNS1_11target_archE942ELNS1_3gpuE9ELNS1_3repE0EEENS1_47radix_sort_onesweep_sort_config_static_selectorELNS0_4arch9wavefront6targetE1EEEvSK_.num_agpr, 0
	.set _ZN7rocprim17ROCPRIM_400000_NS6detail17trampoline_kernelINS0_14default_configENS1_35radix_sort_onesweep_config_selectorIbiEEZZNS1_29radix_sort_onesweep_iterationIS3_Lb1EN6thrust23THRUST_200600_302600_NS6detail15normal_iteratorINS8_10device_ptrIbEEEESD_NSA_INSB_IiEEEESF_jNS0_19identity_decomposerENS1_16block_id_wrapperIjLb0EEEEE10hipError_tT1_PNSt15iterator_traitsISK_E10value_typeET2_T3_PNSL_ISQ_E10value_typeET4_T5_PSV_SW_PNS1_23onesweep_lookback_stateEbbT6_jjT7_P12ihipStream_tbENKUlT_T0_SK_SP_E_clISD_SD_SF_SF_EEDaS13_S14_SK_SP_EUlS13_E_NS1_11comp_targetILNS1_3genE5ELNS1_11target_archE942ELNS1_3gpuE9ELNS1_3repE0EEENS1_47radix_sort_onesweep_sort_config_static_selectorELNS0_4arch9wavefront6targetE1EEEvSK_.numbered_sgpr, 0
	.set _ZN7rocprim17ROCPRIM_400000_NS6detail17trampoline_kernelINS0_14default_configENS1_35radix_sort_onesweep_config_selectorIbiEEZZNS1_29radix_sort_onesweep_iterationIS3_Lb1EN6thrust23THRUST_200600_302600_NS6detail15normal_iteratorINS8_10device_ptrIbEEEESD_NSA_INSB_IiEEEESF_jNS0_19identity_decomposerENS1_16block_id_wrapperIjLb0EEEEE10hipError_tT1_PNSt15iterator_traitsISK_E10value_typeET2_T3_PNSL_ISQ_E10value_typeET4_T5_PSV_SW_PNS1_23onesweep_lookback_stateEbbT6_jjT7_P12ihipStream_tbENKUlT_T0_SK_SP_E_clISD_SD_SF_SF_EEDaS13_S14_SK_SP_EUlS13_E_NS1_11comp_targetILNS1_3genE5ELNS1_11target_archE942ELNS1_3gpuE9ELNS1_3repE0EEENS1_47radix_sort_onesweep_sort_config_static_selectorELNS0_4arch9wavefront6targetE1EEEvSK_.num_named_barrier, 0
	.set _ZN7rocprim17ROCPRIM_400000_NS6detail17trampoline_kernelINS0_14default_configENS1_35radix_sort_onesweep_config_selectorIbiEEZZNS1_29radix_sort_onesweep_iterationIS3_Lb1EN6thrust23THRUST_200600_302600_NS6detail15normal_iteratorINS8_10device_ptrIbEEEESD_NSA_INSB_IiEEEESF_jNS0_19identity_decomposerENS1_16block_id_wrapperIjLb0EEEEE10hipError_tT1_PNSt15iterator_traitsISK_E10value_typeET2_T3_PNSL_ISQ_E10value_typeET4_T5_PSV_SW_PNS1_23onesweep_lookback_stateEbbT6_jjT7_P12ihipStream_tbENKUlT_T0_SK_SP_E_clISD_SD_SF_SF_EEDaS13_S14_SK_SP_EUlS13_E_NS1_11comp_targetILNS1_3genE5ELNS1_11target_archE942ELNS1_3gpuE9ELNS1_3repE0EEENS1_47radix_sort_onesweep_sort_config_static_selectorELNS0_4arch9wavefront6targetE1EEEvSK_.private_seg_size, 0
	.set _ZN7rocprim17ROCPRIM_400000_NS6detail17trampoline_kernelINS0_14default_configENS1_35radix_sort_onesweep_config_selectorIbiEEZZNS1_29radix_sort_onesweep_iterationIS3_Lb1EN6thrust23THRUST_200600_302600_NS6detail15normal_iteratorINS8_10device_ptrIbEEEESD_NSA_INSB_IiEEEESF_jNS0_19identity_decomposerENS1_16block_id_wrapperIjLb0EEEEE10hipError_tT1_PNSt15iterator_traitsISK_E10value_typeET2_T3_PNSL_ISQ_E10value_typeET4_T5_PSV_SW_PNS1_23onesweep_lookback_stateEbbT6_jjT7_P12ihipStream_tbENKUlT_T0_SK_SP_E_clISD_SD_SF_SF_EEDaS13_S14_SK_SP_EUlS13_E_NS1_11comp_targetILNS1_3genE5ELNS1_11target_archE942ELNS1_3gpuE9ELNS1_3repE0EEENS1_47radix_sort_onesweep_sort_config_static_selectorELNS0_4arch9wavefront6targetE1EEEvSK_.uses_vcc, 0
	.set _ZN7rocprim17ROCPRIM_400000_NS6detail17trampoline_kernelINS0_14default_configENS1_35radix_sort_onesweep_config_selectorIbiEEZZNS1_29radix_sort_onesweep_iterationIS3_Lb1EN6thrust23THRUST_200600_302600_NS6detail15normal_iteratorINS8_10device_ptrIbEEEESD_NSA_INSB_IiEEEESF_jNS0_19identity_decomposerENS1_16block_id_wrapperIjLb0EEEEE10hipError_tT1_PNSt15iterator_traitsISK_E10value_typeET2_T3_PNSL_ISQ_E10value_typeET4_T5_PSV_SW_PNS1_23onesweep_lookback_stateEbbT6_jjT7_P12ihipStream_tbENKUlT_T0_SK_SP_E_clISD_SD_SF_SF_EEDaS13_S14_SK_SP_EUlS13_E_NS1_11comp_targetILNS1_3genE5ELNS1_11target_archE942ELNS1_3gpuE9ELNS1_3repE0EEENS1_47radix_sort_onesweep_sort_config_static_selectorELNS0_4arch9wavefront6targetE1EEEvSK_.uses_flat_scratch, 0
	.set _ZN7rocprim17ROCPRIM_400000_NS6detail17trampoline_kernelINS0_14default_configENS1_35radix_sort_onesweep_config_selectorIbiEEZZNS1_29radix_sort_onesweep_iterationIS3_Lb1EN6thrust23THRUST_200600_302600_NS6detail15normal_iteratorINS8_10device_ptrIbEEEESD_NSA_INSB_IiEEEESF_jNS0_19identity_decomposerENS1_16block_id_wrapperIjLb0EEEEE10hipError_tT1_PNSt15iterator_traitsISK_E10value_typeET2_T3_PNSL_ISQ_E10value_typeET4_T5_PSV_SW_PNS1_23onesweep_lookback_stateEbbT6_jjT7_P12ihipStream_tbENKUlT_T0_SK_SP_E_clISD_SD_SF_SF_EEDaS13_S14_SK_SP_EUlS13_E_NS1_11comp_targetILNS1_3genE5ELNS1_11target_archE942ELNS1_3gpuE9ELNS1_3repE0EEENS1_47radix_sort_onesweep_sort_config_static_selectorELNS0_4arch9wavefront6targetE1EEEvSK_.has_dyn_sized_stack, 0
	.set _ZN7rocprim17ROCPRIM_400000_NS6detail17trampoline_kernelINS0_14default_configENS1_35radix_sort_onesweep_config_selectorIbiEEZZNS1_29radix_sort_onesweep_iterationIS3_Lb1EN6thrust23THRUST_200600_302600_NS6detail15normal_iteratorINS8_10device_ptrIbEEEESD_NSA_INSB_IiEEEESF_jNS0_19identity_decomposerENS1_16block_id_wrapperIjLb0EEEEE10hipError_tT1_PNSt15iterator_traitsISK_E10value_typeET2_T3_PNSL_ISQ_E10value_typeET4_T5_PSV_SW_PNS1_23onesweep_lookback_stateEbbT6_jjT7_P12ihipStream_tbENKUlT_T0_SK_SP_E_clISD_SD_SF_SF_EEDaS13_S14_SK_SP_EUlS13_E_NS1_11comp_targetILNS1_3genE5ELNS1_11target_archE942ELNS1_3gpuE9ELNS1_3repE0EEENS1_47radix_sort_onesweep_sort_config_static_selectorELNS0_4arch9wavefront6targetE1EEEvSK_.has_recursion, 0
	.set _ZN7rocprim17ROCPRIM_400000_NS6detail17trampoline_kernelINS0_14default_configENS1_35radix_sort_onesweep_config_selectorIbiEEZZNS1_29radix_sort_onesweep_iterationIS3_Lb1EN6thrust23THRUST_200600_302600_NS6detail15normal_iteratorINS8_10device_ptrIbEEEESD_NSA_INSB_IiEEEESF_jNS0_19identity_decomposerENS1_16block_id_wrapperIjLb0EEEEE10hipError_tT1_PNSt15iterator_traitsISK_E10value_typeET2_T3_PNSL_ISQ_E10value_typeET4_T5_PSV_SW_PNS1_23onesweep_lookback_stateEbbT6_jjT7_P12ihipStream_tbENKUlT_T0_SK_SP_E_clISD_SD_SF_SF_EEDaS13_S14_SK_SP_EUlS13_E_NS1_11comp_targetILNS1_3genE5ELNS1_11target_archE942ELNS1_3gpuE9ELNS1_3repE0EEENS1_47radix_sort_onesweep_sort_config_static_selectorELNS0_4arch9wavefront6targetE1EEEvSK_.has_indirect_call, 0
	.section	.AMDGPU.csdata,"",@progbits
; Kernel info:
; codeLenInByte = 0
; TotalNumSgprs: 6
; NumVgprs: 0
; NumAgprs: 0
; TotalNumVgprs: 0
; ScratchSize: 0
; MemoryBound: 0
; FloatMode: 240
; IeeeMode: 1
; LDSByteSize: 0 bytes/workgroup (compile time only)
; SGPRBlocks: 0
; VGPRBlocks: 0
; NumSGPRsForWavesPerEU: 6
; NumVGPRsForWavesPerEU: 1
; AccumOffset: 4
; Occupancy: 8
; WaveLimiterHint : 0
; COMPUTE_PGM_RSRC2:SCRATCH_EN: 0
; COMPUTE_PGM_RSRC2:USER_SGPR: 2
; COMPUTE_PGM_RSRC2:TRAP_HANDLER: 0
; COMPUTE_PGM_RSRC2:TGID_X_EN: 1
; COMPUTE_PGM_RSRC2:TGID_Y_EN: 0
; COMPUTE_PGM_RSRC2:TGID_Z_EN: 0
; COMPUTE_PGM_RSRC2:TIDIG_COMP_CNT: 0
; COMPUTE_PGM_RSRC3_GFX90A:ACCUM_OFFSET: 0
; COMPUTE_PGM_RSRC3_GFX90A:TG_SPLIT: 0
	.section	.text._ZN7rocprim17ROCPRIM_400000_NS6detail17trampoline_kernelINS0_14default_configENS1_35radix_sort_onesweep_config_selectorIbiEEZZNS1_29radix_sort_onesweep_iterationIS3_Lb1EN6thrust23THRUST_200600_302600_NS6detail15normal_iteratorINS8_10device_ptrIbEEEESD_NSA_INSB_IiEEEESF_jNS0_19identity_decomposerENS1_16block_id_wrapperIjLb0EEEEE10hipError_tT1_PNSt15iterator_traitsISK_E10value_typeET2_T3_PNSL_ISQ_E10value_typeET4_T5_PSV_SW_PNS1_23onesweep_lookback_stateEbbT6_jjT7_P12ihipStream_tbENKUlT_T0_SK_SP_E_clISD_SD_SF_SF_EEDaS13_S14_SK_SP_EUlS13_E_NS1_11comp_targetILNS1_3genE2ELNS1_11target_archE906ELNS1_3gpuE6ELNS1_3repE0EEENS1_47radix_sort_onesweep_sort_config_static_selectorELNS0_4arch9wavefront6targetE1EEEvSK_,"axG",@progbits,_ZN7rocprim17ROCPRIM_400000_NS6detail17trampoline_kernelINS0_14default_configENS1_35radix_sort_onesweep_config_selectorIbiEEZZNS1_29radix_sort_onesweep_iterationIS3_Lb1EN6thrust23THRUST_200600_302600_NS6detail15normal_iteratorINS8_10device_ptrIbEEEESD_NSA_INSB_IiEEEESF_jNS0_19identity_decomposerENS1_16block_id_wrapperIjLb0EEEEE10hipError_tT1_PNSt15iterator_traitsISK_E10value_typeET2_T3_PNSL_ISQ_E10value_typeET4_T5_PSV_SW_PNS1_23onesweep_lookback_stateEbbT6_jjT7_P12ihipStream_tbENKUlT_T0_SK_SP_E_clISD_SD_SF_SF_EEDaS13_S14_SK_SP_EUlS13_E_NS1_11comp_targetILNS1_3genE2ELNS1_11target_archE906ELNS1_3gpuE6ELNS1_3repE0EEENS1_47radix_sort_onesweep_sort_config_static_selectorELNS0_4arch9wavefront6targetE1EEEvSK_,comdat
	.protected	_ZN7rocprim17ROCPRIM_400000_NS6detail17trampoline_kernelINS0_14default_configENS1_35radix_sort_onesweep_config_selectorIbiEEZZNS1_29radix_sort_onesweep_iterationIS3_Lb1EN6thrust23THRUST_200600_302600_NS6detail15normal_iteratorINS8_10device_ptrIbEEEESD_NSA_INSB_IiEEEESF_jNS0_19identity_decomposerENS1_16block_id_wrapperIjLb0EEEEE10hipError_tT1_PNSt15iterator_traitsISK_E10value_typeET2_T3_PNSL_ISQ_E10value_typeET4_T5_PSV_SW_PNS1_23onesweep_lookback_stateEbbT6_jjT7_P12ihipStream_tbENKUlT_T0_SK_SP_E_clISD_SD_SF_SF_EEDaS13_S14_SK_SP_EUlS13_E_NS1_11comp_targetILNS1_3genE2ELNS1_11target_archE906ELNS1_3gpuE6ELNS1_3repE0EEENS1_47radix_sort_onesweep_sort_config_static_selectorELNS0_4arch9wavefront6targetE1EEEvSK_ ; -- Begin function _ZN7rocprim17ROCPRIM_400000_NS6detail17trampoline_kernelINS0_14default_configENS1_35radix_sort_onesweep_config_selectorIbiEEZZNS1_29radix_sort_onesweep_iterationIS3_Lb1EN6thrust23THRUST_200600_302600_NS6detail15normal_iteratorINS8_10device_ptrIbEEEESD_NSA_INSB_IiEEEESF_jNS0_19identity_decomposerENS1_16block_id_wrapperIjLb0EEEEE10hipError_tT1_PNSt15iterator_traitsISK_E10value_typeET2_T3_PNSL_ISQ_E10value_typeET4_T5_PSV_SW_PNS1_23onesweep_lookback_stateEbbT6_jjT7_P12ihipStream_tbENKUlT_T0_SK_SP_E_clISD_SD_SF_SF_EEDaS13_S14_SK_SP_EUlS13_E_NS1_11comp_targetILNS1_3genE2ELNS1_11target_archE906ELNS1_3gpuE6ELNS1_3repE0EEENS1_47radix_sort_onesweep_sort_config_static_selectorELNS0_4arch9wavefront6targetE1EEEvSK_
	.globl	_ZN7rocprim17ROCPRIM_400000_NS6detail17trampoline_kernelINS0_14default_configENS1_35radix_sort_onesweep_config_selectorIbiEEZZNS1_29radix_sort_onesweep_iterationIS3_Lb1EN6thrust23THRUST_200600_302600_NS6detail15normal_iteratorINS8_10device_ptrIbEEEESD_NSA_INSB_IiEEEESF_jNS0_19identity_decomposerENS1_16block_id_wrapperIjLb0EEEEE10hipError_tT1_PNSt15iterator_traitsISK_E10value_typeET2_T3_PNSL_ISQ_E10value_typeET4_T5_PSV_SW_PNS1_23onesweep_lookback_stateEbbT6_jjT7_P12ihipStream_tbENKUlT_T0_SK_SP_E_clISD_SD_SF_SF_EEDaS13_S14_SK_SP_EUlS13_E_NS1_11comp_targetILNS1_3genE2ELNS1_11target_archE906ELNS1_3gpuE6ELNS1_3repE0EEENS1_47radix_sort_onesweep_sort_config_static_selectorELNS0_4arch9wavefront6targetE1EEEvSK_
	.p2align	8
	.type	_ZN7rocprim17ROCPRIM_400000_NS6detail17trampoline_kernelINS0_14default_configENS1_35radix_sort_onesweep_config_selectorIbiEEZZNS1_29radix_sort_onesweep_iterationIS3_Lb1EN6thrust23THRUST_200600_302600_NS6detail15normal_iteratorINS8_10device_ptrIbEEEESD_NSA_INSB_IiEEEESF_jNS0_19identity_decomposerENS1_16block_id_wrapperIjLb0EEEEE10hipError_tT1_PNSt15iterator_traitsISK_E10value_typeET2_T3_PNSL_ISQ_E10value_typeET4_T5_PSV_SW_PNS1_23onesweep_lookback_stateEbbT6_jjT7_P12ihipStream_tbENKUlT_T0_SK_SP_E_clISD_SD_SF_SF_EEDaS13_S14_SK_SP_EUlS13_E_NS1_11comp_targetILNS1_3genE2ELNS1_11target_archE906ELNS1_3gpuE6ELNS1_3repE0EEENS1_47radix_sort_onesweep_sort_config_static_selectorELNS0_4arch9wavefront6targetE1EEEvSK_,@function
_ZN7rocprim17ROCPRIM_400000_NS6detail17trampoline_kernelINS0_14default_configENS1_35radix_sort_onesweep_config_selectorIbiEEZZNS1_29radix_sort_onesweep_iterationIS3_Lb1EN6thrust23THRUST_200600_302600_NS6detail15normal_iteratorINS8_10device_ptrIbEEEESD_NSA_INSB_IiEEEESF_jNS0_19identity_decomposerENS1_16block_id_wrapperIjLb0EEEEE10hipError_tT1_PNSt15iterator_traitsISK_E10value_typeET2_T3_PNSL_ISQ_E10value_typeET4_T5_PSV_SW_PNS1_23onesweep_lookback_stateEbbT6_jjT7_P12ihipStream_tbENKUlT_T0_SK_SP_E_clISD_SD_SF_SF_EEDaS13_S14_SK_SP_EUlS13_E_NS1_11comp_targetILNS1_3genE2ELNS1_11target_archE906ELNS1_3gpuE6ELNS1_3repE0EEENS1_47radix_sort_onesweep_sort_config_static_selectorELNS0_4arch9wavefront6targetE1EEEvSK_: ; @_ZN7rocprim17ROCPRIM_400000_NS6detail17trampoline_kernelINS0_14default_configENS1_35radix_sort_onesweep_config_selectorIbiEEZZNS1_29radix_sort_onesweep_iterationIS3_Lb1EN6thrust23THRUST_200600_302600_NS6detail15normal_iteratorINS8_10device_ptrIbEEEESD_NSA_INSB_IiEEEESF_jNS0_19identity_decomposerENS1_16block_id_wrapperIjLb0EEEEE10hipError_tT1_PNSt15iterator_traitsISK_E10value_typeET2_T3_PNSL_ISQ_E10value_typeET4_T5_PSV_SW_PNS1_23onesweep_lookback_stateEbbT6_jjT7_P12ihipStream_tbENKUlT_T0_SK_SP_E_clISD_SD_SF_SF_EEDaS13_S14_SK_SP_EUlS13_E_NS1_11comp_targetILNS1_3genE2ELNS1_11target_archE906ELNS1_3gpuE6ELNS1_3repE0EEENS1_47radix_sort_onesweep_sort_config_static_selectorELNS0_4arch9wavefront6targetE1EEEvSK_
; %bb.0:
	.section	.rodata,"a",@progbits
	.p2align	6, 0x0
	.amdhsa_kernel _ZN7rocprim17ROCPRIM_400000_NS6detail17trampoline_kernelINS0_14default_configENS1_35radix_sort_onesweep_config_selectorIbiEEZZNS1_29radix_sort_onesweep_iterationIS3_Lb1EN6thrust23THRUST_200600_302600_NS6detail15normal_iteratorINS8_10device_ptrIbEEEESD_NSA_INSB_IiEEEESF_jNS0_19identity_decomposerENS1_16block_id_wrapperIjLb0EEEEE10hipError_tT1_PNSt15iterator_traitsISK_E10value_typeET2_T3_PNSL_ISQ_E10value_typeET4_T5_PSV_SW_PNS1_23onesweep_lookback_stateEbbT6_jjT7_P12ihipStream_tbENKUlT_T0_SK_SP_E_clISD_SD_SF_SF_EEDaS13_S14_SK_SP_EUlS13_E_NS1_11comp_targetILNS1_3genE2ELNS1_11target_archE906ELNS1_3gpuE6ELNS1_3repE0EEENS1_47radix_sort_onesweep_sort_config_static_selectorELNS0_4arch9wavefront6targetE1EEEvSK_
		.amdhsa_group_segment_fixed_size 0
		.amdhsa_private_segment_fixed_size 0
		.amdhsa_kernarg_size 88
		.amdhsa_user_sgpr_count 2
		.amdhsa_user_sgpr_dispatch_ptr 0
		.amdhsa_user_sgpr_queue_ptr 0
		.amdhsa_user_sgpr_kernarg_segment_ptr 1
		.amdhsa_user_sgpr_dispatch_id 0
		.amdhsa_user_sgpr_kernarg_preload_length 0
		.amdhsa_user_sgpr_kernarg_preload_offset 0
		.amdhsa_user_sgpr_private_segment_size 0
		.amdhsa_uses_dynamic_stack 0
		.amdhsa_enable_private_segment 0
		.amdhsa_system_sgpr_workgroup_id_x 1
		.amdhsa_system_sgpr_workgroup_id_y 0
		.amdhsa_system_sgpr_workgroup_id_z 0
		.amdhsa_system_sgpr_workgroup_info 0
		.amdhsa_system_vgpr_workitem_id 0
		.amdhsa_next_free_vgpr 1
		.amdhsa_next_free_sgpr 0
		.amdhsa_accum_offset 4
		.amdhsa_reserve_vcc 0
		.amdhsa_float_round_mode_32 0
		.amdhsa_float_round_mode_16_64 0
		.amdhsa_float_denorm_mode_32 3
		.amdhsa_float_denorm_mode_16_64 3
		.amdhsa_dx10_clamp 1
		.amdhsa_ieee_mode 1
		.amdhsa_fp16_overflow 0
		.amdhsa_tg_split 0
		.amdhsa_exception_fp_ieee_invalid_op 0
		.amdhsa_exception_fp_denorm_src 0
		.amdhsa_exception_fp_ieee_div_zero 0
		.amdhsa_exception_fp_ieee_overflow 0
		.amdhsa_exception_fp_ieee_underflow 0
		.amdhsa_exception_fp_ieee_inexact 0
		.amdhsa_exception_int_div_zero 0
	.end_amdhsa_kernel
	.section	.text._ZN7rocprim17ROCPRIM_400000_NS6detail17trampoline_kernelINS0_14default_configENS1_35radix_sort_onesweep_config_selectorIbiEEZZNS1_29radix_sort_onesweep_iterationIS3_Lb1EN6thrust23THRUST_200600_302600_NS6detail15normal_iteratorINS8_10device_ptrIbEEEESD_NSA_INSB_IiEEEESF_jNS0_19identity_decomposerENS1_16block_id_wrapperIjLb0EEEEE10hipError_tT1_PNSt15iterator_traitsISK_E10value_typeET2_T3_PNSL_ISQ_E10value_typeET4_T5_PSV_SW_PNS1_23onesweep_lookback_stateEbbT6_jjT7_P12ihipStream_tbENKUlT_T0_SK_SP_E_clISD_SD_SF_SF_EEDaS13_S14_SK_SP_EUlS13_E_NS1_11comp_targetILNS1_3genE2ELNS1_11target_archE906ELNS1_3gpuE6ELNS1_3repE0EEENS1_47radix_sort_onesweep_sort_config_static_selectorELNS0_4arch9wavefront6targetE1EEEvSK_,"axG",@progbits,_ZN7rocprim17ROCPRIM_400000_NS6detail17trampoline_kernelINS0_14default_configENS1_35radix_sort_onesweep_config_selectorIbiEEZZNS1_29radix_sort_onesweep_iterationIS3_Lb1EN6thrust23THRUST_200600_302600_NS6detail15normal_iteratorINS8_10device_ptrIbEEEESD_NSA_INSB_IiEEEESF_jNS0_19identity_decomposerENS1_16block_id_wrapperIjLb0EEEEE10hipError_tT1_PNSt15iterator_traitsISK_E10value_typeET2_T3_PNSL_ISQ_E10value_typeET4_T5_PSV_SW_PNS1_23onesweep_lookback_stateEbbT6_jjT7_P12ihipStream_tbENKUlT_T0_SK_SP_E_clISD_SD_SF_SF_EEDaS13_S14_SK_SP_EUlS13_E_NS1_11comp_targetILNS1_3genE2ELNS1_11target_archE906ELNS1_3gpuE6ELNS1_3repE0EEENS1_47radix_sort_onesweep_sort_config_static_selectorELNS0_4arch9wavefront6targetE1EEEvSK_,comdat
.Lfunc_end2248:
	.size	_ZN7rocprim17ROCPRIM_400000_NS6detail17trampoline_kernelINS0_14default_configENS1_35radix_sort_onesweep_config_selectorIbiEEZZNS1_29radix_sort_onesweep_iterationIS3_Lb1EN6thrust23THRUST_200600_302600_NS6detail15normal_iteratorINS8_10device_ptrIbEEEESD_NSA_INSB_IiEEEESF_jNS0_19identity_decomposerENS1_16block_id_wrapperIjLb0EEEEE10hipError_tT1_PNSt15iterator_traitsISK_E10value_typeET2_T3_PNSL_ISQ_E10value_typeET4_T5_PSV_SW_PNS1_23onesweep_lookback_stateEbbT6_jjT7_P12ihipStream_tbENKUlT_T0_SK_SP_E_clISD_SD_SF_SF_EEDaS13_S14_SK_SP_EUlS13_E_NS1_11comp_targetILNS1_3genE2ELNS1_11target_archE906ELNS1_3gpuE6ELNS1_3repE0EEENS1_47radix_sort_onesweep_sort_config_static_selectorELNS0_4arch9wavefront6targetE1EEEvSK_, .Lfunc_end2248-_ZN7rocprim17ROCPRIM_400000_NS6detail17trampoline_kernelINS0_14default_configENS1_35radix_sort_onesweep_config_selectorIbiEEZZNS1_29radix_sort_onesweep_iterationIS3_Lb1EN6thrust23THRUST_200600_302600_NS6detail15normal_iteratorINS8_10device_ptrIbEEEESD_NSA_INSB_IiEEEESF_jNS0_19identity_decomposerENS1_16block_id_wrapperIjLb0EEEEE10hipError_tT1_PNSt15iterator_traitsISK_E10value_typeET2_T3_PNSL_ISQ_E10value_typeET4_T5_PSV_SW_PNS1_23onesweep_lookback_stateEbbT6_jjT7_P12ihipStream_tbENKUlT_T0_SK_SP_E_clISD_SD_SF_SF_EEDaS13_S14_SK_SP_EUlS13_E_NS1_11comp_targetILNS1_3genE2ELNS1_11target_archE906ELNS1_3gpuE6ELNS1_3repE0EEENS1_47radix_sort_onesweep_sort_config_static_selectorELNS0_4arch9wavefront6targetE1EEEvSK_
                                        ; -- End function
	.set _ZN7rocprim17ROCPRIM_400000_NS6detail17trampoline_kernelINS0_14default_configENS1_35radix_sort_onesweep_config_selectorIbiEEZZNS1_29radix_sort_onesweep_iterationIS3_Lb1EN6thrust23THRUST_200600_302600_NS6detail15normal_iteratorINS8_10device_ptrIbEEEESD_NSA_INSB_IiEEEESF_jNS0_19identity_decomposerENS1_16block_id_wrapperIjLb0EEEEE10hipError_tT1_PNSt15iterator_traitsISK_E10value_typeET2_T3_PNSL_ISQ_E10value_typeET4_T5_PSV_SW_PNS1_23onesweep_lookback_stateEbbT6_jjT7_P12ihipStream_tbENKUlT_T0_SK_SP_E_clISD_SD_SF_SF_EEDaS13_S14_SK_SP_EUlS13_E_NS1_11comp_targetILNS1_3genE2ELNS1_11target_archE906ELNS1_3gpuE6ELNS1_3repE0EEENS1_47radix_sort_onesweep_sort_config_static_selectorELNS0_4arch9wavefront6targetE1EEEvSK_.num_vgpr, 0
	.set _ZN7rocprim17ROCPRIM_400000_NS6detail17trampoline_kernelINS0_14default_configENS1_35radix_sort_onesweep_config_selectorIbiEEZZNS1_29radix_sort_onesweep_iterationIS3_Lb1EN6thrust23THRUST_200600_302600_NS6detail15normal_iteratorINS8_10device_ptrIbEEEESD_NSA_INSB_IiEEEESF_jNS0_19identity_decomposerENS1_16block_id_wrapperIjLb0EEEEE10hipError_tT1_PNSt15iterator_traitsISK_E10value_typeET2_T3_PNSL_ISQ_E10value_typeET4_T5_PSV_SW_PNS1_23onesweep_lookback_stateEbbT6_jjT7_P12ihipStream_tbENKUlT_T0_SK_SP_E_clISD_SD_SF_SF_EEDaS13_S14_SK_SP_EUlS13_E_NS1_11comp_targetILNS1_3genE2ELNS1_11target_archE906ELNS1_3gpuE6ELNS1_3repE0EEENS1_47radix_sort_onesweep_sort_config_static_selectorELNS0_4arch9wavefront6targetE1EEEvSK_.num_agpr, 0
	.set _ZN7rocprim17ROCPRIM_400000_NS6detail17trampoline_kernelINS0_14default_configENS1_35radix_sort_onesweep_config_selectorIbiEEZZNS1_29radix_sort_onesweep_iterationIS3_Lb1EN6thrust23THRUST_200600_302600_NS6detail15normal_iteratorINS8_10device_ptrIbEEEESD_NSA_INSB_IiEEEESF_jNS0_19identity_decomposerENS1_16block_id_wrapperIjLb0EEEEE10hipError_tT1_PNSt15iterator_traitsISK_E10value_typeET2_T3_PNSL_ISQ_E10value_typeET4_T5_PSV_SW_PNS1_23onesweep_lookback_stateEbbT6_jjT7_P12ihipStream_tbENKUlT_T0_SK_SP_E_clISD_SD_SF_SF_EEDaS13_S14_SK_SP_EUlS13_E_NS1_11comp_targetILNS1_3genE2ELNS1_11target_archE906ELNS1_3gpuE6ELNS1_3repE0EEENS1_47radix_sort_onesweep_sort_config_static_selectorELNS0_4arch9wavefront6targetE1EEEvSK_.numbered_sgpr, 0
	.set _ZN7rocprim17ROCPRIM_400000_NS6detail17trampoline_kernelINS0_14default_configENS1_35radix_sort_onesweep_config_selectorIbiEEZZNS1_29radix_sort_onesweep_iterationIS3_Lb1EN6thrust23THRUST_200600_302600_NS6detail15normal_iteratorINS8_10device_ptrIbEEEESD_NSA_INSB_IiEEEESF_jNS0_19identity_decomposerENS1_16block_id_wrapperIjLb0EEEEE10hipError_tT1_PNSt15iterator_traitsISK_E10value_typeET2_T3_PNSL_ISQ_E10value_typeET4_T5_PSV_SW_PNS1_23onesweep_lookback_stateEbbT6_jjT7_P12ihipStream_tbENKUlT_T0_SK_SP_E_clISD_SD_SF_SF_EEDaS13_S14_SK_SP_EUlS13_E_NS1_11comp_targetILNS1_3genE2ELNS1_11target_archE906ELNS1_3gpuE6ELNS1_3repE0EEENS1_47radix_sort_onesweep_sort_config_static_selectorELNS0_4arch9wavefront6targetE1EEEvSK_.num_named_barrier, 0
	.set _ZN7rocprim17ROCPRIM_400000_NS6detail17trampoline_kernelINS0_14default_configENS1_35radix_sort_onesweep_config_selectorIbiEEZZNS1_29radix_sort_onesweep_iterationIS3_Lb1EN6thrust23THRUST_200600_302600_NS6detail15normal_iteratorINS8_10device_ptrIbEEEESD_NSA_INSB_IiEEEESF_jNS0_19identity_decomposerENS1_16block_id_wrapperIjLb0EEEEE10hipError_tT1_PNSt15iterator_traitsISK_E10value_typeET2_T3_PNSL_ISQ_E10value_typeET4_T5_PSV_SW_PNS1_23onesweep_lookback_stateEbbT6_jjT7_P12ihipStream_tbENKUlT_T0_SK_SP_E_clISD_SD_SF_SF_EEDaS13_S14_SK_SP_EUlS13_E_NS1_11comp_targetILNS1_3genE2ELNS1_11target_archE906ELNS1_3gpuE6ELNS1_3repE0EEENS1_47radix_sort_onesweep_sort_config_static_selectorELNS0_4arch9wavefront6targetE1EEEvSK_.private_seg_size, 0
	.set _ZN7rocprim17ROCPRIM_400000_NS6detail17trampoline_kernelINS0_14default_configENS1_35radix_sort_onesweep_config_selectorIbiEEZZNS1_29radix_sort_onesweep_iterationIS3_Lb1EN6thrust23THRUST_200600_302600_NS6detail15normal_iteratorINS8_10device_ptrIbEEEESD_NSA_INSB_IiEEEESF_jNS0_19identity_decomposerENS1_16block_id_wrapperIjLb0EEEEE10hipError_tT1_PNSt15iterator_traitsISK_E10value_typeET2_T3_PNSL_ISQ_E10value_typeET4_T5_PSV_SW_PNS1_23onesweep_lookback_stateEbbT6_jjT7_P12ihipStream_tbENKUlT_T0_SK_SP_E_clISD_SD_SF_SF_EEDaS13_S14_SK_SP_EUlS13_E_NS1_11comp_targetILNS1_3genE2ELNS1_11target_archE906ELNS1_3gpuE6ELNS1_3repE0EEENS1_47radix_sort_onesweep_sort_config_static_selectorELNS0_4arch9wavefront6targetE1EEEvSK_.uses_vcc, 0
	.set _ZN7rocprim17ROCPRIM_400000_NS6detail17trampoline_kernelINS0_14default_configENS1_35radix_sort_onesweep_config_selectorIbiEEZZNS1_29radix_sort_onesweep_iterationIS3_Lb1EN6thrust23THRUST_200600_302600_NS6detail15normal_iteratorINS8_10device_ptrIbEEEESD_NSA_INSB_IiEEEESF_jNS0_19identity_decomposerENS1_16block_id_wrapperIjLb0EEEEE10hipError_tT1_PNSt15iterator_traitsISK_E10value_typeET2_T3_PNSL_ISQ_E10value_typeET4_T5_PSV_SW_PNS1_23onesweep_lookback_stateEbbT6_jjT7_P12ihipStream_tbENKUlT_T0_SK_SP_E_clISD_SD_SF_SF_EEDaS13_S14_SK_SP_EUlS13_E_NS1_11comp_targetILNS1_3genE2ELNS1_11target_archE906ELNS1_3gpuE6ELNS1_3repE0EEENS1_47radix_sort_onesweep_sort_config_static_selectorELNS0_4arch9wavefront6targetE1EEEvSK_.uses_flat_scratch, 0
	.set _ZN7rocprim17ROCPRIM_400000_NS6detail17trampoline_kernelINS0_14default_configENS1_35radix_sort_onesweep_config_selectorIbiEEZZNS1_29radix_sort_onesweep_iterationIS3_Lb1EN6thrust23THRUST_200600_302600_NS6detail15normal_iteratorINS8_10device_ptrIbEEEESD_NSA_INSB_IiEEEESF_jNS0_19identity_decomposerENS1_16block_id_wrapperIjLb0EEEEE10hipError_tT1_PNSt15iterator_traitsISK_E10value_typeET2_T3_PNSL_ISQ_E10value_typeET4_T5_PSV_SW_PNS1_23onesweep_lookback_stateEbbT6_jjT7_P12ihipStream_tbENKUlT_T0_SK_SP_E_clISD_SD_SF_SF_EEDaS13_S14_SK_SP_EUlS13_E_NS1_11comp_targetILNS1_3genE2ELNS1_11target_archE906ELNS1_3gpuE6ELNS1_3repE0EEENS1_47radix_sort_onesweep_sort_config_static_selectorELNS0_4arch9wavefront6targetE1EEEvSK_.has_dyn_sized_stack, 0
	.set _ZN7rocprim17ROCPRIM_400000_NS6detail17trampoline_kernelINS0_14default_configENS1_35radix_sort_onesweep_config_selectorIbiEEZZNS1_29radix_sort_onesweep_iterationIS3_Lb1EN6thrust23THRUST_200600_302600_NS6detail15normal_iteratorINS8_10device_ptrIbEEEESD_NSA_INSB_IiEEEESF_jNS0_19identity_decomposerENS1_16block_id_wrapperIjLb0EEEEE10hipError_tT1_PNSt15iterator_traitsISK_E10value_typeET2_T3_PNSL_ISQ_E10value_typeET4_T5_PSV_SW_PNS1_23onesweep_lookback_stateEbbT6_jjT7_P12ihipStream_tbENKUlT_T0_SK_SP_E_clISD_SD_SF_SF_EEDaS13_S14_SK_SP_EUlS13_E_NS1_11comp_targetILNS1_3genE2ELNS1_11target_archE906ELNS1_3gpuE6ELNS1_3repE0EEENS1_47radix_sort_onesweep_sort_config_static_selectorELNS0_4arch9wavefront6targetE1EEEvSK_.has_recursion, 0
	.set _ZN7rocprim17ROCPRIM_400000_NS6detail17trampoline_kernelINS0_14default_configENS1_35radix_sort_onesweep_config_selectorIbiEEZZNS1_29radix_sort_onesweep_iterationIS3_Lb1EN6thrust23THRUST_200600_302600_NS6detail15normal_iteratorINS8_10device_ptrIbEEEESD_NSA_INSB_IiEEEESF_jNS0_19identity_decomposerENS1_16block_id_wrapperIjLb0EEEEE10hipError_tT1_PNSt15iterator_traitsISK_E10value_typeET2_T3_PNSL_ISQ_E10value_typeET4_T5_PSV_SW_PNS1_23onesweep_lookback_stateEbbT6_jjT7_P12ihipStream_tbENKUlT_T0_SK_SP_E_clISD_SD_SF_SF_EEDaS13_S14_SK_SP_EUlS13_E_NS1_11comp_targetILNS1_3genE2ELNS1_11target_archE906ELNS1_3gpuE6ELNS1_3repE0EEENS1_47radix_sort_onesweep_sort_config_static_selectorELNS0_4arch9wavefront6targetE1EEEvSK_.has_indirect_call, 0
	.section	.AMDGPU.csdata,"",@progbits
; Kernel info:
; codeLenInByte = 0
; TotalNumSgprs: 6
; NumVgprs: 0
; NumAgprs: 0
; TotalNumVgprs: 0
; ScratchSize: 0
; MemoryBound: 0
; FloatMode: 240
; IeeeMode: 1
; LDSByteSize: 0 bytes/workgroup (compile time only)
; SGPRBlocks: 0
; VGPRBlocks: 0
; NumSGPRsForWavesPerEU: 6
; NumVGPRsForWavesPerEU: 1
; AccumOffset: 4
; Occupancy: 8
; WaveLimiterHint : 0
; COMPUTE_PGM_RSRC2:SCRATCH_EN: 0
; COMPUTE_PGM_RSRC2:USER_SGPR: 2
; COMPUTE_PGM_RSRC2:TRAP_HANDLER: 0
; COMPUTE_PGM_RSRC2:TGID_X_EN: 1
; COMPUTE_PGM_RSRC2:TGID_Y_EN: 0
; COMPUTE_PGM_RSRC2:TGID_Z_EN: 0
; COMPUTE_PGM_RSRC2:TIDIG_COMP_CNT: 0
; COMPUTE_PGM_RSRC3_GFX90A:ACCUM_OFFSET: 0
; COMPUTE_PGM_RSRC3_GFX90A:TG_SPLIT: 0
	.section	.text._ZN7rocprim17ROCPRIM_400000_NS6detail17trampoline_kernelINS0_14default_configENS1_35radix_sort_onesweep_config_selectorIbiEEZZNS1_29radix_sort_onesweep_iterationIS3_Lb1EN6thrust23THRUST_200600_302600_NS6detail15normal_iteratorINS8_10device_ptrIbEEEESD_NSA_INSB_IiEEEESF_jNS0_19identity_decomposerENS1_16block_id_wrapperIjLb0EEEEE10hipError_tT1_PNSt15iterator_traitsISK_E10value_typeET2_T3_PNSL_ISQ_E10value_typeET4_T5_PSV_SW_PNS1_23onesweep_lookback_stateEbbT6_jjT7_P12ihipStream_tbENKUlT_T0_SK_SP_E_clISD_SD_SF_SF_EEDaS13_S14_SK_SP_EUlS13_E_NS1_11comp_targetILNS1_3genE4ELNS1_11target_archE910ELNS1_3gpuE8ELNS1_3repE0EEENS1_47radix_sort_onesweep_sort_config_static_selectorELNS0_4arch9wavefront6targetE1EEEvSK_,"axG",@progbits,_ZN7rocprim17ROCPRIM_400000_NS6detail17trampoline_kernelINS0_14default_configENS1_35radix_sort_onesweep_config_selectorIbiEEZZNS1_29radix_sort_onesweep_iterationIS3_Lb1EN6thrust23THRUST_200600_302600_NS6detail15normal_iteratorINS8_10device_ptrIbEEEESD_NSA_INSB_IiEEEESF_jNS0_19identity_decomposerENS1_16block_id_wrapperIjLb0EEEEE10hipError_tT1_PNSt15iterator_traitsISK_E10value_typeET2_T3_PNSL_ISQ_E10value_typeET4_T5_PSV_SW_PNS1_23onesweep_lookback_stateEbbT6_jjT7_P12ihipStream_tbENKUlT_T0_SK_SP_E_clISD_SD_SF_SF_EEDaS13_S14_SK_SP_EUlS13_E_NS1_11comp_targetILNS1_3genE4ELNS1_11target_archE910ELNS1_3gpuE8ELNS1_3repE0EEENS1_47radix_sort_onesweep_sort_config_static_selectorELNS0_4arch9wavefront6targetE1EEEvSK_,comdat
	.protected	_ZN7rocprim17ROCPRIM_400000_NS6detail17trampoline_kernelINS0_14default_configENS1_35radix_sort_onesweep_config_selectorIbiEEZZNS1_29radix_sort_onesweep_iterationIS3_Lb1EN6thrust23THRUST_200600_302600_NS6detail15normal_iteratorINS8_10device_ptrIbEEEESD_NSA_INSB_IiEEEESF_jNS0_19identity_decomposerENS1_16block_id_wrapperIjLb0EEEEE10hipError_tT1_PNSt15iterator_traitsISK_E10value_typeET2_T3_PNSL_ISQ_E10value_typeET4_T5_PSV_SW_PNS1_23onesweep_lookback_stateEbbT6_jjT7_P12ihipStream_tbENKUlT_T0_SK_SP_E_clISD_SD_SF_SF_EEDaS13_S14_SK_SP_EUlS13_E_NS1_11comp_targetILNS1_3genE4ELNS1_11target_archE910ELNS1_3gpuE8ELNS1_3repE0EEENS1_47radix_sort_onesweep_sort_config_static_selectorELNS0_4arch9wavefront6targetE1EEEvSK_ ; -- Begin function _ZN7rocprim17ROCPRIM_400000_NS6detail17trampoline_kernelINS0_14default_configENS1_35radix_sort_onesweep_config_selectorIbiEEZZNS1_29radix_sort_onesweep_iterationIS3_Lb1EN6thrust23THRUST_200600_302600_NS6detail15normal_iteratorINS8_10device_ptrIbEEEESD_NSA_INSB_IiEEEESF_jNS0_19identity_decomposerENS1_16block_id_wrapperIjLb0EEEEE10hipError_tT1_PNSt15iterator_traitsISK_E10value_typeET2_T3_PNSL_ISQ_E10value_typeET4_T5_PSV_SW_PNS1_23onesweep_lookback_stateEbbT6_jjT7_P12ihipStream_tbENKUlT_T0_SK_SP_E_clISD_SD_SF_SF_EEDaS13_S14_SK_SP_EUlS13_E_NS1_11comp_targetILNS1_3genE4ELNS1_11target_archE910ELNS1_3gpuE8ELNS1_3repE0EEENS1_47radix_sort_onesweep_sort_config_static_selectorELNS0_4arch9wavefront6targetE1EEEvSK_
	.globl	_ZN7rocprim17ROCPRIM_400000_NS6detail17trampoline_kernelINS0_14default_configENS1_35radix_sort_onesweep_config_selectorIbiEEZZNS1_29radix_sort_onesweep_iterationIS3_Lb1EN6thrust23THRUST_200600_302600_NS6detail15normal_iteratorINS8_10device_ptrIbEEEESD_NSA_INSB_IiEEEESF_jNS0_19identity_decomposerENS1_16block_id_wrapperIjLb0EEEEE10hipError_tT1_PNSt15iterator_traitsISK_E10value_typeET2_T3_PNSL_ISQ_E10value_typeET4_T5_PSV_SW_PNS1_23onesweep_lookback_stateEbbT6_jjT7_P12ihipStream_tbENKUlT_T0_SK_SP_E_clISD_SD_SF_SF_EEDaS13_S14_SK_SP_EUlS13_E_NS1_11comp_targetILNS1_3genE4ELNS1_11target_archE910ELNS1_3gpuE8ELNS1_3repE0EEENS1_47radix_sort_onesweep_sort_config_static_selectorELNS0_4arch9wavefront6targetE1EEEvSK_
	.p2align	8
	.type	_ZN7rocprim17ROCPRIM_400000_NS6detail17trampoline_kernelINS0_14default_configENS1_35radix_sort_onesweep_config_selectorIbiEEZZNS1_29radix_sort_onesweep_iterationIS3_Lb1EN6thrust23THRUST_200600_302600_NS6detail15normal_iteratorINS8_10device_ptrIbEEEESD_NSA_INSB_IiEEEESF_jNS0_19identity_decomposerENS1_16block_id_wrapperIjLb0EEEEE10hipError_tT1_PNSt15iterator_traitsISK_E10value_typeET2_T3_PNSL_ISQ_E10value_typeET4_T5_PSV_SW_PNS1_23onesweep_lookback_stateEbbT6_jjT7_P12ihipStream_tbENKUlT_T0_SK_SP_E_clISD_SD_SF_SF_EEDaS13_S14_SK_SP_EUlS13_E_NS1_11comp_targetILNS1_3genE4ELNS1_11target_archE910ELNS1_3gpuE8ELNS1_3repE0EEENS1_47radix_sort_onesweep_sort_config_static_selectorELNS0_4arch9wavefront6targetE1EEEvSK_,@function
_ZN7rocprim17ROCPRIM_400000_NS6detail17trampoline_kernelINS0_14default_configENS1_35radix_sort_onesweep_config_selectorIbiEEZZNS1_29radix_sort_onesweep_iterationIS3_Lb1EN6thrust23THRUST_200600_302600_NS6detail15normal_iteratorINS8_10device_ptrIbEEEESD_NSA_INSB_IiEEEESF_jNS0_19identity_decomposerENS1_16block_id_wrapperIjLb0EEEEE10hipError_tT1_PNSt15iterator_traitsISK_E10value_typeET2_T3_PNSL_ISQ_E10value_typeET4_T5_PSV_SW_PNS1_23onesweep_lookback_stateEbbT6_jjT7_P12ihipStream_tbENKUlT_T0_SK_SP_E_clISD_SD_SF_SF_EEDaS13_S14_SK_SP_EUlS13_E_NS1_11comp_targetILNS1_3genE4ELNS1_11target_archE910ELNS1_3gpuE8ELNS1_3repE0EEENS1_47radix_sort_onesweep_sort_config_static_selectorELNS0_4arch9wavefront6targetE1EEEvSK_: ; @_ZN7rocprim17ROCPRIM_400000_NS6detail17trampoline_kernelINS0_14default_configENS1_35radix_sort_onesweep_config_selectorIbiEEZZNS1_29radix_sort_onesweep_iterationIS3_Lb1EN6thrust23THRUST_200600_302600_NS6detail15normal_iteratorINS8_10device_ptrIbEEEESD_NSA_INSB_IiEEEESF_jNS0_19identity_decomposerENS1_16block_id_wrapperIjLb0EEEEE10hipError_tT1_PNSt15iterator_traitsISK_E10value_typeET2_T3_PNSL_ISQ_E10value_typeET4_T5_PSV_SW_PNS1_23onesweep_lookback_stateEbbT6_jjT7_P12ihipStream_tbENKUlT_T0_SK_SP_E_clISD_SD_SF_SF_EEDaS13_S14_SK_SP_EUlS13_E_NS1_11comp_targetILNS1_3genE4ELNS1_11target_archE910ELNS1_3gpuE8ELNS1_3repE0EEENS1_47radix_sort_onesweep_sort_config_static_selectorELNS0_4arch9wavefront6targetE1EEEvSK_
; %bb.0:
	.section	.rodata,"a",@progbits
	.p2align	6, 0x0
	.amdhsa_kernel _ZN7rocprim17ROCPRIM_400000_NS6detail17trampoline_kernelINS0_14default_configENS1_35radix_sort_onesweep_config_selectorIbiEEZZNS1_29radix_sort_onesweep_iterationIS3_Lb1EN6thrust23THRUST_200600_302600_NS6detail15normal_iteratorINS8_10device_ptrIbEEEESD_NSA_INSB_IiEEEESF_jNS0_19identity_decomposerENS1_16block_id_wrapperIjLb0EEEEE10hipError_tT1_PNSt15iterator_traitsISK_E10value_typeET2_T3_PNSL_ISQ_E10value_typeET4_T5_PSV_SW_PNS1_23onesweep_lookback_stateEbbT6_jjT7_P12ihipStream_tbENKUlT_T0_SK_SP_E_clISD_SD_SF_SF_EEDaS13_S14_SK_SP_EUlS13_E_NS1_11comp_targetILNS1_3genE4ELNS1_11target_archE910ELNS1_3gpuE8ELNS1_3repE0EEENS1_47radix_sort_onesweep_sort_config_static_selectorELNS0_4arch9wavefront6targetE1EEEvSK_
		.amdhsa_group_segment_fixed_size 0
		.amdhsa_private_segment_fixed_size 0
		.amdhsa_kernarg_size 88
		.amdhsa_user_sgpr_count 2
		.amdhsa_user_sgpr_dispatch_ptr 0
		.amdhsa_user_sgpr_queue_ptr 0
		.amdhsa_user_sgpr_kernarg_segment_ptr 1
		.amdhsa_user_sgpr_dispatch_id 0
		.amdhsa_user_sgpr_kernarg_preload_length 0
		.amdhsa_user_sgpr_kernarg_preload_offset 0
		.amdhsa_user_sgpr_private_segment_size 0
		.amdhsa_uses_dynamic_stack 0
		.amdhsa_enable_private_segment 0
		.amdhsa_system_sgpr_workgroup_id_x 1
		.amdhsa_system_sgpr_workgroup_id_y 0
		.amdhsa_system_sgpr_workgroup_id_z 0
		.amdhsa_system_sgpr_workgroup_info 0
		.amdhsa_system_vgpr_workitem_id 0
		.amdhsa_next_free_vgpr 1
		.amdhsa_next_free_sgpr 0
		.amdhsa_accum_offset 4
		.amdhsa_reserve_vcc 0
		.amdhsa_float_round_mode_32 0
		.amdhsa_float_round_mode_16_64 0
		.amdhsa_float_denorm_mode_32 3
		.amdhsa_float_denorm_mode_16_64 3
		.amdhsa_dx10_clamp 1
		.amdhsa_ieee_mode 1
		.amdhsa_fp16_overflow 0
		.amdhsa_tg_split 0
		.amdhsa_exception_fp_ieee_invalid_op 0
		.amdhsa_exception_fp_denorm_src 0
		.amdhsa_exception_fp_ieee_div_zero 0
		.amdhsa_exception_fp_ieee_overflow 0
		.amdhsa_exception_fp_ieee_underflow 0
		.amdhsa_exception_fp_ieee_inexact 0
		.amdhsa_exception_int_div_zero 0
	.end_amdhsa_kernel
	.section	.text._ZN7rocprim17ROCPRIM_400000_NS6detail17trampoline_kernelINS0_14default_configENS1_35radix_sort_onesweep_config_selectorIbiEEZZNS1_29radix_sort_onesweep_iterationIS3_Lb1EN6thrust23THRUST_200600_302600_NS6detail15normal_iteratorINS8_10device_ptrIbEEEESD_NSA_INSB_IiEEEESF_jNS0_19identity_decomposerENS1_16block_id_wrapperIjLb0EEEEE10hipError_tT1_PNSt15iterator_traitsISK_E10value_typeET2_T3_PNSL_ISQ_E10value_typeET4_T5_PSV_SW_PNS1_23onesweep_lookback_stateEbbT6_jjT7_P12ihipStream_tbENKUlT_T0_SK_SP_E_clISD_SD_SF_SF_EEDaS13_S14_SK_SP_EUlS13_E_NS1_11comp_targetILNS1_3genE4ELNS1_11target_archE910ELNS1_3gpuE8ELNS1_3repE0EEENS1_47radix_sort_onesweep_sort_config_static_selectorELNS0_4arch9wavefront6targetE1EEEvSK_,"axG",@progbits,_ZN7rocprim17ROCPRIM_400000_NS6detail17trampoline_kernelINS0_14default_configENS1_35radix_sort_onesweep_config_selectorIbiEEZZNS1_29radix_sort_onesweep_iterationIS3_Lb1EN6thrust23THRUST_200600_302600_NS6detail15normal_iteratorINS8_10device_ptrIbEEEESD_NSA_INSB_IiEEEESF_jNS0_19identity_decomposerENS1_16block_id_wrapperIjLb0EEEEE10hipError_tT1_PNSt15iterator_traitsISK_E10value_typeET2_T3_PNSL_ISQ_E10value_typeET4_T5_PSV_SW_PNS1_23onesweep_lookback_stateEbbT6_jjT7_P12ihipStream_tbENKUlT_T0_SK_SP_E_clISD_SD_SF_SF_EEDaS13_S14_SK_SP_EUlS13_E_NS1_11comp_targetILNS1_3genE4ELNS1_11target_archE910ELNS1_3gpuE8ELNS1_3repE0EEENS1_47radix_sort_onesweep_sort_config_static_selectorELNS0_4arch9wavefront6targetE1EEEvSK_,comdat
.Lfunc_end2249:
	.size	_ZN7rocprim17ROCPRIM_400000_NS6detail17trampoline_kernelINS0_14default_configENS1_35radix_sort_onesweep_config_selectorIbiEEZZNS1_29radix_sort_onesweep_iterationIS3_Lb1EN6thrust23THRUST_200600_302600_NS6detail15normal_iteratorINS8_10device_ptrIbEEEESD_NSA_INSB_IiEEEESF_jNS0_19identity_decomposerENS1_16block_id_wrapperIjLb0EEEEE10hipError_tT1_PNSt15iterator_traitsISK_E10value_typeET2_T3_PNSL_ISQ_E10value_typeET4_T5_PSV_SW_PNS1_23onesweep_lookback_stateEbbT6_jjT7_P12ihipStream_tbENKUlT_T0_SK_SP_E_clISD_SD_SF_SF_EEDaS13_S14_SK_SP_EUlS13_E_NS1_11comp_targetILNS1_3genE4ELNS1_11target_archE910ELNS1_3gpuE8ELNS1_3repE0EEENS1_47radix_sort_onesweep_sort_config_static_selectorELNS0_4arch9wavefront6targetE1EEEvSK_, .Lfunc_end2249-_ZN7rocprim17ROCPRIM_400000_NS6detail17trampoline_kernelINS0_14default_configENS1_35radix_sort_onesweep_config_selectorIbiEEZZNS1_29radix_sort_onesweep_iterationIS3_Lb1EN6thrust23THRUST_200600_302600_NS6detail15normal_iteratorINS8_10device_ptrIbEEEESD_NSA_INSB_IiEEEESF_jNS0_19identity_decomposerENS1_16block_id_wrapperIjLb0EEEEE10hipError_tT1_PNSt15iterator_traitsISK_E10value_typeET2_T3_PNSL_ISQ_E10value_typeET4_T5_PSV_SW_PNS1_23onesweep_lookback_stateEbbT6_jjT7_P12ihipStream_tbENKUlT_T0_SK_SP_E_clISD_SD_SF_SF_EEDaS13_S14_SK_SP_EUlS13_E_NS1_11comp_targetILNS1_3genE4ELNS1_11target_archE910ELNS1_3gpuE8ELNS1_3repE0EEENS1_47radix_sort_onesweep_sort_config_static_selectorELNS0_4arch9wavefront6targetE1EEEvSK_
                                        ; -- End function
	.set _ZN7rocprim17ROCPRIM_400000_NS6detail17trampoline_kernelINS0_14default_configENS1_35radix_sort_onesweep_config_selectorIbiEEZZNS1_29radix_sort_onesweep_iterationIS3_Lb1EN6thrust23THRUST_200600_302600_NS6detail15normal_iteratorINS8_10device_ptrIbEEEESD_NSA_INSB_IiEEEESF_jNS0_19identity_decomposerENS1_16block_id_wrapperIjLb0EEEEE10hipError_tT1_PNSt15iterator_traitsISK_E10value_typeET2_T3_PNSL_ISQ_E10value_typeET4_T5_PSV_SW_PNS1_23onesweep_lookback_stateEbbT6_jjT7_P12ihipStream_tbENKUlT_T0_SK_SP_E_clISD_SD_SF_SF_EEDaS13_S14_SK_SP_EUlS13_E_NS1_11comp_targetILNS1_3genE4ELNS1_11target_archE910ELNS1_3gpuE8ELNS1_3repE0EEENS1_47radix_sort_onesweep_sort_config_static_selectorELNS0_4arch9wavefront6targetE1EEEvSK_.num_vgpr, 0
	.set _ZN7rocprim17ROCPRIM_400000_NS6detail17trampoline_kernelINS0_14default_configENS1_35radix_sort_onesweep_config_selectorIbiEEZZNS1_29radix_sort_onesweep_iterationIS3_Lb1EN6thrust23THRUST_200600_302600_NS6detail15normal_iteratorINS8_10device_ptrIbEEEESD_NSA_INSB_IiEEEESF_jNS0_19identity_decomposerENS1_16block_id_wrapperIjLb0EEEEE10hipError_tT1_PNSt15iterator_traitsISK_E10value_typeET2_T3_PNSL_ISQ_E10value_typeET4_T5_PSV_SW_PNS1_23onesweep_lookback_stateEbbT6_jjT7_P12ihipStream_tbENKUlT_T0_SK_SP_E_clISD_SD_SF_SF_EEDaS13_S14_SK_SP_EUlS13_E_NS1_11comp_targetILNS1_3genE4ELNS1_11target_archE910ELNS1_3gpuE8ELNS1_3repE0EEENS1_47radix_sort_onesweep_sort_config_static_selectorELNS0_4arch9wavefront6targetE1EEEvSK_.num_agpr, 0
	.set _ZN7rocprim17ROCPRIM_400000_NS6detail17trampoline_kernelINS0_14default_configENS1_35radix_sort_onesweep_config_selectorIbiEEZZNS1_29radix_sort_onesweep_iterationIS3_Lb1EN6thrust23THRUST_200600_302600_NS6detail15normal_iteratorINS8_10device_ptrIbEEEESD_NSA_INSB_IiEEEESF_jNS0_19identity_decomposerENS1_16block_id_wrapperIjLb0EEEEE10hipError_tT1_PNSt15iterator_traitsISK_E10value_typeET2_T3_PNSL_ISQ_E10value_typeET4_T5_PSV_SW_PNS1_23onesweep_lookback_stateEbbT6_jjT7_P12ihipStream_tbENKUlT_T0_SK_SP_E_clISD_SD_SF_SF_EEDaS13_S14_SK_SP_EUlS13_E_NS1_11comp_targetILNS1_3genE4ELNS1_11target_archE910ELNS1_3gpuE8ELNS1_3repE0EEENS1_47radix_sort_onesweep_sort_config_static_selectorELNS0_4arch9wavefront6targetE1EEEvSK_.numbered_sgpr, 0
	.set _ZN7rocprim17ROCPRIM_400000_NS6detail17trampoline_kernelINS0_14default_configENS1_35radix_sort_onesweep_config_selectorIbiEEZZNS1_29radix_sort_onesweep_iterationIS3_Lb1EN6thrust23THRUST_200600_302600_NS6detail15normal_iteratorINS8_10device_ptrIbEEEESD_NSA_INSB_IiEEEESF_jNS0_19identity_decomposerENS1_16block_id_wrapperIjLb0EEEEE10hipError_tT1_PNSt15iterator_traitsISK_E10value_typeET2_T3_PNSL_ISQ_E10value_typeET4_T5_PSV_SW_PNS1_23onesweep_lookback_stateEbbT6_jjT7_P12ihipStream_tbENKUlT_T0_SK_SP_E_clISD_SD_SF_SF_EEDaS13_S14_SK_SP_EUlS13_E_NS1_11comp_targetILNS1_3genE4ELNS1_11target_archE910ELNS1_3gpuE8ELNS1_3repE0EEENS1_47radix_sort_onesweep_sort_config_static_selectorELNS0_4arch9wavefront6targetE1EEEvSK_.num_named_barrier, 0
	.set _ZN7rocprim17ROCPRIM_400000_NS6detail17trampoline_kernelINS0_14default_configENS1_35radix_sort_onesweep_config_selectorIbiEEZZNS1_29radix_sort_onesweep_iterationIS3_Lb1EN6thrust23THRUST_200600_302600_NS6detail15normal_iteratorINS8_10device_ptrIbEEEESD_NSA_INSB_IiEEEESF_jNS0_19identity_decomposerENS1_16block_id_wrapperIjLb0EEEEE10hipError_tT1_PNSt15iterator_traitsISK_E10value_typeET2_T3_PNSL_ISQ_E10value_typeET4_T5_PSV_SW_PNS1_23onesweep_lookback_stateEbbT6_jjT7_P12ihipStream_tbENKUlT_T0_SK_SP_E_clISD_SD_SF_SF_EEDaS13_S14_SK_SP_EUlS13_E_NS1_11comp_targetILNS1_3genE4ELNS1_11target_archE910ELNS1_3gpuE8ELNS1_3repE0EEENS1_47radix_sort_onesweep_sort_config_static_selectorELNS0_4arch9wavefront6targetE1EEEvSK_.private_seg_size, 0
	.set _ZN7rocprim17ROCPRIM_400000_NS6detail17trampoline_kernelINS0_14default_configENS1_35radix_sort_onesweep_config_selectorIbiEEZZNS1_29radix_sort_onesweep_iterationIS3_Lb1EN6thrust23THRUST_200600_302600_NS6detail15normal_iteratorINS8_10device_ptrIbEEEESD_NSA_INSB_IiEEEESF_jNS0_19identity_decomposerENS1_16block_id_wrapperIjLb0EEEEE10hipError_tT1_PNSt15iterator_traitsISK_E10value_typeET2_T3_PNSL_ISQ_E10value_typeET4_T5_PSV_SW_PNS1_23onesweep_lookback_stateEbbT6_jjT7_P12ihipStream_tbENKUlT_T0_SK_SP_E_clISD_SD_SF_SF_EEDaS13_S14_SK_SP_EUlS13_E_NS1_11comp_targetILNS1_3genE4ELNS1_11target_archE910ELNS1_3gpuE8ELNS1_3repE0EEENS1_47radix_sort_onesweep_sort_config_static_selectorELNS0_4arch9wavefront6targetE1EEEvSK_.uses_vcc, 0
	.set _ZN7rocprim17ROCPRIM_400000_NS6detail17trampoline_kernelINS0_14default_configENS1_35radix_sort_onesweep_config_selectorIbiEEZZNS1_29radix_sort_onesweep_iterationIS3_Lb1EN6thrust23THRUST_200600_302600_NS6detail15normal_iteratorINS8_10device_ptrIbEEEESD_NSA_INSB_IiEEEESF_jNS0_19identity_decomposerENS1_16block_id_wrapperIjLb0EEEEE10hipError_tT1_PNSt15iterator_traitsISK_E10value_typeET2_T3_PNSL_ISQ_E10value_typeET4_T5_PSV_SW_PNS1_23onesweep_lookback_stateEbbT6_jjT7_P12ihipStream_tbENKUlT_T0_SK_SP_E_clISD_SD_SF_SF_EEDaS13_S14_SK_SP_EUlS13_E_NS1_11comp_targetILNS1_3genE4ELNS1_11target_archE910ELNS1_3gpuE8ELNS1_3repE0EEENS1_47radix_sort_onesweep_sort_config_static_selectorELNS0_4arch9wavefront6targetE1EEEvSK_.uses_flat_scratch, 0
	.set _ZN7rocprim17ROCPRIM_400000_NS6detail17trampoline_kernelINS0_14default_configENS1_35radix_sort_onesweep_config_selectorIbiEEZZNS1_29radix_sort_onesweep_iterationIS3_Lb1EN6thrust23THRUST_200600_302600_NS6detail15normal_iteratorINS8_10device_ptrIbEEEESD_NSA_INSB_IiEEEESF_jNS0_19identity_decomposerENS1_16block_id_wrapperIjLb0EEEEE10hipError_tT1_PNSt15iterator_traitsISK_E10value_typeET2_T3_PNSL_ISQ_E10value_typeET4_T5_PSV_SW_PNS1_23onesweep_lookback_stateEbbT6_jjT7_P12ihipStream_tbENKUlT_T0_SK_SP_E_clISD_SD_SF_SF_EEDaS13_S14_SK_SP_EUlS13_E_NS1_11comp_targetILNS1_3genE4ELNS1_11target_archE910ELNS1_3gpuE8ELNS1_3repE0EEENS1_47radix_sort_onesweep_sort_config_static_selectorELNS0_4arch9wavefront6targetE1EEEvSK_.has_dyn_sized_stack, 0
	.set _ZN7rocprim17ROCPRIM_400000_NS6detail17trampoline_kernelINS0_14default_configENS1_35radix_sort_onesweep_config_selectorIbiEEZZNS1_29radix_sort_onesweep_iterationIS3_Lb1EN6thrust23THRUST_200600_302600_NS6detail15normal_iteratorINS8_10device_ptrIbEEEESD_NSA_INSB_IiEEEESF_jNS0_19identity_decomposerENS1_16block_id_wrapperIjLb0EEEEE10hipError_tT1_PNSt15iterator_traitsISK_E10value_typeET2_T3_PNSL_ISQ_E10value_typeET4_T5_PSV_SW_PNS1_23onesweep_lookback_stateEbbT6_jjT7_P12ihipStream_tbENKUlT_T0_SK_SP_E_clISD_SD_SF_SF_EEDaS13_S14_SK_SP_EUlS13_E_NS1_11comp_targetILNS1_3genE4ELNS1_11target_archE910ELNS1_3gpuE8ELNS1_3repE0EEENS1_47radix_sort_onesweep_sort_config_static_selectorELNS0_4arch9wavefront6targetE1EEEvSK_.has_recursion, 0
	.set _ZN7rocprim17ROCPRIM_400000_NS6detail17trampoline_kernelINS0_14default_configENS1_35radix_sort_onesweep_config_selectorIbiEEZZNS1_29radix_sort_onesweep_iterationIS3_Lb1EN6thrust23THRUST_200600_302600_NS6detail15normal_iteratorINS8_10device_ptrIbEEEESD_NSA_INSB_IiEEEESF_jNS0_19identity_decomposerENS1_16block_id_wrapperIjLb0EEEEE10hipError_tT1_PNSt15iterator_traitsISK_E10value_typeET2_T3_PNSL_ISQ_E10value_typeET4_T5_PSV_SW_PNS1_23onesweep_lookback_stateEbbT6_jjT7_P12ihipStream_tbENKUlT_T0_SK_SP_E_clISD_SD_SF_SF_EEDaS13_S14_SK_SP_EUlS13_E_NS1_11comp_targetILNS1_3genE4ELNS1_11target_archE910ELNS1_3gpuE8ELNS1_3repE0EEENS1_47radix_sort_onesweep_sort_config_static_selectorELNS0_4arch9wavefront6targetE1EEEvSK_.has_indirect_call, 0
	.section	.AMDGPU.csdata,"",@progbits
; Kernel info:
; codeLenInByte = 0
; TotalNumSgprs: 6
; NumVgprs: 0
; NumAgprs: 0
; TotalNumVgprs: 0
; ScratchSize: 0
; MemoryBound: 0
; FloatMode: 240
; IeeeMode: 1
; LDSByteSize: 0 bytes/workgroup (compile time only)
; SGPRBlocks: 0
; VGPRBlocks: 0
; NumSGPRsForWavesPerEU: 6
; NumVGPRsForWavesPerEU: 1
; AccumOffset: 4
; Occupancy: 8
; WaveLimiterHint : 0
; COMPUTE_PGM_RSRC2:SCRATCH_EN: 0
; COMPUTE_PGM_RSRC2:USER_SGPR: 2
; COMPUTE_PGM_RSRC2:TRAP_HANDLER: 0
; COMPUTE_PGM_RSRC2:TGID_X_EN: 1
; COMPUTE_PGM_RSRC2:TGID_Y_EN: 0
; COMPUTE_PGM_RSRC2:TGID_Z_EN: 0
; COMPUTE_PGM_RSRC2:TIDIG_COMP_CNT: 0
; COMPUTE_PGM_RSRC3_GFX90A:ACCUM_OFFSET: 0
; COMPUTE_PGM_RSRC3_GFX90A:TG_SPLIT: 0
	.section	.text._ZN7rocprim17ROCPRIM_400000_NS6detail17trampoline_kernelINS0_14default_configENS1_35radix_sort_onesweep_config_selectorIbiEEZZNS1_29radix_sort_onesweep_iterationIS3_Lb1EN6thrust23THRUST_200600_302600_NS6detail15normal_iteratorINS8_10device_ptrIbEEEESD_NSA_INSB_IiEEEESF_jNS0_19identity_decomposerENS1_16block_id_wrapperIjLb0EEEEE10hipError_tT1_PNSt15iterator_traitsISK_E10value_typeET2_T3_PNSL_ISQ_E10value_typeET4_T5_PSV_SW_PNS1_23onesweep_lookback_stateEbbT6_jjT7_P12ihipStream_tbENKUlT_T0_SK_SP_E_clISD_SD_SF_SF_EEDaS13_S14_SK_SP_EUlS13_E_NS1_11comp_targetILNS1_3genE3ELNS1_11target_archE908ELNS1_3gpuE7ELNS1_3repE0EEENS1_47radix_sort_onesweep_sort_config_static_selectorELNS0_4arch9wavefront6targetE1EEEvSK_,"axG",@progbits,_ZN7rocprim17ROCPRIM_400000_NS6detail17trampoline_kernelINS0_14default_configENS1_35radix_sort_onesweep_config_selectorIbiEEZZNS1_29radix_sort_onesweep_iterationIS3_Lb1EN6thrust23THRUST_200600_302600_NS6detail15normal_iteratorINS8_10device_ptrIbEEEESD_NSA_INSB_IiEEEESF_jNS0_19identity_decomposerENS1_16block_id_wrapperIjLb0EEEEE10hipError_tT1_PNSt15iterator_traitsISK_E10value_typeET2_T3_PNSL_ISQ_E10value_typeET4_T5_PSV_SW_PNS1_23onesweep_lookback_stateEbbT6_jjT7_P12ihipStream_tbENKUlT_T0_SK_SP_E_clISD_SD_SF_SF_EEDaS13_S14_SK_SP_EUlS13_E_NS1_11comp_targetILNS1_3genE3ELNS1_11target_archE908ELNS1_3gpuE7ELNS1_3repE0EEENS1_47radix_sort_onesweep_sort_config_static_selectorELNS0_4arch9wavefront6targetE1EEEvSK_,comdat
	.protected	_ZN7rocprim17ROCPRIM_400000_NS6detail17trampoline_kernelINS0_14default_configENS1_35radix_sort_onesweep_config_selectorIbiEEZZNS1_29radix_sort_onesweep_iterationIS3_Lb1EN6thrust23THRUST_200600_302600_NS6detail15normal_iteratorINS8_10device_ptrIbEEEESD_NSA_INSB_IiEEEESF_jNS0_19identity_decomposerENS1_16block_id_wrapperIjLb0EEEEE10hipError_tT1_PNSt15iterator_traitsISK_E10value_typeET2_T3_PNSL_ISQ_E10value_typeET4_T5_PSV_SW_PNS1_23onesweep_lookback_stateEbbT6_jjT7_P12ihipStream_tbENKUlT_T0_SK_SP_E_clISD_SD_SF_SF_EEDaS13_S14_SK_SP_EUlS13_E_NS1_11comp_targetILNS1_3genE3ELNS1_11target_archE908ELNS1_3gpuE7ELNS1_3repE0EEENS1_47radix_sort_onesweep_sort_config_static_selectorELNS0_4arch9wavefront6targetE1EEEvSK_ ; -- Begin function _ZN7rocprim17ROCPRIM_400000_NS6detail17trampoline_kernelINS0_14default_configENS1_35radix_sort_onesweep_config_selectorIbiEEZZNS1_29radix_sort_onesweep_iterationIS3_Lb1EN6thrust23THRUST_200600_302600_NS6detail15normal_iteratorINS8_10device_ptrIbEEEESD_NSA_INSB_IiEEEESF_jNS0_19identity_decomposerENS1_16block_id_wrapperIjLb0EEEEE10hipError_tT1_PNSt15iterator_traitsISK_E10value_typeET2_T3_PNSL_ISQ_E10value_typeET4_T5_PSV_SW_PNS1_23onesweep_lookback_stateEbbT6_jjT7_P12ihipStream_tbENKUlT_T0_SK_SP_E_clISD_SD_SF_SF_EEDaS13_S14_SK_SP_EUlS13_E_NS1_11comp_targetILNS1_3genE3ELNS1_11target_archE908ELNS1_3gpuE7ELNS1_3repE0EEENS1_47radix_sort_onesweep_sort_config_static_selectorELNS0_4arch9wavefront6targetE1EEEvSK_
	.globl	_ZN7rocprim17ROCPRIM_400000_NS6detail17trampoline_kernelINS0_14default_configENS1_35radix_sort_onesweep_config_selectorIbiEEZZNS1_29radix_sort_onesweep_iterationIS3_Lb1EN6thrust23THRUST_200600_302600_NS6detail15normal_iteratorINS8_10device_ptrIbEEEESD_NSA_INSB_IiEEEESF_jNS0_19identity_decomposerENS1_16block_id_wrapperIjLb0EEEEE10hipError_tT1_PNSt15iterator_traitsISK_E10value_typeET2_T3_PNSL_ISQ_E10value_typeET4_T5_PSV_SW_PNS1_23onesweep_lookback_stateEbbT6_jjT7_P12ihipStream_tbENKUlT_T0_SK_SP_E_clISD_SD_SF_SF_EEDaS13_S14_SK_SP_EUlS13_E_NS1_11comp_targetILNS1_3genE3ELNS1_11target_archE908ELNS1_3gpuE7ELNS1_3repE0EEENS1_47radix_sort_onesweep_sort_config_static_selectorELNS0_4arch9wavefront6targetE1EEEvSK_
	.p2align	8
	.type	_ZN7rocprim17ROCPRIM_400000_NS6detail17trampoline_kernelINS0_14default_configENS1_35radix_sort_onesweep_config_selectorIbiEEZZNS1_29radix_sort_onesweep_iterationIS3_Lb1EN6thrust23THRUST_200600_302600_NS6detail15normal_iteratorINS8_10device_ptrIbEEEESD_NSA_INSB_IiEEEESF_jNS0_19identity_decomposerENS1_16block_id_wrapperIjLb0EEEEE10hipError_tT1_PNSt15iterator_traitsISK_E10value_typeET2_T3_PNSL_ISQ_E10value_typeET4_T5_PSV_SW_PNS1_23onesweep_lookback_stateEbbT6_jjT7_P12ihipStream_tbENKUlT_T0_SK_SP_E_clISD_SD_SF_SF_EEDaS13_S14_SK_SP_EUlS13_E_NS1_11comp_targetILNS1_3genE3ELNS1_11target_archE908ELNS1_3gpuE7ELNS1_3repE0EEENS1_47radix_sort_onesweep_sort_config_static_selectorELNS0_4arch9wavefront6targetE1EEEvSK_,@function
_ZN7rocprim17ROCPRIM_400000_NS6detail17trampoline_kernelINS0_14default_configENS1_35radix_sort_onesweep_config_selectorIbiEEZZNS1_29radix_sort_onesweep_iterationIS3_Lb1EN6thrust23THRUST_200600_302600_NS6detail15normal_iteratorINS8_10device_ptrIbEEEESD_NSA_INSB_IiEEEESF_jNS0_19identity_decomposerENS1_16block_id_wrapperIjLb0EEEEE10hipError_tT1_PNSt15iterator_traitsISK_E10value_typeET2_T3_PNSL_ISQ_E10value_typeET4_T5_PSV_SW_PNS1_23onesweep_lookback_stateEbbT6_jjT7_P12ihipStream_tbENKUlT_T0_SK_SP_E_clISD_SD_SF_SF_EEDaS13_S14_SK_SP_EUlS13_E_NS1_11comp_targetILNS1_3genE3ELNS1_11target_archE908ELNS1_3gpuE7ELNS1_3repE0EEENS1_47radix_sort_onesweep_sort_config_static_selectorELNS0_4arch9wavefront6targetE1EEEvSK_: ; @_ZN7rocprim17ROCPRIM_400000_NS6detail17trampoline_kernelINS0_14default_configENS1_35radix_sort_onesweep_config_selectorIbiEEZZNS1_29radix_sort_onesweep_iterationIS3_Lb1EN6thrust23THRUST_200600_302600_NS6detail15normal_iteratorINS8_10device_ptrIbEEEESD_NSA_INSB_IiEEEESF_jNS0_19identity_decomposerENS1_16block_id_wrapperIjLb0EEEEE10hipError_tT1_PNSt15iterator_traitsISK_E10value_typeET2_T3_PNSL_ISQ_E10value_typeET4_T5_PSV_SW_PNS1_23onesweep_lookback_stateEbbT6_jjT7_P12ihipStream_tbENKUlT_T0_SK_SP_E_clISD_SD_SF_SF_EEDaS13_S14_SK_SP_EUlS13_E_NS1_11comp_targetILNS1_3genE3ELNS1_11target_archE908ELNS1_3gpuE7ELNS1_3repE0EEENS1_47radix_sort_onesweep_sort_config_static_selectorELNS0_4arch9wavefront6targetE1EEEvSK_
; %bb.0:
	.section	.rodata,"a",@progbits
	.p2align	6, 0x0
	.amdhsa_kernel _ZN7rocprim17ROCPRIM_400000_NS6detail17trampoline_kernelINS0_14default_configENS1_35radix_sort_onesweep_config_selectorIbiEEZZNS1_29radix_sort_onesweep_iterationIS3_Lb1EN6thrust23THRUST_200600_302600_NS6detail15normal_iteratorINS8_10device_ptrIbEEEESD_NSA_INSB_IiEEEESF_jNS0_19identity_decomposerENS1_16block_id_wrapperIjLb0EEEEE10hipError_tT1_PNSt15iterator_traitsISK_E10value_typeET2_T3_PNSL_ISQ_E10value_typeET4_T5_PSV_SW_PNS1_23onesweep_lookback_stateEbbT6_jjT7_P12ihipStream_tbENKUlT_T0_SK_SP_E_clISD_SD_SF_SF_EEDaS13_S14_SK_SP_EUlS13_E_NS1_11comp_targetILNS1_3genE3ELNS1_11target_archE908ELNS1_3gpuE7ELNS1_3repE0EEENS1_47radix_sort_onesweep_sort_config_static_selectorELNS0_4arch9wavefront6targetE1EEEvSK_
		.amdhsa_group_segment_fixed_size 0
		.amdhsa_private_segment_fixed_size 0
		.amdhsa_kernarg_size 88
		.amdhsa_user_sgpr_count 2
		.amdhsa_user_sgpr_dispatch_ptr 0
		.amdhsa_user_sgpr_queue_ptr 0
		.amdhsa_user_sgpr_kernarg_segment_ptr 1
		.amdhsa_user_sgpr_dispatch_id 0
		.amdhsa_user_sgpr_kernarg_preload_length 0
		.amdhsa_user_sgpr_kernarg_preload_offset 0
		.amdhsa_user_sgpr_private_segment_size 0
		.amdhsa_uses_dynamic_stack 0
		.amdhsa_enable_private_segment 0
		.amdhsa_system_sgpr_workgroup_id_x 1
		.amdhsa_system_sgpr_workgroup_id_y 0
		.amdhsa_system_sgpr_workgroup_id_z 0
		.amdhsa_system_sgpr_workgroup_info 0
		.amdhsa_system_vgpr_workitem_id 0
		.amdhsa_next_free_vgpr 1
		.amdhsa_next_free_sgpr 0
		.amdhsa_accum_offset 4
		.amdhsa_reserve_vcc 0
		.amdhsa_float_round_mode_32 0
		.amdhsa_float_round_mode_16_64 0
		.amdhsa_float_denorm_mode_32 3
		.amdhsa_float_denorm_mode_16_64 3
		.amdhsa_dx10_clamp 1
		.amdhsa_ieee_mode 1
		.amdhsa_fp16_overflow 0
		.amdhsa_tg_split 0
		.amdhsa_exception_fp_ieee_invalid_op 0
		.amdhsa_exception_fp_denorm_src 0
		.amdhsa_exception_fp_ieee_div_zero 0
		.amdhsa_exception_fp_ieee_overflow 0
		.amdhsa_exception_fp_ieee_underflow 0
		.amdhsa_exception_fp_ieee_inexact 0
		.amdhsa_exception_int_div_zero 0
	.end_amdhsa_kernel
	.section	.text._ZN7rocprim17ROCPRIM_400000_NS6detail17trampoline_kernelINS0_14default_configENS1_35radix_sort_onesweep_config_selectorIbiEEZZNS1_29radix_sort_onesweep_iterationIS3_Lb1EN6thrust23THRUST_200600_302600_NS6detail15normal_iteratorINS8_10device_ptrIbEEEESD_NSA_INSB_IiEEEESF_jNS0_19identity_decomposerENS1_16block_id_wrapperIjLb0EEEEE10hipError_tT1_PNSt15iterator_traitsISK_E10value_typeET2_T3_PNSL_ISQ_E10value_typeET4_T5_PSV_SW_PNS1_23onesweep_lookback_stateEbbT6_jjT7_P12ihipStream_tbENKUlT_T0_SK_SP_E_clISD_SD_SF_SF_EEDaS13_S14_SK_SP_EUlS13_E_NS1_11comp_targetILNS1_3genE3ELNS1_11target_archE908ELNS1_3gpuE7ELNS1_3repE0EEENS1_47radix_sort_onesweep_sort_config_static_selectorELNS0_4arch9wavefront6targetE1EEEvSK_,"axG",@progbits,_ZN7rocprim17ROCPRIM_400000_NS6detail17trampoline_kernelINS0_14default_configENS1_35radix_sort_onesweep_config_selectorIbiEEZZNS1_29radix_sort_onesweep_iterationIS3_Lb1EN6thrust23THRUST_200600_302600_NS6detail15normal_iteratorINS8_10device_ptrIbEEEESD_NSA_INSB_IiEEEESF_jNS0_19identity_decomposerENS1_16block_id_wrapperIjLb0EEEEE10hipError_tT1_PNSt15iterator_traitsISK_E10value_typeET2_T3_PNSL_ISQ_E10value_typeET4_T5_PSV_SW_PNS1_23onesweep_lookback_stateEbbT6_jjT7_P12ihipStream_tbENKUlT_T0_SK_SP_E_clISD_SD_SF_SF_EEDaS13_S14_SK_SP_EUlS13_E_NS1_11comp_targetILNS1_3genE3ELNS1_11target_archE908ELNS1_3gpuE7ELNS1_3repE0EEENS1_47radix_sort_onesweep_sort_config_static_selectorELNS0_4arch9wavefront6targetE1EEEvSK_,comdat
.Lfunc_end2250:
	.size	_ZN7rocprim17ROCPRIM_400000_NS6detail17trampoline_kernelINS0_14default_configENS1_35radix_sort_onesweep_config_selectorIbiEEZZNS1_29radix_sort_onesweep_iterationIS3_Lb1EN6thrust23THRUST_200600_302600_NS6detail15normal_iteratorINS8_10device_ptrIbEEEESD_NSA_INSB_IiEEEESF_jNS0_19identity_decomposerENS1_16block_id_wrapperIjLb0EEEEE10hipError_tT1_PNSt15iterator_traitsISK_E10value_typeET2_T3_PNSL_ISQ_E10value_typeET4_T5_PSV_SW_PNS1_23onesweep_lookback_stateEbbT6_jjT7_P12ihipStream_tbENKUlT_T0_SK_SP_E_clISD_SD_SF_SF_EEDaS13_S14_SK_SP_EUlS13_E_NS1_11comp_targetILNS1_3genE3ELNS1_11target_archE908ELNS1_3gpuE7ELNS1_3repE0EEENS1_47radix_sort_onesweep_sort_config_static_selectorELNS0_4arch9wavefront6targetE1EEEvSK_, .Lfunc_end2250-_ZN7rocprim17ROCPRIM_400000_NS6detail17trampoline_kernelINS0_14default_configENS1_35radix_sort_onesweep_config_selectorIbiEEZZNS1_29radix_sort_onesweep_iterationIS3_Lb1EN6thrust23THRUST_200600_302600_NS6detail15normal_iteratorINS8_10device_ptrIbEEEESD_NSA_INSB_IiEEEESF_jNS0_19identity_decomposerENS1_16block_id_wrapperIjLb0EEEEE10hipError_tT1_PNSt15iterator_traitsISK_E10value_typeET2_T3_PNSL_ISQ_E10value_typeET4_T5_PSV_SW_PNS1_23onesweep_lookback_stateEbbT6_jjT7_P12ihipStream_tbENKUlT_T0_SK_SP_E_clISD_SD_SF_SF_EEDaS13_S14_SK_SP_EUlS13_E_NS1_11comp_targetILNS1_3genE3ELNS1_11target_archE908ELNS1_3gpuE7ELNS1_3repE0EEENS1_47radix_sort_onesweep_sort_config_static_selectorELNS0_4arch9wavefront6targetE1EEEvSK_
                                        ; -- End function
	.set _ZN7rocprim17ROCPRIM_400000_NS6detail17trampoline_kernelINS0_14default_configENS1_35radix_sort_onesweep_config_selectorIbiEEZZNS1_29radix_sort_onesweep_iterationIS3_Lb1EN6thrust23THRUST_200600_302600_NS6detail15normal_iteratorINS8_10device_ptrIbEEEESD_NSA_INSB_IiEEEESF_jNS0_19identity_decomposerENS1_16block_id_wrapperIjLb0EEEEE10hipError_tT1_PNSt15iterator_traitsISK_E10value_typeET2_T3_PNSL_ISQ_E10value_typeET4_T5_PSV_SW_PNS1_23onesweep_lookback_stateEbbT6_jjT7_P12ihipStream_tbENKUlT_T0_SK_SP_E_clISD_SD_SF_SF_EEDaS13_S14_SK_SP_EUlS13_E_NS1_11comp_targetILNS1_3genE3ELNS1_11target_archE908ELNS1_3gpuE7ELNS1_3repE0EEENS1_47radix_sort_onesweep_sort_config_static_selectorELNS0_4arch9wavefront6targetE1EEEvSK_.num_vgpr, 0
	.set _ZN7rocprim17ROCPRIM_400000_NS6detail17trampoline_kernelINS0_14default_configENS1_35radix_sort_onesweep_config_selectorIbiEEZZNS1_29radix_sort_onesweep_iterationIS3_Lb1EN6thrust23THRUST_200600_302600_NS6detail15normal_iteratorINS8_10device_ptrIbEEEESD_NSA_INSB_IiEEEESF_jNS0_19identity_decomposerENS1_16block_id_wrapperIjLb0EEEEE10hipError_tT1_PNSt15iterator_traitsISK_E10value_typeET2_T3_PNSL_ISQ_E10value_typeET4_T5_PSV_SW_PNS1_23onesweep_lookback_stateEbbT6_jjT7_P12ihipStream_tbENKUlT_T0_SK_SP_E_clISD_SD_SF_SF_EEDaS13_S14_SK_SP_EUlS13_E_NS1_11comp_targetILNS1_3genE3ELNS1_11target_archE908ELNS1_3gpuE7ELNS1_3repE0EEENS1_47radix_sort_onesweep_sort_config_static_selectorELNS0_4arch9wavefront6targetE1EEEvSK_.num_agpr, 0
	.set _ZN7rocprim17ROCPRIM_400000_NS6detail17trampoline_kernelINS0_14default_configENS1_35radix_sort_onesweep_config_selectorIbiEEZZNS1_29radix_sort_onesweep_iterationIS3_Lb1EN6thrust23THRUST_200600_302600_NS6detail15normal_iteratorINS8_10device_ptrIbEEEESD_NSA_INSB_IiEEEESF_jNS0_19identity_decomposerENS1_16block_id_wrapperIjLb0EEEEE10hipError_tT1_PNSt15iterator_traitsISK_E10value_typeET2_T3_PNSL_ISQ_E10value_typeET4_T5_PSV_SW_PNS1_23onesweep_lookback_stateEbbT6_jjT7_P12ihipStream_tbENKUlT_T0_SK_SP_E_clISD_SD_SF_SF_EEDaS13_S14_SK_SP_EUlS13_E_NS1_11comp_targetILNS1_3genE3ELNS1_11target_archE908ELNS1_3gpuE7ELNS1_3repE0EEENS1_47radix_sort_onesweep_sort_config_static_selectorELNS0_4arch9wavefront6targetE1EEEvSK_.numbered_sgpr, 0
	.set _ZN7rocprim17ROCPRIM_400000_NS6detail17trampoline_kernelINS0_14default_configENS1_35radix_sort_onesweep_config_selectorIbiEEZZNS1_29radix_sort_onesweep_iterationIS3_Lb1EN6thrust23THRUST_200600_302600_NS6detail15normal_iteratorINS8_10device_ptrIbEEEESD_NSA_INSB_IiEEEESF_jNS0_19identity_decomposerENS1_16block_id_wrapperIjLb0EEEEE10hipError_tT1_PNSt15iterator_traitsISK_E10value_typeET2_T3_PNSL_ISQ_E10value_typeET4_T5_PSV_SW_PNS1_23onesweep_lookback_stateEbbT6_jjT7_P12ihipStream_tbENKUlT_T0_SK_SP_E_clISD_SD_SF_SF_EEDaS13_S14_SK_SP_EUlS13_E_NS1_11comp_targetILNS1_3genE3ELNS1_11target_archE908ELNS1_3gpuE7ELNS1_3repE0EEENS1_47radix_sort_onesweep_sort_config_static_selectorELNS0_4arch9wavefront6targetE1EEEvSK_.num_named_barrier, 0
	.set _ZN7rocprim17ROCPRIM_400000_NS6detail17trampoline_kernelINS0_14default_configENS1_35radix_sort_onesweep_config_selectorIbiEEZZNS1_29radix_sort_onesweep_iterationIS3_Lb1EN6thrust23THRUST_200600_302600_NS6detail15normal_iteratorINS8_10device_ptrIbEEEESD_NSA_INSB_IiEEEESF_jNS0_19identity_decomposerENS1_16block_id_wrapperIjLb0EEEEE10hipError_tT1_PNSt15iterator_traitsISK_E10value_typeET2_T3_PNSL_ISQ_E10value_typeET4_T5_PSV_SW_PNS1_23onesweep_lookback_stateEbbT6_jjT7_P12ihipStream_tbENKUlT_T0_SK_SP_E_clISD_SD_SF_SF_EEDaS13_S14_SK_SP_EUlS13_E_NS1_11comp_targetILNS1_3genE3ELNS1_11target_archE908ELNS1_3gpuE7ELNS1_3repE0EEENS1_47radix_sort_onesweep_sort_config_static_selectorELNS0_4arch9wavefront6targetE1EEEvSK_.private_seg_size, 0
	.set _ZN7rocprim17ROCPRIM_400000_NS6detail17trampoline_kernelINS0_14default_configENS1_35radix_sort_onesweep_config_selectorIbiEEZZNS1_29radix_sort_onesweep_iterationIS3_Lb1EN6thrust23THRUST_200600_302600_NS6detail15normal_iteratorINS8_10device_ptrIbEEEESD_NSA_INSB_IiEEEESF_jNS0_19identity_decomposerENS1_16block_id_wrapperIjLb0EEEEE10hipError_tT1_PNSt15iterator_traitsISK_E10value_typeET2_T3_PNSL_ISQ_E10value_typeET4_T5_PSV_SW_PNS1_23onesweep_lookback_stateEbbT6_jjT7_P12ihipStream_tbENKUlT_T0_SK_SP_E_clISD_SD_SF_SF_EEDaS13_S14_SK_SP_EUlS13_E_NS1_11comp_targetILNS1_3genE3ELNS1_11target_archE908ELNS1_3gpuE7ELNS1_3repE0EEENS1_47radix_sort_onesweep_sort_config_static_selectorELNS0_4arch9wavefront6targetE1EEEvSK_.uses_vcc, 0
	.set _ZN7rocprim17ROCPRIM_400000_NS6detail17trampoline_kernelINS0_14default_configENS1_35radix_sort_onesweep_config_selectorIbiEEZZNS1_29radix_sort_onesweep_iterationIS3_Lb1EN6thrust23THRUST_200600_302600_NS6detail15normal_iteratorINS8_10device_ptrIbEEEESD_NSA_INSB_IiEEEESF_jNS0_19identity_decomposerENS1_16block_id_wrapperIjLb0EEEEE10hipError_tT1_PNSt15iterator_traitsISK_E10value_typeET2_T3_PNSL_ISQ_E10value_typeET4_T5_PSV_SW_PNS1_23onesweep_lookback_stateEbbT6_jjT7_P12ihipStream_tbENKUlT_T0_SK_SP_E_clISD_SD_SF_SF_EEDaS13_S14_SK_SP_EUlS13_E_NS1_11comp_targetILNS1_3genE3ELNS1_11target_archE908ELNS1_3gpuE7ELNS1_3repE0EEENS1_47radix_sort_onesweep_sort_config_static_selectorELNS0_4arch9wavefront6targetE1EEEvSK_.uses_flat_scratch, 0
	.set _ZN7rocprim17ROCPRIM_400000_NS6detail17trampoline_kernelINS0_14default_configENS1_35radix_sort_onesweep_config_selectorIbiEEZZNS1_29radix_sort_onesweep_iterationIS3_Lb1EN6thrust23THRUST_200600_302600_NS6detail15normal_iteratorINS8_10device_ptrIbEEEESD_NSA_INSB_IiEEEESF_jNS0_19identity_decomposerENS1_16block_id_wrapperIjLb0EEEEE10hipError_tT1_PNSt15iterator_traitsISK_E10value_typeET2_T3_PNSL_ISQ_E10value_typeET4_T5_PSV_SW_PNS1_23onesweep_lookback_stateEbbT6_jjT7_P12ihipStream_tbENKUlT_T0_SK_SP_E_clISD_SD_SF_SF_EEDaS13_S14_SK_SP_EUlS13_E_NS1_11comp_targetILNS1_3genE3ELNS1_11target_archE908ELNS1_3gpuE7ELNS1_3repE0EEENS1_47radix_sort_onesweep_sort_config_static_selectorELNS0_4arch9wavefront6targetE1EEEvSK_.has_dyn_sized_stack, 0
	.set _ZN7rocprim17ROCPRIM_400000_NS6detail17trampoline_kernelINS0_14default_configENS1_35radix_sort_onesweep_config_selectorIbiEEZZNS1_29radix_sort_onesweep_iterationIS3_Lb1EN6thrust23THRUST_200600_302600_NS6detail15normal_iteratorINS8_10device_ptrIbEEEESD_NSA_INSB_IiEEEESF_jNS0_19identity_decomposerENS1_16block_id_wrapperIjLb0EEEEE10hipError_tT1_PNSt15iterator_traitsISK_E10value_typeET2_T3_PNSL_ISQ_E10value_typeET4_T5_PSV_SW_PNS1_23onesweep_lookback_stateEbbT6_jjT7_P12ihipStream_tbENKUlT_T0_SK_SP_E_clISD_SD_SF_SF_EEDaS13_S14_SK_SP_EUlS13_E_NS1_11comp_targetILNS1_3genE3ELNS1_11target_archE908ELNS1_3gpuE7ELNS1_3repE0EEENS1_47radix_sort_onesweep_sort_config_static_selectorELNS0_4arch9wavefront6targetE1EEEvSK_.has_recursion, 0
	.set _ZN7rocprim17ROCPRIM_400000_NS6detail17trampoline_kernelINS0_14default_configENS1_35radix_sort_onesweep_config_selectorIbiEEZZNS1_29radix_sort_onesweep_iterationIS3_Lb1EN6thrust23THRUST_200600_302600_NS6detail15normal_iteratorINS8_10device_ptrIbEEEESD_NSA_INSB_IiEEEESF_jNS0_19identity_decomposerENS1_16block_id_wrapperIjLb0EEEEE10hipError_tT1_PNSt15iterator_traitsISK_E10value_typeET2_T3_PNSL_ISQ_E10value_typeET4_T5_PSV_SW_PNS1_23onesweep_lookback_stateEbbT6_jjT7_P12ihipStream_tbENKUlT_T0_SK_SP_E_clISD_SD_SF_SF_EEDaS13_S14_SK_SP_EUlS13_E_NS1_11comp_targetILNS1_3genE3ELNS1_11target_archE908ELNS1_3gpuE7ELNS1_3repE0EEENS1_47radix_sort_onesweep_sort_config_static_selectorELNS0_4arch9wavefront6targetE1EEEvSK_.has_indirect_call, 0
	.section	.AMDGPU.csdata,"",@progbits
; Kernel info:
; codeLenInByte = 0
; TotalNumSgprs: 6
; NumVgprs: 0
; NumAgprs: 0
; TotalNumVgprs: 0
; ScratchSize: 0
; MemoryBound: 0
; FloatMode: 240
; IeeeMode: 1
; LDSByteSize: 0 bytes/workgroup (compile time only)
; SGPRBlocks: 0
; VGPRBlocks: 0
; NumSGPRsForWavesPerEU: 6
; NumVGPRsForWavesPerEU: 1
; AccumOffset: 4
; Occupancy: 8
; WaveLimiterHint : 0
; COMPUTE_PGM_RSRC2:SCRATCH_EN: 0
; COMPUTE_PGM_RSRC2:USER_SGPR: 2
; COMPUTE_PGM_RSRC2:TRAP_HANDLER: 0
; COMPUTE_PGM_RSRC2:TGID_X_EN: 1
; COMPUTE_PGM_RSRC2:TGID_Y_EN: 0
; COMPUTE_PGM_RSRC2:TGID_Z_EN: 0
; COMPUTE_PGM_RSRC2:TIDIG_COMP_CNT: 0
; COMPUTE_PGM_RSRC3_GFX90A:ACCUM_OFFSET: 0
; COMPUTE_PGM_RSRC3_GFX90A:TG_SPLIT: 0
	.section	.text._ZN7rocprim17ROCPRIM_400000_NS6detail17trampoline_kernelINS0_14default_configENS1_35radix_sort_onesweep_config_selectorIbiEEZZNS1_29radix_sort_onesweep_iterationIS3_Lb1EN6thrust23THRUST_200600_302600_NS6detail15normal_iteratorINS8_10device_ptrIbEEEESD_NSA_INSB_IiEEEESF_jNS0_19identity_decomposerENS1_16block_id_wrapperIjLb0EEEEE10hipError_tT1_PNSt15iterator_traitsISK_E10value_typeET2_T3_PNSL_ISQ_E10value_typeET4_T5_PSV_SW_PNS1_23onesweep_lookback_stateEbbT6_jjT7_P12ihipStream_tbENKUlT_T0_SK_SP_E_clISD_SD_SF_SF_EEDaS13_S14_SK_SP_EUlS13_E_NS1_11comp_targetILNS1_3genE10ELNS1_11target_archE1201ELNS1_3gpuE5ELNS1_3repE0EEENS1_47radix_sort_onesweep_sort_config_static_selectorELNS0_4arch9wavefront6targetE1EEEvSK_,"axG",@progbits,_ZN7rocprim17ROCPRIM_400000_NS6detail17trampoline_kernelINS0_14default_configENS1_35radix_sort_onesweep_config_selectorIbiEEZZNS1_29radix_sort_onesweep_iterationIS3_Lb1EN6thrust23THRUST_200600_302600_NS6detail15normal_iteratorINS8_10device_ptrIbEEEESD_NSA_INSB_IiEEEESF_jNS0_19identity_decomposerENS1_16block_id_wrapperIjLb0EEEEE10hipError_tT1_PNSt15iterator_traitsISK_E10value_typeET2_T3_PNSL_ISQ_E10value_typeET4_T5_PSV_SW_PNS1_23onesweep_lookback_stateEbbT6_jjT7_P12ihipStream_tbENKUlT_T0_SK_SP_E_clISD_SD_SF_SF_EEDaS13_S14_SK_SP_EUlS13_E_NS1_11comp_targetILNS1_3genE10ELNS1_11target_archE1201ELNS1_3gpuE5ELNS1_3repE0EEENS1_47radix_sort_onesweep_sort_config_static_selectorELNS0_4arch9wavefront6targetE1EEEvSK_,comdat
	.protected	_ZN7rocprim17ROCPRIM_400000_NS6detail17trampoline_kernelINS0_14default_configENS1_35radix_sort_onesweep_config_selectorIbiEEZZNS1_29radix_sort_onesweep_iterationIS3_Lb1EN6thrust23THRUST_200600_302600_NS6detail15normal_iteratorINS8_10device_ptrIbEEEESD_NSA_INSB_IiEEEESF_jNS0_19identity_decomposerENS1_16block_id_wrapperIjLb0EEEEE10hipError_tT1_PNSt15iterator_traitsISK_E10value_typeET2_T3_PNSL_ISQ_E10value_typeET4_T5_PSV_SW_PNS1_23onesweep_lookback_stateEbbT6_jjT7_P12ihipStream_tbENKUlT_T0_SK_SP_E_clISD_SD_SF_SF_EEDaS13_S14_SK_SP_EUlS13_E_NS1_11comp_targetILNS1_3genE10ELNS1_11target_archE1201ELNS1_3gpuE5ELNS1_3repE0EEENS1_47radix_sort_onesweep_sort_config_static_selectorELNS0_4arch9wavefront6targetE1EEEvSK_ ; -- Begin function _ZN7rocprim17ROCPRIM_400000_NS6detail17trampoline_kernelINS0_14default_configENS1_35radix_sort_onesweep_config_selectorIbiEEZZNS1_29radix_sort_onesweep_iterationIS3_Lb1EN6thrust23THRUST_200600_302600_NS6detail15normal_iteratorINS8_10device_ptrIbEEEESD_NSA_INSB_IiEEEESF_jNS0_19identity_decomposerENS1_16block_id_wrapperIjLb0EEEEE10hipError_tT1_PNSt15iterator_traitsISK_E10value_typeET2_T3_PNSL_ISQ_E10value_typeET4_T5_PSV_SW_PNS1_23onesweep_lookback_stateEbbT6_jjT7_P12ihipStream_tbENKUlT_T0_SK_SP_E_clISD_SD_SF_SF_EEDaS13_S14_SK_SP_EUlS13_E_NS1_11comp_targetILNS1_3genE10ELNS1_11target_archE1201ELNS1_3gpuE5ELNS1_3repE0EEENS1_47radix_sort_onesweep_sort_config_static_selectorELNS0_4arch9wavefront6targetE1EEEvSK_
	.globl	_ZN7rocprim17ROCPRIM_400000_NS6detail17trampoline_kernelINS0_14default_configENS1_35radix_sort_onesweep_config_selectorIbiEEZZNS1_29radix_sort_onesweep_iterationIS3_Lb1EN6thrust23THRUST_200600_302600_NS6detail15normal_iteratorINS8_10device_ptrIbEEEESD_NSA_INSB_IiEEEESF_jNS0_19identity_decomposerENS1_16block_id_wrapperIjLb0EEEEE10hipError_tT1_PNSt15iterator_traitsISK_E10value_typeET2_T3_PNSL_ISQ_E10value_typeET4_T5_PSV_SW_PNS1_23onesweep_lookback_stateEbbT6_jjT7_P12ihipStream_tbENKUlT_T0_SK_SP_E_clISD_SD_SF_SF_EEDaS13_S14_SK_SP_EUlS13_E_NS1_11comp_targetILNS1_3genE10ELNS1_11target_archE1201ELNS1_3gpuE5ELNS1_3repE0EEENS1_47radix_sort_onesweep_sort_config_static_selectorELNS0_4arch9wavefront6targetE1EEEvSK_
	.p2align	8
	.type	_ZN7rocprim17ROCPRIM_400000_NS6detail17trampoline_kernelINS0_14default_configENS1_35radix_sort_onesweep_config_selectorIbiEEZZNS1_29radix_sort_onesweep_iterationIS3_Lb1EN6thrust23THRUST_200600_302600_NS6detail15normal_iteratorINS8_10device_ptrIbEEEESD_NSA_INSB_IiEEEESF_jNS0_19identity_decomposerENS1_16block_id_wrapperIjLb0EEEEE10hipError_tT1_PNSt15iterator_traitsISK_E10value_typeET2_T3_PNSL_ISQ_E10value_typeET4_T5_PSV_SW_PNS1_23onesweep_lookback_stateEbbT6_jjT7_P12ihipStream_tbENKUlT_T0_SK_SP_E_clISD_SD_SF_SF_EEDaS13_S14_SK_SP_EUlS13_E_NS1_11comp_targetILNS1_3genE10ELNS1_11target_archE1201ELNS1_3gpuE5ELNS1_3repE0EEENS1_47radix_sort_onesweep_sort_config_static_selectorELNS0_4arch9wavefront6targetE1EEEvSK_,@function
_ZN7rocprim17ROCPRIM_400000_NS6detail17trampoline_kernelINS0_14default_configENS1_35radix_sort_onesweep_config_selectorIbiEEZZNS1_29radix_sort_onesweep_iterationIS3_Lb1EN6thrust23THRUST_200600_302600_NS6detail15normal_iteratorINS8_10device_ptrIbEEEESD_NSA_INSB_IiEEEESF_jNS0_19identity_decomposerENS1_16block_id_wrapperIjLb0EEEEE10hipError_tT1_PNSt15iterator_traitsISK_E10value_typeET2_T3_PNSL_ISQ_E10value_typeET4_T5_PSV_SW_PNS1_23onesweep_lookback_stateEbbT6_jjT7_P12ihipStream_tbENKUlT_T0_SK_SP_E_clISD_SD_SF_SF_EEDaS13_S14_SK_SP_EUlS13_E_NS1_11comp_targetILNS1_3genE10ELNS1_11target_archE1201ELNS1_3gpuE5ELNS1_3repE0EEENS1_47radix_sort_onesweep_sort_config_static_selectorELNS0_4arch9wavefront6targetE1EEEvSK_: ; @_ZN7rocprim17ROCPRIM_400000_NS6detail17trampoline_kernelINS0_14default_configENS1_35radix_sort_onesweep_config_selectorIbiEEZZNS1_29radix_sort_onesweep_iterationIS3_Lb1EN6thrust23THRUST_200600_302600_NS6detail15normal_iteratorINS8_10device_ptrIbEEEESD_NSA_INSB_IiEEEESF_jNS0_19identity_decomposerENS1_16block_id_wrapperIjLb0EEEEE10hipError_tT1_PNSt15iterator_traitsISK_E10value_typeET2_T3_PNSL_ISQ_E10value_typeET4_T5_PSV_SW_PNS1_23onesweep_lookback_stateEbbT6_jjT7_P12ihipStream_tbENKUlT_T0_SK_SP_E_clISD_SD_SF_SF_EEDaS13_S14_SK_SP_EUlS13_E_NS1_11comp_targetILNS1_3genE10ELNS1_11target_archE1201ELNS1_3gpuE5ELNS1_3repE0EEENS1_47radix_sort_onesweep_sort_config_static_selectorELNS0_4arch9wavefront6targetE1EEEvSK_
; %bb.0:
	.section	.rodata,"a",@progbits
	.p2align	6, 0x0
	.amdhsa_kernel _ZN7rocprim17ROCPRIM_400000_NS6detail17trampoline_kernelINS0_14default_configENS1_35radix_sort_onesweep_config_selectorIbiEEZZNS1_29radix_sort_onesweep_iterationIS3_Lb1EN6thrust23THRUST_200600_302600_NS6detail15normal_iteratorINS8_10device_ptrIbEEEESD_NSA_INSB_IiEEEESF_jNS0_19identity_decomposerENS1_16block_id_wrapperIjLb0EEEEE10hipError_tT1_PNSt15iterator_traitsISK_E10value_typeET2_T3_PNSL_ISQ_E10value_typeET4_T5_PSV_SW_PNS1_23onesweep_lookback_stateEbbT6_jjT7_P12ihipStream_tbENKUlT_T0_SK_SP_E_clISD_SD_SF_SF_EEDaS13_S14_SK_SP_EUlS13_E_NS1_11comp_targetILNS1_3genE10ELNS1_11target_archE1201ELNS1_3gpuE5ELNS1_3repE0EEENS1_47radix_sort_onesweep_sort_config_static_selectorELNS0_4arch9wavefront6targetE1EEEvSK_
		.amdhsa_group_segment_fixed_size 0
		.amdhsa_private_segment_fixed_size 0
		.amdhsa_kernarg_size 88
		.amdhsa_user_sgpr_count 2
		.amdhsa_user_sgpr_dispatch_ptr 0
		.amdhsa_user_sgpr_queue_ptr 0
		.amdhsa_user_sgpr_kernarg_segment_ptr 1
		.amdhsa_user_sgpr_dispatch_id 0
		.amdhsa_user_sgpr_kernarg_preload_length 0
		.amdhsa_user_sgpr_kernarg_preload_offset 0
		.amdhsa_user_sgpr_private_segment_size 0
		.amdhsa_uses_dynamic_stack 0
		.amdhsa_enable_private_segment 0
		.amdhsa_system_sgpr_workgroup_id_x 1
		.amdhsa_system_sgpr_workgroup_id_y 0
		.amdhsa_system_sgpr_workgroup_id_z 0
		.amdhsa_system_sgpr_workgroup_info 0
		.amdhsa_system_vgpr_workitem_id 0
		.amdhsa_next_free_vgpr 1
		.amdhsa_next_free_sgpr 0
		.amdhsa_accum_offset 4
		.amdhsa_reserve_vcc 0
		.amdhsa_float_round_mode_32 0
		.amdhsa_float_round_mode_16_64 0
		.amdhsa_float_denorm_mode_32 3
		.amdhsa_float_denorm_mode_16_64 3
		.amdhsa_dx10_clamp 1
		.amdhsa_ieee_mode 1
		.amdhsa_fp16_overflow 0
		.amdhsa_tg_split 0
		.amdhsa_exception_fp_ieee_invalid_op 0
		.amdhsa_exception_fp_denorm_src 0
		.amdhsa_exception_fp_ieee_div_zero 0
		.amdhsa_exception_fp_ieee_overflow 0
		.amdhsa_exception_fp_ieee_underflow 0
		.amdhsa_exception_fp_ieee_inexact 0
		.amdhsa_exception_int_div_zero 0
	.end_amdhsa_kernel
	.section	.text._ZN7rocprim17ROCPRIM_400000_NS6detail17trampoline_kernelINS0_14default_configENS1_35radix_sort_onesweep_config_selectorIbiEEZZNS1_29radix_sort_onesweep_iterationIS3_Lb1EN6thrust23THRUST_200600_302600_NS6detail15normal_iteratorINS8_10device_ptrIbEEEESD_NSA_INSB_IiEEEESF_jNS0_19identity_decomposerENS1_16block_id_wrapperIjLb0EEEEE10hipError_tT1_PNSt15iterator_traitsISK_E10value_typeET2_T3_PNSL_ISQ_E10value_typeET4_T5_PSV_SW_PNS1_23onesweep_lookback_stateEbbT6_jjT7_P12ihipStream_tbENKUlT_T0_SK_SP_E_clISD_SD_SF_SF_EEDaS13_S14_SK_SP_EUlS13_E_NS1_11comp_targetILNS1_3genE10ELNS1_11target_archE1201ELNS1_3gpuE5ELNS1_3repE0EEENS1_47radix_sort_onesweep_sort_config_static_selectorELNS0_4arch9wavefront6targetE1EEEvSK_,"axG",@progbits,_ZN7rocprim17ROCPRIM_400000_NS6detail17trampoline_kernelINS0_14default_configENS1_35radix_sort_onesweep_config_selectorIbiEEZZNS1_29radix_sort_onesweep_iterationIS3_Lb1EN6thrust23THRUST_200600_302600_NS6detail15normal_iteratorINS8_10device_ptrIbEEEESD_NSA_INSB_IiEEEESF_jNS0_19identity_decomposerENS1_16block_id_wrapperIjLb0EEEEE10hipError_tT1_PNSt15iterator_traitsISK_E10value_typeET2_T3_PNSL_ISQ_E10value_typeET4_T5_PSV_SW_PNS1_23onesweep_lookback_stateEbbT6_jjT7_P12ihipStream_tbENKUlT_T0_SK_SP_E_clISD_SD_SF_SF_EEDaS13_S14_SK_SP_EUlS13_E_NS1_11comp_targetILNS1_3genE10ELNS1_11target_archE1201ELNS1_3gpuE5ELNS1_3repE0EEENS1_47radix_sort_onesweep_sort_config_static_selectorELNS0_4arch9wavefront6targetE1EEEvSK_,comdat
.Lfunc_end2251:
	.size	_ZN7rocprim17ROCPRIM_400000_NS6detail17trampoline_kernelINS0_14default_configENS1_35radix_sort_onesweep_config_selectorIbiEEZZNS1_29radix_sort_onesweep_iterationIS3_Lb1EN6thrust23THRUST_200600_302600_NS6detail15normal_iteratorINS8_10device_ptrIbEEEESD_NSA_INSB_IiEEEESF_jNS0_19identity_decomposerENS1_16block_id_wrapperIjLb0EEEEE10hipError_tT1_PNSt15iterator_traitsISK_E10value_typeET2_T3_PNSL_ISQ_E10value_typeET4_T5_PSV_SW_PNS1_23onesweep_lookback_stateEbbT6_jjT7_P12ihipStream_tbENKUlT_T0_SK_SP_E_clISD_SD_SF_SF_EEDaS13_S14_SK_SP_EUlS13_E_NS1_11comp_targetILNS1_3genE10ELNS1_11target_archE1201ELNS1_3gpuE5ELNS1_3repE0EEENS1_47radix_sort_onesweep_sort_config_static_selectorELNS0_4arch9wavefront6targetE1EEEvSK_, .Lfunc_end2251-_ZN7rocprim17ROCPRIM_400000_NS6detail17trampoline_kernelINS0_14default_configENS1_35radix_sort_onesweep_config_selectorIbiEEZZNS1_29radix_sort_onesweep_iterationIS3_Lb1EN6thrust23THRUST_200600_302600_NS6detail15normal_iteratorINS8_10device_ptrIbEEEESD_NSA_INSB_IiEEEESF_jNS0_19identity_decomposerENS1_16block_id_wrapperIjLb0EEEEE10hipError_tT1_PNSt15iterator_traitsISK_E10value_typeET2_T3_PNSL_ISQ_E10value_typeET4_T5_PSV_SW_PNS1_23onesweep_lookback_stateEbbT6_jjT7_P12ihipStream_tbENKUlT_T0_SK_SP_E_clISD_SD_SF_SF_EEDaS13_S14_SK_SP_EUlS13_E_NS1_11comp_targetILNS1_3genE10ELNS1_11target_archE1201ELNS1_3gpuE5ELNS1_3repE0EEENS1_47radix_sort_onesweep_sort_config_static_selectorELNS0_4arch9wavefront6targetE1EEEvSK_
                                        ; -- End function
	.set _ZN7rocprim17ROCPRIM_400000_NS6detail17trampoline_kernelINS0_14default_configENS1_35radix_sort_onesweep_config_selectorIbiEEZZNS1_29radix_sort_onesweep_iterationIS3_Lb1EN6thrust23THRUST_200600_302600_NS6detail15normal_iteratorINS8_10device_ptrIbEEEESD_NSA_INSB_IiEEEESF_jNS0_19identity_decomposerENS1_16block_id_wrapperIjLb0EEEEE10hipError_tT1_PNSt15iterator_traitsISK_E10value_typeET2_T3_PNSL_ISQ_E10value_typeET4_T5_PSV_SW_PNS1_23onesweep_lookback_stateEbbT6_jjT7_P12ihipStream_tbENKUlT_T0_SK_SP_E_clISD_SD_SF_SF_EEDaS13_S14_SK_SP_EUlS13_E_NS1_11comp_targetILNS1_3genE10ELNS1_11target_archE1201ELNS1_3gpuE5ELNS1_3repE0EEENS1_47radix_sort_onesweep_sort_config_static_selectorELNS0_4arch9wavefront6targetE1EEEvSK_.num_vgpr, 0
	.set _ZN7rocprim17ROCPRIM_400000_NS6detail17trampoline_kernelINS0_14default_configENS1_35radix_sort_onesweep_config_selectorIbiEEZZNS1_29radix_sort_onesweep_iterationIS3_Lb1EN6thrust23THRUST_200600_302600_NS6detail15normal_iteratorINS8_10device_ptrIbEEEESD_NSA_INSB_IiEEEESF_jNS0_19identity_decomposerENS1_16block_id_wrapperIjLb0EEEEE10hipError_tT1_PNSt15iterator_traitsISK_E10value_typeET2_T3_PNSL_ISQ_E10value_typeET4_T5_PSV_SW_PNS1_23onesweep_lookback_stateEbbT6_jjT7_P12ihipStream_tbENKUlT_T0_SK_SP_E_clISD_SD_SF_SF_EEDaS13_S14_SK_SP_EUlS13_E_NS1_11comp_targetILNS1_3genE10ELNS1_11target_archE1201ELNS1_3gpuE5ELNS1_3repE0EEENS1_47radix_sort_onesweep_sort_config_static_selectorELNS0_4arch9wavefront6targetE1EEEvSK_.num_agpr, 0
	.set _ZN7rocprim17ROCPRIM_400000_NS6detail17trampoline_kernelINS0_14default_configENS1_35radix_sort_onesweep_config_selectorIbiEEZZNS1_29radix_sort_onesweep_iterationIS3_Lb1EN6thrust23THRUST_200600_302600_NS6detail15normal_iteratorINS8_10device_ptrIbEEEESD_NSA_INSB_IiEEEESF_jNS0_19identity_decomposerENS1_16block_id_wrapperIjLb0EEEEE10hipError_tT1_PNSt15iterator_traitsISK_E10value_typeET2_T3_PNSL_ISQ_E10value_typeET4_T5_PSV_SW_PNS1_23onesweep_lookback_stateEbbT6_jjT7_P12ihipStream_tbENKUlT_T0_SK_SP_E_clISD_SD_SF_SF_EEDaS13_S14_SK_SP_EUlS13_E_NS1_11comp_targetILNS1_3genE10ELNS1_11target_archE1201ELNS1_3gpuE5ELNS1_3repE0EEENS1_47radix_sort_onesweep_sort_config_static_selectorELNS0_4arch9wavefront6targetE1EEEvSK_.numbered_sgpr, 0
	.set _ZN7rocprim17ROCPRIM_400000_NS6detail17trampoline_kernelINS0_14default_configENS1_35radix_sort_onesweep_config_selectorIbiEEZZNS1_29radix_sort_onesweep_iterationIS3_Lb1EN6thrust23THRUST_200600_302600_NS6detail15normal_iteratorINS8_10device_ptrIbEEEESD_NSA_INSB_IiEEEESF_jNS0_19identity_decomposerENS1_16block_id_wrapperIjLb0EEEEE10hipError_tT1_PNSt15iterator_traitsISK_E10value_typeET2_T3_PNSL_ISQ_E10value_typeET4_T5_PSV_SW_PNS1_23onesweep_lookback_stateEbbT6_jjT7_P12ihipStream_tbENKUlT_T0_SK_SP_E_clISD_SD_SF_SF_EEDaS13_S14_SK_SP_EUlS13_E_NS1_11comp_targetILNS1_3genE10ELNS1_11target_archE1201ELNS1_3gpuE5ELNS1_3repE0EEENS1_47radix_sort_onesweep_sort_config_static_selectorELNS0_4arch9wavefront6targetE1EEEvSK_.num_named_barrier, 0
	.set _ZN7rocprim17ROCPRIM_400000_NS6detail17trampoline_kernelINS0_14default_configENS1_35radix_sort_onesweep_config_selectorIbiEEZZNS1_29radix_sort_onesweep_iterationIS3_Lb1EN6thrust23THRUST_200600_302600_NS6detail15normal_iteratorINS8_10device_ptrIbEEEESD_NSA_INSB_IiEEEESF_jNS0_19identity_decomposerENS1_16block_id_wrapperIjLb0EEEEE10hipError_tT1_PNSt15iterator_traitsISK_E10value_typeET2_T3_PNSL_ISQ_E10value_typeET4_T5_PSV_SW_PNS1_23onesweep_lookback_stateEbbT6_jjT7_P12ihipStream_tbENKUlT_T0_SK_SP_E_clISD_SD_SF_SF_EEDaS13_S14_SK_SP_EUlS13_E_NS1_11comp_targetILNS1_3genE10ELNS1_11target_archE1201ELNS1_3gpuE5ELNS1_3repE0EEENS1_47radix_sort_onesweep_sort_config_static_selectorELNS0_4arch9wavefront6targetE1EEEvSK_.private_seg_size, 0
	.set _ZN7rocprim17ROCPRIM_400000_NS6detail17trampoline_kernelINS0_14default_configENS1_35radix_sort_onesweep_config_selectorIbiEEZZNS1_29radix_sort_onesweep_iterationIS3_Lb1EN6thrust23THRUST_200600_302600_NS6detail15normal_iteratorINS8_10device_ptrIbEEEESD_NSA_INSB_IiEEEESF_jNS0_19identity_decomposerENS1_16block_id_wrapperIjLb0EEEEE10hipError_tT1_PNSt15iterator_traitsISK_E10value_typeET2_T3_PNSL_ISQ_E10value_typeET4_T5_PSV_SW_PNS1_23onesweep_lookback_stateEbbT6_jjT7_P12ihipStream_tbENKUlT_T0_SK_SP_E_clISD_SD_SF_SF_EEDaS13_S14_SK_SP_EUlS13_E_NS1_11comp_targetILNS1_3genE10ELNS1_11target_archE1201ELNS1_3gpuE5ELNS1_3repE0EEENS1_47radix_sort_onesweep_sort_config_static_selectorELNS0_4arch9wavefront6targetE1EEEvSK_.uses_vcc, 0
	.set _ZN7rocprim17ROCPRIM_400000_NS6detail17trampoline_kernelINS0_14default_configENS1_35radix_sort_onesweep_config_selectorIbiEEZZNS1_29radix_sort_onesweep_iterationIS3_Lb1EN6thrust23THRUST_200600_302600_NS6detail15normal_iteratorINS8_10device_ptrIbEEEESD_NSA_INSB_IiEEEESF_jNS0_19identity_decomposerENS1_16block_id_wrapperIjLb0EEEEE10hipError_tT1_PNSt15iterator_traitsISK_E10value_typeET2_T3_PNSL_ISQ_E10value_typeET4_T5_PSV_SW_PNS1_23onesweep_lookback_stateEbbT6_jjT7_P12ihipStream_tbENKUlT_T0_SK_SP_E_clISD_SD_SF_SF_EEDaS13_S14_SK_SP_EUlS13_E_NS1_11comp_targetILNS1_3genE10ELNS1_11target_archE1201ELNS1_3gpuE5ELNS1_3repE0EEENS1_47radix_sort_onesweep_sort_config_static_selectorELNS0_4arch9wavefront6targetE1EEEvSK_.uses_flat_scratch, 0
	.set _ZN7rocprim17ROCPRIM_400000_NS6detail17trampoline_kernelINS0_14default_configENS1_35radix_sort_onesweep_config_selectorIbiEEZZNS1_29radix_sort_onesweep_iterationIS3_Lb1EN6thrust23THRUST_200600_302600_NS6detail15normal_iteratorINS8_10device_ptrIbEEEESD_NSA_INSB_IiEEEESF_jNS0_19identity_decomposerENS1_16block_id_wrapperIjLb0EEEEE10hipError_tT1_PNSt15iterator_traitsISK_E10value_typeET2_T3_PNSL_ISQ_E10value_typeET4_T5_PSV_SW_PNS1_23onesweep_lookback_stateEbbT6_jjT7_P12ihipStream_tbENKUlT_T0_SK_SP_E_clISD_SD_SF_SF_EEDaS13_S14_SK_SP_EUlS13_E_NS1_11comp_targetILNS1_3genE10ELNS1_11target_archE1201ELNS1_3gpuE5ELNS1_3repE0EEENS1_47radix_sort_onesweep_sort_config_static_selectorELNS0_4arch9wavefront6targetE1EEEvSK_.has_dyn_sized_stack, 0
	.set _ZN7rocprim17ROCPRIM_400000_NS6detail17trampoline_kernelINS0_14default_configENS1_35radix_sort_onesweep_config_selectorIbiEEZZNS1_29radix_sort_onesweep_iterationIS3_Lb1EN6thrust23THRUST_200600_302600_NS6detail15normal_iteratorINS8_10device_ptrIbEEEESD_NSA_INSB_IiEEEESF_jNS0_19identity_decomposerENS1_16block_id_wrapperIjLb0EEEEE10hipError_tT1_PNSt15iterator_traitsISK_E10value_typeET2_T3_PNSL_ISQ_E10value_typeET4_T5_PSV_SW_PNS1_23onesweep_lookback_stateEbbT6_jjT7_P12ihipStream_tbENKUlT_T0_SK_SP_E_clISD_SD_SF_SF_EEDaS13_S14_SK_SP_EUlS13_E_NS1_11comp_targetILNS1_3genE10ELNS1_11target_archE1201ELNS1_3gpuE5ELNS1_3repE0EEENS1_47radix_sort_onesweep_sort_config_static_selectorELNS0_4arch9wavefront6targetE1EEEvSK_.has_recursion, 0
	.set _ZN7rocprim17ROCPRIM_400000_NS6detail17trampoline_kernelINS0_14default_configENS1_35radix_sort_onesweep_config_selectorIbiEEZZNS1_29radix_sort_onesweep_iterationIS3_Lb1EN6thrust23THRUST_200600_302600_NS6detail15normal_iteratorINS8_10device_ptrIbEEEESD_NSA_INSB_IiEEEESF_jNS0_19identity_decomposerENS1_16block_id_wrapperIjLb0EEEEE10hipError_tT1_PNSt15iterator_traitsISK_E10value_typeET2_T3_PNSL_ISQ_E10value_typeET4_T5_PSV_SW_PNS1_23onesweep_lookback_stateEbbT6_jjT7_P12ihipStream_tbENKUlT_T0_SK_SP_E_clISD_SD_SF_SF_EEDaS13_S14_SK_SP_EUlS13_E_NS1_11comp_targetILNS1_3genE10ELNS1_11target_archE1201ELNS1_3gpuE5ELNS1_3repE0EEENS1_47radix_sort_onesweep_sort_config_static_selectorELNS0_4arch9wavefront6targetE1EEEvSK_.has_indirect_call, 0
	.section	.AMDGPU.csdata,"",@progbits
; Kernel info:
; codeLenInByte = 0
; TotalNumSgprs: 6
; NumVgprs: 0
; NumAgprs: 0
; TotalNumVgprs: 0
; ScratchSize: 0
; MemoryBound: 0
; FloatMode: 240
; IeeeMode: 1
; LDSByteSize: 0 bytes/workgroup (compile time only)
; SGPRBlocks: 0
; VGPRBlocks: 0
; NumSGPRsForWavesPerEU: 6
; NumVGPRsForWavesPerEU: 1
; AccumOffset: 4
; Occupancy: 8
; WaveLimiterHint : 0
; COMPUTE_PGM_RSRC2:SCRATCH_EN: 0
; COMPUTE_PGM_RSRC2:USER_SGPR: 2
; COMPUTE_PGM_RSRC2:TRAP_HANDLER: 0
; COMPUTE_PGM_RSRC2:TGID_X_EN: 1
; COMPUTE_PGM_RSRC2:TGID_Y_EN: 0
; COMPUTE_PGM_RSRC2:TGID_Z_EN: 0
; COMPUTE_PGM_RSRC2:TIDIG_COMP_CNT: 0
; COMPUTE_PGM_RSRC3_GFX90A:ACCUM_OFFSET: 0
; COMPUTE_PGM_RSRC3_GFX90A:TG_SPLIT: 0
	.section	.text._ZN7rocprim17ROCPRIM_400000_NS6detail17trampoline_kernelINS0_14default_configENS1_35radix_sort_onesweep_config_selectorIbiEEZZNS1_29radix_sort_onesweep_iterationIS3_Lb1EN6thrust23THRUST_200600_302600_NS6detail15normal_iteratorINS8_10device_ptrIbEEEESD_NSA_INSB_IiEEEESF_jNS0_19identity_decomposerENS1_16block_id_wrapperIjLb0EEEEE10hipError_tT1_PNSt15iterator_traitsISK_E10value_typeET2_T3_PNSL_ISQ_E10value_typeET4_T5_PSV_SW_PNS1_23onesweep_lookback_stateEbbT6_jjT7_P12ihipStream_tbENKUlT_T0_SK_SP_E_clISD_SD_SF_SF_EEDaS13_S14_SK_SP_EUlS13_E_NS1_11comp_targetILNS1_3genE9ELNS1_11target_archE1100ELNS1_3gpuE3ELNS1_3repE0EEENS1_47radix_sort_onesweep_sort_config_static_selectorELNS0_4arch9wavefront6targetE1EEEvSK_,"axG",@progbits,_ZN7rocprim17ROCPRIM_400000_NS6detail17trampoline_kernelINS0_14default_configENS1_35radix_sort_onesweep_config_selectorIbiEEZZNS1_29radix_sort_onesweep_iterationIS3_Lb1EN6thrust23THRUST_200600_302600_NS6detail15normal_iteratorINS8_10device_ptrIbEEEESD_NSA_INSB_IiEEEESF_jNS0_19identity_decomposerENS1_16block_id_wrapperIjLb0EEEEE10hipError_tT1_PNSt15iterator_traitsISK_E10value_typeET2_T3_PNSL_ISQ_E10value_typeET4_T5_PSV_SW_PNS1_23onesweep_lookback_stateEbbT6_jjT7_P12ihipStream_tbENKUlT_T0_SK_SP_E_clISD_SD_SF_SF_EEDaS13_S14_SK_SP_EUlS13_E_NS1_11comp_targetILNS1_3genE9ELNS1_11target_archE1100ELNS1_3gpuE3ELNS1_3repE0EEENS1_47radix_sort_onesweep_sort_config_static_selectorELNS0_4arch9wavefront6targetE1EEEvSK_,comdat
	.protected	_ZN7rocprim17ROCPRIM_400000_NS6detail17trampoline_kernelINS0_14default_configENS1_35radix_sort_onesweep_config_selectorIbiEEZZNS1_29radix_sort_onesweep_iterationIS3_Lb1EN6thrust23THRUST_200600_302600_NS6detail15normal_iteratorINS8_10device_ptrIbEEEESD_NSA_INSB_IiEEEESF_jNS0_19identity_decomposerENS1_16block_id_wrapperIjLb0EEEEE10hipError_tT1_PNSt15iterator_traitsISK_E10value_typeET2_T3_PNSL_ISQ_E10value_typeET4_T5_PSV_SW_PNS1_23onesweep_lookback_stateEbbT6_jjT7_P12ihipStream_tbENKUlT_T0_SK_SP_E_clISD_SD_SF_SF_EEDaS13_S14_SK_SP_EUlS13_E_NS1_11comp_targetILNS1_3genE9ELNS1_11target_archE1100ELNS1_3gpuE3ELNS1_3repE0EEENS1_47radix_sort_onesweep_sort_config_static_selectorELNS0_4arch9wavefront6targetE1EEEvSK_ ; -- Begin function _ZN7rocprim17ROCPRIM_400000_NS6detail17trampoline_kernelINS0_14default_configENS1_35radix_sort_onesweep_config_selectorIbiEEZZNS1_29radix_sort_onesweep_iterationIS3_Lb1EN6thrust23THRUST_200600_302600_NS6detail15normal_iteratorINS8_10device_ptrIbEEEESD_NSA_INSB_IiEEEESF_jNS0_19identity_decomposerENS1_16block_id_wrapperIjLb0EEEEE10hipError_tT1_PNSt15iterator_traitsISK_E10value_typeET2_T3_PNSL_ISQ_E10value_typeET4_T5_PSV_SW_PNS1_23onesweep_lookback_stateEbbT6_jjT7_P12ihipStream_tbENKUlT_T0_SK_SP_E_clISD_SD_SF_SF_EEDaS13_S14_SK_SP_EUlS13_E_NS1_11comp_targetILNS1_3genE9ELNS1_11target_archE1100ELNS1_3gpuE3ELNS1_3repE0EEENS1_47radix_sort_onesweep_sort_config_static_selectorELNS0_4arch9wavefront6targetE1EEEvSK_
	.globl	_ZN7rocprim17ROCPRIM_400000_NS6detail17trampoline_kernelINS0_14default_configENS1_35radix_sort_onesweep_config_selectorIbiEEZZNS1_29radix_sort_onesweep_iterationIS3_Lb1EN6thrust23THRUST_200600_302600_NS6detail15normal_iteratorINS8_10device_ptrIbEEEESD_NSA_INSB_IiEEEESF_jNS0_19identity_decomposerENS1_16block_id_wrapperIjLb0EEEEE10hipError_tT1_PNSt15iterator_traitsISK_E10value_typeET2_T3_PNSL_ISQ_E10value_typeET4_T5_PSV_SW_PNS1_23onesweep_lookback_stateEbbT6_jjT7_P12ihipStream_tbENKUlT_T0_SK_SP_E_clISD_SD_SF_SF_EEDaS13_S14_SK_SP_EUlS13_E_NS1_11comp_targetILNS1_3genE9ELNS1_11target_archE1100ELNS1_3gpuE3ELNS1_3repE0EEENS1_47radix_sort_onesweep_sort_config_static_selectorELNS0_4arch9wavefront6targetE1EEEvSK_
	.p2align	8
	.type	_ZN7rocprim17ROCPRIM_400000_NS6detail17trampoline_kernelINS0_14default_configENS1_35radix_sort_onesweep_config_selectorIbiEEZZNS1_29radix_sort_onesweep_iterationIS3_Lb1EN6thrust23THRUST_200600_302600_NS6detail15normal_iteratorINS8_10device_ptrIbEEEESD_NSA_INSB_IiEEEESF_jNS0_19identity_decomposerENS1_16block_id_wrapperIjLb0EEEEE10hipError_tT1_PNSt15iterator_traitsISK_E10value_typeET2_T3_PNSL_ISQ_E10value_typeET4_T5_PSV_SW_PNS1_23onesweep_lookback_stateEbbT6_jjT7_P12ihipStream_tbENKUlT_T0_SK_SP_E_clISD_SD_SF_SF_EEDaS13_S14_SK_SP_EUlS13_E_NS1_11comp_targetILNS1_3genE9ELNS1_11target_archE1100ELNS1_3gpuE3ELNS1_3repE0EEENS1_47radix_sort_onesweep_sort_config_static_selectorELNS0_4arch9wavefront6targetE1EEEvSK_,@function
_ZN7rocprim17ROCPRIM_400000_NS6detail17trampoline_kernelINS0_14default_configENS1_35radix_sort_onesweep_config_selectorIbiEEZZNS1_29radix_sort_onesweep_iterationIS3_Lb1EN6thrust23THRUST_200600_302600_NS6detail15normal_iteratorINS8_10device_ptrIbEEEESD_NSA_INSB_IiEEEESF_jNS0_19identity_decomposerENS1_16block_id_wrapperIjLb0EEEEE10hipError_tT1_PNSt15iterator_traitsISK_E10value_typeET2_T3_PNSL_ISQ_E10value_typeET4_T5_PSV_SW_PNS1_23onesweep_lookback_stateEbbT6_jjT7_P12ihipStream_tbENKUlT_T0_SK_SP_E_clISD_SD_SF_SF_EEDaS13_S14_SK_SP_EUlS13_E_NS1_11comp_targetILNS1_3genE9ELNS1_11target_archE1100ELNS1_3gpuE3ELNS1_3repE0EEENS1_47radix_sort_onesweep_sort_config_static_selectorELNS0_4arch9wavefront6targetE1EEEvSK_: ; @_ZN7rocprim17ROCPRIM_400000_NS6detail17trampoline_kernelINS0_14default_configENS1_35radix_sort_onesweep_config_selectorIbiEEZZNS1_29radix_sort_onesweep_iterationIS3_Lb1EN6thrust23THRUST_200600_302600_NS6detail15normal_iteratorINS8_10device_ptrIbEEEESD_NSA_INSB_IiEEEESF_jNS0_19identity_decomposerENS1_16block_id_wrapperIjLb0EEEEE10hipError_tT1_PNSt15iterator_traitsISK_E10value_typeET2_T3_PNSL_ISQ_E10value_typeET4_T5_PSV_SW_PNS1_23onesweep_lookback_stateEbbT6_jjT7_P12ihipStream_tbENKUlT_T0_SK_SP_E_clISD_SD_SF_SF_EEDaS13_S14_SK_SP_EUlS13_E_NS1_11comp_targetILNS1_3genE9ELNS1_11target_archE1100ELNS1_3gpuE3ELNS1_3repE0EEENS1_47radix_sort_onesweep_sort_config_static_selectorELNS0_4arch9wavefront6targetE1EEEvSK_
; %bb.0:
	.section	.rodata,"a",@progbits
	.p2align	6, 0x0
	.amdhsa_kernel _ZN7rocprim17ROCPRIM_400000_NS6detail17trampoline_kernelINS0_14default_configENS1_35radix_sort_onesweep_config_selectorIbiEEZZNS1_29radix_sort_onesweep_iterationIS3_Lb1EN6thrust23THRUST_200600_302600_NS6detail15normal_iteratorINS8_10device_ptrIbEEEESD_NSA_INSB_IiEEEESF_jNS0_19identity_decomposerENS1_16block_id_wrapperIjLb0EEEEE10hipError_tT1_PNSt15iterator_traitsISK_E10value_typeET2_T3_PNSL_ISQ_E10value_typeET4_T5_PSV_SW_PNS1_23onesweep_lookback_stateEbbT6_jjT7_P12ihipStream_tbENKUlT_T0_SK_SP_E_clISD_SD_SF_SF_EEDaS13_S14_SK_SP_EUlS13_E_NS1_11comp_targetILNS1_3genE9ELNS1_11target_archE1100ELNS1_3gpuE3ELNS1_3repE0EEENS1_47radix_sort_onesweep_sort_config_static_selectorELNS0_4arch9wavefront6targetE1EEEvSK_
		.amdhsa_group_segment_fixed_size 0
		.amdhsa_private_segment_fixed_size 0
		.amdhsa_kernarg_size 88
		.amdhsa_user_sgpr_count 2
		.amdhsa_user_sgpr_dispatch_ptr 0
		.amdhsa_user_sgpr_queue_ptr 0
		.amdhsa_user_sgpr_kernarg_segment_ptr 1
		.amdhsa_user_sgpr_dispatch_id 0
		.amdhsa_user_sgpr_kernarg_preload_length 0
		.amdhsa_user_sgpr_kernarg_preload_offset 0
		.amdhsa_user_sgpr_private_segment_size 0
		.amdhsa_uses_dynamic_stack 0
		.amdhsa_enable_private_segment 0
		.amdhsa_system_sgpr_workgroup_id_x 1
		.amdhsa_system_sgpr_workgroup_id_y 0
		.amdhsa_system_sgpr_workgroup_id_z 0
		.amdhsa_system_sgpr_workgroup_info 0
		.amdhsa_system_vgpr_workitem_id 0
		.amdhsa_next_free_vgpr 1
		.amdhsa_next_free_sgpr 0
		.amdhsa_accum_offset 4
		.amdhsa_reserve_vcc 0
		.amdhsa_float_round_mode_32 0
		.amdhsa_float_round_mode_16_64 0
		.amdhsa_float_denorm_mode_32 3
		.amdhsa_float_denorm_mode_16_64 3
		.amdhsa_dx10_clamp 1
		.amdhsa_ieee_mode 1
		.amdhsa_fp16_overflow 0
		.amdhsa_tg_split 0
		.amdhsa_exception_fp_ieee_invalid_op 0
		.amdhsa_exception_fp_denorm_src 0
		.amdhsa_exception_fp_ieee_div_zero 0
		.amdhsa_exception_fp_ieee_overflow 0
		.amdhsa_exception_fp_ieee_underflow 0
		.amdhsa_exception_fp_ieee_inexact 0
		.amdhsa_exception_int_div_zero 0
	.end_amdhsa_kernel
	.section	.text._ZN7rocprim17ROCPRIM_400000_NS6detail17trampoline_kernelINS0_14default_configENS1_35radix_sort_onesweep_config_selectorIbiEEZZNS1_29radix_sort_onesweep_iterationIS3_Lb1EN6thrust23THRUST_200600_302600_NS6detail15normal_iteratorINS8_10device_ptrIbEEEESD_NSA_INSB_IiEEEESF_jNS0_19identity_decomposerENS1_16block_id_wrapperIjLb0EEEEE10hipError_tT1_PNSt15iterator_traitsISK_E10value_typeET2_T3_PNSL_ISQ_E10value_typeET4_T5_PSV_SW_PNS1_23onesweep_lookback_stateEbbT6_jjT7_P12ihipStream_tbENKUlT_T0_SK_SP_E_clISD_SD_SF_SF_EEDaS13_S14_SK_SP_EUlS13_E_NS1_11comp_targetILNS1_3genE9ELNS1_11target_archE1100ELNS1_3gpuE3ELNS1_3repE0EEENS1_47radix_sort_onesweep_sort_config_static_selectorELNS0_4arch9wavefront6targetE1EEEvSK_,"axG",@progbits,_ZN7rocprim17ROCPRIM_400000_NS6detail17trampoline_kernelINS0_14default_configENS1_35radix_sort_onesweep_config_selectorIbiEEZZNS1_29radix_sort_onesweep_iterationIS3_Lb1EN6thrust23THRUST_200600_302600_NS6detail15normal_iteratorINS8_10device_ptrIbEEEESD_NSA_INSB_IiEEEESF_jNS0_19identity_decomposerENS1_16block_id_wrapperIjLb0EEEEE10hipError_tT1_PNSt15iterator_traitsISK_E10value_typeET2_T3_PNSL_ISQ_E10value_typeET4_T5_PSV_SW_PNS1_23onesweep_lookback_stateEbbT6_jjT7_P12ihipStream_tbENKUlT_T0_SK_SP_E_clISD_SD_SF_SF_EEDaS13_S14_SK_SP_EUlS13_E_NS1_11comp_targetILNS1_3genE9ELNS1_11target_archE1100ELNS1_3gpuE3ELNS1_3repE0EEENS1_47radix_sort_onesweep_sort_config_static_selectorELNS0_4arch9wavefront6targetE1EEEvSK_,comdat
.Lfunc_end2252:
	.size	_ZN7rocprim17ROCPRIM_400000_NS6detail17trampoline_kernelINS0_14default_configENS1_35radix_sort_onesweep_config_selectorIbiEEZZNS1_29radix_sort_onesweep_iterationIS3_Lb1EN6thrust23THRUST_200600_302600_NS6detail15normal_iteratorINS8_10device_ptrIbEEEESD_NSA_INSB_IiEEEESF_jNS0_19identity_decomposerENS1_16block_id_wrapperIjLb0EEEEE10hipError_tT1_PNSt15iterator_traitsISK_E10value_typeET2_T3_PNSL_ISQ_E10value_typeET4_T5_PSV_SW_PNS1_23onesweep_lookback_stateEbbT6_jjT7_P12ihipStream_tbENKUlT_T0_SK_SP_E_clISD_SD_SF_SF_EEDaS13_S14_SK_SP_EUlS13_E_NS1_11comp_targetILNS1_3genE9ELNS1_11target_archE1100ELNS1_3gpuE3ELNS1_3repE0EEENS1_47radix_sort_onesweep_sort_config_static_selectorELNS0_4arch9wavefront6targetE1EEEvSK_, .Lfunc_end2252-_ZN7rocprim17ROCPRIM_400000_NS6detail17trampoline_kernelINS0_14default_configENS1_35radix_sort_onesweep_config_selectorIbiEEZZNS1_29radix_sort_onesweep_iterationIS3_Lb1EN6thrust23THRUST_200600_302600_NS6detail15normal_iteratorINS8_10device_ptrIbEEEESD_NSA_INSB_IiEEEESF_jNS0_19identity_decomposerENS1_16block_id_wrapperIjLb0EEEEE10hipError_tT1_PNSt15iterator_traitsISK_E10value_typeET2_T3_PNSL_ISQ_E10value_typeET4_T5_PSV_SW_PNS1_23onesweep_lookback_stateEbbT6_jjT7_P12ihipStream_tbENKUlT_T0_SK_SP_E_clISD_SD_SF_SF_EEDaS13_S14_SK_SP_EUlS13_E_NS1_11comp_targetILNS1_3genE9ELNS1_11target_archE1100ELNS1_3gpuE3ELNS1_3repE0EEENS1_47radix_sort_onesweep_sort_config_static_selectorELNS0_4arch9wavefront6targetE1EEEvSK_
                                        ; -- End function
	.set _ZN7rocprim17ROCPRIM_400000_NS6detail17trampoline_kernelINS0_14default_configENS1_35radix_sort_onesweep_config_selectorIbiEEZZNS1_29radix_sort_onesweep_iterationIS3_Lb1EN6thrust23THRUST_200600_302600_NS6detail15normal_iteratorINS8_10device_ptrIbEEEESD_NSA_INSB_IiEEEESF_jNS0_19identity_decomposerENS1_16block_id_wrapperIjLb0EEEEE10hipError_tT1_PNSt15iterator_traitsISK_E10value_typeET2_T3_PNSL_ISQ_E10value_typeET4_T5_PSV_SW_PNS1_23onesweep_lookback_stateEbbT6_jjT7_P12ihipStream_tbENKUlT_T0_SK_SP_E_clISD_SD_SF_SF_EEDaS13_S14_SK_SP_EUlS13_E_NS1_11comp_targetILNS1_3genE9ELNS1_11target_archE1100ELNS1_3gpuE3ELNS1_3repE0EEENS1_47radix_sort_onesweep_sort_config_static_selectorELNS0_4arch9wavefront6targetE1EEEvSK_.num_vgpr, 0
	.set _ZN7rocprim17ROCPRIM_400000_NS6detail17trampoline_kernelINS0_14default_configENS1_35radix_sort_onesweep_config_selectorIbiEEZZNS1_29radix_sort_onesweep_iterationIS3_Lb1EN6thrust23THRUST_200600_302600_NS6detail15normal_iteratorINS8_10device_ptrIbEEEESD_NSA_INSB_IiEEEESF_jNS0_19identity_decomposerENS1_16block_id_wrapperIjLb0EEEEE10hipError_tT1_PNSt15iterator_traitsISK_E10value_typeET2_T3_PNSL_ISQ_E10value_typeET4_T5_PSV_SW_PNS1_23onesweep_lookback_stateEbbT6_jjT7_P12ihipStream_tbENKUlT_T0_SK_SP_E_clISD_SD_SF_SF_EEDaS13_S14_SK_SP_EUlS13_E_NS1_11comp_targetILNS1_3genE9ELNS1_11target_archE1100ELNS1_3gpuE3ELNS1_3repE0EEENS1_47radix_sort_onesweep_sort_config_static_selectorELNS0_4arch9wavefront6targetE1EEEvSK_.num_agpr, 0
	.set _ZN7rocprim17ROCPRIM_400000_NS6detail17trampoline_kernelINS0_14default_configENS1_35radix_sort_onesweep_config_selectorIbiEEZZNS1_29radix_sort_onesweep_iterationIS3_Lb1EN6thrust23THRUST_200600_302600_NS6detail15normal_iteratorINS8_10device_ptrIbEEEESD_NSA_INSB_IiEEEESF_jNS0_19identity_decomposerENS1_16block_id_wrapperIjLb0EEEEE10hipError_tT1_PNSt15iterator_traitsISK_E10value_typeET2_T3_PNSL_ISQ_E10value_typeET4_T5_PSV_SW_PNS1_23onesweep_lookback_stateEbbT6_jjT7_P12ihipStream_tbENKUlT_T0_SK_SP_E_clISD_SD_SF_SF_EEDaS13_S14_SK_SP_EUlS13_E_NS1_11comp_targetILNS1_3genE9ELNS1_11target_archE1100ELNS1_3gpuE3ELNS1_3repE0EEENS1_47radix_sort_onesweep_sort_config_static_selectorELNS0_4arch9wavefront6targetE1EEEvSK_.numbered_sgpr, 0
	.set _ZN7rocprim17ROCPRIM_400000_NS6detail17trampoline_kernelINS0_14default_configENS1_35radix_sort_onesweep_config_selectorIbiEEZZNS1_29radix_sort_onesweep_iterationIS3_Lb1EN6thrust23THRUST_200600_302600_NS6detail15normal_iteratorINS8_10device_ptrIbEEEESD_NSA_INSB_IiEEEESF_jNS0_19identity_decomposerENS1_16block_id_wrapperIjLb0EEEEE10hipError_tT1_PNSt15iterator_traitsISK_E10value_typeET2_T3_PNSL_ISQ_E10value_typeET4_T5_PSV_SW_PNS1_23onesweep_lookback_stateEbbT6_jjT7_P12ihipStream_tbENKUlT_T0_SK_SP_E_clISD_SD_SF_SF_EEDaS13_S14_SK_SP_EUlS13_E_NS1_11comp_targetILNS1_3genE9ELNS1_11target_archE1100ELNS1_3gpuE3ELNS1_3repE0EEENS1_47radix_sort_onesweep_sort_config_static_selectorELNS0_4arch9wavefront6targetE1EEEvSK_.num_named_barrier, 0
	.set _ZN7rocprim17ROCPRIM_400000_NS6detail17trampoline_kernelINS0_14default_configENS1_35radix_sort_onesweep_config_selectorIbiEEZZNS1_29radix_sort_onesweep_iterationIS3_Lb1EN6thrust23THRUST_200600_302600_NS6detail15normal_iteratorINS8_10device_ptrIbEEEESD_NSA_INSB_IiEEEESF_jNS0_19identity_decomposerENS1_16block_id_wrapperIjLb0EEEEE10hipError_tT1_PNSt15iterator_traitsISK_E10value_typeET2_T3_PNSL_ISQ_E10value_typeET4_T5_PSV_SW_PNS1_23onesweep_lookback_stateEbbT6_jjT7_P12ihipStream_tbENKUlT_T0_SK_SP_E_clISD_SD_SF_SF_EEDaS13_S14_SK_SP_EUlS13_E_NS1_11comp_targetILNS1_3genE9ELNS1_11target_archE1100ELNS1_3gpuE3ELNS1_3repE0EEENS1_47radix_sort_onesweep_sort_config_static_selectorELNS0_4arch9wavefront6targetE1EEEvSK_.private_seg_size, 0
	.set _ZN7rocprim17ROCPRIM_400000_NS6detail17trampoline_kernelINS0_14default_configENS1_35radix_sort_onesweep_config_selectorIbiEEZZNS1_29radix_sort_onesweep_iterationIS3_Lb1EN6thrust23THRUST_200600_302600_NS6detail15normal_iteratorINS8_10device_ptrIbEEEESD_NSA_INSB_IiEEEESF_jNS0_19identity_decomposerENS1_16block_id_wrapperIjLb0EEEEE10hipError_tT1_PNSt15iterator_traitsISK_E10value_typeET2_T3_PNSL_ISQ_E10value_typeET4_T5_PSV_SW_PNS1_23onesweep_lookback_stateEbbT6_jjT7_P12ihipStream_tbENKUlT_T0_SK_SP_E_clISD_SD_SF_SF_EEDaS13_S14_SK_SP_EUlS13_E_NS1_11comp_targetILNS1_3genE9ELNS1_11target_archE1100ELNS1_3gpuE3ELNS1_3repE0EEENS1_47radix_sort_onesweep_sort_config_static_selectorELNS0_4arch9wavefront6targetE1EEEvSK_.uses_vcc, 0
	.set _ZN7rocprim17ROCPRIM_400000_NS6detail17trampoline_kernelINS0_14default_configENS1_35radix_sort_onesweep_config_selectorIbiEEZZNS1_29radix_sort_onesweep_iterationIS3_Lb1EN6thrust23THRUST_200600_302600_NS6detail15normal_iteratorINS8_10device_ptrIbEEEESD_NSA_INSB_IiEEEESF_jNS0_19identity_decomposerENS1_16block_id_wrapperIjLb0EEEEE10hipError_tT1_PNSt15iterator_traitsISK_E10value_typeET2_T3_PNSL_ISQ_E10value_typeET4_T5_PSV_SW_PNS1_23onesweep_lookback_stateEbbT6_jjT7_P12ihipStream_tbENKUlT_T0_SK_SP_E_clISD_SD_SF_SF_EEDaS13_S14_SK_SP_EUlS13_E_NS1_11comp_targetILNS1_3genE9ELNS1_11target_archE1100ELNS1_3gpuE3ELNS1_3repE0EEENS1_47radix_sort_onesweep_sort_config_static_selectorELNS0_4arch9wavefront6targetE1EEEvSK_.uses_flat_scratch, 0
	.set _ZN7rocprim17ROCPRIM_400000_NS6detail17trampoline_kernelINS0_14default_configENS1_35radix_sort_onesweep_config_selectorIbiEEZZNS1_29radix_sort_onesweep_iterationIS3_Lb1EN6thrust23THRUST_200600_302600_NS6detail15normal_iteratorINS8_10device_ptrIbEEEESD_NSA_INSB_IiEEEESF_jNS0_19identity_decomposerENS1_16block_id_wrapperIjLb0EEEEE10hipError_tT1_PNSt15iterator_traitsISK_E10value_typeET2_T3_PNSL_ISQ_E10value_typeET4_T5_PSV_SW_PNS1_23onesweep_lookback_stateEbbT6_jjT7_P12ihipStream_tbENKUlT_T0_SK_SP_E_clISD_SD_SF_SF_EEDaS13_S14_SK_SP_EUlS13_E_NS1_11comp_targetILNS1_3genE9ELNS1_11target_archE1100ELNS1_3gpuE3ELNS1_3repE0EEENS1_47radix_sort_onesweep_sort_config_static_selectorELNS0_4arch9wavefront6targetE1EEEvSK_.has_dyn_sized_stack, 0
	.set _ZN7rocprim17ROCPRIM_400000_NS6detail17trampoline_kernelINS0_14default_configENS1_35radix_sort_onesweep_config_selectorIbiEEZZNS1_29radix_sort_onesweep_iterationIS3_Lb1EN6thrust23THRUST_200600_302600_NS6detail15normal_iteratorINS8_10device_ptrIbEEEESD_NSA_INSB_IiEEEESF_jNS0_19identity_decomposerENS1_16block_id_wrapperIjLb0EEEEE10hipError_tT1_PNSt15iterator_traitsISK_E10value_typeET2_T3_PNSL_ISQ_E10value_typeET4_T5_PSV_SW_PNS1_23onesweep_lookback_stateEbbT6_jjT7_P12ihipStream_tbENKUlT_T0_SK_SP_E_clISD_SD_SF_SF_EEDaS13_S14_SK_SP_EUlS13_E_NS1_11comp_targetILNS1_3genE9ELNS1_11target_archE1100ELNS1_3gpuE3ELNS1_3repE0EEENS1_47radix_sort_onesweep_sort_config_static_selectorELNS0_4arch9wavefront6targetE1EEEvSK_.has_recursion, 0
	.set _ZN7rocprim17ROCPRIM_400000_NS6detail17trampoline_kernelINS0_14default_configENS1_35radix_sort_onesweep_config_selectorIbiEEZZNS1_29radix_sort_onesweep_iterationIS3_Lb1EN6thrust23THRUST_200600_302600_NS6detail15normal_iteratorINS8_10device_ptrIbEEEESD_NSA_INSB_IiEEEESF_jNS0_19identity_decomposerENS1_16block_id_wrapperIjLb0EEEEE10hipError_tT1_PNSt15iterator_traitsISK_E10value_typeET2_T3_PNSL_ISQ_E10value_typeET4_T5_PSV_SW_PNS1_23onesweep_lookback_stateEbbT6_jjT7_P12ihipStream_tbENKUlT_T0_SK_SP_E_clISD_SD_SF_SF_EEDaS13_S14_SK_SP_EUlS13_E_NS1_11comp_targetILNS1_3genE9ELNS1_11target_archE1100ELNS1_3gpuE3ELNS1_3repE0EEENS1_47radix_sort_onesweep_sort_config_static_selectorELNS0_4arch9wavefront6targetE1EEEvSK_.has_indirect_call, 0
	.section	.AMDGPU.csdata,"",@progbits
; Kernel info:
; codeLenInByte = 0
; TotalNumSgprs: 6
; NumVgprs: 0
; NumAgprs: 0
; TotalNumVgprs: 0
; ScratchSize: 0
; MemoryBound: 0
; FloatMode: 240
; IeeeMode: 1
; LDSByteSize: 0 bytes/workgroup (compile time only)
; SGPRBlocks: 0
; VGPRBlocks: 0
; NumSGPRsForWavesPerEU: 6
; NumVGPRsForWavesPerEU: 1
; AccumOffset: 4
; Occupancy: 8
; WaveLimiterHint : 0
; COMPUTE_PGM_RSRC2:SCRATCH_EN: 0
; COMPUTE_PGM_RSRC2:USER_SGPR: 2
; COMPUTE_PGM_RSRC2:TRAP_HANDLER: 0
; COMPUTE_PGM_RSRC2:TGID_X_EN: 1
; COMPUTE_PGM_RSRC2:TGID_Y_EN: 0
; COMPUTE_PGM_RSRC2:TGID_Z_EN: 0
; COMPUTE_PGM_RSRC2:TIDIG_COMP_CNT: 0
; COMPUTE_PGM_RSRC3_GFX90A:ACCUM_OFFSET: 0
; COMPUTE_PGM_RSRC3_GFX90A:TG_SPLIT: 0
	.section	.text._ZN7rocprim17ROCPRIM_400000_NS6detail17trampoline_kernelINS0_14default_configENS1_35radix_sort_onesweep_config_selectorIbiEEZZNS1_29radix_sort_onesweep_iterationIS3_Lb1EN6thrust23THRUST_200600_302600_NS6detail15normal_iteratorINS8_10device_ptrIbEEEESD_NSA_INSB_IiEEEESF_jNS0_19identity_decomposerENS1_16block_id_wrapperIjLb0EEEEE10hipError_tT1_PNSt15iterator_traitsISK_E10value_typeET2_T3_PNSL_ISQ_E10value_typeET4_T5_PSV_SW_PNS1_23onesweep_lookback_stateEbbT6_jjT7_P12ihipStream_tbENKUlT_T0_SK_SP_E_clISD_SD_SF_SF_EEDaS13_S14_SK_SP_EUlS13_E_NS1_11comp_targetILNS1_3genE8ELNS1_11target_archE1030ELNS1_3gpuE2ELNS1_3repE0EEENS1_47radix_sort_onesweep_sort_config_static_selectorELNS0_4arch9wavefront6targetE1EEEvSK_,"axG",@progbits,_ZN7rocprim17ROCPRIM_400000_NS6detail17trampoline_kernelINS0_14default_configENS1_35radix_sort_onesweep_config_selectorIbiEEZZNS1_29radix_sort_onesweep_iterationIS3_Lb1EN6thrust23THRUST_200600_302600_NS6detail15normal_iteratorINS8_10device_ptrIbEEEESD_NSA_INSB_IiEEEESF_jNS0_19identity_decomposerENS1_16block_id_wrapperIjLb0EEEEE10hipError_tT1_PNSt15iterator_traitsISK_E10value_typeET2_T3_PNSL_ISQ_E10value_typeET4_T5_PSV_SW_PNS1_23onesweep_lookback_stateEbbT6_jjT7_P12ihipStream_tbENKUlT_T0_SK_SP_E_clISD_SD_SF_SF_EEDaS13_S14_SK_SP_EUlS13_E_NS1_11comp_targetILNS1_3genE8ELNS1_11target_archE1030ELNS1_3gpuE2ELNS1_3repE0EEENS1_47radix_sort_onesweep_sort_config_static_selectorELNS0_4arch9wavefront6targetE1EEEvSK_,comdat
	.protected	_ZN7rocprim17ROCPRIM_400000_NS6detail17trampoline_kernelINS0_14default_configENS1_35radix_sort_onesweep_config_selectorIbiEEZZNS1_29radix_sort_onesweep_iterationIS3_Lb1EN6thrust23THRUST_200600_302600_NS6detail15normal_iteratorINS8_10device_ptrIbEEEESD_NSA_INSB_IiEEEESF_jNS0_19identity_decomposerENS1_16block_id_wrapperIjLb0EEEEE10hipError_tT1_PNSt15iterator_traitsISK_E10value_typeET2_T3_PNSL_ISQ_E10value_typeET4_T5_PSV_SW_PNS1_23onesweep_lookback_stateEbbT6_jjT7_P12ihipStream_tbENKUlT_T0_SK_SP_E_clISD_SD_SF_SF_EEDaS13_S14_SK_SP_EUlS13_E_NS1_11comp_targetILNS1_3genE8ELNS1_11target_archE1030ELNS1_3gpuE2ELNS1_3repE0EEENS1_47radix_sort_onesweep_sort_config_static_selectorELNS0_4arch9wavefront6targetE1EEEvSK_ ; -- Begin function _ZN7rocprim17ROCPRIM_400000_NS6detail17trampoline_kernelINS0_14default_configENS1_35radix_sort_onesweep_config_selectorIbiEEZZNS1_29radix_sort_onesweep_iterationIS3_Lb1EN6thrust23THRUST_200600_302600_NS6detail15normal_iteratorINS8_10device_ptrIbEEEESD_NSA_INSB_IiEEEESF_jNS0_19identity_decomposerENS1_16block_id_wrapperIjLb0EEEEE10hipError_tT1_PNSt15iterator_traitsISK_E10value_typeET2_T3_PNSL_ISQ_E10value_typeET4_T5_PSV_SW_PNS1_23onesweep_lookback_stateEbbT6_jjT7_P12ihipStream_tbENKUlT_T0_SK_SP_E_clISD_SD_SF_SF_EEDaS13_S14_SK_SP_EUlS13_E_NS1_11comp_targetILNS1_3genE8ELNS1_11target_archE1030ELNS1_3gpuE2ELNS1_3repE0EEENS1_47radix_sort_onesweep_sort_config_static_selectorELNS0_4arch9wavefront6targetE1EEEvSK_
	.globl	_ZN7rocprim17ROCPRIM_400000_NS6detail17trampoline_kernelINS0_14default_configENS1_35radix_sort_onesweep_config_selectorIbiEEZZNS1_29radix_sort_onesweep_iterationIS3_Lb1EN6thrust23THRUST_200600_302600_NS6detail15normal_iteratorINS8_10device_ptrIbEEEESD_NSA_INSB_IiEEEESF_jNS0_19identity_decomposerENS1_16block_id_wrapperIjLb0EEEEE10hipError_tT1_PNSt15iterator_traitsISK_E10value_typeET2_T3_PNSL_ISQ_E10value_typeET4_T5_PSV_SW_PNS1_23onesweep_lookback_stateEbbT6_jjT7_P12ihipStream_tbENKUlT_T0_SK_SP_E_clISD_SD_SF_SF_EEDaS13_S14_SK_SP_EUlS13_E_NS1_11comp_targetILNS1_3genE8ELNS1_11target_archE1030ELNS1_3gpuE2ELNS1_3repE0EEENS1_47radix_sort_onesweep_sort_config_static_selectorELNS0_4arch9wavefront6targetE1EEEvSK_
	.p2align	8
	.type	_ZN7rocprim17ROCPRIM_400000_NS6detail17trampoline_kernelINS0_14default_configENS1_35radix_sort_onesweep_config_selectorIbiEEZZNS1_29radix_sort_onesweep_iterationIS3_Lb1EN6thrust23THRUST_200600_302600_NS6detail15normal_iteratorINS8_10device_ptrIbEEEESD_NSA_INSB_IiEEEESF_jNS0_19identity_decomposerENS1_16block_id_wrapperIjLb0EEEEE10hipError_tT1_PNSt15iterator_traitsISK_E10value_typeET2_T3_PNSL_ISQ_E10value_typeET4_T5_PSV_SW_PNS1_23onesweep_lookback_stateEbbT6_jjT7_P12ihipStream_tbENKUlT_T0_SK_SP_E_clISD_SD_SF_SF_EEDaS13_S14_SK_SP_EUlS13_E_NS1_11comp_targetILNS1_3genE8ELNS1_11target_archE1030ELNS1_3gpuE2ELNS1_3repE0EEENS1_47radix_sort_onesweep_sort_config_static_selectorELNS0_4arch9wavefront6targetE1EEEvSK_,@function
_ZN7rocprim17ROCPRIM_400000_NS6detail17trampoline_kernelINS0_14default_configENS1_35radix_sort_onesweep_config_selectorIbiEEZZNS1_29radix_sort_onesweep_iterationIS3_Lb1EN6thrust23THRUST_200600_302600_NS6detail15normal_iteratorINS8_10device_ptrIbEEEESD_NSA_INSB_IiEEEESF_jNS0_19identity_decomposerENS1_16block_id_wrapperIjLb0EEEEE10hipError_tT1_PNSt15iterator_traitsISK_E10value_typeET2_T3_PNSL_ISQ_E10value_typeET4_T5_PSV_SW_PNS1_23onesweep_lookback_stateEbbT6_jjT7_P12ihipStream_tbENKUlT_T0_SK_SP_E_clISD_SD_SF_SF_EEDaS13_S14_SK_SP_EUlS13_E_NS1_11comp_targetILNS1_3genE8ELNS1_11target_archE1030ELNS1_3gpuE2ELNS1_3repE0EEENS1_47radix_sort_onesweep_sort_config_static_selectorELNS0_4arch9wavefront6targetE1EEEvSK_: ; @_ZN7rocprim17ROCPRIM_400000_NS6detail17trampoline_kernelINS0_14default_configENS1_35radix_sort_onesweep_config_selectorIbiEEZZNS1_29radix_sort_onesweep_iterationIS3_Lb1EN6thrust23THRUST_200600_302600_NS6detail15normal_iteratorINS8_10device_ptrIbEEEESD_NSA_INSB_IiEEEESF_jNS0_19identity_decomposerENS1_16block_id_wrapperIjLb0EEEEE10hipError_tT1_PNSt15iterator_traitsISK_E10value_typeET2_T3_PNSL_ISQ_E10value_typeET4_T5_PSV_SW_PNS1_23onesweep_lookback_stateEbbT6_jjT7_P12ihipStream_tbENKUlT_T0_SK_SP_E_clISD_SD_SF_SF_EEDaS13_S14_SK_SP_EUlS13_E_NS1_11comp_targetILNS1_3genE8ELNS1_11target_archE1030ELNS1_3gpuE2ELNS1_3repE0EEENS1_47radix_sort_onesweep_sort_config_static_selectorELNS0_4arch9wavefront6targetE1EEEvSK_
; %bb.0:
	.section	.rodata,"a",@progbits
	.p2align	6, 0x0
	.amdhsa_kernel _ZN7rocprim17ROCPRIM_400000_NS6detail17trampoline_kernelINS0_14default_configENS1_35radix_sort_onesweep_config_selectorIbiEEZZNS1_29radix_sort_onesweep_iterationIS3_Lb1EN6thrust23THRUST_200600_302600_NS6detail15normal_iteratorINS8_10device_ptrIbEEEESD_NSA_INSB_IiEEEESF_jNS0_19identity_decomposerENS1_16block_id_wrapperIjLb0EEEEE10hipError_tT1_PNSt15iterator_traitsISK_E10value_typeET2_T3_PNSL_ISQ_E10value_typeET4_T5_PSV_SW_PNS1_23onesweep_lookback_stateEbbT6_jjT7_P12ihipStream_tbENKUlT_T0_SK_SP_E_clISD_SD_SF_SF_EEDaS13_S14_SK_SP_EUlS13_E_NS1_11comp_targetILNS1_3genE8ELNS1_11target_archE1030ELNS1_3gpuE2ELNS1_3repE0EEENS1_47radix_sort_onesweep_sort_config_static_selectorELNS0_4arch9wavefront6targetE1EEEvSK_
		.amdhsa_group_segment_fixed_size 0
		.amdhsa_private_segment_fixed_size 0
		.amdhsa_kernarg_size 88
		.amdhsa_user_sgpr_count 2
		.amdhsa_user_sgpr_dispatch_ptr 0
		.amdhsa_user_sgpr_queue_ptr 0
		.amdhsa_user_sgpr_kernarg_segment_ptr 1
		.amdhsa_user_sgpr_dispatch_id 0
		.amdhsa_user_sgpr_kernarg_preload_length 0
		.amdhsa_user_sgpr_kernarg_preload_offset 0
		.amdhsa_user_sgpr_private_segment_size 0
		.amdhsa_uses_dynamic_stack 0
		.amdhsa_enable_private_segment 0
		.amdhsa_system_sgpr_workgroup_id_x 1
		.amdhsa_system_sgpr_workgroup_id_y 0
		.amdhsa_system_sgpr_workgroup_id_z 0
		.amdhsa_system_sgpr_workgroup_info 0
		.amdhsa_system_vgpr_workitem_id 0
		.amdhsa_next_free_vgpr 1
		.amdhsa_next_free_sgpr 0
		.amdhsa_accum_offset 4
		.amdhsa_reserve_vcc 0
		.amdhsa_float_round_mode_32 0
		.amdhsa_float_round_mode_16_64 0
		.amdhsa_float_denorm_mode_32 3
		.amdhsa_float_denorm_mode_16_64 3
		.amdhsa_dx10_clamp 1
		.amdhsa_ieee_mode 1
		.amdhsa_fp16_overflow 0
		.amdhsa_tg_split 0
		.amdhsa_exception_fp_ieee_invalid_op 0
		.amdhsa_exception_fp_denorm_src 0
		.amdhsa_exception_fp_ieee_div_zero 0
		.amdhsa_exception_fp_ieee_overflow 0
		.amdhsa_exception_fp_ieee_underflow 0
		.amdhsa_exception_fp_ieee_inexact 0
		.amdhsa_exception_int_div_zero 0
	.end_amdhsa_kernel
	.section	.text._ZN7rocprim17ROCPRIM_400000_NS6detail17trampoline_kernelINS0_14default_configENS1_35radix_sort_onesweep_config_selectorIbiEEZZNS1_29radix_sort_onesweep_iterationIS3_Lb1EN6thrust23THRUST_200600_302600_NS6detail15normal_iteratorINS8_10device_ptrIbEEEESD_NSA_INSB_IiEEEESF_jNS0_19identity_decomposerENS1_16block_id_wrapperIjLb0EEEEE10hipError_tT1_PNSt15iterator_traitsISK_E10value_typeET2_T3_PNSL_ISQ_E10value_typeET4_T5_PSV_SW_PNS1_23onesweep_lookback_stateEbbT6_jjT7_P12ihipStream_tbENKUlT_T0_SK_SP_E_clISD_SD_SF_SF_EEDaS13_S14_SK_SP_EUlS13_E_NS1_11comp_targetILNS1_3genE8ELNS1_11target_archE1030ELNS1_3gpuE2ELNS1_3repE0EEENS1_47radix_sort_onesweep_sort_config_static_selectorELNS0_4arch9wavefront6targetE1EEEvSK_,"axG",@progbits,_ZN7rocprim17ROCPRIM_400000_NS6detail17trampoline_kernelINS0_14default_configENS1_35radix_sort_onesweep_config_selectorIbiEEZZNS1_29radix_sort_onesweep_iterationIS3_Lb1EN6thrust23THRUST_200600_302600_NS6detail15normal_iteratorINS8_10device_ptrIbEEEESD_NSA_INSB_IiEEEESF_jNS0_19identity_decomposerENS1_16block_id_wrapperIjLb0EEEEE10hipError_tT1_PNSt15iterator_traitsISK_E10value_typeET2_T3_PNSL_ISQ_E10value_typeET4_T5_PSV_SW_PNS1_23onesweep_lookback_stateEbbT6_jjT7_P12ihipStream_tbENKUlT_T0_SK_SP_E_clISD_SD_SF_SF_EEDaS13_S14_SK_SP_EUlS13_E_NS1_11comp_targetILNS1_3genE8ELNS1_11target_archE1030ELNS1_3gpuE2ELNS1_3repE0EEENS1_47radix_sort_onesweep_sort_config_static_selectorELNS0_4arch9wavefront6targetE1EEEvSK_,comdat
.Lfunc_end2253:
	.size	_ZN7rocprim17ROCPRIM_400000_NS6detail17trampoline_kernelINS0_14default_configENS1_35radix_sort_onesweep_config_selectorIbiEEZZNS1_29radix_sort_onesweep_iterationIS3_Lb1EN6thrust23THRUST_200600_302600_NS6detail15normal_iteratorINS8_10device_ptrIbEEEESD_NSA_INSB_IiEEEESF_jNS0_19identity_decomposerENS1_16block_id_wrapperIjLb0EEEEE10hipError_tT1_PNSt15iterator_traitsISK_E10value_typeET2_T3_PNSL_ISQ_E10value_typeET4_T5_PSV_SW_PNS1_23onesweep_lookback_stateEbbT6_jjT7_P12ihipStream_tbENKUlT_T0_SK_SP_E_clISD_SD_SF_SF_EEDaS13_S14_SK_SP_EUlS13_E_NS1_11comp_targetILNS1_3genE8ELNS1_11target_archE1030ELNS1_3gpuE2ELNS1_3repE0EEENS1_47radix_sort_onesweep_sort_config_static_selectorELNS0_4arch9wavefront6targetE1EEEvSK_, .Lfunc_end2253-_ZN7rocprim17ROCPRIM_400000_NS6detail17trampoline_kernelINS0_14default_configENS1_35radix_sort_onesweep_config_selectorIbiEEZZNS1_29radix_sort_onesweep_iterationIS3_Lb1EN6thrust23THRUST_200600_302600_NS6detail15normal_iteratorINS8_10device_ptrIbEEEESD_NSA_INSB_IiEEEESF_jNS0_19identity_decomposerENS1_16block_id_wrapperIjLb0EEEEE10hipError_tT1_PNSt15iterator_traitsISK_E10value_typeET2_T3_PNSL_ISQ_E10value_typeET4_T5_PSV_SW_PNS1_23onesweep_lookback_stateEbbT6_jjT7_P12ihipStream_tbENKUlT_T0_SK_SP_E_clISD_SD_SF_SF_EEDaS13_S14_SK_SP_EUlS13_E_NS1_11comp_targetILNS1_3genE8ELNS1_11target_archE1030ELNS1_3gpuE2ELNS1_3repE0EEENS1_47radix_sort_onesweep_sort_config_static_selectorELNS0_4arch9wavefront6targetE1EEEvSK_
                                        ; -- End function
	.set _ZN7rocprim17ROCPRIM_400000_NS6detail17trampoline_kernelINS0_14default_configENS1_35radix_sort_onesweep_config_selectorIbiEEZZNS1_29radix_sort_onesweep_iterationIS3_Lb1EN6thrust23THRUST_200600_302600_NS6detail15normal_iteratorINS8_10device_ptrIbEEEESD_NSA_INSB_IiEEEESF_jNS0_19identity_decomposerENS1_16block_id_wrapperIjLb0EEEEE10hipError_tT1_PNSt15iterator_traitsISK_E10value_typeET2_T3_PNSL_ISQ_E10value_typeET4_T5_PSV_SW_PNS1_23onesweep_lookback_stateEbbT6_jjT7_P12ihipStream_tbENKUlT_T0_SK_SP_E_clISD_SD_SF_SF_EEDaS13_S14_SK_SP_EUlS13_E_NS1_11comp_targetILNS1_3genE8ELNS1_11target_archE1030ELNS1_3gpuE2ELNS1_3repE0EEENS1_47radix_sort_onesweep_sort_config_static_selectorELNS0_4arch9wavefront6targetE1EEEvSK_.num_vgpr, 0
	.set _ZN7rocprim17ROCPRIM_400000_NS6detail17trampoline_kernelINS0_14default_configENS1_35radix_sort_onesweep_config_selectorIbiEEZZNS1_29radix_sort_onesweep_iterationIS3_Lb1EN6thrust23THRUST_200600_302600_NS6detail15normal_iteratorINS8_10device_ptrIbEEEESD_NSA_INSB_IiEEEESF_jNS0_19identity_decomposerENS1_16block_id_wrapperIjLb0EEEEE10hipError_tT1_PNSt15iterator_traitsISK_E10value_typeET2_T3_PNSL_ISQ_E10value_typeET4_T5_PSV_SW_PNS1_23onesweep_lookback_stateEbbT6_jjT7_P12ihipStream_tbENKUlT_T0_SK_SP_E_clISD_SD_SF_SF_EEDaS13_S14_SK_SP_EUlS13_E_NS1_11comp_targetILNS1_3genE8ELNS1_11target_archE1030ELNS1_3gpuE2ELNS1_3repE0EEENS1_47radix_sort_onesweep_sort_config_static_selectorELNS0_4arch9wavefront6targetE1EEEvSK_.num_agpr, 0
	.set _ZN7rocprim17ROCPRIM_400000_NS6detail17trampoline_kernelINS0_14default_configENS1_35radix_sort_onesweep_config_selectorIbiEEZZNS1_29radix_sort_onesweep_iterationIS3_Lb1EN6thrust23THRUST_200600_302600_NS6detail15normal_iteratorINS8_10device_ptrIbEEEESD_NSA_INSB_IiEEEESF_jNS0_19identity_decomposerENS1_16block_id_wrapperIjLb0EEEEE10hipError_tT1_PNSt15iterator_traitsISK_E10value_typeET2_T3_PNSL_ISQ_E10value_typeET4_T5_PSV_SW_PNS1_23onesweep_lookback_stateEbbT6_jjT7_P12ihipStream_tbENKUlT_T0_SK_SP_E_clISD_SD_SF_SF_EEDaS13_S14_SK_SP_EUlS13_E_NS1_11comp_targetILNS1_3genE8ELNS1_11target_archE1030ELNS1_3gpuE2ELNS1_3repE0EEENS1_47radix_sort_onesweep_sort_config_static_selectorELNS0_4arch9wavefront6targetE1EEEvSK_.numbered_sgpr, 0
	.set _ZN7rocprim17ROCPRIM_400000_NS6detail17trampoline_kernelINS0_14default_configENS1_35radix_sort_onesweep_config_selectorIbiEEZZNS1_29radix_sort_onesweep_iterationIS3_Lb1EN6thrust23THRUST_200600_302600_NS6detail15normal_iteratorINS8_10device_ptrIbEEEESD_NSA_INSB_IiEEEESF_jNS0_19identity_decomposerENS1_16block_id_wrapperIjLb0EEEEE10hipError_tT1_PNSt15iterator_traitsISK_E10value_typeET2_T3_PNSL_ISQ_E10value_typeET4_T5_PSV_SW_PNS1_23onesweep_lookback_stateEbbT6_jjT7_P12ihipStream_tbENKUlT_T0_SK_SP_E_clISD_SD_SF_SF_EEDaS13_S14_SK_SP_EUlS13_E_NS1_11comp_targetILNS1_3genE8ELNS1_11target_archE1030ELNS1_3gpuE2ELNS1_3repE0EEENS1_47radix_sort_onesweep_sort_config_static_selectorELNS0_4arch9wavefront6targetE1EEEvSK_.num_named_barrier, 0
	.set _ZN7rocprim17ROCPRIM_400000_NS6detail17trampoline_kernelINS0_14default_configENS1_35radix_sort_onesweep_config_selectorIbiEEZZNS1_29radix_sort_onesweep_iterationIS3_Lb1EN6thrust23THRUST_200600_302600_NS6detail15normal_iteratorINS8_10device_ptrIbEEEESD_NSA_INSB_IiEEEESF_jNS0_19identity_decomposerENS1_16block_id_wrapperIjLb0EEEEE10hipError_tT1_PNSt15iterator_traitsISK_E10value_typeET2_T3_PNSL_ISQ_E10value_typeET4_T5_PSV_SW_PNS1_23onesweep_lookback_stateEbbT6_jjT7_P12ihipStream_tbENKUlT_T0_SK_SP_E_clISD_SD_SF_SF_EEDaS13_S14_SK_SP_EUlS13_E_NS1_11comp_targetILNS1_3genE8ELNS1_11target_archE1030ELNS1_3gpuE2ELNS1_3repE0EEENS1_47radix_sort_onesweep_sort_config_static_selectorELNS0_4arch9wavefront6targetE1EEEvSK_.private_seg_size, 0
	.set _ZN7rocprim17ROCPRIM_400000_NS6detail17trampoline_kernelINS0_14default_configENS1_35radix_sort_onesweep_config_selectorIbiEEZZNS1_29radix_sort_onesweep_iterationIS3_Lb1EN6thrust23THRUST_200600_302600_NS6detail15normal_iteratorINS8_10device_ptrIbEEEESD_NSA_INSB_IiEEEESF_jNS0_19identity_decomposerENS1_16block_id_wrapperIjLb0EEEEE10hipError_tT1_PNSt15iterator_traitsISK_E10value_typeET2_T3_PNSL_ISQ_E10value_typeET4_T5_PSV_SW_PNS1_23onesweep_lookback_stateEbbT6_jjT7_P12ihipStream_tbENKUlT_T0_SK_SP_E_clISD_SD_SF_SF_EEDaS13_S14_SK_SP_EUlS13_E_NS1_11comp_targetILNS1_3genE8ELNS1_11target_archE1030ELNS1_3gpuE2ELNS1_3repE0EEENS1_47radix_sort_onesweep_sort_config_static_selectorELNS0_4arch9wavefront6targetE1EEEvSK_.uses_vcc, 0
	.set _ZN7rocprim17ROCPRIM_400000_NS6detail17trampoline_kernelINS0_14default_configENS1_35radix_sort_onesweep_config_selectorIbiEEZZNS1_29radix_sort_onesweep_iterationIS3_Lb1EN6thrust23THRUST_200600_302600_NS6detail15normal_iteratorINS8_10device_ptrIbEEEESD_NSA_INSB_IiEEEESF_jNS0_19identity_decomposerENS1_16block_id_wrapperIjLb0EEEEE10hipError_tT1_PNSt15iterator_traitsISK_E10value_typeET2_T3_PNSL_ISQ_E10value_typeET4_T5_PSV_SW_PNS1_23onesweep_lookback_stateEbbT6_jjT7_P12ihipStream_tbENKUlT_T0_SK_SP_E_clISD_SD_SF_SF_EEDaS13_S14_SK_SP_EUlS13_E_NS1_11comp_targetILNS1_3genE8ELNS1_11target_archE1030ELNS1_3gpuE2ELNS1_3repE0EEENS1_47radix_sort_onesweep_sort_config_static_selectorELNS0_4arch9wavefront6targetE1EEEvSK_.uses_flat_scratch, 0
	.set _ZN7rocprim17ROCPRIM_400000_NS6detail17trampoline_kernelINS0_14default_configENS1_35radix_sort_onesweep_config_selectorIbiEEZZNS1_29radix_sort_onesweep_iterationIS3_Lb1EN6thrust23THRUST_200600_302600_NS6detail15normal_iteratorINS8_10device_ptrIbEEEESD_NSA_INSB_IiEEEESF_jNS0_19identity_decomposerENS1_16block_id_wrapperIjLb0EEEEE10hipError_tT1_PNSt15iterator_traitsISK_E10value_typeET2_T3_PNSL_ISQ_E10value_typeET4_T5_PSV_SW_PNS1_23onesweep_lookback_stateEbbT6_jjT7_P12ihipStream_tbENKUlT_T0_SK_SP_E_clISD_SD_SF_SF_EEDaS13_S14_SK_SP_EUlS13_E_NS1_11comp_targetILNS1_3genE8ELNS1_11target_archE1030ELNS1_3gpuE2ELNS1_3repE0EEENS1_47radix_sort_onesweep_sort_config_static_selectorELNS0_4arch9wavefront6targetE1EEEvSK_.has_dyn_sized_stack, 0
	.set _ZN7rocprim17ROCPRIM_400000_NS6detail17trampoline_kernelINS0_14default_configENS1_35radix_sort_onesweep_config_selectorIbiEEZZNS1_29radix_sort_onesweep_iterationIS3_Lb1EN6thrust23THRUST_200600_302600_NS6detail15normal_iteratorINS8_10device_ptrIbEEEESD_NSA_INSB_IiEEEESF_jNS0_19identity_decomposerENS1_16block_id_wrapperIjLb0EEEEE10hipError_tT1_PNSt15iterator_traitsISK_E10value_typeET2_T3_PNSL_ISQ_E10value_typeET4_T5_PSV_SW_PNS1_23onesweep_lookback_stateEbbT6_jjT7_P12ihipStream_tbENKUlT_T0_SK_SP_E_clISD_SD_SF_SF_EEDaS13_S14_SK_SP_EUlS13_E_NS1_11comp_targetILNS1_3genE8ELNS1_11target_archE1030ELNS1_3gpuE2ELNS1_3repE0EEENS1_47radix_sort_onesweep_sort_config_static_selectorELNS0_4arch9wavefront6targetE1EEEvSK_.has_recursion, 0
	.set _ZN7rocprim17ROCPRIM_400000_NS6detail17trampoline_kernelINS0_14default_configENS1_35radix_sort_onesweep_config_selectorIbiEEZZNS1_29radix_sort_onesweep_iterationIS3_Lb1EN6thrust23THRUST_200600_302600_NS6detail15normal_iteratorINS8_10device_ptrIbEEEESD_NSA_INSB_IiEEEESF_jNS0_19identity_decomposerENS1_16block_id_wrapperIjLb0EEEEE10hipError_tT1_PNSt15iterator_traitsISK_E10value_typeET2_T3_PNSL_ISQ_E10value_typeET4_T5_PSV_SW_PNS1_23onesweep_lookback_stateEbbT6_jjT7_P12ihipStream_tbENKUlT_T0_SK_SP_E_clISD_SD_SF_SF_EEDaS13_S14_SK_SP_EUlS13_E_NS1_11comp_targetILNS1_3genE8ELNS1_11target_archE1030ELNS1_3gpuE2ELNS1_3repE0EEENS1_47radix_sort_onesweep_sort_config_static_selectorELNS0_4arch9wavefront6targetE1EEEvSK_.has_indirect_call, 0
	.section	.AMDGPU.csdata,"",@progbits
; Kernel info:
; codeLenInByte = 0
; TotalNumSgprs: 6
; NumVgprs: 0
; NumAgprs: 0
; TotalNumVgprs: 0
; ScratchSize: 0
; MemoryBound: 0
; FloatMode: 240
; IeeeMode: 1
; LDSByteSize: 0 bytes/workgroup (compile time only)
; SGPRBlocks: 0
; VGPRBlocks: 0
; NumSGPRsForWavesPerEU: 6
; NumVGPRsForWavesPerEU: 1
; AccumOffset: 4
; Occupancy: 8
; WaveLimiterHint : 0
; COMPUTE_PGM_RSRC2:SCRATCH_EN: 0
; COMPUTE_PGM_RSRC2:USER_SGPR: 2
; COMPUTE_PGM_RSRC2:TRAP_HANDLER: 0
; COMPUTE_PGM_RSRC2:TGID_X_EN: 1
; COMPUTE_PGM_RSRC2:TGID_Y_EN: 0
; COMPUTE_PGM_RSRC2:TGID_Z_EN: 0
; COMPUTE_PGM_RSRC2:TIDIG_COMP_CNT: 0
; COMPUTE_PGM_RSRC3_GFX90A:ACCUM_OFFSET: 0
; COMPUTE_PGM_RSRC3_GFX90A:TG_SPLIT: 0
	.section	.text._ZN7rocprim17ROCPRIM_400000_NS6detail17trampoline_kernelINS0_14default_configENS1_35radix_sort_onesweep_config_selectorIbiEEZZNS1_29radix_sort_onesweep_iterationIS3_Lb1EN6thrust23THRUST_200600_302600_NS6detail15normal_iteratorINS8_10device_ptrIbEEEESD_NSA_INSB_IiEEEESF_jNS0_19identity_decomposerENS1_16block_id_wrapperIjLb0EEEEE10hipError_tT1_PNSt15iterator_traitsISK_E10value_typeET2_T3_PNSL_ISQ_E10value_typeET4_T5_PSV_SW_PNS1_23onesweep_lookback_stateEbbT6_jjT7_P12ihipStream_tbENKUlT_T0_SK_SP_E_clISD_PbSF_PiEEDaS13_S14_SK_SP_EUlS13_E_NS1_11comp_targetILNS1_3genE0ELNS1_11target_archE4294967295ELNS1_3gpuE0ELNS1_3repE0EEENS1_47radix_sort_onesweep_sort_config_static_selectorELNS0_4arch9wavefront6targetE1EEEvSK_,"axG",@progbits,_ZN7rocprim17ROCPRIM_400000_NS6detail17trampoline_kernelINS0_14default_configENS1_35radix_sort_onesweep_config_selectorIbiEEZZNS1_29radix_sort_onesweep_iterationIS3_Lb1EN6thrust23THRUST_200600_302600_NS6detail15normal_iteratorINS8_10device_ptrIbEEEESD_NSA_INSB_IiEEEESF_jNS0_19identity_decomposerENS1_16block_id_wrapperIjLb0EEEEE10hipError_tT1_PNSt15iterator_traitsISK_E10value_typeET2_T3_PNSL_ISQ_E10value_typeET4_T5_PSV_SW_PNS1_23onesweep_lookback_stateEbbT6_jjT7_P12ihipStream_tbENKUlT_T0_SK_SP_E_clISD_PbSF_PiEEDaS13_S14_SK_SP_EUlS13_E_NS1_11comp_targetILNS1_3genE0ELNS1_11target_archE4294967295ELNS1_3gpuE0ELNS1_3repE0EEENS1_47radix_sort_onesweep_sort_config_static_selectorELNS0_4arch9wavefront6targetE1EEEvSK_,comdat
	.protected	_ZN7rocprim17ROCPRIM_400000_NS6detail17trampoline_kernelINS0_14default_configENS1_35radix_sort_onesweep_config_selectorIbiEEZZNS1_29radix_sort_onesweep_iterationIS3_Lb1EN6thrust23THRUST_200600_302600_NS6detail15normal_iteratorINS8_10device_ptrIbEEEESD_NSA_INSB_IiEEEESF_jNS0_19identity_decomposerENS1_16block_id_wrapperIjLb0EEEEE10hipError_tT1_PNSt15iterator_traitsISK_E10value_typeET2_T3_PNSL_ISQ_E10value_typeET4_T5_PSV_SW_PNS1_23onesweep_lookback_stateEbbT6_jjT7_P12ihipStream_tbENKUlT_T0_SK_SP_E_clISD_PbSF_PiEEDaS13_S14_SK_SP_EUlS13_E_NS1_11comp_targetILNS1_3genE0ELNS1_11target_archE4294967295ELNS1_3gpuE0ELNS1_3repE0EEENS1_47radix_sort_onesweep_sort_config_static_selectorELNS0_4arch9wavefront6targetE1EEEvSK_ ; -- Begin function _ZN7rocprim17ROCPRIM_400000_NS6detail17trampoline_kernelINS0_14default_configENS1_35radix_sort_onesweep_config_selectorIbiEEZZNS1_29radix_sort_onesweep_iterationIS3_Lb1EN6thrust23THRUST_200600_302600_NS6detail15normal_iteratorINS8_10device_ptrIbEEEESD_NSA_INSB_IiEEEESF_jNS0_19identity_decomposerENS1_16block_id_wrapperIjLb0EEEEE10hipError_tT1_PNSt15iterator_traitsISK_E10value_typeET2_T3_PNSL_ISQ_E10value_typeET4_T5_PSV_SW_PNS1_23onesweep_lookback_stateEbbT6_jjT7_P12ihipStream_tbENKUlT_T0_SK_SP_E_clISD_PbSF_PiEEDaS13_S14_SK_SP_EUlS13_E_NS1_11comp_targetILNS1_3genE0ELNS1_11target_archE4294967295ELNS1_3gpuE0ELNS1_3repE0EEENS1_47radix_sort_onesweep_sort_config_static_selectorELNS0_4arch9wavefront6targetE1EEEvSK_
	.globl	_ZN7rocprim17ROCPRIM_400000_NS6detail17trampoline_kernelINS0_14default_configENS1_35radix_sort_onesweep_config_selectorIbiEEZZNS1_29radix_sort_onesweep_iterationIS3_Lb1EN6thrust23THRUST_200600_302600_NS6detail15normal_iteratorINS8_10device_ptrIbEEEESD_NSA_INSB_IiEEEESF_jNS0_19identity_decomposerENS1_16block_id_wrapperIjLb0EEEEE10hipError_tT1_PNSt15iterator_traitsISK_E10value_typeET2_T3_PNSL_ISQ_E10value_typeET4_T5_PSV_SW_PNS1_23onesweep_lookback_stateEbbT6_jjT7_P12ihipStream_tbENKUlT_T0_SK_SP_E_clISD_PbSF_PiEEDaS13_S14_SK_SP_EUlS13_E_NS1_11comp_targetILNS1_3genE0ELNS1_11target_archE4294967295ELNS1_3gpuE0ELNS1_3repE0EEENS1_47radix_sort_onesweep_sort_config_static_selectorELNS0_4arch9wavefront6targetE1EEEvSK_
	.p2align	8
	.type	_ZN7rocprim17ROCPRIM_400000_NS6detail17trampoline_kernelINS0_14default_configENS1_35radix_sort_onesweep_config_selectorIbiEEZZNS1_29radix_sort_onesweep_iterationIS3_Lb1EN6thrust23THRUST_200600_302600_NS6detail15normal_iteratorINS8_10device_ptrIbEEEESD_NSA_INSB_IiEEEESF_jNS0_19identity_decomposerENS1_16block_id_wrapperIjLb0EEEEE10hipError_tT1_PNSt15iterator_traitsISK_E10value_typeET2_T3_PNSL_ISQ_E10value_typeET4_T5_PSV_SW_PNS1_23onesweep_lookback_stateEbbT6_jjT7_P12ihipStream_tbENKUlT_T0_SK_SP_E_clISD_PbSF_PiEEDaS13_S14_SK_SP_EUlS13_E_NS1_11comp_targetILNS1_3genE0ELNS1_11target_archE4294967295ELNS1_3gpuE0ELNS1_3repE0EEENS1_47radix_sort_onesweep_sort_config_static_selectorELNS0_4arch9wavefront6targetE1EEEvSK_,@function
_ZN7rocprim17ROCPRIM_400000_NS6detail17trampoline_kernelINS0_14default_configENS1_35radix_sort_onesweep_config_selectorIbiEEZZNS1_29radix_sort_onesweep_iterationIS3_Lb1EN6thrust23THRUST_200600_302600_NS6detail15normal_iteratorINS8_10device_ptrIbEEEESD_NSA_INSB_IiEEEESF_jNS0_19identity_decomposerENS1_16block_id_wrapperIjLb0EEEEE10hipError_tT1_PNSt15iterator_traitsISK_E10value_typeET2_T3_PNSL_ISQ_E10value_typeET4_T5_PSV_SW_PNS1_23onesweep_lookback_stateEbbT6_jjT7_P12ihipStream_tbENKUlT_T0_SK_SP_E_clISD_PbSF_PiEEDaS13_S14_SK_SP_EUlS13_E_NS1_11comp_targetILNS1_3genE0ELNS1_11target_archE4294967295ELNS1_3gpuE0ELNS1_3repE0EEENS1_47radix_sort_onesweep_sort_config_static_selectorELNS0_4arch9wavefront6targetE1EEEvSK_: ; @_ZN7rocprim17ROCPRIM_400000_NS6detail17trampoline_kernelINS0_14default_configENS1_35radix_sort_onesweep_config_selectorIbiEEZZNS1_29radix_sort_onesweep_iterationIS3_Lb1EN6thrust23THRUST_200600_302600_NS6detail15normal_iteratorINS8_10device_ptrIbEEEESD_NSA_INSB_IiEEEESF_jNS0_19identity_decomposerENS1_16block_id_wrapperIjLb0EEEEE10hipError_tT1_PNSt15iterator_traitsISK_E10value_typeET2_T3_PNSL_ISQ_E10value_typeET4_T5_PSV_SW_PNS1_23onesweep_lookback_stateEbbT6_jjT7_P12ihipStream_tbENKUlT_T0_SK_SP_E_clISD_PbSF_PiEEDaS13_S14_SK_SP_EUlS13_E_NS1_11comp_targetILNS1_3genE0ELNS1_11target_archE4294967295ELNS1_3gpuE0ELNS1_3repE0EEENS1_47radix_sort_onesweep_sort_config_static_selectorELNS0_4arch9wavefront6targetE1EEEvSK_
; %bb.0:
	.section	.rodata,"a",@progbits
	.p2align	6, 0x0
	.amdhsa_kernel _ZN7rocprim17ROCPRIM_400000_NS6detail17trampoline_kernelINS0_14default_configENS1_35radix_sort_onesweep_config_selectorIbiEEZZNS1_29radix_sort_onesweep_iterationIS3_Lb1EN6thrust23THRUST_200600_302600_NS6detail15normal_iteratorINS8_10device_ptrIbEEEESD_NSA_INSB_IiEEEESF_jNS0_19identity_decomposerENS1_16block_id_wrapperIjLb0EEEEE10hipError_tT1_PNSt15iterator_traitsISK_E10value_typeET2_T3_PNSL_ISQ_E10value_typeET4_T5_PSV_SW_PNS1_23onesweep_lookback_stateEbbT6_jjT7_P12ihipStream_tbENKUlT_T0_SK_SP_E_clISD_PbSF_PiEEDaS13_S14_SK_SP_EUlS13_E_NS1_11comp_targetILNS1_3genE0ELNS1_11target_archE4294967295ELNS1_3gpuE0ELNS1_3repE0EEENS1_47radix_sort_onesweep_sort_config_static_selectorELNS0_4arch9wavefront6targetE1EEEvSK_
		.amdhsa_group_segment_fixed_size 0
		.amdhsa_private_segment_fixed_size 0
		.amdhsa_kernarg_size 88
		.amdhsa_user_sgpr_count 2
		.amdhsa_user_sgpr_dispatch_ptr 0
		.amdhsa_user_sgpr_queue_ptr 0
		.amdhsa_user_sgpr_kernarg_segment_ptr 1
		.amdhsa_user_sgpr_dispatch_id 0
		.amdhsa_user_sgpr_kernarg_preload_length 0
		.amdhsa_user_sgpr_kernarg_preload_offset 0
		.amdhsa_user_sgpr_private_segment_size 0
		.amdhsa_uses_dynamic_stack 0
		.amdhsa_enable_private_segment 0
		.amdhsa_system_sgpr_workgroup_id_x 1
		.amdhsa_system_sgpr_workgroup_id_y 0
		.amdhsa_system_sgpr_workgroup_id_z 0
		.amdhsa_system_sgpr_workgroup_info 0
		.amdhsa_system_vgpr_workitem_id 0
		.amdhsa_next_free_vgpr 1
		.amdhsa_next_free_sgpr 0
		.amdhsa_accum_offset 4
		.amdhsa_reserve_vcc 0
		.amdhsa_float_round_mode_32 0
		.amdhsa_float_round_mode_16_64 0
		.amdhsa_float_denorm_mode_32 3
		.amdhsa_float_denorm_mode_16_64 3
		.amdhsa_dx10_clamp 1
		.amdhsa_ieee_mode 1
		.amdhsa_fp16_overflow 0
		.amdhsa_tg_split 0
		.amdhsa_exception_fp_ieee_invalid_op 0
		.amdhsa_exception_fp_denorm_src 0
		.amdhsa_exception_fp_ieee_div_zero 0
		.amdhsa_exception_fp_ieee_overflow 0
		.amdhsa_exception_fp_ieee_underflow 0
		.amdhsa_exception_fp_ieee_inexact 0
		.amdhsa_exception_int_div_zero 0
	.end_amdhsa_kernel
	.section	.text._ZN7rocprim17ROCPRIM_400000_NS6detail17trampoline_kernelINS0_14default_configENS1_35radix_sort_onesweep_config_selectorIbiEEZZNS1_29radix_sort_onesweep_iterationIS3_Lb1EN6thrust23THRUST_200600_302600_NS6detail15normal_iteratorINS8_10device_ptrIbEEEESD_NSA_INSB_IiEEEESF_jNS0_19identity_decomposerENS1_16block_id_wrapperIjLb0EEEEE10hipError_tT1_PNSt15iterator_traitsISK_E10value_typeET2_T3_PNSL_ISQ_E10value_typeET4_T5_PSV_SW_PNS1_23onesweep_lookback_stateEbbT6_jjT7_P12ihipStream_tbENKUlT_T0_SK_SP_E_clISD_PbSF_PiEEDaS13_S14_SK_SP_EUlS13_E_NS1_11comp_targetILNS1_3genE0ELNS1_11target_archE4294967295ELNS1_3gpuE0ELNS1_3repE0EEENS1_47radix_sort_onesweep_sort_config_static_selectorELNS0_4arch9wavefront6targetE1EEEvSK_,"axG",@progbits,_ZN7rocprim17ROCPRIM_400000_NS6detail17trampoline_kernelINS0_14default_configENS1_35radix_sort_onesweep_config_selectorIbiEEZZNS1_29radix_sort_onesweep_iterationIS3_Lb1EN6thrust23THRUST_200600_302600_NS6detail15normal_iteratorINS8_10device_ptrIbEEEESD_NSA_INSB_IiEEEESF_jNS0_19identity_decomposerENS1_16block_id_wrapperIjLb0EEEEE10hipError_tT1_PNSt15iterator_traitsISK_E10value_typeET2_T3_PNSL_ISQ_E10value_typeET4_T5_PSV_SW_PNS1_23onesweep_lookback_stateEbbT6_jjT7_P12ihipStream_tbENKUlT_T0_SK_SP_E_clISD_PbSF_PiEEDaS13_S14_SK_SP_EUlS13_E_NS1_11comp_targetILNS1_3genE0ELNS1_11target_archE4294967295ELNS1_3gpuE0ELNS1_3repE0EEENS1_47radix_sort_onesweep_sort_config_static_selectorELNS0_4arch9wavefront6targetE1EEEvSK_,comdat
.Lfunc_end2254:
	.size	_ZN7rocprim17ROCPRIM_400000_NS6detail17trampoline_kernelINS0_14default_configENS1_35radix_sort_onesweep_config_selectorIbiEEZZNS1_29radix_sort_onesweep_iterationIS3_Lb1EN6thrust23THRUST_200600_302600_NS6detail15normal_iteratorINS8_10device_ptrIbEEEESD_NSA_INSB_IiEEEESF_jNS0_19identity_decomposerENS1_16block_id_wrapperIjLb0EEEEE10hipError_tT1_PNSt15iterator_traitsISK_E10value_typeET2_T3_PNSL_ISQ_E10value_typeET4_T5_PSV_SW_PNS1_23onesweep_lookback_stateEbbT6_jjT7_P12ihipStream_tbENKUlT_T0_SK_SP_E_clISD_PbSF_PiEEDaS13_S14_SK_SP_EUlS13_E_NS1_11comp_targetILNS1_3genE0ELNS1_11target_archE4294967295ELNS1_3gpuE0ELNS1_3repE0EEENS1_47radix_sort_onesweep_sort_config_static_selectorELNS0_4arch9wavefront6targetE1EEEvSK_, .Lfunc_end2254-_ZN7rocprim17ROCPRIM_400000_NS6detail17trampoline_kernelINS0_14default_configENS1_35radix_sort_onesweep_config_selectorIbiEEZZNS1_29radix_sort_onesweep_iterationIS3_Lb1EN6thrust23THRUST_200600_302600_NS6detail15normal_iteratorINS8_10device_ptrIbEEEESD_NSA_INSB_IiEEEESF_jNS0_19identity_decomposerENS1_16block_id_wrapperIjLb0EEEEE10hipError_tT1_PNSt15iterator_traitsISK_E10value_typeET2_T3_PNSL_ISQ_E10value_typeET4_T5_PSV_SW_PNS1_23onesweep_lookback_stateEbbT6_jjT7_P12ihipStream_tbENKUlT_T0_SK_SP_E_clISD_PbSF_PiEEDaS13_S14_SK_SP_EUlS13_E_NS1_11comp_targetILNS1_3genE0ELNS1_11target_archE4294967295ELNS1_3gpuE0ELNS1_3repE0EEENS1_47radix_sort_onesweep_sort_config_static_selectorELNS0_4arch9wavefront6targetE1EEEvSK_
                                        ; -- End function
	.set _ZN7rocprim17ROCPRIM_400000_NS6detail17trampoline_kernelINS0_14default_configENS1_35radix_sort_onesweep_config_selectorIbiEEZZNS1_29radix_sort_onesweep_iterationIS3_Lb1EN6thrust23THRUST_200600_302600_NS6detail15normal_iteratorINS8_10device_ptrIbEEEESD_NSA_INSB_IiEEEESF_jNS0_19identity_decomposerENS1_16block_id_wrapperIjLb0EEEEE10hipError_tT1_PNSt15iterator_traitsISK_E10value_typeET2_T3_PNSL_ISQ_E10value_typeET4_T5_PSV_SW_PNS1_23onesweep_lookback_stateEbbT6_jjT7_P12ihipStream_tbENKUlT_T0_SK_SP_E_clISD_PbSF_PiEEDaS13_S14_SK_SP_EUlS13_E_NS1_11comp_targetILNS1_3genE0ELNS1_11target_archE4294967295ELNS1_3gpuE0ELNS1_3repE0EEENS1_47radix_sort_onesweep_sort_config_static_selectorELNS0_4arch9wavefront6targetE1EEEvSK_.num_vgpr, 0
	.set _ZN7rocprim17ROCPRIM_400000_NS6detail17trampoline_kernelINS0_14default_configENS1_35radix_sort_onesweep_config_selectorIbiEEZZNS1_29radix_sort_onesweep_iterationIS3_Lb1EN6thrust23THRUST_200600_302600_NS6detail15normal_iteratorINS8_10device_ptrIbEEEESD_NSA_INSB_IiEEEESF_jNS0_19identity_decomposerENS1_16block_id_wrapperIjLb0EEEEE10hipError_tT1_PNSt15iterator_traitsISK_E10value_typeET2_T3_PNSL_ISQ_E10value_typeET4_T5_PSV_SW_PNS1_23onesweep_lookback_stateEbbT6_jjT7_P12ihipStream_tbENKUlT_T0_SK_SP_E_clISD_PbSF_PiEEDaS13_S14_SK_SP_EUlS13_E_NS1_11comp_targetILNS1_3genE0ELNS1_11target_archE4294967295ELNS1_3gpuE0ELNS1_3repE0EEENS1_47radix_sort_onesweep_sort_config_static_selectorELNS0_4arch9wavefront6targetE1EEEvSK_.num_agpr, 0
	.set _ZN7rocprim17ROCPRIM_400000_NS6detail17trampoline_kernelINS0_14default_configENS1_35radix_sort_onesweep_config_selectorIbiEEZZNS1_29radix_sort_onesweep_iterationIS3_Lb1EN6thrust23THRUST_200600_302600_NS6detail15normal_iteratorINS8_10device_ptrIbEEEESD_NSA_INSB_IiEEEESF_jNS0_19identity_decomposerENS1_16block_id_wrapperIjLb0EEEEE10hipError_tT1_PNSt15iterator_traitsISK_E10value_typeET2_T3_PNSL_ISQ_E10value_typeET4_T5_PSV_SW_PNS1_23onesweep_lookback_stateEbbT6_jjT7_P12ihipStream_tbENKUlT_T0_SK_SP_E_clISD_PbSF_PiEEDaS13_S14_SK_SP_EUlS13_E_NS1_11comp_targetILNS1_3genE0ELNS1_11target_archE4294967295ELNS1_3gpuE0ELNS1_3repE0EEENS1_47radix_sort_onesweep_sort_config_static_selectorELNS0_4arch9wavefront6targetE1EEEvSK_.numbered_sgpr, 0
	.set _ZN7rocprim17ROCPRIM_400000_NS6detail17trampoline_kernelINS0_14default_configENS1_35radix_sort_onesweep_config_selectorIbiEEZZNS1_29radix_sort_onesweep_iterationIS3_Lb1EN6thrust23THRUST_200600_302600_NS6detail15normal_iteratorINS8_10device_ptrIbEEEESD_NSA_INSB_IiEEEESF_jNS0_19identity_decomposerENS1_16block_id_wrapperIjLb0EEEEE10hipError_tT1_PNSt15iterator_traitsISK_E10value_typeET2_T3_PNSL_ISQ_E10value_typeET4_T5_PSV_SW_PNS1_23onesweep_lookback_stateEbbT6_jjT7_P12ihipStream_tbENKUlT_T0_SK_SP_E_clISD_PbSF_PiEEDaS13_S14_SK_SP_EUlS13_E_NS1_11comp_targetILNS1_3genE0ELNS1_11target_archE4294967295ELNS1_3gpuE0ELNS1_3repE0EEENS1_47radix_sort_onesweep_sort_config_static_selectorELNS0_4arch9wavefront6targetE1EEEvSK_.num_named_barrier, 0
	.set _ZN7rocprim17ROCPRIM_400000_NS6detail17trampoline_kernelINS0_14default_configENS1_35radix_sort_onesweep_config_selectorIbiEEZZNS1_29radix_sort_onesweep_iterationIS3_Lb1EN6thrust23THRUST_200600_302600_NS6detail15normal_iteratorINS8_10device_ptrIbEEEESD_NSA_INSB_IiEEEESF_jNS0_19identity_decomposerENS1_16block_id_wrapperIjLb0EEEEE10hipError_tT1_PNSt15iterator_traitsISK_E10value_typeET2_T3_PNSL_ISQ_E10value_typeET4_T5_PSV_SW_PNS1_23onesweep_lookback_stateEbbT6_jjT7_P12ihipStream_tbENKUlT_T0_SK_SP_E_clISD_PbSF_PiEEDaS13_S14_SK_SP_EUlS13_E_NS1_11comp_targetILNS1_3genE0ELNS1_11target_archE4294967295ELNS1_3gpuE0ELNS1_3repE0EEENS1_47radix_sort_onesweep_sort_config_static_selectorELNS0_4arch9wavefront6targetE1EEEvSK_.private_seg_size, 0
	.set _ZN7rocprim17ROCPRIM_400000_NS6detail17trampoline_kernelINS0_14default_configENS1_35radix_sort_onesweep_config_selectorIbiEEZZNS1_29radix_sort_onesweep_iterationIS3_Lb1EN6thrust23THRUST_200600_302600_NS6detail15normal_iteratorINS8_10device_ptrIbEEEESD_NSA_INSB_IiEEEESF_jNS0_19identity_decomposerENS1_16block_id_wrapperIjLb0EEEEE10hipError_tT1_PNSt15iterator_traitsISK_E10value_typeET2_T3_PNSL_ISQ_E10value_typeET4_T5_PSV_SW_PNS1_23onesweep_lookback_stateEbbT6_jjT7_P12ihipStream_tbENKUlT_T0_SK_SP_E_clISD_PbSF_PiEEDaS13_S14_SK_SP_EUlS13_E_NS1_11comp_targetILNS1_3genE0ELNS1_11target_archE4294967295ELNS1_3gpuE0ELNS1_3repE0EEENS1_47radix_sort_onesweep_sort_config_static_selectorELNS0_4arch9wavefront6targetE1EEEvSK_.uses_vcc, 0
	.set _ZN7rocprim17ROCPRIM_400000_NS6detail17trampoline_kernelINS0_14default_configENS1_35radix_sort_onesweep_config_selectorIbiEEZZNS1_29radix_sort_onesweep_iterationIS3_Lb1EN6thrust23THRUST_200600_302600_NS6detail15normal_iteratorINS8_10device_ptrIbEEEESD_NSA_INSB_IiEEEESF_jNS0_19identity_decomposerENS1_16block_id_wrapperIjLb0EEEEE10hipError_tT1_PNSt15iterator_traitsISK_E10value_typeET2_T3_PNSL_ISQ_E10value_typeET4_T5_PSV_SW_PNS1_23onesweep_lookback_stateEbbT6_jjT7_P12ihipStream_tbENKUlT_T0_SK_SP_E_clISD_PbSF_PiEEDaS13_S14_SK_SP_EUlS13_E_NS1_11comp_targetILNS1_3genE0ELNS1_11target_archE4294967295ELNS1_3gpuE0ELNS1_3repE0EEENS1_47radix_sort_onesweep_sort_config_static_selectorELNS0_4arch9wavefront6targetE1EEEvSK_.uses_flat_scratch, 0
	.set _ZN7rocprim17ROCPRIM_400000_NS6detail17trampoline_kernelINS0_14default_configENS1_35radix_sort_onesweep_config_selectorIbiEEZZNS1_29radix_sort_onesweep_iterationIS3_Lb1EN6thrust23THRUST_200600_302600_NS6detail15normal_iteratorINS8_10device_ptrIbEEEESD_NSA_INSB_IiEEEESF_jNS0_19identity_decomposerENS1_16block_id_wrapperIjLb0EEEEE10hipError_tT1_PNSt15iterator_traitsISK_E10value_typeET2_T3_PNSL_ISQ_E10value_typeET4_T5_PSV_SW_PNS1_23onesweep_lookback_stateEbbT6_jjT7_P12ihipStream_tbENKUlT_T0_SK_SP_E_clISD_PbSF_PiEEDaS13_S14_SK_SP_EUlS13_E_NS1_11comp_targetILNS1_3genE0ELNS1_11target_archE4294967295ELNS1_3gpuE0ELNS1_3repE0EEENS1_47radix_sort_onesweep_sort_config_static_selectorELNS0_4arch9wavefront6targetE1EEEvSK_.has_dyn_sized_stack, 0
	.set _ZN7rocprim17ROCPRIM_400000_NS6detail17trampoline_kernelINS0_14default_configENS1_35radix_sort_onesweep_config_selectorIbiEEZZNS1_29radix_sort_onesweep_iterationIS3_Lb1EN6thrust23THRUST_200600_302600_NS6detail15normal_iteratorINS8_10device_ptrIbEEEESD_NSA_INSB_IiEEEESF_jNS0_19identity_decomposerENS1_16block_id_wrapperIjLb0EEEEE10hipError_tT1_PNSt15iterator_traitsISK_E10value_typeET2_T3_PNSL_ISQ_E10value_typeET4_T5_PSV_SW_PNS1_23onesweep_lookback_stateEbbT6_jjT7_P12ihipStream_tbENKUlT_T0_SK_SP_E_clISD_PbSF_PiEEDaS13_S14_SK_SP_EUlS13_E_NS1_11comp_targetILNS1_3genE0ELNS1_11target_archE4294967295ELNS1_3gpuE0ELNS1_3repE0EEENS1_47radix_sort_onesweep_sort_config_static_selectorELNS0_4arch9wavefront6targetE1EEEvSK_.has_recursion, 0
	.set _ZN7rocprim17ROCPRIM_400000_NS6detail17trampoline_kernelINS0_14default_configENS1_35radix_sort_onesweep_config_selectorIbiEEZZNS1_29radix_sort_onesweep_iterationIS3_Lb1EN6thrust23THRUST_200600_302600_NS6detail15normal_iteratorINS8_10device_ptrIbEEEESD_NSA_INSB_IiEEEESF_jNS0_19identity_decomposerENS1_16block_id_wrapperIjLb0EEEEE10hipError_tT1_PNSt15iterator_traitsISK_E10value_typeET2_T3_PNSL_ISQ_E10value_typeET4_T5_PSV_SW_PNS1_23onesweep_lookback_stateEbbT6_jjT7_P12ihipStream_tbENKUlT_T0_SK_SP_E_clISD_PbSF_PiEEDaS13_S14_SK_SP_EUlS13_E_NS1_11comp_targetILNS1_3genE0ELNS1_11target_archE4294967295ELNS1_3gpuE0ELNS1_3repE0EEENS1_47radix_sort_onesweep_sort_config_static_selectorELNS0_4arch9wavefront6targetE1EEEvSK_.has_indirect_call, 0
	.section	.AMDGPU.csdata,"",@progbits
; Kernel info:
; codeLenInByte = 0
; TotalNumSgprs: 6
; NumVgprs: 0
; NumAgprs: 0
; TotalNumVgprs: 0
; ScratchSize: 0
; MemoryBound: 0
; FloatMode: 240
; IeeeMode: 1
; LDSByteSize: 0 bytes/workgroup (compile time only)
; SGPRBlocks: 0
; VGPRBlocks: 0
; NumSGPRsForWavesPerEU: 6
; NumVGPRsForWavesPerEU: 1
; AccumOffset: 4
; Occupancy: 8
; WaveLimiterHint : 0
; COMPUTE_PGM_RSRC2:SCRATCH_EN: 0
; COMPUTE_PGM_RSRC2:USER_SGPR: 2
; COMPUTE_PGM_RSRC2:TRAP_HANDLER: 0
; COMPUTE_PGM_RSRC2:TGID_X_EN: 1
; COMPUTE_PGM_RSRC2:TGID_Y_EN: 0
; COMPUTE_PGM_RSRC2:TGID_Z_EN: 0
; COMPUTE_PGM_RSRC2:TIDIG_COMP_CNT: 0
; COMPUTE_PGM_RSRC3_GFX90A:ACCUM_OFFSET: 0
; COMPUTE_PGM_RSRC3_GFX90A:TG_SPLIT: 0
	.section	.text._ZN7rocprim17ROCPRIM_400000_NS6detail17trampoline_kernelINS0_14default_configENS1_35radix_sort_onesweep_config_selectorIbiEEZZNS1_29radix_sort_onesweep_iterationIS3_Lb1EN6thrust23THRUST_200600_302600_NS6detail15normal_iteratorINS8_10device_ptrIbEEEESD_NSA_INSB_IiEEEESF_jNS0_19identity_decomposerENS1_16block_id_wrapperIjLb0EEEEE10hipError_tT1_PNSt15iterator_traitsISK_E10value_typeET2_T3_PNSL_ISQ_E10value_typeET4_T5_PSV_SW_PNS1_23onesweep_lookback_stateEbbT6_jjT7_P12ihipStream_tbENKUlT_T0_SK_SP_E_clISD_PbSF_PiEEDaS13_S14_SK_SP_EUlS13_E_NS1_11comp_targetILNS1_3genE6ELNS1_11target_archE950ELNS1_3gpuE13ELNS1_3repE0EEENS1_47radix_sort_onesweep_sort_config_static_selectorELNS0_4arch9wavefront6targetE1EEEvSK_,"axG",@progbits,_ZN7rocprim17ROCPRIM_400000_NS6detail17trampoline_kernelINS0_14default_configENS1_35radix_sort_onesweep_config_selectorIbiEEZZNS1_29radix_sort_onesweep_iterationIS3_Lb1EN6thrust23THRUST_200600_302600_NS6detail15normal_iteratorINS8_10device_ptrIbEEEESD_NSA_INSB_IiEEEESF_jNS0_19identity_decomposerENS1_16block_id_wrapperIjLb0EEEEE10hipError_tT1_PNSt15iterator_traitsISK_E10value_typeET2_T3_PNSL_ISQ_E10value_typeET4_T5_PSV_SW_PNS1_23onesweep_lookback_stateEbbT6_jjT7_P12ihipStream_tbENKUlT_T0_SK_SP_E_clISD_PbSF_PiEEDaS13_S14_SK_SP_EUlS13_E_NS1_11comp_targetILNS1_3genE6ELNS1_11target_archE950ELNS1_3gpuE13ELNS1_3repE0EEENS1_47radix_sort_onesweep_sort_config_static_selectorELNS0_4arch9wavefront6targetE1EEEvSK_,comdat
	.protected	_ZN7rocprim17ROCPRIM_400000_NS6detail17trampoline_kernelINS0_14default_configENS1_35radix_sort_onesweep_config_selectorIbiEEZZNS1_29radix_sort_onesweep_iterationIS3_Lb1EN6thrust23THRUST_200600_302600_NS6detail15normal_iteratorINS8_10device_ptrIbEEEESD_NSA_INSB_IiEEEESF_jNS0_19identity_decomposerENS1_16block_id_wrapperIjLb0EEEEE10hipError_tT1_PNSt15iterator_traitsISK_E10value_typeET2_T3_PNSL_ISQ_E10value_typeET4_T5_PSV_SW_PNS1_23onesweep_lookback_stateEbbT6_jjT7_P12ihipStream_tbENKUlT_T0_SK_SP_E_clISD_PbSF_PiEEDaS13_S14_SK_SP_EUlS13_E_NS1_11comp_targetILNS1_3genE6ELNS1_11target_archE950ELNS1_3gpuE13ELNS1_3repE0EEENS1_47radix_sort_onesweep_sort_config_static_selectorELNS0_4arch9wavefront6targetE1EEEvSK_ ; -- Begin function _ZN7rocprim17ROCPRIM_400000_NS6detail17trampoline_kernelINS0_14default_configENS1_35radix_sort_onesweep_config_selectorIbiEEZZNS1_29radix_sort_onesweep_iterationIS3_Lb1EN6thrust23THRUST_200600_302600_NS6detail15normal_iteratorINS8_10device_ptrIbEEEESD_NSA_INSB_IiEEEESF_jNS0_19identity_decomposerENS1_16block_id_wrapperIjLb0EEEEE10hipError_tT1_PNSt15iterator_traitsISK_E10value_typeET2_T3_PNSL_ISQ_E10value_typeET4_T5_PSV_SW_PNS1_23onesweep_lookback_stateEbbT6_jjT7_P12ihipStream_tbENKUlT_T0_SK_SP_E_clISD_PbSF_PiEEDaS13_S14_SK_SP_EUlS13_E_NS1_11comp_targetILNS1_3genE6ELNS1_11target_archE950ELNS1_3gpuE13ELNS1_3repE0EEENS1_47radix_sort_onesweep_sort_config_static_selectorELNS0_4arch9wavefront6targetE1EEEvSK_
	.globl	_ZN7rocprim17ROCPRIM_400000_NS6detail17trampoline_kernelINS0_14default_configENS1_35radix_sort_onesweep_config_selectorIbiEEZZNS1_29radix_sort_onesweep_iterationIS3_Lb1EN6thrust23THRUST_200600_302600_NS6detail15normal_iteratorINS8_10device_ptrIbEEEESD_NSA_INSB_IiEEEESF_jNS0_19identity_decomposerENS1_16block_id_wrapperIjLb0EEEEE10hipError_tT1_PNSt15iterator_traitsISK_E10value_typeET2_T3_PNSL_ISQ_E10value_typeET4_T5_PSV_SW_PNS1_23onesweep_lookback_stateEbbT6_jjT7_P12ihipStream_tbENKUlT_T0_SK_SP_E_clISD_PbSF_PiEEDaS13_S14_SK_SP_EUlS13_E_NS1_11comp_targetILNS1_3genE6ELNS1_11target_archE950ELNS1_3gpuE13ELNS1_3repE0EEENS1_47radix_sort_onesweep_sort_config_static_selectorELNS0_4arch9wavefront6targetE1EEEvSK_
	.p2align	8
	.type	_ZN7rocprim17ROCPRIM_400000_NS6detail17trampoline_kernelINS0_14default_configENS1_35radix_sort_onesweep_config_selectorIbiEEZZNS1_29radix_sort_onesweep_iterationIS3_Lb1EN6thrust23THRUST_200600_302600_NS6detail15normal_iteratorINS8_10device_ptrIbEEEESD_NSA_INSB_IiEEEESF_jNS0_19identity_decomposerENS1_16block_id_wrapperIjLb0EEEEE10hipError_tT1_PNSt15iterator_traitsISK_E10value_typeET2_T3_PNSL_ISQ_E10value_typeET4_T5_PSV_SW_PNS1_23onesweep_lookback_stateEbbT6_jjT7_P12ihipStream_tbENKUlT_T0_SK_SP_E_clISD_PbSF_PiEEDaS13_S14_SK_SP_EUlS13_E_NS1_11comp_targetILNS1_3genE6ELNS1_11target_archE950ELNS1_3gpuE13ELNS1_3repE0EEENS1_47radix_sort_onesweep_sort_config_static_selectorELNS0_4arch9wavefront6targetE1EEEvSK_,@function
_ZN7rocprim17ROCPRIM_400000_NS6detail17trampoline_kernelINS0_14default_configENS1_35radix_sort_onesweep_config_selectorIbiEEZZNS1_29radix_sort_onesweep_iterationIS3_Lb1EN6thrust23THRUST_200600_302600_NS6detail15normal_iteratorINS8_10device_ptrIbEEEESD_NSA_INSB_IiEEEESF_jNS0_19identity_decomposerENS1_16block_id_wrapperIjLb0EEEEE10hipError_tT1_PNSt15iterator_traitsISK_E10value_typeET2_T3_PNSL_ISQ_E10value_typeET4_T5_PSV_SW_PNS1_23onesweep_lookback_stateEbbT6_jjT7_P12ihipStream_tbENKUlT_T0_SK_SP_E_clISD_PbSF_PiEEDaS13_S14_SK_SP_EUlS13_E_NS1_11comp_targetILNS1_3genE6ELNS1_11target_archE950ELNS1_3gpuE13ELNS1_3repE0EEENS1_47radix_sort_onesweep_sort_config_static_selectorELNS0_4arch9wavefront6targetE1EEEvSK_: ; @_ZN7rocprim17ROCPRIM_400000_NS6detail17trampoline_kernelINS0_14default_configENS1_35radix_sort_onesweep_config_selectorIbiEEZZNS1_29radix_sort_onesweep_iterationIS3_Lb1EN6thrust23THRUST_200600_302600_NS6detail15normal_iteratorINS8_10device_ptrIbEEEESD_NSA_INSB_IiEEEESF_jNS0_19identity_decomposerENS1_16block_id_wrapperIjLb0EEEEE10hipError_tT1_PNSt15iterator_traitsISK_E10value_typeET2_T3_PNSL_ISQ_E10value_typeET4_T5_PSV_SW_PNS1_23onesweep_lookback_stateEbbT6_jjT7_P12ihipStream_tbENKUlT_T0_SK_SP_E_clISD_PbSF_PiEEDaS13_S14_SK_SP_EUlS13_E_NS1_11comp_targetILNS1_3genE6ELNS1_11target_archE950ELNS1_3gpuE13ELNS1_3repE0EEENS1_47radix_sort_onesweep_sort_config_static_selectorELNS0_4arch9wavefront6targetE1EEEvSK_
; %bb.0:
	s_load_dwordx8 s[72:79], s[0:1], 0x0
	s_load_dwordx4 s[84:87], s[0:1], 0x44
	s_load_dwordx4 s[80:83], s[0:1], 0x28
	s_load_dwordx2 s[70:71], s[0:1], 0x38
	s_mov_b64 s[4:5], -1
	v_mbcnt_lo_u32_b32 v1, -1, 0
	s_waitcnt lgkmcnt(0)
	s_cmp_ge_u32 s2, s86
	s_cbranch_scc0 .LBB2255_194
; %bb.1:
	s_load_dword s3, s[0:1], 0x20
	s_lshl_b32 s4, s86, 14
	v_and_b32_e32 v2, 0x3ff, v0
	s_lshl_b32 s86, s2, 14
	v_mbcnt_hi_u32_b32 v3, -1, v1
	s_waitcnt lgkmcnt(0)
	s_sub_i32 s3, s3, s4
	s_add_u32 s4, s72, s86
	v_lshlrev_b32_e32 v4, 4, v2
	s_addc_u32 s5, s73, 0
	v_and_b32_e32 v6, 63, v3
	v_and_b32_e32 v4, 0x3c00, v4
	v_mov_b32_e32 v7, 0
	v_lshl_add_u64 v[8:9], s[4:5], 0, v[6:7]
	v_mov_b32_e32 v5, v7
	v_or_b32_e32 v24, v6, v4
	s_mov_b32 s87, 0
	v_lshl_add_u64 v[8:9], v[8:9], 0, v[4:5]
	v_cmp_gt_u32_e32 vcc, s3, v24
	v_mov_b32_e32 v22, v7
	v_mov_b32_e32 v10, v7
	;; [unrolled: 1-line block ×13, first 2 shown]
	s_and_saveexec_b64 s[4:5], vcc
	s_cbranch_execz .LBB2255_3
; %bb.2:
	global_load_ubyte v22, v[8:9], off
	v_mov_b32_e32 v5, v7
	v_mov_b32_e32 v10, v7
	;; [unrolled: 1-line block ×13, first 2 shown]
.LBB2255_3:
	s_or_b64 exec, exec, s[4:5]
	v_or_b32_e32 v23, 64, v24
	v_cmp_gt_u32_e64 s[64:65], s3, v23
	v_mov_b32_e32 v23, v7
	s_and_saveexec_b64 s[4:5], s[64:65]
	s_cbranch_execz .LBB2255_5
; %bb.4:
	global_load_ubyte v23, v[8:9], off offset:64
.LBB2255_5:
	s_or_b64 exec, exec, s[4:5]
	v_or_b32_e32 v25, 0x80, v24
	v_cmp_gt_u32_e64 s[4:5], s3, v25
	s_and_saveexec_b64 s[6:7], s[4:5]
	s_cbranch_execz .LBB2255_7
; %bb.6:
	global_load_ubyte v7, v[8:9], off offset:128
.LBB2255_7:
	s_or_b64 exec, exec, s[6:7]
	v_or_b32_e32 v25, 0xc0, v24
	v_cmp_gt_u32_e64 s[6:7], s3, v25
	;; [unrolled: 8-line block ×14, first 2 shown]
	s_and_saveexec_b64 s[34:35], s[30:31]
	s_cbranch_execz .LBB2255_33
; %bb.32:
	global_load_ubyte v21, v[8:9], off offset:960
.LBB2255_33:
	s_or_b64 exec, exec, s[34:35]
	s_load_dword s33, s[0:1], 0x58
	s_load_dword s36, s[0:1], 0x64
	s_waitcnt vmcnt(0)
	v_and_b32_e32 v8, 1, v22
	v_cmp_eq_u32_e64 s[34:35], 1, v8
	s_xor_b64 s[66:67], s[34:35], -1
	s_add_u32 s34, s0, 0x58
	s_addc_u32 s35, s1, 0
	s_waitcnt lgkmcnt(0)
	s_lshr_b32 s68, s36, 16
	s_cmp_lt_u32 s2, s33
	s_cselect_b32 s36, 12, 18
	s_add_u32 s34, s34, s36
	s_addc_u32 s35, s35, 0
	v_mov_b32_e32 v9, 0
	global_load_ushort v22, v9, s[34:35]
	v_and_b32_e32 v5, 1, v5
	v_and_b32_e32 v7, 1, v7
	v_cmp_eq_u32_e64 s[58:59], 1, v5
	v_cndmask_b32_e64 v5, 0, 1, s[66:67]
	v_and_b32_e32 v8, 1, v23
	v_cmp_eq_u32_e64 s[60:61], 1, v7
	v_lshrrev_b32_e32 v7, s84, v5
	s_lshl_b32 s66, -1, s85
	v_and_b32_e32 v10, 1, v10
	v_and_b32_e32 v11, 1, v11
	v_cmp_eq_u32_e64 s[62:63], 1, v8
	v_bitop3_b32 v8, v7, s66, v7 bitop3:0x30
	v_cmp_eq_u32_e64 s[56:57], 1, v10
	v_cmp_eq_u32_e64 s[54:55], 1, v11
	s_not_b32 s88, s66
	v_cmp_ne_u32_e64 s[66:67], 0, v8
	v_lshl_add_u64 v[10:11], v[8:9], 0, -1
	v_and_b32_e32 v14, 1, v14
	v_bfe_u32 v24, v0, 10, 10
	v_bfe_u32 v25, v0, 20, 10
	v_xor_b32_e32 v10, s66, v10
	v_and_b32_e32 v15, 1, v15
	v_cmp_eq_u32_e64 s[48:49], 1, v14
	v_mad_u32_u24 v14, v25, s68, v24
	v_mul_u32_u24_e32 v7, 0x44, v8
	v_xor_b32_e32 v8, s67, v11
	v_and_b32_e32 v10, exec_lo, v10
	v_and_b32_e32 v13, 1, v13
	v_cmp_eq_u32_e64 s[46:47], 1, v15
	v_and_b32_e32 v11, exec_hi, v8
	v_mbcnt_lo_u32_b32 v8, v10, 0
	v_cmp_eq_u32_e64 s[50:51], 1, v13
	v_mbcnt_hi_u32_b32 v13, v11, v8
	v_and_b32_e32 v23, 1, v12
	v_and_b32_e32 v16, 1, v16
	;; [unrolled: 1-line block ×7, first 2 shown]
	v_cmp_ne_u64_e64 s[66:67], 0, v[10:11]
	v_cmp_eq_u32_e64 s[68:69], 0, v13
	v_mul_u32_u24_e32 v12, 20, v2
	s_movk_i32 s89, 0x44
	v_cmp_eq_u32_e64 s[52:53], 1, v23
	v_cmp_eq_u32_e64 s[44:45], 1, v16
	;; [unrolled: 1-line block ×7, first 2 shown]
	s_and_b64 s[68:69], s[66:67], s[68:69]
	ds_write2_b32 v12, v9, v9 offset0:16 offset1:17
	ds_write2_b32 v12, v9, v9 offset0:18 offset1:19
	ds_write_b32 v12, v9 offset:80
	s_waitcnt lgkmcnt(0)
	s_barrier
	s_waitcnt vmcnt(0)
	; wave barrier
	v_mad_u64_u32 v[14:15], s[90:91], v14, v22, v[2:3]
	v_lshrrev_b32_e32 v8, 4, v14
	v_and_b32_e32 v30, 0xffffffc, v8
	v_add_u32_e32 v36, v30, v7
	s_and_saveexec_b64 s[66:67], s[68:69]
; %bb.34:
	v_bcnt_u32_b32 v7, v10, 0
	v_bcnt_u32_b32 v7, v11, v7
	ds_write_b32 v36, v7 offset:64
; %bb.35:
	s_or_b64 exec, exec, s[66:67]
	s_xor_b64 s[62:63], s[62:63], -1
	v_cndmask_b32_e64 v46, 0, 1, s[62:63]
	v_lshrrev_b32_e32 v7, s84, v46
	v_and_b32_e32 v8, s88, v7
	v_mul_u32_u24_e32 v10, 0x44, v8
	v_mad_u32_u24 v7, v8, s89, v30
	v_cmp_ne_u32_e64 s[62:63], 0, v8
	v_lshl_add_u64 v[8:9], v[8:9], 0, -1
	s_nop 0
	v_xor_b32_e32 v8, s62, v8
	; wave barrier
	ds_read_b32 v7, v7 offset:64
	v_xor_b32_e32 v9, s63, v9
	v_and_b32_e32 v8, exec_lo, v8
	v_and_b32_e32 v9, exec_hi, v9
	v_mbcnt_lo_u32_b32 v11, v8, 0
	v_mbcnt_hi_u32_b32 v14, v9, v11
	v_cmp_eq_u32_e64 s[62:63], 0, v14
	v_cmp_ne_u64_e64 s[66:67], 0, v[8:9]
	s_and_b64 s[66:67], s[66:67], s[62:63]
	v_add_u32_e32 v38, v30, v10
	; wave barrier
	s_and_saveexec_b64 s[62:63], s[66:67]
	s_cbranch_execz .LBB2255_37
; %bb.36:
	v_bcnt_u32_b32 v8, v8, 0
	v_bcnt_u32_b32 v8, v9, v8
	s_waitcnt lgkmcnt(0)
	v_add_u32_e32 v8, v7, v8
	ds_write_b32 v38, v8 offset:64
.LBB2255_37:
	s_or_b64 exec, exec, s[62:63]
	s_xor_b64 s[60:61], s[60:61], -1
	v_cndmask_b32_e64 v47, 0, 1, s[60:61]
	v_lshrrev_b32_e32 v8, s84, v47
	v_and_b32_e32 v8, s88, v8
	s_movk_i32 s66, 0x44
	v_mad_u32_u24 v9, v8, s66, v30
	; wave barrier
	ds_read_b32 v15, v9 offset:64
	v_mov_b32_e32 v9, 0
	v_cmp_ne_u32_e64 s[60:61], 0, v8
	v_lshl_add_u64 v[10:11], v[8:9], 0, -1
	v_mul_u32_u24_e32 v17, 0x44, v8
	v_xor_b32_e32 v10, s60, v10
	v_xor_b32_e32 v8, s61, v11
	v_and_b32_e32 v10, exec_lo, v10
	v_and_b32_e32 v11, exec_hi, v8
	v_mbcnt_lo_u32_b32 v8, v10, 0
	v_mbcnt_hi_u32_b32 v16, v11, v8
	v_cmp_eq_u32_e64 s[60:61], 0, v16
	v_cmp_ne_u64_e64 s[62:63], 0, v[10:11]
	s_and_b64 s[62:63], s[62:63], s[60:61]
	v_add_u32_e32 v49, v30, v17
	; wave barrier
	s_and_saveexec_b64 s[60:61], s[62:63]
	s_cbranch_execz .LBB2255_39
; %bb.38:
	v_bcnt_u32_b32 v8, v10, 0
	v_bcnt_u32_b32 v8, v11, v8
	s_waitcnt lgkmcnt(0)
	v_add_u32_e32 v8, v15, v8
	ds_write_b32 v49, v8 offset:64
.LBB2255_39:
	s_or_b64 exec, exec, s[60:61]
	s_xor_b64 s[58:59], s[58:59], -1
	v_cndmask_b32_e64 v53, 0, 1, s[58:59]
	v_lshrrev_b32_e32 v8, s84, v53
	v_and_b32_e32 v8, s88, v8
	v_mul_u32_u24_e32 v10, 0x44, v8
	v_mad_u32_u24 v11, v8, s66, v30
	v_cmp_ne_u32_e64 s[58:59], 0, v8
	v_lshl_add_u64 v[8:9], v[8:9], 0, -1
	s_nop 0
	v_xor_b32_e32 v8, s58, v8
	; wave barrier
	ds_read_b32 v17, v11 offset:64
	v_xor_b32_e32 v9, s59, v9
	v_and_b32_e32 v8, exec_lo, v8
	v_and_b32_e32 v9, exec_hi, v9
	v_mbcnt_lo_u32_b32 v11, v8, 0
	v_mbcnt_hi_u32_b32 v18, v9, v11
	v_cmp_eq_u32_e64 s[58:59], 0, v18
	v_cmp_ne_u64_e64 s[60:61], 0, v[8:9]
	s_and_b64 s[60:61], s[60:61], s[58:59]
	v_add_u32_e32 v50, v30, v10
	; wave barrier
	s_and_saveexec_b64 s[58:59], s[60:61]
	s_cbranch_execz .LBB2255_41
; %bb.40:
	v_bcnt_u32_b32 v8, v8, 0
	v_bcnt_u32_b32 v8, v9, v8
	s_waitcnt lgkmcnt(0)
	v_add_u32_e32 v8, v17, v8
	ds_write_b32 v50, v8 offset:64
.LBB2255_41:
	s_or_b64 exec, exec, s[58:59]
	s_xor_b64 s[56:57], s[56:57], -1
	v_cndmask_b32_e64 v64, 0, 1, s[56:57]
	v_lshrrev_b32_e32 v8, s84, v64
	v_and_b32_e32 v8, s88, v8
	s_movk_i32 s60, 0x44
	v_mad_u32_u24 v9, v8, s60, v30
	; wave barrier
	ds_read_b32 v19, v9 offset:64
	v_mov_b32_e32 v9, 0
	v_cmp_ne_u32_e64 s[56:57], 0, v8
	v_lshl_add_u64 v[10:11], v[8:9], 0, -1
	v_mul_u32_u24_e32 v21, 0x44, v8
	v_xor_b32_e32 v10, s56, v10
	v_xor_b32_e32 v8, s57, v11
	v_and_b32_e32 v10, exec_lo, v10
	v_and_b32_e32 v11, exec_hi, v8
	v_mbcnt_lo_u32_b32 v8, v10, 0
	v_mbcnt_hi_u32_b32 v20, v11, v8
	v_cmp_eq_u32_e64 s[56:57], 0, v20
	v_cmp_ne_u64_e64 s[58:59], 0, v[10:11]
	s_and_b64 s[58:59], s[58:59], s[56:57]
	v_add_u32_e32 v51, v30, v21
	; wave barrier
	s_and_saveexec_b64 s[56:57], s[58:59]
	s_cbranch_execz .LBB2255_43
; %bb.42:
	v_bcnt_u32_b32 v8, v10, 0
	v_bcnt_u32_b32 v8, v11, v8
	s_waitcnt lgkmcnt(0)
	v_add_u32_e32 v8, v19, v8
	ds_write_b32 v51, v8 offset:64
.LBB2255_43:
	s_or_b64 exec, exec, s[56:57]
	s_xor_b64 s[54:55], s[54:55], -1
	v_cndmask_b32_e64 v79, 0, 1, s[54:55]
	v_lshrrev_b32_e32 v8, s84, v79
	v_and_b32_e32 v8, s88, v8
	v_mul_u32_u24_e32 v10, 0x44, v8
	v_mad_u32_u24 v11, v8, s60, v30
	v_cmp_ne_u32_e64 s[54:55], 0, v8
	v_lshl_add_u64 v[8:9], v[8:9], 0, -1
	s_nop 0
	v_xor_b32_e32 v8, s54, v8
	; wave barrier
	ds_read_b32 v21, v11 offset:64
	v_xor_b32_e32 v9, s55, v9
	v_and_b32_e32 v8, exec_lo, v8
	v_and_b32_e32 v9, exec_hi, v9
	v_mbcnt_lo_u32_b32 v11, v8, 0
	v_mbcnt_hi_u32_b32 v22, v9, v11
	v_cmp_eq_u32_e64 s[54:55], 0, v22
	v_cmp_ne_u64_e64 s[56:57], 0, v[8:9]
	s_and_b64 s[56:57], s[56:57], s[54:55]
	v_add_u32_e32 v52, v30, v10
	; wave barrier
	s_and_saveexec_b64 s[54:55], s[56:57]
	s_cbranch_execz .LBB2255_45
; %bb.44:
	v_bcnt_u32_b32 v8, v8, 0
	v_bcnt_u32_b32 v8, v9, v8
	s_waitcnt lgkmcnt(0)
	v_add_u32_e32 v8, v21, v8
	ds_write_b32 v52, v8 offset:64
.LBB2255_45:
	s_or_b64 exec, exec, s[54:55]
	s_xor_b64 s[52:53], s[52:53], -1
	v_cndmask_b32_e64 v81, 0, 1, s[52:53]
	v_lshrrev_b32_e32 v8, s84, v81
	v_and_b32_e32 v8, s88, v8
	s_movk_i32 s56, 0x44
	v_mad_u32_u24 v9, v8, s56, v30
	; wave barrier
	ds_read_b32 v23, v9 offset:64
	v_mov_b32_e32 v9, 0
	v_cmp_ne_u32_e64 s[52:53], 0, v8
	v_lshl_add_u64 v[10:11], v[8:9], 0, -1
	v_mul_u32_u24_e32 v25, 0x44, v8
	v_xor_b32_e32 v10, s52, v10
	v_xor_b32_e32 v8, s53, v11
	v_and_b32_e32 v10, exec_lo, v10
	v_and_b32_e32 v11, exec_hi, v8
	v_mbcnt_lo_u32_b32 v8, v10, 0
	v_mbcnt_hi_u32_b32 v24, v11, v8
	v_cmp_eq_u32_e64 s[52:53], 0, v24
	v_cmp_ne_u64_e64 s[54:55], 0, v[10:11]
	s_and_b64 s[54:55], s[54:55], s[52:53]
	v_add_u32_e32 v54, v30, v25
	; wave barrier
	s_and_saveexec_b64 s[52:53], s[54:55]
	s_cbranch_execz .LBB2255_47
; %bb.46:
	v_bcnt_u32_b32 v8, v10, 0
	v_bcnt_u32_b32 v8, v11, v8
	s_waitcnt lgkmcnt(0)
	v_add_u32_e32 v8, v23, v8
	ds_write_b32 v54, v8 offset:64
.LBB2255_47:
	s_or_b64 exec, exec, s[52:53]
	s_xor_b64 s[50:51], s[50:51], -1
	v_cndmask_b32_e64 v82, 0, 1, s[50:51]
	v_lshrrev_b32_e32 v8, s84, v82
	v_and_b32_e32 v8, s88, v8
	v_mul_u32_u24_e32 v10, 0x44, v8
	v_mad_u32_u24 v11, v8, s56, v30
	v_cmp_ne_u32_e64 s[50:51], 0, v8
	v_lshl_add_u64 v[8:9], v[8:9], 0, -1
	s_nop 0
	v_xor_b32_e32 v8, s50, v8
	; wave barrier
	ds_read_b32 v25, v11 offset:64
	v_xor_b32_e32 v9, s51, v9
	v_and_b32_e32 v8, exec_lo, v8
	v_and_b32_e32 v9, exec_hi, v9
	v_mbcnt_lo_u32_b32 v11, v8, 0
	v_mbcnt_hi_u32_b32 v26, v9, v11
	v_cmp_eq_u32_e64 s[50:51], 0, v26
	v_cmp_ne_u64_e64 s[52:53], 0, v[8:9]
	s_and_b64 s[52:53], s[52:53], s[50:51]
	v_add_u32_e32 v55, v30, v10
	; wave barrier
	s_and_saveexec_b64 s[50:51], s[52:53]
	s_cbranch_execz .LBB2255_49
; %bb.48:
	v_bcnt_u32_b32 v8, v8, 0
	v_bcnt_u32_b32 v8, v9, v8
	s_waitcnt lgkmcnt(0)
	v_add_u32_e32 v8, v25, v8
	ds_write_b32 v55, v8 offset:64
.LBB2255_49:
	s_or_b64 exec, exec, s[50:51]
	s_xor_b64 s[48:49], s[48:49], -1
	v_cndmask_b32_e64 v83, 0, 1, s[48:49]
	v_lshrrev_b32_e32 v8, s84, v83
	v_and_b32_e32 v8, s88, v8
	s_movk_i32 s52, 0x44
	v_mad_u32_u24 v9, v8, s52, v30
	; wave barrier
	ds_read_b32 v27, v9 offset:64
	v_mov_b32_e32 v9, 0
	v_cmp_ne_u32_e64 s[48:49], 0, v8
	v_lshl_add_u64 v[10:11], v[8:9], 0, -1
	v_mul_u32_u24_e32 v29, 0x44, v8
	v_xor_b32_e32 v10, s48, v10
	v_xor_b32_e32 v8, s49, v11
	v_and_b32_e32 v10, exec_lo, v10
	v_and_b32_e32 v11, exec_hi, v8
	v_mbcnt_lo_u32_b32 v8, v10, 0
	v_mbcnt_hi_u32_b32 v28, v11, v8
	v_cmp_eq_u32_e64 s[48:49], 0, v28
	v_cmp_ne_u64_e64 s[50:51], 0, v[10:11]
	s_and_b64 s[50:51], s[50:51], s[48:49]
	v_add_u32_e32 v56, v30, v29
	; wave barrier
	s_and_saveexec_b64 s[48:49], s[50:51]
	s_cbranch_execz .LBB2255_51
; %bb.50:
	v_bcnt_u32_b32 v8, v10, 0
	v_bcnt_u32_b32 v8, v11, v8
	s_waitcnt lgkmcnt(0)
	v_add_u32_e32 v8, v27, v8
	ds_write_b32 v56, v8 offset:64
.LBB2255_51:
	s_or_b64 exec, exec, s[48:49]
	s_xor_b64 s[46:47], s[46:47], -1
	v_cndmask_b32_e64 v84, 0, 1, s[46:47]
	v_lshrrev_b32_e32 v8, s84, v84
	v_and_b32_e32 v8, s88, v8
	v_mul_u32_u24_e32 v10, 0x44, v8
	v_mad_u32_u24 v11, v8, s52, v30
	v_cmp_ne_u32_e64 s[46:47], 0, v8
	v_lshl_add_u64 v[8:9], v[8:9], 0, -1
	s_nop 0
	v_xor_b32_e32 v8, s46, v8
	; wave barrier
	ds_read_b32 v29, v11 offset:64
	v_xor_b32_e32 v9, s47, v9
	v_and_b32_e32 v8, exec_lo, v8
	v_and_b32_e32 v9, exec_hi, v9
	v_mbcnt_lo_u32_b32 v11, v8, 0
	v_mbcnt_hi_u32_b32 v31, v9, v11
	v_cmp_eq_u32_e64 s[46:47], 0, v31
	v_cmp_ne_u64_e64 s[48:49], 0, v[8:9]
	s_and_b64 s[48:49], s[48:49], s[46:47]
	v_add_u32_e32 v57, v30, v10
	; wave barrier
	s_and_saveexec_b64 s[46:47], s[48:49]
	s_cbranch_execz .LBB2255_53
; %bb.52:
	v_bcnt_u32_b32 v8, v8, 0
	v_bcnt_u32_b32 v8, v9, v8
	s_waitcnt lgkmcnt(0)
	v_add_u32_e32 v8, v29, v8
	ds_write_b32 v57, v8 offset:64
.LBB2255_53:
	s_or_b64 exec, exec, s[46:47]
	s_xor_b64 s[44:45], s[44:45], -1
	v_cndmask_b32_e64 v85, 0, 1, s[44:45]
	v_lshrrev_b32_e32 v8, s84, v85
	v_and_b32_e32 v8, s88, v8
	s_movk_i32 s48, 0x44
	v_mad_u32_u24 v9, v8, s48, v30
	; wave barrier
	ds_read_b32 v32, v9 offset:64
	v_mov_b32_e32 v9, 0
	v_cmp_ne_u32_e64 s[44:45], 0, v8
	v_lshl_add_u64 v[10:11], v[8:9], 0, -1
	v_mul_u32_u24_e32 v34, 0x44, v8
	v_xor_b32_e32 v10, s44, v10
	v_xor_b32_e32 v8, s45, v11
	v_and_b32_e32 v10, exec_lo, v10
	v_and_b32_e32 v11, exec_hi, v8
	v_mbcnt_lo_u32_b32 v8, v10, 0
	v_mbcnt_hi_u32_b32 v33, v11, v8
	v_cmp_eq_u32_e64 s[44:45], 0, v33
	v_cmp_ne_u64_e64 s[46:47], 0, v[10:11]
	s_and_b64 s[46:47], s[46:47], s[44:45]
	v_add_u32_e32 v58, v30, v34
	; wave barrier
	s_and_saveexec_b64 s[44:45], s[46:47]
	s_cbranch_execz .LBB2255_55
; %bb.54:
	v_bcnt_u32_b32 v8, v10, 0
	v_bcnt_u32_b32 v8, v11, v8
	s_waitcnt lgkmcnt(0)
	v_add_u32_e32 v8, v32, v8
	ds_write_b32 v58, v8 offset:64
.LBB2255_55:
	s_or_b64 exec, exec, s[44:45]
	s_xor_b64 s[42:43], s[42:43], -1
	v_cndmask_b32_e64 v86, 0, 1, s[42:43]
	v_lshrrev_b32_e32 v8, s84, v86
	v_and_b32_e32 v8, s88, v8
	v_mul_u32_u24_e32 v10, 0x44, v8
	v_mad_u32_u24 v11, v8, s48, v30
	v_cmp_ne_u32_e64 s[42:43], 0, v8
	v_lshl_add_u64 v[8:9], v[8:9], 0, -1
	s_nop 0
	v_xor_b32_e32 v8, s42, v8
	; wave barrier
	ds_read_b32 v34, v11 offset:64
	v_xor_b32_e32 v9, s43, v9
	v_and_b32_e32 v8, exec_lo, v8
	v_and_b32_e32 v9, exec_hi, v9
	v_mbcnt_lo_u32_b32 v11, v8, 0
	v_mbcnt_hi_u32_b32 v35, v9, v11
	v_cmp_eq_u32_e64 s[42:43], 0, v35
	v_cmp_ne_u64_e64 s[44:45], 0, v[8:9]
	s_and_b64 s[44:45], s[44:45], s[42:43]
	v_add_u32_e32 v59, v30, v10
	; wave barrier
	s_and_saveexec_b64 s[42:43], s[44:45]
	s_cbranch_execz .LBB2255_57
; %bb.56:
	v_bcnt_u32_b32 v8, v8, 0
	v_bcnt_u32_b32 v8, v9, v8
	s_waitcnt lgkmcnt(0)
	v_add_u32_e32 v8, v34, v8
	ds_write_b32 v59, v8 offset:64
.LBB2255_57:
	s_or_b64 exec, exec, s[42:43]
	s_xor_b64 s[40:41], s[40:41], -1
	v_cndmask_b32_e64 v87, 0, 1, s[40:41]
	v_lshrrev_b32_e32 v8, s84, v87
	v_and_b32_e32 v8, s88, v8
	s_movk_i32 s44, 0x44
	v_mad_u32_u24 v9, v8, s44, v30
	; wave barrier
	ds_read_b32 v37, v9 offset:64
	v_mov_b32_e32 v9, 0
	v_cmp_ne_u32_e64 s[40:41], 0, v8
	v_lshl_add_u64 v[10:11], v[8:9], 0, -1
	v_mul_u32_u24_e32 v40, 0x44, v8
	v_xor_b32_e32 v10, s40, v10
	v_xor_b32_e32 v8, s41, v11
	v_and_b32_e32 v10, exec_lo, v10
	v_and_b32_e32 v11, exec_hi, v8
	v_mbcnt_lo_u32_b32 v8, v10, 0
	v_mbcnt_hi_u32_b32 v39, v11, v8
	v_cmp_eq_u32_e64 s[40:41], 0, v39
	v_cmp_ne_u64_e64 s[42:43], 0, v[10:11]
	s_and_b64 s[42:43], s[42:43], s[40:41]
	v_add_u32_e32 v60, v30, v40
	; wave barrier
	s_and_saveexec_b64 s[40:41], s[42:43]
	s_cbranch_execz .LBB2255_59
; %bb.58:
	v_bcnt_u32_b32 v8, v10, 0
	v_bcnt_u32_b32 v8, v11, v8
	s_waitcnt lgkmcnt(0)
	v_add_u32_e32 v8, v37, v8
	ds_write_b32 v60, v8 offset:64
.LBB2255_59:
	s_or_b64 exec, exec, s[40:41]
	s_xor_b64 s[38:39], s[38:39], -1
	v_cndmask_b32_e64 v88, 0, 1, s[38:39]
	v_lshrrev_b32_e32 v8, s84, v88
	v_and_b32_e32 v8, s88, v8
	v_mul_u32_u24_e32 v10, 0x44, v8
	v_mad_u32_u24 v11, v8, s44, v30
	v_cmp_ne_u32_e64 s[38:39], 0, v8
	v_lshl_add_u64 v[8:9], v[8:9], 0, -1
	s_nop 0
	v_xor_b32_e32 v8, s38, v8
	; wave barrier
	ds_read_b32 v40, v11 offset:64
	v_xor_b32_e32 v9, s39, v9
	v_and_b32_e32 v8, exec_lo, v8
	v_and_b32_e32 v9, exec_hi, v9
	v_mbcnt_lo_u32_b32 v11, v8, 0
	v_mbcnt_hi_u32_b32 v41, v9, v11
	v_cmp_eq_u32_e64 s[38:39], 0, v41
	v_cmp_ne_u64_e64 s[40:41], 0, v[8:9]
	s_and_b64 s[40:41], s[40:41], s[38:39]
	v_add_u32_e32 v61, v30, v10
	; wave barrier
	s_and_saveexec_b64 s[38:39], s[40:41]
	s_cbranch_execz .LBB2255_61
; %bb.60:
	v_bcnt_u32_b32 v8, v8, 0
	v_bcnt_u32_b32 v8, v9, v8
	s_waitcnt lgkmcnt(0)
	v_add_u32_e32 v8, v40, v8
	ds_write_b32 v61, v8 offset:64
.LBB2255_61:
	s_or_b64 exec, exec, s[38:39]
	s_xor_b64 s[36:37], s[36:37], -1
	v_cndmask_b32_e64 v89, 0, 1, s[36:37]
	v_lshrrev_b32_e32 v8, s84, v89
	v_and_b32_e32 v8, s88, v8
	s_movk_i32 s40, 0x44
	v_mad_u32_u24 v9, v8, s40, v30
	; wave barrier
	ds_read_b32 v42, v9 offset:64
	v_mov_b32_e32 v9, 0
	v_cmp_ne_u32_e64 s[36:37], 0, v8
	v_lshl_add_u64 v[10:11], v[8:9], 0, -1
	v_mul_u32_u24_e32 v44, 0x44, v8
	v_xor_b32_e32 v10, s36, v10
	v_xor_b32_e32 v8, s37, v11
	v_and_b32_e32 v10, exec_lo, v10
	v_and_b32_e32 v11, exec_hi, v8
	v_mbcnt_lo_u32_b32 v8, v10, 0
	v_mbcnt_hi_u32_b32 v43, v11, v8
	v_cmp_eq_u32_e64 s[36:37], 0, v43
	v_cmp_ne_u64_e64 s[38:39], 0, v[10:11]
	s_and_b64 s[38:39], s[38:39], s[36:37]
	v_add_u32_e32 v62, v30, v44
	; wave barrier
	s_and_saveexec_b64 s[36:37], s[38:39]
	s_cbranch_execz .LBB2255_63
; %bb.62:
	v_bcnt_u32_b32 v8, v10, 0
	v_bcnt_u32_b32 v8, v11, v8
	s_waitcnt lgkmcnt(0)
	v_add_u32_e32 v8, v42, v8
	ds_write_b32 v62, v8 offset:64
.LBB2255_63:
	s_or_b64 exec, exec, s[36:37]
	s_xor_b64 s[34:35], s[34:35], -1
	v_cndmask_b32_e64 v90, 0, 1, s[34:35]
	v_lshrrev_b32_e32 v8, s84, v90
	v_and_b32_e32 v8, s88, v8
	v_mul_u32_u24_e32 v10, 0x44, v8
	v_mad_u32_u24 v11, v8, s40, v30
	v_cmp_ne_u32_e64 s[34:35], 0, v8
	v_lshl_add_u64 v[8:9], v[8:9], 0, -1
	s_nop 0
	v_xor_b32_e32 v8, s34, v8
	; wave barrier
	ds_read_b32 v44, v11 offset:64
	v_xor_b32_e32 v9, s35, v9
	v_and_b32_e32 v8, exec_lo, v8
	v_and_b32_e32 v9, exec_hi, v9
	v_mbcnt_lo_u32_b32 v11, v8, 0
	v_mbcnt_hi_u32_b32 v45, v9, v11
	v_cmp_eq_u32_e64 s[34:35], 0, v45
	v_cmp_ne_u64_e64 s[36:37], 0, v[8:9]
	s_and_b64 s[36:37], s[36:37], s[34:35]
	v_add_u32_e32 v63, v30, v10
	; wave barrier
	s_and_saveexec_b64 s[34:35], s[36:37]
	s_cbranch_execz .LBB2255_65
; %bb.64:
	v_bcnt_u32_b32 v8, v8, 0
	v_bcnt_u32_b32 v8, v9, v8
	s_waitcnt lgkmcnt(0)
	v_add_u32_e32 v8, v44, v8
	ds_write_b32 v63, v8 offset:64
.LBB2255_65:
	s_or_b64 exec, exec, s[34:35]
	; wave barrier
	s_waitcnt lgkmcnt(0)
	s_barrier
	ds_read2_b32 v[10:11], v12 offset0:16 offset1:17
	ds_read2_b32 v[8:9], v12 offset0:18 offset1:19
	ds_read_b32 v30, v12 offset:80
	v_cmp_lt_u32_e64 s[42:43], 31, v3
	s_waitcnt lgkmcnt(1)
	v_add3_u32 v48, v11, v10, v8
	s_waitcnt lgkmcnt(0)
	v_add3_u32 v30, v48, v9, v30
	v_and_b32_e32 v48, 15, v3
	v_cmp_eq_u32_e64 s[34:35], 0, v48
	v_mov_b32_dpp v65, v30 row_shr:1 row_mask:0xf bank_mask:0xf
	v_cmp_lt_u32_e64 s[36:37], 1, v48
	v_cndmask_b32_e64 v65, v65, 0, s[34:35]
	v_add_u32_e32 v30, v65, v30
	v_cmp_lt_u32_e64 s[38:39], 3, v48
	v_cmp_lt_u32_e64 s[40:41], 7, v48
	v_mov_b32_dpp v65, v30 row_shr:2 row_mask:0xf bank_mask:0xf
	v_cndmask_b32_e64 v65, 0, v65, s[36:37]
	v_add_u32_e32 v30, v30, v65
	s_nop 1
	v_mov_b32_dpp v65, v30 row_shr:4 row_mask:0xf bank_mask:0xf
	v_cndmask_b32_e64 v65, 0, v65, s[38:39]
	v_add_u32_e32 v30, v30, v65
	s_nop 1
	v_mov_b32_dpp v65, v30 row_shr:8 row_mask:0xf bank_mask:0xf
	v_cndmask_b32_e64 v48, 0, v65, s[40:41]
	v_add_u32_e32 v30, v30, v48
	v_bfe_i32 v65, v3, 4, 1
	s_nop 0
	v_mov_b32_dpp v48, v30 row_bcast:15 row_mask:0xf bank_mask:0xf
	v_and_b32_e32 v48, v65, v48
	v_add_u32_e32 v30, v30, v48
	v_lshrrev_b32_e32 v65, 6, v2
	s_nop 0
	v_mov_b32_dpp v48, v30 row_bcast:31 row_mask:0xf bank_mask:0xf
	v_cndmask_b32_e64 v48, 0, v48, s[42:43]
	v_add_u32_e32 v48, v30, v48
	v_and_b32_e32 v30, 63, v2
	v_cmp_eq_u32_e64 s[42:43], 63, v30
	s_and_saveexec_b64 s[44:45], s[42:43]
; %bb.66:
	v_lshlrev_b32_e32 v30, 2, v65
	ds_write_b32 v30, v48
; %bb.67:
	s_or_b64 exec, exec, s[44:45]
	v_cmp_gt_u32_e64 s[42:43], 16, v2
	v_lshlrev_b32_e32 v30, 2, v2
	s_waitcnt lgkmcnt(0)
	s_barrier
	s_and_saveexec_b64 s[44:45], s[42:43]
	s_cbranch_execz .LBB2255_69
; %bb.68:
	ds_read_b32 v66, v30
	s_waitcnt lgkmcnt(0)
	s_nop 0
	v_mov_b32_dpp v67, v66 row_shr:1 row_mask:0xf bank_mask:0xf
	v_cndmask_b32_e64 v67, v67, 0, s[34:35]
	v_add_u32_e32 v66, v67, v66
	s_nop 1
	v_mov_b32_dpp v67, v66 row_shr:2 row_mask:0xf bank_mask:0xf
	v_cndmask_b32_e64 v67, 0, v67, s[36:37]
	v_add_u32_e32 v66, v66, v67
	;; [unrolled: 4-line block ×4, first 2 shown]
	ds_write_b32 v30, v66
.LBB2255_69:
	s_or_b64 exec, exec, s[44:45]
	v_cmp_lt_u32_e64 s[34:35], 63, v2
	v_mov_b32_e32 v66, 0
	s_waitcnt lgkmcnt(0)
	s_barrier
	s_and_saveexec_b64 s[36:37], s[34:35]
; %bb.70:
	v_lshl_add_u32 v65, v65, 2, -4
	ds_read_b32 v66, v65
; %bb.71:
	s_or_b64 exec, exec, s[36:37]
	v_subrev_co_u32_e64 v65, s[34:35], 1, v3
	v_and_b32_e32 v67, 64, v3
	v_cmp_lt_i32_e64 s[36:37], v65, v67
	s_waitcnt lgkmcnt(0)
	v_add_u32_e32 v48, v66, v48
	s_movk_i32 s38, 0x100
	v_cndmask_b32_e64 v3, v65, v3, s[36:37]
	v_lshlrev_b32_e32 v3, 2, v3
	ds_bpermute_b32 v3, v3, v48
	v_cmp_gt_u32_e64 s[36:37], s38, v2
	s_waitcnt lgkmcnt(0)
	v_cndmask_b32_e64 v3, v3, v66, s[34:35]
	v_cmp_ne_u32_e64 s[34:35], 0, v2
	s_nop 1
	v_cndmask_b32_e64 v3, 0, v3, s[34:35]
	v_add_u32_e32 v10, v3, v10
	v_add_u32_e32 v11, v10, v11
	;; [unrolled: 1-line block ×4, first 2 shown]
	ds_write2_b32 v12, v3, v10 offset0:16 offset1:17
	ds_write2_b32 v12, v11, v8 offset0:18 offset1:19
	ds_write_b32 v12, v9 offset:80
	s_waitcnt lgkmcnt(0)
	s_barrier
	ds_read_b32 v8, v36 offset:64
	ds_read_b32 v48, v38 offset:64
	;; [unrolled: 1-line block ×16, first 2 shown]
	s_movk_i32 s34, 0xff
	v_cmp_lt_u32_e64 s[34:35], s34, v2
                                        ; implicit-def: $vgpr3
                                        ; implicit-def: $vgpr36
	s_and_saveexec_b64 s[40:41], s[36:37]
	s_cbranch_execz .LBB2255_75
; %bb.72:
	v_mul_u32_u24_e32 v3, 0x44, v2
	ds_read_b32 v3, v3 offset:64
	v_add_u32_e32 v10, 1, v2
	v_cmp_ne_u32_e64 s[38:39], s38, v10
	v_mov_b32_e32 v9, 0x4000
	s_and_saveexec_b64 s[42:43], s[38:39]
; %bb.73:
	v_mul_u32_u24_e32 v9, 0x44, v10
	ds_read_b32 v9, v9 offset:64
; %bb.74:
	s_or_b64 exec, exec, s[42:43]
	s_waitcnt lgkmcnt(0)
	v_sub_u32_e32 v36, v9, v3
.LBB2255_75:
	s_or_b64 exec, exec, s[40:41]
	s_waitcnt lgkmcnt(14)
	v_add_u32_e32 v38, v8, v13
	v_add3_u32 v65, v14, v7, v48
	s_waitcnt lgkmcnt(13)
	v_add3_u32 v66, v16, v15, v49
	s_waitcnt lgkmcnt(12)
	;; [unrolled: 2-line block ×14, first 2 shown]
	v_add3_u32 v80, v45, v44, v63
	v_mov_b32_e32 v9, 0
	s_barrier
	ds_write_b8 v38, v5 offset:1024
	ds_write_b8 v65, v46 offset:1024
	;; [unrolled: 1-line block ×16, first 2 shown]
	s_and_saveexec_b64 s[38:39], s[36:37]
	s_cbranch_execz .LBB2255_85
; %bb.76:
	v_lshl_add_u32 v8, s2, 8, v2
	v_lshl_add_u64 v[10:11], v[8:9], 2, s[70:71]
	v_or_b32_e32 v5, 2.0, v36
	global_store_dword v[10:11], v5, off sc1
	s_mov_b64 s[40:41], 0
	s_brev_b32 s46, -4
	s_mov_b32 s47, s2
	v_mov_b32_e32 v5, 0
                                        ; implicit-def: $sgpr36_sgpr37
	s_branch .LBB2255_79
.LBB2255_77:                            ;   in Loop: Header=BB2255_79 Depth=1
	s_or_b64 exec, exec, s[44:45]
.LBB2255_78:                            ;   in Loop: Header=BB2255_79 Depth=1
	s_or_b64 exec, exec, s[42:43]
	v_and_b32_e32 v12, 0x3fffffff, v8
	v_add_u32_e32 v5, v12, v5
	v_cmp_gt_i32_e64 s[36:37], -2.0, v8
	s_and_b64 s[42:43], exec, s[36:37]
	s_or_b64 s[40:41], s[42:43], s[40:41]
	s_andn2_b64 exec, exec, s[40:41]
	s_cbranch_execz .LBB2255_84
.LBB2255_79:                            ; =>This Loop Header: Depth=1
                                        ;     Child Loop BB2255_82 Depth 2
	s_or_b64 s[36:37], s[36:37], exec
	s_cmp_eq_u32 s47, 0
	s_cbranch_scc1 .LBB2255_83
; %bb.80:                               ;   in Loop: Header=BB2255_79 Depth=1
	s_add_i32 s47, s47, -1
	v_lshl_or_b32 v8, s47, 8, v2
	v_lshl_add_u64 v[12:13], v[8:9], 2, s[70:71]
	global_load_dword v8, v[12:13], off sc1
	s_waitcnt vmcnt(0)
	v_cmp_gt_u32_e64 s[36:37], 2.0, v8
	s_and_saveexec_b64 s[42:43], s[36:37]
	s_cbranch_execz .LBB2255_78
; %bb.81:                               ;   in Loop: Header=BB2255_79 Depth=1
	s_mov_b64 s[44:45], 0
.LBB2255_82:                            ;   Parent Loop BB2255_79 Depth=1
                                        ; =>  This Inner Loop Header: Depth=2
	global_load_dword v8, v[12:13], off sc1
	s_waitcnt vmcnt(0)
	v_cmp_lt_u32_e64 s[36:37], s46, v8
	s_or_b64 s[44:45], s[36:37], s[44:45]
	s_andn2_b64 exec, exec, s[44:45]
	s_cbranch_execnz .LBB2255_82
	s_branch .LBB2255_77
.LBB2255_83:                            ;   in Loop: Header=BB2255_79 Depth=1
                                        ; implicit-def: $sgpr47
	s_and_b64 s[42:43], exec, s[36:37]
	s_or_b64 s[40:41], s[42:43], s[40:41]
	s_andn2_b64 exec, exec, s[40:41]
	s_cbranch_execnz .LBB2255_79
.LBB2255_84:
	s_or_b64 exec, exec, s[40:41]
	v_add_u32_e32 v8, v5, v36
	v_or_b32_e32 v8, 0x80000000, v8
	global_store_dword v[10:11], v8, off sc1
	global_load_dword v8, v30, s[80:81]
	v_sub_u32_e32 v5, v5, v3
	s_waitcnt vmcnt(0)
	v_add_u32_e32 v5, v5, v8
	ds_write_b32 v30, v5
.LBB2255_85:
	s_or_b64 exec, exec, s[38:39]
	v_cmp_gt_u32_e64 s[36:37], s3, v2
	s_waitcnt lgkmcnt(0)
	s_barrier
	s_and_saveexec_b64 s[38:39], s[36:37]
	s_cbranch_execz .LBB2255_87
; %bb.86:
	ds_read_u8 v5, v2 offset:1024
	s_waitcnt lgkmcnt(0)
	v_and_b32_e32 v8, 1, v5
	v_lshrrev_b32_e32 v8, s84, v8
	v_and_b32_e32 v8, s88, v8
	v_lshlrev_b32_e32 v9, 2, v8
	ds_read_b32 v9, v9
	v_xor_b32_e32 v5, 1, v5
	s_waitcnt lgkmcnt(0)
	v_add_u32_e32 v9, v9, v2
	global_store_byte v9, v5, s[74:75]
	scratch_store_dword off, v8, off
.LBB2255_87:
	s_or_b64 exec, exec, s[38:39]
	v_or_b32_e32 v5, 0x400, v2
	v_cmp_gt_u32_e64 s[36:37], s3, v5
	s_and_saveexec_b64 s[38:39], s[36:37]
	s_cbranch_execz .LBB2255_89
; %bb.88:
	ds_read_u8 v8, v2 offset:2048
	s_waitcnt lgkmcnt(0)
	v_and_b32_e32 v9, 1, v8
	v_lshrrev_b32_e32 v9, s84, v9
	v_and_b32_e32 v9, s88, v9
	v_lshlrev_b32_e32 v10, 2, v9
	ds_read_b32 v10, v10
	v_xor_b32_e32 v8, 1, v8
	s_waitcnt lgkmcnt(0)
	v_add_u32_e32 v5, v10, v5
	global_store_byte v5, v8, s[74:75]
	scratch_store_dword off, v9, off offset:4
.LBB2255_89:
	s_or_b64 exec, exec, s[38:39]
	v_or_b32_e32 v5, 0x800, v2
	v_cmp_gt_u32_e64 s[36:37], s3, v5
	s_and_saveexec_b64 s[38:39], s[36:37]
	s_cbranch_execz .LBB2255_91
; %bb.90:
	ds_read_u8 v8, v2 offset:3072
	s_waitcnt lgkmcnt(0)
	v_and_b32_e32 v9, 1, v8
	v_lshrrev_b32_e32 v9, s84, v9
	v_and_b32_e32 v9, s88, v9
	v_lshlrev_b32_e32 v10, 2, v9
	ds_read_b32 v10, v10
	v_xor_b32_e32 v8, 1, v8
	s_waitcnt lgkmcnt(0)
	v_add_u32_e32 v5, v10, v5
	global_store_byte v5, v8, s[74:75]
	scratch_store_dword off, v9, off offset:8
.LBB2255_91:
	;; [unrolled: 19-line block ×15, first 2 shown]
	s_or_b64 exec, exec, s[38:39]
	s_lshl_b64 s[36:37], s[86:87], 2
	s_add_u32 s36, s76, s36
	s_addc_u32 s37, s77, s37
	v_lshlrev_b32_e32 v8, 2, v6
	v_mov_b32_e32 v9, 0
	v_lshl_add_u64 v[10:11], s[36:37], 0, v[8:9]
	v_lshlrev_b32_e32 v8, 2, v4
	v_lshl_add_u64 v[4:5], v[10:11], 0, v[8:9]
                                        ; implicit-def: $vgpr6
	s_and_saveexec_b64 s[36:37], vcc
	s_xor_b64 s[36:37], exec, s[36:37]
	s_cbranch_execz .LBB2255_133
; %bb.118:
	global_load_dword v6, v[4:5], off
	s_or_b64 exec, exec, s[36:37]
                                        ; implicit-def: $vgpr8
	s_and_saveexec_b64 s[36:37], s[64:65]
	s_cbranch_execnz .LBB2255_134
.LBB2255_119:
	s_or_b64 exec, exec, s[36:37]
                                        ; implicit-def: $vgpr9
	s_and_saveexec_b64 s[36:37], s[4:5]
	s_cbranch_execz .LBB2255_135
.LBB2255_120:
	global_load_dword v9, v[4:5], off offset:512
	s_or_b64 exec, exec, s[36:37]
                                        ; implicit-def: $vgpr10
	s_and_saveexec_b64 s[4:5], s[6:7]
	s_cbranch_execnz .LBB2255_136
.LBB2255_121:
	s_or_b64 exec, exec, s[4:5]
                                        ; implicit-def: $vgpr11
	s_and_saveexec_b64 s[4:5], s[8:9]
	s_cbranch_execz .LBB2255_137
.LBB2255_122:
	global_load_dword v11, v[4:5], off offset:1024
	s_or_b64 exec, exec, s[4:5]
                                        ; implicit-def: $vgpr12
	s_and_saveexec_b64 s[4:5], s[10:11]
	s_cbranch_execnz .LBB2255_138
.LBB2255_123:
	s_or_b64 exec, exec, s[4:5]
                                        ; implicit-def: $vgpr13
	s_and_saveexec_b64 s[4:5], s[12:13]
	s_cbranch_execz .LBB2255_139
.LBB2255_124:
	global_load_dword v13, v[4:5], off offset:1536
	s_or_b64 exec, exec, s[4:5]
                                        ; implicit-def: $vgpr46
	s_and_saveexec_b64 s[4:5], s[14:15]
	s_cbranch_execnz .LBB2255_140
.LBB2255_125:
	s_or_b64 exec, exec, s[4:5]
                                        ; implicit-def: $vgpr47
	s_and_saveexec_b64 s[4:5], s[16:17]
	s_cbranch_execz .LBB2255_141
.LBB2255_126:
	global_load_dword v47, v[4:5], off offset:2048
	s_or_b64 exec, exec, s[4:5]
                                        ; implicit-def: $vgpr53
	s_and_saveexec_b64 s[4:5], s[18:19]
	s_cbranch_execnz .LBB2255_142
.LBB2255_127:
	s_or_b64 exec, exec, s[4:5]
                                        ; implicit-def: $vgpr64
	s_and_saveexec_b64 s[4:5], s[20:21]
	s_cbranch_execz .LBB2255_143
.LBB2255_128:
	global_load_dword v64, v[4:5], off offset:2560
	s_or_b64 exec, exec, s[4:5]
                                        ; implicit-def: $vgpr79
	s_and_saveexec_b64 s[4:5], s[22:23]
	s_cbranch_execnz .LBB2255_144
.LBB2255_129:
	s_or_b64 exec, exec, s[4:5]
                                        ; implicit-def: $vgpr81
	s_and_saveexec_b64 s[4:5], s[24:25]
	s_cbranch_execz .LBB2255_145
.LBB2255_130:
	global_load_dword v81, v[4:5], off offset:3072
	s_or_b64 exec, exec, s[4:5]
                                        ; implicit-def: $vgpr82
	s_and_saveexec_b64 s[4:5], s[26:27]
	s_cbranch_execnz .LBB2255_146
.LBB2255_131:
	s_or_b64 exec, exec, s[4:5]
                                        ; implicit-def: $vgpr83
	s_and_saveexec_b64 s[4:5], s[28:29]
	s_cbranch_execz .LBB2255_147
.LBB2255_132:
	global_load_dword v83, v[4:5], off offset:3584
	s_or_b64 exec, exec, s[4:5]
                                        ; implicit-def: $vgpr84
	s_and_saveexec_b64 s[4:5], s[30:31]
	s_cbranch_execnz .LBB2255_148
	s_branch .LBB2255_149
.LBB2255_133:
	s_or_b64 exec, exec, s[36:37]
                                        ; implicit-def: $vgpr8
	s_and_saveexec_b64 s[36:37], s[64:65]
	s_cbranch_execz .LBB2255_119
.LBB2255_134:
	global_load_dword v8, v[4:5], off offset:256
	s_or_b64 exec, exec, s[36:37]
                                        ; implicit-def: $vgpr9
	s_and_saveexec_b64 s[36:37], s[4:5]
	s_cbranch_execnz .LBB2255_120
.LBB2255_135:
	s_or_b64 exec, exec, s[36:37]
                                        ; implicit-def: $vgpr10
	s_and_saveexec_b64 s[4:5], s[6:7]
	s_cbranch_execz .LBB2255_121
.LBB2255_136:
	global_load_dword v10, v[4:5], off offset:768
	s_or_b64 exec, exec, s[4:5]
                                        ; implicit-def: $vgpr11
	s_and_saveexec_b64 s[4:5], s[8:9]
	s_cbranch_execnz .LBB2255_122
.LBB2255_137:
	s_or_b64 exec, exec, s[4:5]
                                        ; implicit-def: $vgpr12
	s_and_saveexec_b64 s[4:5], s[10:11]
	s_cbranch_execz .LBB2255_123
.LBB2255_138:
	global_load_dword v12, v[4:5], off offset:1280
	s_or_b64 exec, exec, s[4:5]
                                        ; implicit-def: $vgpr13
	s_and_saveexec_b64 s[4:5], s[12:13]
	s_cbranch_execnz .LBB2255_124
.LBB2255_139:
	s_or_b64 exec, exec, s[4:5]
                                        ; implicit-def: $vgpr46
	s_and_saveexec_b64 s[4:5], s[14:15]
	s_cbranch_execz .LBB2255_125
.LBB2255_140:
	global_load_dword v46, v[4:5], off offset:1792
	s_or_b64 exec, exec, s[4:5]
                                        ; implicit-def: $vgpr47
	s_and_saveexec_b64 s[4:5], s[16:17]
	s_cbranch_execnz .LBB2255_126
.LBB2255_141:
	s_or_b64 exec, exec, s[4:5]
                                        ; implicit-def: $vgpr53
	s_and_saveexec_b64 s[4:5], s[18:19]
	s_cbranch_execz .LBB2255_127
.LBB2255_142:
	global_load_dword v53, v[4:5], off offset:2304
	s_or_b64 exec, exec, s[4:5]
                                        ; implicit-def: $vgpr64
	s_and_saveexec_b64 s[4:5], s[20:21]
	s_cbranch_execnz .LBB2255_128
.LBB2255_143:
	s_or_b64 exec, exec, s[4:5]
                                        ; implicit-def: $vgpr79
	s_and_saveexec_b64 s[4:5], s[22:23]
	s_cbranch_execz .LBB2255_129
.LBB2255_144:
	global_load_dword v79, v[4:5], off offset:2816
	s_or_b64 exec, exec, s[4:5]
                                        ; implicit-def: $vgpr81
	s_and_saveexec_b64 s[4:5], s[24:25]
	s_cbranch_execnz .LBB2255_130
.LBB2255_145:
	s_or_b64 exec, exec, s[4:5]
                                        ; implicit-def: $vgpr82
	s_and_saveexec_b64 s[4:5], s[26:27]
	s_cbranch_execz .LBB2255_131
.LBB2255_146:
	global_load_dword v82, v[4:5], off offset:3328
	s_or_b64 exec, exec, s[4:5]
                                        ; implicit-def: $vgpr83
	s_and_saveexec_b64 s[4:5], s[28:29]
	s_cbranch_execnz .LBB2255_132
.LBB2255_147:
	s_or_b64 exec, exec, s[4:5]
                                        ; implicit-def: $vgpr84
	s_and_saveexec_b64 s[4:5], s[30:31]
	s_cbranch_execz .LBB2255_149
.LBB2255_148:
	global_load_dword v84, v[4:5], off offset:3840
.LBB2255_149:
	s_or_b64 exec, exec, s[4:5]
	v_mov_b32_e32 v4, 0x400
	s_movk_i32 s6, 0x400
	v_lshl_add_u32 v80, v80, 2, v4
	v_add3_u32 v44, v45, v63, v44
	v_lshl_add_u32 v45, v78, 2, v4
	v_add3_u32 v42, v43, v62, v42
	;; [unrolled: 2-line block ×15, first 2 shown]
	v_lshl_add_u32 v14, v38, 2, v4
	s_mov_b32 s7, 0
	s_mov_b32 s8, 0
	s_movk_i32 s9, 0x1000
	v_mov_b32_e32 v5, 0
	s_movk_i32 s10, 0x800
	s_movk_i32 s11, 0xc00
	s_mov_b32 s12, 0
	s_barrier
	s_branch .LBB2255_151
.LBB2255_150:                           ;   in Loop: Header=BB2255_151 Depth=1
	s_or_b64 exec, exec, s[4:5]
	s_addk_i32 s12, 0xc000
	s_addk_i32 s8, 0xf000
	s_add_i32 s7, s7, 16
	s_cmp_eq_u32 s12, 0xffff0000
	v_add_u32_e32 v2, 0x1000, v2
	s_barrier
	s_cbranch_scc1 .LBB2255_191
.LBB2255_151:                           ; =>This Inner Loop Header: Depth=1
	v_add_u32_e32 v4, s8, v38
	v_cmp_gt_u32_e32 vcc, s9, v4
	s_and_saveexec_b64 s[4:5], vcc
	s_cbranch_execz .LBB2255_153
; %bb.152:                              ;   in Loop: Header=BB2255_151 Depth=1
	v_add_u32_e32 v4, s12, v14
	s_waitcnt vmcnt(0)
	ds_write_b32 v4, v6
.LBB2255_153:                           ;   in Loop: Header=BB2255_151 Depth=1
	s_or_b64 exec, exec, s[4:5]
	v_add_u32_e32 v4, s8, v7
	v_cmp_gt_u32_e32 vcc, s9, v4
	s_and_saveexec_b64 s[4:5], vcc
	s_cbranch_execz .LBB2255_155
; %bb.154:                              ;   in Loop: Header=BB2255_151 Depth=1
	v_add_u32_e32 v4, s12, v16
	s_waitcnt vmcnt(0)
	ds_write_b32 v4, v8
.LBB2255_155:                           ;   in Loop: Header=BB2255_151 Depth=1
	s_or_b64 exec, exec, s[4:5]
	;; [unrolled: 10-line block ×16, first 2 shown]
	v_cmp_gt_u32_e32 vcc, s3, v2
	s_waitcnt lgkmcnt(0)
	s_barrier
	s_and_saveexec_b64 s[4:5], vcc
	s_cbranch_execz .LBB2255_185
; %bb.184:                              ;   in Loop: Header=BB2255_151 Depth=1
	scratch_load_dword v4, off, s7
	s_waitcnt vmcnt(0)
	v_lshlrev_b32_e32 v4, 2, v4
	ds_read_b32 v4, v4
	ds_read_b32 v50, v30 offset:1024
	s_waitcnt lgkmcnt(1)
	v_add_u32_e32 v4, v2, v4
	v_lshl_add_u64 v[48:49], v[4:5], 2, s[78:79]
	s_waitcnt lgkmcnt(0)
	global_store_dword v[48:49], v50, off
.LBB2255_185:                           ;   in Loop: Header=BB2255_151 Depth=1
	s_or_b64 exec, exec, s[4:5]
	v_add_u32_e32 v4, 0x400, v2
	v_cmp_gt_u32_e32 vcc, s3, v4
	s_and_saveexec_b64 s[4:5], vcc
	s_cbranch_execz .LBB2255_187
; %bb.186:                              ;   in Loop: Header=BB2255_151 Depth=1
	s_add_i32 s13, s7, 4
	scratch_load_dword v4, off, s13
	s_waitcnt vmcnt(0)
	v_lshlrev_b32_e32 v4, 2, v4
	ds_read_b32 v4, v4
	ds_read_b32 v50, v30 offset:5120
	s_waitcnt lgkmcnt(1)
	v_add3_u32 v4, v2, v4, s6
	v_lshl_add_u64 v[48:49], v[4:5], 2, s[78:79]
	s_waitcnt lgkmcnt(0)
	global_store_dword v[48:49], v50, off
.LBB2255_187:                           ;   in Loop: Header=BB2255_151 Depth=1
	s_or_b64 exec, exec, s[4:5]
	v_add_u32_e32 v4, 0x800, v2
	v_cmp_gt_u32_e32 vcc, s3, v4
	s_and_saveexec_b64 s[4:5], vcc
	s_cbranch_execz .LBB2255_189
; %bb.188:                              ;   in Loop: Header=BB2255_151 Depth=1
	s_add_i32 s13, s7, 8
	scratch_load_dword v4, off, s13
	s_waitcnt vmcnt(0)
	v_lshlrev_b32_e32 v4, 2, v4
	ds_read_b32 v4, v4
	ds_read_b32 v50, v30 offset:9216
	s_waitcnt lgkmcnt(1)
	v_add3_u32 v4, v2, v4, s10
	v_lshl_add_u64 v[48:49], v[4:5], 2, s[78:79]
	s_waitcnt lgkmcnt(0)
	global_store_dword v[48:49], v50, off
.LBB2255_189:                           ;   in Loop: Header=BB2255_151 Depth=1
	s_or_b64 exec, exec, s[4:5]
	v_add_u32_e32 v4, 0xc00, v2
	v_cmp_gt_u32_e32 vcc, s3, v4
	s_and_saveexec_b64 s[4:5], vcc
	s_cbranch_execz .LBB2255_150
; %bb.190:                              ;   in Loop: Header=BB2255_151 Depth=1
	s_add_i32 s13, s7, 12
	scratch_load_dword v4, off, s13
	s_waitcnt vmcnt(0)
	v_lshlrev_b32_e32 v4, 2, v4
	ds_read_b32 v4, v4
	ds_read_b32 v50, v30 offset:13312
	s_waitcnt lgkmcnt(1)
	v_add3_u32 v4, v2, v4, s11
	v_lshl_add_u64 v[48:49], v[4:5], 2, s[78:79]
	s_waitcnt lgkmcnt(0)
	global_store_dword v[48:49], v50, off
	s_branch .LBB2255_150
.LBB2255_191:
	s_add_i32 s33, s33, -1
	s_cmp_eq_u32 s2, s33
	s_cselect_b64 s[4:5], -1, 0
	s_xor_b64 s[6:7], s[34:35], -1
	s_and_b64 s[6:7], s[6:7], s[4:5]
	s_and_saveexec_b64 s[4:5], s[6:7]
	s_cbranch_execz .LBB2255_193
; %bb.192:
	ds_read_b32 v2, v30
	s_waitcnt lgkmcnt(0)
	v_add3_u32 v2, v3, v36, v2
	global_store_dword v30, v2, s[82:83]
.LBB2255_193:
	s_or_b64 exec, exec, s[4:5]
	s_mov_b64 s[4:5], 0
.LBB2255_194:
	s_and_b64 vcc, exec, s[4:5]
	s_cbranch_vccz .LBB2255_283
; %bb.195:
	s_lshl_b32 s10, s2, 14
	v_and_b32_e32 v16, 0x3ff, v0
	s_add_u32 s4, s72, s10
	v_mbcnt_hi_u32_b32 v5, -1, v1
	s_addc_u32 s5, s73, 0
	v_and_b32_e32 v20, 63, v5
	v_lshlrev_b32_e32 v1, 4, v16
	v_mov_b32_e32 v21, 0
	v_and_b32_e32 v18, 0x3c00, v1
	v_lshl_add_u64 v[2:3], s[4:5], 0, v[20:21]
	v_mov_b32_e32 v19, v21
	s_waitcnt vmcnt(0)
	v_lshl_add_u64 v[6:7], v[2:3], 0, v[18:19]
	global_load_ubyte v1, v[6:7], off
	s_load_dword s3, s[0:1], 0x58
	s_load_dword s4, s[0:1], 0x64
	global_load_ubyte v3, v[6:7], off offset:64
	global_load_ubyte v2, v[6:7], off offset:128
	;; [unrolled: 1-line block ×7, first 2 shown]
	v_mov_b32_e32 v11, v21
	s_mov_b32 s11, 0
	v_mul_u32_u24_e32 v8, 20, v16
	s_waitcnt vmcnt(7)
	v_and_b32_e32 v1, 1, v1
	v_cmp_eq_u32_e32 vcc, 1, v1
	s_xor_b64 s[6:7], vcc, -1
	s_add_u32 s0, s0, 0x58
	s_addc_u32 s1, s1, 0
	s_waitcnt lgkmcnt(0)
	s_lshr_b32 s5, s4, 16
	s_cmp_lt_u32 s2, s3
	s_cselect_b32 s4, 12, 18
	s_add_u32 s0, s0, s4
	s_addc_u32 s1, s1, 0
	global_load_ushort v9, v21, s[0:1]
	global_load_ubyte v34, v[6:7], off offset:512
	global_load_ubyte v36, v[6:7], off offset:576
	;; [unrolled: 1-line block ×8, first 2 shown]
	v_cndmask_b32_e64 v4, 0, 1, s[6:7]
	v_lshrrev_b32_e32 v6, s84, v4
	s_lshl_b32 s0, -1, s85
	v_bfe_u32 v1, v0, 10, 10
	v_bfe_u32 v0, v0, 20, 10
	v_bitop3_b32 v10, v6, s0, v6 bitop3:0x30
	v_mad_u32_u24 v7, v0, s5, v1
	v_cmp_ne_u32_e32 vcc, 0, v10
	v_lshl_add_u64 v[0:1], v[10:11], 0, -1
	s_movk_i32 s4, 0x44
	v_xor_b32_e32 v0, vcc_lo, v0
	v_xor_b32_e32 v1, vcc_hi, v1
	v_and_b32_e32 v0, exec_lo, v0
	v_and_b32_e32 v1, exec_hi, v1
	v_mbcnt_lo_u32_b32 v6, v0, 0
	v_mbcnt_hi_u32_b32 v6, v1, v6
	s_not_b32 s14, s0
	v_cmp_ne_u64_e32 vcc, 0, v[0:1]
	v_cmp_eq_u32_e64 s[0:1], 0, v6
	ds_write2_b32 v8, v21, v21 offset0:16 offset1:17
	ds_write2_b32 v8, v21, v21 offset0:18 offset1:19
	ds_write_b32 v8, v21 offset:80
	s_waitcnt lgkmcnt(0)
	s_barrier
	s_waitcnt vmcnt(8)
	; wave barrier
	v_mad_u64_u32 v[22:23], s[6:7], v7, v9, v[16:17]
	v_lshrrev_b32_e32 v7, 6, v22
	v_lshlrev_b32_e32 v44, 2, v7
	v_mad_u32_u24 v10, v10, s4, v44
	s_and_b64 s[6:7], vcc, s[0:1]
	s_and_saveexec_b64 s[0:1], s[6:7]
; %bb.196:
	v_bcnt_u32_b32 v0, v0, 0
	v_bcnt_u32_b32 v0, v1, v0
	ds_write_b32 v10, v0 offset:64
; %bb.197:
	s_or_b64 exec, exec, s[0:1]
	v_and_b32_e32 v0, 1, v3
	v_cmp_eq_u32_e32 vcc, 1, v0
	s_xor_b64 s[0:1], vcc, -1
	v_cndmask_b32_e64 v7, 0, 1, s[0:1]
	v_lshrrev_b32_e32 v0, s84, v7
	v_and_b32_e32 v0, s14, v0
	v_mov_b32_e32 v1, v21
	v_mad_u32_u24 v11, v0, s4, v44
	v_cmp_ne_u32_e32 vcc, 0, v0
	v_lshl_add_u64 v[0:1], v[0:1], 0, -1
	s_nop 0
	v_xor_b32_e32 v0, vcc_lo, v0
	; wave barrier
	ds_read_b32 v17, v11 offset:64
	v_xor_b32_e32 v1, vcc_hi, v1
	v_and_b32_e32 v0, exec_lo, v0
	v_and_b32_e32 v1, exec_hi, v1
	v_mbcnt_lo_u32_b32 v3, v0, 0
	v_mbcnt_hi_u32_b32 v19, v1, v3
	v_cmp_eq_u32_e32 vcc, 0, v19
	v_cmp_ne_u64_e64 s[0:1], 0, v[0:1]
	s_and_b64 s[4:5], s[0:1], vcc
	; wave barrier
	s_and_saveexec_b64 s[0:1], s[4:5]
	s_cbranch_execz .LBB2255_199
; %bb.198:
	v_bcnt_u32_b32 v0, v0, 0
	v_bcnt_u32_b32 v0, v1, v0
	s_waitcnt lgkmcnt(0)
	v_add_u32_e32 v0, v17, v0
	ds_write_b32 v11, v0 offset:64
.LBB2255_199:
	s_or_b64 exec, exec, s[0:1]
	v_and_b32_e32 v0, 1, v2
	v_cmp_eq_u32_e32 vcc, 1, v0
	s_xor_b64 s[0:1], vcc, -1
	v_cndmask_b32_e64 v9, 0, 1, s[0:1]
	v_lshrrev_b32_e32 v0, s84, v9
	v_and_b32_e32 v0, s14, v0
	v_mov_b32_e32 v1, 0
	s_movk_i32 s4, 0x44
	v_cmp_ne_u32_e32 vcc, 0, v0
	v_lshl_add_u64 v[2:3], v[0:1], 0, -1
	v_mad_u32_u24 v14, v0, s4, v44
	v_xor_b32_e32 v2, vcc_lo, v2
	; wave barrier
	ds_read_b32 v22, v14 offset:64
	v_xor_b32_e32 v0, vcc_hi, v3
	v_and_b32_e32 v2, exec_lo, v2
	v_and_b32_e32 v3, exec_hi, v0
	v_mbcnt_lo_u32_b32 v0, v2, 0
	v_mbcnt_hi_u32_b32 v23, v3, v0
	v_cmp_eq_u32_e32 vcc, 0, v23
	v_cmp_ne_u64_e64 s[0:1], 0, v[2:3]
	s_and_b64 s[6:7], s[0:1], vcc
	; wave barrier
	s_and_saveexec_b64 s[0:1], s[6:7]
	s_cbranch_execz .LBB2255_201
; %bb.200:
	v_bcnt_u32_b32 v0, v2, 0
	v_bcnt_u32_b32 v0, v3, v0
	s_waitcnt lgkmcnt(0)
	v_add_u32_e32 v0, v22, v0
	ds_write_b32 v14, v0 offset:64
.LBB2255_201:
	s_or_b64 exec, exec, s[0:1]
	v_and_b32_e32 v0, 1, v12
	v_cmp_eq_u32_e32 vcc, 1, v0
	s_xor_b64 s[0:1], vcc, -1
	v_cndmask_b32_e64 v12, 0, 1, s[0:1]
	v_lshrrev_b32_e32 v0, s84, v12
	v_and_b32_e32 v0, s14, v0
	v_mad_u32_u24 v42, v0, s4, v44
	v_cmp_ne_u32_e32 vcc, 0, v0
	v_lshl_add_u64 v[0:1], v[0:1], 0, -1
	s_nop 0
	v_xor_b32_e32 v0, vcc_lo, v0
	; wave barrier
	ds_read_b32 v24, v42 offset:64
	v_xor_b32_e32 v1, vcc_hi, v1
	v_and_b32_e32 v0, exec_lo, v0
	v_and_b32_e32 v1, exec_hi, v1
	v_mbcnt_lo_u32_b32 v2, v0, 0
	v_mbcnt_hi_u32_b32 v25, v1, v2
	v_cmp_eq_u32_e32 vcc, 0, v25
	v_cmp_ne_u64_e64 s[0:1], 0, v[0:1]
	s_and_b64 s[4:5], s[0:1], vcc
	; wave barrier
	s_and_saveexec_b64 s[0:1], s[4:5]
	s_cbranch_execz .LBB2255_203
; %bb.202:
	v_bcnt_u32_b32 v0, v0, 0
	v_bcnt_u32_b32 v0, v1, v0
	s_waitcnt lgkmcnt(0)
	v_add_u32_e32 v0, v24, v0
	ds_write_b32 v42, v0 offset:64
.LBB2255_203:
	s_or_b64 exec, exec, s[0:1]
	v_and_b32_e32 v0, 1, v13
	v_cmp_eq_u32_e32 vcc, 1, v0
	s_xor_b64 s[0:1], vcc, -1
	v_cndmask_b32_e64 v13, 0, 1, s[0:1]
	v_lshrrev_b32_e32 v0, s84, v13
	v_and_b32_e32 v0, s14, v0
	v_mov_b32_e32 v1, 0
	s_movk_i32 s4, 0x44
	v_cmp_ne_u32_e32 vcc, 0, v0
	v_lshl_add_u64 v[2:3], v[0:1], 0, -1
	v_mad_u32_u24 v46, v0, s4, v44
	v_xor_b32_e32 v2, vcc_lo, v2
	; wave barrier
	ds_read_b32 v26, v46 offset:64
	v_xor_b32_e32 v0, vcc_hi, v3
	v_and_b32_e32 v2, exec_lo, v2
	v_and_b32_e32 v3, exec_hi, v0
	v_mbcnt_lo_u32_b32 v0, v2, 0
	v_mbcnt_hi_u32_b32 v27, v3, v0
	v_cmp_eq_u32_e32 vcc, 0, v27
	v_cmp_ne_u64_e64 s[0:1], 0, v[2:3]
	s_and_b64 s[6:7], s[0:1], vcc
	; wave barrier
	s_and_saveexec_b64 s[0:1], s[6:7]
	s_cbranch_execz .LBB2255_205
; %bb.204:
	v_bcnt_u32_b32 v0, v2, 0
	v_bcnt_u32_b32 v0, v3, v0
	s_waitcnt lgkmcnt(0)
	v_add_u32_e32 v0, v26, v0
	ds_write_b32 v46, v0 offset:64
.LBB2255_205:
	s_or_b64 exec, exec, s[0:1]
	v_and_b32_e32 v0, 1, v28
	v_cmp_eq_u32_e32 vcc, 1, v0
	s_xor_b64 s[0:1], vcc, -1
	v_cndmask_b32_e64 v21, 0, 1, s[0:1]
	v_lshrrev_b32_e32 v0, s84, v21
	v_and_b32_e32 v0, s14, v0
	v_mad_u32_u24 v58, v0, s4, v44
	v_cmp_ne_u32_e32 vcc, 0, v0
	v_lshl_add_u64 v[0:1], v[0:1], 0, -1
	s_nop 0
	v_xor_b32_e32 v0, vcc_lo, v0
	; wave barrier
	ds_read_b32 v28, v58 offset:64
	v_xor_b32_e32 v1, vcc_hi, v1
	v_and_b32_e32 v0, exec_lo, v0
	v_and_b32_e32 v1, exec_hi, v1
	v_mbcnt_lo_u32_b32 v2, v0, 0
	v_mbcnt_hi_u32_b32 v29, v1, v2
	v_cmp_eq_u32_e32 vcc, 0, v29
	v_cmp_ne_u64_e64 s[0:1], 0, v[0:1]
	s_and_b64 s[4:5], s[0:1], vcc
	; wave barrier
	s_and_saveexec_b64 s[0:1], s[4:5]
	s_cbranch_execz .LBB2255_207
; %bb.206:
	v_bcnt_u32_b32 v0, v0, 0
	v_bcnt_u32_b32 v0, v1, v0
	s_waitcnt lgkmcnt(0)
	v_add_u32_e32 v0, v28, v0
	ds_write_b32 v58, v0 offset:64
.LBB2255_207:
	s_or_b64 exec, exec, s[0:1]
	v_and_b32_e32 v0, 1, v30
	v_cmp_eq_u32_e32 vcc, 1, v0
	s_xor_b64 s[0:1], vcc, -1
	v_cndmask_b32_e64 v82, 0, 1, s[0:1]
	v_lshrrev_b32_e32 v0, s84, v82
	v_and_b32_e32 v0, s14, v0
	v_mov_b32_e32 v1, 0
	s_movk_i32 s4, 0x44
	v_cmp_ne_u32_e32 vcc, 0, v0
	v_lshl_add_u64 v[2:3], v[0:1], 0, -1
	v_mad_u32_u24 v59, v0, s4, v44
	v_xor_b32_e32 v2, vcc_lo, v2
	; wave barrier
	ds_read_b32 v30, v59 offset:64
	v_xor_b32_e32 v0, vcc_hi, v3
	v_and_b32_e32 v2, exec_lo, v2
	v_and_b32_e32 v3, exec_hi, v0
	v_mbcnt_lo_u32_b32 v0, v2, 0
	v_mbcnt_hi_u32_b32 v31, v3, v0
	v_cmp_eq_u32_e32 vcc, 0, v31
	v_cmp_ne_u64_e64 s[0:1], 0, v[2:3]
	s_and_b64 s[6:7], s[0:1], vcc
	; wave barrier
	s_and_saveexec_b64 s[0:1], s[6:7]
	s_cbranch_execz .LBB2255_209
; %bb.208:
	v_bcnt_u32_b32 v0, v2, 0
	v_bcnt_u32_b32 v0, v3, v0
	s_waitcnt lgkmcnt(0)
	v_add_u32_e32 v0, v30, v0
	ds_write_b32 v59, v0 offset:64
.LBB2255_209:
	s_or_b64 exec, exec, s[0:1]
	v_and_b32_e32 v0, 1, v32
	v_cmp_eq_u32_e32 vcc, 1, v0
	s_xor_b64 s[0:1], vcc, -1
	v_cndmask_b32_e64 v83, 0, 1, s[0:1]
	v_lshrrev_b32_e32 v0, s84, v83
	v_and_b32_e32 v0, s14, v0
	v_mad_u32_u24 v60, v0, s4, v44
	v_cmp_ne_u32_e32 vcc, 0, v0
	v_lshl_add_u64 v[0:1], v[0:1], 0, -1
	s_nop 0
	v_xor_b32_e32 v0, vcc_lo, v0
	; wave barrier
	ds_read_b32 v32, v60 offset:64
	v_xor_b32_e32 v1, vcc_hi, v1
	v_and_b32_e32 v0, exec_lo, v0
	v_and_b32_e32 v1, exec_hi, v1
	v_mbcnt_lo_u32_b32 v2, v0, 0
	v_mbcnt_hi_u32_b32 v33, v1, v2
	v_cmp_eq_u32_e32 vcc, 0, v33
	v_cmp_ne_u64_e64 s[0:1], 0, v[0:1]
	s_and_b64 s[4:5], s[0:1], vcc
	; wave barrier
	s_and_saveexec_b64 s[0:1], s[4:5]
	s_cbranch_execz .LBB2255_211
; %bb.210:
	v_bcnt_u32_b32 v0, v0, 0
	v_bcnt_u32_b32 v0, v1, v0
	s_waitcnt lgkmcnt(0)
	v_add_u32_e32 v0, v32, v0
	ds_write_b32 v60, v0 offset:64
.LBB2255_211:
	s_or_b64 exec, exec, s[0:1]
	s_waitcnt vmcnt(7)
	v_and_b32_e32 v0, 1, v34
	v_cmp_eq_u32_e32 vcc, 1, v0
	s_xor_b64 s[0:1], vcc, -1
	v_cndmask_b32_e64 v84, 0, 1, s[0:1]
	v_lshrrev_b32_e32 v0, s84, v84
	v_and_b32_e32 v0, s14, v0
	v_mov_b32_e32 v1, 0
	s_movk_i32 s4, 0x44
	v_cmp_ne_u32_e32 vcc, 0, v0
	v_lshl_add_u64 v[2:3], v[0:1], 0, -1
	v_mad_u32_u24 v61, v0, s4, v44
	v_xor_b32_e32 v2, vcc_lo, v2
	; wave barrier
	ds_read_b32 v34, v61 offset:64
	v_xor_b32_e32 v0, vcc_hi, v3
	v_and_b32_e32 v2, exec_lo, v2
	v_and_b32_e32 v3, exec_hi, v0
	v_mbcnt_lo_u32_b32 v0, v2, 0
	v_mbcnt_hi_u32_b32 v35, v3, v0
	v_cmp_eq_u32_e32 vcc, 0, v35
	v_cmp_ne_u64_e64 s[0:1], 0, v[2:3]
	s_and_b64 s[6:7], s[0:1], vcc
	; wave barrier
	s_and_saveexec_b64 s[0:1], s[6:7]
	s_cbranch_execz .LBB2255_213
; %bb.212:
	v_bcnt_u32_b32 v0, v2, 0
	v_bcnt_u32_b32 v0, v3, v0
	s_waitcnt lgkmcnt(0)
	v_add_u32_e32 v0, v34, v0
	ds_write_b32 v61, v0 offset:64
.LBB2255_213:
	s_or_b64 exec, exec, s[0:1]
	s_waitcnt vmcnt(6)
	v_and_b32_e32 v0, 1, v36
	v_cmp_eq_u32_e32 vcc, 1, v0
	s_xor_b64 s[0:1], vcc, -1
	v_cndmask_b32_e64 v85, 0, 1, s[0:1]
	v_lshrrev_b32_e32 v0, s84, v85
	v_and_b32_e32 v0, s14, v0
	v_mad_u32_u24 v62, v0, s4, v44
	v_cmp_ne_u32_e32 vcc, 0, v0
	v_lshl_add_u64 v[0:1], v[0:1], 0, -1
	s_nop 0
	v_xor_b32_e32 v0, vcc_lo, v0
	; wave barrier
	ds_read_b32 v36, v62 offset:64
	v_xor_b32_e32 v1, vcc_hi, v1
	v_and_b32_e32 v0, exec_lo, v0
	v_and_b32_e32 v1, exec_hi, v1
	v_mbcnt_lo_u32_b32 v2, v0, 0
	v_mbcnt_hi_u32_b32 v37, v1, v2
	v_cmp_eq_u32_e32 vcc, 0, v37
	v_cmp_ne_u64_e64 s[0:1], 0, v[0:1]
	s_and_b64 s[4:5], s[0:1], vcc
	; wave barrier
	s_and_saveexec_b64 s[0:1], s[4:5]
	s_cbranch_execz .LBB2255_215
; %bb.214:
	v_bcnt_u32_b32 v0, v0, 0
	v_bcnt_u32_b32 v0, v1, v0
	s_waitcnt lgkmcnt(0)
	v_add_u32_e32 v0, v36, v0
	ds_write_b32 v62, v0 offset:64
.LBB2255_215:
	s_or_b64 exec, exec, s[0:1]
	s_waitcnt vmcnt(5)
	v_and_b32_e32 v0, 1, v39
	v_cmp_eq_u32_e32 vcc, 1, v0
	s_xor_b64 s[0:1], vcc, -1
	v_cndmask_b32_e64 v86, 0, 1, s[0:1]
	v_lshrrev_b32_e32 v0, s84, v86
	v_and_b32_e32 v0, s14, v0
	v_mov_b32_e32 v1, 0
	s_movk_i32 s4, 0x44
	v_cmp_ne_u32_e32 vcc, 0, v0
	v_lshl_add_u64 v[2:3], v[0:1], 0, -1
	v_mad_u32_u24 v63, v0, s4, v44
	v_xor_b32_e32 v2, vcc_lo, v2
	; wave barrier
	ds_read_b32 v39, v63 offset:64
	v_xor_b32_e32 v0, vcc_hi, v3
	v_and_b32_e32 v2, exec_lo, v2
	v_and_b32_e32 v3, exec_hi, v0
	v_mbcnt_lo_u32_b32 v0, v2, 0
	v_mbcnt_hi_u32_b32 v40, v3, v0
	v_cmp_eq_u32_e32 vcc, 0, v40
	v_cmp_ne_u64_e64 s[0:1], 0, v[2:3]
	s_and_b64 s[6:7], s[0:1], vcc
	; wave barrier
	s_and_saveexec_b64 s[0:1], s[6:7]
	s_cbranch_execz .LBB2255_217
; %bb.216:
	v_bcnt_u32_b32 v0, v2, 0
	v_bcnt_u32_b32 v0, v3, v0
	s_waitcnt lgkmcnt(0)
	v_add_u32_e32 v0, v39, v0
	ds_write_b32 v63, v0 offset:64
.LBB2255_217:
	s_or_b64 exec, exec, s[0:1]
	s_waitcnt vmcnt(4)
	v_and_b32_e32 v0, 1, v41
	v_cmp_eq_u32_e32 vcc, 1, v0
	s_xor_b64 s[0:1], vcc, -1
	v_cndmask_b32_e64 v87, 0, 1, s[0:1]
	v_lshrrev_b32_e32 v0, s84, v87
	v_and_b32_e32 v0, s14, v0
	v_mad_u32_u24 v64, v0, s4, v44
	v_cmp_ne_u32_e32 vcc, 0, v0
	v_lshl_add_u64 v[0:1], v[0:1], 0, -1
	s_nop 0
	v_xor_b32_e32 v0, vcc_lo, v0
	; wave barrier
	ds_read_b32 v41, v64 offset:64
	v_xor_b32_e32 v1, vcc_hi, v1
	v_and_b32_e32 v0, exec_lo, v0
	v_and_b32_e32 v1, exec_hi, v1
	v_mbcnt_lo_u32_b32 v2, v0, 0
	v_mbcnt_hi_u32_b32 v43, v1, v2
	v_cmp_eq_u32_e32 vcc, 0, v43
	v_cmp_ne_u64_e64 s[0:1], 0, v[0:1]
	s_and_b64 s[4:5], s[0:1], vcc
	; wave barrier
	s_and_saveexec_b64 s[0:1], s[4:5]
	s_cbranch_execz .LBB2255_219
; %bb.218:
	v_bcnt_u32_b32 v0, v0, 0
	v_bcnt_u32_b32 v0, v1, v0
	s_waitcnt lgkmcnt(0)
	v_add_u32_e32 v0, v41, v0
	ds_write_b32 v64, v0 offset:64
.LBB2255_219:
	s_or_b64 exec, exec, s[0:1]
	s_waitcnt vmcnt(3)
	v_and_b32_e32 v0, 1, v45
	v_cmp_eq_u32_e32 vcc, 1, v0
	s_xor_b64 s[0:1], vcc, -1
	v_cndmask_b32_e64 v88, 0, 1, s[0:1]
	v_lshrrev_b32_e32 v0, s84, v88
	v_and_b32_e32 v0, s14, v0
	v_mov_b32_e32 v1, 0
	s_movk_i32 s4, 0x44
	v_cmp_ne_u32_e32 vcc, 0, v0
	v_lshl_add_u64 v[2:3], v[0:1], 0, -1
	v_mad_u32_u24 v65, v0, s4, v44
	v_xor_b32_e32 v2, vcc_lo, v2
	; wave barrier
	ds_read_b32 v45, v65 offset:64
	v_xor_b32_e32 v0, vcc_hi, v3
	v_and_b32_e32 v2, exec_lo, v2
	v_and_b32_e32 v3, exec_hi, v0
	v_mbcnt_lo_u32_b32 v0, v2, 0
	v_mbcnt_hi_u32_b32 v47, v3, v0
	v_cmp_eq_u32_e32 vcc, 0, v47
	v_cmp_ne_u64_e64 s[0:1], 0, v[2:3]
	s_and_b64 s[6:7], s[0:1], vcc
	; wave barrier
	s_and_saveexec_b64 s[0:1], s[6:7]
	s_cbranch_execz .LBB2255_221
; %bb.220:
	v_bcnt_u32_b32 v0, v2, 0
	v_bcnt_u32_b32 v0, v3, v0
	s_waitcnt lgkmcnt(0)
	v_add_u32_e32 v0, v45, v0
	ds_write_b32 v65, v0 offset:64
.LBB2255_221:
	s_or_b64 exec, exec, s[0:1]
	s_waitcnt vmcnt(2)
	v_and_b32_e32 v0, 1, v48
	v_cmp_eq_u32_e32 vcc, 1, v0
	s_xor_b64 s[0:1], vcc, -1
	v_cndmask_b32_e64 v89, 0, 1, s[0:1]
	v_lshrrev_b32_e32 v0, s84, v89
	v_and_b32_e32 v0, s14, v0
	v_mad_u32_u24 v66, v0, s4, v44
	v_cmp_ne_u32_e32 vcc, 0, v0
	v_lshl_add_u64 v[0:1], v[0:1], 0, -1
	s_nop 0
	v_xor_b32_e32 v0, vcc_lo, v0
	; wave barrier
	ds_read_b32 v48, v66 offset:64
	v_xor_b32_e32 v1, vcc_hi, v1
	v_and_b32_e32 v0, exec_lo, v0
	v_and_b32_e32 v1, exec_hi, v1
	v_mbcnt_lo_u32_b32 v2, v0, 0
	v_mbcnt_hi_u32_b32 v49, v1, v2
	v_cmp_eq_u32_e32 vcc, 0, v49
	v_cmp_ne_u64_e64 s[0:1], 0, v[0:1]
	s_and_b64 s[4:5], s[0:1], vcc
	; wave barrier
	s_and_saveexec_b64 s[0:1], s[4:5]
	s_cbranch_execz .LBB2255_223
; %bb.222:
	v_bcnt_u32_b32 v0, v0, 0
	v_bcnt_u32_b32 v0, v1, v0
	s_waitcnt lgkmcnt(0)
	v_add_u32_e32 v0, v48, v0
	ds_write_b32 v66, v0 offset:64
.LBB2255_223:
	s_or_b64 exec, exec, s[0:1]
	s_waitcnt vmcnt(1)
	v_and_b32_e32 v0, 1, v38
	v_cmp_eq_u32_e32 vcc, 1, v0
	s_xor_b64 s[0:1], vcc, -1
	v_cndmask_b32_e64 v90, 0, 1, s[0:1]
	v_lshrrev_b32_e32 v0, s84, v90
	v_and_b32_e32 v0, s14, v0
	v_mov_b32_e32 v1, 0
	s_movk_i32 s4, 0x44
	v_cmp_ne_u32_e32 vcc, 0, v0
	v_lshl_add_u64 v[2:3], v[0:1], 0, -1
	v_mad_u32_u24 v68, v0, s4, v44
	v_xor_b32_e32 v2, vcc_lo, v2
	; wave barrier
	ds_read_b32 v50, v68 offset:64
	v_xor_b32_e32 v0, vcc_hi, v3
	v_and_b32_e32 v2, exec_lo, v2
	v_and_b32_e32 v3, exec_hi, v0
	v_mbcnt_lo_u32_b32 v0, v2, 0
	v_mbcnt_hi_u32_b32 v51, v3, v0
	v_cmp_eq_u32_e32 vcc, 0, v51
	v_cmp_ne_u64_e64 s[0:1], 0, v[2:3]
	s_and_b64 s[6:7], s[0:1], vcc
	; wave barrier
	s_and_saveexec_b64 s[0:1], s[6:7]
	s_cbranch_execz .LBB2255_225
; %bb.224:
	v_bcnt_u32_b32 v0, v2, 0
	v_bcnt_u32_b32 v0, v3, v0
	s_waitcnt lgkmcnt(0)
	v_add_u32_e32 v0, v50, v0
	ds_write_b32 v68, v0 offset:64
.LBB2255_225:
	s_or_b64 exec, exec, s[0:1]
	s_waitcnt vmcnt(0)
	v_and_b32_e32 v0, 1, v15
	v_cmp_eq_u32_e32 vcc, 1, v0
	s_xor_b64 s[0:1], vcc, -1
	v_cndmask_b32_e64 v15, 0, 1, s[0:1]
	v_lshrrev_b32_e32 v0, s84, v15
	v_and_b32_e32 v0, s14, v0
	v_mad_u32_u24 v44, v0, s4, v44
	v_cmp_ne_u32_e32 vcc, 0, v0
	v_lshl_add_u64 v[0:1], v[0:1], 0, -1
	s_nop 0
	v_xor_b32_e32 v0, vcc_lo, v0
	; wave barrier
	ds_read_b32 v52, v44 offset:64
	v_xor_b32_e32 v1, vcc_hi, v1
	v_and_b32_e32 v0, exec_lo, v0
	v_and_b32_e32 v1, exec_hi, v1
	v_mbcnt_lo_u32_b32 v2, v0, 0
	v_mbcnt_hi_u32_b32 v53, v1, v2
	v_cmp_eq_u32_e32 vcc, 0, v53
	v_cmp_ne_u64_e64 s[0:1], 0, v[0:1]
	s_and_b64 s[4:5], s[0:1], vcc
	; wave barrier
	s_and_saveexec_b64 s[0:1], s[4:5]
	s_cbranch_execz .LBB2255_227
; %bb.226:
	v_bcnt_u32_b32 v0, v0, 0
	v_bcnt_u32_b32 v0, v1, v0
	s_waitcnt lgkmcnt(0)
	v_add_u32_e32 v0, v52, v0
	ds_write_b32 v44, v0 offset:64
.LBB2255_227:
	s_or_b64 exec, exec, s[0:1]
	; wave barrier
	s_waitcnt lgkmcnt(0)
	s_barrier
	ds_read2_b32 v[2:3], v8 offset0:16 offset1:17
	ds_read2_b32 v[0:1], v8 offset0:18 offset1:19
	ds_read_b32 v38, v8 offset:80
	v_cmp_lt_u32_e64 s[8:9], 31, v5
	s_waitcnt lgkmcnt(1)
	v_add3_u32 v54, v3, v2, v0
	s_waitcnt lgkmcnt(0)
	v_add3_u32 v38, v54, v1, v38
	v_and_b32_e32 v54, 15, v5
	v_cmp_eq_u32_e32 vcc, 0, v54
	v_mov_b32_dpp v55, v38 row_shr:1 row_mask:0xf bank_mask:0xf
	v_cmp_lt_u32_e64 s[0:1], 1, v54
	v_cndmask_b32_e64 v55, v55, 0, vcc
	v_add_u32_e32 v38, v55, v38
	v_cmp_lt_u32_e64 s[6:7], 3, v54
	v_cmp_lt_u32_e64 s[4:5], 7, v54
	v_mov_b32_dpp v55, v38 row_shr:2 row_mask:0xf bank_mask:0xf
	v_cndmask_b32_e64 v55, 0, v55, s[0:1]
	v_add_u32_e32 v38, v38, v55
	s_nop 1
	v_mov_b32_dpp v55, v38 row_shr:4 row_mask:0xf bank_mask:0xf
	v_cndmask_b32_e64 v55, 0, v55, s[6:7]
	v_add_u32_e32 v38, v38, v55
	s_nop 1
	v_mov_b32_dpp v55, v38 row_shr:8 row_mask:0xf bank_mask:0xf
	v_cndmask_b32_e64 v54, 0, v55, s[4:5]
	v_add_u32_e32 v38, v38, v54
	v_bfe_i32 v55, v5, 4, 1
	s_nop 0
	v_mov_b32_dpp v54, v38 row_bcast:15 row_mask:0xf bank_mask:0xf
	v_and_b32_e32 v54, v55, v54
	v_add_u32_e32 v38, v38, v54
	v_lshrrev_b32_e32 v55, 6, v16
	s_nop 0
	v_mov_b32_dpp v54, v38 row_bcast:31 row_mask:0xf bank_mask:0xf
	v_cndmask_b32_e64 v54, 0, v54, s[8:9]
	v_add_u32_e32 v54, v38, v54
	v_and_b32_e32 v38, 63, v16
	v_cmp_eq_u32_e64 s[8:9], 63, v38
	s_and_saveexec_b64 s[12:13], s[8:9]
; %bb.228:
	v_lshlrev_b32_e32 v38, 2, v55
	ds_write_b32 v38, v54
; %bb.229:
	s_or_b64 exec, exec, s[12:13]
	v_cmp_gt_u32_e64 s[8:9], 16, v16
	v_lshlrev_b32_e32 v38, 2, v16
	s_waitcnt lgkmcnt(0)
	s_barrier
	s_and_saveexec_b64 s[12:13], s[8:9]
	s_cbranch_execz .LBB2255_231
; %bb.230:
	ds_read_b32 v56, v38
	s_waitcnt lgkmcnt(0)
	s_nop 0
	v_mov_b32_dpp v57, v56 row_shr:1 row_mask:0xf bank_mask:0xf
	v_cndmask_b32_e64 v57, v57, 0, vcc
	v_add_u32_e32 v56, v57, v56
	s_nop 1
	v_mov_b32_dpp v57, v56 row_shr:2 row_mask:0xf bank_mask:0xf
	v_cndmask_b32_e64 v57, 0, v57, s[0:1]
	v_add_u32_e32 v56, v56, v57
	s_nop 1
	v_mov_b32_dpp v57, v56 row_shr:4 row_mask:0xf bank_mask:0xf
	v_cndmask_b32_e64 v57, 0, v57, s[6:7]
	;; [unrolled: 4-line block ×3, first 2 shown]
	v_add_u32_e32 v56, v56, v57
	ds_write_b32 v38, v56
.LBB2255_231:
	s_or_b64 exec, exec, s[12:13]
	v_cmp_lt_u32_e32 vcc, 63, v16
	v_mov_b32_e32 v56, 0
	s_waitcnt lgkmcnt(0)
	s_barrier
	s_and_saveexec_b64 s[0:1], vcc
; %bb.232:
	v_lshl_add_u32 v55, v55, 2, -4
	ds_read_b32 v56, v55
; %bb.233:
	s_or_b64 exec, exec, s[0:1]
	v_subrev_co_u32_e32 v55, vcc, 1, v5
	v_and_b32_e32 v57, 64, v5
	v_cmp_lt_i32_e64 s[0:1], v55, v57
	s_waitcnt lgkmcnt(0)
	v_add_u32_e32 v54, v56, v54
	s_movk_i32 s4, 0x100
	v_cndmask_b32_e64 v5, v55, v5, s[0:1]
	v_lshlrev_b32_e32 v5, 2, v5
	ds_bpermute_b32 v5, v5, v54
	s_movk_i32 s0, 0xff
	s_waitcnt lgkmcnt(0)
	v_cndmask_b32_e32 v5, v5, v56, vcc
	v_cmp_ne_u32_e32 vcc, 0, v16
	s_nop 1
	v_cndmask_b32_e32 v5, 0, v5, vcc
	v_add_u32_e32 v2, v5, v2
	v_add_u32_e32 v3, v2, v3
	;; [unrolled: 1-line block ×4, first 2 shown]
	ds_write2_b32 v8, v5, v2 offset0:16 offset1:17
	ds_write2_b32 v8, v3, v0 offset0:18 offset1:19
	ds_write_b32 v8, v1 offset:80
	s_waitcnt lgkmcnt(0)
	s_barrier
	ds_read_b32 v0, v10 offset:64
	ds_read_b32 v54, v11 offset:64
	;; [unrolled: 1-line block ×16, first 2 shown]
	v_cmp_lt_u32_e32 vcc, s0, v16
	v_cmp_gt_u32_e64 s[0:1], s4, v16
                                        ; implicit-def: $vgpr42
                                        ; implicit-def: $vgpr44
	s_and_saveexec_b64 s[6:7], s[0:1]
	s_cbranch_execz .LBB2255_237
; %bb.234:
	v_mul_u32_u24_e32 v1, 0x44, v16
	ds_read_b32 v42, v1 offset:64
	v_add_u32_e32 v2, 1, v16
	v_cmp_ne_u32_e64 s[4:5], s4, v2
	v_mov_b32_e32 v1, 0x4000
	s_and_saveexec_b64 s[8:9], s[4:5]
; %bb.235:
	v_mul_u32_u24_e32 v1, 0x44, v2
	ds_read_b32 v1, v1 offset:64
; %bb.236:
	s_or_b64 exec, exec, s[8:9]
	s_waitcnt lgkmcnt(0)
	v_sub_u32_e32 v44, v1, v42
.LBB2255_237:
	s_or_b64 exec, exec, s[6:7]
	s_waitcnt lgkmcnt(14)
	v_add_u32_e32 v46, v0, v6
	v_add3_u32 v66, v19, v17, v54
	s_waitcnt lgkmcnt(13)
	v_add3_u32 v68, v23, v22, v55
	s_waitcnt lgkmcnt(12)
	;; [unrolled: 2-line block ×7, first 2 shown]
	s_barrier
	ds_write_b8 v46, v4 offset:1024
	v_add3_u32 v76, v35, v34, v61
	ds_write_b8 v66, v7 offset:1024
	v_add3_u32 v77, v37, v36, v62
	;; [unrolled: 2-line block ×8, first 2 shown]
	v_mov_b32_e32 v1, 0
	ds_write_b8 v76, v84 offset:1024
	ds_write_b8 v77, v85 offset:1024
	;; [unrolled: 1-line block ×8, first 2 shown]
	s_and_saveexec_b64 s[4:5], s[0:1]
	s_cbranch_execz .LBB2255_247
; %bb.238:
	v_lshl_add_u32 v0, s2, 8, v16
	v_lshl_add_u64 v[2:3], v[0:1], 2, s[70:71]
	v_or_b32_e32 v0, 2.0, v44
	s_mov_b64 s[6:7], 0
	s_brev_b32 s15, -4
	s_mov_b32 s16, s2
	v_mov_b32_e32 v6, 0
	global_store_dword v[2:3], v0, off sc1
                                        ; implicit-def: $sgpr0_sgpr1
	s_branch .LBB2255_241
.LBB2255_239:                           ;   in Loop: Header=BB2255_241 Depth=1
	s_or_b64 exec, exec, s[12:13]
.LBB2255_240:                           ;   in Loop: Header=BB2255_241 Depth=1
	s_or_b64 exec, exec, s[8:9]
	v_and_b32_e32 v4, 0x3fffffff, v0
	v_add_u32_e32 v6, v4, v6
	v_cmp_gt_i32_e64 s[0:1], -2.0, v0
	s_and_b64 s[8:9], exec, s[0:1]
	s_or_b64 s[6:7], s[8:9], s[6:7]
	s_andn2_b64 exec, exec, s[6:7]
	s_cbranch_execz .LBB2255_246
.LBB2255_241:                           ; =>This Loop Header: Depth=1
                                        ;     Child Loop BB2255_244 Depth 2
	s_or_b64 s[0:1], s[0:1], exec
	s_cmp_eq_u32 s16, 0
	s_cbranch_scc1 .LBB2255_245
; %bb.242:                              ;   in Loop: Header=BB2255_241 Depth=1
	s_add_i32 s16, s16, -1
	v_lshl_or_b32 v0, s16, 8, v16
	v_lshl_add_u64 v[4:5], v[0:1], 2, s[70:71]
	global_load_dword v0, v[4:5], off sc1
	s_waitcnt vmcnt(0)
	v_cmp_gt_u32_e64 s[0:1], 2.0, v0
	s_and_saveexec_b64 s[8:9], s[0:1]
	s_cbranch_execz .LBB2255_240
; %bb.243:                              ;   in Loop: Header=BB2255_241 Depth=1
	s_mov_b64 s[12:13], 0
.LBB2255_244:                           ;   Parent Loop BB2255_241 Depth=1
                                        ; =>  This Inner Loop Header: Depth=2
	global_load_dword v0, v[4:5], off sc1
	s_waitcnt vmcnt(0)
	v_cmp_lt_u32_e64 s[0:1], s15, v0
	s_or_b64 s[12:13], s[0:1], s[12:13]
	s_andn2_b64 exec, exec, s[12:13]
	s_cbranch_execnz .LBB2255_244
	s_branch .LBB2255_239
.LBB2255_245:                           ;   in Loop: Header=BB2255_241 Depth=1
                                        ; implicit-def: $sgpr16
	s_and_b64 s[8:9], exec, s[0:1]
	s_or_b64 s[6:7], s[8:9], s[6:7]
	s_andn2_b64 exec, exec, s[6:7]
	s_cbranch_execnz .LBB2255_241
.LBB2255_246:
	s_or_b64 exec, exec, s[6:7]
	v_add_u32_e32 v0, v6, v44
	v_or_b32_e32 v0, 0x80000000, v0
	global_store_dword v[2:3], v0, off sc1
	global_load_dword v0, v38, s[80:81]
	v_sub_u32_e32 v1, v6, v42
	s_waitcnt vmcnt(0)
	v_add_u32_e32 v0, v1, v0
	ds_write_b32 v38, v0
.LBB2255_247:
	s_or_b64 exec, exec, s[4:5]
	s_waitcnt lgkmcnt(0)
	s_barrier
	ds_read_u8 v1, v16 offset:1024
	ds_read_u8 v8, v16 offset:2048
	;; [unrolled: 1-line block ×8, first 2 shown]
	s_waitcnt lgkmcnt(7)
	v_and_b32_e32 v0, 1, v1
	v_xor_b32_e32 v15, 1, v1
	s_waitcnt lgkmcnt(6)
	v_and_b32_e32 v1, 1, v8
	s_waitcnt lgkmcnt(5)
	v_and_b32_e32 v2, 1, v9
	;; [unrolled: 2-line block ×7, first 2 shown]
	v_lshrrev_b32_e32 v0, s84, v0
	v_lshrrev_b32_e32 v1, s84, v1
	;; [unrolled: 1-line block ×8, first 2 shown]
	v_and_b32_e32 v0, s14, v0
	v_and_b32_e32 v1, s14, v1
	v_and_b32_e32 v2, s14, v2
	v_and_b32_e32 v3, s14, v3
	v_and_b32_e32 v4, s14, v4
	v_and_b32_e32 v5, s14, v5
	v_and_b32_e32 v6, s14, v6
	v_and_b32_e32 v7, s14, v7
	v_lshlrev_b32_e32 v21, 2, v0
	v_lshlrev_b32_e32 v84, 2, v1
	;; [unrolled: 1-line block ×8, first 2 shown]
	ds_read_b32 v21, v21
	ds_read_b32 v84, v84
	;; [unrolled: 1-line block ×8, first 2 shown]
	s_waitcnt lgkmcnt(7)
	v_add_u32_e32 v21, v21, v16
	s_movk_i32 s6, 0x400
	global_store_byte v21, v15, s[74:75]
	v_xor_b32_e32 v8, 1, v8
	s_waitcnt lgkmcnt(6)
	v_add3_u32 v15, v84, v16, s6
	s_movk_i32 s7, 0x800
	global_store_byte v15, v8, s[74:75]
	v_xor_b32_e32 v8, 1, v9
	s_waitcnt lgkmcnt(5)
	v_add3_u32 v9, v85, v16, s7
	;; [unrolled: 5-line block ×7, first 2 shown]
	global_store_byte v9, v8, s[74:75]
	ds_read_u8 v9, v16 offset:9216
	ds_read_u8 v21, v16 offset:10240
	;; [unrolled: 1-line block ×8, first 2 shown]
	s_waitcnt lgkmcnt(7)
	v_and_b32_e32 v8, 1, v9
	v_xor_b32_e32 v90, 1, v9
	s_waitcnt lgkmcnt(6)
	v_and_b32_e32 v9, 1, v21
	s_waitcnt lgkmcnt(5)
	v_and_b32_e32 v10, 1, v84
	;; [unrolled: 2-line block ×7, first 2 shown]
	v_lshrrev_b32_e32 v8, s84, v8
	v_lshrrev_b32_e32 v9, s84, v9
	v_lshrrev_b32_e32 v10, s84, v10
	v_lshrrev_b32_e32 v11, s84, v11
	v_lshrrev_b32_e32 v12, s84, v12
	v_lshrrev_b32_e32 v13, s84, v13
	v_lshrrev_b32_e32 v14, s84, v14
	v_lshrrev_b32_e32 v15, s84, v15
	v_and_b32_e32 v8, s14, v8
	v_and_b32_e32 v9, s14, v9
	;; [unrolled: 1-line block ×8, first 2 shown]
	v_lshlrev_b32_e32 v91, 2, v8
	v_lshlrev_b32_e32 v92, 2, v9
	;; [unrolled: 1-line block ×8, first 2 shown]
	s_movk_i32 s0, 0x2000
	ds_read_b32 v91, v91
	ds_read_b32 v92, v92
	;; [unrolled: 1-line block ×8, first 2 shown]
	s_waitcnt lgkmcnt(7)
	v_add3_u32 v91, v91, v16, s0
	s_movk_i32 s0, 0x2400
	global_store_byte v91, v90, s[74:75]
	v_xor_b32_e32 v21, 1, v21
	s_waitcnt lgkmcnt(6)
	v_add3_u32 v90, v92, v16, s0
	s_movk_i32 s0, 0x2800
	global_store_byte v90, v21, s[74:75]
	v_xor_b32_e32 v21, 1, v84
	;; [unrolled: 5-line block ×6, first 2 shown]
	s_waitcnt lgkmcnt(1)
	v_add3_u32 v84, v97, v16, s0
	s_movk_i32 s0, 0x3c00
	global_store_byte v84, v21, s[74:75]
	s_waitcnt lgkmcnt(0)
	v_add3_u32 v84, v98, v16, s0
	s_lshl_b64 s[0:1], s[10:11], 2
	v_xor_b32_e32 v21, 1, v89
	s_add_u32 s0, s76, s0
	global_store_byte v84, v21, s[74:75]
	s_addc_u32 s1, s77, s1
	v_lshlrev_b32_e32 v20, 2, v20
	v_mov_b32_e32 v21, 0
	v_lshl_add_u64 v[84:85], s[0:1], 0, v[20:21]
	v_lshlrev_b32_e32 v20, 2, v18
	v_lshl_add_u64 v[98:99], v[84:85], 0, v[20:21]
	global_load_dword v18, v[98:99], off
	global_load_dword v84, v[98:99], off offset:256
	global_load_dword v85, v[98:99], off offset:512
	global_load_dword v86, v[98:99], off offset:768
	global_load_dword v87, v[98:99], off offset:1024
	global_load_dword v88, v[98:99], off offset:1280
	global_load_dword v89, v[98:99], off offset:1536
	global_load_dword v90, v[98:99], off offset:1792
	global_load_dword v91, v[98:99], off offset:2048
	global_load_dword v92, v[98:99], off offset:2304
	global_load_dword v93, v[98:99], off offset:2560
	global_load_dword v94, v[98:99], off offset:2816
	global_load_dword v95, v[98:99], off offset:3072
	global_load_dword v96, v[98:99], off offset:3328
	global_load_dword v97, v[98:99], off offset:3584
	s_nop 0
	global_load_dword v98, v[98:99], off offset:3840
	v_mul_u32_u24_e32 v20, 3, v16
	v_mov_b32_e32 v99, 0x400
	scratch_store_dwordx4 off, v[0:3], off
	scratch_store_dwordx4 off, v[4:7], off offset:16
	scratch_store_dwordx4 off, v[8:11], off offset:32
	;; [unrolled: 1-line block ×3, first 2 shown]
	v_lshl_add_u32 v0, v83, 2, v99
	v_add3_u32 v1, v53, v73, v52
	v_lshl_add_u32 v2, v82, 2, v99
	v_add3_u32 v3, v51, v70, v50
	;; [unrolled: 2-line block ×15, first 2 shown]
	v_lshl_add_u32 v19, v46, 2, v99
	s_mov_b32 s10, 0
	s_mov_b32 s11, 0
	v_add_u32_e32 v35, v16, v20
	s_mov_b32 s12, 0
	s_barrier
	s_branch .LBB2255_249
.LBB2255_248:                           ;   in Loop: Header=BB2255_249 Depth=1
	s_or_b64 exec, exec, s[4:5]
	s_waitcnt lgkmcnt(0)
	s_barrier
	scratch_load_dwordx4 v[48:51], off, s10
	ds_read2st64_b32 v[36:37], v35 offset0:4 offset1:20
	ds_read2st64_b32 v[40:41], v35 offset0:36 offset1:52
	s_addk_i32 s12, 0xc000
	s_addk_i32 s11, 0xf000
	s_add_i32 s10, s10, 16
	s_cmp_eq_u32 s12, 0xffff0000
	s_waitcnt vmcnt(0)
	v_lshlrev_b32_e32 v20, 2, v48
	ds_read_b32 v20, v20
	v_lshlrev_b32_e32 v39, 2, v49
	v_lshlrev_b32_e32 v43, 2, v50
	;; [unrolled: 1-line block ×3, first 2 shown]
	ds_read_b32 v39, v39
	ds_read_b32 v43, v43
	;; [unrolled: 1-line block ×3, first 2 shown]
	s_waitcnt lgkmcnt(3)
	v_add_u32_e32 v20, v16, v20
	v_lshl_add_u64 v[48:49], v[20:21], 2, s[78:79]
	s_waitcnt lgkmcnt(2)
	v_add3_u32 v20, v16, v39, s6
	global_store_dword v[48:49], v36, off
	v_lshl_add_u64 v[48:49], v[20:21], 2, s[78:79]
	s_waitcnt lgkmcnt(1)
	v_add3_u32 v20, v16, v43, s7
	global_store_dword v[48:49], v37, off
	;; [unrolled: 4-line block ×3, first 2 shown]
	v_lshl_add_u64 v[36:37], v[20:21], 2, s[78:79]
	v_add_u32_e32 v16, 0x1000, v16
	global_store_dword v[36:37], v41, off
	s_barrier
	s_cbranch_scc1 .LBB2255_281
.LBB2255_249:                           ; =>This Inner Loop Header: Depth=1
	v_add_u32_e32 v20, s11, v46
	v_cmp_gt_u32_e64 s[0:1], s9, v20
	s_and_saveexec_b64 s[4:5], s[0:1]
	s_cbranch_execz .LBB2255_251
; %bb.250:                              ;   in Loop: Header=BB2255_249 Depth=1
	v_add_u32_e32 v20, s12, v19
	s_waitcnt vmcnt(19)
	ds_write_b32 v20, v18
.LBB2255_251:                           ;   in Loop: Header=BB2255_249 Depth=1
	s_or_b64 exec, exec, s[4:5]
	v_add_u32_e32 v20, s11, v17
	v_cmp_gt_u32_e64 s[0:1], s9, v20
	s_and_saveexec_b64 s[4:5], s[0:1]
	s_cbranch_execz .LBB2255_253
; %bb.252:                              ;   in Loop: Header=BB2255_249 Depth=1
	v_add_u32_e32 v20, s12, v23
	s_waitcnt vmcnt(18)
	ds_write_b32 v20, v84
.LBB2255_253:                           ;   in Loop: Header=BB2255_249 Depth=1
	s_or_b64 exec, exec, s[4:5]
	;; [unrolled: 10-line block ×15, first 2 shown]
	v_add_u32_e32 v20, s11, v1
	v_cmp_gt_u32_e64 s[0:1], s9, v20
	s_and_saveexec_b64 s[4:5], s[0:1]
	s_cbranch_execz .LBB2255_248
; %bb.280:                              ;   in Loop: Header=BB2255_249 Depth=1
	v_add_u32_e32 v20, s12, v0
	s_waitcnt vmcnt(4)
	ds_write_b32 v20, v98
	s_branch .LBB2255_248
.LBB2255_281:
	s_add_i32 s3, s3, -1
	s_cmp_eq_u32 s2, s3
	s_cselect_b64 s[0:1], -1, 0
	s_xor_b64 s[2:3], vcc, -1
	s_and_b64 s[0:1], s[2:3], s[0:1]
	s_and_saveexec_b64 s[2:3], s[0:1]
	s_cbranch_execz .LBB2255_283
; %bb.282:
	ds_read_b32 v0, v38
	s_waitcnt lgkmcnt(0)
	v_add3_u32 v0, v42, v44, v0
	global_store_dword v38, v0, s[82:83]
.LBB2255_283:
	s_endpgm
	.section	.rodata,"a",@progbits
	.p2align	6, 0x0
	.amdhsa_kernel _ZN7rocprim17ROCPRIM_400000_NS6detail17trampoline_kernelINS0_14default_configENS1_35radix_sort_onesweep_config_selectorIbiEEZZNS1_29radix_sort_onesweep_iterationIS3_Lb1EN6thrust23THRUST_200600_302600_NS6detail15normal_iteratorINS8_10device_ptrIbEEEESD_NSA_INSB_IiEEEESF_jNS0_19identity_decomposerENS1_16block_id_wrapperIjLb0EEEEE10hipError_tT1_PNSt15iterator_traitsISK_E10value_typeET2_T3_PNSL_ISQ_E10value_typeET4_T5_PSV_SW_PNS1_23onesweep_lookback_stateEbbT6_jjT7_P12ihipStream_tbENKUlT_T0_SK_SP_E_clISD_PbSF_PiEEDaS13_S14_SK_SP_EUlS13_E_NS1_11comp_targetILNS1_3genE6ELNS1_11target_archE950ELNS1_3gpuE13ELNS1_3repE0EEENS1_47radix_sort_onesweep_sort_config_static_selectorELNS0_4arch9wavefront6targetE1EEEvSK_
		.amdhsa_group_segment_fixed_size 20552
		.amdhsa_private_segment_fixed_size 80
		.amdhsa_kernarg_size 344
		.amdhsa_user_sgpr_count 2
		.amdhsa_user_sgpr_dispatch_ptr 0
		.amdhsa_user_sgpr_queue_ptr 0
		.amdhsa_user_sgpr_kernarg_segment_ptr 1
		.amdhsa_user_sgpr_dispatch_id 0
		.amdhsa_user_sgpr_kernarg_preload_length 0
		.amdhsa_user_sgpr_kernarg_preload_offset 0
		.amdhsa_user_sgpr_private_segment_size 0
		.amdhsa_uses_dynamic_stack 0
		.amdhsa_enable_private_segment 1
		.amdhsa_system_sgpr_workgroup_id_x 1
		.amdhsa_system_sgpr_workgroup_id_y 0
		.amdhsa_system_sgpr_workgroup_id_z 0
		.amdhsa_system_sgpr_workgroup_info 0
		.amdhsa_system_vgpr_workitem_id 2
		.amdhsa_next_free_vgpr 100
		.amdhsa_next_free_sgpr 92
		.amdhsa_accum_offset 100
		.amdhsa_reserve_vcc 1
		.amdhsa_float_round_mode_32 0
		.amdhsa_float_round_mode_16_64 0
		.amdhsa_float_denorm_mode_32 3
		.amdhsa_float_denorm_mode_16_64 3
		.amdhsa_dx10_clamp 1
		.amdhsa_ieee_mode 1
		.amdhsa_fp16_overflow 0
		.amdhsa_tg_split 0
		.amdhsa_exception_fp_ieee_invalid_op 0
		.amdhsa_exception_fp_denorm_src 0
		.amdhsa_exception_fp_ieee_div_zero 0
		.amdhsa_exception_fp_ieee_overflow 0
		.amdhsa_exception_fp_ieee_underflow 0
		.amdhsa_exception_fp_ieee_inexact 0
		.amdhsa_exception_int_div_zero 0
	.end_amdhsa_kernel
	.section	.text._ZN7rocprim17ROCPRIM_400000_NS6detail17trampoline_kernelINS0_14default_configENS1_35radix_sort_onesweep_config_selectorIbiEEZZNS1_29radix_sort_onesweep_iterationIS3_Lb1EN6thrust23THRUST_200600_302600_NS6detail15normal_iteratorINS8_10device_ptrIbEEEESD_NSA_INSB_IiEEEESF_jNS0_19identity_decomposerENS1_16block_id_wrapperIjLb0EEEEE10hipError_tT1_PNSt15iterator_traitsISK_E10value_typeET2_T3_PNSL_ISQ_E10value_typeET4_T5_PSV_SW_PNS1_23onesweep_lookback_stateEbbT6_jjT7_P12ihipStream_tbENKUlT_T0_SK_SP_E_clISD_PbSF_PiEEDaS13_S14_SK_SP_EUlS13_E_NS1_11comp_targetILNS1_3genE6ELNS1_11target_archE950ELNS1_3gpuE13ELNS1_3repE0EEENS1_47radix_sort_onesweep_sort_config_static_selectorELNS0_4arch9wavefront6targetE1EEEvSK_,"axG",@progbits,_ZN7rocprim17ROCPRIM_400000_NS6detail17trampoline_kernelINS0_14default_configENS1_35radix_sort_onesweep_config_selectorIbiEEZZNS1_29radix_sort_onesweep_iterationIS3_Lb1EN6thrust23THRUST_200600_302600_NS6detail15normal_iteratorINS8_10device_ptrIbEEEESD_NSA_INSB_IiEEEESF_jNS0_19identity_decomposerENS1_16block_id_wrapperIjLb0EEEEE10hipError_tT1_PNSt15iterator_traitsISK_E10value_typeET2_T3_PNSL_ISQ_E10value_typeET4_T5_PSV_SW_PNS1_23onesweep_lookback_stateEbbT6_jjT7_P12ihipStream_tbENKUlT_T0_SK_SP_E_clISD_PbSF_PiEEDaS13_S14_SK_SP_EUlS13_E_NS1_11comp_targetILNS1_3genE6ELNS1_11target_archE950ELNS1_3gpuE13ELNS1_3repE0EEENS1_47radix_sort_onesweep_sort_config_static_selectorELNS0_4arch9wavefront6targetE1EEEvSK_,comdat
.Lfunc_end2255:
	.size	_ZN7rocprim17ROCPRIM_400000_NS6detail17trampoline_kernelINS0_14default_configENS1_35radix_sort_onesweep_config_selectorIbiEEZZNS1_29radix_sort_onesweep_iterationIS3_Lb1EN6thrust23THRUST_200600_302600_NS6detail15normal_iteratorINS8_10device_ptrIbEEEESD_NSA_INSB_IiEEEESF_jNS0_19identity_decomposerENS1_16block_id_wrapperIjLb0EEEEE10hipError_tT1_PNSt15iterator_traitsISK_E10value_typeET2_T3_PNSL_ISQ_E10value_typeET4_T5_PSV_SW_PNS1_23onesweep_lookback_stateEbbT6_jjT7_P12ihipStream_tbENKUlT_T0_SK_SP_E_clISD_PbSF_PiEEDaS13_S14_SK_SP_EUlS13_E_NS1_11comp_targetILNS1_3genE6ELNS1_11target_archE950ELNS1_3gpuE13ELNS1_3repE0EEENS1_47radix_sort_onesweep_sort_config_static_selectorELNS0_4arch9wavefront6targetE1EEEvSK_, .Lfunc_end2255-_ZN7rocprim17ROCPRIM_400000_NS6detail17trampoline_kernelINS0_14default_configENS1_35radix_sort_onesweep_config_selectorIbiEEZZNS1_29radix_sort_onesweep_iterationIS3_Lb1EN6thrust23THRUST_200600_302600_NS6detail15normal_iteratorINS8_10device_ptrIbEEEESD_NSA_INSB_IiEEEESF_jNS0_19identity_decomposerENS1_16block_id_wrapperIjLb0EEEEE10hipError_tT1_PNSt15iterator_traitsISK_E10value_typeET2_T3_PNSL_ISQ_E10value_typeET4_T5_PSV_SW_PNS1_23onesweep_lookback_stateEbbT6_jjT7_P12ihipStream_tbENKUlT_T0_SK_SP_E_clISD_PbSF_PiEEDaS13_S14_SK_SP_EUlS13_E_NS1_11comp_targetILNS1_3genE6ELNS1_11target_archE950ELNS1_3gpuE13ELNS1_3repE0EEENS1_47radix_sort_onesweep_sort_config_static_selectorELNS0_4arch9wavefront6targetE1EEEvSK_
                                        ; -- End function
	.set _ZN7rocprim17ROCPRIM_400000_NS6detail17trampoline_kernelINS0_14default_configENS1_35radix_sort_onesweep_config_selectorIbiEEZZNS1_29radix_sort_onesweep_iterationIS3_Lb1EN6thrust23THRUST_200600_302600_NS6detail15normal_iteratorINS8_10device_ptrIbEEEESD_NSA_INSB_IiEEEESF_jNS0_19identity_decomposerENS1_16block_id_wrapperIjLb0EEEEE10hipError_tT1_PNSt15iterator_traitsISK_E10value_typeET2_T3_PNSL_ISQ_E10value_typeET4_T5_PSV_SW_PNS1_23onesweep_lookback_stateEbbT6_jjT7_P12ihipStream_tbENKUlT_T0_SK_SP_E_clISD_PbSF_PiEEDaS13_S14_SK_SP_EUlS13_E_NS1_11comp_targetILNS1_3genE6ELNS1_11target_archE950ELNS1_3gpuE13ELNS1_3repE0EEENS1_47radix_sort_onesweep_sort_config_static_selectorELNS0_4arch9wavefront6targetE1EEEvSK_.num_vgpr, 100
	.set _ZN7rocprim17ROCPRIM_400000_NS6detail17trampoline_kernelINS0_14default_configENS1_35radix_sort_onesweep_config_selectorIbiEEZZNS1_29radix_sort_onesweep_iterationIS3_Lb1EN6thrust23THRUST_200600_302600_NS6detail15normal_iteratorINS8_10device_ptrIbEEEESD_NSA_INSB_IiEEEESF_jNS0_19identity_decomposerENS1_16block_id_wrapperIjLb0EEEEE10hipError_tT1_PNSt15iterator_traitsISK_E10value_typeET2_T3_PNSL_ISQ_E10value_typeET4_T5_PSV_SW_PNS1_23onesweep_lookback_stateEbbT6_jjT7_P12ihipStream_tbENKUlT_T0_SK_SP_E_clISD_PbSF_PiEEDaS13_S14_SK_SP_EUlS13_E_NS1_11comp_targetILNS1_3genE6ELNS1_11target_archE950ELNS1_3gpuE13ELNS1_3repE0EEENS1_47radix_sort_onesweep_sort_config_static_selectorELNS0_4arch9wavefront6targetE1EEEvSK_.num_agpr, 0
	.set _ZN7rocprim17ROCPRIM_400000_NS6detail17trampoline_kernelINS0_14default_configENS1_35radix_sort_onesweep_config_selectorIbiEEZZNS1_29radix_sort_onesweep_iterationIS3_Lb1EN6thrust23THRUST_200600_302600_NS6detail15normal_iteratorINS8_10device_ptrIbEEEESD_NSA_INSB_IiEEEESF_jNS0_19identity_decomposerENS1_16block_id_wrapperIjLb0EEEEE10hipError_tT1_PNSt15iterator_traitsISK_E10value_typeET2_T3_PNSL_ISQ_E10value_typeET4_T5_PSV_SW_PNS1_23onesweep_lookback_stateEbbT6_jjT7_P12ihipStream_tbENKUlT_T0_SK_SP_E_clISD_PbSF_PiEEDaS13_S14_SK_SP_EUlS13_E_NS1_11comp_targetILNS1_3genE6ELNS1_11target_archE950ELNS1_3gpuE13ELNS1_3repE0EEENS1_47radix_sort_onesweep_sort_config_static_selectorELNS0_4arch9wavefront6targetE1EEEvSK_.numbered_sgpr, 92
	.set _ZN7rocprim17ROCPRIM_400000_NS6detail17trampoline_kernelINS0_14default_configENS1_35radix_sort_onesweep_config_selectorIbiEEZZNS1_29radix_sort_onesweep_iterationIS3_Lb1EN6thrust23THRUST_200600_302600_NS6detail15normal_iteratorINS8_10device_ptrIbEEEESD_NSA_INSB_IiEEEESF_jNS0_19identity_decomposerENS1_16block_id_wrapperIjLb0EEEEE10hipError_tT1_PNSt15iterator_traitsISK_E10value_typeET2_T3_PNSL_ISQ_E10value_typeET4_T5_PSV_SW_PNS1_23onesweep_lookback_stateEbbT6_jjT7_P12ihipStream_tbENKUlT_T0_SK_SP_E_clISD_PbSF_PiEEDaS13_S14_SK_SP_EUlS13_E_NS1_11comp_targetILNS1_3genE6ELNS1_11target_archE950ELNS1_3gpuE13ELNS1_3repE0EEENS1_47radix_sort_onesweep_sort_config_static_selectorELNS0_4arch9wavefront6targetE1EEEvSK_.num_named_barrier, 0
	.set _ZN7rocprim17ROCPRIM_400000_NS6detail17trampoline_kernelINS0_14default_configENS1_35radix_sort_onesweep_config_selectorIbiEEZZNS1_29radix_sort_onesweep_iterationIS3_Lb1EN6thrust23THRUST_200600_302600_NS6detail15normal_iteratorINS8_10device_ptrIbEEEESD_NSA_INSB_IiEEEESF_jNS0_19identity_decomposerENS1_16block_id_wrapperIjLb0EEEEE10hipError_tT1_PNSt15iterator_traitsISK_E10value_typeET2_T3_PNSL_ISQ_E10value_typeET4_T5_PSV_SW_PNS1_23onesweep_lookback_stateEbbT6_jjT7_P12ihipStream_tbENKUlT_T0_SK_SP_E_clISD_PbSF_PiEEDaS13_S14_SK_SP_EUlS13_E_NS1_11comp_targetILNS1_3genE6ELNS1_11target_archE950ELNS1_3gpuE13ELNS1_3repE0EEENS1_47radix_sort_onesweep_sort_config_static_selectorELNS0_4arch9wavefront6targetE1EEEvSK_.private_seg_size, 80
	.set _ZN7rocprim17ROCPRIM_400000_NS6detail17trampoline_kernelINS0_14default_configENS1_35radix_sort_onesweep_config_selectorIbiEEZZNS1_29radix_sort_onesweep_iterationIS3_Lb1EN6thrust23THRUST_200600_302600_NS6detail15normal_iteratorINS8_10device_ptrIbEEEESD_NSA_INSB_IiEEEESF_jNS0_19identity_decomposerENS1_16block_id_wrapperIjLb0EEEEE10hipError_tT1_PNSt15iterator_traitsISK_E10value_typeET2_T3_PNSL_ISQ_E10value_typeET4_T5_PSV_SW_PNS1_23onesweep_lookback_stateEbbT6_jjT7_P12ihipStream_tbENKUlT_T0_SK_SP_E_clISD_PbSF_PiEEDaS13_S14_SK_SP_EUlS13_E_NS1_11comp_targetILNS1_3genE6ELNS1_11target_archE950ELNS1_3gpuE13ELNS1_3repE0EEENS1_47radix_sort_onesweep_sort_config_static_selectorELNS0_4arch9wavefront6targetE1EEEvSK_.uses_vcc, 1
	.set _ZN7rocprim17ROCPRIM_400000_NS6detail17trampoline_kernelINS0_14default_configENS1_35radix_sort_onesweep_config_selectorIbiEEZZNS1_29radix_sort_onesweep_iterationIS3_Lb1EN6thrust23THRUST_200600_302600_NS6detail15normal_iteratorINS8_10device_ptrIbEEEESD_NSA_INSB_IiEEEESF_jNS0_19identity_decomposerENS1_16block_id_wrapperIjLb0EEEEE10hipError_tT1_PNSt15iterator_traitsISK_E10value_typeET2_T3_PNSL_ISQ_E10value_typeET4_T5_PSV_SW_PNS1_23onesweep_lookback_stateEbbT6_jjT7_P12ihipStream_tbENKUlT_T0_SK_SP_E_clISD_PbSF_PiEEDaS13_S14_SK_SP_EUlS13_E_NS1_11comp_targetILNS1_3genE6ELNS1_11target_archE950ELNS1_3gpuE13ELNS1_3repE0EEENS1_47radix_sort_onesweep_sort_config_static_selectorELNS0_4arch9wavefront6targetE1EEEvSK_.uses_flat_scratch, 0
	.set _ZN7rocprim17ROCPRIM_400000_NS6detail17trampoline_kernelINS0_14default_configENS1_35radix_sort_onesweep_config_selectorIbiEEZZNS1_29radix_sort_onesweep_iterationIS3_Lb1EN6thrust23THRUST_200600_302600_NS6detail15normal_iteratorINS8_10device_ptrIbEEEESD_NSA_INSB_IiEEEESF_jNS0_19identity_decomposerENS1_16block_id_wrapperIjLb0EEEEE10hipError_tT1_PNSt15iterator_traitsISK_E10value_typeET2_T3_PNSL_ISQ_E10value_typeET4_T5_PSV_SW_PNS1_23onesweep_lookback_stateEbbT6_jjT7_P12ihipStream_tbENKUlT_T0_SK_SP_E_clISD_PbSF_PiEEDaS13_S14_SK_SP_EUlS13_E_NS1_11comp_targetILNS1_3genE6ELNS1_11target_archE950ELNS1_3gpuE13ELNS1_3repE0EEENS1_47radix_sort_onesweep_sort_config_static_selectorELNS0_4arch9wavefront6targetE1EEEvSK_.has_dyn_sized_stack, 0
	.set _ZN7rocprim17ROCPRIM_400000_NS6detail17trampoline_kernelINS0_14default_configENS1_35radix_sort_onesweep_config_selectorIbiEEZZNS1_29radix_sort_onesweep_iterationIS3_Lb1EN6thrust23THRUST_200600_302600_NS6detail15normal_iteratorINS8_10device_ptrIbEEEESD_NSA_INSB_IiEEEESF_jNS0_19identity_decomposerENS1_16block_id_wrapperIjLb0EEEEE10hipError_tT1_PNSt15iterator_traitsISK_E10value_typeET2_T3_PNSL_ISQ_E10value_typeET4_T5_PSV_SW_PNS1_23onesweep_lookback_stateEbbT6_jjT7_P12ihipStream_tbENKUlT_T0_SK_SP_E_clISD_PbSF_PiEEDaS13_S14_SK_SP_EUlS13_E_NS1_11comp_targetILNS1_3genE6ELNS1_11target_archE950ELNS1_3gpuE13ELNS1_3repE0EEENS1_47radix_sort_onesweep_sort_config_static_selectorELNS0_4arch9wavefront6targetE1EEEvSK_.has_recursion, 0
	.set _ZN7rocprim17ROCPRIM_400000_NS6detail17trampoline_kernelINS0_14default_configENS1_35radix_sort_onesweep_config_selectorIbiEEZZNS1_29radix_sort_onesweep_iterationIS3_Lb1EN6thrust23THRUST_200600_302600_NS6detail15normal_iteratorINS8_10device_ptrIbEEEESD_NSA_INSB_IiEEEESF_jNS0_19identity_decomposerENS1_16block_id_wrapperIjLb0EEEEE10hipError_tT1_PNSt15iterator_traitsISK_E10value_typeET2_T3_PNSL_ISQ_E10value_typeET4_T5_PSV_SW_PNS1_23onesweep_lookback_stateEbbT6_jjT7_P12ihipStream_tbENKUlT_T0_SK_SP_E_clISD_PbSF_PiEEDaS13_S14_SK_SP_EUlS13_E_NS1_11comp_targetILNS1_3genE6ELNS1_11target_archE950ELNS1_3gpuE13ELNS1_3repE0EEENS1_47radix_sort_onesweep_sort_config_static_selectorELNS0_4arch9wavefront6targetE1EEEvSK_.has_indirect_call, 0
	.section	.AMDGPU.csdata,"",@progbits
; Kernel info:
; codeLenInByte = 15232
; TotalNumSgprs: 98
; NumVgprs: 100
; NumAgprs: 0
; TotalNumVgprs: 100
; ScratchSize: 80
; MemoryBound: 0
; FloatMode: 240
; IeeeMode: 1
; LDSByteSize: 20552 bytes/workgroup (compile time only)
; SGPRBlocks: 12
; VGPRBlocks: 12
; NumSGPRsForWavesPerEU: 98
; NumVGPRsForWavesPerEU: 100
; AccumOffset: 100
; Occupancy: 4
; WaveLimiterHint : 1
; COMPUTE_PGM_RSRC2:SCRATCH_EN: 1
; COMPUTE_PGM_RSRC2:USER_SGPR: 2
; COMPUTE_PGM_RSRC2:TRAP_HANDLER: 0
; COMPUTE_PGM_RSRC2:TGID_X_EN: 1
; COMPUTE_PGM_RSRC2:TGID_Y_EN: 0
; COMPUTE_PGM_RSRC2:TGID_Z_EN: 0
; COMPUTE_PGM_RSRC2:TIDIG_COMP_CNT: 2
; COMPUTE_PGM_RSRC3_GFX90A:ACCUM_OFFSET: 24
; COMPUTE_PGM_RSRC3_GFX90A:TG_SPLIT: 0
	.section	.text._ZN7rocprim17ROCPRIM_400000_NS6detail17trampoline_kernelINS0_14default_configENS1_35radix_sort_onesweep_config_selectorIbiEEZZNS1_29radix_sort_onesweep_iterationIS3_Lb1EN6thrust23THRUST_200600_302600_NS6detail15normal_iteratorINS8_10device_ptrIbEEEESD_NSA_INSB_IiEEEESF_jNS0_19identity_decomposerENS1_16block_id_wrapperIjLb0EEEEE10hipError_tT1_PNSt15iterator_traitsISK_E10value_typeET2_T3_PNSL_ISQ_E10value_typeET4_T5_PSV_SW_PNS1_23onesweep_lookback_stateEbbT6_jjT7_P12ihipStream_tbENKUlT_T0_SK_SP_E_clISD_PbSF_PiEEDaS13_S14_SK_SP_EUlS13_E_NS1_11comp_targetILNS1_3genE5ELNS1_11target_archE942ELNS1_3gpuE9ELNS1_3repE0EEENS1_47radix_sort_onesweep_sort_config_static_selectorELNS0_4arch9wavefront6targetE1EEEvSK_,"axG",@progbits,_ZN7rocprim17ROCPRIM_400000_NS6detail17trampoline_kernelINS0_14default_configENS1_35radix_sort_onesweep_config_selectorIbiEEZZNS1_29radix_sort_onesweep_iterationIS3_Lb1EN6thrust23THRUST_200600_302600_NS6detail15normal_iteratorINS8_10device_ptrIbEEEESD_NSA_INSB_IiEEEESF_jNS0_19identity_decomposerENS1_16block_id_wrapperIjLb0EEEEE10hipError_tT1_PNSt15iterator_traitsISK_E10value_typeET2_T3_PNSL_ISQ_E10value_typeET4_T5_PSV_SW_PNS1_23onesweep_lookback_stateEbbT6_jjT7_P12ihipStream_tbENKUlT_T0_SK_SP_E_clISD_PbSF_PiEEDaS13_S14_SK_SP_EUlS13_E_NS1_11comp_targetILNS1_3genE5ELNS1_11target_archE942ELNS1_3gpuE9ELNS1_3repE0EEENS1_47radix_sort_onesweep_sort_config_static_selectorELNS0_4arch9wavefront6targetE1EEEvSK_,comdat
	.protected	_ZN7rocprim17ROCPRIM_400000_NS6detail17trampoline_kernelINS0_14default_configENS1_35radix_sort_onesweep_config_selectorIbiEEZZNS1_29radix_sort_onesweep_iterationIS3_Lb1EN6thrust23THRUST_200600_302600_NS6detail15normal_iteratorINS8_10device_ptrIbEEEESD_NSA_INSB_IiEEEESF_jNS0_19identity_decomposerENS1_16block_id_wrapperIjLb0EEEEE10hipError_tT1_PNSt15iterator_traitsISK_E10value_typeET2_T3_PNSL_ISQ_E10value_typeET4_T5_PSV_SW_PNS1_23onesweep_lookback_stateEbbT6_jjT7_P12ihipStream_tbENKUlT_T0_SK_SP_E_clISD_PbSF_PiEEDaS13_S14_SK_SP_EUlS13_E_NS1_11comp_targetILNS1_3genE5ELNS1_11target_archE942ELNS1_3gpuE9ELNS1_3repE0EEENS1_47radix_sort_onesweep_sort_config_static_selectorELNS0_4arch9wavefront6targetE1EEEvSK_ ; -- Begin function _ZN7rocprim17ROCPRIM_400000_NS6detail17trampoline_kernelINS0_14default_configENS1_35radix_sort_onesweep_config_selectorIbiEEZZNS1_29radix_sort_onesweep_iterationIS3_Lb1EN6thrust23THRUST_200600_302600_NS6detail15normal_iteratorINS8_10device_ptrIbEEEESD_NSA_INSB_IiEEEESF_jNS0_19identity_decomposerENS1_16block_id_wrapperIjLb0EEEEE10hipError_tT1_PNSt15iterator_traitsISK_E10value_typeET2_T3_PNSL_ISQ_E10value_typeET4_T5_PSV_SW_PNS1_23onesweep_lookback_stateEbbT6_jjT7_P12ihipStream_tbENKUlT_T0_SK_SP_E_clISD_PbSF_PiEEDaS13_S14_SK_SP_EUlS13_E_NS1_11comp_targetILNS1_3genE5ELNS1_11target_archE942ELNS1_3gpuE9ELNS1_3repE0EEENS1_47radix_sort_onesweep_sort_config_static_selectorELNS0_4arch9wavefront6targetE1EEEvSK_
	.globl	_ZN7rocprim17ROCPRIM_400000_NS6detail17trampoline_kernelINS0_14default_configENS1_35radix_sort_onesweep_config_selectorIbiEEZZNS1_29radix_sort_onesweep_iterationIS3_Lb1EN6thrust23THRUST_200600_302600_NS6detail15normal_iteratorINS8_10device_ptrIbEEEESD_NSA_INSB_IiEEEESF_jNS0_19identity_decomposerENS1_16block_id_wrapperIjLb0EEEEE10hipError_tT1_PNSt15iterator_traitsISK_E10value_typeET2_T3_PNSL_ISQ_E10value_typeET4_T5_PSV_SW_PNS1_23onesweep_lookback_stateEbbT6_jjT7_P12ihipStream_tbENKUlT_T0_SK_SP_E_clISD_PbSF_PiEEDaS13_S14_SK_SP_EUlS13_E_NS1_11comp_targetILNS1_3genE5ELNS1_11target_archE942ELNS1_3gpuE9ELNS1_3repE0EEENS1_47radix_sort_onesweep_sort_config_static_selectorELNS0_4arch9wavefront6targetE1EEEvSK_
	.p2align	8
	.type	_ZN7rocprim17ROCPRIM_400000_NS6detail17trampoline_kernelINS0_14default_configENS1_35radix_sort_onesweep_config_selectorIbiEEZZNS1_29radix_sort_onesweep_iterationIS3_Lb1EN6thrust23THRUST_200600_302600_NS6detail15normal_iteratorINS8_10device_ptrIbEEEESD_NSA_INSB_IiEEEESF_jNS0_19identity_decomposerENS1_16block_id_wrapperIjLb0EEEEE10hipError_tT1_PNSt15iterator_traitsISK_E10value_typeET2_T3_PNSL_ISQ_E10value_typeET4_T5_PSV_SW_PNS1_23onesweep_lookback_stateEbbT6_jjT7_P12ihipStream_tbENKUlT_T0_SK_SP_E_clISD_PbSF_PiEEDaS13_S14_SK_SP_EUlS13_E_NS1_11comp_targetILNS1_3genE5ELNS1_11target_archE942ELNS1_3gpuE9ELNS1_3repE0EEENS1_47radix_sort_onesweep_sort_config_static_selectorELNS0_4arch9wavefront6targetE1EEEvSK_,@function
_ZN7rocprim17ROCPRIM_400000_NS6detail17trampoline_kernelINS0_14default_configENS1_35radix_sort_onesweep_config_selectorIbiEEZZNS1_29radix_sort_onesweep_iterationIS3_Lb1EN6thrust23THRUST_200600_302600_NS6detail15normal_iteratorINS8_10device_ptrIbEEEESD_NSA_INSB_IiEEEESF_jNS0_19identity_decomposerENS1_16block_id_wrapperIjLb0EEEEE10hipError_tT1_PNSt15iterator_traitsISK_E10value_typeET2_T3_PNSL_ISQ_E10value_typeET4_T5_PSV_SW_PNS1_23onesweep_lookback_stateEbbT6_jjT7_P12ihipStream_tbENKUlT_T0_SK_SP_E_clISD_PbSF_PiEEDaS13_S14_SK_SP_EUlS13_E_NS1_11comp_targetILNS1_3genE5ELNS1_11target_archE942ELNS1_3gpuE9ELNS1_3repE0EEENS1_47radix_sort_onesweep_sort_config_static_selectorELNS0_4arch9wavefront6targetE1EEEvSK_: ; @_ZN7rocprim17ROCPRIM_400000_NS6detail17trampoline_kernelINS0_14default_configENS1_35radix_sort_onesweep_config_selectorIbiEEZZNS1_29radix_sort_onesweep_iterationIS3_Lb1EN6thrust23THRUST_200600_302600_NS6detail15normal_iteratorINS8_10device_ptrIbEEEESD_NSA_INSB_IiEEEESF_jNS0_19identity_decomposerENS1_16block_id_wrapperIjLb0EEEEE10hipError_tT1_PNSt15iterator_traitsISK_E10value_typeET2_T3_PNSL_ISQ_E10value_typeET4_T5_PSV_SW_PNS1_23onesweep_lookback_stateEbbT6_jjT7_P12ihipStream_tbENKUlT_T0_SK_SP_E_clISD_PbSF_PiEEDaS13_S14_SK_SP_EUlS13_E_NS1_11comp_targetILNS1_3genE5ELNS1_11target_archE942ELNS1_3gpuE9ELNS1_3repE0EEENS1_47radix_sort_onesweep_sort_config_static_selectorELNS0_4arch9wavefront6targetE1EEEvSK_
; %bb.0:
	.section	.rodata,"a",@progbits
	.p2align	6, 0x0
	.amdhsa_kernel _ZN7rocprim17ROCPRIM_400000_NS6detail17trampoline_kernelINS0_14default_configENS1_35radix_sort_onesweep_config_selectorIbiEEZZNS1_29radix_sort_onesweep_iterationIS3_Lb1EN6thrust23THRUST_200600_302600_NS6detail15normal_iteratorINS8_10device_ptrIbEEEESD_NSA_INSB_IiEEEESF_jNS0_19identity_decomposerENS1_16block_id_wrapperIjLb0EEEEE10hipError_tT1_PNSt15iterator_traitsISK_E10value_typeET2_T3_PNSL_ISQ_E10value_typeET4_T5_PSV_SW_PNS1_23onesweep_lookback_stateEbbT6_jjT7_P12ihipStream_tbENKUlT_T0_SK_SP_E_clISD_PbSF_PiEEDaS13_S14_SK_SP_EUlS13_E_NS1_11comp_targetILNS1_3genE5ELNS1_11target_archE942ELNS1_3gpuE9ELNS1_3repE0EEENS1_47radix_sort_onesweep_sort_config_static_selectorELNS0_4arch9wavefront6targetE1EEEvSK_
		.amdhsa_group_segment_fixed_size 0
		.amdhsa_private_segment_fixed_size 0
		.amdhsa_kernarg_size 88
		.amdhsa_user_sgpr_count 2
		.amdhsa_user_sgpr_dispatch_ptr 0
		.amdhsa_user_sgpr_queue_ptr 0
		.amdhsa_user_sgpr_kernarg_segment_ptr 1
		.amdhsa_user_sgpr_dispatch_id 0
		.amdhsa_user_sgpr_kernarg_preload_length 0
		.amdhsa_user_sgpr_kernarg_preload_offset 0
		.amdhsa_user_sgpr_private_segment_size 0
		.amdhsa_uses_dynamic_stack 0
		.amdhsa_enable_private_segment 0
		.amdhsa_system_sgpr_workgroup_id_x 1
		.amdhsa_system_sgpr_workgroup_id_y 0
		.amdhsa_system_sgpr_workgroup_id_z 0
		.amdhsa_system_sgpr_workgroup_info 0
		.amdhsa_system_vgpr_workitem_id 0
		.amdhsa_next_free_vgpr 1
		.amdhsa_next_free_sgpr 0
		.amdhsa_accum_offset 4
		.amdhsa_reserve_vcc 0
		.amdhsa_float_round_mode_32 0
		.amdhsa_float_round_mode_16_64 0
		.amdhsa_float_denorm_mode_32 3
		.amdhsa_float_denorm_mode_16_64 3
		.amdhsa_dx10_clamp 1
		.amdhsa_ieee_mode 1
		.amdhsa_fp16_overflow 0
		.amdhsa_tg_split 0
		.amdhsa_exception_fp_ieee_invalid_op 0
		.amdhsa_exception_fp_denorm_src 0
		.amdhsa_exception_fp_ieee_div_zero 0
		.amdhsa_exception_fp_ieee_overflow 0
		.amdhsa_exception_fp_ieee_underflow 0
		.amdhsa_exception_fp_ieee_inexact 0
		.amdhsa_exception_int_div_zero 0
	.end_amdhsa_kernel
	.section	.text._ZN7rocprim17ROCPRIM_400000_NS6detail17trampoline_kernelINS0_14default_configENS1_35radix_sort_onesweep_config_selectorIbiEEZZNS1_29radix_sort_onesweep_iterationIS3_Lb1EN6thrust23THRUST_200600_302600_NS6detail15normal_iteratorINS8_10device_ptrIbEEEESD_NSA_INSB_IiEEEESF_jNS0_19identity_decomposerENS1_16block_id_wrapperIjLb0EEEEE10hipError_tT1_PNSt15iterator_traitsISK_E10value_typeET2_T3_PNSL_ISQ_E10value_typeET4_T5_PSV_SW_PNS1_23onesweep_lookback_stateEbbT6_jjT7_P12ihipStream_tbENKUlT_T0_SK_SP_E_clISD_PbSF_PiEEDaS13_S14_SK_SP_EUlS13_E_NS1_11comp_targetILNS1_3genE5ELNS1_11target_archE942ELNS1_3gpuE9ELNS1_3repE0EEENS1_47radix_sort_onesweep_sort_config_static_selectorELNS0_4arch9wavefront6targetE1EEEvSK_,"axG",@progbits,_ZN7rocprim17ROCPRIM_400000_NS6detail17trampoline_kernelINS0_14default_configENS1_35radix_sort_onesweep_config_selectorIbiEEZZNS1_29radix_sort_onesweep_iterationIS3_Lb1EN6thrust23THRUST_200600_302600_NS6detail15normal_iteratorINS8_10device_ptrIbEEEESD_NSA_INSB_IiEEEESF_jNS0_19identity_decomposerENS1_16block_id_wrapperIjLb0EEEEE10hipError_tT1_PNSt15iterator_traitsISK_E10value_typeET2_T3_PNSL_ISQ_E10value_typeET4_T5_PSV_SW_PNS1_23onesweep_lookback_stateEbbT6_jjT7_P12ihipStream_tbENKUlT_T0_SK_SP_E_clISD_PbSF_PiEEDaS13_S14_SK_SP_EUlS13_E_NS1_11comp_targetILNS1_3genE5ELNS1_11target_archE942ELNS1_3gpuE9ELNS1_3repE0EEENS1_47radix_sort_onesweep_sort_config_static_selectorELNS0_4arch9wavefront6targetE1EEEvSK_,comdat
.Lfunc_end2256:
	.size	_ZN7rocprim17ROCPRIM_400000_NS6detail17trampoline_kernelINS0_14default_configENS1_35radix_sort_onesweep_config_selectorIbiEEZZNS1_29radix_sort_onesweep_iterationIS3_Lb1EN6thrust23THRUST_200600_302600_NS6detail15normal_iteratorINS8_10device_ptrIbEEEESD_NSA_INSB_IiEEEESF_jNS0_19identity_decomposerENS1_16block_id_wrapperIjLb0EEEEE10hipError_tT1_PNSt15iterator_traitsISK_E10value_typeET2_T3_PNSL_ISQ_E10value_typeET4_T5_PSV_SW_PNS1_23onesweep_lookback_stateEbbT6_jjT7_P12ihipStream_tbENKUlT_T0_SK_SP_E_clISD_PbSF_PiEEDaS13_S14_SK_SP_EUlS13_E_NS1_11comp_targetILNS1_3genE5ELNS1_11target_archE942ELNS1_3gpuE9ELNS1_3repE0EEENS1_47radix_sort_onesweep_sort_config_static_selectorELNS0_4arch9wavefront6targetE1EEEvSK_, .Lfunc_end2256-_ZN7rocprim17ROCPRIM_400000_NS6detail17trampoline_kernelINS0_14default_configENS1_35radix_sort_onesweep_config_selectorIbiEEZZNS1_29radix_sort_onesweep_iterationIS3_Lb1EN6thrust23THRUST_200600_302600_NS6detail15normal_iteratorINS8_10device_ptrIbEEEESD_NSA_INSB_IiEEEESF_jNS0_19identity_decomposerENS1_16block_id_wrapperIjLb0EEEEE10hipError_tT1_PNSt15iterator_traitsISK_E10value_typeET2_T3_PNSL_ISQ_E10value_typeET4_T5_PSV_SW_PNS1_23onesweep_lookback_stateEbbT6_jjT7_P12ihipStream_tbENKUlT_T0_SK_SP_E_clISD_PbSF_PiEEDaS13_S14_SK_SP_EUlS13_E_NS1_11comp_targetILNS1_3genE5ELNS1_11target_archE942ELNS1_3gpuE9ELNS1_3repE0EEENS1_47radix_sort_onesweep_sort_config_static_selectorELNS0_4arch9wavefront6targetE1EEEvSK_
                                        ; -- End function
	.set _ZN7rocprim17ROCPRIM_400000_NS6detail17trampoline_kernelINS0_14default_configENS1_35radix_sort_onesweep_config_selectorIbiEEZZNS1_29radix_sort_onesweep_iterationIS3_Lb1EN6thrust23THRUST_200600_302600_NS6detail15normal_iteratorINS8_10device_ptrIbEEEESD_NSA_INSB_IiEEEESF_jNS0_19identity_decomposerENS1_16block_id_wrapperIjLb0EEEEE10hipError_tT1_PNSt15iterator_traitsISK_E10value_typeET2_T3_PNSL_ISQ_E10value_typeET4_T5_PSV_SW_PNS1_23onesweep_lookback_stateEbbT6_jjT7_P12ihipStream_tbENKUlT_T0_SK_SP_E_clISD_PbSF_PiEEDaS13_S14_SK_SP_EUlS13_E_NS1_11comp_targetILNS1_3genE5ELNS1_11target_archE942ELNS1_3gpuE9ELNS1_3repE0EEENS1_47radix_sort_onesweep_sort_config_static_selectorELNS0_4arch9wavefront6targetE1EEEvSK_.num_vgpr, 0
	.set _ZN7rocprim17ROCPRIM_400000_NS6detail17trampoline_kernelINS0_14default_configENS1_35radix_sort_onesweep_config_selectorIbiEEZZNS1_29radix_sort_onesweep_iterationIS3_Lb1EN6thrust23THRUST_200600_302600_NS6detail15normal_iteratorINS8_10device_ptrIbEEEESD_NSA_INSB_IiEEEESF_jNS0_19identity_decomposerENS1_16block_id_wrapperIjLb0EEEEE10hipError_tT1_PNSt15iterator_traitsISK_E10value_typeET2_T3_PNSL_ISQ_E10value_typeET4_T5_PSV_SW_PNS1_23onesweep_lookback_stateEbbT6_jjT7_P12ihipStream_tbENKUlT_T0_SK_SP_E_clISD_PbSF_PiEEDaS13_S14_SK_SP_EUlS13_E_NS1_11comp_targetILNS1_3genE5ELNS1_11target_archE942ELNS1_3gpuE9ELNS1_3repE0EEENS1_47radix_sort_onesweep_sort_config_static_selectorELNS0_4arch9wavefront6targetE1EEEvSK_.num_agpr, 0
	.set _ZN7rocprim17ROCPRIM_400000_NS6detail17trampoline_kernelINS0_14default_configENS1_35radix_sort_onesweep_config_selectorIbiEEZZNS1_29radix_sort_onesweep_iterationIS3_Lb1EN6thrust23THRUST_200600_302600_NS6detail15normal_iteratorINS8_10device_ptrIbEEEESD_NSA_INSB_IiEEEESF_jNS0_19identity_decomposerENS1_16block_id_wrapperIjLb0EEEEE10hipError_tT1_PNSt15iterator_traitsISK_E10value_typeET2_T3_PNSL_ISQ_E10value_typeET4_T5_PSV_SW_PNS1_23onesweep_lookback_stateEbbT6_jjT7_P12ihipStream_tbENKUlT_T0_SK_SP_E_clISD_PbSF_PiEEDaS13_S14_SK_SP_EUlS13_E_NS1_11comp_targetILNS1_3genE5ELNS1_11target_archE942ELNS1_3gpuE9ELNS1_3repE0EEENS1_47radix_sort_onesweep_sort_config_static_selectorELNS0_4arch9wavefront6targetE1EEEvSK_.numbered_sgpr, 0
	.set _ZN7rocprim17ROCPRIM_400000_NS6detail17trampoline_kernelINS0_14default_configENS1_35radix_sort_onesweep_config_selectorIbiEEZZNS1_29radix_sort_onesweep_iterationIS3_Lb1EN6thrust23THRUST_200600_302600_NS6detail15normal_iteratorINS8_10device_ptrIbEEEESD_NSA_INSB_IiEEEESF_jNS0_19identity_decomposerENS1_16block_id_wrapperIjLb0EEEEE10hipError_tT1_PNSt15iterator_traitsISK_E10value_typeET2_T3_PNSL_ISQ_E10value_typeET4_T5_PSV_SW_PNS1_23onesweep_lookback_stateEbbT6_jjT7_P12ihipStream_tbENKUlT_T0_SK_SP_E_clISD_PbSF_PiEEDaS13_S14_SK_SP_EUlS13_E_NS1_11comp_targetILNS1_3genE5ELNS1_11target_archE942ELNS1_3gpuE9ELNS1_3repE0EEENS1_47radix_sort_onesweep_sort_config_static_selectorELNS0_4arch9wavefront6targetE1EEEvSK_.num_named_barrier, 0
	.set _ZN7rocprim17ROCPRIM_400000_NS6detail17trampoline_kernelINS0_14default_configENS1_35radix_sort_onesweep_config_selectorIbiEEZZNS1_29radix_sort_onesweep_iterationIS3_Lb1EN6thrust23THRUST_200600_302600_NS6detail15normal_iteratorINS8_10device_ptrIbEEEESD_NSA_INSB_IiEEEESF_jNS0_19identity_decomposerENS1_16block_id_wrapperIjLb0EEEEE10hipError_tT1_PNSt15iterator_traitsISK_E10value_typeET2_T3_PNSL_ISQ_E10value_typeET4_T5_PSV_SW_PNS1_23onesweep_lookback_stateEbbT6_jjT7_P12ihipStream_tbENKUlT_T0_SK_SP_E_clISD_PbSF_PiEEDaS13_S14_SK_SP_EUlS13_E_NS1_11comp_targetILNS1_3genE5ELNS1_11target_archE942ELNS1_3gpuE9ELNS1_3repE0EEENS1_47radix_sort_onesweep_sort_config_static_selectorELNS0_4arch9wavefront6targetE1EEEvSK_.private_seg_size, 0
	.set _ZN7rocprim17ROCPRIM_400000_NS6detail17trampoline_kernelINS0_14default_configENS1_35radix_sort_onesweep_config_selectorIbiEEZZNS1_29radix_sort_onesweep_iterationIS3_Lb1EN6thrust23THRUST_200600_302600_NS6detail15normal_iteratorINS8_10device_ptrIbEEEESD_NSA_INSB_IiEEEESF_jNS0_19identity_decomposerENS1_16block_id_wrapperIjLb0EEEEE10hipError_tT1_PNSt15iterator_traitsISK_E10value_typeET2_T3_PNSL_ISQ_E10value_typeET4_T5_PSV_SW_PNS1_23onesweep_lookback_stateEbbT6_jjT7_P12ihipStream_tbENKUlT_T0_SK_SP_E_clISD_PbSF_PiEEDaS13_S14_SK_SP_EUlS13_E_NS1_11comp_targetILNS1_3genE5ELNS1_11target_archE942ELNS1_3gpuE9ELNS1_3repE0EEENS1_47radix_sort_onesweep_sort_config_static_selectorELNS0_4arch9wavefront6targetE1EEEvSK_.uses_vcc, 0
	.set _ZN7rocprim17ROCPRIM_400000_NS6detail17trampoline_kernelINS0_14default_configENS1_35radix_sort_onesweep_config_selectorIbiEEZZNS1_29radix_sort_onesweep_iterationIS3_Lb1EN6thrust23THRUST_200600_302600_NS6detail15normal_iteratorINS8_10device_ptrIbEEEESD_NSA_INSB_IiEEEESF_jNS0_19identity_decomposerENS1_16block_id_wrapperIjLb0EEEEE10hipError_tT1_PNSt15iterator_traitsISK_E10value_typeET2_T3_PNSL_ISQ_E10value_typeET4_T5_PSV_SW_PNS1_23onesweep_lookback_stateEbbT6_jjT7_P12ihipStream_tbENKUlT_T0_SK_SP_E_clISD_PbSF_PiEEDaS13_S14_SK_SP_EUlS13_E_NS1_11comp_targetILNS1_3genE5ELNS1_11target_archE942ELNS1_3gpuE9ELNS1_3repE0EEENS1_47radix_sort_onesweep_sort_config_static_selectorELNS0_4arch9wavefront6targetE1EEEvSK_.uses_flat_scratch, 0
	.set _ZN7rocprim17ROCPRIM_400000_NS6detail17trampoline_kernelINS0_14default_configENS1_35radix_sort_onesweep_config_selectorIbiEEZZNS1_29radix_sort_onesweep_iterationIS3_Lb1EN6thrust23THRUST_200600_302600_NS6detail15normal_iteratorINS8_10device_ptrIbEEEESD_NSA_INSB_IiEEEESF_jNS0_19identity_decomposerENS1_16block_id_wrapperIjLb0EEEEE10hipError_tT1_PNSt15iterator_traitsISK_E10value_typeET2_T3_PNSL_ISQ_E10value_typeET4_T5_PSV_SW_PNS1_23onesweep_lookback_stateEbbT6_jjT7_P12ihipStream_tbENKUlT_T0_SK_SP_E_clISD_PbSF_PiEEDaS13_S14_SK_SP_EUlS13_E_NS1_11comp_targetILNS1_3genE5ELNS1_11target_archE942ELNS1_3gpuE9ELNS1_3repE0EEENS1_47radix_sort_onesweep_sort_config_static_selectorELNS0_4arch9wavefront6targetE1EEEvSK_.has_dyn_sized_stack, 0
	.set _ZN7rocprim17ROCPRIM_400000_NS6detail17trampoline_kernelINS0_14default_configENS1_35radix_sort_onesweep_config_selectorIbiEEZZNS1_29radix_sort_onesweep_iterationIS3_Lb1EN6thrust23THRUST_200600_302600_NS6detail15normal_iteratorINS8_10device_ptrIbEEEESD_NSA_INSB_IiEEEESF_jNS0_19identity_decomposerENS1_16block_id_wrapperIjLb0EEEEE10hipError_tT1_PNSt15iterator_traitsISK_E10value_typeET2_T3_PNSL_ISQ_E10value_typeET4_T5_PSV_SW_PNS1_23onesweep_lookback_stateEbbT6_jjT7_P12ihipStream_tbENKUlT_T0_SK_SP_E_clISD_PbSF_PiEEDaS13_S14_SK_SP_EUlS13_E_NS1_11comp_targetILNS1_3genE5ELNS1_11target_archE942ELNS1_3gpuE9ELNS1_3repE0EEENS1_47radix_sort_onesweep_sort_config_static_selectorELNS0_4arch9wavefront6targetE1EEEvSK_.has_recursion, 0
	.set _ZN7rocprim17ROCPRIM_400000_NS6detail17trampoline_kernelINS0_14default_configENS1_35radix_sort_onesweep_config_selectorIbiEEZZNS1_29radix_sort_onesweep_iterationIS3_Lb1EN6thrust23THRUST_200600_302600_NS6detail15normal_iteratorINS8_10device_ptrIbEEEESD_NSA_INSB_IiEEEESF_jNS0_19identity_decomposerENS1_16block_id_wrapperIjLb0EEEEE10hipError_tT1_PNSt15iterator_traitsISK_E10value_typeET2_T3_PNSL_ISQ_E10value_typeET4_T5_PSV_SW_PNS1_23onesweep_lookback_stateEbbT6_jjT7_P12ihipStream_tbENKUlT_T0_SK_SP_E_clISD_PbSF_PiEEDaS13_S14_SK_SP_EUlS13_E_NS1_11comp_targetILNS1_3genE5ELNS1_11target_archE942ELNS1_3gpuE9ELNS1_3repE0EEENS1_47radix_sort_onesweep_sort_config_static_selectorELNS0_4arch9wavefront6targetE1EEEvSK_.has_indirect_call, 0
	.section	.AMDGPU.csdata,"",@progbits
; Kernel info:
; codeLenInByte = 0
; TotalNumSgprs: 6
; NumVgprs: 0
; NumAgprs: 0
; TotalNumVgprs: 0
; ScratchSize: 0
; MemoryBound: 0
; FloatMode: 240
; IeeeMode: 1
; LDSByteSize: 0 bytes/workgroup (compile time only)
; SGPRBlocks: 0
; VGPRBlocks: 0
; NumSGPRsForWavesPerEU: 6
; NumVGPRsForWavesPerEU: 1
; AccumOffset: 4
; Occupancy: 8
; WaveLimiterHint : 0
; COMPUTE_PGM_RSRC2:SCRATCH_EN: 0
; COMPUTE_PGM_RSRC2:USER_SGPR: 2
; COMPUTE_PGM_RSRC2:TRAP_HANDLER: 0
; COMPUTE_PGM_RSRC2:TGID_X_EN: 1
; COMPUTE_PGM_RSRC2:TGID_Y_EN: 0
; COMPUTE_PGM_RSRC2:TGID_Z_EN: 0
; COMPUTE_PGM_RSRC2:TIDIG_COMP_CNT: 0
; COMPUTE_PGM_RSRC3_GFX90A:ACCUM_OFFSET: 0
; COMPUTE_PGM_RSRC3_GFX90A:TG_SPLIT: 0
	.section	.text._ZN7rocprim17ROCPRIM_400000_NS6detail17trampoline_kernelINS0_14default_configENS1_35radix_sort_onesweep_config_selectorIbiEEZZNS1_29radix_sort_onesweep_iterationIS3_Lb1EN6thrust23THRUST_200600_302600_NS6detail15normal_iteratorINS8_10device_ptrIbEEEESD_NSA_INSB_IiEEEESF_jNS0_19identity_decomposerENS1_16block_id_wrapperIjLb0EEEEE10hipError_tT1_PNSt15iterator_traitsISK_E10value_typeET2_T3_PNSL_ISQ_E10value_typeET4_T5_PSV_SW_PNS1_23onesweep_lookback_stateEbbT6_jjT7_P12ihipStream_tbENKUlT_T0_SK_SP_E_clISD_PbSF_PiEEDaS13_S14_SK_SP_EUlS13_E_NS1_11comp_targetILNS1_3genE2ELNS1_11target_archE906ELNS1_3gpuE6ELNS1_3repE0EEENS1_47radix_sort_onesweep_sort_config_static_selectorELNS0_4arch9wavefront6targetE1EEEvSK_,"axG",@progbits,_ZN7rocprim17ROCPRIM_400000_NS6detail17trampoline_kernelINS0_14default_configENS1_35radix_sort_onesweep_config_selectorIbiEEZZNS1_29radix_sort_onesweep_iterationIS3_Lb1EN6thrust23THRUST_200600_302600_NS6detail15normal_iteratorINS8_10device_ptrIbEEEESD_NSA_INSB_IiEEEESF_jNS0_19identity_decomposerENS1_16block_id_wrapperIjLb0EEEEE10hipError_tT1_PNSt15iterator_traitsISK_E10value_typeET2_T3_PNSL_ISQ_E10value_typeET4_T5_PSV_SW_PNS1_23onesweep_lookback_stateEbbT6_jjT7_P12ihipStream_tbENKUlT_T0_SK_SP_E_clISD_PbSF_PiEEDaS13_S14_SK_SP_EUlS13_E_NS1_11comp_targetILNS1_3genE2ELNS1_11target_archE906ELNS1_3gpuE6ELNS1_3repE0EEENS1_47radix_sort_onesweep_sort_config_static_selectorELNS0_4arch9wavefront6targetE1EEEvSK_,comdat
	.protected	_ZN7rocprim17ROCPRIM_400000_NS6detail17trampoline_kernelINS0_14default_configENS1_35radix_sort_onesweep_config_selectorIbiEEZZNS1_29radix_sort_onesweep_iterationIS3_Lb1EN6thrust23THRUST_200600_302600_NS6detail15normal_iteratorINS8_10device_ptrIbEEEESD_NSA_INSB_IiEEEESF_jNS0_19identity_decomposerENS1_16block_id_wrapperIjLb0EEEEE10hipError_tT1_PNSt15iterator_traitsISK_E10value_typeET2_T3_PNSL_ISQ_E10value_typeET4_T5_PSV_SW_PNS1_23onesweep_lookback_stateEbbT6_jjT7_P12ihipStream_tbENKUlT_T0_SK_SP_E_clISD_PbSF_PiEEDaS13_S14_SK_SP_EUlS13_E_NS1_11comp_targetILNS1_3genE2ELNS1_11target_archE906ELNS1_3gpuE6ELNS1_3repE0EEENS1_47radix_sort_onesweep_sort_config_static_selectorELNS0_4arch9wavefront6targetE1EEEvSK_ ; -- Begin function _ZN7rocprim17ROCPRIM_400000_NS6detail17trampoline_kernelINS0_14default_configENS1_35radix_sort_onesweep_config_selectorIbiEEZZNS1_29radix_sort_onesweep_iterationIS3_Lb1EN6thrust23THRUST_200600_302600_NS6detail15normal_iteratorINS8_10device_ptrIbEEEESD_NSA_INSB_IiEEEESF_jNS0_19identity_decomposerENS1_16block_id_wrapperIjLb0EEEEE10hipError_tT1_PNSt15iterator_traitsISK_E10value_typeET2_T3_PNSL_ISQ_E10value_typeET4_T5_PSV_SW_PNS1_23onesweep_lookback_stateEbbT6_jjT7_P12ihipStream_tbENKUlT_T0_SK_SP_E_clISD_PbSF_PiEEDaS13_S14_SK_SP_EUlS13_E_NS1_11comp_targetILNS1_3genE2ELNS1_11target_archE906ELNS1_3gpuE6ELNS1_3repE0EEENS1_47radix_sort_onesweep_sort_config_static_selectorELNS0_4arch9wavefront6targetE1EEEvSK_
	.globl	_ZN7rocprim17ROCPRIM_400000_NS6detail17trampoline_kernelINS0_14default_configENS1_35radix_sort_onesweep_config_selectorIbiEEZZNS1_29radix_sort_onesweep_iterationIS3_Lb1EN6thrust23THRUST_200600_302600_NS6detail15normal_iteratorINS8_10device_ptrIbEEEESD_NSA_INSB_IiEEEESF_jNS0_19identity_decomposerENS1_16block_id_wrapperIjLb0EEEEE10hipError_tT1_PNSt15iterator_traitsISK_E10value_typeET2_T3_PNSL_ISQ_E10value_typeET4_T5_PSV_SW_PNS1_23onesweep_lookback_stateEbbT6_jjT7_P12ihipStream_tbENKUlT_T0_SK_SP_E_clISD_PbSF_PiEEDaS13_S14_SK_SP_EUlS13_E_NS1_11comp_targetILNS1_3genE2ELNS1_11target_archE906ELNS1_3gpuE6ELNS1_3repE0EEENS1_47radix_sort_onesweep_sort_config_static_selectorELNS0_4arch9wavefront6targetE1EEEvSK_
	.p2align	8
	.type	_ZN7rocprim17ROCPRIM_400000_NS6detail17trampoline_kernelINS0_14default_configENS1_35radix_sort_onesweep_config_selectorIbiEEZZNS1_29radix_sort_onesweep_iterationIS3_Lb1EN6thrust23THRUST_200600_302600_NS6detail15normal_iteratorINS8_10device_ptrIbEEEESD_NSA_INSB_IiEEEESF_jNS0_19identity_decomposerENS1_16block_id_wrapperIjLb0EEEEE10hipError_tT1_PNSt15iterator_traitsISK_E10value_typeET2_T3_PNSL_ISQ_E10value_typeET4_T5_PSV_SW_PNS1_23onesweep_lookback_stateEbbT6_jjT7_P12ihipStream_tbENKUlT_T0_SK_SP_E_clISD_PbSF_PiEEDaS13_S14_SK_SP_EUlS13_E_NS1_11comp_targetILNS1_3genE2ELNS1_11target_archE906ELNS1_3gpuE6ELNS1_3repE0EEENS1_47radix_sort_onesweep_sort_config_static_selectorELNS0_4arch9wavefront6targetE1EEEvSK_,@function
_ZN7rocprim17ROCPRIM_400000_NS6detail17trampoline_kernelINS0_14default_configENS1_35radix_sort_onesweep_config_selectorIbiEEZZNS1_29radix_sort_onesweep_iterationIS3_Lb1EN6thrust23THRUST_200600_302600_NS6detail15normal_iteratorINS8_10device_ptrIbEEEESD_NSA_INSB_IiEEEESF_jNS0_19identity_decomposerENS1_16block_id_wrapperIjLb0EEEEE10hipError_tT1_PNSt15iterator_traitsISK_E10value_typeET2_T3_PNSL_ISQ_E10value_typeET4_T5_PSV_SW_PNS1_23onesweep_lookback_stateEbbT6_jjT7_P12ihipStream_tbENKUlT_T0_SK_SP_E_clISD_PbSF_PiEEDaS13_S14_SK_SP_EUlS13_E_NS1_11comp_targetILNS1_3genE2ELNS1_11target_archE906ELNS1_3gpuE6ELNS1_3repE0EEENS1_47radix_sort_onesweep_sort_config_static_selectorELNS0_4arch9wavefront6targetE1EEEvSK_: ; @_ZN7rocprim17ROCPRIM_400000_NS6detail17trampoline_kernelINS0_14default_configENS1_35radix_sort_onesweep_config_selectorIbiEEZZNS1_29radix_sort_onesweep_iterationIS3_Lb1EN6thrust23THRUST_200600_302600_NS6detail15normal_iteratorINS8_10device_ptrIbEEEESD_NSA_INSB_IiEEEESF_jNS0_19identity_decomposerENS1_16block_id_wrapperIjLb0EEEEE10hipError_tT1_PNSt15iterator_traitsISK_E10value_typeET2_T3_PNSL_ISQ_E10value_typeET4_T5_PSV_SW_PNS1_23onesweep_lookback_stateEbbT6_jjT7_P12ihipStream_tbENKUlT_T0_SK_SP_E_clISD_PbSF_PiEEDaS13_S14_SK_SP_EUlS13_E_NS1_11comp_targetILNS1_3genE2ELNS1_11target_archE906ELNS1_3gpuE6ELNS1_3repE0EEENS1_47radix_sort_onesweep_sort_config_static_selectorELNS0_4arch9wavefront6targetE1EEEvSK_
; %bb.0:
	.section	.rodata,"a",@progbits
	.p2align	6, 0x0
	.amdhsa_kernel _ZN7rocprim17ROCPRIM_400000_NS6detail17trampoline_kernelINS0_14default_configENS1_35radix_sort_onesweep_config_selectorIbiEEZZNS1_29radix_sort_onesweep_iterationIS3_Lb1EN6thrust23THRUST_200600_302600_NS6detail15normal_iteratorINS8_10device_ptrIbEEEESD_NSA_INSB_IiEEEESF_jNS0_19identity_decomposerENS1_16block_id_wrapperIjLb0EEEEE10hipError_tT1_PNSt15iterator_traitsISK_E10value_typeET2_T3_PNSL_ISQ_E10value_typeET4_T5_PSV_SW_PNS1_23onesweep_lookback_stateEbbT6_jjT7_P12ihipStream_tbENKUlT_T0_SK_SP_E_clISD_PbSF_PiEEDaS13_S14_SK_SP_EUlS13_E_NS1_11comp_targetILNS1_3genE2ELNS1_11target_archE906ELNS1_3gpuE6ELNS1_3repE0EEENS1_47radix_sort_onesweep_sort_config_static_selectorELNS0_4arch9wavefront6targetE1EEEvSK_
		.amdhsa_group_segment_fixed_size 0
		.amdhsa_private_segment_fixed_size 0
		.amdhsa_kernarg_size 88
		.amdhsa_user_sgpr_count 2
		.amdhsa_user_sgpr_dispatch_ptr 0
		.amdhsa_user_sgpr_queue_ptr 0
		.amdhsa_user_sgpr_kernarg_segment_ptr 1
		.amdhsa_user_sgpr_dispatch_id 0
		.amdhsa_user_sgpr_kernarg_preload_length 0
		.amdhsa_user_sgpr_kernarg_preload_offset 0
		.amdhsa_user_sgpr_private_segment_size 0
		.amdhsa_uses_dynamic_stack 0
		.amdhsa_enable_private_segment 0
		.amdhsa_system_sgpr_workgroup_id_x 1
		.amdhsa_system_sgpr_workgroup_id_y 0
		.amdhsa_system_sgpr_workgroup_id_z 0
		.amdhsa_system_sgpr_workgroup_info 0
		.amdhsa_system_vgpr_workitem_id 0
		.amdhsa_next_free_vgpr 1
		.amdhsa_next_free_sgpr 0
		.amdhsa_accum_offset 4
		.amdhsa_reserve_vcc 0
		.amdhsa_float_round_mode_32 0
		.amdhsa_float_round_mode_16_64 0
		.amdhsa_float_denorm_mode_32 3
		.amdhsa_float_denorm_mode_16_64 3
		.amdhsa_dx10_clamp 1
		.amdhsa_ieee_mode 1
		.amdhsa_fp16_overflow 0
		.amdhsa_tg_split 0
		.amdhsa_exception_fp_ieee_invalid_op 0
		.amdhsa_exception_fp_denorm_src 0
		.amdhsa_exception_fp_ieee_div_zero 0
		.amdhsa_exception_fp_ieee_overflow 0
		.amdhsa_exception_fp_ieee_underflow 0
		.amdhsa_exception_fp_ieee_inexact 0
		.amdhsa_exception_int_div_zero 0
	.end_amdhsa_kernel
	.section	.text._ZN7rocprim17ROCPRIM_400000_NS6detail17trampoline_kernelINS0_14default_configENS1_35radix_sort_onesweep_config_selectorIbiEEZZNS1_29radix_sort_onesweep_iterationIS3_Lb1EN6thrust23THRUST_200600_302600_NS6detail15normal_iteratorINS8_10device_ptrIbEEEESD_NSA_INSB_IiEEEESF_jNS0_19identity_decomposerENS1_16block_id_wrapperIjLb0EEEEE10hipError_tT1_PNSt15iterator_traitsISK_E10value_typeET2_T3_PNSL_ISQ_E10value_typeET4_T5_PSV_SW_PNS1_23onesweep_lookback_stateEbbT6_jjT7_P12ihipStream_tbENKUlT_T0_SK_SP_E_clISD_PbSF_PiEEDaS13_S14_SK_SP_EUlS13_E_NS1_11comp_targetILNS1_3genE2ELNS1_11target_archE906ELNS1_3gpuE6ELNS1_3repE0EEENS1_47radix_sort_onesweep_sort_config_static_selectorELNS0_4arch9wavefront6targetE1EEEvSK_,"axG",@progbits,_ZN7rocprim17ROCPRIM_400000_NS6detail17trampoline_kernelINS0_14default_configENS1_35radix_sort_onesweep_config_selectorIbiEEZZNS1_29radix_sort_onesweep_iterationIS3_Lb1EN6thrust23THRUST_200600_302600_NS6detail15normal_iteratorINS8_10device_ptrIbEEEESD_NSA_INSB_IiEEEESF_jNS0_19identity_decomposerENS1_16block_id_wrapperIjLb0EEEEE10hipError_tT1_PNSt15iterator_traitsISK_E10value_typeET2_T3_PNSL_ISQ_E10value_typeET4_T5_PSV_SW_PNS1_23onesweep_lookback_stateEbbT6_jjT7_P12ihipStream_tbENKUlT_T0_SK_SP_E_clISD_PbSF_PiEEDaS13_S14_SK_SP_EUlS13_E_NS1_11comp_targetILNS1_3genE2ELNS1_11target_archE906ELNS1_3gpuE6ELNS1_3repE0EEENS1_47radix_sort_onesweep_sort_config_static_selectorELNS0_4arch9wavefront6targetE1EEEvSK_,comdat
.Lfunc_end2257:
	.size	_ZN7rocprim17ROCPRIM_400000_NS6detail17trampoline_kernelINS0_14default_configENS1_35radix_sort_onesweep_config_selectorIbiEEZZNS1_29radix_sort_onesweep_iterationIS3_Lb1EN6thrust23THRUST_200600_302600_NS6detail15normal_iteratorINS8_10device_ptrIbEEEESD_NSA_INSB_IiEEEESF_jNS0_19identity_decomposerENS1_16block_id_wrapperIjLb0EEEEE10hipError_tT1_PNSt15iterator_traitsISK_E10value_typeET2_T3_PNSL_ISQ_E10value_typeET4_T5_PSV_SW_PNS1_23onesweep_lookback_stateEbbT6_jjT7_P12ihipStream_tbENKUlT_T0_SK_SP_E_clISD_PbSF_PiEEDaS13_S14_SK_SP_EUlS13_E_NS1_11comp_targetILNS1_3genE2ELNS1_11target_archE906ELNS1_3gpuE6ELNS1_3repE0EEENS1_47radix_sort_onesweep_sort_config_static_selectorELNS0_4arch9wavefront6targetE1EEEvSK_, .Lfunc_end2257-_ZN7rocprim17ROCPRIM_400000_NS6detail17trampoline_kernelINS0_14default_configENS1_35radix_sort_onesweep_config_selectorIbiEEZZNS1_29radix_sort_onesweep_iterationIS3_Lb1EN6thrust23THRUST_200600_302600_NS6detail15normal_iteratorINS8_10device_ptrIbEEEESD_NSA_INSB_IiEEEESF_jNS0_19identity_decomposerENS1_16block_id_wrapperIjLb0EEEEE10hipError_tT1_PNSt15iterator_traitsISK_E10value_typeET2_T3_PNSL_ISQ_E10value_typeET4_T5_PSV_SW_PNS1_23onesweep_lookback_stateEbbT6_jjT7_P12ihipStream_tbENKUlT_T0_SK_SP_E_clISD_PbSF_PiEEDaS13_S14_SK_SP_EUlS13_E_NS1_11comp_targetILNS1_3genE2ELNS1_11target_archE906ELNS1_3gpuE6ELNS1_3repE0EEENS1_47radix_sort_onesweep_sort_config_static_selectorELNS0_4arch9wavefront6targetE1EEEvSK_
                                        ; -- End function
	.set _ZN7rocprim17ROCPRIM_400000_NS6detail17trampoline_kernelINS0_14default_configENS1_35radix_sort_onesweep_config_selectorIbiEEZZNS1_29radix_sort_onesweep_iterationIS3_Lb1EN6thrust23THRUST_200600_302600_NS6detail15normal_iteratorINS8_10device_ptrIbEEEESD_NSA_INSB_IiEEEESF_jNS0_19identity_decomposerENS1_16block_id_wrapperIjLb0EEEEE10hipError_tT1_PNSt15iterator_traitsISK_E10value_typeET2_T3_PNSL_ISQ_E10value_typeET4_T5_PSV_SW_PNS1_23onesweep_lookback_stateEbbT6_jjT7_P12ihipStream_tbENKUlT_T0_SK_SP_E_clISD_PbSF_PiEEDaS13_S14_SK_SP_EUlS13_E_NS1_11comp_targetILNS1_3genE2ELNS1_11target_archE906ELNS1_3gpuE6ELNS1_3repE0EEENS1_47radix_sort_onesweep_sort_config_static_selectorELNS0_4arch9wavefront6targetE1EEEvSK_.num_vgpr, 0
	.set _ZN7rocprim17ROCPRIM_400000_NS6detail17trampoline_kernelINS0_14default_configENS1_35radix_sort_onesweep_config_selectorIbiEEZZNS1_29radix_sort_onesweep_iterationIS3_Lb1EN6thrust23THRUST_200600_302600_NS6detail15normal_iteratorINS8_10device_ptrIbEEEESD_NSA_INSB_IiEEEESF_jNS0_19identity_decomposerENS1_16block_id_wrapperIjLb0EEEEE10hipError_tT1_PNSt15iterator_traitsISK_E10value_typeET2_T3_PNSL_ISQ_E10value_typeET4_T5_PSV_SW_PNS1_23onesweep_lookback_stateEbbT6_jjT7_P12ihipStream_tbENKUlT_T0_SK_SP_E_clISD_PbSF_PiEEDaS13_S14_SK_SP_EUlS13_E_NS1_11comp_targetILNS1_3genE2ELNS1_11target_archE906ELNS1_3gpuE6ELNS1_3repE0EEENS1_47radix_sort_onesweep_sort_config_static_selectorELNS0_4arch9wavefront6targetE1EEEvSK_.num_agpr, 0
	.set _ZN7rocprim17ROCPRIM_400000_NS6detail17trampoline_kernelINS0_14default_configENS1_35radix_sort_onesweep_config_selectorIbiEEZZNS1_29radix_sort_onesweep_iterationIS3_Lb1EN6thrust23THRUST_200600_302600_NS6detail15normal_iteratorINS8_10device_ptrIbEEEESD_NSA_INSB_IiEEEESF_jNS0_19identity_decomposerENS1_16block_id_wrapperIjLb0EEEEE10hipError_tT1_PNSt15iterator_traitsISK_E10value_typeET2_T3_PNSL_ISQ_E10value_typeET4_T5_PSV_SW_PNS1_23onesweep_lookback_stateEbbT6_jjT7_P12ihipStream_tbENKUlT_T0_SK_SP_E_clISD_PbSF_PiEEDaS13_S14_SK_SP_EUlS13_E_NS1_11comp_targetILNS1_3genE2ELNS1_11target_archE906ELNS1_3gpuE6ELNS1_3repE0EEENS1_47radix_sort_onesweep_sort_config_static_selectorELNS0_4arch9wavefront6targetE1EEEvSK_.numbered_sgpr, 0
	.set _ZN7rocprim17ROCPRIM_400000_NS6detail17trampoline_kernelINS0_14default_configENS1_35radix_sort_onesweep_config_selectorIbiEEZZNS1_29radix_sort_onesweep_iterationIS3_Lb1EN6thrust23THRUST_200600_302600_NS6detail15normal_iteratorINS8_10device_ptrIbEEEESD_NSA_INSB_IiEEEESF_jNS0_19identity_decomposerENS1_16block_id_wrapperIjLb0EEEEE10hipError_tT1_PNSt15iterator_traitsISK_E10value_typeET2_T3_PNSL_ISQ_E10value_typeET4_T5_PSV_SW_PNS1_23onesweep_lookback_stateEbbT6_jjT7_P12ihipStream_tbENKUlT_T0_SK_SP_E_clISD_PbSF_PiEEDaS13_S14_SK_SP_EUlS13_E_NS1_11comp_targetILNS1_3genE2ELNS1_11target_archE906ELNS1_3gpuE6ELNS1_3repE0EEENS1_47radix_sort_onesweep_sort_config_static_selectorELNS0_4arch9wavefront6targetE1EEEvSK_.num_named_barrier, 0
	.set _ZN7rocprim17ROCPRIM_400000_NS6detail17trampoline_kernelINS0_14default_configENS1_35radix_sort_onesweep_config_selectorIbiEEZZNS1_29radix_sort_onesweep_iterationIS3_Lb1EN6thrust23THRUST_200600_302600_NS6detail15normal_iteratorINS8_10device_ptrIbEEEESD_NSA_INSB_IiEEEESF_jNS0_19identity_decomposerENS1_16block_id_wrapperIjLb0EEEEE10hipError_tT1_PNSt15iterator_traitsISK_E10value_typeET2_T3_PNSL_ISQ_E10value_typeET4_T5_PSV_SW_PNS1_23onesweep_lookback_stateEbbT6_jjT7_P12ihipStream_tbENKUlT_T0_SK_SP_E_clISD_PbSF_PiEEDaS13_S14_SK_SP_EUlS13_E_NS1_11comp_targetILNS1_3genE2ELNS1_11target_archE906ELNS1_3gpuE6ELNS1_3repE0EEENS1_47radix_sort_onesweep_sort_config_static_selectorELNS0_4arch9wavefront6targetE1EEEvSK_.private_seg_size, 0
	.set _ZN7rocprim17ROCPRIM_400000_NS6detail17trampoline_kernelINS0_14default_configENS1_35radix_sort_onesweep_config_selectorIbiEEZZNS1_29radix_sort_onesweep_iterationIS3_Lb1EN6thrust23THRUST_200600_302600_NS6detail15normal_iteratorINS8_10device_ptrIbEEEESD_NSA_INSB_IiEEEESF_jNS0_19identity_decomposerENS1_16block_id_wrapperIjLb0EEEEE10hipError_tT1_PNSt15iterator_traitsISK_E10value_typeET2_T3_PNSL_ISQ_E10value_typeET4_T5_PSV_SW_PNS1_23onesweep_lookback_stateEbbT6_jjT7_P12ihipStream_tbENKUlT_T0_SK_SP_E_clISD_PbSF_PiEEDaS13_S14_SK_SP_EUlS13_E_NS1_11comp_targetILNS1_3genE2ELNS1_11target_archE906ELNS1_3gpuE6ELNS1_3repE0EEENS1_47radix_sort_onesweep_sort_config_static_selectorELNS0_4arch9wavefront6targetE1EEEvSK_.uses_vcc, 0
	.set _ZN7rocprim17ROCPRIM_400000_NS6detail17trampoline_kernelINS0_14default_configENS1_35radix_sort_onesweep_config_selectorIbiEEZZNS1_29radix_sort_onesweep_iterationIS3_Lb1EN6thrust23THRUST_200600_302600_NS6detail15normal_iteratorINS8_10device_ptrIbEEEESD_NSA_INSB_IiEEEESF_jNS0_19identity_decomposerENS1_16block_id_wrapperIjLb0EEEEE10hipError_tT1_PNSt15iterator_traitsISK_E10value_typeET2_T3_PNSL_ISQ_E10value_typeET4_T5_PSV_SW_PNS1_23onesweep_lookback_stateEbbT6_jjT7_P12ihipStream_tbENKUlT_T0_SK_SP_E_clISD_PbSF_PiEEDaS13_S14_SK_SP_EUlS13_E_NS1_11comp_targetILNS1_3genE2ELNS1_11target_archE906ELNS1_3gpuE6ELNS1_3repE0EEENS1_47radix_sort_onesweep_sort_config_static_selectorELNS0_4arch9wavefront6targetE1EEEvSK_.uses_flat_scratch, 0
	.set _ZN7rocprim17ROCPRIM_400000_NS6detail17trampoline_kernelINS0_14default_configENS1_35radix_sort_onesweep_config_selectorIbiEEZZNS1_29radix_sort_onesweep_iterationIS3_Lb1EN6thrust23THRUST_200600_302600_NS6detail15normal_iteratorINS8_10device_ptrIbEEEESD_NSA_INSB_IiEEEESF_jNS0_19identity_decomposerENS1_16block_id_wrapperIjLb0EEEEE10hipError_tT1_PNSt15iterator_traitsISK_E10value_typeET2_T3_PNSL_ISQ_E10value_typeET4_T5_PSV_SW_PNS1_23onesweep_lookback_stateEbbT6_jjT7_P12ihipStream_tbENKUlT_T0_SK_SP_E_clISD_PbSF_PiEEDaS13_S14_SK_SP_EUlS13_E_NS1_11comp_targetILNS1_3genE2ELNS1_11target_archE906ELNS1_3gpuE6ELNS1_3repE0EEENS1_47radix_sort_onesweep_sort_config_static_selectorELNS0_4arch9wavefront6targetE1EEEvSK_.has_dyn_sized_stack, 0
	.set _ZN7rocprim17ROCPRIM_400000_NS6detail17trampoline_kernelINS0_14default_configENS1_35radix_sort_onesweep_config_selectorIbiEEZZNS1_29radix_sort_onesweep_iterationIS3_Lb1EN6thrust23THRUST_200600_302600_NS6detail15normal_iteratorINS8_10device_ptrIbEEEESD_NSA_INSB_IiEEEESF_jNS0_19identity_decomposerENS1_16block_id_wrapperIjLb0EEEEE10hipError_tT1_PNSt15iterator_traitsISK_E10value_typeET2_T3_PNSL_ISQ_E10value_typeET4_T5_PSV_SW_PNS1_23onesweep_lookback_stateEbbT6_jjT7_P12ihipStream_tbENKUlT_T0_SK_SP_E_clISD_PbSF_PiEEDaS13_S14_SK_SP_EUlS13_E_NS1_11comp_targetILNS1_3genE2ELNS1_11target_archE906ELNS1_3gpuE6ELNS1_3repE0EEENS1_47radix_sort_onesweep_sort_config_static_selectorELNS0_4arch9wavefront6targetE1EEEvSK_.has_recursion, 0
	.set _ZN7rocprim17ROCPRIM_400000_NS6detail17trampoline_kernelINS0_14default_configENS1_35radix_sort_onesweep_config_selectorIbiEEZZNS1_29radix_sort_onesweep_iterationIS3_Lb1EN6thrust23THRUST_200600_302600_NS6detail15normal_iteratorINS8_10device_ptrIbEEEESD_NSA_INSB_IiEEEESF_jNS0_19identity_decomposerENS1_16block_id_wrapperIjLb0EEEEE10hipError_tT1_PNSt15iterator_traitsISK_E10value_typeET2_T3_PNSL_ISQ_E10value_typeET4_T5_PSV_SW_PNS1_23onesweep_lookback_stateEbbT6_jjT7_P12ihipStream_tbENKUlT_T0_SK_SP_E_clISD_PbSF_PiEEDaS13_S14_SK_SP_EUlS13_E_NS1_11comp_targetILNS1_3genE2ELNS1_11target_archE906ELNS1_3gpuE6ELNS1_3repE0EEENS1_47radix_sort_onesweep_sort_config_static_selectorELNS0_4arch9wavefront6targetE1EEEvSK_.has_indirect_call, 0
	.section	.AMDGPU.csdata,"",@progbits
; Kernel info:
; codeLenInByte = 0
; TotalNumSgprs: 6
; NumVgprs: 0
; NumAgprs: 0
; TotalNumVgprs: 0
; ScratchSize: 0
; MemoryBound: 0
; FloatMode: 240
; IeeeMode: 1
; LDSByteSize: 0 bytes/workgroup (compile time only)
; SGPRBlocks: 0
; VGPRBlocks: 0
; NumSGPRsForWavesPerEU: 6
; NumVGPRsForWavesPerEU: 1
; AccumOffset: 4
; Occupancy: 8
; WaveLimiterHint : 0
; COMPUTE_PGM_RSRC2:SCRATCH_EN: 0
; COMPUTE_PGM_RSRC2:USER_SGPR: 2
; COMPUTE_PGM_RSRC2:TRAP_HANDLER: 0
; COMPUTE_PGM_RSRC2:TGID_X_EN: 1
; COMPUTE_PGM_RSRC2:TGID_Y_EN: 0
; COMPUTE_PGM_RSRC2:TGID_Z_EN: 0
; COMPUTE_PGM_RSRC2:TIDIG_COMP_CNT: 0
; COMPUTE_PGM_RSRC3_GFX90A:ACCUM_OFFSET: 0
; COMPUTE_PGM_RSRC3_GFX90A:TG_SPLIT: 0
	.section	.text._ZN7rocprim17ROCPRIM_400000_NS6detail17trampoline_kernelINS0_14default_configENS1_35radix_sort_onesweep_config_selectorIbiEEZZNS1_29radix_sort_onesweep_iterationIS3_Lb1EN6thrust23THRUST_200600_302600_NS6detail15normal_iteratorINS8_10device_ptrIbEEEESD_NSA_INSB_IiEEEESF_jNS0_19identity_decomposerENS1_16block_id_wrapperIjLb0EEEEE10hipError_tT1_PNSt15iterator_traitsISK_E10value_typeET2_T3_PNSL_ISQ_E10value_typeET4_T5_PSV_SW_PNS1_23onesweep_lookback_stateEbbT6_jjT7_P12ihipStream_tbENKUlT_T0_SK_SP_E_clISD_PbSF_PiEEDaS13_S14_SK_SP_EUlS13_E_NS1_11comp_targetILNS1_3genE4ELNS1_11target_archE910ELNS1_3gpuE8ELNS1_3repE0EEENS1_47radix_sort_onesweep_sort_config_static_selectorELNS0_4arch9wavefront6targetE1EEEvSK_,"axG",@progbits,_ZN7rocprim17ROCPRIM_400000_NS6detail17trampoline_kernelINS0_14default_configENS1_35radix_sort_onesweep_config_selectorIbiEEZZNS1_29radix_sort_onesweep_iterationIS3_Lb1EN6thrust23THRUST_200600_302600_NS6detail15normal_iteratorINS8_10device_ptrIbEEEESD_NSA_INSB_IiEEEESF_jNS0_19identity_decomposerENS1_16block_id_wrapperIjLb0EEEEE10hipError_tT1_PNSt15iterator_traitsISK_E10value_typeET2_T3_PNSL_ISQ_E10value_typeET4_T5_PSV_SW_PNS1_23onesweep_lookback_stateEbbT6_jjT7_P12ihipStream_tbENKUlT_T0_SK_SP_E_clISD_PbSF_PiEEDaS13_S14_SK_SP_EUlS13_E_NS1_11comp_targetILNS1_3genE4ELNS1_11target_archE910ELNS1_3gpuE8ELNS1_3repE0EEENS1_47radix_sort_onesweep_sort_config_static_selectorELNS0_4arch9wavefront6targetE1EEEvSK_,comdat
	.protected	_ZN7rocprim17ROCPRIM_400000_NS6detail17trampoline_kernelINS0_14default_configENS1_35radix_sort_onesweep_config_selectorIbiEEZZNS1_29radix_sort_onesweep_iterationIS3_Lb1EN6thrust23THRUST_200600_302600_NS6detail15normal_iteratorINS8_10device_ptrIbEEEESD_NSA_INSB_IiEEEESF_jNS0_19identity_decomposerENS1_16block_id_wrapperIjLb0EEEEE10hipError_tT1_PNSt15iterator_traitsISK_E10value_typeET2_T3_PNSL_ISQ_E10value_typeET4_T5_PSV_SW_PNS1_23onesweep_lookback_stateEbbT6_jjT7_P12ihipStream_tbENKUlT_T0_SK_SP_E_clISD_PbSF_PiEEDaS13_S14_SK_SP_EUlS13_E_NS1_11comp_targetILNS1_3genE4ELNS1_11target_archE910ELNS1_3gpuE8ELNS1_3repE0EEENS1_47radix_sort_onesweep_sort_config_static_selectorELNS0_4arch9wavefront6targetE1EEEvSK_ ; -- Begin function _ZN7rocprim17ROCPRIM_400000_NS6detail17trampoline_kernelINS0_14default_configENS1_35radix_sort_onesweep_config_selectorIbiEEZZNS1_29radix_sort_onesweep_iterationIS3_Lb1EN6thrust23THRUST_200600_302600_NS6detail15normal_iteratorINS8_10device_ptrIbEEEESD_NSA_INSB_IiEEEESF_jNS0_19identity_decomposerENS1_16block_id_wrapperIjLb0EEEEE10hipError_tT1_PNSt15iterator_traitsISK_E10value_typeET2_T3_PNSL_ISQ_E10value_typeET4_T5_PSV_SW_PNS1_23onesweep_lookback_stateEbbT6_jjT7_P12ihipStream_tbENKUlT_T0_SK_SP_E_clISD_PbSF_PiEEDaS13_S14_SK_SP_EUlS13_E_NS1_11comp_targetILNS1_3genE4ELNS1_11target_archE910ELNS1_3gpuE8ELNS1_3repE0EEENS1_47radix_sort_onesweep_sort_config_static_selectorELNS0_4arch9wavefront6targetE1EEEvSK_
	.globl	_ZN7rocprim17ROCPRIM_400000_NS6detail17trampoline_kernelINS0_14default_configENS1_35radix_sort_onesweep_config_selectorIbiEEZZNS1_29radix_sort_onesweep_iterationIS3_Lb1EN6thrust23THRUST_200600_302600_NS6detail15normal_iteratorINS8_10device_ptrIbEEEESD_NSA_INSB_IiEEEESF_jNS0_19identity_decomposerENS1_16block_id_wrapperIjLb0EEEEE10hipError_tT1_PNSt15iterator_traitsISK_E10value_typeET2_T3_PNSL_ISQ_E10value_typeET4_T5_PSV_SW_PNS1_23onesweep_lookback_stateEbbT6_jjT7_P12ihipStream_tbENKUlT_T0_SK_SP_E_clISD_PbSF_PiEEDaS13_S14_SK_SP_EUlS13_E_NS1_11comp_targetILNS1_3genE4ELNS1_11target_archE910ELNS1_3gpuE8ELNS1_3repE0EEENS1_47radix_sort_onesweep_sort_config_static_selectorELNS0_4arch9wavefront6targetE1EEEvSK_
	.p2align	8
	.type	_ZN7rocprim17ROCPRIM_400000_NS6detail17trampoline_kernelINS0_14default_configENS1_35radix_sort_onesweep_config_selectorIbiEEZZNS1_29radix_sort_onesweep_iterationIS3_Lb1EN6thrust23THRUST_200600_302600_NS6detail15normal_iteratorINS8_10device_ptrIbEEEESD_NSA_INSB_IiEEEESF_jNS0_19identity_decomposerENS1_16block_id_wrapperIjLb0EEEEE10hipError_tT1_PNSt15iterator_traitsISK_E10value_typeET2_T3_PNSL_ISQ_E10value_typeET4_T5_PSV_SW_PNS1_23onesweep_lookback_stateEbbT6_jjT7_P12ihipStream_tbENKUlT_T0_SK_SP_E_clISD_PbSF_PiEEDaS13_S14_SK_SP_EUlS13_E_NS1_11comp_targetILNS1_3genE4ELNS1_11target_archE910ELNS1_3gpuE8ELNS1_3repE0EEENS1_47radix_sort_onesweep_sort_config_static_selectorELNS0_4arch9wavefront6targetE1EEEvSK_,@function
_ZN7rocprim17ROCPRIM_400000_NS6detail17trampoline_kernelINS0_14default_configENS1_35radix_sort_onesweep_config_selectorIbiEEZZNS1_29radix_sort_onesweep_iterationIS3_Lb1EN6thrust23THRUST_200600_302600_NS6detail15normal_iteratorINS8_10device_ptrIbEEEESD_NSA_INSB_IiEEEESF_jNS0_19identity_decomposerENS1_16block_id_wrapperIjLb0EEEEE10hipError_tT1_PNSt15iterator_traitsISK_E10value_typeET2_T3_PNSL_ISQ_E10value_typeET4_T5_PSV_SW_PNS1_23onesweep_lookback_stateEbbT6_jjT7_P12ihipStream_tbENKUlT_T0_SK_SP_E_clISD_PbSF_PiEEDaS13_S14_SK_SP_EUlS13_E_NS1_11comp_targetILNS1_3genE4ELNS1_11target_archE910ELNS1_3gpuE8ELNS1_3repE0EEENS1_47radix_sort_onesweep_sort_config_static_selectorELNS0_4arch9wavefront6targetE1EEEvSK_: ; @_ZN7rocprim17ROCPRIM_400000_NS6detail17trampoline_kernelINS0_14default_configENS1_35radix_sort_onesweep_config_selectorIbiEEZZNS1_29radix_sort_onesweep_iterationIS3_Lb1EN6thrust23THRUST_200600_302600_NS6detail15normal_iteratorINS8_10device_ptrIbEEEESD_NSA_INSB_IiEEEESF_jNS0_19identity_decomposerENS1_16block_id_wrapperIjLb0EEEEE10hipError_tT1_PNSt15iterator_traitsISK_E10value_typeET2_T3_PNSL_ISQ_E10value_typeET4_T5_PSV_SW_PNS1_23onesweep_lookback_stateEbbT6_jjT7_P12ihipStream_tbENKUlT_T0_SK_SP_E_clISD_PbSF_PiEEDaS13_S14_SK_SP_EUlS13_E_NS1_11comp_targetILNS1_3genE4ELNS1_11target_archE910ELNS1_3gpuE8ELNS1_3repE0EEENS1_47radix_sort_onesweep_sort_config_static_selectorELNS0_4arch9wavefront6targetE1EEEvSK_
; %bb.0:
	.section	.rodata,"a",@progbits
	.p2align	6, 0x0
	.amdhsa_kernel _ZN7rocprim17ROCPRIM_400000_NS6detail17trampoline_kernelINS0_14default_configENS1_35radix_sort_onesweep_config_selectorIbiEEZZNS1_29radix_sort_onesweep_iterationIS3_Lb1EN6thrust23THRUST_200600_302600_NS6detail15normal_iteratorINS8_10device_ptrIbEEEESD_NSA_INSB_IiEEEESF_jNS0_19identity_decomposerENS1_16block_id_wrapperIjLb0EEEEE10hipError_tT1_PNSt15iterator_traitsISK_E10value_typeET2_T3_PNSL_ISQ_E10value_typeET4_T5_PSV_SW_PNS1_23onesweep_lookback_stateEbbT6_jjT7_P12ihipStream_tbENKUlT_T0_SK_SP_E_clISD_PbSF_PiEEDaS13_S14_SK_SP_EUlS13_E_NS1_11comp_targetILNS1_3genE4ELNS1_11target_archE910ELNS1_3gpuE8ELNS1_3repE0EEENS1_47radix_sort_onesweep_sort_config_static_selectorELNS0_4arch9wavefront6targetE1EEEvSK_
		.amdhsa_group_segment_fixed_size 0
		.amdhsa_private_segment_fixed_size 0
		.amdhsa_kernarg_size 88
		.amdhsa_user_sgpr_count 2
		.amdhsa_user_sgpr_dispatch_ptr 0
		.amdhsa_user_sgpr_queue_ptr 0
		.amdhsa_user_sgpr_kernarg_segment_ptr 1
		.amdhsa_user_sgpr_dispatch_id 0
		.amdhsa_user_sgpr_kernarg_preload_length 0
		.amdhsa_user_sgpr_kernarg_preload_offset 0
		.amdhsa_user_sgpr_private_segment_size 0
		.amdhsa_uses_dynamic_stack 0
		.amdhsa_enable_private_segment 0
		.amdhsa_system_sgpr_workgroup_id_x 1
		.amdhsa_system_sgpr_workgroup_id_y 0
		.amdhsa_system_sgpr_workgroup_id_z 0
		.amdhsa_system_sgpr_workgroup_info 0
		.amdhsa_system_vgpr_workitem_id 0
		.amdhsa_next_free_vgpr 1
		.amdhsa_next_free_sgpr 0
		.amdhsa_accum_offset 4
		.amdhsa_reserve_vcc 0
		.amdhsa_float_round_mode_32 0
		.amdhsa_float_round_mode_16_64 0
		.amdhsa_float_denorm_mode_32 3
		.amdhsa_float_denorm_mode_16_64 3
		.amdhsa_dx10_clamp 1
		.amdhsa_ieee_mode 1
		.amdhsa_fp16_overflow 0
		.amdhsa_tg_split 0
		.amdhsa_exception_fp_ieee_invalid_op 0
		.amdhsa_exception_fp_denorm_src 0
		.amdhsa_exception_fp_ieee_div_zero 0
		.amdhsa_exception_fp_ieee_overflow 0
		.amdhsa_exception_fp_ieee_underflow 0
		.amdhsa_exception_fp_ieee_inexact 0
		.amdhsa_exception_int_div_zero 0
	.end_amdhsa_kernel
	.section	.text._ZN7rocprim17ROCPRIM_400000_NS6detail17trampoline_kernelINS0_14default_configENS1_35radix_sort_onesweep_config_selectorIbiEEZZNS1_29radix_sort_onesweep_iterationIS3_Lb1EN6thrust23THRUST_200600_302600_NS6detail15normal_iteratorINS8_10device_ptrIbEEEESD_NSA_INSB_IiEEEESF_jNS0_19identity_decomposerENS1_16block_id_wrapperIjLb0EEEEE10hipError_tT1_PNSt15iterator_traitsISK_E10value_typeET2_T3_PNSL_ISQ_E10value_typeET4_T5_PSV_SW_PNS1_23onesweep_lookback_stateEbbT6_jjT7_P12ihipStream_tbENKUlT_T0_SK_SP_E_clISD_PbSF_PiEEDaS13_S14_SK_SP_EUlS13_E_NS1_11comp_targetILNS1_3genE4ELNS1_11target_archE910ELNS1_3gpuE8ELNS1_3repE0EEENS1_47radix_sort_onesweep_sort_config_static_selectorELNS0_4arch9wavefront6targetE1EEEvSK_,"axG",@progbits,_ZN7rocprim17ROCPRIM_400000_NS6detail17trampoline_kernelINS0_14default_configENS1_35radix_sort_onesweep_config_selectorIbiEEZZNS1_29radix_sort_onesweep_iterationIS3_Lb1EN6thrust23THRUST_200600_302600_NS6detail15normal_iteratorINS8_10device_ptrIbEEEESD_NSA_INSB_IiEEEESF_jNS0_19identity_decomposerENS1_16block_id_wrapperIjLb0EEEEE10hipError_tT1_PNSt15iterator_traitsISK_E10value_typeET2_T3_PNSL_ISQ_E10value_typeET4_T5_PSV_SW_PNS1_23onesweep_lookback_stateEbbT6_jjT7_P12ihipStream_tbENKUlT_T0_SK_SP_E_clISD_PbSF_PiEEDaS13_S14_SK_SP_EUlS13_E_NS1_11comp_targetILNS1_3genE4ELNS1_11target_archE910ELNS1_3gpuE8ELNS1_3repE0EEENS1_47radix_sort_onesweep_sort_config_static_selectorELNS0_4arch9wavefront6targetE1EEEvSK_,comdat
.Lfunc_end2258:
	.size	_ZN7rocprim17ROCPRIM_400000_NS6detail17trampoline_kernelINS0_14default_configENS1_35radix_sort_onesweep_config_selectorIbiEEZZNS1_29radix_sort_onesweep_iterationIS3_Lb1EN6thrust23THRUST_200600_302600_NS6detail15normal_iteratorINS8_10device_ptrIbEEEESD_NSA_INSB_IiEEEESF_jNS0_19identity_decomposerENS1_16block_id_wrapperIjLb0EEEEE10hipError_tT1_PNSt15iterator_traitsISK_E10value_typeET2_T3_PNSL_ISQ_E10value_typeET4_T5_PSV_SW_PNS1_23onesweep_lookback_stateEbbT6_jjT7_P12ihipStream_tbENKUlT_T0_SK_SP_E_clISD_PbSF_PiEEDaS13_S14_SK_SP_EUlS13_E_NS1_11comp_targetILNS1_3genE4ELNS1_11target_archE910ELNS1_3gpuE8ELNS1_3repE0EEENS1_47radix_sort_onesweep_sort_config_static_selectorELNS0_4arch9wavefront6targetE1EEEvSK_, .Lfunc_end2258-_ZN7rocprim17ROCPRIM_400000_NS6detail17trampoline_kernelINS0_14default_configENS1_35radix_sort_onesweep_config_selectorIbiEEZZNS1_29radix_sort_onesweep_iterationIS3_Lb1EN6thrust23THRUST_200600_302600_NS6detail15normal_iteratorINS8_10device_ptrIbEEEESD_NSA_INSB_IiEEEESF_jNS0_19identity_decomposerENS1_16block_id_wrapperIjLb0EEEEE10hipError_tT1_PNSt15iterator_traitsISK_E10value_typeET2_T3_PNSL_ISQ_E10value_typeET4_T5_PSV_SW_PNS1_23onesweep_lookback_stateEbbT6_jjT7_P12ihipStream_tbENKUlT_T0_SK_SP_E_clISD_PbSF_PiEEDaS13_S14_SK_SP_EUlS13_E_NS1_11comp_targetILNS1_3genE4ELNS1_11target_archE910ELNS1_3gpuE8ELNS1_3repE0EEENS1_47radix_sort_onesweep_sort_config_static_selectorELNS0_4arch9wavefront6targetE1EEEvSK_
                                        ; -- End function
	.set _ZN7rocprim17ROCPRIM_400000_NS6detail17trampoline_kernelINS0_14default_configENS1_35radix_sort_onesweep_config_selectorIbiEEZZNS1_29radix_sort_onesweep_iterationIS3_Lb1EN6thrust23THRUST_200600_302600_NS6detail15normal_iteratorINS8_10device_ptrIbEEEESD_NSA_INSB_IiEEEESF_jNS0_19identity_decomposerENS1_16block_id_wrapperIjLb0EEEEE10hipError_tT1_PNSt15iterator_traitsISK_E10value_typeET2_T3_PNSL_ISQ_E10value_typeET4_T5_PSV_SW_PNS1_23onesweep_lookback_stateEbbT6_jjT7_P12ihipStream_tbENKUlT_T0_SK_SP_E_clISD_PbSF_PiEEDaS13_S14_SK_SP_EUlS13_E_NS1_11comp_targetILNS1_3genE4ELNS1_11target_archE910ELNS1_3gpuE8ELNS1_3repE0EEENS1_47radix_sort_onesweep_sort_config_static_selectorELNS0_4arch9wavefront6targetE1EEEvSK_.num_vgpr, 0
	.set _ZN7rocprim17ROCPRIM_400000_NS6detail17trampoline_kernelINS0_14default_configENS1_35radix_sort_onesweep_config_selectorIbiEEZZNS1_29radix_sort_onesweep_iterationIS3_Lb1EN6thrust23THRUST_200600_302600_NS6detail15normal_iteratorINS8_10device_ptrIbEEEESD_NSA_INSB_IiEEEESF_jNS0_19identity_decomposerENS1_16block_id_wrapperIjLb0EEEEE10hipError_tT1_PNSt15iterator_traitsISK_E10value_typeET2_T3_PNSL_ISQ_E10value_typeET4_T5_PSV_SW_PNS1_23onesweep_lookback_stateEbbT6_jjT7_P12ihipStream_tbENKUlT_T0_SK_SP_E_clISD_PbSF_PiEEDaS13_S14_SK_SP_EUlS13_E_NS1_11comp_targetILNS1_3genE4ELNS1_11target_archE910ELNS1_3gpuE8ELNS1_3repE0EEENS1_47radix_sort_onesweep_sort_config_static_selectorELNS0_4arch9wavefront6targetE1EEEvSK_.num_agpr, 0
	.set _ZN7rocprim17ROCPRIM_400000_NS6detail17trampoline_kernelINS0_14default_configENS1_35radix_sort_onesweep_config_selectorIbiEEZZNS1_29radix_sort_onesweep_iterationIS3_Lb1EN6thrust23THRUST_200600_302600_NS6detail15normal_iteratorINS8_10device_ptrIbEEEESD_NSA_INSB_IiEEEESF_jNS0_19identity_decomposerENS1_16block_id_wrapperIjLb0EEEEE10hipError_tT1_PNSt15iterator_traitsISK_E10value_typeET2_T3_PNSL_ISQ_E10value_typeET4_T5_PSV_SW_PNS1_23onesweep_lookback_stateEbbT6_jjT7_P12ihipStream_tbENKUlT_T0_SK_SP_E_clISD_PbSF_PiEEDaS13_S14_SK_SP_EUlS13_E_NS1_11comp_targetILNS1_3genE4ELNS1_11target_archE910ELNS1_3gpuE8ELNS1_3repE0EEENS1_47radix_sort_onesweep_sort_config_static_selectorELNS0_4arch9wavefront6targetE1EEEvSK_.numbered_sgpr, 0
	.set _ZN7rocprim17ROCPRIM_400000_NS6detail17trampoline_kernelINS0_14default_configENS1_35radix_sort_onesweep_config_selectorIbiEEZZNS1_29radix_sort_onesweep_iterationIS3_Lb1EN6thrust23THRUST_200600_302600_NS6detail15normal_iteratorINS8_10device_ptrIbEEEESD_NSA_INSB_IiEEEESF_jNS0_19identity_decomposerENS1_16block_id_wrapperIjLb0EEEEE10hipError_tT1_PNSt15iterator_traitsISK_E10value_typeET2_T3_PNSL_ISQ_E10value_typeET4_T5_PSV_SW_PNS1_23onesweep_lookback_stateEbbT6_jjT7_P12ihipStream_tbENKUlT_T0_SK_SP_E_clISD_PbSF_PiEEDaS13_S14_SK_SP_EUlS13_E_NS1_11comp_targetILNS1_3genE4ELNS1_11target_archE910ELNS1_3gpuE8ELNS1_3repE0EEENS1_47radix_sort_onesweep_sort_config_static_selectorELNS0_4arch9wavefront6targetE1EEEvSK_.num_named_barrier, 0
	.set _ZN7rocprim17ROCPRIM_400000_NS6detail17trampoline_kernelINS0_14default_configENS1_35radix_sort_onesweep_config_selectorIbiEEZZNS1_29radix_sort_onesweep_iterationIS3_Lb1EN6thrust23THRUST_200600_302600_NS6detail15normal_iteratorINS8_10device_ptrIbEEEESD_NSA_INSB_IiEEEESF_jNS0_19identity_decomposerENS1_16block_id_wrapperIjLb0EEEEE10hipError_tT1_PNSt15iterator_traitsISK_E10value_typeET2_T3_PNSL_ISQ_E10value_typeET4_T5_PSV_SW_PNS1_23onesweep_lookback_stateEbbT6_jjT7_P12ihipStream_tbENKUlT_T0_SK_SP_E_clISD_PbSF_PiEEDaS13_S14_SK_SP_EUlS13_E_NS1_11comp_targetILNS1_3genE4ELNS1_11target_archE910ELNS1_3gpuE8ELNS1_3repE0EEENS1_47radix_sort_onesweep_sort_config_static_selectorELNS0_4arch9wavefront6targetE1EEEvSK_.private_seg_size, 0
	.set _ZN7rocprim17ROCPRIM_400000_NS6detail17trampoline_kernelINS0_14default_configENS1_35radix_sort_onesweep_config_selectorIbiEEZZNS1_29radix_sort_onesweep_iterationIS3_Lb1EN6thrust23THRUST_200600_302600_NS6detail15normal_iteratorINS8_10device_ptrIbEEEESD_NSA_INSB_IiEEEESF_jNS0_19identity_decomposerENS1_16block_id_wrapperIjLb0EEEEE10hipError_tT1_PNSt15iterator_traitsISK_E10value_typeET2_T3_PNSL_ISQ_E10value_typeET4_T5_PSV_SW_PNS1_23onesweep_lookback_stateEbbT6_jjT7_P12ihipStream_tbENKUlT_T0_SK_SP_E_clISD_PbSF_PiEEDaS13_S14_SK_SP_EUlS13_E_NS1_11comp_targetILNS1_3genE4ELNS1_11target_archE910ELNS1_3gpuE8ELNS1_3repE0EEENS1_47radix_sort_onesweep_sort_config_static_selectorELNS0_4arch9wavefront6targetE1EEEvSK_.uses_vcc, 0
	.set _ZN7rocprim17ROCPRIM_400000_NS6detail17trampoline_kernelINS0_14default_configENS1_35radix_sort_onesweep_config_selectorIbiEEZZNS1_29radix_sort_onesweep_iterationIS3_Lb1EN6thrust23THRUST_200600_302600_NS6detail15normal_iteratorINS8_10device_ptrIbEEEESD_NSA_INSB_IiEEEESF_jNS0_19identity_decomposerENS1_16block_id_wrapperIjLb0EEEEE10hipError_tT1_PNSt15iterator_traitsISK_E10value_typeET2_T3_PNSL_ISQ_E10value_typeET4_T5_PSV_SW_PNS1_23onesweep_lookback_stateEbbT6_jjT7_P12ihipStream_tbENKUlT_T0_SK_SP_E_clISD_PbSF_PiEEDaS13_S14_SK_SP_EUlS13_E_NS1_11comp_targetILNS1_3genE4ELNS1_11target_archE910ELNS1_3gpuE8ELNS1_3repE0EEENS1_47radix_sort_onesweep_sort_config_static_selectorELNS0_4arch9wavefront6targetE1EEEvSK_.uses_flat_scratch, 0
	.set _ZN7rocprim17ROCPRIM_400000_NS6detail17trampoline_kernelINS0_14default_configENS1_35radix_sort_onesweep_config_selectorIbiEEZZNS1_29radix_sort_onesweep_iterationIS3_Lb1EN6thrust23THRUST_200600_302600_NS6detail15normal_iteratorINS8_10device_ptrIbEEEESD_NSA_INSB_IiEEEESF_jNS0_19identity_decomposerENS1_16block_id_wrapperIjLb0EEEEE10hipError_tT1_PNSt15iterator_traitsISK_E10value_typeET2_T3_PNSL_ISQ_E10value_typeET4_T5_PSV_SW_PNS1_23onesweep_lookback_stateEbbT6_jjT7_P12ihipStream_tbENKUlT_T0_SK_SP_E_clISD_PbSF_PiEEDaS13_S14_SK_SP_EUlS13_E_NS1_11comp_targetILNS1_3genE4ELNS1_11target_archE910ELNS1_3gpuE8ELNS1_3repE0EEENS1_47radix_sort_onesweep_sort_config_static_selectorELNS0_4arch9wavefront6targetE1EEEvSK_.has_dyn_sized_stack, 0
	.set _ZN7rocprim17ROCPRIM_400000_NS6detail17trampoline_kernelINS0_14default_configENS1_35radix_sort_onesweep_config_selectorIbiEEZZNS1_29radix_sort_onesweep_iterationIS3_Lb1EN6thrust23THRUST_200600_302600_NS6detail15normal_iteratorINS8_10device_ptrIbEEEESD_NSA_INSB_IiEEEESF_jNS0_19identity_decomposerENS1_16block_id_wrapperIjLb0EEEEE10hipError_tT1_PNSt15iterator_traitsISK_E10value_typeET2_T3_PNSL_ISQ_E10value_typeET4_T5_PSV_SW_PNS1_23onesweep_lookback_stateEbbT6_jjT7_P12ihipStream_tbENKUlT_T0_SK_SP_E_clISD_PbSF_PiEEDaS13_S14_SK_SP_EUlS13_E_NS1_11comp_targetILNS1_3genE4ELNS1_11target_archE910ELNS1_3gpuE8ELNS1_3repE0EEENS1_47radix_sort_onesweep_sort_config_static_selectorELNS0_4arch9wavefront6targetE1EEEvSK_.has_recursion, 0
	.set _ZN7rocprim17ROCPRIM_400000_NS6detail17trampoline_kernelINS0_14default_configENS1_35radix_sort_onesweep_config_selectorIbiEEZZNS1_29radix_sort_onesweep_iterationIS3_Lb1EN6thrust23THRUST_200600_302600_NS6detail15normal_iteratorINS8_10device_ptrIbEEEESD_NSA_INSB_IiEEEESF_jNS0_19identity_decomposerENS1_16block_id_wrapperIjLb0EEEEE10hipError_tT1_PNSt15iterator_traitsISK_E10value_typeET2_T3_PNSL_ISQ_E10value_typeET4_T5_PSV_SW_PNS1_23onesweep_lookback_stateEbbT6_jjT7_P12ihipStream_tbENKUlT_T0_SK_SP_E_clISD_PbSF_PiEEDaS13_S14_SK_SP_EUlS13_E_NS1_11comp_targetILNS1_3genE4ELNS1_11target_archE910ELNS1_3gpuE8ELNS1_3repE0EEENS1_47radix_sort_onesweep_sort_config_static_selectorELNS0_4arch9wavefront6targetE1EEEvSK_.has_indirect_call, 0
	.section	.AMDGPU.csdata,"",@progbits
; Kernel info:
; codeLenInByte = 0
; TotalNumSgprs: 6
; NumVgprs: 0
; NumAgprs: 0
; TotalNumVgprs: 0
; ScratchSize: 0
; MemoryBound: 0
; FloatMode: 240
; IeeeMode: 1
; LDSByteSize: 0 bytes/workgroup (compile time only)
; SGPRBlocks: 0
; VGPRBlocks: 0
; NumSGPRsForWavesPerEU: 6
; NumVGPRsForWavesPerEU: 1
; AccumOffset: 4
; Occupancy: 8
; WaveLimiterHint : 0
; COMPUTE_PGM_RSRC2:SCRATCH_EN: 0
; COMPUTE_PGM_RSRC2:USER_SGPR: 2
; COMPUTE_PGM_RSRC2:TRAP_HANDLER: 0
; COMPUTE_PGM_RSRC2:TGID_X_EN: 1
; COMPUTE_PGM_RSRC2:TGID_Y_EN: 0
; COMPUTE_PGM_RSRC2:TGID_Z_EN: 0
; COMPUTE_PGM_RSRC2:TIDIG_COMP_CNT: 0
; COMPUTE_PGM_RSRC3_GFX90A:ACCUM_OFFSET: 0
; COMPUTE_PGM_RSRC3_GFX90A:TG_SPLIT: 0
	.section	.text._ZN7rocprim17ROCPRIM_400000_NS6detail17trampoline_kernelINS0_14default_configENS1_35radix_sort_onesweep_config_selectorIbiEEZZNS1_29radix_sort_onesweep_iterationIS3_Lb1EN6thrust23THRUST_200600_302600_NS6detail15normal_iteratorINS8_10device_ptrIbEEEESD_NSA_INSB_IiEEEESF_jNS0_19identity_decomposerENS1_16block_id_wrapperIjLb0EEEEE10hipError_tT1_PNSt15iterator_traitsISK_E10value_typeET2_T3_PNSL_ISQ_E10value_typeET4_T5_PSV_SW_PNS1_23onesweep_lookback_stateEbbT6_jjT7_P12ihipStream_tbENKUlT_T0_SK_SP_E_clISD_PbSF_PiEEDaS13_S14_SK_SP_EUlS13_E_NS1_11comp_targetILNS1_3genE3ELNS1_11target_archE908ELNS1_3gpuE7ELNS1_3repE0EEENS1_47radix_sort_onesweep_sort_config_static_selectorELNS0_4arch9wavefront6targetE1EEEvSK_,"axG",@progbits,_ZN7rocprim17ROCPRIM_400000_NS6detail17trampoline_kernelINS0_14default_configENS1_35radix_sort_onesweep_config_selectorIbiEEZZNS1_29radix_sort_onesweep_iterationIS3_Lb1EN6thrust23THRUST_200600_302600_NS6detail15normal_iteratorINS8_10device_ptrIbEEEESD_NSA_INSB_IiEEEESF_jNS0_19identity_decomposerENS1_16block_id_wrapperIjLb0EEEEE10hipError_tT1_PNSt15iterator_traitsISK_E10value_typeET2_T3_PNSL_ISQ_E10value_typeET4_T5_PSV_SW_PNS1_23onesweep_lookback_stateEbbT6_jjT7_P12ihipStream_tbENKUlT_T0_SK_SP_E_clISD_PbSF_PiEEDaS13_S14_SK_SP_EUlS13_E_NS1_11comp_targetILNS1_3genE3ELNS1_11target_archE908ELNS1_3gpuE7ELNS1_3repE0EEENS1_47radix_sort_onesweep_sort_config_static_selectorELNS0_4arch9wavefront6targetE1EEEvSK_,comdat
	.protected	_ZN7rocprim17ROCPRIM_400000_NS6detail17trampoline_kernelINS0_14default_configENS1_35radix_sort_onesweep_config_selectorIbiEEZZNS1_29radix_sort_onesweep_iterationIS3_Lb1EN6thrust23THRUST_200600_302600_NS6detail15normal_iteratorINS8_10device_ptrIbEEEESD_NSA_INSB_IiEEEESF_jNS0_19identity_decomposerENS1_16block_id_wrapperIjLb0EEEEE10hipError_tT1_PNSt15iterator_traitsISK_E10value_typeET2_T3_PNSL_ISQ_E10value_typeET4_T5_PSV_SW_PNS1_23onesweep_lookback_stateEbbT6_jjT7_P12ihipStream_tbENKUlT_T0_SK_SP_E_clISD_PbSF_PiEEDaS13_S14_SK_SP_EUlS13_E_NS1_11comp_targetILNS1_3genE3ELNS1_11target_archE908ELNS1_3gpuE7ELNS1_3repE0EEENS1_47radix_sort_onesweep_sort_config_static_selectorELNS0_4arch9wavefront6targetE1EEEvSK_ ; -- Begin function _ZN7rocprim17ROCPRIM_400000_NS6detail17trampoline_kernelINS0_14default_configENS1_35radix_sort_onesweep_config_selectorIbiEEZZNS1_29radix_sort_onesweep_iterationIS3_Lb1EN6thrust23THRUST_200600_302600_NS6detail15normal_iteratorINS8_10device_ptrIbEEEESD_NSA_INSB_IiEEEESF_jNS0_19identity_decomposerENS1_16block_id_wrapperIjLb0EEEEE10hipError_tT1_PNSt15iterator_traitsISK_E10value_typeET2_T3_PNSL_ISQ_E10value_typeET4_T5_PSV_SW_PNS1_23onesweep_lookback_stateEbbT6_jjT7_P12ihipStream_tbENKUlT_T0_SK_SP_E_clISD_PbSF_PiEEDaS13_S14_SK_SP_EUlS13_E_NS1_11comp_targetILNS1_3genE3ELNS1_11target_archE908ELNS1_3gpuE7ELNS1_3repE0EEENS1_47radix_sort_onesweep_sort_config_static_selectorELNS0_4arch9wavefront6targetE1EEEvSK_
	.globl	_ZN7rocprim17ROCPRIM_400000_NS6detail17trampoline_kernelINS0_14default_configENS1_35radix_sort_onesweep_config_selectorIbiEEZZNS1_29radix_sort_onesweep_iterationIS3_Lb1EN6thrust23THRUST_200600_302600_NS6detail15normal_iteratorINS8_10device_ptrIbEEEESD_NSA_INSB_IiEEEESF_jNS0_19identity_decomposerENS1_16block_id_wrapperIjLb0EEEEE10hipError_tT1_PNSt15iterator_traitsISK_E10value_typeET2_T3_PNSL_ISQ_E10value_typeET4_T5_PSV_SW_PNS1_23onesweep_lookback_stateEbbT6_jjT7_P12ihipStream_tbENKUlT_T0_SK_SP_E_clISD_PbSF_PiEEDaS13_S14_SK_SP_EUlS13_E_NS1_11comp_targetILNS1_3genE3ELNS1_11target_archE908ELNS1_3gpuE7ELNS1_3repE0EEENS1_47radix_sort_onesweep_sort_config_static_selectorELNS0_4arch9wavefront6targetE1EEEvSK_
	.p2align	8
	.type	_ZN7rocprim17ROCPRIM_400000_NS6detail17trampoline_kernelINS0_14default_configENS1_35radix_sort_onesweep_config_selectorIbiEEZZNS1_29radix_sort_onesweep_iterationIS3_Lb1EN6thrust23THRUST_200600_302600_NS6detail15normal_iteratorINS8_10device_ptrIbEEEESD_NSA_INSB_IiEEEESF_jNS0_19identity_decomposerENS1_16block_id_wrapperIjLb0EEEEE10hipError_tT1_PNSt15iterator_traitsISK_E10value_typeET2_T3_PNSL_ISQ_E10value_typeET4_T5_PSV_SW_PNS1_23onesweep_lookback_stateEbbT6_jjT7_P12ihipStream_tbENKUlT_T0_SK_SP_E_clISD_PbSF_PiEEDaS13_S14_SK_SP_EUlS13_E_NS1_11comp_targetILNS1_3genE3ELNS1_11target_archE908ELNS1_3gpuE7ELNS1_3repE0EEENS1_47radix_sort_onesweep_sort_config_static_selectorELNS0_4arch9wavefront6targetE1EEEvSK_,@function
_ZN7rocprim17ROCPRIM_400000_NS6detail17trampoline_kernelINS0_14default_configENS1_35radix_sort_onesweep_config_selectorIbiEEZZNS1_29radix_sort_onesweep_iterationIS3_Lb1EN6thrust23THRUST_200600_302600_NS6detail15normal_iteratorINS8_10device_ptrIbEEEESD_NSA_INSB_IiEEEESF_jNS0_19identity_decomposerENS1_16block_id_wrapperIjLb0EEEEE10hipError_tT1_PNSt15iterator_traitsISK_E10value_typeET2_T3_PNSL_ISQ_E10value_typeET4_T5_PSV_SW_PNS1_23onesweep_lookback_stateEbbT6_jjT7_P12ihipStream_tbENKUlT_T0_SK_SP_E_clISD_PbSF_PiEEDaS13_S14_SK_SP_EUlS13_E_NS1_11comp_targetILNS1_3genE3ELNS1_11target_archE908ELNS1_3gpuE7ELNS1_3repE0EEENS1_47radix_sort_onesweep_sort_config_static_selectorELNS0_4arch9wavefront6targetE1EEEvSK_: ; @_ZN7rocprim17ROCPRIM_400000_NS6detail17trampoline_kernelINS0_14default_configENS1_35radix_sort_onesweep_config_selectorIbiEEZZNS1_29radix_sort_onesweep_iterationIS3_Lb1EN6thrust23THRUST_200600_302600_NS6detail15normal_iteratorINS8_10device_ptrIbEEEESD_NSA_INSB_IiEEEESF_jNS0_19identity_decomposerENS1_16block_id_wrapperIjLb0EEEEE10hipError_tT1_PNSt15iterator_traitsISK_E10value_typeET2_T3_PNSL_ISQ_E10value_typeET4_T5_PSV_SW_PNS1_23onesweep_lookback_stateEbbT6_jjT7_P12ihipStream_tbENKUlT_T0_SK_SP_E_clISD_PbSF_PiEEDaS13_S14_SK_SP_EUlS13_E_NS1_11comp_targetILNS1_3genE3ELNS1_11target_archE908ELNS1_3gpuE7ELNS1_3repE0EEENS1_47radix_sort_onesweep_sort_config_static_selectorELNS0_4arch9wavefront6targetE1EEEvSK_
; %bb.0:
	.section	.rodata,"a",@progbits
	.p2align	6, 0x0
	.amdhsa_kernel _ZN7rocprim17ROCPRIM_400000_NS6detail17trampoline_kernelINS0_14default_configENS1_35radix_sort_onesweep_config_selectorIbiEEZZNS1_29radix_sort_onesweep_iterationIS3_Lb1EN6thrust23THRUST_200600_302600_NS6detail15normal_iteratorINS8_10device_ptrIbEEEESD_NSA_INSB_IiEEEESF_jNS0_19identity_decomposerENS1_16block_id_wrapperIjLb0EEEEE10hipError_tT1_PNSt15iterator_traitsISK_E10value_typeET2_T3_PNSL_ISQ_E10value_typeET4_T5_PSV_SW_PNS1_23onesweep_lookback_stateEbbT6_jjT7_P12ihipStream_tbENKUlT_T0_SK_SP_E_clISD_PbSF_PiEEDaS13_S14_SK_SP_EUlS13_E_NS1_11comp_targetILNS1_3genE3ELNS1_11target_archE908ELNS1_3gpuE7ELNS1_3repE0EEENS1_47radix_sort_onesweep_sort_config_static_selectorELNS0_4arch9wavefront6targetE1EEEvSK_
		.amdhsa_group_segment_fixed_size 0
		.amdhsa_private_segment_fixed_size 0
		.amdhsa_kernarg_size 88
		.amdhsa_user_sgpr_count 2
		.amdhsa_user_sgpr_dispatch_ptr 0
		.amdhsa_user_sgpr_queue_ptr 0
		.amdhsa_user_sgpr_kernarg_segment_ptr 1
		.amdhsa_user_sgpr_dispatch_id 0
		.amdhsa_user_sgpr_kernarg_preload_length 0
		.amdhsa_user_sgpr_kernarg_preload_offset 0
		.amdhsa_user_sgpr_private_segment_size 0
		.amdhsa_uses_dynamic_stack 0
		.amdhsa_enable_private_segment 0
		.amdhsa_system_sgpr_workgroup_id_x 1
		.amdhsa_system_sgpr_workgroup_id_y 0
		.amdhsa_system_sgpr_workgroup_id_z 0
		.amdhsa_system_sgpr_workgroup_info 0
		.amdhsa_system_vgpr_workitem_id 0
		.amdhsa_next_free_vgpr 1
		.amdhsa_next_free_sgpr 0
		.amdhsa_accum_offset 4
		.amdhsa_reserve_vcc 0
		.amdhsa_float_round_mode_32 0
		.amdhsa_float_round_mode_16_64 0
		.amdhsa_float_denorm_mode_32 3
		.amdhsa_float_denorm_mode_16_64 3
		.amdhsa_dx10_clamp 1
		.amdhsa_ieee_mode 1
		.amdhsa_fp16_overflow 0
		.amdhsa_tg_split 0
		.amdhsa_exception_fp_ieee_invalid_op 0
		.amdhsa_exception_fp_denorm_src 0
		.amdhsa_exception_fp_ieee_div_zero 0
		.amdhsa_exception_fp_ieee_overflow 0
		.amdhsa_exception_fp_ieee_underflow 0
		.amdhsa_exception_fp_ieee_inexact 0
		.amdhsa_exception_int_div_zero 0
	.end_amdhsa_kernel
	.section	.text._ZN7rocprim17ROCPRIM_400000_NS6detail17trampoline_kernelINS0_14default_configENS1_35radix_sort_onesweep_config_selectorIbiEEZZNS1_29radix_sort_onesweep_iterationIS3_Lb1EN6thrust23THRUST_200600_302600_NS6detail15normal_iteratorINS8_10device_ptrIbEEEESD_NSA_INSB_IiEEEESF_jNS0_19identity_decomposerENS1_16block_id_wrapperIjLb0EEEEE10hipError_tT1_PNSt15iterator_traitsISK_E10value_typeET2_T3_PNSL_ISQ_E10value_typeET4_T5_PSV_SW_PNS1_23onesweep_lookback_stateEbbT6_jjT7_P12ihipStream_tbENKUlT_T0_SK_SP_E_clISD_PbSF_PiEEDaS13_S14_SK_SP_EUlS13_E_NS1_11comp_targetILNS1_3genE3ELNS1_11target_archE908ELNS1_3gpuE7ELNS1_3repE0EEENS1_47radix_sort_onesweep_sort_config_static_selectorELNS0_4arch9wavefront6targetE1EEEvSK_,"axG",@progbits,_ZN7rocprim17ROCPRIM_400000_NS6detail17trampoline_kernelINS0_14default_configENS1_35radix_sort_onesweep_config_selectorIbiEEZZNS1_29radix_sort_onesweep_iterationIS3_Lb1EN6thrust23THRUST_200600_302600_NS6detail15normal_iteratorINS8_10device_ptrIbEEEESD_NSA_INSB_IiEEEESF_jNS0_19identity_decomposerENS1_16block_id_wrapperIjLb0EEEEE10hipError_tT1_PNSt15iterator_traitsISK_E10value_typeET2_T3_PNSL_ISQ_E10value_typeET4_T5_PSV_SW_PNS1_23onesweep_lookback_stateEbbT6_jjT7_P12ihipStream_tbENKUlT_T0_SK_SP_E_clISD_PbSF_PiEEDaS13_S14_SK_SP_EUlS13_E_NS1_11comp_targetILNS1_3genE3ELNS1_11target_archE908ELNS1_3gpuE7ELNS1_3repE0EEENS1_47radix_sort_onesweep_sort_config_static_selectorELNS0_4arch9wavefront6targetE1EEEvSK_,comdat
.Lfunc_end2259:
	.size	_ZN7rocprim17ROCPRIM_400000_NS6detail17trampoline_kernelINS0_14default_configENS1_35radix_sort_onesweep_config_selectorIbiEEZZNS1_29radix_sort_onesweep_iterationIS3_Lb1EN6thrust23THRUST_200600_302600_NS6detail15normal_iteratorINS8_10device_ptrIbEEEESD_NSA_INSB_IiEEEESF_jNS0_19identity_decomposerENS1_16block_id_wrapperIjLb0EEEEE10hipError_tT1_PNSt15iterator_traitsISK_E10value_typeET2_T3_PNSL_ISQ_E10value_typeET4_T5_PSV_SW_PNS1_23onesweep_lookback_stateEbbT6_jjT7_P12ihipStream_tbENKUlT_T0_SK_SP_E_clISD_PbSF_PiEEDaS13_S14_SK_SP_EUlS13_E_NS1_11comp_targetILNS1_3genE3ELNS1_11target_archE908ELNS1_3gpuE7ELNS1_3repE0EEENS1_47radix_sort_onesweep_sort_config_static_selectorELNS0_4arch9wavefront6targetE1EEEvSK_, .Lfunc_end2259-_ZN7rocprim17ROCPRIM_400000_NS6detail17trampoline_kernelINS0_14default_configENS1_35radix_sort_onesweep_config_selectorIbiEEZZNS1_29radix_sort_onesweep_iterationIS3_Lb1EN6thrust23THRUST_200600_302600_NS6detail15normal_iteratorINS8_10device_ptrIbEEEESD_NSA_INSB_IiEEEESF_jNS0_19identity_decomposerENS1_16block_id_wrapperIjLb0EEEEE10hipError_tT1_PNSt15iterator_traitsISK_E10value_typeET2_T3_PNSL_ISQ_E10value_typeET4_T5_PSV_SW_PNS1_23onesweep_lookback_stateEbbT6_jjT7_P12ihipStream_tbENKUlT_T0_SK_SP_E_clISD_PbSF_PiEEDaS13_S14_SK_SP_EUlS13_E_NS1_11comp_targetILNS1_3genE3ELNS1_11target_archE908ELNS1_3gpuE7ELNS1_3repE0EEENS1_47radix_sort_onesweep_sort_config_static_selectorELNS0_4arch9wavefront6targetE1EEEvSK_
                                        ; -- End function
	.set _ZN7rocprim17ROCPRIM_400000_NS6detail17trampoline_kernelINS0_14default_configENS1_35radix_sort_onesweep_config_selectorIbiEEZZNS1_29radix_sort_onesweep_iterationIS3_Lb1EN6thrust23THRUST_200600_302600_NS6detail15normal_iteratorINS8_10device_ptrIbEEEESD_NSA_INSB_IiEEEESF_jNS0_19identity_decomposerENS1_16block_id_wrapperIjLb0EEEEE10hipError_tT1_PNSt15iterator_traitsISK_E10value_typeET2_T3_PNSL_ISQ_E10value_typeET4_T5_PSV_SW_PNS1_23onesweep_lookback_stateEbbT6_jjT7_P12ihipStream_tbENKUlT_T0_SK_SP_E_clISD_PbSF_PiEEDaS13_S14_SK_SP_EUlS13_E_NS1_11comp_targetILNS1_3genE3ELNS1_11target_archE908ELNS1_3gpuE7ELNS1_3repE0EEENS1_47radix_sort_onesweep_sort_config_static_selectorELNS0_4arch9wavefront6targetE1EEEvSK_.num_vgpr, 0
	.set _ZN7rocprim17ROCPRIM_400000_NS6detail17trampoline_kernelINS0_14default_configENS1_35radix_sort_onesweep_config_selectorIbiEEZZNS1_29radix_sort_onesweep_iterationIS3_Lb1EN6thrust23THRUST_200600_302600_NS6detail15normal_iteratorINS8_10device_ptrIbEEEESD_NSA_INSB_IiEEEESF_jNS0_19identity_decomposerENS1_16block_id_wrapperIjLb0EEEEE10hipError_tT1_PNSt15iterator_traitsISK_E10value_typeET2_T3_PNSL_ISQ_E10value_typeET4_T5_PSV_SW_PNS1_23onesweep_lookback_stateEbbT6_jjT7_P12ihipStream_tbENKUlT_T0_SK_SP_E_clISD_PbSF_PiEEDaS13_S14_SK_SP_EUlS13_E_NS1_11comp_targetILNS1_3genE3ELNS1_11target_archE908ELNS1_3gpuE7ELNS1_3repE0EEENS1_47radix_sort_onesweep_sort_config_static_selectorELNS0_4arch9wavefront6targetE1EEEvSK_.num_agpr, 0
	.set _ZN7rocprim17ROCPRIM_400000_NS6detail17trampoline_kernelINS0_14default_configENS1_35radix_sort_onesweep_config_selectorIbiEEZZNS1_29radix_sort_onesweep_iterationIS3_Lb1EN6thrust23THRUST_200600_302600_NS6detail15normal_iteratorINS8_10device_ptrIbEEEESD_NSA_INSB_IiEEEESF_jNS0_19identity_decomposerENS1_16block_id_wrapperIjLb0EEEEE10hipError_tT1_PNSt15iterator_traitsISK_E10value_typeET2_T3_PNSL_ISQ_E10value_typeET4_T5_PSV_SW_PNS1_23onesweep_lookback_stateEbbT6_jjT7_P12ihipStream_tbENKUlT_T0_SK_SP_E_clISD_PbSF_PiEEDaS13_S14_SK_SP_EUlS13_E_NS1_11comp_targetILNS1_3genE3ELNS1_11target_archE908ELNS1_3gpuE7ELNS1_3repE0EEENS1_47radix_sort_onesweep_sort_config_static_selectorELNS0_4arch9wavefront6targetE1EEEvSK_.numbered_sgpr, 0
	.set _ZN7rocprim17ROCPRIM_400000_NS6detail17trampoline_kernelINS0_14default_configENS1_35radix_sort_onesweep_config_selectorIbiEEZZNS1_29radix_sort_onesweep_iterationIS3_Lb1EN6thrust23THRUST_200600_302600_NS6detail15normal_iteratorINS8_10device_ptrIbEEEESD_NSA_INSB_IiEEEESF_jNS0_19identity_decomposerENS1_16block_id_wrapperIjLb0EEEEE10hipError_tT1_PNSt15iterator_traitsISK_E10value_typeET2_T3_PNSL_ISQ_E10value_typeET4_T5_PSV_SW_PNS1_23onesweep_lookback_stateEbbT6_jjT7_P12ihipStream_tbENKUlT_T0_SK_SP_E_clISD_PbSF_PiEEDaS13_S14_SK_SP_EUlS13_E_NS1_11comp_targetILNS1_3genE3ELNS1_11target_archE908ELNS1_3gpuE7ELNS1_3repE0EEENS1_47radix_sort_onesweep_sort_config_static_selectorELNS0_4arch9wavefront6targetE1EEEvSK_.num_named_barrier, 0
	.set _ZN7rocprim17ROCPRIM_400000_NS6detail17trampoline_kernelINS0_14default_configENS1_35radix_sort_onesweep_config_selectorIbiEEZZNS1_29radix_sort_onesweep_iterationIS3_Lb1EN6thrust23THRUST_200600_302600_NS6detail15normal_iteratorINS8_10device_ptrIbEEEESD_NSA_INSB_IiEEEESF_jNS0_19identity_decomposerENS1_16block_id_wrapperIjLb0EEEEE10hipError_tT1_PNSt15iterator_traitsISK_E10value_typeET2_T3_PNSL_ISQ_E10value_typeET4_T5_PSV_SW_PNS1_23onesweep_lookback_stateEbbT6_jjT7_P12ihipStream_tbENKUlT_T0_SK_SP_E_clISD_PbSF_PiEEDaS13_S14_SK_SP_EUlS13_E_NS1_11comp_targetILNS1_3genE3ELNS1_11target_archE908ELNS1_3gpuE7ELNS1_3repE0EEENS1_47radix_sort_onesweep_sort_config_static_selectorELNS0_4arch9wavefront6targetE1EEEvSK_.private_seg_size, 0
	.set _ZN7rocprim17ROCPRIM_400000_NS6detail17trampoline_kernelINS0_14default_configENS1_35radix_sort_onesweep_config_selectorIbiEEZZNS1_29radix_sort_onesweep_iterationIS3_Lb1EN6thrust23THRUST_200600_302600_NS6detail15normal_iteratorINS8_10device_ptrIbEEEESD_NSA_INSB_IiEEEESF_jNS0_19identity_decomposerENS1_16block_id_wrapperIjLb0EEEEE10hipError_tT1_PNSt15iterator_traitsISK_E10value_typeET2_T3_PNSL_ISQ_E10value_typeET4_T5_PSV_SW_PNS1_23onesweep_lookback_stateEbbT6_jjT7_P12ihipStream_tbENKUlT_T0_SK_SP_E_clISD_PbSF_PiEEDaS13_S14_SK_SP_EUlS13_E_NS1_11comp_targetILNS1_3genE3ELNS1_11target_archE908ELNS1_3gpuE7ELNS1_3repE0EEENS1_47radix_sort_onesweep_sort_config_static_selectorELNS0_4arch9wavefront6targetE1EEEvSK_.uses_vcc, 0
	.set _ZN7rocprim17ROCPRIM_400000_NS6detail17trampoline_kernelINS0_14default_configENS1_35radix_sort_onesweep_config_selectorIbiEEZZNS1_29radix_sort_onesweep_iterationIS3_Lb1EN6thrust23THRUST_200600_302600_NS6detail15normal_iteratorINS8_10device_ptrIbEEEESD_NSA_INSB_IiEEEESF_jNS0_19identity_decomposerENS1_16block_id_wrapperIjLb0EEEEE10hipError_tT1_PNSt15iterator_traitsISK_E10value_typeET2_T3_PNSL_ISQ_E10value_typeET4_T5_PSV_SW_PNS1_23onesweep_lookback_stateEbbT6_jjT7_P12ihipStream_tbENKUlT_T0_SK_SP_E_clISD_PbSF_PiEEDaS13_S14_SK_SP_EUlS13_E_NS1_11comp_targetILNS1_3genE3ELNS1_11target_archE908ELNS1_3gpuE7ELNS1_3repE0EEENS1_47radix_sort_onesweep_sort_config_static_selectorELNS0_4arch9wavefront6targetE1EEEvSK_.uses_flat_scratch, 0
	.set _ZN7rocprim17ROCPRIM_400000_NS6detail17trampoline_kernelINS0_14default_configENS1_35radix_sort_onesweep_config_selectorIbiEEZZNS1_29radix_sort_onesweep_iterationIS3_Lb1EN6thrust23THRUST_200600_302600_NS6detail15normal_iteratorINS8_10device_ptrIbEEEESD_NSA_INSB_IiEEEESF_jNS0_19identity_decomposerENS1_16block_id_wrapperIjLb0EEEEE10hipError_tT1_PNSt15iterator_traitsISK_E10value_typeET2_T3_PNSL_ISQ_E10value_typeET4_T5_PSV_SW_PNS1_23onesweep_lookback_stateEbbT6_jjT7_P12ihipStream_tbENKUlT_T0_SK_SP_E_clISD_PbSF_PiEEDaS13_S14_SK_SP_EUlS13_E_NS1_11comp_targetILNS1_3genE3ELNS1_11target_archE908ELNS1_3gpuE7ELNS1_3repE0EEENS1_47radix_sort_onesweep_sort_config_static_selectorELNS0_4arch9wavefront6targetE1EEEvSK_.has_dyn_sized_stack, 0
	.set _ZN7rocprim17ROCPRIM_400000_NS6detail17trampoline_kernelINS0_14default_configENS1_35radix_sort_onesweep_config_selectorIbiEEZZNS1_29radix_sort_onesweep_iterationIS3_Lb1EN6thrust23THRUST_200600_302600_NS6detail15normal_iteratorINS8_10device_ptrIbEEEESD_NSA_INSB_IiEEEESF_jNS0_19identity_decomposerENS1_16block_id_wrapperIjLb0EEEEE10hipError_tT1_PNSt15iterator_traitsISK_E10value_typeET2_T3_PNSL_ISQ_E10value_typeET4_T5_PSV_SW_PNS1_23onesweep_lookback_stateEbbT6_jjT7_P12ihipStream_tbENKUlT_T0_SK_SP_E_clISD_PbSF_PiEEDaS13_S14_SK_SP_EUlS13_E_NS1_11comp_targetILNS1_3genE3ELNS1_11target_archE908ELNS1_3gpuE7ELNS1_3repE0EEENS1_47radix_sort_onesweep_sort_config_static_selectorELNS0_4arch9wavefront6targetE1EEEvSK_.has_recursion, 0
	.set _ZN7rocprim17ROCPRIM_400000_NS6detail17trampoline_kernelINS0_14default_configENS1_35radix_sort_onesweep_config_selectorIbiEEZZNS1_29radix_sort_onesweep_iterationIS3_Lb1EN6thrust23THRUST_200600_302600_NS6detail15normal_iteratorINS8_10device_ptrIbEEEESD_NSA_INSB_IiEEEESF_jNS0_19identity_decomposerENS1_16block_id_wrapperIjLb0EEEEE10hipError_tT1_PNSt15iterator_traitsISK_E10value_typeET2_T3_PNSL_ISQ_E10value_typeET4_T5_PSV_SW_PNS1_23onesweep_lookback_stateEbbT6_jjT7_P12ihipStream_tbENKUlT_T0_SK_SP_E_clISD_PbSF_PiEEDaS13_S14_SK_SP_EUlS13_E_NS1_11comp_targetILNS1_3genE3ELNS1_11target_archE908ELNS1_3gpuE7ELNS1_3repE0EEENS1_47radix_sort_onesweep_sort_config_static_selectorELNS0_4arch9wavefront6targetE1EEEvSK_.has_indirect_call, 0
	.section	.AMDGPU.csdata,"",@progbits
; Kernel info:
; codeLenInByte = 0
; TotalNumSgprs: 6
; NumVgprs: 0
; NumAgprs: 0
; TotalNumVgprs: 0
; ScratchSize: 0
; MemoryBound: 0
; FloatMode: 240
; IeeeMode: 1
; LDSByteSize: 0 bytes/workgroup (compile time only)
; SGPRBlocks: 0
; VGPRBlocks: 0
; NumSGPRsForWavesPerEU: 6
; NumVGPRsForWavesPerEU: 1
; AccumOffset: 4
; Occupancy: 8
; WaveLimiterHint : 0
; COMPUTE_PGM_RSRC2:SCRATCH_EN: 0
; COMPUTE_PGM_RSRC2:USER_SGPR: 2
; COMPUTE_PGM_RSRC2:TRAP_HANDLER: 0
; COMPUTE_PGM_RSRC2:TGID_X_EN: 1
; COMPUTE_PGM_RSRC2:TGID_Y_EN: 0
; COMPUTE_PGM_RSRC2:TGID_Z_EN: 0
; COMPUTE_PGM_RSRC2:TIDIG_COMP_CNT: 0
; COMPUTE_PGM_RSRC3_GFX90A:ACCUM_OFFSET: 0
; COMPUTE_PGM_RSRC3_GFX90A:TG_SPLIT: 0
	.section	.text._ZN7rocprim17ROCPRIM_400000_NS6detail17trampoline_kernelINS0_14default_configENS1_35radix_sort_onesweep_config_selectorIbiEEZZNS1_29radix_sort_onesweep_iterationIS3_Lb1EN6thrust23THRUST_200600_302600_NS6detail15normal_iteratorINS8_10device_ptrIbEEEESD_NSA_INSB_IiEEEESF_jNS0_19identity_decomposerENS1_16block_id_wrapperIjLb0EEEEE10hipError_tT1_PNSt15iterator_traitsISK_E10value_typeET2_T3_PNSL_ISQ_E10value_typeET4_T5_PSV_SW_PNS1_23onesweep_lookback_stateEbbT6_jjT7_P12ihipStream_tbENKUlT_T0_SK_SP_E_clISD_PbSF_PiEEDaS13_S14_SK_SP_EUlS13_E_NS1_11comp_targetILNS1_3genE10ELNS1_11target_archE1201ELNS1_3gpuE5ELNS1_3repE0EEENS1_47radix_sort_onesweep_sort_config_static_selectorELNS0_4arch9wavefront6targetE1EEEvSK_,"axG",@progbits,_ZN7rocprim17ROCPRIM_400000_NS6detail17trampoline_kernelINS0_14default_configENS1_35radix_sort_onesweep_config_selectorIbiEEZZNS1_29radix_sort_onesweep_iterationIS3_Lb1EN6thrust23THRUST_200600_302600_NS6detail15normal_iteratorINS8_10device_ptrIbEEEESD_NSA_INSB_IiEEEESF_jNS0_19identity_decomposerENS1_16block_id_wrapperIjLb0EEEEE10hipError_tT1_PNSt15iterator_traitsISK_E10value_typeET2_T3_PNSL_ISQ_E10value_typeET4_T5_PSV_SW_PNS1_23onesweep_lookback_stateEbbT6_jjT7_P12ihipStream_tbENKUlT_T0_SK_SP_E_clISD_PbSF_PiEEDaS13_S14_SK_SP_EUlS13_E_NS1_11comp_targetILNS1_3genE10ELNS1_11target_archE1201ELNS1_3gpuE5ELNS1_3repE0EEENS1_47radix_sort_onesweep_sort_config_static_selectorELNS0_4arch9wavefront6targetE1EEEvSK_,comdat
	.protected	_ZN7rocprim17ROCPRIM_400000_NS6detail17trampoline_kernelINS0_14default_configENS1_35radix_sort_onesweep_config_selectorIbiEEZZNS1_29radix_sort_onesweep_iterationIS3_Lb1EN6thrust23THRUST_200600_302600_NS6detail15normal_iteratorINS8_10device_ptrIbEEEESD_NSA_INSB_IiEEEESF_jNS0_19identity_decomposerENS1_16block_id_wrapperIjLb0EEEEE10hipError_tT1_PNSt15iterator_traitsISK_E10value_typeET2_T3_PNSL_ISQ_E10value_typeET4_T5_PSV_SW_PNS1_23onesweep_lookback_stateEbbT6_jjT7_P12ihipStream_tbENKUlT_T0_SK_SP_E_clISD_PbSF_PiEEDaS13_S14_SK_SP_EUlS13_E_NS1_11comp_targetILNS1_3genE10ELNS1_11target_archE1201ELNS1_3gpuE5ELNS1_3repE0EEENS1_47radix_sort_onesweep_sort_config_static_selectorELNS0_4arch9wavefront6targetE1EEEvSK_ ; -- Begin function _ZN7rocprim17ROCPRIM_400000_NS6detail17trampoline_kernelINS0_14default_configENS1_35radix_sort_onesweep_config_selectorIbiEEZZNS1_29radix_sort_onesweep_iterationIS3_Lb1EN6thrust23THRUST_200600_302600_NS6detail15normal_iteratorINS8_10device_ptrIbEEEESD_NSA_INSB_IiEEEESF_jNS0_19identity_decomposerENS1_16block_id_wrapperIjLb0EEEEE10hipError_tT1_PNSt15iterator_traitsISK_E10value_typeET2_T3_PNSL_ISQ_E10value_typeET4_T5_PSV_SW_PNS1_23onesweep_lookback_stateEbbT6_jjT7_P12ihipStream_tbENKUlT_T0_SK_SP_E_clISD_PbSF_PiEEDaS13_S14_SK_SP_EUlS13_E_NS1_11comp_targetILNS1_3genE10ELNS1_11target_archE1201ELNS1_3gpuE5ELNS1_3repE0EEENS1_47radix_sort_onesweep_sort_config_static_selectorELNS0_4arch9wavefront6targetE1EEEvSK_
	.globl	_ZN7rocprim17ROCPRIM_400000_NS6detail17trampoline_kernelINS0_14default_configENS1_35radix_sort_onesweep_config_selectorIbiEEZZNS1_29radix_sort_onesweep_iterationIS3_Lb1EN6thrust23THRUST_200600_302600_NS6detail15normal_iteratorINS8_10device_ptrIbEEEESD_NSA_INSB_IiEEEESF_jNS0_19identity_decomposerENS1_16block_id_wrapperIjLb0EEEEE10hipError_tT1_PNSt15iterator_traitsISK_E10value_typeET2_T3_PNSL_ISQ_E10value_typeET4_T5_PSV_SW_PNS1_23onesweep_lookback_stateEbbT6_jjT7_P12ihipStream_tbENKUlT_T0_SK_SP_E_clISD_PbSF_PiEEDaS13_S14_SK_SP_EUlS13_E_NS1_11comp_targetILNS1_3genE10ELNS1_11target_archE1201ELNS1_3gpuE5ELNS1_3repE0EEENS1_47radix_sort_onesweep_sort_config_static_selectorELNS0_4arch9wavefront6targetE1EEEvSK_
	.p2align	8
	.type	_ZN7rocprim17ROCPRIM_400000_NS6detail17trampoline_kernelINS0_14default_configENS1_35radix_sort_onesweep_config_selectorIbiEEZZNS1_29radix_sort_onesweep_iterationIS3_Lb1EN6thrust23THRUST_200600_302600_NS6detail15normal_iteratorINS8_10device_ptrIbEEEESD_NSA_INSB_IiEEEESF_jNS0_19identity_decomposerENS1_16block_id_wrapperIjLb0EEEEE10hipError_tT1_PNSt15iterator_traitsISK_E10value_typeET2_T3_PNSL_ISQ_E10value_typeET4_T5_PSV_SW_PNS1_23onesweep_lookback_stateEbbT6_jjT7_P12ihipStream_tbENKUlT_T0_SK_SP_E_clISD_PbSF_PiEEDaS13_S14_SK_SP_EUlS13_E_NS1_11comp_targetILNS1_3genE10ELNS1_11target_archE1201ELNS1_3gpuE5ELNS1_3repE0EEENS1_47radix_sort_onesweep_sort_config_static_selectorELNS0_4arch9wavefront6targetE1EEEvSK_,@function
_ZN7rocprim17ROCPRIM_400000_NS6detail17trampoline_kernelINS0_14default_configENS1_35radix_sort_onesweep_config_selectorIbiEEZZNS1_29radix_sort_onesweep_iterationIS3_Lb1EN6thrust23THRUST_200600_302600_NS6detail15normal_iteratorINS8_10device_ptrIbEEEESD_NSA_INSB_IiEEEESF_jNS0_19identity_decomposerENS1_16block_id_wrapperIjLb0EEEEE10hipError_tT1_PNSt15iterator_traitsISK_E10value_typeET2_T3_PNSL_ISQ_E10value_typeET4_T5_PSV_SW_PNS1_23onesweep_lookback_stateEbbT6_jjT7_P12ihipStream_tbENKUlT_T0_SK_SP_E_clISD_PbSF_PiEEDaS13_S14_SK_SP_EUlS13_E_NS1_11comp_targetILNS1_3genE10ELNS1_11target_archE1201ELNS1_3gpuE5ELNS1_3repE0EEENS1_47radix_sort_onesweep_sort_config_static_selectorELNS0_4arch9wavefront6targetE1EEEvSK_: ; @_ZN7rocprim17ROCPRIM_400000_NS6detail17trampoline_kernelINS0_14default_configENS1_35radix_sort_onesweep_config_selectorIbiEEZZNS1_29radix_sort_onesweep_iterationIS3_Lb1EN6thrust23THRUST_200600_302600_NS6detail15normal_iteratorINS8_10device_ptrIbEEEESD_NSA_INSB_IiEEEESF_jNS0_19identity_decomposerENS1_16block_id_wrapperIjLb0EEEEE10hipError_tT1_PNSt15iterator_traitsISK_E10value_typeET2_T3_PNSL_ISQ_E10value_typeET4_T5_PSV_SW_PNS1_23onesweep_lookback_stateEbbT6_jjT7_P12ihipStream_tbENKUlT_T0_SK_SP_E_clISD_PbSF_PiEEDaS13_S14_SK_SP_EUlS13_E_NS1_11comp_targetILNS1_3genE10ELNS1_11target_archE1201ELNS1_3gpuE5ELNS1_3repE0EEENS1_47radix_sort_onesweep_sort_config_static_selectorELNS0_4arch9wavefront6targetE1EEEvSK_
; %bb.0:
	.section	.rodata,"a",@progbits
	.p2align	6, 0x0
	.amdhsa_kernel _ZN7rocprim17ROCPRIM_400000_NS6detail17trampoline_kernelINS0_14default_configENS1_35radix_sort_onesweep_config_selectorIbiEEZZNS1_29radix_sort_onesweep_iterationIS3_Lb1EN6thrust23THRUST_200600_302600_NS6detail15normal_iteratorINS8_10device_ptrIbEEEESD_NSA_INSB_IiEEEESF_jNS0_19identity_decomposerENS1_16block_id_wrapperIjLb0EEEEE10hipError_tT1_PNSt15iterator_traitsISK_E10value_typeET2_T3_PNSL_ISQ_E10value_typeET4_T5_PSV_SW_PNS1_23onesweep_lookback_stateEbbT6_jjT7_P12ihipStream_tbENKUlT_T0_SK_SP_E_clISD_PbSF_PiEEDaS13_S14_SK_SP_EUlS13_E_NS1_11comp_targetILNS1_3genE10ELNS1_11target_archE1201ELNS1_3gpuE5ELNS1_3repE0EEENS1_47radix_sort_onesweep_sort_config_static_selectorELNS0_4arch9wavefront6targetE1EEEvSK_
		.amdhsa_group_segment_fixed_size 0
		.amdhsa_private_segment_fixed_size 0
		.amdhsa_kernarg_size 88
		.amdhsa_user_sgpr_count 2
		.amdhsa_user_sgpr_dispatch_ptr 0
		.amdhsa_user_sgpr_queue_ptr 0
		.amdhsa_user_sgpr_kernarg_segment_ptr 1
		.amdhsa_user_sgpr_dispatch_id 0
		.amdhsa_user_sgpr_kernarg_preload_length 0
		.amdhsa_user_sgpr_kernarg_preload_offset 0
		.amdhsa_user_sgpr_private_segment_size 0
		.amdhsa_uses_dynamic_stack 0
		.amdhsa_enable_private_segment 0
		.amdhsa_system_sgpr_workgroup_id_x 1
		.amdhsa_system_sgpr_workgroup_id_y 0
		.amdhsa_system_sgpr_workgroup_id_z 0
		.amdhsa_system_sgpr_workgroup_info 0
		.amdhsa_system_vgpr_workitem_id 0
		.amdhsa_next_free_vgpr 1
		.amdhsa_next_free_sgpr 0
		.amdhsa_accum_offset 4
		.amdhsa_reserve_vcc 0
		.amdhsa_float_round_mode_32 0
		.amdhsa_float_round_mode_16_64 0
		.amdhsa_float_denorm_mode_32 3
		.amdhsa_float_denorm_mode_16_64 3
		.amdhsa_dx10_clamp 1
		.amdhsa_ieee_mode 1
		.amdhsa_fp16_overflow 0
		.amdhsa_tg_split 0
		.amdhsa_exception_fp_ieee_invalid_op 0
		.amdhsa_exception_fp_denorm_src 0
		.amdhsa_exception_fp_ieee_div_zero 0
		.amdhsa_exception_fp_ieee_overflow 0
		.amdhsa_exception_fp_ieee_underflow 0
		.amdhsa_exception_fp_ieee_inexact 0
		.amdhsa_exception_int_div_zero 0
	.end_amdhsa_kernel
	.section	.text._ZN7rocprim17ROCPRIM_400000_NS6detail17trampoline_kernelINS0_14default_configENS1_35radix_sort_onesweep_config_selectorIbiEEZZNS1_29radix_sort_onesweep_iterationIS3_Lb1EN6thrust23THRUST_200600_302600_NS6detail15normal_iteratorINS8_10device_ptrIbEEEESD_NSA_INSB_IiEEEESF_jNS0_19identity_decomposerENS1_16block_id_wrapperIjLb0EEEEE10hipError_tT1_PNSt15iterator_traitsISK_E10value_typeET2_T3_PNSL_ISQ_E10value_typeET4_T5_PSV_SW_PNS1_23onesweep_lookback_stateEbbT6_jjT7_P12ihipStream_tbENKUlT_T0_SK_SP_E_clISD_PbSF_PiEEDaS13_S14_SK_SP_EUlS13_E_NS1_11comp_targetILNS1_3genE10ELNS1_11target_archE1201ELNS1_3gpuE5ELNS1_3repE0EEENS1_47radix_sort_onesweep_sort_config_static_selectorELNS0_4arch9wavefront6targetE1EEEvSK_,"axG",@progbits,_ZN7rocprim17ROCPRIM_400000_NS6detail17trampoline_kernelINS0_14default_configENS1_35radix_sort_onesweep_config_selectorIbiEEZZNS1_29radix_sort_onesweep_iterationIS3_Lb1EN6thrust23THRUST_200600_302600_NS6detail15normal_iteratorINS8_10device_ptrIbEEEESD_NSA_INSB_IiEEEESF_jNS0_19identity_decomposerENS1_16block_id_wrapperIjLb0EEEEE10hipError_tT1_PNSt15iterator_traitsISK_E10value_typeET2_T3_PNSL_ISQ_E10value_typeET4_T5_PSV_SW_PNS1_23onesweep_lookback_stateEbbT6_jjT7_P12ihipStream_tbENKUlT_T0_SK_SP_E_clISD_PbSF_PiEEDaS13_S14_SK_SP_EUlS13_E_NS1_11comp_targetILNS1_3genE10ELNS1_11target_archE1201ELNS1_3gpuE5ELNS1_3repE0EEENS1_47radix_sort_onesweep_sort_config_static_selectorELNS0_4arch9wavefront6targetE1EEEvSK_,comdat
.Lfunc_end2260:
	.size	_ZN7rocprim17ROCPRIM_400000_NS6detail17trampoline_kernelINS0_14default_configENS1_35radix_sort_onesweep_config_selectorIbiEEZZNS1_29radix_sort_onesweep_iterationIS3_Lb1EN6thrust23THRUST_200600_302600_NS6detail15normal_iteratorINS8_10device_ptrIbEEEESD_NSA_INSB_IiEEEESF_jNS0_19identity_decomposerENS1_16block_id_wrapperIjLb0EEEEE10hipError_tT1_PNSt15iterator_traitsISK_E10value_typeET2_T3_PNSL_ISQ_E10value_typeET4_T5_PSV_SW_PNS1_23onesweep_lookback_stateEbbT6_jjT7_P12ihipStream_tbENKUlT_T0_SK_SP_E_clISD_PbSF_PiEEDaS13_S14_SK_SP_EUlS13_E_NS1_11comp_targetILNS1_3genE10ELNS1_11target_archE1201ELNS1_3gpuE5ELNS1_3repE0EEENS1_47radix_sort_onesweep_sort_config_static_selectorELNS0_4arch9wavefront6targetE1EEEvSK_, .Lfunc_end2260-_ZN7rocprim17ROCPRIM_400000_NS6detail17trampoline_kernelINS0_14default_configENS1_35radix_sort_onesweep_config_selectorIbiEEZZNS1_29radix_sort_onesweep_iterationIS3_Lb1EN6thrust23THRUST_200600_302600_NS6detail15normal_iteratorINS8_10device_ptrIbEEEESD_NSA_INSB_IiEEEESF_jNS0_19identity_decomposerENS1_16block_id_wrapperIjLb0EEEEE10hipError_tT1_PNSt15iterator_traitsISK_E10value_typeET2_T3_PNSL_ISQ_E10value_typeET4_T5_PSV_SW_PNS1_23onesweep_lookback_stateEbbT6_jjT7_P12ihipStream_tbENKUlT_T0_SK_SP_E_clISD_PbSF_PiEEDaS13_S14_SK_SP_EUlS13_E_NS1_11comp_targetILNS1_3genE10ELNS1_11target_archE1201ELNS1_3gpuE5ELNS1_3repE0EEENS1_47radix_sort_onesweep_sort_config_static_selectorELNS0_4arch9wavefront6targetE1EEEvSK_
                                        ; -- End function
	.set _ZN7rocprim17ROCPRIM_400000_NS6detail17trampoline_kernelINS0_14default_configENS1_35radix_sort_onesweep_config_selectorIbiEEZZNS1_29radix_sort_onesweep_iterationIS3_Lb1EN6thrust23THRUST_200600_302600_NS6detail15normal_iteratorINS8_10device_ptrIbEEEESD_NSA_INSB_IiEEEESF_jNS0_19identity_decomposerENS1_16block_id_wrapperIjLb0EEEEE10hipError_tT1_PNSt15iterator_traitsISK_E10value_typeET2_T3_PNSL_ISQ_E10value_typeET4_T5_PSV_SW_PNS1_23onesweep_lookback_stateEbbT6_jjT7_P12ihipStream_tbENKUlT_T0_SK_SP_E_clISD_PbSF_PiEEDaS13_S14_SK_SP_EUlS13_E_NS1_11comp_targetILNS1_3genE10ELNS1_11target_archE1201ELNS1_3gpuE5ELNS1_3repE0EEENS1_47radix_sort_onesweep_sort_config_static_selectorELNS0_4arch9wavefront6targetE1EEEvSK_.num_vgpr, 0
	.set _ZN7rocprim17ROCPRIM_400000_NS6detail17trampoline_kernelINS0_14default_configENS1_35radix_sort_onesweep_config_selectorIbiEEZZNS1_29radix_sort_onesweep_iterationIS3_Lb1EN6thrust23THRUST_200600_302600_NS6detail15normal_iteratorINS8_10device_ptrIbEEEESD_NSA_INSB_IiEEEESF_jNS0_19identity_decomposerENS1_16block_id_wrapperIjLb0EEEEE10hipError_tT1_PNSt15iterator_traitsISK_E10value_typeET2_T3_PNSL_ISQ_E10value_typeET4_T5_PSV_SW_PNS1_23onesweep_lookback_stateEbbT6_jjT7_P12ihipStream_tbENKUlT_T0_SK_SP_E_clISD_PbSF_PiEEDaS13_S14_SK_SP_EUlS13_E_NS1_11comp_targetILNS1_3genE10ELNS1_11target_archE1201ELNS1_3gpuE5ELNS1_3repE0EEENS1_47radix_sort_onesweep_sort_config_static_selectorELNS0_4arch9wavefront6targetE1EEEvSK_.num_agpr, 0
	.set _ZN7rocprim17ROCPRIM_400000_NS6detail17trampoline_kernelINS0_14default_configENS1_35radix_sort_onesweep_config_selectorIbiEEZZNS1_29radix_sort_onesweep_iterationIS3_Lb1EN6thrust23THRUST_200600_302600_NS6detail15normal_iteratorINS8_10device_ptrIbEEEESD_NSA_INSB_IiEEEESF_jNS0_19identity_decomposerENS1_16block_id_wrapperIjLb0EEEEE10hipError_tT1_PNSt15iterator_traitsISK_E10value_typeET2_T3_PNSL_ISQ_E10value_typeET4_T5_PSV_SW_PNS1_23onesweep_lookback_stateEbbT6_jjT7_P12ihipStream_tbENKUlT_T0_SK_SP_E_clISD_PbSF_PiEEDaS13_S14_SK_SP_EUlS13_E_NS1_11comp_targetILNS1_3genE10ELNS1_11target_archE1201ELNS1_3gpuE5ELNS1_3repE0EEENS1_47radix_sort_onesweep_sort_config_static_selectorELNS0_4arch9wavefront6targetE1EEEvSK_.numbered_sgpr, 0
	.set _ZN7rocprim17ROCPRIM_400000_NS6detail17trampoline_kernelINS0_14default_configENS1_35radix_sort_onesweep_config_selectorIbiEEZZNS1_29radix_sort_onesweep_iterationIS3_Lb1EN6thrust23THRUST_200600_302600_NS6detail15normal_iteratorINS8_10device_ptrIbEEEESD_NSA_INSB_IiEEEESF_jNS0_19identity_decomposerENS1_16block_id_wrapperIjLb0EEEEE10hipError_tT1_PNSt15iterator_traitsISK_E10value_typeET2_T3_PNSL_ISQ_E10value_typeET4_T5_PSV_SW_PNS1_23onesweep_lookback_stateEbbT6_jjT7_P12ihipStream_tbENKUlT_T0_SK_SP_E_clISD_PbSF_PiEEDaS13_S14_SK_SP_EUlS13_E_NS1_11comp_targetILNS1_3genE10ELNS1_11target_archE1201ELNS1_3gpuE5ELNS1_3repE0EEENS1_47radix_sort_onesweep_sort_config_static_selectorELNS0_4arch9wavefront6targetE1EEEvSK_.num_named_barrier, 0
	.set _ZN7rocprim17ROCPRIM_400000_NS6detail17trampoline_kernelINS0_14default_configENS1_35radix_sort_onesweep_config_selectorIbiEEZZNS1_29radix_sort_onesweep_iterationIS3_Lb1EN6thrust23THRUST_200600_302600_NS6detail15normal_iteratorINS8_10device_ptrIbEEEESD_NSA_INSB_IiEEEESF_jNS0_19identity_decomposerENS1_16block_id_wrapperIjLb0EEEEE10hipError_tT1_PNSt15iterator_traitsISK_E10value_typeET2_T3_PNSL_ISQ_E10value_typeET4_T5_PSV_SW_PNS1_23onesweep_lookback_stateEbbT6_jjT7_P12ihipStream_tbENKUlT_T0_SK_SP_E_clISD_PbSF_PiEEDaS13_S14_SK_SP_EUlS13_E_NS1_11comp_targetILNS1_3genE10ELNS1_11target_archE1201ELNS1_3gpuE5ELNS1_3repE0EEENS1_47radix_sort_onesweep_sort_config_static_selectorELNS0_4arch9wavefront6targetE1EEEvSK_.private_seg_size, 0
	.set _ZN7rocprim17ROCPRIM_400000_NS6detail17trampoline_kernelINS0_14default_configENS1_35radix_sort_onesweep_config_selectorIbiEEZZNS1_29radix_sort_onesweep_iterationIS3_Lb1EN6thrust23THRUST_200600_302600_NS6detail15normal_iteratorINS8_10device_ptrIbEEEESD_NSA_INSB_IiEEEESF_jNS0_19identity_decomposerENS1_16block_id_wrapperIjLb0EEEEE10hipError_tT1_PNSt15iterator_traitsISK_E10value_typeET2_T3_PNSL_ISQ_E10value_typeET4_T5_PSV_SW_PNS1_23onesweep_lookback_stateEbbT6_jjT7_P12ihipStream_tbENKUlT_T0_SK_SP_E_clISD_PbSF_PiEEDaS13_S14_SK_SP_EUlS13_E_NS1_11comp_targetILNS1_3genE10ELNS1_11target_archE1201ELNS1_3gpuE5ELNS1_3repE0EEENS1_47radix_sort_onesweep_sort_config_static_selectorELNS0_4arch9wavefront6targetE1EEEvSK_.uses_vcc, 0
	.set _ZN7rocprim17ROCPRIM_400000_NS6detail17trampoline_kernelINS0_14default_configENS1_35radix_sort_onesweep_config_selectorIbiEEZZNS1_29radix_sort_onesweep_iterationIS3_Lb1EN6thrust23THRUST_200600_302600_NS6detail15normal_iteratorINS8_10device_ptrIbEEEESD_NSA_INSB_IiEEEESF_jNS0_19identity_decomposerENS1_16block_id_wrapperIjLb0EEEEE10hipError_tT1_PNSt15iterator_traitsISK_E10value_typeET2_T3_PNSL_ISQ_E10value_typeET4_T5_PSV_SW_PNS1_23onesweep_lookback_stateEbbT6_jjT7_P12ihipStream_tbENKUlT_T0_SK_SP_E_clISD_PbSF_PiEEDaS13_S14_SK_SP_EUlS13_E_NS1_11comp_targetILNS1_3genE10ELNS1_11target_archE1201ELNS1_3gpuE5ELNS1_3repE0EEENS1_47radix_sort_onesweep_sort_config_static_selectorELNS0_4arch9wavefront6targetE1EEEvSK_.uses_flat_scratch, 0
	.set _ZN7rocprim17ROCPRIM_400000_NS6detail17trampoline_kernelINS0_14default_configENS1_35radix_sort_onesweep_config_selectorIbiEEZZNS1_29radix_sort_onesweep_iterationIS3_Lb1EN6thrust23THRUST_200600_302600_NS6detail15normal_iteratorINS8_10device_ptrIbEEEESD_NSA_INSB_IiEEEESF_jNS0_19identity_decomposerENS1_16block_id_wrapperIjLb0EEEEE10hipError_tT1_PNSt15iterator_traitsISK_E10value_typeET2_T3_PNSL_ISQ_E10value_typeET4_T5_PSV_SW_PNS1_23onesweep_lookback_stateEbbT6_jjT7_P12ihipStream_tbENKUlT_T0_SK_SP_E_clISD_PbSF_PiEEDaS13_S14_SK_SP_EUlS13_E_NS1_11comp_targetILNS1_3genE10ELNS1_11target_archE1201ELNS1_3gpuE5ELNS1_3repE0EEENS1_47radix_sort_onesweep_sort_config_static_selectorELNS0_4arch9wavefront6targetE1EEEvSK_.has_dyn_sized_stack, 0
	.set _ZN7rocprim17ROCPRIM_400000_NS6detail17trampoline_kernelINS0_14default_configENS1_35radix_sort_onesweep_config_selectorIbiEEZZNS1_29radix_sort_onesweep_iterationIS3_Lb1EN6thrust23THRUST_200600_302600_NS6detail15normal_iteratorINS8_10device_ptrIbEEEESD_NSA_INSB_IiEEEESF_jNS0_19identity_decomposerENS1_16block_id_wrapperIjLb0EEEEE10hipError_tT1_PNSt15iterator_traitsISK_E10value_typeET2_T3_PNSL_ISQ_E10value_typeET4_T5_PSV_SW_PNS1_23onesweep_lookback_stateEbbT6_jjT7_P12ihipStream_tbENKUlT_T0_SK_SP_E_clISD_PbSF_PiEEDaS13_S14_SK_SP_EUlS13_E_NS1_11comp_targetILNS1_3genE10ELNS1_11target_archE1201ELNS1_3gpuE5ELNS1_3repE0EEENS1_47radix_sort_onesweep_sort_config_static_selectorELNS0_4arch9wavefront6targetE1EEEvSK_.has_recursion, 0
	.set _ZN7rocprim17ROCPRIM_400000_NS6detail17trampoline_kernelINS0_14default_configENS1_35radix_sort_onesweep_config_selectorIbiEEZZNS1_29radix_sort_onesweep_iterationIS3_Lb1EN6thrust23THRUST_200600_302600_NS6detail15normal_iteratorINS8_10device_ptrIbEEEESD_NSA_INSB_IiEEEESF_jNS0_19identity_decomposerENS1_16block_id_wrapperIjLb0EEEEE10hipError_tT1_PNSt15iterator_traitsISK_E10value_typeET2_T3_PNSL_ISQ_E10value_typeET4_T5_PSV_SW_PNS1_23onesweep_lookback_stateEbbT6_jjT7_P12ihipStream_tbENKUlT_T0_SK_SP_E_clISD_PbSF_PiEEDaS13_S14_SK_SP_EUlS13_E_NS1_11comp_targetILNS1_3genE10ELNS1_11target_archE1201ELNS1_3gpuE5ELNS1_3repE0EEENS1_47radix_sort_onesweep_sort_config_static_selectorELNS0_4arch9wavefront6targetE1EEEvSK_.has_indirect_call, 0
	.section	.AMDGPU.csdata,"",@progbits
; Kernel info:
; codeLenInByte = 0
; TotalNumSgprs: 6
; NumVgprs: 0
; NumAgprs: 0
; TotalNumVgprs: 0
; ScratchSize: 0
; MemoryBound: 0
; FloatMode: 240
; IeeeMode: 1
; LDSByteSize: 0 bytes/workgroup (compile time only)
; SGPRBlocks: 0
; VGPRBlocks: 0
; NumSGPRsForWavesPerEU: 6
; NumVGPRsForWavesPerEU: 1
; AccumOffset: 4
; Occupancy: 8
; WaveLimiterHint : 0
; COMPUTE_PGM_RSRC2:SCRATCH_EN: 0
; COMPUTE_PGM_RSRC2:USER_SGPR: 2
; COMPUTE_PGM_RSRC2:TRAP_HANDLER: 0
; COMPUTE_PGM_RSRC2:TGID_X_EN: 1
; COMPUTE_PGM_RSRC2:TGID_Y_EN: 0
; COMPUTE_PGM_RSRC2:TGID_Z_EN: 0
; COMPUTE_PGM_RSRC2:TIDIG_COMP_CNT: 0
; COMPUTE_PGM_RSRC3_GFX90A:ACCUM_OFFSET: 0
; COMPUTE_PGM_RSRC3_GFX90A:TG_SPLIT: 0
	.section	.text._ZN7rocprim17ROCPRIM_400000_NS6detail17trampoline_kernelINS0_14default_configENS1_35radix_sort_onesweep_config_selectorIbiEEZZNS1_29radix_sort_onesweep_iterationIS3_Lb1EN6thrust23THRUST_200600_302600_NS6detail15normal_iteratorINS8_10device_ptrIbEEEESD_NSA_INSB_IiEEEESF_jNS0_19identity_decomposerENS1_16block_id_wrapperIjLb0EEEEE10hipError_tT1_PNSt15iterator_traitsISK_E10value_typeET2_T3_PNSL_ISQ_E10value_typeET4_T5_PSV_SW_PNS1_23onesweep_lookback_stateEbbT6_jjT7_P12ihipStream_tbENKUlT_T0_SK_SP_E_clISD_PbSF_PiEEDaS13_S14_SK_SP_EUlS13_E_NS1_11comp_targetILNS1_3genE9ELNS1_11target_archE1100ELNS1_3gpuE3ELNS1_3repE0EEENS1_47radix_sort_onesweep_sort_config_static_selectorELNS0_4arch9wavefront6targetE1EEEvSK_,"axG",@progbits,_ZN7rocprim17ROCPRIM_400000_NS6detail17trampoline_kernelINS0_14default_configENS1_35radix_sort_onesweep_config_selectorIbiEEZZNS1_29radix_sort_onesweep_iterationIS3_Lb1EN6thrust23THRUST_200600_302600_NS6detail15normal_iteratorINS8_10device_ptrIbEEEESD_NSA_INSB_IiEEEESF_jNS0_19identity_decomposerENS1_16block_id_wrapperIjLb0EEEEE10hipError_tT1_PNSt15iterator_traitsISK_E10value_typeET2_T3_PNSL_ISQ_E10value_typeET4_T5_PSV_SW_PNS1_23onesweep_lookback_stateEbbT6_jjT7_P12ihipStream_tbENKUlT_T0_SK_SP_E_clISD_PbSF_PiEEDaS13_S14_SK_SP_EUlS13_E_NS1_11comp_targetILNS1_3genE9ELNS1_11target_archE1100ELNS1_3gpuE3ELNS1_3repE0EEENS1_47radix_sort_onesweep_sort_config_static_selectorELNS0_4arch9wavefront6targetE1EEEvSK_,comdat
	.protected	_ZN7rocprim17ROCPRIM_400000_NS6detail17trampoline_kernelINS0_14default_configENS1_35radix_sort_onesweep_config_selectorIbiEEZZNS1_29radix_sort_onesweep_iterationIS3_Lb1EN6thrust23THRUST_200600_302600_NS6detail15normal_iteratorINS8_10device_ptrIbEEEESD_NSA_INSB_IiEEEESF_jNS0_19identity_decomposerENS1_16block_id_wrapperIjLb0EEEEE10hipError_tT1_PNSt15iterator_traitsISK_E10value_typeET2_T3_PNSL_ISQ_E10value_typeET4_T5_PSV_SW_PNS1_23onesweep_lookback_stateEbbT6_jjT7_P12ihipStream_tbENKUlT_T0_SK_SP_E_clISD_PbSF_PiEEDaS13_S14_SK_SP_EUlS13_E_NS1_11comp_targetILNS1_3genE9ELNS1_11target_archE1100ELNS1_3gpuE3ELNS1_3repE0EEENS1_47radix_sort_onesweep_sort_config_static_selectorELNS0_4arch9wavefront6targetE1EEEvSK_ ; -- Begin function _ZN7rocprim17ROCPRIM_400000_NS6detail17trampoline_kernelINS0_14default_configENS1_35radix_sort_onesweep_config_selectorIbiEEZZNS1_29radix_sort_onesweep_iterationIS3_Lb1EN6thrust23THRUST_200600_302600_NS6detail15normal_iteratorINS8_10device_ptrIbEEEESD_NSA_INSB_IiEEEESF_jNS0_19identity_decomposerENS1_16block_id_wrapperIjLb0EEEEE10hipError_tT1_PNSt15iterator_traitsISK_E10value_typeET2_T3_PNSL_ISQ_E10value_typeET4_T5_PSV_SW_PNS1_23onesweep_lookback_stateEbbT6_jjT7_P12ihipStream_tbENKUlT_T0_SK_SP_E_clISD_PbSF_PiEEDaS13_S14_SK_SP_EUlS13_E_NS1_11comp_targetILNS1_3genE9ELNS1_11target_archE1100ELNS1_3gpuE3ELNS1_3repE0EEENS1_47radix_sort_onesweep_sort_config_static_selectorELNS0_4arch9wavefront6targetE1EEEvSK_
	.globl	_ZN7rocprim17ROCPRIM_400000_NS6detail17trampoline_kernelINS0_14default_configENS1_35radix_sort_onesweep_config_selectorIbiEEZZNS1_29radix_sort_onesweep_iterationIS3_Lb1EN6thrust23THRUST_200600_302600_NS6detail15normal_iteratorINS8_10device_ptrIbEEEESD_NSA_INSB_IiEEEESF_jNS0_19identity_decomposerENS1_16block_id_wrapperIjLb0EEEEE10hipError_tT1_PNSt15iterator_traitsISK_E10value_typeET2_T3_PNSL_ISQ_E10value_typeET4_T5_PSV_SW_PNS1_23onesweep_lookback_stateEbbT6_jjT7_P12ihipStream_tbENKUlT_T0_SK_SP_E_clISD_PbSF_PiEEDaS13_S14_SK_SP_EUlS13_E_NS1_11comp_targetILNS1_3genE9ELNS1_11target_archE1100ELNS1_3gpuE3ELNS1_3repE0EEENS1_47radix_sort_onesweep_sort_config_static_selectorELNS0_4arch9wavefront6targetE1EEEvSK_
	.p2align	8
	.type	_ZN7rocprim17ROCPRIM_400000_NS6detail17trampoline_kernelINS0_14default_configENS1_35radix_sort_onesweep_config_selectorIbiEEZZNS1_29radix_sort_onesweep_iterationIS3_Lb1EN6thrust23THRUST_200600_302600_NS6detail15normal_iteratorINS8_10device_ptrIbEEEESD_NSA_INSB_IiEEEESF_jNS0_19identity_decomposerENS1_16block_id_wrapperIjLb0EEEEE10hipError_tT1_PNSt15iterator_traitsISK_E10value_typeET2_T3_PNSL_ISQ_E10value_typeET4_T5_PSV_SW_PNS1_23onesweep_lookback_stateEbbT6_jjT7_P12ihipStream_tbENKUlT_T0_SK_SP_E_clISD_PbSF_PiEEDaS13_S14_SK_SP_EUlS13_E_NS1_11comp_targetILNS1_3genE9ELNS1_11target_archE1100ELNS1_3gpuE3ELNS1_3repE0EEENS1_47radix_sort_onesweep_sort_config_static_selectorELNS0_4arch9wavefront6targetE1EEEvSK_,@function
_ZN7rocprim17ROCPRIM_400000_NS6detail17trampoline_kernelINS0_14default_configENS1_35radix_sort_onesweep_config_selectorIbiEEZZNS1_29radix_sort_onesweep_iterationIS3_Lb1EN6thrust23THRUST_200600_302600_NS6detail15normal_iteratorINS8_10device_ptrIbEEEESD_NSA_INSB_IiEEEESF_jNS0_19identity_decomposerENS1_16block_id_wrapperIjLb0EEEEE10hipError_tT1_PNSt15iterator_traitsISK_E10value_typeET2_T3_PNSL_ISQ_E10value_typeET4_T5_PSV_SW_PNS1_23onesweep_lookback_stateEbbT6_jjT7_P12ihipStream_tbENKUlT_T0_SK_SP_E_clISD_PbSF_PiEEDaS13_S14_SK_SP_EUlS13_E_NS1_11comp_targetILNS1_3genE9ELNS1_11target_archE1100ELNS1_3gpuE3ELNS1_3repE0EEENS1_47radix_sort_onesweep_sort_config_static_selectorELNS0_4arch9wavefront6targetE1EEEvSK_: ; @_ZN7rocprim17ROCPRIM_400000_NS6detail17trampoline_kernelINS0_14default_configENS1_35radix_sort_onesweep_config_selectorIbiEEZZNS1_29radix_sort_onesweep_iterationIS3_Lb1EN6thrust23THRUST_200600_302600_NS6detail15normal_iteratorINS8_10device_ptrIbEEEESD_NSA_INSB_IiEEEESF_jNS0_19identity_decomposerENS1_16block_id_wrapperIjLb0EEEEE10hipError_tT1_PNSt15iterator_traitsISK_E10value_typeET2_T3_PNSL_ISQ_E10value_typeET4_T5_PSV_SW_PNS1_23onesweep_lookback_stateEbbT6_jjT7_P12ihipStream_tbENKUlT_T0_SK_SP_E_clISD_PbSF_PiEEDaS13_S14_SK_SP_EUlS13_E_NS1_11comp_targetILNS1_3genE9ELNS1_11target_archE1100ELNS1_3gpuE3ELNS1_3repE0EEENS1_47radix_sort_onesweep_sort_config_static_selectorELNS0_4arch9wavefront6targetE1EEEvSK_
; %bb.0:
	.section	.rodata,"a",@progbits
	.p2align	6, 0x0
	.amdhsa_kernel _ZN7rocprim17ROCPRIM_400000_NS6detail17trampoline_kernelINS0_14default_configENS1_35radix_sort_onesweep_config_selectorIbiEEZZNS1_29radix_sort_onesweep_iterationIS3_Lb1EN6thrust23THRUST_200600_302600_NS6detail15normal_iteratorINS8_10device_ptrIbEEEESD_NSA_INSB_IiEEEESF_jNS0_19identity_decomposerENS1_16block_id_wrapperIjLb0EEEEE10hipError_tT1_PNSt15iterator_traitsISK_E10value_typeET2_T3_PNSL_ISQ_E10value_typeET4_T5_PSV_SW_PNS1_23onesweep_lookback_stateEbbT6_jjT7_P12ihipStream_tbENKUlT_T0_SK_SP_E_clISD_PbSF_PiEEDaS13_S14_SK_SP_EUlS13_E_NS1_11comp_targetILNS1_3genE9ELNS1_11target_archE1100ELNS1_3gpuE3ELNS1_3repE0EEENS1_47radix_sort_onesweep_sort_config_static_selectorELNS0_4arch9wavefront6targetE1EEEvSK_
		.amdhsa_group_segment_fixed_size 0
		.amdhsa_private_segment_fixed_size 0
		.amdhsa_kernarg_size 88
		.amdhsa_user_sgpr_count 2
		.amdhsa_user_sgpr_dispatch_ptr 0
		.amdhsa_user_sgpr_queue_ptr 0
		.amdhsa_user_sgpr_kernarg_segment_ptr 1
		.amdhsa_user_sgpr_dispatch_id 0
		.amdhsa_user_sgpr_kernarg_preload_length 0
		.amdhsa_user_sgpr_kernarg_preload_offset 0
		.amdhsa_user_sgpr_private_segment_size 0
		.amdhsa_uses_dynamic_stack 0
		.amdhsa_enable_private_segment 0
		.amdhsa_system_sgpr_workgroup_id_x 1
		.amdhsa_system_sgpr_workgroup_id_y 0
		.amdhsa_system_sgpr_workgroup_id_z 0
		.amdhsa_system_sgpr_workgroup_info 0
		.amdhsa_system_vgpr_workitem_id 0
		.amdhsa_next_free_vgpr 1
		.amdhsa_next_free_sgpr 0
		.amdhsa_accum_offset 4
		.amdhsa_reserve_vcc 0
		.amdhsa_float_round_mode_32 0
		.amdhsa_float_round_mode_16_64 0
		.amdhsa_float_denorm_mode_32 3
		.amdhsa_float_denorm_mode_16_64 3
		.amdhsa_dx10_clamp 1
		.amdhsa_ieee_mode 1
		.amdhsa_fp16_overflow 0
		.amdhsa_tg_split 0
		.amdhsa_exception_fp_ieee_invalid_op 0
		.amdhsa_exception_fp_denorm_src 0
		.amdhsa_exception_fp_ieee_div_zero 0
		.amdhsa_exception_fp_ieee_overflow 0
		.amdhsa_exception_fp_ieee_underflow 0
		.amdhsa_exception_fp_ieee_inexact 0
		.amdhsa_exception_int_div_zero 0
	.end_amdhsa_kernel
	.section	.text._ZN7rocprim17ROCPRIM_400000_NS6detail17trampoline_kernelINS0_14default_configENS1_35radix_sort_onesweep_config_selectorIbiEEZZNS1_29radix_sort_onesweep_iterationIS3_Lb1EN6thrust23THRUST_200600_302600_NS6detail15normal_iteratorINS8_10device_ptrIbEEEESD_NSA_INSB_IiEEEESF_jNS0_19identity_decomposerENS1_16block_id_wrapperIjLb0EEEEE10hipError_tT1_PNSt15iterator_traitsISK_E10value_typeET2_T3_PNSL_ISQ_E10value_typeET4_T5_PSV_SW_PNS1_23onesweep_lookback_stateEbbT6_jjT7_P12ihipStream_tbENKUlT_T0_SK_SP_E_clISD_PbSF_PiEEDaS13_S14_SK_SP_EUlS13_E_NS1_11comp_targetILNS1_3genE9ELNS1_11target_archE1100ELNS1_3gpuE3ELNS1_3repE0EEENS1_47radix_sort_onesweep_sort_config_static_selectorELNS0_4arch9wavefront6targetE1EEEvSK_,"axG",@progbits,_ZN7rocprim17ROCPRIM_400000_NS6detail17trampoline_kernelINS0_14default_configENS1_35radix_sort_onesweep_config_selectorIbiEEZZNS1_29radix_sort_onesweep_iterationIS3_Lb1EN6thrust23THRUST_200600_302600_NS6detail15normal_iteratorINS8_10device_ptrIbEEEESD_NSA_INSB_IiEEEESF_jNS0_19identity_decomposerENS1_16block_id_wrapperIjLb0EEEEE10hipError_tT1_PNSt15iterator_traitsISK_E10value_typeET2_T3_PNSL_ISQ_E10value_typeET4_T5_PSV_SW_PNS1_23onesweep_lookback_stateEbbT6_jjT7_P12ihipStream_tbENKUlT_T0_SK_SP_E_clISD_PbSF_PiEEDaS13_S14_SK_SP_EUlS13_E_NS1_11comp_targetILNS1_3genE9ELNS1_11target_archE1100ELNS1_3gpuE3ELNS1_3repE0EEENS1_47radix_sort_onesweep_sort_config_static_selectorELNS0_4arch9wavefront6targetE1EEEvSK_,comdat
.Lfunc_end2261:
	.size	_ZN7rocprim17ROCPRIM_400000_NS6detail17trampoline_kernelINS0_14default_configENS1_35radix_sort_onesweep_config_selectorIbiEEZZNS1_29radix_sort_onesweep_iterationIS3_Lb1EN6thrust23THRUST_200600_302600_NS6detail15normal_iteratorINS8_10device_ptrIbEEEESD_NSA_INSB_IiEEEESF_jNS0_19identity_decomposerENS1_16block_id_wrapperIjLb0EEEEE10hipError_tT1_PNSt15iterator_traitsISK_E10value_typeET2_T3_PNSL_ISQ_E10value_typeET4_T5_PSV_SW_PNS1_23onesweep_lookback_stateEbbT6_jjT7_P12ihipStream_tbENKUlT_T0_SK_SP_E_clISD_PbSF_PiEEDaS13_S14_SK_SP_EUlS13_E_NS1_11comp_targetILNS1_3genE9ELNS1_11target_archE1100ELNS1_3gpuE3ELNS1_3repE0EEENS1_47radix_sort_onesweep_sort_config_static_selectorELNS0_4arch9wavefront6targetE1EEEvSK_, .Lfunc_end2261-_ZN7rocprim17ROCPRIM_400000_NS6detail17trampoline_kernelINS0_14default_configENS1_35radix_sort_onesweep_config_selectorIbiEEZZNS1_29radix_sort_onesweep_iterationIS3_Lb1EN6thrust23THRUST_200600_302600_NS6detail15normal_iteratorINS8_10device_ptrIbEEEESD_NSA_INSB_IiEEEESF_jNS0_19identity_decomposerENS1_16block_id_wrapperIjLb0EEEEE10hipError_tT1_PNSt15iterator_traitsISK_E10value_typeET2_T3_PNSL_ISQ_E10value_typeET4_T5_PSV_SW_PNS1_23onesweep_lookback_stateEbbT6_jjT7_P12ihipStream_tbENKUlT_T0_SK_SP_E_clISD_PbSF_PiEEDaS13_S14_SK_SP_EUlS13_E_NS1_11comp_targetILNS1_3genE9ELNS1_11target_archE1100ELNS1_3gpuE3ELNS1_3repE0EEENS1_47radix_sort_onesweep_sort_config_static_selectorELNS0_4arch9wavefront6targetE1EEEvSK_
                                        ; -- End function
	.set _ZN7rocprim17ROCPRIM_400000_NS6detail17trampoline_kernelINS0_14default_configENS1_35radix_sort_onesweep_config_selectorIbiEEZZNS1_29radix_sort_onesweep_iterationIS3_Lb1EN6thrust23THRUST_200600_302600_NS6detail15normal_iteratorINS8_10device_ptrIbEEEESD_NSA_INSB_IiEEEESF_jNS0_19identity_decomposerENS1_16block_id_wrapperIjLb0EEEEE10hipError_tT1_PNSt15iterator_traitsISK_E10value_typeET2_T3_PNSL_ISQ_E10value_typeET4_T5_PSV_SW_PNS1_23onesweep_lookback_stateEbbT6_jjT7_P12ihipStream_tbENKUlT_T0_SK_SP_E_clISD_PbSF_PiEEDaS13_S14_SK_SP_EUlS13_E_NS1_11comp_targetILNS1_3genE9ELNS1_11target_archE1100ELNS1_3gpuE3ELNS1_3repE0EEENS1_47radix_sort_onesweep_sort_config_static_selectorELNS0_4arch9wavefront6targetE1EEEvSK_.num_vgpr, 0
	.set _ZN7rocprim17ROCPRIM_400000_NS6detail17trampoline_kernelINS0_14default_configENS1_35radix_sort_onesweep_config_selectorIbiEEZZNS1_29radix_sort_onesweep_iterationIS3_Lb1EN6thrust23THRUST_200600_302600_NS6detail15normal_iteratorINS8_10device_ptrIbEEEESD_NSA_INSB_IiEEEESF_jNS0_19identity_decomposerENS1_16block_id_wrapperIjLb0EEEEE10hipError_tT1_PNSt15iterator_traitsISK_E10value_typeET2_T3_PNSL_ISQ_E10value_typeET4_T5_PSV_SW_PNS1_23onesweep_lookback_stateEbbT6_jjT7_P12ihipStream_tbENKUlT_T0_SK_SP_E_clISD_PbSF_PiEEDaS13_S14_SK_SP_EUlS13_E_NS1_11comp_targetILNS1_3genE9ELNS1_11target_archE1100ELNS1_3gpuE3ELNS1_3repE0EEENS1_47radix_sort_onesweep_sort_config_static_selectorELNS0_4arch9wavefront6targetE1EEEvSK_.num_agpr, 0
	.set _ZN7rocprim17ROCPRIM_400000_NS6detail17trampoline_kernelINS0_14default_configENS1_35radix_sort_onesweep_config_selectorIbiEEZZNS1_29radix_sort_onesweep_iterationIS3_Lb1EN6thrust23THRUST_200600_302600_NS6detail15normal_iteratorINS8_10device_ptrIbEEEESD_NSA_INSB_IiEEEESF_jNS0_19identity_decomposerENS1_16block_id_wrapperIjLb0EEEEE10hipError_tT1_PNSt15iterator_traitsISK_E10value_typeET2_T3_PNSL_ISQ_E10value_typeET4_T5_PSV_SW_PNS1_23onesweep_lookback_stateEbbT6_jjT7_P12ihipStream_tbENKUlT_T0_SK_SP_E_clISD_PbSF_PiEEDaS13_S14_SK_SP_EUlS13_E_NS1_11comp_targetILNS1_3genE9ELNS1_11target_archE1100ELNS1_3gpuE3ELNS1_3repE0EEENS1_47radix_sort_onesweep_sort_config_static_selectorELNS0_4arch9wavefront6targetE1EEEvSK_.numbered_sgpr, 0
	.set _ZN7rocprim17ROCPRIM_400000_NS6detail17trampoline_kernelINS0_14default_configENS1_35radix_sort_onesweep_config_selectorIbiEEZZNS1_29radix_sort_onesweep_iterationIS3_Lb1EN6thrust23THRUST_200600_302600_NS6detail15normal_iteratorINS8_10device_ptrIbEEEESD_NSA_INSB_IiEEEESF_jNS0_19identity_decomposerENS1_16block_id_wrapperIjLb0EEEEE10hipError_tT1_PNSt15iterator_traitsISK_E10value_typeET2_T3_PNSL_ISQ_E10value_typeET4_T5_PSV_SW_PNS1_23onesweep_lookback_stateEbbT6_jjT7_P12ihipStream_tbENKUlT_T0_SK_SP_E_clISD_PbSF_PiEEDaS13_S14_SK_SP_EUlS13_E_NS1_11comp_targetILNS1_3genE9ELNS1_11target_archE1100ELNS1_3gpuE3ELNS1_3repE0EEENS1_47radix_sort_onesweep_sort_config_static_selectorELNS0_4arch9wavefront6targetE1EEEvSK_.num_named_barrier, 0
	.set _ZN7rocprim17ROCPRIM_400000_NS6detail17trampoline_kernelINS0_14default_configENS1_35radix_sort_onesweep_config_selectorIbiEEZZNS1_29radix_sort_onesweep_iterationIS3_Lb1EN6thrust23THRUST_200600_302600_NS6detail15normal_iteratorINS8_10device_ptrIbEEEESD_NSA_INSB_IiEEEESF_jNS0_19identity_decomposerENS1_16block_id_wrapperIjLb0EEEEE10hipError_tT1_PNSt15iterator_traitsISK_E10value_typeET2_T3_PNSL_ISQ_E10value_typeET4_T5_PSV_SW_PNS1_23onesweep_lookback_stateEbbT6_jjT7_P12ihipStream_tbENKUlT_T0_SK_SP_E_clISD_PbSF_PiEEDaS13_S14_SK_SP_EUlS13_E_NS1_11comp_targetILNS1_3genE9ELNS1_11target_archE1100ELNS1_3gpuE3ELNS1_3repE0EEENS1_47radix_sort_onesweep_sort_config_static_selectorELNS0_4arch9wavefront6targetE1EEEvSK_.private_seg_size, 0
	.set _ZN7rocprim17ROCPRIM_400000_NS6detail17trampoline_kernelINS0_14default_configENS1_35radix_sort_onesweep_config_selectorIbiEEZZNS1_29radix_sort_onesweep_iterationIS3_Lb1EN6thrust23THRUST_200600_302600_NS6detail15normal_iteratorINS8_10device_ptrIbEEEESD_NSA_INSB_IiEEEESF_jNS0_19identity_decomposerENS1_16block_id_wrapperIjLb0EEEEE10hipError_tT1_PNSt15iterator_traitsISK_E10value_typeET2_T3_PNSL_ISQ_E10value_typeET4_T5_PSV_SW_PNS1_23onesweep_lookback_stateEbbT6_jjT7_P12ihipStream_tbENKUlT_T0_SK_SP_E_clISD_PbSF_PiEEDaS13_S14_SK_SP_EUlS13_E_NS1_11comp_targetILNS1_3genE9ELNS1_11target_archE1100ELNS1_3gpuE3ELNS1_3repE0EEENS1_47radix_sort_onesweep_sort_config_static_selectorELNS0_4arch9wavefront6targetE1EEEvSK_.uses_vcc, 0
	.set _ZN7rocprim17ROCPRIM_400000_NS6detail17trampoline_kernelINS0_14default_configENS1_35radix_sort_onesweep_config_selectorIbiEEZZNS1_29radix_sort_onesweep_iterationIS3_Lb1EN6thrust23THRUST_200600_302600_NS6detail15normal_iteratorINS8_10device_ptrIbEEEESD_NSA_INSB_IiEEEESF_jNS0_19identity_decomposerENS1_16block_id_wrapperIjLb0EEEEE10hipError_tT1_PNSt15iterator_traitsISK_E10value_typeET2_T3_PNSL_ISQ_E10value_typeET4_T5_PSV_SW_PNS1_23onesweep_lookback_stateEbbT6_jjT7_P12ihipStream_tbENKUlT_T0_SK_SP_E_clISD_PbSF_PiEEDaS13_S14_SK_SP_EUlS13_E_NS1_11comp_targetILNS1_3genE9ELNS1_11target_archE1100ELNS1_3gpuE3ELNS1_3repE0EEENS1_47radix_sort_onesweep_sort_config_static_selectorELNS0_4arch9wavefront6targetE1EEEvSK_.uses_flat_scratch, 0
	.set _ZN7rocprim17ROCPRIM_400000_NS6detail17trampoline_kernelINS0_14default_configENS1_35radix_sort_onesweep_config_selectorIbiEEZZNS1_29radix_sort_onesweep_iterationIS3_Lb1EN6thrust23THRUST_200600_302600_NS6detail15normal_iteratorINS8_10device_ptrIbEEEESD_NSA_INSB_IiEEEESF_jNS0_19identity_decomposerENS1_16block_id_wrapperIjLb0EEEEE10hipError_tT1_PNSt15iterator_traitsISK_E10value_typeET2_T3_PNSL_ISQ_E10value_typeET4_T5_PSV_SW_PNS1_23onesweep_lookback_stateEbbT6_jjT7_P12ihipStream_tbENKUlT_T0_SK_SP_E_clISD_PbSF_PiEEDaS13_S14_SK_SP_EUlS13_E_NS1_11comp_targetILNS1_3genE9ELNS1_11target_archE1100ELNS1_3gpuE3ELNS1_3repE0EEENS1_47radix_sort_onesweep_sort_config_static_selectorELNS0_4arch9wavefront6targetE1EEEvSK_.has_dyn_sized_stack, 0
	.set _ZN7rocprim17ROCPRIM_400000_NS6detail17trampoline_kernelINS0_14default_configENS1_35radix_sort_onesweep_config_selectorIbiEEZZNS1_29radix_sort_onesweep_iterationIS3_Lb1EN6thrust23THRUST_200600_302600_NS6detail15normal_iteratorINS8_10device_ptrIbEEEESD_NSA_INSB_IiEEEESF_jNS0_19identity_decomposerENS1_16block_id_wrapperIjLb0EEEEE10hipError_tT1_PNSt15iterator_traitsISK_E10value_typeET2_T3_PNSL_ISQ_E10value_typeET4_T5_PSV_SW_PNS1_23onesweep_lookback_stateEbbT6_jjT7_P12ihipStream_tbENKUlT_T0_SK_SP_E_clISD_PbSF_PiEEDaS13_S14_SK_SP_EUlS13_E_NS1_11comp_targetILNS1_3genE9ELNS1_11target_archE1100ELNS1_3gpuE3ELNS1_3repE0EEENS1_47radix_sort_onesweep_sort_config_static_selectorELNS0_4arch9wavefront6targetE1EEEvSK_.has_recursion, 0
	.set _ZN7rocprim17ROCPRIM_400000_NS6detail17trampoline_kernelINS0_14default_configENS1_35radix_sort_onesweep_config_selectorIbiEEZZNS1_29radix_sort_onesweep_iterationIS3_Lb1EN6thrust23THRUST_200600_302600_NS6detail15normal_iteratorINS8_10device_ptrIbEEEESD_NSA_INSB_IiEEEESF_jNS0_19identity_decomposerENS1_16block_id_wrapperIjLb0EEEEE10hipError_tT1_PNSt15iterator_traitsISK_E10value_typeET2_T3_PNSL_ISQ_E10value_typeET4_T5_PSV_SW_PNS1_23onesweep_lookback_stateEbbT6_jjT7_P12ihipStream_tbENKUlT_T0_SK_SP_E_clISD_PbSF_PiEEDaS13_S14_SK_SP_EUlS13_E_NS1_11comp_targetILNS1_3genE9ELNS1_11target_archE1100ELNS1_3gpuE3ELNS1_3repE0EEENS1_47radix_sort_onesweep_sort_config_static_selectorELNS0_4arch9wavefront6targetE1EEEvSK_.has_indirect_call, 0
	.section	.AMDGPU.csdata,"",@progbits
; Kernel info:
; codeLenInByte = 0
; TotalNumSgprs: 6
; NumVgprs: 0
; NumAgprs: 0
; TotalNumVgprs: 0
; ScratchSize: 0
; MemoryBound: 0
; FloatMode: 240
; IeeeMode: 1
; LDSByteSize: 0 bytes/workgroup (compile time only)
; SGPRBlocks: 0
; VGPRBlocks: 0
; NumSGPRsForWavesPerEU: 6
; NumVGPRsForWavesPerEU: 1
; AccumOffset: 4
; Occupancy: 8
; WaveLimiterHint : 0
; COMPUTE_PGM_RSRC2:SCRATCH_EN: 0
; COMPUTE_PGM_RSRC2:USER_SGPR: 2
; COMPUTE_PGM_RSRC2:TRAP_HANDLER: 0
; COMPUTE_PGM_RSRC2:TGID_X_EN: 1
; COMPUTE_PGM_RSRC2:TGID_Y_EN: 0
; COMPUTE_PGM_RSRC2:TGID_Z_EN: 0
; COMPUTE_PGM_RSRC2:TIDIG_COMP_CNT: 0
; COMPUTE_PGM_RSRC3_GFX90A:ACCUM_OFFSET: 0
; COMPUTE_PGM_RSRC3_GFX90A:TG_SPLIT: 0
	.section	.text._ZN7rocprim17ROCPRIM_400000_NS6detail17trampoline_kernelINS0_14default_configENS1_35radix_sort_onesweep_config_selectorIbiEEZZNS1_29radix_sort_onesweep_iterationIS3_Lb1EN6thrust23THRUST_200600_302600_NS6detail15normal_iteratorINS8_10device_ptrIbEEEESD_NSA_INSB_IiEEEESF_jNS0_19identity_decomposerENS1_16block_id_wrapperIjLb0EEEEE10hipError_tT1_PNSt15iterator_traitsISK_E10value_typeET2_T3_PNSL_ISQ_E10value_typeET4_T5_PSV_SW_PNS1_23onesweep_lookback_stateEbbT6_jjT7_P12ihipStream_tbENKUlT_T0_SK_SP_E_clISD_PbSF_PiEEDaS13_S14_SK_SP_EUlS13_E_NS1_11comp_targetILNS1_3genE8ELNS1_11target_archE1030ELNS1_3gpuE2ELNS1_3repE0EEENS1_47radix_sort_onesweep_sort_config_static_selectorELNS0_4arch9wavefront6targetE1EEEvSK_,"axG",@progbits,_ZN7rocprim17ROCPRIM_400000_NS6detail17trampoline_kernelINS0_14default_configENS1_35radix_sort_onesweep_config_selectorIbiEEZZNS1_29radix_sort_onesweep_iterationIS3_Lb1EN6thrust23THRUST_200600_302600_NS6detail15normal_iteratorINS8_10device_ptrIbEEEESD_NSA_INSB_IiEEEESF_jNS0_19identity_decomposerENS1_16block_id_wrapperIjLb0EEEEE10hipError_tT1_PNSt15iterator_traitsISK_E10value_typeET2_T3_PNSL_ISQ_E10value_typeET4_T5_PSV_SW_PNS1_23onesweep_lookback_stateEbbT6_jjT7_P12ihipStream_tbENKUlT_T0_SK_SP_E_clISD_PbSF_PiEEDaS13_S14_SK_SP_EUlS13_E_NS1_11comp_targetILNS1_3genE8ELNS1_11target_archE1030ELNS1_3gpuE2ELNS1_3repE0EEENS1_47radix_sort_onesweep_sort_config_static_selectorELNS0_4arch9wavefront6targetE1EEEvSK_,comdat
	.protected	_ZN7rocprim17ROCPRIM_400000_NS6detail17trampoline_kernelINS0_14default_configENS1_35radix_sort_onesweep_config_selectorIbiEEZZNS1_29radix_sort_onesweep_iterationIS3_Lb1EN6thrust23THRUST_200600_302600_NS6detail15normal_iteratorINS8_10device_ptrIbEEEESD_NSA_INSB_IiEEEESF_jNS0_19identity_decomposerENS1_16block_id_wrapperIjLb0EEEEE10hipError_tT1_PNSt15iterator_traitsISK_E10value_typeET2_T3_PNSL_ISQ_E10value_typeET4_T5_PSV_SW_PNS1_23onesweep_lookback_stateEbbT6_jjT7_P12ihipStream_tbENKUlT_T0_SK_SP_E_clISD_PbSF_PiEEDaS13_S14_SK_SP_EUlS13_E_NS1_11comp_targetILNS1_3genE8ELNS1_11target_archE1030ELNS1_3gpuE2ELNS1_3repE0EEENS1_47radix_sort_onesweep_sort_config_static_selectorELNS0_4arch9wavefront6targetE1EEEvSK_ ; -- Begin function _ZN7rocprim17ROCPRIM_400000_NS6detail17trampoline_kernelINS0_14default_configENS1_35radix_sort_onesweep_config_selectorIbiEEZZNS1_29radix_sort_onesweep_iterationIS3_Lb1EN6thrust23THRUST_200600_302600_NS6detail15normal_iteratorINS8_10device_ptrIbEEEESD_NSA_INSB_IiEEEESF_jNS0_19identity_decomposerENS1_16block_id_wrapperIjLb0EEEEE10hipError_tT1_PNSt15iterator_traitsISK_E10value_typeET2_T3_PNSL_ISQ_E10value_typeET4_T5_PSV_SW_PNS1_23onesweep_lookback_stateEbbT6_jjT7_P12ihipStream_tbENKUlT_T0_SK_SP_E_clISD_PbSF_PiEEDaS13_S14_SK_SP_EUlS13_E_NS1_11comp_targetILNS1_3genE8ELNS1_11target_archE1030ELNS1_3gpuE2ELNS1_3repE0EEENS1_47radix_sort_onesweep_sort_config_static_selectorELNS0_4arch9wavefront6targetE1EEEvSK_
	.globl	_ZN7rocprim17ROCPRIM_400000_NS6detail17trampoline_kernelINS0_14default_configENS1_35radix_sort_onesweep_config_selectorIbiEEZZNS1_29radix_sort_onesweep_iterationIS3_Lb1EN6thrust23THRUST_200600_302600_NS6detail15normal_iteratorINS8_10device_ptrIbEEEESD_NSA_INSB_IiEEEESF_jNS0_19identity_decomposerENS1_16block_id_wrapperIjLb0EEEEE10hipError_tT1_PNSt15iterator_traitsISK_E10value_typeET2_T3_PNSL_ISQ_E10value_typeET4_T5_PSV_SW_PNS1_23onesweep_lookback_stateEbbT6_jjT7_P12ihipStream_tbENKUlT_T0_SK_SP_E_clISD_PbSF_PiEEDaS13_S14_SK_SP_EUlS13_E_NS1_11comp_targetILNS1_3genE8ELNS1_11target_archE1030ELNS1_3gpuE2ELNS1_3repE0EEENS1_47radix_sort_onesweep_sort_config_static_selectorELNS0_4arch9wavefront6targetE1EEEvSK_
	.p2align	8
	.type	_ZN7rocprim17ROCPRIM_400000_NS6detail17trampoline_kernelINS0_14default_configENS1_35radix_sort_onesweep_config_selectorIbiEEZZNS1_29radix_sort_onesweep_iterationIS3_Lb1EN6thrust23THRUST_200600_302600_NS6detail15normal_iteratorINS8_10device_ptrIbEEEESD_NSA_INSB_IiEEEESF_jNS0_19identity_decomposerENS1_16block_id_wrapperIjLb0EEEEE10hipError_tT1_PNSt15iterator_traitsISK_E10value_typeET2_T3_PNSL_ISQ_E10value_typeET4_T5_PSV_SW_PNS1_23onesweep_lookback_stateEbbT6_jjT7_P12ihipStream_tbENKUlT_T0_SK_SP_E_clISD_PbSF_PiEEDaS13_S14_SK_SP_EUlS13_E_NS1_11comp_targetILNS1_3genE8ELNS1_11target_archE1030ELNS1_3gpuE2ELNS1_3repE0EEENS1_47radix_sort_onesweep_sort_config_static_selectorELNS0_4arch9wavefront6targetE1EEEvSK_,@function
_ZN7rocprim17ROCPRIM_400000_NS6detail17trampoline_kernelINS0_14default_configENS1_35radix_sort_onesweep_config_selectorIbiEEZZNS1_29radix_sort_onesweep_iterationIS3_Lb1EN6thrust23THRUST_200600_302600_NS6detail15normal_iteratorINS8_10device_ptrIbEEEESD_NSA_INSB_IiEEEESF_jNS0_19identity_decomposerENS1_16block_id_wrapperIjLb0EEEEE10hipError_tT1_PNSt15iterator_traitsISK_E10value_typeET2_T3_PNSL_ISQ_E10value_typeET4_T5_PSV_SW_PNS1_23onesweep_lookback_stateEbbT6_jjT7_P12ihipStream_tbENKUlT_T0_SK_SP_E_clISD_PbSF_PiEEDaS13_S14_SK_SP_EUlS13_E_NS1_11comp_targetILNS1_3genE8ELNS1_11target_archE1030ELNS1_3gpuE2ELNS1_3repE0EEENS1_47radix_sort_onesweep_sort_config_static_selectorELNS0_4arch9wavefront6targetE1EEEvSK_: ; @_ZN7rocprim17ROCPRIM_400000_NS6detail17trampoline_kernelINS0_14default_configENS1_35radix_sort_onesweep_config_selectorIbiEEZZNS1_29radix_sort_onesweep_iterationIS3_Lb1EN6thrust23THRUST_200600_302600_NS6detail15normal_iteratorINS8_10device_ptrIbEEEESD_NSA_INSB_IiEEEESF_jNS0_19identity_decomposerENS1_16block_id_wrapperIjLb0EEEEE10hipError_tT1_PNSt15iterator_traitsISK_E10value_typeET2_T3_PNSL_ISQ_E10value_typeET4_T5_PSV_SW_PNS1_23onesweep_lookback_stateEbbT6_jjT7_P12ihipStream_tbENKUlT_T0_SK_SP_E_clISD_PbSF_PiEEDaS13_S14_SK_SP_EUlS13_E_NS1_11comp_targetILNS1_3genE8ELNS1_11target_archE1030ELNS1_3gpuE2ELNS1_3repE0EEENS1_47radix_sort_onesweep_sort_config_static_selectorELNS0_4arch9wavefront6targetE1EEEvSK_
; %bb.0:
	.section	.rodata,"a",@progbits
	.p2align	6, 0x0
	.amdhsa_kernel _ZN7rocprim17ROCPRIM_400000_NS6detail17trampoline_kernelINS0_14default_configENS1_35radix_sort_onesweep_config_selectorIbiEEZZNS1_29radix_sort_onesweep_iterationIS3_Lb1EN6thrust23THRUST_200600_302600_NS6detail15normal_iteratorINS8_10device_ptrIbEEEESD_NSA_INSB_IiEEEESF_jNS0_19identity_decomposerENS1_16block_id_wrapperIjLb0EEEEE10hipError_tT1_PNSt15iterator_traitsISK_E10value_typeET2_T3_PNSL_ISQ_E10value_typeET4_T5_PSV_SW_PNS1_23onesweep_lookback_stateEbbT6_jjT7_P12ihipStream_tbENKUlT_T0_SK_SP_E_clISD_PbSF_PiEEDaS13_S14_SK_SP_EUlS13_E_NS1_11comp_targetILNS1_3genE8ELNS1_11target_archE1030ELNS1_3gpuE2ELNS1_3repE0EEENS1_47radix_sort_onesweep_sort_config_static_selectorELNS0_4arch9wavefront6targetE1EEEvSK_
		.amdhsa_group_segment_fixed_size 0
		.amdhsa_private_segment_fixed_size 0
		.amdhsa_kernarg_size 88
		.amdhsa_user_sgpr_count 2
		.amdhsa_user_sgpr_dispatch_ptr 0
		.amdhsa_user_sgpr_queue_ptr 0
		.amdhsa_user_sgpr_kernarg_segment_ptr 1
		.amdhsa_user_sgpr_dispatch_id 0
		.amdhsa_user_sgpr_kernarg_preload_length 0
		.amdhsa_user_sgpr_kernarg_preload_offset 0
		.amdhsa_user_sgpr_private_segment_size 0
		.amdhsa_uses_dynamic_stack 0
		.amdhsa_enable_private_segment 0
		.amdhsa_system_sgpr_workgroup_id_x 1
		.amdhsa_system_sgpr_workgroup_id_y 0
		.amdhsa_system_sgpr_workgroup_id_z 0
		.amdhsa_system_sgpr_workgroup_info 0
		.amdhsa_system_vgpr_workitem_id 0
		.amdhsa_next_free_vgpr 1
		.amdhsa_next_free_sgpr 0
		.amdhsa_accum_offset 4
		.amdhsa_reserve_vcc 0
		.amdhsa_float_round_mode_32 0
		.amdhsa_float_round_mode_16_64 0
		.amdhsa_float_denorm_mode_32 3
		.amdhsa_float_denorm_mode_16_64 3
		.amdhsa_dx10_clamp 1
		.amdhsa_ieee_mode 1
		.amdhsa_fp16_overflow 0
		.amdhsa_tg_split 0
		.amdhsa_exception_fp_ieee_invalid_op 0
		.amdhsa_exception_fp_denorm_src 0
		.amdhsa_exception_fp_ieee_div_zero 0
		.amdhsa_exception_fp_ieee_overflow 0
		.amdhsa_exception_fp_ieee_underflow 0
		.amdhsa_exception_fp_ieee_inexact 0
		.amdhsa_exception_int_div_zero 0
	.end_amdhsa_kernel
	.section	.text._ZN7rocprim17ROCPRIM_400000_NS6detail17trampoline_kernelINS0_14default_configENS1_35radix_sort_onesweep_config_selectorIbiEEZZNS1_29radix_sort_onesweep_iterationIS3_Lb1EN6thrust23THRUST_200600_302600_NS6detail15normal_iteratorINS8_10device_ptrIbEEEESD_NSA_INSB_IiEEEESF_jNS0_19identity_decomposerENS1_16block_id_wrapperIjLb0EEEEE10hipError_tT1_PNSt15iterator_traitsISK_E10value_typeET2_T3_PNSL_ISQ_E10value_typeET4_T5_PSV_SW_PNS1_23onesweep_lookback_stateEbbT6_jjT7_P12ihipStream_tbENKUlT_T0_SK_SP_E_clISD_PbSF_PiEEDaS13_S14_SK_SP_EUlS13_E_NS1_11comp_targetILNS1_3genE8ELNS1_11target_archE1030ELNS1_3gpuE2ELNS1_3repE0EEENS1_47radix_sort_onesweep_sort_config_static_selectorELNS0_4arch9wavefront6targetE1EEEvSK_,"axG",@progbits,_ZN7rocprim17ROCPRIM_400000_NS6detail17trampoline_kernelINS0_14default_configENS1_35radix_sort_onesweep_config_selectorIbiEEZZNS1_29radix_sort_onesweep_iterationIS3_Lb1EN6thrust23THRUST_200600_302600_NS6detail15normal_iteratorINS8_10device_ptrIbEEEESD_NSA_INSB_IiEEEESF_jNS0_19identity_decomposerENS1_16block_id_wrapperIjLb0EEEEE10hipError_tT1_PNSt15iterator_traitsISK_E10value_typeET2_T3_PNSL_ISQ_E10value_typeET4_T5_PSV_SW_PNS1_23onesweep_lookback_stateEbbT6_jjT7_P12ihipStream_tbENKUlT_T0_SK_SP_E_clISD_PbSF_PiEEDaS13_S14_SK_SP_EUlS13_E_NS1_11comp_targetILNS1_3genE8ELNS1_11target_archE1030ELNS1_3gpuE2ELNS1_3repE0EEENS1_47radix_sort_onesweep_sort_config_static_selectorELNS0_4arch9wavefront6targetE1EEEvSK_,comdat
.Lfunc_end2262:
	.size	_ZN7rocprim17ROCPRIM_400000_NS6detail17trampoline_kernelINS0_14default_configENS1_35radix_sort_onesweep_config_selectorIbiEEZZNS1_29radix_sort_onesweep_iterationIS3_Lb1EN6thrust23THRUST_200600_302600_NS6detail15normal_iteratorINS8_10device_ptrIbEEEESD_NSA_INSB_IiEEEESF_jNS0_19identity_decomposerENS1_16block_id_wrapperIjLb0EEEEE10hipError_tT1_PNSt15iterator_traitsISK_E10value_typeET2_T3_PNSL_ISQ_E10value_typeET4_T5_PSV_SW_PNS1_23onesweep_lookback_stateEbbT6_jjT7_P12ihipStream_tbENKUlT_T0_SK_SP_E_clISD_PbSF_PiEEDaS13_S14_SK_SP_EUlS13_E_NS1_11comp_targetILNS1_3genE8ELNS1_11target_archE1030ELNS1_3gpuE2ELNS1_3repE0EEENS1_47radix_sort_onesweep_sort_config_static_selectorELNS0_4arch9wavefront6targetE1EEEvSK_, .Lfunc_end2262-_ZN7rocprim17ROCPRIM_400000_NS6detail17trampoline_kernelINS0_14default_configENS1_35radix_sort_onesweep_config_selectorIbiEEZZNS1_29radix_sort_onesweep_iterationIS3_Lb1EN6thrust23THRUST_200600_302600_NS6detail15normal_iteratorINS8_10device_ptrIbEEEESD_NSA_INSB_IiEEEESF_jNS0_19identity_decomposerENS1_16block_id_wrapperIjLb0EEEEE10hipError_tT1_PNSt15iterator_traitsISK_E10value_typeET2_T3_PNSL_ISQ_E10value_typeET4_T5_PSV_SW_PNS1_23onesweep_lookback_stateEbbT6_jjT7_P12ihipStream_tbENKUlT_T0_SK_SP_E_clISD_PbSF_PiEEDaS13_S14_SK_SP_EUlS13_E_NS1_11comp_targetILNS1_3genE8ELNS1_11target_archE1030ELNS1_3gpuE2ELNS1_3repE0EEENS1_47radix_sort_onesweep_sort_config_static_selectorELNS0_4arch9wavefront6targetE1EEEvSK_
                                        ; -- End function
	.set _ZN7rocprim17ROCPRIM_400000_NS6detail17trampoline_kernelINS0_14default_configENS1_35radix_sort_onesweep_config_selectorIbiEEZZNS1_29radix_sort_onesweep_iterationIS3_Lb1EN6thrust23THRUST_200600_302600_NS6detail15normal_iteratorINS8_10device_ptrIbEEEESD_NSA_INSB_IiEEEESF_jNS0_19identity_decomposerENS1_16block_id_wrapperIjLb0EEEEE10hipError_tT1_PNSt15iterator_traitsISK_E10value_typeET2_T3_PNSL_ISQ_E10value_typeET4_T5_PSV_SW_PNS1_23onesweep_lookback_stateEbbT6_jjT7_P12ihipStream_tbENKUlT_T0_SK_SP_E_clISD_PbSF_PiEEDaS13_S14_SK_SP_EUlS13_E_NS1_11comp_targetILNS1_3genE8ELNS1_11target_archE1030ELNS1_3gpuE2ELNS1_3repE0EEENS1_47radix_sort_onesweep_sort_config_static_selectorELNS0_4arch9wavefront6targetE1EEEvSK_.num_vgpr, 0
	.set _ZN7rocprim17ROCPRIM_400000_NS6detail17trampoline_kernelINS0_14default_configENS1_35radix_sort_onesweep_config_selectorIbiEEZZNS1_29radix_sort_onesweep_iterationIS3_Lb1EN6thrust23THRUST_200600_302600_NS6detail15normal_iteratorINS8_10device_ptrIbEEEESD_NSA_INSB_IiEEEESF_jNS0_19identity_decomposerENS1_16block_id_wrapperIjLb0EEEEE10hipError_tT1_PNSt15iterator_traitsISK_E10value_typeET2_T3_PNSL_ISQ_E10value_typeET4_T5_PSV_SW_PNS1_23onesweep_lookback_stateEbbT6_jjT7_P12ihipStream_tbENKUlT_T0_SK_SP_E_clISD_PbSF_PiEEDaS13_S14_SK_SP_EUlS13_E_NS1_11comp_targetILNS1_3genE8ELNS1_11target_archE1030ELNS1_3gpuE2ELNS1_3repE0EEENS1_47radix_sort_onesweep_sort_config_static_selectorELNS0_4arch9wavefront6targetE1EEEvSK_.num_agpr, 0
	.set _ZN7rocprim17ROCPRIM_400000_NS6detail17trampoline_kernelINS0_14default_configENS1_35radix_sort_onesweep_config_selectorIbiEEZZNS1_29radix_sort_onesweep_iterationIS3_Lb1EN6thrust23THRUST_200600_302600_NS6detail15normal_iteratorINS8_10device_ptrIbEEEESD_NSA_INSB_IiEEEESF_jNS0_19identity_decomposerENS1_16block_id_wrapperIjLb0EEEEE10hipError_tT1_PNSt15iterator_traitsISK_E10value_typeET2_T3_PNSL_ISQ_E10value_typeET4_T5_PSV_SW_PNS1_23onesweep_lookback_stateEbbT6_jjT7_P12ihipStream_tbENKUlT_T0_SK_SP_E_clISD_PbSF_PiEEDaS13_S14_SK_SP_EUlS13_E_NS1_11comp_targetILNS1_3genE8ELNS1_11target_archE1030ELNS1_3gpuE2ELNS1_3repE0EEENS1_47radix_sort_onesweep_sort_config_static_selectorELNS0_4arch9wavefront6targetE1EEEvSK_.numbered_sgpr, 0
	.set _ZN7rocprim17ROCPRIM_400000_NS6detail17trampoline_kernelINS0_14default_configENS1_35radix_sort_onesweep_config_selectorIbiEEZZNS1_29radix_sort_onesweep_iterationIS3_Lb1EN6thrust23THRUST_200600_302600_NS6detail15normal_iteratorINS8_10device_ptrIbEEEESD_NSA_INSB_IiEEEESF_jNS0_19identity_decomposerENS1_16block_id_wrapperIjLb0EEEEE10hipError_tT1_PNSt15iterator_traitsISK_E10value_typeET2_T3_PNSL_ISQ_E10value_typeET4_T5_PSV_SW_PNS1_23onesweep_lookback_stateEbbT6_jjT7_P12ihipStream_tbENKUlT_T0_SK_SP_E_clISD_PbSF_PiEEDaS13_S14_SK_SP_EUlS13_E_NS1_11comp_targetILNS1_3genE8ELNS1_11target_archE1030ELNS1_3gpuE2ELNS1_3repE0EEENS1_47radix_sort_onesweep_sort_config_static_selectorELNS0_4arch9wavefront6targetE1EEEvSK_.num_named_barrier, 0
	.set _ZN7rocprim17ROCPRIM_400000_NS6detail17trampoline_kernelINS0_14default_configENS1_35radix_sort_onesweep_config_selectorIbiEEZZNS1_29radix_sort_onesweep_iterationIS3_Lb1EN6thrust23THRUST_200600_302600_NS6detail15normal_iteratorINS8_10device_ptrIbEEEESD_NSA_INSB_IiEEEESF_jNS0_19identity_decomposerENS1_16block_id_wrapperIjLb0EEEEE10hipError_tT1_PNSt15iterator_traitsISK_E10value_typeET2_T3_PNSL_ISQ_E10value_typeET4_T5_PSV_SW_PNS1_23onesweep_lookback_stateEbbT6_jjT7_P12ihipStream_tbENKUlT_T0_SK_SP_E_clISD_PbSF_PiEEDaS13_S14_SK_SP_EUlS13_E_NS1_11comp_targetILNS1_3genE8ELNS1_11target_archE1030ELNS1_3gpuE2ELNS1_3repE0EEENS1_47radix_sort_onesweep_sort_config_static_selectorELNS0_4arch9wavefront6targetE1EEEvSK_.private_seg_size, 0
	.set _ZN7rocprim17ROCPRIM_400000_NS6detail17trampoline_kernelINS0_14default_configENS1_35radix_sort_onesweep_config_selectorIbiEEZZNS1_29radix_sort_onesweep_iterationIS3_Lb1EN6thrust23THRUST_200600_302600_NS6detail15normal_iteratorINS8_10device_ptrIbEEEESD_NSA_INSB_IiEEEESF_jNS0_19identity_decomposerENS1_16block_id_wrapperIjLb0EEEEE10hipError_tT1_PNSt15iterator_traitsISK_E10value_typeET2_T3_PNSL_ISQ_E10value_typeET4_T5_PSV_SW_PNS1_23onesweep_lookback_stateEbbT6_jjT7_P12ihipStream_tbENKUlT_T0_SK_SP_E_clISD_PbSF_PiEEDaS13_S14_SK_SP_EUlS13_E_NS1_11comp_targetILNS1_3genE8ELNS1_11target_archE1030ELNS1_3gpuE2ELNS1_3repE0EEENS1_47radix_sort_onesweep_sort_config_static_selectorELNS0_4arch9wavefront6targetE1EEEvSK_.uses_vcc, 0
	.set _ZN7rocprim17ROCPRIM_400000_NS6detail17trampoline_kernelINS0_14default_configENS1_35radix_sort_onesweep_config_selectorIbiEEZZNS1_29radix_sort_onesweep_iterationIS3_Lb1EN6thrust23THRUST_200600_302600_NS6detail15normal_iteratorINS8_10device_ptrIbEEEESD_NSA_INSB_IiEEEESF_jNS0_19identity_decomposerENS1_16block_id_wrapperIjLb0EEEEE10hipError_tT1_PNSt15iterator_traitsISK_E10value_typeET2_T3_PNSL_ISQ_E10value_typeET4_T5_PSV_SW_PNS1_23onesweep_lookback_stateEbbT6_jjT7_P12ihipStream_tbENKUlT_T0_SK_SP_E_clISD_PbSF_PiEEDaS13_S14_SK_SP_EUlS13_E_NS1_11comp_targetILNS1_3genE8ELNS1_11target_archE1030ELNS1_3gpuE2ELNS1_3repE0EEENS1_47radix_sort_onesweep_sort_config_static_selectorELNS0_4arch9wavefront6targetE1EEEvSK_.uses_flat_scratch, 0
	.set _ZN7rocprim17ROCPRIM_400000_NS6detail17trampoline_kernelINS0_14default_configENS1_35radix_sort_onesweep_config_selectorIbiEEZZNS1_29radix_sort_onesweep_iterationIS3_Lb1EN6thrust23THRUST_200600_302600_NS6detail15normal_iteratorINS8_10device_ptrIbEEEESD_NSA_INSB_IiEEEESF_jNS0_19identity_decomposerENS1_16block_id_wrapperIjLb0EEEEE10hipError_tT1_PNSt15iterator_traitsISK_E10value_typeET2_T3_PNSL_ISQ_E10value_typeET4_T5_PSV_SW_PNS1_23onesweep_lookback_stateEbbT6_jjT7_P12ihipStream_tbENKUlT_T0_SK_SP_E_clISD_PbSF_PiEEDaS13_S14_SK_SP_EUlS13_E_NS1_11comp_targetILNS1_3genE8ELNS1_11target_archE1030ELNS1_3gpuE2ELNS1_3repE0EEENS1_47radix_sort_onesweep_sort_config_static_selectorELNS0_4arch9wavefront6targetE1EEEvSK_.has_dyn_sized_stack, 0
	.set _ZN7rocprim17ROCPRIM_400000_NS6detail17trampoline_kernelINS0_14default_configENS1_35radix_sort_onesweep_config_selectorIbiEEZZNS1_29radix_sort_onesweep_iterationIS3_Lb1EN6thrust23THRUST_200600_302600_NS6detail15normal_iteratorINS8_10device_ptrIbEEEESD_NSA_INSB_IiEEEESF_jNS0_19identity_decomposerENS1_16block_id_wrapperIjLb0EEEEE10hipError_tT1_PNSt15iterator_traitsISK_E10value_typeET2_T3_PNSL_ISQ_E10value_typeET4_T5_PSV_SW_PNS1_23onesweep_lookback_stateEbbT6_jjT7_P12ihipStream_tbENKUlT_T0_SK_SP_E_clISD_PbSF_PiEEDaS13_S14_SK_SP_EUlS13_E_NS1_11comp_targetILNS1_3genE8ELNS1_11target_archE1030ELNS1_3gpuE2ELNS1_3repE0EEENS1_47radix_sort_onesweep_sort_config_static_selectorELNS0_4arch9wavefront6targetE1EEEvSK_.has_recursion, 0
	.set _ZN7rocprim17ROCPRIM_400000_NS6detail17trampoline_kernelINS0_14default_configENS1_35radix_sort_onesweep_config_selectorIbiEEZZNS1_29radix_sort_onesweep_iterationIS3_Lb1EN6thrust23THRUST_200600_302600_NS6detail15normal_iteratorINS8_10device_ptrIbEEEESD_NSA_INSB_IiEEEESF_jNS0_19identity_decomposerENS1_16block_id_wrapperIjLb0EEEEE10hipError_tT1_PNSt15iterator_traitsISK_E10value_typeET2_T3_PNSL_ISQ_E10value_typeET4_T5_PSV_SW_PNS1_23onesweep_lookback_stateEbbT6_jjT7_P12ihipStream_tbENKUlT_T0_SK_SP_E_clISD_PbSF_PiEEDaS13_S14_SK_SP_EUlS13_E_NS1_11comp_targetILNS1_3genE8ELNS1_11target_archE1030ELNS1_3gpuE2ELNS1_3repE0EEENS1_47radix_sort_onesweep_sort_config_static_selectorELNS0_4arch9wavefront6targetE1EEEvSK_.has_indirect_call, 0
	.section	.AMDGPU.csdata,"",@progbits
; Kernel info:
; codeLenInByte = 0
; TotalNumSgprs: 6
; NumVgprs: 0
; NumAgprs: 0
; TotalNumVgprs: 0
; ScratchSize: 0
; MemoryBound: 0
; FloatMode: 240
; IeeeMode: 1
; LDSByteSize: 0 bytes/workgroup (compile time only)
; SGPRBlocks: 0
; VGPRBlocks: 0
; NumSGPRsForWavesPerEU: 6
; NumVGPRsForWavesPerEU: 1
; AccumOffset: 4
; Occupancy: 8
; WaveLimiterHint : 0
; COMPUTE_PGM_RSRC2:SCRATCH_EN: 0
; COMPUTE_PGM_RSRC2:USER_SGPR: 2
; COMPUTE_PGM_RSRC2:TRAP_HANDLER: 0
; COMPUTE_PGM_RSRC2:TGID_X_EN: 1
; COMPUTE_PGM_RSRC2:TGID_Y_EN: 0
; COMPUTE_PGM_RSRC2:TGID_Z_EN: 0
; COMPUTE_PGM_RSRC2:TIDIG_COMP_CNT: 0
; COMPUTE_PGM_RSRC3_GFX90A:ACCUM_OFFSET: 0
; COMPUTE_PGM_RSRC3_GFX90A:TG_SPLIT: 0
	.section	.text._ZN7rocprim17ROCPRIM_400000_NS6detail17trampoline_kernelINS0_14default_configENS1_35radix_sort_onesweep_config_selectorIbiEEZZNS1_29radix_sort_onesweep_iterationIS3_Lb1EN6thrust23THRUST_200600_302600_NS6detail15normal_iteratorINS8_10device_ptrIbEEEESD_NSA_INSB_IiEEEESF_jNS0_19identity_decomposerENS1_16block_id_wrapperIjLb0EEEEE10hipError_tT1_PNSt15iterator_traitsISK_E10value_typeET2_T3_PNSL_ISQ_E10value_typeET4_T5_PSV_SW_PNS1_23onesweep_lookback_stateEbbT6_jjT7_P12ihipStream_tbENKUlT_T0_SK_SP_E_clIPbSD_PiSF_EEDaS13_S14_SK_SP_EUlS13_E_NS1_11comp_targetILNS1_3genE0ELNS1_11target_archE4294967295ELNS1_3gpuE0ELNS1_3repE0EEENS1_47radix_sort_onesweep_sort_config_static_selectorELNS0_4arch9wavefront6targetE1EEEvSK_,"axG",@progbits,_ZN7rocprim17ROCPRIM_400000_NS6detail17trampoline_kernelINS0_14default_configENS1_35radix_sort_onesweep_config_selectorIbiEEZZNS1_29radix_sort_onesweep_iterationIS3_Lb1EN6thrust23THRUST_200600_302600_NS6detail15normal_iteratorINS8_10device_ptrIbEEEESD_NSA_INSB_IiEEEESF_jNS0_19identity_decomposerENS1_16block_id_wrapperIjLb0EEEEE10hipError_tT1_PNSt15iterator_traitsISK_E10value_typeET2_T3_PNSL_ISQ_E10value_typeET4_T5_PSV_SW_PNS1_23onesweep_lookback_stateEbbT6_jjT7_P12ihipStream_tbENKUlT_T0_SK_SP_E_clIPbSD_PiSF_EEDaS13_S14_SK_SP_EUlS13_E_NS1_11comp_targetILNS1_3genE0ELNS1_11target_archE4294967295ELNS1_3gpuE0ELNS1_3repE0EEENS1_47radix_sort_onesweep_sort_config_static_selectorELNS0_4arch9wavefront6targetE1EEEvSK_,comdat
	.protected	_ZN7rocprim17ROCPRIM_400000_NS6detail17trampoline_kernelINS0_14default_configENS1_35radix_sort_onesweep_config_selectorIbiEEZZNS1_29radix_sort_onesweep_iterationIS3_Lb1EN6thrust23THRUST_200600_302600_NS6detail15normal_iteratorINS8_10device_ptrIbEEEESD_NSA_INSB_IiEEEESF_jNS0_19identity_decomposerENS1_16block_id_wrapperIjLb0EEEEE10hipError_tT1_PNSt15iterator_traitsISK_E10value_typeET2_T3_PNSL_ISQ_E10value_typeET4_T5_PSV_SW_PNS1_23onesweep_lookback_stateEbbT6_jjT7_P12ihipStream_tbENKUlT_T0_SK_SP_E_clIPbSD_PiSF_EEDaS13_S14_SK_SP_EUlS13_E_NS1_11comp_targetILNS1_3genE0ELNS1_11target_archE4294967295ELNS1_3gpuE0ELNS1_3repE0EEENS1_47radix_sort_onesweep_sort_config_static_selectorELNS0_4arch9wavefront6targetE1EEEvSK_ ; -- Begin function _ZN7rocprim17ROCPRIM_400000_NS6detail17trampoline_kernelINS0_14default_configENS1_35radix_sort_onesweep_config_selectorIbiEEZZNS1_29radix_sort_onesweep_iterationIS3_Lb1EN6thrust23THRUST_200600_302600_NS6detail15normal_iteratorINS8_10device_ptrIbEEEESD_NSA_INSB_IiEEEESF_jNS0_19identity_decomposerENS1_16block_id_wrapperIjLb0EEEEE10hipError_tT1_PNSt15iterator_traitsISK_E10value_typeET2_T3_PNSL_ISQ_E10value_typeET4_T5_PSV_SW_PNS1_23onesweep_lookback_stateEbbT6_jjT7_P12ihipStream_tbENKUlT_T0_SK_SP_E_clIPbSD_PiSF_EEDaS13_S14_SK_SP_EUlS13_E_NS1_11comp_targetILNS1_3genE0ELNS1_11target_archE4294967295ELNS1_3gpuE0ELNS1_3repE0EEENS1_47radix_sort_onesweep_sort_config_static_selectorELNS0_4arch9wavefront6targetE1EEEvSK_
	.globl	_ZN7rocprim17ROCPRIM_400000_NS6detail17trampoline_kernelINS0_14default_configENS1_35radix_sort_onesweep_config_selectorIbiEEZZNS1_29radix_sort_onesweep_iterationIS3_Lb1EN6thrust23THRUST_200600_302600_NS6detail15normal_iteratorINS8_10device_ptrIbEEEESD_NSA_INSB_IiEEEESF_jNS0_19identity_decomposerENS1_16block_id_wrapperIjLb0EEEEE10hipError_tT1_PNSt15iterator_traitsISK_E10value_typeET2_T3_PNSL_ISQ_E10value_typeET4_T5_PSV_SW_PNS1_23onesweep_lookback_stateEbbT6_jjT7_P12ihipStream_tbENKUlT_T0_SK_SP_E_clIPbSD_PiSF_EEDaS13_S14_SK_SP_EUlS13_E_NS1_11comp_targetILNS1_3genE0ELNS1_11target_archE4294967295ELNS1_3gpuE0ELNS1_3repE0EEENS1_47radix_sort_onesweep_sort_config_static_selectorELNS0_4arch9wavefront6targetE1EEEvSK_
	.p2align	8
	.type	_ZN7rocprim17ROCPRIM_400000_NS6detail17trampoline_kernelINS0_14default_configENS1_35radix_sort_onesweep_config_selectorIbiEEZZNS1_29radix_sort_onesweep_iterationIS3_Lb1EN6thrust23THRUST_200600_302600_NS6detail15normal_iteratorINS8_10device_ptrIbEEEESD_NSA_INSB_IiEEEESF_jNS0_19identity_decomposerENS1_16block_id_wrapperIjLb0EEEEE10hipError_tT1_PNSt15iterator_traitsISK_E10value_typeET2_T3_PNSL_ISQ_E10value_typeET4_T5_PSV_SW_PNS1_23onesweep_lookback_stateEbbT6_jjT7_P12ihipStream_tbENKUlT_T0_SK_SP_E_clIPbSD_PiSF_EEDaS13_S14_SK_SP_EUlS13_E_NS1_11comp_targetILNS1_3genE0ELNS1_11target_archE4294967295ELNS1_3gpuE0ELNS1_3repE0EEENS1_47radix_sort_onesweep_sort_config_static_selectorELNS0_4arch9wavefront6targetE1EEEvSK_,@function
_ZN7rocprim17ROCPRIM_400000_NS6detail17trampoline_kernelINS0_14default_configENS1_35radix_sort_onesweep_config_selectorIbiEEZZNS1_29radix_sort_onesweep_iterationIS3_Lb1EN6thrust23THRUST_200600_302600_NS6detail15normal_iteratorINS8_10device_ptrIbEEEESD_NSA_INSB_IiEEEESF_jNS0_19identity_decomposerENS1_16block_id_wrapperIjLb0EEEEE10hipError_tT1_PNSt15iterator_traitsISK_E10value_typeET2_T3_PNSL_ISQ_E10value_typeET4_T5_PSV_SW_PNS1_23onesweep_lookback_stateEbbT6_jjT7_P12ihipStream_tbENKUlT_T0_SK_SP_E_clIPbSD_PiSF_EEDaS13_S14_SK_SP_EUlS13_E_NS1_11comp_targetILNS1_3genE0ELNS1_11target_archE4294967295ELNS1_3gpuE0ELNS1_3repE0EEENS1_47radix_sort_onesweep_sort_config_static_selectorELNS0_4arch9wavefront6targetE1EEEvSK_: ; @_ZN7rocprim17ROCPRIM_400000_NS6detail17trampoline_kernelINS0_14default_configENS1_35radix_sort_onesweep_config_selectorIbiEEZZNS1_29radix_sort_onesweep_iterationIS3_Lb1EN6thrust23THRUST_200600_302600_NS6detail15normal_iteratorINS8_10device_ptrIbEEEESD_NSA_INSB_IiEEEESF_jNS0_19identity_decomposerENS1_16block_id_wrapperIjLb0EEEEE10hipError_tT1_PNSt15iterator_traitsISK_E10value_typeET2_T3_PNSL_ISQ_E10value_typeET4_T5_PSV_SW_PNS1_23onesweep_lookback_stateEbbT6_jjT7_P12ihipStream_tbENKUlT_T0_SK_SP_E_clIPbSD_PiSF_EEDaS13_S14_SK_SP_EUlS13_E_NS1_11comp_targetILNS1_3genE0ELNS1_11target_archE4294967295ELNS1_3gpuE0ELNS1_3repE0EEENS1_47radix_sort_onesweep_sort_config_static_selectorELNS0_4arch9wavefront6targetE1EEEvSK_
; %bb.0:
	.section	.rodata,"a",@progbits
	.p2align	6, 0x0
	.amdhsa_kernel _ZN7rocprim17ROCPRIM_400000_NS6detail17trampoline_kernelINS0_14default_configENS1_35radix_sort_onesweep_config_selectorIbiEEZZNS1_29radix_sort_onesweep_iterationIS3_Lb1EN6thrust23THRUST_200600_302600_NS6detail15normal_iteratorINS8_10device_ptrIbEEEESD_NSA_INSB_IiEEEESF_jNS0_19identity_decomposerENS1_16block_id_wrapperIjLb0EEEEE10hipError_tT1_PNSt15iterator_traitsISK_E10value_typeET2_T3_PNSL_ISQ_E10value_typeET4_T5_PSV_SW_PNS1_23onesweep_lookback_stateEbbT6_jjT7_P12ihipStream_tbENKUlT_T0_SK_SP_E_clIPbSD_PiSF_EEDaS13_S14_SK_SP_EUlS13_E_NS1_11comp_targetILNS1_3genE0ELNS1_11target_archE4294967295ELNS1_3gpuE0ELNS1_3repE0EEENS1_47radix_sort_onesweep_sort_config_static_selectorELNS0_4arch9wavefront6targetE1EEEvSK_
		.amdhsa_group_segment_fixed_size 0
		.amdhsa_private_segment_fixed_size 0
		.amdhsa_kernarg_size 88
		.amdhsa_user_sgpr_count 2
		.amdhsa_user_sgpr_dispatch_ptr 0
		.amdhsa_user_sgpr_queue_ptr 0
		.amdhsa_user_sgpr_kernarg_segment_ptr 1
		.amdhsa_user_sgpr_dispatch_id 0
		.amdhsa_user_sgpr_kernarg_preload_length 0
		.amdhsa_user_sgpr_kernarg_preload_offset 0
		.amdhsa_user_sgpr_private_segment_size 0
		.amdhsa_uses_dynamic_stack 0
		.amdhsa_enable_private_segment 0
		.amdhsa_system_sgpr_workgroup_id_x 1
		.amdhsa_system_sgpr_workgroup_id_y 0
		.amdhsa_system_sgpr_workgroup_id_z 0
		.amdhsa_system_sgpr_workgroup_info 0
		.amdhsa_system_vgpr_workitem_id 0
		.amdhsa_next_free_vgpr 1
		.amdhsa_next_free_sgpr 0
		.amdhsa_accum_offset 4
		.amdhsa_reserve_vcc 0
		.amdhsa_float_round_mode_32 0
		.amdhsa_float_round_mode_16_64 0
		.amdhsa_float_denorm_mode_32 3
		.amdhsa_float_denorm_mode_16_64 3
		.amdhsa_dx10_clamp 1
		.amdhsa_ieee_mode 1
		.amdhsa_fp16_overflow 0
		.amdhsa_tg_split 0
		.amdhsa_exception_fp_ieee_invalid_op 0
		.amdhsa_exception_fp_denorm_src 0
		.amdhsa_exception_fp_ieee_div_zero 0
		.amdhsa_exception_fp_ieee_overflow 0
		.amdhsa_exception_fp_ieee_underflow 0
		.amdhsa_exception_fp_ieee_inexact 0
		.amdhsa_exception_int_div_zero 0
	.end_amdhsa_kernel
	.section	.text._ZN7rocprim17ROCPRIM_400000_NS6detail17trampoline_kernelINS0_14default_configENS1_35radix_sort_onesweep_config_selectorIbiEEZZNS1_29radix_sort_onesweep_iterationIS3_Lb1EN6thrust23THRUST_200600_302600_NS6detail15normal_iteratorINS8_10device_ptrIbEEEESD_NSA_INSB_IiEEEESF_jNS0_19identity_decomposerENS1_16block_id_wrapperIjLb0EEEEE10hipError_tT1_PNSt15iterator_traitsISK_E10value_typeET2_T3_PNSL_ISQ_E10value_typeET4_T5_PSV_SW_PNS1_23onesweep_lookback_stateEbbT6_jjT7_P12ihipStream_tbENKUlT_T0_SK_SP_E_clIPbSD_PiSF_EEDaS13_S14_SK_SP_EUlS13_E_NS1_11comp_targetILNS1_3genE0ELNS1_11target_archE4294967295ELNS1_3gpuE0ELNS1_3repE0EEENS1_47radix_sort_onesweep_sort_config_static_selectorELNS0_4arch9wavefront6targetE1EEEvSK_,"axG",@progbits,_ZN7rocprim17ROCPRIM_400000_NS6detail17trampoline_kernelINS0_14default_configENS1_35radix_sort_onesweep_config_selectorIbiEEZZNS1_29radix_sort_onesweep_iterationIS3_Lb1EN6thrust23THRUST_200600_302600_NS6detail15normal_iteratorINS8_10device_ptrIbEEEESD_NSA_INSB_IiEEEESF_jNS0_19identity_decomposerENS1_16block_id_wrapperIjLb0EEEEE10hipError_tT1_PNSt15iterator_traitsISK_E10value_typeET2_T3_PNSL_ISQ_E10value_typeET4_T5_PSV_SW_PNS1_23onesweep_lookback_stateEbbT6_jjT7_P12ihipStream_tbENKUlT_T0_SK_SP_E_clIPbSD_PiSF_EEDaS13_S14_SK_SP_EUlS13_E_NS1_11comp_targetILNS1_3genE0ELNS1_11target_archE4294967295ELNS1_3gpuE0ELNS1_3repE0EEENS1_47radix_sort_onesweep_sort_config_static_selectorELNS0_4arch9wavefront6targetE1EEEvSK_,comdat
.Lfunc_end2263:
	.size	_ZN7rocprim17ROCPRIM_400000_NS6detail17trampoline_kernelINS0_14default_configENS1_35radix_sort_onesweep_config_selectorIbiEEZZNS1_29radix_sort_onesweep_iterationIS3_Lb1EN6thrust23THRUST_200600_302600_NS6detail15normal_iteratorINS8_10device_ptrIbEEEESD_NSA_INSB_IiEEEESF_jNS0_19identity_decomposerENS1_16block_id_wrapperIjLb0EEEEE10hipError_tT1_PNSt15iterator_traitsISK_E10value_typeET2_T3_PNSL_ISQ_E10value_typeET4_T5_PSV_SW_PNS1_23onesweep_lookback_stateEbbT6_jjT7_P12ihipStream_tbENKUlT_T0_SK_SP_E_clIPbSD_PiSF_EEDaS13_S14_SK_SP_EUlS13_E_NS1_11comp_targetILNS1_3genE0ELNS1_11target_archE4294967295ELNS1_3gpuE0ELNS1_3repE0EEENS1_47radix_sort_onesweep_sort_config_static_selectorELNS0_4arch9wavefront6targetE1EEEvSK_, .Lfunc_end2263-_ZN7rocprim17ROCPRIM_400000_NS6detail17trampoline_kernelINS0_14default_configENS1_35radix_sort_onesweep_config_selectorIbiEEZZNS1_29radix_sort_onesweep_iterationIS3_Lb1EN6thrust23THRUST_200600_302600_NS6detail15normal_iteratorINS8_10device_ptrIbEEEESD_NSA_INSB_IiEEEESF_jNS0_19identity_decomposerENS1_16block_id_wrapperIjLb0EEEEE10hipError_tT1_PNSt15iterator_traitsISK_E10value_typeET2_T3_PNSL_ISQ_E10value_typeET4_T5_PSV_SW_PNS1_23onesweep_lookback_stateEbbT6_jjT7_P12ihipStream_tbENKUlT_T0_SK_SP_E_clIPbSD_PiSF_EEDaS13_S14_SK_SP_EUlS13_E_NS1_11comp_targetILNS1_3genE0ELNS1_11target_archE4294967295ELNS1_3gpuE0ELNS1_3repE0EEENS1_47radix_sort_onesweep_sort_config_static_selectorELNS0_4arch9wavefront6targetE1EEEvSK_
                                        ; -- End function
	.set _ZN7rocprim17ROCPRIM_400000_NS6detail17trampoline_kernelINS0_14default_configENS1_35radix_sort_onesweep_config_selectorIbiEEZZNS1_29radix_sort_onesweep_iterationIS3_Lb1EN6thrust23THRUST_200600_302600_NS6detail15normal_iteratorINS8_10device_ptrIbEEEESD_NSA_INSB_IiEEEESF_jNS0_19identity_decomposerENS1_16block_id_wrapperIjLb0EEEEE10hipError_tT1_PNSt15iterator_traitsISK_E10value_typeET2_T3_PNSL_ISQ_E10value_typeET4_T5_PSV_SW_PNS1_23onesweep_lookback_stateEbbT6_jjT7_P12ihipStream_tbENKUlT_T0_SK_SP_E_clIPbSD_PiSF_EEDaS13_S14_SK_SP_EUlS13_E_NS1_11comp_targetILNS1_3genE0ELNS1_11target_archE4294967295ELNS1_3gpuE0ELNS1_3repE0EEENS1_47radix_sort_onesweep_sort_config_static_selectorELNS0_4arch9wavefront6targetE1EEEvSK_.num_vgpr, 0
	.set _ZN7rocprim17ROCPRIM_400000_NS6detail17trampoline_kernelINS0_14default_configENS1_35radix_sort_onesweep_config_selectorIbiEEZZNS1_29radix_sort_onesweep_iterationIS3_Lb1EN6thrust23THRUST_200600_302600_NS6detail15normal_iteratorINS8_10device_ptrIbEEEESD_NSA_INSB_IiEEEESF_jNS0_19identity_decomposerENS1_16block_id_wrapperIjLb0EEEEE10hipError_tT1_PNSt15iterator_traitsISK_E10value_typeET2_T3_PNSL_ISQ_E10value_typeET4_T5_PSV_SW_PNS1_23onesweep_lookback_stateEbbT6_jjT7_P12ihipStream_tbENKUlT_T0_SK_SP_E_clIPbSD_PiSF_EEDaS13_S14_SK_SP_EUlS13_E_NS1_11comp_targetILNS1_3genE0ELNS1_11target_archE4294967295ELNS1_3gpuE0ELNS1_3repE0EEENS1_47radix_sort_onesweep_sort_config_static_selectorELNS0_4arch9wavefront6targetE1EEEvSK_.num_agpr, 0
	.set _ZN7rocprim17ROCPRIM_400000_NS6detail17trampoline_kernelINS0_14default_configENS1_35radix_sort_onesweep_config_selectorIbiEEZZNS1_29radix_sort_onesweep_iterationIS3_Lb1EN6thrust23THRUST_200600_302600_NS6detail15normal_iteratorINS8_10device_ptrIbEEEESD_NSA_INSB_IiEEEESF_jNS0_19identity_decomposerENS1_16block_id_wrapperIjLb0EEEEE10hipError_tT1_PNSt15iterator_traitsISK_E10value_typeET2_T3_PNSL_ISQ_E10value_typeET4_T5_PSV_SW_PNS1_23onesweep_lookback_stateEbbT6_jjT7_P12ihipStream_tbENKUlT_T0_SK_SP_E_clIPbSD_PiSF_EEDaS13_S14_SK_SP_EUlS13_E_NS1_11comp_targetILNS1_3genE0ELNS1_11target_archE4294967295ELNS1_3gpuE0ELNS1_3repE0EEENS1_47radix_sort_onesweep_sort_config_static_selectorELNS0_4arch9wavefront6targetE1EEEvSK_.numbered_sgpr, 0
	.set _ZN7rocprim17ROCPRIM_400000_NS6detail17trampoline_kernelINS0_14default_configENS1_35radix_sort_onesweep_config_selectorIbiEEZZNS1_29radix_sort_onesweep_iterationIS3_Lb1EN6thrust23THRUST_200600_302600_NS6detail15normal_iteratorINS8_10device_ptrIbEEEESD_NSA_INSB_IiEEEESF_jNS0_19identity_decomposerENS1_16block_id_wrapperIjLb0EEEEE10hipError_tT1_PNSt15iterator_traitsISK_E10value_typeET2_T3_PNSL_ISQ_E10value_typeET4_T5_PSV_SW_PNS1_23onesweep_lookback_stateEbbT6_jjT7_P12ihipStream_tbENKUlT_T0_SK_SP_E_clIPbSD_PiSF_EEDaS13_S14_SK_SP_EUlS13_E_NS1_11comp_targetILNS1_3genE0ELNS1_11target_archE4294967295ELNS1_3gpuE0ELNS1_3repE0EEENS1_47radix_sort_onesweep_sort_config_static_selectorELNS0_4arch9wavefront6targetE1EEEvSK_.num_named_barrier, 0
	.set _ZN7rocprim17ROCPRIM_400000_NS6detail17trampoline_kernelINS0_14default_configENS1_35radix_sort_onesweep_config_selectorIbiEEZZNS1_29radix_sort_onesweep_iterationIS3_Lb1EN6thrust23THRUST_200600_302600_NS6detail15normal_iteratorINS8_10device_ptrIbEEEESD_NSA_INSB_IiEEEESF_jNS0_19identity_decomposerENS1_16block_id_wrapperIjLb0EEEEE10hipError_tT1_PNSt15iterator_traitsISK_E10value_typeET2_T3_PNSL_ISQ_E10value_typeET4_T5_PSV_SW_PNS1_23onesweep_lookback_stateEbbT6_jjT7_P12ihipStream_tbENKUlT_T0_SK_SP_E_clIPbSD_PiSF_EEDaS13_S14_SK_SP_EUlS13_E_NS1_11comp_targetILNS1_3genE0ELNS1_11target_archE4294967295ELNS1_3gpuE0ELNS1_3repE0EEENS1_47radix_sort_onesweep_sort_config_static_selectorELNS0_4arch9wavefront6targetE1EEEvSK_.private_seg_size, 0
	.set _ZN7rocprim17ROCPRIM_400000_NS6detail17trampoline_kernelINS0_14default_configENS1_35radix_sort_onesweep_config_selectorIbiEEZZNS1_29radix_sort_onesweep_iterationIS3_Lb1EN6thrust23THRUST_200600_302600_NS6detail15normal_iteratorINS8_10device_ptrIbEEEESD_NSA_INSB_IiEEEESF_jNS0_19identity_decomposerENS1_16block_id_wrapperIjLb0EEEEE10hipError_tT1_PNSt15iterator_traitsISK_E10value_typeET2_T3_PNSL_ISQ_E10value_typeET4_T5_PSV_SW_PNS1_23onesweep_lookback_stateEbbT6_jjT7_P12ihipStream_tbENKUlT_T0_SK_SP_E_clIPbSD_PiSF_EEDaS13_S14_SK_SP_EUlS13_E_NS1_11comp_targetILNS1_3genE0ELNS1_11target_archE4294967295ELNS1_3gpuE0ELNS1_3repE0EEENS1_47radix_sort_onesweep_sort_config_static_selectorELNS0_4arch9wavefront6targetE1EEEvSK_.uses_vcc, 0
	.set _ZN7rocprim17ROCPRIM_400000_NS6detail17trampoline_kernelINS0_14default_configENS1_35radix_sort_onesweep_config_selectorIbiEEZZNS1_29radix_sort_onesweep_iterationIS3_Lb1EN6thrust23THRUST_200600_302600_NS6detail15normal_iteratorINS8_10device_ptrIbEEEESD_NSA_INSB_IiEEEESF_jNS0_19identity_decomposerENS1_16block_id_wrapperIjLb0EEEEE10hipError_tT1_PNSt15iterator_traitsISK_E10value_typeET2_T3_PNSL_ISQ_E10value_typeET4_T5_PSV_SW_PNS1_23onesweep_lookback_stateEbbT6_jjT7_P12ihipStream_tbENKUlT_T0_SK_SP_E_clIPbSD_PiSF_EEDaS13_S14_SK_SP_EUlS13_E_NS1_11comp_targetILNS1_3genE0ELNS1_11target_archE4294967295ELNS1_3gpuE0ELNS1_3repE0EEENS1_47radix_sort_onesweep_sort_config_static_selectorELNS0_4arch9wavefront6targetE1EEEvSK_.uses_flat_scratch, 0
	.set _ZN7rocprim17ROCPRIM_400000_NS6detail17trampoline_kernelINS0_14default_configENS1_35radix_sort_onesweep_config_selectorIbiEEZZNS1_29radix_sort_onesweep_iterationIS3_Lb1EN6thrust23THRUST_200600_302600_NS6detail15normal_iteratorINS8_10device_ptrIbEEEESD_NSA_INSB_IiEEEESF_jNS0_19identity_decomposerENS1_16block_id_wrapperIjLb0EEEEE10hipError_tT1_PNSt15iterator_traitsISK_E10value_typeET2_T3_PNSL_ISQ_E10value_typeET4_T5_PSV_SW_PNS1_23onesweep_lookback_stateEbbT6_jjT7_P12ihipStream_tbENKUlT_T0_SK_SP_E_clIPbSD_PiSF_EEDaS13_S14_SK_SP_EUlS13_E_NS1_11comp_targetILNS1_3genE0ELNS1_11target_archE4294967295ELNS1_3gpuE0ELNS1_3repE0EEENS1_47radix_sort_onesweep_sort_config_static_selectorELNS0_4arch9wavefront6targetE1EEEvSK_.has_dyn_sized_stack, 0
	.set _ZN7rocprim17ROCPRIM_400000_NS6detail17trampoline_kernelINS0_14default_configENS1_35radix_sort_onesweep_config_selectorIbiEEZZNS1_29radix_sort_onesweep_iterationIS3_Lb1EN6thrust23THRUST_200600_302600_NS6detail15normal_iteratorINS8_10device_ptrIbEEEESD_NSA_INSB_IiEEEESF_jNS0_19identity_decomposerENS1_16block_id_wrapperIjLb0EEEEE10hipError_tT1_PNSt15iterator_traitsISK_E10value_typeET2_T3_PNSL_ISQ_E10value_typeET4_T5_PSV_SW_PNS1_23onesweep_lookback_stateEbbT6_jjT7_P12ihipStream_tbENKUlT_T0_SK_SP_E_clIPbSD_PiSF_EEDaS13_S14_SK_SP_EUlS13_E_NS1_11comp_targetILNS1_3genE0ELNS1_11target_archE4294967295ELNS1_3gpuE0ELNS1_3repE0EEENS1_47radix_sort_onesweep_sort_config_static_selectorELNS0_4arch9wavefront6targetE1EEEvSK_.has_recursion, 0
	.set _ZN7rocprim17ROCPRIM_400000_NS6detail17trampoline_kernelINS0_14default_configENS1_35radix_sort_onesweep_config_selectorIbiEEZZNS1_29radix_sort_onesweep_iterationIS3_Lb1EN6thrust23THRUST_200600_302600_NS6detail15normal_iteratorINS8_10device_ptrIbEEEESD_NSA_INSB_IiEEEESF_jNS0_19identity_decomposerENS1_16block_id_wrapperIjLb0EEEEE10hipError_tT1_PNSt15iterator_traitsISK_E10value_typeET2_T3_PNSL_ISQ_E10value_typeET4_T5_PSV_SW_PNS1_23onesweep_lookback_stateEbbT6_jjT7_P12ihipStream_tbENKUlT_T0_SK_SP_E_clIPbSD_PiSF_EEDaS13_S14_SK_SP_EUlS13_E_NS1_11comp_targetILNS1_3genE0ELNS1_11target_archE4294967295ELNS1_3gpuE0ELNS1_3repE0EEENS1_47radix_sort_onesweep_sort_config_static_selectorELNS0_4arch9wavefront6targetE1EEEvSK_.has_indirect_call, 0
	.section	.AMDGPU.csdata,"",@progbits
; Kernel info:
; codeLenInByte = 0
; TotalNumSgprs: 6
; NumVgprs: 0
; NumAgprs: 0
; TotalNumVgprs: 0
; ScratchSize: 0
; MemoryBound: 0
; FloatMode: 240
; IeeeMode: 1
; LDSByteSize: 0 bytes/workgroup (compile time only)
; SGPRBlocks: 0
; VGPRBlocks: 0
; NumSGPRsForWavesPerEU: 6
; NumVGPRsForWavesPerEU: 1
; AccumOffset: 4
; Occupancy: 8
; WaveLimiterHint : 0
; COMPUTE_PGM_RSRC2:SCRATCH_EN: 0
; COMPUTE_PGM_RSRC2:USER_SGPR: 2
; COMPUTE_PGM_RSRC2:TRAP_HANDLER: 0
; COMPUTE_PGM_RSRC2:TGID_X_EN: 1
; COMPUTE_PGM_RSRC2:TGID_Y_EN: 0
; COMPUTE_PGM_RSRC2:TGID_Z_EN: 0
; COMPUTE_PGM_RSRC2:TIDIG_COMP_CNT: 0
; COMPUTE_PGM_RSRC3_GFX90A:ACCUM_OFFSET: 0
; COMPUTE_PGM_RSRC3_GFX90A:TG_SPLIT: 0
	.section	.text._ZN7rocprim17ROCPRIM_400000_NS6detail17trampoline_kernelINS0_14default_configENS1_35radix_sort_onesweep_config_selectorIbiEEZZNS1_29radix_sort_onesweep_iterationIS3_Lb1EN6thrust23THRUST_200600_302600_NS6detail15normal_iteratorINS8_10device_ptrIbEEEESD_NSA_INSB_IiEEEESF_jNS0_19identity_decomposerENS1_16block_id_wrapperIjLb0EEEEE10hipError_tT1_PNSt15iterator_traitsISK_E10value_typeET2_T3_PNSL_ISQ_E10value_typeET4_T5_PSV_SW_PNS1_23onesweep_lookback_stateEbbT6_jjT7_P12ihipStream_tbENKUlT_T0_SK_SP_E_clIPbSD_PiSF_EEDaS13_S14_SK_SP_EUlS13_E_NS1_11comp_targetILNS1_3genE6ELNS1_11target_archE950ELNS1_3gpuE13ELNS1_3repE0EEENS1_47radix_sort_onesweep_sort_config_static_selectorELNS0_4arch9wavefront6targetE1EEEvSK_,"axG",@progbits,_ZN7rocprim17ROCPRIM_400000_NS6detail17trampoline_kernelINS0_14default_configENS1_35radix_sort_onesweep_config_selectorIbiEEZZNS1_29radix_sort_onesweep_iterationIS3_Lb1EN6thrust23THRUST_200600_302600_NS6detail15normal_iteratorINS8_10device_ptrIbEEEESD_NSA_INSB_IiEEEESF_jNS0_19identity_decomposerENS1_16block_id_wrapperIjLb0EEEEE10hipError_tT1_PNSt15iterator_traitsISK_E10value_typeET2_T3_PNSL_ISQ_E10value_typeET4_T5_PSV_SW_PNS1_23onesweep_lookback_stateEbbT6_jjT7_P12ihipStream_tbENKUlT_T0_SK_SP_E_clIPbSD_PiSF_EEDaS13_S14_SK_SP_EUlS13_E_NS1_11comp_targetILNS1_3genE6ELNS1_11target_archE950ELNS1_3gpuE13ELNS1_3repE0EEENS1_47radix_sort_onesweep_sort_config_static_selectorELNS0_4arch9wavefront6targetE1EEEvSK_,comdat
	.protected	_ZN7rocprim17ROCPRIM_400000_NS6detail17trampoline_kernelINS0_14default_configENS1_35radix_sort_onesweep_config_selectorIbiEEZZNS1_29radix_sort_onesweep_iterationIS3_Lb1EN6thrust23THRUST_200600_302600_NS6detail15normal_iteratorINS8_10device_ptrIbEEEESD_NSA_INSB_IiEEEESF_jNS0_19identity_decomposerENS1_16block_id_wrapperIjLb0EEEEE10hipError_tT1_PNSt15iterator_traitsISK_E10value_typeET2_T3_PNSL_ISQ_E10value_typeET4_T5_PSV_SW_PNS1_23onesweep_lookback_stateEbbT6_jjT7_P12ihipStream_tbENKUlT_T0_SK_SP_E_clIPbSD_PiSF_EEDaS13_S14_SK_SP_EUlS13_E_NS1_11comp_targetILNS1_3genE6ELNS1_11target_archE950ELNS1_3gpuE13ELNS1_3repE0EEENS1_47radix_sort_onesweep_sort_config_static_selectorELNS0_4arch9wavefront6targetE1EEEvSK_ ; -- Begin function _ZN7rocprim17ROCPRIM_400000_NS6detail17trampoline_kernelINS0_14default_configENS1_35radix_sort_onesweep_config_selectorIbiEEZZNS1_29radix_sort_onesweep_iterationIS3_Lb1EN6thrust23THRUST_200600_302600_NS6detail15normal_iteratorINS8_10device_ptrIbEEEESD_NSA_INSB_IiEEEESF_jNS0_19identity_decomposerENS1_16block_id_wrapperIjLb0EEEEE10hipError_tT1_PNSt15iterator_traitsISK_E10value_typeET2_T3_PNSL_ISQ_E10value_typeET4_T5_PSV_SW_PNS1_23onesweep_lookback_stateEbbT6_jjT7_P12ihipStream_tbENKUlT_T0_SK_SP_E_clIPbSD_PiSF_EEDaS13_S14_SK_SP_EUlS13_E_NS1_11comp_targetILNS1_3genE6ELNS1_11target_archE950ELNS1_3gpuE13ELNS1_3repE0EEENS1_47radix_sort_onesweep_sort_config_static_selectorELNS0_4arch9wavefront6targetE1EEEvSK_
	.globl	_ZN7rocprim17ROCPRIM_400000_NS6detail17trampoline_kernelINS0_14default_configENS1_35radix_sort_onesweep_config_selectorIbiEEZZNS1_29radix_sort_onesweep_iterationIS3_Lb1EN6thrust23THRUST_200600_302600_NS6detail15normal_iteratorINS8_10device_ptrIbEEEESD_NSA_INSB_IiEEEESF_jNS0_19identity_decomposerENS1_16block_id_wrapperIjLb0EEEEE10hipError_tT1_PNSt15iterator_traitsISK_E10value_typeET2_T3_PNSL_ISQ_E10value_typeET4_T5_PSV_SW_PNS1_23onesweep_lookback_stateEbbT6_jjT7_P12ihipStream_tbENKUlT_T0_SK_SP_E_clIPbSD_PiSF_EEDaS13_S14_SK_SP_EUlS13_E_NS1_11comp_targetILNS1_3genE6ELNS1_11target_archE950ELNS1_3gpuE13ELNS1_3repE0EEENS1_47radix_sort_onesweep_sort_config_static_selectorELNS0_4arch9wavefront6targetE1EEEvSK_
	.p2align	8
	.type	_ZN7rocprim17ROCPRIM_400000_NS6detail17trampoline_kernelINS0_14default_configENS1_35radix_sort_onesweep_config_selectorIbiEEZZNS1_29radix_sort_onesweep_iterationIS3_Lb1EN6thrust23THRUST_200600_302600_NS6detail15normal_iteratorINS8_10device_ptrIbEEEESD_NSA_INSB_IiEEEESF_jNS0_19identity_decomposerENS1_16block_id_wrapperIjLb0EEEEE10hipError_tT1_PNSt15iterator_traitsISK_E10value_typeET2_T3_PNSL_ISQ_E10value_typeET4_T5_PSV_SW_PNS1_23onesweep_lookback_stateEbbT6_jjT7_P12ihipStream_tbENKUlT_T0_SK_SP_E_clIPbSD_PiSF_EEDaS13_S14_SK_SP_EUlS13_E_NS1_11comp_targetILNS1_3genE6ELNS1_11target_archE950ELNS1_3gpuE13ELNS1_3repE0EEENS1_47radix_sort_onesweep_sort_config_static_selectorELNS0_4arch9wavefront6targetE1EEEvSK_,@function
_ZN7rocprim17ROCPRIM_400000_NS6detail17trampoline_kernelINS0_14default_configENS1_35radix_sort_onesweep_config_selectorIbiEEZZNS1_29radix_sort_onesweep_iterationIS3_Lb1EN6thrust23THRUST_200600_302600_NS6detail15normal_iteratorINS8_10device_ptrIbEEEESD_NSA_INSB_IiEEEESF_jNS0_19identity_decomposerENS1_16block_id_wrapperIjLb0EEEEE10hipError_tT1_PNSt15iterator_traitsISK_E10value_typeET2_T3_PNSL_ISQ_E10value_typeET4_T5_PSV_SW_PNS1_23onesweep_lookback_stateEbbT6_jjT7_P12ihipStream_tbENKUlT_T0_SK_SP_E_clIPbSD_PiSF_EEDaS13_S14_SK_SP_EUlS13_E_NS1_11comp_targetILNS1_3genE6ELNS1_11target_archE950ELNS1_3gpuE13ELNS1_3repE0EEENS1_47radix_sort_onesweep_sort_config_static_selectorELNS0_4arch9wavefront6targetE1EEEvSK_: ; @_ZN7rocprim17ROCPRIM_400000_NS6detail17trampoline_kernelINS0_14default_configENS1_35radix_sort_onesweep_config_selectorIbiEEZZNS1_29radix_sort_onesweep_iterationIS3_Lb1EN6thrust23THRUST_200600_302600_NS6detail15normal_iteratorINS8_10device_ptrIbEEEESD_NSA_INSB_IiEEEESF_jNS0_19identity_decomposerENS1_16block_id_wrapperIjLb0EEEEE10hipError_tT1_PNSt15iterator_traitsISK_E10value_typeET2_T3_PNSL_ISQ_E10value_typeET4_T5_PSV_SW_PNS1_23onesweep_lookback_stateEbbT6_jjT7_P12ihipStream_tbENKUlT_T0_SK_SP_E_clIPbSD_PiSF_EEDaS13_S14_SK_SP_EUlS13_E_NS1_11comp_targetILNS1_3genE6ELNS1_11target_archE950ELNS1_3gpuE13ELNS1_3repE0EEENS1_47radix_sort_onesweep_sort_config_static_selectorELNS0_4arch9wavefront6targetE1EEEvSK_
; %bb.0:
	s_load_dwordx8 s[72:79], s[0:1], 0x0
	s_load_dwordx4 s[84:87], s[0:1], 0x44
	s_load_dwordx4 s[80:83], s[0:1], 0x28
	s_load_dwordx2 s[70:71], s[0:1], 0x38
	s_mov_b64 s[4:5], -1
	v_mbcnt_lo_u32_b32 v1, -1, 0
	s_waitcnt lgkmcnt(0)
	s_cmp_ge_u32 s2, s86
	s_cbranch_scc0 .LBB2264_194
; %bb.1:
	s_load_dword s3, s[0:1], 0x20
	s_lshl_b32 s4, s86, 14
	v_and_b32_e32 v2, 0x3ff, v0
	s_lshl_b32 s86, s2, 14
	v_mbcnt_hi_u32_b32 v3, -1, v1
	s_waitcnt lgkmcnt(0)
	s_sub_i32 s3, s3, s4
	s_add_u32 s4, s72, s86
	v_lshlrev_b32_e32 v4, 4, v2
	s_addc_u32 s5, s73, 0
	v_and_b32_e32 v6, 63, v3
	v_and_b32_e32 v4, 0x3c00, v4
	v_mov_b32_e32 v7, 0
	v_lshl_add_u64 v[8:9], s[4:5], 0, v[6:7]
	v_mov_b32_e32 v5, v7
	v_or_b32_e32 v24, v6, v4
	s_mov_b32 s87, 0
	v_lshl_add_u64 v[8:9], v[8:9], 0, v[4:5]
	v_cmp_gt_u32_e32 vcc, s3, v24
	v_mov_b32_e32 v22, v7
	v_mov_b32_e32 v10, v7
	v_mov_b32_e32 v11, v7
	v_mov_b32_e32 v12, v7
	v_mov_b32_e32 v13, v7
	v_mov_b32_e32 v14, v7
	v_mov_b32_e32 v15, v7
	v_mov_b32_e32 v16, v7
	v_mov_b32_e32 v17, v7
	v_mov_b32_e32 v18, v7
	v_mov_b32_e32 v19, v7
	v_mov_b32_e32 v20, v7
	v_mov_b32_e32 v21, v7
	s_and_saveexec_b64 s[4:5], vcc
	s_cbranch_execz .LBB2264_3
; %bb.2:
	global_load_ubyte v22, v[8:9], off
	v_mov_b32_e32 v5, v7
	v_mov_b32_e32 v10, v7
	;; [unrolled: 1-line block ×13, first 2 shown]
.LBB2264_3:
	s_or_b64 exec, exec, s[4:5]
	v_or_b32_e32 v23, 64, v24
	v_cmp_gt_u32_e64 s[64:65], s3, v23
	v_mov_b32_e32 v23, v7
	s_and_saveexec_b64 s[4:5], s[64:65]
	s_cbranch_execz .LBB2264_5
; %bb.4:
	global_load_ubyte v23, v[8:9], off offset:64
.LBB2264_5:
	s_or_b64 exec, exec, s[4:5]
	v_or_b32_e32 v25, 0x80, v24
	v_cmp_gt_u32_e64 s[4:5], s3, v25
	s_and_saveexec_b64 s[6:7], s[4:5]
	s_cbranch_execz .LBB2264_7
; %bb.6:
	global_load_ubyte v7, v[8:9], off offset:128
.LBB2264_7:
	s_or_b64 exec, exec, s[6:7]
	v_or_b32_e32 v25, 0xc0, v24
	v_cmp_gt_u32_e64 s[6:7], s3, v25
	;; [unrolled: 8-line block ×14, first 2 shown]
	s_and_saveexec_b64 s[34:35], s[30:31]
	s_cbranch_execz .LBB2264_33
; %bb.32:
	global_load_ubyte v21, v[8:9], off offset:960
.LBB2264_33:
	s_or_b64 exec, exec, s[34:35]
	s_load_dword s33, s[0:1], 0x58
	s_load_dword s36, s[0:1], 0x64
	s_waitcnt vmcnt(0)
	v_and_b32_e32 v8, 1, v22
	v_cmp_eq_u32_e64 s[34:35], 1, v8
	s_xor_b64 s[66:67], s[34:35], -1
	s_add_u32 s34, s0, 0x58
	s_addc_u32 s35, s1, 0
	s_waitcnt lgkmcnt(0)
	s_lshr_b32 s68, s36, 16
	s_cmp_lt_u32 s2, s33
	s_cselect_b32 s36, 12, 18
	s_add_u32 s34, s34, s36
	s_addc_u32 s35, s35, 0
	v_mov_b32_e32 v9, 0
	global_load_ushort v22, v9, s[34:35]
	v_and_b32_e32 v5, 1, v5
	v_and_b32_e32 v7, 1, v7
	v_cmp_eq_u32_e64 s[58:59], 1, v5
	v_cndmask_b32_e64 v5, 0, 1, s[66:67]
	v_and_b32_e32 v8, 1, v23
	v_cmp_eq_u32_e64 s[60:61], 1, v7
	v_lshrrev_b32_e32 v7, s84, v5
	s_lshl_b32 s66, -1, s85
	v_and_b32_e32 v10, 1, v10
	v_and_b32_e32 v11, 1, v11
	v_cmp_eq_u32_e64 s[62:63], 1, v8
	v_bitop3_b32 v8, v7, s66, v7 bitop3:0x30
	v_cmp_eq_u32_e64 s[56:57], 1, v10
	v_cmp_eq_u32_e64 s[54:55], 1, v11
	s_not_b32 s88, s66
	v_cmp_ne_u32_e64 s[66:67], 0, v8
	v_lshl_add_u64 v[10:11], v[8:9], 0, -1
	v_and_b32_e32 v14, 1, v14
	v_bfe_u32 v24, v0, 10, 10
	v_bfe_u32 v25, v0, 20, 10
	v_xor_b32_e32 v10, s66, v10
	v_and_b32_e32 v15, 1, v15
	v_cmp_eq_u32_e64 s[48:49], 1, v14
	v_mad_u32_u24 v14, v25, s68, v24
	v_mul_u32_u24_e32 v7, 0x44, v8
	v_xor_b32_e32 v8, s67, v11
	v_and_b32_e32 v10, exec_lo, v10
	v_and_b32_e32 v13, 1, v13
	v_cmp_eq_u32_e64 s[46:47], 1, v15
	v_and_b32_e32 v11, exec_hi, v8
	v_mbcnt_lo_u32_b32 v8, v10, 0
	v_cmp_eq_u32_e64 s[50:51], 1, v13
	v_mbcnt_hi_u32_b32 v13, v11, v8
	v_and_b32_e32 v23, 1, v12
	v_and_b32_e32 v16, 1, v16
	;; [unrolled: 1-line block ×7, first 2 shown]
	v_cmp_ne_u64_e64 s[66:67], 0, v[10:11]
	v_cmp_eq_u32_e64 s[68:69], 0, v13
	v_mul_u32_u24_e32 v12, 20, v2
	s_movk_i32 s89, 0x44
	v_cmp_eq_u32_e64 s[52:53], 1, v23
	v_cmp_eq_u32_e64 s[44:45], 1, v16
	;; [unrolled: 1-line block ×7, first 2 shown]
	s_and_b64 s[68:69], s[66:67], s[68:69]
	ds_write2_b32 v12, v9, v9 offset0:16 offset1:17
	ds_write2_b32 v12, v9, v9 offset0:18 offset1:19
	ds_write_b32 v12, v9 offset:80
	s_waitcnt lgkmcnt(0)
	s_barrier
	s_waitcnt vmcnt(0)
	; wave barrier
	v_mad_u64_u32 v[14:15], s[90:91], v14, v22, v[2:3]
	v_lshrrev_b32_e32 v8, 4, v14
	v_and_b32_e32 v30, 0xffffffc, v8
	v_add_u32_e32 v36, v30, v7
	s_and_saveexec_b64 s[66:67], s[68:69]
; %bb.34:
	v_bcnt_u32_b32 v7, v10, 0
	v_bcnt_u32_b32 v7, v11, v7
	ds_write_b32 v36, v7 offset:64
; %bb.35:
	s_or_b64 exec, exec, s[66:67]
	s_xor_b64 s[62:63], s[62:63], -1
	v_cndmask_b32_e64 v46, 0, 1, s[62:63]
	v_lshrrev_b32_e32 v7, s84, v46
	v_and_b32_e32 v8, s88, v7
	v_mul_u32_u24_e32 v10, 0x44, v8
	v_mad_u32_u24 v7, v8, s89, v30
	v_cmp_ne_u32_e64 s[62:63], 0, v8
	v_lshl_add_u64 v[8:9], v[8:9], 0, -1
	s_nop 0
	v_xor_b32_e32 v8, s62, v8
	; wave barrier
	ds_read_b32 v7, v7 offset:64
	v_xor_b32_e32 v9, s63, v9
	v_and_b32_e32 v8, exec_lo, v8
	v_and_b32_e32 v9, exec_hi, v9
	v_mbcnt_lo_u32_b32 v11, v8, 0
	v_mbcnt_hi_u32_b32 v14, v9, v11
	v_cmp_eq_u32_e64 s[62:63], 0, v14
	v_cmp_ne_u64_e64 s[66:67], 0, v[8:9]
	s_and_b64 s[66:67], s[66:67], s[62:63]
	v_add_u32_e32 v38, v30, v10
	; wave barrier
	s_and_saveexec_b64 s[62:63], s[66:67]
	s_cbranch_execz .LBB2264_37
; %bb.36:
	v_bcnt_u32_b32 v8, v8, 0
	v_bcnt_u32_b32 v8, v9, v8
	s_waitcnt lgkmcnt(0)
	v_add_u32_e32 v8, v7, v8
	ds_write_b32 v38, v8 offset:64
.LBB2264_37:
	s_or_b64 exec, exec, s[62:63]
	s_xor_b64 s[60:61], s[60:61], -1
	v_cndmask_b32_e64 v47, 0, 1, s[60:61]
	v_lshrrev_b32_e32 v8, s84, v47
	v_and_b32_e32 v8, s88, v8
	s_movk_i32 s66, 0x44
	v_mad_u32_u24 v9, v8, s66, v30
	; wave barrier
	ds_read_b32 v15, v9 offset:64
	v_mov_b32_e32 v9, 0
	v_cmp_ne_u32_e64 s[60:61], 0, v8
	v_lshl_add_u64 v[10:11], v[8:9], 0, -1
	v_mul_u32_u24_e32 v17, 0x44, v8
	v_xor_b32_e32 v10, s60, v10
	v_xor_b32_e32 v8, s61, v11
	v_and_b32_e32 v10, exec_lo, v10
	v_and_b32_e32 v11, exec_hi, v8
	v_mbcnt_lo_u32_b32 v8, v10, 0
	v_mbcnt_hi_u32_b32 v16, v11, v8
	v_cmp_eq_u32_e64 s[60:61], 0, v16
	v_cmp_ne_u64_e64 s[62:63], 0, v[10:11]
	s_and_b64 s[62:63], s[62:63], s[60:61]
	v_add_u32_e32 v49, v30, v17
	; wave barrier
	s_and_saveexec_b64 s[60:61], s[62:63]
	s_cbranch_execz .LBB2264_39
; %bb.38:
	v_bcnt_u32_b32 v8, v10, 0
	v_bcnt_u32_b32 v8, v11, v8
	s_waitcnt lgkmcnt(0)
	v_add_u32_e32 v8, v15, v8
	ds_write_b32 v49, v8 offset:64
.LBB2264_39:
	s_or_b64 exec, exec, s[60:61]
	s_xor_b64 s[58:59], s[58:59], -1
	v_cndmask_b32_e64 v53, 0, 1, s[58:59]
	v_lshrrev_b32_e32 v8, s84, v53
	v_and_b32_e32 v8, s88, v8
	v_mul_u32_u24_e32 v10, 0x44, v8
	v_mad_u32_u24 v11, v8, s66, v30
	v_cmp_ne_u32_e64 s[58:59], 0, v8
	v_lshl_add_u64 v[8:9], v[8:9], 0, -1
	s_nop 0
	v_xor_b32_e32 v8, s58, v8
	; wave barrier
	ds_read_b32 v17, v11 offset:64
	v_xor_b32_e32 v9, s59, v9
	v_and_b32_e32 v8, exec_lo, v8
	v_and_b32_e32 v9, exec_hi, v9
	v_mbcnt_lo_u32_b32 v11, v8, 0
	v_mbcnt_hi_u32_b32 v18, v9, v11
	v_cmp_eq_u32_e64 s[58:59], 0, v18
	v_cmp_ne_u64_e64 s[60:61], 0, v[8:9]
	s_and_b64 s[60:61], s[60:61], s[58:59]
	v_add_u32_e32 v50, v30, v10
	; wave barrier
	s_and_saveexec_b64 s[58:59], s[60:61]
	s_cbranch_execz .LBB2264_41
; %bb.40:
	v_bcnt_u32_b32 v8, v8, 0
	v_bcnt_u32_b32 v8, v9, v8
	s_waitcnt lgkmcnt(0)
	v_add_u32_e32 v8, v17, v8
	ds_write_b32 v50, v8 offset:64
.LBB2264_41:
	s_or_b64 exec, exec, s[58:59]
	s_xor_b64 s[56:57], s[56:57], -1
	v_cndmask_b32_e64 v64, 0, 1, s[56:57]
	v_lshrrev_b32_e32 v8, s84, v64
	v_and_b32_e32 v8, s88, v8
	s_movk_i32 s60, 0x44
	v_mad_u32_u24 v9, v8, s60, v30
	; wave barrier
	ds_read_b32 v19, v9 offset:64
	v_mov_b32_e32 v9, 0
	v_cmp_ne_u32_e64 s[56:57], 0, v8
	v_lshl_add_u64 v[10:11], v[8:9], 0, -1
	v_mul_u32_u24_e32 v21, 0x44, v8
	v_xor_b32_e32 v10, s56, v10
	v_xor_b32_e32 v8, s57, v11
	v_and_b32_e32 v10, exec_lo, v10
	v_and_b32_e32 v11, exec_hi, v8
	v_mbcnt_lo_u32_b32 v8, v10, 0
	v_mbcnt_hi_u32_b32 v20, v11, v8
	v_cmp_eq_u32_e64 s[56:57], 0, v20
	v_cmp_ne_u64_e64 s[58:59], 0, v[10:11]
	s_and_b64 s[58:59], s[58:59], s[56:57]
	v_add_u32_e32 v51, v30, v21
	; wave barrier
	s_and_saveexec_b64 s[56:57], s[58:59]
	s_cbranch_execz .LBB2264_43
; %bb.42:
	v_bcnt_u32_b32 v8, v10, 0
	v_bcnt_u32_b32 v8, v11, v8
	s_waitcnt lgkmcnt(0)
	v_add_u32_e32 v8, v19, v8
	ds_write_b32 v51, v8 offset:64
.LBB2264_43:
	s_or_b64 exec, exec, s[56:57]
	s_xor_b64 s[54:55], s[54:55], -1
	v_cndmask_b32_e64 v79, 0, 1, s[54:55]
	v_lshrrev_b32_e32 v8, s84, v79
	v_and_b32_e32 v8, s88, v8
	v_mul_u32_u24_e32 v10, 0x44, v8
	v_mad_u32_u24 v11, v8, s60, v30
	v_cmp_ne_u32_e64 s[54:55], 0, v8
	v_lshl_add_u64 v[8:9], v[8:9], 0, -1
	s_nop 0
	v_xor_b32_e32 v8, s54, v8
	; wave barrier
	ds_read_b32 v21, v11 offset:64
	v_xor_b32_e32 v9, s55, v9
	v_and_b32_e32 v8, exec_lo, v8
	v_and_b32_e32 v9, exec_hi, v9
	v_mbcnt_lo_u32_b32 v11, v8, 0
	v_mbcnt_hi_u32_b32 v22, v9, v11
	v_cmp_eq_u32_e64 s[54:55], 0, v22
	v_cmp_ne_u64_e64 s[56:57], 0, v[8:9]
	s_and_b64 s[56:57], s[56:57], s[54:55]
	v_add_u32_e32 v52, v30, v10
	; wave barrier
	s_and_saveexec_b64 s[54:55], s[56:57]
	s_cbranch_execz .LBB2264_45
; %bb.44:
	v_bcnt_u32_b32 v8, v8, 0
	v_bcnt_u32_b32 v8, v9, v8
	s_waitcnt lgkmcnt(0)
	v_add_u32_e32 v8, v21, v8
	ds_write_b32 v52, v8 offset:64
.LBB2264_45:
	s_or_b64 exec, exec, s[54:55]
	s_xor_b64 s[52:53], s[52:53], -1
	v_cndmask_b32_e64 v81, 0, 1, s[52:53]
	v_lshrrev_b32_e32 v8, s84, v81
	v_and_b32_e32 v8, s88, v8
	s_movk_i32 s56, 0x44
	v_mad_u32_u24 v9, v8, s56, v30
	; wave barrier
	ds_read_b32 v23, v9 offset:64
	v_mov_b32_e32 v9, 0
	v_cmp_ne_u32_e64 s[52:53], 0, v8
	v_lshl_add_u64 v[10:11], v[8:9], 0, -1
	v_mul_u32_u24_e32 v25, 0x44, v8
	v_xor_b32_e32 v10, s52, v10
	v_xor_b32_e32 v8, s53, v11
	v_and_b32_e32 v10, exec_lo, v10
	v_and_b32_e32 v11, exec_hi, v8
	v_mbcnt_lo_u32_b32 v8, v10, 0
	v_mbcnt_hi_u32_b32 v24, v11, v8
	v_cmp_eq_u32_e64 s[52:53], 0, v24
	v_cmp_ne_u64_e64 s[54:55], 0, v[10:11]
	s_and_b64 s[54:55], s[54:55], s[52:53]
	v_add_u32_e32 v54, v30, v25
	; wave barrier
	s_and_saveexec_b64 s[52:53], s[54:55]
	s_cbranch_execz .LBB2264_47
; %bb.46:
	v_bcnt_u32_b32 v8, v10, 0
	v_bcnt_u32_b32 v8, v11, v8
	s_waitcnt lgkmcnt(0)
	v_add_u32_e32 v8, v23, v8
	ds_write_b32 v54, v8 offset:64
.LBB2264_47:
	s_or_b64 exec, exec, s[52:53]
	s_xor_b64 s[50:51], s[50:51], -1
	v_cndmask_b32_e64 v82, 0, 1, s[50:51]
	v_lshrrev_b32_e32 v8, s84, v82
	v_and_b32_e32 v8, s88, v8
	v_mul_u32_u24_e32 v10, 0x44, v8
	v_mad_u32_u24 v11, v8, s56, v30
	v_cmp_ne_u32_e64 s[50:51], 0, v8
	v_lshl_add_u64 v[8:9], v[8:9], 0, -1
	s_nop 0
	v_xor_b32_e32 v8, s50, v8
	; wave barrier
	ds_read_b32 v25, v11 offset:64
	v_xor_b32_e32 v9, s51, v9
	v_and_b32_e32 v8, exec_lo, v8
	v_and_b32_e32 v9, exec_hi, v9
	v_mbcnt_lo_u32_b32 v11, v8, 0
	v_mbcnt_hi_u32_b32 v26, v9, v11
	v_cmp_eq_u32_e64 s[50:51], 0, v26
	v_cmp_ne_u64_e64 s[52:53], 0, v[8:9]
	s_and_b64 s[52:53], s[52:53], s[50:51]
	v_add_u32_e32 v55, v30, v10
	; wave barrier
	s_and_saveexec_b64 s[50:51], s[52:53]
	s_cbranch_execz .LBB2264_49
; %bb.48:
	v_bcnt_u32_b32 v8, v8, 0
	v_bcnt_u32_b32 v8, v9, v8
	s_waitcnt lgkmcnt(0)
	v_add_u32_e32 v8, v25, v8
	ds_write_b32 v55, v8 offset:64
.LBB2264_49:
	s_or_b64 exec, exec, s[50:51]
	s_xor_b64 s[48:49], s[48:49], -1
	v_cndmask_b32_e64 v83, 0, 1, s[48:49]
	v_lshrrev_b32_e32 v8, s84, v83
	v_and_b32_e32 v8, s88, v8
	s_movk_i32 s52, 0x44
	v_mad_u32_u24 v9, v8, s52, v30
	; wave barrier
	ds_read_b32 v27, v9 offset:64
	v_mov_b32_e32 v9, 0
	v_cmp_ne_u32_e64 s[48:49], 0, v8
	v_lshl_add_u64 v[10:11], v[8:9], 0, -1
	v_mul_u32_u24_e32 v29, 0x44, v8
	v_xor_b32_e32 v10, s48, v10
	v_xor_b32_e32 v8, s49, v11
	v_and_b32_e32 v10, exec_lo, v10
	v_and_b32_e32 v11, exec_hi, v8
	v_mbcnt_lo_u32_b32 v8, v10, 0
	v_mbcnt_hi_u32_b32 v28, v11, v8
	v_cmp_eq_u32_e64 s[48:49], 0, v28
	v_cmp_ne_u64_e64 s[50:51], 0, v[10:11]
	s_and_b64 s[50:51], s[50:51], s[48:49]
	v_add_u32_e32 v56, v30, v29
	; wave barrier
	s_and_saveexec_b64 s[48:49], s[50:51]
	s_cbranch_execz .LBB2264_51
; %bb.50:
	v_bcnt_u32_b32 v8, v10, 0
	v_bcnt_u32_b32 v8, v11, v8
	s_waitcnt lgkmcnt(0)
	v_add_u32_e32 v8, v27, v8
	ds_write_b32 v56, v8 offset:64
.LBB2264_51:
	s_or_b64 exec, exec, s[48:49]
	s_xor_b64 s[46:47], s[46:47], -1
	v_cndmask_b32_e64 v84, 0, 1, s[46:47]
	v_lshrrev_b32_e32 v8, s84, v84
	v_and_b32_e32 v8, s88, v8
	v_mul_u32_u24_e32 v10, 0x44, v8
	v_mad_u32_u24 v11, v8, s52, v30
	v_cmp_ne_u32_e64 s[46:47], 0, v8
	v_lshl_add_u64 v[8:9], v[8:9], 0, -1
	s_nop 0
	v_xor_b32_e32 v8, s46, v8
	; wave barrier
	ds_read_b32 v29, v11 offset:64
	v_xor_b32_e32 v9, s47, v9
	v_and_b32_e32 v8, exec_lo, v8
	v_and_b32_e32 v9, exec_hi, v9
	v_mbcnt_lo_u32_b32 v11, v8, 0
	v_mbcnt_hi_u32_b32 v31, v9, v11
	v_cmp_eq_u32_e64 s[46:47], 0, v31
	v_cmp_ne_u64_e64 s[48:49], 0, v[8:9]
	s_and_b64 s[48:49], s[48:49], s[46:47]
	v_add_u32_e32 v57, v30, v10
	; wave barrier
	s_and_saveexec_b64 s[46:47], s[48:49]
	s_cbranch_execz .LBB2264_53
; %bb.52:
	v_bcnt_u32_b32 v8, v8, 0
	v_bcnt_u32_b32 v8, v9, v8
	s_waitcnt lgkmcnt(0)
	v_add_u32_e32 v8, v29, v8
	ds_write_b32 v57, v8 offset:64
.LBB2264_53:
	s_or_b64 exec, exec, s[46:47]
	s_xor_b64 s[44:45], s[44:45], -1
	v_cndmask_b32_e64 v85, 0, 1, s[44:45]
	v_lshrrev_b32_e32 v8, s84, v85
	v_and_b32_e32 v8, s88, v8
	s_movk_i32 s48, 0x44
	v_mad_u32_u24 v9, v8, s48, v30
	; wave barrier
	ds_read_b32 v32, v9 offset:64
	v_mov_b32_e32 v9, 0
	v_cmp_ne_u32_e64 s[44:45], 0, v8
	v_lshl_add_u64 v[10:11], v[8:9], 0, -1
	v_mul_u32_u24_e32 v34, 0x44, v8
	v_xor_b32_e32 v10, s44, v10
	v_xor_b32_e32 v8, s45, v11
	v_and_b32_e32 v10, exec_lo, v10
	v_and_b32_e32 v11, exec_hi, v8
	v_mbcnt_lo_u32_b32 v8, v10, 0
	v_mbcnt_hi_u32_b32 v33, v11, v8
	v_cmp_eq_u32_e64 s[44:45], 0, v33
	v_cmp_ne_u64_e64 s[46:47], 0, v[10:11]
	s_and_b64 s[46:47], s[46:47], s[44:45]
	v_add_u32_e32 v58, v30, v34
	; wave barrier
	s_and_saveexec_b64 s[44:45], s[46:47]
	s_cbranch_execz .LBB2264_55
; %bb.54:
	v_bcnt_u32_b32 v8, v10, 0
	v_bcnt_u32_b32 v8, v11, v8
	s_waitcnt lgkmcnt(0)
	v_add_u32_e32 v8, v32, v8
	ds_write_b32 v58, v8 offset:64
.LBB2264_55:
	s_or_b64 exec, exec, s[44:45]
	s_xor_b64 s[42:43], s[42:43], -1
	v_cndmask_b32_e64 v86, 0, 1, s[42:43]
	v_lshrrev_b32_e32 v8, s84, v86
	v_and_b32_e32 v8, s88, v8
	v_mul_u32_u24_e32 v10, 0x44, v8
	v_mad_u32_u24 v11, v8, s48, v30
	v_cmp_ne_u32_e64 s[42:43], 0, v8
	v_lshl_add_u64 v[8:9], v[8:9], 0, -1
	s_nop 0
	v_xor_b32_e32 v8, s42, v8
	; wave barrier
	ds_read_b32 v34, v11 offset:64
	v_xor_b32_e32 v9, s43, v9
	v_and_b32_e32 v8, exec_lo, v8
	v_and_b32_e32 v9, exec_hi, v9
	v_mbcnt_lo_u32_b32 v11, v8, 0
	v_mbcnt_hi_u32_b32 v35, v9, v11
	v_cmp_eq_u32_e64 s[42:43], 0, v35
	v_cmp_ne_u64_e64 s[44:45], 0, v[8:9]
	s_and_b64 s[44:45], s[44:45], s[42:43]
	v_add_u32_e32 v59, v30, v10
	; wave barrier
	s_and_saveexec_b64 s[42:43], s[44:45]
	s_cbranch_execz .LBB2264_57
; %bb.56:
	v_bcnt_u32_b32 v8, v8, 0
	v_bcnt_u32_b32 v8, v9, v8
	s_waitcnt lgkmcnt(0)
	v_add_u32_e32 v8, v34, v8
	ds_write_b32 v59, v8 offset:64
.LBB2264_57:
	s_or_b64 exec, exec, s[42:43]
	s_xor_b64 s[40:41], s[40:41], -1
	v_cndmask_b32_e64 v87, 0, 1, s[40:41]
	v_lshrrev_b32_e32 v8, s84, v87
	v_and_b32_e32 v8, s88, v8
	s_movk_i32 s44, 0x44
	v_mad_u32_u24 v9, v8, s44, v30
	; wave barrier
	ds_read_b32 v37, v9 offset:64
	v_mov_b32_e32 v9, 0
	v_cmp_ne_u32_e64 s[40:41], 0, v8
	v_lshl_add_u64 v[10:11], v[8:9], 0, -1
	v_mul_u32_u24_e32 v40, 0x44, v8
	v_xor_b32_e32 v10, s40, v10
	v_xor_b32_e32 v8, s41, v11
	v_and_b32_e32 v10, exec_lo, v10
	v_and_b32_e32 v11, exec_hi, v8
	v_mbcnt_lo_u32_b32 v8, v10, 0
	v_mbcnt_hi_u32_b32 v39, v11, v8
	v_cmp_eq_u32_e64 s[40:41], 0, v39
	v_cmp_ne_u64_e64 s[42:43], 0, v[10:11]
	s_and_b64 s[42:43], s[42:43], s[40:41]
	v_add_u32_e32 v60, v30, v40
	; wave barrier
	s_and_saveexec_b64 s[40:41], s[42:43]
	s_cbranch_execz .LBB2264_59
; %bb.58:
	v_bcnt_u32_b32 v8, v10, 0
	v_bcnt_u32_b32 v8, v11, v8
	s_waitcnt lgkmcnt(0)
	v_add_u32_e32 v8, v37, v8
	ds_write_b32 v60, v8 offset:64
.LBB2264_59:
	s_or_b64 exec, exec, s[40:41]
	s_xor_b64 s[38:39], s[38:39], -1
	v_cndmask_b32_e64 v88, 0, 1, s[38:39]
	v_lshrrev_b32_e32 v8, s84, v88
	v_and_b32_e32 v8, s88, v8
	v_mul_u32_u24_e32 v10, 0x44, v8
	v_mad_u32_u24 v11, v8, s44, v30
	v_cmp_ne_u32_e64 s[38:39], 0, v8
	v_lshl_add_u64 v[8:9], v[8:9], 0, -1
	s_nop 0
	v_xor_b32_e32 v8, s38, v8
	; wave barrier
	ds_read_b32 v40, v11 offset:64
	v_xor_b32_e32 v9, s39, v9
	v_and_b32_e32 v8, exec_lo, v8
	v_and_b32_e32 v9, exec_hi, v9
	v_mbcnt_lo_u32_b32 v11, v8, 0
	v_mbcnt_hi_u32_b32 v41, v9, v11
	v_cmp_eq_u32_e64 s[38:39], 0, v41
	v_cmp_ne_u64_e64 s[40:41], 0, v[8:9]
	s_and_b64 s[40:41], s[40:41], s[38:39]
	v_add_u32_e32 v61, v30, v10
	; wave barrier
	s_and_saveexec_b64 s[38:39], s[40:41]
	s_cbranch_execz .LBB2264_61
; %bb.60:
	v_bcnt_u32_b32 v8, v8, 0
	v_bcnt_u32_b32 v8, v9, v8
	s_waitcnt lgkmcnt(0)
	v_add_u32_e32 v8, v40, v8
	ds_write_b32 v61, v8 offset:64
.LBB2264_61:
	s_or_b64 exec, exec, s[38:39]
	s_xor_b64 s[36:37], s[36:37], -1
	v_cndmask_b32_e64 v89, 0, 1, s[36:37]
	v_lshrrev_b32_e32 v8, s84, v89
	v_and_b32_e32 v8, s88, v8
	s_movk_i32 s40, 0x44
	v_mad_u32_u24 v9, v8, s40, v30
	; wave barrier
	ds_read_b32 v42, v9 offset:64
	v_mov_b32_e32 v9, 0
	v_cmp_ne_u32_e64 s[36:37], 0, v8
	v_lshl_add_u64 v[10:11], v[8:9], 0, -1
	v_mul_u32_u24_e32 v44, 0x44, v8
	v_xor_b32_e32 v10, s36, v10
	v_xor_b32_e32 v8, s37, v11
	v_and_b32_e32 v10, exec_lo, v10
	v_and_b32_e32 v11, exec_hi, v8
	v_mbcnt_lo_u32_b32 v8, v10, 0
	v_mbcnt_hi_u32_b32 v43, v11, v8
	v_cmp_eq_u32_e64 s[36:37], 0, v43
	v_cmp_ne_u64_e64 s[38:39], 0, v[10:11]
	s_and_b64 s[38:39], s[38:39], s[36:37]
	v_add_u32_e32 v62, v30, v44
	; wave barrier
	s_and_saveexec_b64 s[36:37], s[38:39]
	s_cbranch_execz .LBB2264_63
; %bb.62:
	v_bcnt_u32_b32 v8, v10, 0
	v_bcnt_u32_b32 v8, v11, v8
	s_waitcnt lgkmcnt(0)
	v_add_u32_e32 v8, v42, v8
	ds_write_b32 v62, v8 offset:64
.LBB2264_63:
	s_or_b64 exec, exec, s[36:37]
	s_xor_b64 s[34:35], s[34:35], -1
	v_cndmask_b32_e64 v90, 0, 1, s[34:35]
	v_lshrrev_b32_e32 v8, s84, v90
	v_and_b32_e32 v8, s88, v8
	v_mul_u32_u24_e32 v10, 0x44, v8
	v_mad_u32_u24 v11, v8, s40, v30
	v_cmp_ne_u32_e64 s[34:35], 0, v8
	v_lshl_add_u64 v[8:9], v[8:9], 0, -1
	s_nop 0
	v_xor_b32_e32 v8, s34, v8
	; wave barrier
	ds_read_b32 v44, v11 offset:64
	v_xor_b32_e32 v9, s35, v9
	v_and_b32_e32 v8, exec_lo, v8
	v_and_b32_e32 v9, exec_hi, v9
	v_mbcnt_lo_u32_b32 v11, v8, 0
	v_mbcnt_hi_u32_b32 v45, v9, v11
	v_cmp_eq_u32_e64 s[34:35], 0, v45
	v_cmp_ne_u64_e64 s[36:37], 0, v[8:9]
	s_and_b64 s[36:37], s[36:37], s[34:35]
	v_add_u32_e32 v63, v30, v10
	; wave barrier
	s_and_saveexec_b64 s[34:35], s[36:37]
	s_cbranch_execz .LBB2264_65
; %bb.64:
	v_bcnt_u32_b32 v8, v8, 0
	v_bcnt_u32_b32 v8, v9, v8
	s_waitcnt lgkmcnt(0)
	v_add_u32_e32 v8, v44, v8
	ds_write_b32 v63, v8 offset:64
.LBB2264_65:
	s_or_b64 exec, exec, s[34:35]
	; wave barrier
	s_waitcnt lgkmcnt(0)
	s_barrier
	ds_read2_b32 v[10:11], v12 offset0:16 offset1:17
	ds_read2_b32 v[8:9], v12 offset0:18 offset1:19
	ds_read_b32 v30, v12 offset:80
	v_cmp_lt_u32_e64 s[42:43], 31, v3
	s_waitcnt lgkmcnt(1)
	v_add3_u32 v48, v11, v10, v8
	s_waitcnt lgkmcnt(0)
	v_add3_u32 v30, v48, v9, v30
	v_and_b32_e32 v48, 15, v3
	v_cmp_eq_u32_e64 s[34:35], 0, v48
	v_mov_b32_dpp v65, v30 row_shr:1 row_mask:0xf bank_mask:0xf
	v_cmp_lt_u32_e64 s[36:37], 1, v48
	v_cndmask_b32_e64 v65, v65, 0, s[34:35]
	v_add_u32_e32 v30, v65, v30
	v_cmp_lt_u32_e64 s[38:39], 3, v48
	v_cmp_lt_u32_e64 s[40:41], 7, v48
	v_mov_b32_dpp v65, v30 row_shr:2 row_mask:0xf bank_mask:0xf
	v_cndmask_b32_e64 v65, 0, v65, s[36:37]
	v_add_u32_e32 v30, v30, v65
	s_nop 1
	v_mov_b32_dpp v65, v30 row_shr:4 row_mask:0xf bank_mask:0xf
	v_cndmask_b32_e64 v65, 0, v65, s[38:39]
	v_add_u32_e32 v30, v30, v65
	s_nop 1
	v_mov_b32_dpp v65, v30 row_shr:8 row_mask:0xf bank_mask:0xf
	v_cndmask_b32_e64 v48, 0, v65, s[40:41]
	v_add_u32_e32 v30, v30, v48
	v_bfe_i32 v65, v3, 4, 1
	s_nop 0
	v_mov_b32_dpp v48, v30 row_bcast:15 row_mask:0xf bank_mask:0xf
	v_and_b32_e32 v48, v65, v48
	v_add_u32_e32 v30, v30, v48
	v_lshrrev_b32_e32 v65, 6, v2
	s_nop 0
	v_mov_b32_dpp v48, v30 row_bcast:31 row_mask:0xf bank_mask:0xf
	v_cndmask_b32_e64 v48, 0, v48, s[42:43]
	v_add_u32_e32 v48, v30, v48
	v_and_b32_e32 v30, 63, v2
	v_cmp_eq_u32_e64 s[42:43], 63, v30
	s_and_saveexec_b64 s[44:45], s[42:43]
; %bb.66:
	v_lshlrev_b32_e32 v30, 2, v65
	ds_write_b32 v30, v48
; %bb.67:
	s_or_b64 exec, exec, s[44:45]
	v_cmp_gt_u32_e64 s[42:43], 16, v2
	v_lshlrev_b32_e32 v30, 2, v2
	s_waitcnt lgkmcnt(0)
	s_barrier
	s_and_saveexec_b64 s[44:45], s[42:43]
	s_cbranch_execz .LBB2264_69
; %bb.68:
	ds_read_b32 v66, v30
	s_waitcnt lgkmcnt(0)
	s_nop 0
	v_mov_b32_dpp v67, v66 row_shr:1 row_mask:0xf bank_mask:0xf
	v_cndmask_b32_e64 v67, v67, 0, s[34:35]
	v_add_u32_e32 v66, v67, v66
	s_nop 1
	v_mov_b32_dpp v67, v66 row_shr:2 row_mask:0xf bank_mask:0xf
	v_cndmask_b32_e64 v67, 0, v67, s[36:37]
	v_add_u32_e32 v66, v66, v67
	;; [unrolled: 4-line block ×4, first 2 shown]
	ds_write_b32 v30, v66
.LBB2264_69:
	s_or_b64 exec, exec, s[44:45]
	v_cmp_lt_u32_e64 s[34:35], 63, v2
	v_mov_b32_e32 v66, 0
	s_waitcnt lgkmcnt(0)
	s_barrier
	s_and_saveexec_b64 s[36:37], s[34:35]
; %bb.70:
	v_lshl_add_u32 v65, v65, 2, -4
	ds_read_b32 v66, v65
; %bb.71:
	s_or_b64 exec, exec, s[36:37]
	v_subrev_co_u32_e64 v65, s[34:35], 1, v3
	v_and_b32_e32 v67, 64, v3
	v_cmp_lt_i32_e64 s[36:37], v65, v67
	s_waitcnt lgkmcnt(0)
	v_add_u32_e32 v48, v66, v48
	s_movk_i32 s38, 0x100
	v_cndmask_b32_e64 v3, v65, v3, s[36:37]
	v_lshlrev_b32_e32 v3, 2, v3
	ds_bpermute_b32 v3, v3, v48
	v_cmp_gt_u32_e64 s[36:37], s38, v2
	s_waitcnt lgkmcnt(0)
	v_cndmask_b32_e64 v3, v3, v66, s[34:35]
	v_cmp_ne_u32_e64 s[34:35], 0, v2
	s_nop 1
	v_cndmask_b32_e64 v3, 0, v3, s[34:35]
	v_add_u32_e32 v10, v3, v10
	v_add_u32_e32 v11, v10, v11
	v_add_u32_e32 v8, v11, v8
	v_add_u32_e32 v9, v8, v9
	ds_write2_b32 v12, v3, v10 offset0:16 offset1:17
	ds_write2_b32 v12, v11, v8 offset0:18 offset1:19
	ds_write_b32 v12, v9 offset:80
	s_waitcnt lgkmcnt(0)
	s_barrier
	ds_read_b32 v8, v36 offset:64
	ds_read_b32 v48, v38 offset:64
	;; [unrolled: 1-line block ×16, first 2 shown]
	s_movk_i32 s34, 0xff
	v_cmp_lt_u32_e64 s[34:35], s34, v2
                                        ; implicit-def: $vgpr3
                                        ; implicit-def: $vgpr36
	s_and_saveexec_b64 s[40:41], s[36:37]
	s_cbranch_execz .LBB2264_75
; %bb.72:
	v_mul_u32_u24_e32 v3, 0x44, v2
	ds_read_b32 v3, v3 offset:64
	v_add_u32_e32 v10, 1, v2
	v_cmp_ne_u32_e64 s[38:39], s38, v10
	v_mov_b32_e32 v9, 0x4000
	s_and_saveexec_b64 s[42:43], s[38:39]
; %bb.73:
	v_mul_u32_u24_e32 v9, 0x44, v10
	ds_read_b32 v9, v9 offset:64
; %bb.74:
	s_or_b64 exec, exec, s[42:43]
	s_waitcnt lgkmcnt(0)
	v_sub_u32_e32 v36, v9, v3
.LBB2264_75:
	s_or_b64 exec, exec, s[40:41]
	s_waitcnt lgkmcnt(14)
	v_add_u32_e32 v38, v8, v13
	v_add3_u32 v65, v14, v7, v48
	s_waitcnt lgkmcnt(13)
	v_add3_u32 v66, v16, v15, v49
	s_waitcnt lgkmcnt(12)
	v_add3_u32 v67, v18, v17, v50
	s_waitcnt lgkmcnt(11)
	v_add3_u32 v68, v20, v19, v51
	s_waitcnt lgkmcnt(10)
	v_add3_u32 v69, v22, v21, v52
	s_waitcnt lgkmcnt(9)
	v_add3_u32 v70, v24, v23, v54
	s_waitcnt lgkmcnt(8)
	v_add3_u32 v71, v26, v25, v55
	s_waitcnt lgkmcnt(7)
	v_add3_u32 v72, v28, v27, v56
	s_waitcnt lgkmcnt(6)
	v_add3_u32 v73, v31, v29, v57
	s_waitcnt lgkmcnt(5)
	v_add3_u32 v74, v33, v32, v58
	s_waitcnt lgkmcnt(4)
	v_add3_u32 v75, v35, v34, v59
	s_waitcnt lgkmcnt(3)
	v_add3_u32 v76, v39, v37, v60
	s_waitcnt lgkmcnt(2)
	v_add3_u32 v77, v41, v40, v61
	s_waitcnt lgkmcnt(1)
	v_add3_u32 v78, v43, v42, v62
	s_waitcnt lgkmcnt(0)
	v_add3_u32 v80, v45, v44, v63
	v_mov_b32_e32 v9, 0
	s_barrier
	ds_write_b8 v38, v5 offset:1024
	ds_write_b8 v65, v46 offset:1024
	ds_write_b8 v66, v47 offset:1024
	ds_write_b8 v67, v53 offset:1024
	ds_write_b8 v68, v64 offset:1024
	ds_write_b8 v69, v79 offset:1024
	ds_write_b8 v70, v81 offset:1024
	ds_write_b8 v71, v82 offset:1024
	ds_write_b8 v72, v83 offset:1024
	ds_write_b8 v73, v84 offset:1024
	ds_write_b8 v74, v85 offset:1024
	ds_write_b8 v75, v86 offset:1024
	ds_write_b8 v76, v87 offset:1024
	ds_write_b8 v77, v88 offset:1024
	ds_write_b8 v78, v89 offset:1024
	ds_write_b8 v80, v90 offset:1024
	s_and_saveexec_b64 s[38:39], s[36:37]
	s_cbranch_execz .LBB2264_85
; %bb.76:
	v_lshl_add_u32 v8, s2, 8, v2
	v_lshl_add_u64 v[10:11], v[8:9], 2, s[70:71]
	v_or_b32_e32 v5, 2.0, v36
	global_store_dword v[10:11], v5, off sc1
	s_mov_b64 s[40:41], 0
	s_brev_b32 s46, -4
	s_mov_b32 s47, s2
	v_mov_b32_e32 v5, 0
                                        ; implicit-def: $sgpr36_sgpr37
	s_branch .LBB2264_79
.LBB2264_77:                            ;   in Loop: Header=BB2264_79 Depth=1
	s_or_b64 exec, exec, s[44:45]
.LBB2264_78:                            ;   in Loop: Header=BB2264_79 Depth=1
	s_or_b64 exec, exec, s[42:43]
	v_and_b32_e32 v12, 0x3fffffff, v8
	v_add_u32_e32 v5, v12, v5
	v_cmp_gt_i32_e64 s[36:37], -2.0, v8
	s_and_b64 s[42:43], exec, s[36:37]
	s_or_b64 s[40:41], s[42:43], s[40:41]
	s_andn2_b64 exec, exec, s[40:41]
	s_cbranch_execz .LBB2264_84
.LBB2264_79:                            ; =>This Loop Header: Depth=1
                                        ;     Child Loop BB2264_82 Depth 2
	s_or_b64 s[36:37], s[36:37], exec
	s_cmp_eq_u32 s47, 0
	s_cbranch_scc1 .LBB2264_83
; %bb.80:                               ;   in Loop: Header=BB2264_79 Depth=1
	s_add_i32 s47, s47, -1
	v_lshl_or_b32 v8, s47, 8, v2
	v_lshl_add_u64 v[12:13], v[8:9], 2, s[70:71]
	global_load_dword v8, v[12:13], off sc1
	s_waitcnt vmcnt(0)
	v_cmp_gt_u32_e64 s[36:37], 2.0, v8
	s_and_saveexec_b64 s[42:43], s[36:37]
	s_cbranch_execz .LBB2264_78
; %bb.81:                               ;   in Loop: Header=BB2264_79 Depth=1
	s_mov_b64 s[44:45], 0
.LBB2264_82:                            ;   Parent Loop BB2264_79 Depth=1
                                        ; =>  This Inner Loop Header: Depth=2
	global_load_dword v8, v[12:13], off sc1
	s_waitcnt vmcnt(0)
	v_cmp_lt_u32_e64 s[36:37], s46, v8
	s_or_b64 s[44:45], s[36:37], s[44:45]
	s_andn2_b64 exec, exec, s[44:45]
	s_cbranch_execnz .LBB2264_82
	s_branch .LBB2264_77
.LBB2264_83:                            ;   in Loop: Header=BB2264_79 Depth=1
                                        ; implicit-def: $sgpr47
	s_and_b64 s[42:43], exec, s[36:37]
	s_or_b64 s[40:41], s[42:43], s[40:41]
	s_andn2_b64 exec, exec, s[40:41]
	s_cbranch_execnz .LBB2264_79
.LBB2264_84:
	s_or_b64 exec, exec, s[40:41]
	v_add_u32_e32 v8, v5, v36
	v_or_b32_e32 v8, 0x80000000, v8
	global_store_dword v[10:11], v8, off sc1
	global_load_dword v8, v30, s[80:81]
	v_sub_u32_e32 v5, v5, v3
	s_waitcnt vmcnt(0)
	v_add_u32_e32 v5, v5, v8
	ds_write_b32 v30, v5
.LBB2264_85:
	s_or_b64 exec, exec, s[38:39]
	v_cmp_gt_u32_e64 s[36:37], s3, v2
	s_waitcnt lgkmcnt(0)
	s_barrier
	s_and_saveexec_b64 s[38:39], s[36:37]
	s_cbranch_execz .LBB2264_87
; %bb.86:
	ds_read_u8 v5, v2 offset:1024
	s_waitcnt lgkmcnt(0)
	v_and_b32_e32 v8, 1, v5
	v_lshrrev_b32_e32 v8, s84, v8
	v_and_b32_e32 v8, s88, v8
	v_lshlrev_b32_e32 v9, 2, v8
	ds_read_b32 v9, v9
	v_xor_b32_e32 v5, 1, v5
	s_waitcnt lgkmcnt(0)
	v_add_u32_e32 v9, v9, v2
	global_store_byte v9, v5, s[74:75]
	scratch_store_dword off, v8, off
.LBB2264_87:
	s_or_b64 exec, exec, s[38:39]
	v_or_b32_e32 v5, 0x400, v2
	v_cmp_gt_u32_e64 s[36:37], s3, v5
	s_and_saveexec_b64 s[38:39], s[36:37]
	s_cbranch_execz .LBB2264_89
; %bb.88:
	ds_read_u8 v8, v2 offset:2048
	s_waitcnt lgkmcnt(0)
	v_and_b32_e32 v9, 1, v8
	v_lshrrev_b32_e32 v9, s84, v9
	v_and_b32_e32 v9, s88, v9
	v_lshlrev_b32_e32 v10, 2, v9
	ds_read_b32 v10, v10
	v_xor_b32_e32 v8, 1, v8
	s_waitcnt lgkmcnt(0)
	v_add_u32_e32 v5, v10, v5
	global_store_byte v5, v8, s[74:75]
	scratch_store_dword off, v9, off offset:4
.LBB2264_89:
	s_or_b64 exec, exec, s[38:39]
	v_or_b32_e32 v5, 0x800, v2
	v_cmp_gt_u32_e64 s[36:37], s3, v5
	s_and_saveexec_b64 s[38:39], s[36:37]
	s_cbranch_execz .LBB2264_91
; %bb.90:
	ds_read_u8 v8, v2 offset:3072
	s_waitcnt lgkmcnt(0)
	v_and_b32_e32 v9, 1, v8
	v_lshrrev_b32_e32 v9, s84, v9
	v_and_b32_e32 v9, s88, v9
	v_lshlrev_b32_e32 v10, 2, v9
	ds_read_b32 v10, v10
	v_xor_b32_e32 v8, 1, v8
	s_waitcnt lgkmcnt(0)
	v_add_u32_e32 v5, v10, v5
	global_store_byte v5, v8, s[74:75]
	scratch_store_dword off, v9, off offset:8
.LBB2264_91:
	;; [unrolled: 19-line block ×15, first 2 shown]
	s_or_b64 exec, exec, s[38:39]
	s_lshl_b64 s[36:37], s[86:87], 2
	s_add_u32 s36, s76, s36
	s_addc_u32 s37, s77, s37
	v_lshlrev_b32_e32 v8, 2, v6
	v_mov_b32_e32 v9, 0
	v_lshl_add_u64 v[10:11], s[36:37], 0, v[8:9]
	v_lshlrev_b32_e32 v8, 2, v4
	v_lshl_add_u64 v[4:5], v[10:11], 0, v[8:9]
                                        ; implicit-def: $vgpr6
	s_and_saveexec_b64 s[36:37], vcc
	s_xor_b64 s[36:37], exec, s[36:37]
	s_cbranch_execz .LBB2264_133
; %bb.118:
	global_load_dword v6, v[4:5], off
	s_or_b64 exec, exec, s[36:37]
                                        ; implicit-def: $vgpr8
	s_and_saveexec_b64 s[36:37], s[64:65]
	s_cbranch_execnz .LBB2264_134
.LBB2264_119:
	s_or_b64 exec, exec, s[36:37]
                                        ; implicit-def: $vgpr9
	s_and_saveexec_b64 s[36:37], s[4:5]
	s_cbranch_execz .LBB2264_135
.LBB2264_120:
	global_load_dword v9, v[4:5], off offset:512
	s_or_b64 exec, exec, s[36:37]
                                        ; implicit-def: $vgpr10
	s_and_saveexec_b64 s[4:5], s[6:7]
	s_cbranch_execnz .LBB2264_136
.LBB2264_121:
	s_or_b64 exec, exec, s[4:5]
                                        ; implicit-def: $vgpr11
	s_and_saveexec_b64 s[4:5], s[8:9]
	s_cbranch_execz .LBB2264_137
.LBB2264_122:
	global_load_dword v11, v[4:5], off offset:1024
	s_or_b64 exec, exec, s[4:5]
                                        ; implicit-def: $vgpr12
	s_and_saveexec_b64 s[4:5], s[10:11]
	s_cbranch_execnz .LBB2264_138
.LBB2264_123:
	s_or_b64 exec, exec, s[4:5]
                                        ; implicit-def: $vgpr13
	s_and_saveexec_b64 s[4:5], s[12:13]
	s_cbranch_execz .LBB2264_139
.LBB2264_124:
	global_load_dword v13, v[4:5], off offset:1536
	s_or_b64 exec, exec, s[4:5]
                                        ; implicit-def: $vgpr46
	s_and_saveexec_b64 s[4:5], s[14:15]
	s_cbranch_execnz .LBB2264_140
.LBB2264_125:
	s_or_b64 exec, exec, s[4:5]
                                        ; implicit-def: $vgpr47
	s_and_saveexec_b64 s[4:5], s[16:17]
	s_cbranch_execz .LBB2264_141
.LBB2264_126:
	global_load_dword v47, v[4:5], off offset:2048
	s_or_b64 exec, exec, s[4:5]
                                        ; implicit-def: $vgpr53
	s_and_saveexec_b64 s[4:5], s[18:19]
	s_cbranch_execnz .LBB2264_142
.LBB2264_127:
	s_or_b64 exec, exec, s[4:5]
                                        ; implicit-def: $vgpr64
	s_and_saveexec_b64 s[4:5], s[20:21]
	s_cbranch_execz .LBB2264_143
.LBB2264_128:
	global_load_dword v64, v[4:5], off offset:2560
	s_or_b64 exec, exec, s[4:5]
                                        ; implicit-def: $vgpr79
	s_and_saveexec_b64 s[4:5], s[22:23]
	s_cbranch_execnz .LBB2264_144
.LBB2264_129:
	s_or_b64 exec, exec, s[4:5]
                                        ; implicit-def: $vgpr81
	s_and_saveexec_b64 s[4:5], s[24:25]
	s_cbranch_execz .LBB2264_145
.LBB2264_130:
	global_load_dword v81, v[4:5], off offset:3072
	s_or_b64 exec, exec, s[4:5]
                                        ; implicit-def: $vgpr82
	s_and_saveexec_b64 s[4:5], s[26:27]
	s_cbranch_execnz .LBB2264_146
.LBB2264_131:
	s_or_b64 exec, exec, s[4:5]
                                        ; implicit-def: $vgpr83
	s_and_saveexec_b64 s[4:5], s[28:29]
	s_cbranch_execz .LBB2264_147
.LBB2264_132:
	global_load_dword v83, v[4:5], off offset:3584
	s_or_b64 exec, exec, s[4:5]
                                        ; implicit-def: $vgpr84
	s_and_saveexec_b64 s[4:5], s[30:31]
	s_cbranch_execnz .LBB2264_148
	s_branch .LBB2264_149
.LBB2264_133:
	s_or_b64 exec, exec, s[36:37]
                                        ; implicit-def: $vgpr8
	s_and_saveexec_b64 s[36:37], s[64:65]
	s_cbranch_execz .LBB2264_119
.LBB2264_134:
	global_load_dword v8, v[4:5], off offset:256
	s_or_b64 exec, exec, s[36:37]
                                        ; implicit-def: $vgpr9
	s_and_saveexec_b64 s[36:37], s[4:5]
	s_cbranch_execnz .LBB2264_120
.LBB2264_135:
	s_or_b64 exec, exec, s[36:37]
                                        ; implicit-def: $vgpr10
	s_and_saveexec_b64 s[4:5], s[6:7]
	s_cbranch_execz .LBB2264_121
.LBB2264_136:
	global_load_dword v10, v[4:5], off offset:768
	s_or_b64 exec, exec, s[4:5]
                                        ; implicit-def: $vgpr11
	s_and_saveexec_b64 s[4:5], s[8:9]
	s_cbranch_execnz .LBB2264_122
.LBB2264_137:
	s_or_b64 exec, exec, s[4:5]
                                        ; implicit-def: $vgpr12
	s_and_saveexec_b64 s[4:5], s[10:11]
	s_cbranch_execz .LBB2264_123
.LBB2264_138:
	global_load_dword v12, v[4:5], off offset:1280
	s_or_b64 exec, exec, s[4:5]
                                        ; implicit-def: $vgpr13
	s_and_saveexec_b64 s[4:5], s[12:13]
	s_cbranch_execnz .LBB2264_124
.LBB2264_139:
	s_or_b64 exec, exec, s[4:5]
                                        ; implicit-def: $vgpr46
	s_and_saveexec_b64 s[4:5], s[14:15]
	s_cbranch_execz .LBB2264_125
.LBB2264_140:
	global_load_dword v46, v[4:5], off offset:1792
	s_or_b64 exec, exec, s[4:5]
                                        ; implicit-def: $vgpr47
	s_and_saveexec_b64 s[4:5], s[16:17]
	s_cbranch_execnz .LBB2264_126
.LBB2264_141:
	s_or_b64 exec, exec, s[4:5]
                                        ; implicit-def: $vgpr53
	s_and_saveexec_b64 s[4:5], s[18:19]
	s_cbranch_execz .LBB2264_127
.LBB2264_142:
	global_load_dword v53, v[4:5], off offset:2304
	s_or_b64 exec, exec, s[4:5]
                                        ; implicit-def: $vgpr64
	s_and_saveexec_b64 s[4:5], s[20:21]
	s_cbranch_execnz .LBB2264_128
.LBB2264_143:
	s_or_b64 exec, exec, s[4:5]
                                        ; implicit-def: $vgpr79
	s_and_saveexec_b64 s[4:5], s[22:23]
	s_cbranch_execz .LBB2264_129
.LBB2264_144:
	global_load_dword v79, v[4:5], off offset:2816
	s_or_b64 exec, exec, s[4:5]
                                        ; implicit-def: $vgpr81
	s_and_saveexec_b64 s[4:5], s[24:25]
	s_cbranch_execnz .LBB2264_130
.LBB2264_145:
	s_or_b64 exec, exec, s[4:5]
                                        ; implicit-def: $vgpr82
	s_and_saveexec_b64 s[4:5], s[26:27]
	s_cbranch_execz .LBB2264_131
.LBB2264_146:
	global_load_dword v82, v[4:5], off offset:3328
	s_or_b64 exec, exec, s[4:5]
                                        ; implicit-def: $vgpr83
	s_and_saveexec_b64 s[4:5], s[28:29]
	s_cbranch_execnz .LBB2264_132
.LBB2264_147:
	s_or_b64 exec, exec, s[4:5]
                                        ; implicit-def: $vgpr84
	s_and_saveexec_b64 s[4:5], s[30:31]
	s_cbranch_execz .LBB2264_149
.LBB2264_148:
	global_load_dword v84, v[4:5], off offset:3840
.LBB2264_149:
	s_or_b64 exec, exec, s[4:5]
	v_mov_b32_e32 v4, 0x400
	s_movk_i32 s6, 0x400
	v_lshl_add_u32 v80, v80, 2, v4
	v_add3_u32 v44, v45, v63, v44
	v_lshl_add_u32 v45, v78, 2, v4
	v_add3_u32 v42, v43, v62, v42
	v_lshl_add_u32 v43, v77, 2, v4
	v_add3_u32 v40, v41, v61, v40
	v_lshl_add_u32 v41, v76, 2, v4
	v_add3_u32 v37, v39, v60, v37
	v_lshl_add_u32 v39, v75, 2, v4
	v_add3_u32 v34, v35, v59, v34
	v_lshl_add_u32 v35, v74, 2, v4
	v_add3_u32 v32, v33, v58, v32
	v_lshl_add_u32 v33, v73, 2, v4
	v_add3_u32 v29, v31, v57, v29
	v_lshl_add_u32 v31, v72, 2, v4
	v_add3_u32 v27, v28, v56, v27
	v_lshl_add_u32 v28, v71, 2, v4
	v_add3_u32 v25, v26, v55, v25
	v_lshl_add_u32 v26, v70, 2, v4
	v_add3_u32 v23, v24, v54, v23
	v_lshl_add_u32 v24, v69, 2, v4
	v_add3_u32 v21, v22, v52, v21
	v_lshl_add_u32 v22, v68, 2, v4
	v_add3_u32 v19, v20, v51, v19
	v_lshl_add_u32 v20, v67, 2, v4
	v_add3_u32 v17, v18, v50, v17
	v_lshl_add_u32 v18, v66, 2, v4
	v_add3_u32 v15, v16, v49, v15
	v_lshl_add_u32 v16, v65, 2, v4
	v_add3_u32 v7, v14, v48, v7
	v_lshl_add_u32 v14, v38, 2, v4
	s_mov_b32 s7, 0
	s_mov_b32 s8, 0
	s_movk_i32 s9, 0x1000
	v_mov_b32_e32 v5, 0
	s_movk_i32 s10, 0x800
	s_movk_i32 s11, 0xc00
	s_mov_b32 s12, 0
	s_barrier
	s_branch .LBB2264_151
.LBB2264_150:                           ;   in Loop: Header=BB2264_151 Depth=1
	s_or_b64 exec, exec, s[4:5]
	s_addk_i32 s12, 0xc000
	s_addk_i32 s8, 0xf000
	s_add_i32 s7, s7, 16
	s_cmp_eq_u32 s12, 0xffff0000
	v_add_u32_e32 v2, 0x1000, v2
	s_barrier
	s_cbranch_scc1 .LBB2264_191
.LBB2264_151:                           ; =>This Inner Loop Header: Depth=1
	v_add_u32_e32 v4, s8, v38
	v_cmp_gt_u32_e32 vcc, s9, v4
	s_and_saveexec_b64 s[4:5], vcc
	s_cbranch_execz .LBB2264_153
; %bb.152:                              ;   in Loop: Header=BB2264_151 Depth=1
	v_add_u32_e32 v4, s12, v14
	s_waitcnt vmcnt(0)
	ds_write_b32 v4, v6
.LBB2264_153:                           ;   in Loop: Header=BB2264_151 Depth=1
	s_or_b64 exec, exec, s[4:5]
	v_add_u32_e32 v4, s8, v7
	v_cmp_gt_u32_e32 vcc, s9, v4
	s_and_saveexec_b64 s[4:5], vcc
	s_cbranch_execz .LBB2264_155
; %bb.154:                              ;   in Loop: Header=BB2264_151 Depth=1
	v_add_u32_e32 v4, s12, v16
	s_waitcnt vmcnt(0)
	ds_write_b32 v4, v8
.LBB2264_155:                           ;   in Loop: Header=BB2264_151 Depth=1
	s_or_b64 exec, exec, s[4:5]
	;; [unrolled: 10-line block ×16, first 2 shown]
	v_cmp_gt_u32_e32 vcc, s3, v2
	s_waitcnt lgkmcnt(0)
	s_barrier
	s_and_saveexec_b64 s[4:5], vcc
	s_cbranch_execz .LBB2264_185
; %bb.184:                              ;   in Loop: Header=BB2264_151 Depth=1
	scratch_load_dword v4, off, s7
	s_waitcnt vmcnt(0)
	v_lshlrev_b32_e32 v4, 2, v4
	ds_read_b32 v4, v4
	ds_read_b32 v50, v30 offset:1024
	s_waitcnt lgkmcnt(1)
	v_add_u32_e32 v4, v2, v4
	v_lshl_add_u64 v[48:49], v[4:5], 2, s[78:79]
	s_waitcnt lgkmcnt(0)
	global_store_dword v[48:49], v50, off
.LBB2264_185:                           ;   in Loop: Header=BB2264_151 Depth=1
	s_or_b64 exec, exec, s[4:5]
	v_add_u32_e32 v4, 0x400, v2
	v_cmp_gt_u32_e32 vcc, s3, v4
	s_and_saveexec_b64 s[4:5], vcc
	s_cbranch_execz .LBB2264_187
; %bb.186:                              ;   in Loop: Header=BB2264_151 Depth=1
	s_add_i32 s13, s7, 4
	scratch_load_dword v4, off, s13
	s_waitcnt vmcnt(0)
	v_lshlrev_b32_e32 v4, 2, v4
	ds_read_b32 v4, v4
	ds_read_b32 v50, v30 offset:5120
	s_waitcnt lgkmcnt(1)
	v_add3_u32 v4, v2, v4, s6
	v_lshl_add_u64 v[48:49], v[4:5], 2, s[78:79]
	s_waitcnt lgkmcnt(0)
	global_store_dword v[48:49], v50, off
.LBB2264_187:                           ;   in Loop: Header=BB2264_151 Depth=1
	s_or_b64 exec, exec, s[4:5]
	v_add_u32_e32 v4, 0x800, v2
	v_cmp_gt_u32_e32 vcc, s3, v4
	s_and_saveexec_b64 s[4:5], vcc
	s_cbranch_execz .LBB2264_189
; %bb.188:                              ;   in Loop: Header=BB2264_151 Depth=1
	s_add_i32 s13, s7, 8
	scratch_load_dword v4, off, s13
	s_waitcnt vmcnt(0)
	v_lshlrev_b32_e32 v4, 2, v4
	ds_read_b32 v4, v4
	ds_read_b32 v50, v30 offset:9216
	s_waitcnt lgkmcnt(1)
	v_add3_u32 v4, v2, v4, s10
	v_lshl_add_u64 v[48:49], v[4:5], 2, s[78:79]
	s_waitcnt lgkmcnt(0)
	global_store_dword v[48:49], v50, off
.LBB2264_189:                           ;   in Loop: Header=BB2264_151 Depth=1
	s_or_b64 exec, exec, s[4:5]
	v_add_u32_e32 v4, 0xc00, v2
	v_cmp_gt_u32_e32 vcc, s3, v4
	s_and_saveexec_b64 s[4:5], vcc
	s_cbranch_execz .LBB2264_150
; %bb.190:                              ;   in Loop: Header=BB2264_151 Depth=1
	s_add_i32 s13, s7, 12
	scratch_load_dword v4, off, s13
	s_waitcnt vmcnt(0)
	v_lshlrev_b32_e32 v4, 2, v4
	ds_read_b32 v4, v4
	ds_read_b32 v50, v30 offset:13312
	s_waitcnt lgkmcnt(1)
	v_add3_u32 v4, v2, v4, s11
	v_lshl_add_u64 v[48:49], v[4:5], 2, s[78:79]
	s_waitcnt lgkmcnt(0)
	global_store_dword v[48:49], v50, off
	s_branch .LBB2264_150
.LBB2264_191:
	s_add_i32 s33, s33, -1
	s_cmp_eq_u32 s2, s33
	s_cselect_b64 s[4:5], -1, 0
	s_xor_b64 s[6:7], s[34:35], -1
	s_and_b64 s[6:7], s[6:7], s[4:5]
	s_and_saveexec_b64 s[4:5], s[6:7]
	s_cbranch_execz .LBB2264_193
; %bb.192:
	ds_read_b32 v2, v30
	s_waitcnt lgkmcnt(0)
	v_add3_u32 v2, v3, v36, v2
	global_store_dword v30, v2, s[82:83]
.LBB2264_193:
	s_or_b64 exec, exec, s[4:5]
	s_mov_b64 s[4:5], 0
.LBB2264_194:
	s_and_b64 vcc, exec, s[4:5]
	s_cbranch_vccz .LBB2264_283
; %bb.195:
	s_lshl_b32 s10, s2, 14
	v_and_b32_e32 v16, 0x3ff, v0
	s_add_u32 s4, s72, s10
	v_mbcnt_hi_u32_b32 v5, -1, v1
	s_addc_u32 s5, s73, 0
	v_and_b32_e32 v20, 63, v5
	v_lshlrev_b32_e32 v1, 4, v16
	v_mov_b32_e32 v21, 0
	v_and_b32_e32 v18, 0x3c00, v1
	v_lshl_add_u64 v[2:3], s[4:5], 0, v[20:21]
	v_mov_b32_e32 v19, v21
	s_waitcnt vmcnt(0)
	v_lshl_add_u64 v[6:7], v[2:3], 0, v[18:19]
	global_load_ubyte v1, v[6:7], off
	s_load_dword s3, s[0:1], 0x58
	s_load_dword s4, s[0:1], 0x64
	global_load_ubyte v3, v[6:7], off offset:64
	global_load_ubyte v2, v[6:7], off offset:128
	;; [unrolled: 1-line block ×7, first 2 shown]
	v_mov_b32_e32 v11, v21
	s_mov_b32 s11, 0
	v_mul_u32_u24_e32 v8, 20, v16
	s_waitcnt vmcnt(7)
	v_and_b32_e32 v1, 1, v1
	v_cmp_eq_u32_e32 vcc, 1, v1
	s_xor_b64 s[6:7], vcc, -1
	s_add_u32 s0, s0, 0x58
	s_addc_u32 s1, s1, 0
	s_waitcnt lgkmcnt(0)
	s_lshr_b32 s5, s4, 16
	s_cmp_lt_u32 s2, s3
	s_cselect_b32 s4, 12, 18
	s_add_u32 s0, s0, s4
	s_addc_u32 s1, s1, 0
	global_load_ushort v9, v21, s[0:1]
	global_load_ubyte v34, v[6:7], off offset:512
	global_load_ubyte v36, v[6:7], off offset:576
	;; [unrolled: 1-line block ×8, first 2 shown]
	v_cndmask_b32_e64 v4, 0, 1, s[6:7]
	v_lshrrev_b32_e32 v6, s84, v4
	s_lshl_b32 s0, -1, s85
	v_bfe_u32 v1, v0, 10, 10
	v_bfe_u32 v0, v0, 20, 10
	v_bitop3_b32 v10, v6, s0, v6 bitop3:0x30
	v_mad_u32_u24 v7, v0, s5, v1
	v_cmp_ne_u32_e32 vcc, 0, v10
	v_lshl_add_u64 v[0:1], v[10:11], 0, -1
	s_movk_i32 s4, 0x44
	v_xor_b32_e32 v0, vcc_lo, v0
	v_xor_b32_e32 v1, vcc_hi, v1
	v_and_b32_e32 v0, exec_lo, v0
	v_and_b32_e32 v1, exec_hi, v1
	v_mbcnt_lo_u32_b32 v6, v0, 0
	v_mbcnt_hi_u32_b32 v6, v1, v6
	s_not_b32 s14, s0
	v_cmp_ne_u64_e32 vcc, 0, v[0:1]
	v_cmp_eq_u32_e64 s[0:1], 0, v6
	ds_write2_b32 v8, v21, v21 offset0:16 offset1:17
	ds_write2_b32 v8, v21, v21 offset0:18 offset1:19
	ds_write_b32 v8, v21 offset:80
	s_waitcnt lgkmcnt(0)
	s_barrier
	s_waitcnt vmcnt(8)
	; wave barrier
	v_mad_u64_u32 v[22:23], s[6:7], v7, v9, v[16:17]
	v_lshrrev_b32_e32 v7, 6, v22
	v_lshlrev_b32_e32 v44, 2, v7
	v_mad_u32_u24 v10, v10, s4, v44
	s_and_b64 s[6:7], vcc, s[0:1]
	s_and_saveexec_b64 s[0:1], s[6:7]
; %bb.196:
	v_bcnt_u32_b32 v0, v0, 0
	v_bcnt_u32_b32 v0, v1, v0
	ds_write_b32 v10, v0 offset:64
; %bb.197:
	s_or_b64 exec, exec, s[0:1]
	v_and_b32_e32 v0, 1, v3
	v_cmp_eq_u32_e32 vcc, 1, v0
	s_xor_b64 s[0:1], vcc, -1
	v_cndmask_b32_e64 v7, 0, 1, s[0:1]
	v_lshrrev_b32_e32 v0, s84, v7
	v_and_b32_e32 v0, s14, v0
	v_mov_b32_e32 v1, v21
	v_mad_u32_u24 v11, v0, s4, v44
	v_cmp_ne_u32_e32 vcc, 0, v0
	v_lshl_add_u64 v[0:1], v[0:1], 0, -1
	s_nop 0
	v_xor_b32_e32 v0, vcc_lo, v0
	; wave barrier
	ds_read_b32 v17, v11 offset:64
	v_xor_b32_e32 v1, vcc_hi, v1
	v_and_b32_e32 v0, exec_lo, v0
	v_and_b32_e32 v1, exec_hi, v1
	v_mbcnt_lo_u32_b32 v3, v0, 0
	v_mbcnt_hi_u32_b32 v19, v1, v3
	v_cmp_eq_u32_e32 vcc, 0, v19
	v_cmp_ne_u64_e64 s[0:1], 0, v[0:1]
	s_and_b64 s[4:5], s[0:1], vcc
	; wave barrier
	s_and_saveexec_b64 s[0:1], s[4:5]
	s_cbranch_execz .LBB2264_199
; %bb.198:
	v_bcnt_u32_b32 v0, v0, 0
	v_bcnt_u32_b32 v0, v1, v0
	s_waitcnt lgkmcnt(0)
	v_add_u32_e32 v0, v17, v0
	ds_write_b32 v11, v0 offset:64
.LBB2264_199:
	s_or_b64 exec, exec, s[0:1]
	v_and_b32_e32 v0, 1, v2
	v_cmp_eq_u32_e32 vcc, 1, v0
	s_xor_b64 s[0:1], vcc, -1
	v_cndmask_b32_e64 v9, 0, 1, s[0:1]
	v_lshrrev_b32_e32 v0, s84, v9
	v_and_b32_e32 v0, s14, v0
	v_mov_b32_e32 v1, 0
	s_movk_i32 s4, 0x44
	v_cmp_ne_u32_e32 vcc, 0, v0
	v_lshl_add_u64 v[2:3], v[0:1], 0, -1
	v_mad_u32_u24 v14, v0, s4, v44
	v_xor_b32_e32 v2, vcc_lo, v2
	; wave barrier
	ds_read_b32 v22, v14 offset:64
	v_xor_b32_e32 v0, vcc_hi, v3
	v_and_b32_e32 v2, exec_lo, v2
	v_and_b32_e32 v3, exec_hi, v0
	v_mbcnt_lo_u32_b32 v0, v2, 0
	v_mbcnt_hi_u32_b32 v23, v3, v0
	v_cmp_eq_u32_e32 vcc, 0, v23
	v_cmp_ne_u64_e64 s[0:1], 0, v[2:3]
	s_and_b64 s[6:7], s[0:1], vcc
	; wave barrier
	s_and_saveexec_b64 s[0:1], s[6:7]
	s_cbranch_execz .LBB2264_201
; %bb.200:
	v_bcnt_u32_b32 v0, v2, 0
	v_bcnt_u32_b32 v0, v3, v0
	s_waitcnt lgkmcnt(0)
	v_add_u32_e32 v0, v22, v0
	ds_write_b32 v14, v0 offset:64
.LBB2264_201:
	s_or_b64 exec, exec, s[0:1]
	v_and_b32_e32 v0, 1, v12
	v_cmp_eq_u32_e32 vcc, 1, v0
	s_xor_b64 s[0:1], vcc, -1
	v_cndmask_b32_e64 v12, 0, 1, s[0:1]
	v_lshrrev_b32_e32 v0, s84, v12
	v_and_b32_e32 v0, s14, v0
	v_mad_u32_u24 v42, v0, s4, v44
	v_cmp_ne_u32_e32 vcc, 0, v0
	v_lshl_add_u64 v[0:1], v[0:1], 0, -1
	s_nop 0
	v_xor_b32_e32 v0, vcc_lo, v0
	; wave barrier
	ds_read_b32 v24, v42 offset:64
	v_xor_b32_e32 v1, vcc_hi, v1
	v_and_b32_e32 v0, exec_lo, v0
	v_and_b32_e32 v1, exec_hi, v1
	v_mbcnt_lo_u32_b32 v2, v0, 0
	v_mbcnt_hi_u32_b32 v25, v1, v2
	v_cmp_eq_u32_e32 vcc, 0, v25
	v_cmp_ne_u64_e64 s[0:1], 0, v[0:1]
	s_and_b64 s[4:5], s[0:1], vcc
	; wave barrier
	s_and_saveexec_b64 s[0:1], s[4:5]
	s_cbranch_execz .LBB2264_203
; %bb.202:
	v_bcnt_u32_b32 v0, v0, 0
	v_bcnt_u32_b32 v0, v1, v0
	s_waitcnt lgkmcnt(0)
	v_add_u32_e32 v0, v24, v0
	ds_write_b32 v42, v0 offset:64
.LBB2264_203:
	s_or_b64 exec, exec, s[0:1]
	v_and_b32_e32 v0, 1, v13
	v_cmp_eq_u32_e32 vcc, 1, v0
	s_xor_b64 s[0:1], vcc, -1
	v_cndmask_b32_e64 v13, 0, 1, s[0:1]
	v_lshrrev_b32_e32 v0, s84, v13
	v_and_b32_e32 v0, s14, v0
	v_mov_b32_e32 v1, 0
	s_movk_i32 s4, 0x44
	v_cmp_ne_u32_e32 vcc, 0, v0
	v_lshl_add_u64 v[2:3], v[0:1], 0, -1
	v_mad_u32_u24 v46, v0, s4, v44
	v_xor_b32_e32 v2, vcc_lo, v2
	; wave barrier
	ds_read_b32 v26, v46 offset:64
	v_xor_b32_e32 v0, vcc_hi, v3
	v_and_b32_e32 v2, exec_lo, v2
	v_and_b32_e32 v3, exec_hi, v0
	v_mbcnt_lo_u32_b32 v0, v2, 0
	v_mbcnt_hi_u32_b32 v27, v3, v0
	v_cmp_eq_u32_e32 vcc, 0, v27
	v_cmp_ne_u64_e64 s[0:1], 0, v[2:3]
	s_and_b64 s[6:7], s[0:1], vcc
	; wave barrier
	s_and_saveexec_b64 s[0:1], s[6:7]
	s_cbranch_execz .LBB2264_205
; %bb.204:
	v_bcnt_u32_b32 v0, v2, 0
	v_bcnt_u32_b32 v0, v3, v0
	s_waitcnt lgkmcnt(0)
	v_add_u32_e32 v0, v26, v0
	ds_write_b32 v46, v0 offset:64
.LBB2264_205:
	s_or_b64 exec, exec, s[0:1]
	v_and_b32_e32 v0, 1, v28
	v_cmp_eq_u32_e32 vcc, 1, v0
	s_xor_b64 s[0:1], vcc, -1
	v_cndmask_b32_e64 v21, 0, 1, s[0:1]
	v_lshrrev_b32_e32 v0, s84, v21
	v_and_b32_e32 v0, s14, v0
	v_mad_u32_u24 v58, v0, s4, v44
	v_cmp_ne_u32_e32 vcc, 0, v0
	v_lshl_add_u64 v[0:1], v[0:1], 0, -1
	s_nop 0
	v_xor_b32_e32 v0, vcc_lo, v0
	; wave barrier
	ds_read_b32 v28, v58 offset:64
	v_xor_b32_e32 v1, vcc_hi, v1
	v_and_b32_e32 v0, exec_lo, v0
	v_and_b32_e32 v1, exec_hi, v1
	v_mbcnt_lo_u32_b32 v2, v0, 0
	v_mbcnt_hi_u32_b32 v29, v1, v2
	v_cmp_eq_u32_e32 vcc, 0, v29
	v_cmp_ne_u64_e64 s[0:1], 0, v[0:1]
	s_and_b64 s[4:5], s[0:1], vcc
	; wave barrier
	s_and_saveexec_b64 s[0:1], s[4:5]
	s_cbranch_execz .LBB2264_207
; %bb.206:
	v_bcnt_u32_b32 v0, v0, 0
	v_bcnt_u32_b32 v0, v1, v0
	s_waitcnt lgkmcnt(0)
	v_add_u32_e32 v0, v28, v0
	ds_write_b32 v58, v0 offset:64
.LBB2264_207:
	s_or_b64 exec, exec, s[0:1]
	v_and_b32_e32 v0, 1, v30
	v_cmp_eq_u32_e32 vcc, 1, v0
	s_xor_b64 s[0:1], vcc, -1
	v_cndmask_b32_e64 v82, 0, 1, s[0:1]
	v_lshrrev_b32_e32 v0, s84, v82
	v_and_b32_e32 v0, s14, v0
	v_mov_b32_e32 v1, 0
	s_movk_i32 s4, 0x44
	v_cmp_ne_u32_e32 vcc, 0, v0
	v_lshl_add_u64 v[2:3], v[0:1], 0, -1
	v_mad_u32_u24 v59, v0, s4, v44
	v_xor_b32_e32 v2, vcc_lo, v2
	; wave barrier
	ds_read_b32 v30, v59 offset:64
	v_xor_b32_e32 v0, vcc_hi, v3
	v_and_b32_e32 v2, exec_lo, v2
	v_and_b32_e32 v3, exec_hi, v0
	v_mbcnt_lo_u32_b32 v0, v2, 0
	v_mbcnt_hi_u32_b32 v31, v3, v0
	v_cmp_eq_u32_e32 vcc, 0, v31
	v_cmp_ne_u64_e64 s[0:1], 0, v[2:3]
	s_and_b64 s[6:7], s[0:1], vcc
	; wave barrier
	s_and_saveexec_b64 s[0:1], s[6:7]
	s_cbranch_execz .LBB2264_209
; %bb.208:
	v_bcnt_u32_b32 v0, v2, 0
	v_bcnt_u32_b32 v0, v3, v0
	s_waitcnt lgkmcnt(0)
	v_add_u32_e32 v0, v30, v0
	ds_write_b32 v59, v0 offset:64
.LBB2264_209:
	s_or_b64 exec, exec, s[0:1]
	v_and_b32_e32 v0, 1, v32
	v_cmp_eq_u32_e32 vcc, 1, v0
	s_xor_b64 s[0:1], vcc, -1
	v_cndmask_b32_e64 v83, 0, 1, s[0:1]
	v_lshrrev_b32_e32 v0, s84, v83
	v_and_b32_e32 v0, s14, v0
	v_mad_u32_u24 v60, v0, s4, v44
	v_cmp_ne_u32_e32 vcc, 0, v0
	v_lshl_add_u64 v[0:1], v[0:1], 0, -1
	s_nop 0
	v_xor_b32_e32 v0, vcc_lo, v0
	; wave barrier
	ds_read_b32 v32, v60 offset:64
	v_xor_b32_e32 v1, vcc_hi, v1
	v_and_b32_e32 v0, exec_lo, v0
	v_and_b32_e32 v1, exec_hi, v1
	v_mbcnt_lo_u32_b32 v2, v0, 0
	v_mbcnt_hi_u32_b32 v33, v1, v2
	v_cmp_eq_u32_e32 vcc, 0, v33
	v_cmp_ne_u64_e64 s[0:1], 0, v[0:1]
	s_and_b64 s[4:5], s[0:1], vcc
	; wave barrier
	s_and_saveexec_b64 s[0:1], s[4:5]
	s_cbranch_execz .LBB2264_211
; %bb.210:
	v_bcnt_u32_b32 v0, v0, 0
	v_bcnt_u32_b32 v0, v1, v0
	s_waitcnt lgkmcnt(0)
	v_add_u32_e32 v0, v32, v0
	ds_write_b32 v60, v0 offset:64
.LBB2264_211:
	s_or_b64 exec, exec, s[0:1]
	s_waitcnt vmcnt(7)
	v_and_b32_e32 v0, 1, v34
	v_cmp_eq_u32_e32 vcc, 1, v0
	s_xor_b64 s[0:1], vcc, -1
	v_cndmask_b32_e64 v84, 0, 1, s[0:1]
	v_lshrrev_b32_e32 v0, s84, v84
	v_and_b32_e32 v0, s14, v0
	v_mov_b32_e32 v1, 0
	s_movk_i32 s4, 0x44
	v_cmp_ne_u32_e32 vcc, 0, v0
	v_lshl_add_u64 v[2:3], v[0:1], 0, -1
	v_mad_u32_u24 v61, v0, s4, v44
	v_xor_b32_e32 v2, vcc_lo, v2
	; wave barrier
	ds_read_b32 v34, v61 offset:64
	v_xor_b32_e32 v0, vcc_hi, v3
	v_and_b32_e32 v2, exec_lo, v2
	v_and_b32_e32 v3, exec_hi, v0
	v_mbcnt_lo_u32_b32 v0, v2, 0
	v_mbcnt_hi_u32_b32 v35, v3, v0
	v_cmp_eq_u32_e32 vcc, 0, v35
	v_cmp_ne_u64_e64 s[0:1], 0, v[2:3]
	s_and_b64 s[6:7], s[0:1], vcc
	; wave barrier
	s_and_saveexec_b64 s[0:1], s[6:7]
	s_cbranch_execz .LBB2264_213
; %bb.212:
	v_bcnt_u32_b32 v0, v2, 0
	v_bcnt_u32_b32 v0, v3, v0
	s_waitcnt lgkmcnt(0)
	v_add_u32_e32 v0, v34, v0
	ds_write_b32 v61, v0 offset:64
.LBB2264_213:
	s_or_b64 exec, exec, s[0:1]
	s_waitcnt vmcnt(6)
	v_and_b32_e32 v0, 1, v36
	v_cmp_eq_u32_e32 vcc, 1, v0
	s_xor_b64 s[0:1], vcc, -1
	v_cndmask_b32_e64 v85, 0, 1, s[0:1]
	v_lshrrev_b32_e32 v0, s84, v85
	v_and_b32_e32 v0, s14, v0
	v_mad_u32_u24 v62, v0, s4, v44
	v_cmp_ne_u32_e32 vcc, 0, v0
	v_lshl_add_u64 v[0:1], v[0:1], 0, -1
	s_nop 0
	v_xor_b32_e32 v0, vcc_lo, v0
	; wave barrier
	ds_read_b32 v36, v62 offset:64
	v_xor_b32_e32 v1, vcc_hi, v1
	v_and_b32_e32 v0, exec_lo, v0
	v_and_b32_e32 v1, exec_hi, v1
	v_mbcnt_lo_u32_b32 v2, v0, 0
	v_mbcnt_hi_u32_b32 v37, v1, v2
	v_cmp_eq_u32_e32 vcc, 0, v37
	v_cmp_ne_u64_e64 s[0:1], 0, v[0:1]
	s_and_b64 s[4:5], s[0:1], vcc
	; wave barrier
	s_and_saveexec_b64 s[0:1], s[4:5]
	s_cbranch_execz .LBB2264_215
; %bb.214:
	v_bcnt_u32_b32 v0, v0, 0
	v_bcnt_u32_b32 v0, v1, v0
	s_waitcnt lgkmcnt(0)
	v_add_u32_e32 v0, v36, v0
	ds_write_b32 v62, v0 offset:64
.LBB2264_215:
	s_or_b64 exec, exec, s[0:1]
	s_waitcnt vmcnt(5)
	v_and_b32_e32 v0, 1, v39
	v_cmp_eq_u32_e32 vcc, 1, v0
	s_xor_b64 s[0:1], vcc, -1
	v_cndmask_b32_e64 v86, 0, 1, s[0:1]
	v_lshrrev_b32_e32 v0, s84, v86
	v_and_b32_e32 v0, s14, v0
	v_mov_b32_e32 v1, 0
	s_movk_i32 s4, 0x44
	v_cmp_ne_u32_e32 vcc, 0, v0
	v_lshl_add_u64 v[2:3], v[0:1], 0, -1
	v_mad_u32_u24 v63, v0, s4, v44
	v_xor_b32_e32 v2, vcc_lo, v2
	; wave barrier
	ds_read_b32 v39, v63 offset:64
	v_xor_b32_e32 v0, vcc_hi, v3
	v_and_b32_e32 v2, exec_lo, v2
	v_and_b32_e32 v3, exec_hi, v0
	v_mbcnt_lo_u32_b32 v0, v2, 0
	v_mbcnt_hi_u32_b32 v40, v3, v0
	v_cmp_eq_u32_e32 vcc, 0, v40
	v_cmp_ne_u64_e64 s[0:1], 0, v[2:3]
	s_and_b64 s[6:7], s[0:1], vcc
	; wave barrier
	s_and_saveexec_b64 s[0:1], s[6:7]
	s_cbranch_execz .LBB2264_217
; %bb.216:
	v_bcnt_u32_b32 v0, v2, 0
	v_bcnt_u32_b32 v0, v3, v0
	s_waitcnt lgkmcnt(0)
	v_add_u32_e32 v0, v39, v0
	ds_write_b32 v63, v0 offset:64
.LBB2264_217:
	s_or_b64 exec, exec, s[0:1]
	s_waitcnt vmcnt(4)
	v_and_b32_e32 v0, 1, v41
	v_cmp_eq_u32_e32 vcc, 1, v0
	s_xor_b64 s[0:1], vcc, -1
	v_cndmask_b32_e64 v87, 0, 1, s[0:1]
	v_lshrrev_b32_e32 v0, s84, v87
	v_and_b32_e32 v0, s14, v0
	v_mad_u32_u24 v64, v0, s4, v44
	v_cmp_ne_u32_e32 vcc, 0, v0
	v_lshl_add_u64 v[0:1], v[0:1], 0, -1
	s_nop 0
	v_xor_b32_e32 v0, vcc_lo, v0
	; wave barrier
	ds_read_b32 v41, v64 offset:64
	v_xor_b32_e32 v1, vcc_hi, v1
	v_and_b32_e32 v0, exec_lo, v0
	v_and_b32_e32 v1, exec_hi, v1
	v_mbcnt_lo_u32_b32 v2, v0, 0
	v_mbcnt_hi_u32_b32 v43, v1, v2
	v_cmp_eq_u32_e32 vcc, 0, v43
	v_cmp_ne_u64_e64 s[0:1], 0, v[0:1]
	s_and_b64 s[4:5], s[0:1], vcc
	; wave barrier
	s_and_saveexec_b64 s[0:1], s[4:5]
	s_cbranch_execz .LBB2264_219
; %bb.218:
	v_bcnt_u32_b32 v0, v0, 0
	v_bcnt_u32_b32 v0, v1, v0
	s_waitcnt lgkmcnt(0)
	v_add_u32_e32 v0, v41, v0
	ds_write_b32 v64, v0 offset:64
.LBB2264_219:
	s_or_b64 exec, exec, s[0:1]
	s_waitcnt vmcnt(3)
	v_and_b32_e32 v0, 1, v45
	v_cmp_eq_u32_e32 vcc, 1, v0
	s_xor_b64 s[0:1], vcc, -1
	v_cndmask_b32_e64 v88, 0, 1, s[0:1]
	v_lshrrev_b32_e32 v0, s84, v88
	v_and_b32_e32 v0, s14, v0
	v_mov_b32_e32 v1, 0
	s_movk_i32 s4, 0x44
	v_cmp_ne_u32_e32 vcc, 0, v0
	v_lshl_add_u64 v[2:3], v[0:1], 0, -1
	v_mad_u32_u24 v65, v0, s4, v44
	v_xor_b32_e32 v2, vcc_lo, v2
	; wave barrier
	ds_read_b32 v45, v65 offset:64
	v_xor_b32_e32 v0, vcc_hi, v3
	v_and_b32_e32 v2, exec_lo, v2
	v_and_b32_e32 v3, exec_hi, v0
	v_mbcnt_lo_u32_b32 v0, v2, 0
	v_mbcnt_hi_u32_b32 v47, v3, v0
	v_cmp_eq_u32_e32 vcc, 0, v47
	v_cmp_ne_u64_e64 s[0:1], 0, v[2:3]
	s_and_b64 s[6:7], s[0:1], vcc
	; wave barrier
	s_and_saveexec_b64 s[0:1], s[6:7]
	s_cbranch_execz .LBB2264_221
; %bb.220:
	v_bcnt_u32_b32 v0, v2, 0
	v_bcnt_u32_b32 v0, v3, v0
	s_waitcnt lgkmcnt(0)
	v_add_u32_e32 v0, v45, v0
	ds_write_b32 v65, v0 offset:64
.LBB2264_221:
	s_or_b64 exec, exec, s[0:1]
	s_waitcnt vmcnt(2)
	v_and_b32_e32 v0, 1, v48
	v_cmp_eq_u32_e32 vcc, 1, v0
	s_xor_b64 s[0:1], vcc, -1
	v_cndmask_b32_e64 v89, 0, 1, s[0:1]
	v_lshrrev_b32_e32 v0, s84, v89
	v_and_b32_e32 v0, s14, v0
	v_mad_u32_u24 v66, v0, s4, v44
	v_cmp_ne_u32_e32 vcc, 0, v0
	v_lshl_add_u64 v[0:1], v[0:1], 0, -1
	s_nop 0
	v_xor_b32_e32 v0, vcc_lo, v0
	; wave barrier
	ds_read_b32 v48, v66 offset:64
	v_xor_b32_e32 v1, vcc_hi, v1
	v_and_b32_e32 v0, exec_lo, v0
	v_and_b32_e32 v1, exec_hi, v1
	v_mbcnt_lo_u32_b32 v2, v0, 0
	v_mbcnt_hi_u32_b32 v49, v1, v2
	v_cmp_eq_u32_e32 vcc, 0, v49
	v_cmp_ne_u64_e64 s[0:1], 0, v[0:1]
	s_and_b64 s[4:5], s[0:1], vcc
	; wave barrier
	s_and_saveexec_b64 s[0:1], s[4:5]
	s_cbranch_execz .LBB2264_223
; %bb.222:
	v_bcnt_u32_b32 v0, v0, 0
	v_bcnt_u32_b32 v0, v1, v0
	s_waitcnt lgkmcnt(0)
	v_add_u32_e32 v0, v48, v0
	ds_write_b32 v66, v0 offset:64
.LBB2264_223:
	s_or_b64 exec, exec, s[0:1]
	s_waitcnt vmcnt(1)
	v_and_b32_e32 v0, 1, v38
	v_cmp_eq_u32_e32 vcc, 1, v0
	s_xor_b64 s[0:1], vcc, -1
	v_cndmask_b32_e64 v90, 0, 1, s[0:1]
	v_lshrrev_b32_e32 v0, s84, v90
	v_and_b32_e32 v0, s14, v0
	v_mov_b32_e32 v1, 0
	s_movk_i32 s4, 0x44
	v_cmp_ne_u32_e32 vcc, 0, v0
	v_lshl_add_u64 v[2:3], v[0:1], 0, -1
	v_mad_u32_u24 v68, v0, s4, v44
	v_xor_b32_e32 v2, vcc_lo, v2
	; wave barrier
	ds_read_b32 v50, v68 offset:64
	v_xor_b32_e32 v0, vcc_hi, v3
	v_and_b32_e32 v2, exec_lo, v2
	v_and_b32_e32 v3, exec_hi, v0
	v_mbcnt_lo_u32_b32 v0, v2, 0
	v_mbcnt_hi_u32_b32 v51, v3, v0
	v_cmp_eq_u32_e32 vcc, 0, v51
	v_cmp_ne_u64_e64 s[0:1], 0, v[2:3]
	s_and_b64 s[6:7], s[0:1], vcc
	; wave barrier
	s_and_saveexec_b64 s[0:1], s[6:7]
	s_cbranch_execz .LBB2264_225
; %bb.224:
	v_bcnt_u32_b32 v0, v2, 0
	v_bcnt_u32_b32 v0, v3, v0
	s_waitcnt lgkmcnt(0)
	v_add_u32_e32 v0, v50, v0
	ds_write_b32 v68, v0 offset:64
.LBB2264_225:
	s_or_b64 exec, exec, s[0:1]
	s_waitcnt vmcnt(0)
	v_and_b32_e32 v0, 1, v15
	v_cmp_eq_u32_e32 vcc, 1, v0
	s_xor_b64 s[0:1], vcc, -1
	v_cndmask_b32_e64 v15, 0, 1, s[0:1]
	v_lshrrev_b32_e32 v0, s84, v15
	v_and_b32_e32 v0, s14, v0
	v_mad_u32_u24 v44, v0, s4, v44
	v_cmp_ne_u32_e32 vcc, 0, v0
	v_lshl_add_u64 v[0:1], v[0:1], 0, -1
	s_nop 0
	v_xor_b32_e32 v0, vcc_lo, v0
	; wave barrier
	ds_read_b32 v52, v44 offset:64
	v_xor_b32_e32 v1, vcc_hi, v1
	v_and_b32_e32 v0, exec_lo, v0
	v_and_b32_e32 v1, exec_hi, v1
	v_mbcnt_lo_u32_b32 v2, v0, 0
	v_mbcnt_hi_u32_b32 v53, v1, v2
	v_cmp_eq_u32_e32 vcc, 0, v53
	v_cmp_ne_u64_e64 s[0:1], 0, v[0:1]
	s_and_b64 s[4:5], s[0:1], vcc
	; wave barrier
	s_and_saveexec_b64 s[0:1], s[4:5]
	s_cbranch_execz .LBB2264_227
; %bb.226:
	v_bcnt_u32_b32 v0, v0, 0
	v_bcnt_u32_b32 v0, v1, v0
	s_waitcnt lgkmcnt(0)
	v_add_u32_e32 v0, v52, v0
	ds_write_b32 v44, v0 offset:64
.LBB2264_227:
	s_or_b64 exec, exec, s[0:1]
	; wave barrier
	s_waitcnt lgkmcnt(0)
	s_barrier
	ds_read2_b32 v[2:3], v8 offset0:16 offset1:17
	ds_read2_b32 v[0:1], v8 offset0:18 offset1:19
	ds_read_b32 v38, v8 offset:80
	v_cmp_lt_u32_e64 s[8:9], 31, v5
	s_waitcnt lgkmcnt(1)
	v_add3_u32 v54, v3, v2, v0
	s_waitcnt lgkmcnt(0)
	v_add3_u32 v38, v54, v1, v38
	v_and_b32_e32 v54, 15, v5
	v_cmp_eq_u32_e32 vcc, 0, v54
	v_mov_b32_dpp v55, v38 row_shr:1 row_mask:0xf bank_mask:0xf
	v_cmp_lt_u32_e64 s[0:1], 1, v54
	v_cndmask_b32_e64 v55, v55, 0, vcc
	v_add_u32_e32 v38, v55, v38
	v_cmp_lt_u32_e64 s[6:7], 3, v54
	v_cmp_lt_u32_e64 s[4:5], 7, v54
	v_mov_b32_dpp v55, v38 row_shr:2 row_mask:0xf bank_mask:0xf
	v_cndmask_b32_e64 v55, 0, v55, s[0:1]
	v_add_u32_e32 v38, v38, v55
	s_nop 1
	v_mov_b32_dpp v55, v38 row_shr:4 row_mask:0xf bank_mask:0xf
	v_cndmask_b32_e64 v55, 0, v55, s[6:7]
	v_add_u32_e32 v38, v38, v55
	s_nop 1
	v_mov_b32_dpp v55, v38 row_shr:8 row_mask:0xf bank_mask:0xf
	v_cndmask_b32_e64 v54, 0, v55, s[4:5]
	v_add_u32_e32 v38, v38, v54
	v_bfe_i32 v55, v5, 4, 1
	s_nop 0
	v_mov_b32_dpp v54, v38 row_bcast:15 row_mask:0xf bank_mask:0xf
	v_and_b32_e32 v54, v55, v54
	v_add_u32_e32 v38, v38, v54
	v_lshrrev_b32_e32 v55, 6, v16
	s_nop 0
	v_mov_b32_dpp v54, v38 row_bcast:31 row_mask:0xf bank_mask:0xf
	v_cndmask_b32_e64 v54, 0, v54, s[8:9]
	v_add_u32_e32 v54, v38, v54
	v_and_b32_e32 v38, 63, v16
	v_cmp_eq_u32_e64 s[8:9], 63, v38
	s_and_saveexec_b64 s[12:13], s[8:9]
; %bb.228:
	v_lshlrev_b32_e32 v38, 2, v55
	ds_write_b32 v38, v54
; %bb.229:
	s_or_b64 exec, exec, s[12:13]
	v_cmp_gt_u32_e64 s[8:9], 16, v16
	v_lshlrev_b32_e32 v38, 2, v16
	s_waitcnt lgkmcnt(0)
	s_barrier
	s_and_saveexec_b64 s[12:13], s[8:9]
	s_cbranch_execz .LBB2264_231
; %bb.230:
	ds_read_b32 v56, v38
	s_waitcnt lgkmcnt(0)
	s_nop 0
	v_mov_b32_dpp v57, v56 row_shr:1 row_mask:0xf bank_mask:0xf
	v_cndmask_b32_e64 v57, v57, 0, vcc
	v_add_u32_e32 v56, v57, v56
	s_nop 1
	v_mov_b32_dpp v57, v56 row_shr:2 row_mask:0xf bank_mask:0xf
	v_cndmask_b32_e64 v57, 0, v57, s[0:1]
	v_add_u32_e32 v56, v56, v57
	s_nop 1
	v_mov_b32_dpp v57, v56 row_shr:4 row_mask:0xf bank_mask:0xf
	v_cndmask_b32_e64 v57, 0, v57, s[6:7]
	v_add_u32_e32 v56, v56, v57
	s_nop 1
	v_mov_b32_dpp v57, v56 row_shr:8 row_mask:0xf bank_mask:0xf
	v_cndmask_b32_e64 v57, 0, v57, s[4:5]
	v_add_u32_e32 v56, v56, v57
	ds_write_b32 v38, v56
.LBB2264_231:
	s_or_b64 exec, exec, s[12:13]
	v_cmp_lt_u32_e32 vcc, 63, v16
	v_mov_b32_e32 v56, 0
	s_waitcnt lgkmcnt(0)
	s_barrier
	s_and_saveexec_b64 s[0:1], vcc
; %bb.232:
	v_lshl_add_u32 v55, v55, 2, -4
	ds_read_b32 v56, v55
; %bb.233:
	s_or_b64 exec, exec, s[0:1]
	v_subrev_co_u32_e32 v55, vcc, 1, v5
	v_and_b32_e32 v57, 64, v5
	v_cmp_lt_i32_e64 s[0:1], v55, v57
	s_waitcnt lgkmcnt(0)
	v_add_u32_e32 v54, v56, v54
	s_movk_i32 s4, 0x100
	v_cndmask_b32_e64 v5, v55, v5, s[0:1]
	v_lshlrev_b32_e32 v5, 2, v5
	ds_bpermute_b32 v5, v5, v54
	s_movk_i32 s0, 0xff
	s_waitcnt lgkmcnt(0)
	v_cndmask_b32_e32 v5, v5, v56, vcc
	v_cmp_ne_u32_e32 vcc, 0, v16
	s_nop 1
	v_cndmask_b32_e32 v5, 0, v5, vcc
	v_add_u32_e32 v2, v5, v2
	v_add_u32_e32 v3, v2, v3
	v_add_u32_e32 v0, v3, v0
	v_add_u32_e32 v1, v0, v1
	ds_write2_b32 v8, v5, v2 offset0:16 offset1:17
	ds_write2_b32 v8, v3, v0 offset0:18 offset1:19
	ds_write_b32 v8, v1 offset:80
	s_waitcnt lgkmcnt(0)
	s_barrier
	ds_read_b32 v0, v10 offset:64
	ds_read_b32 v54, v11 offset:64
	;; [unrolled: 1-line block ×16, first 2 shown]
	v_cmp_lt_u32_e32 vcc, s0, v16
	v_cmp_gt_u32_e64 s[0:1], s4, v16
                                        ; implicit-def: $vgpr42
                                        ; implicit-def: $vgpr44
	s_and_saveexec_b64 s[6:7], s[0:1]
	s_cbranch_execz .LBB2264_237
; %bb.234:
	v_mul_u32_u24_e32 v1, 0x44, v16
	ds_read_b32 v42, v1 offset:64
	v_add_u32_e32 v2, 1, v16
	v_cmp_ne_u32_e64 s[4:5], s4, v2
	v_mov_b32_e32 v1, 0x4000
	s_and_saveexec_b64 s[8:9], s[4:5]
; %bb.235:
	v_mul_u32_u24_e32 v1, 0x44, v2
	ds_read_b32 v1, v1 offset:64
; %bb.236:
	s_or_b64 exec, exec, s[8:9]
	s_waitcnt lgkmcnt(0)
	v_sub_u32_e32 v44, v1, v42
.LBB2264_237:
	s_or_b64 exec, exec, s[6:7]
	s_waitcnt lgkmcnt(14)
	v_add_u32_e32 v46, v0, v6
	v_add3_u32 v66, v19, v17, v54
	s_waitcnt lgkmcnt(13)
	v_add3_u32 v68, v23, v22, v55
	s_waitcnt lgkmcnt(12)
	;; [unrolled: 2-line block ×7, first 2 shown]
	s_barrier
	ds_write_b8 v46, v4 offset:1024
	v_add3_u32 v76, v35, v34, v61
	ds_write_b8 v66, v7 offset:1024
	v_add3_u32 v77, v37, v36, v62
	;; [unrolled: 2-line block ×8, first 2 shown]
	v_mov_b32_e32 v1, 0
	ds_write_b8 v76, v84 offset:1024
	ds_write_b8 v77, v85 offset:1024
	;; [unrolled: 1-line block ×8, first 2 shown]
	s_and_saveexec_b64 s[4:5], s[0:1]
	s_cbranch_execz .LBB2264_247
; %bb.238:
	v_lshl_add_u32 v0, s2, 8, v16
	v_lshl_add_u64 v[2:3], v[0:1], 2, s[70:71]
	v_or_b32_e32 v0, 2.0, v44
	s_mov_b64 s[6:7], 0
	s_brev_b32 s15, -4
	s_mov_b32 s16, s2
	v_mov_b32_e32 v6, 0
	global_store_dword v[2:3], v0, off sc1
                                        ; implicit-def: $sgpr0_sgpr1
	s_branch .LBB2264_241
.LBB2264_239:                           ;   in Loop: Header=BB2264_241 Depth=1
	s_or_b64 exec, exec, s[12:13]
.LBB2264_240:                           ;   in Loop: Header=BB2264_241 Depth=1
	s_or_b64 exec, exec, s[8:9]
	v_and_b32_e32 v4, 0x3fffffff, v0
	v_add_u32_e32 v6, v4, v6
	v_cmp_gt_i32_e64 s[0:1], -2.0, v0
	s_and_b64 s[8:9], exec, s[0:1]
	s_or_b64 s[6:7], s[8:9], s[6:7]
	s_andn2_b64 exec, exec, s[6:7]
	s_cbranch_execz .LBB2264_246
.LBB2264_241:                           ; =>This Loop Header: Depth=1
                                        ;     Child Loop BB2264_244 Depth 2
	s_or_b64 s[0:1], s[0:1], exec
	s_cmp_eq_u32 s16, 0
	s_cbranch_scc1 .LBB2264_245
; %bb.242:                              ;   in Loop: Header=BB2264_241 Depth=1
	s_add_i32 s16, s16, -1
	v_lshl_or_b32 v0, s16, 8, v16
	v_lshl_add_u64 v[4:5], v[0:1], 2, s[70:71]
	global_load_dword v0, v[4:5], off sc1
	s_waitcnt vmcnt(0)
	v_cmp_gt_u32_e64 s[0:1], 2.0, v0
	s_and_saveexec_b64 s[8:9], s[0:1]
	s_cbranch_execz .LBB2264_240
; %bb.243:                              ;   in Loop: Header=BB2264_241 Depth=1
	s_mov_b64 s[12:13], 0
.LBB2264_244:                           ;   Parent Loop BB2264_241 Depth=1
                                        ; =>  This Inner Loop Header: Depth=2
	global_load_dword v0, v[4:5], off sc1
	s_waitcnt vmcnt(0)
	v_cmp_lt_u32_e64 s[0:1], s15, v0
	s_or_b64 s[12:13], s[0:1], s[12:13]
	s_andn2_b64 exec, exec, s[12:13]
	s_cbranch_execnz .LBB2264_244
	s_branch .LBB2264_239
.LBB2264_245:                           ;   in Loop: Header=BB2264_241 Depth=1
                                        ; implicit-def: $sgpr16
	s_and_b64 s[8:9], exec, s[0:1]
	s_or_b64 s[6:7], s[8:9], s[6:7]
	s_andn2_b64 exec, exec, s[6:7]
	s_cbranch_execnz .LBB2264_241
.LBB2264_246:
	s_or_b64 exec, exec, s[6:7]
	v_add_u32_e32 v0, v6, v44
	v_or_b32_e32 v0, 0x80000000, v0
	global_store_dword v[2:3], v0, off sc1
	global_load_dword v0, v38, s[80:81]
	v_sub_u32_e32 v1, v6, v42
	s_waitcnt vmcnt(0)
	v_add_u32_e32 v0, v1, v0
	ds_write_b32 v38, v0
.LBB2264_247:
	s_or_b64 exec, exec, s[4:5]
	s_waitcnt lgkmcnt(0)
	s_barrier
	ds_read_u8 v1, v16 offset:1024
	ds_read_u8 v8, v16 offset:2048
	;; [unrolled: 1-line block ×8, first 2 shown]
	s_waitcnt lgkmcnt(7)
	v_and_b32_e32 v0, 1, v1
	v_xor_b32_e32 v15, 1, v1
	s_waitcnt lgkmcnt(6)
	v_and_b32_e32 v1, 1, v8
	s_waitcnt lgkmcnt(5)
	v_and_b32_e32 v2, 1, v9
	;; [unrolled: 2-line block ×7, first 2 shown]
	v_lshrrev_b32_e32 v0, s84, v0
	v_lshrrev_b32_e32 v1, s84, v1
	;; [unrolled: 1-line block ×8, first 2 shown]
	v_and_b32_e32 v0, s14, v0
	v_and_b32_e32 v1, s14, v1
	;; [unrolled: 1-line block ×8, first 2 shown]
	v_lshlrev_b32_e32 v21, 2, v0
	v_lshlrev_b32_e32 v84, 2, v1
	;; [unrolled: 1-line block ×8, first 2 shown]
	ds_read_b32 v21, v21
	ds_read_b32 v84, v84
	;; [unrolled: 1-line block ×8, first 2 shown]
	s_waitcnt lgkmcnt(7)
	v_add_u32_e32 v21, v21, v16
	s_movk_i32 s6, 0x400
	global_store_byte v21, v15, s[74:75]
	v_xor_b32_e32 v8, 1, v8
	s_waitcnt lgkmcnt(6)
	v_add3_u32 v15, v84, v16, s6
	s_movk_i32 s7, 0x800
	global_store_byte v15, v8, s[74:75]
	v_xor_b32_e32 v8, 1, v9
	s_waitcnt lgkmcnt(5)
	v_add3_u32 v9, v85, v16, s7
	s_movk_i32 s8, 0xc00
	global_store_byte v9, v8, s[74:75]
	v_xor_b32_e32 v8, 1, v10
	s_waitcnt lgkmcnt(4)
	v_add3_u32 v9, v86, v16, s8
	s_movk_i32 s9, 0x1000
	global_store_byte v9, v8, s[74:75]
	v_xor_b32_e32 v8, 1, v11
	s_waitcnt lgkmcnt(3)
	v_add3_u32 v9, v87, v16, s9
	s_movk_i32 s0, 0x1400
	global_store_byte v9, v8, s[74:75]
	v_xor_b32_e32 v8, 1, v12
	s_waitcnt lgkmcnt(2)
	v_add3_u32 v9, v88, v16, s0
	s_movk_i32 s0, 0x1800
	global_store_byte v9, v8, s[74:75]
	v_xor_b32_e32 v8, 1, v13
	s_waitcnt lgkmcnt(1)
	v_add3_u32 v9, v89, v16, s0
	s_movk_i32 s0, 0x1c00
	global_store_byte v9, v8, s[74:75]
	v_xor_b32_e32 v8, 1, v14
	s_waitcnt lgkmcnt(0)
	v_add3_u32 v9, v90, v16, s0
	global_store_byte v9, v8, s[74:75]
	ds_read_u8 v9, v16 offset:9216
	ds_read_u8 v21, v16 offset:10240
	;; [unrolled: 1-line block ×8, first 2 shown]
	s_waitcnt lgkmcnt(7)
	v_and_b32_e32 v8, 1, v9
	v_xor_b32_e32 v90, 1, v9
	s_waitcnt lgkmcnt(6)
	v_and_b32_e32 v9, 1, v21
	s_waitcnt lgkmcnt(5)
	v_and_b32_e32 v10, 1, v84
	;; [unrolled: 2-line block ×7, first 2 shown]
	v_lshrrev_b32_e32 v8, s84, v8
	v_lshrrev_b32_e32 v9, s84, v9
	;; [unrolled: 1-line block ×8, first 2 shown]
	v_and_b32_e32 v8, s14, v8
	v_and_b32_e32 v9, s14, v9
	;; [unrolled: 1-line block ×8, first 2 shown]
	v_lshlrev_b32_e32 v91, 2, v8
	v_lshlrev_b32_e32 v92, 2, v9
	;; [unrolled: 1-line block ×8, first 2 shown]
	s_movk_i32 s0, 0x2000
	ds_read_b32 v91, v91
	ds_read_b32 v92, v92
	;; [unrolled: 1-line block ×8, first 2 shown]
	s_waitcnt lgkmcnt(7)
	v_add3_u32 v91, v91, v16, s0
	s_movk_i32 s0, 0x2400
	global_store_byte v91, v90, s[74:75]
	v_xor_b32_e32 v21, 1, v21
	s_waitcnt lgkmcnt(6)
	v_add3_u32 v90, v92, v16, s0
	s_movk_i32 s0, 0x2800
	global_store_byte v90, v21, s[74:75]
	v_xor_b32_e32 v21, 1, v84
	;; [unrolled: 5-line block ×6, first 2 shown]
	s_waitcnt lgkmcnt(1)
	v_add3_u32 v84, v97, v16, s0
	s_movk_i32 s0, 0x3c00
	global_store_byte v84, v21, s[74:75]
	s_waitcnt lgkmcnt(0)
	v_add3_u32 v84, v98, v16, s0
	s_lshl_b64 s[0:1], s[10:11], 2
	v_xor_b32_e32 v21, 1, v89
	s_add_u32 s0, s76, s0
	global_store_byte v84, v21, s[74:75]
	s_addc_u32 s1, s77, s1
	v_lshlrev_b32_e32 v20, 2, v20
	v_mov_b32_e32 v21, 0
	v_lshl_add_u64 v[84:85], s[0:1], 0, v[20:21]
	v_lshlrev_b32_e32 v20, 2, v18
	v_lshl_add_u64 v[98:99], v[84:85], 0, v[20:21]
	global_load_dword v18, v[98:99], off
	global_load_dword v84, v[98:99], off offset:256
	global_load_dword v85, v[98:99], off offset:512
	;; [unrolled: 1-line block ×14, first 2 shown]
	s_nop 0
	global_load_dword v98, v[98:99], off offset:3840
	v_mul_u32_u24_e32 v20, 3, v16
	v_mov_b32_e32 v99, 0x400
	scratch_store_dwordx4 off, v[0:3], off
	scratch_store_dwordx4 off, v[4:7], off offset:16
	scratch_store_dwordx4 off, v[8:11], off offset:32
	;; [unrolled: 1-line block ×3, first 2 shown]
	v_lshl_add_u32 v0, v83, 2, v99
	v_add3_u32 v1, v53, v73, v52
	v_lshl_add_u32 v2, v82, 2, v99
	v_add3_u32 v3, v51, v70, v50
	;; [unrolled: 2-line block ×15, first 2 shown]
	v_lshl_add_u32 v19, v46, 2, v99
	s_mov_b32 s10, 0
	s_mov_b32 s11, 0
	v_add_u32_e32 v35, v16, v20
	s_mov_b32 s12, 0
	s_barrier
	s_branch .LBB2264_249
.LBB2264_248:                           ;   in Loop: Header=BB2264_249 Depth=1
	s_or_b64 exec, exec, s[4:5]
	s_waitcnt lgkmcnt(0)
	s_barrier
	scratch_load_dwordx4 v[48:51], off, s10
	ds_read2st64_b32 v[36:37], v35 offset0:4 offset1:20
	ds_read2st64_b32 v[40:41], v35 offset0:36 offset1:52
	s_addk_i32 s12, 0xc000
	s_addk_i32 s11, 0xf000
	s_add_i32 s10, s10, 16
	s_cmp_eq_u32 s12, 0xffff0000
	s_waitcnt vmcnt(0)
	v_lshlrev_b32_e32 v20, 2, v48
	ds_read_b32 v20, v20
	v_lshlrev_b32_e32 v39, 2, v49
	v_lshlrev_b32_e32 v43, 2, v50
	;; [unrolled: 1-line block ×3, first 2 shown]
	ds_read_b32 v39, v39
	ds_read_b32 v43, v43
	;; [unrolled: 1-line block ×3, first 2 shown]
	s_waitcnt lgkmcnt(3)
	v_add_u32_e32 v20, v16, v20
	v_lshl_add_u64 v[48:49], v[20:21], 2, s[78:79]
	s_waitcnt lgkmcnt(2)
	v_add3_u32 v20, v16, v39, s6
	global_store_dword v[48:49], v36, off
	v_lshl_add_u64 v[48:49], v[20:21], 2, s[78:79]
	s_waitcnt lgkmcnt(1)
	v_add3_u32 v20, v16, v43, s7
	global_store_dword v[48:49], v37, off
	;; [unrolled: 4-line block ×3, first 2 shown]
	v_lshl_add_u64 v[36:37], v[20:21], 2, s[78:79]
	v_add_u32_e32 v16, 0x1000, v16
	global_store_dword v[36:37], v41, off
	s_barrier
	s_cbranch_scc1 .LBB2264_281
.LBB2264_249:                           ; =>This Inner Loop Header: Depth=1
	v_add_u32_e32 v20, s11, v46
	v_cmp_gt_u32_e64 s[0:1], s9, v20
	s_and_saveexec_b64 s[4:5], s[0:1]
	s_cbranch_execz .LBB2264_251
; %bb.250:                              ;   in Loop: Header=BB2264_249 Depth=1
	v_add_u32_e32 v20, s12, v19
	s_waitcnt vmcnt(19)
	ds_write_b32 v20, v18
.LBB2264_251:                           ;   in Loop: Header=BB2264_249 Depth=1
	s_or_b64 exec, exec, s[4:5]
	v_add_u32_e32 v20, s11, v17
	v_cmp_gt_u32_e64 s[0:1], s9, v20
	s_and_saveexec_b64 s[4:5], s[0:1]
	s_cbranch_execz .LBB2264_253
; %bb.252:                              ;   in Loop: Header=BB2264_249 Depth=1
	v_add_u32_e32 v20, s12, v23
	s_waitcnt vmcnt(18)
	ds_write_b32 v20, v84
.LBB2264_253:                           ;   in Loop: Header=BB2264_249 Depth=1
	s_or_b64 exec, exec, s[4:5]
	;; [unrolled: 10-line block ×15, first 2 shown]
	v_add_u32_e32 v20, s11, v1
	v_cmp_gt_u32_e64 s[0:1], s9, v20
	s_and_saveexec_b64 s[4:5], s[0:1]
	s_cbranch_execz .LBB2264_248
; %bb.280:                              ;   in Loop: Header=BB2264_249 Depth=1
	v_add_u32_e32 v20, s12, v0
	s_waitcnt vmcnt(4)
	ds_write_b32 v20, v98
	s_branch .LBB2264_248
.LBB2264_281:
	s_add_i32 s3, s3, -1
	s_cmp_eq_u32 s2, s3
	s_cselect_b64 s[0:1], -1, 0
	s_xor_b64 s[2:3], vcc, -1
	s_and_b64 s[0:1], s[2:3], s[0:1]
	s_and_saveexec_b64 s[2:3], s[0:1]
	s_cbranch_execz .LBB2264_283
; %bb.282:
	ds_read_b32 v0, v38
	s_waitcnt lgkmcnt(0)
	v_add3_u32 v0, v42, v44, v0
	global_store_dword v38, v0, s[82:83]
.LBB2264_283:
	s_endpgm
	.section	.rodata,"a",@progbits
	.p2align	6, 0x0
	.amdhsa_kernel _ZN7rocprim17ROCPRIM_400000_NS6detail17trampoline_kernelINS0_14default_configENS1_35radix_sort_onesweep_config_selectorIbiEEZZNS1_29radix_sort_onesweep_iterationIS3_Lb1EN6thrust23THRUST_200600_302600_NS6detail15normal_iteratorINS8_10device_ptrIbEEEESD_NSA_INSB_IiEEEESF_jNS0_19identity_decomposerENS1_16block_id_wrapperIjLb0EEEEE10hipError_tT1_PNSt15iterator_traitsISK_E10value_typeET2_T3_PNSL_ISQ_E10value_typeET4_T5_PSV_SW_PNS1_23onesweep_lookback_stateEbbT6_jjT7_P12ihipStream_tbENKUlT_T0_SK_SP_E_clIPbSD_PiSF_EEDaS13_S14_SK_SP_EUlS13_E_NS1_11comp_targetILNS1_3genE6ELNS1_11target_archE950ELNS1_3gpuE13ELNS1_3repE0EEENS1_47radix_sort_onesweep_sort_config_static_selectorELNS0_4arch9wavefront6targetE1EEEvSK_
		.amdhsa_group_segment_fixed_size 20552
		.amdhsa_private_segment_fixed_size 80
		.amdhsa_kernarg_size 344
		.amdhsa_user_sgpr_count 2
		.amdhsa_user_sgpr_dispatch_ptr 0
		.amdhsa_user_sgpr_queue_ptr 0
		.amdhsa_user_sgpr_kernarg_segment_ptr 1
		.amdhsa_user_sgpr_dispatch_id 0
		.amdhsa_user_sgpr_kernarg_preload_length 0
		.amdhsa_user_sgpr_kernarg_preload_offset 0
		.amdhsa_user_sgpr_private_segment_size 0
		.amdhsa_uses_dynamic_stack 0
		.amdhsa_enable_private_segment 1
		.amdhsa_system_sgpr_workgroup_id_x 1
		.amdhsa_system_sgpr_workgroup_id_y 0
		.amdhsa_system_sgpr_workgroup_id_z 0
		.amdhsa_system_sgpr_workgroup_info 0
		.amdhsa_system_vgpr_workitem_id 2
		.amdhsa_next_free_vgpr 100
		.amdhsa_next_free_sgpr 92
		.amdhsa_accum_offset 100
		.amdhsa_reserve_vcc 1
		.amdhsa_float_round_mode_32 0
		.amdhsa_float_round_mode_16_64 0
		.amdhsa_float_denorm_mode_32 3
		.amdhsa_float_denorm_mode_16_64 3
		.amdhsa_dx10_clamp 1
		.amdhsa_ieee_mode 1
		.amdhsa_fp16_overflow 0
		.amdhsa_tg_split 0
		.amdhsa_exception_fp_ieee_invalid_op 0
		.amdhsa_exception_fp_denorm_src 0
		.amdhsa_exception_fp_ieee_div_zero 0
		.amdhsa_exception_fp_ieee_overflow 0
		.amdhsa_exception_fp_ieee_underflow 0
		.amdhsa_exception_fp_ieee_inexact 0
		.amdhsa_exception_int_div_zero 0
	.end_amdhsa_kernel
	.section	.text._ZN7rocprim17ROCPRIM_400000_NS6detail17trampoline_kernelINS0_14default_configENS1_35radix_sort_onesweep_config_selectorIbiEEZZNS1_29radix_sort_onesweep_iterationIS3_Lb1EN6thrust23THRUST_200600_302600_NS6detail15normal_iteratorINS8_10device_ptrIbEEEESD_NSA_INSB_IiEEEESF_jNS0_19identity_decomposerENS1_16block_id_wrapperIjLb0EEEEE10hipError_tT1_PNSt15iterator_traitsISK_E10value_typeET2_T3_PNSL_ISQ_E10value_typeET4_T5_PSV_SW_PNS1_23onesweep_lookback_stateEbbT6_jjT7_P12ihipStream_tbENKUlT_T0_SK_SP_E_clIPbSD_PiSF_EEDaS13_S14_SK_SP_EUlS13_E_NS1_11comp_targetILNS1_3genE6ELNS1_11target_archE950ELNS1_3gpuE13ELNS1_3repE0EEENS1_47radix_sort_onesweep_sort_config_static_selectorELNS0_4arch9wavefront6targetE1EEEvSK_,"axG",@progbits,_ZN7rocprim17ROCPRIM_400000_NS6detail17trampoline_kernelINS0_14default_configENS1_35radix_sort_onesweep_config_selectorIbiEEZZNS1_29radix_sort_onesweep_iterationIS3_Lb1EN6thrust23THRUST_200600_302600_NS6detail15normal_iteratorINS8_10device_ptrIbEEEESD_NSA_INSB_IiEEEESF_jNS0_19identity_decomposerENS1_16block_id_wrapperIjLb0EEEEE10hipError_tT1_PNSt15iterator_traitsISK_E10value_typeET2_T3_PNSL_ISQ_E10value_typeET4_T5_PSV_SW_PNS1_23onesweep_lookback_stateEbbT6_jjT7_P12ihipStream_tbENKUlT_T0_SK_SP_E_clIPbSD_PiSF_EEDaS13_S14_SK_SP_EUlS13_E_NS1_11comp_targetILNS1_3genE6ELNS1_11target_archE950ELNS1_3gpuE13ELNS1_3repE0EEENS1_47radix_sort_onesweep_sort_config_static_selectorELNS0_4arch9wavefront6targetE1EEEvSK_,comdat
.Lfunc_end2264:
	.size	_ZN7rocprim17ROCPRIM_400000_NS6detail17trampoline_kernelINS0_14default_configENS1_35radix_sort_onesweep_config_selectorIbiEEZZNS1_29radix_sort_onesweep_iterationIS3_Lb1EN6thrust23THRUST_200600_302600_NS6detail15normal_iteratorINS8_10device_ptrIbEEEESD_NSA_INSB_IiEEEESF_jNS0_19identity_decomposerENS1_16block_id_wrapperIjLb0EEEEE10hipError_tT1_PNSt15iterator_traitsISK_E10value_typeET2_T3_PNSL_ISQ_E10value_typeET4_T5_PSV_SW_PNS1_23onesweep_lookback_stateEbbT6_jjT7_P12ihipStream_tbENKUlT_T0_SK_SP_E_clIPbSD_PiSF_EEDaS13_S14_SK_SP_EUlS13_E_NS1_11comp_targetILNS1_3genE6ELNS1_11target_archE950ELNS1_3gpuE13ELNS1_3repE0EEENS1_47radix_sort_onesweep_sort_config_static_selectorELNS0_4arch9wavefront6targetE1EEEvSK_, .Lfunc_end2264-_ZN7rocprim17ROCPRIM_400000_NS6detail17trampoline_kernelINS0_14default_configENS1_35radix_sort_onesweep_config_selectorIbiEEZZNS1_29radix_sort_onesweep_iterationIS3_Lb1EN6thrust23THRUST_200600_302600_NS6detail15normal_iteratorINS8_10device_ptrIbEEEESD_NSA_INSB_IiEEEESF_jNS0_19identity_decomposerENS1_16block_id_wrapperIjLb0EEEEE10hipError_tT1_PNSt15iterator_traitsISK_E10value_typeET2_T3_PNSL_ISQ_E10value_typeET4_T5_PSV_SW_PNS1_23onesweep_lookback_stateEbbT6_jjT7_P12ihipStream_tbENKUlT_T0_SK_SP_E_clIPbSD_PiSF_EEDaS13_S14_SK_SP_EUlS13_E_NS1_11comp_targetILNS1_3genE6ELNS1_11target_archE950ELNS1_3gpuE13ELNS1_3repE0EEENS1_47radix_sort_onesweep_sort_config_static_selectorELNS0_4arch9wavefront6targetE1EEEvSK_
                                        ; -- End function
	.set _ZN7rocprim17ROCPRIM_400000_NS6detail17trampoline_kernelINS0_14default_configENS1_35radix_sort_onesweep_config_selectorIbiEEZZNS1_29radix_sort_onesweep_iterationIS3_Lb1EN6thrust23THRUST_200600_302600_NS6detail15normal_iteratorINS8_10device_ptrIbEEEESD_NSA_INSB_IiEEEESF_jNS0_19identity_decomposerENS1_16block_id_wrapperIjLb0EEEEE10hipError_tT1_PNSt15iterator_traitsISK_E10value_typeET2_T3_PNSL_ISQ_E10value_typeET4_T5_PSV_SW_PNS1_23onesweep_lookback_stateEbbT6_jjT7_P12ihipStream_tbENKUlT_T0_SK_SP_E_clIPbSD_PiSF_EEDaS13_S14_SK_SP_EUlS13_E_NS1_11comp_targetILNS1_3genE6ELNS1_11target_archE950ELNS1_3gpuE13ELNS1_3repE0EEENS1_47radix_sort_onesweep_sort_config_static_selectorELNS0_4arch9wavefront6targetE1EEEvSK_.num_vgpr, 100
	.set _ZN7rocprim17ROCPRIM_400000_NS6detail17trampoline_kernelINS0_14default_configENS1_35radix_sort_onesweep_config_selectorIbiEEZZNS1_29radix_sort_onesweep_iterationIS3_Lb1EN6thrust23THRUST_200600_302600_NS6detail15normal_iteratorINS8_10device_ptrIbEEEESD_NSA_INSB_IiEEEESF_jNS0_19identity_decomposerENS1_16block_id_wrapperIjLb0EEEEE10hipError_tT1_PNSt15iterator_traitsISK_E10value_typeET2_T3_PNSL_ISQ_E10value_typeET4_T5_PSV_SW_PNS1_23onesweep_lookback_stateEbbT6_jjT7_P12ihipStream_tbENKUlT_T0_SK_SP_E_clIPbSD_PiSF_EEDaS13_S14_SK_SP_EUlS13_E_NS1_11comp_targetILNS1_3genE6ELNS1_11target_archE950ELNS1_3gpuE13ELNS1_3repE0EEENS1_47radix_sort_onesweep_sort_config_static_selectorELNS0_4arch9wavefront6targetE1EEEvSK_.num_agpr, 0
	.set _ZN7rocprim17ROCPRIM_400000_NS6detail17trampoline_kernelINS0_14default_configENS1_35radix_sort_onesweep_config_selectorIbiEEZZNS1_29radix_sort_onesweep_iterationIS3_Lb1EN6thrust23THRUST_200600_302600_NS6detail15normal_iteratorINS8_10device_ptrIbEEEESD_NSA_INSB_IiEEEESF_jNS0_19identity_decomposerENS1_16block_id_wrapperIjLb0EEEEE10hipError_tT1_PNSt15iterator_traitsISK_E10value_typeET2_T3_PNSL_ISQ_E10value_typeET4_T5_PSV_SW_PNS1_23onesweep_lookback_stateEbbT6_jjT7_P12ihipStream_tbENKUlT_T0_SK_SP_E_clIPbSD_PiSF_EEDaS13_S14_SK_SP_EUlS13_E_NS1_11comp_targetILNS1_3genE6ELNS1_11target_archE950ELNS1_3gpuE13ELNS1_3repE0EEENS1_47radix_sort_onesweep_sort_config_static_selectorELNS0_4arch9wavefront6targetE1EEEvSK_.numbered_sgpr, 92
	.set _ZN7rocprim17ROCPRIM_400000_NS6detail17trampoline_kernelINS0_14default_configENS1_35radix_sort_onesweep_config_selectorIbiEEZZNS1_29radix_sort_onesweep_iterationIS3_Lb1EN6thrust23THRUST_200600_302600_NS6detail15normal_iteratorINS8_10device_ptrIbEEEESD_NSA_INSB_IiEEEESF_jNS0_19identity_decomposerENS1_16block_id_wrapperIjLb0EEEEE10hipError_tT1_PNSt15iterator_traitsISK_E10value_typeET2_T3_PNSL_ISQ_E10value_typeET4_T5_PSV_SW_PNS1_23onesweep_lookback_stateEbbT6_jjT7_P12ihipStream_tbENKUlT_T0_SK_SP_E_clIPbSD_PiSF_EEDaS13_S14_SK_SP_EUlS13_E_NS1_11comp_targetILNS1_3genE6ELNS1_11target_archE950ELNS1_3gpuE13ELNS1_3repE0EEENS1_47radix_sort_onesweep_sort_config_static_selectorELNS0_4arch9wavefront6targetE1EEEvSK_.num_named_barrier, 0
	.set _ZN7rocprim17ROCPRIM_400000_NS6detail17trampoline_kernelINS0_14default_configENS1_35radix_sort_onesweep_config_selectorIbiEEZZNS1_29radix_sort_onesweep_iterationIS3_Lb1EN6thrust23THRUST_200600_302600_NS6detail15normal_iteratorINS8_10device_ptrIbEEEESD_NSA_INSB_IiEEEESF_jNS0_19identity_decomposerENS1_16block_id_wrapperIjLb0EEEEE10hipError_tT1_PNSt15iterator_traitsISK_E10value_typeET2_T3_PNSL_ISQ_E10value_typeET4_T5_PSV_SW_PNS1_23onesweep_lookback_stateEbbT6_jjT7_P12ihipStream_tbENKUlT_T0_SK_SP_E_clIPbSD_PiSF_EEDaS13_S14_SK_SP_EUlS13_E_NS1_11comp_targetILNS1_3genE6ELNS1_11target_archE950ELNS1_3gpuE13ELNS1_3repE0EEENS1_47radix_sort_onesweep_sort_config_static_selectorELNS0_4arch9wavefront6targetE1EEEvSK_.private_seg_size, 80
	.set _ZN7rocprim17ROCPRIM_400000_NS6detail17trampoline_kernelINS0_14default_configENS1_35radix_sort_onesweep_config_selectorIbiEEZZNS1_29radix_sort_onesweep_iterationIS3_Lb1EN6thrust23THRUST_200600_302600_NS6detail15normal_iteratorINS8_10device_ptrIbEEEESD_NSA_INSB_IiEEEESF_jNS0_19identity_decomposerENS1_16block_id_wrapperIjLb0EEEEE10hipError_tT1_PNSt15iterator_traitsISK_E10value_typeET2_T3_PNSL_ISQ_E10value_typeET4_T5_PSV_SW_PNS1_23onesweep_lookback_stateEbbT6_jjT7_P12ihipStream_tbENKUlT_T0_SK_SP_E_clIPbSD_PiSF_EEDaS13_S14_SK_SP_EUlS13_E_NS1_11comp_targetILNS1_3genE6ELNS1_11target_archE950ELNS1_3gpuE13ELNS1_3repE0EEENS1_47radix_sort_onesweep_sort_config_static_selectorELNS0_4arch9wavefront6targetE1EEEvSK_.uses_vcc, 1
	.set _ZN7rocprim17ROCPRIM_400000_NS6detail17trampoline_kernelINS0_14default_configENS1_35radix_sort_onesweep_config_selectorIbiEEZZNS1_29radix_sort_onesweep_iterationIS3_Lb1EN6thrust23THRUST_200600_302600_NS6detail15normal_iteratorINS8_10device_ptrIbEEEESD_NSA_INSB_IiEEEESF_jNS0_19identity_decomposerENS1_16block_id_wrapperIjLb0EEEEE10hipError_tT1_PNSt15iterator_traitsISK_E10value_typeET2_T3_PNSL_ISQ_E10value_typeET4_T5_PSV_SW_PNS1_23onesweep_lookback_stateEbbT6_jjT7_P12ihipStream_tbENKUlT_T0_SK_SP_E_clIPbSD_PiSF_EEDaS13_S14_SK_SP_EUlS13_E_NS1_11comp_targetILNS1_3genE6ELNS1_11target_archE950ELNS1_3gpuE13ELNS1_3repE0EEENS1_47radix_sort_onesweep_sort_config_static_selectorELNS0_4arch9wavefront6targetE1EEEvSK_.uses_flat_scratch, 0
	.set _ZN7rocprim17ROCPRIM_400000_NS6detail17trampoline_kernelINS0_14default_configENS1_35radix_sort_onesweep_config_selectorIbiEEZZNS1_29radix_sort_onesweep_iterationIS3_Lb1EN6thrust23THRUST_200600_302600_NS6detail15normal_iteratorINS8_10device_ptrIbEEEESD_NSA_INSB_IiEEEESF_jNS0_19identity_decomposerENS1_16block_id_wrapperIjLb0EEEEE10hipError_tT1_PNSt15iterator_traitsISK_E10value_typeET2_T3_PNSL_ISQ_E10value_typeET4_T5_PSV_SW_PNS1_23onesweep_lookback_stateEbbT6_jjT7_P12ihipStream_tbENKUlT_T0_SK_SP_E_clIPbSD_PiSF_EEDaS13_S14_SK_SP_EUlS13_E_NS1_11comp_targetILNS1_3genE6ELNS1_11target_archE950ELNS1_3gpuE13ELNS1_3repE0EEENS1_47radix_sort_onesweep_sort_config_static_selectorELNS0_4arch9wavefront6targetE1EEEvSK_.has_dyn_sized_stack, 0
	.set _ZN7rocprim17ROCPRIM_400000_NS6detail17trampoline_kernelINS0_14default_configENS1_35radix_sort_onesweep_config_selectorIbiEEZZNS1_29radix_sort_onesweep_iterationIS3_Lb1EN6thrust23THRUST_200600_302600_NS6detail15normal_iteratorINS8_10device_ptrIbEEEESD_NSA_INSB_IiEEEESF_jNS0_19identity_decomposerENS1_16block_id_wrapperIjLb0EEEEE10hipError_tT1_PNSt15iterator_traitsISK_E10value_typeET2_T3_PNSL_ISQ_E10value_typeET4_T5_PSV_SW_PNS1_23onesweep_lookback_stateEbbT6_jjT7_P12ihipStream_tbENKUlT_T0_SK_SP_E_clIPbSD_PiSF_EEDaS13_S14_SK_SP_EUlS13_E_NS1_11comp_targetILNS1_3genE6ELNS1_11target_archE950ELNS1_3gpuE13ELNS1_3repE0EEENS1_47radix_sort_onesweep_sort_config_static_selectorELNS0_4arch9wavefront6targetE1EEEvSK_.has_recursion, 0
	.set _ZN7rocprim17ROCPRIM_400000_NS6detail17trampoline_kernelINS0_14default_configENS1_35radix_sort_onesweep_config_selectorIbiEEZZNS1_29radix_sort_onesweep_iterationIS3_Lb1EN6thrust23THRUST_200600_302600_NS6detail15normal_iteratorINS8_10device_ptrIbEEEESD_NSA_INSB_IiEEEESF_jNS0_19identity_decomposerENS1_16block_id_wrapperIjLb0EEEEE10hipError_tT1_PNSt15iterator_traitsISK_E10value_typeET2_T3_PNSL_ISQ_E10value_typeET4_T5_PSV_SW_PNS1_23onesweep_lookback_stateEbbT6_jjT7_P12ihipStream_tbENKUlT_T0_SK_SP_E_clIPbSD_PiSF_EEDaS13_S14_SK_SP_EUlS13_E_NS1_11comp_targetILNS1_3genE6ELNS1_11target_archE950ELNS1_3gpuE13ELNS1_3repE0EEENS1_47radix_sort_onesweep_sort_config_static_selectorELNS0_4arch9wavefront6targetE1EEEvSK_.has_indirect_call, 0
	.section	.AMDGPU.csdata,"",@progbits
; Kernel info:
; codeLenInByte = 15232
; TotalNumSgprs: 98
; NumVgprs: 100
; NumAgprs: 0
; TotalNumVgprs: 100
; ScratchSize: 80
; MemoryBound: 0
; FloatMode: 240
; IeeeMode: 1
; LDSByteSize: 20552 bytes/workgroup (compile time only)
; SGPRBlocks: 12
; VGPRBlocks: 12
; NumSGPRsForWavesPerEU: 98
; NumVGPRsForWavesPerEU: 100
; AccumOffset: 100
; Occupancy: 4
; WaveLimiterHint : 1
; COMPUTE_PGM_RSRC2:SCRATCH_EN: 1
; COMPUTE_PGM_RSRC2:USER_SGPR: 2
; COMPUTE_PGM_RSRC2:TRAP_HANDLER: 0
; COMPUTE_PGM_RSRC2:TGID_X_EN: 1
; COMPUTE_PGM_RSRC2:TGID_Y_EN: 0
; COMPUTE_PGM_RSRC2:TGID_Z_EN: 0
; COMPUTE_PGM_RSRC2:TIDIG_COMP_CNT: 2
; COMPUTE_PGM_RSRC3_GFX90A:ACCUM_OFFSET: 24
; COMPUTE_PGM_RSRC3_GFX90A:TG_SPLIT: 0
	.section	.text._ZN7rocprim17ROCPRIM_400000_NS6detail17trampoline_kernelINS0_14default_configENS1_35radix_sort_onesweep_config_selectorIbiEEZZNS1_29radix_sort_onesweep_iterationIS3_Lb1EN6thrust23THRUST_200600_302600_NS6detail15normal_iteratorINS8_10device_ptrIbEEEESD_NSA_INSB_IiEEEESF_jNS0_19identity_decomposerENS1_16block_id_wrapperIjLb0EEEEE10hipError_tT1_PNSt15iterator_traitsISK_E10value_typeET2_T3_PNSL_ISQ_E10value_typeET4_T5_PSV_SW_PNS1_23onesweep_lookback_stateEbbT6_jjT7_P12ihipStream_tbENKUlT_T0_SK_SP_E_clIPbSD_PiSF_EEDaS13_S14_SK_SP_EUlS13_E_NS1_11comp_targetILNS1_3genE5ELNS1_11target_archE942ELNS1_3gpuE9ELNS1_3repE0EEENS1_47radix_sort_onesweep_sort_config_static_selectorELNS0_4arch9wavefront6targetE1EEEvSK_,"axG",@progbits,_ZN7rocprim17ROCPRIM_400000_NS6detail17trampoline_kernelINS0_14default_configENS1_35radix_sort_onesweep_config_selectorIbiEEZZNS1_29radix_sort_onesweep_iterationIS3_Lb1EN6thrust23THRUST_200600_302600_NS6detail15normal_iteratorINS8_10device_ptrIbEEEESD_NSA_INSB_IiEEEESF_jNS0_19identity_decomposerENS1_16block_id_wrapperIjLb0EEEEE10hipError_tT1_PNSt15iterator_traitsISK_E10value_typeET2_T3_PNSL_ISQ_E10value_typeET4_T5_PSV_SW_PNS1_23onesweep_lookback_stateEbbT6_jjT7_P12ihipStream_tbENKUlT_T0_SK_SP_E_clIPbSD_PiSF_EEDaS13_S14_SK_SP_EUlS13_E_NS1_11comp_targetILNS1_3genE5ELNS1_11target_archE942ELNS1_3gpuE9ELNS1_3repE0EEENS1_47radix_sort_onesweep_sort_config_static_selectorELNS0_4arch9wavefront6targetE1EEEvSK_,comdat
	.protected	_ZN7rocprim17ROCPRIM_400000_NS6detail17trampoline_kernelINS0_14default_configENS1_35radix_sort_onesweep_config_selectorIbiEEZZNS1_29radix_sort_onesweep_iterationIS3_Lb1EN6thrust23THRUST_200600_302600_NS6detail15normal_iteratorINS8_10device_ptrIbEEEESD_NSA_INSB_IiEEEESF_jNS0_19identity_decomposerENS1_16block_id_wrapperIjLb0EEEEE10hipError_tT1_PNSt15iterator_traitsISK_E10value_typeET2_T3_PNSL_ISQ_E10value_typeET4_T5_PSV_SW_PNS1_23onesweep_lookback_stateEbbT6_jjT7_P12ihipStream_tbENKUlT_T0_SK_SP_E_clIPbSD_PiSF_EEDaS13_S14_SK_SP_EUlS13_E_NS1_11comp_targetILNS1_3genE5ELNS1_11target_archE942ELNS1_3gpuE9ELNS1_3repE0EEENS1_47radix_sort_onesweep_sort_config_static_selectorELNS0_4arch9wavefront6targetE1EEEvSK_ ; -- Begin function _ZN7rocprim17ROCPRIM_400000_NS6detail17trampoline_kernelINS0_14default_configENS1_35radix_sort_onesweep_config_selectorIbiEEZZNS1_29radix_sort_onesweep_iterationIS3_Lb1EN6thrust23THRUST_200600_302600_NS6detail15normal_iteratorINS8_10device_ptrIbEEEESD_NSA_INSB_IiEEEESF_jNS0_19identity_decomposerENS1_16block_id_wrapperIjLb0EEEEE10hipError_tT1_PNSt15iterator_traitsISK_E10value_typeET2_T3_PNSL_ISQ_E10value_typeET4_T5_PSV_SW_PNS1_23onesweep_lookback_stateEbbT6_jjT7_P12ihipStream_tbENKUlT_T0_SK_SP_E_clIPbSD_PiSF_EEDaS13_S14_SK_SP_EUlS13_E_NS1_11comp_targetILNS1_3genE5ELNS1_11target_archE942ELNS1_3gpuE9ELNS1_3repE0EEENS1_47radix_sort_onesweep_sort_config_static_selectorELNS0_4arch9wavefront6targetE1EEEvSK_
	.globl	_ZN7rocprim17ROCPRIM_400000_NS6detail17trampoline_kernelINS0_14default_configENS1_35radix_sort_onesweep_config_selectorIbiEEZZNS1_29radix_sort_onesweep_iterationIS3_Lb1EN6thrust23THRUST_200600_302600_NS6detail15normal_iteratorINS8_10device_ptrIbEEEESD_NSA_INSB_IiEEEESF_jNS0_19identity_decomposerENS1_16block_id_wrapperIjLb0EEEEE10hipError_tT1_PNSt15iterator_traitsISK_E10value_typeET2_T3_PNSL_ISQ_E10value_typeET4_T5_PSV_SW_PNS1_23onesweep_lookback_stateEbbT6_jjT7_P12ihipStream_tbENKUlT_T0_SK_SP_E_clIPbSD_PiSF_EEDaS13_S14_SK_SP_EUlS13_E_NS1_11comp_targetILNS1_3genE5ELNS1_11target_archE942ELNS1_3gpuE9ELNS1_3repE0EEENS1_47radix_sort_onesweep_sort_config_static_selectorELNS0_4arch9wavefront6targetE1EEEvSK_
	.p2align	8
	.type	_ZN7rocprim17ROCPRIM_400000_NS6detail17trampoline_kernelINS0_14default_configENS1_35radix_sort_onesweep_config_selectorIbiEEZZNS1_29radix_sort_onesweep_iterationIS3_Lb1EN6thrust23THRUST_200600_302600_NS6detail15normal_iteratorINS8_10device_ptrIbEEEESD_NSA_INSB_IiEEEESF_jNS0_19identity_decomposerENS1_16block_id_wrapperIjLb0EEEEE10hipError_tT1_PNSt15iterator_traitsISK_E10value_typeET2_T3_PNSL_ISQ_E10value_typeET4_T5_PSV_SW_PNS1_23onesweep_lookback_stateEbbT6_jjT7_P12ihipStream_tbENKUlT_T0_SK_SP_E_clIPbSD_PiSF_EEDaS13_S14_SK_SP_EUlS13_E_NS1_11comp_targetILNS1_3genE5ELNS1_11target_archE942ELNS1_3gpuE9ELNS1_3repE0EEENS1_47radix_sort_onesweep_sort_config_static_selectorELNS0_4arch9wavefront6targetE1EEEvSK_,@function
_ZN7rocprim17ROCPRIM_400000_NS6detail17trampoline_kernelINS0_14default_configENS1_35radix_sort_onesweep_config_selectorIbiEEZZNS1_29radix_sort_onesweep_iterationIS3_Lb1EN6thrust23THRUST_200600_302600_NS6detail15normal_iteratorINS8_10device_ptrIbEEEESD_NSA_INSB_IiEEEESF_jNS0_19identity_decomposerENS1_16block_id_wrapperIjLb0EEEEE10hipError_tT1_PNSt15iterator_traitsISK_E10value_typeET2_T3_PNSL_ISQ_E10value_typeET4_T5_PSV_SW_PNS1_23onesweep_lookback_stateEbbT6_jjT7_P12ihipStream_tbENKUlT_T0_SK_SP_E_clIPbSD_PiSF_EEDaS13_S14_SK_SP_EUlS13_E_NS1_11comp_targetILNS1_3genE5ELNS1_11target_archE942ELNS1_3gpuE9ELNS1_3repE0EEENS1_47radix_sort_onesweep_sort_config_static_selectorELNS0_4arch9wavefront6targetE1EEEvSK_: ; @_ZN7rocprim17ROCPRIM_400000_NS6detail17trampoline_kernelINS0_14default_configENS1_35radix_sort_onesweep_config_selectorIbiEEZZNS1_29radix_sort_onesweep_iterationIS3_Lb1EN6thrust23THRUST_200600_302600_NS6detail15normal_iteratorINS8_10device_ptrIbEEEESD_NSA_INSB_IiEEEESF_jNS0_19identity_decomposerENS1_16block_id_wrapperIjLb0EEEEE10hipError_tT1_PNSt15iterator_traitsISK_E10value_typeET2_T3_PNSL_ISQ_E10value_typeET4_T5_PSV_SW_PNS1_23onesweep_lookback_stateEbbT6_jjT7_P12ihipStream_tbENKUlT_T0_SK_SP_E_clIPbSD_PiSF_EEDaS13_S14_SK_SP_EUlS13_E_NS1_11comp_targetILNS1_3genE5ELNS1_11target_archE942ELNS1_3gpuE9ELNS1_3repE0EEENS1_47radix_sort_onesweep_sort_config_static_selectorELNS0_4arch9wavefront6targetE1EEEvSK_
; %bb.0:
	.section	.rodata,"a",@progbits
	.p2align	6, 0x0
	.amdhsa_kernel _ZN7rocprim17ROCPRIM_400000_NS6detail17trampoline_kernelINS0_14default_configENS1_35radix_sort_onesweep_config_selectorIbiEEZZNS1_29radix_sort_onesweep_iterationIS3_Lb1EN6thrust23THRUST_200600_302600_NS6detail15normal_iteratorINS8_10device_ptrIbEEEESD_NSA_INSB_IiEEEESF_jNS0_19identity_decomposerENS1_16block_id_wrapperIjLb0EEEEE10hipError_tT1_PNSt15iterator_traitsISK_E10value_typeET2_T3_PNSL_ISQ_E10value_typeET4_T5_PSV_SW_PNS1_23onesweep_lookback_stateEbbT6_jjT7_P12ihipStream_tbENKUlT_T0_SK_SP_E_clIPbSD_PiSF_EEDaS13_S14_SK_SP_EUlS13_E_NS1_11comp_targetILNS1_3genE5ELNS1_11target_archE942ELNS1_3gpuE9ELNS1_3repE0EEENS1_47radix_sort_onesweep_sort_config_static_selectorELNS0_4arch9wavefront6targetE1EEEvSK_
		.amdhsa_group_segment_fixed_size 0
		.amdhsa_private_segment_fixed_size 0
		.amdhsa_kernarg_size 88
		.amdhsa_user_sgpr_count 2
		.amdhsa_user_sgpr_dispatch_ptr 0
		.amdhsa_user_sgpr_queue_ptr 0
		.amdhsa_user_sgpr_kernarg_segment_ptr 1
		.amdhsa_user_sgpr_dispatch_id 0
		.amdhsa_user_sgpr_kernarg_preload_length 0
		.amdhsa_user_sgpr_kernarg_preload_offset 0
		.amdhsa_user_sgpr_private_segment_size 0
		.amdhsa_uses_dynamic_stack 0
		.amdhsa_enable_private_segment 0
		.amdhsa_system_sgpr_workgroup_id_x 1
		.amdhsa_system_sgpr_workgroup_id_y 0
		.amdhsa_system_sgpr_workgroup_id_z 0
		.amdhsa_system_sgpr_workgroup_info 0
		.amdhsa_system_vgpr_workitem_id 0
		.amdhsa_next_free_vgpr 1
		.amdhsa_next_free_sgpr 0
		.amdhsa_accum_offset 4
		.amdhsa_reserve_vcc 0
		.amdhsa_float_round_mode_32 0
		.amdhsa_float_round_mode_16_64 0
		.amdhsa_float_denorm_mode_32 3
		.amdhsa_float_denorm_mode_16_64 3
		.amdhsa_dx10_clamp 1
		.amdhsa_ieee_mode 1
		.amdhsa_fp16_overflow 0
		.amdhsa_tg_split 0
		.amdhsa_exception_fp_ieee_invalid_op 0
		.amdhsa_exception_fp_denorm_src 0
		.amdhsa_exception_fp_ieee_div_zero 0
		.amdhsa_exception_fp_ieee_overflow 0
		.amdhsa_exception_fp_ieee_underflow 0
		.amdhsa_exception_fp_ieee_inexact 0
		.amdhsa_exception_int_div_zero 0
	.end_amdhsa_kernel
	.section	.text._ZN7rocprim17ROCPRIM_400000_NS6detail17trampoline_kernelINS0_14default_configENS1_35radix_sort_onesweep_config_selectorIbiEEZZNS1_29radix_sort_onesweep_iterationIS3_Lb1EN6thrust23THRUST_200600_302600_NS6detail15normal_iteratorINS8_10device_ptrIbEEEESD_NSA_INSB_IiEEEESF_jNS0_19identity_decomposerENS1_16block_id_wrapperIjLb0EEEEE10hipError_tT1_PNSt15iterator_traitsISK_E10value_typeET2_T3_PNSL_ISQ_E10value_typeET4_T5_PSV_SW_PNS1_23onesweep_lookback_stateEbbT6_jjT7_P12ihipStream_tbENKUlT_T0_SK_SP_E_clIPbSD_PiSF_EEDaS13_S14_SK_SP_EUlS13_E_NS1_11comp_targetILNS1_3genE5ELNS1_11target_archE942ELNS1_3gpuE9ELNS1_3repE0EEENS1_47radix_sort_onesweep_sort_config_static_selectorELNS0_4arch9wavefront6targetE1EEEvSK_,"axG",@progbits,_ZN7rocprim17ROCPRIM_400000_NS6detail17trampoline_kernelINS0_14default_configENS1_35radix_sort_onesweep_config_selectorIbiEEZZNS1_29radix_sort_onesweep_iterationIS3_Lb1EN6thrust23THRUST_200600_302600_NS6detail15normal_iteratorINS8_10device_ptrIbEEEESD_NSA_INSB_IiEEEESF_jNS0_19identity_decomposerENS1_16block_id_wrapperIjLb0EEEEE10hipError_tT1_PNSt15iterator_traitsISK_E10value_typeET2_T3_PNSL_ISQ_E10value_typeET4_T5_PSV_SW_PNS1_23onesweep_lookback_stateEbbT6_jjT7_P12ihipStream_tbENKUlT_T0_SK_SP_E_clIPbSD_PiSF_EEDaS13_S14_SK_SP_EUlS13_E_NS1_11comp_targetILNS1_3genE5ELNS1_11target_archE942ELNS1_3gpuE9ELNS1_3repE0EEENS1_47radix_sort_onesweep_sort_config_static_selectorELNS0_4arch9wavefront6targetE1EEEvSK_,comdat
.Lfunc_end2265:
	.size	_ZN7rocprim17ROCPRIM_400000_NS6detail17trampoline_kernelINS0_14default_configENS1_35radix_sort_onesweep_config_selectorIbiEEZZNS1_29radix_sort_onesweep_iterationIS3_Lb1EN6thrust23THRUST_200600_302600_NS6detail15normal_iteratorINS8_10device_ptrIbEEEESD_NSA_INSB_IiEEEESF_jNS0_19identity_decomposerENS1_16block_id_wrapperIjLb0EEEEE10hipError_tT1_PNSt15iterator_traitsISK_E10value_typeET2_T3_PNSL_ISQ_E10value_typeET4_T5_PSV_SW_PNS1_23onesweep_lookback_stateEbbT6_jjT7_P12ihipStream_tbENKUlT_T0_SK_SP_E_clIPbSD_PiSF_EEDaS13_S14_SK_SP_EUlS13_E_NS1_11comp_targetILNS1_3genE5ELNS1_11target_archE942ELNS1_3gpuE9ELNS1_3repE0EEENS1_47radix_sort_onesweep_sort_config_static_selectorELNS0_4arch9wavefront6targetE1EEEvSK_, .Lfunc_end2265-_ZN7rocprim17ROCPRIM_400000_NS6detail17trampoline_kernelINS0_14default_configENS1_35radix_sort_onesweep_config_selectorIbiEEZZNS1_29radix_sort_onesweep_iterationIS3_Lb1EN6thrust23THRUST_200600_302600_NS6detail15normal_iteratorINS8_10device_ptrIbEEEESD_NSA_INSB_IiEEEESF_jNS0_19identity_decomposerENS1_16block_id_wrapperIjLb0EEEEE10hipError_tT1_PNSt15iterator_traitsISK_E10value_typeET2_T3_PNSL_ISQ_E10value_typeET4_T5_PSV_SW_PNS1_23onesweep_lookback_stateEbbT6_jjT7_P12ihipStream_tbENKUlT_T0_SK_SP_E_clIPbSD_PiSF_EEDaS13_S14_SK_SP_EUlS13_E_NS1_11comp_targetILNS1_3genE5ELNS1_11target_archE942ELNS1_3gpuE9ELNS1_3repE0EEENS1_47radix_sort_onesweep_sort_config_static_selectorELNS0_4arch9wavefront6targetE1EEEvSK_
                                        ; -- End function
	.set _ZN7rocprim17ROCPRIM_400000_NS6detail17trampoline_kernelINS0_14default_configENS1_35radix_sort_onesweep_config_selectorIbiEEZZNS1_29radix_sort_onesweep_iterationIS3_Lb1EN6thrust23THRUST_200600_302600_NS6detail15normal_iteratorINS8_10device_ptrIbEEEESD_NSA_INSB_IiEEEESF_jNS0_19identity_decomposerENS1_16block_id_wrapperIjLb0EEEEE10hipError_tT1_PNSt15iterator_traitsISK_E10value_typeET2_T3_PNSL_ISQ_E10value_typeET4_T5_PSV_SW_PNS1_23onesweep_lookback_stateEbbT6_jjT7_P12ihipStream_tbENKUlT_T0_SK_SP_E_clIPbSD_PiSF_EEDaS13_S14_SK_SP_EUlS13_E_NS1_11comp_targetILNS1_3genE5ELNS1_11target_archE942ELNS1_3gpuE9ELNS1_3repE0EEENS1_47radix_sort_onesweep_sort_config_static_selectorELNS0_4arch9wavefront6targetE1EEEvSK_.num_vgpr, 0
	.set _ZN7rocprim17ROCPRIM_400000_NS6detail17trampoline_kernelINS0_14default_configENS1_35radix_sort_onesweep_config_selectorIbiEEZZNS1_29radix_sort_onesweep_iterationIS3_Lb1EN6thrust23THRUST_200600_302600_NS6detail15normal_iteratorINS8_10device_ptrIbEEEESD_NSA_INSB_IiEEEESF_jNS0_19identity_decomposerENS1_16block_id_wrapperIjLb0EEEEE10hipError_tT1_PNSt15iterator_traitsISK_E10value_typeET2_T3_PNSL_ISQ_E10value_typeET4_T5_PSV_SW_PNS1_23onesweep_lookback_stateEbbT6_jjT7_P12ihipStream_tbENKUlT_T0_SK_SP_E_clIPbSD_PiSF_EEDaS13_S14_SK_SP_EUlS13_E_NS1_11comp_targetILNS1_3genE5ELNS1_11target_archE942ELNS1_3gpuE9ELNS1_3repE0EEENS1_47radix_sort_onesweep_sort_config_static_selectorELNS0_4arch9wavefront6targetE1EEEvSK_.num_agpr, 0
	.set _ZN7rocprim17ROCPRIM_400000_NS6detail17trampoline_kernelINS0_14default_configENS1_35radix_sort_onesweep_config_selectorIbiEEZZNS1_29radix_sort_onesweep_iterationIS3_Lb1EN6thrust23THRUST_200600_302600_NS6detail15normal_iteratorINS8_10device_ptrIbEEEESD_NSA_INSB_IiEEEESF_jNS0_19identity_decomposerENS1_16block_id_wrapperIjLb0EEEEE10hipError_tT1_PNSt15iterator_traitsISK_E10value_typeET2_T3_PNSL_ISQ_E10value_typeET4_T5_PSV_SW_PNS1_23onesweep_lookback_stateEbbT6_jjT7_P12ihipStream_tbENKUlT_T0_SK_SP_E_clIPbSD_PiSF_EEDaS13_S14_SK_SP_EUlS13_E_NS1_11comp_targetILNS1_3genE5ELNS1_11target_archE942ELNS1_3gpuE9ELNS1_3repE0EEENS1_47radix_sort_onesweep_sort_config_static_selectorELNS0_4arch9wavefront6targetE1EEEvSK_.numbered_sgpr, 0
	.set _ZN7rocprim17ROCPRIM_400000_NS6detail17trampoline_kernelINS0_14default_configENS1_35radix_sort_onesweep_config_selectorIbiEEZZNS1_29radix_sort_onesweep_iterationIS3_Lb1EN6thrust23THRUST_200600_302600_NS6detail15normal_iteratorINS8_10device_ptrIbEEEESD_NSA_INSB_IiEEEESF_jNS0_19identity_decomposerENS1_16block_id_wrapperIjLb0EEEEE10hipError_tT1_PNSt15iterator_traitsISK_E10value_typeET2_T3_PNSL_ISQ_E10value_typeET4_T5_PSV_SW_PNS1_23onesweep_lookback_stateEbbT6_jjT7_P12ihipStream_tbENKUlT_T0_SK_SP_E_clIPbSD_PiSF_EEDaS13_S14_SK_SP_EUlS13_E_NS1_11comp_targetILNS1_3genE5ELNS1_11target_archE942ELNS1_3gpuE9ELNS1_3repE0EEENS1_47radix_sort_onesweep_sort_config_static_selectorELNS0_4arch9wavefront6targetE1EEEvSK_.num_named_barrier, 0
	.set _ZN7rocprim17ROCPRIM_400000_NS6detail17trampoline_kernelINS0_14default_configENS1_35radix_sort_onesweep_config_selectorIbiEEZZNS1_29radix_sort_onesweep_iterationIS3_Lb1EN6thrust23THRUST_200600_302600_NS6detail15normal_iteratorINS8_10device_ptrIbEEEESD_NSA_INSB_IiEEEESF_jNS0_19identity_decomposerENS1_16block_id_wrapperIjLb0EEEEE10hipError_tT1_PNSt15iterator_traitsISK_E10value_typeET2_T3_PNSL_ISQ_E10value_typeET4_T5_PSV_SW_PNS1_23onesweep_lookback_stateEbbT6_jjT7_P12ihipStream_tbENKUlT_T0_SK_SP_E_clIPbSD_PiSF_EEDaS13_S14_SK_SP_EUlS13_E_NS1_11comp_targetILNS1_3genE5ELNS1_11target_archE942ELNS1_3gpuE9ELNS1_3repE0EEENS1_47radix_sort_onesweep_sort_config_static_selectorELNS0_4arch9wavefront6targetE1EEEvSK_.private_seg_size, 0
	.set _ZN7rocprim17ROCPRIM_400000_NS6detail17trampoline_kernelINS0_14default_configENS1_35radix_sort_onesweep_config_selectorIbiEEZZNS1_29radix_sort_onesweep_iterationIS3_Lb1EN6thrust23THRUST_200600_302600_NS6detail15normal_iteratorINS8_10device_ptrIbEEEESD_NSA_INSB_IiEEEESF_jNS0_19identity_decomposerENS1_16block_id_wrapperIjLb0EEEEE10hipError_tT1_PNSt15iterator_traitsISK_E10value_typeET2_T3_PNSL_ISQ_E10value_typeET4_T5_PSV_SW_PNS1_23onesweep_lookback_stateEbbT6_jjT7_P12ihipStream_tbENKUlT_T0_SK_SP_E_clIPbSD_PiSF_EEDaS13_S14_SK_SP_EUlS13_E_NS1_11comp_targetILNS1_3genE5ELNS1_11target_archE942ELNS1_3gpuE9ELNS1_3repE0EEENS1_47radix_sort_onesweep_sort_config_static_selectorELNS0_4arch9wavefront6targetE1EEEvSK_.uses_vcc, 0
	.set _ZN7rocprim17ROCPRIM_400000_NS6detail17trampoline_kernelINS0_14default_configENS1_35radix_sort_onesweep_config_selectorIbiEEZZNS1_29radix_sort_onesweep_iterationIS3_Lb1EN6thrust23THRUST_200600_302600_NS6detail15normal_iteratorINS8_10device_ptrIbEEEESD_NSA_INSB_IiEEEESF_jNS0_19identity_decomposerENS1_16block_id_wrapperIjLb0EEEEE10hipError_tT1_PNSt15iterator_traitsISK_E10value_typeET2_T3_PNSL_ISQ_E10value_typeET4_T5_PSV_SW_PNS1_23onesweep_lookback_stateEbbT6_jjT7_P12ihipStream_tbENKUlT_T0_SK_SP_E_clIPbSD_PiSF_EEDaS13_S14_SK_SP_EUlS13_E_NS1_11comp_targetILNS1_3genE5ELNS1_11target_archE942ELNS1_3gpuE9ELNS1_3repE0EEENS1_47radix_sort_onesweep_sort_config_static_selectorELNS0_4arch9wavefront6targetE1EEEvSK_.uses_flat_scratch, 0
	.set _ZN7rocprim17ROCPRIM_400000_NS6detail17trampoline_kernelINS0_14default_configENS1_35radix_sort_onesweep_config_selectorIbiEEZZNS1_29radix_sort_onesweep_iterationIS3_Lb1EN6thrust23THRUST_200600_302600_NS6detail15normal_iteratorINS8_10device_ptrIbEEEESD_NSA_INSB_IiEEEESF_jNS0_19identity_decomposerENS1_16block_id_wrapperIjLb0EEEEE10hipError_tT1_PNSt15iterator_traitsISK_E10value_typeET2_T3_PNSL_ISQ_E10value_typeET4_T5_PSV_SW_PNS1_23onesweep_lookback_stateEbbT6_jjT7_P12ihipStream_tbENKUlT_T0_SK_SP_E_clIPbSD_PiSF_EEDaS13_S14_SK_SP_EUlS13_E_NS1_11comp_targetILNS1_3genE5ELNS1_11target_archE942ELNS1_3gpuE9ELNS1_3repE0EEENS1_47radix_sort_onesweep_sort_config_static_selectorELNS0_4arch9wavefront6targetE1EEEvSK_.has_dyn_sized_stack, 0
	.set _ZN7rocprim17ROCPRIM_400000_NS6detail17trampoline_kernelINS0_14default_configENS1_35radix_sort_onesweep_config_selectorIbiEEZZNS1_29radix_sort_onesweep_iterationIS3_Lb1EN6thrust23THRUST_200600_302600_NS6detail15normal_iteratorINS8_10device_ptrIbEEEESD_NSA_INSB_IiEEEESF_jNS0_19identity_decomposerENS1_16block_id_wrapperIjLb0EEEEE10hipError_tT1_PNSt15iterator_traitsISK_E10value_typeET2_T3_PNSL_ISQ_E10value_typeET4_T5_PSV_SW_PNS1_23onesweep_lookback_stateEbbT6_jjT7_P12ihipStream_tbENKUlT_T0_SK_SP_E_clIPbSD_PiSF_EEDaS13_S14_SK_SP_EUlS13_E_NS1_11comp_targetILNS1_3genE5ELNS1_11target_archE942ELNS1_3gpuE9ELNS1_3repE0EEENS1_47radix_sort_onesweep_sort_config_static_selectorELNS0_4arch9wavefront6targetE1EEEvSK_.has_recursion, 0
	.set _ZN7rocprim17ROCPRIM_400000_NS6detail17trampoline_kernelINS0_14default_configENS1_35radix_sort_onesweep_config_selectorIbiEEZZNS1_29radix_sort_onesweep_iterationIS3_Lb1EN6thrust23THRUST_200600_302600_NS6detail15normal_iteratorINS8_10device_ptrIbEEEESD_NSA_INSB_IiEEEESF_jNS0_19identity_decomposerENS1_16block_id_wrapperIjLb0EEEEE10hipError_tT1_PNSt15iterator_traitsISK_E10value_typeET2_T3_PNSL_ISQ_E10value_typeET4_T5_PSV_SW_PNS1_23onesweep_lookback_stateEbbT6_jjT7_P12ihipStream_tbENKUlT_T0_SK_SP_E_clIPbSD_PiSF_EEDaS13_S14_SK_SP_EUlS13_E_NS1_11comp_targetILNS1_3genE5ELNS1_11target_archE942ELNS1_3gpuE9ELNS1_3repE0EEENS1_47radix_sort_onesweep_sort_config_static_selectorELNS0_4arch9wavefront6targetE1EEEvSK_.has_indirect_call, 0
	.section	.AMDGPU.csdata,"",@progbits
; Kernel info:
; codeLenInByte = 0
; TotalNumSgprs: 6
; NumVgprs: 0
; NumAgprs: 0
; TotalNumVgprs: 0
; ScratchSize: 0
; MemoryBound: 0
; FloatMode: 240
; IeeeMode: 1
; LDSByteSize: 0 bytes/workgroup (compile time only)
; SGPRBlocks: 0
; VGPRBlocks: 0
; NumSGPRsForWavesPerEU: 6
; NumVGPRsForWavesPerEU: 1
; AccumOffset: 4
; Occupancy: 8
; WaveLimiterHint : 0
; COMPUTE_PGM_RSRC2:SCRATCH_EN: 0
; COMPUTE_PGM_RSRC2:USER_SGPR: 2
; COMPUTE_PGM_RSRC2:TRAP_HANDLER: 0
; COMPUTE_PGM_RSRC2:TGID_X_EN: 1
; COMPUTE_PGM_RSRC2:TGID_Y_EN: 0
; COMPUTE_PGM_RSRC2:TGID_Z_EN: 0
; COMPUTE_PGM_RSRC2:TIDIG_COMP_CNT: 0
; COMPUTE_PGM_RSRC3_GFX90A:ACCUM_OFFSET: 0
; COMPUTE_PGM_RSRC3_GFX90A:TG_SPLIT: 0
	.section	.text._ZN7rocprim17ROCPRIM_400000_NS6detail17trampoline_kernelINS0_14default_configENS1_35radix_sort_onesweep_config_selectorIbiEEZZNS1_29radix_sort_onesweep_iterationIS3_Lb1EN6thrust23THRUST_200600_302600_NS6detail15normal_iteratorINS8_10device_ptrIbEEEESD_NSA_INSB_IiEEEESF_jNS0_19identity_decomposerENS1_16block_id_wrapperIjLb0EEEEE10hipError_tT1_PNSt15iterator_traitsISK_E10value_typeET2_T3_PNSL_ISQ_E10value_typeET4_T5_PSV_SW_PNS1_23onesweep_lookback_stateEbbT6_jjT7_P12ihipStream_tbENKUlT_T0_SK_SP_E_clIPbSD_PiSF_EEDaS13_S14_SK_SP_EUlS13_E_NS1_11comp_targetILNS1_3genE2ELNS1_11target_archE906ELNS1_3gpuE6ELNS1_3repE0EEENS1_47radix_sort_onesweep_sort_config_static_selectorELNS0_4arch9wavefront6targetE1EEEvSK_,"axG",@progbits,_ZN7rocprim17ROCPRIM_400000_NS6detail17trampoline_kernelINS0_14default_configENS1_35radix_sort_onesweep_config_selectorIbiEEZZNS1_29radix_sort_onesweep_iterationIS3_Lb1EN6thrust23THRUST_200600_302600_NS6detail15normal_iteratorINS8_10device_ptrIbEEEESD_NSA_INSB_IiEEEESF_jNS0_19identity_decomposerENS1_16block_id_wrapperIjLb0EEEEE10hipError_tT1_PNSt15iterator_traitsISK_E10value_typeET2_T3_PNSL_ISQ_E10value_typeET4_T5_PSV_SW_PNS1_23onesweep_lookback_stateEbbT6_jjT7_P12ihipStream_tbENKUlT_T0_SK_SP_E_clIPbSD_PiSF_EEDaS13_S14_SK_SP_EUlS13_E_NS1_11comp_targetILNS1_3genE2ELNS1_11target_archE906ELNS1_3gpuE6ELNS1_3repE0EEENS1_47radix_sort_onesweep_sort_config_static_selectorELNS0_4arch9wavefront6targetE1EEEvSK_,comdat
	.protected	_ZN7rocprim17ROCPRIM_400000_NS6detail17trampoline_kernelINS0_14default_configENS1_35radix_sort_onesweep_config_selectorIbiEEZZNS1_29radix_sort_onesweep_iterationIS3_Lb1EN6thrust23THRUST_200600_302600_NS6detail15normal_iteratorINS8_10device_ptrIbEEEESD_NSA_INSB_IiEEEESF_jNS0_19identity_decomposerENS1_16block_id_wrapperIjLb0EEEEE10hipError_tT1_PNSt15iterator_traitsISK_E10value_typeET2_T3_PNSL_ISQ_E10value_typeET4_T5_PSV_SW_PNS1_23onesweep_lookback_stateEbbT6_jjT7_P12ihipStream_tbENKUlT_T0_SK_SP_E_clIPbSD_PiSF_EEDaS13_S14_SK_SP_EUlS13_E_NS1_11comp_targetILNS1_3genE2ELNS1_11target_archE906ELNS1_3gpuE6ELNS1_3repE0EEENS1_47radix_sort_onesweep_sort_config_static_selectorELNS0_4arch9wavefront6targetE1EEEvSK_ ; -- Begin function _ZN7rocprim17ROCPRIM_400000_NS6detail17trampoline_kernelINS0_14default_configENS1_35radix_sort_onesweep_config_selectorIbiEEZZNS1_29radix_sort_onesweep_iterationIS3_Lb1EN6thrust23THRUST_200600_302600_NS6detail15normal_iteratorINS8_10device_ptrIbEEEESD_NSA_INSB_IiEEEESF_jNS0_19identity_decomposerENS1_16block_id_wrapperIjLb0EEEEE10hipError_tT1_PNSt15iterator_traitsISK_E10value_typeET2_T3_PNSL_ISQ_E10value_typeET4_T5_PSV_SW_PNS1_23onesweep_lookback_stateEbbT6_jjT7_P12ihipStream_tbENKUlT_T0_SK_SP_E_clIPbSD_PiSF_EEDaS13_S14_SK_SP_EUlS13_E_NS1_11comp_targetILNS1_3genE2ELNS1_11target_archE906ELNS1_3gpuE6ELNS1_3repE0EEENS1_47radix_sort_onesweep_sort_config_static_selectorELNS0_4arch9wavefront6targetE1EEEvSK_
	.globl	_ZN7rocprim17ROCPRIM_400000_NS6detail17trampoline_kernelINS0_14default_configENS1_35radix_sort_onesweep_config_selectorIbiEEZZNS1_29radix_sort_onesweep_iterationIS3_Lb1EN6thrust23THRUST_200600_302600_NS6detail15normal_iteratorINS8_10device_ptrIbEEEESD_NSA_INSB_IiEEEESF_jNS0_19identity_decomposerENS1_16block_id_wrapperIjLb0EEEEE10hipError_tT1_PNSt15iterator_traitsISK_E10value_typeET2_T3_PNSL_ISQ_E10value_typeET4_T5_PSV_SW_PNS1_23onesweep_lookback_stateEbbT6_jjT7_P12ihipStream_tbENKUlT_T0_SK_SP_E_clIPbSD_PiSF_EEDaS13_S14_SK_SP_EUlS13_E_NS1_11comp_targetILNS1_3genE2ELNS1_11target_archE906ELNS1_3gpuE6ELNS1_3repE0EEENS1_47radix_sort_onesweep_sort_config_static_selectorELNS0_4arch9wavefront6targetE1EEEvSK_
	.p2align	8
	.type	_ZN7rocprim17ROCPRIM_400000_NS6detail17trampoline_kernelINS0_14default_configENS1_35radix_sort_onesweep_config_selectorIbiEEZZNS1_29radix_sort_onesweep_iterationIS3_Lb1EN6thrust23THRUST_200600_302600_NS6detail15normal_iteratorINS8_10device_ptrIbEEEESD_NSA_INSB_IiEEEESF_jNS0_19identity_decomposerENS1_16block_id_wrapperIjLb0EEEEE10hipError_tT1_PNSt15iterator_traitsISK_E10value_typeET2_T3_PNSL_ISQ_E10value_typeET4_T5_PSV_SW_PNS1_23onesweep_lookback_stateEbbT6_jjT7_P12ihipStream_tbENKUlT_T0_SK_SP_E_clIPbSD_PiSF_EEDaS13_S14_SK_SP_EUlS13_E_NS1_11comp_targetILNS1_3genE2ELNS1_11target_archE906ELNS1_3gpuE6ELNS1_3repE0EEENS1_47radix_sort_onesweep_sort_config_static_selectorELNS0_4arch9wavefront6targetE1EEEvSK_,@function
_ZN7rocprim17ROCPRIM_400000_NS6detail17trampoline_kernelINS0_14default_configENS1_35radix_sort_onesweep_config_selectorIbiEEZZNS1_29radix_sort_onesweep_iterationIS3_Lb1EN6thrust23THRUST_200600_302600_NS6detail15normal_iteratorINS8_10device_ptrIbEEEESD_NSA_INSB_IiEEEESF_jNS0_19identity_decomposerENS1_16block_id_wrapperIjLb0EEEEE10hipError_tT1_PNSt15iterator_traitsISK_E10value_typeET2_T3_PNSL_ISQ_E10value_typeET4_T5_PSV_SW_PNS1_23onesweep_lookback_stateEbbT6_jjT7_P12ihipStream_tbENKUlT_T0_SK_SP_E_clIPbSD_PiSF_EEDaS13_S14_SK_SP_EUlS13_E_NS1_11comp_targetILNS1_3genE2ELNS1_11target_archE906ELNS1_3gpuE6ELNS1_3repE0EEENS1_47radix_sort_onesweep_sort_config_static_selectorELNS0_4arch9wavefront6targetE1EEEvSK_: ; @_ZN7rocprim17ROCPRIM_400000_NS6detail17trampoline_kernelINS0_14default_configENS1_35radix_sort_onesweep_config_selectorIbiEEZZNS1_29radix_sort_onesweep_iterationIS3_Lb1EN6thrust23THRUST_200600_302600_NS6detail15normal_iteratorINS8_10device_ptrIbEEEESD_NSA_INSB_IiEEEESF_jNS0_19identity_decomposerENS1_16block_id_wrapperIjLb0EEEEE10hipError_tT1_PNSt15iterator_traitsISK_E10value_typeET2_T3_PNSL_ISQ_E10value_typeET4_T5_PSV_SW_PNS1_23onesweep_lookback_stateEbbT6_jjT7_P12ihipStream_tbENKUlT_T0_SK_SP_E_clIPbSD_PiSF_EEDaS13_S14_SK_SP_EUlS13_E_NS1_11comp_targetILNS1_3genE2ELNS1_11target_archE906ELNS1_3gpuE6ELNS1_3repE0EEENS1_47radix_sort_onesweep_sort_config_static_selectorELNS0_4arch9wavefront6targetE1EEEvSK_
; %bb.0:
	.section	.rodata,"a",@progbits
	.p2align	6, 0x0
	.amdhsa_kernel _ZN7rocprim17ROCPRIM_400000_NS6detail17trampoline_kernelINS0_14default_configENS1_35radix_sort_onesweep_config_selectorIbiEEZZNS1_29radix_sort_onesweep_iterationIS3_Lb1EN6thrust23THRUST_200600_302600_NS6detail15normal_iteratorINS8_10device_ptrIbEEEESD_NSA_INSB_IiEEEESF_jNS0_19identity_decomposerENS1_16block_id_wrapperIjLb0EEEEE10hipError_tT1_PNSt15iterator_traitsISK_E10value_typeET2_T3_PNSL_ISQ_E10value_typeET4_T5_PSV_SW_PNS1_23onesweep_lookback_stateEbbT6_jjT7_P12ihipStream_tbENKUlT_T0_SK_SP_E_clIPbSD_PiSF_EEDaS13_S14_SK_SP_EUlS13_E_NS1_11comp_targetILNS1_3genE2ELNS1_11target_archE906ELNS1_3gpuE6ELNS1_3repE0EEENS1_47radix_sort_onesweep_sort_config_static_selectorELNS0_4arch9wavefront6targetE1EEEvSK_
		.amdhsa_group_segment_fixed_size 0
		.amdhsa_private_segment_fixed_size 0
		.amdhsa_kernarg_size 88
		.amdhsa_user_sgpr_count 2
		.amdhsa_user_sgpr_dispatch_ptr 0
		.amdhsa_user_sgpr_queue_ptr 0
		.amdhsa_user_sgpr_kernarg_segment_ptr 1
		.amdhsa_user_sgpr_dispatch_id 0
		.amdhsa_user_sgpr_kernarg_preload_length 0
		.amdhsa_user_sgpr_kernarg_preload_offset 0
		.amdhsa_user_sgpr_private_segment_size 0
		.amdhsa_uses_dynamic_stack 0
		.amdhsa_enable_private_segment 0
		.amdhsa_system_sgpr_workgroup_id_x 1
		.amdhsa_system_sgpr_workgroup_id_y 0
		.amdhsa_system_sgpr_workgroup_id_z 0
		.amdhsa_system_sgpr_workgroup_info 0
		.amdhsa_system_vgpr_workitem_id 0
		.amdhsa_next_free_vgpr 1
		.amdhsa_next_free_sgpr 0
		.amdhsa_accum_offset 4
		.amdhsa_reserve_vcc 0
		.amdhsa_float_round_mode_32 0
		.amdhsa_float_round_mode_16_64 0
		.amdhsa_float_denorm_mode_32 3
		.amdhsa_float_denorm_mode_16_64 3
		.amdhsa_dx10_clamp 1
		.amdhsa_ieee_mode 1
		.amdhsa_fp16_overflow 0
		.amdhsa_tg_split 0
		.amdhsa_exception_fp_ieee_invalid_op 0
		.amdhsa_exception_fp_denorm_src 0
		.amdhsa_exception_fp_ieee_div_zero 0
		.amdhsa_exception_fp_ieee_overflow 0
		.amdhsa_exception_fp_ieee_underflow 0
		.amdhsa_exception_fp_ieee_inexact 0
		.amdhsa_exception_int_div_zero 0
	.end_amdhsa_kernel
	.section	.text._ZN7rocprim17ROCPRIM_400000_NS6detail17trampoline_kernelINS0_14default_configENS1_35radix_sort_onesweep_config_selectorIbiEEZZNS1_29radix_sort_onesweep_iterationIS3_Lb1EN6thrust23THRUST_200600_302600_NS6detail15normal_iteratorINS8_10device_ptrIbEEEESD_NSA_INSB_IiEEEESF_jNS0_19identity_decomposerENS1_16block_id_wrapperIjLb0EEEEE10hipError_tT1_PNSt15iterator_traitsISK_E10value_typeET2_T3_PNSL_ISQ_E10value_typeET4_T5_PSV_SW_PNS1_23onesweep_lookback_stateEbbT6_jjT7_P12ihipStream_tbENKUlT_T0_SK_SP_E_clIPbSD_PiSF_EEDaS13_S14_SK_SP_EUlS13_E_NS1_11comp_targetILNS1_3genE2ELNS1_11target_archE906ELNS1_3gpuE6ELNS1_3repE0EEENS1_47radix_sort_onesweep_sort_config_static_selectorELNS0_4arch9wavefront6targetE1EEEvSK_,"axG",@progbits,_ZN7rocprim17ROCPRIM_400000_NS6detail17trampoline_kernelINS0_14default_configENS1_35radix_sort_onesweep_config_selectorIbiEEZZNS1_29radix_sort_onesweep_iterationIS3_Lb1EN6thrust23THRUST_200600_302600_NS6detail15normal_iteratorINS8_10device_ptrIbEEEESD_NSA_INSB_IiEEEESF_jNS0_19identity_decomposerENS1_16block_id_wrapperIjLb0EEEEE10hipError_tT1_PNSt15iterator_traitsISK_E10value_typeET2_T3_PNSL_ISQ_E10value_typeET4_T5_PSV_SW_PNS1_23onesweep_lookback_stateEbbT6_jjT7_P12ihipStream_tbENKUlT_T0_SK_SP_E_clIPbSD_PiSF_EEDaS13_S14_SK_SP_EUlS13_E_NS1_11comp_targetILNS1_3genE2ELNS1_11target_archE906ELNS1_3gpuE6ELNS1_3repE0EEENS1_47radix_sort_onesweep_sort_config_static_selectorELNS0_4arch9wavefront6targetE1EEEvSK_,comdat
.Lfunc_end2266:
	.size	_ZN7rocprim17ROCPRIM_400000_NS6detail17trampoline_kernelINS0_14default_configENS1_35radix_sort_onesweep_config_selectorIbiEEZZNS1_29radix_sort_onesweep_iterationIS3_Lb1EN6thrust23THRUST_200600_302600_NS6detail15normal_iteratorINS8_10device_ptrIbEEEESD_NSA_INSB_IiEEEESF_jNS0_19identity_decomposerENS1_16block_id_wrapperIjLb0EEEEE10hipError_tT1_PNSt15iterator_traitsISK_E10value_typeET2_T3_PNSL_ISQ_E10value_typeET4_T5_PSV_SW_PNS1_23onesweep_lookback_stateEbbT6_jjT7_P12ihipStream_tbENKUlT_T0_SK_SP_E_clIPbSD_PiSF_EEDaS13_S14_SK_SP_EUlS13_E_NS1_11comp_targetILNS1_3genE2ELNS1_11target_archE906ELNS1_3gpuE6ELNS1_3repE0EEENS1_47radix_sort_onesweep_sort_config_static_selectorELNS0_4arch9wavefront6targetE1EEEvSK_, .Lfunc_end2266-_ZN7rocprim17ROCPRIM_400000_NS6detail17trampoline_kernelINS0_14default_configENS1_35radix_sort_onesweep_config_selectorIbiEEZZNS1_29radix_sort_onesweep_iterationIS3_Lb1EN6thrust23THRUST_200600_302600_NS6detail15normal_iteratorINS8_10device_ptrIbEEEESD_NSA_INSB_IiEEEESF_jNS0_19identity_decomposerENS1_16block_id_wrapperIjLb0EEEEE10hipError_tT1_PNSt15iterator_traitsISK_E10value_typeET2_T3_PNSL_ISQ_E10value_typeET4_T5_PSV_SW_PNS1_23onesweep_lookback_stateEbbT6_jjT7_P12ihipStream_tbENKUlT_T0_SK_SP_E_clIPbSD_PiSF_EEDaS13_S14_SK_SP_EUlS13_E_NS1_11comp_targetILNS1_3genE2ELNS1_11target_archE906ELNS1_3gpuE6ELNS1_3repE0EEENS1_47radix_sort_onesweep_sort_config_static_selectorELNS0_4arch9wavefront6targetE1EEEvSK_
                                        ; -- End function
	.set _ZN7rocprim17ROCPRIM_400000_NS6detail17trampoline_kernelINS0_14default_configENS1_35radix_sort_onesweep_config_selectorIbiEEZZNS1_29radix_sort_onesweep_iterationIS3_Lb1EN6thrust23THRUST_200600_302600_NS6detail15normal_iteratorINS8_10device_ptrIbEEEESD_NSA_INSB_IiEEEESF_jNS0_19identity_decomposerENS1_16block_id_wrapperIjLb0EEEEE10hipError_tT1_PNSt15iterator_traitsISK_E10value_typeET2_T3_PNSL_ISQ_E10value_typeET4_T5_PSV_SW_PNS1_23onesweep_lookback_stateEbbT6_jjT7_P12ihipStream_tbENKUlT_T0_SK_SP_E_clIPbSD_PiSF_EEDaS13_S14_SK_SP_EUlS13_E_NS1_11comp_targetILNS1_3genE2ELNS1_11target_archE906ELNS1_3gpuE6ELNS1_3repE0EEENS1_47radix_sort_onesweep_sort_config_static_selectorELNS0_4arch9wavefront6targetE1EEEvSK_.num_vgpr, 0
	.set _ZN7rocprim17ROCPRIM_400000_NS6detail17trampoline_kernelINS0_14default_configENS1_35radix_sort_onesweep_config_selectorIbiEEZZNS1_29radix_sort_onesweep_iterationIS3_Lb1EN6thrust23THRUST_200600_302600_NS6detail15normal_iteratorINS8_10device_ptrIbEEEESD_NSA_INSB_IiEEEESF_jNS0_19identity_decomposerENS1_16block_id_wrapperIjLb0EEEEE10hipError_tT1_PNSt15iterator_traitsISK_E10value_typeET2_T3_PNSL_ISQ_E10value_typeET4_T5_PSV_SW_PNS1_23onesweep_lookback_stateEbbT6_jjT7_P12ihipStream_tbENKUlT_T0_SK_SP_E_clIPbSD_PiSF_EEDaS13_S14_SK_SP_EUlS13_E_NS1_11comp_targetILNS1_3genE2ELNS1_11target_archE906ELNS1_3gpuE6ELNS1_3repE0EEENS1_47radix_sort_onesweep_sort_config_static_selectorELNS0_4arch9wavefront6targetE1EEEvSK_.num_agpr, 0
	.set _ZN7rocprim17ROCPRIM_400000_NS6detail17trampoline_kernelINS0_14default_configENS1_35radix_sort_onesweep_config_selectorIbiEEZZNS1_29radix_sort_onesweep_iterationIS3_Lb1EN6thrust23THRUST_200600_302600_NS6detail15normal_iteratorINS8_10device_ptrIbEEEESD_NSA_INSB_IiEEEESF_jNS0_19identity_decomposerENS1_16block_id_wrapperIjLb0EEEEE10hipError_tT1_PNSt15iterator_traitsISK_E10value_typeET2_T3_PNSL_ISQ_E10value_typeET4_T5_PSV_SW_PNS1_23onesweep_lookback_stateEbbT6_jjT7_P12ihipStream_tbENKUlT_T0_SK_SP_E_clIPbSD_PiSF_EEDaS13_S14_SK_SP_EUlS13_E_NS1_11comp_targetILNS1_3genE2ELNS1_11target_archE906ELNS1_3gpuE6ELNS1_3repE0EEENS1_47radix_sort_onesweep_sort_config_static_selectorELNS0_4arch9wavefront6targetE1EEEvSK_.numbered_sgpr, 0
	.set _ZN7rocprim17ROCPRIM_400000_NS6detail17trampoline_kernelINS0_14default_configENS1_35radix_sort_onesweep_config_selectorIbiEEZZNS1_29radix_sort_onesweep_iterationIS3_Lb1EN6thrust23THRUST_200600_302600_NS6detail15normal_iteratorINS8_10device_ptrIbEEEESD_NSA_INSB_IiEEEESF_jNS0_19identity_decomposerENS1_16block_id_wrapperIjLb0EEEEE10hipError_tT1_PNSt15iterator_traitsISK_E10value_typeET2_T3_PNSL_ISQ_E10value_typeET4_T5_PSV_SW_PNS1_23onesweep_lookback_stateEbbT6_jjT7_P12ihipStream_tbENKUlT_T0_SK_SP_E_clIPbSD_PiSF_EEDaS13_S14_SK_SP_EUlS13_E_NS1_11comp_targetILNS1_3genE2ELNS1_11target_archE906ELNS1_3gpuE6ELNS1_3repE0EEENS1_47radix_sort_onesweep_sort_config_static_selectorELNS0_4arch9wavefront6targetE1EEEvSK_.num_named_barrier, 0
	.set _ZN7rocprim17ROCPRIM_400000_NS6detail17trampoline_kernelINS0_14default_configENS1_35radix_sort_onesweep_config_selectorIbiEEZZNS1_29radix_sort_onesweep_iterationIS3_Lb1EN6thrust23THRUST_200600_302600_NS6detail15normal_iteratorINS8_10device_ptrIbEEEESD_NSA_INSB_IiEEEESF_jNS0_19identity_decomposerENS1_16block_id_wrapperIjLb0EEEEE10hipError_tT1_PNSt15iterator_traitsISK_E10value_typeET2_T3_PNSL_ISQ_E10value_typeET4_T5_PSV_SW_PNS1_23onesweep_lookback_stateEbbT6_jjT7_P12ihipStream_tbENKUlT_T0_SK_SP_E_clIPbSD_PiSF_EEDaS13_S14_SK_SP_EUlS13_E_NS1_11comp_targetILNS1_3genE2ELNS1_11target_archE906ELNS1_3gpuE6ELNS1_3repE0EEENS1_47radix_sort_onesweep_sort_config_static_selectorELNS0_4arch9wavefront6targetE1EEEvSK_.private_seg_size, 0
	.set _ZN7rocprim17ROCPRIM_400000_NS6detail17trampoline_kernelINS0_14default_configENS1_35radix_sort_onesweep_config_selectorIbiEEZZNS1_29radix_sort_onesweep_iterationIS3_Lb1EN6thrust23THRUST_200600_302600_NS6detail15normal_iteratorINS8_10device_ptrIbEEEESD_NSA_INSB_IiEEEESF_jNS0_19identity_decomposerENS1_16block_id_wrapperIjLb0EEEEE10hipError_tT1_PNSt15iterator_traitsISK_E10value_typeET2_T3_PNSL_ISQ_E10value_typeET4_T5_PSV_SW_PNS1_23onesweep_lookback_stateEbbT6_jjT7_P12ihipStream_tbENKUlT_T0_SK_SP_E_clIPbSD_PiSF_EEDaS13_S14_SK_SP_EUlS13_E_NS1_11comp_targetILNS1_3genE2ELNS1_11target_archE906ELNS1_3gpuE6ELNS1_3repE0EEENS1_47radix_sort_onesweep_sort_config_static_selectorELNS0_4arch9wavefront6targetE1EEEvSK_.uses_vcc, 0
	.set _ZN7rocprim17ROCPRIM_400000_NS6detail17trampoline_kernelINS0_14default_configENS1_35radix_sort_onesweep_config_selectorIbiEEZZNS1_29radix_sort_onesweep_iterationIS3_Lb1EN6thrust23THRUST_200600_302600_NS6detail15normal_iteratorINS8_10device_ptrIbEEEESD_NSA_INSB_IiEEEESF_jNS0_19identity_decomposerENS1_16block_id_wrapperIjLb0EEEEE10hipError_tT1_PNSt15iterator_traitsISK_E10value_typeET2_T3_PNSL_ISQ_E10value_typeET4_T5_PSV_SW_PNS1_23onesweep_lookback_stateEbbT6_jjT7_P12ihipStream_tbENKUlT_T0_SK_SP_E_clIPbSD_PiSF_EEDaS13_S14_SK_SP_EUlS13_E_NS1_11comp_targetILNS1_3genE2ELNS1_11target_archE906ELNS1_3gpuE6ELNS1_3repE0EEENS1_47radix_sort_onesweep_sort_config_static_selectorELNS0_4arch9wavefront6targetE1EEEvSK_.uses_flat_scratch, 0
	.set _ZN7rocprim17ROCPRIM_400000_NS6detail17trampoline_kernelINS0_14default_configENS1_35radix_sort_onesweep_config_selectorIbiEEZZNS1_29radix_sort_onesweep_iterationIS3_Lb1EN6thrust23THRUST_200600_302600_NS6detail15normal_iteratorINS8_10device_ptrIbEEEESD_NSA_INSB_IiEEEESF_jNS0_19identity_decomposerENS1_16block_id_wrapperIjLb0EEEEE10hipError_tT1_PNSt15iterator_traitsISK_E10value_typeET2_T3_PNSL_ISQ_E10value_typeET4_T5_PSV_SW_PNS1_23onesweep_lookback_stateEbbT6_jjT7_P12ihipStream_tbENKUlT_T0_SK_SP_E_clIPbSD_PiSF_EEDaS13_S14_SK_SP_EUlS13_E_NS1_11comp_targetILNS1_3genE2ELNS1_11target_archE906ELNS1_3gpuE6ELNS1_3repE0EEENS1_47radix_sort_onesweep_sort_config_static_selectorELNS0_4arch9wavefront6targetE1EEEvSK_.has_dyn_sized_stack, 0
	.set _ZN7rocprim17ROCPRIM_400000_NS6detail17trampoline_kernelINS0_14default_configENS1_35radix_sort_onesweep_config_selectorIbiEEZZNS1_29radix_sort_onesweep_iterationIS3_Lb1EN6thrust23THRUST_200600_302600_NS6detail15normal_iteratorINS8_10device_ptrIbEEEESD_NSA_INSB_IiEEEESF_jNS0_19identity_decomposerENS1_16block_id_wrapperIjLb0EEEEE10hipError_tT1_PNSt15iterator_traitsISK_E10value_typeET2_T3_PNSL_ISQ_E10value_typeET4_T5_PSV_SW_PNS1_23onesweep_lookback_stateEbbT6_jjT7_P12ihipStream_tbENKUlT_T0_SK_SP_E_clIPbSD_PiSF_EEDaS13_S14_SK_SP_EUlS13_E_NS1_11comp_targetILNS1_3genE2ELNS1_11target_archE906ELNS1_3gpuE6ELNS1_3repE0EEENS1_47radix_sort_onesweep_sort_config_static_selectorELNS0_4arch9wavefront6targetE1EEEvSK_.has_recursion, 0
	.set _ZN7rocprim17ROCPRIM_400000_NS6detail17trampoline_kernelINS0_14default_configENS1_35radix_sort_onesweep_config_selectorIbiEEZZNS1_29radix_sort_onesweep_iterationIS3_Lb1EN6thrust23THRUST_200600_302600_NS6detail15normal_iteratorINS8_10device_ptrIbEEEESD_NSA_INSB_IiEEEESF_jNS0_19identity_decomposerENS1_16block_id_wrapperIjLb0EEEEE10hipError_tT1_PNSt15iterator_traitsISK_E10value_typeET2_T3_PNSL_ISQ_E10value_typeET4_T5_PSV_SW_PNS1_23onesweep_lookback_stateEbbT6_jjT7_P12ihipStream_tbENKUlT_T0_SK_SP_E_clIPbSD_PiSF_EEDaS13_S14_SK_SP_EUlS13_E_NS1_11comp_targetILNS1_3genE2ELNS1_11target_archE906ELNS1_3gpuE6ELNS1_3repE0EEENS1_47radix_sort_onesweep_sort_config_static_selectorELNS0_4arch9wavefront6targetE1EEEvSK_.has_indirect_call, 0
	.section	.AMDGPU.csdata,"",@progbits
; Kernel info:
; codeLenInByte = 0
; TotalNumSgprs: 6
; NumVgprs: 0
; NumAgprs: 0
; TotalNumVgprs: 0
; ScratchSize: 0
; MemoryBound: 0
; FloatMode: 240
; IeeeMode: 1
; LDSByteSize: 0 bytes/workgroup (compile time only)
; SGPRBlocks: 0
; VGPRBlocks: 0
; NumSGPRsForWavesPerEU: 6
; NumVGPRsForWavesPerEU: 1
; AccumOffset: 4
; Occupancy: 8
; WaveLimiterHint : 0
; COMPUTE_PGM_RSRC2:SCRATCH_EN: 0
; COMPUTE_PGM_RSRC2:USER_SGPR: 2
; COMPUTE_PGM_RSRC2:TRAP_HANDLER: 0
; COMPUTE_PGM_RSRC2:TGID_X_EN: 1
; COMPUTE_PGM_RSRC2:TGID_Y_EN: 0
; COMPUTE_PGM_RSRC2:TGID_Z_EN: 0
; COMPUTE_PGM_RSRC2:TIDIG_COMP_CNT: 0
; COMPUTE_PGM_RSRC3_GFX90A:ACCUM_OFFSET: 0
; COMPUTE_PGM_RSRC3_GFX90A:TG_SPLIT: 0
	.section	.text._ZN7rocprim17ROCPRIM_400000_NS6detail17trampoline_kernelINS0_14default_configENS1_35radix_sort_onesweep_config_selectorIbiEEZZNS1_29radix_sort_onesweep_iterationIS3_Lb1EN6thrust23THRUST_200600_302600_NS6detail15normal_iteratorINS8_10device_ptrIbEEEESD_NSA_INSB_IiEEEESF_jNS0_19identity_decomposerENS1_16block_id_wrapperIjLb0EEEEE10hipError_tT1_PNSt15iterator_traitsISK_E10value_typeET2_T3_PNSL_ISQ_E10value_typeET4_T5_PSV_SW_PNS1_23onesweep_lookback_stateEbbT6_jjT7_P12ihipStream_tbENKUlT_T0_SK_SP_E_clIPbSD_PiSF_EEDaS13_S14_SK_SP_EUlS13_E_NS1_11comp_targetILNS1_3genE4ELNS1_11target_archE910ELNS1_3gpuE8ELNS1_3repE0EEENS1_47radix_sort_onesweep_sort_config_static_selectorELNS0_4arch9wavefront6targetE1EEEvSK_,"axG",@progbits,_ZN7rocprim17ROCPRIM_400000_NS6detail17trampoline_kernelINS0_14default_configENS1_35radix_sort_onesweep_config_selectorIbiEEZZNS1_29radix_sort_onesweep_iterationIS3_Lb1EN6thrust23THRUST_200600_302600_NS6detail15normal_iteratorINS8_10device_ptrIbEEEESD_NSA_INSB_IiEEEESF_jNS0_19identity_decomposerENS1_16block_id_wrapperIjLb0EEEEE10hipError_tT1_PNSt15iterator_traitsISK_E10value_typeET2_T3_PNSL_ISQ_E10value_typeET4_T5_PSV_SW_PNS1_23onesweep_lookback_stateEbbT6_jjT7_P12ihipStream_tbENKUlT_T0_SK_SP_E_clIPbSD_PiSF_EEDaS13_S14_SK_SP_EUlS13_E_NS1_11comp_targetILNS1_3genE4ELNS1_11target_archE910ELNS1_3gpuE8ELNS1_3repE0EEENS1_47radix_sort_onesweep_sort_config_static_selectorELNS0_4arch9wavefront6targetE1EEEvSK_,comdat
	.protected	_ZN7rocprim17ROCPRIM_400000_NS6detail17trampoline_kernelINS0_14default_configENS1_35radix_sort_onesweep_config_selectorIbiEEZZNS1_29radix_sort_onesweep_iterationIS3_Lb1EN6thrust23THRUST_200600_302600_NS6detail15normal_iteratorINS8_10device_ptrIbEEEESD_NSA_INSB_IiEEEESF_jNS0_19identity_decomposerENS1_16block_id_wrapperIjLb0EEEEE10hipError_tT1_PNSt15iterator_traitsISK_E10value_typeET2_T3_PNSL_ISQ_E10value_typeET4_T5_PSV_SW_PNS1_23onesweep_lookback_stateEbbT6_jjT7_P12ihipStream_tbENKUlT_T0_SK_SP_E_clIPbSD_PiSF_EEDaS13_S14_SK_SP_EUlS13_E_NS1_11comp_targetILNS1_3genE4ELNS1_11target_archE910ELNS1_3gpuE8ELNS1_3repE0EEENS1_47radix_sort_onesweep_sort_config_static_selectorELNS0_4arch9wavefront6targetE1EEEvSK_ ; -- Begin function _ZN7rocprim17ROCPRIM_400000_NS6detail17trampoline_kernelINS0_14default_configENS1_35radix_sort_onesweep_config_selectorIbiEEZZNS1_29radix_sort_onesweep_iterationIS3_Lb1EN6thrust23THRUST_200600_302600_NS6detail15normal_iteratorINS8_10device_ptrIbEEEESD_NSA_INSB_IiEEEESF_jNS0_19identity_decomposerENS1_16block_id_wrapperIjLb0EEEEE10hipError_tT1_PNSt15iterator_traitsISK_E10value_typeET2_T3_PNSL_ISQ_E10value_typeET4_T5_PSV_SW_PNS1_23onesweep_lookback_stateEbbT6_jjT7_P12ihipStream_tbENKUlT_T0_SK_SP_E_clIPbSD_PiSF_EEDaS13_S14_SK_SP_EUlS13_E_NS1_11comp_targetILNS1_3genE4ELNS1_11target_archE910ELNS1_3gpuE8ELNS1_3repE0EEENS1_47radix_sort_onesweep_sort_config_static_selectorELNS0_4arch9wavefront6targetE1EEEvSK_
	.globl	_ZN7rocprim17ROCPRIM_400000_NS6detail17trampoline_kernelINS0_14default_configENS1_35radix_sort_onesweep_config_selectorIbiEEZZNS1_29radix_sort_onesweep_iterationIS3_Lb1EN6thrust23THRUST_200600_302600_NS6detail15normal_iteratorINS8_10device_ptrIbEEEESD_NSA_INSB_IiEEEESF_jNS0_19identity_decomposerENS1_16block_id_wrapperIjLb0EEEEE10hipError_tT1_PNSt15iterator_traitsISK_E10value_typeET2_T3_PNSL_ISQ_E10value_typeET4_T5_PSV_SW_PNS1_23onesweep_lookback_stateEbbT6_jjT7_P12ihipStream_tbENKUlT_T0_SK_SP_E_clIPbSD_PiSF_EEDaS13_S14_SK_SP_EUlS13_E_NS1_11comp_targetILNS1_3genE4ELNS1_11target_archE910ELNS1_3gpuE8ELNS1_3repE0EEENS1_47radix_sort_onesweep_sort_config_static_selectorELNS0_4arch9wavefront6targetE1EEEvSK_
	.p2align	8
	.type	_ZN7rocprim17ROCPRIM_400000_NS6detail17trampoline_kernelINS0_14default_configENS1_35radix_sort_onesweep_config_selectorIbiEEZZNS1_29radix_sort_onesweep_iterationIS3_Lb1EN6thrust23THRUST_200600_302600_NS6detail15normal_iteratorINS8_10device_ptrIbEEEESD_NSA_INSB_IiEEEESF_jNS0_19identity_decomposerENS1_16block_id_wrapperIjLb0EEEEE10hipError_tT1_PNSt15iterator_traitsISK_E10value_typeET2_T3_PNSL_ISQ_E10value_typeET4_T5_PSV_SW_PNS1_23onesweep_lookback_stateEbbT6_jjT7_P12ihipStream_tbENKUlT_T0_SK_SP_E_clIPbSD_PiSF_EEDaS13_S14_SK_SP_EUlS13_E_NS1_11comp_targetILNS1_3genE4ELNS1_11target_archE910ELNS1_3gpuE8ELNS1_3repE0EEENS1_47radix_sort_onesweep_sort_config_static_selectorELNS0_4arch9wavefront6targetE1EEEvSK_,@function
_ZN7rocprim17ROCPRIM_400000_NS6detail17trampoline_kernelINS0_14default_configENS1_35radix_sort_onesweep_config_selectorIbiEEZZNS1_29radix_sort_onesweep_iterationIS3_Lb1EN6thrust23THRUST_200600_302600_NS6detail15normal_iteratorINS8_10device_ptrIbEEEESD_NSA_INSB_IiEEEESF_jNS0_19identity_decomposerENS1_16block_id_wrapperIjLb0EEEEE10hipError_tT1_PNSt15iterator_traitsISK_E10value_typeET2_T3_PNSL_ISQ_E10value_typeET4_T5_PSV_SW_PNS1_23onesweep_lookback_stateEbbT6_jjT7_P12ihipStream_tbENKUlT_T0_SK_SP_E_clIPbSD_PiSF_EEDaS13_S14_SK_SP_EUlS13_E_NS1_11comp_targetILNS1_3genE4ELNS1_11target_archE910ELNS1_3gpuE8ELNS1_3repE0EEENS1_47radix_sort_onesweep_sort_config_static_selectorELNS0_4arch9wavefront6targetE1EEEvSK_: ; @_ZN7rocprim17ROCPRIM_400000_NS6detail17trampoline_kernelINS0_14default_configENS1_35radix_sort_onesweep_config_selectorIbiEEZZNS1_29radix_sort_onesweep_iterationIS3_Lb1EN6thrust23THRUST_200600_302600_NS6detail15normal_iteratorINS8_10device_ptrIbEEEESD_NSA_INSB_IiEEEESF_jNS0_19identity_decomposerENS1_16block_id_wrapperIjLb0EEEEE10hipError_tT1_PNSt15iterator_traitsISK_E10value_typeET2_T3_PNSL_ISQ_E10value_typeET4_T5_PSV_SW_PNS1_23onesweep_lookback_stateEbbT6_jjT7_P12ihipStream_tbENKUlT_T0_SK_SP_E_clIPbSD_PiSF_EEDaS13_S14_SK_SP_EUlS13_E_NS1_11comp_targetILNS1_3genE4ELNS1_11target_archE910ELNS1_3gpuE8ELNS1_3repE0EEENS1_47radix_sort_onesweep_sort_config_static_selectorELNS0_4arch9wavefront6targetE1EEEvSK_
; %bb.0:
	.section	.rodata,"a",@progbits
	.p2align	6, 0x0
	.amdhsa_kernel _ZN7rocprim17ROCPRIM_400000_NS6detail17trampoline_kernelINS0_14default_configENS1_35radix_sort_onesweep_config_selectorIbiEEZZNS1_29radix_sort_onesweep_iterationIS3_Lb1EN6thrust23THRUST_200600_302600_NS6detail15normal_iteratorINS8_10device_ptrIbEEEESD_NSA_INSB_IiEEEESF_jNS0_19identity_decomposerENS1_16block_id_wrapperIjLb0EEEEE10hipError_tT1_PNSt15iterator_traitsISK_E10value_typeET2_T3_PNSL_ISQ_E10value_typeET4_T5_PSV_SW_PNS1_23onesweep_lookback_stateEbbT6_jjT7_P12ihipStream_tbENKUlT_T0_SK_SP_E_clIPbSD_PiSF_EEDaS13_S14_SK_SP_EUlS13_E_NS1_11comp_targetILNS1_3genE4ELNS1_11target_archE910ELNS1_3gpuE8ELNS1_3repE0EEENS1_47radix_sort_onesweep_sort_config_static_selectorELNS0_4arch9wavefront6targetE1EEEvSK_
		.amdhsa_group_segment_fixed_size 0
		.amdhsa_private_segment_fixed_size 0
		.amdhsa_kernarg_size 88
		.amdhsa_user_sgpr_count 2
		.amdhsa_user_sgpr_dispatch_ptr 0
		.amdhsa_user_sgpr_queue_ptr 0
		.amdhsa_user_sgpr_kernarg_segment_ptr 1
		.amdhsa_user_sgpr_dispatch_id 0
		.amdhsa_user_sgpr_kernarg_preload_length 0
		.amdhsa_user_sgpr_kernarg_preload_offset 0
		.amdhsa_user_sgpr_private_segment_size 0
		.amdhsa_uses_dynamic_stack 0
		.amdhsa_enable_private_segment 0
		.amdhsa_system_sgpr_workgroup_id_x 1
		.amdhsa_system_sgpr_workgroup_id_y 0
		.amdhsa_system_sgpr_workgroup_id_z 0
		.amdhsa_system_sgpr_workgroup_info 0
		.amdhsa_system_vgpr_workitem_id 0
		.amdhsa_next_free_vgpr 1
		.amdhsa_next_free_sgpr 0
		.amdhsa_accum_offset 4
		.amdhsa_reserve_vcc 0
		.amdhsa_float_round_mode_32 0
		.amdhsa_float_round_mode_16_64 0
		.amdhsa_float_denorm_mode_32 3
		.amdhsa_float_denorm_mode_16_64 3
		.amdhsa_dx10_clamp 1
		.amdhsa_ieee_mode 1
		.amdhsa_fp16_overflow 0
		.amdhsa_tg_split 0
		.amdhsa_exception_fp_ieee_invalid_op 0
		.amdhsa_exception_fp_denorm_src 0
		.amdhsa_exception_fp_ieee_div_zero 0
		.amdhsa_exception_fp_ieee_overflow 0
		.amdhsa_exception_fp_ieee_underflow 0
		.amdhsa_exception_fp_ieee_inexact 0
		.amdhsa_exception_int_div_zero 0
	.end_amdhsa_kernel
	.section	.text._ZN7rocprim17ROCPRIM_400000_NS6detail17trampoline_kernelINS0_14default_configENS1_35radix_sort_onesweep_config_selectorIbiEEZZNS1_29radix_sort_onesweep_iterationIS3_Lb1EN6thrust23THRUST_200600_302600_NS6detail15normal_iteratorINS8_10device_ptrIbEEEESD_NSA_INSB_IiEEEESF_jNS0_19identity_decomposerENS1_16block_id_wrapperIjLb0EEEEE10hipError_tT1_PNSt15iterator_traitsISK_E10value_typeET2_T3_PNSL_ISQ_E10value_typeET4_T5_PSV_SW_PNS1_23onesweep_lookback_stateEbbT6_jjT7_P12ihipStream_tbENKUlT_T0_SK_SP_E_clIPbSD_PiSF_EEDaS13_S14_SK_SP_EUlS13_E_NS1_11comp_targetILNS1_3genE4ELNS1_11target_archE910ELNS1_3gpuE8ELNS1_3repE0EEENS1_47radix_sort_onesweep_sort_config_static_selectorELNS0_4arch9wavefront6targetE1EEEvSK_,"axG",@progbits,_ZN7rocprim17ROCPRIM_400000_NS6detail17trampoline_kernelINS0_14default_configENS1_35radix_sort_onesweep_config_selectorIbiEEZZNS1_29radix_sort_onesweep_iterationIS3_Lb1EN6thrust23THRUST_200600_302600_NS6detail15normal_iteratorINS8_10device_ptrIbEEEESD_NSA_INSB_IiEEEESF_jNS0_19identity_decomposerENS1_16block_id_wrapperIjLb0EEEEE10hipError_tT1_PNSt15iterator_traitsISK_E10value_typeET2_T3_PNSL_ISQ_E10value_typeET4_T5_PSV_SW_PNS1_23onesweep_lookback_stateEbbT6_jjT7_P12ihipStream_tbENKUlT_T0_SK_SP_E_clIPbSD_PiSF_EEDaS13_S14_SK_SP_EUlS13_E_NS1_11comp_targetILNS1_3genE4ELNS1_11target_archE910ELNS1_3gpuE8ELNS1_3repE0EEENS1_47radix_sort_onesweep_sort_config_static_selectorELNS0_4arch9wavefront6targetE1EEEvSK_,comdat
.Lfunc_end2267:
	.size	_ZN7rocprim17ROCPRIM_400000_NS6detail17trampoline_kernelINS0_14default_configENS1_35radix_sort_onesweep_config_selectorIbiEEZZNS1_29radix_sort_onesweep_iterationIS3_Lb1EN6thrust23THRUST_200600_302600_NS6detail15normal_iteratorINS8_10device_ptrIbEEEESD_NSA_INSB_IiEEEESF_jNS0_19identity_decomposerENS1_16block_id_wrapperIjLb0EEEEE10hipError_tT1_PNSt15iterator_traitsISK_E10value_typeET2_T3_PNSL_ISQ_E10value_typeET4_T5_PSV_SW_PNS1_23onesweep_lookback_stateEbbT6_jjT7_P12ihipStream_tbENKUlT_T0_SK_SP_E_clIPbSD_PiSF_EEDaS13_S14_SK_SP_EUlS13_E_NS1_11comp_targetILNS1_3genE4ELNS1_11target_archE910ELNS1_3gpuE8ELNS1_3repE0EEENS1_47radix_sort_onesweep_sort_config_static_selectorELNS0_4arch9wavefront6targetE1EEEvSK_, .Lfunc_end2267-_ZN7rocprim17ROCPRIM_400000_NS6detail17trampoline_kernelINS0_14default_configENS1_35radix_sort_onesweep_config_selectorIbiEEZZNS1_29radix_sort_onesweep_iterationIS3_Lb1EN6thrust23THRUST_200600_302600_NS6detail15normal_iteratorINS8_10device_ptrIbEEEESD_NSA_INSB_IiEEEESF_jNS0_19identity_decomposerENS1_16block_id_wrapperIjLb0EEEEE10hipError_tT1_PNSt15iterator_traitsISK_E10value_typeET2_T3_PNSL_ISQ_E10value_typeET4_T5_PSV_SW_PNS1_23onesweep_lookback_stateEbbT6_jjT7_P12ihipStream_tbENKUlT_T0_SK_SP_E_clIPbSD_PiSF_EEDaS13_S14_SK_SP_EUlS13_E_NS1_11comp_targetILNS1_3genE4ELNS1_11target_archE910ELNS1_3gpuE8ELNS1_3repE0EEENS1_47radix_sort_onesweep_sort_config_static_selectorELNS0_4arch9wavefront6targetE1EEEvSK_
                                        ; -- End function
	.set _ZN7rocprim17ROCPRIM_400000_NS6detail17trampoline_kernelINS0_14default_configENS1_35radix_sort_onesweep_config_selectorIbiEEZZNS1_29radix_sort_onesweep_iterationIS3_Lb1EN6thrust23THRUST_200600_302600_NS6detail15normal_iteratorINS8_10device_ptrIbEEEESD_NSA_INSB_IiEEEESF_jNS0_19identity_decomposerENS1_16block_id_wrapperIjLb0EEEEE10hipError_tT1_PNSt15iterator_traitsISK_E10value_typeET2_T3_PNSL_ISQ_E10value_typeET4_T5_PSV_SW_PNS1_23onesweep_lookback_stateEbbT6_jjT7_P12ihipStream_tbENKUlT_T0_SK_SP_E_clIPbSD_PiSF_EEDaS13_S14_SK_SP_EUlS13_E_NS1_11comp_targetILNS1_3genE4ELNS1_11target_archE910ELNS1_3gpuE8ELNS1_3repE0EEENS1_47radix_sort_onesweep_sort_config_static_selectorELNS0_4arch9wavefront6targetE1EEEvSK_.num_vgpr, 0
	.set _ZN7rocprim17ROCPRIM_400000_NS6detail17trampoline_kernelINS0_14default_configENS1_35radix_sort_onesweep_config_selectorIbiEEZZNS1_29radix_sort_onesweep_iterationIS3_Lb1EN6thrust23THRUST_200600_302600_NS6detail15normal_iteratorINS8_10device_ptrIbEEEESD_NSA_INSB_IiEEEESF_jNS0_19identity_decomposerENS1_16block_id_wrapperIjLb0EEEEE10hipError_tT1_PNSt15iterator_traitsISK_E10value_typeET2_T3_PNSL_ISQ_E10value_typeET4_T5_PSV_SW_PNS1_23onesweep_lookback_stateEbbT6_jjT7_P12ihipStream_tbENKUlT_T0_SK_SP_E_clIPbSD_PiSF_EEDaS13_S14_SK_SP_EUlS13_E_NS1_11comp_targetILNS1_3genE4ELNS1_11target_archE910ELNS1_3gpuE8ELNS1_3repE0EEENS1_47radix_sort_onesweep_sort_config_static_selectorELNS0_4arch9wavefront6targetE1EEEvSK_.num_agpr, 0
	.set _ZN7rocprim17ROCPRIM_400000_NS6detail17trampoline_kernelINS0_14default_configENS1_35radix_sort_onesweep_config_selectorIbiEEZZNS1_29radix_sort_onesweep_iterationIS3_Lb1EN6thrust23THRUST_200600_302600_NS6detail15normal_iteratorINS8_10device_ptrIbEEEESD_NSA_INSB_IiEEEESF_jNS0_19identity_decomposerENS1_16block_id_wrapperIjLb0EEEEE10hipError_tT1_PNSt15iterator_traitsISK_E10value_typeET2_T3_PNSL_ISQ_E10value_typeET4_T5_PSV_SW_PNS1_23onesweep_lookback_stateEbbT6_jjT7_P12ihipStream_tbENKUlT_T0_SK_SP_E_clIPbSD_PiSF_EEDaS13_S14_SK_SP_EUlS13_E_NS1_11comp_targetILNS1_3genE4ELNS1_11target_archE910ELNS1_3gpuE8ELNS1_3repE0EEENS1_47radix_sort_onesweep_sort_config_static_selectorELNS0_4arch9wavefront6targetE1EEEvSK_.numbered_sgpr, 0
	.set _ZN7rocprim17ROCPRIM_400000_NS6detail17trampoline_kernelINS0_14default_configENS1_35radix_sort_onesweep_config_selectorIbiEEZZNS1_29radix_sort_onesweep_iterationIS3_Lb1EN6thrust23THRUST_200600_302600_NS6detail15normal_iteratorINS8_10device_ptrIbEEEESD_NSA_INSB_IiEEEESF_jNS0_19identity_decomposerENS1_16block_id_wrapperIjLb0EEEEE10hipError_tT1_PNSt15iterator_traitsISK_E10value_typeET2_T3_PNSL_ISQ_E10value_typeET4_T5_PSV_SW_PNS1_23onesweep_lookback_stateEbbT6_jjT7_P12ihipStream_tbENKUlT_T0_SK_SP_E_clIPbSD_PiSF_EEDaS13_S14_SK_SP_EUlS13_E_NS1_11comp_targetILNS1_3genE4ELNS1_11target_archE910ELNS1_3gpuE8ELNS1_3repE0EEENS1_47radix_sort_onesweep_sort_config_static_selectorELNS0_4arch9wavefront6targetE1EEEvSK_.num_named_barrier, 0
	.set _ZN7rocprim17ROCPRIM_400000_NS6detail17trampoline_kernelINS0_14default_configENS1_35radix_sort_onesweep_config_selectorIbiEEZZNS1_29radix_sort_onesweep_iterationIS3_Lb1EN6thrust23THRUST_200600_302600_NS6detail15normal_iteratorINS8_10device_ptrIbEEEESD_NSA_INSB_IiEEEESF_jNS0_19identity_decomposerENS1_16block_id_wrapperIjLb0EEEEE10hipError_tT1_PNSt15iterator_traitsISK_E10value_typeET2_T3_PNSL_ISQ_E10value_typeET4_T5_PSV_SW_PNS1_23onesweep_lookback_stateEbbT6_jjT7_P12ihipStream_tbENKUlT_T0_SK_SP_E_clIPbSD_PiSF_EEDaS13_S14_SK_SP_EUlS13_E_NS1_11comp_targetILNS1_3genE4ELNS1_11target_archE910ELNS1_3gpuE8ELNS1_3repE0EEENS1_47radix_sort_onesweep_sort_config_static_selectorELNS0_4arch9wavefront6targetE1EEEvSK_.private_seg_size, 0
	.set _ZN7rocprim17ROCPRIM_400000_NS6detail17trampoline_kernelINS0_14default_configENS1_35radix_sort_onesweep_config_selectorIbiEEZZNS1_29radix_sort_onesweep_iterationIS3_Lb1EN6thrust23THRUST_200600_302600_NS6detail15normal_iteratorINS8_10device_ptrIbEEEESD_NSA_INSB_IiEEEESF_jNS0_19identity_decomposerENS1_16block_id_wrapperIjLb0EEEEE10hipError_tT1_PNSt15iterator_traitsISK_E10value_typeET2_T3_PNSL_ISQ_E10value_typeET4_T5_PSV_SW_PNS1_23onesweep_lookback_stateEbbT6_jjT7_P12ihipStream_tbENKUlT_T0_SK_SP_E_clIPbSD_PiSF_EEDaS13_S14_SK_SP_EUlS13_E_NS1_11comp_targetILNS1_3genE4ELNS1_11target_archE910ELNS1_3gpuE8ELNS1_3repE0EEENS1_47radix_sort_onesweep_sort_config_static_selectorELNS0_4arch9wavefront6targetE1EEEvSK_.uses_vcc, 0
	.set _ZN7rocprim17ROCPRIM_400000_NS6detail17trampoline_kernelINS0_14default_configENS1_35radix_sort_onesweep_config_selectorIbiEEZZNS1_29radix_sort_onesweep_iterationIS3_Lb1EN6thrust23THRUST_200600_302600_NS6detail15normal_iteratorINS8_10device_ptrIbEEEESD_NSA_INSB_IiEEEESF_jNS0_19identity_decomposerENS1_16block_id_wrapperIjLb0EEEEE10hipError_tT1_PNSt15iterator_traitsISK_E10value_typeET2_T3_PNSL_ISQ_E10value_typeET4_T5_PSV_SW_PNS1_23onesweep_lookback_stateEbbT6_jjT7_P12ihipStream_tbENKUlT_T0_SK_SP_E_clIPbSD_PiSF_EEDaS13_S14_SK_SP_EUlS13_E_NS1_11comp_targetILNS1_3genE4ELNS1_11target_archE910ELNS1_3gpuE8ELNS1_3repE0EEENS1_47radix_sort_onesweep_sort_config_static_selectorELNS0_4arch9wavefront6targetE1EEEvSK_.uses_flat_scratch, 0
	.set _ZN7rocprim17ROCPRIM_400000_NS6detail17trampoline_kernelINS0_14default_configENS1_35radix_sort_onesweep_config_selectorIbiEEZZNS1_29radix_sort_onesweep_iterationIS3_Lb1EN6thrust23THRUST_200600_302600_NS6detail15normal_iteratorINS8_10device_ptrIbEEEESD_NSA_INSB_IiEEEESF_jNS0_19identity_decomposerENS1_16block_id_wrapperIjLb0EEEEE10hipError_tT1_PNSt15iterator_traitsISK_E10value_typeET2_T3_PNSL_ISQ_E10value_typeET4_T5_PSV_SW_PNS1_23onesweep_lookback_stateEbbT6_jjT7_P12ihipStream_tbENKUlT_T0_SK_SP_E_clIPbSD_PiSF_EEDaS13_S14_SK_SP_EUlS13_E_NS1_11comp_targetILNS1_3genE4ELNS1_11target_archE910ELNS1_3gpuE8ELNS1_3repE0EEENS1_47radix_sort_onesweep_sort_config_static_selectorELNS0_4arch9wavefront6targetE1EEEvSK_.has_dyn_sized_stack, 0
	.set _ZN7rocprim17ROCPRIM_400000_NS6detail17trampoline_kernelINS0_14default_configENS1_35radix_sort_onesweep_config_selectorIbiEEZZNS1_29radix_sort_onesweep_iterationIS3_Lb1EN6thrust23THRUST_200600_302600_NS6detail15normal_iteratorINS8_10device_ptrIbEEEESD_NSA_INSB_IiEEEESF_jNS0_19identity_decomposerENS1_16block_id_wrapperIjLb0EEEEE10hipError_tT1_PNSt15iterator_traitsISK_E10value_typeET2_T3_PNSL_ISQ_E10value_typeET4_T5_PSV_SW_PNS1_23onesweep_lookback_stateEbbT6_jjT7_P12ihipStream_tbENKUlT_T0_SK_SP_E_clIPbSD_PiSF_EEDaS13_S14_SK_SP_EUlS13_E_NS1_11comp_targetILNS1_3genE4ELNS1_11target_archE910ELNS1_3gpuE8ELNS1_3repE0EEENS1_47radix_sort_onesweep_sort_config_static_selectorELNS0_4arch9wavefront6targetE1EEEvSK_.has_recursion, 0
	.set _ZN7rocprim17ROCPRIM_400000_NS6detail17trampoline_kernelINS0_14default_configENS1_35radix_sort_onesweep_config_selectorIbiEEZZNS1_29radix_sort_onesweep_iterationIS3_Lb1EN6thrust23THRUST_200600_302600_NS6detail15normal_iteratorINS8_10device_ptrIbEEEESD_NSA_INSB_IiEEEESF_jNS0_19identity_decomposerENS1_16block_id_wrapperIjLb0EEEEE10hipError_tT1_PNSt15iterator_traitsISK_E10value_typeET2_T3_PNSL_ISQ_E10value_typeET4_T5_PSV_SW_PNS1_23onesweep_lookback_stateEbbT6_jjT7_P12ihipStream_tbENKUlT_T0_SK_SP_E_clIPbSD_PiSF_EEDaS13_S14_SK_SP_EUlS13_E_NS1_11comp_targetILNS1_3genE4ELNS1_11target_archE910ELNS1_3gpuE8ELNS1_3repE0EEENS1_47radix_sort_onesweep_sort_config_static_selectorELNS0_4arch9wavefront6targetE1EEEvSK_.has_indirect_call, 0
	.section	.AMDGPU.csdata,"",@progbits
; Kernel info:
; codeLenInByte = 0
; TotalNumSgprs: 6
; NumVgprs: 0
; NumAgprs: 0
; TotalNumVgprs: 0
; ScratchSize: 0
; MemoryBound: 0
; FloatMode: 240
; IeeeMode: 1
; LDSByteSize: 0 bytes/workgroup (compile time only)
; SGPRBlocks: 0
; VGPRBlocks: 0
; NumSGPRsForWavesPerEU: 6
; NumVGPRsForWavesPerEU: 1
; AccumOffset: 4
; Occupancy: 8
; WaveLimiterHint : 0
; COMPUTE_PGM_RSRC2:SCRATCH_EN: 0
; COMPUTE_PGM_RSRC2:USER_SGPR: 2
; COMPUTE_PGM_RSRC2:TRAP_HANDLER: 0
; COMPUTE_PGM_RSRC2:TGID_X_EN: 1
; COMPUTE_PGM_RSRC2:TGID_Y_EN: 0
; COMPUTE_PGM_RSRC2:TGID_Z_EN: 0
; COMPUTE_PGM_RSRC2:TIDIG_COMP_CNT: 0
; COMPUTE_PGM_RSRC3_GFX90A:ACCUM_OFFSET: 0
; COMPUTE_PGM_RSRC3_GFX90A:TG_SPLIT: 0
	.section	.text._ZN7rocprim17ROCPRIM_400000_NS6detail17trampoline_kernelINS0_14default_configENS1_35radix_sort_onesweep_config_selectorIbiEEZZNS1_29radix_sort_onesweep_iterationIS3_Lb1EN6thrust23THRUST_200600_302600_NS6detail15normal_iteratorINS8_10device_ptrIbEEEESD_NSA_INSB_IiEEEESF_jNS0_19identity_decomposerENS1_16block_id_wrapperIjLb0EEEEE10hipError_tT1_PNSt15iterator_traitsISK_E10value_typeET2_T3_PNSL_ISQ_E10value_typeET4_T5_PSV_SW_PNS1_23onesweep_lookback_stateEbbT6_jjT7_P12ihipStream_tbENKUlT_T0_SK_SP_E_clIPbSD_PiSF_EEDaS13_S14_SK_SP_EUlS13_E_NS1_11comp_targetILNS1_3genE3ELNS1_11target_archE908ELNS1_3gpuE7ELNS1_3repE0EEENS1_47radix_sort_onesweep_sort_config_static_selectorELNS0_4arch9wavefront6targetE1EEEvSK_,"axG",@progbits,_ZN7rocprim17ROCPRIM_400000_NS6detail17trampoline_kernelINS0_14default_configENS1_35radix_sort_onesweep_config_selectorIbiEEZZNS1_29radix_sort_onesweep_iterationIS3_Lb1EN6thrust23THRUST_200600_302600_NS6detail15normal_iteratorINS8_10device_ptrIbEEEESD_NSA_INSB_IiEEEESF_jNS0_19identity_decomposerENS1_16block_id_wrapperIjLb0EEEEE10hipError_tT1_PNSt15iterator_traitsISK_E10value_typeET2_T3_PNSL_ISQ_E10value_typeET4_T5_PSV_SW_PNS1_23onesweep_lookback_stateEbbT6_jjT7_P12ihipStream_tbENKUlT_T0_SK_SP_E_clIPbSD_PiSF_EEDaS13_S14_SK_SP_EUlS13_E_NS1_11comp_targetILNS1_3genE3ELNS1_11target_archE908ELNS1_3gpuE7ELNS1_3repE0EEENS1_47radix_sort_onesweep_sort_config_static_selectorELNS0_4arch9wavefront6targetE1EEEvSK_,comdat
	.protected	_ZN7rocprim17ROCPRIM_400000_NS6detail17trampoline_kernelINS0_14default_configENS1_35radix_sort_onesweep_config_selectorIbiEEZZNS1_29radix_sort_onesweep_iterationIS3_Lb1EN6thrust23THRUST_200600_302600_NS6detail15normal_iteratorINS8_10device_ptrIbEEEESD_NSA_INSB_IiEEEESF_jNS0_19identity_decomposerENS1_16block_id_wrapperIjLb0EEEEE10hipError_tT1_PNSt15iterator_traitsISK_E10value_typeET2_T3_PNSL_ISQ_E10value_typeET4_T5_PSV_SW_PNS1_23onesweep_lookback_stateEbbT6_jjT7_P12ihipStream_tbENKUlT_T0_SK_SP_E_clIPbSD_PiSF_EEDaS13_S14_SK_SP_EUlS13_E_NS1_11comp_targetILNS1_3genE3ELNS1_11target_archE908ELNS1_3gpuE7ELNS1_3repE0EEENS1_47radix_sort_onesweep_sort_config_static_selectorELNS0_4arch9wavefront6targetE1EEEvSK_ ; -- Begin function _ZN7rocprim17ROCPRIM_400000_NS6detail17trampoline_kernelINS0_14default_configENS1_35radix_sort_onesweep_config_selectorIbiEEZZNS1_29radix_sort_onesweep_iterationIS3_Lb1EN6thrust23THRUST_200600_302600_NS6detail15normal_iteratorINS8_10device_ptrIbEEEESD_NSA_INSB_IiEEEESF_jNS0_19identity_decomposerENS1_16block_id_wrapperIjLb0EEEEE10hipError_tT1_PNSt15iterator_traitsISK_E10value_typeET2_T3_PNSL_ISQ_E10value_typeET4_T5_PSV_SW_PNS1_23onesweep_lookback_stateEbbT6_jjT7_P12ihipStream_tbENKUlT_T0_SK_SP_E_clIPbSD_PiSF_EEDaS13_S14_SK_SP_EUlS13_E_NS1_11comp_targetILNS1_3genE3ELNS1_11target_archE908ELNS1_3gpuE7ELNS1_3repE0EEENS1_47radix_sort_onesweep_sort_config_static_selectorELNS0_4arch9wavefront6targetE1EEEvSK_
	.globl	_ZN7rocprim17ROCPRIM_400000_NS6detail17trampoline_kernelINS0_14default_configENS1_35radix_sort_onesweep_config_selectorIbiEEZZNS1_29radix_sort_onesweep_iterationIS3_Lb1EN6thrust23THRUST_200600_302600_NS6detail15normal_iteratorINS8_10device_ptrIbEEEESD_NSA_INSB_IiEEEESF_jNS0_19identity_decomposerENS1_16block_id_wrapperIjLb0EEEEE10hipError_tT1_PNSt15iterator_traitsISK_E10value_typeET2_T3_PNSL_ISQ_E10value_typeET4_T5_PSV_SW_PNS1_23onesweep_lookback_stateEbbT6_jjT7_P12ihipStream_tbENKUlT_T0_SK_SP_E_clIPbSD_PiSF_EEDaS13_S14_SK_SP_EUlS13_E_NS1_11comp_targetILNS1_3genE3ELNS1_11target_archE908ELNS1_3gpuE7ELNS1_3repE0EEENS1_47radix_sort_onesweep_sort_config_static_selectorELNS0_4arch9wavefront6targetE1EEEvSK_
	.p2align	8
	.type	_ZN7rocprim17ROCPRIM_400000_NS6detail17trampoline_kernelINS0_14default_configENS1_35radix_sort_onesweep_config_selectorIbiEEZZNS1_29radix_sort_onesweep_iterationIS3_Lb1EN6thrust23THRUST_200600_302600_NS6detail15normal_iteratorINS8_10device_ptrIbEEEESD_NSA_INSB_IiEEEESF_jNS0_19identity_decomposerENS1_16block_id_wrapperIjLb0EEEEE10hipError_tT1_PNSt15iterator_traitsISK_E10value_typeET2_T3_PNSL_ISQ_E10value_typeET4_T5_PSV_SW_PNS1_23onesweep_lookback_stateEbbT6_jjT7_P12ihipStream_tbENKUlT_T0_SK_SP_E_clIPbSD_PiSF_EEDaS13_S14_SK_SP_EUlS13_E_NS1_11comp_targetILNS1_3genE3ELNS1_11target_archE908ELNS1_3gpuE7ELNS1_3repE0EEENS1_47radix_sort_onesweep_sort_config_static_selectorELNS0_4arch9wavefront6targetE1EEEvSK_,@function
_ZN7rocprim17ROCPRIM_400000_NS6detail17trampoline_kernelINS0_14default_configENS1_35radix_sort_onesweep_config_selectorIbiEEZZNS1_29radix_sort_onesweep_iterationIS3_Lb1EN6thrust23THRUST_200600_302600_NS6detail15normal_iteratorINS8_10device_ptrIbEEEESD_NSA_INSB_IiEEEESF_jNS0_19identity_decomposerENS1_16block_id_wrapperIjLb0EEEEE10hipError_tT1_PNSt15iterator_traitsISK_E10value_typeET2_T3_PNSL_ISQ_E10value_typeET4_T5_PSV_SW_PNS1_23onesweep_lookback_stateEbbT6_jjT7_P12ihipStream_tbENKUlT_T0_SK_SP_E_clIPbSD_PiSF_EEDaS13_S14_SK_SP_EUlS13_E_NS1_11comp_targetILNS1_3genE3ELNS1_11target_archE908ELNS1_3gpuE7ELNS1_3repE0EEENS1_47radix_sort_onesweep_sort_config_static_selectorELNS0_4arch9wavefront6targetE1EEEvSK_: ; @_ZN7rocprim17ROCPRIM_400000_NS6detail17trampoline_kernelINS0_14default_configENS1_35radix_sort_onesweep_config_selectorIbiEEZZNS1_29radix_sort_onesweep_iterationIS3_Lb1EN6thrust23THRUST_200600_302600_NS6detail15normal_iteratorINS8_10device_ptrIbEEEESD_NSA_INSB_IiEEEESF_jNS0_19identity_decomposerENS1_16block_id_wrapperIjLb0EEEEE10hipError_tT1_PNSt15iterator_traitsISK_E10value_typeET2_T3_PNSL_ISQ_E10value_typeET4_T5_PSV_SW_PNS1_23onesweep_lookback_stateEbbT6_jjT7_P12ihipStream_tbENKUlT_T0_SK_SP_E_clIPbSD_PiSF_EEDaS13_S14_SK_SP_EUlS13_E_NS1_11comp_targetILNS1_3genE3ELNS1_11target_archE908ELNS1_3gpuE7ELNS1_3repE0EEENS1_47radix_sort_onesweep_sort_config_static_selectorELNS0_4arch9wavefront6targetE1EEEvSK_
; %bb.0:
	.section	.rodata,"a",@progbits
	.p2align	6, 0x0
	.amdhsa_kernel _ZN7rocprim17ROCPRIM_400000_NS6detail17trampoline_kernelINS0_14default_configENS1_35radix_sort_onesweep_config_selectorIbiEEZZNS1_29radix_sort_onesweep_iterationIS3_Lb1EN6thrust23THRUST_200600_302600_NS6detail15normal_iteratorINS8_10device_ptrIbEEEESD_NSA_INSB_IiEEEESF_jNS0_19identity_decomposerENS1_16block_id_wrapperIjLb0EEEEE10hipError_tT1_PNSt15iterator_traitsISK_E10value_typeET2_T3_PNSL_ISQ_E10value_typeET4_T5_PSV_SW_PNS1_23onesweep_lookback_stateEbbT6_jjT7_P12ihipStream_tbENKUlT_T0_SK_SP_E_clIPbSD_PiSF_EEDaS13_S14_SK_SP_EUlS13_E_NS1_11comp_targetILNS1_3genE3ELNS1_11target_archE908ELNS1_3gpuE7ELNS1_3repE0EEENS1_47radix_sort_onesweep_sort_config_static_selectorELNS0_4arch9wavefront6targetE1EEEvSK_
		.amdhsa_group_segment_fixed_size 0
		.amdhsa_private_segment_fixed_size 0
		.amdhsa_kernarg_size 88
		.amdhsa_user_sgpr_count 2
		.amdhsa_user_sgpr_dispatch_ptr 0
		.amdhsa_user_sgpr_queue_ptr 0
		.amdhsa_user_sgpr_kernarg_segment_ptr 1
		.amdhsa_user_sgpr_dispatch_id 0
		.amdhsa_user_sgpr_kernarg_preload_length 0
		.amdhsa_user_sgpr_kernarg_preload_offset 0
		.amdhsa_user_sgpr_private_segment_size 0
		.amdhsa_uses_dynamic_stack 0
		.amdhsa_enable_private_segment 0
		.amdhsa_system_sgpr_workgroup_id_x 1
		.amdhsa_system_sgpr_workgroup_id_y 0
		.amdhsa_system_sgpr_workgroup_id_z 0
		.amdhsa_system_sgpr_workgroup_info 0
		.amdhsa_system_vgpr_workitem_id 0
		.amdhsa_next_free_vgpr 1
		.amdhsa_next_free_sgpr 0
		.amdhsa_accum_offset 4
		.amdhsa_reserve_vcc 0
		.amdhsa_float_round_mode_32 0
		.amdhsa_float_round_mode_16_64 0
		.amdhsa_float_denorm_mode_32 3
		.amdhsa_float_denorm_mode_16_64 3
		.amdhsa_dx10_clamp 1
		.amdhsa_ieee_mode 1
		.amdhsa_fp16_overflow 0
		.amdhsa_tg_split 0
		.amdhsa_exception_fp_ieee_invalid_op 0
		.amdhsa_exception_fp_denorm_src 0
		.amdhsa_exception_fp_ieee_div_zero 0
		.amdhsa_exception_fp_ieee_overflow 0
		.amdhsa_exception_fp_ieee_underflow 0
		.amdhsa_exception_fp_ieee_inexact 0
		.amdhsa_exception_int_div_zero 0
	.end_amdhsa_kernel
	.section	.text._ZN7rocprim17ROCPRIM_400000_NS6detail17trampoline_kernelINS0_14default_configENS1_35radix_sort_onesweep_config_selectorIbiEEZZNS1_29radix_sort_onesweep_iterationIS3_Lb1EN6thrust23THRUST_200600_302600_NS6detail15normal_iteratorINS8_10device_ptrIbEEEESD_NSA_INSB_IiEEEESF_jNS0_19identity_decomposerENS1_16block_id_wrapperIjLb0EEEEE10hipError_tT1_PNSt15iterator_traitsISK_E10value_typeET2_T3_PNSL_ISQ_E10value_typeET4_T5_PSV_SW_PNS1_23onesweep_lookback_stateEbbT6_jjT7_P12ihipStream_tbENKUlT_T0_SK_SP_E_clIPbSD_PiSF_EEDaS13_S14_SK_SP_EUlS13_E_NS1_11comp_targetILNS1_3genE3ELNS1_11target_archE908ELNS1_3gpuE7ELNS1_3repE0EEENS1_47radix_sort_onesweep_sort_config_static_selectorELNS0_4arch9wavefront6targetE1EEEvSK_,"axG",@progbits,_ZN7rocprim17ROCPRIM_400000_NS6detail17trampoline_kernelINS0_14default_configENS1_35radix_sort_onesweep_config_selectorIbiEEZZNS1_29radix_sort_onesweep_iterationIS3_Lb1EN6thrust23THRUST_200600_302600_NS6detail15normal_iteratorINS8_10device_ptrIbEEEESD_NSA_INSB_IiEEEESF_jNS0_19identity_decomposerENS1_16block_id_wrapperIjLb0EEEEE10hipError_tT1_PNSt15iterator_traitsISK_E10value_typeET2_T3_PNSL_ISQ_E10value_typeET4_T5_PSV_SW_PNS1_23onesweep_lookback_stateEbbT6_jjT7_P12ihipStream_tbENKUlT_T0_SK_SP_E_clIPbSD_PiSF_EEDaS13_S14_SK_SP_EUlS13_E_NS1_11comp_targetILNS1_3genE3ELNS1_11target_archE908ELNS1_3gpuE7ELNS1_3repE0EEENS1_47radix_sort_onesweep_sort_config_static_selectorELNS0_4arch9wavefront6targetE1EEEvSK_,comdat
.Lfunc_end2268:
	.size	_ZN7rocprim17ROCPRIM_400000_NS6detail17trampoline_kernelINS0_14default_configENS1_35radix_sort_onesweep_config_selectorIbiEEZZNS1_29radix_sort_onesweep_iterationIS3_Lb1EN6thrust23THRUST_200600_302600_NS6detail15normal_iteratorINS8_10device_ptrIbEEEESD_NSA_INSB_IiEEEESF_jNS0_19identity_decomposerENS1_16block_id_wrapperIjLb0EEEEE10hipError_tT1_PNSt15iterator_traitsISK_E10value_typeET2_T3_PNSL_ISQ_E10value_typeET4_T5_PSV_SW_PNS1_23onesweep_lookback_stateEbbT6_jjT7_P12ihipStream_tbENKUlT_T0_SK_SP_E_clIPbSD_PiSF_EEDaS13_S14_SK_SP_EUlS13_E_NS1_11comp_targetILNS1_3genE3ELNS1_11target_archE908ELNS1_3gpuE7ELNS1_3repE0EEENS1_47radix_sort_onesweep_sort_config_static_selectorELNS0_4arch9wavefront6targetE1EEEvSK_, .Lfunc_end2268-_ZN7rocprim17ROCPRIM_400000_NS6detail17trampoline_kernelINS0_14default_configENS1_35radix_sort_onesweep_config_selectorIbiEEZZNS1_29radix_sort_onesweep_iterationIS3_Lb1EN6thrust23THRUST_200600_302600_NS6detail15normal_iteratorINS8_10device_ptrIbEEEESD_NSA_INSB_IiEEEESF_jNS0_19identity_decomposerENS1_16block_id_wrapperIjLb0EEEEE10hipError_tT1_PNSt15iterator_traitsISK_E10value_typeET2_T3_PNSL_ISQ_E10value_typeET4_T5_PSV_SW_PNS1_23onesweep_lookback_stateEbbT6_jjT7_P12ihipStream_tbENKUlT_T0_SK_SP_E_clIPbSD_PiSF_EEDaS13_S14_SK_SP_EUlS13_E_NS1_11comp_targetILNS1_3genE3ELNS1_11target_archE908ELNS1_3gpuE7ELNS1_3repE0EEENS1_47radix_sort_onesweep_sort_config_static_selectorELNS0_4arch9wavefront6targetE1EEEvSK_
                                        ; -- End function
	.set _ZN7rocprim17ROCPRIM_400000_NS6detail17trampoline_kernelINS0_14default_configENS1_35radix_sort_onesweep_config_selectorIbiEEZZNS1_29radix_sort_onesweep_iterationIS3_Lb1EN6thrust23THRUST_200600_302600_NS6detail15normal_iteratorINS8_10device_ptrIbEEEESD_NSA_INSB_IiEEEESF_jNS0_19identity_decomposerENS1_16block_id_wrapperIjLb0EEEEE10hipError_tT1_PNSt15iterator_traitsISK_E10value_typeET2_T3_PNSL_ISQ_E10value_typeET4_T5_PSV_SW_PNS1_23onesweep_lookback_stateEbbT6_jjT7_P12ihipStream_tbENKUlT_T0_SK_SP_E_clIPbSD_PiSF_EEDaS13_S14_SK_SP_EUlS13_E_NS1_11comp_targetILNS1_3genE3ELNS1_11target_archE908ELNS1_3gpuE7ELNS1_3repE0EEENS1_47radix_sort_onesweep_sort_config_static_selectorELNS0_4arch9wavefront6targetE1EEEvSK_.num_vgpr, 0
	.set _ZN7rocprim17ROCPRIM_400000_NS6detail17trampoline_kernelINS0_14default_configENS1_35radix_sort_onesweep_config_selectorIbiEEZZNS1_29radix_sort_onesweep_iterationIS3_Lb1EN6thrust23THRUST_200600_302600_NS6detail15normal_iteratorINS8_10device_ptrIbEEEESD_NSA_INSB_IiEEEESF_jNS0_19identity_decomposerENS1_16block_id_wrapperIjLb0EEEEE10hipError_tT1_PNSt15iterator_traitsISK_E10value_typeET2_T3_PNSL_ISQ_E10value_typeET4_T5_PSV_SW_PNS1_23onesweep_lookback_stateEbbT6_jjT7_P12ihipStream_tbENKUlT_T0_SK_SP_E_clIPbSD_PiSF_EEDaS13_S14_SK_SP_EUlS13_E_NS1_11comp_targetILNS1_3genE3ELNS1_11target_archE908ELNS1_3gpuE7ELNS1_3repE0EEENS1_47radix_sort_onesweep_sort_config_static_selectorELNS0_4arch9wavefront6targetE1EEEvSK_.num_agpr, 0
	.set _ZN7rocprim17ROCPRIM_400000_NS6detail17trampoline_kernelINS0_14default_configENS1_35radix_sort_onesweep_config_selectorIbiEEZZNS1_29radix_sort_onesweep_iterationIS3_Lb1EN6thrust23THRUST_200600_302600_NS6detail15normal_iteratorINS8_10device_ptrIbEEEESD_NSA_INSB_IiEEEESF_jNS0_19identity_decomposerENS1_16block_id_wrapperIjLb0EEEEE10hipError_tT1_PNSt15iterator_traitsISK_E10value_typeET2_T3_PNSL_ISQ_E10value_typeET4_T5_PSV_SW_PNS1_23onesweep_lookback_stateEbbT6_jjT7_P12ihipStream_tbENKUlT_T0_SK_SP_E_clIPbSD_PiSF_EEDaS13_S14_SK_SP_EUlS13_E_NS1_11comp_targetILNS1_3genE3ELNS1_11target_archE908ELNS1_3gpuE7ELNS1_3repE0EEENS1_47radix_sort_onesweep_sort_config_static_selectorELNS0_4arch9wavefront6targetE1EEEvSK_.numbered_sgpr, 0
	.set _ZN7rocprim17ROCPRIM_400000_NS6detail17trampoline_kernelINS0_14default_configENS1_35radix_sort_onesweep_config_selectorIbiEEZZNS1_29radix_sort_onesweep_iterationIS3_Lb1EN6thrust23THRUST_200600_302600_NS6detail15normal_iteratorINS8_10device_ptrIbEEEESD_NSA_INSB_IiEEEESF_jNS0_19identity_decomposerENS1_16block_id_wrapperIjLb0EEEEE10hipError_tT1_PNSt15iterator_traitsISK_E10value_typeET2_T3_PNSL_ISQ_E10value_typeET4_T5_PSV_SW_PNS1_23onesweep_lookback_stateEbbT6_jjT7_P12ihipStream_tbENKUlT_T0_SK_SP_E_clIPbSD_PiSF_EEDaS13_S14_SK_SP_EUlS13_E_NS1_11comp_targetILNS1_3genE3ELNS1_11target_archE908ELNS1_3gpuE7ELNS1_3repE0EEENS1_47radix_sort_onesweep_sort_config_static_selectorELNS0_4arch9wavefront6targetE1EEEvSK_.num_named_barrier, 0
	.set _ZN7rocprim17ROCPRIM_400000_NS6detail17trampoline_kernelINS0_14default_configENS1_35radix_sort_onesweep_config_selectorIbiEEZZNS1_29radix_sort_onesweep_iterationIS3_Lb1EN6thrust23THRUST_200600_302600_NS6detail15normal_iteratorINS8_10device_ptrIbEEEESD_NSA_INSB_IiEEEESF_jNS0_19identity_decomposerENS1_16block_id_wrapperIjLb0EEEEE10hipError_tT1_PNSt15iterator_traitsISK_E10value_typeET2_T3_PNSL_ISQ_E10value_typeET4_T5_PSV_SW_PNS1_23onesweep_lookback_stateEbbT6_jjT7_P12ihipStream_tbENKUlT_T0_SK_SP_E_clIPbSD_PiSF_EEDaS13_S14_SK_SP_EUlS13_E_NS1_11comp_targetILNS1_3genE3ELNS1_11target_archE908ELNS1_3gpuE7ELNS1_3repE0EEENS1_47radix_sort_onesweep_sort_config_static_selectorELNS0_4arch9wavefront6targetE1EEEvSK_.private_seg_size, 0
	.set _ZN7rocprim17ROCPRIM_400000_NS6detail17trampoline_kernelINS0_14default_configENS1_35radix_sort_onesweep_config_selectorIbiEEZZNS1_29radix_sort_onesweep_iterationIS3_Lb1EN6thrust23THRUST_200600_302600_NS6detail15normal_iteratorINS8_10device_ptrIbEEEESD_NSA_INSB_IiEEEESF_jNS0_19identity_decomposerENS1_16block_id_wrapperIjLb0EEEEE10hipError_tT1_PNSt15iterator_traitsISK_E10value_typeET2_T3_PNSL_ISQ_E10value_typeET4_T5_PSV_SW_PNS1_23onesweep_lookback_stateEbbT6_jjT7_P12ihipStream_tbENKUlT_T0_SK_SP_E_clIPbSD_PiSF_EEDaS13_S14_SK_SP_EUlS13_E_NS1_11comp_targetILNS1_3genE3ELNS1_11target_archE908ELNS1_3gpuE7ELNS1_3repE0EEENS1_47radix_sort_onesweep_sort_config_static_selectorELNS0_4arch9wavefront6targetE1EEEvSK_.uses_vcc, 0
	.set _ZN7rocprim17ROCPRIM_400000_NS6detail17trampoline_kernelINS0_14default_configENS1_35radix_sort_onesweep_config_selectorIbiEEZZNS1_29radix_sort_onesweep_iterationIS3_Lb1EN6thrust23THRUST_200600_302600_NS6detail15normal_iteratorINS8_10device_ptrIbEEEESD_NSA_INSB_IiEEEESF_jNS0_19identity_decomposerENS1_16block_id_wrapperIjLb0EEEEE10hipError_tT1_PNSt15iterator_traitsISK_E10value_typeET2_T3_PNSL_ISQ_E10value_typeET4_T5_PSV_SW_PNS1_23onesweep_lookback_stateEbbT6_jjT7_P12ihipStream_tbENKUlT_T0_SK_SP_E_clIPbSD_PiSF_EEDaS13_S14_SK_SP_EUlS13_E_NS1_11comp_targetILNS1_3genE3ELNS1_11target_archE908ELNS1_3gpuE7ELNS1_3repE0EEENS1_47radix_sort_onesweep_sort_config_static_selectorELNS0_4arch9wavefront6targetE1EEEvSK_.uses_flat_scratch, 0
	.set _ZN7rocprim17ROCPRIM_400000_NS6detail17trampoline_kernelINS0_14default_configENS1_35radix_sort_onesweep_config_selectorIbiEEZZNS1_29radix_sort_onesweep_iterationIS3_Lb1EN6thrust23THRUST_200600_302600_NS6detail15normal_iteratorINS8_10device_ptrIbEEEESD_NSA_INSB_IiEEEESF_jNS0_19identity_decomposerENS1_16block_id_wrapperIjLb0EEEEE10hipError_tT1_PNSt15iterator_traitsISK_E10value_typeET2_T3_PNSL_ISQ_E10value_typeET4_T5_PSV_SW_PNS1_23onesweep_lookback_stateEbbT6_jjT7_P12ihipStream_tbENKUlT_T0_SK_SP_E_clIPbSD_PiSF_EEDaS13_S14_SK_SP_EUlS13_E_NS1_11comp_targetILNS1_3genE3ELNS1_11target_archE908ELNS1_3gpuE7ELNS1_3repE0EEENS1_47radix_sort_onesweep_sort_config_static_selectorELNS0_4arch9wavefront6targetE1EEEvSK_.has_dyn_sized_stack, 0
	.set _ZN7rocprim17ROCPRIM_400000_NS6detail17trampoline_kernelINS0_14default_configENS1_35radix_sort_onesweep_config_selectorIbiEEZZNS1_29radix_sort_onesweep_iterationIS3_Lb1EN6thrust23THRUST_200600_302600_NS6detail15normal_iteratorINS8_10device_ptrIbEEEESD_NSA_INSB_IiEEEESF_jNS0_19identity_decomposerENS1_16block_id_wrapperIjLb0EEEEE10hipError_tT1_PNSt15iterator_traitsISK_E10value_typeET2_T3_PNSL_ISQ_E10value_typeET4_T5_PSV_SW_PNS1_23onesweep_lookback_stateEbbT6_jjT7_P12ihipStream_tbENKUlT_T0_SK_SP_E_clIPbSD_PiSF_EEDaS13_S14_SK_SP_EUlS13_E_NS1_11comp_targetILNS1_3genE3ELNS1_11target_archE908ELNS1_3gpuE7ELNS1_3repE0EEENS1_47radix_sort_onesweep_sort_config_static_selectorELNS0_4arch9wavefront6targetE1EEEvSK_.has_recursion, 0
	.set _ZN7rocprim17ROCPRIM_400000_NS6detail17trampoline_kernelINS0_14default_configENS1_35radix_sort_onesweep_config_selectorIbiEEZZNS1_29radix_sort_onesweep_iterationIS3_Lb1EN6thrust23THRUST_200600_302600_NS6detail15normal_iteratorINS8_10device_ptrIbEEEESD_NSA_INSB_IiEEEESF_jNS0_19identity_decomposerENS1_16block_id_wrapperIjLb0EEEEE10hipError_tT1_PNSt15iterator_traitsISK_E10value_typeET2_T3_PNSL_ISQ_E10value_typeET4_T5_PSV_SW_PNS1_23onesweep_lookback_stateEbbT6_jjT7_P12ihipStream_tbENKUlT_T0_SK_SP_E_clIPbSD_PiSF_EEDaS13_S14_SK_SP_EUlS13_E_NS1_11comp_targetILNS1_3genE3ELNS1_11target_archE908ELNS1_3gpuE7ELNS1_3repE0EEENS1_47radix_sort_onesweep_sort_config_static_selectorELNS0_4arch9wavefront6targetE1EEEvSK_.has_indirect_call, 0
	.section	.AMDGPU.csdata,"",@progbits
; Kernel info:
; codeLenInByte = 0
; TotalNumSgprs: 6
; NumVgprs: 0
; NumAgprs: 0
; TotalNumVgprs: 0
; ScratchSize: 0
; MemoryBound: 0
; FloatMode: 240
; IeeeMode: 1
; LDSByteSize: 0 bytes/workgroup (compile time only)
; SGPRBlocks: 0
; VGPRBlocks: 0
; NumSGPRsForWavesPerEU: 6
; NumVGPRsForWavesPerEU: 1
; AccumOffset: 4
; Occupancy: 8
; WaveLimiterHint : 0
; COMPUTE_PGM_RSRC2:SCRATCH_EN: 0
; COMPUTE_PGM_RSRC2:USER_SGPR: 2
; COMPUTE_PGM_RSRC2:TRAP_HANDLER: 0
; COMPUTE_PGM_RSRC2:TGID_X_EN: 1
; COMPUTE_PGM_RSRC2:TGID_Y_EN: 0
; COMPUTE_PGM_RSRC2:TGID_Z_EN: 0
; COMPUTE_PGM_RSRC2:TIDIG_COMP_CNT: 0
; COMPUTE_PGM_RSRC3_GFX90A:ACCUM_OFFSET: 0
; COMPUTE_PGM_RSRC3_GFX90A:TG_SPLIT: 0
	.section	.text._ZN7rocprim17ROCPRIM_400000_NS6detail17trampoline_kernelINS0_14default_configENS1_35radix_sort_onesweep_config_selectorIbiEEZZNS1_29radix_sort_onesweep_iterationIS3_Lb1EN6thrust23THRUST_200600_302600_NS6detail15normal_iteratorINS8_10device_ptrIbEEEESD_NSA_INSB_IiEEEESF_jNS0_19identity_decomposerENS1_16block_id_wrapperIjLb0EEEEE10hipError_tT1_PNSt15iterator_traitsISK_E10value_typeET2_T3_PNSL_ISQ_E10value_typeET4_T5_PSV_SW_PNS1_23onesweep_lookback_stateEbbT6_jjT7_P12ihipStream_tbENKUlT_T0_SK_SP_E_clIPbSD_PiSF_EEDaS13_S14_SK_SP_EUlS13_E_NS1_11comp_targetILNS1_3genE10ELNS1_11target_archE1201ELNS1_3gpuE5ELNS1_3repE0EEENS1_47radix_sort_onesweep_sort_config_static_selectorELNS0_4arch9wavefront6targetE1EEEvSK_,"axG",@progbits,_ZN7rocprim17ROCPRIM_400000_NS6detail17trampoline_kernelINS0_14default_configENS1_35radix_sort_onesweep_config_selectorIbiEEZZNS1_29radix_sort_onesweep_iterationIS3_Lb1EN6thrust23THRUST_200600_302600_NS6detail15normal_iteratorINS8_10device_ptrIbEEEESD_NSA_INSB_IiEEEESF_jNS0_19identity_decomposerENS1_16block_id_wrapperIjLb0EEEEE10hipError_tT1_PNSt15iterator_traitsISK_E10value_typeET2_T3_PNSL_ISQ_E10value_typeET4_T5_PSV_SW_PNS1_23onesweep_lookback_stateEbbT6_jjT7_P12ihipStream_tbENKUlT_T0_SK_SP_E_clIPbSD_PiSF_EEDaS13_S14_SK_SP_EUlS13_E_NS1_11comp_targetILNS1_3genE10ELNS1_11target_archE1201ELNS1_3gpuE5ELNS1_3repE0EEENS1_47radix_sort_onesweep_sort_config_static_selectorELNS0_4arch9wavefront6targetE1EEEvSK_,comdat
	.protected	_ZN7rocprim17ROCPRIM_400000_NS6detail17trampoline_kernelINS0_14default_configENS1_35radix_sort_onesweep_config_selectorIbiEEZZNS1_29radix_sort_onesweep_iterationIS3_Lb1EN6thrust23THRUST_200600_302600_NS6detail15normal_iteratorINS8_10device_ptrIbEEEESD_NSA_INSB_IiEEEESF_jNS0_19identity_decomposerENS1_16block_id_wrapperIjLb0EEEEE10hipError_tT1_PNSt15iterator_traitsISK_E10value_typeET2_T3_PNSL_ISQ_E10value_typeET4_T5_PSV_SW_PNS1_23onesweep_lookback_stateEbbT6_jjT7_P12ihipStream_tbENKUlT_T0_SK_SP_E_clIPbSD_PiSF_EEDaS13_S14_SK_SP_EUlS13_E_NS1_11comp_targetILNS1_3genE10ELNS1_11target_archE1201ELNS1_3gpuE5ELNS1_3repE0EEENS1_47radix_sort_onesweep_sort_config_static_selectorELNS0_4arch9wavefront6targetE1EEEvSK_ ; -- Begin function _ZN7rocprim17ROCPRIM_400000_NS6detail17trampoline_kernelINS0_14default_configENS1_35radix_sort_onesweep_config_selectorIbiEEZZNS1_29radix_sort_onesweep_iterationIS3_Lb1EN6thrust23THRUST_200600_302600_NS6detail15normal_iteratorINS8_10device_ptrIbEEEESD_NSA_INSB_IiEEEESF_jNS0_19identity_decomposerENS1_16block_id_wrapperIjLb0EEEEE10hipError_tT1_PNSt15iterator_traitsISK_E10value_typeET2_T3_PNSL_ISQ_E10value_typeET4_T5_PSV_SW_PNS1_23onesweep_lookback_stateEbbT6_jjT7_P12ihipStream_tbENKUlT_T0_SK_SP_E_clIPbSD_PiSF_EEDaS13_S14_SK_SP_EUlS13_E_NS1_11comp_targetILNS1_3genE10ELNS1_11target_archE1201ELNS1_3gpuE5ELNS1_3repE0EEENS1_47radix_sort_onesweep_sort_config_static_selectorELNS0_4arch9wavefront6targetE1EEEvSK_
	.globl	_ZN7rocprim17ROCPRIM_400000_NS6detail17trampoline_kernelINS0_14default_configENS1_35radix_sort_onesweep_config_selectorIbiEEZZNS1_29radix_sort_onesweep_iterationIS3_Lb1EN6thrust23THRUST_200600_302600_NS6detail15normal_iteratorINS8_10device_ptrIbEEEESD_NSA_INSB_IiEEEESF_jNS0_19identity_decomposerENS1_16block_id_wrapperIjLb0EEEEE10hipError_tT1_PNSt15iterator_traitsISK_E10value_typeET2_T3_PNSL_ISQ_E10value_typeET4_T5_PSV_SW_PNS1_23onesweep_lookback_stateEbbT6_jjT7_P12ihipStream_tbENKUlT_T0_SK_SP_E_clIPbSD_PiSF_EEDaS13_S14_SK_SP_EUlS13_E_NS1_11comp_targetILNS1_3genE10ELNS1_11target_archE1201ELNS1_3gpuE5ELNS1_3repE0EEENS1_47radix_sort_onesweep_sort_config_static_selectorELNS0_4arch9wavefront6targetE1EEEvSK_
	.p2align	8
	.type	_ZN7rocprim17ROCPRIM_400000_NS6detail17trampoline_kernelINS0_14default_configENS1_35radix_sort_onesweep_config_selectorIbiEEZZNS1_29radix_sort_onesweep_iterationIS3_Lb1EN6thrust23THRUST_200600_302600_NS6detail15normal_iteratorINS8_10device_ptrIbEEEESD_NSA_INSB_IiEEEESF_jNS0_19identity_decomposerENS1_16block_id_wrapperIjLb0EEEEE10hipError_tT1_PNSt15iterator_traitsISK_E10value_typeET2_T3_PNSL_ISQ_E10value_typeET4_T5_PSV_SW_PNS1_23onesweep_lookback_stateEbbT6_jjT7_P12ihipStream_tbENKUlT_T0_SK_SP_E_clIPbSD_PiSF_EEDaS13_S14_SK_SP_EUlS13_E_NS1_11comp_targetILNS1_3genE10ELNS1_11target_archE1201ELNS1_3gpuE5ELNS1_3repE0EEENS1_47radix_sort_onesweep_sort_config_static_selectorELNS0_4arch9wavefront6targetE1EEEvSK_,@function
_ZN7rocprim17ROCPRIM_400000_NS6detail17trampoline_kernelINS0_14default_configENS1_35radix_sort_onesweep_config_selectorIbiEEZZNS1_29radix_sort_onesweep_iterationIS3_Lb1EN6thrust23THRUST_200600_302600_NS6detail15normal_iteratorINS8_10device_ptrIbEEEESD_NSA_INSB_IiEEEESF_jNS0_19identity_decomposerENS1_16block_id_wrapperIjLb0EEEEE10hipError_tT1_PNSt15iterator_traitsISK_E10value_typeET2_T3_PNSL_ISQ_E10value_typeET4_T5_PSV_SW_PNS1_23onesweep_lookback_stateEbbT6_jjT7_P12ihipStream_tbENKUlT_T0_SK_SP_E_clIPbSD_PiSF_EEDaS13_S14_SK_SP_EUlS13_E_NS1_11comp_targetILNS1_3genE10ELNS1_11target_archE1201ELNS1_3gpuE5ELNS1_3repE0EEENS1_47radix_sort_onesweep_sort_config_static_selectorELNS0_4arch9wavefront6targetE1EEEvSK_: ; @_ZN7rocprim17ROCPRIM_400000_NS6detail17trampoline_kernelINS0_14default_configENS1_35radix_sort_onesweep_config_selectorIbiEEZZNS1_29radix_sort_onesweep_iterationIS3_Lb1EN6thrust23THRUST_200600_302600_NS6detail15normal_iteratorINS8_10device_ptrIbEEEESD_NSA_INSB_IiEEEESF_jNS0_19identity_decomposerENS1_16block_id_wrapperIjLb0EEEEE10hipError_tT1_PNSt15iterator_traitsISK_E10value_typeET2_T3_PNSL_ISQ_E10value_typeET4_T5_PSV_SW_PNS1_23onesweep_lookback_stateEbbT6_jjT7_P12ihipStream_tbENKUlT_T0_SK_SP_E_clIPbSD_PiSF_EEDaS13_S14_SK_SP_EUlS13_E_NS1_11comp_targetILNS1_3genE10ELNS1_11target_archE1201ELNS1_3gpuE5ELNS1_3repE0EEENS1_47radix_sort_onesweep_sort_config_static_selectorELNS0_4arch9wavefront6targetE1EEEvSK_
; %bb.0:
	.section	.rodata,"a",@progbits
	.p2align	6, 0x0
	.amdhsa_kernel _ZN7rocprim17ROCPRIM_400000_NS6detail17trampoline_kernelINS0_14default_configENS1_35radix_sort_onesweep_config_selectorIbiEEZZNS1_29radix_sort_onesweep_iterationIS3_Lb1EN6thrust23THRUST_200600_302600_NS6detail15normal_iteratorINS8_10device_ptrIbEEEESD_NSA_INSB_IiEEEESF_jNS0_19identity_decomposerENS1_16block_id_wrapperIjLb0EEEEE10hipError_tT1_PNSt15iterator_traitsISK_E10value_typeET2_T3_PNSL_ISQ_E10value_typeET4_T5_PSV_SW_PNS1_23onesweep_lookback_stateEbbT6_jjT7_P12ihipStream_tbENKUlT_T0_SK_SP_E_clIPbSD_PiSF_EEDaS13_S14_SK_SP_EUlS13_E_NS1_11comp_targetILNS1_3genE10ELNS1_11target_archE1201ELNS1_3gpuE5ELNS1_3repE0EEENS1_47radix_sort_onesweep_sort_config_static_selectorELNS0_4arch9wavefront6targetE1EEEvSK_
		.amdhsa_group_segment_fixed_size 0
		.amdhsa_private_segment_fixed_size 0
		.amdhsa_kernarg_size 88
		.amdhsa_user_sgpr_count 2
		.amdhsa_user_sgpr_dispatch_ptr 0
		.amdhsa_user_sgpr_queue_ptr 0
		.amdhsa_user_sgpr_kernarg_segment_ptr 1
		.amdhsa_user_sgpr_dispatch_id 0
		.amdhsa_user_sgpr_kernarg_preload_length 0
		.amdhsa_user_sgpr_kernarg_preload_offset 0
		.amdhsa_user_sgpr_private_segment_size 0
		.amdhsa_uses_dynamic_stack 0
		.amdhsa_enable_private_segment 0
		.amdhsa_system_sgpr_workgroup_id_x 1
		.amdhsa_system_sgpr_workgroup_id_y 0
		.amdhsa_system_sgpr_workgroup_id_z 0
		.amdhsa_system_sgpr_workgroup_info 0
		.amdhsa_system_vgpr_workitem_id 0
		.amdhsa_next_free_vgpr 1
		.amdhsa_next_free_sgpr 0
		.amdhsa_accum_offset 4
		.amdhsa_reserve_vcc 0
		.amdhsa_float_round_mode_32 0
		.amdhsa_float_round_mode_16_64 0
		.amdhsa_float_denorm_mode_32 3
		.amdhsa_float_denorm_mode_16_64 3
		.amdhsa_dx10_clamp 1
		.amdhsa_ieee_mode 1
		.amdhsa_fp16_overflow 0
		.amdhsa_tg_split 0
		.amdhsa_exception_fp_ieee_invalid_op 0
		.amdhsa_exception_fp_denorm_src 0
		.amdhsa_exception_fp_ieee_div_zero 0
		.amdhsa_exception_fp_ieee_overflow 0
		.amdhsa_exception_fp_ieee_underflow 0
		.amdhsa_exception_fp_ieee_inexact 0
		.amdhsa_exception_int_div_zero 0
	.end_amdhsa_kernel
	.section	.text._ZN7rocprim17ROCPRIM_400000_NS6detail17trampoline_kernelINS0_14default_configENS1_35radix_sort_onesweep_config_selectorIbiEEZZNS1_29radix_sort_onesweep_iterationIS3_Lb1EN6thrust23THRUST_200600_302600_NS6detail15normal_iteratorINS8_10device_ptrIbEEEESD_NSA_INSB_IiEEEESF_jNS0_19identity_decomposerENS1_16block_id_wrapperIjLb0EEEEE10hipError_tT1_PNSt15iterator_traitsISK_E10value_typeET2_T3_PNSL_ISQ_E10value_typeET4_T5_PSV_SW_PNS1_23onesweep_lookback_stateEbbT6_jjT7_P12ihipStream_tbENKUlT_T0_SK_SP_E_clIPbSD_PiSF_EEDaS13_S14_SK_SP_EUlS13_E_NS1_11comp_targetILNS1_3genE10ELNS1_11target_archE1201ELNS1_3gpuE5ELNS1_3repE0EEENS1_47radix_sort_onesweep_sort_config_static_selectorELNS0_4arch9wavefront6targetE1EEEvSK_,"axG",@progbits,_ZN7rocprim17ROCPRIM_400000_NS6detail17trampoline_kernelINS0_14default_configENS1_35radix_sort_onesweep_config_selectorIbiEEZZNS1_29radix_sort_onesweep_iterationIS3_Lb1EN6thrust23THRUST_200600_302600_NS6detail15normal_iteratorINS8_10device_ptrIbEEEESD_NSA_INSB_IiEEEESF_jNS0_19identity_decomposerENS1_16block_id_wrapperIjLb0EEEEE10hipError_tT1_PNSt15iterator_traitsISK_E10value_typeET2_T3_PNSL_ISQ_E10value_typeET4_T5_PSV_SW_PNS1_23onesweep_lookback_stateEbbT6_jjT7_P12ihipStream_tbENKUlT_T0_SK_SP_E_clIPbSD_PiSF_EEDaS13_S14_SK_SP_EUlS13_E_NS1_11comp_targetILNS1_3genE10ELNS1_11target_archE1201ELNS1_3gpuE5ELNS1_3repE0EEENS1_47radix_sort_onesweep_sort_config_static_selectorELNS0_4arch9wavefront6targetE1EEEvSK_,comdat
.Lfunc_end2269:
	.size	_ZN7rocprim17ROCPRIM_400000_NS6detail17trampoline_kernelINS0_14default_configENS1_35radix_sort_onesweep_config_selectorIbiEEZZNS1_29radix_sort_onesweep_iterationIS3_Lb1EN6thrust23THRUST_200600_302600_NS6detail15normal_iteratorINS8_10device_ptrIbEEEESD_NSA_INSB_IiEEEESF_jNS0_19identity_decomposerENS1_16block_id_wrapperIjLb0EEEEE10hipError_tT1_PNSt15iterator_traitsISK_E10value_typeET2_T3_PNSL_ISQ_E10value_typeET4_T5_PSV_SW_PNS1_23onesweep_lookback_stateEbbT6_jjT7_P12ihipStream_tbENKUlT_T0_SK_SP_E_clIPbSD_PiSF_EEDaS13_S14_SK_SP_EUlS13_E_NS1_11comp_targetILNS1_3genE10ELNS1_11target_archE1201ELNS1_3gpuE5ELNS1_3repE0EEENS1_47radix_sort_onesweep_sort_config_static_selectorELNS0_4arch9wavefront6targetE1EEEvSK_, .Lfunc_end2269-_ZN7rocprim17ROCPRIM_400000_NS6detail17trampoline_kernelINS0_14default_configENS1_35radix_sort_onesweep_config_selectorIbiEEZZNS1_29radix_sort_onesweep_iterationIS3_Lb1EN6thrust23THRUST_200600_302600_NS6detail15normal_iteratorINS8_10device_ptrIbEEEESD_NSA_INSB_IiEEEESF_jNS0_19identity_decomposerENS1_16block_id_wrapperIjLb0EEEEE10hipError_tT1_PNSt15iterator_traitsISK_E10value_typeET2_T3_PNSL_ISQ_E10value_typeET4_T5_PSV_SW_PNS1_23onesweep_lookback_stateEbbT6_jjT7_P12ihipStream_tbENKUlT_T0_SK_SP_E_clIPbSD_PiSF_EEDaS13_S14_SK_SP_EUlS13_E_NS1_11comp_targetILNS1_3genE10ELNS1_11target_archE1201ELNS1_3gpuE5ELNS1_3repE0EEENS1_47radix_sort_onesweep_sort_config_static_selectorELNS0_4arch9wavefront6targetE1EEEvSK_
                                        ; -- End function
	.set _ZN7rocprim17ROCPRIM_400000_NS6detail17trampoline_kernelINS0_14default_configENS1_35radix_sort_onesweep_config_selectorIbiEEZZNS1_29radix_sort_onesweep_iterationIS3_Lb1EN6thrust23THRUST_200600_302600_NS6detail15normal_iteratorINS8_10device_ptrIbEEEESD_NSA_INSB_IiEEEESF_jNS0_19identity_decomposerENS1_16block_id_wrapperIjLb0EEEEE10hipError_tT1_PNSt15iterator_traitsISK_E10value_typeET2_T3_PNSL_ISQ_E10value_typeET4_T5_PSV_SW_PNS1_23onesweep_lookback_stateEbbT6_jjT7_P12ihipStream_tbENKUlT_T0_SK_SP_E_clIPbSD_PiSF_EEDaS13_S14_SK_SP_EUlS13_E_NS1_11comp_targetILNS1_3genE10ELNS1_11target_archE1201ELNS1_3gpuE5ELNS1_3repE0EEENS1_47radix_sort_onesweep_sort_config_static_selectorELNS0_4arch9wavefront6targetE1EEEvSK_.num_vgpr, 0
	.set _ZN7rocprim17ROCPRIM_400000_NS6detail17trampoline_kernelINS0_14default_configENS1_35radix_sort_onesweep_config_selectorIbiEEZZNS1_29radix_sort_onesweep_iterationIS3_Lb1EN6thrust23THRUST_200600_302600_NS6detail15normal_iteratorINS8_10device_ptrIbEEEESD_NSA_INSB_IiEEEESF_jNS0_19identity_decomposerENS1_16block_id_wrapperIjLb0EEEEE10hipError_tT1_PNSt15iterator_traitsISK_E10value_typeET2_T3_PNSL_ISQ_E10value_typeET4_T5_PSV_SW_PNS1_23onesweep_lookback_stateEbbT6_jjT7_P12ihipStream_tbENKUlT_T0_SK_SP_E_clIPbSD_PiSF_EEDaS13_S14_SK_SP_EUlS13_E_NS1_11comp_targetILNS1_3genE10ELNS1_11target_archE1201ELNS1_3gpuE5ELNS1_3repE0EEENS1_47radix_sort_onesweep_sort_config_static_selectorELNS0_4arch9wavefront6targetE1EEEvSK_.num_agpr, 0
	.set _ZN7rocprim17ROCPRIM_400000_NS6detail17trampoline_kernelINS0_14default_configENS1_35radix_sort_onesweep_config_selectorIbiEEZZNS1_29radix_sort_onesweep_iterationIS3_Lb1EN6thrust23THRUST_200600_302600_NS6detail15normal_iteratorINS8_10device_ptrIbEEEESD_NSA_INSB_IiEEEESF_jNS0_19identity_decomposerENS1_16block_id_wrapperIjLb0EEEEE10hipError_tT1_PNSt15iterator_traitsISK_E10value_typeET2_T3_PNSL_ISQ_E10value_typeET4_T5_PSV_SW_PNS1_23onesweep_lookback_stateEbbT6_jjT7_P12ihipStream_tbENKUlT_T0_SK_SP_E_clIPbSD_PiSF_EEDaS13_S14_SK_SP_EUlS13_E_NS1_11comp_targetILNS1_3genE10ELNS1_11target_archE1201ELNS1_3gpuE5ELNS1_3repE0EEENS1_47radix_sort_onesweep_sort_config_static_selectorELNS0_4arch9wavefront6targetE1EEEvSK_.numbered_sgpr, 0
	.set _ZN7rocprim17ROCPRIM_400000_NS6detail17trampoline_kernelINS0_14default_configENS1_35radix_sort_onesweep_config_selectorIbiEEZZNS1_29radix_sort_onesweep_iterationIS3_Lb1EN6thrust23THRUST_200600_302600_NS6detail15normal_iteratorINS8_10device_ptrIbEEEESD_NSA_INSB_IiEEEESF_jNS0_19identity_decomposerENS1_16block_id_wrapperIjLb0EEEEE10hipError_tT1_PNSt15iterator_traitsISK_E10value_typeET2_T3_PNSL_ISQ_E10value_typeET4_T5_PSV_SW_PNS1_23onesweep_lookback_stateEbbT6_jjT7_P12ihipStream_tbENKUlT_T0_SK_SP_E_clIPbSD_PiSF_EEDaS13_S14_SK_SP_EUlS13_E_NS1_11comp_targetILNS1_3genE10ELNS1_11target_archE1201ELNS1_3gpuE5ELNS1_3repE0EEENS1_47radix_sort_onesweep_sort_config_static_selectorELNS0_4arch9wavefront6targetE1EEEvSK_.num_named_barrier, 0
	.set _ZN7rocprim17ROCPRIM_400000_NS6detail17trampoline_kernelINS0_14default_configENS1_35radix_sort_onesweep_config_selectorIbiEEZZNS1_29radix_sort_onesweep_iterationIS3_Lb1EN6thrust23THRUST_200600_302600_NS6detail15normal_iteratorINS8_10device_ptrIbEEEESD_NSA_INSB_IiEEEESF_jNS0_19identity_decomposerENS1_16block_id_wrapperIjLb0EEEEE10hipError_tT1_PNSt15iterator_traitsISK_E10value_typeET2_T3_PNSL_ISQ_E10value_typeET4_T5_PSV_SW_PNS1_23onesweep_lookback_stateEbbT6_jjT7_P12ihipStream_tbENKUlT_T0_SK_SP_E_clIPbSD_PiSF_EEDaS13_S14_SK_SP_EUlS13_E_NS1_11comp_targetILNS1_3genE10ELNS1_11target_archE1201ELNS1_3gpuE5ELNS1_3repE0EEENS1_47radix_sort_onesweep_sort_config_static_selectorELNS0_4arch9wavefront6targetE1EEEvSK_.private_seg_size, 0
	.set _ZN7rocprim17ROCPRIM_400000_NS6detail17trampoline_kernelINS0_14default_configENS1_35radix_sort_onesweep_config_selectorIbiEEZZNS1_29radix_sort_onesweep_iterationIS3_Lb1EN6thrust23THRUST_200600_302600_NS6detail15normal_iteratorINS8_10device_ptrIbEEEESD_NSA_INSB_IiEEEESF_jNS0_19identity_decomposerENS1_16block_id_wrapperIjLb0EEEEE10hipError_tT1_PNSt15iterator_traitsISK_E10value_typeET2_T3_PNSL_ISQ_E10value_typeET4_T5_PSV_SW_PNS1_23onesweep_lookback_stateEbbT6_jjT7_P12ihipStream_tbENKUlT_T0_SK_SP_E_clIPbSD_PiSF_EEDaS13_S14_SK_SP_EUlS13_E_NS1_11comp_targetILNS1_3genE10ELNS1_11target_archE1201ELNS1_3gpuE5ELNS1_3repE0EEENS1_47radix_sort_onesweep_sort_config_static_selectorELNS0_4arch9wavefront6targetE1EEEvSK_.uses_vcc, 0
	.set _ZN7rocprim17ROCPRIM_400000_NS6detail17trampoline_kernelINS0_14default_configENS1_35radix_sort_onesweep_config_selectorIbiEEZZNS1_29radix_sort_onesweep_iterationIS3_Lb1EN6thrust23THRUST_200600_302600_NS6detail15normal_iteratorINS8_10device_ptrIbEEEESD_NSA_INSB_IiEEEESF_jNS0_19identity_decomposerENS1_16block_id_wrapperIjLb0EEEEE10hipError_tT1_PNSt15iterator_traitsISK_E10value_typeET2_T3_PNSL_ISQ_E10value_typeET4_T5_PSV_SW_PNS1_23onesweep_lookback_stateEbbT6_jjT7_P12ihipStream_tbENKUlT_T0_SK_SP_E_clIPbSD_PiSF_EEDaS13_S14_SK_SP_EUlS13_E_NS1_11comp_targetILNS1_3genE10ELNS1_11target_archE1201ELNS1_3gpuE5ELNS1_3repE0EEENS1_47radix_sort_onesweep_sort_config_static_selectorELNS0_4arch9wavefront6targetE1EEEvSK_.uses_flat_scratch, 0
	.set _ZN7rocprim17ROCPRIM_400000_NS6detail17trampoline_kernelINS0_14default_configENS1_35radix_sort_onesweep_config_selectorIbiEEZZNS1_29radix_sort_onesweep_iterationIS3_Lb1EN6thrust23THRUST_200600_302600_NS6detail15normal_iteratorINS8_10device_ptrIbEEEESD_NSA_INSB_IiEEEESF_jNS0_19identity_decomposerENS1_16block_id_wrapperIjLb0EEEEE10hipError_tT1_PNSt15iterator_traitsISK_E10value_typeET2_T3_PNSL_ISQ_E10value_typeET4_T5_PSV_SW_PNS1_23onesweep_lookback_stateEbbT6_jjT7_P12ihipStream_tbENKUlT_T0_SK_SP_E_clIPbSD_PiSF_EEDaS13_S14_SK_SP_EUlS13_E_NS1_11comp_targetILNS1_3genE10ELNS1_11target_archE1201ELNS1_3gpuE5ELNS1_3repE0EEENS1_47radix_sort_onesweep_sort_config_static_selectorELNS0_4arch9wavefront6targetE1EEEvSK_.has_dyn_sized_stack, 0
	.set _ZN7rocprim17ROCPRIM_400000_NS6detail17trampoline_kernelINS0_14default_configENS1_35radix_sort_onesweep_config_selectorIbiEEZZNS1_29radix_sort_onesweep_iterationIS3_Lb1EN6thrust23THRUST_200600_302600_NS6detail15normal_iteratorINS8_10device_ptrIbEEEESD_NSA_INSB_IiEEEESF_jNS0_19identity_decomposerENS1_16block_id_wrapperIjLb0EEEEE10hipError_tT1_PNSt15iterator_traitsISK_E10value_typeET2_T3_PNSL_ISQ_E10value_typeET4_T5_PSV_SW_PNS1_23onesweep_lookback_stateEbbT6_jjT7_P12ihipStream_tbENKUlT_T0_SK_SP_E_clIPbSD_PiSF_EEDaS13_S14_SK_SP_EUlS13_E_NS1_11comp_targetILNS1_3genE10ELNS1_11target_archE1201ELNS1_3gpuE5ELNS1_3repE0EEENS1_47radix_sort_onesweep_sort_config_static_selectorELNS0_4arch9wavefront6targetE1EEEvSK_.has_recursion, 0
	.set _ZN7rocprim17ROCPRIM_400000_NS6detail17trampoline_kernelINS0_14default_configENS1_35radix_sort_onesweep_config_selectorIbiEEZZNS1_29radix_sort_onesweep_iterationIS3_Lb1EN6thrust23THRUST_200600_302600_NS6detail15normal_iteratorINS8_10device_ptrIbEEEESD_NSA_INSB_IiEEEESF_jNS0_19identity_decomposerENS1_16block_id_wrapperIjLb0EEEEE10hipError_tT1_PNSt15iterator_traitsISK_E10value_typeET2_T3_PNSL_ISQ_E10value_typeET4_T5_PSV_SW_PNS1_23onesweep_lookback_stateEbbT6_jjT7_P12ihipStream_tbENKUlT_T0_SK_SP_E_clIPbSD_PiSF_EEDaS13_S14_SK_SP_EUlS13_E_NS1_11comp_targetILNS1_3genE10ELNS1_11target_archE1201ELNS1_3gpuE5ELNS1_3repE0EEENS1_47radix_sort_onesweep_sort_config_static_selectorELNS0_4arch9wavefront6targetE1EEEvSK_.has_indirect_call, 0
	.section	.AMDGPU.csdata,"",@progbits
; Kernel info:
; codeLenInByte = 0
; TotalNumSgprs: 6
; NumVgprs: 0
; NumAgprs: 0
; TotalNumVgprs: 0
; ScratchSize: 0
; MemoryBound: 0
; FloatMode: 240
; IeeeMode: 1
; LDSByteSize: 0 bytes/workgroup (compile time only)
; SGPRBlocks: 0
; VGPRBlocks: 0
; NumSGPRsForWavesPerEU: 6
; NumVGPRsForWavesPerEU: 1
; AccumOffset: 4
; Occupancy: 8
; WaveLimiterHint : 0
; COMPUTE_PGM_RSRC2:SCRATCH_EN: 0
; COMPUTE_PGM_RSRC2:USER_SGPR: 2
; COMPUTE_PGM_RSRC2:TRAP_HANDLER: 0
; COMPUTE_PGM_RSRC2:TGID_X_EN: 1
; COMPUTE_PGM_RSRC2:TGID_Y_EN: 0
; COMPUTE_PGM_RSRC2:TGID_Z_EN: 0
; COMPUTE_PGM_RSRC2:TIDIG_COMP_CNT: 0
; COMPUTE_PGM_RSRC3_GFX90A:ACCUM_OFFSET: 0
; COMPUTE_PGM_RSRC3_GFX90A:TG_SPLIT: 0
	.section	.text._ZN7rocprim17ROCPRIM_400000_NS6detail17trampoline_kernelINS0_14default_configENS1_35radix_sort_onesweep_config_selectorIbiEEZZNS1_29radix_sort_onesweep_iterationIS3_Lb1EN6thrust23THRUST_200600_302600_NS6detail15normal_iteratorINS8_10device_ptrIbEEEESD_NSA_INSB_IiEEEESF_jNS0_19identity_decomposerENS1_16block_id_wrapperIjLb0EEEEE10hipError_tT1_PNSt15iterator_traitsISK_E10value_typeET2_T3_PNSL_ISQ_E10value_typeET4_T5_PSV_SW_PNS1_23onesweep_lookback_stateEbbT6_jjT7_P12ihipStream_tbENKUlT_T0_SK_SP_E_clIPbSD_PiSF_EEDaS13_S14_SK_SP_EUlS13_E_NS1_11comp_targetILNS1_3genE9ELNS1_11target_archE1100ELNS1_3gpuE3ELNS1_3repE0EEENS1_47radix_sort_onesweep_sort_config_static_selectorELNS0_4arch9wavefront6targetE1EEEvSK_,"axG",@progbits,_ZN7rocprim17ROCPRIM_400000_NS6detail17trampoline_kernelINS0_14default_configENS1_35radix_sort_onesweep_config_selectorIbiEEZZNS1_29radix_sort_onesweep_iterationIS3_Lb1EN6thrust23THRUST_200600_302600_NS6detail15normal_iteratorINS8_10device_ptrIbEEEESD_NSA_INSB_IiEEEESF_jNS0_19identity_decomposerENS1_16block_id_wrapperIjLb0EEEEE10hipError_tT1_PNSt15iterator_traitsISK_E10value_typeET2_T3_PNSL_ISQ_E10value_typeET4_T5_PSV_SW_PNS1_23onesweep_lookback_stateEbbT6_jjT7_P12ihipStream_tbENKUlT_T0_SK_SP_E_clIPbSD_PiSF_EEDaS13_S14_SK_SP_EUlS13_E_NS1_11comp_targetILNS1_3genE9ELNS1_11target_archE1100ELNS1_3gpuE3ELNS1_3repE0EEENS1_47radix_sort_onesweep_sort_config_static_selectorELNS0_4arch9wavefront6targetE1EEEvSK_,comdat
	.protected	_ZN7rocprim17ROCPRIM_400000_NS6detail17trampoline_kernelINS0_14default_configENS1_35radix_sort_onesweep_config_selectorIbiEEZZNS1_29radix_sort_onesweep_iterationIS3_Lb1EN6thrust23THRUST_200600_302600_NS6detail15normal_iteratorINS8_10device_ptrIbEEEESD_NSA_INSB_IiEEEESF_jNS0_19identity_decomposerENS1_16block_id_wrapperIjLb0EEEEE10hipError_tT1_PNSt15iterator_traitsISK_E10value_typeET2_T3_PNSL_ISQ_E10value_typeET4_T5_PSV_SW_PNS1_23onesweep_lookback_stateEbbT6_jjT7_P12ihipStream_tbENKUlT_T0_SK_SP_E_clIPbSD_PiSF_EEDaS13_S14_SK_SP_EUlS13_E_NS1_11comp_targetILNS1_3genE9ELNS1_11target_archE1100ELNS1_3gpuE3ELNS1_3repE0EEENS1_47radix_sort_onesweep_sort_config_static_selectorELNS0_4arch9wavefront6targetE1EEEvSK_ ; -- Begin function _ZN7rocprim17ROCPRIM_400000_NS6detail17trampoline_kernelINS0_14default_configENS1_35radix_sort_onesweep_config_selectorIbiEEZZNS1_29radix_sort_onesweep_iterationIS3_Lb1EN6thrust23THRUST_200600_302600_NS6detail15normal_iteratorINS8_10device_ptrIbEEEESD_NSA_INSB_IiEEEESF_jNS0_19identity_decomposerENS1_16block_id_wrapperIjLb0EEEEE10hipError_tT1_PNSt15iterator_traitsISK_E10value_typeET2_T3_PNSL_ISQ_E10value_typeET4_T5_PSV_SW_PNS1_23onesweep_lookback_stateEbbT6_jjT7_P12ihipStream_tbENKUlT_T0_SK_SP_E_clIPbSD_PiSF_EEDaS13_S14_SK_SP_EUlS13_E_NS1_11comp_targetILNS1_3genE9ELNS1_11target_archE1100ELNS1_3gpuE3ELNS1_3repE0EEENS1_47radix_sort_onesweep_sort_config_static_selectorELNS0_4arch9wavefront6targetE1EEEvSK_
	.globl	_ZN7rocprim17ROCPRIM_400000_NS6detail17trampoline_kernelINS0_14default_configENS1_35radix_sort_onesweep_config_selectorIbiEEZZNS1_29radix_sort_onesweep_iterationIS3_Lb1EN6thrust23THRUST_200600_302600_NS6detail15normal_iteratorINS8_10device_ptrIbEEEESD_NSA_INSB_IiEEEESF_jNS0_19identity_decomposerENS1_16block_id_wrapperIjLb0EEEEE10hipError_tT1_PNSt15iterator_traitsISK_E10value_typeET2_T3_PNSL_ISQ_E10value_typeET4_T5_PSV_SW_PNS1_23onesweep_lookback_stateEbbT6_jjT7_P12ihipStream_tbENKUlT_T0_SK_SP_E_clIPbSD_PiSF_EEDaS13_S14_SK_SP_EUlS13_E_NS1_11comp_targetILNS1_3genE9ELNS1_11target_archE1100ELNS1_3gpuE3ELNS1_3repE0EEENS1_47radix_sort_onesweep_sort_config_static_selectorELNS0_4arch9wavefront6targetE1EEEvSK_
	.p2align	8
	.type	_ZN7rocprim17ROCPRIM_400000_NS6detail17trampoline_kernelINS0_14default_configENS1_35radix_sort_onesweep_config_selectorIbiEEZZNS1_29radix_sort_onesweep_iterationIS3_Lb1EN6thrust23THRUST_200600_302600_NS6detail15normal_iteratorINS8_10device_ptrIbEEEESD_NSA_INSB_IiEEEESF_jNS0_19identity_decomposerENS1_16block_id_wrapperIjLb0EEEEE10hipError_tT1_PNSt15iterator_traitsISK_E10value_typeET2_T3_PNSL_ISQ_E10value_typeET4_T5_PSV_SW_PNS1_23onesweep_lookback_stateEbbT6_jjT7_P12ihipStream_tbENKUlT_T0_SK_SP_E_clIPbSD_PiSF_EEDaS13_S14_SK_SP_EUlS13_E_NS1_11comp_targetILNS1_3genE9ELNS1_11target_archE1100ELNS1_3gpuE3ELNS1_3repE0EEENS1_47radix_sort_onesweep_sort_config_static_selectorELNS0_4arch9wavefront6targetE1EEEvSK_,@function
_ZN7rocprim17ROCPRIM_400000_NS6detail17trampoline_kernelINS0_14default_configENS1_35radix_sort_onesweep_config_selectorIbiEEZZNS1_29radix_sort_onesweep_iterationIS3_Lb1EN6thrust23THRUST_200600_302600_NS6detail15normal_iteratorINS8_10device_ptrIbEEEESD_NSA_INSB_IiEEEESF_jNS0_19identity_decomposerENS1_16block_id_wrapperIjLb0EEEEE10hipError_tT1_PNSt15iterator_traitsISK_E10value_typeET2_T3_PNSL_ISQ_E10value_typeET4_T5_PSV_SW_PNS1_23onesweep_lookback_stateEbbT6_jjT7_P12ihipStream_tbENKUlT_T0_SK_SP_E_clIPbSD_PiSF_EEDaS13_S14_SK_SP_EUlS13_E_NS1_11comp_targetILNS1_3genE9ELNS1_11target_archE1100ELNS1_3gpuE3ELNS1_3repE0EEENS1_47radix_sort_onesweep_sort_config_static_selectorELNS0_4arch9wavefront6targetE1EEEvSK_: ; @_ZN7rocprim17ROCPRIM_400000_NS6detail17trampoline_kernelINS0_14default_configENS1_35radix_sort_onesweep_config_selectorIbiEEZZNS1_29radix_sort_onesweep_iterationIS3_Lb1EN6thrust23THRUST_200600_302600_NS6detail15normal_iteratorINS8_10device_ptrIbEEEESD_NSA_INSB_IiEEEESF_jNS0_19identity_decomposerENS1_16block_id_wrapperIjLb0EEEEE10hipError_tT1_PNSt15iterator_traitsISK_E10value_typeET2_T3_PNSL_ISQ_E10value_typeET4_T5_PSV_SW_PNS1_23onesweep_lookback_stateEbbT6_jjT7_P12ihipStream_tbENKUlT_T0_SK_SP_E_clIPbSD_PiSF_EEDaS13_S14_SK_SP_EUlS13_E_NS1_11comp_targetILNS1_3genE9ELNS1_11target_archE1100ELNS1_3gpuE3ELNS1_3repE0EEENS1_47radix_sort_onesweep_sort_config_static_selectorELNS0_4arch9wavefront6targetE1EEEvSK_
; %bb.0:
	.section	.rodata,"a",@progbits
	.p2align	6, 0x0
	.amdhsa_kernel _ZN7rocprim17ROCPRIM_400000_NS6detail17trampoline_kernelINS0_14default_configENS1_35radix_sort_onesweep_config_selectorIbiEEZZNS1_29radix_sort_onesweep_iterationIS3_Lb1EN6thrust23THRUST_200600_302600_NS6detail15normal_iteratorINS8_10device_ptrIbEEEESD_NSA_INSB_IiEEEESF_jNS0_19identity_decomposerENS1_16block_id_wrapperIjLb0EEEEE10hipError_tT1_PNSt15iterator_traitsISK_E10value_typeET2_T3_PNSL_ISQ_E10value_typeET4_T5_PSV_SW_PNS1_23onesweep_lookback_stateEbbT6_jjT7_P12ihipStream_tbENKUlT_T0_SK_SP_E_clIPbSD_PiSF_EEDaS13_S14_SK_SP_EUlS13_E_NS1_11comp_targetILNS1_3genE9ELNS1_11target_archE1100ELNS1_3gpuE3ELNS1_3repE0EEENS1_47radix_sort_onesweep_sort_config_static_selectorELNS0_4arch9wavefront6targetE1EEEvSK_
		.amdhsa_group_segment_fixed_size 0
		.amdhsa_private_segment_fixed_size 0
		.amdhsa_kernarg_size 88
		.amdhsa_user_sgpr_count 2
		.amdhsa_user_sgpr_dispatch_ptr 0
		.amdhsa_user_sgpr_queue_ptr 0
		.amdhsa_user_sgpr_kernarg_segment_ptr 1
		.amdhsa_user_sgpr_dispatch_id 0
		.amdhsa_user_sgpr_kernarg_preload_length 0
		.amdhsa_user_sgpr_kernarg_preload_offset 0
		.amdhsa_user_sgpr_private_segment_size 0
		.amdhsa_uses_dynamic_stack 0
		.amdhsa_enable_private_segment 0
		.amdhsa_system_sgpr_workgroup_id_x 1
		.amdhsa_system_sgpr_workgroup_id_y 0
		.amdhsa_system_sgpr_workgroup_id_z 0
		.amdhsa_system_sgpr_workgroup_info 0
		.amdhsa_system_vgpr_workitem_id 0
		.amdhsa_next_free_vgpr 1
		.amdhsa_next_free_sgpr 0
		.amdhsa_accum_offset 4
		.amdhsa_reserve_vcc 0
		.amdhsa_float_round_mode_32 0
		.amdhsa_float_round_mode_16_64 0
		.amdhsa_float_denorm_mode_32 3
		.amdhsa_float_denorm_mode_16_64 3
		.amdhsa_dx10_clamp 1
		.amdhsa_ieee_mode 1
		.amdhsa_fp16_overflow 0
		.amdhsa_tg_split 0
		.amdhsa_exception_fp_ieee_invalid_op 0
		.amdhsa_exception_fp_denorm_src 0
		.amdhsa_exception_fp_ieee_div_zero 0
		.amdhsa_exception_fp_ieee_overflow 0
		.amdhsa_exception_fp_ieee_underflow 0
		.amdhsa_exception_fp_ieee_inexact 0
		.amdhsa_exception_int_div_zero 0
	.end_amdhsa_kernel
	.section	.text._ZN7rocprim17ROCPRIM_400000_NS6detail17trampoline_kernelINS0_14default_configENS1_35radix_sort_onesweep_config_selectorIbiEEZZNS1_29radix_sort_onesweep_iterationIS3_Lb1EN6thrust23THRUST_200600_302600_NS6detail15normal_iteratorINS8_10device_ptrIbEEEESD_NSA_INSB_IiEEEESF_jNS0_19identity_decomposerENS1_16block_id_wrapperIjLb0EEEEE10hipError_tT1_PNSt15iterator_traitsISK_E10value_typeET2_T3_PNSL_ISQ_E10value_typeET4_T5_PSV_SW_PNS1_23onesweep_lookback_stateEbbT6_jjT7_P12ihipStream_tbENKUlT_T0_SK_SP_E_clIPbSD_PiSF_EEDaS13_S14_SK_SP_EUlS13_E_NS1_11comp_targetILNS1_3genE9ELNS1_11target_archE1100ELNS1_3gpuE3ELNS1_3repE0EEENS1_47radix_sort_onesweep_sort_config_static_selectorELNS0_4arch9wavefront6targetE1EEEvSK_,"axG",@progbits,_ZN7rocprim17ROCPRIM_400000_NS6detail17trampoline_kernelINS0_14default_configENS1_35radix_sort_onesweep_config_selectorIbiEEZZNS1_29radix_sort_onesweep_iterationIS3_Lb1EN6thrust23THRUST_200600_302600_NS6detail15normal_iteratorINS8_10device_ptrIbEEEESD_NSA_INSB_IiEEEESF_jNS0_19identity_decomposerENS1_16block_id_wrapperIjLb0EEEEE10hipError_tT1_PNSt15iterator_traitsISK_E10value_typeET2_T3_PNSL_ISQ_E10value_typeET4_T5_PSV_SW_PNS1_23onesweep_lookback_stateEbbT6_jjT7_P12ihipStream_tbENKUlT_T0_SK_SP_E_clIPbSD_PiSF_EEDaS13_S14_SK_SP_EUlS13_E_NS1_11comp_targetILNS1_3genE9ELNS1_11target_archE1100ELNS1_3gpuE3ELNS1_3repE0EEENS1_47radix_sort_onesweep_sort_config_static_selectorELNS0_4arch9wavefront6targetE1EEEvSK_,comdat
.Lfunc_end2270:
	.size	_ZN7rocprim17ROCPRIM_400000_NS6detail17trampoline_kernelINS0_14default_configENS1_35radix_sort_onesweep_config_selectorIbiEEZZNS1_29radix_sort_onesweep_iterationIS3_Lb1EN6thrust23THRUST_200600_302600_NS6detail15normal_iteratorINS8_10device_ptrIbEEEESD_NSA_INSB_IiEEEESF_jNS0_19identity_decomposerENS1_16block_id_wrapperIjLb0EEEEE10hipError_tT1_PNSt15iterator_traitsISK_E10value_typeET2_T3_PNSL_ISQ_E10value_typeET4_T5_PSV_SW_PNS1_23onesweep_lookback_stateEbbT6_jjT7_P12ihipStream_tbENKUlT_T0_SK_SP_E_clIPbSD_PiSF_EEDaS13_S14_SK_SP_EUlS13_E_NS1_11comp_targetILNS1_3genE9ELNS1_11target_archE1100ELNS1_3gpuE3ELNS1_3repE0EEENS1_47radix_sort_onesweep_sort_config_static_selectorELNS0_4arch9wavefront6targetE1EEEvSK_, .Lfunc_end2270-_ZN7rocprim17ROCPRIM_400000_NS6detail17trampoline_kernelINS0_14default_configENS1_35radix_sort_onesweep_config_selectorIbiEEZZNS1_29radix_sort_onesweep_iterationIS3_Lb1EN6thrust23THRUST_200600_302600_NS6detail15normal_iteratorINS8_10device_ptrIbEEEESD_NSA_INSB_IiEEEESF_jNS0_19identity_decomposerENS1_16block_id_wrapperIjLb0EEEEE10hipError_tT1_PNSt15iterator_traitsISK_E10value_typeET2_T3_PNSL_ISQ_E10value_typeET4_T5_PSV_SW_PNS1_23onesweep_lookback_stateEbbT6_jjT7_P12ihipStream_tbENKUlT_T0_SK_SP_E_clIPbSD_PiSF_EEDaS13_S14_SK_SP_EUlS13_E_NS1_11comp_targetILNS1_3genE9ELNS1_11target_archE1100ELNS1_3gpuE3ELNS1_3repE0EEENS1_47radix_sort_onesweep_sort_config_static_selectorELNS0_4arch9wavefront6targetE1EEEvSK_
                                        ; -- End function
	.set _ZN7rocprim17ROCPRIM_400000_NS6detail17trampoline_kernelINS0_14default_configENS1_35radix_sort_onesweep_config_selectorIbiEEZZNS1_29radix_sort_onesweep_iterationIS3_Lb1EN6thrust23THRUST_200600_302600_NS6detail15normal_iteratorINS8_10device_ptrIbEEEESD_NSA_INSB_IiEEEESF_jNS0_19identity_decomposerENS1_16block_id_wrapperIjLb0EEEEE10hipError_tT1_PNSt15iterator_traitsISK_E10value_typeET2_T3_PNSL_ISQ_E10value_typeET4_T5_PSV_SW_PNS1_23onesweep_lookback_stateEbbT6_jjT7_P12ihipStream_tbENKUlT_T0_SK_SP_E_clIPbSD_PiSF_EEDaS13_S14_SK_SP_EUlS13_E_NS1_11comp_targetILNS1_3genE9ELNS1_11target_archE1100ELNS1_3gpuE3ELNS1_3repE0EEENS1_47radix_sort_onesweep_sort_config_static_selectorELNS0_4arch9wavefront6targetE1EEEvSK_.num_vgpr, 0
	.set _ZN7rocprim17ROCPRIM_400000_NS6detail17trampoline_kernelINS0_14default_configENS1_35radix_sort_onesweep_config_selectorIbiEEZZNS1_29radix_sort_onesweep_iterationIS3_Lb1EN6thrust23THRUST_200600_302600_NS6detail15normal_iteratorINS8_10device_ptrIbEEEESD_NSA_INSB_IiEEEESF_jNS0_19identity_decomposerENS1_16block_id_wrapperIjLb0EEEEE10hipError_tT1_PNSt15iterator_traitsISK_E10value_typeET2_T3_PNSL_ISQ_E10value_typeET4_T5_PSV_SW_PNS1_23onesweep_lookback_stateEbbT6_jjT7_P12ihipStream_tbENKUlT_T0_SK_SP_E_clIPbSD_PiSF_EEDaS13_S14_SK_SP_EUlS13_E_NS1_11comp_targetILNS1_3genE9ELNS1_11target_archE1100ELNS1_3gpuE3ELNS1_3repE0EEENS1_47radix_sort_onesweep_sort_config_static_selectorELNS0_4arch9wavefront6targetE1EEEvSK_.num_agpr, 0
	.set _ZN7rocprim17ROCPRIM_400000_NS6detail17trampoline_kernelINS0_14default_configENS1_35radix_sort_onesweep_config_selectorIbiEEZZNS1_29radix_sort_onesweep_iterationIS3_Lb1EN6thrust23THRUST_200600_302600_NS6detail15normal_iteratorINS8_10device_ptrIbEEEESD_NSA_INSB_IiEEEESF_jNS0_19identity_decomposerENS1_16block_id_wrapperIjLb0EEEEE10hipError_tT1_PNSt15iterator_traitsISK_E10value_typeET2_T3_PNSL_ISQ_E10value_typeET4_T5_PSV_SW_PNS1_23onesweep_lookback_stateEbbT6_jjT7_P12ihipStream_tbENKUlT_T0_SK_SP_E_clIPbSD_PiSF_EEDaS13_S14_SK_SP_EUlS13_E_NS1_11comp_targetILNS1_3genE9ELNS1_11target_archE1100ELNS1_3gpuE3ELNS1_3repE0EEENS1_47radix_sort_onesweep_sort_config_static_selectorELNS0_4arch9wavefront6targetE1EEEvSK_.numbered_sgpr, 0
	.set _ZN7rocprim17ROCPRIM_400000_NS6detail17trampoline_kernelINS0_14default_configENS1_35radix_sort_onesweep_config_selectorIbiEEZZNS1_29radix_sort_onesweep_iterationIS3_Lb1EN6thrust23THRUST_200600_302600_NS6detail15normal_iteratorINS8_10device_ptrIbEEEESD_NSA_INSB_IiEEEESF_jNS0_19identity_decomposerENS1_16block_id_wrapperIjLb0EEEEE10hipError_tT1_PNSt15iterator_traitsISK_E10value_typeET2_T3_PNSL_ISQ_E10value_typeET4_T5_PSV_SW_PNS1_23onesweep_lookback_stateEbbT6_jjT7_P12ihipStream_tbENKUlT_T0_SK_SP_E_clIPbSD_PiSF_EEDaS13_S14_SK_SP_EUlS13_E_NS1_11comp_targetILNS1_3genE9ELNS1_11target_archE1100ELNS1_3gpuE3ELNS1_3repE0EEENS1_47radix_sort_onesweep_sort_config_static_selectorELNS0_4arch9wavefront6targetE1EEEvSK_.num_named_barrier, 0
	.set _ZN7rocprim17ROCPRIM_400000_NS6detail17trampoline_kernelINS0_14default_configENS1_35radix_sort_onesweep_config_selectorIbiEEZZNS1_29radix_sort_onesweep_iterationIS3_Lb1EN6thrust23THRUST_200600_302600_NS6detail15normal_iteratorINS8_10device_ptrIbEEEESD_NSA_INSB_IiEEEESF_jNS0_19identity_decomposerENS1_16block_id_wrapperIjLb0EEEEE10hipError_tT1_PNSt15iterator_traitsISK_E10value_typeET2_T3_PNSL_ISQ_E10value_typeET4_T5_PSV_SW_PNS1_23onesweep_lookback_stateEbbT6_jjT7_P12ihipStream_tbENKUlT_T0_SK_SP_E_clIPbSD_PiSF_EEDaS13_S14_SK_SP_EUlS13_E_NS1_11comp_targetILNS1_3genE9ELNS1_11target_archE1100ELNS1_3gpuE3ELNS1_3repE0EEENS1_47radix_sort_onesweep_sort_config_static_selectorELNS0_4arch9wavefront6targetE1EEEvSK_.private_seg_size, 0
	.set _ZN7rocprim17ROCPRIM_400000_NS6detail17trampoline_kernelINS0_14default_configENS1_35radix_sort_onesweep_config_selectorIbiEEZZNS1_29radix_sort_onesweep_iterationIS3_Lb1EN6thrust23THRUST_200600_302600_NS6detail15normal_iteratorINS8_10device_ptrIbEEEESD_NSA_INSB_IiEEEESF_jNS0_19identity_decomposerENS1_16block_id_wrapperIjLb0EEEEE10hipError_tT1_PNSt15iterator_traitsISK_E10value_typeET2_T3_PNSL_ISQ_E10value_typeET4_T5_PSV_SW_PNS1_23onesweep_lookback_stateEbbT6_jjT7_P12ihipStream_tbENKUlT_T0_SK_SP_E_clIPbSD_PiSF_EEDaS13_S14_SK_SP_EUlS13_E_NS1_11comp_targetILNS1_3genE9ELNS1_11target_archE1100ELNS1_3gpuE3ELNS1_3repE0EEENS1_47radix_sort_onesweep_sort_config_static_selectorELNS0_4arch9wavefront6targetE1EEEvSK_.uses_vcc, 0
	.set _ZN7rocprim17ROCPRIM_400000_NS6detail17trampoline_kernelINS0_14default_configENS1_35radix_sort_onesweep_config_selectorIbiEEZZNS1_29radix_sort_onesweep_iterationIS3_Lb1EN6thrust23THRUST_200600_302600_NS6detail15normal_iteratorINS8_10device_ptrIbEEEESD_NSA_INSB_IiEEEESF_jNS0_19identity_decomposerENS1_16block_id_wrapperIjLb0EEEEE10hipError_tT1_PNSt15iterator_traitsISK_E10value_typeET2_T3_PNSL_ISQ_E10value_typeET4_T5_PSV_SW_PNS1_23onesweep_lookback_stateEbbT6_jjT7_P12ihipStream_tbENKUlT_T0_SK_SP_E_clIPbSD_PiSF_EEDaS13_S14_SK_SP_EUlS13_E_NS1_11comp_targetILNS1_3genE9ELNS1_11target_archE1100ELNS1_3gpuE3ELNS1_3repE0EEENS1_47radix_sort_onesweep_sort_config_static_selectorELNS0_4arch9wavefront6targetE1EEEvSK_.uses_flat_scratch, 0
	.set _ZN7rocprim17ROCPRIM_400000_NS6detail17trampoline_kernelINS0_14default_configENS1_35radix_sort_onesweep_config_selectorIbiEEZZNS1_29radix_sort_onesweep_iterationIS3_Lb1EN6thrust23THRUST_200600_302600_NS6detail15normal_iteratorINS8_10device_ptrIbEEEESD_NSA_INSB_IiEEEESF_jNS0_19identity_decomposerENS1_16block_id_wrapperIjLb0EEEEE10hipError_tT1_PNSt15iterator_traitsISK_E10value_typeET2_T3_PNSL_ISQ_E10value_typeET4_T5_PSV_SW_PNS1_23onesweep_lookback_stateEbbT6_jjT7_P12ihipStream_tbENKUlT_T0_SK_SP_E_clIPbSD_PiSF_EEDaS13_S14_SK_SP_EUlS13_E_NS1_11comp_targetILNS1_3genE9ELNS1_11target_archE1100ELNS1_3gpuE3ELNS1_3repE0EEENS1_47radix_sort_onesweep_sort_config_static_selectorELNS0_4arch9wavefront6targetE1EEEvSK_.has_dyn_sized_stack, 0
	.set _ZN7rocprim17ROCPRIM_400000_NS6detail17trampoline_kernelINS0_14default_configENS1_35radix_sort_onesweep_config_selectorIbiEEZZNS1_29radix_sort_onesweep_iterationIS3_Lb1EN6thrust23THRUST_200600_302600_NS6detail15normal_iteratorINS8_10device_ptrIbEEEESD_NSA_INSB_IiEEEESF_jNS0_19identity_decomposerENS1_16block_id_wrapperIjLb0EEEEE10hipError_tT1_PNSt15iterator_traitsISK_E10value_typeET2_T3_PNSL_ISQ_E10value_typeET4_T5_PSV_SW_PNS1_23onesweep_lookback_stateEbbT6_jjT7_P12ihipStream_tbENKUlT_T0_SK_SP_E_clIPbSD_PiSF_EEDaS13_S14_SK_SP_EUlS13_E_NS1_11comp_targetILNS1_3genE9ELNS1_11target_archE1100ELNS1_3gpuE3ELNS1_3repE0EEENS1_47radix_sort_onesweep_sort_config_static_selectorELNS0_4arch9wavefront6targetE1EEEvSK_.has_recursion, 0
	.set _ZN7rocprim17ROCPRIM_400000_NS6detail17trampoline_kernelINS0_14default_configENS1_35radix_sort_onesweep_config_selectorIbiEEZZNS1_29radix_sort_onesweep_iterationIS3_Lb1EN6thrust23THRUST_200600_302600_NS6detail15normal_iteratorINS8_10device_ptrIbEEEESD_NSA_INSB_IiEEEESF_jNS0_19identity_decomposerENS1_16block_id_wrapperIjLb0EEEEE10hipError_tT1_PNSt15iterator_traitsISK_E10value_typeET2_T3_PNSL_ISQ_E10value_typeET4_T5_PSV_SW_PNS1_23onesweep_lookback_stateEbbT6_jjT7_P12ihipStream_tbENKUlT_T0_SK_SP_E_clIPbSD_PiSF_EEDaS13_S14_SK_SP_EUlS13_E_NS1_11comp_targetILNS1_3genE9ELNS1_11target_archE1100ELNS1_3gpuE3ELNS1_3repE0EEENS1_47radix_sort_onesweep_sort_config_static_selectorELNS0_4arch9wavefront6targetE1EEEvSK_.has_indirect_call, 0
	.section	.AMDGPU.csdata,"",@progbits
; Kernel info:
; codeLenInByte = 0
; TotalNumSgprs: 6
; NumVgprs: 0
; NumAgprs: 0
; TotalNumVgprs: 0
; ScratchSize: 0
; MemoryBound: 0
; FloatMode: 240
; IeeeMode: 1
; LDSByteSize: 0 bytes/workgroup (compile time only)
; SGPRBlocks: 0
; VGPRBlocks: 0
; NumSGPRsForWavesPerEU: 6
; NumVGPRsForWavesPerEU: 1
; AccumOffset: 4
; Occupancy: 8
; WaveLimiterHint : 0
; COMPUTE_PGM_RSRC2:SCRATCH_EN: 0
; COMPUTE_PGM_RSRC2:USER_SGPR: 2
; COMPUTE_PGM_RSRC2:TRAP_HANDLER: 0
; COMPUTE_PGM_RSRC2:TGID_X_EN: 1
; COMPUTE_PGM_RSRC2:TGID_Y_EN: 0
; COMPUTE_PGM_RSRC2:TGID_Z_EN: 0
; COMPUTE_PGM_RSRC2:TIDIG_COMP_CNT: 0
; COMPUTE_PGM_RSRC3_GFX90A:ACCUM_OFFSET: 0
; COMPUTE_PGM_RSRC3_GFX90A:TG_SPLIT: 0
	.section	.text._ZN7rocprim17ROCPRIM_400000_NS6detail17trampoline_kernelINS0_14default_configENS1_35radix_sort_onesweep_config_selectorIbiEEZZNS1_29radix_sort_onesweep_iterationIS3_Lb1EN6thrust23THRUST_200600_302600_NS6detail15normal_iteratorINS8_10device_ptrIbEEEESD_NSA_INSB_IiEEEESF_jNS0_19identity_decomposerENS1_16block_id_wrapperIjLb0EEEEE10hipError_tT1_PNSt15iterator_traitsISK_E10value_typeET2_T3_PNSL_ISQ_E10value_typeET4_T5_PSV_SW_PNS1_23onesweep_lookback_stateEbbT6_jjT7_P12ihipStream_tbENKUlT_T0_SK_SP_E_clIPbSD_PiSF_EEDaS13_S14_SK_SP_EUlS13_E_NS1_11comp_targetILNS1_3genE8ELNS1_11target_archE1030ELNS1_3gpuE2ELNS1_3repE0EEENS1_47radix_sort_onesweep_sort_config_static_selectorELNS0_4arch9wavefront6targetE1EEEvSK_,"axG",@progbits,_ZN7rocprim17ROCPRIM_400000_NS6detail17trampoline_kernelINS0_14default_configENS1_35radix_sort_onesweep_config_selectorIbiEEZZNS1_29radix_sort_onesweep_iterationIS3_Lb1EN6thrust23THRUST_200600_302600_NS6detail15normal_iteratorINS8_10device_ptrIbEEEESD_NSA_INSB_IiEEEESF_jNS0_19identity_decomposerENS1_16block_id_wrapperIjLb0EEEEE10hipError_tT1_PNSt15iterator_traitsISK_E10value_typeET2_T3_PNSL_ISQ_E10value_typeET4_T5_PSV_SW_PNS1_23onesweep_lookback_stateEbbT6_jjT7_P12ihipStream_tbENKUlT_T0_SK_SP_E_clIPbSD_PiSF_EEDaS13_S14_SK_SP_EUlS13_E_NS1_11comp_targetILNS1_3genE8ELNS1_11target_archE1030ELNS1_3gpuE2ELNS1_3repE0EEENS1_47radix_sort_onesweep_sort_config_static_selectorELNS0_4arch9wavefront6targetE1EEEvSK_,comdat
	.protected	_ZN7rocprim17ROCPRIM_400000_NS6detail17trampoline_kernelINS0_14default_configENS1_35radix_sort_onesweep_config_selectorIbiEEZZNS1_29radix_sort_onesweep_iterationIS3_Lb1EN6thrust23THRUST_200600_302600_NS6detail15normal_iteratorINS8_10device_ptrIbEEEESD_NSA_INSB_IiEEEESF_jNS0_19identity_decomposerENS1_16block_id_wrapperIjLb0EEEEE10hipError_tT1_PNSt15iterator_traitsISK_E10value_typeET2_T3_PNSL_ISQ_E10value_typeET4_T5_PSV_SW_PNS1_23onesweep_lookback_stateEbbT6_jjT7_P12ihipStream_tbENKUlT_T0_SK_SP_E_clIPbSD_PiSF_EEDaS13_S14_SK_SP_EUlS13_E_NS1_11comp_targetILNS1_3genE8ELNS1_11target_archE1030ELNS1_3gpuE2ELNS1_3repE0EEENS1_47radix_sort_onesweep_sort_config_static_selectorELNS0_4arch9wavefront6targetE1EEEvSK_ ; -- Begin function _ZN7rocprim17ROCPRIM_400000_NS6detail17trampoline_kernelINS0_14default_configENS1_35radix_sort_onesweep_config_selectorIbiEEZZNS1_29radix_sort_onesweep_iterationIS3_Lb1EN6thrust23THRUST_200600_302600_NS6detail15normal_iteratorINS8_10device_ptrIbEEEESD_NSA_INSB_IiEEEESF_jNS0_19identity_decomposerENS1_16block_id_wrapperIjLb0EEEEE10hipError_tT1_PNSt15iterator_traitsISK_E10value_typeET2_T3_PNSL_ISQ_E10value_typeET4_T5_PSV_SW_PNS1_23onesweep_lookback_stateEbbT6_jjT7_P12ihipStream_tbENKUlT_T0_SK_SP_E_clIPbSD_PiSF_EEDaS13_S14_SK_SP_EUlS13_E_NS1_11comp_targetILNS1_3genE8ELNS1_11target_archE1030ELNS1_3gpuE2ELNS1_3repE0EEENS1_47radix_sort_onesweep_sort_config_static_selectorELNS0_4arch9wavefront6targetE1EEEvSK_
	.globl	_ZN7rocprim17ROCPRIM_400000_NS6detail17trampoline_kernelINS0_14default_configENS1_35radix_sort_onesweep_config_selectorIbiEEZZNS1_29radix_sort_onesweep_iterationIS3_Lb1EN6thrust23THRUST_200600_302600_NS6detail15normal_iteratorINS8_10device_ptrIbEEEESD_NSA_INSB_IiEEEESF_jNS0_19identity_decomposerENS1_16block_id_wrapperIjLb0EEEEE10hipError_tT1_PNSt15iterator_traitsISK_E10value_typeET2_T3_PNSL_ISQ_E10value_typeET4_T5_PSV_SW_PNS1_23onesweep_lookback_stateEbbT6_jjT7_P12ihipStream_tbENKUlT_T0_SK_SP_E_clIPbSD_PiSF_EEDaS13_S14_SK_SP_EUlS13_E_NS1_11comp_targetILNS1_3genE8ELNS1_11target_archE1030ELNS1_3gpuE2ELNS1_3repE0EEENS1_47radix_sort_onesweep_sort_config_static_selectorELNS0_4arch9wavefront6targetE1EEEvSK_
	.p2align	8
	.type	_ZN7rocprim17ROCPRIM_400000_NS6detail17trampoline_kernelINS0_14default_configENS1_35radix_sort_onesweep_config_selectorIbiEEZZNS1_29radix_sort_onesweep_iterationIS3_Lb1EN6thrust23THRUST_200600_302600_NS6detail15normal_iteratorINS8_10device_ptrIbEEEESD_NSA_INSB_IiEEEESF_jNS0_19identity_decomposerENS1_16block_id_wrapperIjLb0EEEEE10hipError_tT1_PNSt15iterator_traitsISK_E10value_typeET2_T3_PNSL_ISQ_E10value_typeET4_T5_PSV_SW_PNS1_23onesweep_lookback_stateEbbT6_jjT7_P12ihipStream_tbENKUlT_T0_SK_SP_E_clIPbSD_PiSF_EEDaS13_S14_SK_SP_EUlS13_E_NS1_11comp_targetILNS1_3genE8ELNS1_11target_archE1030ELNS1_3gpuE2ELNS1_3repE0EEENS1_47radix_sort_onesweep_sort_config_static_selectorELNS0_4arch9wavefront6targetE1EEEvSK_,@function
_ZN7rocprim17ROCPRIM_400000_NS6detail17trampoline_kernelINS0_14default_configENS1_35radix_sort_onesweep_config_selectorIbiEEZZNS1_29radix_sort_onesweep_iterationIS3_Lb1EN6thrust23THRUST_200600_302600_NS6detail15normal_iteratorINS8_10device_ptrIbEEEESD_NSA_INSB_IiEEEESF_jNS0_19identity_decomposerENS1_16block_id_wrapperIjLb0EEEEE10hipError_tT1_PNSt15iterator_traitsISK_E10value_typeET2_T3_PNSL_ISQ_E10value_typeET4_T5_PSV_SW_PNS1_23onesweep_lookback_stateEbbT6_jjT7_P12ihipStream_tbENKUlT_T0_SK_SP_E_clIPbSD_PiSF_EEDaS13_S14_SK_SP_EUlS13_E_NS1_11comp_targetILNS1_3genE8ELNS1_11target_archE1030ELNS1_3gpuE2ELNS1_3repE0EEENS1_47radix_sort_onesweep_sort_config_static_selectorELNS0_4arch9wavefront6targetE1EEEvSK_: ; @_ZN7rocprim17ROCPRIM_400000_NS6detail17trampoline_kernelINS0_14default_configENS1_35radix_sort_onesweep_config_selectorIbiEEZZNS1_29radix_sort_onesweep_iterationIS3_Lb1EN6thrust23THRUST_200600_302600_NS6detail15normal_iteratorINS8_10device_ptrIbEEEESD_NSA_INSB_IiEEEESF_jNS0_19identity_decomposerENS1_16block_id_wrapperIjLb0EEEEE10hipError_tT1_PNSt15iterator_traitsISK_E10value_typeET2_T3_PNSL_ISQ_E10value_typeET4_T5_PSV_SW_PNS1_23onesweep_lookback_stateEbbT6_jjT7_P12ihipStream_tbENKUlT_T0_SK_SP_E_clIPbSD_PiSF_EEDaS13_S14_SK_SP_EUlS13_E_NS1_11comp_targetILNS1_3genE8ELNS1_11target_archE1030ELNS1_3gpuE2ELNS1_3repE0EEENS1_47radix_sort_onesweep_sort_config_static_selectorELNS0_4arch9wavefront6targetE1EEEvSK_
; %bb.0:
	.section	.rodata,"a",@progbits
	.p2align	6, 0x0
	.amdhsa_kernel _ZN7rocprim17ROCPRIM_400000_NS6detail17trampoline_kernelINS0_14default_configENS1_35radix_sort_onesweep_config_selectorIbiEEZZNS1_29radix_sort_onesweep_iterationIS3_Lb1EN6thrust23THRUST_200600_302600_NS6detail15normal_iteratorINS8_10device_ptrIbEEEESD_NSA_INSB_IiEEEESF_jNS0_19identity_decomposerENS1_16block_id_wrapperIjLb0EEEEE10hipError_tT1_PNSt15iterator_traitsISK_E10value_typeET2_T3_PNSL_ISQ_E10value_typeET4_T5_PSV_SW_PNS1_23onesweep_lookback_stateEbbT6_jjT7_P12ihipStream_tbENKUlT_T0_SK_SP_E_clIPbSD_PiSF_EEDaS13_S14_SK_SP_EUlS13_E_NS1_11comp_targetILNS1_3genE8ELNS1_11target_archE1030ELNS1_3gpuE2ELNS1_3repE0EEENS1_47radix_sort_onesweep_sort_config_static_selectorELNS0_4arch9wavefront6targetE1EEEvSK_
		.amdhsa_group_segment_fixed_size 0
		.amdhsa_private_segment_fixed_size 0
		.amdhsa_kernarg_size 88
		.amdhsa_user_sgpr_count 2
		.amdhsa_user_sgpr_dispatch_ptr 0
		.amdhsa_user_sgpr_queue_ptr 0
		.amdhsa_user_sgpr_kernarg_segment_ptr 1
		.amdhsa_user_sgpr_dispatch_id 0
		.amdhsa_user_sgpr_kernarg_preload_length 0
		.amdhsa_user_sgpr_kernarg_preload_offset 0
		.amdhsa_user_sgpr_private_segment_size 0
		.amdhsa_uses_dynamic_stack 0
		.amdhsa_enable_private_segment 0
		.amdhsa_system_sgpr_workgroup_id_x 1
		.amdhsa_system_sgpr_workgroup_id_y 0
		.amdhsa_system_sgpr_workgroup_id_z 0
		.amdhsa_system_sgpr_workgroup_info 0
		.amdhsa_system_vgpr_workitem_id 0
		.amdhsa_next_free_vgpr 1
		.amdhsa_next_free_sgpr 0
		.amdhsa_accum_offset 4
		.amdhsa_reserve_vcc 0
		.amdhsa_float_round_mode_32 0
		.amdhsa_float_round_mode_16_64 0
		.amdhsa_float_denorm_mode_32 3
		.amdhsa_float_denorm_mode_16_64 3
		.amdhsa_dx10_clamp 1
		.amdhsa_ieee_mode 1
		.amdhsa_fp16_overflow 0
		.amdhsa_tg_split 0
		.amdhsa_exception_fp_ieee_invalid_op 0
		.amdhsa_exception_fp_denorm_src 0
		.amdhsa_exception_fp_ieee_div_zero 0
		.amdhsa_exception_fp_ieee_overflow 0
		.amdhsa_exception_fp_ieee_underflow 0
		.amdhsa_exception_fp_ieee_inexact 0
		.amdhsa_exception_int_div_zero 0
	.end_amdhsa_kernel
	.section	.text._ZN7rocprim17ROCPRIM_400000_NS6detail17trampoline_kernelINS0_14default_configENS1_35radix_sort_onesweep_config_selectorIbiEEZZNS1_29radix_sort_onesweep_iterationIS3_Lb1EN6thrust23THRUST_200600_302600_NS6detail15normal_iteratorINS8_10device_ptrIbEEEESD_NSA_INSB_IiEEEESF_jNS0_19identity_decomposerENS1_16block_id_wrapperIjLb0EEEEE10hipError_tT1_PNSt15iterator_traitsISK_E10value_typeET2_T3_PNSL_ISQ_E10value_typeET4_T5_PSV_SW_PNS1_23onesweep_lookback_stateEbbT6_jjT7_P12ihipStream_tbENKUlT_T0_SK_SP_E_clIPbSD_PiSF_EEDaS13_S14_SK_SP_EUlS13_E_NS1_11comp_targetILNS1_3genE8ELNS1_11target_archE1030ELNS1_3gpuE2ELNS1_3repE0EEENS1_47radix_sort_onesweep_sort_config_static_selectorELNS0_4arch9wavefront6targetE1EEEvSK_,"axG",@progbits,_ZN7rocprim17ROCPRIM_400000_NS6detail17trampoline_kernelINS0_14default_configENS1_35radix_sort_onesweep_config_selectorIbiEEZZNS1_29radix_sort_onesweep_iterationIS3_Lb1EN6thrust23THRUST_200600_302600_NS6detail15normal_iteratorINS8_10device_ptrIbEEEESD_NSA_INSB_IiEEEESF_jNS0_19identity_decomposerENS1_16block_id_wrapperIjLb0EEEEE10hipError_tT1_PNSt15iterator_traitsISK_E10value_typeET2_T3_PNSL_ISQ_E10value_typeET4_T5_PSV_SW_PNS1_23onesweep_lookback_stateEbbT6_jjT7_P12ihipStream_tbENKUlT_T0_SK_SP_E_clIPbSD_PiSF_EEDaS13_S14_SK_SP_EUlS13_E_NS1_11comp_targetILNS1_3genE8ELNS1_11target_archE1030ELNS1_3gpuE2ELNS1_3repE0EEENS1_47radix_sort_onesweep_sort_config_static_selectorELNS0_4arch9wavefront6targetE1EEEvSK_,comdat
.Lfunc_end2271:
	.size	_ZN7rocprim17ROCPRIM_400000_NS6detail17trampoline_kernelINS0_14default_configENS1_35radix_sort_onesweep_config_selectorIbiEEZZNS1_29radix_sort_onesweep_iterationIS3_Lb1EN6thrust23THRUST_200600_302600_NS6detail15normal_iteratorINS8_10device_ptrIbEEEESD_NSA_INSB_IiEEEESF_jNS0_19identity_decomposerENS1_16block_id_wrapperIjLb0EEEEE10hipError_tT1_PNSt15iterator_traitsISK_E10value_typeET2_T3_PNSL_ISQ_E10value_typeET4_T5_PSV_SW_PNS1_23onesweep_lookback_stateEbbT6_jjT7_P12ihipStream_tbENKUlT_T0_SK_SP_E_clIPbSD_PiSF_EEDaS13_S14_SK_SP_EUlS13_E_NS1_11comp_targetILNS1_3genE8ELNS1_11target_archE1030ELNS1_3gpuE2ELNS1_3repE0EEENS1_47radix_sort_onesweep_sort_config_static_selectorELNS0_4arch9wavefront6targetE1EEEvSK_, .Lfunc_end2271-_ZN7rocprim17ROCPRIM_400000_NS6detail17trampoline_kernelINS0_14default_configENS1_35radix_sort_onesweep_config_selectorIbiEEZZNS1_29radix_sort_onesweep_iterationIS3_Lb1EN6thrust23THRUST_200600_302600_NS6detail15normal_iteratorINS8_10device_ptrIbEEEESD_NSA_INSB_IiEEEESF_jNS0_19identity_decomposerENS1_16block_id_wrapperIjLb0EEEEE10hipError_tT1_PNSt15iterator_traitsISK_E10value_typeET2_T3_PNSL_ISQ_E10value_typeET4_T5_PSV_SW_PNS1_23onesweep_lookback_stateEbbT6_jjT7_P12ihipStream_tbENKUlT_T0_SK_SP_E_clIPbSD_PiSF_EEDaS13_S14_SK_SP_EUlS13_E_NS1_11comp_targetILNS1_3genE8ELNS1_11target_archE1030ELNS1_3gpuE2ELNS1_3repE0EEENS1_47radix_sort_onesweep_sort_config_static_selectorELNS0_4arch9wavefront6targetE1EEEvSK_
                                        ; -- End function
	.set _ZN7rocprim17ROCPRIM_400000_NS6detail17trampoline_kernelINS0_14default_configENS1_35radix_sort_onesweep_config_selectorIbiEEZZNS1_29radix_sort_onesweep_iterationIS3_Lb1EN6thrust23THRUST_200600_302600_NS6detail15normal_iteratorINS8_10device_ptrIbEEEESD_NSA_INSB_IiEEEESF_jNS0_19identity_decomposerENS1_16block_id_wrapperIjLb0EEEEE10hipError_tT1_PNSt15iterator_traitsISK_E10value_typeET2_T3_PNSL_ISQ_E10value_typeET4_T5_PSV_SW_PNS1_23onesweep_lookback_stateEbbT6_jjT7_P12ihipStream_tbENKUlT_T0_SK_SP_E_clIPbSD_PiSF_EEDaS13_S14_SK_SP_EUlS13_E_NS1_11comp_targetILNS1_3genE8ELNS1_11target_archE1030ELNS1_3gpuE2ELNS1_3repE0EEENS1_47radix_sort_onesweep_sort_config_static_selectorELNS0_4arch9wavefront6targetE1EEEvSK_.num_vgpr, 0
	.set _ZN7rocprim17ROCPRIM_400000_NS6detail17trampoline_kernelINS0_14default_configENS1_35radix_sort_onesweep_config_selectorIbiEEZZNS1_29radix_sort_onesweep_iterationIS3_Lb1EN6thrust23THRUST_200600_302600_NS6detail15normal_iteratorINS8_10device_ptrIbEEEESD_NSA_INSB_IiEEEESF_jNS0_19identity_decomposerENS1_16block_id_wrapperIjLb0EEEEE10hipError_tT1_PNSt15iterator_traitsISK_E10value_typeET2_T3_PNSL_ISQ_E10value_typeET4_T5_PSV_SW_PNS1_23onesweep_lookback_stateEbbT6_jjT7_P12ihipStream_tbENKUlT_T0_SK_SP_E_clIPbSD_PiSF_EEDaS13_S14_SK_SP_EUlS13_E_NS1_11comp_targetILNS1_3genE8ELNS1_11target_archE1030ELNS1_3gpuE2ELNS1_3repE0EEENS1_47radix_sort_onesweep_sort_config_static_selectorELNS0_4arch9wavefront6targetE1EEEvSK_.num_agpr, 0
	.set _ZN7rocprim17ROCPRIM_400000_NS6detail17trampoline_kernelINS0_14default_configENS1_35radix_sort_onesweep_config_selectorIbiEEZZNS1_29radix_sort_onesweep_iterationIS3_Lb1EN6thrust23THRUST_200600_302600_NS6detail15normal_iteratorINS8_10device_ptrIbEEEESD_NSA_INSB_IiEEEESF_jNS0_19identity_decomposerENS1_16block_id_wrapperIjLb0EEEEE10hipError_tT1_PNSt15iterator_traitsISK_E10value_typeET2_T3_PNSL_ISQ_E10value_typeET4_T5_PSV_SW_PNS1_23onesweep_lookback_stateEbbT6_jjT7_P12ihipStream_tbENKUlT_T0_SK_SP_E_clIPbSD_PiSF_EEDaS13_S14_SK_SP_EUlS13_E_NS1_11comp_targetILNS1_3genE8ELNS1_11target_archE1030ELNS1_3gpuE2ELNS1_3repE0EEENS1_47radix_sort_onesweep_sort_config_static_selectorELNS0_4arch9wavefront6targetE1EEEvSK_.numbered_sgpr, 0
	.set _ZN7rocprim17ROCPRIM_400000_NS6detail17trampoline_kernelINS0_14default_configENS1_35radix_sort_onesweep_config_selectorIbiEEZZNS1_29radix_sort_onesweep_iterationIS3_Lb1EN6thrust23THRUST_200600_302600_NS6detail15normal_iteratorINS8_10device_ptrIbEEEESD_NSA_INSB_IiEEEESF_jNS0_19identity_decomposerENS1_16block_id_wrapperIjLb0EEEEE10hipError_tT1_PNSt15iterator_traitsISK_E10value_typeET2_T3_PNSL_ISQ_E10value_typeET4_T5_PSV_SW_PNS1_23onesweep_lookback_stateEbbT6_jjT7_P12ihipStream_tbENKUlT_T0_SK_SP_E_clIPbSD_PiSF_EEDaS13_S14_SK_SP_EUlS13_E_NS1_11comp_targetILNS1_3genE8ELNS1_11target_archE1030ELNS1_3gpuE2ELNS1_3repE0EEENS1_47radix_sort_onesweep_sort_config_static_selectorELNS0_4arch9wavefront6targetE1EEEvSK_.num_named_barrier, 0
	.set _ZN7rocprim17ROCPRIM_400000_NS6detail17trampoline_kernelINS0_14default_configENS1_35radix_sort_onesweep_config_selectorIbiEEZZNS1_29radix_sort_onesweep_iterationIS3_Lb1EN6thrust23THRUST_200600_302600_NS6detail15normal_iteratorINS8_10device_ptrIbEEEESD_NSA_INSB_IiEEEESF_jNS0_19identity_decomposerENS1_16block_id_wrapperIjLb0EEEEE10hipError_tT1_PNSt15iterator_traitsISK_E10value_typeET2_T3_PNSL_ISQ_E10value_typeET4_T5_PSV_SW_PNS1_23onesweep_lookback_stateEbbT6_jjT7_P12ihipStream_tbENKUlT_T0_SK_SP_E_clIPbSD_PiSF_EEDaS13_S14_SK_SP_EUlS13_E_NS1_11comp_targetILNS1_3genE8ELNS1_11target_archE1030ELNS1_3gpuE2ELNS1_3repE0EEENS1_47radix_sort_onesweep_sort_config_static_selectorELNS0_4arch9wavefront6targetE1EEEvSK_.private_seg_size, 0
	.set _ZN7rocprim17ROCPRIM_400000_NS6detail17trampoline_kernelINS0_14default_configENS1_35radix_sort_onesweep_config_selectorIbiEEZZNS1_29radix_sort_onesweep_iterationIS3_Lb1EN6thrust23THRUST_200600_302600_NS6detail15normal_iteratorINS8_10device_ptrIbEEEESD_NSA_INSB_IiEEEESF_jNS0_19identity_decomposerENS1_16block_id_wrapperIjLb0EEEEE10hipError_tT1_PNSt15iterator_traitsISK_E10value_typeET2_T3_PNSL_ISQ_E10value_typeET4_T5_PSV_SW_PNS1_23onesweep_lookback_stateEbbT6_jjT7_P12ihipStream_tbENKUlT_T0_SK_SP_E_clIPbSD_PiSF_EEDaS13_S14_SK_SP_EUlS13_E_NS1_11comp_targetILNS1_3genE8ELNS1_11target_archE1030ELNS1_3gpuE2ELNS1_3repE0EEENS1_47radix_sort_onesweep_sort_config_static_selectorELNS0_4arch9wavefront6targetE1EEEvSK_.uses_vcc, 0
	.set _ZN7rocprim17ROCPRIM_400000_NS6detail17trampoline_kernelINS0_14default_configENS1_35radix_sort_onesweep_config_selectorIbiEEZZNS1_29radix_sort_onesweep_iterationIS3_Lb1EN6thrust23THRUST_200600_302600_NS6detail15normal_iteratorINS8_10device_ptrIbEEEESD_NSA_INSB_IiEEEESF_jNS0_19identity_decomposerENS1_16block_id_wrapperIjLb0EEEEE10hipError_tT1_PNSt15iterator_traitsISK_E10value_typeET2_T3_PNSL_ISQ_E10value_typeET4_T5_PSV_SW_PNS1_23onesweep_lookback_stateEbbT6_jjT7_P12ihipStream_tbENKUlT_T0_SK_SP_E_clIPbSD_PiSF_EEDaS13_S14_SK_SP_EUlS13_E_NS1_11comp_targetILNS1_3genE8ELNS1_11target_archE1030ELNS1_3gpuE2ELNS1_3repE0EEENS1_47radix_sort_onesweep_sort_config_static_selectorELNS0_4arch9wavefront6targetE1EEEvSK_.uses_flat_scratch, 0
	.set _ZN7rocprim17ROCPRIM_400000_NS6detail17trampoline_kernelINS0_14default_configENS1_35radix_sort_onesweep_config_selectorIbiEEZZNS1_29radix_sort_onesweep_iterationIS3_Lb1EN6thrust23THRUST_200600_302600_NS6detail15normal_iteratorINS8_10device_ptrIbEEEESD_NSA_INSB_IiEEEESF_jNS0_19identity_decomposerENS1_16block_id_wrapperIjLb0EEEEE10hipError_tT1_PNSt15iterator_traitsISK_E10value_typeET2_T3_PNSL_ISQ_E10value_typeET4_T5_PSV_SW_PNS1_23onesweep_lookback_stateEbbT6_jjT7_P12ihipStream_tbENKUlT_T0_SK_SP_E_clIPbSD_PiSF_EEDaS13_S14_SK_SP_EUlS13_E_NS1_11comp_targetILNS1_3genE8ELNS1_11target_archE1030ELNS1_3gpuE2ELNS1_3repE0EEENS1_47radix_sort_onesweep_sort_config_static_selectorELNS0_4arch9wavefront6targetE1EEEvSK_.has_dyn_sized_stack, 0
	.set _ZN7rocprim17ROCPRIM_400000_NS6detail17trampoline_kernelINS0_14default_configENS1_35radix_sort_onesweep_config_selectorIbiEEZZNS1_29radix_sort_onesweep_iterationIS3_Lb1EN6thrust23THRUST_200600_302600_NS6detail15normal_iteratorINS8_10device_ptrIbEEEESD_NSA_INSB_IiEEEESF_jNS0_19identity_decomposerENS1_16block_id_wrapperIjLb0EEEEE10hipError_tT1_PNSt15iterator_traitsISK_E10value_typeET2_T3_PNSL_ISQ_E10value_typeET4_T5_PSV_SW_PNS1_23onesweep_lookback_stateEbbT6_jjT7_P12ihipStream_tbENKUlT_T0_SK_SP_E_clIPbSD_PiSF_EEDaS13_S14_SK_SP_EUlS13_E_NS1_11comp_targetILNS1_3genE8ELNS1_11target_archE1030ELNS1_3gpuE2ELNS1_3repE0EEENS1_47radix_sort_onesweep_sort_config_static_selectorELNS0_4arch9wavefront6targetE1EEEvSK_.has_recursion, 0
	.set _ZN7rocprim17ROCPRIM_400000_NS6detail17trampoline_kernelINS0_14default_configENS1_35radix_sort_onesweep_config_selectorIbiEEZZNS1_29radix_sort_onesweep_iterationIS3_Lb1EN6thrust23THRUST_200600_302600_NS6detail15normal_iteratorINS8_10device_ptrIbEEEESD_NSA_INSB_IiEEEESF_jNS0_19identity_decomposerENS1_16block_id_wrapperIjLb0EEEEE10hipError_tT1_PNSt15iterator_traitsISK_E10value_typeET2_T3_PNSL_ISQ_E10value_typeET4_T5_PSV_SW_PNS1_23onesweep_lookback_stateEbbT6_jjT7_P12ihipStream_tbENKUlT_T0_SK_SP_E_clIPbSD_PiSF_EEDaS13_S14_SK_SP_EUlS13_E_NS1_11comp_targetILNS1_3genE8ELNS1_11target_archE1030ELNS1_3gpuE2ELNS1_3repE0EEENS1_47radix_sort_onesweep_sort_config_static_selectorELNS0_4arch9wavefront6targetE1EEEvSK_.has_indirect_call, 0
	.section	.AMDGPU.csdata,"",@progbits
; Kernel info:
; codeLenInByte = 0
; TotalNumSgprs: 6
; NumVgprs: 0
; NumAgprs: 0
; TotalNumVgprs: 0
; ScratchSize: 0
; MemoryBound: 0
; FloatMode: 240
; IeeeMode: 1
; LDSByteSize: 0 bytes/workgroup (compile time only)
; SGPRBlocks: 0
; VGPRBlocks: 0
; NumSGPRsForWavesPerEU: 6
; NumVGPRsForWavesPerEU: 1
; AccumOffset: 4
; Occupancy: 8
; WaveLimiterHint : 0
; COMPUTE_PGM_RSRC2:SCRATCH_EN: 0
; COMPUTE_PGM_RSRC2:USER_SGPR: 2
; COMPUTE_PGM_RSRC2:TRAP_HANDLER: 0
; COMPUTE_PGM_RSRC2:TGID_X_EN: 1
; COMPUTE_PGM_RSRC2:TGID_Y_EN: 0
; COMPUTE_PGM_RSRC2:TGID_Z_EN: 0
; COMPUTE_PGM_RSRC2:TIDIG_COMP_CNT: 0
; COMPUTE_PGM_RSRC3_GFX90A:ACCUM_OFFSET: 0
; COMPUTE_PGM_RSRC3_GFX90A:TG_SPLIT: 0
	.section	.text._ZN7rocprim17ROCPRIM_400000_NS6detail17trampoline_kernelINS0_13kernel_configILj256ELj4ELj4294967295EEENS1_37radix_sort_block_sort_config_selectorIisEEZNS1_21radix_sort_block_sortIS4_Lb0EN6thrust23THRUST_200600_302600_NS10device_ptrIiEESB_NSA_IsEESC_NS0_19identity_decomposerEEE10hipError_tT1_T2_T3_T4_jRjT5_jjP12ihipStream_tbEUlT_E_NS1_11comp_targetILNS1_3genE0ELNS1_11target_archE4294967295ELNS1_3gpuE0ELNS1_3repE0EEENS1_44radix_sort_block_sort_config_static_selectorELNS0_4arch9wavefront6targetE1EEEvSF_,"axG",@progbits,_ZN7rocprim17ROCPRIM_400000_NS6detail17trampoline_kernelINS0_13kernel_configILj256ELj4ELj4294967295EEENS1_37radix_sort_block_sort_config_selectorIisEEZNS1_21radix_sort_block_sortIS4_Lb0EN6thrust23THRUST_200600_302600_NS10device_ptrIiEESB_NSA_IsEESC_NS0_19identity_decomposerEEE10hipError_tT1_T2_T3_T4_jRjT5_jjP12ihipStream_tbEUlT_E_NS1_11comp_targetILNS1_3genE0ELNS1_11target_archE4294967295ELNS1_3gpuE0ELNS1_3repE0EEENS1_44radix_sort_block_sort_config_static_selectorELNS0_4arch9wavefront6targetE1EEEvSF_,comdat
	.protected	_ZN7rocprim17ROCPRIM_400000_NS6detail17trampoline_kernelINS0_13kernel_configILj256ELj4ELj4294967295EEENS1_37radix_sort_block_sort_config_selectorIisEEZNS1_21radix_sort_block_sortIS4_Lb0EN6thrust23THRUST_200600_302600_NS10device_ptrIiEESB_NSA_IsEESC_NS0_19identity_decomposerEEE10hipError_tT1_T2_T3_T4_jRjT5_jjP12ihipStream_tbEUlT_E_NS1_11comp_targetILNS1_3genE0ELNS1_11target_archE4294967295ELNS1_3gpuE0ELNS1_3repE0EEENS1_44radix_sort_block_sort_config_static_selectorELNS0_4arch9wavefront6targetE1EEEvSF_ ; -- Begin function _ZN7rocprim17ROCPRIM_400000_NS6detail17trampoline_kernelINS0_13kernel_configILj256ELj4ELj4294967295EEENS1_37radix_sort_block_sort_config_selectorIisEEZNS1_21radix_sort_block_sortIS4_Lb0EN6thrust23THRUST_200600_302600_NS10device_ptrIiEESB_NSA_IsEESC_NS0_19identity_decomposerEEE10hipError_tT1_T2_T3_T4_jRjT5_jjP12ihipStream_tbEUlT_E_NS1_11comp_targetILNS1_3genE0ELNS1_11target_archE4294967295ELNS1_3gpuE0ELNS1_3repE0EEENS1_44radix_sort_block_sort_config_static_selectorELNS0_4arch9wavefront6targetE1EEEvSF_
	.globl	_ZN7rocprim17ROCPRIM_400000_NS6detail17trampoline_kernelINS0_13kernel_configILj256ELj4ELj4294967295EEENS1_37radix_sort_block_sort_config_selectorIisEEZNS1_21radix_sort_block_sortIS4_Lb0EN6thrust23THRUST_200600_302600_NS10device_ptrIiEESB_NSA_IsEESC_NS0_19identity_decomposerEEE10hipError_tT1_T2_T3_T4_jRjT5_jjP12ihipStream_tbEUlT_E_NS1_11comp_targetILNS1_3genE0ELNS1_11target_archE4294967295ELNS1_3gpuE0ELNS1_3repE0EEENS1_44radix_sort_block_sort_config_static_selectorELNS0_4arch9wavefront6targetE1EEEvSF_
	.p2align	8
	.type	_ZN7rocprim17ROCPRIM_400000_NS6detail17trampoline_kernelINS0_13kernel_configILj256ELj4ELj4294967295EEENS1_37radix_sort_block_sort_config_selectorIisEEZNS1_21radix_sort_block_sortIS4_Lb0EN6thrust23THRUST_200600_302600_NS10device_ptrIiEESB_NSA_IsEESC_NS0_19identity_decomposerEEE10hipError_tT1_T2_T3_T4_jRjT5_jjP12ihipStream_tbEUlT_E_NS1_11comp_targetILNS1_3genE0ELNS1_11target_archE4294967295ELNS1_3gpuE0ELNS1_3repE0EEENS1_44radix_sort_block_sort_config_static_selectorELNS0_4arch9wavefront6targetE1EEEvSF_,@function
_ZN7rocprim17ROCPRIM_400000_NS6detail17trampoline_kernelINS0_13kernel_configILj256ELj4ELj4294967295EEENS1_37radix_sort_block_sort_config_selectorIisEEZNS1_21radix_sort_block_sortIS4_Lb0EN6thrust23THRUST_200600_302600_NS10device_ptrIiEESB_NSA_IsEESC_NS0_19identity_decomposerEEE10hipError_tT1_T2_T3_T4_jRjT5_jjP12ihipStream_tbEUlT_E_NS1_11comp_targetILNS1_3genE0ELNS1_11target_archE4294967295ELNS1_3gpuE0ELNS1_3repE0EEENS1_44radix_sort_block_sort_config_static_selectorELNS0_4arch9wavefront6targetE1EEEvSF_: ; @_ZN7rocprim17ROCPRIM_400000_NS6detail17trampoline_kernelINS0_13kernel_configILj256ELj4ELj4294967295EEENS1_37radix_sort_block_sort_config_selectorIisEEZNS1_21radix_sort_block_sortIS4_Lb0EN6thrust23THRUST_200600_302600_NS10device_ptrIiEESB_NSA_IsEESC_NS0_19identity_decomposerEEE10hipError_tT1_T2_T3_T4_jRjT5_jjP12ihipStream_tbEUlT_E_NS1_11comp_targetILNS1_3genE0ELNS1_11target_archE4294967295ELNS1_3gpuE0ELNS1_3repE0EEENS1_44radix_sort_block_sort_config_static_selectorELNS0_4arch9wavefront6targetE1EEEvSF_
; %bb.0:
	s_load_dword s4, s[0:1], 0x20
	s_load_dwordx8 s[36:43], s[0:1], 0x0
	s_lshl_b32 s28, s2, 10
	s_mov_b32 s29, 0
	v_mbcnt_lo_u32_b32 v1, -1, 0
	s_waitcnt lgkmcnt(0)
	s_lshr_b32 s3, s4, 10
	s_cmp_lg_u32 s2, s3
	v_and_b32_e32 v6, 0x3ff, v0
	s_cselect_b64 s[30:31], -1, 0
	s_lshl_b64 s[34:35], s[28:29], 2
	v_mbcnt_hi_u32_b32 v23, -1, v1
	s_add_u32 s6, s36, s34
	v_and_b32_e32 v1, 63, v23
	v_lshlrev_b32_e32 v8, 2, v6
	s_addc_u32 s7, s37, s35
	v_and_b32_e32 v7, 0x300, v8
	v_mov_b32_e32 v11, 0
	v_lshlrev_b32_e32 v10, 2, v1
	v_lshl_add_u64 v[2:3], s[6:7], 0, v[10:11]
	v_lshlrev_b32_e32 v10, 2, v7
	s_cmp_eq_u32 s2, s3
	v_lshl_add_u64 v[18:19], v[2:3], 0, v[10:11]
	v_lshlrev_b32_e32 v14, 1, v1
	v_lshlrev_b32_e32 v12, 1, v7
	s_cbranch_scc1 .LBB2272_2
; %bb.1:
	s_lshl_b64 s[2:3], s[28:29], 1
	s_add_u32 s2, s40, s2
	s_addc_u32 s3, s41, s3
	v_mov_b32_e32 v15, v11
	v_lshl_add_u64 v[2:3], s[2:3], 0, v[14:15]
	v_mov_b32_e32 v13, v11
	v_lshl_add_u64 v[20:21], v[2:3], 0, v[12:13]
	global_load_ushort v9, v[20:21], off
	global_load_ushort v11, v[20:21], off offset:128
	global_load_dword v2, v[18:19], off
	global_load_dword v3, v[18:19], off offset:256
	global_load_dword v4, v[18:19], off offset:512
	;; [unrolled: 1-line block ×3, first 2 shown]
	global_load_ushort v17, v[20:21], off offset:256
	s_mov_b32 s5, 0x5040100
	s_mov_b64 s[6:7], -1
	s_waitcnt vmcnt(5)
	v_perm_b32 v16, v11, v9, s5
	s_load_dwordx2 s[36:37], s[0:1], 0x28
	s_sub_i32 s33, s4, s28
	s_cbranch_execz .LBB2272_3
	s_branch .LBB2272_16
.LBB2272_2:
	s_mov_b64 s[6:7], 0
                                        ; implicit-def: $vgpr2_vgpr3_vgpr4_vgpr5
                                        ; implicit-def: $vgpr16_vgpr17
	s_load_dwordx2 s[36:37], s[0:1], 0x28
	s_sub_i32 s33, s4, s28
.LBB2272_3:
	v_or_b32_e32 v7, v1, v7
	s_waitcnt vmcnt(4)
	v_bfrev_b32_e32 v2, -2
	v_cmp_gt_u32_e32 vcc, s33, v7
	s_waitcnt vmcnt(3)
	v_mov_b32_e32 v3, v2
	s_waitcnt vmcnt(2)
	v_mov_b32_e32 v4, v2
	s_waitcnt vmcnt(1)
	v_mov_b32_e32 v5, v2
	s_and_saveexec_b64 s[2:3], vcc
	s_cbranch_execz .LBB2272_5
; %bb.4:
	global_load_dword v24, v[18:19], off
	v_mov_b32_e32 v25, v2
	v_mov_b32_e32 v26, v2
	v_mov_b32_e32 v27, v2
	s_waitcnt vmcnt(0)
	v_mov_b64_e32 v[2:3], v[24:25]
	v_mov_b64_e32 v[4:5], v[26:27]
.LBB2272_5:
	s_or_b64 exec, exec, s[2:3]
	v_or_b32_e32 v9, 64, v7
	v_cmp_gt_u32_e64 s[4:5], s33, v9
	s_and_saveexec_b64 s[2:3], s[4:5]
	s_cbranch_execz .LBB2272_7
; %bb.6:
	global_load_dword v3, v[18:19], off offset:256
.LBB2272_7:
	s_or_b64 exec, exec, s[2:3]
	v_or_b32_e32 v9, 0x80, v7
	v_cmp_gt_u32_e64 s[2:3], s33, v9
	s_and_saveexec_b64 s[6:7], s[2:3]
	s_cbranch_execz .LBB2272_9
; %bb.8:
	global_load_dword v4, v[18:19], off offset:512
.LBB2272_9:
	;; [unrolled: 8-line block ×3, first 2 shown]
	s_or_b64 exec, exec, s[8:9]
	s_lshl_b64 s[8:9], s[28:29], 1
	s_add_u32 s8, s40, s8
	s_addc_u32 s9, s41, s9
	v_mov_b32_e32 v15, 0
	s_waitcnt vmcnt(0)
	v_lshl_add_u64 v[16:17], s[8:9], 0, v[14:15]
	v_mov_b32_e32 v13, v15
	v_lshl_add_u64 v[18:19], v[16:17], 0, v[12:13]
	v_mov_b32_e32 v16, v15
	v_mov_b32_e32 v17, v15
	s_and_saveexec_b64 s[8:9], vcc
	s_cbranch_execnz .LBB2272_55
; %bb.12:
	s_or_b64 exec, exec, s[8:9]
	s_and_saveexec_b64 s[8:9], s[4:5]
	s_cbranch_execnz .LBB2272_56
.LBB2272_13:
	s_or_b64 exec, exec, s[8:9]
	s_and_saveexec_b64 s[4:5], s[2:3]
	s_cbranch_execz .LBB2272_15
.LBB2272_14:
	global_load_ushort v7, v[18:19], off offset:256
	s_mov_b32 s2, 0xffff
	s_waitcnt vmcnt(0)
	v_bfi_b32 v17, s2, v7, v17
.LBB2272_15:
	s_or_b64 exec, exec, s[4:5]
.LBB2272_16:
	s_and_saveexec_b64 s[2:3], s[6:7]
	s_cbranch_execz .LBB2272_18
; %bb.17:
	s_lshl_b64 s[4:5], s[28:29], 1
	s_add_u32 s4, s40, s4
	s_addc_u32 s5, s41, s5
	v_mov_b32_e32 v15, 0
	v_lshl_add_u64 v[18:19], s[4:5], 0, v[14:15]
	v_mov_b32_e32 v13, v15
	v_lshl_add_u64 v[14:15], v[18:19], 0, v[12:13]
	global_load_ushort v7, v[14:15], off offset:384
	s_mov_b32 s4, 0x5040100
	s_waitcnt vmcnt(0)
	v_perm_b32 v17, v7, v17, s4
.LBB2272_18:
	s_or_b64 exec, exec, s[2:3]
	s_load_dword s2, s[0:1], 0x3c
	s_waitcnt lgkmcnt(0)
	s_add_i32 s40, s37, s36
	s_getpc_b64 s[0:1]
	s_add_u32 s0, s0, _ZN7rocprim17ROCPRIM_400000_NS16block_radix_sortIiLj256ELj4EsLj1ELj1ELj0ELNS0_26block_radix_rank_algorithmE1ELNS0_18block_padding_hintE2ELNS0_4arch9wavefront6targetE1EE19radix_bits_per_passE@rel32@lo+4
	s_addc_u32 s1, s1, _ZN7rocprim17ROCPRIM_400000_NS16block_radix_sortIiLj256ELj4EsLj1ELj1ELj0ELNS0_26block_radix_rank_algorithmE1ELNS0_18block_padding_hintE2ELNS0_4arch9wavefront6targetE1EE19radix_bits_per_passE@rel32@hi+12
	s_waitcnt vmcnt(2)
	v_xor_b32_e32 v18, 0x80000000, v4
	s_load_dword s41, s[0:1], 0x0
	s_lshr_b32 s0, s2, 16
	v_bfe_u32 v4, v0, 10, 10
	v_bfe_u32 v0, v0, 20, 10
	s_and_b32 s1, s2, 0xffff
	v_mad_u32_u24 v0, v0, s0, v4
	s_waitcnt vmcnt(1)
	v_xor_b32_e32 v19, 0x80000000, v5
	v_mad_u64_u32 v[4:5], s[0:1], v0, s1, v[6:7]
	v_lshrrev_b32_e32 v0, 4, v4
	v_and_b32_e32 v9, 0xffffffc, v0
	v_and_b32_e32 v0, 15, v23
	v_cmp_eq_u32_e64 s[0:1], 0, v0
	v_cmp_lt_u32_e64 s[2:3], 1, v0
	v_cmp_lt_u32_e64 s[4:5], 3, v0
	;; [unrolled: 1-line block ×3, first 2 shown]
	v_and_b32_e32 v0, 16, v23
	v_cmp_eq_u32_e64 s[8:9], 0, v0
	v_and_b32_e32 v0, 0x3c0, v6
	v_min_u32_e32 v0, 0xc0, v0
	v_or_b32_e32 v0, 63, v0
	v_cmp_eq_u32_e64 s[12:13], v6, v0
	v_subrev_co_u32_e64 v0, s[18:19], 1, v23
	v_and_b32_e32 v4, 64, v23
	v_cmp_lt_i32_e32 vcc, v0, v4
	s_mov_b32 s26, 0
	s_mov_b32 s27, s26
	v_cndmask_b32_e32 v0, v0, v23, vcc
	v_lshlrev_b32_e32 v21, 2, v0
	v_lshrrev_b32_e32 v0, 4, v6
	v_and_b32_e32 v22, 60, v0
	v_and_b32_e32 v0, 3, v23
	v_cmp_eq_u32_e64 s[22:23], 0, v0
	v_cmp_lt_u32_e64 s[24:25], 1, v0
	v_sub_u32_e32 v0, v10, v12
	s_mov_b32 s44, s26
	s_mov_b32 s45, s26
	v_xor_b32_e32 v2, 0x80000000, v2
	v_xor_b32_e32 v3, 0x80000000, v3
	v_lshlrev_b32_e32 v7, 4, v6
	v_cmp_lt_u32_e64 s[10:11], 31, v23
	v_cmp_gt_u32_e64 s[14:15], 4, v6
	v_cmp_lt_u32_e64 s[16:17], 63, v6
	v_cmp_eq_u32_e64 s[20:21], 0, v6
	v_mul_i32_i24_e32 v20, -12, v6
	v_add_u32_e32 v23, -4, v22
	v_lshl_add_u32 v24, v1, 2, v10
	v_lshl_add_u32 v25, v1, 1, v0
	v_mov_b64_e32 v[10:11], s[26:27]
	v_mov_b64_e32 v[12:13], s[44:45]
	v_mov_b32_e32 v15, 0
	s_mov_b32 s44, 0x5040100
	s_branch .LBB2272_20
.LBB2272_19:                            ;   in Loop: Header=BB2272_20 Depth=1
	s_andn2_b64 vcc, exec, s[26:27]
	s_mov_b32 s37, s45
	s_cbranch_vccz .LBB2272_36
.LBB2272_20:                            ; =>This Inner Loop Header: Depth=1
	v_mov_b32_e32 v29, v2
	s_waitcnt lgkmcnt(0)
	s_min_u32 s26, s41, s37
	s_lshl_b32 s45, -1, s26
	v_lshrrev_b32_e32 v0, s36, v29
	v_bitop3_b32 v2, v0, s45, v0 bitop3:0x30
	v_and_b32_e32 v14, 1, v2
	v_lshl_add_u64 v[0:1], v[14:15], 0, -1
	v_cmp_ne_u32_e32 vcc, 0, v14
	s_waitcnt vmcnt(0)
	v_mov_b64_e32 v[4:5], v[16:17]
	v_mov_b32_e32 v28, v3
	v_xor_b32_e32 v1, vcc_hi, v1
	v_xor_b32_e32 v0, vcc_lo, v0
	v_and_b32_e32 v14, exec_hi, v1
	v_and_b32_e32 v16, exec_lo, v0
	v_lshlrev_b32_e32 v1, 30, v2
	v_mov_b32_e32 v0, v15
	v_cmp_gt_i64_e32 vcc, 0, v[0:1]
	v_not_b32_e32 v0, v1
	v_ashrrev_i32_e32 v0, 31, v0
	v_xor_b32_e32 v1, vcc_hi, v0
	v_xor_b32_e32 v0, vcc_lo, v0
	v_and_b32_e32 v14, v14, v1
	v_and_b32_e32 v16, v16, v0
	v_lshlrev_b32_e32 v1, 29, v2
	v_mov_b32_e32 v0, v15
	v_cmp_gt_i64_e32 vcc, 0, v[0:1]
	v_not_b32_e32 v0, v1
	v_ashrrev_i32_e32 v0, 31, v0
	v_xor_b32_e32 v1, vcc_hi, v0
	v_xor_b32_e32 v0, vcc_lo, v0
	v_and_b32_e32 v14, v14, v1
	v_and_b32_e32 v16, v16, v0
	;; [unrolled: 9-line block ×6, first 2 shown]
	v_lshlrev_b32_e32 v1, 24, v2
	v_mov_b32_e32 v0, v15
	v_cmp_gt_i64_e32 vcc, 0, v[0:1]
	v_not_b32_e32 v0, v1
	v_ashrrev_i32_e32 v0, 31, v0
	v_xor_b32_e32 v1, vcc_hi, v0
	v_xor_b32_e32 v0, vcc_lo, v0
	v_and_b32_e32 v0, v16, v0
	v_lshlrev_b32_e32 v3, 4, v2
	v_and_b32_e32 v1, v14, v1
	v_mbcnt_lo_u32_b32 v2, v0, 0
	v_mbcnt_hi_u32_b32 v16, v1, v2
	v_cmp_eq_u32_e32 vcc, 0, v16
	v_cmp_ne_u64_e64 s[26:27], 0, v[0:1]
	v_mov_b32_e32 v26, v19
	v_mov_b32_e32 v27, v18
	s_and_b64 s[46:47], s[26:27], vcc
	v_add_u32_e32 v17, v9, v3
	ds_write2_b64 v7, v[10:11], v[12:13] offset0:2 offset1:3
	s_waitcnt lgkmcnt(0)
	s_barrier
	; wave barrier
	s_and_saveexec_b64 s[26:27], s[46:47]
; %bb.21:                               ;   in Loop: Header=BB2272_20 Depth=1
	v_bcnt_u32_b32 v0, v0, 0
	v_bcnt_u32_b32 v0, v1, v0
	ds_write_b32 v17, v0 offset:16
; %bb.22:                               ;   in Loop: Header=BB2272_20 Depth=1
	s_or_b64 exec, exec, s[26:27]
	s_not_b32 s45, s45
	v_lshrrev_b32_e32 v0, s36, v28
	v_and_b32_e32 v2, s45, v0
	v_lshlrev_b32_e32 v0, 4, v2
	v_and_b32_e32 v14, 1, v2
	v_add_u32_e32 v19, v9, v0
	v_lshl_add_u64 v[0:1], v[14:15], 0, -1
	v_cmp_ne_u32_e32 vcc, 0, v14
	; wave barrier
	s_nop 1
	v_xor_b32_e32 v1, vcc_hi, v1
	v_xor_b32_e32 v0, vcc_lo, v0
	v_and_b32_e32 v3, exec_hi, v1
	v_and_b32_e32 v14, exec_lo, v0
	v_lshlrev_b32_e32 v1, 30, v2
	v_mov_b32_e32 v0, v15
	v_cmp_gt_i64_e32 vcc, 0, v[0:1]
	v_not_b32_e32 v0, v1
	v_ashrrev_i32_e32 v0, 31, v0
	v_xor_b32_e32 v1, vcc_hi, v0
	v_xor_b32_e32 v0, vcc_lo, v0
	v_and_b32_e32 v3, v3, v1
	v_and_b32_e32 v14, v14, v0
	v_lshlrev_b32_e32 v1, 29, v2
	v_mov_b32_e32 v0, v15
	v_cmp_gt_i64_e32 vcc, 0, v[0:1]
	v_not_b32_e32 v0, v1
	v_ashrrev_i32_e32 v0, 31, v0
	v_xor_b32_e32 v1, vcc_hi, v0
	v_xor_b32_e32 v0, vcc_lo, v0
	v_and_b32_e32 v3, v3, v1
	v_and_b32_e32 v14, v14, v0
	;; [unrolled: 9-line block ×6, first 2 shown]
	v_lshlrev_b32_e32 v1, 24, v2
	v_mov_b32_e32 v0, v15
	v_cmp_gt_i64_e32 vcc, 0, v[0:1]
	v_not_b32_e32 v0, v1
	v_ashrrev_i32_e32 v0, 31, v0
	v_xor_b32_e32 v1, vcc_hi, v0
	v_xor_b32_e32 v0, vcc_lo, v0
	ds_read_b32 v18, v19 offset:16
	v_and_b32_e32 v0, v14, v0
	v_and_b32_e32 v1, v3, v1
	v_mbcnt_lo_u32_b32 v2, v0, 0
	v_mbcnt_hi_u32_b32 v30, v1, v2
	v_cmp_eq_u32_e32 vcc, 0, v30
	v_cmp_ne_u64_e64 s[26:27], 0, v[0:1]
	s_and_b64 s[46:47], s[26:27], vcc
	; wave barrier
	s_and_saveexec_b64 s[26:27], s[46:47]
	s_cbranch_execz .LBB2272_24
; %bb.23:                               ;   in Loop: Header=BB2272_20 Depth=1
	v_bcnt_u32_b32 v0, v0, 0
	v_bcnt_u32_b32 v0, v1, v0
	s_waitcnt lgkmcnt(0)
	v_add_u32_e32 v0, v18, v0
	ds_write_b32 v19, v0 offset:16
.LBB2272_24:                            ;   in Loop: Header=BB2272_20 Depth=1
	s_or_b64 exec, exec, s[26:27]
	v_lshrrev_b32_e32 v0, s36, v27
	v_and_b32_e32 v2, s45, v0
	v_lshlrev_b32_e32 v0, 4, v2
	v_and_b32_e32 v14, 1, v2
	v_add_u32_e32 v32, v9, v0
	v_lshl_add_u64 v[0:1], v[14:15], 0, -1
	v_cmp_ne_u32_e32 vcc, 0, v14
	; wave barrier
	s_nop 1
	v_xor_b32_e32 v1, vcc_hi, v1
	v_xor_b32_e32 v0, vcc_lo, v0
	v_and_b32_e32 v3, exec_hi, v1
	v_and_b32_e32 v14, exec_lo, v0
	v_lshlrev_b32_e32 v1, 30, v2
	v_mov_b32_e32 v0, v15
	v_cmp_gt_i64_e32 vcc, 0, v[0:1]
	v_not_b32_e32 v0, v1
	v_ashrrev_i32_e32 v0, 31, v0
	v_xor_b32_e32 v1, vcc_hi, v0
	v_xor_b32_e32 v0, vcc_lo, v0
	v_and_b32_e32 v3, v3, v1
	v_and_b32_e32 v14, v14, v0
	v_lshlrev_b32_e32 v1, 29, v2
	v_mov_b32_e32 v0, v15
	v_cmp_gt_i64_e32 vcc, 0, v[0:1]
	v_not_b32_e32 v0, v1
	v_ashrrev_i32_e32 v0, 31, v0
	v_xor_b32_e32 v1, vcc_hi, v0
	v_xor_b32_e32 v0, vcc_lo, v0
	v_and_b32_e32 v3, v3, v1
	v_and_b32_e32 v14, v14, v0
	v_lshlrev_b32_e32 v1, 28, v2
	v_mov_b32_e32 v0, v15
	v_cmp_gt_i64_e32 vcc, 0, v[0:1]
	v_not_b32_e32 v0, v1
	v_ashrrev_i32_e32 v0, 31, v0
	v_xor_b32_e32 v1, vcc_hi, v0
	v_xor_b32_e32 v0, vcc_lo, v0
	v_and_b32_e32 v3, v3, v1
	v_and_b32_e32 v14, v14, v0
	v_lshlrev_b32_e32 v1, 27, v2
	v_mov_b32_e32 v0, v15
	v_cmp_gt_i64_e32 vcc, 0, v[0:1]
	v_not_b32_e32 v0, v1
	v_ashrrev_i32_e32 v0, 31, v0
	v_xor_b32_e32 v1, vcc_hi, v0
	v_xor_b32_e32 v0, vcc_lo, v0
	v_and_b32_e32 v3, v3, v1
	v_and_b32_e32 v14, v14, v0
	v_lshlrev_b32_e32 v1, 26, v2
	v_mov_b32_e32 v0, v15
	v_cmp_gt_i64_e32 vcc, 0, v[0:1]
	v_not_b32_e32 v0, v1
	v_ashrrev_i32_e32 v0, 31, v0
	v_xor_b32_e32 v1, vcc_hi, v0
	v_xor_b32_e32 v0, vcc_lo, v0
	v_and_b32_e32 v3, v3, v1
	v_and_b32_e32 v14, v14, v0
	v_lshlrev_b32_e32 v1, 25, v2
	v_mov_b32_e32 v0, v15
	v_cmp_gt_i64_e32 vcc, 0, v[0:1]
	v_not_b32_e32 v0, v1
	v_ashrrev_i32_e32 v0, 31, v0
	v_xor_b32_e32 v1, vcc_hi, v0
	v_xor_b32_e32 v0, vcc_lo, v0
	v_and_b32_e32 v3, v3, v1
	v_and_b32_e32 v14, v14, v0
	v_lshlrev_b32_e32 v1, 24, v2
	v_mov_b32_e32 v0, v15
	v_cmp_gt_i64_e32 vcc, 0, v[0:1]
	v_not_b32_e32 v0, v1
	v_ashrrev_i32_e32 v0, 31, v0
	v_xor_b32_e32 v1, vcc_hi, v0
	v_xor_b32_e32 v0, vcc_lo, v0
	ds_read_b32 v31, v32 offset:16
	v_and_b32_e32 v0, v14, v0
	v_and_b32_e32 v1, v3, v1
	v_mbcnt_lo_u32_b32 v2, v0, 0
	v_mbcnt_hi_u32_b32 v33, v1, v2
	v_cmp_eq_u32_e32 vcc, 0, v33
	v_cmp_ne_u64_e64 s[26:27], 0, v[0:1]
	s_and_b64 s[46:47], s[26:27], vcc
	; wave barrier
	s_and_saveexec_b64 s[26:27], s[46:47]
	s_cbranch_execz .LBB2272_26
; %bb.25:                               ;   in Loop: Header=BB2272_20 Depth=1
	v_bcnt_u32_b32 v0, v0, 0
	v_bcnt_u32_b32 v0, v1, v0
	s_waitcnt lgkmcnt(0)
	v_add_u32_e32 v0, v31, v0
	ds_write_b32 v32, v0 offset:16
.LBB2272_26:                            ;   in Loop: Header=BB2272_20 Depth=1
	s_or_b64 exec, exec, s[26:27]
	v_lshrrev_b32_e32 v0, s36, v26
	v_and_b32_e32 v2, s45, v0
	v_lshlrev_b32_e32 v0, 4, v2
	v_and_b32_e32 v14, 1, v2
	v_add_u32_e32 v35, v9, v0
	v_lshl_add_u64 v[0:1], v[14:15], 0, -1
	v_cmp_ne_u32_e32 vcc, 0, v14
	; wave barrier
	s_nop 1
	v_xor_b32_e32 v1, vcc_hi, v1
	v_xor_b32_e32 v0, vcc_lo, v0
	v_and_b32_e32 v3, exec_hi, v1
	v_and_b32_e32 v14, exec_lo, v0
	v_lshlrev_b32_e32 v1, 30, v2
	v_mov_b32_e32 v0, v15
	v_cmp_gt_i64_e32 vcc, 0, v[0:1]
	v_not_b32_e32 v0, v1
	v_ashrrev_i32_e32 v0, 31, v0
	v_xor_b32_e32 v1, vcc_hi, v0
	v_xor_b32_e32 v0, vcc_lo, v0
	v_and_b32_e32 v3, v3, v1
	v_and_b32_e32 v14, v14, v0
	v_lshlrev_b32_e32 v1, 29, v2
	v_mov_b32_e32 v0, v15
	v_cmp_gt_i64_e32 vcc, 0, v[0:1]
	v_not_b32_e32 v0, v1
	v_ashrrev_i32_e32 v0, 31, v0
	v_xor_b32_e32 v1, vcc_hi, v0
	v_xor_b32_e32 v0, vcc_lo, v0
	v_and_b32_e32 v3, v3, v1
	v_and_b32_e32 v14, v14, v0
	v_lshlrev_b32_e32 v1, 28, v2
	v_mov_b32_e32 v0, v15
	v_cmp_gt_i64_e32 vcc, 0, v[0:1]
	v_not_b32_e32 v0, v1
	v_ashrrev_i32_e32 v0, 31, v0
	v_xor_b32_e32 v1, vcc_hi, v0
	v_xor_b32_e32 v0, vcc_lo, v0
	v_and_b32_e32 v3, v3, v1
	v_and_b32_e32 v14, v14, v0
	v_lshlrev_b32_e32 v1, 27, v2
	v_mov_b32_e32 v0, v15
	v_cmp_gt_i64_e32 vcc, 0, v[0:1]
	v_not_b32_e32 v0, v1
	v_ashrrev_i32_e32 v0, 31, v0
	v_xor_b32_e32 v1, vcc_hi, v0
	v_xor_b32_e32 v0, vcc_lo, v0
	v_and_b32_e32 v3, v3, v1
	v_and_b32_e32 v14, v14, v0
	v_lshlrev_b32_e32 v1, 26, v2
	v_mov_b32_e32 v0, v15
	v_cmp_gt_i64_e32 vcc, 0, v[0:1]
	v_not_b32_e32 v0, v1
	v_ashrrev_i32_e32 v0, 31, v0
	v_xor_b32_e32 v1, vcc_hi, v0
	v_xor_b32_e32 v0, vcc_lo, v0
	v_and_b32_e32 v3, v3, v1
	v_and_b32_e32 v14, v14, v0
	v_lshlrev_b32_e32 v1, 25, v2
	v_mov_b32_e32 v0, v15
	v_cmp_gt_i64_e32 vcc, 0, v[0:1]
	v_not_b32_e32 v0, v1
	v_ashrrev_i32_e32 v0, 31, v0
	v_xor_b32_e32 v1, vcc_hi, v0
	v_xor_b32_e32 v0, vcc_lo, v0
	v_and_b32_e32 v3, v3, v1
	v_and_b32_e32 v14, v14, v0
	v_lshlrev_b32_e32 v1, 24, v2
	v_mov_b32_e32 v0, v15
	v_cmp_gt_i64_e32 vcc, 0, v[0:1]
	v_not_b32_e32 v0, v1
	v_ashrrev_i32_e32 v0, 31, v0
	v_xor_b32_e32 v1, vcc_hi, v0
	v_xor_b32_e32 v0, vcc_lo, v0
	ds_read_b32 v34, v35 offset:16
	v_and_b32_e32 v0, v14, v0
	v_and_b32_e32 v1, v3, v1
	v_mbcnt_lo_u32_b32 v2, v0, 0
	v_mbcnt_hi_u32_b32 v36, v1, v2
	v_cmp_eq_u32_e32 vcc, 0, v36
	v_cmp_ne_u64_e64 s[26:27], 0, v[0:1]
	s_and_b64 s[46:47], s[26:27], vcc
	; wave barrier
	s_and_saveexec_b64 s[26:27], s[46:47]
	s_cbranch_execz .LBB2272_28
; %bb.27:                               ;   in Loop: Header=BB2272_20 Depth=1
	v_bcnt_u32_b32 v0, v0, 0
	v_bcnt_u32_b32 v0, v1, v0
	s_waitcnt lgkmcnt(0)
	v_add_u32_e32 v0, v34, v0
	ds_write_b32 v35, v0 offset:16
.LBB2272_28:                            ;   in Loop: Header=BB2272_20 Depth=1
	s_or_b64 exec, exec, s[26:27]
	; wave barrier
	s_waitcnt lgkmcnt(0)
	s_barrier
	ds_read2_b64 v[0:3], v7 offset0:2 offset1:3
	s_waitcnt lgkmcnt(0)
	v_add_u32_e32 v14, v1, v0
	v_add3_u32 v3, v14, v2, v3
	s_nop 1
	v_mov_b32_dpp v14, v3 row_shr:1 row_mask:0xf bank_mask:0xf
	v_cndmask_b32_e64 v14, v14, 0, s[0:1]
	v_add_u32_e32 v3, v14, v3
	s_nop 1
	v_mov_b32_dpp v14, v3 row_shr:2 row_mask:0xf bank_mask:0xf
	v_cndmask_b32_e64 v14, 0, v14, s[2:3]
	v_add_u32_e32 v3, v3, v14
	;; [unrolled: 4-line block ×4, first 2 shown]
	s_nop 1
	v_mov_b32_dpp v14, v3 row_bcast:15 row_mask:0xf bank_mask:0xf
	v_cndmask_b32_e64 v14, v14, 0, s[8:9]
	v_add_u32_e32 v3, v3, v14
	s_nop 1
	v_mov_b32_dpp v14, v3 row_bcast:31 row_mask:0xf bank_mask:0xf
	v_cndmask_b32_e64 v14, 0, v14, s[10:11]
	v_add_u32_e32 v3, v3, v14
	s_and_saveexec_b64 s[26:27], s[12:13]
; %bb.29:                               ;   in Loop: Header=BB2272_20 Depth=1
	ds_write_b32 v22, v3
; %bb.30:                               ;   in Loop: Header=BB2272_20 Depth=1
	s_or_b64 exec, exec, s[26:27]
	s_waitcnt lgkmcnt(0)
	s_barrier
	s_and_saveexec_b64 s[26:27], s[14:15]
	s_cbranch_execz .LBB2272_32
; %bb.31:                               ;   in Loop: Header=BB2272_20 Depth=1
	v_add_u32_e32 v14, v7, v20
	ds_read_b32 v37, v14
	s_waitcnt lgkmcnt(0)
	s_nop 0
	v_mov_b32_dpp v38, v37 row_shr:1 row_mask:0xf bank_mask:0xf
	v_cndmask_b32_e64 v38, v38, 0, s[22:23]
	v_add_u32_e32 v37, v38, v37
	s_nop 1
	v_mov_b32_dpp v38, v37 row_shr:2 row_mask:0xf bank_mask:0xf
	v_cndmask_b32_e64 v38, 0, v38, s[24:25]
	v_add_u32_e32 v37, v37, v38
	ds_write_b32 v14, v37
.LBB2272_32:                            ;   in Loop: Header=BB2272_20 Depth=1
	s_or_b64 exec, exec, s[26:27]
	v_mov_b32_e32 v14, 0
	s_waitcnt lgkmcnt(0)
	s_barrier
	s_and_saveexec_b64 s[26:27], s[16:17]
; %bb.33:                               ;   in Loop: Header=BB2272_20 Depth=1
	ds_read_b32 v14, v23
; %bb.34:                               ;   in Loop: Header=BB2272_20 Depth=1
	s_or_b64 exec, exec, s[26:27]
	s_waitcnt lgkmcnt(0)
	v_add_u32_e32 v3, v14, v3
	ds_bpermute_b32 v3, v21, v3
	s_add_i32 s36, s36, 8
	s_cmp_ge_u32 s36, s40
	s_mov_b64 s[26:27], -1
	s_waitcnt lgkmcnt(0)
	v_cndmask_b32_e64 v3, v3, v14, s[18:19]
	v_cndmask_b32_e64 v38, v3, 0, s[20:21]
	v_add_u32_e32 v39, v38, v0
	v_add_u32_e32 v0, v39, v1
	;; [unrolled: 1-line block ×3, first 2 shown]
	ds_write2_b64 v7, v[38:39], v[0:1] offset0:2 offset1:3
	s_waitcnt lgkmcnt(0)
	s_barrier
	ds_read_b32 v0, v17 offset:16
	ds_read_b32 v1, v19 offset:16
	;; [unrolled: 1-line block ×4, first 2 shown]
	s_waitcnt lgkmcnt(0)
	v_add_u32_e32 v32, v0, v16
	v_add3_u32 v14, v30, v18, v1
	v_add3_u32 v1, v33, v31, v2
	;; [unrolled: 1-line block ×3, first 2 shown]
	v_lshlrev_b32_e32 v34, 2, v32
	v_lshlrev_b32_e32 v33, 2, v14
	;; [unrolled: 1-line block ×4, first 2 shown]
	v_readfirstlane_b32 s45, v0
                                        ; implicit-def: $vgpr19
                                        ; implicit-def: $vgpr3
                                        ; implicit-def: $vgpr16_vgpr17
	s_cbranch_scc1 .LBB2272_19
; %bb.35:                               ;   in Loop: Header=BB2272_20 Depth=1
	v_lshlrev_b32_e32 v16, 1, v32
	v_sub_u32_e32 v16, v34, v16
	s_barrier
	ds_write_b32 v34, v29
	ds_write_b32 v33, v28
	;; [unrolled: 1-line block ×4, first 2 shown]
	s_waitcnt lgkmcnt(0)
	s_barrier
	ds_read2st64_b32 v[2:3], v24 offset1:1
	ds_read2st64_b32 v[18:19], v24 offset0:2 offset1:3
	s_waitcnt lgkmcnt(0)
	s_barrier
	ds_write_b16 v16, v4
	v_lshlrev_b32_e32 v16, 1, v14
	v_sub_u32_e32 v16, v33, v16
	ds_write_b16_d16_hi v16, v4
	v_lshlrev_b32_e32 v16, 1, v1
	v_sub_u32_e32 v16, v31, v16
	ds_write_b16 v16, v5
	v_lshlrev_b32_e32 v16, 1, v0
	v_sub_u32_e32 v16, v30, v16
	ds_write_b16_d16_hi v16, v5
	s_waitcnt lgkmcnt(0)
	s_barrier
	ds_read_u16 v16, v25
	ds_read_u16 v17, v25 offset:256
	ds_read_u16 v35, v25 offset:384
	;; [unrolled: 1-line block ×3, first 2 shown]
	s_add_i32 s45, s37, -8
	s_mov_b64 s[26:27], 0
	s_waitcnt lgkmcnt(0)
	v_perm_b32 v17, v35, v17, s44
	v_perm_b32 v16, v36, v16, s44
	s_barrier
	s_branch .LBB2272_19
.LBB2272_36:
	v_add_u32_e32 v7, v7, v20
	s_barrier
	ds_write_b32 v34, v29
	ds_write_b32 v33, v28
	;; [unrolled: 1-line block ×4, first 2 shown]
	s_waitcnt lgkmcnt(0)
	s_barrier
	ds_read2st64_b32 v[2:3], v7 offset1:4
	ds_read2st64_b32 v[16:17], v7 offset0:8 offset1:12
	v_lshlrev_b32_e32 v7, 1, v32
	v_sub_u32_e32 v7, v34, v7
	s_waitcnt lgkmcnt(0)
	s_barrier
	ds_write_b16 v7, v4
	v_lshlrev_b32_e32 v7, 1, v14
	v_lshlrev_b32_e32 v1, 1, v1
	;; [unrolled: 1-line block ×3, first 2 shown]
	v_sub_u32_e32 v7, v33, v7
	v_sub_u32_e32 v1, v31, v1
	;; [unrolled: 1-line block ×3, first 2 shown]
	ds_write_b16_d16_hi v7, v4
	ds_write_b16 v1, v5
	ds_write_b16_d16_hi v0, v5
	v_lshlrev_b32_e32 v0, 1, v6
	s_waitcnt lgkmcnt(0)
	s_barrier
	ds_read_u16 v10, v0
	ds_read_u16 v7, v0 offset:512
	ds_read_u16 v5, v0 offset:1024
	;; [unrolled: 1-line block ×3, first 2 shown]
	s_add_u32 s0, s38, s34
	s_addc_u32 s1, s39, s35
	v_mov_b32_e32 v9, 0
	v_xor_b32_e32 v13, 0x80000000, v2
	v_xor_b32_e32 v12, 0x80000000, v3
	;; [unrolled: 1-line block ×4, first 2 shown]
	s_andn2_b64 vcc, exec, s[30:31]
	v_lshl_add_u64 v[2:3], s[0:1], 0, v[8:9]
	s_cbranch_vccnz .LBB2272_38
; %bb.37:
	s_lshl_b64 s[0:1], s[28:29], 1
	s_add_u32 s0, s42, s0
	s_addc_u32 s1, s43, s1
	global_store_dword v[2:3], v13, off
	global_store_dword v[2:3], v12, off offset:1024
	global_store_dword v[2:3], v11, off offset:2048
	;; [unrolled: 1-line block ×3, first 2 shown]
	s_waitcnt lgkmcnt(3)
	global_store_short v0, v10, s[0:1]
	s_waitcnt lgkmcnt(2)
	global_store_short v0, v7, s[0:1] offset:512
	s_waitcnt lgkmcnt(1)
	global_store_short v0, v5, s[0:1] offset:1024
	s_mov_b64 s[4:5], -1
	s_cbranch_execz .LBB2272_39
	s_branch .LBB2272_52
.LBB2272_38:
	s_mov_b64 s[4:5], 0
.LBB2272_39:
	v_cmp_gt_u32_e32 vcc, s33, v6
	s_and_saveexec_b64 s[0:1], vcc
	s_cbranch_execz .LBB2272_41
; %bb.40:
	global_store_dword v[2:3], v13, off
.LBB2272_41:
	s_or_b64 exec, exec, s[0:1]
	v_add_u32_e32 v8, 0x100, v6
	v_cmp_gt_u32_e64 s[0:1], s33, v8
	s_and_saveexec_b64 s[2:3], s[0:1]
	s_cbranch_execz .LBB2272_43
; %bb.42:
	global_store_dword v[2:3], v12, off offset:1024
.LBB2272_43:
	s_or_b64 exec, exec, s[2:3]
	v_add_u32_e32 v8, 0x200, v6
	v_cmp_gt_u32_e64 s[2:3], s33, v8
	s_and_saveexec_b64 s[4:5], s[2:3]
	s_cbranch_execz .LBB2272_45
; %bb.44:
	global_store_dword v[2:3], v11, off offset:2048
.LBB2272_45:
	;; [unrolled: 8-line block ×3, first 2 shown]
	s_or_b64 exec, exec, s[6:7]
	s_lshl_b64 s[6:7], s[28:29], 1
	s_add_u32 s6, s42, s6
	s_addc_u32 s7, s43, s7
	v_mov_b32_e32 v1, 0
	v_lshl_add_u64 v[2:3], s[6:7], 0, v[0:1]
	s_and_saveexec_b64 s[6:7], vcc
	s_cbranch_execnz .LBB2272_57
; %bb.48:
	s_or_b64 exec, exec, s[6:7]
	s_and_saveexec_b64 s[6:7], s[0:1]
	s_cbranch_execnz .LBB2272_58
.LBB2272_49:
	s_or_b64 exec, exec, s[6:7]
	s_and_saveexec_b64 s[0:1], s[2:3]
	s_cbranch_execz .LBB2272_51
.LBB2272_50:
	s_waitcnt lgkmcnt(1)
	global_store_short v[2:3], v5, off offset:1024
.LBB2272_51:
	s_or_b64 exec, exec, s[0:1]
.LBB2272_52:
	s_and_saveexec_b64 s[0:1], s[4:5]
	s_cbranch_execnz .LBB2272_54
; %bb.53:
	s_endpgm
.LBB2272_54:
	s_lshl_b64 s[0:1], s[28:29], 1
	s_add_u32 s0, s42, s0
	s_addc_u32 s1, s43, s1
	s_waitcnt lgkmcnt(0)
	global_store_short v0, v4, s[0:1] offset:1536
	s_endpgm
.LBB2272_55:
	global_load_ushort v7, v[18:19], off
	v_mov_b32_e32 v17, v15
	s_waitcnt vmcnt(0)
	v_and_b32_e32 v16, 0xffff, v7
	s_or_b64 exec, exec, s[8:9]
	s_and_saveexec_b64 s[8:9], s[4:5]
	s_cbranch_execz .LBB2272_13
.LBB2272_56:
	global_load_ushort v7, v[18:19], off offset:128
	s_mov_b32 s4, 0x5040100
	s_waitcnt vmcnt(0)
	v_perm_b32 v16, v7, v16, s4
	s_or_b64 exec, exec, s[8:9]
	s_and_saveexec_b64 s[4:5], s[2:3]
	s_cbranch_execnz .LBB2272_14
	s_branch .LBB2272_15
.LBB2272_57:
	s_waitcnt lgkmcnt(3)
	global_store_short v[2:3], v10, off
	s_or_b64 exec, exec, s[6:7]
	s_and_saveexec_b64 s[6:7], s[0:1]
	s_cbranch_execz .LBB2272_49
.LBB2272_58:
	s_waitcnt lgkmcnt(2)
	global_store_short v[2:3], v7, off offset:512
	s_or_b64 exec, exec, s[6:7]
	s_and_saveexec_b64 s[0:1], s[2:3]
	s_cbranch_execnz .LBB2272_50
	s_branch .LBB2272_51
	.section	.rodata,"a",@progbits
	.p2align	6, 0x0
	.amdhsa_kernel _ZN7rocprim17ROCPRIM_400000_NS6detail17trampoline_kernelINS0_13kernel_configILj256ELj4ELj4294967295EEENS1_37radix_sort_block_sort_config_selectorIisEEZNS1_21radix_sort_block_sortIS4_Lb0EN6thrust23THRUST_200600_302600_NS10device_ptrIiEESB_NSA_IsEESC_NS0_19identity_decomposerEEE10hipError_tT1_T2_T3_T4_jRjT5_jjP12ihipStream_tbEUlT_E_NS1_11comp_targetILNS1_3genE0ELNS1_11target_archE4294967295ELNS1_3gpuE0ELNS1_3repE0EEENS1_44radix_sort_block_sort_config_static_selectorELNS0_4arch9wavefront6targetE1EEEvSF_
		.amdhsa_group_segment_fixed_size 4112
		.amdhsa_private_segment_fixed_size 0
		.amdhsa_kernarg_size 304
		.amdhsa_user_sgpr_count 2
		.amdhsa_user_sgpr_dispatch_ptr 0
		.amdhsa_user_sgpr_queue_ptr 0
		.amdhsa_user_sgpr_kernarg_segment_ptr 1
		.amdhsa_user_sgpr_dispatch_id 0
		.amdhsa_user_sgpr_kernarg_preload_length 0
		.amdhsa_user_sgpr_kernarg_preload_offset 0
		.amdhsa_user_sgpr_private_segment_size 0
		.amdhsa_uses_dynamic_stack 0
		.amdhsa_enable_private_segment 0
		.amdhsa_system_sgpr_workgroup_id_x 1
		.amdhsa_system_sgpr_workgroup_id_y 0
		.amdhsa_system_sgpr_workgroup_id_z 0
		.amdhsa_system_sgpr_workgroup_info 0
		.amdhsa_system_vgpr_workitem_id 2
		.amdhsa_next_free_vgpr 40
		.amdhsa_next_free_sgpr 48
		.amdhsa_accum_offset 40
		.amdhsa_reserve_vcc 1
		.amdhsa_float_round_mode_32 0
		.amdhsa_float_round_mode_16_64 0
		.amdhsa_float_denorm_mode_32 3
		.amdhsa_float_denorm_mode_16_64 3
		.amdhsa_dx10_clamp 1
		.amdhsa_ieee_mode 1
		.amdhsa_fp16_overflow 0
		.amdhsa_tg_split 0
		.amdhsa_exception_fp_ieee_invalid_op 0
		.amdhsa_exception_fp_denorm_src 0
		.amdhsa_exception_fp_ieee_div_zero 0
		.amdhsa_exception_fp_ieee_overflow 0
		.amdhsa_exception_fp_ieee_underflow 0
		.amdhsa_exception_fp_ieee_inexact 0
		.amdhsa_exception_int_div_zero 0
	.end_amdhsa_kernel
	.section	.text._ZN7rocprim17ROCPRIM_400000_NS6detail17trampoline_kernelINS0_13kernel_configILj256ELj4ELj4294967295EEENS1_37radix_sort_block_sort_config_selectorIisEEZNS1_21radix_sort_block_sortIS4_Lb0EN6thrust23THRUST_200600_302600_NS10device_ptrIiEESB_NSA_IsEESC_NS0_19identity_decomposerEEE10hipError_tT1_T2_T3_T4_jRjT5_jjP12ihipStream_tbEUlT_E_NS1_11comp_targetILNS1_3genE0ELNS1_11target_archE4294967295ELNS1_3gpuE0ELNS1_3repE0EEENS1_44radix_sort_block_sort_config_static_selectorELNS0_4arch9wavefront6targetE1EEEvSF_,"axG",@progbits,_ZN7rocprim17ROCPRIM_400000_NS6detail17trampoline_kernelINS0_13kernel_configILj256ELj4ELj4294967295EEENS1_37radix_sort_block_sort_config_selectorIisEEZNS1_21radix_sort_block_sortIS4_Lb0EN6thrust23THRUST_200600_302600_NS10device_ptrIiEESB_NSA_IsEESC_NS0_19identity_decomposerEEE10hipError_tT1_T2_T3_T4_jRjT5_jjP12ihipStream_tbEUlT_E_NS1_11comp_targetILNS1_3genE0ELNS1_11target_archE4294967295ELNS1_3gpuE0ELNS1_3repE0EEENS1_44radix_sort_block_sort_config_static_selectorELNS0_4arch9wavefront6targetE1EEEvSF_,comdat
.Lfunc_end2272:
	.size	_ZN7rocprim17ROCPRIM_400000_NS6detail17trampoline_kernelINS0_13kernel_configILj256ELj4ELj4294967295EEENS1_37radix_sort_block_sort_config_selectorIisEEZNS1_21radix_sort_block_sortIS4_Lb0EN6thrust23THRUST_200600_302600_NS10device_ptrIiEESB_NSA_IsEESC_NS0_19identity_decomposerEEE10hipError_tT1_T2_T3_T4_jRjT5_jjP12ihipStream_tbEUlT_E_NS1_11comp_targetILNS1_3genE0ELNS1_11target_archE4294967295ELNS1_3gpuE0ELNS1_3repE0EEENS1_44radix_sort_block_sort_config_static_selectorELNS0_4arch9wavefront6targetE1EEEvSF_, .Lfunc_end2272-_ZN7rocprim17ROCPRIM_400000_NS6detail17trampoline_kernelINS0_13kernel_configILj256ELj4ELj4294967295EEENS1_37radix_sort_block_sort_config_selectorIisEEZNS1_21radix_sort_block_sortIS4_Lb0EN6thrust23THRUST_200600_302600_NS10device_ptrIiEESB_NSA_IsEESC_NS0_19identity_decomposerEEE10hipError_tT1_T2_T3_T4_jRjT5_jjP12ihipStream_tbEUlT_E_NS1_11comp_targetILNS1_3genE0ELNS1_11target_archE4294967295ELNS1_3gpuE0ELNS1_3repE0EEENS1_44radix_sort_block_sort_config_static_selectorELNS0_4arch9wavefront6targetE1EEEvSF_
                                        ; -- End function
	.set _ZN7rocprim17ROCPRIM_400000_NS6detail17trampoline_kernelINS0_13kernel_configILj256ELj4ELj4294967295EEENS1_37radix_sort_block_sort_config_selectorIisEEZNS1_21radix_sort_block_sortIS4_Lb0EN6thrust23THRUST_200600_302600_NS10device_ptrIiEESB_NSA_IsEESC_NS0_19identity_decomposerEEE10hipError_tT1_T2_T3_T4_jRjT5_jjP12ihipStream_tbEUlT_E_NS1_11comp_targetILNS1_3genE0ELNS1_11target_archE4294967295ELNS1_3gpuE0ELNS1_3repE0EEENS1_44radix_sort_block_sort_config_static_selectorELNS0_4arch9wavefront6targetE1EEEvSF_.num_vgpr, 40
	.set _ZN7rocprim17ROCPRIM_400000_NS6detail17trampoline_kernelINS0_13kernel_configILj256ELj4ELj4294967295EEENS1_37radix_sort_block_sort_config_selectorIisEEZNS1_21radix_sort_block_sortIS4_Lb0EN6thrust23THRUST_200600_302600_NS10device_ptrIiEESB_NSA_IsEESC_NS0_19identity_decomposerEEE10hipError_tT1_T2_T3_T4_jRjT5_jjP12ihipStream_tbEUlT_E_NS1_11comp_targetILNS1_3genE0ELNS1_11target_archE4294967295ELNS1_3gpuE0ELNS1_3repE0EEENS1_44radix_sort_block_sort_config_static_selectorELNS0_4arch9wavefront6targetE1EEEvSF_.num_agpr, 0
	.set _ZN7rocprim17ROCPRIM_400000_NS6detail17trampoline_kernelINS0_13kernel_configILj256ELj4ELj4294967295EEENS1_37radix_sort_block_sort_config_selectorIisEEZNS1_21radix_sort_block_sortIS4_Lb0EN6thrust23THRUST_200600_302600_NS10device_ptrIiEESB_NSA_IsEESC_NS0_19identity_decomposerEEE10hipError_tT1_T2_T3_T4_jRjT5_jjP12ihipStream_tbEUlT_E_NS1_11comp_targetILNS1_3genE0ELNS1_11target_archE4294967295ELNS1_3gpuE0ELNS1_3repE0EEENS1_44radix_sort_block_sort_config_static_selectorELNS0_4arch9wavefront6targetE1EEEvSF_.numbered_sgpr, 48
	.set _ZN7rocprim17ROCPRIM_400000_NS6detail17trampoline_kernelINS0_13kernel_configILj256ELj4ELj4294967295EEENS1_37radix_sort_block_sort_config_selectorIisEEZNS1_21radix_sort_block_sortIS4_Lb0EN6thrust23THRUST_200600_302600_NS10device_ptrIiEESB_NSA_IsEESC_NS0_19identity_decomposerEEE10hipError_tT1_T2_T3_T4_jRjT5_jjP12ihipStream_tbEUlT_E_NS1_11comp_targetILNS1_3genE0ELNS1_11target_archE4294967295ELNS1_3gpuE0ELNS1_3repE0EEENS1_44radix_sort_block_sort_config_static_selectorELNS0_4arch9wavefront6targetE1EEEvSF_.num_named_barrier, 0
	.set _ZN7rocprim17ROCPRIM_400000_NS6detail17trampoline_kernelINS0_13kernel_configILj256ELj4ELj4294967295EEENS1_37radix_sort_block_sort_config_selectorIisEEZNS1_21radix_sort_block_sortIS4_Lb0EN6thrust23THRUST_200600_302600_NS10device_ptrIiEESB_NSA_IsEESC_NS0_19identity_decomposerEEE10hipError_tT1_T2_T3_T4_jRjT5_jjP12ihipStream_tbEUlT_E_NS1_11comp_targetILNS1_3genE0ELNS1_11target_archE4294967295ELNS1_3gpuE0ELNS1_3repE0EEENS1_44radix_sort_block_sort_config_static_selectorELNS0_4arch9wavefront6targetE1EEEvSF_.private_seg_size, 0
	.set _ZN7rocprim17ROCPRIM_400000_NS6detail17trampoline_kernelINS0_13kernel_configILj256ELj4ELj4294967295EEENS1_37radix_sort_block_sort_config_selectorIisEEZNS1_21radix_sort_block_sortIS4_Lb0EN6thrust23THRUST_200600_302600_NS10device_ptrIiEESB_NSA_IsEESC_NS0_19identity_decomposerEEE10hipError_tT1_T2_T3_T4_jRjT5_jjP12ihipStream_tbEUlT_E_NS1_11comp_targetILNS1_3genE0ELNS1_11target_archE4294967295ELNS1_3gpuE0ELNS1_3repE0EEENS1_44radix_sort_block_sort_config_static_selectorELNS0_4arch9wavefront6targetE1EEEvSF_.uses_vcc, 1
	.set _ZN7rocprim17ROCPRIM_400000_NS6detail17trampoline_kernelINS0_13kernel_configILj256ELj4ELj4294967295EEENS1_37radix_sort_block_sort_config_selectorIisEEZNS1_21radix_sort_block_sortIS4_Lb0EN6thrust23THRUST_200600_302600_NS10device_ptrIiEESB_NSA_IsEESC_NS0_19identity_decomposerEEE10hipError_tT1_T2_T3_T4_jRjT5_jjP12ihipStream_tbEUlT_E_NS1_11comp_targetILNS1_3genE0ELNS1_11target_archE4294967295ELNS1_3gpuE0ELNS1_3repE0EEENS1_44radix_sort_block_sort_config_static_selectorELNS0_4arch9wavefront6targetE1EEEvSF_.uses_flat_scratch, 0
	.set _ZN7rocprim17ROCPRIM_400000_NS6detail17trampoline_kernelINS0_13kernel_configILj256ELj4ELj4294967295EEENS1_37radix_sort_block_sort_config_selectorIisEEZNS1_21radix_sort_block_sortIS4_Lb0EN6thrust23THRUST_200600_302600_NS10device_ptrIiEESB_NSA_IsEESC_NS0_19identity_decomposerEEE10hipError_tT1_T2_T3_T4_jRjT5_jjP12ihipStream_tbEUlT_E_NS1_11comp_targetILNS1_3genE0ELNS1_11target_archE4294967295ELNS1_3gpuE0ELNS1_3repE0EEENS1_44radix_sort_block_sort_config_static_selectorELNS0_4arch9wavefront6targetE1EEEvSF_.has_dyn_sized_stack, 0
	.set _ZN7rocprim17ROCPRIM_400000_NS6detail17trampoline_kernelINS0_13kernel_configILj256ELj4ELj4294967295EEENS1_37radix_sort_block_sort_config_selectorIisEEZNS1_21radix_sort_block_sortIS4_Lb0EN6thrust23THRUST_200600_302600_NS10device_ptrIiEESB_NSA_IsEESC_NS0_19identity_decomposerEEE10hipError_tT1_T2_T3_T4_jRjT5_jjP12ihipStream_tbEUlT_E_NS1_11comp_targetILNS1_3genE0ELNS1_11target_archE4294967295ELNS1_3gpuE0ELNS1_3repE0EEENS1_44radix_sort_block_sort_config_static_selectorELNS0_4arch9wavefront6targetE1EEEvSF_.has_recursion, 0
	.set _ZN7rocprim17ROCPRIM_400000_NS6detail17trampoline_kernelINS0_13kernel_configILj256ELj4ELj4294967295EEENS1_37radix_sort_block_sort_config_selectorIisEEZNS1_21radix_sort_block_sortIS4_Lb0EN6thrust23THRUST_200600_302600_NS10device_ptrIiEESB_NSA_IsEESC_NS0_19identity_decomposerEEE10hipError_tT1_T2_T3_T4_jRjT5_jjP12ihipStream_tbEUlT_E_NS1_11comp_targetILNS1_3genE0ELNS1_11target_archE4294967295ELNS1_3gpuE0ELNS1_3repE0EEENS1_44radix_sort_block_sort_config_static_selectorELNS0_4arch9wavefront6targetE1EEEvSF_.has_indirect_call, 0
	.section	.AMDGPU.csdata,"",@progbits
; Kernel info:
; codeLenInByte = 4032
; TotalNumSgprs: 54
; NumVgprs: 40
; NumAgprs: 0
; TotalNumVgprs: 40
; ScratchSize: 0
; MemoryBound: 0
; FloatMode: 240
; IeeeMode: 1
; LDSByteSize: 4112 bytes/workgroup (compile time only)
; SGPRBlocks: 6
; VGPRBlocks: 4
; NumSGPRsForWavesPerEU: 54
; NumVGPRsForWavesPerEU: 40
; AccumOffset: 40
; Occupancy: 8
; WaveLimiterHint : 1
; COMPUTE_PGM_RSRC2:SCRATCH_EN: 0
; COMPUTE_PGM_RSRC2:USER_SGPR: 2
; COMPUTE_PGM_RSRC2:TRAP_HANDLER: 0
; COMPUTE_PGM_RSRC2:TGID_X_EN: 1
; COMPUTE_PGM_RSRC2:TGID_Y_EN: 0
; COMPUTE_PGM_RSRC2:TGID_Z_EN: 0
; COMPUTE_PGM_RSRC2:TIDIG_COMP_CNT: 2
; COMPUTE_PGM_RSRC3_GFX90A:ACCUM_OFFSET: 9
; COMPUTE_PGM_RSRC3_GFX90A:TG_SPLIT: 0
	.section	.text._ZN7rocprim17ROCPRIM_400000_NS6detail17trampoline_kernelINS0_13kernel_configILj256ELj4ELj4294967295EEENS1_37radix_sort_block_sort_config_selectorIisEEZNS1_21radix_sort_block_sortIS4_Lb0EN6thrust23THRUST_200600_302600_NS10device_ptrIiEESB_NSA_IsEESC_NS0_19identity_decomposerEEE10hipError_tT1_T2_T3_T4_jRjT5_jjP12ihipStream_tbEUlT_E_NS1_11comp_targetILNS1_3genE5ELNS1_11target_archE942ELNS1_3gpuE9ELNS1_3repE0EEENS1_44radix_sort_block_sort_config_static_selectorELNS0_4arch9wavefront6targetE1EEEvSF_,"axG",@progbits,_ZN7rocprim17ROCPRIM_400000_NS6detail17trampoline_kernelINS0_13kernel_configILj256ELj4ELj4294967295EEENS1_37radix_sort_block_sort_config_selectorIisEEZNS1_21radix_sort_block_sortIS4_Lb0EN6thrust23THRUST_200600_302600_NS10device_ptrIiEESB_NSA_IsEESC_NS0_19identity_decomposerEEE10hipError_tT1_T2_T3_T4_jRjT5_jjP12ihipStream_tbEUlT_E_NS1_11comp_targetILNS1_3genE5ELNS1_11target_archE942ELNS1_3gpuE9ELNS1_3repE0EEENS1_44radix_sort_block_sort_config_static_selectorELNS0_4arch9wavefront6targetE1EEEvSF_,comdat
	.protected	_ZN7rocprim17ROCPRIM_400000_NS6detail17trampoline_kernelINS0_13kernel_configILj256ELj4ELj4294967295EEENS1_37radix_sort_block_sort_config_selectorIisEEZNS1_21radix_sort_block_sortIS4_Lb0EN6thrust23THRUST_200600_302600_NS10device_ptrIiEESB_NSA_IsEESC_NS0_19identity_decomposerEEE10hipError_tT1_T2_T3_T4_jRjT5_jjP12ihipStream_tbEUlT_E_NS1_11comp_targetILNS1_3genE5ELNS1_11target_archE942ELNS1_3gpuE9ELNS1_3repE0EEENS1_44radix_sort_block_sort_config_static_selectorELNS0_4arch9wavefront6targetE1EEEvSF_ ; -- Begin function _ZN7rocprim17ROCPRIM_400000_NS6detail17trampoline_kernelINS0_13kernel_configILj256ELj4ELj4294967295EEENS1_37radix_sort_block_sort_config_selectorIisEEZNS1_21radix_sort_block_sortIS4_Lb0EN6thrust23THRUST_200600_302600_NS10device_ptrIiEESB_NSA_IsEESC_NS0_19identity_decomposerEEE10hipError_tT1_T2_T3_T4_jRjT5_jjP12ihipStream_tbEUlT_E_NS1_11comp_targetILNS1_3genE5ELNS1_11target_archE942ELNS1_3gpuE9ELNS1_3repE0EEENS1_44radix_sort_block_sort_config_static_selectorELNS0_4arch9wavefront6targetE1EEEvSF_
	.globl	_ZN7rocprim17ROCPRIM_400000_NS6detail17trampoline_kernelINS0_13kernel_configILj256ELj4ELj4294967295EEENS1_37radix_sort_block_sort_config_selectorIisEEZNS1_21radix_sort_block_sortIS4_Lb0EN6thrust23THRUST_200600_302600_NS10device_ptrIiEESB_NSA_IsEESC_NS0_19identity_decomposerEEE10hipError_tT1_T2_T3_T4_jRjT5_jjP12ihipStream_tbEUlT_E_NS1_11comp_targetILNS1_3genE5ELNS1_11target_archE942ELNS1_3gpuE9ELNS1_3repE0EEENS1_44radix_sort_block_sort_config_static_selectorELNS0_4arch9wavefront6targetE1EEEvSF_
	.p2align	8
	.type	_ZN7rocprim17ROCPRIM_400000_NS6detail17trampoline_kernelINS0_13kernel_configILj256ELj4ELj4294967295EEENS1_37radix_sort_block_sort_config_selectorIisEEZNS1_21radix_sort_block_sortIS4_Lb0EN6thrust23THRUST_200600_302600_NS10device_ptrIiEESB_NSA_IsEESC_NS0_19identity_decomposerEEE10hipError_tT1_T2_T3_T4_jRjT5_jjP12ihipStream_tbEUlT_E_NS1_11comp_targetILNS1_3genE5ELNS1_11target_archE942ELNS1_3gpuE9ELNS1_3repE0EEENS1_44radix_sort_block_sort_config_static_selectorELNS0_4arch9wavefront6targetE1EEEvSF_,@function
_ZN7rocprim17ROCPRIM_400000_NS6detail17trampoline_kernelINS0_13kernel_configILj256ELj4ELj4294967295EEENS1_37radix_sort_block_sort_config_selectorIisEEZNS1_21radix_sort_block_sortIS4_Lb0EN6thrust23THRUST_200600_302600_NS10device_ptrIiEESB_NSA_IsEESC_NS0_19identity_decomposerEEE10hipError_tT1_T2_T3_T4_jRjT5_jjP12ihipStream_tbEUlT_E_NS1_11comp_targetILNS1_3genE5ELNS1_11target_archE942ELNS1_3gpuE9ELNS1_3repE0EEENS1_44radix_sort_block_sort_config_static_selectorELNS0_4arch9wavefront6targetE1EEEvSF_: ; @_ZN7rocprim17ROCPRIM_400000_NS6detail17trampoline_kernelINS0_13kernel_configILj256ELj4ELj4294967295EEENS1_37radix_sort_block_sort_config_selectorIisEEZNS1_21radix_sort_block_sortIS4_Lb0EN6thrust23THRUST_200600_302600_NS10device_ptrIiEESB_NSA_IsEESC_NS0_19identity_decomposerEEE10hipError_tT1_T2_T3_T4_jRjT5_jjP12ihipStream_tbEUlT_E_NS1_11comp_targetILNS1_3genE5ELNS1_11target_archE942ELNS1_3gpuE9ELNS1_3repE0EEENS1_44radix_sort_block_sort_config_static_selectorELNS0_4arch9wavefront6targetE1EEEvSF_
; %bb.0:
	.section	.rodata,"a",@progbits
	.p2align	6, 0x0
	.amdhsa_kernel _ZN7rocprim17ROCPRIM_400000_NS6detail17trampoline_kernelINS0_13kernel_configILj256ELj4ELj4294967295EEENS1_37radix_sort_block_sort_config_selectorIisEEZNS1_21radix_sort_block_sortIS4_Lb0EN6thrust23THRUST_200600_302600_NS10device_ptrIiEESB_NSA_IsEESC_NS0_19identity_decomposerEEE10hipError_tT1_T2_T3_T4_jRjT5_jjP12ihipStream_tbEUlT_E_NS1_11comp_targetILNS1_3genE5ELNS1_11target_archE942ELNS1_3gpuE9ELNS1_3repE0EEENS1_44radix_sort_block_sort_config_static_selectorELNS0_4arch9wavefront6targetE1EEEvSF_
		.amdhsa_group_segment_fixed_size 0
		.amdhsa_private_segment_fixed_size 0
		.amdhsa_kernarg_size 48
		.amdhsa_user_sgpr_count 2
		.amdhsa_user_sgpr_dispatch_ptr 0
		.amdhsa_user_sgpr_queue_ptr 0
		.amdhsa_user_sgpr_kernarg_segment_ptr 1
		.amdhsa_user_sgpr_dispatch_id 0
		.amdhsa_user_sgpr_kernarg_preload_length 0
		.amdhsa_user_sgpr_kernarg_preload_offset 0
		.amdhsa_user_sgpr_private_segment_size 0
		.amdhsa_uses_dynamic_stack 0
		.amdhsa_enable_private_segment 0
		.amdhsa_system_sgpr_workgroup_id_x 1
		.amdhsa_system_sgpr_workgroup_id_y 0
		.amdhsa_system_sgpr_workgroup_id_z 0
		.amdhsa_system_sgpr_workgroup_info 0
		.amdhsa_system_vgpr_workitem_id 0
		.amdhsa_next_free_vgpr 1
		.amdhsa_next_free_sgpr 0
		.amdhsa_accum_offset 4
		.amdhsa_reserve_vcc 0
		.amdhsa_float_round_mode_32 0
		.amdhsa_float_round_mode_16_64 0
		.amdhsa_float_denorm_mode_32 3
		.amdhsa_float_denorm_mode_16_64 3
		.amdhsa_dx10_clamp 1
		.amdhsa_ieee_mode 1
		.amdhsa_fp16_overflow 0
		.amdhsa_tg_split 0
		.amdhsa_exception_fp_ieee_invalid_op 0
		.amdhsa_exception_fp_denorm_src 0
		.amdhsa_exception_fp_ieee_div_zero 0
		.amdhsa_exception_fp_ieee_overflow 0
		.amdhsa_exception_fp_ieee_underflow 0
		.amdhsa_exception_fp_ieee_inexact 0
		.amdhsa_exception_int_div_zero 0
	.end_amdhsa_kernel
	.section	.text._ZN7rocprim17ROCPRIM_400000_NS6detail17trampoline_kernelINS0_13kernel_configILj256ELj4ELj4294967295EEENS1_37radix_sort_block_sort_config_selectorIisEEZNS1_21radix_sort_block_sortIS4_Lb0EN6thrust23THRUST_200600_302600_NS10device_ptrIiEESB_NSA_IsEESC_NS0_19identity_decomposerEEE10hipError_tT1_T2_T3_T4_jRjT5_jjP12ihipStream_tbEUlT_E_NS1_11comp_targetILNS1_3genE5ELNS1_11target_archE942ELNS1_3gpuE9ELNS1_3repE0EEENS1_44radix_sort_block_sort_config_static_selectorELNS0_4arch9wavefront6targetE1EEEvSF_,"axG",@progbits,_ZN7rocprim17ROCPRIM_400000_NS6detail17trampoline_kernelINS0_13kernel_configILj256ELj4ELj4294967295EEENS1_37radix_sort_block_sort_config_selectorIisEEZNS1_21radix_sort_block_sortIS4_Lb0EN6thrust23THRUST_200600_302600_NS10device_ptrIiEESB_NSA_IsEESC_NS0_19identity_decomposerEEE10hipError_tT1_T2_T3_T4_jRjT5_jjP12ihipStream_tbEUlT_E_NS1_11comp_targetILNS1_3genE5ELNS1_11target_archE942ELNS1_3gpuE9ELNS1_3repE0EEENS1_44radix_sort_block_sort_config_static_selectorELNS0_4arch9wavefront6targetE1EEEvSF_,comdat
.Lfunc_end2273:
	.size	_ZN7rocprim17ROCPRIM_400000_NS6detail17trampoline_kernelINS0_13kernel_configILj256ELj4ELj4294967295EEENS1_37radix_sort_block_sort_config_selectorIisEEZNS1_21radix_sort_block_sortIS4_Lb0EN6thrust23THRUST_200600_302600_NS10device_ptrIiEESB_NSA_IsEESC_NS0_19identity_decomposerEEE10hipError_tT1_T2_T3_T4_jRjT5_jjP12ihipStream_tbEUlT_E_NS1_11comp_targetILNS1_3genE5ELNS1_11target_archE942ELNS1_3gpuE9ELNS1_3repE0EEENS1_44radix_sort_block_sort_config_static_selectorELNS0_4arch9wavefront6targetE1EEEvSF_, .Lfunc_end2273-_ZN7rocprim17ROCPRIM_400000_NS6detail17trampoline_kernelINS0_13kernel_configILj256ELj4ELj4294967295EEENS1_37radix_sort_block_sort_config_selectorIisEEZNS1_21radix_sort_block_sortIS4_Lb0EN6thrust23THRUST_200600_302600_NS10device_ptrIiEESB_NSA_IsEESC_NS0_19identity_decomposerEEE10hipError_tT1_T2_T3_T4_jRjT5_jjP12ihipStream_tbEUlT_E_NS1_11comp_targetILNS1_3genE5ELNS1_11target_archE942ELNS1_3gpuE9ELNS1_3repE0EEENS1_44radix_sort_block_sort_config_static_selectorELNS0_4arch9wavefront6targetE1EEEvSF_
                                        ; -- End function
	.set _ZN7rocprim17ROCPRIM_400000_NS6detail17trampoline_kernelINS0_13kernel_configILj256ELj4ELj4294967295EEENS1_37radix_sort_block_sort_config_selectorIisEEZNS1_21radix_sort_block_sortIS4_Lb0EN6thrust23THRUST_200600_302600_NS10device_ptrIiEESB_NSA_IsEESC_NS0_19identity_decomposerEEE10hipError_tT1_T2_T3_T4_jRjT5_jjP12ihipStream_tbEUlT_E_NS1_11comp_targetILNS1_3genE5ELNS1_11target_archE942ELNS1_3gpuE9ELNS1_3repE0EEENS1_44radix_sort_block_sort_config_static_selectorELNS0_4arch9wavefront6targetE1EEEvSF_.num_vgpr, 0
	.set _ZN7rocprim17ROCPRIM_400000_NS6detail17trampoline_kernelINS0_13kernel_configILj256ELj4ELj4294967295EEENS1_37radix_sort_block_sort_config_selectorIisEEZNS1_21radix_sort_block_sortIS4_Lb0EN6thrust23THRUST_200600_302600_NS10device_ptrIiEESB_NSA_IsEESC_NS0_19identity_decomposerEEE10hipError_tT1_T2_T3_T4_jRjT5_jjP12ihipStream_tbEUlT_E_NS1_11comp_targetILNS1_3genE5ELNS1_11target_archE942ELNS1_3gpuE9ELNS1_3repE0EEENS1_44radix_sort_block_sort_config_static_selectorELNS0_4arch9wavefront6targetE1EEEvSF_.num_agpr, 0
	.set _ZN7rocprim17ROCPRIM_400000_NS6detail17trampoline_kernelINS0_13kernel_configILj256ELj4ELj4294967295EEENS1_37radix_sort_block_sort_config_selectorIisEEZNS1_21radix_sort_block_sortIS4_Lb0EN6thrust23THRUST_200600_302600_NS10device_ptrIiEESB_NSA_IsEESC_NS0_19identity_decomposerEEE10hipError_tT1_T2_T3_T4_jRjT5_jjP12ihipStream_tbEUlT_E_NS1_11comp_targetILNS1_3genE5ELNS1_11target_archE942ELNS1_3gpuE9ELNS1_3repE0EEENS1_44radix_sort_block_sort_config_static_selectorELNS0_4arch9wavefront6targetE1EEEvSF_.numbered_sgpr, 0
	.set _ZN7rocprim17ROCPRIM_400000_NS6detail17trampoline_kernelINS0_13kernel_configILj256ELj4ELj4294967295EEENS1_37radix_sort_block_sort_config_selectorIisEEZNS1_21radix_sort_block_sortIS4_Lb0EN6thrust23THRUST_200600_302600_NS10device_ptrIiEESB_NSA_IsEESC_NS0_19identity_decomposerEEE10hipError_tT1_T2_T3_T4_jRjT5_jjP12ihipStream_tbEUlT_E_NS1_11comp_targetILNS1_3genE5ELNS1_11target_archE942ELNS1_3gpuE9ELNS1_3repE0EEENS1_44radix_sort_block_sort_config_static_selectorELNS0_4arch9wavefront6targetE1EEEvSF_.num_named_barrier, 0
	.set _ZN7rocprim17ROCPRIM_400000_NS6detail17trampoline_kernelINS0_13kernel_configILj256ELj4ELj4294967295EEENS1_37radix_sort_block_sort_config_selectorIisEEZNS1_21radix_sort_block_sortIS4_Lb0EN6thrust23THRUST_200600_302600_NS10device_ptrIiEESB_NSA_IsEESC_NS0_19identity_decomposerEEE10hipError_tT1_T2_T3_T4_jRjT5_jjP12ihipStream_tbEUlT_E_NS1_11comp_targetILNS1_3genE5ELNS1_11target_archE942ELNS1_3gpuE9ELNS1_3repE0EEENS1_44radix_sort_block_sort_config_static_selectorELNS0_4arch9wavefront6targetE1EEEvSF_.private_seg_size, 0
	.set _ZN7rocprim17ROCPRIM_400000_NS6detail17trampoline_kernelINS0_13kernel_configILj256ELj4ELj4294967295EEENS1_37radix_sort_block_sort_config_selectorIisEEZNS1_21radix_sort_block_sortIS4_Lb0EN6thrust23THRUST_200600_302600_NS10device_ptrIiEESB_NSA_IsEESC_NS0_19identity_decomposerEEE10hipError_tT1_T2_T3_T4_jRjT5_jjP12ihipStream_tbEUlT_E_NS1_11comp_targetILNS1_3genE5ELNS1_11target_archE942ELNS1_3gpuE9ELNS1_3repE0EEENS1_44radix_sort_block_sort_config_static_selectorELNS0_4arch9wavefront6targetE1EEEvSF_.uses_vcc, 0
	.set _ZN7rocprim17ROCPRIM_400000_NS6detail17trampoline_kernelINS0_13kernel_configILj256ELj4ELj4294967295EEENS1_37radix_sort_block_sort_config_selectorIisEEZNS1_21radix_sort_block_sortIS4_Lb0EN6thrust23THRUST_200600_302600_NS10device_ptrIiEESB_NSA_IsEESC_NS0_19identity_decomposerEEE10hipError_tT1_T2_T3_T4_jRjT5_jjP12ihipStream_tbEUlT_E_NS1_11comp_targetILNS1_3genE5ELNS1_11target_archE942ELNS1_3gpuE9ELNS1_3repE0EEENS1_44radix_sort_block_sort_config_static_selectorELNS0_4arch9wavefront6targetE1EEEvSF_.uses_flat_scratch, 0
	.set _ZN7rocprim17ROCPRIM_400000_NS6detail17trampoline_kernelINS0_13kernel_configILj256ELj4ELj4294967295EEENS1_37radix_sort_block_sort_config_selectorIisEEZNS1_21radix_sort_block_sortIS4_Lb0EN6thrust23THRUST_200600_302600_NS10device_ptrIiEESB_NSA_IsEESC_NS0_19identity_decomposerEEE10hipError_tT1_T2_T3_T4_jRjT5_jjP12ihipStream_tbEUlT_E_NS1_11comp_targetILNS1_3genE5ELNS1_11target_archE942ELNS1_3gpuE9ELNS1_3repE0EEENS1_44radix_sort_block_sort_config_static_selectorELNS0_4arch9wavefront6targetE1EEEvSF_.has_dyn_sized_stack, 0
	.set _ZN7rocprim17ROCPRIM_400000_NS6detail17trampoline_kernelINS0_13kernel_configILj256ELj4ELj4294967295EEENS1_37radix_sort_block_sort_config_selectorIisEEZNS1_21radix_sort_block_sortIS4_Lb0EN6thrust23THRUST_200600_302600_NS10device_ptrIiEESB_NSA_IsEESC_NS0_19identity_decomposerEEE10hipError_tT1_T2_T3_T4_jRjT5_jjP12ihipStream_tbEUlT_E_NS1_11comp_targetILNS1_3genE5ELNS1_11target_archE942ELNS1_3gpuE9ELNS1_3repE0EEENS1_44radix_sort_block_sort_config_static_selectorELNS0_4arch9wavefront6targetE1EEEvSF_.has_recursion, 0
	.set _ZN7rocprim17ROCPRIM_400000_NS6detail17trampoline_kernelINS0_13kernel_configILj256ELj4ELj4294967295EEENS1_37radix_sort_block_sort_config_selectorIisEEZNS1_21radix_sort_block_sortIS4_Lb0EN6thrust23THRUST_200600_302600_NS10device_ptrIiEESB_NSA_IsEESC_NS0_19identity_decomposerEEE10hipError_tT1_T2_T3_T4_jRjT5_jjP12ihipStream_tbEUlT_E_NS1_11comp_targetILNS1_3genE5ELNS1_11target_archE942ELNS1_3gpuE9ELNS1_3repE0EEENS1_44radix_sort_block_sort_config_static_selectorELNS0_4arch9wavefront6targetE1EEEvSF_.has_indirect_call, 0
	.section	.AMDGPU.csdata,"",@progbits
; Kernel info:
; codeLenInByte = 0
; TotalNumSgprs: 6
; NumVgprs: 0
; NumAgprs: 0
; TotalNumVgprs: 0
; ScratchSize: 0
; MemoryBound: 0
; FloatMode: 240
; IeeeMode: 1
; LDSByteSize: 0 bytes/workgroup (compile time only)
; SGPRBlocks: 0
; VGPRBlocks: 0
; NumSGPRsForWavesPerEU: 6
; NumVGPRsForWavesPerEU: 1
; AccumOffset: 4
; Occupancy: 8
; WaveLimiterHint : 0
; COMPUTE_PGM_RSRC2:SCRATCH_EN: 0
; COMPUTE_PGM_RSRC2:USER_SGPR: 2
; COMPUTE_PGM_RSRC2:TRAP_HANDLER: 0
; COMPUTE_PGM_RSRC2:TGID_X_EN: 1
; COMPUTE_PGM_RSRC2:TGID_Y_EN: 0
; COMPUTE_PGM_RSRC2:TGID_Z_EN: 0
; COMPUTE_PGM_RSRC2:TIDIG_COMP_CNT: 0
; COMPUTE_PGM_RSRC3_GFX90A:ACCUM_OFFSET: 0
; COMPUTE_PGM_RSRC3_GFX90A:TG_SPLIT: 0
	.section	.text._ZN7rocprim17ROCPRIM_400000_NS6detail17trampoline_kernelINS0_13kernel_configILj256ELj4ELj4294967295EEENS1_37radix_sort_block_sort_config_selectorIisEEZNS1_21radix_sort_block_sortIS4_Lb0EN6thrust23THRUST_200600_302600_NS10device_ptrIiEESB_NSA_IsEESC_NS0_19identity_decomposerEEE10hipError_tT1_T2_T3_T4_jRjT5_jjP12ihipStream_tbEUlT_E_NS1_11comp_targetILNS1_3genE4ELNS1_11target_archE910ELNS1_3gpuE8ELNS1_3repE0EEENS1_44radix_sort_block_sort_config_static_selectorELNS0_4arch9wavefront6targetE1EEEvSF_,"axG",@progbits,_ZN7rocprim17ROCPRIM_400000_NS6detail17trampoline_kernelINS0_13kernel_configILj256ELj4ELj4294967295EEENS1_37radix_sort_block_sort_config_selectorIisEEZNS1_21radix_sort_block_sortIS4_Lb0EN6thrust23THRUST_200600_302600_NS10device_ptrIiEESB_NSA_IsEESC_NS0_19identity_decomposerEEE10hipError_tT1_T2_T3_T4_jRjT5_jjP12ihipStream_tbEUlT_E_NS1_11comp_targetILNS1_3genE4ELNS1_11target_archE910ELNS1_3gpuE8ELNS1_3repE0EEENS1_44radix_sort_block_sort_config_static_selectorELNS0_4arch9wavefront6targetE1EEEvSF_,comdat
	.protected	_ZN7rocprim17ROCPRIM_400000_NS6detail17trampoline_kernelINS0_13kernel_configILj256ELj4ELj4294967295EEENS1_37radix_sort_block_sort_config_selectorIisEEZNS1_21radix_sort_block_sortIS4_Lb0EN6thrust23THRUST_200600_302600_NS10device_ptrIiEESB_NSA_IsEESC_NS0_19identity_decomposerEEE10hipError_tT1_T2_T3_T4_jRjT5_jjP12ihipStream_tbEUlT_E_NS1_11comp_targetILNS1_3genE4ELNS1_11target_archE910ELNS1_3gpuE8ELNS1_3repE0EEENS1_44radix_sort_block_sort_config_static_selectorELNS0_4arch9wavefront6targetE1EEEvSF_ ; -- Begin function _ZN7rocprim17ROCPRIM_400000_NS6detail17trampoline_kernelINS0_13kernel_configILj256ELj4ELj4294967295EEENS1_37radix_sort_block_sort_config_selectorIisEEZNS1_21radix_sort_block_sortIS4_Lb0EN6thrust23THRUST_200600_302600_NS10device_ptrIiEESB_NSA_IsEESC_NS0_19identity_decomposerEEE10hipError_tT1_T2_T3_T4_jRjT5_jjP12ihipStream_tbEUlT_E_NS1_11comp_targetILNS1_3genE4ELNS1_11target_archE910ELNS1_3gpuE8ELNS1_3repE0EEENS1_44radix_sort_block_sort_config_static_selectorELNS0_4arch9wavefront6targetE1EEEvSF_
	.globl	_ZN7rocprim17ROCPRIM_400000_NS6detail17trampoline_kernelINS0_13kernel_configILj256ELj4ELj4294967295EEENS1_37radix_sort_block_sort_config_selectorIisEEZNS1_21radix_sort_block_sortIS4_Lb0EN6thrust23THRUST_200600_302600_NS10device_ptrIiEESB_NSA_IsEESC_NS0_19identity_decomposerEEE10hipError_tT1_T2_T3_T4_jRjT5_jjP12ihipStream_tbEUlT_E_NS1_11comp_targetILNS1_3genE4ELNS1_11target_archE910ELNS1_3gpuE8ELNS1_3repE0EEENS1_44radix_sort_block_sort_config_static_selectorELNS0_4arch9wavefront6targetE1EEEvSF_
	.p2align	8
	.type	_ZN7rocprim17ROCPRIM_400000_NS6detail17trampoline_kernelINS0_13kernel_configILj256ELj4ELj4294967295EEENS1_37radix_sort_block_sort_config_selectorIisEEZNS1_21radix_sort_block_sortIS4_Lb0EN6thrust23THRUST_200600_302600_NS10device_ptrIiEESB_NSA_IsEESC_NS0_19identity_decomposerEEE10hipError_tT1_T2_T3_T4_jRjT5_jjP12ihipStream_tbEUlT_E_NS1_11comp_targetILNS1_3genE4ELNS1_11target_archE910ELNS1_3gpuE8ELNS1_3repE0EEENS1_44radix_sort_block_sort_config_static_selectorELNS0_4arch9wavefront6targetE1EEEvSF_,@function
_ZN7rocprim17ROCPRIM_400000_NS6detail17trampoline_kernelINS0_13kernel_configILj256ELj4ELj4294967295EEENS1_37radix_sort_block_sort_config_selectorIisEEZNS1_21radix_sort_block_sortIS4_Lb0EN6thrust23THRUST_200600_302600_NS10device_ptrIiEESB_NSA_IsEESC_NS0_19identity_decomposerEEE10hipError_tT1_T2_T3_T4_jRjT5_jjP12ihipStream_tbEUlT_E_NS1_11comp_targetILNS1_3genE4ELNS1_11target_archE910ELNS1_3gpuE8ELNS1_3repE0EEENS1_44radix_sort_block_sort_config_static_selectorELNS0_4arch9wavefront6targetE1EEEvSF_: ; @_ZN7rocprim17ROCPRIM_400000_NS6detail17trampoline_kernelINS0_13kernel_configILj256ELj4ELj4294967295EEENS1_37radix_sort_block_sort_config_selectorIisEEZNS1_21radix_sort_block_sortIS4_Lb0EN6thrust23THRUST_200600_302600_NS10device_ptrIiEESB_NSA_IsEESC_NS0_19identity_decomposerEEE10hipError_tT1_T2_T3_T4_jRjT5_jjP12ihipStream_tbEUlT_E_NS1_11comp_targetILNS1_3genE4ELNS1_11target_archE910ELNS1_3gpuE8ELNS1_3repE0EEENS1_44radix_sort_block_sort_config_static_selectorELNS0_4arch9wavefront6targetE1EEEvSF_
; %bb.0:
	.section	.rodata,"a",@progbits
	.p2align	6, 0x0
	.amdhsa_kernel _ZN7rocprim17ROCPRIM_400000_NS6detail17trampoline_kernelINS0_13kernel_configILj256ELj4ELj4294967295EEENS1_37radix_sort_block_sort_config_selectorIisEEZNS1_21radix_sort_block_sortIS4_Lb0EN6thrust23THRUST_200600_302600_NS10device_ptrIiEESB_NSA_IsEESC_NS0_19identity_decomposerEEE10hipError_tT1_T2_T3_T4_jRjT5_jjP12ihipStream_tbEUlT_E_NS1_11comp_targetILNS1_3genE4ELNS1_11target_archE910ELNS1_3gpuE8ELNS1_3repE0EEENS1_44radix_sort_block_sort_config_static_selectorELNS0_4arch9wavefront6targetE1EEEvSF_
		.amdhsa_group_segment_fixed_size 0
		.amdhsa_private_segment_fixed_size 0
		.amdhsa_kernarg_size 48
		.amdhsa_user_sgpr_count 2
		.amdhsa_user_sgpr_dispatch_ptr 0
		.amdhsa_user_sgpr_queue_ptr 0
		.amdhsa_user_sgpr_kernarg_segment_ptr 1
		.amdhsa_user_sgpr_dispatch_id 0
		.amdhsa_user_sgpr_kernarg_preload_length 0
		.amdhsa_user_sgpr_kernarg_preload_offset 0
		.amdhsa_user_sgpr_private_segment_size 0
		.amdhsa_uses_dynamic_stack 0
		.amdhsa_enable_private_segment 0
		.amdhsa_system_sgpr_workgroup_id_x 1
		.amdhsa_system_sgpr_workgroup_id_y 0
		.amdhsa_system_sgpr_workgroup_id_z 0
		.amdhsa_system_sgpr_workgroup_info 0
		.amdhsa_system_vgpr_workitem_id 0
		.amdhsa_next_free_vgpr 1
		.amdhsa_next_free_sgpr 0
		.amdhsa_accum_offset 4
		.amdhsa_reserve_vcc 0
		.amdhsa_float_round_mode_32 0
		.amdhsa_float_round_mode_16_64 0
		.amdhsa_float_denorm_mode_32 3
		.amdhsa_float_denorm_mode_16_64 3
		.amdhsa_dx10_clamp 1
		.amdhsa_ieee_mode 1
		.amdhsa_fp16_overflow 0
		.amdhsa_tg_split 0
		.amdhsa_exception_fp_ieee_invalid_op 0
		.amdhsa_exception_fp_denorm_src 0
		.amdhsa_exception_fp_ieee_div_zero 0
		.amdhsa_exception_fp_ieee_overflow 0
		.amdhsa_exception_fp_ieee_underflow 0
		.amdhsa_exception_fp_ieee_inexact 0
		.amdhsa_exception_int_div_zero 0
	.end_amdhsa_kernel
	.section	.text._ZN7rocprim17ROCPRIM_400000_NS6detail17trampoline_kernelINS0_13kernel_configILj256ELj4ELj4294967295EEENS1_37radix_sort_block_sort_config_selectorIisEEZNS1_21radix_sort_block_sortIS4_Lb0EN6thrust23THRUST_200600_302600_NS10device_ptrIiEESB_NSA_IsEESC_NS0_19identity_decomposerEEE10hipError_tT1_T2_T3_T4_jRjT5_jjP12ihipStream_tbEUlT_E_NS1_11comp_targetILNS1_3genE4ELNS1_11target_archE910ELNS1_3gpuE8ELNS1_3repE0EEENS1_44radix_sort_block_sort_config_static_selectorELNS0_4arch9wavefront6targetE1EEEvSF_,"axG",@progbits,_ZN7rocprim17ROCPRIM_400000_NS6detail17trampoline_kernelINS0_13kernel_configILj256ELj4ELj4294967295EEENS1_37radix_sort_block_sort_config_selectorIisEEZNS1_21radix_sort_block_sortIS4_Lb0EN6thrust23THRUST_200600_302600_NS10device_ptrIiEESB_NSA_IsEESC_NS0_19identity_decomposerEEE10hipError_tT1_T2_T3_T4_jRjT5_jjP12ihipStream_tbEUlT_E_NS1_11comp_targetILNS1_3genE4ELNS1_11target_archE910ELNS1_3gpuE8ELNS1_3repE0EEENS1_44radix_sort_block_sort_config_static_selectorELNS0_4arch9wavefront6targetE1EEEvSF_,comdat
.Lfunc_end2274:
	.size	_ZN7rocprim17ROCPRIM_400000_NS6detail17trampoline_kernelINS0_13kernel_configILj256ELj4ELj4294967295EEENS1_37radix_sort_block_sort_config_selectorIisEEZNS1_21radix_sort_block_sortIS4_Lb0EN6thrust23THRUST_200600_302600_NS10device_ptrIiEESB_NSA_IsEESC_NS0_19identity_decomposerEEE10hipError_tT1_T2_T3_T4_jRjT5_jjP12ihipStream_tbEUlT_E_NS1_11comp_targetILNS1_3genE4ELNS1_11target_archE910ELNS1_3gpuE8ELNS1_3repE0EEENS1_44radix_sort_block_sort_config_static_selectorELNS0_4arch9wavefront6targetE1EEEvSF_, .Lfunc_end2274-_ZN7rocprim17ROCPRIM_400000_NS6detail17trampoline_kernelINS0_13kernel_configILj256ELj4ELj4294967295EEENS1_37radix_sort_block_sort_config_selectorIisEEZNS1_21radix_sort_block_sortIS4_Lb0EN6thrust23THRUST_200600_302600_NS10device_ptrIiEESB_NSA_IsEESC_NS0_19identity_decomposerEEE10hipError_tT1_T2_T3_T4_jRjT5_jjP12ihipStream_tbEUlT_E_NS1_11comp_targetILNS1_3genE4ELNS1_11target_archE910ELNS1_3gpuE8ELNS1_3repE0EEENS1_44radix_sort_block_sort_config_static_selectorELNS0_4arch9wavefront6targetE1EEEvSF_
                                        ; -- End function
	.set _ZN7rocprim17ROCPRIM_400000_NS6detail17trampoline_kernelINS0_13kernel_configILj256ELj4ELj4294967295EEENS1_37radix_sort_block_sort_config_selectorIisEEZNS1_21radix_sort_block_sortIS4_Lb0EN6thrust23THRUST_200600_302600_NS10device_ptrIiEESB_NSA_IsEESC_NS0_19identity_decomposerEEE10hipError_tT1_T2_T3_T4_jRjT5_jjP12ihipStream_tbEUlT_E_NS1_11comp_targetILNS1_3genE4ELNS1_11target_archE910ELNS1_3gpuE8ELNS1_3repE0EEENS1_44radix_sort_block_sort_config_static_selectorELNS0_4arch9wavefront6targetE1EEEvSF_.num_vgpr, 0
	.set _ZN7rocprim17ROCPRIM_400000_NS6detail17trampoline_kernelINS0_13kernel_configILj256ELj4ELj4294967295EEENS1_37radix_sort_block_sort_config_selectorIisEEZNS1_21radix_sort_block_sortIS4_Lb0EN6thrust23THRUST_200600_302600_NS10device_ptrIiEESB_NSA_IsEESC_NS0_19identity_decomposerEEE10hipError_tT1_T2_T3_T4_jRjT5_jjP12ihipStream_tbEUlT_E_NS1_11comp_targetILNS1_3genE4ELNS1_11target_archE910ELNS1_3gpuE8ELNS1_3repE0EEENS1_44radix_sort_block_sort_config_static_selectorELNS0_4arch9wavefront6targetE1EEEvSF_.num_agpr, 0
	.set _ZN7rocprim17ROCPRIM_400000_NS6detail17trampoline_kernelINS0_13kernel_configILj256ELj4ELj4294967295EEENS1_37radix_sort_block_sort_config_selectorIisEEZNS1_21radix_sort_block_sortIS4_Lb0EN6thrust23THRUST_200600_302600_NS10device_ptrIiEESB_NSA_IsEESC_NS0_19identity_decomposerEEE10hipError_tT1_T2_T3_T4_jRjT5_jjP12ihipStream_tbEUlT_E_NS1_11comp_targetILNS1_3genE4ELNS1_11target_archE910ELNS1_3gpuE8ELNS1_3repE0EEENS1_44radix_sort_block_sort_config_static_selectorELNS0_4arch9wavefront6targetE1EEEvSF_.numbered_sgpr, 0
	.set _ZN7rocprim17ROCPRIM_400000_NS6detail17trampoline_kernelINS0_13kernel_configILj256ELj4ELj4294967295EEENS1_37radix_sort_block_sort_config_selectorIisEEZNS1_21radix_sort_block_sortIS4_Lb0EN6thrust23THRUST_200600_302600_NS10device_ptrIiEESB_NSA_IsEESC_NS0_19identity_decomposerEEE10hipError_tT1_T2_T3_T4_jRjT5_jjP12ihipStream_tbEUlT_E_NS1_11comp_targetILNS1_3genE4ELNS1_11target_archE910ELNS1_3gpuE8ELNS1_3repE0EEENS1_44radix_sort_block_sort_config_static_selectorELNS0_4arch9wavefront6targetE1EEEvSF_.num_named_barrier, 0
	.set _ZN7rocprim17ROCPRIM_400000_NS6detail17trampoline_kernelINS0_13kernel_configILj256ELj4ELj4294967295EEENS1_37radix_sort_block_sort_config_selectorIisEEZNS1_21radix_sort_block_sortIS4_Lb0EN6thrust23THRUST_200600_302600_NS10device_ptrIiEESB_NSA_IsEESC_NS0_19identity_decomposerEEE10hipError_tT1_T2_T3_T4_jRjT5_jjP12ihipStream_tbEUlT_E_NS1_11comp_targetILNS1_3genE4ELNS1_11target_archE910ELNS1_3gpuE8ELNS1_3repE0EEENS1_44radix_sort_block_sort_config_static_selectorELNS0_4arch9wavefront6targetE1EEEvSF_.private_seg_size, 0
	.set _ZN7rocprim17ROCPRIM_400000_NS6detail17trampoline_kernelINS0_13kernel_configILj256ELj4ELj4294967295EEENS1_37radix_sort_block_sort_config_selectorIisEEZNS1_21radix_sort_block_sortIS4_Lb0EN6thrust23THRUST_200600_302600_NS10device_ptrIiEESB_NSA_IsEESC_NS0_19identity_decomposerEEE10hipError_tT1_T2_T3_T4_jRjT5_jjP12ihipStream_tbEUlT_E_NS1_11comp_targetILNS1_3genE4ELNS1_11target_archE910ELNS1_3gpuE8ELNS1_3repE0EEENS1_44radix_sort_block_sort_config_static_selectorELNS0_4arch9wavefront6targetE1EEEvSF_.uses_vcc, 0
	.set _ZN7rocprim17ROCPRIM_400000_NS6detail17trampoline_kernelINS0_13kernel_configILj256ELj4ELj4294967295EEENS1_37radix_sort_block_sort_config_selectorIisEEZNS1_21radix_sort_block_sortIS4_Lb0EN6thrust23THRUST_200600_302600_NS10device_ptrIiEESB_NSA_IsEESC_NS0_19identity_decomposerEEE10hipError_tT1_T2_T3_T4_jRjT5_jjP12ihipStream_tbEUlT_E_NS1_11comp_targetILNS1_3genE4ELNS1_11target_archE910ELNS1_3gpuE8ELNS1_3repE0EEENS1_44radix_sort_block_sort_config_static_selectorELNS0_4arch9wavefront6targetE1EEEvSF_.uses_flat_scratch, 0
	.set _ZN7rocprim17ROCPRIM_400000_NS6detail17trampoline_kernelINS0_13kernel_configILj256ELj4ELj4294967295EEENS1_37radix_sort_block_sort_config_selectorIisEEZNS1_21radix_sort_block_sortIS4_Lb0EN6thrust23THRUST_200600_302600_NS10device_ptrIiEESB_NSA_IsEESC_NS0_19identity_decomposerEEE10hipError_tT1_T2_T3_T4_jRjT5_jjP12ihipStream_tbEUlT_E_NS1_11comp_targetILNS1_3genE4ELNS1_11target_archE910ELNS1_3gpuE8ELNS1_3repE0EEENS1_44radix_sort_block_sort_config_static_selectorELNS0_4arch9wavefront6targetE1EEEvSF_.has_dyn_sized_stack, 0
	.set _ZN7rocprim17ROCPRIM_400000_NS6detail17trampoline_kernelINS0_13kernel_configILj256ELj4ELj4294967295EEENS1_37radix_sort_block_sort_config_selectorIisEEZNS1_21radix_sort_block_sortIS4_Lb0EN6thrust23THRUST_200600_302600_NS10device_ptrIiEESB_NSA_IsEESC_NS0_19identity_decomposerEEE10hipError_tT1_T2_T3_T4_jRjT5_jjP12ihipStream_tbEUlT_E_NS1_11comp_targetILNS1_3genE4ELNS1_11target_archE910ELNS1_3gpuE8ELNS1_3repE0EEENS1_44radix_sort_block_sort_config_static_selectorELNS0_4arch9wavefront6targetE1EEEvSF_.has_recursion, 0
	.set _ZN7rocprim17ROCPRIM_400000_NS6detail17trampoline_kernelINS0_13kernel_configILj256ELj4ELj4294967295EEENS1_37radix_sort_block_sort_config_selectorIisEEZNS1_21radix_sort_block_sortIS4_Lb0EN6thrust23THRUST_200600_302600_NS10device_ptrIiEESB_NSA_IsEESC_NS0_19identity_decomposerEEE10hipError_tT1_T2_T3_T4_jRjT5_jjP12ihipStream_tbEUlT_E_NS1_11comp_targetILNS1_3genE4ELNS1_11target_archE910ELNS1_3gpuE8ELNS1_3repE0EEENS1_44radix_sort_block_sort_config_static_selectorELNS0_4arch9wavefront6targetE1EEEvSF_.has_indirect_call, 0
	.section	.AMDGPU.csdata,"",@progbits
; Kernel info:
; codeLenInByte = 0
; TotalNumSgprs: 6
; NumVgprs: 0
; NumAgprs: 0
; TotalNumVgprs: 0
; ScratchSize: 0
; MemoryBound: 0
; FloatMode: 240
; IeeeMode: 1
; LDSByteSize: 0 bytes/workgroup (compile time only)
; SGPRBlocks: 0
; VGPRBlocks: 0
; NumSGPRsForWavesPerEU: 6
; NumVGPRsForWavesPerEU: 1
; AccumOffset: 4
; Occupancy: 8
; WaveLimiterHint : 0
; COMPUTE_PGM_RSRC2:SCRATCH_EN: 0
; COMPUTE_PGM_RSRC2:USER_SGPR: 2
; COMPUTE_PGM_RSRC2:TRAP_HANDLER: 0
; COMPUTE_PGM_RSRC2:TGID_X_EN: 1
; COMPUTE_PGM_RSRC2:TGID_Y_EN: 0
; COMPUTE_PGM_RSRC2:TGID_Z_EN: 0
; COMPUTE_PGM_RSRC2:TIDIG_COMP_CNT: 0
; COMPUTE_PGM_RSRC3_GFX90A:ACCUM_OFFSET: 0
; COMPUTE_PGM_RSRC3_GFX90A:TG_SPLIT: 0
	.section	.text._ZN7rocprim17ROCPRIM_400000_NS6detail17trampoline_kernelINS0_13kernel_configILj256ELj4ELj4294967295EEENS1_37radix_sort_block_sort_config_selectorIisEEZNS1_21radix_sort_block_sortIS4_Lb0EN6thrust23THRUST_200600_302600_NS10device_ptrIiEESB_NSA_IsEESC_NS0_19identity_decomposerEEE10hipError_tT1_T2_T3_T4_jRjT5_jjP12ihipStream_tbEUlT_E_NS1_11comp_targetILNS1_3genE3ELNS1_11target_archE908ELNS1_3gpuE7ELNS1_3repE0EEENS1_44radix_sort_block_sort_config_static_selectorELNS0_4arch9wavefront6targetE1EEEvSF_,"axG",@progbits,_ZN7rocprim17ROCPRIM_400000_NS6detail17trampoline_kernelINS0_13kernel_configILj256ELj4ELj4294967295EEENS1_37radix_sort_block_sort_config_selectorIisEEZNS1_21radix_sort_block_sortIS4_Lb0EN6thrust23THRUST_200600_302600_NS10device_ptrIiEESB_NSA_IsEESC_NS0_19identity_decomposerEEE10hipError_tT1_T2_T3_T4_jRjT5_jjP12ihipStream_tbEUlT_E_NS1_11comp_targetILNS1_3genE3ELNS1_11target_archE908ELNS1_3gpuE7ELNS1_3repE0EEENS1_44radix_sort_block_sort_config_static_selectorELNS0_4arch9wavefront6targetE1EEEvSF_,comdat
	.protected	_ZN7rocprim17ROCPRIM_400000_NS6detail17trampoline_kernelINS0_13kernel_configILj256ELj4ELj4294967295EEENS1_37radix_sort_block_sort_config_selectorIisEEZNS1_21radix_sort_block_sortIS4_Lb0EN6thrust23THRUST_200600_302600_NS10device_ptrIiEESB_NSA_IsEESC_NS0_19identity_decomposerEEE10hipError_tT1_T2_T3_T4_jRjT5_jjP12ihipStream_tbEUlT_E_NS1_11comp_targetILNS1_3genE3ELNS1_11target_archE908ELNS1_3gpuE7ELNS1_3repE0EEENS1_44radix_sort_block_sort_config_static_selectorELNS0_4arch9wavefront6targetE1EEEvSF_ ; -- Begin function _ZN7rocprim17ROCPRIM_400000_NS6detail17trampoline_kernelINS0_13kernel_configILj256ELj4ELj4294967295EEENS1_37radix_sort_block_sort_config_selectorIisEEZNS1_21radix_sort_block_sortIS4_Lb0EN6thrust23THRUST_200600_302600_NS10device_ptrIiEESB_NSA_IsEESC_NS0_19identity_decomposerEEE10hipError_tT1_T2_T3_T4_jRjT5_jjP12ihipStream_tbEUlT_E_NS1_11comp_targetILNS1_3genE3ELNS1_11target_archE908ELNS1_3gpuE7ELNS1_3repE0EEENS1_44radix_sort_block_sort_config_static_selectorELNS0_4arch9wavefront6targetE1EEEvSF_
	.globl	_ZN7rocprim17ROCPRIM_400000_NS6detail17trampoline_kernelINS0_13kernel_configILj256ELj4ELj4294967295EEENS1_37radix_sort_block_sort_config_selectorIisEEZNS1_21radix_sort_block_sortIS4_Lb0EN6thrust23THRUST_200600_302600_NS10device_ptrIiEESB_NSA_IsEESC_NS0_19identity_decomposerEEE10hipError_tT1_T2_T3_T4_jRjT5_jjP12ihipStream_tbEUlT_E_NS1_11comp_targetILNS1_3genE3ELNS1_11target_archE908ELNS1_3gpuE7ELNS1_3repE0EEENS1_44radix_sort_block_sort_config_static_selectorELNS0_4arch9wavefront6targetE1EEEvSF_
	.p2align	8
	.type	_ZN7rocprim17ROCPRIM_400000_NS6detail17trampoline_kernelINS0_13kernel_configILj256ELj4ELj4294967295EEENS1_37radix_sort_block_sort_config_selectorIisEEZNS1_21radix_sort_block_sortIS4_Lb0EN6thrust23THRUST_200600_302600_NS10device_ptrIiEESB_NSA_IsEESC_NS0_19identity_decomposerEEE10hipError_tT1_T2_T3_T4_jRjT5_jjP12ihipStream_tbEUlT_E_NS1_11comp_targetILNS1_3genE3ELNS1_11target_archE908ELNS1_3gpuE7ELNS1_3repE0EEENS1_44radix_sort_block_sort_config_static_selectorELNS0_4arch9wavefront6targetE1EEEvSF_,@function
_ZN7rocprim17ROCPRIM_400000_NS6detail17trampoline_kernelINS0_13kernel_configILj256ELj4ELj4294967295EEENS1_37radix_sort_block_sort_config_selectorIisEEZNS1_21radix_sort_block_sortIS4_Lb0EN6thrust23THRUST_200600_302600_NS10device_ptrIiEESB_NSA_IsEESC_NS0_19identity_decomposerEEE10hipError_tT1_T2_T3_T4_jRjT5_jjP12ihipStream_tbEUlT_E_NS1_11comp_targetILNS1_3genE3ELNS1_11target_archE908ELNS1_3gpuE7ELNS1_3repE0EEENS1_44radix_sort_block_sort_config_static_selectorELNS0_4arch9wavefront6targetE1EEEvSF_: ; @_ZN7rocprim17ROCPRIM_400000_NS6detail17trampoline_kernelINS0_13kernel_configILj256ELj4ELj4294967295EEENS1_37radix_sort_block_sort_config_selectorIisEEZNS1_21radix_sort_block_sortIS4_Lb0EN6thrust23THRUST_200600_302600_NS10device_ptrIiEESB_NSA_IsEESC_NS0_19identity_decomposerEEE10hipError_tT1_T2_T3_T4_jRjT5_jjP12ihipStream_tbEUlT_E_NS1_11comp_targetILNS1_3genE3ELNS1_11target_archE908ELNS1_3gpuE7ELNS1_3repE0EEENS1_44radix_sort_block_sort_config_static_selectorELNS0_4arch9wavefront6targetE1EEEvSF_
; %bb.0:
	.section	.rodata,"a",@progbits
	.p2align	6, 0x0
	.amdhsa_kernel _ZN7rocprim17ROCPRIM_400000_NS6detail17trampoline_kernelINS0_13kernel_configILj256ELj4ELj4294967295EEENS1_37radix_sort_block_sort_config_selectorIisEEZNS1_21radix_sort_block_sortIS4_Lb0EN6thrust23THRUST_200600_302600_NS10device_ptrIiEESB_NSA_IsEESC_NS0_19identity_decomposerEEE10hipError_tT1_T2_T3_T4_jRjT5_jjP12ihipStream_tbEUlT_E_NS1_11comp_targetILNS1_3genE3ELNS1_11target_archE908ELNS1_3gpuE7ELNS1_3repE0EEENS1_44radix_sort_block_sort_config_static_selectorELNS0_4arch9wavefront6targetE1EEEvSF_
		.amdhsa_group_segment_fixed_size 0
		.amdhsa_private_segment_fixed_size 0
		.amdhsa_kernarg_size 48
		.amdhsa_user_sgpr_count 2
		.amdhsa_user_sgpr_dispatch_ptr 0
		.amdhsa_user_sgpr_queue_ptr 0
		.amdhsa_user_sgpr_kernarg_segment_ptr 1
		.amdhsa_user_sgpr_dispatch_id 0
		.amdhsa_user_sgpr_kernarg_preload_length 0
		.amdhsa_user_sgpr_kernarg_preload_offset 0
		.amdhsa_user_sgpr_private_segment_size 0
		.amdhsa_uses_dynamic_stack 0
		.amdhsa_enable_private_segment 0
		.amdhsa_system_sgpr_workgroup_id_x 1
		.amdhsa_system_sgpr_workgroup_id_y 0
		.amdhsa_system_sgpr_workgroup_id_z 0
		.amdhsa_system_sgpr_workgroup_info 0
		.amdhsa_system_vgpr_workitem_id 0
		.amdhsa_next_free_vgpr 1
		.amdhsa_next_free_sgpr 0
		.amdhsa_accum_offset 4
		.amdhsa_reserve_vcc 0
		.amdhsa_float_round_mode_32 0
		.amdhsa_float_round_mode_16_64 0
		.amdhsa_float_denorm_mode_32 3
		.amdhsa_float_denorm_mode_16_64 3
		.amdhsa_dx10_clamp 1
		.amdhsa_ieee_mode 1
		.amdhsa_fp16_overflow 0
		.amdhsa_tg_split 0
		.amdhsa_exception_fp_ieee_invalid_op 0
		.amdhsa_exception_fp_denorm_src 0
		.amdhsa_exception_fp_ieee_div_zero 0
		.amdhsa_exception_fp_ieee_overflow 0
		.amdhsa_exception_fp_ieee_underflow 0
		.amdhsa_exception_fp_ieee_inexact 0
		.amdhsa_exception_int_div_zero 0
	.end_amdhsa_kernel
	.section	.text._ZN7rocprim17ROCPRIM_400000_NS6detail17trampoline_kernelINS0_13kernel_configILj256ELj4ELj4294967295EEENS1_37radix_sort_block_sort_config_selectorIisEEZNS1_21radix_sort_block_sortIS4_Lb0EN6thrust23THRUST_200600_302600_NS10device_ptrIiEESB_NSA_IsEESC_NS0_19identity_decomposerEEE10hipError_tT1_T2_T3_T4_jRjT5_jjP12ihipStream_tbEUlT_E_NS1_11comp_targetILNS1_3genE3ELNS1_11target_archE908ELNS1_3gpuE7ELNS1_3repE0EEENS1_44radix_sort_block_sort_config_static_selectorELNS0_4arch9wavefront6targetE1EEEvSF_,"axG",@progbits,_ZN7rocprim17ROCPRIM_400000_NS6detail17trampoline_kernelINS0_13kernel_configILj256ELj4ELj4294967295EEENS1_37radix_sort_block_sort_config_selectorIisEEZNS1_21radix_sort_block_sortIS4_Lb0EN6thrust23THRUST_200600_302600_NS10device_ptrIiEESB_NSA_IsEESC_NS0_19identity_decomposerEEE10hipError_tT1_T2_T3_T4_jRjT5_jjP12ihipStream_tbEUlT_E_NS1_11comp_targetILNS1_3genE3ELNS1_11target_archE908ELNS1_3gpuE7ELNS1_3repE0EEENS1_44radix_sort_block_sort_config_static_selectorELNS0_4arch9wavefront6targetE1EEEvSF_,comdat
.Lfunc_end2275:
	.size	_ZN7rocprim17ROCPRIM_400000_NS6detail17trampoline_kernelINS0_13kernel_configILj256ELj4ELj4294967295EEENS1_37radix_sort_block_sort_config_selectorIisEEZNS1_21radix_sort_block_sortIS4_Lb0EN6thrust23THRUST_200600_302600_NS10device_ptrIiEESB_NSA_IsEESC_NS0_19identity_decomposerEEE10hipError_tT1_T2_T3_T4_jRjT5_jjP12ihipStream_tbEUlT_E_NS1_11comp_targetILNS1_3genE3ELNS1_11target_archE908ELNS1_3gpuE7ELNS1_3repE0EEENS1_44radix_sort_block_sort_config_static_selectorELNS0_4arch9wavefront6targetE1EEEvSF_, .Lfunc_end2275-_ZN7rocprim17ROCPRIM_400000_NS6detail17trampoline_kernelINS0_13kernel_configILj256ELj4ELj4294967295EEENS1_37radix_sort_block_sort_config_selectorIisEEZNS1_21radix_sort_block_sortIS4_Lb0EN6thrust23THRUST_200600_302600_NS10device_ptrIiEESB_NSA_IsEESC_NS0_19identity_decomposerEEE10hipError_tT1_T2_T3_T4_jRjT5_jjP12ihipStream_tbEUlT_E_NS1_11comp_targetILNS1_3genE3ELNS1_11target_archE908ELNS1_3gpuE7ELNS1_3repE0EEENS1_44radix_sort_block_sort_config_static_selectorELNS0_4arch9wavefront6targetE1EEEvSF_
                                        ; -- End function
	.set _ZN7rocprim17ROCPRIM_400000_NS6detail17trampoline_kernelINS0_13kernel_configILj256ELj4ELj4294967295EEENS1_37radix_sort_block_sort_config_selectorIisEEZNS1_21radix_sort_block_sortIS4_Lb0EN6thrust23THRUST_200600_302600_NS10device_ptrIiEESB_NSA_IsEESC_NS0_19identity_decomposerEEE10hipError_tT1_T2_T3_T4_jRjT5_jjP12ihipStream_tbEUlT_E_NS1_11comp_targetILNS1_3genE3ELNS1_11target_archE908ELNS1_3gpuE7ELNS1_3repE0EEENS1_44radix_sort_block_sort_config_static_selectorELNS0_4arch9wavefront6targetE1EEEvSF_.num_vgpr, 0
	.set _ZN7rocprim17ROCPRIM_400000_NS6detail17trampoline_kernelINS0_13kernel_configILj256ELj4ELj4294967295EEENS1_37radix_sort_block_sort_config_selectorIisEEZNS1_21radix_sort_block_sortIS4_Lb0EN6thrust23THRUST_200600_302600_NS10device_ptrIiEESB_NSA_IsEESC_NS0_19identity_decomposerEEE10hipError_tT1_T2_T3_T4_jRjT5_jjP12ihipStream_tbEUlT_E_NS1_11comp_targetILNS1_3genE3ELNS1_11target_archE908ELNS1_3gpuE7ELNS1_3repE0EEENS1_44radix_sort_block_sort_config_static_selectorELNS0_4arch9wavefront6targetE1EEEvSF_.num_agpr, 0
	.set _ZN7rocprim17ROCPRIM_400000_NS6detail17trampoline_kernelINS0_13kernel_configILj256ELj4ELj4294967295EEENS1_37radix_sort_block_sort_config_selectorIisEEZNS1_21radix_sort_block_sortIS4_Lb0EN6thrust23THRUST_200600_302600_NS10device_ptrIiEESB_NSA_IsEESC_NS0_19identity_decomposerEEE10hipError_tT1_T2_T3_T4_jRjT5_jjP12ihipStream_tbEUlT_E_NS1_11comp_targetILNS1_3genE3ELNS1_11target_archE908ELNS1_3gpuE7ELNS1_3repE0EEENS1_44radix_sort_block_sort_config_static_selectorELNS0_4arch9wavefront6targetE1EEEvSF_.numbered_sgpr, 0
	.set _ZN7rocprim17ROCPRIM_400000_NS6detail17trampoline_kernelINS0_13kernel_configILj256ELj4ELj4294967295EEENS1_37radix_sort_block_sort_config_selectorIisEEZNS1_21radix_sort_block_sortIS4_Lb0EN6thrust23THRUST_200600_302600_NS10device_ptrIiEESB_NSA_IsEESC_NS0_19identity_decomposerEEE10hipError_tT1_T2_T3_T4_jRjT5_jjP12ihipStream_tbEUlT_E_NS1_11comp_targetILNS1_3genE3ELNS1_11target_archE908ELNS1_3gpuE7ELNS1_3repE0EEENS1_44radix_sort_block_sort_config_static_selectorELNS0_4arch9wavefront6targetE1EEEvSF_.num_named_barrier, 0
	.set _ZN7rocprim17ROCPRIM_400000_NS6detail17trampoline_kernelINS0_13kernel_configILj256ELj4ELj4294967295EEENS1_37radix_sort_block_sort_config_selectorIisEEZNS1_21radix_sort_block_sortIS4_Lb0EN6thrust23THRUST_200600_302600_NS10device_ptrIiEESB_NSA_IsEESC_NS0_19identity_decomposerEEE10hipError_tT1_T2_T3_T4_jRjT5_jjP12ihipStream_tbEUlT_E_NS1_11comp_targetILNS1_3genE3ELNS1_11target_archE908ELNS1_3gpuE7ELNS1_3repE0EEENS1_44radix_sort_block_sort_config_static_selectorELNS0_4arch9wavefront6targetE1EEEvSF_.private_seg_size, 0
	.set _ZN7rocprim17ROCPRIM_400000_NS6detail17trampoline_kernelINS0_13kernel_configILj256ELj4ELj4294967295EEENS1_37radix_sort_block_sort_config_selectorIisEEZNS1_21radix_sort_block_sortIS4_Lb0EN6thrust23THRUST_200600_302600_NS10device_ptrIiEESB_NSA_IsEESC_NS0_19identity_decomposerEEE10hipError_tT1_T2_T3_T4_jRjT5_jjP12ihipStream_tbEUlT_E_NS1_11comp_targetILNS1_3genE3ELNS1_11target_archE908ELNS1_3gpuE7ELNS1_3repE0EEENS1_44radix_sort_block_sort_config_static_selectorELNS0_4arch9wavefront6targetE1EEEvSF_.uses_vcc, 0
	.set _ZN7rocprim17ROCPRIM_400000_NS6detail17trampoline_kernelINS0_13kernel_configILj256ELj4ELj4294967295EEENS1_37radix_sort_block_sort_config_selectorIisEEZNS1_21radix_sort_block_sortIS4_Lb0EN6thrust23THRUST_200600_302600_NS10device_ptrIiEESB_NSA_IsEESC_NS0_19identity_decomposerEEE10hipError_tT1_T2_T3_T4_jRjT5_jjP12ihipStream_tbEUlT_E_NS1_11comp_targetILNS1_3genE3ELNS1_11target_archE908ELNS1_3gpuE7ELNS1_3repE0EEENS1_44radix_sort_block_sort_config_static_selectorELNS0_4arch9wavefront6targetE1EEEvSF_.uses_flat_scratch, 0
	.set _ZN7rocprim17ROCPRIM_400000_NS6detail17trampoline_kernelINS0_13kernel_configILj256ELj4ELj4294967295EEENS1_37radix_sort_block_sort_config_selectorIisEEZNS1_21radix_sort_block_sortIS4_Lb0EN6thrust23THRUST_200600_302600_NS10device_ptrIiEESB_NSA_IsEESC_NS0_19identity_decomposerEEE10hipError_tT1_T2_T3_T4_jRjT5_jjP12ihipStream_tbEUlT_E_NS1_11comp_targetILNS1_3genE3ELNS1_11target_archE908ELNS1_3gpuE7ELNS1_3repE0EEENS1_44radix_sort_block_sort_config_static_selectorELNS0_4arch9wavefront6targetE1EEEvSF_.has_dyn_sized_stack, 0
	.set _ZN7rocprim17ROCPRIM_400000_NS6detail17trampoline_kernelINS0_13kernel_configILj256ELj4ELj4294967295EEENS1_37radix_sort_block_sort_config_selectorIisEEZNS1_21radix_sort_block_sortIS4_Lb0EN6thrust23THRUST_200600_302600_NS10device_ptrIiEESB_NSA_IsEESC_NS0_19identity_decomposerEEE10hipError_tT1_T2_T3_T4_jRjT5_jjP12ihipStream_tbEUlT_E_NS1_11comp_targetILNS1_3genE3ELNS1_11target_archE908ELNS1_3gpuE7ELNS1_3repE0EEENS1_44radix_sort_block_sort_config_static_selectorELNS0_4arch9wavefront6targetE1EEEvSF_.has_recursion, 0
	.set _ZN7rocprim17ROCPRIM_400000_NS6detail17trampoline_kernelINS0_13kernel_configILj256ELj4ELj4294967295EEENS1_37radix_sort_block_sort_config_selectorIisEEZNS1_21radix_sort_block_sortIS4_Lb0EN6thrust23THRUST_200600_302600_NS10device_ptrIiEESB_NSA_IsEESC_NS0_19identity_decomposerEEE10hipError_tT1_T2_T3_T4_jRjT5_jjP12ihipStream_tbEUlT_E_NS1_11comp_targetILNS1_3genE3ELNS1_11target_archE908ELNS1_3gpuE7ELNS1_3repE0EEENS1_44radix_sort_block_sort_config_static_selectorELNS0_4arch9wavefront6targetE1EEEvSF_.has_indirect_call, 0
	.section	.AMDGPU.csdata,"",@progbits
; Kernel info:
; codeLenInByte = 0
; TotalNumSgprs: 6
; NumVgprs: 0
; NumAgprs: 0
; TotalNumVgprs: 0
; ScratchSize: 0
; MemoryBound: 0
; FloatMode: 240
; IeeeMode: 1
; LDSByteSize: 0 bytes/workgroup (compile time only)
; SGPRBlocks: 0
; VGPRBlocks: 0
; NumSGPRsForWavesPerEU: 6
; NumVGPRsForWavesPerEU: 1
; AccumOffset: 4
; Occupancy: 8
; WaveLimiterHint : 0
; COMPUTE_PGM_RSRC2:SCRATCH_EN: 0
; COMPUTE_PGM_RSRC2:USER_SGPR: 2
; COMPUTE_PGM_RSRC2:TRAP_HANDLER: 0
; COMPUTE_PGM_RSRC2:TGID_X_EN: 1
; COMPUTE_PGM_RSRC2:TGID_Y_EN: 0
; COMPUTE_PGM_RSRC2:TGID_Z_EN: 0
; COMPUTE_PGM_RSRC2:TIDIG_COMP_CNT: 0
; COMPUTE_PGM_RSRC3_GFX90A:ACCUM_OFFSET: 0
; COMPUTE_PGM_RSRC3_GFX90A:TG_SPLIT: 0
	.section	.text._ZN7rocprim17ROCPRIM_400000_NS6detail17trampoline_kernelINS0_13kernel_configILj256ELj4ELj4294967295EEENS1_37radix_sort_block_sort_config_selectorIisEEZNS1_21radix_sort_block_sortIS4_Lb0EN6thrust23THRUST_200600_302600_NS10device_ptrIiEESB_NSA_IsEESC_NS0_19identity_decomposerEEE10hipError_tT1_T2_T3_T4_jRjT5_jjP12ihipStream_tbEUlT_E_NS1_11comp_targetILNS1_3genE2ELNS1_11target_archE906ELNS1_3gpuE6ELNS1_3repE0EEENS1_44radix_sort_block_sort_config_static_selectorELNS0_4arch9wavefront6targetE1EEEvSF_,"axG",@progbits,_ZN7rocprim17ROCPRIM_400000_NS6detail17trampoline_kernelINS0_13kernel_configILj256ELj4ELj4294967295EEENS1_37radix_sort_block_sort_config_selectorIisEEZNS1_21radix_sort_block_sortIS4_Lb0EN6thrust23THRUST_200600_302600_NS10device_ptrIiEESB_NSA_IsEESC_NS0_19identity_decomposerEEE10hipError_tT1_T2_T3_T4_jRjT5_jjP12ihipStream_tbEUlT_E_NS1_11comp_targetILNS1_3genE2ELNS1_11target_archE906ELNS1_3gpuE6ELNS1_3repE0EEENS1_44radix_sort_block_sort_config_static_selectorELNS0_4arch9wavefront6targetE1EEEvSF_,comdat
	.protected	_ZN7rocprim17ROCPRIM_400000_NS6detail17trampoline_kernelINS0_13kernel_configILj256ELj4ELj4294967295EEENS1_37radix_sort_block_sort_config_selectorIisEEZNS1_21radix_sort_block_sortIS4_Lb0EN6thrust23THRUST_200600_302600_NS10device_ptrIiEESB_NSA_IsEESC_NS0_19identity_decomposerEEE10hipError_tT1_T2_T3_T4_jRjT5_jjP12ihipStream_tbEUlT_E_NS1_11comp_targetILNS1_3genE2ELNS1_11target_archE906ELNS1_3gpuE6ELNS1_3repE0EEENS1_44radix_sort_block_sort_config_static_selectorELNS0_4arch9wavefront6targetE1EEEvSF_ ; -- Begin function _ZN7rocprim17ROCPRIM_400000_NS6detail17trampoline_kernelINS0_13kernel_configILj256ELj4ELj4294967295EEENS1_37radix_sort_block_sort_config_selectorIisEEZNS1_21radix_sort_block_sortIS4_Lb0EN6thrust23THRUST_200600_302600_NS10device_ptrIiEESB_NSA_IsEESC_NS0_19identity_decomposerEEE10hipError_tT1_T2_T3_T4_jRjT5_jjP12ihipStream_tbEUlT_E_NS1_11comp_targetILNS1_3genE2ELNS1_11target_archE906ELNS1_3gpuE6ELNS1_3repE0EEENS1_44radix_sort_block_sort_config_static_selectorELNS0_4arch9wavefront6targetE1EEEvSF_
	.globl	_ZN7rocprim17ROCPRIM_400000_NS6detail17trampoline_kernelINS0_13kernel_configILj256ELj4ELj4294967295EEENS1_37radix_sort_block_sort_config_selectorIisEEZNS1_21radix_sort_block_sortIS4_Lb0EN6thrust23THRUST_200600_302600_NS10device_ptrIiEESB_NSA_IsEESC_NS0_19identity_decomposerEEE10hipError_tT1_T2_T3_T4_jRjT5_jjP12ihipStream_tbEUlT_E_NS1_11comp_targetILNS1_3genE2ELNS1_11target_archE906ELNS1_3gpuE6ELNS1_3repE0EEENS1_44radix_sort_block_sort_config_static_selectorELNS0_4arch9wavefront6targetE1EEEvSF_
	.p2align	8
	.type	_ZN7rocprim17ROCPRIM_400000_NS6detail17trampoline_kernelINS0_13kernel_configILj256ELj4ELj4294967295EEENS1_37radix_sort_block_sort_config_selectorIisEEZNS1_21radix_sort_block_sortIS4_Lb0EN6thrust23THRUST_200600_302600_NS10device_ptrIiEESB_NSA_IsEESC_NS0_19identity_decomposerEEE10hipError_tT1_T2_T3_T4_jRjT5_jjP12ihipStream_tbEUlT_E_NS1_11comp_targetILNS1_3genE2ELNS1_11target_archE906ELNS1_3gpuE6ELNS1_3repE0EEENS1_44radix_sort_block_sort_config_static_selectorELNS0_4arch9wavefront6targetE1EEEvSF_,@function
_ZN7rocprim17ROCPRIM_400000_NS6detail17trampoline_kernelINS0_13kernel_configILj256ELj4ELj4294967295EEENS1_37radix_sort_block_sort_config_selectorIisEEZNS1_21radix_sort_block_sortIS4_Lb0EN6thrust23THRUST_200600_302600_NS10device_ptrIiEESB_NSA_IsEESC_NS0_19identity_decomposerEEE10hipError_tT1_T2_T3_T4_jRjT5_jjP12ihipStream_tbEUlT_E_NS1_11comp_targetILNS1_3genE2ELNS1_11target_archE906ELNS1_3gpuE6ELNS1_3repE0EEENS1_44radix_sort_block_sort_config_static_selectorELNS0_4arch9wavefront6targetE1EEEvSF_: ; @_ZN7rocprim17ROCPRIM_400000_NS6detail17trampoline_kernelINS0_13kernel_configILj256ELj4ELj4294967295EEENS1_37radix_sort_block_sort_config_selectorIisEEZNS1_21radix_sort_block_sortIS4_Lb0EN6thrust23THRUST_200600_302600_NS10device_ptrIiEESB_NSA_IsEESC_NS0_19identity_decomposerEEE10hipError_tT1_T2_T3_T4_jRjT5_jjP12ihipStream_tbEUlT_E_NS1_11comp_targetILNS1_3genE2ELNS1_11target_archE906ELNS1_3gpuE6ELNS1_3repE0EEENS1_44radix_sort_block_sort_config_static_selectorELNS0_4arch9wavefront6targetE1EEEvSF_
; %bb.0:
	.section	.rodata,"a",@progbits
	.p2align	6, 0x0
	.amdhsa_kernel _ZN7rocprim17ROCPRIM_400000_NS6detail17trampoline_kernelINS0_13kernel_configILj256ELj4ELj4294967295EEENS1_37radix_sort_block_sort_config_selectorIisEEZNS1_21radix_sort_block_sortIS4_Lb0EN6thrust23THRUST_200600_302600_NS10device_ptrIiEESB_NSA_IsEESC_NS0_19identity_decomposerEEE10hipError_tT1_T2_T3_T4_jRjT5_jjP12ihipStream_tbEUlT_E_NS1_11comp_targetILNS1_3genE2ELNS1_11target_archE906ELNS1_3gpuE6ELNS1_3repE0EEENS1_44radix_sort_block_sort_config_static_selectorELNS0_4arch9wavefront6targetE1EEEvSF_
		.amdhsa_group_segment_fixed_size 0
		.amdhsa_private_segment_fixed_size 0
		.amdhsa_kernarg_size 48
		.amdhsa_user_sgpr_count 2
		.amdhsa_user_sgpr_dispatch_ptr 0
		.amdhsa_user_sgpr_queue_ptr 0
		.amdhsa_user_sgpr_kernarg_segment_ptr 1
		.amdhsa_user_sgpr_dispatch_id 0
		.amdhsa_user_sgpr_kernarg_preload_length 0
		.amdhsa_user_sgpr_kernarg_preload_offset 0
		.amdhsa_user_sgpr_private_segment_size 0
		.amdhsa_uses_dynamic_stack 0
		.amdhsa_enable_private_segment 0
		.amdhsa_system_sgpr_workgroup_id_x 1
		.amdhsa_system_sgpr_workgroup_id_y 0
		.amdhsa_system_sgpr_workgroup_id_z 0
		.amdhsa_system_sgpr_workgroup_info 0
		.amdhsa_system_vgpr_workitem_id 0
		.amdhsa_next_free_vgpr 1
		.amdhsa_next_free_sgpr 0
		.amdhsa_accum_offset 4
		.amdhsa_reserve_vcc 0
		.amdhsa_float_round_mode_32 0
		.amdhsa_float_round_mode_16_64 0
		.amdhsa_float_denorm_mode_32 3
		.amdhsa_float_denorm_mode_16_64 3
		.amdhsa_dx10_clamp 1
		.amdhsa_ieee_mode 1
		.amdhsa_fp16_overflow 0
		.amdhsa_tg_split 0
		.amdhsa_exception_fp_ieee_invalid_op 0
		.amdhsa_exception_fp_denorm_src 0
		.amdhsa_exception_fp_ieee_div_zero 0
		.amdhsa_exception_fp_ieee_overflow 0
		.amdhsa_exception_fp_ieee_underflow 0
		.amdhsa_exception_fp_ieee_inexact 0
		.amdhsa_exception_int_div_zero 0
	.end_amdhsa_kernel
	.section	.text._ZN7rocprim17ROCPRIM_400000_NS6detail17trampoline_kernelINS0_13kernel_configILj256ELj4ELj4294967295EEENS1_37radix_sort_block_sort_config_selectorIisEEZNS1_21radix_sort_block_sortIS4_Lb0EN6thrust23THRUST_200600_302600_NS10device_ptrIiEESB_NSA_IsEESC_NS0_19identity_decomposerEEE10hipError_tT1_T2_T3_T4_jRjT5_jjP12ihipStream_tbEUlT_E_NS1_11comp_targetILNS1_3genE2ELNS1_11target_archE906ELNS1_3gpuE6ELNS1_3repE0EEENS1_44radix_sort_block_sort_config_static_selectorELNS0_4arch9wavefront6targetE1EEEvSF_,"axG",@progbits,_ZN7rocprim17ROCPRIM_400000_NS6detail17trampoline_kernelINS0_13kernel_configILj256ELj4ELj4294967295EEENS1_37radix_sort_block_sort_config_selectorIisEEZNS1_21radix_sort_block_sortIS4_Lb0EN6thrust23THRUST_200600_302600_NS10device_ptrIiEESB_NSA_IsEESC_NS0_19identity_decomposerEEE10hipError_tT1_T2_T3_T4_jRjT5_jjP12ihipStream_tbEUlT_E_NS1_11comp_targetILNS1_3genE2ELNS1_11target_archE906ELNS1_3gpuE6ELNS1_3repE0EEENS1_44radix_sort_block_sort_config_static_selectorELNS0_4arch9wavefront6targetE1EEEvSF_,comdat
.Lfunc_end2276:
	.size	_ZN7rocprim17ROCPRIM_400000_NS6detail17trampoline_kernelINS0_13kernel_configILj256ELj4ELj4294967295EEENS1_37radix_sort_block_sort_config_selectorIisEEZNS1_21radix_sort_block_sortIS4_Lb0EN6thrust23THRUST_200600_302600_NS10device_ptrIiEESB_NSA_IsEESC_NS0_19identity_decomposerEEE10hipError_tT1_T2_T3_T4_jRjT5_jjP12ihipStream_tbEUlT_E_NS1_11comp_targetILNS1_3genE2ELNS1_11target_archE906ELNS1_3gpuE6ELNS1_3repE0EEENS1_44radix_sort_block_sort_config_static_selectorELNS0_4arch9wavefront6targetE1EEEvSF_, .Lfunc_end2276-_ZN7rocprim17ROCPRIM_400000_NS6detail17trampoline_kernelINS0_13kernel_configILj256ELj4ELj4294967295EEENS1_37radix_sort_block_sort_config_selectorIisEEZNS1_21radix_sort_block_sortIS4_Lb0EN6thrust23THRUST_200600_302600_NS10device_ptrIiEESB_NSA_IsEESC_NS0_19identity_decomposerEEE10hipError_tT1_T2_T3_T4_jRjT5_jjP12ihipStream_tbEUlT_E_NS1_11comp_targetILNS1_3genE2ELNS1_11target_archE906ELNS1_3gpuE6ELNS1_3repE0EEENS1_44radix_sort_block_sort_config_static_selectorELNS0_4arch9wavefront6targetE1EEEvSF_
                                        ; -- End function
	.set _ZN7rocprim17ROCPRIM_400000_NS6detail17trampoline_kernelINS0_13kernel_configILj256ELj4ELj4294967295EEENS1_37radix_sort_block_sort_config_selectorIisEEZNS1_21radix_sort_block_sortIS4_Lb0EN6thrust23THRUST_200600_302600_NS10device_ptrIiEESB_NSA_IsEESC_NS0_19identity_decomposerEEE10hipError_tT1_T2_T3_T4_jRjT5_jjP12ihipStream_tbEUlT_E_NS1_11comp_targetILNS1_3genE2ELNS1_11target_archE906ELNS1_3gpuE6ELNS1_3repE0EEENS1_44radix_sort_block_sort_config_static_selectorELNS0_4arch9wavefront6targetE1EEEvSF_.num_vgpr, 0
	.set _ZN7rocprim17ROCPRIM_400000_NS6detail17trampoline_kernelINS0_13kernel_configILj256ELj4ELj4294967295EEENS1_37radix_sort_block_sort_config_selectorIisEEZNS1_21radix_sort_block_sortIS4_Lb0EN6thrust23THRUST_200600_302600_NS10device_ptrIiEESB_NSA_IsEESC_NS0_19identity_decomposerEEE10hipError_tT1_T2_T3_T4_jRjT5_jjP12ihipStream_tbEUlT_E_NS1_11comp_targetILNS1_3genE2ELNS1_11target_archE906ELNS1_3gpuE6ELNS1_3repE0EEENS1_44radix_sort_block_sort_config_static_selectorELNS0_4arch9wavefront6targetE1EEEvSF_.num_agpr, 0
	.set _ZN7rocprim17ROCPRIM_400000_NS6detail17trampoline_kernelINS0_13kernel_configILj256ELj4ELj4294967295EEENS1_37radix_sort_block_sort_config_selectorIisEEZNS1_21radix_sort_block_sortIS4_Lb0EN6thrust23THRUST_200600_302600_NS10device_ptrIiEESB_NSA_IsEESC_NS0_19identity_decomposerEEE10hipError_tT1_T2_T3_T4_jRjT5_jjP12ihipStream_tbEUlT_E_NS1_11comp_targetILNS1_3genE2ELNS1_11target_archE906ELNS1_3gpuE6ELNS1_3repE0EEENS1_44radix_sort_block_sort_config_static_selectorELNS0_4arch9wavefront6targetE1EEEvSF_.numbered_sgpr, 0
	.set _ZN7rocprim17ROCPRIM_400000_NS6detail17trampoline_kernelINS0_13kernel_configILj256ELj4ELj4294967295EEENS1_37radix_sort_block_sort_config_selectorIisEEZNS1_21radix_sort_block_sortIS4_Lb0EN6thrust23THRUST_200600_302600_NS10device_ptrIiEESB_NSA_IsEESC_NS0_19identity_decomposerEEE10hipError_tT1_T2_T3_T4_jRjT5_jjP12ihipStream_tbEUlT_E_NS1_11comp_targetILNS1_3genE2ELNS1_11target_archE906ELNS1_3gpuE6ELNS1_3repE0EEENS1_44radix_sort_block_sort_config_static_selectorELNS0_4arch9wavefront6targetE1EEEvSF_.num_named_barrier, 0
	.set _ZN7rocprim17ROCPRIM_400000_NS6detail17trampoline_kernelINS0_13kernel_configILj256ELj4ELj4294967295EEENS1_37radix_sort_block_sort_config_selectorIisEEZNS1_21radix_sort_block_sortIS4_Lb0EN6thrust23THRUST_200600_302600_NS10device_ptrIiEESB_NSA_IsEESC_NS0_19identity_decomposerEEE10hipError_tT1_T2_T3_T4_jRjT5_jjP12ihipStream_tbEUlT_E_NS1_11comp_targetILNS1_3genE2ELNS1_11target_archE906ELNS1_3gpuE6ELNS1_3repE0EEENS1_44radix_sort_block_sort_config_static_selectorELNS0_4arch9wavefront6targetE1EEEvSF_.private_seg_size, 0
	.set _ZN7rocprim17ROCPRIM_400000_NS6detail17trampoline_kernelINS0_13kernel_configILj256ELj4ELj4294967295EEENS1_37radix_sort_block_sort_config_selectorIisEEZNS1_21radix_sort_block_sortIS4_Lb0EN6thrust23THRUST_200600_302600_NS10device_ptrIiEESB_NSA_IsEESC_NS0_19identity_decomposerEEE10hipError_tT1_T2_T3_T4_jRjT5_jjP12ihipStream_tbEUlT_E_NS1_11comp_targetILNS1_3genE2ELNS1_11target_archE906ELNS1_3gpuE6ELNS1_3repE0EEENS1_44radix_sort_block_sort_config_static_selectorELNS0_4arch9wavefront6targetE1EEEvSF_.uses_vcc, 0
	.set _ZN7rocprim17ROCPRIM_400000_NS6detail17trampoline_kernelINS0_13kernel_configILj256ELj4ELj4294967295EEENS1_37radix_sort_block_sort_config_selectorIisEEZNS1_21radix_sort_block_sortIS4_Lb0EN6thrust23THRUST_200600_302600_NS10device_ptrIiEESB_NSA_IsEESC_NS0_19identity_decomposerEEE10hipError_tT1_T2_T3_T4_jRjT5_jjP12ihipStream_tbEUlT_E_NS1_11comp_targetILNS1_3genE2ELNS1_11target_archE906ELNS1_3gpuE6ELNS1_3repE0EEENS1_44radix_sort_block_sort_config_static_selectorELNS0_4arch9wavefront6targetE1EEEvSF_.uses_flat_scratch, 0
	.set _ZN7rocprim17ROCPRIM_400000_NS6detail17trampoline_kernelINS0_13kernel_configILj256ELj4ELj4294967295EEENS1_37radix_sort_block_sort_config_selectorIisEEZNS1_21radix_sort_block_sortIS4_Lb0EN6thrust23THRUST_200600_302600_NS10device_ptrIiEESB_NSA_IsEESC_NS0_19identity_decomposerEEE10hipError_tT1_T2_T3_T4_jRjT5_jjP12ihipStream_tbEUlT_E_NS1_11comp_targetILNS1_3genE2ELNS1_11target_archE906ELNS1_3gpuE6ELNS1_3repE0EEENS1_44radix_sort_block_sort_config_static_selectorELNS0_4arch9wavefront6targetE1EEEvSF_.has_dyn_sized_stack, 0
	.set _ZN7rocprim17ROCPRIM_400000_NS6detail17trampoline_kernelINS0_13kernel_configILj256ELj4ELj4294967295EEENS1_37radix_sort_block_sort_config_selectorIisEEZNS1_21radix_sort_block_sortIS4_Lb0EN6thrust23THRUST_200600_302600_NS10device_ptrIiEESB_NSA_IsEESC_NS0_19identity_decomposerEEE10hipError_tT1_T2_T3_T4_jRjT5_jjP12ihipStream_tbEUlT_E_NS1_11comp_targetILNS1_3genE2ELNS1_11target_archE906ELNS1_3gpuE6ELNS1_3repE0EEENS1_44radix_sort_block_sort_config_static_selectorELNS0_4arch9wavefront6targetE1EEEvSF_.has_recursion, 0
	.set _ZN7rocprim17ROCPRIM_400000_NS6detail17trampoline_kernelINS0_13kernel_configILj256ELj4ELj4294967295EEENS1_37radix_sort_block_sort_config_selectorIisEEZNS1_21radix_sort_block_sortIS4_Lb0EN6thrust23THRUST_200600_302600_NS10device_ptrIiEESB_NSA_IsEESC_NS0_19identity_decomposerEEE10hipError_tT1_T2_T3_T4_jRjT5_jjP12ihipStream_tbEUlT_E_NS1_11comp_targetILNS1_3genE2ELNS1_11target_archE906ELNS1_3gpuE6ELNS1_3repE0EEENS1_44radix_sort_block_sort_config_static_selectorELNS0_4arch9wavefront6targetE1EEEvSF_.has_indirect_call, 0
	.section	.AMDGPU.csdata,"",@progbits
; Kernel info:
; codeLenInByte = 0
; TotalNumSgprs: 6
; NumVgprs: 0
; NumAgprs: 0
; TotalNumVgprs: 0
; ScratchSize: 0
; MemoryBound: 0
; FloatMode: 240
; IeeeMode: 1
; LDSByteSize: 0 bytes/workgroup (compile time only)
; SGPRBlocks: 0
; VGPRBlocks: 0
; NumSGPRsForWavesPerEU: 6
; NumVGPRsForWavesPerEU: 1
; AccumOffset: 4
; Occupancy: 8
; WaveLimiterHint : 0
; COMPUTE_PGM_RSRC2:SCRATCH_EN: 0
; COMPUTE_PGM_RSRC2:USER_SGPR: 2
; COMPUTE_PGM_RSRC2:TRAP_HANDLER: 0
; COMPUTE_PGM_RSRC2:TGID_X_EN: 1
; COMPUTE_PGM_RSRC2:TGID_Y_EN: 0
; COMPUTE_PGM_RSRC2:TGID_Z_EN: 0
; COMPUTE_PGM_RSRC2:TIDIG_COMP_CNT: 0
; COMPUTE_PGM_RSRC3_GFX90A:ACCUM_OFFSET: 0
; COMPUTE_PGM_RSRC3_GFX90A:TG_SPLIT: 0
	.section	.text._ZN7rocprim17ROCPRIM_400000_NS6detail17trampoline_kernelINS0_13kernel_configILj256ELj4ELj4294967295EEENS1_37radix_sort_block_sort_config_selectorIisEEZNS1_21radix_sort_block_sortIS4_Lb0EN6thrust23THRUST_200600_302600_NS10device_ptrIiEESB_NSA_IsEESC_NS0_19identity_decomposerEEE10hipError_tT1_T2_T3_T4_jRjT5_jjP12ihipStream_tbEUlT_E_NS1_11comp_targetILNS1_3genE10ELNS1_11target_archE1201ELNS1_3gpuE5ELNS1_3repE0EEENS1_44radix_sort_block_sort_config_static_selectorELNS0_4arch9wavefront6targetE1EEEvSF_,"axG",@progbits,_ZN7rocprim17ROCPRIM_400000_NS6detail17trampoline_kernelINS0_13kernel_configILj256ELj4ELj4294967295EEENS1_37radix_sort_block_sort_config_selectorIisEEZNS1_21radix_sort_block_sortIS4_Lb0EN6thrust23THRUST_200600_302600_NS10device_ptrIiEESB_NSA_IsEESC_NS0_19identity_decomposerEEE10hipError_tT1_T2_T3_T4_jRjT5_jjP12ihipStream_tbEUlT_E_NS1_11comp_targetILNS1_3genE10ELNS1_11target_archE1201ELNS1_3gpuE5ELNS1_3repE0EEENS1_44radix_sort_block_sort_config_static_selectorELNS0_4arch9wavefront6targetE1EEEvSF_,comdat
	.protected	_ZN7rocprim17ROCPRIM_400000_NS6detail17trampoline_kernelINS0_13kernel_configILj256ELj4ELj4294967295EEENS1_37radix_sort_block_sort_config_selectorIisEEZNS1_21radix_sort_block_sortIS4_Lb0EN6thrust23THRUST_200600_302600_NS10device_ptrIiEESB_NSA_IsEESC_NS0_19identity_decomposerEEE10hipError_tT1_T2_T3_T4_jRjT5_jjP12ihipStream_tbEUlT_E_NS1_11comp_targetILNS1_3genE10ELNS1_11target_archE1201ELNS1_3gpuE5ELNS1_3repE0EEENS1_44radix_sort_block_sort_config_static_selectorELNS0_4arch9wavefront6targetE1EEEvSF_ ; -- Begin function _ZN7rocprim17ROCPRIM_400000_NS6detail17trampoline_kernelINS0_13kernel_configILj256ELj4ELj4294967295EEENS1_37radix_sort_block_sort_config_selectorIisEEZNS1_21radix_sort_block_sortIS4_Lb0EN6thrust23THRUST_200600_302600_NS10device_ptrIiEESB_NSA_IsEESC_NS0_19identity_decomposerEEE10hipError_tT1_T2_T3_T4_jRjT5_jjP12ihipStream_tbEUlT_E_NS1_11comp_targetILNS1_3genE10ELNS1_11target_archE1201ELNS1_3gpuE5ELNS1_3repE0EEENS1_44radix_sort_block_sort_config_static_selectorELNS0_4arch9wavefront6targetE1EEEvSF_
	.globl	_ZN7rocprim17ROCPRIM_400000_NS6detail17trampoline_kernelINS0_13kernel_configILj256ELj4ELj4294967295EEENS1_37radix_sort_block_sort_config_selectorIisEEZNS1_21radix_sort_block_sortIS4_Lb0EN6thrust23THRUST_200600_302600_NS10device_ptrIiEESB_NSA_IsEESC_NS0_19identity_decomposerEEE10hipError_tT1_T2_T3_T4_jRjT5_jjP12ihipStream_tbEUlT_E_NS1_11comp_targetILNS1_3genE10ELNS1_11target_archE1201ELNS1_3gpuE5ELNS1_3repE0EEENS1_44radix_sort_block_sort_config_static_selectorELNS0_4arch9wavefront6targetE1EEEvSF_
	.p2align	8
	.type	_ZN7rocprim17ROCPRIM_400000_NS6detail17trampoline_kernelINS0_13kernel_configILj256ELj4ELj4294967295EEENS1_37radix_sort_block_sort_config_selectorIisEEZNS1_21radix_sort_block_sortIS4_Lb0EN6thrust23THRUST_200600_302600_NS10device_ptrIiEESB_NSA_IsEESC_NS0_19identity_decomposerEEE10hipError_tT1_T2_T3_T4_jRjT5_jjP12ihipStream_tbEUlT_E_NS1_11comp_targetILNS1_3genE10ELNS1_11target_archE1201ELNS1_3gpuE5ELNS1_3repE0EEENS1_44radix_sort_block_sort_config_static_selectorELNS0_4arch9wavefront6targetE1EEEvSF_,@function
_ZN7rocprim17ROCPRIM_400000_NS6detail17trampoline_kernelINS0_13kernel_configILj256ELj4ELj4294967295EEENS1_37radix_sort_block_sort_config_selectorIisEEZNS1_21radix_sort_block_sortIS4_Lb0EN6thrust23THRUST_200600_302600_NS10device_ptrIiEESB_NSA_IsEESC_NS0_19identity_decomposerEEE10hipError_tT1_T2_T3_T4_jRjT5_jjP12ihipStream_tbEUlT_E_NS1_11comp_targetILNS1_3genE10ELNS1_11target_archE1201ELNS1_3gpuE5ELNS1_3repE0EEENS1_44radix_sort_block_sort_config_static_selectorELNS0_4arch9wavefront6targetE1EEEvSF_: ; @_ZN7rocprim17ROCPRIM_400000_NS6detail17trampoline_kernelINS0_13kernel_configILj256ELj4ELj4294967295EEENS1_37radix_sort_block_sort_config_selectorIisEEZNS1_21radix_sort_block_sortIS4_Lb0EN6thrust23THRUST_200600_302600_NS10device_ptrIiEESB_NSA_IsEESC_NS0_19identity_decomposerEEE10hipError_tT1_T2_T3_T4_jRjT5_jjP12ihipStream_tbEUlT_E_NS1_11comp_targetILNS1_3genE10ELNS1_11target_archE1201ELNS1_3gpuE5ELNS1_3repE0EEENS1_44radix_sort_block_sort_config_static_selectorELNS0_4arch9wavefront6targetE1EEEvSF_
; %bb.0:
	.section	.rodata,"a",@progbits
	.p2align	6, 0x0
	.amdhsa_kernel _ZN7rocprim17ROCPRIM_400000_NS6detail17trampoline_kernelINS0_13kernel_configILj256ELj4ELj4294967295EEENS1_37radix_sort_block_sort_config_selectorIisEEZNS1_21radix_sort_block_sortIS4_Lb0EN6thrust23THRUST_200600_302600_NS10device_ptrIiEESB_NSA_IsEESC_NS0_19identity_decomposerEEE10hipError_tT1_T2_T3_T4_jRjT5_jjP12ihipStream_tbEUlT_E_NS1_11comp_targetILNS1_3genE10ELNS1_11target_archE1201ELNS1_3gpuE5ELNS1_3repE0EEENS1_44radix_sort_block_sort_config_static_selectorELNS0_4arch9wavefront6targetE1EEEvSF_
		.amdhsa_group_segment_fixed_size 0
		.amdhsa_private_segment_fixed_size 0
		.amdhsa_kernarg_size 48
		.amdhsa_user_sgpr_count 2
		.amdhsa_user_sgpr_dispatch_ptr 0
		.amdhsa_user_sgpr_queue_ptr 0
		.amdhsa_user_sgpr_kernarg_segment_ptr 1
		.amdhsa_user_sgpr_dispatch_id 0
		.amdhsa_user_sgpr_kernarg_preload_length 0
		.amdhsa_user_sgpr_kernarg_preload_offset 0
		.amdhsa_user_sgpr_private_segment_size 0
		.amdhsa_uses_dynamic_stack 0
		.amdhsa_enable_private_segment 0
		.amdhsa_system_sgpr_workgroup_id_x 1
		.amdhsa_system_sgpr_workgroup_id_y 0
		.amdhsa_system_sgpr_workgroup_id_z 0
		.amdhsa_system_sgpr_workgroup_info 0
		.amdhsa_system_vgpr_workitem_id 0
		.amdhsa_next_free_vgpr 1
		.amdhsa_next_free_sgpr 0
		.amdhsa_accum_offset 4
		.amdhsa_reserve_vcc 0
		.amdhsa_float_round_mode_32 0
		.amdhsa_float_round_mode_16_64 0
		.amdhsa_float_denorm_mode_32 3
		.amdhsa_float_denorm_mode_16_64 3
		.amdhsa_dx10_clamp 1
		.amdhsa_ieee_mode 1
		.amdhsa_fp16_overflow 0
		.amdhsa_tg_split 0
		.amdhsa_exception_fp_ieee_invalid_op 0
		.amdhsa_exception_fp_denorm_src 0
		.amdhsa_exception_fp_ieee_div_zero 0
		.amdhsa_exception_fp_ieee_overflow 0
		.amdhsa_exception_fp_ieee_underflow 0
		.amdhsa_exception_fp_ieee_inexact 0
		.amdhsa_exception_int_div_zero 0
	.end_amdhsa_kernel
	.section	.text._ZN7rocprim17ROCPRIM_400000_NS6detail17trampoline_kernelINS0_13kernel_configILj256ELj4ELj4294967295EEENS1_37radix_sort_block_sort_config_selectorIisEEZNS1_21radix_sort_block_sortIS4_Lb0EN6thrust23THRUST_200600_302600_NS10device_ptrIiEESB_NSA_IsEESC_NS0_19identity_decomposerEEE10hipError_tT1_T2_T3_T4_jRjT5_jjP12ihipStream_tbEUlT_E_NS1_11comp_targetILNS1_3genE10ELNS1_11target_archE1201ELNS1_3gpuE5ELNS1_3repE0EEENS1_44radix_sort_block_sort_config_static_selectorELNS0_4arch9wavefront6targetE1EEEvSF_,"axG",@progbits,_ZN7rocprim17ROCPRIM_400000_NS6detail17trampoline_kernelINS0_13kernel_configILj256ELj4ELj4294967295EEENS1_37radix_sort_block_sort_config_selectorIisEEZNS1_21radix_sort_block_sortIS4_Lb0EN6thrust23THRUST_200600_302600_NS10device_ptrIiEESB_NSA_IsEESC_NS0_19identity_decomposerEEE10hipError_tT1_T2_T3_T4_jRjT5_jjP12ihipStream_tbEUlT_E_NS1_11comp_targetILNS1_3genE10ELNS1_11target_archE1201ELNS1_3gpuE5ELNS1_3repE0EEENS1_44radix_sort_block_sort_config_static_selectorELNS0_4arch9wavefront6targetE1EEEvSF_,comdat
.Lfunc_end2277:
	.size	_ZN7rocprim17ROCPRIM_400000_NS6detail17trampoline_kernelINS0_13kernel_configILj256ELj4ELj4294967295EEENS1_37radix_sort_block_sort_config_selectorIisEEZNS1_21radix_sort_block_sortIS4_Lb0EN6thrust23THRUST_200600_302600_NS10device_ptrIiEESB_NSA_IsEESC_NS0_19identity_decomposerEEE10hipError_tT1_T2_T3_T4_jRjT5_jjP12ihipStream_tbEUlT_E_NS1_11comp_targetILNS1_3genE10ELNS1_11target_archE1201ELNS1_3gpuE5ELNS1_3repE0EEENS1_44radix_sort_block_sort_config_static_selectorELNS0_4arch9wavefront6targetE1EEEvSF_, .Lfunc_end2277-_ZN7rocprim17ROCPRIM_400000_NS6detail17trampoline_kernelINS0_13kernel_configILj256ELj4ELj4294967295EEENS1_37radix_sort_block_sort_config_selectorIisEEZNS1_21radix_sort_block_sortIS4_Lb0EN6thrust23THRUST_200600_302600_NS10device_ptrIiEESB_NSA_IsEESC_NS0_19identity_decomposerEEE10hipError_tT1_T2_T3_T4_jRjT5_jjP12ihipStream_tbEUlT_E_NS1_11comp_targetILNS1_3genE10ELNS1_11target_archE1201ELNS1_3gpuE5ELNS1_3repE0EEENS1_44radix_sort_block_sort_config_static_selectorELNS0_4arch9wavefront6targetE1EEEvSF_
                                        ; -- End function
	.set _ZN7rocprim17ROCPRIM_400000_NS6detail17trampoline_kernelINS0_13kernel_configILj256ELj4ELj4294967295EEENS1_37radix_sort_block_sort_config_selectorIisEEZNS1_21radix_sort_block_sortIS4_Lb0EN6thrust23THRUST_200600_302600_NS10device_ptrIiEESB_NSA_IsEESC_NS0_19identity_decomposerEEE10hipError_tT1_T2_T3_T4_jRjT5_jjP12ihipStream_tbEUlT_E_NS1_11comp_targetILNS1_3genE10ELNS1_11target_archE1201ELNS1_3gpuE5ELNS1_3repE0EEENS1_44radix_sort_block_sort_config_static_selectorELNS0_4arch9wavefront6targetE1EEEvSF_.num_vgpr, 0
	.set _ZN7rocprim17ROCPRIM_400000_NS6detail17trampoline_kernelINS0_13kernel_configILj256ELj4ELj4294967295EEENS1_37radix_sort_block_sort_config_selectorIisEEZNS1_21radix_sort_block_sortIS4_Lb0EN6thrust23THRUST_200600_302600_NS10device_ptrIiEESB_NSA_IsEESC_NS0_19identity_decomposerEEE10hipError_tT1_T2_T3_T4_jRjT5_jjP12ihipStream_tbEUlT_E_NS1_11comp_targetILNS1_3genE10ELNS1_11target_archE1201ELNS1_3gpuE5ELNS1_3repE0EEENS1_44radix_sort_block_sort_config_static_selectorELNS0_4arch9wavefront6targetE1EEEvSF_.num_agpr, 0
	.set _ZN7rocprim17ROCPRIM_400000_NS6detail17trampoline_kernelINS0_13kernel_configILj256ELj4ELj4294967295EEENS1_37radix_sort_block_sort_config_selectorIisEEZNS1_21radix_sort_block_sortIS4_Lb0EN6thrust23THRUST_200600_302600_NS10device_ptrIiEESB_NSA_IsEESC_NS0_19identity_decomposerEEE10hipError_tT1_T2_T3_T4_jRjT5_jjP12ihipStream_tbEUlT_E_NS1_11comp_targetILNS1_3genE10ELNS1_11target_archE1201ELNS1_3gpuE5ELNS1_3repE0EEENS1_44radix_sort_block_sort_config_static_selectorELNS0_4arch9wavefront6targetE1EEEvSF_.numbered_sgpr, 0
	.set _ZN7rocprim17ROCPRIM_400000_NS6detail17trampoline_kernelINS0_13kernel_configILj256ELj4ELj4294967295EEENS1_37radix_sort_block_sort_config_selectorIisEEZNS1_21radix_sort_block_sortIS4_Lb0EN6thrust23THRUST_200600_302600_NS10device_ptrIiEESB_NSA_IsEESC_NS0_19identity_decomposerEEE10hipError_tT1_T2_T3_T4_jRjT5_jjP12ihipStream_tbEUlT_E_NS1_11comp_targetILNS1_3genE10ELNS1_11target_archE1201ELNS1_3gpuE5ELNS1_3repE0EEENS1_44radix_sort_block_sort_config_static_selectorELNS0_4arch9wavefront6targetE1EEEvSF_.num_named_barrier, 0
	.set _ZN7rocprim17ROCPRIM_400000_NS6detail17trampoline_kernelINS0_13kernel_configILj256ELj4ELj4294967295EEENS1_37radix_sort_block_sort_config_selectorIisEEZNS1_21radix_sort_block_sortIS4_Lb0EN6thrust23THRUST_200600_302600_NS10device_ptrIiEESB_NSA_IsEESC_NS0_19identity_decomposerEEE10hipError_tT1_T2_T3_T4_jRjT5_jjP12ihipStream_tbEUlT_E_NS1_11comp_targetILNS1_3genE10ELNS1_11target_archE1201ELNS1_3gpuE5ELNS1_3repE0EEENS1_44radix_sort_block_sort_config_static_selectorELNS0_4arch9wavefront6targetE1EEEvSF_.private_seg_size, 0
	.set _ZN7rocprim17ROCPRIM_400000_NS6detail17trampoline_kernelINS0_13kernel_configILj256ELj4ELj4294967295EEENS1_37radix_sort_block_sort_config_selectorIisEEZNS1_21radix_sort_block_sortIS4_Lb0EN6thrust23THRUST_200600_302600_NS10device_ptrIiEESB_NSA_IsEESC_NS0_19identity_decomposerEEE10hipError_tT1_T2_T3_T4_jRjT5_jjP12ihipStream_tbEUlT_E_NS1_11comp_targetILNS1_3genE10ELNS1_11target_archE1201ELNS1_3gpuE5ELNS1_3repE0EEENS1_44radix_sort_block_sort_config_static_selectorELNS0_4arch9wavefront6targetE1EEEvSF_.uses_vcc, 0
	.set _ZN7rocprim17ROCPRIM_400000_NS6detail17trampoline_kernelINS0_13kernel_configILj256ELj4ELj4294967295EEENS1_37radix_sort_block_sort_config_selectorIisEEZNS1_21radix_sort_block_sortIS4_Lb0EN6thrust23THRUST_200600_302600_NS10device_ptrIiEESB_NSA_IsEESC_NS0_19identity_decomposerEEE10hipError_tT1_T2_T3_T4_jRjT5_jjP12ihipStream_tbEUlT_E_NS1_11comp_targetILNS1_3genE10ELNS1_11target_archE1201ELNS1_3gpuE5ELNS1_3repE0EEENS1_44radix_sort_block_sort_config_static_selectorELNS0_4arch9wavefront6targetE1EEEvSF_.uses_flat_scratch, 0
	.set _ZN7rocprim17ROCPRIM_400000_NS6detail17trampoline_kernelINS0_13kernel_configILj256ELj4ELj4294967295EEENS1_37radix_sort_block_sort_config_selectorIisEEZNS1_21radix_sort_block_sortIS4_Lb0EN6thrust23THRUST_200600_302600_NS10device_ptrIiEESB_NSA_IsEESC_NS0_19identity_decomposerEEE10hipError_tT1_T2_T3_T4_jRjT5_jjP12ihipStream_tbEUlT_E_NS1_11comp_targetILNS1_3genE10ELNS1_11target_archE1201ELNS1_3gpuE5ELNS1_3repE0EEENS1_44radix_sort_block_sort_config_static_selectorELNS0_4arch9wavefront6targetE1EEEvSF_.has_dyn_sized_stack, 0
	.set _ZN7rocprim17ROCPRIM_400000_NS6detail17trampoline_kernelINS0_13kernel_configILj256ELj4ELj4294967295EEENS1_37radix_sort_block_sort_config_selectorIisEEZNS1_21radix_sort_block_sortIS4_Lb0EN6thrust23THRUST_200600_302600_NS10device_ptrIiEESB_NSA_IsEESC_NS0_19identity_decomposerEEE10hipError_tT1_T2_T3_T4_jRjT5_jjP12ihipStream_tbEUlT_E_NS1_11comp_targetILNS1_3genE10ELNS1_11target_archE1201ELNS1_3gpuE5ELNS1_3repE0EEENS1_44radix_sort_block_sort_config_static_selectorELNS0_4arch9wavefront6targetE1EEEvSF_.has_recursion, 0
	.set _ZN7rocprim17ROCPRIM_400000_NS6detail17trampoline_kernelINS0_13kernel_configILj256ELj4ELj4294967295EEENS1_37radix_sort_block_sort_config_selectorIisEEZNS1_21radix_sort_block_sortIS4_Lb0EN6thrust23THRUST_200600_302600_NS10device_ptrIiEESB_NSA_IsEESC_NS0_19identity_decomposerEEE10hipError_tT1_T2_T3_T4_jRjT5_jjP12ihipStream_tbEUlT_E_NS1_11comp_targetILNS1_3genE10ELNS1_11target_archE1201ELNS1_3gpuE5ELNS1_3repE0EEENS1_44radix_sort_block_sort_config_static_selectorELNS0_4arch9wavefront6targetE1EEEvSF_.has_indirect_call, 0
	.section	.AMDGPU.csdata,"",@progbits
; Kernel info:
; codeLenInByte = 0
; TotalNumSgprs: 6
; NumVgprs: 0
; NumAgprs: 0
; TotalNumVgprs: 0
; ScratchSize: 0
; MemoryBound: 0
; FloatMode: 240
; IeeeMode: 1
; LDSByteSize: 0 bytes/workgroup (compile time only)
; SGPRBlocks: 0
; VGPRBlocks: 0
; NumSGPRsForWavesPerEU: 6
; NumVGPRsForWavesPerEU: 1
; AccumOffset: 4
; Occupancy: 8
; WaveLimiterHint : 0
; COMPUTE_PGM_RSRC2:SCRATCH_EN: 0
; COMPUTE_PGM_RSRC2:USER_SGPR: 2
; COMPUTE_PGM_RSRC2:TRAP_HANDLER: 0
; COMPUTE_PGM_RSRC2:TGID_X_EN: 1
; COMPUTE_PGM_RSRC2:TGID_Y_EN: 0
; COMPUTE_PGM_RSRC2:TGID_Z_EN: 0
; COMPUTE_PGM_RSRC2:TIDIG_COMP_CNT: 0
; COMPUTE_PGM_RSRC3_GFX90A:ACCUM_OFFSET: 0
; COMPUTE_PGM_RSRC3_GFX90A:TG_SPLIT: 0
	.section	.text._ZN7rocprim17ROCPRIM_400000_NS6detail17trampoline_kernelINS0_13kernel_configILj256ELj4ELj4294967295EEENS1_37radix_sort_block_sort_config_selectorIisEEZNS1_21radix_sort_block_sortIS4_Lb0EN6thrust23THRUST_200600_302600_NS10device_ptrIiEESB_NSA_IsEESC_NS0_19identity_decomposerEEE10hipError_tT1_T2_T3_T4_jRjT5_jjP12ihipStream_tbEUlT_E_NS1_11comp_targetILNS1_3genE10ELNS1_11target_archE1200ELNS1_3gpuE4ELNS1_3repE0EEENS1_44radix_sort_block_sort_config_static_selectorELNS0_4arch9wavefront6targetE1EEEvSF_,"axG",@progbits,_ZN7rocprim17ROCPRIM_400000_NS6detail17trampoline_kernelINS0_13kernel_configILj256ELj4ELj4294967295EEENS1_37radix_sort_block_sort_config_selectorIisEEZNS1_21radix_sort_block_sortIS4_Lb0EN6thrust23THRUST_200600_302600_NS10device_ptrIiEESB_NSA_IsEESC_NS0_19identity_decomposerEEE10hipError_tT1_T2_T3_T4_jRjT5_jjP12ihipStream_tbEUlT_E_NS1_11comp_targetILNS1_3genE10ELNS1_11target_archE1200ELNS1_3gpuE4ELNS1_3repE0EEENS1_44radix_sort_block_sort_config_static_selectorELNS0_4arch9wavefront6targetE1EEEvSF_,comdat
	.protected	_ZN7rocprim17ROCPRIM_400000_NS6detail17trampoline_kernelINS0_13kernel_configILj256ELj4ELj4294967295EEENS1_37radix_sort_block_sort_config_selectorIisEEZNS1_21radix_sort_block_sortIS4_Lb0EN6thrust23THRUST_200600_302600_NS10device_ptrIiEESB_NSA_IsEESC_NS0_19identity_decomposerEEE10hipError_tT1_T2_T3_T4_jRjT5_jjP12ihipStream_tbEUlT_E_NS1_11comp_targetILNS1_3genE10ELNS1_11target_archE1200ELNS1_3gpuE4ELNS1_3repE0EEENS1_44radix_sort_block_sort_config_static_selectorELNS0_4arch9wavefront6targetE1EEEvSF_ ; -- Begin function _ZN7rocprim17ROCPRIM_400000_NS6detail17trampoline_kernelINS0_13kernel_configILj256ELj4ELj4294967295EEENS1_37radix_sort_block_sort_config_selectorIisEEZNS1_21radix_sort_block_sortIS4_Lb0EN6thrust23THRUST_200600_302600_NS10device_ptrIiEESB_NSA_IsEESC_NS0_19identity_decomposerEEE10hipError_tT1_T2_T3_T4_jRjT5_jjP12ihipStream_tbEUlT_E_NS1_11comp_targetILNS1_3genE10ELNS1_11target_archE1200ELNS1_3gpuE4ELNS1_3repE0EEENS1_44radix_sort_block_sort_config_static_selectorELNS0_4arch9wavefront6targetE1EEEvSF_
	.globl	_ZN7rocprim17ROCPRIM_400000_NS6detail17trampoline_kernelINS0_13kernel_configILj256ELj4ELj4294967295EEENS1_37radix_sort_block_sort_config_selectorIisEEZNS1_21radix_sort_block_sortIS4_Lb0EN6thrust23THRUST_200600_302600_NS10device_ptrIiEESB_NSA_IsEESC_NS0_19identity_decomposerEEE10hipError_tT1_T2_T3_T4_jRjT5_jjP12ihipStream_tbEUlT_E_NS1_11comp_targetILNS1_3genE10ELNS1_11target_archE1200ELNS1_3gpuE4ELNS1_3repE0EEENS1_44radix_sort_block_sort_config_static_selectorELNS0_4arch9wavefront6targetE1EEEvSF_
	.p2align	8
	.type	_ZN7rocprim17ROCPRIM_400000_NS6detail17trampoline_kernelINS0_13kernel_configILj256ELj4ELj4294967295EEENS1_37radix_sort_block_sort_config_selectorIisEEZNS1_21radix_sort_block_sortIS4_Lb0EN6thrust23THRUST_200600_302600_NS10device_ptrIiEESB_NSA_IsEESC_NS0_19identity_decomposerEEE10hipError_tT1_T2_T3_T4_jRjT5_jjP12ihipStream_tbEUlT_E_NS1_11comp_targetILNS1_3genE10ELNS1_11target_archE1200ELNS1_3gpuE4ELNS1_3repE0EEENS1_44radix_sort_block_sort_config_static_selectorELNS0_4arch9wavefront6targetE1EEEvSF_,@function
_ZN7rocprim17ROCPRIM_400000_NS6detail17trampoline_kernelINS0_13kernel_configILj256ELj4ELj4294967295EEENS1_37radix_sort_block_sort_config_selectorIisEEZNS1_21radix_sort_block_sortIS4_Lb0EN6thrust23THRUST_200600_302600_NS10device_ptrIiEESB_NSA_IsEESC_NS0_19identity_decomposerEEE10hipError_tT1_T2_T3_T4_jRjT5_jjP12ihipStream_tbEUlT_E_NS1_11comp_targetILNS1_3genE10ELNS1_11target_archE1200ELNS1_3gpuE4ELNS1_3repE0EEENS1_44radix_sort_block_sort_config_static_selectorELNS0_4arch9wavefront6targetE1EEEvSF_: ; @_ZN7rocprim17ROCPRIM_400000_NS6detail17trampoline_kernelINS0_13kernel_configILj256ELj4ELj4294967295EEENS1_37radix_sort_block_sort_config_selectorIisEEZNS1_21radix_sort_block_sortIS4_Lb0EN6thrust23THRUST_200600_302600_NS10device_ptrIiEESB_NSA_IsEESC_NS0_19identity_decomposerEEE10hipError_tT1_T2_T3_T4_jRjT5_jjP12ihipStream_tbEUlT_E_NS1_11comp_targetILNS1_3genE10ELNS1_11target_archE1200ELNS1_3gpuE4ELNS1_3repE0EEENS1_44radix_sort_block_sort_config_static_selectorELNS0_4arch9wavefront6targetE1EEEvSF_
; %bb.0:
	.section	.rodata,"a",@progbits
	.p2align	6, 0x0
	.amdhsa_kernel _ZN7rocprim17ROCPRIM_400000_NS6detail17trampoline_kernelINS0_13kernel_configILj256ELj4ELj4294967295EEENS1_37radix_sort_block_sort_config_selectorIisEEZNS1_21radix_sort_block_sortIS4_Lb0EN6thrust23THRUST_200600_302600_NS10device_ptrIiEESB_NSA_IsEESC_NS0_19identity_decomposerEEE10hipError_tT1_T2_T3_T4_jRjT5_jjP12ihipStream_tbEUlT_E_NS1_11comp_targetILNS1_3genE10ELNS1_11target_archE1200ELNS1_3gpuE4ELNS1_3repE0EEENS1_44radix_sort_block_sort_config_static_selectorELNS0_4arch9wavefront6targetE1EEEvSF_
		.amdhsa_group_segment_fixed_size 0
		.amdhsa_private_segment_fixed_size 0
		.amdhsa_kernarg_size 48
		.amdhsa_user_sgpr_count 2
		.amdhsa_user_sgpr_dispatch_ptr 0
		.amdhsa_user_sgpr_queue_ptr 0
		.amdhsa_user_sgpr_kernarg_segment_ptr 1
		.amdhsa_user_sgpr_dispatch_id 0
		.amdhsa_user_sgpr_kernarg_preload_length 0
		.amdhsa_user_sgpr_kernarg_preload_offset 0
		.amdhsa_user_sgpr_private_segment_size 0
		.amdhsa_uses_dynamic_stack 0
		.amdhsa_enable_private_segment 0
		.amdhsa_system_sgpr_workgroup_id_x 1
		.amdhsa_system_sgpr_workgroup_id_y 0
		.amdhsa_system_sgpr_workgroup_id_z 0
		.amdhsa_system_sgpr_workgroup_info 0
		.amdhsa_system_vgpr_workitem_id 0
		.amdhsa_next_free_vgpr 1
		.amdhsa_next_free_sgpr 0
		.amdhsa_accum_offset 4
		.amdhsa_reserve_vcc 0
		.amdhsa_float_round_mode_32 0
		.amdhsa_float_round_mode_16_64 0
		.amdhsa_float_denorm_mode_32 3
		.amdhsa_float_denorm_mode_16_64 3
		.amdhsa_dx10_clamp 1
		.amdhsa_ieee_mode 1
		.amdhsa_fp16_overflow 0
		.amdhsa_tg_split 0
		.amdhsa_exception_fp_ieee_invalid_op 0
		.amdhsa_exception_fp_denorm_src 0
		.amdhsa_exception_fp_ieee_div_zero 0
		.amdhsa_exception_fp_ieee_overflow 0
		.amdhsa_exception_fp_ieee_underflow 0
		.amdhsa_exception_fp_ieee_inexact 0
		.amdhsa_exception_int_div_zero 0
	.end_amdhsa_kernel
	.section	.text._ZN7rocprim17ROCPRIM_400000_NS6detail17trampoline_kernelINS0_13kernel_configILj256ELj4ELj4294967295EEENS1_37radix_sort_block_sort_config_selectorIisEEZNS1_21radix_sort_block_sortIS4_Lb0EN6thrust23THRUST_200600_302600_NS10device_ptrIiEESB_NSA_IsEESC_NS0_19identity_decomposerEEE10hipError_tT1_T2_T3_T4_jRjT5_jjP12ihipStream_tbEUlT_E_NS1_11comp_targetILNS1_3genE10ELNS1_11target_archE1200ELNS1_3gpuE4ELNS1_3repE0EEENS1_44radix_sort_block_sort_config_static_selectorELNS0_4arch9wavefront6targetE1EEEvSF_,"axG",@progbits,_ZN7rocprim17ROCPRIM_400000_NS6detail17trampoline_kernelINS0_13kernel_configILj256ELj4ELj4294967295EEENS1_37radix_sort_block_sort_config_selectorIisEEZNS1_21radix_sort_block_sortIS4_Lb0EN6thrust23THRUST_200600_302600_NS10device_ptrIiEESB_NSA_IsEESC_NS0_19identity_decomposerEEE10hipError_tT1_T2_T3_T4_jRjT5_jjP12ihipStream_tbEUlT_E_NS1_11comp_targetILNS1_3genE10ELNS1_11target_archE1200ELNS1_3gpuE4ELNS1_3repE0EEENS1_44radix_sort_block_sort_config_static_selectorELNS0_4arch9wavefront6targetE1EEEvSF_,comdat
.Lfunc_end2278:
	.size	_ZN7rocprim17ROCPRIM_400000_NS6detail17trampoline_kernelINS0_13kernel_configILj256ELj4ELj4294967295EEENS1_37radix_sort_block_sort_config_selectorIisEEZNS1_21radix_sort_block_sortIS4_Lb0EN6thrust23THRUST_200600_302600_NS10device_ptrIiEESB_NSA_IsEESC_NS0_19identity_decomposerEEE10hipError_tT1_T2_T3_T4_jRjT5_jjP12ihipStream_tbEUlT_E_NS1_11comp_targetILNS1_3genE10ELNS1_11target_archE1200ELNS1_3gpuE4ELNS1_3repE0EEENS1_44radix_sort_block_sort_config_static_selectorELNS0_4arch9wavefront6targetE1EEEvSF_, .Lfunc_end2278-_ZN7rocprim17ROCPRIM_400000_NS6detail17trampoline_kernelINS0_13kernel_configILj256ELj4ELj4294967295EEENS1_37radix_sort_block_sort_config_selectorIisEEZNS1_21radix_sort_block_sortIS4_Lb0EN6thrust23THRUST_200600_302600_NS10device_ptrIiEESB_NSA_IsEESC_NS0_19identity_decomposerEEE10hipError_tT1_T2_T3_T4_jRjT5_jjP12ihipStream_tbEUlT_E_NS1_11comp_targetILNS1_3genE10ELNS1_11target_archE1200ELNS1_3gpuE4ELNS1_3repE0EEENS1_44radix_sort_block_sort_config_static_selectorELNS0_4arch9wavefront6targetE1EEEvSF_
                                        ; -- End function
	.set _ZN7rocprim17ROCPRIM_400000_NS6detail17trampoline_kernelINS0_13kernel_configILj256ELj4ELj4294967295EEENS1_37radix_sort_block_sort_config_selectorIisEEZNS1_21radix_sort_block_sortIS4_Lb0EN6thrust23THRUST_200600_302600_NS10device_ptrIiEESB_NSA_IsEESC_NS0_19identity_decomposerEEE10hipError_tT1_T2_T3_T4_jRjT5_jjP12ihipStream_tbEUlT_E_NS1_11comp_targetILNS1_3genE10ELNS1_11target_archE1200ELNS1_3gpuE4ELNS1_3repE0EEENS1_44radix_sort_block_sort_config_static_selectorELNS0_4arch9wavefront6targetE1EEEvSF_.num_vgpr, 0
	.set _ZN7rocprim17ROCPRIM_400000_NS6detail17trampoline_kernelINS0_13kernel_configILj256ELj4ELj4294967295EEENS1_37radix_sort_block_sort_config_selectorIisEEZNS1_21radix_sort_block_sortIS4_Lb0EN6thrust23THRUST_200600_302600_NS10device_ptrIiEESB_NSA_IsEESC_NS0_19identity_decomposerEEE10hipError_tT1_T2_T3_T4_jRjT5_jjP12ihipStream_tbEUlT_E_NS1_11comp_targetILNS1_3genE10ELNS1_11target_archE1200ELNS1_3gpuE4ELNS1_3repE0EEENS1_44radix_sort_block_sort_config_static_selectorELNS0_4arch9wavefront6targetE1EEEvSF_.num_agpr, 0
	.set _ZN7rocprim17ROCPRIM_400000_NS6detail17trampoline_kernelINS0_13kernel_configILj256ELj4ELj4294967295EEENS1_37radix_sort_block_sort_config_selectorIisEEZNS1_21radix_sort_block_sortIS4_Lb0EN6thrust23THRUST_200600_302600_NS10device_ptrIiEESB_NSA_IsEESC_NS0_19identity_decomposerEEE10hipError_tT1_T2_T3_T4_jRjT5_jjP12ihipStream_tbEUlT_E_NS1_11comp_targetILNS1_3genE10ELNS1_11target_archE1200ELNS1_3gpuE4ELNS1_3repE0EEENS1_44radix_sort_block_sort_config_static_selectorELNS0_4arch9wavefront6targetE1EEEvSF_.numbered_sgpr, 0
	.set _ZN7rocprim17ROCPRIM_400000_NS6detail17trampoline_kernelINS0_13kernel_configILj256ELj4ELj4294967295EEENS1_37radix_sort_block_sort_config_selectorIisEEZNS1_21radix_sort_block_sortIS4_Lb0EN6thrust23THRUST_200600_302600_NS10device_ptrIiEESB_NSA_IsEESC_NS0_19identity_decomposerEEE10hipError_tT1_T2_T3_T4_jRjT5_jjP12ihipStream_tbEUlT_E_NS1_11comp_targetILNS1_3genE10ELNS1_11target_archE1200ELNS1_3gpuE4ELNS1_3repE0EEENS1_44radix_sort_block_sort_config_static_selectorELNS0_4arch9wavefront6targetE1EEEvSF_.num_named_barrier, 0
	.set _ZN7rocprim17ROCPRIM_400000_NS6detail17trampoline_kernelINS0_13kernel_configILj256ELj4ELj4294967295EEENS1_37radix_sort_block_sort_config_selectorIisEEZNS1_21radix_sort_block_sortIS4_Lb0EN6thrust23THRUST_200600_302600_NS10device_ptrIiEESB_NSA_IsEESC_NS0_19identity_decomposerEEE10hipError_tT1_T2_T3_T4_jRjT5_jjP12ihipStream_tbEUlT_E_NS1_11comp_targetILNS1_3genE10ELNS1_11target_archE1200ELNS1_3gpuE4ELNS1_3repE0EEENS1_44radix_sort_block_sort_config_static_selectorELNS0_4arch9wavefront6targetE1EEEvSF_.private_seg_size, 0
	.set _ZN7rocprim17ROCPRIM_400000_NS6detail17trampoline_kernelINS0_13kernel_configILj256ELj4ELj4294967295EEENS1_37radix_sort_block_sort_config_selectorIisEEZNS1_21radix_sort_block_sortIS4_Lb0EN6thrust23THRUST_200600_302600_NS10device_ptrIiEESB_NSA_IsEESC_NS0_19identity_decomposerEEE10hipError_tT1_T2_T3_T4_jRjT5_jjP12ihipStream_tbEUlT_E_NS1_11comp_targetILNS1_3genE10ELNS1_11target_archE1200ELNS1_3gpuE4ELNS1_3repE0EEENS1_44radix_sort_block_sort_config_static_selectorELNS0_4arch9wavefront6targetE1EEEvSF_.uses_vcc, 0
	.set _ZN7rocprim17ROCPRIM_400000_NS6detail17trampoline_kernelINS0_13kernel_configILj256ELj4ELj4294967295EEENS1_37radix_sort_block_sort_config_selectorIisEEZNS1_21radix_sort_block_sortIS4_Lb0EN6thrust23THRUST_200600_302600_NS10device_ptrIiEESB_NSA_IsEESC_NS0_19identity_decomposerEEE10hipError_tT1_T2_T3_T4_jRjT5_jjP12ihipStream_tbEUlT_E_NS1_11comp_targetILNS1_3genE10ELNS1_11target_archE1200ELNS1_3gpuE4ELNS1_3repE0EEENS1_44radix_sort_block_sort_config_static_selectorELNS0_4arch9wavefront6targetE1EEEvSF_.uses_flat_scratch, 0
	.set _ZN7rocprim17ROCPRIM_400000_NS6detail17trampoline_kernelINS0_13kernel_configILj256ELj4ELj4294967295EEENS1_37radix_sort_block_sort_config_selectorIisEEZNS1_21radix_sort_block_sortIS4_Lb0EN6thrust23THRUST_200600_302600_NS10device_ptrIiEESB_NSA_IsEESC_NS0_19identity_decomposerEEE10hipError_tT1_T2_T3_T4_jRjT5_jjP12ihipStream_tbEUlT_E_NS1_11comp_targetILNS1_3genE10ELNS1_11target_archE1200ELNS1_3gpuE4ELNS1_3repE0EEENS1_44radix_sort_block_sort_config_static_selectorELNS0_4arch9wavefront6targetE1EEEvSF_.has_dyn_sized_stack, 0
	.set _ZN7rocprim17ROCPRIM_400000_NS6detail17trampoline_kernelINS0_13kernel_configILj256ELj4ELj4294967295EEENS1_37radix_sort_block_sort_config_selectorIisEEZNS1_21radix_sort_block_sortIS4_Lb0EN6thrust23THRUST_200600_302600_NS10device_ptrIiEESB_NSA_IsEESC_NS0_19identity_decomposerEEE10hipError_tT1_T2_T3_T4_jRjT5_jjP12ihipStream_tbEUlT_E_NS1_11comp_targetILNS1_3genE10ELNS1_11target_archE1200ELNS1_3gpuE4ELNS1_3repE0EEENS1_44radix_sort_block_sort_config_static_selectorELNS0_4arch9wavefront6targetE1EEEvSF_.has_recursion, 0
	.set _ZN7rocprim17ROCPRIM_400000_NS6detail17trampoline_kernelINS0_13kernel_configILj256ELj4ELj4294967295EEENS1_37radix_sort_block_sort_config_selectorIisEEZNS1_21radix_sort_block_sortIS4_Lb0EN6thrust23THRUST_200600_302600_NS10device_ptrIiEESB_NSA_IsEESC_NS0_19identity_decomposerEEE10hipError_tT1_T2_T3_T4_jRjT5_jjP12ihipStream_tbEUlT_E_NS1_11comp_targetILNS1_3genE10ELNS1_11target_archE1200ELNS1_3gpuE4ELNS1_3repE0EEENS1_44radix_sort_block_sort_config_static_selectorELNS0_4arch9wavefront6targetE1EEEvSF_.has_indirect_call, 0
	.section	.AMDGPU.csdata,"",@progbits
; Kernel info:
; codeLenInByte = 0
; TotalNumSgprs: 6
; NumVgprs: 0
; NumAgprs: 0
; TotalNumVgprs: 0
; ScratchSize: 0
; MemoryBound: 0
; FloatMode: 240
; IeeeMode: 1
; LDSByteSize: 0 bytes/workgroup (compile time only)
; SGPRBlocks: 0
; VGPRBlocks: 0
; NumSGPRsForWavesPerEU: 6
; NumVGPRsForWavesPerEU: 1
; AccumOffset: 4
; Occupancy: 8
; WaveLimiterHint : 0
; COMPUTE_PGM_RSRC2:SCRATCH_EN: 0
; COMPUTE_PGM_RSRC2:USER_SGPR: 2
; COMPUTE_PGM_RSRC2:TRAP_HANDLER: 0
; COMPUTE_PGM_RSRC2:TGID_X_EN: 1
; COMPUTE_PGM_RSRC2:TGID_Y_EN: 0
; COMPUTE_PGM_RSRC2:TGID_Z_EN: 0
; COMPUTE_PGM_RSRC2:TIDIG_COMP_CNT: 0
; COMPUTE_PGM_RSRC3_GFX90A:ACCUM_OFFSET: 0
; COMPUTE_PGM_RSRC3_GFX90A:TG_SPLIT: 0
	.section	.text._ZN7rocprim17ROCPRIM_400000_NS6detail17trampoline_kernelINS0_13kernel_configILj256ELj4ELj4294967295EEENS1_37radix_sort_block_sort_config_selectorIisEEZNS1_21radix_sort_block_sortIS4_Lb0EN6thrust23THRUST_200600_302600_NS10device_ptrIiEESB_NSA_IsEESC_NS0_19identity_decomposerEEE10hipError_tT1_T2_T3_T4_jRjT5_jjP12ihipStream_tbEUlT_E_NS1_11comp_targetILNS1_3genE9ELNS1_11target_archE1100ELNS1_3gpuE3ELNS1_3repE0EEENS1_44radix_sort_block_sort_config_static_selectorELNS0_4arch9wavefront6targetE1EEEvSF_,"axG",@progbits,_ZN7rocprim17ROCPRIM_400000_NS6detail17trampoline_kernelINS0_13kernel_configILj256ELj4ELj4294967295EEENS1_37radix_sort_block_sort_config_selectorIisEEZNS1_21radix_sort_block_sortIS4_Lb0EN6thrust23THRUST_200600_302600_NS10device_ptrIiEESB_NSA_IsEESC_NS0_19identity_decomposerEEE10hipError_tT1_T2_T3_T4_jRjT5_jjP12ihipStream_tbEUlT_E_NS1_11comp_targetILNS1_3genE9ELNS1_11target_archE1100ELNS1_3gpuE3ELNS1_3repE0EEENS1_44radix_sort_block_sort_config_static_selectorELNS0_4arch9wavefront6targetE1EEEvSF_,comdat
	.protected	_ZN7rocprim17ROCPRIM_400000_NS6detail17trampoline_kernelINS0_13kernel_configILj256ELj4ELj4294967295EEENS1_37radix_sort_block_sort_config_selectorIisEEZNS1_21radix_sort_block_sortIS4_Lb0EN6thrust23THRUST_200600_302600_NS10device_ptrIiEESB_NSA_IsEESC_NS0_19identity_decomposerEEE10hipError_tT1_T2_T3_T4_jRjT5_jjP12ihipStream_tbEUlT_E_NS1_11comp_targetILNS1_3genE9ELNS1_11target_archE1100ELNS1_3gpuE3ELNS1_3repE0EEENS1_44radix_sort_block_sort_config_static_selectorELNS0_4arch9wavefront6targetE1EEEvSF_ ; -- Begin function _ZN7rocprim17ROCPRIM_400000_NS6detail17trampoline_kernelINS0_13kernel_configILj256ELj4ELj4294967295EEENS1_37radix_sort_block_sort_config_selectorIisEEZNS1_21radix_sort_block_sortIS4_Lb0EN6thrust23THRUST_200600_302600_NS10device_ptrIiEESB_NSA_IsEESC_NS0_19identity_decomposerEEE10hipError_tT1_T2_T3_T4_jRjT5_jjP12ihipStream_tbEUlT_E_NS1_11comp_targetILNS1_3genE9ELNS1_11target_archE1100ELNS1_3gpuE3ELNS1_3repE0EEENS1_44radix_sort_block_sort_config_static_selectorELNS0_4arch9wavefront6targetE1EEEvSF_
	.globl	_ZN7rocprim17ROCPRIM_400000_NS6detail17trampoline_kernelINS0_13kernel_configILj256ELj4ELj4294967295EEENS1_37radix_sort_block_sort_config_selectorIisEEZNS1_21radix_sort_block_sortIS4_Lb0EN6thrust23THRUST_200600_302600_NS10device_ptrIiEESB_NSA_IsEESC_NS0_19identity_decomposerEEE10hipError_tT1_T2_T3_T4_jRjT5_jjP12ihipStream_tbEUlT_E_NS1_11comp_targetILNS1_3genE9ELNS1_11target_archE1100ELNS1_3gpuE3ELNS1_3repE0EEENS1_44radix_sort_block_sort_config_static_selectorELNS0_4arch9wavefront6targetE1EEEvSF_
	.p2align	8
	.type	_ZN7rocprim17ROCPRIM_400000_NS6detail17trampoline_kernelINS0_13kernel_configILj256ELj4ELj4294967295EEENS1_37radix_sort_block_sort_config_selectorIisEEZNS1_21radix_sort_block_sortIS4_Lb0EN6thrust23THRUST_200600_302600_NS10device_ptrIiEESB_NSA_IsEESC_NS0_19identity_decomposerEEE10hipError_tT1_T2_T3_T4_jRjT5_jjP12ihipStream_tbEUlT_E_NS1_11comp_targetILNS1_3genE9ELNS1_11target_archE1100ELNS1_3gpuE3ELNS1_3repE0EEENS1_44radix_sort_block_sort_config_static_selectorELNS0_4arch9wavefront6targetE1EEEvSF_,@function
_ZN7rocprim17ROCPRIM_400000_NS6detail17trampoline_kernelINS0_13kernel_configILj256ELj4ELj4294967295EEENS1_37radix_sort_block_sort_config_selectorIisEEZNS1_21radix_sort_block_sortIS4_Lb0EN6thrust23THRUST_200600_302600_NS10device_ptrIiEESB_NSA_IsEESC_NS0_19identity_decomposerEEE10hipError_tT1_T2_T3_T4_jRjT5_jjP12ihipStream_tbEUlT_E_NS1_11comp_targetILNS1_3genE9ELNS1_11target_archE1100ELNS1_3gpuE3ELNS1_3repE0EEENS1_44radix_sort_block_sort_config_static_selectorELNS0_4arch9wavefront6targetE1EEEvSF_: ; @_ZN7rocprim17ROCPRIM_400000_NS6detail17trampoline_kernelINS0_13kernel_configILj256ELj4ELj4294967295EEENS1_37radix_sort_block_sort_config_selectorIisEEZNS1_21radix_sort_block_sortIS4_Lb0EN6thrust23THRUST_200600_302600_NS10device_ptrIiEESB_NSA_IsEESC_NS0_19identity_decomposerEEE10hipError_tT1_T2_T3_T4_jRjT5_jjP12ihipStream_tbEUlT_E_NS1_11comp_targetILNS1_3genE9ELNS1_11target_archE1100ELNS1_3gpuE3ELNS1_3repE0EEENS1_44radix_sort_block_sort_config_static_selectorELNS0_4arch9wavefront6targetE1EEEvSF_
; %bb.0:
	.section	.rodata,"a",@progbits
	.p2align	6, 0x0
	.amdhsa_kernel _ZN7rocprim17ROCPRIM_400000_NS6detail17trampoline_kernelINS0_13kernel_configILj256ELj4ELj4294967295EEENS1_37radix_sort_block_sort_config_selectorIisEEZNS1_21radix_sort_block_sortIS4_Lb0EN6thrust23THRUST_200600_302600_NS10device_ptrIiEESB_NSA_IsEESC_NS0_19identity_decomposerEEE10hipError_tT1_T2_T3_T4_jRjT5_jjP12ihipStream_tbEUlT_E_NS1_11comp_targetILNS1_3genE9ELNS1_11target_archE1100ELNS1_3gpuE3ELNS1_3repE0EEENS1_44radix_sort_block_sort_config_static_selectorELNS0_4arch9wavefront6targetE1EEEvSF_
		.amdhsa_group_segment_fixed_size 0
		.amdhsa_private_segment_fixed_size 0
		.amdhsa_kernarg_size 48
		.amdhsa_user_sgpr_count 2
		.amdhsa_user_sgpr_dispatch_ptr 0
		.amdhsa_user_sgpr_queue_ptr 0
		.amdhsa_user_sgpr_kernarg_segment_ptr 1
		.amdhsa_user_sgpr_dispatch_id 0
		.amdhsa_user_sgpr_kernarg_preload_length 0
		.amdhsa_user_sgpr_kernarg_preload_offset 0
		.amdhsa_user_sgpr_private_segment_size 0
		.amdhsa_uses_dynamic_stack 0
		.amdhsa_enable_private_segment 0
		.amdhsa_system_sgpr_workgroup_id_x 1
		.amdhsa_system_sgpr_workgroup_id_y 0
		.amdhsa_system_sgpr_workgroup_id_z 0
		.amdhsa_system_sgpr_workgroup_info 0
		.amdhsa_system_vgpr_workitem_id 0
		.amdhsa_next_free_vgpr 1
		.amdhsa_next_free_sgpr 0
		.amdhsa_accum_offset 4
		.amdhsa_reserve_vcc 0
		.amdhsa_float_round_mode_32 0
		.amdhsa_float_round_mode_16_64 0
		.amdhsa_float_denorm_mode_32 3
		.amdhsa_float_denorm_mode_16_64 3
		.amdhsa_dx10_clamp 1
		.amdhsa_ieee_mode 1
		.amdhsa_fp16_overflow 0
		.amdhsa_tg_split 0
		.amdhsa_exception_fp_ieee_invalid_op 0
		.amdhsa_exception_fp_denorm_src 0
		.amdhsa_exception_fp_ieee_div_zero 0
		.amdhsa_exception_fp_ieee_overflow 0
		.amdhsa_exception_fp_ieee_underflow 0
		.amdhsa_exception_fp_ieee_inexact 0
		.amdhsa_exception_int_div_zero 0
	.end_amdhsa_kernel
	.section	.text._ZN7rocprim17ROCPRIM_400000_NS6detail17trampoline_kernelINS0_13kernel_configILj256ELj4ELj4294967295EEENS1_37radix_sort_block_sort_config_selectorIisEEZNS1_21radix_sort_block_sortIS4_Lb0EN6thrust23THRUST_200600_302600_NS10device_ptrIiEESB_NSA_IsEESC_NS0_19identity_decomposerEEE10hipError_tT1_T2_T3_T4_jRjT5_jjP12ihipStream_tbEUlT_E_NS1_11comp_targetILNS1_3genE9ELNS1_11target_archE1100ELNS1_3gpuE3ELNS1_3repE0EEENS1_44radix_sort_block_sort_config_static_selectorELNS0_4arch9wavefront6targetE1EEEvSF_,"axG",@progbits,_ZN7rocprim17ROCPRIM_400000_NS6detail17trampoline_kernelINS0_13kernel_configILj256ELj4ELj4294967295EEENS1_37radix_sort_block_sort_config_selectorIisEEZNS1_21radix_sort_block_sortIS4_Lb0EN6thrust23THRUST_200600_302600_NS10device_ptrIiEESB_NSA_IsEESC_NS0_19identity_decomposerEEE10hipError_tT1_T2_T3_T4_jRjT5_jjP12ihipStream_tbEUlT_E_NS1_11comp_targetILNS1_3genE9ELNS1_11target_archE1100ELNS1_3gpuE3ELNS1_3repE0EEENS1_44radix_sort_block_sort_config_static_selectorELNS0_4arch9wavefront6targetE1EEEvSF_,comdat
.Lfunc_end2279:
	.size	_ZN7rocprim17ROCPRIM_400000_NS6detail17trampoline_kernelINS0_13kernel_configILj256ELj4ELj4294967295EEENS1_37radix_sort_block_sort_config_selectorIisEEZNS1_21radix_sort_block_sortIS4_Lb0EN6thrust23THRUST_200600_302600_NS10device_ptrIiEESB_NSA_IsEESC_NS0_19identity_decomposerEEE10hipError_tT1_T2_T3_T4_jRjT5_jjP12ihipStream_tbEUlT_E_NS1_11comp_targetILNS1_3genE9ELNS1_11target_archE1100ELNS1_3gpuE3ELNS1_3repE0EEENS1_44radix_sort_block_sort_config_static_selectorELNS0_4arch9wavefront6targetE1EEEvSF_, .Lfunc_end2279-_ZN7rocprim17ROCPRIM_400000_NS6detail17trampoline_kernelINS0_13kernel_configILj256ELj4ELj4294967295EEENS1_37radix_sort_block_sort_config_selectorIisEEZNS1_21radix_sort_block_sortIS4_Lb0EN6thrust23THRUST_200600_302600_NS10device_ptrIiEESB_NSA_IsEESC_NS0_19identity_decomposerEEE10hipError_tT1_T2_T3_T4_jRjT5_jjP12ihipStream_tbEUlT_E_NS1_11comp_targetILNS1_3genE9ELNS1_11target_archE1100ELNS1_3gpuE3ELNS1_3repE0EEENS1_44radix_sort_block_sort_config_static_selectorELNS0_4arch9wavefront6targetE1EEEvSF_
                                        ; -- End function
	.set _ZN7rocprim17ROCPRIM_400000_NS6detail17trampoline_kernelINS0_13kernel_configILj256ELj4ELj4294967295EEENS1_37radix_sort_block_sort_config_selectorIisEEZNS1_21radix_sort_block_sortIS4_Lb0EN6thrust23THRUST_200600_302600_NS10device_ptrIiEESB_NSA_IsEESC_NS0_19identity_decomposerEEE10hipError_tT1_T2_T3_T4_jRjT5_jjP12ihipStream_tbEUlT_E_NS1_11comp_targetILNS1_3genE9ELNS1_11target_archE1100ELNS1_3gpuE3ELNS1_3repE0EEENS1_44radix_sort_block_sort_config_static_selectorELNS0_4arch9wavefront6targetE1EEEvSF_.num_vgpr, 0
	.set _ZN7rocprim17ROCPRIM_400000_NS6detail17trampoline_kernelINS0_13kernel_configILj256ELj4ELj4294967295EEENS1_37radix_sort_block_sort_config_selectorIisEEZNS1_21radix_sort_block_sortIS4_Lb0EN6thrust23THRUST_200600_302600_NS10device_ptrIiEESB_NSA_IsEESC_NS0_19identity_decomposerEEE10hipError_tT1_T2_T3_T4_jRjT5_jjP12ihipStream_tbEUlT_E_NS1_11comp_targetILNS1_3genE9ELNS1_11target_archE1100ELNS1_3gpuE3ELNS1_3repE0EEENS1_44radix_sort_block_sort_config_static_selectorELNS0_4arch9wavefront6targetE1EEEvSF_.num_agpr, 0
	.set _ZN7rocprim17ROCPRIM_400000_NS6detail17trampoline_kernelINS0_13kernel_configILj256ELj4ELj4294967295EEENS1_37radix_sort_block_sort_config_selectorIisEEZNS1_21radix_sort_block_sortIS4_Lb0EN6thrust23THRUST_200600_302600_NS10device_ptrIiEESB_NSA_IsEESC_NS0_19identity_decomposerEEE10hipError_tT1_T2_T3_T4_jRjT5_jjP12ihipStream_tbEUlT_E_NS1_11comp_targetILNS1_3genE9ELNS1_11target_archE1100ELNS1_3gpuE3ELNS1_3repE0EEENS1_44radix_sort_block_sort_config_static_selectorELNS0_4arch9wavefront6targetE1EEEvSF_.numbered_sgpr, 0
	.set _ZN7rocprim17ROCPRIM_400000_NS6detail17trampoline_kernelINS0_13kernel_configILj256ELj4ELj4294967295EEENS1_37radix_sort_block_sort_config_selectorIisEEZNS1_21radix_sort_block_sortIS4_Lb0EN6thrust23THRUST_200600_302600_NS10device_ptrIiEESB_NSA_IsEESC_NS0_19identity_decomposerEEE10hipError_tT1_T2_T3_T4_jRjT5_jjP12ihipStream_tbEUlT_E_NS1_11comp_targetILNS1_3genE9ELNS1_11target_archE1100ELNS1_3gpuE3ELNS1_3repE0EEENS1_44radix_sort_block_sort_config_static_selectorELNS0_4arch9wavefront6targetE1EEEvSF_.num_named_barrier, 0
	.set _ZN7rocprim17ROCPRIM_400000_NS6detail17trampoline_kernelINS0_13kernel_configILj256ELj4ELj4294967295EEENS1_37radix_sort_block_sort_config_selectorIisEEZNS1_21radix_sort_block_sortIS4_Lb0EN6thrust23THRUST_200600_302600_NS10device_ptrIiEESB_NSA_IsEESC_NS0_19identity_decomposerEEE10hipError_tT1_T2_T3_T4_jRjT5_jjP12ihipStream_tbEUlT_E_NS1_11comp_targetILNS1_3genE9ELNS1_11target_archE1100ELNS1_3gpuE3ELNS1_3repE0EEENS1_44radix_sort_block_sort_config_static_selectorELNS0_4arch9wavefront6targetE1EEEvSF_.private_seg_size, 0
	.set _ZN7rocprim17ROCPRIM_400000_NS6detail17trampoline_kernelINS0_13kernel_configILj256ELj4ELj4294967295EEENS1_37radix_sort_block_sort_config_selectorIisEEZNS1_21radix_sort_block_sortIS4_Lb0EN6thrust23THRUST_200600_302600_NS10device_ptrIiEESB_NSA_IsEESC_NS0_19identity_decomposerEEE10hipError_tT1_T2_T3_T4_jRjT5_jjP12ihipStream_tbEUlT_E_NS1_11comp_targetILNS1_3genE9ELNS1_11target_archE1100ELNS1_3gpuE3ELNS1_3repE0EEENS1_44radix_sort_block_sort_config_static_selectorELNS0_4arch9wavefront6targetE1EEEvSF_.uses_vcc, 0
	.set _ZN7rocprim17ROCPRIM_400000_NS6detail17trampoline_kernelINS0_13kernel_configILj256ELj4ELj4294967295EEENS1_37radix_sort_block_sort_config_selectorIisEEZNS1_21radix_sort_block_sortIS4_Lb0EN6thrust23THRUST_200600_302600_NS10device_ptrIiEESB_NSA_IsEESC_NS0_19identity_decomposerEEE10hipError_tT1_T2_T3_T4_jRjT5_jjP12ihipStream_tbEUlT_E_NS1_11comp_targetILNS1_3genE9ELNS1_11target_archE1100ELNS1_3gpuE3ELNS1_3repE0EEENS1_44radix_sort_block_sort_config_static_selectorELNS0_4arch9wavefront6targetE1EEEvSF_.uses_flat_scratch, 0
	.set _ZN7rocprim17ROCPRIM_400000_NS6detail17trampoline_kernelINS0_13kernel_configILj256ELj4ELj4294967295EEENS1_37radix_sort_block_sort_config_selectorIisEEZNS1_21radix_sort_block_sortIS4_Lb0EN6thrust23THRUST_200600_302600_NS10device_ptrIiEESB_NSA_IsEESC_NS0_19identity_decomposerEEE10hipError_tT1_T2_T3_T4_jRjT5_jjP12ihipStream_tbEUlT_E_NS1_11comp_targetILNS1_3genE9ELNS1_11target_archE1100ELNS1_3gpuE3ELNS1_3repE0EEENS1_44radix_sort_block_sort_config_static_selectorELNS0_4arch9wavefront6targetE1EEEvSF_.has_dyn_sized_stack, 0
	.set _ZN7rocprim17ROCPRIM_400000_NS6detail17trampoline_kernelINS0_13kernel_configILj256ELj4ELj4294967295EEENS1_37radix_sort_block_sort_config_selectorIisEEZNS1_21radix_sort_block_sortIS4_Lb0EN6thrust23THRUST_200600_302600_NS10device_ptrIiEESB_NSA_IsEESC_NS0_19identity_decomposerEEE10hipError_tT1_T2_T3_T4_jRjT5_jjP12ihipStream_tbEUlT_E_NS1_11comp_targetILNS1_3genE9ELNS1_11target_archE1100ELNS1_3gpuE3ELNS1_3repE0EEENS1_44radix_sort_block_sort_config_static_selectorELNS0_4arch9wavefront6targetE1EEEvSF_.has_recursion, 0
	.set _ZN7rocprim17ROCPRIM_400000_NS6detail17trampoline_kernelINS0_13kernel_configILj256ELj4ELj4294967295EEENS1_37radix_sort_block_sort_config_selectorIisEEZNS1_21radix_sort_block_sortIS4_Lb0EN6thrust23THRUST_200600_302600_NS10device_ptrIiEESB_NSA_IsEESC_NS0_19identity_decomposerEEE10hipError_tT1_T2_T3_T4_jRjT5_jjP12ihipStream_tbEUlT_E_NS1_11comp_targetILNS1_3genE9ELNS1_11target_archE1100ELNS1_3gpuE3ELNS1_3repE0EEENS1_44radix_sort_block_sort_config_static_selectorELNS0_4arch9wavefront6targetE1EEEvSF_.has_indirect_call, 0
	.section	.AMDGPU.csdata,"",@progbits
; Kernel info:
; codeLenInByte = 0
; TotalNumSgprs: 6
; NumVgprs: 0
; NumAgprs: 0
; TotalNumVgprs: 0
; ScratchSize: 0
; MemoryBound: 0
; FloatMode: 240
; IeeeMode: 1
; LDSByteSize: 0 bytes/workgroup (compile time only)
; SGPRBlocks: 0
; VGPRBlocks: 0
; NumSGPRsForWavesPerEU: 6
; NumVGPRsForWavesPerEU: 1
; AccumOffset: 4
; Occupancy: 8
; WaveLimiterHint : 0
; COMPUTE_PGM_RSRC2:SCRATCH_EN: 0
; COMPUTE_PGM_RSRC2:USER_SGPR: 2
; COMPUTE_PGM_RSRC2:TRAP_HANDLER: 0
; COMPUTE_PGM_RSRC2:TGID_X_EN: 1
; COMPUTE_PGM_RSRC2:TGID_Y_EN: 0
; COMPUTE_PGM_RSRC2:TGID_Z_EN: 0
; COMPUTE_PGM_RSRC2:TIDIG_COMP_CNT: 0
; COMPUTE_PGM_RSRC3_GFX90A:ACCUM_OFFSET: 0
; COMPUTE_PGM_RSRC3_GFX90A:TG_SPLIT: 0
	.section	.text._ZN7rocprim17ROCPRIM_400000_NS6detail17trampoline_kernelINS0_13kernel_configILj256ELj4ELj4294967295EEENS1_37radix_sort_block_sort_config_selectorIisEEZNS1_21radix_sort_block_sortIS4_Lb0EN6thrust23THRUST_200600_302600_NS10device_ptrIiEESB_NSA_IsEESC_NS0_19identity_decomposerEEE10hipError_tT1_T2_T3_T4_jRjT5_jjP12ihipStream_tbEUlT_E_NS1_11comp_targetILNS1_3genE8ELNS1_11target_archE1030ELNS1_3gpuE2ELNS1_3repE0EEENS1_44radix_sort_block_sort_config_static_selectorELNS0_4arch9wavefront6targetE1EEEvSF_,"axG",@progbits,_ZN7rocprim17ROCPRIM_400000_NS6detail17trampoline_kernelINS0_13kernel_configILj256ELj4ELj4294967295EEENS1_37radix_sort_block_sort_config_selectorIisEEZNS1_21radix_sort_block_sortIS4_Lb0EN6thrust23THRUST_200600_302600_NS10device_ptrIiEESB_NSA_IsEESC_NS0_19identity_decomposerEEE10hipError_tT1_T2_T3_T4_jRjT5_jjP12ihipStream_tbEUlT_E_NS1_11comp_targetILNS1_3genE8ELNS1_11target_archE1030ELNS1_3gpuE2ELNS1_3repE0EEENS1_44radix_sort_block_sort_config_static_selectorELNS0_4arch9wavefront6targetE1EEEvSF_,comdat
	.protected	_ZN7rocprim17ROCPRIM_400000_NS6detail17trampoline_kernelINS0_13kernel_configILj256ELj4ELj4294967295EEENS1_37radix_sort_block_sort_config_selectorIisEEZNS1_21radix_sort_block_sortIS4_Lb0EN6thrust23THRUST_200600_302600_NS10device_ptrIiEESB_NSA_IsEESC_NS0_19identity_decomposerEEE10hipError_tT1_T2_T3_T4_jRjT5_jjP12ihipStream_tbEUlT_E_NS1_11comp_targetILNS1_3genE8ELNS1_11target_archE1030ELNS1_3gpuE2ELNS1_3repE0EEENS1_44radix_sort_block_sort_config_static_selectorELNS0_4arch9wavefront6targetE1EEEvSF_ ; -- Begin function _ZN7rocprim17ROCPRIM_400000_NS6detail17trampoline_kernelINS0_13kernel_configILj256ELj4ELj4294967295EEENS1_37radix_sort_block_sort_config_selectorIisEEZNS1_21radix_sort_block_sortIS4_Lb0EN6thrust23THRUST_200600_302600_NS10device_ptrIiEESB_NSA_IsEESC_NS0_19identity_decomposerEEE10hipError_tT1_T2_T3_T4_jRjT5_jjP12ihipStream_tbEUlT_E_NS1_11comp_targetILNS1_3genE8ELNS1_11target_archE1030ELNS1_3gpuE2ELNS1_3repE0EEENS1_44radix_sort_block_sort_config_static_selectorELNS0_4arch9wavefront6targetE1EEEvSF_
	.globl	_ZN7rocprim17ROCPRIM_400000_NS6detail17trampoline_kernelINS0_13kernel_configILj256ELj4ELj4294967295EEENS1_37radix_sort_block_sort_config_selectorIisEEZNS1_21radix_sort_block_sortIS4_Lb0EN6thrust23THRUST_200600_302600_NS10device_ptrIiEESB_NSA_IsEESC_NS0_19identity_decomposerEEE10hipError_tT1_T2_T3_T4_jRjT5_jjP12ihipStream_tbEUlT_E_NS1_11comp_targetILNS1_3genE8ELNS1_11target_archE1030ELNS1_3gpuE2ELNS1_3repE0EEENS1_44radix_sort_block_sort_config_static_selectorELNS0_4arch9wavefront6targetE1EEEvSF_
	.p2align	8
	.type	_ZN7rocprim17ROCPRIM_400000_NS6detail17trampoline_kernelINS0_13kernel_configILj256ELj4ELj4294967295EEENS1_37radix_sort_block_sort_config_selectorIisEEZNS1_21radix_sort_block_sortIS4_Lb0EN6thrust23THRUST_200600_302600_NS10device_ptrIiEESB_NSA_IsEESC_NS0_19identity_decomposerEEE10hipError_tT1_T2_T3_T4_jRjT5_jjP12ihipStream_tbEUlT_E_NS1_11comp_targetILNS1_3genE8ELNS1_11target_archE1030ELNS1_3gpuE2ELNS1_3repE0EEENS1_44radix_sort_block_sort_config_static_selectorELNS0_4arch9wavefront6targetE1EEEvSF_,@function
_ZN7rocprim17ROCPRIM_400000_NS6detail17trampoline_kernelINS0_13kernel_configILj256ELj4ELj4294967295EEENS1_37radix_sort_block_sort_config_selectorIisEEZNS1_21radix_sort_block_sortIS4_Lb0EN6thrust23THRUST_200600_302600_NS10device_ptrIiEESB_NSA_IsEESC_NS0_19identity_decomposerEEE10hipError_tT1_T2_T3_T4_jRjT5_jjP12ihipStream_tbEUlT_E_NS1_11comp_targetILNS1_3genE8ELNS1_11target_archE1030ELNS1_3gpuE2ELNS1_3repE0EEENS1_44radix_sort_block_sort_config_static_selectorELNS0_4arch9wavefront6targetE1EEEvSF_: ; @_ZN7rocprim17ROCPRIM_400000_NS6detail17trampoline_kernelINS0_13kernel_configILj256ELj4ELj4294967295EEENS1_37radix_sort_block_sort_config_selectorIisEEZNS1_21radix_sort_block_sortIS4_Lb0EN6thrust23THRUST_200600_302600_NS10device_ptrIiEESB_NSA_IsEESC_NS0_19identity_decomposerEEE10hipError_tT1_T2_T3_T4_jRjT5_jjP12ihipStream_tbEUlT_E_NS1_11comp_targetILNS1_3genE8ELNS1_11target_archE1030ELNS1_3gpuE2ELNS1_3repE0EEENS1_44radix_sort_block_sort_config_static_selectorELNS0_4arch9wavefront6targetE1EEEvSF_
; %bb.0:
	.section	.rodata,"a",@progbits
	.p2align	6, 0x0
	.amdhsa_kernel _ZN7rocprim17ROCPRIM_400000_NS6detail17trampoline_kernelINS0_13kernel_configILj256ELj4ELj4294967295EEENS1_37radix_sort_block_sort_config_selectorIisEEZNS1_21radix_sort_block_sortIS4_Lb0EN6thrust23THRUST_200600_302600_NS10device_ptrIiEESB_NSA_IsEESC_NS0_19identity_decomposerEEE10hipError_tT1_T2_T3_T4_jRjT5_jjP12ihipStream_tbEUlT_E_NS1_11comp_targetILNS1_3genE8ELNS1_11target_archE1030ELNS1_3gpuE2ELNS1_3repE0EEENS1_44radix_sort_block_sort_config_static_selectorELNS0_4arch9wavefront6targetE1EEEvSF_
		.amdhsa_group_segment_fixed_size 0
		.amdhsa_private_segment_fixed_size 0
		.amdhsa_kernarg_size 48
		.amdhsa_user_sgpr_count 2
		.amdhsa_user_sgpr_dispatch_ptr 0
		.amdhsa_user_sgpr_queue_ptr 0
		.amdhsa_user_sgpr_kernarg_segment_ptr 1
		.amdhsa_user_sgpr_dispatch_id 0
		.amdhsa_user_sgpr_kernarg_preload_length 0
		.amdhsa_user_sgpr_kernarg_preload_offset 0
		.amdhsa_user_sgpr_private_segment_size 0
		.amdhsa_uses_dynamic_stack 0
		.amdhsa_enable_private_segment 0
		.amdhsa_system_sgpr_workgroup_id_x 1
		.amdhsa_system_sgpr_workgroup_id_y 0
		.amdhsa_system_sgpr_workgroup_id_z 0
		.amdhsa_system_sgpr_workgroup_info 0
		.amdhsa_system_vgpr_workitem_id 0
		.amdhsa_next_free_vgpr 1
		.amdhsa_next_free_sgpr 0
		.amdhsa_accum_offset 4
		.amdhsa_reserve_vcc 0
		.amdhsa_float_round_mode_32 0
		.amdhsa_float_round_mode_16_64 0
		.amdhsa_float_denorm_mode_32 3
		.amdhsa_float_denorm_mode_16_64 3
		.amdhsa_dx10_clamp 1
		.amdhsa_ieee_mode 1
		.amdhsa_fp16_overflow 0
		.amdhsa_tg_split 0
		.amdhsa_exception_fp_ieee_invalid_op 0
		.amdhsa_exception_fp_denorm_src 0
		.amdhsa_exception_fp_ieee_div_zero 0
		.amdhsa_exception_fp_ieee_overflow 0
		.amdhsa_exception_fp_ieee_underflow 0
		.amdhsa_exception_fp_ieee_inexact 0
		.amdhsa_exception_int_div_zero 0
	.end_amdhsa_kernel
	.section	.text._ZN7rocprim17ROCPRIM_400000_NS6detail17trampoline_kernelINS0_13kernel_configILj256ELj4ELj4294967295EEENS1_37radix_sort_block_sort_config_selectorIisEEZNS1_21radix_sort_block_sortIS4_Lb0EN6thrust23THRUST_200600_302600_NS10device_ptrIiEESB_NSA_IsEESC_NS0_19identity_decomposerEEE10hipError_tT1_T2_T3_T4_jRjT5_jjP12ihipStream_tbEUlT_E_NS1_11comp_targetILNS1_3genE8ELNS1_11target_archE1030ELNS1_3gpuE2ELNS1_3repE0EEENS1_44radix_sort_block_sort_config_static_selectorELNS0_4arch9wavefront6targetE1EEEvSF_,"axG",@progbits,_ZN7rocprim17ROCPRIM_400000_NS6detail17trampoline_kernelINS0_13kernel_configILj256ELj4ELj4294967295EEENS1_37radix_sort_block_sort_config_selectorIisEEZNS1_21radix_sort_block_sortIS4_Lb0EN6thrust23THRUST_200600_302600_NS10device_ptrIiEESB_NSA_IsEESC_NS0_19identity_decomposerEEE10hipError_tT1_T2_T3_T4_jRjT5_jjP12ihipStream_tbEUlT_E_NS1_11comp_targetILNS1_3genE8ELNS1_11target_archE1030ELNS1_3gpuE2ELNS1_3repE0EEENS1_44radix_sort_block_sort_config_static_selectorELNS0_4arch9wavefront6targetE1EEEvSF_,comdat
.Lfunc_end2280:
	.size	_ZN7rocprim17ROCPRIM_400000_NS6detail17trampoline_kernelINS0_13kernel_configILj256ELj4ELj4294967295EEENS1_37radix_sort_block_sort_config_selectorIisEEZNS1_21radix_sort_block_sortIS4_Lb0EN6thrust23THRUST_200600_302600_NS10device_ptrIiEESB_NSA_IsEESC_NS0_19identity_decomposerEEE10hipError_tT1_T2_T3_T4_jRjT5_jjP12ihipStream_tbEUlT_E_NS1_11comp_targetILNS1_3genE8ELNS1_11target_archE1030ELNS1_3gpuE2ELNS1_3repE0EEENS1_44radix_sort_block_sort_config_static_selectorELNS0_4arch9wavefront6targetE1EEEvSF_, .Lfunc_end2280-_ZN7rocprim17ROCPRIM_400000_NS6detail17trampoline_kernelINS0_13kernel_configILj256ELj4ELj4294967295EEENS1_37radix_sort_block_sort_config_selectorIisEEZNS1_21radix_sort_block_sortIS4_Lb0EN6thrust23THRUST_200600_302600_NS10device_ptrIiEESB_NSA_IsEESC_NS0_19identity_decomposerEEE10hipError_tT1_T2_T3_T4_jRjT5_jjP12ihipStream_tbEUlT_E_NS1_11comp_targetILNS1_3genE8ELNS1_11target_archE1030ELNS1_3gpuE2ELNS1_3repE0EEENS1_44radix_sort_block_sort_config_static_selectorELNS0_4arch9wavefront6targetE1EEEvSF_
                                        ; -- End function
	.set _ZN7rocprim17ROCPRIM_400000_NS6detail17trampoline_kernelINS0_13kernel_configILj256ELj4ELj4294967295EEENS1_37radix_sort_block_sort_config_selectorIisEEZNS1_21radix_sort_block_sortIS4_Lb0EN6thrust23THRUST_200600_302600_NS10device_ptrIiEESB_NSA_IsEESC_NS0_19identity_decomposerEEE10hipError_tT1_T2_T3_T4_jRjT5_jjP12ihipStream_tbEUlT_E_NS1_11comp_targetILNS1_3genE8ELNS1_11target_archE1030ELNS1_3gpuE2ELNS1_3repE0EEENS1_44radix_sort_block_sort_config_static_selectorELNS0_4arch9wavefront6targetE1EEEvSF_.num_vgpr, 0
	.set _ZN7rocprim17ROCPRIM_400000_NS6detail17trampoline_kernelINS0_13kernel_configILj256ELj4ELj4294967295EEENS1_37radix_sort_block_sort_config_selectorIisEEZNS1_21radix_sort_block_sortIS4_Lb0EN6thrust23THRUST_200600_302600_NS10device_ptrIiEESB_NSA_IsEESC_NS0_19identity_decomposerEEE10hipError_tT1_T2_T3_T4_jRjT5_jjP12ihipStream_tbEUlT_E_NS1_11comp_targetILNS1_3genE8ELNS1_11target_archE1030ELNS1_3gpuE2ELNS1_3repE0EEENS1_44radix_sort_block_sort_config_static_selectorELNS0_4arch9wavefront6targetE1EEEvSF_.num_agpr, 0
	.set _ZN7rocprim17ROCPRIM_400000_NS6detail17trampoline_kernelINS0_13kernel_configILj256ELj4ELj4294967295EEENS1_37radix_sort_block_sort_config_selectorIisEEZNS1_21radix_sort_block_sortIS4_Lb0EN6thrust23THRUST_200600_302600_NS10device_ptrIiEESB_NSA_IsEESC_NS0_19identity_decomposerEEE10hipError_tT1_T2_T3_T4_jRjT5_jjP12ihipStream_tbEUlT_E_NS1_11comp_targetILNS1_3genE8ELNS1_11target_archE1030ELNS1_3gpuE2ELNS1_3repE0EEENS1_44radix_sort_block_sort_config_static_selectorELNS0_4arch9wavefront6targetE1EEEvSF_.numbered_sgpr, 0
	.set _ZN7rocprim17ROCPRIM_400000_NS6detail17trampoline_kernelINS0_13kernel_configILj256ELj4ELj4294967295EEENS1_37radix_sort_block_sort_config_selectorIisEEZNS1_21radix_sort_block_sortIS4_Lb0EN6thrust23THRUST_200600_302600_NS10device_ptrIiEESB_NSA_IsEESC_NS0_19identity_decomposerEEE10hipError_tT1_T2_T3_T4_jRjT5_jjP12ihipStream_tbEUlT_E_NS1_11comp_targetILNS1_3genE8ELNS1_11target_archE1030ELNS1_3gpuE2ELNS1_3repE0EEENS1_44radix_sort_block_sort_config_static_selectorELNS0_4arch9wavefront6targetE1EEEvSF_.num_named_barrier, 0
	.set _ZN7rocprim17ROCPRIM_400000_NS6detail17trampoline_kernelINS0_13kernel_configILj256ELj4ELj4294967295EEENS1_37radix_sort_block_sort_config_selectorIisEEZNS1_21radix_sort_block_sortIS4_Lb0EN6thrust23THRUST_200600_302600_NS10device_ptrIiEESB_NSA_IsEESC_NS0_19identity_decomposerEEE10hipError_tT1_T2_T3_T4_jRjT5_jjP12ihipStream_tbEUlT_E_NS1_11comp_targetILNS1_3genE8ELNS1_11target_archE1030ELNS1_3gpuE2ELNS1_3repE0EEENS1_44radix_sort_block_sort_config_static_selectorELNS0_4arch9wavefront6targetE1EEEvSF_.private_seg_size, 0
	.set _ZN7rocprim17ROCPRIM_400000_NS6detail17trampoline_kernelINS0_13kernel_configILj256ELj4ELj4294967295EEENS1_37radix_sort_block_sort_config_selectorIisEEZNS1_21radix_sort_block_sortIS4_Lb0EN6thrust23THRUST_200600_302600_NS10device_ptrIiEESB_NSA_IsEESC_NS0_19identity_decomposerEEE10hipError_tT1_T2_T3_T4_jRjT5_jjP12ihipStream_tbEUlT_E_NS1_11comp_targetILNS1_3genE8ELNS1_11target_archE1030ELNS1_3gpuE2ELNS1_3repE0EEENS1_44radix_sort_block_sort_config_static_selectorELNS0_4arch9wavefront6targetE1EEEvSF_.uses_vcc, 0
	.set _ZN7rocprim17ROCPRIM_400000_NS6detail17trampoline_kernelINS0_13kernel_configILj256ELj4ELj4294967295EEENS1_37radix_sort_block_sort_config_selectorIisEEZNS1_21radix_sort_block_sortIS4_Lb0EN6thrust23THRUST_200600_302600_NS10device_ptrIiEESB_NSA_IsEESC_NS0_19identity_decomposerEEE10hipError_tT1_T2_T3_T4_jRjT5_jjP12ihipStream_tbEUlT_E_NS1_11comp_targetILNS1_3genE8ELNS1_11target_archE1030ELNS1_3gpuE2ELNS1_3repE0EEENS1_44radix_sort_block_sort_config_static_selectorELNS0_4arch9wavefront6targetE1EEEvSF_.uses_flat_scratch, 0
	.set _ZN7rocprim17ROCPRIM_400000_NS6detail17trampoline_kernelINS0_13kernel_configILj256ELj4ELj4294967295EEENS1_37radix_sort_block_sort_config_selectorIisEEZNS1_21radix_sort_block_sortIS4_Lb0EN6thrust23THRUST_200600_302600_NS10device_ptrIiEESB_NSA_IsEESC_NS0_19identity_decomposerEEE10hipError_tT1_T2_T3_T4_jRjT5_jjP12ihipStream_tbEUlT_E_NS1_11comp_targetILNS1_3genE8ELNS1_11target_archE1030ELNS1_3gpuE2ELNS1_3repE0EEENS1_44radix_sort_block_sort_config_static_selectorELNS0_4arch9wavefront6targetE1EEEvSF_.has_dyn_sized_stack, 0
	.set _ZN7rocprim17ROCPRIM_400000_NS6detail17trampoline_kernelINS0_13kernel_configILj256ELj4ELj4294967295EEENS1_37radix_sort_block_sort_config_selectorIisEEZNS1_21radix_sort_block_sortIS4_Lb0EN6thrust23THRUST_200600_302600_NS10device_ptrIiEESB_NSA_IsEESC_NS0_19identity_decomposerEEE10hipError_tT1_T2_T3_T4_jRjT5_jjP12ihipStream_tbEUlT_E_NS1_11comp_targetILNS1_3genE8ELNS1_11target_archE1030ELNS1_3gpuE2ELNS1_3repE0EEENS1_44radix_sort_block_sort_config_static_selectorELNS0_4arch9wavefront6targetE1EEEvSF_.has_recursion, 0
	.set _ZN7rocprim17ROCPRIM_400000_NS6detail17trampoline_kernelINS0_13kernel_configILj256ELj4ELj4294967295EEENS1_37radix_sort_block_sort_config_selectorIisEEZNS1_21radix_sort_block_sortIS4_Lb0EN6thrust23THRUST_200600_302600_NS10device_ptrIiEESB_NSA_IsEESC_NS0_19identity_decomposerEEE10hipError_tT1_T2_T3_T4_jRjT5_jjP12ihipStream_tbEUlT_E_NS1_11comp_targetILNS1_3genE8ELNS1_11target_archE1030ELNS1_3gpuE2ELNS1_3repE0EEENS1_44radix_sort_block_sort_config_static_selectorELNS0_4arch9wavefront6targetE1EEEvSF_.has_indirect_call, 0
	.section	.AMDGPU.csdata,"",@progbits
; Kernel info:
; codeLenInByte = 0
; TotalNumSgprs: 6
; NumVgprs: 0
; NumAgprs: 0
; TotalNumVgprs: 0
; ScratchSize: 0
; MemoryBound: 0
; FloatMode: 240
; IeeeMode: 1
; LDSByteSize: 0 bytes/workgroup (compile time only)
; SGPRBlocks: 0
; VGPRBlocks: 0
; NumSGPRsForWavesPerEU: 6
; NumVGPRsForWavesPerEU: 1
; AccumOffset: 4
; Occupancy: 8
; WaveLimiterHint : 0
; COMPUTE_PGM_RSRC2:SCRATCH_EN: 0
; COMPUTE_PGM_RSRC2:USER_SGPR: 2
; COMPUTE_PGM_RSRC2:TRAP_HANDLER: 0
; COMPUTE_PGM_RSRC2:TGID_X_EN: 1
; COMPUTE_PGM_RSRC2:TGID_Y_EN: 0
; COMPUTE_PGM_RSRC2:TGID_Z_EN: 0
; COMPUTE_PGM_RSRC2:TIDIG_COMP_CNT: 0
; COMPUTE_PGM_RSRC3_GFX90A:ACCUM_OFFSET: 0
; COMPUTE_PGM_RSRC3_GFX90A:TG_SPLIT: 0
	.section	.text._ZN7rocprim17ROCPRIM_400000_NS6detail44device_merge_sort_compile_time_verifier_archINS1_11comp_targetILNS1_3genE0ELNS1_11target_archE4294967295ELNS1_3gpuE0ELNS1_3repE0EEES8_NS1_28merge_sort_block_sort_configILj256ELj4ELNS0_20block_sort_algorithmE0EEENS0_14default_configENS1_37merge_sort_block_sort_config_selectorIisEENS1_38merge_sort_block_merge_config_selectorIisEEEEvv,"axG",@progbits,_ZN7rocprim17ROCPRIM_400000_NS6detail44device_merge_sort_compile_time_verifier_archINS1_11comp_targetILNS1_3genE0ELNS1_11target_archE4294967295ELNS1_3gpuE0ELNS1_3repE0EEES8_NS1_28merge_sort_block_sort_configILj256ELj4ELNS0_20block_sort_algorithmE0EEENS0_14default_configENS1_37merge_sort_block_sort_config_selectorIisEENS1_38merge_sort_block_merge_config_selectorIisEEEEvv,comdat
	.protected	_ZN7rocprim17ROCPRIM_400000_NS6detail44device_merge_sort_compile_time_verifier_archINS1_11comp_targetILNS1_3genE0ELNS1_11target_archE4294967295ELNS1_3gpuE0ELNS1_3repE0EEES8_NS1_28merge_sort_block_sort_configILj256ELj4ELNS0_20block_sort_algorithmE0EEENS0_14default_configENS1_37merge_sort_block_sort_config_selectorIisEENS1_38merge_sort_block_merge_config_selectorIisEEEEvv ; -- Begin function _ZN7rocprim17ROCPRIM_400000_NS6detail44device_merge_sort_compile_time_verifier_archINS1_11comp_targetILNS1_3genE0ELNS1_11target_archE4294967295ELNS1_3gpuE0ELNS1_3repE0EEES8_NS1_28merge_sort_block_sort_configILj256ELj4ELNS0_20block_sort_algorithmE0EEENS0_14default_configENS1_37merge_sort_block_sort_config_selectorIisEENS1_38merge_sort_block_merge_config_selectorIisEEEEvv
	.globl	_ZN7rocprim17ROCPRIM_400000_NS6detail44device_merge_sort_compile_time_verifier_archINS1_11comp_targetILNS1_3genE0ELNS1_11target_archE4294967295ELNS1_3gpuE0ELNS1_3repE0EEES8_NS1_28merge_sort_block_sort_configILj256ELj4ELNS0_20block_sort_algorithmE0EEENS0_14default_configENS1_37merge_sort_block_sort_config_selectorIisEENS1_38merge_sort_block_merge_config_selectorIisEEEEvv
	.p2align	8
	.type	_ZN7rocprim17ROCPRIM_400000_NS6detail44device_merge_sort_compile_time_verifier_archINS1_11comp_targetILNS1_3genE0ELNS1_11target_archE4294967295ELNS1_3gpuE0ELNS1_3repE0EEES8_NS1_28merge_sort_block_sort_configILj256ELj4ELNS0_20block_sort_algorithmE0EEENS0_14default_configENS1_37merge_sort_block_sort_config_selectorIisEENS1_38merge_sort_block_merge_config_selectorIisEEEEvv,@function
_ZN7rocprim17ROCPRIM_400000_NS6detail44device_merge_sort_compile_time_verifier_archINS1_11comp_targetILNS1_3genE0ELNS1_11target_archE4294967295ELNS1_3gpuE0ELNS1_3repE0EEES8_NS1_28merge_sort_block_sort_configILj256ELj4ELNS0_20block_sort_algorithmE0EEENS0_14default_configENS1_37merge_sort_block_sort_config_selectorIisEENS1_38merge_sort_block_merge_config_selectorIisEEEEvv: ; @_ZN7rocprim17ROCPRIM_400000_NS6detail44device_merge_sort_compile_time_verifier_archINS1_11comp_targetILNS1_3genE0ELNS1_11target_archE4294967295ELNS1_3gpuE0ELNS1_3repE0EEES8_NS1_28merge_sort_block_sort_configILj256ELj4ELNS0_20block_sort_algorithmE0EEENS0_14default_configENS1_37merge_sort_block_sort_config_selectorIisEENS1_38merge_sort_block_merge_config_selectorIisEEEEvv
; %bb.0:
	s_endpgm
	.section	.rodata,"a",@progbits
	.p2align	6, 0x0
	.amdhsa_kernel _ZN7rocprim17ROCPRIM_400000_NS6detail44device_merge_sort_compile_time_verifier_archINS1_11comp_targetILNS1_3genE0ELNS1_11target_archE4294967295ELNS1_3gpuE0ELNS1_3repE0EEES8_NS1_28merge_sort_block_sort_configILj256ELj4ELNS0_20block_sort_algorithmE0EEENS0_14default_configENS1_37merge_sort_block_sort_config_selectorIisEENS1_38merge_sort_block_merge_config_selectorIisEEEEvv
		.amdhsa_group_segment_fixed_size 0
		.amdhsa_private_segment_fixed_size 0
		.amdhsa_kernarg_size 0
		.amdhsa_user_sgpr_count 0
		.amdhsa_user_sgpr_dispatch_ptr 0
		.amdhsa_user_sgpr_queue_ptr 0
		.amdhsa_user_sgpr_kernarg_segment_ptr 0
		.amdhsa_user_sgpr_dispatch_id 0
		.amdhsa_user_sgpr_kernarg_preload_length 0
		.amdhsa_user_sgpr_kernarg_preload_offset 0
		.amdhsa_user_sgpr_private_segment_size 0
		.amdhsa_uses_dynamic_stack 0
		.amdhsa_enable_private_segment 0
		.amdhsa_system_sgpr_workgroup_id_x 1
		.amdhsa_system_sgpr_workgroup_id_y 0
		.amdhsa_system_sgpr_workgroup_id_z 0
		.amdhsa_system_sgpr_workgroup_info 0
		.amdhsa_system_vgpr_workitem_id 0
		.amdhsa_next_free_vgpr 1
		.amdhsa_next_free_sgpr 0
		.amdhsa_accum_offset 4
		.amdhsa_reserve_vcc 0
		.amdhsa_float_round_mode_32 0
		.amdhsa_float_round_mode_16_64 0
		.amdhsa_float_denorm_mode_32 3
		.amdhsa_float_denorm_mode_16_64 3
		.amdhsa_dx10_clamp 1
		.amdhsa_ieee_mode 1
		.amdhsa_fp16_overflow 0
		.amdhsa_tg_split 0
		.amdhsa_exception_fp_ieee_invalid_op 0
		.amdhsa_exception_fp_denorm_src 0
		.amdhsa_exception_fp_ieee_div_zero 0
		.amdhsa_exception_fp_ieee_overflow 0
		.amdhsa_exception_fp_ieee_underflow 0
		.amdhsa_exception_fp_ieee_inexact 0
		.amdhsa_exception_int_div_zero 0
	.end_amdhsa_kernel
	.section	.text._ZN7rocprim17ROCPRIM_400000_NS6detail44device_merge_sort_compile_time_verifier_archINS1_11comp_targetILNS1_3genE0ELNS1_11target_archE4294967295ELNS1_3gpuE0ELNS1_3repE0EEES8_NS1_28merge_sort_block_sort_configILj256ELj4ELNS0_20block_sort_algorithmE0EEENS0_14default_configENS1_37merge_sort_block_sort_config_selectorIisEENS1_38merge_sort_block_merge_config_selectorIisEEEEvv,"axG",@progbits,_ZN7rocprim17ROCPRIM_400000_NS6detail44device_merge_sort_compile_time_verifier_archINS1_11comp_targetILNS1_3genE0ELNS1_11target_archE4294967295ELNS1_3gpuE0ELNS1_3repE0EEES8_NS1_28merge_sort_block_sort_configILj256ELj4ELNS0_20block_sort_algorithmE0EEENS0_14default_configENS1_37merge_sort_block_sort_config_selectorIisEENS1_38merge_sort_block_merge_config_selectorIisEEEEvv,comdat
.Lfunc_end2281:
	.size	_ZN7rocprim17ROCPRIM_400000_NS6detail44device_merge_sort_compile_time_verifier_archINS1_11comp_targetILNS1_3genE0ELNS1_11target_archE4294967295ELNS1_3gpuE0ELNS1_3repE0EEES8_NS1_28merge_sort_block_sort_configILj256ELj4ELNS0_20block_sort_algorithmE0EEENS0_14default_configENS1_37merge_sort_block_sort_config_selectorIisEENS1_38merge_sort_block_merge_config_selectorIisEEEEvv, .Lfunc_end2281-_ZN7rocprim17ROCPRIM_400000_NS6detail44device_merge_sort_compile_time_verifier_archINS1_11comp_targetILNS1_3genE0ELNS1_11target_archE4294967295ELNS1_3gpuE0ELNS1_3repE0EEES8_NS1_28merge_sort_block_sort_configILj256ELj4ELNS0_20block_sort_algorithmE0EEENS0_14default_configENS1_37merge_sort_block_sort_config_selectorIisEENS1_38merge_sort_block_merge_config_selectorIisEEEEvv
                                        ; -- End function
	.set _ZN7rocprim17ROCPRIM_400000_NS6detail44device_merge_sort_compile_time_verifier_archINS1_11comp_targetILNS1_3genE0ELNS1_11target_archE4294967295ELNS1_3gpuE0ELNS1_3repE0EEES8_NS1_28merge_sort_block_sort_configILj256ELj4ELNS0_20block_sort_algorithmE0EEENS0_14default_configENS1_37merge_sort_block_sort_config_selectorIisEENS1_38merge_sort_block_merge_config_selectorIisEEEEvv.num_vgpr, 0
	.set _ZN7rocprim17ROCPRIM_400000_NS6detail44device_merge_sort_compile_time_verifier_archINS1_11comp_targetILNS1_3genE0ELNS1_11target_archE4294967295ELNS1_3gpuE0ELNS1_3repE0EEES8_NS1_28merge_sort_block_sort_configILj256ELj4ELNS0_20block_sort_algorithmE0EEENS0_14default_configENS1_37merge_sort_block_sort_config_selectorIisEENS1_38merge_sort_block_merge_config_selectorIisEEEEvv.num_agpr, 0
	.set _ZN7rocprim17ROCPRIM_400000_NS6detail44device_merge_sort_compile_time_verifier_archINS1_11comp_targetILNS1_3genE0ELNS1_11target_archE4294967295ELNS1_3gpuE0ELNS1_3repE0EEES8_NS1_28merge_sort_block_sort_configILj256ELj4ELNS0_20block_sort_algorithmE0EEENS0_14default_configENS1_37merge_sort_block_sort_config_selectorIisEENS1_38merge_sort_block_merge_config_selectorIisEEEEvv.numbered_sgpr, 0
	.set _ZN7rocprim17ROCPRIM_400000_NS6detail44device_merge_sort_compile_time_verifier_archINS1_11comp_targetILNS1_3genE0ELNS1_11target_archE4294967295ELNS1_3gpuE0ELNS1_3repE0EEES8_NS1_28merge_sort_block_sort_configILj256ELj4ELNS0_20block_sort_algorithmE0EEENS0_14default_configENS1_37merge_sort_block_sort_config_selectorIisEENS1_38merge_sort_block_merge_config_selectorIisEEEEvv.num_named_barrier, 0
	.set _ZN7rocprim17ROCPRIM_400000_NS6detail44device_merge_sort_compile_time_verifier_archINS1_11comp_targetILNS1_3genE0ELNS1_11target_archE4294967295ELNS1_3gpuE0ELNS1_3repE0EEES8_NS1_28merge_sort_block_sort_configILj256ELj4ELNS0_20block_sort_algorithmE0EEENS0_14default_configENS1_37merge_sort_block_sort_config_selectorIisEENS1_38merge_sort_block_merge_config_selectorIisEEEEvv.private_seg_size, 0
	.set _ZN7rocprim17ROCPRIM_400000_NS6detail44device_merge_sort_compile_time_verifier_archINS1_11comp_targetILNS1_3genE0ELNS1_11target_archE4294967295ELNS1_3gpuE0ELNS1_3repE0EEES8_NS1_28merge_sort_block_sort_configILj256ELj4ELNS0_20block_sort_algorithmE0EEENS0_14default_configENS1_37merge_sort_block_sort_config_selectorIisEENS1_38merge_sort_block_merge_config_selectorIisEEEEvv.uses_vcc, 0
	.set _ZN7rocprim17ROCPRIM_400000_NS6detail44device_merge_sort_compile_time_verifier_archINS1_11comp_targetILNS1_3genE0ELNS1_11target_archE4294967295ELNS1_3gpuE0ELNS1_3repE0EEES8_NS1_28merge_sort_block_sort_configILj256ELj4ELNS0_20block_sort_algorithmE0EEENS0_14default_configENS1_37merge_sort_block_sort_config_selectorIisEENS1_38merge_sort_block_merge_config_selectorIisEEEEvv.uses_flat_scratch, 0
	.set _ZN7rocprim17ROCPRIM_400000_NS6detail44device_merge_sort_compile_time_verifier_archINS1_11comp_targetILNS1_3genE0ELNS1_11target_archE4294967295ELNS1_3gpuE0ELNS1_3repE0EEES8_NS1_28merge_sort_block_sort_configILj256ELj4ELNS0_20block_sort_algorithmE0EEENS0_14default_configENS1_37merge_sort_block_sort_config_selectorIisEENS1_38merge_sort_block_merge_config_selectorIisEEEEvv.has_dyn_sized_stack, 0
	.set _ZN7rocprim17ROCPRIM_400000_NS6detail44device_merge_sort_compile_time_verifier_archINS1_11comp_targetILNS1_3genE0ELNS1_11target_archE4294967295ELNS1_3gpuE0ELNS1_3repE0EEES8_NS1_28merge_sort_block_sort_configILj256ELj4ELNS0_20block_sort_algorithmE0EEENS0_14default_configENS1_37merge_sort_block_sort_config_selectorIisEENS1_38merge_sort_block_merge_config_selectorIisEEEEvv.has_recursion, 0
	.set _ZN7rocprim17ROCPRIM_400000_NS6detail44device_merge_sort_compile_time_verifier_archINS1_11comp_targetILNS1_3genE0ELNS1_11target_archE4294967295ELNS1_3gpuE0ELNS1_3repE0EEES8_NS1_28merge_sort_block_sort_configILj256ELj4ELNS0_20block_sort_algorithmE0EEENS0_14default_configENS1_37merge_sort_block_sort_config_selectorIisEENS1_38merge_sort_block_merge_config_selectorIisEEEEvv.has_indirect_call, 0
	.section	.AMDGPU.csdata,"",@progbits
; Kernel info:
; codeLenInByte = 4
; TotalNumSgprs: 6
; NumVgprs: 0
; NumAgprs: 0
; TotalNumVgprs: 0
; ScratchSize: 0
; MemoryBound: 0
; FloatMode: 240
; IeeeMode: 1
; LDSByteSize: 0 bytes/workgroup (compile time only)
; SGPRBlocks: 0
; VGPRBlocks: 0
; NumSGPRsForWavesPerEU: 6
; NumVGPRsForWavesPerEU: 1
; AccumOffset: 4
; Occupancy: 8
; WaveLimiterHint : 0
; COMPUTE_PGM_RSRC2:SCRATCH_EN: 0
; COMPUTE_PGM_RSRC2:USER_SGPR: 0
; COMPUTE_PGM_RSRC2:TRAP_HANDLER: 0
; COMPUTE_PGM_RSRC2:TGID_X_EN: 1
; COMPUTE_PGM_RSRC2:TGID_Y_EN: 0
; COMPUTE_PGM_RSRC2:TGID_Z_EN: 0
; COMPUTE_PGM_RSRC2:TIDIG_COMP_CNT: 0
; COMPUTE_PGM_RSRC3_GFX90A:ACCUM_OFFSET: 0
; COMPUTE_PGM_RSRC3_GFX90A:TG_SPLIT: 0
	.section	.text._ZN7rocprim17ROCPRIM_400000_NS6detail44device_merge_sort_compile_time_verifier_archINS1_11comp_targetILNS1_3genE5ELNS1_11target_archE942ELNS1_3gpuE9ELNS1_3repE0EEES8_NS1_28merge_sort_block_sort_configILj256ELj4ELNS0_20block_sort_algorithmE0EEENS0_14default_configENS1_37merge_sort_block_sort_config_selectorIisEENS1_38merge_sort_block_merge_config_selectorIisEEEEvv,"axG",@progbits,_ZN7rocprim17ROCPRIM_400000_NS6detail44device_merge_sort_compile_time_verifier_archINS1_11comp_targetILNS1_3genE5ELNS1_11target_archE942ELNS1_3gpuE9ELNS1_3repE0EEES8_NS1_28merge_sort_block_sort_configILj256ELj4ELNS0_20block_sort_algorithmE0EEENS0_14default_configENS1_37merge_sort_block_sort_config_selectorIisEENS1_38merge_sort_block_merge_config_selectorIisEEEEvv,comdat
	.protected	_ZN7rocprim17ROCPRIM_400000_NS6detail44device_merge_sort_compile_time_verifier_archINS1_11comp_targetILNS1_3genE5ELNS1_11target_archE942ELNS1_3gpuE9ELNS1_3repE0EEES8_NS1_28merge_sort_block_sort_configILj256ELj4ELNS0_20block_sort_algorithmE0EEENS0_14default_configENS1_37merge_sort_block_sort_config_selectorIisEENS1_38merge_sort_block_merge_config_selectorIisEEEEvv ; -- Begin function _ZN7rocprim17ROCPRIM_400000_NS6detail44device_merge_sort_compile_time_verifier_archINS1_11comp_targetILNS1_3genE5ELNS1_11target_archE942ELNS1_3gpuE9ELNS1_3repE0EEES8_NS1_28merge_sort_block_sort_configILj256ELj4ELNS0_20block_sort_algorithmE0EEENS0_14default_configENS1_37merge_sort_block_sort_config_selectorIisEENS1_38merge_sort_block_merge_config_selectorIisEEEEvv
	.globl	_ZN7rocprim17ROCPRIM_400000_NS6detail44device_merge_sort_compile_time_verifier_archINS1_11comp_targetILNS1_3genE5ELNS1_11target_archE942ELNS1_3gpuE9ELNS1_3repE0EEES8_NS1_28merge_sort_block_sort_configILj256ELj4ELNS0_20block_sort_algorithmE0EEENS0_14default_configENS1_37merge_sort_block_sort_config_selectorIisEENS1_38merge_sort_block_merge_config_selectorIisEEEEvv
	.p2align	8
	.type	_ZN7rocprim17ROCPRIM_400000_NS6detail44device_merge_sort_compile_time_verifier_archINS1_11comp_targetILNS1_3genE5ELNS1_11target_archE942ELNS1_3gpuE9ELNS1_3repE0EEES8_NS1_28merge_sort_block_sort_configILj256ELj4ELNS0_20block_sort_algorithmE0EEENS0_14default_configENS1_37merge_sort_block_sort_config_selectorIisEENS1_38merge_sort_block_merge_config_selectorIisEEEEvv,@function
_ZN7rocprim17ROCPRIM_400000_NS6detail44device_merge_sort_compile_time_verifier_archINS1_11comp_targetILNS1_3genE5ELNS1_11target_archE942ELNS1_3gpuE9ELNS1_3repE0EEES8_NS1_28merge_sort_block_sort_configILj256ELj4ELNS0_20block_sort_algorithmE0EEENS0_14default_configENS1_37merge_sort_block_sort_config_selectorIisEENS1_38merge_sort_block_merge_config_selectorIisEEEEvv: ; @_ZN7rocprim17ROCPRIM_400000_NS6detail44device_merge_sort_compile_time_verifier_archINS1_11comp_targetILNS1_3genE5ELNS1_11target_archE942ELNS1_3gpuE9ELNS1_3repE0EEES8_NS1_28merge_sort_block_sort_configILj256ELj4ELNS0_20block_sort_algorithmE0EEENS0_14default_configENS1_37merge_sort_block_sort_config_selectorIisEENS1_38merge_sort_block_merge_config_selectorIisEEEEvv
; %bb.0:
	s_endpgm
	.section	.rodata,"a",@progbits
	.p2align	6, 0x0
	.amdhsa_kernel _ZN7rocprim17ROCPRIM_400000_NS6detail44device_merge_sort_compile_time_verifier_archINS1_11comp_targetILNS1_3genE5ELNS1_11target_archE942ELNS1_3gpuE9ELNS1_3repE0EEES8_NS1_28merge_sort_block_sort_configILj256ELj4ELNS0_20block_sort_algorithmE0EEENS0_14default_configENS1_37merge_sort_block_sort_config_selectorIisEENS1_38merge_sort_block_merge_config_selectorIisEEEEvv
		.amdhsa_group_segment_fixed_size 0
		.amdhsa_private_segment_fixed_size 0
		.amdhsa_kernarg_size 0
		.amdhsa_user_sgpr_count 0
		.amdhsa_user_sgpr_dispatch_ptr 0
		.amdhsa_user_sgpr_queue_ptr 0
		.amdhsa_user_sgpr_kernarg_segment_ptr 0
		.amdhsa_user_sgpr_dispatch_id 0
		.amdhsa_user_sgpr_kernarg_preload_length 0
		.amdhsa_user_sgpr_kernarg_preload_offset 0
		.amdhsa_user_sgpr_private_segment_size 0
		.amdhsa_uses_dynamic_stack 0
		.amdhsa_enable_private_segment 0
		.amdhsa_system_sgpr_workgroup_id_x 1
		.amdhsa_system_sgpr_workgroup_id_y 0
		.amdhsa_system_sgpr_workgroup_id_z 0
		.amdhsa_system_sgpr_workgroup_info 0
		.amdhsa_system_vgpr_workitem_id 0
		.amdhsa_next_free_vgpr 1
		.amdhsa_next_free_sgpr 0
		.amdhsa_accum_offset 4
		.amdhsa_reserve_vcc 0
		.amdhsa_float_round_mode_32 0
		.amdhsa_float_round_mode_16_64 0
		.amdhsa_float_denorm_mode_32 3
		.amdhsa_float_denorm_mode_16_64 3
		.amdhsa_dx10_clamp 1
		.amdhsa_ieee_mode 1
		.amdhsa_fp16_overflow 0
		.amdhsa_tg_split 0
		.amdhsa_exception_fp_ieee_invalid_op 0
		.amdhsa_exception_fp_denorm_src 0
		.amdhsa_exception_fp_ieee_div_zero 0
		.amdhsa_exception_fp_ieee_overflow 0
		.amdhsa_exception_fp_ieee_underflow 0
		.amdhsa_exception_fp_ieee_inexact 0
		.amdhsa_exception_int_div_zero 0
	.end_amdhsa_kernel
	.section	.text._ZN7rocprim17ROCPRIM_400000_NS6detail44device_merge_sort_compile_time_verifier_archINS1_11comp_targetILNS1_3genE5ELNS1_11target_archE942ELNS1_3gpuE9ELNS1_3repE0EEES8_NS1_28merge_sort_block_sort_configILj256ELj4ELNS0_20block_sort_algorithmE0EEENS0_14default_configENS1_37merge_sort_block_sort_config_selectorIisEENS1_38merge_sort_block_merge_config_selectorIisEEEEvv,"axG",@progbits,_ZN7rocprim17ROCPRIM_400000_NS6detail44device_merge_sort_compile_time_verifier_archINS1_11comp_targetILNS1_3genE5ELNS1_11target_archE942ELNS1_3gpuE9ELNS1_3repE0EEES8_NS1_28merge_sort_block_sort_configILj256ELj4ELNS0_20block_sort_algorithmE0EEENS0_14default_configENS1_37merge_sort_block_sort_config_selectorIisEENS1_38merge_sort_block_merge_config_selectorIisEEEEvv,comdat
.Lfunc_end2282:
	.size	_ZN7rocprim17ROCPRIM_400000_NS6detail44device_merge_sort_compile_time_verifier_archINS1_11comp_targetILNS1_3genE5ELNS1_11target_archE942ELNS1_3gpuE9ELNS1_3repE0EEES8_NS1_28merge_sort_block_sort_configILj256ELj4ELNS0_20block_sort_algorithmE0EEENS0_14default_configENS1_37merge_sort_block_sort_config_selectorIisEENS1_38merge_sort_block_merge_config_selectorIisEEEEvv, .Lfunc_end2282-_ZN7rocprim17ROCPRIM_400000_NS6detail44device_merge_sort_compile_time_verifier_archINS1_11comp_targetILNS1_3genE5ELNS1_11target_archE942ELNS1_3gpuE9ELNS1_3repE0EEES8_NS1_28merge_sort_block_sort_configILj256ELj4ELNS0_20block_sort_algorithmE0EEENS0_14default_configENS1_37merge_sort_block_sort_config_selectorIisEENS1_38merge_sort_block_merge_config_selectorIisEEEEvv
                                        ; -- End function
	.set _ZN7rocprim17ROCPRIM_400000_NS6detail44device_merge_sort_compile_time_verifier_archINS1_11comp_targetILNS1_3genE5ELNS1_11target_archE942ELNS1_3gpuE9ELNS1_3repE0EEES8_NS1_28merge_sort_block_sort_configILj256ELj4ELNS0_20block_sort_algorithmE0EEENS0_14default_configENS1_37merge_sort_block_sort_config_selectorIisEENS1_38merge_sort_block_merge_config_selectorIisEEEEvv.num_vgpr, 0
	.set _ZN7rocprim17ROCPRIM_400000_NS6detail44device_merge_sort_compile_time_verifier_archINS1_11comp_targetILNS1_3genE5ELNS1_11target_archE942ELNS1_3gpuE9ELNS1_3repE0EEES8_NS1_28merge_sort_block_sort_configILj256ELj4ELNS0_20block_sort_algorithmE0EEENS0_14default_configENS1_37merge_sort_block_sort_config_selectorIisEENS1_38merge_sort_block_merge_config_selectorIisEEEEvv.num_agpr, 0
	.set _ZN7rocprim17ROCPRIM_400000_NS6detail44device_merge_sort_compile_time_verifier_archINS1_11comp_targetILNS1_3genE5ELNS1_11target_archE942ELNS1_3gpuE9ELNS1_3repE0EEES8_NS1_28merge_sort_block_sort_configILj256ELj4ELNS0_20block_sort_algorithmE0EEENS0_14default_configENS1_37merge_sort_block_sort_config_selectorIisEENS1_38merge_sort_block_merge_config_selectorIisEEEEvv.numbered_sgpr, 0
	.set _ZN7rocprim17ROCPRIM_400000_NS6detail44device_merge_sort_compile_time_verifier_archINS1_11comp_targetILNS1_3genE5ELNS1_11target_archE942ELNS1_3gpuE9ELNS1_3repE0EEES8_NS1_28merge_sort_block_sort_configILj256ELj4ELNS0_20block_sort_algorithmE0EEENS0_14default_configENS1_37merge_sort_block_sort_config_selectorIisEENS1_38merge_sort_block_merge_config_selectorIisEEEEvv.num_named_barrier, 0
	.set _ZN7rocprim17ROCPRIM_400000_NS6detail44device_merge_sort_compile_time_verifier_archINS1_11comp_targetILNS1_3genE5ELNS1_11target_archE942ELNS1_3gpuE9ELNS1_3repE0EEES8_NS1_28merge_sort_block_sort_configILj256ELj4ELNS0_20block_sort_algorithmE0EEENS0_14default_configENS1_37merge_sort_block_sort_config_selectorIisEENS1_38merge_sort_block_merge_config_selectorIisEEEEvv.private_seg_size, 0
	.set _ZN7rocprim17ROCPRIM_400000_NS6detail44device_merge_sort_compile_time_verifier_archINS1_11comp_targetILNS1_3genE5ELNS1_11target_archE942ELNS1_3gpuE9ELNS1_3repE0EEES8_NS1_28merge_sort_block_sort_configILj256ELj4ELNS0_20block_sort_algorithmE0EEENS0_14default_configENS1_37merge_sort_block_sort_config_selectorIisEENS1_38merge_sort_block_merge_config_selectorIisEEEEvv.uses_vcc, 0
	.set _ZN7rocprim17ROCPRIM_400000_NS6detail44device_merge_sort_compile_time_verifier_archINS1_11comp_targetILNS1_3genE5ELNS1_11target_archE942ELNS1_3gpuE9ELNS1_3repE0EEES8_NS1_28merge_sort_block_sort_configILj256ELj4ELNS0_20block_sort_algorithmE0EEENS0_14default_configENS1_37merge_sort_block_sort_config_selectorIisEENS1_38merge_sort_block_merge_config_selectorIisEEEEvv.uses_flat_scratch, 0
	.set _ZN7rocprim17ROCPRIM_400000_NS6detail44device_merge_sort_compile_time_verifier_archINS1_11comp_targetILNS1_3genE5ELNS1_11target_archE942ELNS1_3gpuE9ELNS1_3repE0EEES8_NS1_28merge_sort_block_sort_configILj256ELj4ELNS0_20block_sort_algorithmE0EEENS0_14default_configENS1_37merge_sort_block_sort_config_selectorIisEENS1_38merge_sort_block_merge_config_selectorIisEEEEvv.has_dyn_sized_stack, 0
	.set _ZN7rocprim17ROCPRIM_400000_NS6detail44device_merge_sort_compile_time_verifier_archINS1_11comp_targetILNS1_3genE5ELNS1_11target_archE942ELNS1_3gpuE9ELNS1_3repE0EEES8_NS1_28merge_sort_block_sort_configILj256ELj4ELNS0_20block_sort_algorithmE0EEENS0_14default_configENS1_37merge_sort_block_sort_config_selectorIisEENS1_38merge_sort_block_merge_config_selectorIisEEEEvv.has_recursion, 0
	.set _ZN7rocprim17ROCPRIM_400000_NS6detail44device_merge_sort_compile_time_verifier_archINS1_11comp_targetILNS1_3genE5ELNS1_11target_archE942ELNS1_3gpuE9ELNS1_3repE0EEES8_NS1_28merge_sort_block_sort_configILj256ELj4ELNS0_20block_sort_algorithmE0EEENS0_14default_configENS1_37merge_sort_block_sort_config_selectorIisEENS1_38merge_sort_block_merge_config_selectorIisEEEEvv.has_indirect_call, 0
	.section	.AMDGPU.csdata,"",@progbits
; Kernel info:
; codeLenInByte = 4
; TotalNumSgprs: 6
; NumVgprs: 0
; NumAgprs: 0
; TotalNumVgprs: 0
; ScratchSize: 0
; MemoryBound: 0
; FloatMode: 240
; IeeeMode: 1
; LDSByteSize: 0 bytes/workgroup (compile time only)
; SGPRBlocks: 0
; VGPRBlocks: 0
; NumSGPRsForWavesPerEU: 6
; NumVGPRsForWavesPerEU: 1
; AccumOffset: 4
; Occupancy: 8
; WaveLimiterHint : 0
; COMPUTE_PGM_RSRC2:SCRATCH_EN: 0
; COMPUTE_PGM_RSRC2:USER_SGPR: 0
; COMPUTE_PGM_RSRC2:TRAP_HANDLER: 0
; COMPUTE_PGM_RSRC2:TGID_X_EN: 1
; COMPUTE_PGM_RSRC2:TGID_Y_EN: 0
; COMPUTE_PGM_RSRC2:TGID_Z_EN: 0
; COMPUTE_PGM_RSRC2:TIDIG_COMP_CNT: 0
; COMPUTE_PGM_RSRC3_GFX90A:ACCUM_OFFSET: 0
; COMPUTE_PGM_RSRC3_GFX90A:TG_SPLIT: 0
	.section	.text._ZN7rocprim17ROCPRIM_400000_NS6detail44device_merge_sort_compile_time_verifier_archINS1_11comp_targetILNS1_3genE4ELNS1_11target_archE910ELNS1_3gpuE8ELNS1_3repE0EEES8_NS1_28merge_sort_block_sort_configILj256ELj4ELNS0_20block_sort_algorithmE0EEENS0_14default_configENS1_37merge_sort_block_sort_config_selectorIisEENS1_38merge_sort_block_merge_config_selectorIisEEEEvv,"axG",@progbits,_ZN7rocprim17ROCPRIM_400000_NS6detail44device_merge_sort_compile_time_verifier_archINS1_11comp_targetILNS1_3genE4ELNS1_11target_archE910ELNS1_3gpuE8ELNS1_3repE0EEES8_NS1_28merge_sort_block_sort_configILj256ELj4ELNS0_20block_sort_algorithmE0EEENS0_14default_configENS1_37merge_sort_block_sort_config_selectorIisEENS1_38merge_sort_block_merge_config_selectorIisEEEEvv,comdat
	.protected	_ZN7rocprim17ROCPRIM_400000_NS6detail44device_merge_sort_compile_time_verifier_archINS1_11comp_targetILNS1_3genE4ELNS1_11target_archE910ELNS1_3gpuE8ELNS1_3repE0EEES8_NS1_28merge_sort_block_sort_configILj256ELj4ELNS0_20block_sort_algorithmE0EEENS0_14default_configENS1_37merge_sort_block_sort_config_selectorIisEENS1_38merge_sort_block_merge_config_selectorIisEEEEvv ; -- Begin function _ZN7rocprim17ROCPRIM_400000_NS6detail44device_merge_sort_compile_time_verifier_archINS1_11comp_targetILNS1_3genE4ELNS1_11target_archE910ELNS1_3gpuE8ELNS1_3repE0EEES8_NS1_28merge_sort_block_sort_configILj256ELj4ELNS0_20block_sort_algorithmE0EEENS0_14default_configENS1_37merge_sort_block_sort_config_selectorIisEENS1_38merge_sort_block_merge_config_selectorIisEEEEvv
	.globl	_ZN7rocprim17ROCPRIM_400000_NS6detail44device_merge_sort_compile_time_verifier_archINS1_11comp_targetILNS1_3genE4ELNS1_11target_archE910ELNS1_3gpuE8ELNS1_3repE0EEES8_NS1_28merge_sort_block_sort_configILj256ELj4ELNS0_20block_sort_algorithmE0EEENS0_14default_configENS1_37merge_sort_block_sort_config_selectorIisEENS1_38merge_sort_block_merge_config_selectorIisEEEEvv
	.p2align	8
	.type	_ZN7rocprim17ROCPRIM_400000_NS6detail44device_merge_sort_compile_time_verifier_archINS1_11comp_targetILNS1_3genE4ELNS1_11target_archE910ELNS1_3gpuE8ELNS1_3repE0EEES8_NS1_28merge_sort_block_sort_configILj256ELj4ELNS0_20block_sort_algorithmE0EEENS0_14default_configENS1_37merge_sort_block_sort_config_selectorIisEENS1_38merge_sort_block_merge_config_selectorIisEEEEvv,@function
_ZN7rocprim17ROCPRIM_400000_NS6detail44device_merge_sort_compile_time_verifier_archINS1_11comp_targetILNS1_3genE4ELNS1_11target_archE910ELNS1_3gpuE8ELNS1_3repE0EEES8_NS1_28merge_sort_block_sort_configILj256ELj4ELNS0_20block_sort_algorithmE0EEENS0_14default_configENS1_37merge_sort_block_sort_config_selectorIisEENS1_38merge_sort_block_merge_config_selectorIisEEEEvv: ; @_ZN7rocprim17ROCPRIM_400000_NS6detail44device_merge_sort_compile_time_verifier_archINS1_11comp_targetILNS1_3genE4ELNS1_11target_archE910ELNS1_3gpuE8ELNS1_3repE0EEES8_NS1_28merge_sort_block_sort_configILj256ELj4ELNS0_20block_sort_algorithmE0EEENS0_14default_configENS1_37merge_sort_block_sort_config_selectorIisEENS1_38merge_sort_block_merge_config_selectorIisEEEEvv
; %bb.0:
	s_endpgm
	.section	.rodata,"a",@progbits
	.p2align	6, 0x0
	.amdhsa_kernel _ZN7rocprim17ROCPRIM_400000_NS6detail44device_merge_sort_compile_time_verifier_archINS1_11comp_targetILNS1_3genE4ELNS1_11target_archE910ELNS1_3gpuE8ELNS1_3repE0EEES8_NS1_28merge_sort_block_sort_configILj256ELj4ELNS0_20block_sort_algorithmE0EEENS0_14default_configENS1_37merge_sort_block_sort_config_selectorIisEENS1_38merge_sort_block_merge_config_selectorIisEEEEvv
		.amdhsa_group_segment_fixed_size 0
		.amdhsa_private_segment_fixed_size 0
		.amdhsa_kernarg_size 0
		.amdhsa_user_sgpr_count 0
		.amdhsa_user_sgpr_dispatch_ptr 0
		.amdhsa_user_sgpr_queue_ptr 0
		.amdhsa_user_sgpr_kernarg_segment_ptr 0
		.amdhsa_user_sgpr_dispatch_id 0
		.amdhsa_user_sgpr_kernarg_preload_length 0
		.amdhsa_user_sgpr_kernarg_preload_offset 0
		.amdhsa_user_sgpr_private_segment_size 0
		.amdhsa_uses_dynamic_stack 0
		.amdhsa_enable_private_segment 0
		.amdhsa_system_sgpr_workgroup_id_x 1
		.amdhsa_system_sgpr_workgroup_id_y 0
		.amdhsa_system_sgpr_workgroup_id_z 0
		.amdhsa_system_sgpr_workgroup_info 0
		.amdhsa_system_vgpr_workitem_id 0
		.amdhsa_next_free_vgpr 1
		.amdhsa_next_free_sgpr 0
		.amdhsa_accum_offset 4
		.amdhsa_reserve_vcc 0
		.amdhsa_float_round_mode_32 0
		.amdhsa_float_round_mode_16_64 0
		.amdhsa_float_denorm_mode_32 3
		.amdhsa_float_denorm_mode_16_64 3
		.amdhsa_dx10_clamp 1
		.amdhsa_ieee_mode 1
		.amdhsa_fp16_overflow 0
		.amdhsa_tg_split 0
		.amdhsa_exception_fp_ieee_invalid_op 0
		.amdhsa_exception_fp_denorm_src 0
		.amdhsa_exception_fp_ieee_div_zero 0
		.amdhsa_exception_fp_ieee_overflow 0
		.amdhsa_exception_fp_ieee_underflow 0
		.amdhsa_exception_fp_ieee_inexact 0
		.amdhsa_exception_int_div_zero 0
	.end_amdhsa_kernel
	.section	.text._ZN7rocprim17ROCPRIM_400000_NS6detail44device_merge_sort_compile_time_verifier_archINS1_11comp_targetILNS1_3genE4ELNS1_11target_archE910ELNS1_3gpuE8ELNS1_3repE0EEES8_NS1_28merge_sort_block_sort_configILj256ELj4ELNS0_20block_sort_algorithmE0EEENS0_14default_configENS1_37merge_sort_block_sort_config_selectorIisEENS1_38merge_sort_block_merge_config_selectorIisEEEEvv,"axG",@progbits,_ZN7rocprim17ROCPRIM_400000_NS6detail44device_merge_sort_compile_time_verifier_archINS1_11comp_targetILNS1_3genE4ELNS1_11target_archE910ELNS1_3gpuE8ELNS1_3repE0EEES8_NS1_28merge_sort_block_sort_configILj256ELj4ELNS0_20block_sort_algorithmE0EEENS0_14default_configENS1_37merge_sort_block_sort_config_selectorIisEENS1_38merge_sort_block_merge_config_selectorIisEEEEvv,comdat
.Lfunc_end2283:
	.size	_ZN7rocprim17ROCPRIM_400000_NS6detail44device_merge_sort_compile_time_verifier_archINS1_11comp_targetILNS1_3genE4ELNS1_11target_archE910ELNS1_3gpuE8ELNS1_3repE0EEES8_NS1_28merge_sort_block_sort_configILj256ELj4ELNS0_20block_sort_algorithmE0EEENS0_14default_configENS1_37merge_sort_block_sort_config_selectorIisEENS1_38merge_sort_block_merge_config_selectorIisEEEEvv, .Lfunc_end2283-_ZN7rocprim17ROCPRIM_400000_NS6detail44device_merge_sort_compile_time_verifier_archINS1_11comp_targetILNS1_3genE4ELNS1_11target_archE910ELNS1_3gpuE8ELNS1_3repE0EEES8_NS1_28merge_sort_block_sort_configILj256ELj4ELNS0_20block_sort_algorithmE0EEENS0_14default_configENS1_37merge_sort_block_sort_config_selectorIisEENS1_38merge_sort_block_merge_config_selectorIisEEEEvv
                                        ; -- End function
	.set _ZN7rocprim17ROCPRIM_400000_NS6detail44device_merge_sort_compile_time_verifier_archINS1_11comp_targetILNS1_3genE4ELNS1_11target_archE910ELNS1_3gpuE8ELNS1_3repE0EEES8_NS1_28merge_sort_block_sort_configILj256ELj4ELNS0_20block_sort_algorithmE0EEENS0_14default_configENS1_37merge_sort_block_sort_config_selectorIisEENS1_38merge_sort_block_merge_config_selectorIisEEEEvv.num_vgpr, 0
	.set _ZN7rocprim17ROCPRIM_400000_NS6detail44device_merge_sort_compile_time_verifier_archINS1_11comp_targetILNS1_3genE4ELNS1_11target_archE910ELNS1_3gpuE8ELNS1_3repE0EEES8_NS1_28merge_sort_block_sort_configILj256ELj4ELNS0_20block_sort_algorithmE0EEENS0_14default_configENS1_37merge_sort_block_sort_config_selectorIisEENS1_38merge_sort_block_merge_config_selectorIisEEEEvv.num_agpr, 0
	.set _ZN7rocprim17ROCPRIM_400000_NS6detail44device_merge_sort_compile_time_verifier_archINS1_11comp_targetILNS1_3genE4ELNS1_11target_archE910ELNS1_3gpuE8ELNS1_3repE0EEES8_NS1_28merge_sort_block_sort_configILj256ELj4ELNS0_20block_sort_algorithmE0EEENS0_14default_configENS1_37merge_sort_block_sort_config_selectorIisEENS1_38merge_sort_block_merge_config_selectorIisEEEEvv.numbered_sgpr, 0
	.set _ZN7rocprim17ROCPRIM_400000_NS6detail44device_merge_sort_compile_time_verifier_archINS1_11comp_targetILNS1_3genE4ELNS1_11target_archE910ELNS1_3gpuE8ELNS1_3repE0EEES8_NS1_28merge_sort_block_sort_configILj256ELj4ELNS0_20block_sort_algorithmE0EEENS0_14default_configENS1_37merge_sort_block_sort_config_selectorIisEENS1_38merge_sort_block_merge_config_selectorIisEEEEvv.num_named_barrier, 0
	.set _ZN7rocprim17ROCPRIM_400000_NS6detail44device_merge_sort_compile_time_verifier_archINS1_11comp_targetILNS1_3genE4ELNS1_11target_archE910ELNS1_3gpuE8ELNS1_3repE0EEES8_NS1_28merge_sort_block_sort_configILj256ELj4ELNS0_20block_sort_algorithmE0EEENS0_14default_configENS1_37merge_sort_block_sort_config_selectorIisEENS1_38merge_sort_block_merge_config_selectorIisEEEEvv.private_seg_size, 0
	.set _ZN7rocprim17ROCPRIM_400000_NS6detail44device_merge_sort_compile_time_verifier_archINS1_11comp_targetILNS1_3genE4ELNS1_11target_archE910ELNS1_3gpuE8ELNS1_3repE0EEES8_NS1_28merge_sort_block_sort_configILj256ELj4ELNS0_20block_sort_algorithmE0EEENS0_14default_configENS1_37merge_sort_block_sort_config_selectorIisEENS1_38merge_sort_block_merge_config_selectorIisEEEEvv.uses_vcc, 0
	.set _ZN7rocprim17ROCPRIM_400000_NS6detail44device_merge_sort_compile_time_verifier_archINS1_11comp_targetILNS1_3genE4ELNS1_11target_archE910ELNS1_3gpuE8ELNS1_3repE0EEES8_NS1_28merge_sort_block_sort_configILj256ELj4ELNS0_20block_sort_algorithmE0EEENS0_14default_configENS1_37merge_sort_block_sort_config_selectorIisEENS1_38merge_sort_block_merge_config_selectorIisEEEEvv.uses_flat_scratch, 0
	.set _ZN7rocprim17ROCPRIM_400000_NS6detail44device_merge_sort_compile_time_verifier_archINS1_11comp_targetILNS1_3genE4ELNS1_11target_archE910ELNS1_3gpuE8ELNS1_3repE0EEES8_NS1_28merge_sort_block_sort_configILj256ELj4ELNS0_20block_sort_algorithmE0EEENS0_14default_configENS1_37merge_sort_block_sort_config_selectorIisEENS1_38merge_sort_block_merge_config_selectorIisEEEEvv.has_dyn_sized_stack, 0
	.set _ZN7rocprim17ROCPRIM_400000_NS6detail44device_merge_sort_compile_time_verifier_archINS1_11comp_targetILNS1_3genE4ELNS1_11target_archE910ELNS1_3gpuE8ELNS1_3repE0EEES8_NS1_28merge_sort_block_sort_configILj256ELj4ELNS0_20block_sort_algorithmE0EEENS0_14default_configENS1_37merge_sort_block_sort_config_selectorIisEENS1_38merge_sort_block_merge_config_selectorIisEEEEvv.has_recursion, 0
	.set _ZN7rocprim17ROCPRIM_400000_NS6detail44device_merge_sort_compile_time_verifier_archINS1_11comp_targetILNS1_3genE4ELNS1_11target_archE910ELNS1_3gpuE8ELNS1_3repE0EEES8_NS1_28merge_sort_block_sort_configILj256ELj4ELNS0_20block_sort_algorithmE0EEENS0_14default_configENS1_37merge_sort_block_sort_config_selectorIisEENS1_38merge_sort_block_merge_config_selectorIisEEEEvv.has_indirect_call, 0
	.section	.AMDGPU.csdata,"",@progbits
; Kernel info:
; codeLenInByte = 4
; TotalNumSgprs: 6
; NumVgprs: 0
; NumAgprs: 0
; TotalNumVgprs: 0
; ScratchSize: 0
; MemoryBound: 0
; FloatMode: 240
; IeeeMode: 1
; LDSByteSize: 0 bytes/workgroup (compile time only)
; SGPRBlocks: 0
; VGPRBlocks: 0
; NumSGPRsForWavesPerEU: 6
; NumVGPRsForWavesPerEU: 1
; AccumOffset: 4
; Occupancy: 8
; WaveLimiterHint : 0
; COMPUTE_PGM_RSRC2:SCRATCH_EN: 0
; COMPUTE_PGM_RSRC2:USER_SGPR: 0
; COMPUTE_PGM_RSRC2:TRAP_HANDLER: 0
; COMPUTE_PGM_RSRC2:TGID_X_EN: 1
; COMPUTE_PGM_RSRC2:TGID_Y_EN: 0
; COMPUTE_PGM_RSRC2:TGID_Z_EN: 0
; COMPUTE_PGM_RSRC2:TIDIG_COMP_CNT: 0
; COMPUTE_PGM_RSRC3_GFX90A:ACCUM_OFFSET: 0
; COMPUTE_PGM_RSRC3_GFX90A:TG_SPLIT: 0
	.section	.text._ZN7rocprim17ROCPRIM_400000_NS6detail44device_merge_sort_compile_time_verifier_archINS1_11comp_targetILNS1_3genE3ELNS1_11target_archE908ELNS1_3gpuE7ELNS1_3repE0EEES8_NS1_28merge_sort_block_sort_configILj256ELj4ELNS0_20block_sort_algorithmE0EEENS0_14default_configENS1_37merge_sort_block_sort_config_selectorIisEENS1_38merge_sort_block_merge_config_selectorIisEEEEvv,"axG",@progbits,_ZN7rocprim17ROCPRIM_400000_NS6detail44device_merge_sort_compile_time_verifier_archINS1_11comp_targetILNS1_3genE3ELNS1_11target_archE908ELNS1_3gpuE7ELNS1_3repE0EEES8_NS1_28merge_sort_block_sort_configILj256ELj4ELNS0_20block_sort_algorithmE0EEENS0_14default_configENS1_37merge_sort_block_sort_config_selectorIisEENS1_38merge_sort_block_merge_config_selectorIisEEEEvv,comdat
	.protected	_ZN7rocprim17ROCPRIM_400000_NS6detail44device_merge_sort_compile_time_verifier_archINS1_11comp_targetILNS1_3genE3ELNS1_11target_archE908ELNS1_3gpuE7ELNS1_3repE0EEES8_NS1_28merge_sort_block_sort_configILj256ELj4ELNS0_20block_sort_algorithmE0EEENS0_14default_configENS1_37merge_sort_block_sort_config_selectorIisEENS1_38merge_sort_block_merge_config_selectorIisEEEEvv ; -- Begin function _ZN7rocprim17ROCPRIM_400000_NS6detail44device_merge_sort_compile_time_verifier_archINS1_11comp_targetILNS1_3genE3ELNS1_11target_archE908ELNS1_3gpuE7ELNS1_3repE0EEES8_NS1_28merge_sort_block_sort_configILj256ELj4ELNS0_20block_sort_algorithmE0EEENS0_14default_configENS1_37merge_sort_block_sort_config_selectorIisEENS1_38merge_sort_block_merge_config_selectorIisEEEEvv
	.globl	_ZN7rocprim17ROCPRIM_400000_NS6detail44device_merge_sort_compile_time_verifier_archINS1_11comp_targetILNS1_3genE3ELNS1_11target_archE908ELNS1_3gpuE7ELNS1_3repE0EEES8_NS1_28merge_sort_block_sort_configILj256ELj4ELNS0_20block_sort_algorithmE0EEENS0_14default_configENS1_37merge_sort_block_sort_config_selectorIisEENS1_38merge_sort_block_merge_config_selectorIisEEEEvv
	.p2align	8
	.type	_ZN7rocprim17ROCPRIM_400000_NS6detail44device_merge_sort_compile_time_verifier_archINS1_11comp_targetILNS1_3genE3ELNS1_11target_archE908ELNS1_3gpuE7ELNS1_3repE0EEES8_NS1_28merge_sort_block_sort_configILj256ELj4ELNS0_20block_sort_algorithmE0EEENS0_14default_configENS1_37merge_sort_block_sort_config_selectorIisEENS1_38merge_sort_block_merge_config_selectorIisEEEEvv,@function
_ZN7rocprim17ROCPRIM_400000_NS6detail44device_merge_sort_compile_time_verifier_archINS1_11comp_targetILNS1_3genE3ELNS1_11target_archE908ELNS1_3gpuE7ELNS1_3repE0EEES8_NS1_28merge_sort_block_sort_configILj256ELj4ELNS0_20block_sort_algorithmE0EEENS0_14default_configENS1_37merge_sort_block_sort_config_selectorIisEENS1_38merge_sort_block_merge_config_selectorIisEEEEvv: ; @_ZN7rocprim17ROCPRIM_400000_NS6detail44device_merge_sort_compile_time_verifier_archINS1_11comp_targetILNS1_3genE3ELNS1_11target_archE908ELNS1_3gpuE7ELNS1_3repE0EEES8_NS1_28merge_sort_block_sort_configILj256ELj4ELNS0_20block_sort_algorithmE0EEENS0_14default_configENS1_37merge_sort_block_sort_config_selectorIisEENS1_38merge_sort_block_merge_config_selectorIisEEEEvv
; %bb.0:
	s_endpgm
	.section	.rodata,"a",@progbits
	.p2align	6, 0x0
	.amdhsa_kernel _ZN7rocprim17ROCPRIM_400000_NS6detail44device_merge_sort_compile_time_verifier_archINS1_11comp_targetILNS1_3genE3ELNS1_11target_archE908ELNS1_3gpuE7ELNS1_3repE0EEES8_NS1_28merge_sort_block_sort_configILj256ELj4ELNS0_20block_sort_algorithmE0EEENS0_14default_configENS1_37merge_sort_block_sort_config_selectorIisEENS1_38merge_sort_block_merge_config_selectorIisEEEEvv
		.amdhsa_group_segment_fixed_size 0
		.amdhsa_private_segment_fixed_size 0
		.amdhsa_kernarg_size 0
		.amdhsa_user_sgpr_count 0
		.amdhsa_user_sgpr_dispatch_ptr 0
		.amdhsa_user_sgpr_queue_ptr 0
		.amdhsa_user_sgpr_kernarg_segment_ptr 0
		.amdhsa_user_sgpr_dispatch_id 0
		.amdhsa_user_sgpr_kernarg_preload_length 0
		.amdhsa_user_sgpr_kernarg_preload_offset 0
		.amdhsa_user_sgpr_private_segment_size 0
		.amdhsa_uses_dynamic_stack 0
		.amdhsa_enable_private_segment 0
		.amdhsa_system_sgpr_workgroup_id_x 1
		.amdhsa_system_sgpr_workgroup_id_y 0
		.amdhsa_system_sgpr_workgroup_id_z 0
		.amdhsa_system_sgpr_workgroup_info 0
		.amdhsa_system_vgpr_workitem_id 0
		.amdhsa_next_free_vgpr 1
		.amdhsa_next_free_sgpr 0
		.amdhsa_accum_offset 4
		.amdhsa_reserve_vcc 0
		.amdhsa_float_round_mode_32 0
		.amdhsa_float_round_mode_16_64 0
		.amdhsa_float_denorm_mode_32 3
		.amdhsa_float_denorm_mode_16_64 3
		.amdhsa_dx10_clamp 1
		.amdhsa_ieee_mode 1
		.amdhsa_fp16_overflow 0
		.amdhsa_tg_split 0
		.amdhsa_exception_fp_ieee_invalid_op 0
		.amdhsa_exception_fp_denorm_src 0
		.amdhsa_exception_fp_ieee_div_zero 0
		.amdhsa_exception_fp_ieee_overflow 0
		.amdhsa_exception_fp_ieee_underflow 0
		.amdhsa_exception_fp_ieee_inexact 0
		.amdhsa_exception_int_div_zero 0
	.end_amdhsa_kernel
	.section	.text._ZN7rocprim17ROCPRIM_400000_NS6detail44device_merge_sort_compile_time_verifier_archINS1_11comp_targetILNS1_3genE3ELNS1_11target_archE908ELNS1_3gpuE7ELNS1_3repE0EEES8_NS1_28merge_sort_block_sort_configILj256ELj4ELNS0_20block_sort_algorithmE0EEENS0_14default_configENS1_37merge_sort_block_sort_config_selectorIisEENS1_38merge_sort_block_merge_config_selectorIisEEEEvv,"axG",@progbits,_ZN7rocprim17ROCPRIM_400000_NS6detail44device_merge_sort_compile_time_verifier_archINS1_11comp_targetILNS1_3genE3ELNS1_11target_archE908ELNS1_3gpuE7ELNS1_3repE0EEES8_NS1_28merge_sort_block_sort_configILj256ELj4ELNS0_20block_sort_algorithmE0EEENS0_14default_configENS1_37merge_sort_block_sort_config_selectorIisEENS1_38merge_sort_block_merge_config_selectorIisEEEEvv,comdat
.Lfunc_end2284:
	.size	_ZN7rocprim17ROCPRIM_400000_NS6detail44device_merge_sort_compile_time_verifier_archINS1_11comp_targetILNS1_3genE3ELNS1_11target_archE908ELNS1_3gpuE7ELNS1_3repE0EEES8_NS1_28merge_sort_block_sort_configILj256ELj4ELNS0_20block_sort_algorithmE0EEENS0_14default_configENS1_37merge_sort_block_sort_config_selectorIisEENS1_38merge_sort_block_merge_config_selectorIisEEEEvv, .Lfunc_end2284-_ZN7rocprim17ROCPRIM_400000_NS6detail44device_merge_sort_compile_time_verifier_archINS1_11comp_targetILNS1_3genE3ELNS1_11target_archE908ELNS1_3gpuE7ELNS1_3repE0EEES8_NS1_28merge_sort_block_sort_configILj256ELj4ELNS0_20block_sort_algorithmE0EEENS0_14default_configENS1_37merge_sort_block_sort_config_selectorIisEENS1_38merge_sort_block_merge_config_selectorIisEEEEvv
                                        ; -- End function
	.set _ZN7rocprim17ROCPRIM_400000_NS6detail44device_merge_sort_compile_time_verifier_archINS1_11comp_targetILNS1_3genE3ELNS1_11target_archE908ELNS1_3gpuE7ELNS1_3repE0EEES8_NS1_28merge_sort_block_sort_configILj256ELj4ELNS0_20block_sort_algorithmE0EEENS0_14default_configENS1_37merge_sort_block_sort_config_selectorIisEENS1_38merge_sort_block_merge_config_selectorIisEEEEvv.num_vgpr, 0
	.set _ZN7rocprim17ROCPRIM_400000_NS6detail44device_merge_sort_compile_time_verifier_archINS1_11comp_targetILNS1_3genE3ELNS1_11target_archE908ELNS1_3gpuE7ELNS1_3repE0EEES8_NS1_28merge_sort_block_sort_configILj256ELj4ELNS0_20block_sort_algorithmE0EEENS0_14default_configENS1_37merge_sort_block_sort_config_selectorIisEENS1_38merge_sort_block_merge_config_selectorIisEEEEvv.num_agpr, 0
	.set _ZN7rocprim17ROCPRIM_400000_NS6detail44device_merge_sort_compile_time_verifier_archINS1_11comp_targetILNS1_3genE3ELNS1_11target_archE908ELNS1_3gpuE7ELNS1_3repE0EEES8_NS1_28merge_sort_block_sort_configILj256ELj4ELNS0_20block_sort_algorithmE0EEENS0_14default_configENS1_37merge_sort_block_sort_config_selectorIisEENS1_38merge_sort_block_merge_config_selectorIisEEEEvv.numbered_sgpr, 0
	.set _ZN7rocprim17ROCPRIM_400000_NS6detail44device_merge_sort_compile_time_verifier_archINS1_11comp_targetILNS1_3genE3ELNS1_11target_archE908ELNS1_3gpuE7ELNS1_3repE0EEES8_NS1_28merge_sort_block_sort_configILj256ELj4ELNS0_20block_sort_algorithmE0EEENS0_14default_configENS1_37merge_sort_block_sort_config_selectorIisEENS1_38merge_sort_block_merge_config_selectorIisEEEEvv.num_named_barrier, 0
	.set _ZN7rocprim17ROCPRIM_400000_NS6detail44device_merge_sort_compile_time_verifier_archINS1_11comp_targetILNS1_3genE3ELNS1_11target_archE908ELNS1_3gpuE7ELNS1_3repE0EEES8_NS1_28merge_sort_block_sort_configILj256ELj4ELNS0_20block_sort_algorithmE0EEENS0_14default_configENS1_37merge_sort_block_sort_config_selectorIisEENS1_38merge_sort_block_merge_config_selectorIisEEEEvv.private_seg_size, 0
	.set _ZN7rocprim17ROCPRIM_400000_NS6detail44device_merge_sort_compile_time_verifier_archINS1_11comp_targetILNS1_3genE3ELNS1_11target_archE908ELNS1_3gpuE7ELNS1_3repE0EEES8_NS1_28merge_sort_block_sort_configILj256ELj4ELNS0_20block_sort_algorithmE0EEENS0_14default_configENS1_37merge_sort_block_sort_config_selectorIisEENS1_38merge_sort_block_merge_config_selectorIisEEEEvv.uses_vcc, 0
	.set _ZN7rocprim17ROCPRIM_400000_NS6detail44device_merge_sort_compile_time_verifier_archINS1_11comp_targetILNS1_3genE3ELNS1_11target_archE908ELNS1_3gpuE7ELNS1_3repE0EEES8_NS1_28merge_sort_block_sort_configILj256ELj4ELNS0_20block_sort_algorithmE0EEENS0_14default_configENS1_37merge_sort_block_sort_config_selectorIisEENS1_38merge_sort_block_merge_config_selectorIisEEEEvv.uses_flat_scratch, 0
	.set _ZN7rocprim17ROCPRIM_400000_NS6detail44device_merge_sort_compile_time_verifier_archINS1_11comp_targetILNS1_3genE3ELNS1_11target_archE908ELNS1_3gpuE7ELNS1_3repE0EEES8_NS1_28merge_sort_block_sort_configILj256ELj4ELNS0_20block_sort_algorithmE0EEENS0_14default_configENS1_37merge_sort_block_sort_config_selectorIisEENS1_38merge_sort_block_merge_config_selectorIisEEEEvv.has_dyn_sized_stack, 0
	.set _ZN7rocprim17ROCPRIM_400000_NS6detail44device_merge_sort_compile_time_verifier_archINS1_11comp_targetILNS1_3genE3ELNS1_11target_archE908ELNS1_3gpuE7ELNS1_3repE0EEES8_NS1_28merge_sort_block_sort_configILj256ELj4ELNS0_20block_sort_algorithmE0EEENS0_14default_configENS1_37merge_sort_block_sort_config_selectorIisEENS1_38merge_sort_block_merge_config_selectorIisEEEEvv.has_recursion, 0
	.set _ZN7rocprim17ROCPRIM_400000_NS6detail44device_merge_sort_compile_time_verifier_archINS1_11comp_targetILNS1_3genE3ELNS1_11target_archE908ELNS1_3gpuE7ELNS1_3repE0EEES8_NS1_28merge_sort_block_sort_configILj256ELj4ELNS0_20block_sort_algorithmE0EEENS0_14default_configENS1_37merge_sort_block_sort_config_selectorIisEENS1_38merge_sort_block_merge_config_selectorIisEEEEvv.has_indirect_call, 0
	.section	.AMDGPU.csdata,"",@progbits
; Kernel info:
; codeLenInByte = 4
; TotalNumSgprs: 6
; NumVgprs: 0
; NumAgprs: 0
; TotalNumVgprs: 0
; ScratchSize: 0
; MemoryBound: 0
; FloatMode: 240
; IeeeMode: 1
; LDSByteSize: 0 bytes/workgroup (compile time only)
; SGPRBlocks: 0
; VGPRBlocks: 0
; NumSGPRsForWavesPerEU: 6
; NumVGPRsForWavesPerEU: 1
; AccumOffset: 4
; Occupancy: 8
; WaveLimiterHint : 0
; COMPUTE_PGM_RSRC2:SCRATCH_EN: 0
; COMPUTE_PGM_RSRC2:USER_SGPR: 0
; COMPUTE_PGM_RSRC2:TRAP_HANDLER: 0
; COMPUTE_PGM_RSRC2:TGID_X_EN: 1
; COMPUTE_PGM_RSRC2:TGID_Y_EN: 0
; COMPUTE_PGM_RSRC2:TGID_Z_EN: 0
; COMPUTE_PGM_RSRC2:TIDIG_COMP_CNT: 0
; COMPUTE_PGM_RSRC3_GFX90A:ACCUM_OFFSET: 0
; COMPUTE_PGM_RSRC3_GFX90A:TG_SPLIT: 0
	.section	.text._ZN7rocprim17ROCPRIM_400000_NS6detail44device_merge_sort_compile_time_verifier_archINS1_11comp_targetILNS1_3genE2ELNS1_11target_archE906ELNS1_3gpuE6ELNS1_3repE0EEES8_NS1_28merge_sort_block_sort_configILj256ELj4ELNS0_20block_sort_algorithmE0EEENS0_14default_configENS1_37merge_sort_block_sort_config_selectorIisEENS1_38merge_sort_block_merge_config_selectorIisEEEEvv,"axG",@progbits,_ZN7rocprim17ROCPRIM_400000_NS6detail44device_merge_sort_compile_time_verifier_archINS1_11comp_targetILNS1_3genE2ELNS1_11target_archE906ELNS1_3gpuE6ELNS1_3repE0EEES8_NS1_28merge_sort_block_sort_configILj256ELj4ELNS0_20block_sort_algorithmE0EEENS0_14default_configENS1_37merge_sort_block_sort_config_selectorIisEENS1_38merge_sort_block_merge_config_selectorIisEEEEvv,comdat
	.protected	_ZN7rocprim17ROCPRIM_400000_NS6detail44device_merge_sort_compile_time_verifier_archINS1_11comp_targetILNS1_3genE2ELNS1_11target_archE906ELNS1_3gpuE6ELNS1_3repE0EEES8_NS1_28merge_sort_block_sort_configILj256ELj4ELNS0_20block_sort_algorithmE0EEENS0_14default_configENS1_37merge_sort_block_sort_config_selectorIisEENS1_38merge_sort_block_merge_config_selectorIisEEEEvv ; -- Begin function _ZN7rocprim17ROCPRIM_400000_NS6detail44device_merge_sort_compile_time_verifier_archINS1_11comp_targetILNS1_3genE2ELNS1_11target_archE906ELNS1_3gpuE6ELNS1_3repE0EEES8_NS1_28merge_sort_block_sort_configILj256ELj4ELNS0_20block_sort_algorithmE0EEENS0_14default_configENS1_37merge_sort_block_sort_config_selectorIisEENS1_38merge_sort_block_merge_config_selectorIisEEEEvv
	.globl	_ZN7rocprim17ROCPRIM_400000_NS6detail44device_merge_sort_compile_time_verifier_archINS1_11comp_targetILNS1_3genE2ELNS1_11target_archE906ELNS1_3gpuE6ELNS1_3repE0EEES8_NS1_28merge_sort_block_sort_configILj256ELj4ELNS0_20block_sort_algorithmE0EEENS0_14default_configENS1_37merge_sort_block_sort_config_selectorIisEENS1_38merge_sort_block_merge_config_selectorIisEEEEvv
	.p2align	8
	.type	_ZN7rocprim17ROCPRIM_400000_NS6detail44device_merge_sort_compile_time_verifier_archINS1_11comp_targetILNS1_3genE2ELNS1_11target_archE906ELNS1_3gpuE6ELNS1_3repE0EEES8_NS1_28merge_sort_block_sort_configILj256ELj4ELNS0_20block_sort_algorithmE0EEENS0_14default_configENS1_37merge_sort_block_sort_config_selectorIisEENS1_38merge_sort_block_merge_config_selectorIisEEEEvv,@function
_ZN7rocprim17ROCPRIM_400000_NS6detail44device_merge_sort_compile_time_verifier_archINS1_11comp_targetILNS1_3genE2ELNS1_11target_archE906ELNS1_3gpuE6ELNS1_3repE0EEES8_NS1_28merge_sort_block_sort_configILj256ELj4ELNS0_20block_sort_algorithmE0EEENS0_14default_configENS1_37merge_sort_block_sort_config_selectorIisEENS1_38merge_sort_block_merge_config_selectorIisEEEEvv: ; @_ZN7rocprim17ROCPRIM_400000_NS6detail44device_merge_sort_compile_time_verifier_archINS1_11comp_targetILNS1_3genE2ELNS1_11target_archE906ELNS1_3gpuE6ELNS1_3repE0EEES8_NS1_28merge_sort_block_sort_configILj256ELj4ELNS0_20block_sort_algorithmE0EEENS0_14default_configENS1_37merge_sort_block_sort_config_selectorIisEENS1_38merge_sort_block_merge_config_selectorIisEEEEvv
; %bb.0:
	s_endpgm
	.section	.rodata,"a",@progbits
	.p2align	6, 0x0
	.amdhsa_kernel _ZN7rocprim17ROCPRIM_400000_NS6detail44device_merge_sort_compile_time_verifier_archINS1_11comp_targetILNS1_3genE2ELNS1_11target_archE906ELNS1_3gpuE6ELNS1_3repE0EEES8_NS1_28merge_sort_block_sort_configILj256ELj4ELNS0_20block_sort_algorithmE0EEENS0_14default_configENS1_37merge_sort_block_sort_config_selectorIisEENS1_38merge_sort_block_merge_config_selectorIisEEEEvv
		.amdhsa_group_segment_fixed_size 0
		.amdhsa_private_segment_fixed_size 0
		.amdhsa_kernarg_size 0
		.amdhsa_user_sgpr_count 0
		.amdhsa_user_sgpr_dispatch_ptr 0
		.amdhsa_user_sgpr_queue_ptr 0
		.amdhsa_user_sgpr_kernarg_segment_ptr 0
		.amdhsa_user_sgpr_dispatch_id 0
		.amdhsa_user_sgpr_kernarg_preload_length 0
		.amdhsa_user_sgpr_kernarg_preload_offset 0
		.amdhsa_user_sgpr_private_segment_size 0
		.amdhsa_uses_dynamic_stack 0
		.amdhsa_enable_private_segment 0
		.amdhsa_system_sgpr_workgroup_id_x 1
		.amdhsa_system_sgpr_workgroup_id_y 0
		.amdhsa_system_sgpr_workgroup_id_z 0
		.amdhsa_system_sgpr_workgroup_info 0
		.amdhsa_system_vgpr_workitem_id 0
		.amdhsa_next_free_vgpr 1
		.amdhsa_next_free_sgpr 0
		.amdhsa_accum_offset 4
		.amdhsa_reserve_vcc 0
		.amdhsa_float_round_mode_32 0
		.amdhsa_float_round_mode_16_64 0
		.amdhsa_float_denorm_mode_32 3
		.amdhsa_float_denorm_mode_16_64 3
		.amdhsa_dx10_clamp 1
		.amdhsa_ieee_mode 1
		.amdhsa_fp16_overflow 0
		.amdhsa_tg_split 0
		.amdhsa_exception_fp_ieee_invalid_op 0
		.amdhsa_exception_fp_denorm_src 0
		.amdhsa_exception_fp_ieee_div_zero 0
		.amdhsa_exception_fp_ieee_overflow 0
		.amdhsa_exception_fp_ieee_underflow 0
		.amdhsa_exception_fp_ieee_inexact 0
		.amdhsa_exception_int_div_zero 0
	.end_amdhsa_kernel
	.section	.text._ZN7rocprim17ROCPRIM_400000_NS6detail44device_merge_sort_compile_time_verifier_archINS1_11comp_targetILNS1_3genE2ELNS1_11target_archE906ELNS1_3gpuE6ELNS1_3repE0EEES8_NS1_28merge_sort_block_sort_configILj256ELj4ELNS0_20block_sort_algorithmE0EEENS0_14default_configENS1_37merge_sort_block_sort_config_selectorIisEENS1_38merge_sort_block_merge_config_selectorIisEEEEvv,"axG",@progbits,_ZN7rocprim17ROCPRIM_400000_NS6detail44device_merge_sort_compile_time_verifier_archINS1_11comp_targetILNS1_3genE2ELNS1_11target_archE906ELNS1_3gpuE6ELNS1_3repE0EEES8_NS1_28merge_sort_block_sort_configILj256ELj4ELNS0_20block_sort_algorithmE0EEENS0_14default_configENS1_37merge_sort_block_sort_config_selectorIisEENS1_38merge_sort_block_merge_config_selectorIisEEEEvv,comdat
.Lfunc_end2285:
	.size	_ZN7rocprim17ROCPRIM_400000_NS6detail44device_merge_sort_compile_time_verifier_archINS1_11comp_targetILNS1_3genE2ELNS1_11target_archE906ELNS1_3gpuE6ELNS1_3repE0EEES8_NS1_28merge_sort_block_sort_configILj256ELj4ELNS0_20block_sort_algorithmE0EEENS0_14default_configENS1_37merge_sort_block_sort_config_selectorIisEENS1_38merge_sort_block_merge_config_selectorIisEEEEvv, .Lfunc_end2285-_ZN7rocprim17ROCPRIM_400000_NS6detail44device_merge_sort_compile_time_verifier_archINS1_11comp_targetILNS1_3genE2ELNS1_11target_archE906ELNS1_3gpuE6ELNS1_3repE0EEES8_NS1_28merge_sort_block_sort_configILj256ELj4ELNS0_20block_sort_algorithmE0EEENS0_14default_configENS1_37merge_sort_block_sort_config_selectorIisEENS1_38merge_sort_block_merge_config_selectorIisEEEEvv
                                        ; -- End function
	.set _ZN7rocprim17ROCPRIM_400000_NS6detail44device_merge_sort_compile_time_verifier_archINS1_11comp_targetILNS1_3genE2ELNS1_11target_archE906ELNS1_3gpuE6ELNS1_3repE0EEES8_NS1_28merge_sort_block_sort_configILj256ELj4ELNS0_20block_sort_algorithmE0EEENS0_14default_configENS1_37merge_sort_block_sort_config_selectorIisEENS1_38merge_sort_block_merge_config_selectorIisEEEEvv.num_vgpr, 0
	.set _ZN7rocprim17ROCPRIM_400000_NS6detail44device_merge_sort_compile_time_verifier_archINS1_11comp_targetILNS1_3genE2ELNS1_11target_archE906ELNS1_3gpuE6ELNS1_3repE0EEES8_NS1_28merge_sort_block_sort_configILj256ELj4ELNS0_20block_sort_algorithmE0EEENS0_14default_configENS1_37merge_sort_block_sort_config_selectorIisEENS1_38merge_sort_block_merge_config_selectorIisEEEEvv.num_agpr, 0
	.set _ZN7rocprim17ROCPRIM_400000_NS6detail44device_merge_sort_compile_time_verifier_archINS1_11comp_targetILNS1_3genE2ELNS1_11target_archE906ELNS1_3gpuE6ELNS1_3repE0EEES8_NS1_28merge_sort_block_sort_configILj256ELj4ELNS0_20block_sort_algorithmE0EEENS0_14default_configENS1_37merge_sort_block_sort_config_selectorIisEENS1_38merge_sort_block_merge_config_selectorIisEEEEvv.numbered_sgpr, 0
	.set _ZN7rocprim17ROCPRIM_400000_NS6detail44device_merge_sort_compile_time_verifier_archINS1_11comp_targetILNS1_3genE2ELNS1_11target_archE906ELNS1_3gpuE6ELNS1_3repE0EEES8_NS1_28merge_sort_block_sort_configILj256ELj4ELNS0_20block_sort_algorithmE0EEENS0_14default_configENS1_37merge_sort_block_sort_config_selectorIisEENS1_38merge_sort_block_merge_config_selectorIisEEEEvv.num_named_barrier, 0
	.set _ZN7rocprim17ROCPRIM_400000_NS6detail44device_merge_sort_compile_time_verifier_archINS1_11comp_targetILNS1_3genE2ELNS1_11target_archE906ELNS1_3gpuE6ELNS1_3repE0EEES8_NS1_28merge_sort_block_sort_configILj256ELj4ELNS0_20block_sort_algorithmE0EEENS0_14default_configENS1_37merge_sort_block_sort_config_selectorIisEENS1_38merge_sort_block_merge_config_selectorIisEEEEvv.private_seg_size, 0
	.set _ZN7rocprim17ROCPRIM_400000_NS6detail44device_merge_sort_compile_time_verifier_archINS1_11comp_targetILNS1_3genE2ELNS1_11target_archE906ELNS1_3gpuE6ELNS1_3repE0EEES8_NS1_28merge_sort_block_sort_configILj256ELj4ELNS0_20block_sort_algorithmE0EEENS0_14default_configENS1_37merge_sort_block_sort_config_selectorIisEENS1_38merge_sort_block_merge_config_selectorIisEEEEvv.uses_vcc, 0
	.set _ZN7rocprim17ROCPRIM_400000_NS6detail44device_merge_sort_compile_time_verifier_archINS1_11comp_targetILNS1_3genE2ELNS1_11target_archE906ELNS1_3gpuE6ELNS1_3repE0EEES8_NS1_28merge_sort_block_sort_configILj256ELj4ELNS0_20block_sort_algorithmE0EEENS0_14default_configENS1_37merge_sort_block_sort_config_selectorIisEENS1_38merge_sort_block_merge_config_selectorIisEEEEvv.uses_flat_scratch, 0
	.set _ZN7rocprim17ROCPRIM_400000_NS6detail44device_merge_sort_compile_time_verifier_archINS1_11comp_targetILNS1_3genE2ELNS1_11target_archE906ELNS1_3gpuE6ELNS1_3repE0EEES8_NS1_28merge_sort_block_sort_configILj256ELj4ELNS0_20block_sort_algorithmE0EEENS0_14default_configENS1_37merge_sort_block_sort_config_selectorIisEENS1_38merge_sort_block_merge_config_selectorIisEEEEvv.has_dyn_sized_stack, 0
	.set _ZN7rocprim17ROCPRIM_400000_NS6detail44device_merge_sort_compile_time_verifier_archINS1_11comp_targetILNS1_3genE2ELNS1_11target_archE906ELNS1_3gpuE6ELNS1_3repE0EEES8_NS1_28merge_sort_block_sort_configILj256ELj4ELNS0_20block_sort_algorithmE0EEENS0_14default_configENS1_37merge_sort_block_sort_config_selectorIisEENS1_38merge_sort_block_merge_config_selectorIisEEEEvv.has_recursion, 0
	.set _ZN7rocprim17ROCPRIM_400000_NS6detail44device_merge_sort_compile_time_verifier_archINS1_11comp_targetILNS1_3genE2ELNS1_11target_archE906ELNS1_3gpuE6ELNS1_3repE0EEES8_NS1_28merge_sort_block_sort_configILj256ELj4ELNS0_20block_sort_algorithmE0EEENS0_14default_configENS1_37merge_sort_block_sort_config_selectorIisEENS1_38merge_sort_block_merge_config_selectorIisEEEEvv.has_indirect_call, 0
	.section	.AMDGPU.csdata,"",@progbits
; Kernel info:
; codeLenInByte = 4
; TotalNumSgprs: 6
; NumVgprs: 0
; NumAgprs: 0
; TotalNumVgprs: 0
; ScratchSize: 0
; MemoryBound: 0
; FloatMode: 240
; IeeeMode: 1
; LDSByteSize: 0 bytes/workgroup (compile time only)
; SGPRBlocks: 0
; VGPRBlocks: 0
; NumSGPRsForWavesPerEU: 6
; NumVGPRsForWavesPerEU: 1
; AccumOffset: 4
; Occupancy: 8
; WaveLimiterHint : 0
; COMPUTE_PGM_RSRC2:SCRATCH_EN: 0
; COMPUTE_PGM_RSRC2:USER_SGPR: 0
; COMPUTE_PGM_RSRC2:TRAP_HANDLER: 0
; COMPUTE_PGM_RSRC2:TGID_X_EN: 1
; COMPUTE_PGM_RSRC2:TGID_Y_EN: 0
; COMPUTE_PGM_RSRC2:TGID_Z_EN: 0
; COMPUTE_PGM_RSRC2:TIDIG_COMP_CNT: 0
; COMPUTE_PGM_RSRC3_GFX90A:ACCUM_OFFSET: 0
; COMPUTE_PGM_RSRC3_GFX90A:TG_SPLIT: 0
	.section	.text._ZN7rocprim17ROCPRIM_400000_NS6detail44device_merge_sort_compile_time_verifier_archINS1_11comp_targetILNS1_3genE10ELNS1_11target_archE1201ELNS1_3gpuE5ELNS1_3repE0EEES8_NS1_28merge_sort_block_sort_configILj256ELj4ELNS0_20block_sort_algorithmE0EEENS0_14default_configENS1_37merge_sort_block_sort_config_selectorIisEENS1_38merge_sort_block_merge_config_selectorIisEEEEvv,"axG",@progbits,_ZN7rocprim17ROCPRIM_400000_NS6detail44device_merge_sort_compile_time_verifier_archINS1_11comp_targetILNS1_3genE10ELNS1_11target_archE1201ELNS1_3gpuE5ELNS1_3repE0EEES8_NS1_28merge_sort_block_sort_configILj256ELj4ELNS0_20block_sort_algorithmE0EEENS0_14default_configENS1_37merge_sort_block_sort_config_selectorIisEENS1_38merge_sort_block_merge_config_selectorIisEEEEvv,comdat
	.protected	_ZN7rocprim17ROCPRIM_400000_NS6detail44device_merge_sort_compile_time_verifier_archINS1_11comp_targetILNS1_3genE10ELNS1_11target_archE1201ELNS1_3gpuE5ELNS1_3repE0EEES8_NS1_28merge_sort_block_sort_configILj256ELj4ELNS0_20block_sort_algorithmE0EEENS0_14default_configENS1_37merge_sort_block_sort_config_selectorIisEENS1_38merge_sort_block_merge_config_selectorIisEEEEvv ; -- Begin function _ZN7rocprim17ROCPRIM_400000_NS6detail44device_merge_sort_compile_time_verifier_archINS1_11comp_targetILNS1_3genE10ELNS1_11target_archE1201ELNS1_3gpuE5ELNS1_3repE0EEES8_NS1_28merge_sort_block_sort_configILj256ELj4ELNS0_20block_sort_algorithmE0EEENS0_14default_configENS1_37merge_sort_block_sort_config_selectorIisEENS1_38merge_sort_block_merge_config_selectorIisEEEEvv
	.globl	_ZN7rocprim17ROCPRIM_400000_NS6detail44device_merge_sort_compile_time_verifier_archINS1_11comp_targetILNS1_3genE10ELNS1_11target_archE1201ELNS1_3gpuE5ELNS1_3repE0EEES8_NS1_28merge_sort_block_sort_configILj256ELj4ELNS0_20block_sort_algorithmE0EEENS0_14default_configENS1_37merge_sort_block_sort_config_selectorIisEENS1_38merge_sort_block_merge_config_selectorIisEEEEvv
	.p2align	8
	.type	_ZN7rocprim17ROCPRIM_400000_NS6detail44device_merge_sort_compile_time_verifier_archINS1_11comp_targetILNS1_3genE10ELNS1_11target_archE1201ELNS1_3gpuE5ELNS1_3repE0EEES8_NS1_28merge_sort_block_sort_configILj256ELj4ELNS0_20block_sort_algorithmE0EEENS0_14default_configENS1_37merge_sort_block_sort_config_selectorIisEENS1_38merge_sort_block_merge_config_selectorIisEEEEvv,@function
_ZN7rocprim17ROCPRIM_400000_NS6detail44device_merge_sort_compile_time_verifier_archINS1_11comp_targetILNS1_3genE10ELNS1_11target_archE1201ELNS1_3gpuE5ELNS1_3repE0EEES8_NS1_28merge_sort_block_sort_configILj256ELj4ELNS0_20block_sort_algorithmE0EEENS0_14default_configENS1_37merge_sort_block_sort_config_selectorIisEENS1_38merge_sort_block_merge_config_selectorIisEEEEvv: ; @_ZN7rocprim17ROCPRIM_400000_NS6detail44device_merge_sort_compile_time_verifier_archINS1_11comp_targetILNS1_3genE10ELNS1_11target_archE1201ELNS1_3gpuE5ELNS1_3repE0EEES8_NS1_28merge_sort_block_sort_configILj256ELj4ELNS0_20block_sort_algorithmE0EEENS0_14default_configENS1_37merge_sort_block_sort_config_selectorIisEENS1_38merge_sort_block_merge_config_selectorIisEEEEvv
; %bb.0:
	s_endpgm
	.section	.rodata,"a",@progbits
	.p2align	6, 0x0
	.amdhsa_kernel _ZN7rocprim17ROCPRIM_400000_NS6detail44device_merge_sort_compile_time_verifier_archINS1_11comp_targetILNS1_3genE10ELNS1_11target_archE1201ELNS1_3gpuE5ELNS1_3repE0EEES8_NS1_28merge_sort_block_sort_configILj256ELj4ELNS0_20block_sort_algorithmE0EEENS0_14default_configENS1_37merge_sort_block_sort_config_selectorIisEENS1_38merge_sort_block_merge_config_selectorIisEEEEvv
		.amdhsa_group_segment_fixed_size 0
		.amdhsa_private_segment_fixed_size 0
		.amdhsa_kernarg_size 0
		.amdhsa_user_sgpr_count 0
		.amdhsa_user_sgpr_dispatch_ptr 0
		.amdhsa_user_sgpr_queue_ptr 0
		.amdhsa_user_sgpr_kernarg_segment_ptr 0
		.amdhsa_user_sgpr_dispatch_id 0
		.amdhsa_user_sgpr_kernarg_preload_length 0
		.amdhsa_user_sgpr_kernarg_preload_offset 0
		.amdhsa_user_sgpr_private_segment_size 0
		.amdhsa_uses_dynamic_stack 0
		.amdhsa_enable_private_segment 0
		.amdhsa_system_sgpr_workgroup_id_x 1
		.amdhsa_system_sgpr_workgroup_id_y 0
		.amdhsa_system_sgpr_workgroup_id_z 0
		.amdhsa_system_sgpr_workgroup_info 0
		.amdhsa_system_vgpr_workitem_id 0
		.amdhsa_next_free_vgpr 1
		.amdhsa_next_free_sgpr 0
		.amdhsa_accum_offset 4
		.amdhsa_reserve_vcc 0
		.amdhsa_float_round_mode_32 0
		.amdhsa_float_round_mode_16_64 0
		.amdhsa_float_denorm_mode_32 3
		.amdhsa_float_denorm_mode_16_64 3
		.amdhsa_dx10_clamp 1
		.amdhsa_ieee_mode 1
		.amdhsa_fp16_overflow 0
		.amdhsa_tg_split 0
		.amdhsa_exception_fp_ieee_invalid_op 0
		.amdhsa_exception_fp_denorm_src 0
		.amdhsa_exception_fp_ieee_div_zero 0
		.amdhsa_exception_fp_ieee_overflow 0
		.amdhsa_exception_fp_ieee_underflow 0
		.amdhsa_exception_fp_ieee_inexact 0
		.amdhsa_exception_int_div_zero 0
	.end_amdhsa_kernel
	.section	.text._ZN7rocprim17ROCPRIM_400000_NS6detail44device_merge_sort_compile_time_verifier_archINS1_11comp_targetILNS1_3genE10ELNS1_11target_archE1201ELNS1_3gpuE5ELNS1_3repE0EEES8_NS1_28merge_sort_block_sort_configILj256ELj4ELNS0_20block_sort_algorithmE0EEENS0_14default_configENS1_37merge_sort_block_sort_config_selectorIisEENS1_38merge_sort_block_merge_config_selectorIisEEEEvv,"axG",@progbits,_ZN7rocprim17ROCPRIM_400000_NS6detail44device_merge_sort_compile_time_verifier_archINS1_11comp_targetILNS1_3genE10ELNS1_11target_archE1201ELNS1_3gpuE5ELNS1_3repE0EEES8_NS1_28merge_sort_block_sort_configILj256ELj4ELNS0_20block_sort_algorithmE0EEENS0_14default_configENS1_37merge_sort_block_sort_config_selectorIisEENS1_38merge_sort_block_merge_config_selectorIisEEEEvv,comdat
.Lfunc_end2286:
	.size	_ZN7rocprim17ROCPRIM_400000_NS6detail44device_merge_sort_compile_time_verifier_archINS1_11comp_targetILNS1_3genE10ELNS1_11target_archE1201ELNS1_3gpuE5ELNS1_3repE0EEES8_NS1_28merge_sort_block_sort_configILj256ELj4ELNS0_20block_sort_algorithmE0EEENS0_14default_configENS1_37merge_sort_block_sort_config_selectorIisEENS1_38merge_sort_block_merge_config_selectorIisEEEEvv, .Lfunc_end2286-_ZN7rocprim17ROCPRIM_400000_NS6detail44device_merge_sort_compile_time_verifier_archINS1_11comp_targetILNS1_3genE10ELNS1_11target_archE1201ELNS1_3gpuE5ELNS1_3repE0EEES8_NS1_28merge_sort_block_sort_configILj256ELj4ELNS0_20block_sort_algorithmE0EEENS0_14default_configENS1_37merge_sort_block_sort_config_selectorIisEENS1_38merge_sort_block_merge_config_selectorIisEEEEvv
                                        ; -- End function
	.set _ZN7rocprim17ROCPRIM_400000_NS6detail44device_merge_sort_compile_time_verifier_archINS1_11comp_targetILNS1_3genE10ELNS1_11target_archE1201ELNS1_3gpuE5ELNS1_3repE0EEES8_NS1_28merge_sort_block_sort_configILj256ELj4ELNS0_20block_sort_algorithmE0EEENS0_14default_configENS1_37merge_sort_block_sort_config_selectorIisEENS1_38merge_sort_block_merge_config_selectorIisEEEEvv.num_vgpr, 0
	.set _ZN7rocprim17ROCPRIM_400000_NS6detail44device_merge_sort_compile_time_verifier_archINS1_11comp_targetILNS1_3genE10ELNS1_11target_archE1201ELNS1_3gpuE5ELNS1_3repE0EEES8_NS1_28merge_sort_block_sort_configILj256ELj4ELNS0_20block_sort_algorithmE0EEENS0_14default_configENS1_37merge_sort_block_sort_config_selectorIisEENS1_38merge_sort_block_merge_config_selectorIisEEEEvv.num_agpr, 0
	.set _ZN7rocprim17ROCPRIM_400000_NS6detail44device_merge_sort_compile_time_verifier_archINS1_11comp_targetILNS1_3genE10ELNS1_11target_archE1201ELNS1_3gpuE5ELNS1_3repE0EEES8_NS1_28merge_sort_block_sort_configILj256ELj4ELNS0_20block_sort_algorithmE0EEENS0_14default_configENS1_37merge_sort_block_sort_config_selectorIisEENS1_38merge_sort_block_merge_config_selectorIisEEEEvv.numbered_sgpr, 0
	.set _ZN7rocprim17ROCPRIM_400000_NS6detail44device_merge_sort_compile_time_verifier_archINS1_11comp_targetILNS1_3genE10ELNS1_11target_archE1201ELNS1_3gpuE5ELNS1_3repE0EEES8_NS1_28merge_sort_block_sort_configILj256ELj4ELNS0_20block_sort_algorithmE0EEENS0_14default_configENS1_37merge_sort_block_sort_config_selectorIisEENS1_38merge_sort_block_merge_config_selectorIisEEEEvv.num_named_barrier, 0
	.set _ZN7rocprim17ROCPRIM_400000_NS6detail44device_merge_sort_compile_time_verifier_archINS1_11comp_targetILNS1_3genE10ELNS1_11target_archE1201ELNS1_3gpuE5ELNS1_3repE0EEES8_NS1_28merge_sort_block_sort_configILj256ELj4ELNS0_20block_sort_algorithmE0EEENS0_14default_configENS1_37merge_sort_block_sort_config_selectorIisEENS1_38merge_sort_block_merge_config_selectorIisEEEEvv.private_seg_size, 0
	.set _ZN7rocprim17ROCPRIM_400000_NS6detail44device_merge_sort_compile_time_verifier_archINS1_11comp_targetILNS1_3genE10ELNS1_11target_archE1201ELNS1_3gpuE5ELNS1_3repE0EEES8_NS1_28merge_sort_block_sort_configILj256ELj4ELNS0_20block_sort_algorithmE0EEENS0_14default_configENS1_37merge_sort_block_sort_config_selectorIisEENS1_38merge_sort_block_merge_config_selectorIisEEEEvv.uses_vcc, 0
	.set _ZN7rocprim17ROCPRIM_400000_NS6detail44device_merge_sort_compile_time_verifier_archINS1_11comp_targetILNS1_3genE10ELNS1_11target_archE1201ELNS1_3gpuE5ELNS1_3repE0EEES8_NS1_28merge_sort_block_sort_configILj256ELj4ELNS0_20block_sort_algorithmE0EEENS0_14default_configENS1_37merge_sort_block_sort_config_selectorIisEENS1_38merge_sort_block_merge_config_selectorIisEEEEvv.uses_flat_scratch, 0
	.set _ZN7rocprim17ROCPRIM_400000_NS6detail44device_merge_sort_compile_time_verifier_archINS1_11comp_targetILNS1_3genE10ELNS1_11target_archE1201ELNS1_3gpuE5ELNS1_3repE0EEES8_NS1_28merge_sort_block_sort_configILj256ELj4ELNS0_20block_sort_algorithmE0EEENS0_14default_configENS1_37merge_sort_block_sort_config_selectorIisEENS1_38merge_sort_block_merge_config_selectorIisEEEEvv.has_dyn_sized_stack, 0
	.set _ZN7rocprim17ROCPRIM_400000_NS6detail44device_merge_sort_compile_time_verifier_archINS1_11comp_targetILNS1_3genE10ELNS1_11target_archE1201ELNS1_3gpuE5ELNS1_3repE0EEES8_NS1_28merge_sort_block_sort_configILj256ELj4ELNS0_20block_sort_algorithmE0EEENS0_14default_configENS1_37merge_sort_block_sort_config_selectorIisEENS1_38merge_sort_block_merge_config_selectorIisEEEEvv.has_recursion, 0
	.set _ZN7rocprim17ROCPRIM_400000_NS6detail44device_merge_sort_compile_time_verifier_archINS1_11comp_targetILNS1_3genE10ELNS1_11target_archE1201ELNS1_3gpuE5ELNS1_3repE0EEES8_NS1_28merge_sort_block_sort_configILj256ELj4ELNS0_20block_sort_algorithmE0EEENS0_14default_configENS1_37merge_sort_block_sort_config_selectorIisEENS1_38merge_sort_block_merge_config_selectorIisEEEEvv.has_indirect_call, 0
	.section	.AMDGPU.csdata,"",@progbits
; Kernel info:
; codeLenInByte = 4
; TotalNumSgprs: 6
; NumVgprs: 0
; NumAgprs: 0
; TotalNumVgprs: 0
; ScratchSize: 0
; MemoryBound: 0
; FloatMode: 240
; IeeeMode: 1
; LDSByteSize: 0 bytes/workgroup (compile time only)
; SGPRBlocks: 0
; VGPRBlocks: 0
; NumSGPRsForWavesPerEU: 6
; NumVGPRsForWavesPerEU: 1
; AccumOffset: 4
; Occupancy: 8
; WaveLimiterHint : 0
; COMPUTE_PGM_RSRC2:SCRATCH_EN: 0
; COMPUTE_PGM_RSRC2:USER_SGPR: 0
; COMPUTE_PGM_RSRC2:TRAP_HANDLER: 0
; COMPUTE_PGM_RSRC2:TGID_X_EN: 1
; COMPUTE_PGM_RSRC2:TGID_Y_EN: 0
; COMPUTE_PGM_RSRC2:TGID_Z_EN: 0
; COMPUTE_PGM_RSRC2:TIDIG_COMP_CNT: 0
; COMPUTE_PGM_RSRC3_GFX90A:ACCUM_OFFSET: 0
; COMPUTE_PGM_RSRC3_GFX90A:TG_SPLIT: 0
	.section	.text._ZN7rocprim17ROCPRIM_400000_NS6detail44device_merge_sort_compile_time_verifier_archINS1_11comp_targetILNS1_3genE10ELNS1_11target_archE1200ELNS1_3gpuE4ELNS1_3repE0EEENS3_ILS4_10ELS5_1201ELS6_5ELS7_0EEENS1_28merge_sort_block_sort_configILj256ELj4ELNS0_20block_sort_algorithmE0EEENS0_14default_configENS1_37merge_sort_block_sort_config_selectorIisEENS1_38merge_sort_block_merge_config_selectorIisEEEEvv,"axG",@progbits,_ZN7rocprim17ROCPRIM_400000_NS6detail44device_merge_sort_compile_time_verifier_archINS1_11comp_targetILNS1_3genE10ELNS1_11target_archE1200ELNS1_3gpuE4ELNS1_3repE0EEENS3_ILS4_10ELS5_1201ELS6_5ELS7_0EEENS1_28merge_sort_block_sort_configILj256ELj4ELNS0_20block_sort_algorithmE0EEENS0_14default_configENS1_37merge_sort_block_sort_config_selectorIisEENS1_38merge_sort_block_merge_config_selectorIisEEEEvv,comdat
	.protected	_ZN7rocprim17ROCPRIM_400000_NS6detail44device_merge_sort_compile_time_verifier_archINS1_11comp_targetILNS1_3genE10ELNS1_11target_archE1200ELNS1_3gpuE4ELNS1_3repE0EEENS3_ILS4_10ELS5_1201ELS6_5ELS7_0EEENS1_28merge_sort_block_sort_configILj256ELj4ELNS0_20block_sort_algorithmE0EEENS0_14default_configENS1_37merge_sort_block_sort_config_selectorIisEENS1_38merge_sort_block_merge_config_selectorIisEEEEvv ; -- Begin function _ZN7rocprim17ROCPRIM_400000_NS6detail44device_merge_sort_compile_time_verifier_archINS1_11comp_targetILNS1_3genE10ELNS1_11target_archE1200ELNS1_3gpuE4ELNS1_3repE0EEENS3_ILS4_10ELS5_1201ELS6_5ELS7_0EEENS1_28merge_sort_block_sort_configILj256ELj4ELNS0_20block_sort_algorithmE0EEENS0_14default_configENS1_37merge_sort_block_sort_config_selectorIisEENS1_38merge_sort_block_merge_config_selectorIisEEEEvv
	.globl	_ZN7rocprim17ROCPRIM_400000_NS6detail44device_merge_sort_compile_time_verifier_archINS1_11comp_targetILNS1_3genE10ELNS1_11target_archE1200ELNS1_3gpuE4ELNS1_3repE0EEENS3_ILS4_10ELS5_1201ELS6_5ELS7_0EEENS1_28merge_sort_block_sort_configILj256ELj4ELNS0_20block_sort_algorithmE0EEENS0_14default_configENS1_37merge_sort_block_sort_config_selectorIisEENS1_38merge_sort_block_merge_config_selectorIisEEEEvv
	.p2align	8
	.type	_ZN7rocprim17ROCPRIM_400000_NS6detail44device_merge_sort_compile_time_verifier_archINS1_11comp_targetILNS1_3genE10ELNS1_11target_archE1200ELNS1_3gpuE4ELNS1_3repE0EEENS3_ILS4_10ELS5_1201ELS6_5ELS7_0EEENS1_28merge_sort_block_sort_configILj256ELj4ELNS0_20block_sort_algorithmE0EEENS0_14default_configENS1_37merge_sort_block_sort_config_selectorIisEENS1_38merge_sort_block_merge_config_selectorIisEEEEvv,@function
_ZN7rocprim17ROCPRIM_400000_NS6detail44device_merge_sort_compile_time_verifier_archINS1_11comp_targetILNS1_3genE10ELNS1_11target_archE1200ELNS1_3gpuE4ELNS1_3repE0EEENS3_ILS4_10ELS5_1201ELS6_5ELS7_0EEENS1_28merge_sort_block_sort_configILj256ELj4ELNS0_20block_sort_algorithmE0EEENS0_14default_configENS1_37merge_sort_block_sort_config_selectorIisEENS1_38merge_sort_block_merge_config_selectorIisEEEEvv: ; @_ZN7rocprim17ROCPRIM_400000_NS6detail44device_merge_sort_compile_time_verifier_archINS1_11comp_targetILNS1_3genE10ELNS1_11target_archE1200ELNS1_3gpuE4ELNS1_3repE0EEENS3_ILS4_10ELS5_1201ELS6_5ELS7_0EEENS1_28merge_sort_block_sort_configILj256ELj4ELNS0_20block_sort_algorithmE0EEENS0_14default_configENS1_37merge_sort_block_sort_config_selectorIisEENS1_38merge_sort_block_merge_config_selectorIisEEEEvv
; %bb.0:
	s_endpgm
	.section	.rodata,"a",@progbits
	.p2align	6, 0x0
	.amdhsa_kernel _ZN7rocprim17ROCPRIM_400000_NS6detail44device_merge_sort_compile_time_verifier_archINS1_11comp_targetILNS1_3genE10ELNS1_11target_archE1200ELNS1_3gpuE4ELNS1_3repE0EEENS3_ILS4_10ELS5_1201ELS6_5ELS7_0EEENS1_28merge_sort_block_sort_configILj256ELj4ELNS0_20block_sort_algorithmE0EEENS0_14default_configENS1_37merge_sort_block_sort_config_selectorIisEENS1_38merge_sort_block_merge_config_selectorIisEEEEvv
		.amdhsa_group_segment_fixed_size 0
		.amdhsa_private_segment_fixed_size 0
		.amdhsa_kernarg_size 0
		.amdhsa_user_sgpr_count 0
		.amdhsa_user_sgpr_dispatch_ptr 0
		.amdhsa_user_sgpr_queue_ptr 0
		.amdhsa_user_sgpr_kernarg_segment_ptr 0
		.amdhsa_user_sgpr_dispatch_id 0
		.amdhsa_user_sgpr_kernarg_preload_length 0
		.amdhsa_user_sgpr_kernarg_preload_offset 0
		.amdhsa_user_sgpr_private_segment_size 0
		.amdhsa_uses_dynamic_stack 0
		.amdhsa_enable_private_segment 0
		.amdhsa_system_sgpr_workgroup_id_x 1
		.amdhsa_system_sgpr_workgroup_id_y 0
		.amdhsa_system_sgpr_workgroup_id_z 0
		.amdhsa_system_sgpr_workgroup_info 0
		.amdhsa_system_vgpr_workitem_id 0
		.amdhsa_next_free_vgpr 1
		.amdhsa_next_free_sgpr 0
		.amdhsa_accum_offset 4
		.amdhsa_reserve_vcc 0
		.amdhsa_float_round_mode_32 0
		.amdhsa_float_round_mode_16_64 0
		.amdhsa_float_denorm_mode_32 3
		.amdhsa_float_denorm_mode_16_64 3
		.amdhsa_dx10_clamp 1
		.amdhsa_ieee_mode 1
		.amdhsa_fp16_overflow 0
		.amdhsa_tg_split 0
		.amdhsa_exception_fp_ieee_invalid_op 0
		.amdhsa_exception_fp_denorm_src 0
		.amdhsa_exception_fp_ieee_div_zero 0
		.amdhsa_exception_fp_ieee_overflow 0
		.amdhsa_exception_fp_ieee_underflow 0
		.amdhsa_exception_fp_ieee_inexact 0
		.amdhsa_exception_int_div_zero 0
	.end_amdhsa_kernel
	.section	.text._ZN7rocprim17ROCPRIM_400000_NS6detail44device_merge_sort_compile_time_verifier_archINS1_11comp_targetILNS1_3genE10ELNS1_11target_archE1200ELNS1_3gpuE4ELNS1_3repE0EEENS3_ILS4_10ELS5_1201ELS6_5ELS7_0EEENS1_28merge_sort_block_sort_configILj256ELj4ELNS0_20block_sort_algorithmE0EEENS0_14default_configENS1_37merge_sort_block_sort_config_selectorIisEENS1_38merge_sort_block_merge_config_selectorIisEEEEvv,"axG",@progbits,_ZN7rocprim17ROCPRIM_400000_NS6detail44device_merge_sort_compile_time_verifier_archINS1_11comp_targetILNS1_3genE10ELNS1_11target_archE1200ELNS1_3gpuE4ELNS1_3repE0EEENS3_ILS4_10ELS5_1201ELS6_5ELS7_0EEENS1_28merge_sort_block_sort_configILj256ELj4ELNS0_20block_sort_algorithmE0EEENS0_14default_configENS1_37merge_sort_block_sort_config_selectorIisEENS1_38merge_sort_block_merge_config_selectorIisEEEEvv,comdat
.Lfunc_end2287:
	.size	_ZN7rocprim17ROCPRIM_400000_NS6detail44device_merge_sort_compile_time_verifier_archINS1_11comp_targetILNS1_3genE10ELNS1_11target_archE1200ELNS1_3gpuE4ELNS1_3repE0EEENS3_ILS4_10ELS5_1201ELS6_5ELS7_0EEENS1_28merge_sort_block_sort_configILj256ELj4ELNS0_20block_sort_algorithmE0EEENS0_14default_configENS1_37merge_sort_block_sort_config_selectorIisEENS1_38merge_sort_block_merge_config_selectorIisEEEEvv, .Lfunc_end2287-_ZN7rocprim17ROCPRIM_400000_NS6detail44device_merge_sort_compile_time_verifier_archINS1_11comp_targetILNS1_3genE10ELNS1_11target_archE1200ELNS1_3gpuE4ELNS1_3repE0EEENS3_ILS4_10ELS5_1201ELS6_5ELS7_0EEENS1_28merge_sort_block_sort_configILj256ELj4ELNS0_20block_sort_algorithmE0EEENS0_14default_configENS1_37merge_sort_block_sort_config_selectorIisEENS1_38merge_sort_block_merge_config_selectorIisEEEEvv
                                        ; -- End function
	.set _ZN7rocprim17ROCPRIM_400000_NS6detail44device_merge_sort_compile_time_verifier_archINS1_11comp_targetILNS1_3genE10ELNS1_11target_archE1200ELNS1_3gpuE4ELNS1_3repE0EEENS3_ILS4_10ELS5_1201ELS6_5ELS7_0EEENS1_28merge_sort_block_sort_configILj256ELj4ELNS0_20block_sort_algorithmE0EEENS0_14default_configENS1_37merge_sort_block_sort_config_selectorIisEENS1_38merge_sort_block_merge_config_selectorIisEEEEvv.num_vgpr, 0
	.set _ZN7rocprim17ROCPRIM_400000_NS6detail44device_merge_sort_compile_time_verifier_archINS1_11comp_targetILNS1_3genE10ELNS1_11target_archE1200ELNS1_3gpuE4ELNS1_3repE0EEENS3_ILS4_10ELS5_1201ELS6_5ELS7_0EEENS1_28merge_sort_block_sort_configILj256ELj4ELNS0_20block_sort_algorithmE0EEENS0_14default_configENS1_37merge_sort_block_sort_config_selectorIisEENS1_38merge_sort_block_merge_config_selectorIisEEEEvv.num_agpr, 0
	.set _ZN7rocprim17ROCPRIM_400000_NS6detail44device_merge_sort_compile_time_verifier_archINS1_11comp_targetILNS1_3genE10ELNS1_11target_archE1200ELNS1_3gpuE4ELNS1_3repE0EEENS3_ILS4_10ELS5_1201ELS6_5ELS7_0EEENS1_28merge_sort_block_sort_configILj256ELj4ELNS0_20block_sort_algorithmE0EEENS0_14default_configENS1_37merge_sort_block_sort_config_selectorIisEENS1_38merge_sort_block_merge_config_selectorIisEEEEvv.numbered_sgpr, 0
	.set _ZN7rocprim17ROCPRIM_400000_NS6detail44device_merge_sort_compile_time_verifier_archINS1_11comp_targetILNS1_3genE10ELNS1_11target_archE1200ELNS1_3gpuE4ELNS1_3repE0EEENS3_ILS4_10ELS5_1201ELS6_5ELS7_0EEENS1_28merge_sort_block_sort_configILj256ELj4ELNS0_20block_sort_algorithmE0EEENS0_14default_configENS1_37merge_sort_block_sort_config_selectorIisEENS1_38merge_sort_block_merge_config_selectorIisEEEEvv.num_named_barrier, 0
	.set _ZN7rocprim17ROCPRIM_400000_NS6detail44device_merge_sort_compile_time_verifier_archINS1_11comp_targetILNS1_3genE10ELNS1_11target_archE1200ELNS1_3gpuE4ELNS1_3repE0EEENS3_ILS4_10ELS5_1201ELS6_5ELS7_0EEENS1_28merge_sort_block_sort_configILj256ELj4ELNS0_20block_sort_algorithmE0EEENS0_14default_configENS1_37merge_sort_block_sort_config_selectorIisEENS1_38merge_sort_block_merge_config_selectorIisEEEEvv.private_seg_size, 0
	.set _ZN7rocprim17ROCPRIM_400000_NS6detail44device_merge_sort_compile_time_verifier_archINS1_11comp_targetILNS1_3genE10ELNS1_11target_archE1200ELNS1_3gpuE4ELNS1_3repE0EEENS3_ILS4_10ELS5_1201ELS6_5ELS7_0EEENS1_28merge_sort_block_sort_configILj256ELj4ELNS0_20block_sort_algorithmE0EEENS0_14default_configENS1_37merge_sort_block_sort_config_selectorIisEENS1_38merge_sort_block_merge_config_selectorIisEEEEvv.uses_vcc, 0
	.set _ZN7rocprim17ROCPRIM_400000_NS6detail44device_merge_sort_compile_time_verifier_archINS1_11comp_targetILNS1_3genE10ELNS1_11target_archE1200ELNS1_3gpuE4ELNS1_3repE0EEENS3_ILS4_10ELS5_1201ELS6_5ELS7_0EEENS1_28merge_sort_block_sort_configILj256ELj4ELNS0_20block_sort_algorithmE0EEENS0_14default_configENS1_37merge_sort_block_sort_config_selectorIisEENS1_38merge_sort_block_merge_config_selectorIisEEEEvv.uses_flat_scratch, 0
	.set _ZN7rocprim17ROCPRIM_400000_NS6detail44device_merge_sort_compile_time_verifier_archINS1_11comp_targetILNS1_3genE10ELNS1_11target_archE1200ELNS1_3gpuE4ELNS1_3repE0EEENS3_ILS4_10ELS5_1201ELS6_5ELS7_0EEENS1_28merge_sort_block_sort_configILj256ELj4ELNS0_20block_sort_algorithmE0EEENS0_14default_configENS1_37merge_sort_block_sort_config_selectorIisEENS1_38merge_sort_block_merge_config_selectorIisEEEEvv.has_dyn_sized_stack, 0
	.set _ZN7rocprim17ROCPRIM_400000_NS6detail44device_merge_sort_compile_time_verifier_archINS1_11comp_targetILNS1_3genE10ELNS1_11target_archE1200ELNS1_3gpuE4ELNS1_3repE0EEENS3_ILS4_10ELS5_1201ELS6_5ELS7_0EEENS1_28merge_sort_block_sort_configILj256ELj4ELNS0_20block_sort_algorithmE0EEENS0_14default_configENS1_37merge_sort_block_sort_config_selectorIisEENS1_38merge_sort_block_merge_config_selectorIisEEEEvv.has_recursion, 0
	.set _ZN7rocprim17ROCPRIM_400000_NS6detail44device_merge_sort_compile_time_verifier_archINS1_11comp_targetILNS1_3genE10ELNS1_11target_archE1200ELNS1_3gpuE4ELNS1_3repE0EEENS3_ILS4_10ELS5_1201ELS6_5ELS7_0EEENS1_28merge_sort_block_sort_configILj256ELj4ELNS0_20block_sort_algorithmE0EEENS0_14default_configENS1_37merge_sort_block_sort_config_selectorIisEENS1_38merge_sort_block_merge_config_selectorIisEEEEvv.has_indirect_call, 0
	.section	.AMDGPU.csdata,"",@progbits
; Kernel info:
; codeLenInByte = 4
; TotalNumSgprs: 6
; NumVgprs: 0
; NumAgprs: 0
; TotalNumVgprs: 0
; ScratchSize: 0
; MemoryBound: 0
; FloatMode: 240
; IeeeMode: 1
; LDSByteSize: 0 bytes/workgroup (compile time only)
; SGPRBlocks: 0
; VGPRBlocks: 0
; NumSGPRsForWavesPerEU: 6
; NumVGPRsForWavesPerEU: 1
; AccumOffset: 4
; Occupancy: 8
; WaveLimiterHint : 0
; COMPUTE_PGM_RSRC2:SCRATCH_EN: 0
; COMPUTE_PGM_RSRC2:USER_SGPR: 0
; COMPUTE_PGM_RSRC2:TRAP_HANDLER: 0
; COMPUTE_PGM_RSRC2:TGID_X_EN: 1
; COMPUTE_PGM_RSRC2:TGID_Y_EN: 0
; COMPUTE_PGM_RSRC2:TGID_Z_EN: 0
; COMPUTE_PGM_RSRC2:TIDIG_COMP_CNT: 0
; COMPUTE_PGM_RSRC3_GFX90A:ACCUM_OFFSET: 0
; COMPUTE_PGM_RSRC3_GFX90A:TG_SPLIT: 0
	.section	.text._ZN7rocprim17ROCPRIM_400000_NS6detail44device_merge_sort_compile_time_verifier_archINS1_11comp_targetILNS1_3genE9ELNS1_11target_archE1100ELNS1_3gpuE3ELNS1_3repE0EEES8_NS1_28merge_sort_block_sort_configILj256ELj4ELNS0_20block_sort_algorithmE0EEENS0_14default_configENS1_37merge_sort_block_sort_config_selectorIisEENS1_38merge_sort_block_merge_config_selectorIisEEEEvv,"axG",@progbits,_ZN7rocprim17ROCPRIM_400000_NS6detail44device_merge_sort_compile_time_verifier_archINS1_11comp_targetILNS1_3genE9ELNS1_11target_archE1100ELNS1_3gpuE3ELNS1_3repE0EEES8_NS1_28merge_sort_block_sort_configILj256ELj4ELNS0_20block_sort_algorithmE0EEENS0_14default_configENS1_37merge_sort_block_sort_config_selectorIisEENS1_38merge_sort_block_merge_config_selectorIisEEEEvv,comdat
	.protected	_ZN7rocprim17ROCPRIM_400000_NS6detail44device_merge_sort_compile_time_verifier_archINS1_11comp_targetILNS1_3genE9ELNS1_11target_archE1100ELNS1_3gpuE3ELNS1_3repE0EEES8_NS1_28merge_sort_block_sort_configILj256ELj4ELNS0_20block_sort_algorithmE0EEENS0_14default_configENS1_37merge_sort_block_sort_config_selectorIisEENS1_38merge_sort_block_merge_config_selectorIisEEEEvv ; -- Begin function _ZN7rocprim17ROCPRIM_400000_NS6detail44device_merge_sort_compile_time_verifier_archINS1_11comp_targetILNS1_3genE9ELNS1_11target_archE1100ELNS1_3gpuE3ELNS1_3repE0EEES8_NS1_28merge_sort_block_sort_configILj256ELj4ELNS0_20block_sort_algorithmE0EEENS0_14default_configENS1_37merge_sort_block_sort_config_selectorIisEENS1_38merge_sort_block_merge_config_selectorIisEEEEvv
	.globl	_ZN7rocprim17ROCPRIM_400000_NS6detail44device_merge_sort_compile_time_verifier_archINS1_11comp_targetILNS1_3genE9ELNS1_11target_archE1100ELNS1_3gpuE3ELNS1_3repE0EEES8_NS1_28merge_sort_block_sort_configILj256ELj4ELNS0_20block_sort_algorithmE0EEENS0_14default_configENS1_37merge_sort_block_sort_config_selectorIisEENS1_38merge_sort_block_merge_config_selectorIisEEEEvv
	.p2align	8
	.type	_ZN7rocprim17ROCPRIM_400000_NS6detail44device_merge_sort_compile_time_verifier_archINS1_11comp_targetILNS1_3genE9ELNS1_11target_archE1100ELNS1_3gpuE3ELNS1_3repE0EEES8_NS1_28merge_sort_block_sort_configILj256ELj4ELNS0_20block_sort_algorithmE0EEENS0_14default_configENS1_37merge_sort_block_sort_config_selectorIisEENS1_38merge_sort_block_merge_config_selectorIisEEEEvv,@function
_ZN7rocprim17ROCPRIM_400000_NS6detail44device_merge_sort_compile_time_verifier_archINS1_11comp_targetILNS1_3genE9ELNS1_11target_archE1100ELNS1_3gpuE3ELNS1_3repE0EEES8_NS1_28merge_sort_block_sort_configILj256ELj4ELNS0_20block_sort_algorithmE0EEENS0_14default_configENS1_37merge_sort_block_sort_config_selectorIisEENS1_38merge_sort_block_merge_config_selectorIisEEEEvv: ; @_ZN7rocprim17ROCPRIM_400000_NS6detail44device_merge_sort_compile_time_verifier_archINS1_11comp_targetILNS1_3genE9ELNS1_11target_archE1100ELNS1_3gpuE3ELNS1_3repE0EEES8_NS1_28merge_sort_block_sort_configILj256ELj4ELNS0_20block_sort_algorithmE0EEENS0_14default_configENS1_37merge_sort_block_sort_config_selectorIisEENS1_38merge_sort_block_merge_config_selectorIisEEEEvv
; %bb.0:
	s_endpgm
	.section	.rodata,"a",@progbits
	.p2align	6, 0x0
	.amdhsa_kernel _ZN7rocprim17ROCPRIM_400000_NS6detail44device_merge_sort_compile_time_verifier_archINS1_11comp_targetILNS1_3genE9ELNS1_11target_archE1100ELNS1_3gpuE3ELNS1_3repE0EEES8_NS1_28merge_sort_block_sort_configILj256ELj4ELNS0_20block_sort_algorithmE0EEENS0_14default_configENS1_37merge_sort_block_sort_config_selectorIisEENS1_38merge_sort_block_merge_config_selectorIisEEEEvv
		.amdhsa_group_segment_fixed_size 0
		.amdhsa_private_segment_fixed_size 0
		.amdhsa_kernarg_size 0
		.amdhsa_user_sgpr_count 0
		.amdhsa_user_sgpr_dispatch_ptr 0
		.amdhsa_user_sgpr_queue_ptr 0
		.amdhsa_user_sgpr_kernarg_segment_ptr 0
		.amdhsa_user_sgpr_dispatch_id 0
		.amdhsa_user_sgpr_kernarg_preload_length 0
		.amdhsa_user_sgpr_kernarg_preload_offset 0
		.amdhsa_user_sgpr_private_segment_size 0
		.amdhsa_uses_dynamic_stack 0
		.amdhsa_enable_private_segment 0
		.amdhsa_system_sgpr_workgroup_id_x 1
		.amdhsa_system_sgpr_workgroup_id_y 0
		.amdhsa_system_sgpr_workgroup_id_z 0
		.amdhsa_system_sgpr_workgroup_info 0
		.amdhsa_system_vgpr_workitem_id 0
		.amdhsa_next_free_vgpr 1
		.amdhsa_next_free_sgpr 0
		.amdhsa_accum_offset 4
		.amdhsa_reserve_vcc 0
		.amdhsa_float_round_mode_32 0
		.amdhsa_float_round_mode_16_64 0
		.amdhsa_float_denorm_mode_32 3
		.amdhsa_float_denorm_mode_16_64 3
		.amdhsa_dx10_clamp 1
		.amdhsa_ieee_mode 1
		.amdhsa_fp16_overflow 0
		.amdhsa_tg_split 0
		.amdhsa_exception_fp_ieee_invalid_op 0
		.amdhsa_exception_fp_denorm_src 0
		.amdhsa_exception_fp_ieee_div_zero 0
		.amdhsa_exception_fp_ieee_overflow 0
		.amdhsa_exception_fp_ieee_underflow 0
		.amdhsa_exception_fp_ieee_inexact 0
		.amdhsa_exception_int_div_zero 0
	.end_amdhsa_kernel
	.section	.text._ZN7rocprim17ROCPRIM_400000_NS6detail44device_merge_sort_compile_time_verifier_archINS1_11comp_targetILNS1_3genE9ELNS1_11target_archE1100ELNS1_3gpuE3ELNS1_3repE0EEES8_NS1_28merge_sort_block_sort_configILj256ELj4ELNS0_20block_sort_algorithmE0EEENS0_14default_configENS1_37merge_sort_block_sort_config_selectorIisEENS1_38merge_sort_block_merge_config_selectorIisEEEEvv,"axG",@progbits,_ZN7rocprim17ROCPRIM_400000_NS6detail44device_merge_sort_compile_time_verifier_archINS1_11comp_targetILNS1_3genE9ELNS1_11target_archE1100ELNS1_3gpuE3ELNS1_3repE0EEES8_NS1_28merge_sort_block_sort_configILj256ELj4ELNS0_20block_sort_algorithmE0EEENS0_14default_configENS1_37merge_sort_block_sort_config_selectorIisEENS1_38merge_sort_block_merge_config_selectorIisEEEEvv,comdat
.Lfunc_end2288:
	.size	_ZN7rocprim17ROCPRIM_400000_NS6detail44device_merge_sort_compile_time_verifier_archINS1_11comp_targetILNS1_3genE9ELNS1_11target_archE1100ELNS1_3gpuE3ELNS1_3repE0EEES8_NS1_28merge_sort_block_sort_configILj256ELj4ELNS0_20block_sort_algorithmE0EEENS0_14default_configENS1_37merge_sort_block_sort_config_selectorIisEENS1_38merge_sort_block_merge_config_selectorIisEEEEvv, .Lfunc_end2288-_ZN7rocprim17ROCPRIM_400000_NS6detail44device_merge_sort_compile_time_verifier_archINS1_11comp_targetILNS1_3genE9ELNS1_11target_archE1100ELNS1_3gpuE3ELNS1_3repE0EEES8_NS1_28merge_sort_block_sort_configILj256ELj4ELNS0_20block_sort_algorithmE0EEENS0_14default_configENS1_37merge_sort_block_sort_config_selectorIisEENS1_38merge_sort_block_merge_config_selectorIisEEEEvv
                                        ; -- End function
	.set _ZN7rocprim17ROCPRIM_400000_NS6detail44device_merge_sort_compile_time_verifier_archINS1_11comp_targetILNS1_3genE9ELNS1_11target_archE1100ELNS1_3gpuE3ELNS1_3repE0EEES8_NS1_28merge_sort_block_sort_configILj256ELj4ELNS0_20block_sort_algorithmE0EEENS0_14default_configENS1_37merge_sort_block_sort_config_selectorIisEENS1_38merge_sort_block_merge_config_selectorIisEEEEvv.num_vgpr, 0
	.set _ZN7rocprim17ROCPRIM_400000_NS6detail44device_merge_sort_compile_time_verifier_archINS1_11comp_targetILNS1_3genE9ELNS1_11target_archE1100ELNS1_3gpuE3ELNS1_3repE0EEES8_NS1_28merge_sort_block_sort_configILj256ELj4ELNS0_20block_sort_algorithmE0EEENS0_14default_configENS1_37merge_sort_block_sort_config_selectorIisEENS1_38merge_sort_block_merge_config_selectorIisEEEEvv.num_agpr, 0
	.set _ZN7rocprim17ROCPRIM_400000_NS6detail44device_merge_sort_compile_time_verifier_archINS1_11comp_targetILNS1_3genE9ELNS1_11target_archE1100ELNS1_3gpuE3ELNS1_3repE0EEES8_NS1_28merge_sort_block_sort_configILj256ELj4ELNS0_20block_sort_algorithmE0EEENS0_14default_configENS1_37merge_sort_block_sort_config_selectorIisEENS1_38merge_sort_block_merge_config_selectorIisEEEEvv.numbered_sgpr, 0
	.set _ZN7rocprim17ROCPRIM_400000_NS6detail44device_merge_sort_compile_time_verifier_archINS1_11comp_targetILNS1_3genE9ELNS1_11target_archE1100ELNS1_3gpuE3ELNS1_3repE0EEES8_NS1_28merge_sort_block_sort_configILj256ELj4ELNS0_20block_sort_algorithmE0EEENS0_14default_configENS1_37merge_sort_block_sort_config_selectorIisEENS1_38merge_sort_block_merge_config_selectorIisEEEEvv.num_named_barrier, 0
	.set _ZN7rocprim17ROCPRIM_400000_NS6detail44device_merge_sort_compile_time_verifier_archINS1_11comp_targetILNS1_3genE9ELNS1_11target_archE1100ELNS1_3gpuE3ELNS1_3repE0EEES8_NS1_28merge_sort_block_sort_configILj256ELj4ELNS0_20block_sort_algorithmE0EEENS0_14default_configENS1_37merge_sort_block_sort_config_selectorIisEENS1_38merge_sort_block_merge_config_selectorIisEEEEvv.private_seg_size, 0
	.set _ZN7rocprim17ROCPRIM_400000_NS6detail44device_merge_sort_compile_time_verifier_archINS1_11comp_targetILNS1_3genE9ELNS1_11target_archE1100ELNS1_3gpuE3ELNS1_3repE0EEES8_NS1_28merge_sort_block_sort_configILj256ELj4ELNS0_20block_sort_algorithmE0EEENS0_14default_configENS1_37merge_sort_block_sort_config_selectorIisEENS1_38merge_sort_block_merge_config_selectorIisEEEEvv.uses_vcc, 0
	.set _ZN7rocprim17ROCPRIM_400000_NS6detail44device_merge_sort_compile_time_verifier_archINS1_11comp_targetILNS1_3genE9ELNS1_11target_archE1100ELNS1_3gpuE3ELNS1_3repE0EEES8_NS1_28merge_sort_block_sort_configILj256ELj4ELNS0_20block_sort_algorithmE0EEENS0_14default_configENS1_37merge_sort_block_sort_config_selectorIisEENS1_38merge_sort_block_merge_config_selectorIisEEEEvv.uses_flat_scratch, 0
	.set _ZN7rocprim17ROCPRIM_400000_NS6detail44device_merge_sort_compile_time_verifier_archINS1_11comp_targetILNS1_3genE9ELNS1_11target_archE1100ELNS1_3gpuE3ELNS1_3repE0EEES8_NS1_28merge_sort_block_sort_configILj256ELj4ELNS0_20block_sort_algorithmE0EEENS0_14default_configENS1_37merge_sort_block_sort_config_selectorIisEENS1_38merge_sort_block_merge_config_selectorIisEEEEvv.has_dyn_sized_stack, 0
	.set _ZN7rocprim17ROCPRIM_400000_NS6detail44device_merge_sort_compile_time_verifier_archINS1_11comp_targetILNS1_3genE9ELNS1_11target_archE1100ELNS1_3gpuE3ELNS1_3repE0EEES8_NS1_28merge_sort_block_sort_configILj256ELj4ELNS0_20block_sort_algorithmE0EEENS0_14default_configENS1_37merge_sort_block_sort_config_selectorIisEENS1_38merge_sort_block_merge_config_selectorIisEEEEvv.has_recursion, 0
	.set _ZN7rocprim17ROCPRIM_400000_NS6detail44device_merge_sort_compile_time_verifier_archINS1_11comp_targetILNS1_3genE9ELNS1_11target_archE1100ELNS1_3gpuE3ELNS1_3repE0EEES8_NS1_28merge_sort_block_sort_configILj256ELj4ELNS0_20block_sort_algorithmE0EEENS0_14default_configENS1_37merge_sort_block_sort_config_selectorIisEENS1_38merge_sort_block_merge_config_selectorIisEEEEvv.has_indirect_call, 0
	.section	.AMDGPU.csdata,"",@progbits
; Kernel info:
; codeLenInByte = 4
; TotalNumSgprs: 6
; NumVgprs: 0
; NumAgprs: 0
; TotalNumVgprs: 0
; ScratchSize: 0
; MemoryBound: 0
; FloatMode: 240
; IeeeMode: 1
; LDSByteSize: 0 bytes/workgroup (compile time only)
; SGPRBlocks: 0
; VGPRBlocks: 0
; NumSGPRsForWavesPerEU: 6
; NumVGPRsForWavesPerEU: 1
; AccumOffset: 4
; Occupancy: 8
; WaveLimiterHint : 0
; COMPUTE_PGM_RSRC2:SCRATCH_EN: 0
; COMPUTE_PGM_RSRC2:USER_SGPR: 0
; COMPUTE_PGM_RSRC2:TRAP_HANDLER: 0
; COMPUTE_PGM_RSRC2:TGID_X_EN: 1
; COMPUTE_PGM_RSRC2:TGID_Y_EN: 0
; COMPUTE_PGM_RSRC2:TGID_Z_EN: 0
; COMPUTE_PGM_RSRC2:TIDIG_COMP_CNT: 0
; COMPUTE_PGM_RSRC3_GFX90A:ACCUM_OFFSET: 0
; COMPUTE_PGM_RSRC3_GFX90A:TG_SPLIT: 0
	.section	.text._ZN7rocprim17ROCPRIM_400000_NS6detail44device_merge_sort_compile_time_verifier_archINS1_11comp_targetILNS1_3genE8ELNS1_11target_archE1030ELNS1_3gpuE2ELNS1_3repE0EEES8_NS1_28merge_sort_block_sort_configILj256ELj4ELNS0_20block_sort_algorithmE0EEENS0_14default_configENS1_37merge_sort_block_sort_config_selectorIisEENS1_38merge_sort_block_merge_config_selectorIisEEEEvv,"axG",@progbits,_ZN7rocprim17ROCPRIM_400000_NS6detail44device_merge_sort_compile_time_verifier_archINS1_11comp_targetILNS1_3genE8ELNS1_11target_archE1030ELNS1_3gpuE2ELNS1_3repE0EEES8_NS1_28merge_sort_block_sort_configILj256ELj4ELNS0_20block_sort_algorithmE0EEENS0_14default_configENS1_37merge_sort_block_sort_config_selectorIisEENS1_38merge_sort_block_merge_config_selectorIisEEEEvv,comdat
	.protected	_ZN7rocprim17ROCPRIM_400000_NS6detail44device_merge_sort_compile_time_verifier_archINS1_11comp_targetILNS1_3genE8ELNS1_11target_archE1030ELNS1_3gpuE2ELNS1_3repE0EEES8_NS1_28merge_sort_block_sort_configILj256ELj4ELNS0_20block_sort_algorithmE0EEENS0_14default_configENS1_37merge_sort_block_sort_config_selectorIisEENS1_38merge_sort_block_merge_config_selectorIisEEEEvv ; -- Begin function _ZN7rocprim17ROCPRIM_400000_NS6detail44device_merge_sort_compile_time_verifier_archINS1_11comp_targetILNS1_3genE8ELNS1_11target_archE1030ELNS1_3gpuE2ELNS1_3repE0EEES8_NS1_28merge_sort_block_sort_configILj256ELj4ELNS0_20block_sort_algorithmE0EEENS0_14default_configENS1_37merge_sort_block_sort_config_selectorIisEENS1_38merge_sort_block_merge_config_selectorIisEEEEvv
	.globl	_ZN7rocprim17ROCPRIM_400000_NS6detail44device_merge_sort_compile_time_verifier_archINS1_11comp_targetILNS1_3genE8ELNS1_11target_archE1030ELNS1_3gpuE2ELNS1_3repE0EEES8_NS1_28merge_sort_block_sort_configILj256ELj4ELNS0_20block_sort_algorithmE0EEENS0_14default_configENS1_37merge_sort_block_sort_config_selectorIisEENS1_38merge_sort_block_merge_config_selectorIisEEEEvv
	.p2align	8
	.type	_ZN7rocprim17ROCPRIM_400000_NS6detail44device_merge_sort_compile_time_verifier_archINS1_11comp_targetILNS1_3genE8ELNS1_11target_archE1030ELNS1_3gpuE2ELNS1_3repE0EEES8_NS1_28merge_sort_block_sort_configILj256ELj4ELNS0_20block_sort_algorithmE0EEENS0_14default_configENS1_37merge_sort_block_sort_config_selectorIisEENS1_38merge_sort_block_merge_config_selectorIisEEEEvv,@function
_ZN7rocprim17ROCPRIM_400000_NS6detail44device_merge_sort_compile_time_verifier_archINS1_11comp_targetILNS1_3genE8ELNS1_11target_archE1030ELNS1_3gpuE2ELNS1_3repE0EEES8_NS1_28merge_sort_block_sort_configILj256ELj4ELNS0_20block_sort_algorithmE0EEENS0_14default_configENS1_37merge_sort_block_sort_config_selectorIisEENS1_38merge_sort_block_merge_config_selectorIisEEEEvv: ; @_ZN7rocprim17ROCPRIM_400000_NS6detail44device_merge_sort_compile_time_verifier_archINS1_11comp_targetILNS1_3genE8ELNS1_11target_archE1030ELNS1_3gpuE2ELNS1_3repE0EEES8_NS1_28merge_sort_block_sort_configILj256ELj4ELNS0_20block_sort_algorithmE0EEENS0_14default_configENS1_37merge_sort_block_sort_config_selectorIisEENS1_38merge_sort_block_merge_config_selectorIisEEEEvv
; %bb.0:
	s_endpgm
	.section	.rodata,"a",@progbits
	.p2align	6, 0x0
	.amdhsa_kernel _ZN7rocprim17ROCPRIM_400000_NS6detail44device_merge_sort_compile_time_verifier_archINS1_11comp_targetILNS1_3genE8ELNS1_11target_archE1030ELNS1_3gpuE2ELNS1_3repE0EEES8_NS1_28merge_sort_block_sort_configILj256ELj4ELNS0_20block_sort_algorithmE0EEENS0_14default_configENS1_37merge_sort_block_sort_config_selectorIisEENS1_38merge_sort_block_merge_config_selectorIisEEEEvv
		.amdhsa_group_segment_fixed_size 0
		.amdhsa_private_segment_fixed_size 0
		.amdhsa_kernarg_size 0
		.amdhsa_user_sgpr_count 0
		.amdhsa_user_sgpr_dispatch_ptr 0
		.amdhsa_user_sgpr_queue_ptr 0
		.amdhsa_user_sgpr_kernarg_segment_ptr 0
		.amdhsa_user_sgpr_dispatch_id 0
		.amdhsa_user_sgpr_kernarg_preload_length 0
		.amdhsa_user_sgpr_kernarg_preload_offset 0
		.amdhsa_user_sgpr_private_segment_size 0
		.amdhsa_uses_dynamic_stack 0
		.amdhsa_enable_private_segment 0
		.amdhsa_system_sgpr_workgroup_id_x 1
		.amdhsa_system_sgpr_workgroup_id_y 0
		.amdhsa_system_sgpr_workgroup_id_z 0
		.amdhsa_system_sgpr_workgroup_info 0
		.amdhsa_system_vgpr_workitem_id 0
		.amdhsa_next_free_vgpr 1
		.amdhsa_next_free_sgpr 0
		.amdhsa_accum_offset 4
		.amdhsa_reserve_vcc 0
		.amdhsa_float_round_mode_32 0
		.amdhsa_float_round_mode_16_64 0
		.amdhsa_float_denorm_mode_32 3
		.amdhsa_float_denorm_mode_16_64 3
		.amdhsa_dx10_clamp 1
		.amdhsa_ieee_mode 1
		.amdhsa_fp16_overflow 0
		.amdhsa_tg_split 0
		.amdhsa_exception_fp_ieee_invalid_op 0
		.amdhsa_exception_fp_denorm_src 0
		.amdhsa_exception_fp_ieee_div_zero 0
		.amdhsa_exception_fp_ieee_overflow 0
		.amdhsa_exception_fp_ieee_underflow 0
		.amdhsa_exception_fp_ieee_inexact 0
		.amdhsa_exception_int_div_zero 0
	.end_amdhsa_kernel
	.section	.text._ZN7rocprim17ROCPRIM_400000_NS6detail44device_merge_sort_compile_time_verifier_archINS1_11comp_targetILNS1_3genE8ELNS1_11target_archE1030ELNS1_3gpuE2ELNS1_3repE0EEES8_NS1_28merge_sort_block_sort_configILj256ELj4ELNS0_20block_sort_algorithmE0EEENS0_14default_configENS1_37merge_sort_block_sort_config_selectorIisEENS1_38merge_sort_block_merge_config_selectorIisEEEEvv,"axG",@progbits,_ZN7rocprim17ROCPRIM_400000_NS6detail44device_merge_sort_compile_time_verifier_archINS1_11comp_targetILNS1_3genE8ELNS1_11target_archE1030ELNS1_3gpuE2ELNS1_3repE0EEES8_NS1_28merge_sort_block_sort_configILj256ELj4ELNS0_20block_sort_algorithmE0EEENS0_14default_configENS1_37merge_sort_block_sort_config_selectorIisEENS1_38merge_sort_block_merge_config_selectorIisEEEEvv,comdat
.Lfunc_end2289:
	.size	_ZN7rocprim17ROCPRIM_400000_NS6detail44device_merge_sort_compile_time_verifier_archINS1_11comp_targetILNS1_3genE8ELNS1_11target_archE1030ELNS1_3gpuE2ELNS1_3repE0EEES8_NS1_28merge_sort_block_sort_configILj256ELj4ELNS0_20block_sort_algorithmE0EEENS0_14default_configENS1_37merge_sort_block_sort_config_selectorIisEENS1_38merge_sort_block_merge_config_selectorIisEEEEvv, .Lfunc_end2289-_ZN7rocprim17ROCPRIM_400000_NS6detail44device_merge_sort_compile_time_verifier_archINS1_11comp_targetILNS1_3genE8ELNS1_11target_archE1030ELNS1_3gpuE2ELNS1_3repE0EEES8_NS1_28merge_sort_block_sort_configILj256ELj4ELNS0_20block_sort_algorithmE0EEENS0_14default_configENS1_37merge_sort_block_sort_config_selectorIisEENS1_38merge_sort_block_merge_config_selectorIisEEEEvv
                                        ; -- End function
	.set _ZN7rocprim17ROCPRIM_400000_NS6detail44device_merge_sort_compile_time_verifier_archINS1_11comp_targetILNS1_3genE8ELNS1_11target_archE1030ELNS1_3gpuE2ELNS1_3repE0EEES8_NS1_28merge_sort_block_sort_configILj256ELj4ELNS0_20block_sort_algorithmE0EEENS0_14default_configENS1_37merge_sort_block_sort_config_selectorIisEENS1_38merge_sort_block_merge_config_selectorIisEEEEvv.num_vgpr, 0
	.set _ZN7rocprim17ROCPRIM_400000_NS6detail44device_merge_sort_compile_time_verifier_archINS1_11comp_targetILNS1_3genE8ELNS1_11target_archE1030ELNS1_3gpuE2ELNS1_3repE0EEES8_NS1_28merge_sort_block_sort_configILj256ELj4ELNS0_20block_sort_algorithmE0EEENS0_14default_configENS1_37merge_sort_block_sort_config_selectorIisEENS1_38merge_sort_block_merge_config_selectorIisEEEEvv.num_agpr, 0
	.set _ZN7rocprim17ROCPRIM_400000_NS6detail44device_merge_sort_compile_time_verifier_archINS1_11comp_targetILNS1_3genE8ELNS1_11target_archE1030ELNS1_3gpuE2ELNS1_3repE0EEES8_NS1_28merge_sort_block_sort_configILj256ELj4ELNS0_20block_sort_algorithmE0EEENS0_14default_configENS1_37merge_sort_block_sort_config_selectorIisEENS1_38merge_sort_block_merge_config_selectorIisEEEEvv.numbered_sgpr, 0
	.set _ZN7rocprim17ROCPRIM_400000_NS6detail44device_merge_sort_compile_time_verifier_archINS1_11comp_targetILNS1_3genE8ELNS1_11target_archE1030ELNS1_3gpuE2ELNS1_3repE0EEES8_NS1_28merge_sort_block_sort_configILj256ELj4ELNS0_20block_sort_algorithmE0EEENS0_14default_configENS1_37merge_sort_block_sort_config_selectorIisEENS1_38merge_sort_block_merge_config_selectorIisEEEEvv.num_named_barrier, 0
	.set _ZN7rocprim17ROCPRIM_400000_NS6detail44device_merge_sort_compile_time_verifier_archINS1_11comp_targetILNS1_3genE8ELNS1_11target_archE1030ELNS1_3gpuE2ELNS1_3repE0EEES8_NS1_28merge_sort_block_sort_configILj256ELj4ELNS0_20block_sort_algorithmE0EEENS0_14default_configENS1_37merge_sort_block_sort_config_selectorIisEENS1_38merge_sort_block_merge_config_selectorIisEEEEvv.private_seg_size, 0
	.set _ZN7rocprim17ROCPRIM_400000_NS6detail44device_merge_sort_compile_time_verifier_archINS1_11comp_targetILNS1_3genE8ELNS1_11target_archE1030ELNS1_3gpuE2ELNS1_3repE0EEES8_NS1_28merge_sort_block_sort_configILj256ELj4ELNS0_20block_sort_algorithmE0EEENS0_14default_configENS1_37merge_sort_block_sort_config_selectorIisEENS1_38merge_sort_block_merge_config_selectorIisEEEEvv.uses_vcc, 0
	.set _ZN7rocprim17ROCPRIM_400000_NS6detail44device_merge_sort_compile_time_verifier_archINS1_11comp_targetILNS1_3genE8ELNS1_11target_archE1030ELNS1_3gpuE2ELNS1_3repE0EEES8_NS1_28merge_sort_block_sort_configILj256ELj4ELNS0_20block_sort_algorithmE0EEENS0_14default_configENS1_37merge_sort_block_sort_config_selectorIisEENS1_38merge_sort_block_merge_config_selectorIisEEEEvv.uses_flat_scratch, 0
	.set _ZN7rocprim17ROCPRIM_400000_NS6detail44device_merge_sort_compile_time_verifier_archINS1_11comp_targetILNS1_3genE8ELNS1_11target_archE1030ELNS1_3gpuE2ELNS1_3repE0EEES8_NS1_28merge_sort_block_sort_configILj256ELj4ELNS0_20block_sort_algorithmE0EEENS0_14default_configENS1_37merge_sort_block_sort_config_selectorIisEENS1_38merge_sort_block_merge_config_selectorIisEEEEvv.has_dyn_sized_stack, 0
	.set _ZN7rocprim17ROCPRIM_400000_NS6detail44device_merge_sort_compile_time_verifier_archINS1_11comp_targetILNS1_3genE8ELNS1_11target_archE1030ELNS1_3gpuE2ELNS1_3repE0EEES8_NS1_28merge_sort_block_sort_configILj256ELj4ELNS0_20block_sort_algorithmE0EEENS0_14default_configENS1_37merge_sort_block_sort_config_selectorIisEENS1_38merge_sort_block_merge_config_selectorIisEEEEvv.has_recursion, 0
	.set _ZN7rocprim17ROCPRIM_400000_NS6detail44device_merge_sort_compile_time_verifier_archINS1_11comp_targetILNS1_3genE8ELNS1_11target_archE1030ELNS1_3gpuE2ELNS1_3repE0EEES8_NS1_28merge_sort_block_sort_configILj256ELj4ELNS0_20block_sort_algorithmE0EEENS0_14default_configENS1_37merge_sort_block_sort_config_selectorIisEENS1_38merge_sort_block_merge_config_selectorIisEEEEvv.has_indirect_call, 0
	.section	.AMDGPU.csdata,"",@progbits
; Kernel info:
; codeLenInByte = 4
; TotalNumSgprs: 6
; NumVgprs: 0
; NumAgprs: 0
; TotalNumVgprs: 0
; ScratchSize: 0
; MemoryBound: 0
; FloatMode: 240
; IeeeMode: 1
; LDSByteSize: 0 bytes/workgroup (compile time only)
; SGPRBlocks: 0
; VGPRBlocks: 0
; NumSGPRsForWavesPerEU: 6
; NumVGPRsForWavesPerEU: 1
; AccumOffset: 4
; Occupancy: 8
; WaveLimiterHint : 0
; COMPUTE_PGM_RSRC2:SCRATCH_EN: 0
; COMPUTE_PGM_RSRC2:USER_SGPR: 0
; COMPUTE_PGM_RSRC2:TRAP_HANDLER: 0
; COMPUTE_PGM_RSRC2:TGID_X_EN: 1
; COMPUTE_PGM_RSRC2:TGID_Y_EN: 0
; COMPUTE_PGM_RSRC2:TGID_Z_EN: 0
; COMPUTE_PGM_RSRC2:TIDIG_COMP_CNT: 0
; COMPUTE_PGM_RSRC3_GFX90A:ACCUM_OFFSET: 0
; COMPUTE_PGM_RSRC3_GFX90A:TG_SPLIT: 0
	.section	.text._ZN7rocprim17ROCPRIM_400000_NS6detail17trampoline_kernelINS0_14default_configENS1_38merge_sort_block_merge_config_selectorIisEEZZNS1_27merge_sort_block_merge_implIS3_N6thrust23THRUST_200600_302600_NS10device_ptrIiEENS9_IsEEjNS1_19radix_merge_compareILb0ELb0EiNS0_19identity_decomposerEEEEE10hipError_tT0_T1_T2_jT3_P12ihipStream_tbPNSt15iterator_traitsISG_E10value_typeEPNSM_ISH_E10value_typeEPSI_NS1_7vsmem_tEENKUlT_SG_SH_SI_E_clIPiSA_PsSB_EESF_SV_SG_SH_SI_EUlSV_E_NS1_11comp_targetILNS1_3genE0ELNS1_11target_archE4294967295ELNS1_3gpuE0ELNS1_3repE0EEENS1_48merge_mergepath_partition_config_static_selectorELNS0_4arch9wavefront6targetE1EEEvSH_,"axG",@progbits,_ZN7rocprim17ROCPRIM_400000_NS6detail17trampoline_kernelINS0_14default_configENS1_38merge_sort_block_merge_config_selectorIisEEZZNS1_27merge_sort_block_merge_implIS3_N6thrust23THRUST_200600_302600_NS10device_ptrIiEENS9_IsEEjNS1_19radix_merge_compareILb0ELb0EiNS0_19identity_decomposerEEEEE10hipError_tT0_T1_T2_jT3_P12ihipStream_tbPNSt15iterator_traitsISG_E10value_typeEPNSM_ISH_E10value_typeEPSI_NS1_7vsmem_tEENKUlT_SG_SH_SI_E_clIPiSA_PsSB_EESF_SV_SG_SH_SI_EUlSV_E_NS1_11comp_targetILNS1_3genE0ELNS1_11target_archE4294967295ELNS1_3gpuE0ELNS1_3repE0EEENS1_48merge_mergepath_partition_config_static_selectorELNS0_4arch9wavefront6targetE1EEEvSH_,comdat
	.protected	_ZN7rocprim17ROCPRIM_400000_NS6detail17trampoline_kernelINS0_14default_configENS1_38merge_sort_block_merge_config_selectorIisEEZZNS1_27merge_sort_block_merge_implIS3_N6thrust23THRUST_200600_302600_NS10device_ptrIiEENS9_IsEEjNS1_19radix_merge_compareILb0ELb0EiNS0_19identity_decomposerEEEEE10hipError_tT0_T1_T2_jT3_P12ihipStream_tbPNSt15iterator_traitsISG_E10value_typeEPNSM_ISH_E10value_typeEPSI_NS1_7vsmem_tEENKUlT_SG_SH_SI_E_clIPiSA_PsSB_EESF_SV_SG_SH_SI_EUlSV_E_NS1_11comp_targetILNS1_3genE0ELNS1_11target_archE4294967295ELNS1_3gpuE0ELNS1_3repE0EEENS1_48merge_mergepath_partition_config_static_selectorELNS0_4arch9wavefront6targetE1EEEvSH_ ; -- Begin function _ZN7rocprim17ROCPRIM_400000_NS6detail17trampoline_kernelINS0_14default_configENS1_38merge_sort_block_merge_config_selectorIisEEZZNS1_27merge_sort_block_merge_implIS3_N6thrust23THRUST_200600_302600_NS10device_ptrIiEENS9_IsEEjNS1_19radix_merge_compareILb0ELb0EiNS0_19identity_decomposerEEEEE10hipError_tT0_T1_T2_jT3_P12ihipStream_tbPNSt15iterator_traitsISG_E10value_typeEPNSM_ISH_E10value_typeEPSI_NS1_7vsmem_tEENKUlT_SG_SH_SI_E_clIPiSA_PsSB_EESF_SV_SG_SH_SI_EUlSV_E_NS1_11comp_targetILNS1_3genE0ELNS1_11target_archE4294967295ELNS1_3gpuE0ELNS1_3repE0EEENS1_48merge_mergepath_partition_config_static_selectorELNS0_4arch9wavefront6targetE1EEEvSH_
	.globl	_ZN7rocprim17ROCPRIM_400000_NS6detail17trampoline_kernelINS0_14default_configENS1_38merge_sort_block_merge_config_selectorIisEEZZNS1_27merge_sort_block_merge_implIS3_N6thrust23THRUST_200600_302600_NS10device_ptrIiEENS9_IsEEjNS1_19radix_merge_compareILb0ELb0EiNS0_19identity_decomposerEEEEE10hipError_tT0_T1_T2_jT3_P12ihipStream_tbPNSt15iterator_traitsISG_E10value_typeEPNSM_ISH_E10value_typeEPSI_NS1_7vsmem_tEENKUlT_SG_SH_SI_E_clIPiSA_PsSB_EESF_SV_SG_SH_SI_EUlSV_E_NS1_11comp_targetILNS1_3genE0ELNS1_11target_archE4294967295ELNS1_3gpuE0ELNS1_3repE0EEENS1_48merge_mergepath_partition_config_static_selectorELNS0_4arch9wavefront6targetE1EEEvSH_
	.p2align	8
	.type	_ZN7rocprim17ROCPRIM_400000_NS6detail17trampoline_kernelINS0_14default_configENS1_38merge_sort_block_merge_config_selectorIisEEZZNS1_27merge_sort_block_merge_implIS3_N6thrust23THRUST_200600_302600_NS10device_ptrIiEENS9_IsEEjNS1_19radix_merge_compareILb0ELb0EiNS0_19identity_decomposerEEEEE10hipError_tT0_T1_T2_jT3_P12ihipStream_tbPNSt15iterator_traitsISG_E10value_typeEPNSM_ISH_E10value_typeEPSI_NS1_7vsmem_tEENKUlT_SG_SH_SI_E_clIPiSA_PsSB_EESF_SV_SG_SH_SI_EUlSV_E_NS1_11comp_targetILNS1_3genE0ELNS1_11target_archE4294967295ELNS1_3gpuE0ELNS1_3repE0EEENS1_48merge_mergepath_partition_config_static_selectorELNS0_4arch9wavefront6targetE1EEEvSH_,@function
_ZN7rocprim17ROCPRIM_400000_NS6detail17trampoline_kernelINS0_14default_configENS1_38merge_sort_block_merge_config_selectorIisEEZZNS1_27merge_sort_block_merge_implIS3_N6thrust23THRUST_200600_302600_NS10device_ptrIiEENS9_IsEEjNS1_19radix_merge_compareILb0ELb0EiNS0_19identity_decomposerEEEEE10hipError_tT0_T1_T2_jT3_P12ihipStream_tbPNSt15iterator_traitsISG_E10value_typeEPNSM_ISH_E10value_typeEPSI_NS1_7vsmem_tEENKUlT_SG_SH_SI_E_clIPiSA_PsSB_EESF_SV_SG_SH_SI_EUlSV_E_NS1_11comp_targetILNS1_3genE0ELNS1_11target_archE4294967295ELNS1_3gpuE0ELNS1_3repE0EEENS1_48merge_mergepath_partition_config_static_selectorELNS0_4arch9wavefront6targetE1EEEvSH_: ; @_ZN7rocprim17ROCPRIM_400000_NS6detail17trampoline_kernelINS0_14default_configENS1_38merge_sort_block_merge_config_selectorIisEEZZNS1_27merge_sort_block_merge_implIS3_N6thrust23THRUST_200600_302600_NS10device_ptrIiEENS9_IsEEjNS1_19radix_merge_compareILb0ELb0EiNS0_19identity_decomposerEEEEE10hipError_tT0_T1_T2_jT3_P12ihipStream_tbPNSt15iterator_traitsISG_E10value_typeEPNSM_ISH_E10value_typeEPSI_NS1_7vsmem_tEENKUlT_SG_SH_SI_E_clIPiSA_PsSB_EESF_SV_SG_SH_SI_EUlSV_E_NS1_11comp_targetILNS1_3genE0ELNS1_11target_archE4294967295ELNS1_3gpuE0ELNS1_3repE0EEENS1_48merge_mergepath_partition_config_static_selectorELNS0_4arch9wavefront6targetE1EEEvSH_
; %bb.0:
	s_load_dword s3, s[0:1], 0x0
	v_lshl_or_b32 v0, s2, 7, v0
	s_waitcnt lgkmcnt(0)
	v_cmp_gt_u32_e32 vcc, s3, v0
	s_and_saveexec_b64 s[2:3], vcc
	s_cbranch_execz .LBB2290_6
; %bb.1:
	s_load_dwordx2 s[4:5], s[0:1], 0x4
	s_load_dwordx2 s[2:3], s[0:1], 0x20
	s_waitcnt lgkmcnt(0)
	s_lshr_b32 s6, s4, 9
	s_and_b32 s6, s6, 0x7ffffe
	s_add_i32 s7, s6, -1
	s_sub_i32 s6, 0, s6
	v_and_b32_e32 v1, s6, v0
	v_lshlrev_b32_e32 v1, 10, v1
	v_min_u32_e32 v2, s5, v1
	v_add_u32_e32 v1, s4, v1
	v_min_u32_e32 v4, s5, v1
	v_add_u32_e32 v1, s4, v4
	v_and_b32_e32 v3, s7, v0
	v_min_u32_e32 v1, s5, v1
	v_sub_u32_e32 v5, v1, v2
	v_lshlrev_b32_e32 v3, 10, v3
	v_min_u32_e32 v10, v5, v3
	v_sub_u32_e32 v3, v4, v2
	v_sub_u32_e32 v1, v1, v4
	v_sub_u32_e64 v1, v10, v1 clamp
	v_min_u32_e32 v11, v10, v3
	v_cmp_lt_u32_e32 vcc, v1, v11
	s_and_saveexec_b64 s[4:5], vcc
	s_cbranch_execz .LBB2290_5
; %bb.2:
	s_load_dwordx2 s[0:1], s[0:1], 0x10
	v_mov_b32_e32 v5, 0
	v_mov_b32_e32 v3, v5
	s_waitcnt lgkmcnt(0)
	v_lshl_add_u64 v[6:7], v[2:3], 2, s[0:1]
	v_lshl_add_u64 v[8:9], v[4:5], 2, s[0:1]
	s_mov_b64 s[0:1], 0
.LBB2290_3:                             ; =>This Inner Loop Header: Depth=1
	v_add_u32_e32 v3, v11, v1
	v_lshrrev_b32_e32 v4, 1, v3
	v_mov_b32_e32 v13, v5
	v_xad_u32 v12, v4, -1, v10
	v_lshl_add_u64 v[14:15], v[4:5], 2, v[6:7]
	v_lshl_add_u64 v[12:13], v[12:13], 2, v[8:9]
	global_load_dword v3, v[14:15], off
	global_load_dword v16, v[12:13], off
	v_add_u32_e32 v12, 1, v4
	s_waitcnt vmcnt(0)
	v_cmp_gt_i32_e32 vcc, v3, v16
	s_nop 1
	v_cndmask_b32_e32 v11, v11, v4, vcc
	v_cndmask_b32_e32 v1, v12, v1, vcc
	v_cmp_ge_u32_e32 vcc, v1, v11
	s_or_b64 s[0:1], vcc, s[0:1]
	s_andn2_b64 exec, exec, s[0:1]
	s_cbranch_execnz .LBB2290_3
; %bb.4:
	s_or_b64 exec, exec, s[0:1]
.LBB2290_5:
	s_or_b64 exec, exec, s[4:5]
	v_add_u32_e32 v2, v1, v2
	v_mov_b32_e32 v1, 0
	v_lshl_add_u64 v[0:1], v[0:1], 2, s[2:3]
	global_store_dword v[0:1], v2, off
.LBB2290_6:
	s_endpgm
	.section	.rodata,"a",@progbits
	.p2align	6, 0x0
	.amdhsa_kernel _ZN7rocprim17ROCPRIM_400000_NS6detail17trampoline_kernelINS0_14default_configENS1_38merge_sort_block_merge_config_selectorIisEEZZNS1_27merge_sort_block_merge_implIS3_N6thrust23THRUST_200600_302600_NS10device_ptrIiEENS9_IsEEjNS1_19radix_merge_compareILb0ELb0EiNS0_19identity_decomposerEEEEE10hipError_tT0_T1_T2_jT3_P12ihipStream_tbPNSt15iterator_traitsISG_E10value_typeEPNSM_ISH_E10value_typeEPSI_NS1_7vsmem_tEENKUlT_SG_SH_SI_E_clIPiSA_PsSB_EESF_SV_SG_SH_SI_EUlSV_E_NS1_11comp_targetILNS1_3genE0ELNS1_11target_archE4294967295ELNS1_3gpuE0ELNS1_3repE0EEENS1_48merge_mergepath_partition_config_static_selectorELNS0_4arch9wavefront6targetE1EEEvSH_
		.amdhsa_group_segment_fixed_size 0
		.amdhsa_private_segment_fixed_size 0
		.amdhsa_kernarg_size 40
		.amdhsa_user_sgpr_count 2
		.amdhsa_user_sgpr_dispatch_ptr 0
		.amdhsa_user_sgpr_queue_ptr 0
		.amdhsa_user_sgpr_kernarg_segment_ptr 1
		.amdhsa_user_sgpr_dispatch_id 0
		.amdhsa_user_sgpr_kernarg_preload_length 0
		.amdhsa_user_sgpr_kernarg_preload_offset 0
		.amdhsa_user_sgpr_private_segment_size 0
		.amdhsa_uses_dynamic_stack 0
		.amdhsa_enable_private_segment 0
		.amdhsa_system_sgpr_workgroup_id_x 1
		.amdhsa_system_sgpr_workgroup_id_y 0
		.amdhsa_system_sgpr_workgroup_id_z 0
		.amdhsa_system_sgpr_workgroup_info 0
		.amdhsa_system_vgpr_workitem_id 0
		.amdhsa_next_free_vgpr 17
		.amdhsa_next_free_sgpr 8
		.amdhsa_accum_offset 20
		.amdhsa_reserve_vcc 1
		.amdhsa_float_round_mode_32 0
		.amdhsa_float_round_mode_16_64 0
		.amdhsa_float_denorm_mode_32 3
		.amdhsa_float_denorm_mode_16_64 3
		.amdhsa_dx10_clamp 1
		.amdhsa_ieee_mode 1
		.amdhsa_fp16_overflow 0
		.amdhsa_tg_split 0
		.amdhsa_exception_fp_ieee_invalid_op 0
		.amdhsa_exception_fp_denorm_src 0
		.amdhsa_exception_fp_ieee_div_zero 0
		.amdhsa_exception_fp_ieee_overflow 0
		.amdhsa_exception_fp_ieee_underflow 0
		.amdhsa_exception_fp_ieee_inexact 0
		.amdhsa_exception_int_div_zero 0
	.end_amdhsa_kernel
	.section	.text._ZN7rocprim17ROCPRIM_400000_NS6detail17trampoline_kernelINS0_14default_configENS1_38merge_sort_block_merge_config_selectorIisEEZZNS1_27merge_sort_block_merge_implIS3_N6thrust23THRUST_200600_302600_NS10device_ptrIiEENS9_IsEEjNS1_19radix_merge_compareILb0ELb0EiNS0_19identity_decomposerEEEEE10hipError_tT0_T1_T2_jT3_P12ihipStream_tbPNSt15iterator_traitsISG_E10value_typeEPNSM_ISH_E10value_typeEPSI_NS1_7vsmem_tEENKUlT_SG_SH_SI_E_clIPiSA_PsSB_EESF_SV_SG_SH_SI_EUlSV_E_NS1_11comp_targetILNS1_3genE0ELNS1_11target_archE4294967295ELNS1_3gpuE0ELNS1_3repE0EEENS1_48merge_mergepath_partition_config_static_selectorELNS0_4arch9wavefront6targetE1EEEvSH_,"axG",@progbits,_ZN7rocprim17ROCPRIM_400000_NS6detail17trampoline_kernelINS0_14default_configENS1_38merge_sort_block_merge_config_selectorIisEEZZNS1_27merge_sort_block_merge_implIS3_N6thrust23THRUST_200600_302600_NS10device_ptrIiEENS9_IsEEjNS1_19radix_merge_compareILb0ELb0EiNS0_19identity_decomposerEEEEE10hipError_tT0_T1_T2_jT3_P12ihipStream_tbPNSt15iterator_traitsISG_E10value_typeEPNSM_ISH_E10value_typeEPSI_NS1_7vsmem_tEENKUlT_SG_SH_SI_E_clIPiSA_PsSB_EESF_SV_SG_SH_SI_EUlSV_E_NS1_11comp_targetILNS1_3genE0ELNS1_11target_archE4294967295ELNS1_3gpuE0ELNS1_3repE0EEENS1_48merge_mergepath_partition_config_static_selectorELNS0_4arch9wavefront6targetE1EEEvSH_,comdat
.Lfunc_end2290:
	.size	_ZN7rocprim17ROCPRIM_400000_NS6detail17trampoline_kernelINS0_14default_configENS1_38merge_sort_block_merge_config_selectorIisEEZZNS1_27merge_sort_block_merge_implIS3_N6thrust23THRUST_200600_302600_NS10device_ptrIiEENS9_IsEEjNS1_19radix_merge_compareILb0ELb0EiNS0_19identity_decomposerEEEEE10hipError_tT0_T1_T2_jT3_P12ihipStream_tbPNSt15iterator_traitsISG_E10value_typeEPNSM_ISH_E10value_typeEPSI_NS1_7vsmem_tEENKUlT_SG_SH_SI_E_clIPiSA_PsSB_EESF_SV_SG_SH_SI_EUlSV_E_NS1_11comp_targetILNS1_3genE0ELNS1_11target_archE4294967295ELNS1_3gpuE0ELNS1_3repE0EEENS1_48merge_mergepath_partition_config_static_selectorELNS0_4arch9wavefront6targetE1EEEvSH_, .Lfunc_end2290-_ZN7rocprim17ROCPRIM_400000_NS6detail17trampoline_kernelINS0_14default_configENS1_38merge_sort_block_merge_config_selectorIisEEZZNS1_27merge_sort_block_merge_implIS3_N6thrust23THRUST_200600_302600_NS10device_ptrIiEENS9_IsEEjNS1_19radix_merge_compareILb0ELb0EiNS0_19identity_decomposerEEEEE10hipError_tT0_T1_T2_jT3_P12ihipStream_tbPNSt15iterator_traitsISG_E10value_typeEPNSM_ISH_E10value_typeEPSI_NS1_7vsmem_tEENKUlT_SG_SH_SI_E_clIPiSA_PsSB_EESF_SV_SG_SH_SI_EUlSV_E_NS1_11comp_targetILNS1_3genE0ELNS1_11target_archE4294967295ELNS1_3gpuE0ELNS1_3repE0EEENS1_48merge_mergepath_partition_config_static_selectorELNS0_4arch9wavefront6targetE1EEEvSH_
                                        ; -- End function
	.set _ZN7rocprim17ROCPRIM_400000_NS6detail17trampoline_kernelINS0_14default_configENS1_38merge_sort_block_merge_config_selectorIisEEZZNS1_27merge_sort_block_merge_implIS3_N6thrust23THRUST_200600_302600_NS10device_ptrIiEENS9_IsEEjNS1_19radix_merge_compareILb0ELb0EiNS0_19identity_decomposerEEEEE10hipError_tT0_T1_T2_jT3_P12ihipStream_tbPNSt15iterator_traitsISG_E10value_typeEPNSM_ISH_E10value_typeEPSI_NS1_7vsmem_tEENKUlT_SG_SH_SI_E_clIPiSA_PsSB_EESF_SV_SG_SH_SI_EUlSV_E_NS1_11comp_targetILNS1_3genE0ELNS1_11target_archE4294967295ELNS1_3gpuE0ELNS1_3repE0EEENS1_48merge_mergepath_partition_config_static_selectorELNS0_4arch9wavefront6targetE1EEEvSH_.num_vgpr, 17
	.set _ZN7rocprim17ROCPRIM_400000_NS6detail17trampoline_kernelINS0_14default_configENS1_38merge_sort_block_merge_config_selectorIisEEZZNS1_27merge_sort_block_merge_implIS3_N6thrust23THRUST_200600_302600_NS10device_ptrIiEENS9_IsEEjNS1_19radix_merge_compareILb0ELb0EiNS0_19identity_decomposerEEEEE10hipError_tT0_T1_T2_jT3_P12ihipStream_tbPNSt15iterator_traitsISG_E10value_typeEPNSM_ISH_E10value_typeEPSI_NS1_7vsmem_tEENKUlT_SG_SH_SI_E_clIPiSA_PsSB_EESF_SV_SG_SH_SI_EUlSV_E_NS1_11comp_targetILNS1_3genE0ELNS1_11target_archE4294967295ELNS1_3gpuE0ELNS1_3repE0EEENS1_48merge_mergepath_partition_config_static_selectorELNS0_4arch9wavefront6targetE1EEEvSH_.num_agpr, 0
	.set _ZN7rocprim17ROCPRIM_400000_NS6detail17trampoline_kernelINS0_14default_configENS1_38merge_sort_block_merge_config_selectorIisEEZZNS1_27merge_sort_block_merge_implIS3_N6thrust23THRUST_200600_302600_NS10device_ptrIiEENS9_IsEEjNS1_19radix_merge_compareILb0ELb0EiNS0_19identity_decomposerEEEEE10hipError_tT0_T1_T2_jT3_P12ihipStream_tbPNSt15iterator_traitsISG_E10value_typeEPNSM_ISH_E10value_typeEPSI_NS1_7vsmem_tEENKUlT_SG_SH_SI_E_clIPiSA_PsSB_EESF_SV_SG_SH_SI_EUlSV_E_NS1_11comp_targetILNS1_3genE0ELNS1_11target_archE4294967295ELNS1_3gpuE0ELNS1_3repE0EEENS1_48merge_mergepath_partition_config_static_selectorELNS0_4arch9wavefront6targetE1EEEvSH_.numbered_sgpr, 8
	.set _ZN7rocprim17ROCPRIM_400000_NS6detail17trampoline_kernelINS0_14default_configENS1_38merge_sort_block_merge_config_selectorIisEEZZNS1_27merge_sort_block_merge_implIS3_N6thrust23THRUST_200600_302600_NS10device_ptrIiEENS9_IsEEjNS1_19radix_merge_compareILb0ELb0EiNS0_19identity_decomposerEEEEE10hipError_tT0_T1_T2_jT3_P12ihipStream_tbPNSt15iterator_traitsISG_E10value_typeEPNSM_ISH_E10value_typeEPSI_NS1_7vsmem_tEENKUlT_SG_SH_SI_E_clIPiSA_PsSB_EESF_SV_SG_SH_SI_EUlSV_E_NS1_11comp_targetILNS1_3genE0ELNS1_11target_archE4294967295ELNS1_3gpuE0ELNS1_3repE0EEENS1_48merge_mergepath_partition_config_static_selectorELNS0_4arch9wavefront6targetE1EEEvSH_.num_named_barrier, 0
	.set _ZN7rocprim17ROCPRIM_400000_NS6detail17trampoline_kernelINS0_14default_configENS1_38merge_sort_block_merge_config_selectorIisEEZZNS1_27merge_sort_block_merge_implIS3_N6thrust23THRUST_200600_302600_NS10device_ptrIiEENS9_IsEEjNS1_19radix_merge_compareILb0ELb0EiNS0_19identity_decomposerEEEEE10hipError_tT0_T1_T2_jT3_P12ihipStream_tbPNSt15iterator_traitsISG_E10value_typeEPNSM_ISH_E10value_typeEPSI_NS1_7vsmem_tEENKUlT_SG_SH_SI_E_clIPiSA_PsSB_EESF_SV_SG_SH_SI_EUlSV_E_NS1_11comp_targetILNS1_3genE0ELNS1_11target_archE4294967295ELNS1_3gpuE0ELNS1_3repE0EEENS1_48merge_mergepath_partition_config_static_selectorELNS0_4arch9wavefront6targetE1EEEvSH_.private_seg_size, 0
	.set _ZN7rocprim17ROCPRIM_400000_NS6detail17trampoline_kernelINS0_14default_configENS1_38merge_sort_block_merge_config_selectorIisEEZZNS1_27merge_sort_block_merge_implIS3_N6thrust23THRUST_200600_302600_NS10device_ptrIiEENS9_IsEEjNS1_19radix_merge_compareILb0ELb0EiNS0_19identity_decomposerEEEEE10hipError_tT0_T1_T2_jT3_P12ihipStream_tbPNSt15iterator_traitsISG_E10value_typeEPNSM_ISH_E10value_typeEPSI_NS1_7vsmem_tEENKUlT_SG_SH_SI_E_clIPiSA_PsSB_EESF_SV_SG_SH_SI_EUlSV_E_NS1_11comp_targetILNS1_3genE0ELNS1_11target_archE4294967295ELNS1_3gpuE0ELNS1_3repE0EEENS1_48merge_mergepath_partition_config_static_selectorELNS0_4arch9wavefront6targetE1EEEvSH_.uses_vcc, 1
	.set _ZN7rocprim17ROCPRIM_400000_NS6detail17trampoline_kernelINS0_14default_configENS1_38merge_sort_block_merge_config_selectorIisEEZZNS1_27merge_sort_block_merge_implIS3_N6thrust23THRUST_200600_302600_NS10device_ptrIiEENS9_IsEEjNS1_19radix_merge_compareILb0ELb0EiNS0_19identity_decomposerEEEEE10hipError_tT0_T1_T2_jT3_P12ihipStream_tbPNSt15iterator_traitsISG_E10value_typeEPNSM_ISH_E10value_typeEPSI_NS1_7vsmem_tEENKUlT_SG_SH_SI_E_clIPiSA_PsSB_EESF_SV_SG_SH_SI_EUlSV_E_NS1_11comp_targetILNS1_3genE0ELNS1_11target_archE4294967295ELNS1_3gpuE0ELNS1_3repE0EEENS1_48merge_mergepath_partition_config_static_selectorELNS0_4arch9wavefront6targetE1EEEvSH_.uses_flat_scratch, 0
	.set _ZN7rocprim17ROCPRIM_400000_NS6detail17trampoline_kernelINS0_14default_configENS1_38merge_sort_block_merge_config_selectorIisEEZZNS1_27merge_sort_block_merge_implIS3_N6thrust23THRUST_200600_302600_NS10device_ptrIiEENS9_IsEEjNS1_19radix_merge_compareILb0ELb0EiNS0_19identity_decomposerEEEEE10hipError_tT0_T1_T2_jT3_P12ihipStream_tbPNSt15iterator_traitsISG_E10value_typeEPNSM_ISH_E10value_typeEPSI_NS1_7vsmem_tEENKUlT_SG_SH_SI_E_clIPiSA_PsSB_EESF_SV_SG_SH_SI_EUlSV_E_NS1_11comp_targetILNS1_3genE0ELNS1_11target_archE4294967295ELNS1_3gpuE0ELNS1_3repE0EEENS1_48merge_mergepath_partition_config_static_selectorELNS0_4arch9wavefront6targetE1EEEvSH_.has_dyn_sized_stack, 0
	.set _ZN7rocprim17ROCPRIM_400000_NS6detail17trampoline_kernelINS0_14default_configENS1_38merge_sort_block_merge_config_selectorIisEEZZNS1_27merge_sort_block_merge_implIS3_N6thrust23THRUST_200600_302600_NS10device_ptrIiEENS9_IsEEjNS1_19radix_merge_compareILb0ELb0EiNS0_19identity_decomposerEEEEE10hipError_tT0_T1_T2_jT3_P12ihipStream_tbPNSt15iterator_traitsISG_E10value_typeEPNSM_ISH_E10value_typeEPSI_NS1_7vsmem_tEENKUlT_SG_SH_SI_E_clIPiSA_PsSB_EESF_SV_SG_SH_SI_EUlSV_E_NS1_11comp_targetILNS1_3genE0ELNS1_11target_archE4294967295ELNS1_3gpuE0ELNS1_3repE0EEENS1_48merge_mergepath_partition_config_static_selectorELNS0_4arch9wavefront6targetE1EEEvSH_.has_recursion, 0
	.set _ZN7rocprim17ROCPRIM_400000_NS6detail17trampoline_kernelINS0_14default_configENS1_38merge_sort_block_merge_config_selectorIisEEZZNS1_27merge_sort_block_merge_implIS3_N6thrust23THRUST_200600_302600_NS10device_ptrIiEENS9_IsEEjNS1_19radix_merge_compareILb0ELb0EiNS0_19identity_decomposerEEEEE10hipError_tT0_T1_T2_jT3_P12ihipStream_tbPNSt15iterator_traitsISG_E10value_typeEPNSM_ISH_E10value_typeEPSI_NS1_7vsmem_tEENKUlT_SG_SH_SI_E_clIPiSA_PsSB_EESF_SV_SG_SH_SI_EUlSV_E_NS1_11comp_targetILNS1_3genE0ELNS1_11target_archE4294967295ELNS1_3gpuE0ELNS1_3repE0EEENS1_48merge_mergepath_partition_config_static_selectorELNS0_4arch9wavefront6targetE1EEEvSH_.has_indirect_call, 0
	.section	.AMDGPU.csdata,"",@progbits
; Kernel info:
; codeLenInByte = 316
; TotalNumSgprs: 14
; NumVgprs: 17
; NumAgprs: 0
; TotalNumVgprs: 17
; ScratchSize: 0
; MemoryBound: 0
; FloatMode: 240
; IeeeMode: 1
; LDSByteSize: 0 bytes/workgroup (compile time only)
; SGPRBlocks: 1
; VGPRBlocks: 2
; NumSGPRsForWavesPerEU: 14
; NumVGPRsForWavesPerEU: 17
; AccumOffset: 20
; Occupancy: 8
; WaveLimiterHint : 0
; COMPUTE_PGM_RSRC2:SCRATCH_EN: 0
; COMPUTE_PGM_RSRC2:USER_SGPR: 2
; COMPUTE_PGM_RSRC2:TRAP_HANDLER: 0
; COMPUTE_PGM_RSRC2:TGID_X_EN: 1
; COMPUTE_PGM_RSRC2:TGID_Y_EN: 0
; COMPUTE_PGM_RSRC2:TGID_Z_EN: 0
; COMPUTE_PGM_RSRC2:TIDIG_COMP_CNT: 0
; COMPUTE_PGM_RSRC3_GFX90A:ACCUM_OFFSET: 4
; COMPUTE_PGM_RSRC3_GFX90A:TG_SPLIT: 0
	.section	.text._ZN7rocprim17ROCPRIM_400000_NS6detail17trampoline_kernelINS0_14default_configENS1_38merge_sort_block_merge_config_selectorIisEEZZNS1_27merge_sort_block_merge_implIS3_N6thrust23THRUST_200600_302600_NS10device_ptrIiEENS9_IsEEjNS1_19radix_merge_compareILb0ELb0EiNS0_19identity_decomposerEEEEE10hipError_tT0_T1_T2_jT3_P12ihipStream_tbPNSt15iterator_traitsISG_E10value_typeEPNSM_ISH_E10value_typeEPSI_NS1_7vsmem_tEENKUlT_SG_SH_SI_E_clIPiSA_PsSB_EESF_SV_SG_SH_SI_EUlSV_E_NS1_11comp_targetILNS1_3genE10ELNS1_11target_archE1201ELNS1_3gpuE5ELNS1_3repE0EEENS1_48merge_mergepath_partition_config_static_selectorELNS0_4arch9wavefront6targetE1EEEvSH_,"axG",@progbits,_ZN7rocprim17ROCPRIM_400000_NS6detail17trampoline_kernelINS0_14default_configENS1_38merge_sort_block_merge_config_selectorIisEEZZNS1_27merge_sort_block_merge_implIS3_N6thrust23THRUST_200600_302600_NS10device_ptrIiEENS9_IsEEjNS1_19radix_merge_compareILb0ELb0EiNS0_19identity_decomposerEEEEE10hipError_tT0_T1_T2_jT3_P12ihipStream_tbPNSt15iterator_traitsISG_E10value_typeEPNSM_ISH_E10value_typeEPSI_NS1_7vsmem_tEENKUlT_SG_SH_SI_E_clIPiSA_PsSB_EESF_SV_SG_SH_SI_EUlSV_E_NS1_11comp_targetILNS1_3genE10ELNS1_11target_archE1201ELNS1_3gpuE5ELNS1_3repE0EEENS1_48merge_mergepath_partition_config_static_selectorELNS0_4arch9wavefront6targetE1EEEvSH_,comdat
	.protected	_ZN7rocprim17ROCPRIM_400000_NS6detail17trampoline_kernelINS0_14default_configENS1_38merge_sort_block_merge_config_selectorIisEEZZNS1_27merge_sort_block_merge_implIS3_N6thrust23THRUST_200600_302600_NS10device_ptrIiEENS9_IsEEjNS1_19radix_merge_compareILb0ELb0EiNS0_19identity_decomposerEEEEE10hipError_tT0_T1_T2_jT3_P12ihipStream_tbPNSt15iterator_traitsISG_E10value_typeEPNSM_ISH_E10value_typeEPSI_NS1_7vsmem_tEENKUlT_SG_SH_SI_E_clIPiSA_PsSB_EESF_SV_SG_SH_SI_EUlSV_E_NS1_11comp_targetILNS1_3genE10ELNS1_11target_archE1201ELNS1_3gpuE5ELNS1_3repE0EEENS1_48merge_mergepath_partition_config_static_selectorELNS0_4arch9wavefront6targetE1EEEvSH_ ; -- Begin function _ZN7rocprim17ROCPRIM_400000_NS6detail17trampoline_kernelINS0_14default_configENS1_38merge_sort_block_merge_config_selectorIisEEZZNS1_27merge_sort_block_merge_implIS3_N6thrust23THRUST_200600_302600_NS10device_ptrIiEENS9_IsEEjNS1_19radix_merge_compareILb0ELb0EiNS0_19identity_decomposerEEEEE10hipError_tT0_T1_T2_jT3_P12ihipStream_tbPNSt15iterator_traitsISG_E10value_typeEPNSM_ISH_E10value_typeEPSI_NS1_7vsmem_tEENKUlT_SG_SH_SI_E_clIPiSA_PsSB_EESF_SV_SG_SH_SI_EUlSV_E_NS1_11comp_targetILNS1_3genE10ELNS1_11target_archE1201ELNS1_3gpuE5ELNS1_3repE0EEENS1_48merge_mergepath_partition_config_static_selectorELNS0_4arch9wavefront6targetE1EEEvSH_
	.globl	_ZN7rocprim17ROCPRIM_400000_NS6detail17trampoline_kernelINS0_14default_configENS1_38merge_sort_block_merge_config_selectorIisEEZZNS1_27merge_sort_block_merge_implIS3_N6thrust23THRUST_200600_302600_NS10device_ptrIiEENS9_IsEEjNS1_19radix_merge_compareILb0ELb0EiNS0_19identity_decomposerEEEEE10hipError_tT0_T1_T2_jT3_P12ihipStream_tbPNSt15iterator_traitsISG_E10value_typeEPNSM_ISH_E10value_typeEPSI_NS1_7vsmem_tEENKUlT_SG_SH_SI_E_clIPiSA_PsSB_EESF_SV_SG_SH_SI_EUlSV_E_NS1_11comp_targetILNS1_3genE10ELNS1_11target_archE1201ELNS1_3gpuE5ELNS1_3repE0EEENS1_48merge_mergepath_partition_config_static_selectorELNS0_4arch9wavefront6targetE1EEEvSH_
	.p2align	8
	.type	_ZN7rocprim17ROCPRIM_400000_NS6detail17trampoline_kernelINS0_14default_configENS1_38merge_sort_block_merge_config_selectorIisEEZZNS1_27merge_sort_block_merge_implIS3_N6thrust23THRUST_200600_302600_NS10device_ptrIiEENS9_IsEEjNS1_19radix_merge_compareILb0ELb0EiNS0_19identity_decomposerEEEEE10hipError_tT0_T1_T2_jT3_P12ihipStream_tbPNSt15iterator_traitsISG_E10value_typeEPNSM_ISH_E10value_typeEPSI_NS1_7vsmem_tEENKUlT_SG_SH_SI_E_clIPiSA_PsSB_EESF_SV_SG_SH_SI_EUlSV_E_NS1_11comp_targetILNS1_3genE10ELNS1_11target_archE1201ELNS1_3gpuE5ELNS1_3repE0EEENS1_48merge_mergepath_partition_config_static_selectorELNS0_4arch9wavefront6targetE1EEEvSH_,@function
_ZN7rocprim17ROCPRIM_400000_NS6detail17trampoline_kernelINS0_14default_configENS1_38merge_sort_block_merge_config_selectorIisEEZZNS1_27merge_sort_block_merge_implIS3_N6thrust23THRUST_200600_302600_NS10device_ptrIiEENS9_IsEEjNS1_19radix_merge_compareILb0ELb0EiNS0_19identity_decomposerEEEEE10hipError_tT0_T1_T2_jT3_P12ihipStream_tbPNSt15iterator_traitsISG_E10value_typeEPNSM_ISH_E10value_typeEPSI_NS1_7vsmem_tEENKUlT_SG_SH_SI_E_clIPiSA_PsSB_EESF_SV_SG_SH_SI_EUlSV_E_NS1_11comp_targetILNS1_3genE10ELNS1_11target_archE1201ELNS1_3gpuE5ELNS1_3repE0EEENS1_48merge_mergepath_partition_config_static_selectorELNS0_4arch9wavefront6targetE1EEEvSH_: ; @_ZN7rocprim17ROCPRIM_400000_NS6detail17trampoline_kernelINS0_14default_configENS1_38merge_sort_block_merge_config_selectorIisEEZZNS1_27merge_sort_block_merge_implIS3_N6thrust23THRUST_200600_302600_NS10device_ptrIiEENS9_IsEEjNS1_19radix_merge_compareILb0ELb0EiNS0_19identity_decomposerEEEEE10hipError_tT0_T1_T2_jT3_P12ihipStream_tbPNSt15iterator_traitsISG_E10value_typeEPNSM_ISH_E10value_typeEPSI_NS1_7vsmem_tEENKUlT_SG_SH_SI_E_clIPiSA_PsSB_EESF_SV_SG_SH_SI_EUlSV_E_NS1_11comp_targetILNS1_3genE10ELNS1_11target_archE1201ELNS1_3gpuE5ELNS1_3repE0EEENS1_48merge_mergepath_partition_config_static_selectorELNS0_4arch9wavefront6targetE1EEEvSH_
; %bb.0:
	.section	.rodata,"a",@progbits
	.p2align	6, 0x0
	.amdhsa_kernel _ZN7rocprim17ROCPRIM_400000_NS6detail17trampoline_kernelINS0_14default_configENS1_38merge_sort_block_merge_config_selectorIisEEZZNS1_27merge_sort_block_merge_implIS3_N6thrust23THRUST_200600_302600_NS10device_ptrIiEENS9_IsEEjNS1_19radix_merge_compareILb0ELb0EiNS0_19identity_decomposerEEEEE10hipError_tT0_T1_T2_jT3_P12ihipStream_tbPNSt15iterator_traitsISG_E10value_typeEPNSM_ISH_E10value_typeEPSI_NS1_7vsmem_tEENKUlT_SG_SH_SI_E_clIPiSA_PsSB_EESF_SV_SG_SH_SI_EUlSV_E_NS1_11comp_targetILNS1_3genE10ELNS1_11target_archE1201ELNS1_3gpuE5ELNS1_3repE0EEENS1_48merge_mergepath_partition_config_static_selectorELNS0_4arch9wavefront6targetE1EEEvSH_
		.amdhsa_group_segment_fixed_size 0
		.amdhsa_private_segment_fixed_size 0
		.amdhsa_kernarg_size 40
		.amdhsa_user_sgpr_count 2
		.amdhsa_user_sgpr_dispatch_ptr 0
		.amdhsa_user_sgpr_queue_ptr 0
		.amdhsa_user_sgpr_kernarg_segment_ptr 1
		.amdhsa_user_sgpr_dispatch_id 0
		.amdhsa_user_sgpr_kernarg_preload_length 0
		.amdhsa_user_sgpr_kernarg_preload_offset 0
		.amdhsa_user_sgpr_private_segment_size 0
		.amdhsa_uses_dynamic_stack 0
		.amdhsa_enable_private_segment 0
		.amdhsa_system_sgpr_workgroup_id_x 1
		.amdhsa_system_sgpr_workgroup_id_y 0
		.amdhsa_system_sgpr_workgroup_id_z 0
		.amdhsa_system_sgpr_workgroup_info 0
		.amdhsa_system_vgpr_workitem_id 0
		.amdhsa_next_free_vgpr 1
		.amdhsa_next_free_sgpr 0
		.amdhsa_accum_offset 4
		.amdhsa_reserve_vcc 0
		.amdhsa_float_round_mode_32 0
		.amdhsa_float_round_mode_16_64 0
		.amdhsa_float_denorm_mode_32 3
		.amdhsa_float_denorm_mode_16_64 3
		.amdhsa_dx10_clamp 1
		.amdhsa_ieee_mode 1
		.amdhsa_fp16_overflow 0
		.amdhsa_tg_split 0
		.amdhsa_exception_fp_ieee_invalid_op 0
		.amdhsa_exception_fp_denorm_src 0
		.amdhsa_exception_fp_ieee_div_zero 0
		.amdhsa_exception_fp_ieee_overflow 0
		.amdhsa_exception_fp_ieee_underflow 0
		.amdhsa_exception_fp_ieee_inexact 0
		.amdhsa_exception_int_div_zero 0
	.end_amdhsa_kernel
	.section	.text._ZN7rocprim17ROCPRIM_400000_NS6detail17trampoline_kernelINS0_14default_configENS1_38merge_sort_block_merge_config_selectorIisEEZZNS1_27merge_sort_block_merge_implIS3_N6thrust23THRUST_200600_302600_NS10device_ptrIiEENS9_IsEEjNS1_19radix_merge_compareILb0ELb0EiNS0_19identity_decomposerEEEEE10hipError_tT0_T1_T2_jT3_P12ihipStream_tbPNSt15iterator_traitsISG_E10value_typeEPNSM_ISH_E10value_typeEPSI_NS1_7vsmem_tEENKUlT_SG_SH_SI_E_clIPiSA_PsSB_EESF_SV_SG_SH_SI_EUlSV_E_NS1_11comp_targetILNS1_3genE10ELNS1_11target_archE1201ELNS1_3gpuE5ELNS1_3repE0EEENS1_48merge_mergepath_partition_config_static_selectorELNS0_4arch9wavefront6targetE1EEEvSH_,"axG",@progbits,_ZN7rocprim17ROCPRIM_400000_NS6detail17trampoline_kernelINS0_14default_configENS1_38merge_sort_block_merge_config_selectorIisEEZZNS1_27merge_sort_block_merge_implIS3_N6thrust23THRUST_200600_302600_NS10device_ptrIiEENS9_IsEEjNS1_19radix_merge_compareILb0ELb0EiNS0_19identity_decomposerEEEEE10hipError_tT0_T1_T2_jT3_P12ihipStream_tbPNSt15iterator_traitsISG_E10value_typeEPNSM_ISH_E10value_typeEPSI_NS1_7vsmem_tEENKUlT_SG_SH_SI_E_clIPiSA_PsSB_EESF_SV_SG_SH_SI_EUlSV_E_NS1_11comp_targetILNS1_3genE10ELNS1_11target_archE1201ELNS1_3gpuE5ELNS1_3repE0EEENS1_48merge_mergepath_partition_config_static_selectorELNS0_4arch9wavefront6targetE1EEEvSH_,comdat
.Lfunc_end2291:
	.size	_ZN7rocprim17ROCPRIM_400000_NS6detail17trampoline_kernelINS0_14default_configENS1_38merge_sort_block_merge_config_selectorIisEEZZNS1_27merge_sort_block_merge_implIS3_N6thrust23THRUST_200600_302600_NS10device_ptrIiEENS9_IsEEjNS1_19radix_merge_compareILb0ELb0EiNS0_19identity_decomposerEEEEE10hipError_tT0_T1_T2_jT3_P12ihipStream_tbPNSt15iterator_traitsISG_E10value_typeEPNSM_ISH_E10value_typeEPSI_NS1_7vsmem_tEENKUlT_SG_SH_SI_E_clIPiSA_PsSB_EESF_SV_SG_SH_SI_EUlSV_E_NS1_11comp_targetILNS1_3genE10ELNS1_11target_archE1201ELNS1_3gpuE5ELNS1_3repE0EEENS1_48merge_mergepath_partition_config_static_selectorELNS0_4arch9wavefront6targetE1EEEvSH_, .Lfunc_end2291-_ZN7rocprim17ROCPRIM_400000_NS6detail17trampoline_kernelINS0_14default_configENS1_38merge_sort_block_merge_config_selectorIisEEZZNS1_27merge_sort_block_merge_implIS3_N6thrust23THRUST_200600_302600_NS10device_ptrIiEENS9_IsEEjNS1_19radix_merge_compareILb0ELb0EiNS0_19identity_decomposerEEEEE10hipError_tT0_T1_T2_jT3_P12ihipStream_tbPNSt15iterator_traitsISG_E10value_typeEPNSM_ISH_E10value_typeEPSI_NS1_7vsmem_tEENKUlT_SG_SH_SI_E_clIPiSA_PsSB_EESF_SV_SG_SH_SI_EUlSV_E_NS1_11comp_targetILNS1_3genE10ELNS1_11target_archE1201ELNS1_3gpuE5ELNS1_3repE0EEENS1_48merge_mergepath_partition_config_static_selectorELNS0_4arch9wavefront6targetE1EEEvSH_
                                        ; -- End function
	.set _ZN7rocprim17ROCPRIM_400000_NS6detail17trampoline_kernelINS0_14default_configENS1_38merge_sort_block_merge_config_selectorIisEEZZNS1_27merge_sort_block_merge_implIS3_N6thrust23THRUST_200600_302600_NS10device_ptrIiEENS9_IsEEjNS1_19radix_merge_compareILb0ELb0EiNS0_19identity_decomposerEEEEE10hipError_tT0_T1_T2_jT3_P12ihipStream_tbPNSt15iterator_traitsISG_E10value_typeEPNSM_ISH_E10value_typeEPSI_NS1_7vsmem_tEENKUlT_SG_SH_SI_E_clIPiSA_PsSB_EESF_SV_SG_SH_SI_EUlSV_E_NS1_11comp_targetILNS1_3genE10ELNS1_11target_archE1201ELNS1_3gpuE5ELNS1_3repE0EEENS1_48merge_mergepath_partition_config_static_selectorELNS0_4arch9wavefront6targetE1EEEvSH_.num_vgpr, 0
	.set _ZN7rocprim17ROCPRIM_400000_NS6detail17trampoline_kernelINS0_14default_configENS1_38merge_sort_block_merge_config_selectorIisEEZZNS1_27merge_sort_block_merge_implIS3_N6thrust23THRUST_200600_302600_NS10device_ptrIiEENS9_IsEEjNS1_19radix_merge_compareILb0ELb0EiNS0_19identity_decomposerEEEEE10hipError_tT0_T1_T2_jT3_P12ihipStream_tbPNSt15iterator_traitsISG_E10value_typeEPNSM_ISH_E10value_typeEPSI_NS1_7vsmem_tEENKUlT_SG_SH_SI_E_clIPiSA_PsSB_EESF_SV_SG_SH_SI_EUlSV_E_NS1_11comp_targetILNS1_3genE10ELNS1_11target_archE1201ELNS1_3gpuE5ELNS1_3repE0EEENS1_48merge_mergepath_partition_config_static_selectorELNS0_4arch9wavefront6targetE1EEEvSH_.num_agpr, 0
	.set _ZN7rocprim17ROCPRIM_400000_NS6detail17trampoline_kernelINS0_14default_configENS1_38merge_sort_block_merge_config_selectorIisEEZZNS1_27merge_sort_block_merge_implIS3_N6thrust23THRUST_200600_302600_NS10device_ptrIiEENS9_IsEEjNS1_19radix_merge_compareILb0ELb0EiNS0_19identity_decomposerEEEEE10hipError_tT0_T1_T2_jT3_P12ihipStream_tbPNSt15iterator_traitsISG_E10value_typeEPNSM_ISH_E10value_typeEPSI_NS1_7vsmem_tEENKUlT_SG_SH_SI_E_clIPiSA_PsSB_EESF_SV_SG_SH_SI_EUlSV_E_NS1_11comp_targetILNS1_3genE10ELNS1_11target_archE1201ELNS1_3gpuE5ELNS1_3repE0EEENS1_48merge_mergepath_partition_config_static_selectorELNS0_4arch9wavefront6targetE1EEEvSH_.numbered_sgpr, 0
	.set _ZN7rocprim17ROCPRIM_400000_NS6detail17trampoline_kernelINS0_14default_configENS1_38merge_sort_block_merge_config_selectorIisEEZZNS1_27merge_sort_block_merge_implIS3_N6thrust23THRUST_200600_302600_NS10device_ptrIiEENS9_IsEEjNS1_19radix_merge_compareILb0ELb0EiNS0_19identity_decomposerEEEEE10hipError_tT0_T1_T2_jT3_P12ihipStream_tbPNSt15iterator_traitsISG_E10value_typeEPNSM_ISH_E10value_typeEPSI_NS1_7vsmem_tEENKUlT_SG_SH_SI_E_clIPiSA_PsSB_EESF_SV_SG_SH_SI_EUlSV_E_NS1_11comp_targetILNS1_3genE10ELNS1_11target_archE1201ELNS1_3gpuE5ELNS1_3repE0EEENS1_48merge_mergepath_partition_config_static_selectorELNS0_4arch9wavefront6targetE1EEEvSH_.num_named_barrier, 0
	.set _ZN7rocprim17ROCPRIM_400000_NS6detail17trampoline_kernelINS0_14default_configENS1_38merge_sort_block_merge_config_selectorIisEEZZNS1_27merge_sort_block_merge_implIS3_N6thrust23THRUST_200600_302600_NS10device_ptrIiEENS9_IsEEjNS1_19radix_merge_compareILb0ELb0EiNS0_19identity_decomposerEEEEE10hipError_tT0_T1_T2_jT3_P12ihipStream_tbPNSt15iterator_traitsISG_E10value_typeEPNSM_ISH_E10value_typeEPSI_NS1_7vsmem_tEENKUlT_SG_SH_SI_E_clIPiSA_PsSB_EESF_SV_SG_SH_SI_EUlSV_E_NS1_11comp_targetILNS1_3genE10ELNS1_11target_archE1201ELNS1_3gpuE5ELNS1_3repE0EEENS1_48merge_mergepath_partition_config_static_selectorELNS0_4arch9wavefront6targetE1EEEvSH_.private_seg_size, 0
	.set _ZN7rocprim17ROCPRIM_400000_NS6detail17trampoline_kernelINS0_14default_configENS1_38merge_sort_block_merge_config_selectorIisEEZZNS1_27merge_sort_block_merge_implIS3_N6thrust23THRUST_200600_302600_NS10device_ptrIiEENS9_IsEEjNS1_19radix_merge_compareILb0ELb0EiNS0_19identity_decomposerEEEEE10hipError_tT0_T1_T2_jT3_P12ihipStream_tbPNSt15iterator_traitsISG_E10value_typeEPNSM_ISH_E10value_typeEPSI_NS1_7vsmem_tEENKUlT_SG_SH_SI_E_clIPiSA_PsSB_EESF_SV_SG_SH_SI_EUlSV_E_NS1_11comp_targetILNS1_3genE10ELNS1_11target_archE1201ELNS1_3gpuE5ELNS1_3repE0EEENS1_48merge_mergepath_partition_config_static_selectorELNS0_4arch9wavefront6targetE1EEEvSH_.uses_vcc, 0
	.set _ZN7rocprim17ROCPRIM_400000_NS6detail17trampoline_kernelINS0_14default_configENS1_38merge_sort_block_merge_config_selectorIisEEZZNS1_27merge_sort_block_merge_implIS3_N6thrust23THRUST_200600_302600_NS10device_ptrIiEENS9_IsEEjNS1_19radix_merge_compareILb0ELb0EiNS0_19identity_decomposerEEEEE10hipError_tT0_T1_T2_jT3_P12ihipStream_tbPNSt15iterator_traitsISG_E10value_typeEPNSM_ISH_E10value_typeEPSI_NS1_7vsmem_tEENKUlT_SG_SH_SI_E_clIPiSA_PsSB_EESF_SV_SG_SH_SI_EUlSV_E_NS1_11comp_targetILNS1_3genE10ELNS1_11target_archE1201ELNS1_3gpuE5ELNS1_3repE0EEENS1_48merge_mergepath_partition_config_static_selectorELNS0_4arch9wavefront6targetE1EEEvSH_.uses_flat_scratch, 0
	.set _ZN7rocprim17ROCPRIM_400000_NS6detail17trampoline_kernelINS0_14default_configENS1_38merge_sort_block_merge_config_selectorIisEEZZNS1_27merge_sort_block_merge_implIS3_N6thrust23THRUST_200600_302600_NS10device_ptrIiEENS9_IsEEjNS1_19radix_merge_compareILb0ELb0EiNS0_19identity_decomposerEEEEE10hipError_tT0_T1_T2_jT3_P12ihipStream_tbPNSt15iterator_traitsISG_E10value_typeEPNSM_ISH_E10value_typeEPSI_NS1_7vsmem_tEENKUlT_SG_SH_SI_E_clIPiSA_PsSB_EESF_SV_SG_SH_SI_EUlSV_E_NS1_11comp_targetILNS1_3genE10ELNS1_11target_archE1201ELNS1_3gpuE5ELNS1_3repE0EEENS1_48merge_mergepath_partition_config_static_selectorELNS0_4arch9wavefront6targetE1EEEvSH_.has_dyn_sized_stack, 0
	.set _ZN7rocprim17ROCPRIM_400000_NS6detail17trampoline_kernelINS0_14default_configENS1_38merge_sort_block_merge_config_selectorIisEEZZNS1_27merge_sort_block_merge_implIS3_N6thrust23THRUST_200600_302600_NS10device_ptrIiEENS9_IsEEjNS1_19radix_merge_compareILb0ELb0EiNS0_19identity_decomposerEEEEE10hipError_tT0_T1_T2_jT3_P12ihipStream_tbPNSt15iterator_traitsISG_E10value_typeEPNSM_ISH_E10value_typeEPSI_NS1_7vsmem_tEENKUlT_SG_SH_SI_E_clIPiSA_PsSB_EESF_SV_SG_SH_SI_EUlSV_E_NS1_11comp_targetILNS1_3genE10ELNS1_11target_archE1201ELNS1_3gpuE5ELNS1_3repE0EEENS1_48merge_mergepath_partition_config_static_selectorELNS0_4arch9wavefront6targetE1EEEvSH_.has_recursion, 0
	.set _ZN7rocprim17ROCPRIM_400000_NS6detail17trampoline_kernelINS0_14default_configENS1_38merge_sort_block_merge_config_selectorIisEEZZNS1_27merge_sort_block_merge_implIS3_N6thrust23THRUST_200600_302600_NS10device_ptrIiEENS9_IsEEjNS1_19radix_merge_compareILb0ELb0EiNS0_19identity_decomposerEEEEE10hipError_tT0_T1_T2_jT3_P12ihipStream_tbPNSt15iterator_traitsISG_E10value_typeEPNSM_ISH_E10value_typeEPSI_NS1_7vsmem_tEENKUlT_SG_SH_SI_E_clIPiSA_PsSB_EESF_SV_SG_SH_SI_EUlSV_E_NS1_11comp_targetILNS1_3genE10ELNS1_11target_archE1201ELNS1_3gpuE5ELNS1_3repE0EEENS1_48merge_mergepath_partition_config_static_selectorELNS0_4arch9wavefront6targetE1EEEvSH_.has_indirect_call, 0
	.section	.AMDGPU.csdata,"",@progbits
; Kernel info:
; codeLenInByte = 0
; TotalNumSgprs: 6
; NumVgprs: 0
; NumAgprs: 0
; TotalNumVgprs: 0
; ScratchSize: 0
; MemoryBound: 0
; FloatMode: 240
; IeeeMode: 1
; LDSByteSize: 0 bytes/workgroup (compile time only)
; SGPRBlocks: 0
; VGPRBlocks: 0
; NumSGPRsForWavesPerEU: 6
; NumVGPRsForWavesPerEU: 1
; AccumOffset: 4
; Occupancy: 8
; WaveLimiterHint : 0
; COMPUTE_PGM_RSRC2:SCRATCH_EN: 0
; COMPUTE_PGM_RSRC2:USER_SGPR: 2
; COMPUTE_PGM_RSRC2:TRAP_HANDLER: 0
; COMPUTE_PGM_RSRC2:TGID_X_EN: 1
; COMPUTE_PGM_RSRC2:TGID_Y_EN: 0
; COMPUTE_PGM_RSRC2:TGID_Z_EN: 0
; COMPUTE_PGM_RSRC2:TIDIG_COMP_CNT: 0
; COMPUTE_PGM_RSRC3_GFX90A:ACCUM_OFFSET: 0
; COMPUTE_PGM_RSRC3_GFX90A:TG_SPLIT: 0
	.section	.text._ZN7rocprim17ROCPRIM_400000_NS6detail17trampoline_kernelINS0_14default_configENS1_38merge_sort_block_merge_config_selectorIisEEZZNS1_27merge_sort_block_merge_implIS3_N6thrust23THRUST_200600_302600_NS10device_ptrIiEENS9_IsEEjNS1_19radix_merge_compareILb0ELb0EiNS0_19identity_decomposerEEEEE10hipError_tT0_T1_T2_jT3_P12ihipStream_tbPNSt15iterator_traitsISG_E10value_typeEPNSM_ISH_E10value_typeEPSI_NS1_7vsmem_tEENKUlT_SG_SH_SI_E_clIPiSA_PsSB_EESF_SV_SG_SH_SI_EUlSV_E_NS1_11comp_targetILNS1_3genE5ELNS1_11target_archE942ELNS1_3gpuE9ELNS1_3repE0EEENS1_48merge_mergepath_partition_config_static_selectorELNS0_4arch9wavefront6targetE1EEEvSH_,"axG",@progbits,_ZN7rocprim17ROCPRIM_400000_NS6detail17trampoline_kernelINS0_14default_configENS1_38merge_sort_block_merge_config_selectorIisEEZZNS1_27merge_sort_block_merge_implIS3_N6thrust23THRUST_200600_302600_NS10device_ptrIiEENS9_IsEEjNS1_19radix_merge_compareILb0ELb0EiNS0_19identity_decomposerEEEEE10hipError_tT0_T1_T2_jT3_P12ihipStream_tbPNSt15iterator_traitsISG_E10value_typeEPNSM_ISH_E10value_typeEPSI_NS1_7vsmem_tEENKUlT_SG_SH_SI_E_clIPiSA_PsSB_EESF_SV_SG_SH_SI_EUlSV_E_NS1_11comp_targetILNS1_3genE5ELNS1_11target_archE942ELNS1_3gpuE9ELNS1_3repE0EEENS1_48merge_mergepath_partition_config_static_selectorELNS0_4arch9wavefront6targetE1EEEvSH_,comdat
	.protected	_ZN7rocprim17ROCPRIM_400000_NS6detail17trampoline_kernelINS0_14default_configENS1_38merge_sort_block_merge_config_selectorIisEEZZNS1_27merge_sort_block_merge_implIS3_N6thrust23THRUST_200600_302600_NS10device_ptrIiEENS9_IsEEjNS1_19radix_merge_compareILb0ELb0EiNS0_19identity_decomposerEEEEE10hipError_tT0_T1_T2_jT3_P12ihipStream_tbPNSt15iterator_traitsISG_E10value_typeEPNSM_ISH_E10value_typeEPSI_NS1_7vsmem_tEENKUlT_SG_SH_SI_E_clIPiSA_PsSB_EESF_SV_SG_SH_SI_EUlSV_E_NS1_11comp_targetILNS1_3genE5ELNS1_11target_archE942ELNS1_3gpuE9ELNS1_3repE0EEENS1_48merge_mergepath_partition_config_static_selectorELNS0_4arch9wavefront6targetE1EEEvSH_ ; -- Begin function _ZN7rocprim17ROCPRIM_400000_NS6detail17trampoline_kernelINS0_14default_configENS1_38merge_sort_block_merge_config_selectorIisEEZZNS1_27merge_sort_block_merge_implIS3_N6thrust23THRUST_200600_302600_NS10device_ptrIiEENS9_IsEEjNS1_19radix_merge_compareILb0ELb0EiNS0_19identity_decomposerEEEEE10hipError_tT0_T1_T2_jT3_P12ihipStream_tbPNSt15iterator_traitsISG_E10value_typeEPNSM_ISH_E10value_typeEPSI_NS1_7vsmem_tEENKUlT_SG_SH_SI_E_clIPiSA_PsSB_EESF_SV_SG_SH_SI_EUlSV_E_NS1_11comp_targetILNS1_3genE5ELNS1_11target_archE942ELNS1_3gpuE9ELNS1_3repE0EEENS1_48merge_mergepath_partition_config_static_selectorELNS0_4arch9wavefront6targetE1EEEvSH_
	.globl	_ZN7rocprim17ROCPRIM_400000_NS6detail17trampoline_kernelINS0_14default_configENS1_38merge_sort_block_merge_config_selectorIisEEZZNS1_27merge_sort_block_merge_implIS3_N6thrust23THRUST_200600_302600_NS10device_ptrIiEENS9_IsEEjNS1_19radix_merge_compareILb0ELb0EiNS0_19identity_decomposerEEEEE10hipError_tT0_T1_T2_jT3_P12ihipStream_tbPNSt15iterator_traitsISG_E10value_typeEPNSM_ISH_E10value_typeEPSI_NS1_7vsmem_tEENKUlT_SG_SH_SI_E_clIPiSA_PsSB_EESF_SV_SG_SH_SI_EUlSV_E_NS1_11comp_targetILNS1_3genE5ELNS1_11target_archE942ELNS1_3gpuE9ELNS1_3repE0EEENS1_48merge_mergepath_partition_config_static_selectorELNS0_4arch9wavefront6targetE1EEEvSH_
	.p2align	8
	.type	_ZN7rocprim17ROCPRIM_400000_NS6detail17trampoline_kernelINS0_14default_configENS1_38merge_sort_block_merge_config_selectorIisEEZZNS1_27merge_sort_block_merge_implIS3_N6thrust23THRUST_200600_302600_NS10device_ptrIiEENS9_IsEEjNS1_19radix_merge_compareILb0ELb0EiNS0_19identity_decomposerEEEEE10hipError_tT0_T1_T2_jT3_P12ihipStream_tbPNSt15iterator_traitsISG_E10value_typeEPNSM_ISH_E10value_typeEPSI_NS1_7vsmem_tEENKUlT_SG_SH_SI_E_clIPiSA_PsSB_EESF_SV_SG_SH_SI_EUlSV_E_NS1_11comp_targetILNS1_3genE5ELNS1_11target_archE942ELNS1_3gpuE9ELNS1_3repE0EEENS1_48merge_mergepath_partition_config_static_selectorELNS0_4arch9wavefront6targetE1EEEvSH_,@function
_ZN7rocprim17ROCPRIM_400000_NS6detail17trampoline_kernelINS0_14default_configENS1_38merge_sort_block_merge_config_selectorIisEEZZNS1_27merge_sort_block_merge_implIS3_N6thrust23THRUST_200600_302600_NS10device_ptrIiEENS9_IsEEjNS1_19radix_merge_compareILb0ELb0EiNS0_19identity_decomposerEEEEE10hipError_tT0_T1_T2_jT3_P12ihipStream_tbPNSt15iterator_traitsISG_E10value_typeEPNSM_ISH_E10value_typeEPSI_NS1_7vsmem_tEENKUlT_SG_SH_SI_E_clIPiSA_PsSB_EESF_SV_SG_SH_SI_EUlSV_E_NS1_11comp_targetILNS1_3genE5ELNS1_11target_archE942ELNS1_3gpuE9ELNS1_3repE0EEENS1_48merge_mergepath_partition_config_static_selectorELNS0_4arch9wavefront6targetE1EEEvSH_: ; @_ZN7rocprim17ROCPRIM_400000_NS6detail17trampoline_kernelINS0_14default_configENS1_38merge_sort_block_merge_config_selectorIisEEZZNS1_27merge_sort_block_merge_implIS3_N6thrust23THRUST_200600_302600_NS10device_ptrIiEENS9_IsEEjNS1_19radix_merge_compareILb0ELb0EiNS0_19identity_decomposerEEEEE10hipError_tT0_T1_T2_jT3_P12ihipStream_tbPNSt15iterator_traitsISG_E10value_typeEPNSM_ISH_E10value_typeEPSI_NS1_7vsmem_tEENKUlT_SG_SH_SI_E_clIPiSA_PsSB_EESF_SV_SG_SH_SI_EUlSV_E_NS1_11comp_targetILNS1_3genE5ELNS1_11target_archE942ELNS1_3gpuE9ELNS1_3repE0EEENS1_48merge_mergepath_partition_config_static_selectorELNS0_4arch9wavefront6targetE1EEEvSH_
; %bb.0:
	.section	.rodata,"a",@progbits
	.p2align	6, 0x0
	.amdhsa_kernel _ZN7rocprim17ROCPRIM_400000_NS6detail17trampoline_kernelINS0_14default_configENS1_38merge_sort_block_merge_config_selectorIisEEZZNS1_27merge_sort_block_merge_implIS3_N6thrust23THRUST_200600_302600_NS10device_ptrIiEENS9_IsEEjNS1_19radix_merge_compareILb0ELb0EiNS0_19identity_decomposerEEEEE10hipError_tT0_T1_T2_jT3_P12ihipStream_tbPNSt15iterator_traitsISG_E10value_typeEPNSM_ISH_E10value_typeEPSI_NS1_7vsmem_tEENKUlT_SG_SH_SI_E_clIPiSA_PsSB_EESF_SV_SG_SH_SI_EUlSV_E_NS1_11comp_targetILNS1_3genE5ELNS1_11target_archE942ELNS1_3gpuE9ELNS1_3repE0EEENS1_48merge_mergepath_partition_config_static_selectorELNS0_4arch9wavefront6targetE1EEEvSH_
		.amdhsa_group_segment_fixed_size 0
		.amdhsa_private_segment_fixed_size 0
		.amdhsa_kernarg_size 40
		.amdhsa_user_sgpr_count 2
		.amdhsa_user_sgpr_dispatch_ptr 0
		.amdhsa_user_sgpr_queue_ptr 0
		.amdhsa_user_sgpr_kernarg_segment_ptr 1
		.amdhsa_user_sgpr_dispatch_id 0
		.amdhsa_user_sgpr_kernarg_preload_length 0
		.amdhsa_user_sgpr_kernarg_preload_offset 0
		.amdhsa_user_sgpr_private_segment_size 0
		.amdhsa_uses_dynamic_stack 0
		.amdhsa_enable_private_segment 0
		.amdhsa_system_sgpr_workgroup_id_x 1
		.amdhsa_system_sgpr_workgroup_id_y 0
		.amdhsa_system_sgpr_workgroup_id_z 0
		.amdhsa_system_sgpr_workgroup_info 0
		.amdhsa_system_vgpr_workitem_id 0
		.amdhsa_next_free_vgpr 1
		.amdhsa_next_free_sgpr 0
		.amdhsa_accum_offset 4
		.amdhsa_reserve_vcc 0
		.amdhsa_float_round_mode_32 0
		.amdhsa_float_round_mode_16_64 0
		.amdhsa_float_denorm_mode_32 3
		.amdhsa_float_denorm_mode_16_64 3
		.amdhsa_dx10_clamp 1
		.amdhsa_ieee_mode 1
		.amdhsa_fp16_overflow 0
		.amdhsa_tg_split 0
		.amdhsa_exception_fp_ieee_invalid_op 0
		.amdhsa_exception_fp_denorm_src 0
		.amdhsa_exception_fp_ieee_div_zero 0
		.amdhsa_exception_fp_ieee_overflow 0
		.amdhsa_exception_fp_ieee_underflow 0
		.amdhsa_exception_fp_ieee_inexact 0
		.amdhsa_exception_int_div_zero 0
	.end_amdhsa_kernel
	.section	.text._ZN7rocprim17ROCPRIM_400000_NS6detail17trampoline_kernelINS0_14default_configENS1_38merge_sort_block_merge_config_selectorIisEEZZNS1_27merge_sort_block_merge_implIS3_N6thrust23THRUST_200600_302600_NS10device_ptrIiEENS9_IsEEjNS1_19radix_merge_compareILb0ELb0EiNS0_19identity_decomposerEEEEE10hipError_tT0_T1_T2_jT3_P12ihipStream_tbPNSt15iterator_traitsISG_E10value_typeEPNSM_ISH_E10value_typeEPSI_NS1_7vsmem_tEENKUlT_SG_SH_SI_E_clIPiSA_PsSB_EESF_SV_SG_SH_SI_EUlSV_E_NS1_11comp_targetILNS1_3genE5ELNS1_11target_archE942ELNS1_3gpuE9ELNS1_3repE0EEENS1_48merge_mergepath_partition_config_static_selectorELNS0_4arch9wavefront6targetE1EEEvSH_,"axG",@progbits,_ZN7rocprim17ROCPRIM_400000_NS6detail17trampoline_kernelINS0_14default_configENS1_38merge_sort_block_merge_config_selectorIisEEZZNS1_27merge_sort_block_merge_implIS3_N6thrust23THRUST_200600_302600_NS10device_ptrIiEENS9_IsEEjNS1_19radix_merge_compareILb0ELb0EiNS0_19identity_decomposerEEEEE10hipError_tT0_T1_T2_jT3_P12ihipStream_tbPNSt15iterator_traitsISG_E10value_typeEPNSM_ISH_E10value_typeEPSI_NS1_7vsmem_tEENKUlT_SG_SH_SI_E_clIPiSA_PsSB_EESF_SV_SG_SH_SI_EUlSV_E_NS1_11comp_targetILNS1_3genE5ELNS1_11target_archE942ELNS1_3gpuE9ELNS1_3repE0EEENS1_48merge_mergepath_partition_config_static_selectorELNS0_4arch9wavefront6targetE1EEEvSH_,comdat
.Lfunc_end2292:
	.size	_ZN7rocprim17ROCPRIM_400000_NS6detail17trampoline_kernelINS0_14default_configENS1_38merge_sort_block_merge_config_selectorIisEEZZNS1_27merge_sort_block_merge_implIS3_N6thrust23THRUST_200600_302600_NS10device_ptrIiEENS9_IsEEjNS1_19radix_merge_compareILb0ELb0EiNS0_19identity_decomposerEEEEE10hipError_tT0_T1_T2_jT3_P12ihipStream_tbPNSt15iterator_traitsISG_E10value_typeEPNSM_ISH_E10value_typeEPSI_NS1_7vsmem_tEENKUlT_SG_SH_SI_E_clIPiSA_PsSB_EESF_SV_SG_SH_SI_EUlSV_E_NS1_11comp_targetILNS1_3genE5ELNS1_11target_archE942ELNS1_3gpuE9ELNS1_3repE0EEENS1_48merge_mergepath_partition_config_static_selectorELNS0_4arch9wavefront6targetE1EEEvSH_, .Lfunc_end2292-_ZN7rocprim17ROCPRIM_400000_NS6detail17trampoline_kernelINS0_14default_configENS1_38merge_sort_block_merge_config_selectorIisEEZZNS1_27merge_sort_block_merge_implIS3_N6thrust23THRUST_200600_302600_NS10device_ptrIiEENS9_IsEEjNS1_19radix_merge_compareILb0ELb0EiNS0_19identity_decomposerEEEEE10hipError_tT0_T1_T2_jT3_P12ihipStream_tbPNSt15iterator_traitsISG_E10value_typeEPNSM_ISH_E10value_typeEPSI_NS1_7vsmem_tEENKUlT_SG_SH_SI_E_clIPiSA_PsSB_EESF_SV_SG_SH_SI_EUlSV_E_NS1_11comp_targetILNS1_3genE5ELNS1_11target_archE942ELNS1_3gpuE9ELNS1_3repE0EEENS1_48merge_mergepath_partition_config_static_selectorELNS0_4arch9wavefront6targetE1EEEvSH_
                                        ; -- End function
	.set _ZN7rocprim17ROCPRIM_400000_NS6detail17trampoline_kernelINS0_14default_configENS1_38merge_sort_block_merge_config_selectorIisEEZZNS1_27merge_sort_block_merge_implIS3_N6thrust23THRUST_200600_302600_NS10device_ptrIiEENS9_IsEEjNS1_19radix_merge_compareILb0ELb0EiNS0_19identity_decomposerEEEEE10hipError_tT0_T1_T2_jT3_P12ihipStream_tbPNSt15iterator_traitsISG_E10value_typeEPNSM_ISH_E10value_typeEPSI_NS1_7vsmem_tEENKUlT_SG_SH_SI_E_clIPiSA_PsSB_EESF_SV_SG_SH_SI_EUlSV_E_NS1_11comp_targetILNS1_3genE5ELNS1_11target_archE942ELNS1_3gpuE9ELNS1_3repE0EEENS1_48merge_mergepath_partition_config_static_selectorELNS0_4arch9wavefront6targetE1EEEvSH_.num_vgpr, 0
	.set _ZN7rocprim17ROCPRIM_400000_NS6detail17trampoline_kernelINS0_14default_configENS1_38merge_sort_block_merge_config_selectorIisEEZZNS1_27merge_sort_block_merge_implIS3_N6thrust23THRUST_200600_302600_NS10device_ptrIiEENS9_IsEEjNS1_19radix_merge_compareILb0ELb0EiNS0_19identity_decomposerEEEEE10hipError_tT0_T1_T2_jT3_P12ihipStream_tbPNSt15iterator_traitsISG_E10value_typeEPNSM_ISH_E10value_typeEPSI_NS1_7vsmem_tEENKUlT_SG_SH_SI_E_clIPiSA_PsSB_EESF_SV_SG_SH_SI_EUlSV_E_NS1_11comp_targetILNS1_3genE5ELNS1_11target_archE942ELNS1_3gpuE9ELNS1_3repE0EEENS1_48merge_mergepath_partition_config_static_selectorELNS0_4arch9wavefront6targetE1EEEvSH_.num_agpr, 0
	.set _ZN7rocprim17ROCPRIM_400000_NS6detail17trampoline_kernelINS0_14default_configENS1_38merge_sort_block_merge_config_selectorIisEEZZNS1_27merge_sort_block_merge_implIS3_N6thrust23THRUST_200600_302600_NS10device_ptrIiEENS9_IsEEjNS1_19radix_merge_compareILb0ELb0EiNS0_19identity_decomposerEEEEE10hipError_tT0_T1_T2_jT3_P12ihipStream_tbPNSt15iterator_traitsISG_E10value_typeEPNSM_ISH_E10value_typeEPSI_NS1_7vsmem_tEENKUlT_SG_SH_SI_E_clIPiSA_PsSB_EESF_SV_SG_SH_SI_EUlSV_E_NS1_11comp_targetILNS1_3genE5ELNS1_11target_archE942ELNS1_3gpuE9ELNS1_3repE0EEENS1_48merge_mergepath_partition_config_static_selectorELNS0_4arch9wavefront6targetE1EEEvSH_.numbered_sgpr, 0
	.set _ZN7rocprim17ROCPRIM_400000_NS6detail17trampoline_kernelINS0_14default_configENS1_38merge_sort_block_merge_config_selectorIisEEZZNS1_27merge_sort_block_merge_implIS3_N6thrust23THRUST_200600_302600_NS10device_ptrIiEENS9_IsEEjNS1_19radix_merge_compareILb0ELb0EiNS0_19identity_decomposerEEEEE10hipError_tT0_T1_T2_jT3_P12ihipStream_tbPNSt15iterator_traitsISG_E10value_typeEPNSM_ISH_E10value_typeEPSI_NS1_7vsmem_tEENKUlT_SG_SH_SI_E_clIPiSA_PsSB_EESF_SV_SG_SH_SI_EUlSV_E_NS1_11comp_targetILNS1_3genE5ELNS1_11target_archE942ELNS1_3gpuE9ELNS1_3repE0EEENS1_48merge_mergepath_partition_config_static_selectorELNS0_4arch9wavefront6targetE1EEEvSH_.num_named_barrier, 0
	.set _ZN7rocprim17ROCPRIM_400000_NS6detail17trampoline_kernelINS0_14default_configENS1_38merge_sort_block_merge_config_selectorIisEEZZNS1_27merge_sort_block_merge_implIS3_N6thrust23THRUST_200600_302600_NS10device_ptrIiEENS9_IsEEjNS1_19radix_merge_compareILb0ELb0EiNS0_19identity_decomposerEEEEE10hipError_tT0_T1_T2_jT3_P12ihipStream_tbPNSt15iterator_traitsISG_E10value_typeEPNSM_ISH_E10value_typeEPSI_NS1_7vsmem_tEENKUlT_SG_SH_SI_E_clIPiSA_PsSB_EESF_SV_SG_SH_SI_EUlSV_E_NS1_11comp_targetILNS1_3genE5ELNS1_11target_archE942ELNS1_3gpuE9ELNS1_3repE0EEENS1_48merge_mergepath_partition_config_static_selectorELNS0_4arch9wavefront6targetE1EEEvSH_.private_seg_size, 0
	.set _ZN7rocprim17ROCPRIM_400000_NS6detail17trampoline_kernelINS0_14default_configENS1_38merge_sort_block_merge_config_selectorIisEEZZNS1_27merge_sort_block_merge_implIS3_N6thrust23THRUST_200600_302600_NS10device_ptrIiEENS9_IsEEjNS1_19radix_merge_compareILb0ELb0EiNS0_19identity_decomposerEEEEE10hipError_tT0_T1_T2_jT3_P12ihipStream_tbPNSt15iterator_traitsISG_E10value_typeEPNSM_ISH_E10value_typeEPSI_NS1_7vsmem_tEENKUlT_SG_SH_SI_E_clIPiSA_PsSB_EESF_SV_SG_SH_SI_EUlSV_E_NS1_11comp_targetILNS1_3genE5ELNS1_11target_archE942ELNS1_3gpuE9ELNS1_3repE0EEENS1_48merge_mergepath_partition_config_static_selectorELNS0_4arch9wavefront6targetE1EEEvSH_.uses_vcc, 0
	.set _ZN7rocprim17ROCPRIM_400000_NS6detail17trampoline_kernelINS0_14default_configENS1_38merge_sort_block_merge_config_selectorIisEEZZNS1_27merge_sort_block_merge_implIS3_N6thrust23THRUST_200600_302600_NS10device_ptrIiEENS9_IsEEjNS1_19radix_merge_compareILb0ELb0EiNS0_19identity_decomposerEEEEE10hipError_tT0_T1_T2_jT3_P12ihipStream_tbPNSt15iterator_traitsISG_E10value_typeEPNSM_ISH_E10value_typeEPSI_NS1_7vsmem_tEENKUlT_SG_SH_SI_E_clIPiSA_PsSB_EESF_SV_SG_SH_SI_EUlSV_E_NS1_11comp_targetILNS1_3genE5ELNS1_11target_archE942ELNS1_3gpuE9ELNS1_3repE0EEENS1_48merge_mergepath_partition_config_static_selectorELNS0_4arch9wavefront6targetE1EEEvSH_.uses_flat_scratch, 0
	.set _ZN7rocprim17ROCPRIM_400000_NS6detail17trampoline_kernelINS0_14default_configENS1_38merge_sort_block_merge_config_selectorIisEEZZNS1_27merge_sort_block_merge_implIS3_N6thrust23THRUST_200600_302600_NS10device_ptrIiEENS9_IsEEjNS1_19radix_merge_compareILb0ELb0EiNS0_19identity_decomposerEEEEE10hipError_tT0_T1_T2_jT3_P12ihipStream_tbPNSt15iterator_traitsISG_E10value_typeEPNSM_ISH_E10value_typeEPSI_NS1_7vsmem_tEENKUlT_SG_SH_SI_E_clIPiSA_PsSB_EESF_SV_SG_SH_SI_EUlSV_E_NS1_11comp_targetILNS1_3genE5ELNS1_11target_archE942ELNS1_3gpuE9ELNS1_3repE0EEENS1_48merge_mergepath_partition_config_static_selectorELNS0_4arch9wavefront6targetE1EEEvSH_.has_dyn_sized_stack, 0
	.set _ZN7rocprim17ROCPRIM_400000_NS6detail17trampoline_kernelINS0_14default_configENS1_38merge_sort_block_merge_config_selectorIisEEZZNS1_27merge_sort_block_merge_implIS3_N6thrust23THRUST_200600_302600_NS10device_ptrIiEENS9_IsEEjNS1_19radix_merge_compareILb0ELb0EiNS0_19identity_decomposerEEEEE10hipError_tT0_T1_T2_jT3_P12ihipStream_tbPNSt15iterator_traitsISG_E10value_typeEPNSM_ISH_E10value_typeEPSI_NS1_7vsmem_tEENKUlT_SG_SH_SI_E_clIPiSA_PsSB_EESF_SV_SG_SH_SI_EUlSV_E_NS1_11comp_targetILNS1_3genE5ELNS1_11target_archE942ELNS1_3gpuE9ELNS1_3repE0EEENS1_48merge_mergepath_partition_config_static_selectorELNS0_4arch9wavefront6targetE1EEEvSH_.has_recursion, 0
	.set _ZN7rocprim17ROCPRIM_400000_NS6detail17trampoline_kernelINS0_14default_configENS1_38merge_sort_block_merge_config_selectorIisEEZZNS1_27merge_sort_block_merge_implIS3_N6thrust23THRUST_200600_302600_NS10device_ptrIiEENS9_IsEEjNS1_19radix_merge_compareILb0ELb0EiNS0_19identity_decomposerEEEEE10hipError_tT0_T1_T2_jT3_P12ihipStream_tbPNSt15iterator_traitsISG_E10value_typeEPNSM_ISH_E10value_typeEPSI_NS1_7vsmem_tEENKUlT_SG_SH_SI_E_clIPiSA_PsSB_EESF_SV_SG_SH_SI_EUlSV_E_NS1_11comp_targetILNS1_3genE5ELNS1_11target_archE942ELNS1_3gpuE9ELNS1_3repE0EEENS1_48merge_mergepath_partition_config_static_selectorELNS0_4arch9wavefront6targetE1EEEvSH_.has_indirect_call, 0
	.section	.AMDGPU.csdata,"",@progbits
; Kernel info:
; codeLenInByte = 0
; TotalNumSgprs: 6
; NumVgprs: 0
; NumAgprs: 0
; TotalNumVgprs: 0
; ScratchSize: 0
; MemoryBound: 0
; FloatMode: 240
; IeeeMode: 1
; LDSByteSize: 0 bytes/workgroup (compile time only)
; SGPRBlocks: 0
; VGPRBlocks: 0
; NumSGPRsForWavesPerEU: 6
; NumVGPRsForWavesPerEU: 1
; AccumOffset: 4
; Occupancy: 8
; WaveLimiterHint : 0
; COMPUTE_PGM_RSRC2:SCRATCH_EN: 0
; COMPUTE_PGM_RSRC2:USER_SGPR: 2
; COMPUTE_PGM_RSRC2:TRAP_HANDLER: 0
; COMPUTE_PGM_RSRC2:TGID_X_EN: 1
; COMPUTE_PGM_RSRC2:TGID_Y_EN: 0
; COMPUTE_PGM_RSRC2:TGID_Z_EN: 0
; COMPUTE_PGM_RSRC2:TIDIG_COMP_CNT: 0
; COMPUTE_PGM_RSRC3_GFX90A:ACCUM_OFFSET: 0
; COMPUTE_PGM_RSRC3_GFX90A:TG_SPLIT: 0
	.section	.text._ZN7rocprim17ROCPRIM_400000_NS6detail17trampoline_kernelINS0_14default_configENS1_38merge_sort_block_merge_config_selectorIisEEZZNS1_27merge_sort_block_merge_implIS3_N6thrust23THRUST_200600_302600_NS10device_ptrIiEENS9_IsEEjNS1_19radix_merge_compareILb0ELb0EiNS0_19identity_decomposerEEEEE10hipError_tT0_T1_T2_jT3_P12ihipStream_tbPNSt15iterator_traitsISG_E10value_typeEPNSM_ISH_E10value_typeEPSI_NS1_7vsmem_tEENKUlT_SG_SH_SI_E_clIPiSA_PsSB_EESF_SV_SG_SH_SI_EUlSV_E_NS1_11comp_targetILNS1_3genE4ELNS1_11target_archE910ELNS1_3gpuE8ELNS1_3repE0EEENS1_48merge_mergepath_partition_config_static_selectorELNS0_4arch9wavefront6targetE1EEEvSH_,"axG",@progbits,_ZN7rocprim17ROCPRIM_400000_NS6detail17trampoline_kernelINS0_14default_configENS1_38merge_sort_block_merge_config_selectorIisEEZZNS1_27merge_sort_block_merge_implIS3_N6thrust23THRUST_200600_302600_NS10device_ptrIiEENS9_IsEEjNS1_19radix_merge_compareILb0ELb0EiNS0_19identity_decomposerEEEEE10hipError_tT0_T1_T2_jT3_P12ihipStream_tbPNSt15iterator_traitsISG_E10value_typeEPNSM_ISH_E10value_typeEPSI_NS1_7vsmem_tEENKUlT_SG_SH_SI_E_clIPiSA_PsSB_EESF_SV_SG_SH_SI_EUlSV_E_NS1_11comp_targetILNS1_3genE4ELNS1_11target_archE910ELNS1_3gpuE8ELNS1_3repE0EEENS1_48merge_mergepath_partition_config_static_selectorELNS0_4arch9wavefront6targetE1EEEvSH_,comdat
	.protected	_ZN7rocprim17ROCPRIM_400000_NS6detail17trampoline_kernelINS0_14default_configENS1_38merge_sort_block_merge_config_selectorIisEEZZNS1_27merge_sort_block_merge_implIS3_N6thrust23THRUST_200600_302600_NS10device_ptrIiEENS9_IsEEjNS1_19radix_merge_compareILb0ELb0EiNS0_19identity_decomposerEEEEE10hipError_tT0_T1_T2_jT3_P12ihipStream_tbPNSt15iterator_traitsISG_E10value_typeEPNSM_ISH_E10value_typeEPSI_NS1_7vsmem_tEENKUlT_SG_SH_SI_E_clIPiSA_PsSB_EESF_SV_SG_SH_SI_EUlSV_E_NS1_11comp_targetILNS1_3genE4ELNS1_11target_archE910ELNS1_3gpuE8ELNS1_3repE0EEENS1_48merge_mergepath_partition_config_static_selectorELNS0_4arch9wavefront6targetE1EEEvSH_ ; -- Begin function _ZN7rocprim17ROCPRIM_400000_NS6detail17trampoline_kernelINS0_14default_configENS1_38merge_sort_block_merge_config_selectorIisEEZZNS1_27merge_sort_block_merge_implIS3_N6thrust23THRUST_200600_302600_NS10device_ptrIiEENS9_IsEEjNS1_19radix_merge_compareILb0ELb0EiNS0_19identity_decomposerEEEEE10hipError_tT0_T1_T2_jT3_P12ihipStream_tbPNSt15iterator_traitsISG_E10value_typeEPNSM_ISH_E10value_typeEPSI_NS1_7vsmem_tEENKUlT_SG_SH_SI_E_clIPiSA_PsSB_EESF_SV_SG_SH_SI_EUlSV_E_NS1_11comp_targetILNS1_3genE4ELNS1_11target_archE910ELNS1_3gpuE8ELNS1_3repE0EEENS1_48merge_mergepath_partition_config_static_selectorELNS0_4arch9wavefront6targetE1EEEvSH_
	.globl	_ZN7rocprim17ROCPRIM_400000_NS6detail17trampoline_kernelINS0_14default_configENS1_38merge_sort_block_merge_config_selectorIisEEZZNS1_27merge_sort_block_merge_implIS3_N6thrust23THRUST_200600_302600_NS10device_ptrIiEENS9_IsEEjNS1_19radix_merge_compareILb0ELb0EiNS0_19identity_decomposerEEEEE10hipError_tT0_T1_T2_jT3_P12ihipStream_tbPNSt15iterator_traitsISG_E10value_typeEPNSM_ISH_E10value_typeEPSI_NS1_7vsmem_tEENKUlT_SG_SH_SI_E_clIPiSA_PsSB_EESF_SV_SG_SH_SI_EUlSV_E_NS1_11comp_targetILNS1_3genE4ELNS1_11target_archE910ELNS1_3gpuE8ELNS1_3repE0EEENS1_48merge_mergepath_partition_config_static_selectorELNS0_4arch9wavefront6targetE1EEEvSH_
	.p2align	8
	.type	_ZN7rocprim17ROCPRIM_400000_NS6detail17trampoline_kernelINS0_14default_configENS1_38merge_sort_block_merge_config_selectorIisEEZZNS1_27merge_sort_block_merge_implIS3_N6thrust23THRUST_200600_302600_NS10device_ptrIiEENS9_IsEEjNS1_19radix_merge_compareILb0ELb0EiNS0_19identity_decomposerEEEEE10hipError_tT0_T1_T2_jT3_P12ihipStream_tbPNSt15iterator_traitsISG_E10value_typeEPNSM_ISH_E10value_typeEPSI_NS1_7vsmem_tEENKUlT_SG_SH_SI_E_clIPiSA_PsSB_EESF_SV_SG_SH_SI_EUlSV_E_NS1_11comp_targetILNS1_3genE4ELNS1_11target_archE910ELNS1_3gpuE8ELNS1_3repE0EEENS1_48merge_mergepath_partition_config_static_selectorELNS0_4arch9wavefront6targetE1EEEvSH_,@function
_ZN7rocprim17ROCPRIM_400000_NS6detail17trampoline_kernelINS0_14default_configENS1_38merge_sort_block_merge_config_selectorIisEEZZNS1_27merge_sort_block_merge_implIS3_N6thrust23THRUST_200600_302600_NS10device_ptrIiEENS9_IsEEjNS1_19radix_merge_compareILb0ELb0EiNS0_19identity_decomposerEEEEE10hipError_tT0_T1_T2_jT3_P12ihipStream_tbPNSt15iterator_traitsISG_E10value_typeEPNSM_ISH_E10value_typeEPSI_NS1_7vsmem_tEENKUlT_SG_SH_SI_E_clIPiSA_PsSB_EESF_SV_SG_SH_SI_EUlSV_E_NS1_11comp_targetILNS1_3genE4ELNS1_11target_archE910ELNS1_3gpuE8ELNS1_3repE0EEENS1_48merge_mergepath_partition_config_static_selectorELNS0_4arch9wavefront6targetE1EEEvSH_: ; @_ZN7rocprim17ROCPRIM_400000_NS6detail17trampoline_kernelINS0_14default_configENS1_38merge_sort_block_merge_config_selectorIisEEZZNS1_27merge_sort_block_merge_implIS3_N6thrust23THRUST_200600_302600_NS10device_ptrIiEENS9_IsEEjNS1_19radix_merge_compareILb0ELb0EiNS0_19identity_decomposerEEEEE10hipError_tT0_T1_T2_jT3_P12ihipStream_tbPNSt15iterator_traitsISG_E10value_typeEPNSM_ISH_E10value_typeEPSI_NS1_7vsmem_tEENKUlT_SG_SH_SI_E_clIPiSA_PsSB_EESF_SV_SG_SH_SI_EUlSV_E_NS1_11comp_targetILNS1_3genE4ELNS1_11target_archE910ELNS1_3gpuE8ELNS1_3repE0EEENS1_48merge_mergepath_partition_config_static_selectorELNS0_4arch9wavefront6targetE1EEEvSH_
; %bb.0:
	.section	.rodata,"a",@progbits
	.p2align	6, 0x0
	.amdhsa_kernel _ZN7rocprim17ROCPRIM_400000_NS6detail17trampoline_kernelINS0_14default_configENS1_38merge_sort_block_merge_config_selectorIisEEZZNS1_27merge_sort_block_merge_implIS3_N6thrust23THRUST_200600_302600_NS10device_ptrIiEENS9_IsEEjNS1_19radix_merge_compareILb0ELb0EiNS0_19identity_decomposerEEEEE10hipError_tT0_T1_T2_jT3_P12ihipStream_tbPNSt15iterator_traitsISG_E10value_typeEPNSM_ISH_E10value_typeEPSI_NS1_7vsmem_tEENKUlT_SG_SH_SI_E_clIPiSA_PsSB_EESF_SV_SG_SH_SI_EUlSV_E_NS1_11comp_targetILNS1_3genE4ELNS1_11target_archE910ELNS1_3gpuE8ELNS1_3repE0EEENS1_48merge_mergepath_partition_config_static_selectorELNS0_4arch9wavefront6targetE1EEEvSH_
		.amdhsa_group_segment_fixed_size 0
		.amdhsa_private_segment_fixed_size 0
		.amdhsa_kernarg_size 40
		.amdhsa_user_sgpr_count 2
		.amdhsa_user_sgpr_dispatch_ptr 0
		.amdhsa_user_sgpr_queue_ptr 0
		.amdhsa_user_sgpr_kernarg_segment_ptr 1
		.amdhsa_user_sgpr_dispatch_id 0
		.amdhsa_user_sgpr_kernarg_preload_length 0
		.amdhsa_user_sgpr_kernarg_preload_offset 0
		.amdhsa_user_sgpr_private_segment_size 0
		.amdhsa_uses_dynamic_stack 0
		.amdhsa_enable_private_segment 0
		.amdhsa_system_sgpr_workgroup_id_x 1
		.amdhsa_system_sgpr_workgroup_id_y 0
		.amdhsa_system_sgpr_workgroup_id_z 0
		.amdhsa_system_sgpr_workgroup_info 0
		.amdhsa_system_vgpr_workitem_id 0
		.amdhsa_next_free_vgpr 1
		.amdhsa_next_free_sgpr 0
		.amdhsa_accum_offset 4
		.amdhsa_reserve_vcc 0
		.amdhsa_float_round_mode_32 0
		.amdhsa_float_round_mode_16_64 0
		.amdhsa_float_denorm_mode_32 3
		.amdhsa_float_denorm_mode_16_64 3
		.amdhsa_dx10_clamp 1
		.amdhsa_ieee_mode 1
		.amdhsa_fp16_overflow 0
		.amdhsa_tg_split 0
		.amdhsa_exception_fp_ieee_invalid_op 0
		.amdhsa_exception_fp_denorm_src 0
		.amdhsa_exception_fp_ieee_div_zero 0
		.amdhsa_exception_fp_ieee_overflow 0
		.amdhsa_exception_fp_ieee_underflow 0
		.amdhsa_exception_fp_ieee_inexact 0
		.amdhsa_exception_int_div_zero 0
	.end_amdhsa_kernel
	.section	.text._ZN7rocprim17ROCPRIM_400000_NS6detail17trampoline_kernelINS0_14default_configENS1_38merge_sort_block_merge_config_selectorIisEEZZNS1_27merge_sort_block_merge_implIS3_N6thrust23THRUST_200600_302600_NS10device_ptrIiEENS9_IsEEjNS1_19radix_merge_compareILb0ELb0EiNS0_19identity_decomposerEEEEE10hipError_tT0_T1_T2_jT3_P12ihipStream_tbPNSt15iterator_traitsISG_E10value_typeEPNSM_ISH_E10value_typeEPSI_NS1_7vsmem_tEENKUlT_SG_SH_SI_E_clIPiSA_PsSB_EESF_SV_SG_SH_SI_EUlSV_E_NS1_11comp_targetILNS1_3genE4ELNS1_11target_archE910ELNS1_3gpuE8ELNS1_3repE0EEENS1_48merge_mergepath_partition_config_static_selectorELNS0_4arch9wavefront6targetE1EEEvSH_,"axG",@progbits,_ZN7rocprim17ROCPRIM_400000_NS6detail17trampoline_kernelINS0_14default_configENS1_38merge_sort_block_merge_config_selectorIisEEZZNS1_27merge_sort_block_merge_implIS3_N6thrust23THRUST_200600_302600_NS10device_ptrIiEENS9_IsEEjNS1_19radix_merge_compareILb0ELb0EiNS0_19identity_decomposerEEEEE10hipError_tT0_T1_T2_jT3_P12ihipStream_tbPNSt15iterator_traitsISG_E10value_typeEPNSM_ISH_E10value_typeEPSI_NS1_7vsmem_tEENKUlT_SG_SH_SI_E_clIPiSA_PsSB_EESF_SV_SG_SH_SI_EUlSV_E_NS1_11comp_targetILNS1_3genE4ELNS1_11target_archE910ELNS1_3gpuE8ELNS1_3repE0EEENS1_48merge_mergepath_partition_config_static_selectorELNS0_4arch9wavefront6targetE1EEEvSH_,comdat
.Lfunc_end2293:
	.size	_ZN7rocprim17ROCPRIM_400000_NS6detail17trampoline_kernelINS0_14default_configENS1_38merge_sort_block_merge_config_selectorIisEEZZNS1_27merge_sort_block_merge_implIS3_N6thrust23THRUST_200600_302600_NS10device_ptrIiEENS9_IsEEjNS1_19radix_merge_compareILb0ELb0EiNS0_19identity_decomposerEEEEE10hipError_tT0_T1_T2_jT3_P12ihipStream_tbPNSt15iterator_traitsISG_E10value_typeEPNSM_ISH_E10value_typeEPSI_NS1_7vsmem_tEENKUlT_SG_SH_SI_E_clIPiSA_PsSB_EESF_SV_SG_SH_SI_EUlSV_E_NS1_11comp_targetILNS1_3genE4ELNS1_11target_archE910ELNS1_3gpuE8ELNS1_3repE0EEENS1_48merge_mergepath_partition_config_static_selectorELNS0_4arch9wavefront6targetE1EEEvSH_, .Lfunc_end2293-_ZN7rocprim17ROCPRIM_400000_NS6detail17trampoline_kernelINS0_14default_configENS1_38merge_sort_block_merge_config_selectorIisEEZZNS1_27merge_sort_block_merge_implIS3_N6thrust23THRUST_200600_302600_NS10device_ptrIiEENS9_IsEEjNS1_19radix_merge_compareILb0ELb0EiNS0_19identity_decomposerEEEEE10hipError_tT0_T1_T2_jT3_P12ihipStream_tbPNSt15iterator_traitsISG_E10value_typeEPNSM_ISH_E10value_typeEPSI_NS1_7vsmem_tEENKUlT_SG_SH_SI_E_clIPiSA_PsSB_EESF_SV_SG_SH_SI_EUlSV_E_NS1_11comp_targetILNS1_3genE4ELNS1_11target_archE910ELNS1_3gpuE8ELNS1_3repE0EEENS1_48merge_mergepath_partition_config_static_selectorELNS0_4arch9wavefront6targetE1EEEvSH_
                                        ; -- End function
	.set _ZN7rocprim17ROCPRIM_400000_NS6detail17trampoline_kernelINS0_14default_configENS1_38merge_sort_block_merge_config_selectorIisEEZZNS1_27merge_sort_block_merge_implIS3_N6thrust23THRUST_200600_302600_NS10device_ptrIiEENS9_IsEEjNS1_19radix_merge_compareILb0ELb0EiNS0_19identity_decomposerEEEEE10hipError_tT0_T1_T2_jT3_P12ihipStream_tbPNSt15iterator_traitsISG_E10value_typeEPNSM_ISH_E10value_typeEPSI_NS1_7vsmem_tEENKUlT_SG_SH_SI_E_clIPiSA_PsSB_EESF_SV_SG_SH_SI_EUlSV_E_NS1_11comp_targetILNS1_3genE4ELNS1_11target_archE910ELNS1_3gpuE8ELNS1_3repE0EEENS1_48merge_mergepath_partition_config_static_selectorELNS0_4arch9wavefront6targetE1EEEvSH_.num_vgpr, 0
	.set _ZN7rocprim17ROCPRIM_400000_NS6detail17trampoline_kernelINS0_14default_configENS1_38merge_sort_block_merge_config_selectorIisEEZZNS1_27merge_sort_block_merge_implIS3_N6thrust23THRUST_200600_302600_NS10device_ptrIiEENS9_IsEEjNS1_19radix_merge_compareILb0ELb0EiNS0_19identity_decomposerEEEEE10hipError_tT0_T1_T2_jT3_P12ihipStream_tbPNSt15iterator_traitsISG_E10value_typeEPNSM_ISH_E10value_typeEPSI_NS1_7vsmem_tEENKUlT_SG_SH_SI_E_clIPiSA_PsSB_EESF_SV_SG_SH_SI_EUlSV_E_NS1_11comp_targetILNS1_3genE4ELNS1_11target_archE910ELNS1_3gpuE8ELNS1_3repE0EEENS1_48merge_mergepath_partition_config_static_selectorELNS0_4arch9wavefront6targetE1EEEvSH_.num_agpr, 0
	.set _ZN7rocprim17ROCPRIM_400000_NS6detail17trampoline_kernelINS0_14default_configENS1_38merge_sort_block_merge_config_selectorIisEEZZNS1_27merge_sort_block_merge_implIS3_N6thrust23THRUST_200600_302600_NS10device_ptrIiEENS9_IsEEjNS1_19radix_merge_compareILb0ELb0EiNS0_19identity_decomposerEEEEE10hipError_tT0_T1_T2_jT3_P12ihipStream_tbPNSt15iterator_traitsISG_E10value_typeEPNSM_ISH_E10value_typeEPSI_NS1_7vsmem_tEENKUlT_SG_SH_SI_E_clIPiSA_PsSB_EESF_SV_SG_SH_SI_EUlSV_E_NS1_11comp_targetILNS1_3genE4ELNS1_11target_archE910ELNS1_3gpuE8ELNS1_3repE0EEENS1_48merge_mergepath_partition_config_static_selectorELNS0_4arch9wavefront6targetE1EEEvSH_.numbered_sgpr, 0
	.set _ZN7rocprim17ROCPRIM_400000_NS6detail17trampoline_kernelINS0_14default_configENS1_38merge_sort_block_merge_config_selectorIisEEZZNS1_27merge_sort_block_merge_implIS3_N6thrust23THRUST_200600_302600_NS10device_ptrIiEENS9_IsEEjNS1_19radix_merge_compareILb0ELb0EiNS0_19identity_decomposerEEEEE10hipError_tT0_T1_T2_jT3_P12ihipStream_tbPNSt15iterator_traitsISG_E10value_typeEPNSM_ISH_E10value_typeEPSI_NS1_7vsmem_tEENKUlT_SG_SH_SI_E_clIPiSA_PsSB_EESF_SV_SG_SH_SI_EUlSV_E_NS1_11comp_targetILNS1_3genE4ELNS1_11target_archE910ELNS1_3gpuE8ELNS1_3repE0EEENS1_48merge_mergepath_partition_config_static_selectorELNS0_4arch9wavefront6targetE1EEEvSH_.num_named_barrier, 0
	.set _ZN7rocprim17ROCPRIM_400000_NS6detail17trampoline_kernelINS0_14default_configENS1_38merge_sort_block_merge_config_selectorIisEEZZNS1_27merge_sort_block_merge_implIS3_N6thrust23THRUST_200600_302600_NS10device_ptrIiEENS9_IsEEjNS1_19radix_merge_compareILb0ELb0EiNS0_19identity_decomposerEEEEE10hipError_tT0_T1_T2_jT3_P12ihipStream_tbPNSt15iterator_traitsISG_E10value_typeEPNSM_ISH_E10value_typeEPSI_NS1_7vsmem_tEENKUlT_SG_SH_SI_E_clIPiSA_PsSB_EESF_SV_SG_SH_SI_EUlSV_E_NS1_11comp_targetILNS1_3genE4ELNS1_11target_archE910ELNS1_3gpuE8ELNS1_3repE0EEENS1_48merge_mergepath_partition_config_static_selectorELNS0_4arch9wavefront6targetE1EEEvSH_.private_seg_size, 0
	.set _ZN7rocprim17ROCPRIM_400000_NS6detail17trampoline_kernelINS0_14default_configENS1_38merge_sort_block_merge_config_selectorIisEEZZNS1_27merge_sort_block_merge_implIS3_N6thrust23THRUST_200600_302600_NS10device_ptrIiEENS9_IsEEjNS1_19radix_merge_compareILb0ELb0EiNS0_19identity_decomposerEEEEE10hipError_tT0_T1_T2_jT3_P12ihipStream_tbPNSt15iterator_traitsISG_E10value_typeEPNSM_ISH_E10value_typeEPSI_NS1_7vsmem_tEENKUlT_SG_SH_SI_E_clIPiSA_PsSB_EESF_SV_SG_SH_SI_EUlSV_E_NS1_11comp_targetILNS1_3genE4ELNS1_11target_archE910ELNS1_3gpuE8ELNS1_3repE0EEENS1_48merge_mergepath_partition_config_static_selectorELNS0_4arch9wavefront6targetE1EEEvSH_.uses_vcc, 0
	.set _ZN7rocprim17ROCPRIM_400000_NS6detail17trampoline_kernelINS0_14default_configENS1_38merge_sort_block_merge_config_selectorIisEEZZNS1_27merge_sort_block_merge_implIS3_N6thrust23THRUST_200600_302600_NS10device_ptrIiEENS9_IsEEjNS1_19radix_merge_compareILb0ELb0EiNS0_19identity_decomposerEEEEE10hipError_tT0_T1_T2_jT3_P12ihipStream_tbPNSt15iterator_traitsISG_E10value_typeEPNSM_ISH_E10value_typeEPSI_NS1_7vsmem_tEENKUlT_SG_SH_SI_E_clIPiSA_PsSB_EESF_SV_SG_SH_SI_EUlSV_E_NS1_11comp_targetILNS1_3genE4ELNS1_11target_archE910ELNS1_3gpuE8ELNS1_3repE0EEENS1_48merge_mergepath_partition_config_static_selectorELNS0_4arch9wavefront6targetE1EEEvSH_.uses_flat_scratch, 0
	.set _ZN7rocprim17ROCPRIM_400000_NS6detail17trampoline_kernelINS0_14default_configENS1_38merge_sort_block_merge_config_selectorIisEEZZNS1_27merge_sort_block_merge_implIS3_N6thrust23THRUST_200600_302600_NS10device_ptrIiEENS9_IsEEjNS1_19radix_merge_compareILb0ELb0EiNS0_19identity_decomposerEEEEE10hipError_tT0_T1_T2_jT3_P12ihipStream_tbPNSt15iterator_traitsISG_E10value_typeEPNSM_ISH_E10value_typeEPSI_NS1_7vsmem_tEENKUlT_SG_SH_SI_E_clIPiSA_PsSB_EESF_SV_SG_SH_SI_EUlSV_E_NS1_11comp_targetILNS1_3genE4ELNS1_11target_archE910ELNS1_3gpuE8ELNS1_3repE0EEENS1_48merge_mergepath_partition_config_static_selectorELNS0_4arch9wavefront6targetE1EEEvSH_.has_dyn_sized_stack, 0
	.set _ZN7rocprim17ROCPRIM_400000_NS6detail17trampoline_kernelINS0_14default_configENS1_38merge_sort_block_merge_config_selectorIisEEZZNS1_27merge_sort_block_merge_implIS3_N6thrust23THRUST_200600_302600_NS10device_ptrIiEENS9_IsEEjNS1_19radix_merge_compareILb0ELb0EiNS0_19identity_decomposerEEEEE10hipError_tT0_T1_T2_jT3_P12ihipStream_tbPNSt15iterator_traitsISG_E10value_typeEPNSM_ISH_E10value_typeEPSI_NS1_7vsmem_tEENKUlT_SG_SH_SI_E_clIPiSA_PsSB_EESF_SV_SG_SH_SI_EUlSV_E_NS1_11comp_targetILNS1_3genE4ELNS1_11target_archE910ELNS1_3gpuE8ELNS1_3repE0EEENS1_48merge_mergepath_partition_config_static_selectorELNS0_4arch9wavefront6targetE1EEEvSH_.has_recursion, 0
	.set _ZN7rocprim17ROCPRIM_400000_NS6detail17trampoline_kernelINS0_14default_configENS1_38merge_sort_block_merge_config_selectorIisEEZZNS1_27merge_sort_block_merge_implIS3_N6thrust23THRUST_200600_302600_NS10device_ptrIiEENS9_IsEEjNS1_19radix_merge_compareILb0ELb0EiNS0_19identity_decomposerEEEEE10hipError_tT0_T1_T2_jT3_P12ihipStream_tbPNSt15iterator_traitsISG_E10value_typeEPNSM_ISH_E10value_typeEPSI_NS1_7vsmem_tEENKUlT_SG_SH_SI_E_clIPiSA_PsSB_EESF_SV_SG_SH_SI_EUlSV_E_NS1_11comp_targetILNS1_3genE4ELNS1_11target_archE910ELNS1_3gpuE8ELNS1_3repE0EEENS1_48merge_mergepath_partition_config_static_selectorELNS0_4arch9wavefront6targetE1EEEvSH_.has_indirect_call, 0
	.section	.AMDGPU.csdata,"",@progbits
; Kernel info:
; codeLenInByte = 0
; TotalNumSgprs: 6
; NumVgprs: 0
; NumAgprs: 0
; TotalNumVgprs: 0
; ScratchSize: 0
; MemoryBound: 0
; FloatMode: 240
; IeeeMode: 1
; LDSByteSize: 0 bytes/workgroup (compile time only)
; SGPRBlocks: 0
; VGPRBlocks: 0
; NumSGPRsForWavesPerEU: 6
; NumVGPRsForWavesPerEU: 1
; AccumOffset: 4
; Occupancy: 8
; WaveLimiterHint : 0
; COMPUTE_PGM_RSRC2:SCRATCH_EN: 0
; COMPUTE_PGM_RSRC2:USER_SGPR: 2
; COMPUTE_PGM_RSRC2:TRAP_HANDLER: 0
; COMPUTE_PGM_RSRC2:TGID_X_EN: 1
; COMPUTE_PGM_RSRC2:TGID_Y_EN: 0
; COMPUTE_PGM_RSRC2:TGID_Z_EN: 0
; COMPUTE_PGM_RSRC2:TIDIG_COMP_CNT: 0
; COMPUTE_PGM_RSRC3_GFX90A:ACCUM_OFFSET: 0
; COMPUTE_PGM_RSRC3_GFX90A:TG_SPLIT: 0
	.section	.text._ZN7rocprim17ROCPRIM_400000_NS6detail17trampoline_kernelINS0_14default_configENS1_38merge_sort_block_merge_config_selectorIisEEZZNS1_27merge_sort_block_merge_implIS3_N6thrust23THRUST_200600_302600_NS10device_ptrIiEENS9_IsEEjNS1_19radix_merge_compareILb0ELb0EiNS0_19identity_decomposerEEEEE10hipError_tT0_T1_T2_jT3_P12ihipStream_tbPNSt15iterator_traitsISG_E10value_typeEPNSM_ISH_E10value_typeEPSI_NS1_7vsmem_tEENKUlT_SG_SH_SI_E_clIPiSA_PsSB_EESF_SV_SG_SH_SI_EUlSV_E_NS1_11comp_targetILNS1_3genE3ELNS1_11target_archE908ELNS1_3gpuE7ELNS1_3repE0EEENS1_48merge_mergepath_partition_config_static_selectorELNS0_4arch9wavefront6targetE1EEEvSH_,"axG",@progbits,_ZN7rocprim17ROCPRIM_400000_NS6detail17trampoline_kernelINS0_14default_configENS1_38merge_sort_block_merge_config_selectorIisEEZZNS1_27merge_sort_block_merge_implIS3_N6thrust23THRUST_200600_302600_NS10device_ptrIiEENS9_IsEEjNS1_19radix_merge_compareILb0ELb0EiNS0_19identity_decomposerEEEEE10hipError_tT0_T1_T2_jT3_P12ihipStream_tbPNSt15iterator_traitsISG_E10value_typeEPNSM_ISH_E10value_typeEPSI_NS1_7vsmem_tEENKUlT_SG_SH_SI_E_clIPiSA_PsSB_EESF_SV_SG_SH_SI_EUlSV_E_NS1_11comp_targetILNS1_3genE3ELNS1_11target_archE908ELNS1_3gpuE7ELNS1_3repE0EEENS1_48merge_mergepath_partition_config_static_selectorELNS0_4arch9wavefront6targetE1EEEvSH_,comdat
	.protected	_ZN7rocprim17ROCPRIM_400000_NS6detail17trampoline_kernelINS0_14default_configENS1_38merge_sort_block_merge_config_selectorIisEEZZNS1_27merge_sort_block_merge_implIS3_N6thrust23THRUST_200600_302600_NS10device_ptrIiEENS9_IsEEjNS1_19radix_merge_compareILb0ELb0EiNS0_19identity_decomposerEEEEE10hipError_tT0_T1_T2_jT3_P12ihipStream_tbPNSt15iterator_traitsISG_E10value_typeEPNSM_ISH_E10value_typeEPSI_NS1_7vsmem_tEENKUlT_SG_SH_SI_E_clIPiSA_PsSB_EESF_SV_SG_SH_SI_EUlSV_E_NS1_11comp_targetILNS1_3genE3ELNS1_11target_archE908ELNS1_3gpuE7ELNS1_3repE0EEENS1_48merge_mergepath_partition_config_static_selectorELNS0_4arch9wavefront6targetE1EEEvSH_ ; -- Begin function _ZN7rocprim17ROCPRIM_400000_NS6detail17trampoline_kernelINS0_14default_configENS1_38merge_sort_block_merge_config_selectorIisEEZZNS1_27merge_sort_block_merge_implIS3_N6thrust23THRUST_200600_302600_NS10device_ptrIiEENS9_IsEEjNS1_19radix_merge_compareILb0ELb0EiNS0_19identity_decomposerEEEEE10hipError_tT0_T1_T2_jT3_P12ihipStream_tbPNSt15iterator_traitsISG_E10value_typeEPNSM_ISH_E10value_typeEPSI_NS1_7vsmem_tEENKUlT_SG_SH_SI_E_clIPiSA_PsSB_EESF_SV_SG_SH_SI_EUlSV_E_NS1_11comp_targetILNS1_3genE3ELNS1_11target_archE908ELNS1_3gpuE7ELNS1_3repE0EEENS1_48merge_mergepath_partition_config_static_selectorELNS0_4arch9wavefront6targetE1EEEvSH_
	.globl	_ZN7rocprim17ROCPRIM_400000_NS6detail17trampoline_kernelINS0_14default_configENS1_38merge_sort_block_merge_config_selectorIisEEZZNS1_27merge_sort_block_merge_implIS3_N6thrust23THRUST_200600_302600_NS10device_ptrIiEENS9_IsEEjNS1_19radix_merge_compareILb0ELb0EiNS0_19identity_decomposerEEEEE10hipError_tT0_T1_T2_jT3_P12ihipStream_tbPNSt15iterator_traitsISG_E10value_typeEPNSM_ISH_E10value_typeEPSI_NS1_7vsmem_tEENKUlT_SG_SH_SI_E_clIPiSA_PsSB_EESF_SV_SG_SH_SI_EUlSV_E_NS1_11comp_targetILNS1_3genE3ELNS1_11target_archE908ELNS1_3gpuE7ELNS1_3repE0EEENS1_48merge_mergepath_partition_config_static_selectorELNS0_4arch9wavefront6targetE1EEEvSH_
	.p2align	8
	.type	_ZN7rocprim17ROCPRIM_400000_NS6detail17trampoline_kernelINS0_14default_configENS1_38merge_sort_block_merge_config_selectorIisEEZZNS1_27merge_sort_block_merge_implIS3_N6thrust23THRUST_200600_302600_NS10device_ptrIiEENS9_IsEEjNS1_19radix_merge_compareILb0ELb0EiNS0_19identity_decomposerEEEEE10hipError_tT0_T1_T2_jT3_P12ihipStream_tbPNSt15iterator_traitsISG_E10value_typeEPNSM_ISH_E10value_typeEPSI_NS1_7vsmem_tEENKUlT_SG_SH_SI_E_clIPiSA_PsSB_EESF_SV_SG_SH_SI_EUlSV_E_NS1_11comp_targetILNS1_3genE3ELNS1_11target_archE908ELNS1_3gpuE7ELNS1_3repE0EEENS1_48merge_mergepath_partition_config_static_selectorELNS0_4arch9wavefront6targetE1EEEvSH_,@function
_ZN7rocprim17ROCPRIM_400000_NS6detail17trampoline_kernelINS0_14default_configENS1_38merge_sort_block_merge_config_selectorIisEEZZNS1_27merge_sort_block_merge_implIS3_N6thrust23THRUST_200600_302600_NS10device_ptrIiEENS9_IsEEjNS1_19radix_merge_compareILb0ELb0EiNS0_19identity_decomposerEEEEE10hipError_tT0_T1_T2_jT3_P12ihipStream_tbPNSt15iterator_traitsISG_E10value_typeEPNSM_ISH_E10value_typeEPSI_NS1_7vsmem_tEENKUlT_SG_SH_SI_E_clIPiSA_PsSB_EESF_SV_SG_SH_SI_EUlSV_E_NS1_11comp_targetILNS1_3genE3ELNS1_11target_archE908ELNS1_3gpuE7ELNS1_3repE0EEENS1_48merge_mergepath_partition_config_static_selectorELNS0_4arch9wavefront6targetE1EEEvSH_: ; @_ZN7rocprim17ROCPRIM_400000_NS6detail17trampoline_kernelINS0_14default_configENS1_38merge_sort_block_merge_config_selectorIisEEZZNS1_27merge_sort_block_merge_implIS3_N6thrust23THRUST_200600_302600_NS10device_ptrIiEENS9_IsEEjNS1_19radix_merge_compareILb0ELb0EiNS0_19identity_decomposerEEEEE10hipError_tT0_T1_T2_jT3_P12ihipStream_tbPNSt15iterator_traitsISG_E10value_typeEPNSM_ISH_E10value_typeEPSI_NS1_7vsmem_tEENKUlT_SG_SH_SI_E_clIPiSA_PsSB_EESF_SV_SG_SH_SI_EUlSV_E_NS1_11comp_targetILNS1_3genE3ELNS1_11target_archE908ELNS1_3gpuE7ELNS1_3repE0EEENS1_48merge_mergepath_partition_config_static_selectorELNS0_4arch9wavefront6targetE1EEEvSH_
; %bb.0:
	.section	.rodata,"a",@progbits
	.p2align	6, 0x0
	.amdhsa_kernel _ZN7rocprim17ROCPRIM_400000_NS6detail17trampoline_kernelINS0_14default_configENS1_38merge_sort_block_merge_config_selectorIisEEZZNS1_27merge_sort_block_merge_implIS3_N6thrust23THRUST_200600_302600_NS10device_ptrIiEENS9_IsEEjNS1_19radix_merge_compareILb0ELb0EiNS0_19identity_decomposerEEEEE10hipError_tT0_T1_T2_jT3_P12ihipStream_tbPNSt15iterator_traitsISG_E10value_typeEPNSM_ISH_E10value_typeEPSI_NS1_7vsmem_tEENKUlT_SG_SH_SI_E_clIPiSA_PsSB_EESF_SV_SG_SH_SI_EUlSV_E_NS1_11comp_targetILNS1_3genE3ELNS1_11target_archE908ELNS1_3gpuE7ELNS1_3repE0EEENS1_48merge_mergepath_partition_config_static_selectorELNS0_4arch9wavefront6targetE1EEEvSH_
		.amdhsa_group_segment_fixed_size 0
		.amdhsa_private_segment_fixed_size 0
		.amdhsa_kernarg_size 40
		.amdhsa_user_sgpr_count 2
		.amdhsa_user_sgpr_dispatch_ptr 0
		.amdhsa_user_sgpr_queue_ptr 0
		.amdhsa_user_sgpr_kernarg_segment_ptr 1
		.amdhsa_user_sgpr_dispatch_id 0
		.amdhsa_user_sgpr_kernarg_preload_length 0
		.amdhsa_user_sgpr_kernarg_preload_offset 0
		.amdhsa_user_sgpr_private_segment_size 0
		.amdhsa_uses_dynamic_stack 0
		.amdhsa_enable_private_segment 0
		.amdhsa_system_sgpr_workgroup_id_x 1
		.amdhsa_system_sgpr_workgroup_id_y 0
		.amdhsa_system_sgpr_workgroup_id_z 0
		.amdhsa_system_sgpr_workgroup_info 0
		.amdhsa_system_vgpr_workitem_id 0
		.amdhsa_next_free_vgpr 1
		.amdhsa_next_free_sgpr 0
		.amdhsa_accum_offset 4
		.amdhsa_reserve_vcc 0
		.amdhsa_float_round_mode_32 0
		.amdhsa_float_round_mode_16_64 0
		.amdhsa_float_denorm_mode_32 3
		.amdhsa_float_denorm_mode_16_64 3
		.amdhsa_dx10_clamp 1
		.amdhsa_ieee_mode 1
		.amdhsa_fp16_overflow 0
		.amdhsa_tg_split 0
		.amdhsa_exception_fp_ieee_invalid_op 0
		.amdhsa_exception_fp_denorm_src 0
		.amdhsa_exception_fp_ieee_div_zero 0
		.amdhsa_exception_fp_ieee_overflow 0
		.amdhsa_exception_fp_ieee_underflow 0
		.amdhsa_exception_fp_ieee_inexact 0
		.amdhsa_exception_int_div_zero 0
	.end_amdhsa_kernel
	.section	.text._ZN7rocprim17ROCPRIM_400000_NS6detail17trampoline_kernelINS0_14default_configENS1_38merge_sort_block_merge_config_selectorIisEEZZNS1_27merge_sort_block_merge_implIS3_N6thrust23THRUST_200600_302600_NS10device_ptrIiEENS9_IsEEjNS1_19radix_merge_compareILb0ELb0EiNS0_19identity_decomposerEEEEE10hipError_tT0_T1_T2_jT3_P12ihipStream_tbPNSt15iterator_traitsISG_E10value_typeEPNSM_ISH_E10value_typeEPSI_NS1_7vsmem_tEENKUlT_SG_SH_SI_E_clIPiSA_PsSB_EESF_SV_SG_SH_SI_EUlSV_E_NS1_11comp_targetILNS1_3genE3ELNS1_11target_archE908ELNS1_3gpuE7ELNS1_3repE0EEENS1_48merge_mergepath_partition_config_static_selectorELNS0_4arch9wavefront6targetE1EEEvSH_,"axG",@progbits,_ZN7rocprim17ROCPRIM_400000_NS6detail17trampoline_kernelINS0_14default_configENS1_38merge_sort_block_merge_config_selectorIisEEZZNS1_27merge_sort_block_merge_implIS3_N6thrust23THRUST_200600_302600_NS10device_ptrIiEENS9_IsEEjNS1_19radix_merge_compareILb0ELb0EiNS0_19identity_decomposerEEEEE10hipError_tT0_T1_T2_jT3_P12ihipStream_tbPNSt15iterator_traitsISG_E10value_typeEPNSM_ISH_E10value_typeEPSI_NS1_7vsmem_tEENKUlT_SG_SH_SI_E_clIPiSA_PsSB_EESF_SV_SG_SH_SI_EUlSV_E_NS1_11comp_targetILNS1_3genE3ELNS1_11target_archE908ELNS1_3gpuE7ELNS1_3repE0EEENS1_48merge_mergepath_partition_config_static_selectorELNS0_4arch9wavefront6targetE1EEEvSH_,comdat
.Lfunc_end2294:
	.size	_ZN7rocprim17ROCPRIM_400000_NS6detail17trampoline_kernelINS0_14default_configENS1_38merge_sort_block_merge_config_selectorIisEEZZNS1_27merge_sort_block_merge_implIS3_N6thrust23THRUST_200600_302600_NS10device_ptrIiEENS9_IsEEjNS1_19radix_merge_compareILb0ELb0EiNS0_19identity_decomposerEEEEE10hipError_tT0_T1_T2_jT3_P12ihipStream_tbPNSt15iterator_traitsISG_E10value_typeEPNSM_ISH_E10value_typeEPSI_NS1_7vsmem_tEENKUlT_SG_SH_SI_E_clIPiSA_PsSB_EESF_SV_SG_SH_SI_EUlSV_E_NS1_11comp_targetILNS1_3genE3ELNS1_11target_archE908ELNS1_3gpuE7ELNS1_3repE0EEENS1_48merge_mergepath_partition_config_static_selectorELNS0_4arch9wavefront6targetE1EEEvSH_, .Lfunc_end2294-_ZN7rocprim17ROCPRIM_400000_NS6detail17trampoline_kernelINS0_14default_configENS1_38merge_sort_block_merge_config_selectorIisEEZZNS1_27merge_sort_block_merge_implIS3_N6thrust23THRUST_200600_302600_NS10device_ptrIiEENS9_IsEEjNS1_19radix_merge_compareILb0ELb0EiNS0_19identity_decomposerEEEEE10hipError_tT0_T1_T2_jT3_P12ihipStream_tbPNSt15iterator_traitsISG_E10value_typeEPNSM_ISH_E10value_typeEPSI_NS1_7vsmem_tEENKUlT_SG_SH_SI_E_clIPiSA_PsSB_EESF_SV_SG_SH_SI_EUlSV_E_NS1_11comp_targetILNS1_3genE3ELNS1_11target_archE908ELNS1_3gpuE7ELNS1_3repE0EEENS1_48merge_mergepath_partition_config_static_selectorELNS0_4arch9wavefront6targetE1EEEvSH_
                                        ; -- End function
	.set _ZN7rocprim17ROCPRIM_400000_NS6detail17trampoline_kernelINS0_14default_configENS1_38merge_sort_block_merge_config_selectorIisEEZZNS1_27merge_sort_block_merge_implIS3_N6thrust23THRUST_200600_302600_NS10device_ptrIiEENS9_IsEEjNS1_19radix_merge_compareILb0ELb0EiNS0_19identity_decomposerEEEEE10hipError_tT0_T1_T2_jT3_P12ihipStream_tbPNSt15iterator_traitsISG_E10value_typeEPNSM_ISH_E10value_typeEPSI_NS1_7vsmem_tEENKUlT_SG_SH_SI_E_clIPiSA_PsSB_EESF_SV_SG_SH_SI_EUlSV_E_NS1_11comp_targetILNS1_3genE3ELNS1_11target_archE908ELNS1_3gpuE7ELNS1_3repE0EEENS1_48merge_mergepath_partition_config_static_selectorELNS0_4arch9wavefront6targetE1EEEvSH_.num_vgpr, 0
	.set _ZN7rocprim17ROCPRIM_400000_NS6detail17trampoline_kernelINS0_14default_configENS1_38merge_sort_block_merge_config_selectorIisEEZZNS1_27merge_sort_block_merge_implIS3_N6thrust23THRUST_200600_302600_NS10device_ptrIiEENS9_IsEEjNS1_19radix_merge_compareILb0ELb0EiNS0_19identity_decomposerEEEEE10hipError_tT0_T1_T2_jT3_P12ihipStream_tbPNSt15iterator_traitsISG_E10value_typeEPNSM_ISH_E10value_typeEPSI_NS1_7vsmem_tEENKUlT_SG_SH_SI_E_clIPiSA_PsSB_EESF_SV_SG_SH_SI_EUlSV_E_NS1_11comp_targetILNS1_3genE3ELNS1_11target_archE908ELNS1_3gpuE7ELNS1_3repE0EEENS1_48merge_mergepath_partition_config_static_selectorELNS0_4arch9wavefront6targetE1EEEvSH_.num_agpr, 0
	.set _ZN7rocprim17ROCPRIM_400000_NS6detail17trampoline_kernelINS0_14default_configENS1_38merge_sort_block_merge_config_selectorIisEEZZNS1_27merge_sort_block_merge_implIS3_N6thrust23THRUST_200600_302600_NS10device_ptrIiEENS9_IsEEjNS1_19radix_merge_compareILb0ELb0EiNS0_19identity_decomposerEEEEE10hipError_tT0_T1_T2_jT3_P12ihipStream_tbPNSt15iterator_traitsISG_E10value_typeEPNSM_ISH_E10value_typeEPSI_NS1_7vsmem_tEENKUlT_SG_SH_SI_E_clIPiSA_PsSB_EESF_SV_SG_SH_SI_EUlSV_E_NS1_11comp_targetILNS1_3genE3ELNS1_11target_archE908ELNS1_3gpuE7ELNS1_3repE0EEENS1_48merge_mergepath_partition_config_static_selectorELNS0_4arch9wavefront6targetE1EEEvSH_.numbered_sgpr, 0
	.set _ZN7rocprim17ROCPRIM_400000_NS6detail17trampoline_kernelINS0_14default_configENS1_38merge_sort_block_merge_config_selectorIisEEZZNS1_27merge_sort_block_merge_implIS3_N6thrust23THRUST_200600_302600_NS10device_ptrIiEENS9_IsEEjNS1_19radix_merge_compareILb0ELb0EiNS0_19identity_decomposerEEEEE10hipError_tT0_T1_T2_jT3_P12ihipStream_tbPNSt15iterator_traitsISG_E10value_typeEPNSM_ISH_E10value_typeEPSI_NS1_7vsmem_tEENKUlT_SG_SH_SI_E_clIPiSA_PsSB_EESF_SV_SG_SH_SI_EUlSV_E_NS1_11comp_targetILNS1_3genE3ELNS1_11target_archE908ELNS1_3gpuE7ELNS1_3repE0EEENS1_48merge_mergepath_partition_config_static_selectorELNS0_4arch9wavefront6targetE1EEEvSH_.num_named_barrier, 0
	.set _ZN7rocprim17ROCPRIM_400000_NS6detail17trampoline_kernelINS0_14default_configENS1_38merge_sort_block_merge_config_selectorIisEEZZNS1_27merge_sort_block_merge_implIS3_N6thrust23THRUST_200600_302600_NS10device_ptrIiEENS9_IsEEjNS1_19radix_merge_compareILb0ELb0EiNS0_19identity_decomposerEEEEE10hipError_tT0_T1_T2_jT3_P12ihipStream_tbPNSt15iterator_traitsISG_E10value_typeEPNSM_ISH_E10value_typeEPSI_NS1_7vsmem_tEENKUlT_SG_SH_SI_E_clIPiSA_PsSB_EESF_SV_SG_SH_SI_EUlSV_E_NS1_11comp_targetILNS1_3genE3ELNS1_11target_archE908ELNS1_3gpuE7ELNS1_3repE0EEENS1_48merge_mergepath_partition_config_static_selectorELNS0_4arch9wavefront6targetE1EEEvSH_.private_seg_size, 0
	.set _ZN7rocprim17ROCPRIM_400000_NS6detail17trampoline_kernelINS0_14default_configENS1_38merge_sort_block_merge_config_selectorIisEEZZNS1_27merge_sort_block_merge_implIS3_N6thrust23THRUST_200600_302600_NS10device_ptrIiEENS9_IsEEjNS1_19radix_merge_compareILb0ELb0EiNS0_19identity_decomposerEEEEE10hipError_tT0_T1_T2_jT3_P12ihipStream_tbPNSt15iterator_traitsISG_E10value_typeEPNSM_ISH_E10value_typeEPSI_NS1_7vsmem_tEENKUlT_SG_SH_SI_E_clIPiSA_PsSB_EESF_SV_SG_SH_SI_EUlSV_E_NS1_11comp_targetILNS1_3genE3ELNS1_11target_archE908ELNS1_3gpuE7ELNS1_3repE0EEENS1_48merge_mergepath_partition_config_static_selectorELNS0_4arch9wavefront6targetE1EEEvSH_.uses_vcc, 0
	.set _ZN7rocprim17ROCPRIM_400000_NS6detail17trampoline_kernelINS0_14default_configENS1_38merge_sort_block_merge_config_selectorIisEEZZNS1_27merge_sort_block_merge_implIS3_N6thrust23THRUST_200600_302600_NS10device_ptrIiEENS9_IsEEjNS1_19radix_merge_compareILb0ELb0EiNS0_19identity_decomposerEEEEE10hipError_tT0_T1_T2_jT3_P12ihipStream_tbPNSt15iterator_traitsISG_E10value_typeEPNSM_ISH_E10value_typeEPSI_NS1_7vsmem_tEENKUlT_SG_SH_SI_E_clIPiSA_PsSB_EESF_SV_SG_SH_SI_EUlSV_E_NS1_11comp_targetILNS1_3genE3ELNS1_11target_archE908ELNS1_3gpuE7ELNS1_3repE0EEENS1_48merge_mergepath_partition_config_static_selectorELNS0_4arch9wavefront6targetE1EEEvSH_.uses_flat_scratch, 0
	.set _ZN7rocprim17ROCPRIM_400000_NS6detail17trampoline_kernelINS0_14default_configENS1_38merge_sort_block_merge_config_selectorIisEEZZNS1_27merge_sort_block_merge_implIS3_N6thrust23THRUST_200600_302600_NS10device_ptrIiEENS9_IsEEjNS1_19radix_merge_compareILb0ELb0EiNS0_19identity_decomposerEEEEE10hipError_tT0_T1_T2_jT3_P12ihipStream_tbPNSt15iterator_traitsISG_E10value_typeEPNSM_ISH_E10value_typeEPSI_NS1_7vsmem_tEENKUlT_SG_SH_SI_E_clIPiSA_PsSB_EESF_SV_SG_SH_SI_EUlSV_E_NS1_11comp_targetILNS1_3genE3ELNS1_11target_archE908ELNS1_3gpuE7ELNS1_3repE0EEENS1_48merge_mergepath_partition_config_static_selectorELNS0_4arch9wavefront6targetE1EEEvSH_.has_dyn_sized_stack, 0
	.set _ZN7rocprim17ROCPRIM_400000_NS6detail17trampoline_kernelINS0_14default_configENS1_38merge_sort_block_merge_config_selectorIisEEZZNS1_27merge_sort_block_merge_implIS3_N6thrust23THRUST_200600_302600_NS10device_ptrIiEENS9_IsEEjNS1_19radix_merge_compareILb0ELb0EiNS0_19identity_decomposerEEEEE10hipError_tT0_T1_T2_jT3_P12ihipStream_tbPNSt15iterator_traitsISG_E10value_typeEPNSM_ISH_E10value_typeEPSI_NS1_7vsmem_tEENKUlT_SG_SH_SI_E_clIPiSA_PsSB_EESF_SV_SG_SH_SI_EUlSV_E_NS1_11comp_targetILNS1_3genE3ELNS1_11target_archE908ELNS1_3gpuE7ELNS1_3repE0EEENS1_48merge_mergepath_partition_config_static_selectorELNS0_4arch9wavefront6targetE1EEEvSH_.has_recursion, 0
	.set _ZN7rocprim17ROCPRIM_400000_NS6detail17trampoline_kernelINS0_14default_configENS1_38merge_sort_block_merge_config_selectorIisEEZZNS1_27merge_sort_block_merge_implIS3_N6thrust23THRUST_200600_302600_NS10device_ptrIiEENS9_IsEEjNS1_19radix_merge_compareILb0ELb0EiNS0_19identity_decomposerEEEEE10hipError_tT0_T1_T2_jT3_P12ihipStream_tbPNSt15iterator_traitsISG_E10value_typeEPNSM_ISH_E10value_typeEPSI_NS1_7vsmem_tEENKUlT_SG_SH_SI_E_clIPiSA_PsSB_EESF_SV_SG_SH_SI_EUlSV_E_NS1_11comp_targetILNS1_3genE3ELNS1_11target_archE908ELNS1_3gpuE7ELNS1_3repE0EEENS1_48merge_mergepath_partition_config_static_selectorELNS0_4arch9wavefront6targetE1EEEvSH_.has_indirect_call, 0
	.section	.AMDGPU.csdata,"",@progbits
; Kernel info:
; codeLenInByte = 0
; TotalNumSgprs: 6
; NumVgprs: 0
; NumAgprs: 0
; TotalNumVgprs: 0
; ScratchSize: 0
; MemoryBound: 0
; FloatMode: 240
; IeeeMode: 1
; LDSByteSize: 0 bytes/workgroup (compile time only)
; SGPRBlocks: 0
; VGPRBlocks: 0
; NumSGPRsForWavesPerEU: 6
; NumVGPRsForWavesPerEU: 1
; AccumOffset: 4
; Occupancy: 8
; WaveLimiterHint : 0
; COMPUTE_PGM_RSRC2:SCRATCH_EN: 0
; COMPUTE_PGM_RSRC2:USER_SGPR: 2
; COMPUTE_PGM_RSRC2:TRAP_HANDLER: 0
; COMPUTE_PGM_RSRC2:TGID_X_EN: 1
; COMPUTE_PGM_RSRC2:TGID_Y_EN: 0
; COMPUTE_PGM_RSRC2:TGID_Z_EN: 0
; COMPUTE_PGM_RSRC2:TIDIG_COMP_CNT: 0
; COMPUTE_PGM_RSRC3_GFX90A:ACCUM_OFFSET: 0
; COMPUTE_PGM_RSRC3_GFX90A:TG_SPLIT: 0
	.section	.text._ZN7rocprim17ROCPRIM_400000_NS6detail17trampoline_kernelINS0_14default_configENS1_38merge_sort_block_merge_config_selectorIisEEZZNS1_27merge_sort_block_merge_implIS3_N6thrust23THRUST_200600_302600_NS10device_ptrIiEENS9_IsEEjNS1_19radix_merge_compareILb0ELb0EiNS0_19identity_decomposerEEEEE10hipError_tT0_T1_T2_jT3_P12ihipStream_tbPNSt15iterator_traitsISG_E10value_typeEPNSM_ISH_E10value_typeEPSI_NS1_7vsmem_tEENKUlT_SG_SH_SI_E_clIPiSA_PsSB_EESF_SV_SG_SH_SI_EUlSV_E_NS1_11comp_targetILNS1_3genE2ELNS1_11target_archE906ELNS1_3gpuE6ELNS1_3repE0EEENS1_48merge_mergepath_partition_config_static_selectorELNS0_4arch9wavefront6targetE1EEEvSH_,"axG",@progbits,_ZN7rocprim17ROCPRIM_400000_NS6detail17trampoline_kernelINS0_14default_configENS1_38merge_sort_block_merge_config_selectorIisEEZZNS1_27merge_sort_block_merge_implIS3_N6thrust23THRUST_200600_302600_NS10device_ptrIiEENS9_IsEEjNS1_19radix_merge_compareILb0ELb0EiNS0_19identity_decomposerEEEEE10hipError_tT0_T1_T2_jT3_P12ihipStream_tbPNSt15iterator_traitsISG_E10value_typeEPNSM_ISH_E10value_typeEPSI_NS1_7vsmem_tEENKUlT_SG_SH_SI_E_clIPiSA_PsSB_EESF_SV_SG_SH_SI_EUlSV_E_NS1_11comp_targetILNS1_3genE2ELNS1_11target_archE906ELNS1_3gpuE6ELNS1_3repE0EEENS1_48merge_mergepath_partition_config_static_selectorELNS0_4arch9wavefront6targetE1EEEvSH_,comdat
	.protected	_ZN7rocprim17ROCPRIM_400000_NS6detail17trampoline_kernelINS0_14default_configENS1_38merge_sort_block_merge_config_selectorIisEEZZNS1_27merge_sort_block_merge_implIS3_N6thrust23THRUST_200600_302600_NS10device_ptrIiEENS9_IsEEjNS1_19radix_merge_compareILb0ELb0EiNS0_19identity_decomposerEEEEE10hipError_tT0_T1_T2_jT3_P12ihipStream_tbPNSt15iterator_traitsISG_E10value_typeEPNSM_ISH_E10value_typeEPSI_NS1_7vsmem_tEENKUlT_SG_SH_SI_E_clIPiSA_PsSB_EESF_SV_SG_SH_SI_EUlSV_E_NS1_11comp_targetILNS1_3genE2ELNS1_11target_archE906ELNS1_3gpuE6ELNS1_3repE0EEENS1_48merge_mergepath_partition_config_static_selectorELNS0_4arch9wavefront6targetE1EEEvSH_ ; -- Begin function _ZN7rocprim17ROCPRIM_400000_NS6detail17trampoline_kernelINS0_14default_configENS1_38merge_sort_block_merge_config_selectorIisEEZZNS1_27merge_sort_block_merge_implIS3_N6thrust23THRUST_200600_302600_NS10device_ptrIiEENS9_IsEEjNS1_19radix_merge_compareILb0ELb0EiNS0_19identity_decomposerEEEEE10hipError_tT0_T1_T2_jT3_P12ihipStream_tbPNSt15iterator_traitsISG_E10value_typeEPNSM_ISH_E10value_typeEPSI_NS1_7vsmem_tEENKUlT_SG_SH_SI_E_clIPiSA_PsSB_EESF_SV_SG_SH_SI_EUlSV_E_NS1_11comp_targetILNS1_3genE2ELNS1_11target_archE906ELNS1_3gpuE6ELNS1_3repE0EEENS1_48merge_mergepath_partition_config_static_selectorELNS0_4arch9wavefront6targetE1EEEvSH_
	.globl	_ZN7rocprim17ROCPRIM_400000_NS6detail17trampoline_kernelINS0_14default_configENS1_38merge_sort_block_merge_config_selectorIisEEZZNS1_27merge_sort_block_merge_implIS3_N6thrust23THRUST_200600_302600_NS10device_ptrIiEENS9_IsEEjNS1_19radix_merge_compareILb0ELb0EiNS0_19identity_decomposerEEEEE10hipError_tT0_T1_T2_jT3_P12ihipStream_tbPNSt15iterator_traitsISG_E10value_typeEPNSM_ISH_E10value_typeEPSI_NS1_7vsmem_tEENKUlT_SG_SH_SI_E_clIPiSA_PsSB_EESF_SV_SG_SH_SI_EUlSV_E_NS1_11comp_targetILNS1_3genE2ELNS1_11target_archE906ELNS1_3gpuE6ELNS1_3repE0EEENS1_48merge_mergepath_partition_config_static_selectorELNS0_4arch9wavefront6targetE1EEEvSH_
	.p2align	8
	.type	_ZN7rocprim17ROCPRIM_400000_NS6detail17trampoline_kernelINS0_14default_configENS1_38merge_sort_block_merge_config_selectorIisEEZZNS1_27merge_sort_block_merge_implIS3_N6thrust23THRUST_200600_302600_NS10device_ptrIiEENS9_IsEEjNS1_19radix_merge_compareILb0ELb0EiNS0_19identity_decomposerEEEEE10hipError_tT0_T1_T2_jT3_P12ihipStream_tbPNSt15iterator_traitsISG_E10value_typeEPNSM_ISH_E10value_typeEPSI_NS1_7vsmem_tEENKUlT_SG_SH_SI_E_clIPiSA_PsSB_EESF_SV_SG_SH_SI_EUlSV_E_NS1_11comp_targetILNS1_3genE2ELNS1_11target_archE906ELNS1_3gpuE6ELNS1_3repE0EEENS1_48merge_mergepath_partition_config_static_selectorELNS0_4arch9wavefront6targetE1EEEvSH_,@function
_ZN7rocprim17ROCPRIM_400000_NS6detail17trampoline_kernelINS0_14default_configENS1_38merge_sort_block_merge_config_selectorIisEEZZNS1_27merge_sort_block_merge_implIS3_N6thrust23THRUST_200600_302600_NS10device_ptrIiEENS9_IsEEjNS1_19radix_merge_compareILb0ELb0EiNS0_19identity_decomposerEEEEE10hipError_tT0_T1_T2_jT3_P12ihipStream_tbPNSt15iterator_traitsISG_E10value_typeEPNSM_ISH_E10value_typeEPSI_NS1_7vsmem_tEENKUlT_SG_SH_SI_E_clIPiSA_PsSB_EESF_SV_SG_SH_SI_EUlSV_E_NS1_11comp_targetILNS1_3genE2ELNS1_11target_archE906ELNS1_3gpuE6ELNS1_3repE0EEENS1_48merge_mergepath_partition_config_static_selectorELNS0_4arch9wavefront6targetE1EEEvSH_: ; @_ZN7rocprim17ROCPRIM_400000_NS6detail17trampoline_kernelINS0_14default_configENS1_38merge_sort_block_merge_config_selectorIisEEZZNS1_27merge_sort_block_merge_implIS3_N6thrust23THRUST_200600_302600_NS10device_ptrIiEENS9_IsEEjNS1_19radix_merge_compareILb0ELb0EiNS0_19identity_decomposerEEEEE10hipError_tT0_T1_T2_jT3_P12ihipStream_tbPNSt15iterator_traitsISG_E10value_typeEPNSM_ISH_E10value_typeEPSI_NS1_7vsmem_tEENKUlT_SG_SH_SI_E_clIPiSA_PsSB_EESF_SV_SG_SH_SI_EUlSV_E_NS1_11comp_targetILNS1_3genE2ELNS1_11target_archE906ELNS1_3gpuE6ELNS1_3repE0EEENS1_48merge_mergepath_partition_config_static_selectorELNS0_4arch9wavefront6targetE1EEEvSH_
; %bb.0:
	.section	.rodata,"a",@progbits
	.p2align	6, 0x0
	.amdhsa_kernel _ZN7rocprim17ROCPRIM_400000_NS6detail17trampoline_kernelINS0_14default_configENS1_38merge_sort_block_merge_config_selectorIisEEZZNS1_27merge_sort_block_merge_implIS3_N6thrust23THRUST_200600_302600_NS10device_ptrIiEENS9_IsEEjNS1_19radix_merge_compareILb0ELb0EiNS0_19identity_decomposerEEEEE10hipError_tT0_T1_T2_jT3_P12ihipStream_tbPNSt15iterator_traitsISG_E10value_typeEPNSM_ISH_E10value_typeEPSI_NS1_7vsmem_tEENKUlT_SG_SH_SI_E_clIPiSA_PsSB_EESF_SV_SG_SH_SI_EUlSV_E_NS1_11comp_targetILNS1_3genE2ELNS1_11target_archE906ELNS1_3gpuE6ELNS1_3repE0EEENS1_48merge_mergepath_partition_config_static_selectorELNS0_4arch9wavefront6targetE1EEEvSH_
		.amdhsa_group_segment_fixed_size 0
		.amdhsa_private_segment_fixed_size 0
		.amdhsa_kernarg_size 40
		.amdhsa_user_sgpr_count 2
		.amdhsa_user_sgpr_dispatch_ptr 0
		.amdhsa_user_sgpr_queue_ptr 0
		.amdhsa_user_sgpr_kernarg_segment_ptr 1
		.amdhsa_user_sgpr_dispatch_id 0
		.amdhsa_user_sgpr_kernarg_preload_length 0
		.amdhsa_user_sgpr_kernarg_preload_offset 0
		.amdhsa_user_sgpr_private_segment_size 0
		.amdhsa_uses_dynamic_stack 0
		.amdhsa_enable_private_segment 0
		.amdhsa_system_sgpr_workgroup_id_x 1
		.amdhsa_system_sgpr_workgroup_id_y 0
		.amdhsa_system_sgpr_workgroup_id_z 0
		.amdhsa_system_sgpr_workgroup_info 0
		.amdhsa_system_vgpr_workitem_id 0
		.amdhsa_next_free_vgpr 1
		.amdhsa_next_free_sgpr 0
		.amdhsa_accum_offset 4
		.amdhsa_reserve_vcc 0
		.amdhsa_float_round_mode_32 0
		.amdhsa_float_round_mode_16_64 0
		.amdhsa_float_denorm_mode_32 3
		.amdhsa_float_denorm_mode_16_64 3
		.amdhsa_dx10_clamp 1
		.amdhsa_ieee_mode 1
		.amdhsa_fp16_overflow 0
		.amdhsa_tg_split 0
		.amdhsa_exception_fp_ieee_invalid_op 0
		.amdhsa_exception_fp_denorm_src 0
		.amdhsa_exception_fp_ieee_div_zero 0
		.amdhsa_exception_fp_ieee_overflow 0
		.amdhsa_exception_fp_ieee_underflow 0
		.amdhsa_exception_fp_ieee_inexact 0
		.amdhsa_exception_int_div_zero 0
	.end_amdhsa_kernel
	.section	.text._ZN7rocprim17ROCPRIM_400000_NS6detail17trampoline_kernelINS0_14default_configENS1_38merge_sort_block_merge_config_selectorIisEEZZNS1_27merge_sort_block_merge_implIS3_N6thrust23THRUST_200600_302600_NS10device_ptrIiEENS9_IsEEjNS1_19radix_merge_compareILb0ELb0EiNS0_19identity_decomposerEEEEE10hipError_tT0_T1_T2_jT3_P12ihipStream_tbPNSt15iterator_traitsISG_E10value_typeEPNSM_ISH_E10value_typeEPSI_NS1_7vsmem_tEENKUlT_SG_SH_SI_E_clIPiSA_PsSB_EESF_SV_SG_SH_SI_EUlSV_E_NS1_11comp_targetILNS1_3genE2ELNS1_11target_archE906ELNS1_3gpuE6ELNS1_3repE0EEENS1_48merge_mergepath_partition_config_static_selectorELNS0_4arch9wavefront6targetE1EEEvSH_,"axG",@progbits,_ZN7rocprim17ROCPRIM_400000_NS6detail17trampoline_kernelINS0_14default_configENS1_38merge_sort_block_merge_config_selectorIisEEZZNS1_27merge_sort_block_merge_implIS3_N6thrust23THRUST_200600_302600_NS10device_ptrIiEENS9_IsEEjNS1_19radix_merge_compareILb0ELb0EiNS0_19identity_decomposerEEEEE10hipError_tT0_T1_T2_jT3_P12ihipStream_tbPNSt15iterator_traitsISG_E10value_typeEPNSM_ISH_E10value_typeEPSI_NS1_7vsmem_tEENKUlT_SG_SH_SI_E_clIPiSA_PsSB_EESF_SV_SG_SH_SI_EUlSV_E_NS1_11comp_targetILNS1_3genE2ELNS1_11target_archE906ELNS1_3gpuE6ELNS1_3repE0EEENS1_48merge_mergepath_partition_config_static_selectorELNS0_4arch9wavefront6targetE1EEEvSH_,comdat
.Lfunc_end2295:
	.size	_ZN7rocprim17ROCPRIM_400000_NS6detail17trampoline_kernelINS0_14default_configENS1_38merge_sort_block_merge_config_selectorIisEEZZNS1_27merge_sort_block_merge_implIS3_N6thrust23THRUST_200600_302600_NS10device_ptrIiEENS9_IsEEjNS1_19radix_merge_compareILb0ELb0EiNS0_19identity_decomposerEEEEE10hipError_tT0_T1_T2_jT3_P12ihipStream_tbPNSt15iterator_traitsISG_E10value_typeEPNSM_ISH_E10value_typeEPSI_NS1_7vsmem_tEENKUlT_SG_SH_SI_E_clIPiSA_PsSB_EESF_SV_SG_SH_SI_EUlSV_E_NS1_11comp_targetILNS1_3genE2ELNS1_11target_archE906ELNS1_3gpuE6ELNS1_3repE0EEENS1_48merge_mergepath_partition_config_static_selectorELNS0_4arch9wavefront6targetE1EEEvSH_, .Lfunc_end2295-_ZN7rocprim17ROCPRIM_400000_NS6detail17trampoline_kernelINS0_14default_configENS1_38merge_sort_block_merge_config_selectorIisEEZZNS1_27merge_sort_block_merge_implIS3_N6thrust23THRUST_200600_302600_NS10device_ptrIiEENS9_IsEEjNS1_19radix_merge_compareILb0ELb0EiNS0_19identity_decomposerEEEEE10hipError_tT0_T1_T2_jT3_P12ihipStream_tbPNSt15iterator_traitsISG_E10value_typeEPNSM_ISH_E10value_typeEPSI_NS1_7vsmem_tEENKUlT_SG_SH_SI_E_clIPiSA_PsSB_EESF_SV_SG_SH_SI_EUlSV_E_NS1_11comp_targetILNS1_3genE2ELNS1_11target_archE906ELNS1_3gpuE6ELNS1_3repE0EEENS1_48merge_mergepath_partition_config_static_selectorELNS0_4arch9wavefront6targetE1EEEvSH_
                                        ; -- End function
	.set _ZN7rocprim17ROCPRIM_400000_NS6detail17trampoline_kernelINS0_14default_configENS1_38merge_sort_block_merge_config_selectorIisEEZZNS1_27merge_sort_block_merge_implIS3_N6thrust23THRUST_200600_302600_NS10device_ptrIiEENS9_IsEEjNS1_19radix_merge_compareILb0ELb0EiNS0_19identity_decomposerEEEEE10hipError_tT0_T1_T2_jT3_P12ihipStream_tbPNSt15iterator_traitsISG_E10value_typeEPNSM_ISH_E10value_typeEPSI_NS1_7vsmem_tEENKUlT_SG_SH_SI_E_clIPiSA_PsSB_EESF_SV_SG_SH_SI_EUlSV_E_NS1_11comp_targetILNS1_3genE2ELNS1_11target_archE906ELNS1_3gpuE6ELNS1_3repE0EEENS1_48merge_mergepath_partition_config_static_selectorELNS0_4arch9wavefront6targetE1EEEvSH_.num_vgpr, 0
	.set _ZN7rocprim17ROCPRIM_400000_NS6detail17trampoline_kernelINS0_14default_configENS1_38merge_sort_block_merge_config_selectorIisEEZZNS1_27merge_sort_block_merge_implIS3_N6thrust23THRUST_200600_302600_NS10device_ptrIiEENS9_IsEEjNS1_19radix_merge_compareILb0ELb0EiNS0_19identity_decomposerEEEEE10hipError_tT0_T1_T2_jT3_P12ihipStream_tbPNSt15iterator_traitsISG_E10value_typeEPNSM_ISH_E10value_typeEPSI_NS1_7vsmem_tEENKUlT_SG_SH_SI_E_clIPiSA_PsSB_EESF_SV_SG_SH_SI_EUlSV_E_NS1_11comp_targetILNS1_3genE2ELNS1_11target_archE906ELNS1_3gpuE6ELNS1_3repE0EEENS1_48merge_mergepath_partition_config_static_selectorELNS0_4arch9wavefront6targetE1EEEvSH_.num_agpr, 0
	.set _ZN7rocprim17ROCPRIM_400000_NS6detail17trampoline_kernelINS0_14default_configENS1_38merge_sort_block_merge_config_selectorIisEEZZNS1_27merge_sort_block_merge_implIS3_N6thrust23THRUST_200600_302600_NS10device_ptrIiEENS9_IsEEjNS1_19radix_merge_compareILb0ELb0EiNS0_19identity_decomposerEEEEE10hipError_tT0_T1_T2_jT3_P12ihipStream_tbPNSt15iterator_traitsISG_E10value_typeEPNSM_ISH_E10value_typeEPSI_NS1_7vsmem_tEENKUlT_SG_SH_SI_E_clIPiSA_PsSB_EESF_SV_SG_SH_SI_EUlSV_E_NS1_11comp_targetILNS1_3genE2ELNS1_11target_archE906ELNS1_3gpuE6ELNS1_3repE0EEENS1_48merge_mergepath_partition_config_static_selectorELNS0_4arch9wavefront6targetE1EEEvSH_.numbered_sgpr, 0
	.set _ZN7rocprim17ROCPRIM_400000_NS6detail17trampoline_kernelINS0_14default_configENS1_38merge_sort_block_merge_config_selectorIisEEZZNS1_27merge_sort_block_merge_implIS3_N6thrust23THRUST_200600_302600_NS10device_ptrIiEENS9_IsEEjNS1_19radix_merge_compareILb0ELb0EiNS0_19identity_decomposerEEEEE10hipError_tT0_T1_T2_jT3_P12ihipStream_tbPNSt15iterator_traitsISG_E10value_typeEPNSM_ISH_E10value_typeEPSI_NS1_7vsmem_tEENKUlT_SG_SH_SI_E_clIPiSA_PsSB_EESF_SV_SG_SH_SI_EUlSV_E_NS1_11comp_targetILNS1_3genE2ELNS1_11target_archE906ELNS1_3gpuE6ELNS1_3repE0EEENS1_48merge_mergepath_partition_config_static_selectorELNS0_4arch9wavefront6targetE1EEEvSH_.num_named_barrier, 0
	.set _ZN7rocprim17ROCPRIM_400000_NS6detail17trampoline_kernelINS0_14default_configENS1_38merge_sort_block_merge_config_selectorIisEEZZNS1_27merge_sort_block_merge_implIS3_N6thrust23THRUST_200600_302600_NS10device_ptrIiEENS9_IsEEjNS1_19radix_merge_compareILb0ELb0EiNS0_19identity_decomposerEEEEE10hipError_tT0_T1_T2_jT3_P12ihipStream_tbPNSt15iterator_traitsISG_E10value_typeEPNSM_ISH_E10value_typeEPSI_NS1_7vsmem_tEENKUlT_SG_SH_SI_E_clIPiSA_PsSB_EESF_SV_SG_SH_SI_EUlSV_E_NS1_11comp_targetILNS1_3genE2ELNS1_11target_archE906ELNS1_3gpuE6ELNS1_3repE0EEENS1_48merge_mergepath_partition_config_static_selectorELNS0_4arch9wavefront6targetE1EEEvSH_.private_seg_size, 0
	.set _ZN7rocprim17ROCPRIM_400000_NS6detail17trampoline_kernelINS0_14default_configENS1_38merge_sort_block_merge_config_selectorIisEEZZNS1_27merge_sort_block_merge_implIS3_N6thrust23THRUST_200600_302600_NS10device_ptrIiEENS9_IsEEjNS1_19radix_merge_compareILb0ELb0EiNS0_19identity_decomposerEEEEE10hipError_tT0_T1_T2_jT3_P12ihipStream_tbPNSt15iterator_traitsISG_E10value_typeEPNSM_ISH_E10value_typeEPSI_NS1_7vsmem_tEENKUlT_SG_SH_SI_E_clIPiSA_PsSB_EESF_SV_SG_SH_SI_EUlSV_E_NS1_11comp_targetILNS1_3genE2ELNS1_11target_archE906ELNS1_3gpuE6ELNS1_3repE0EEENS1_48merge_mergepath_partition_config_static_selectorELNS0_4arch9wavefront6targetE1EEEvSH_.uses_vcc, 0
	.set _ZN7rocprim17ROCPRIM_400000_NS6detail17trampoline_kernelINS0_14default_configENS1_38merge_sort_block_merge_config_selectorIisEEZZNS1_27merge_sort_block_merge_implIS3_N6thrust23THRUST_200600_302600_NS10device_ptrIiEENS9_IsEEjNS1_19radix_merge_compareILb0ELb0EiNS0_19identity_decomposerEEEEE10hipError_tT0_T1_T2_jT3_P12ihipStream_tbPNSt15iterator_traitsISG_E10value_typeEPNSM_ISH_E10value_typeEPSI_NS1_7vsmem_tEENKUlT_SG_SH_SI_E_clIPiSA_PsSB_EESF_SV_SG_SH_SI_EUlSV_E_NS1_11comp_targetILNS1_3genE2ELNS1_11target_archE906ELNS1_3gpuE6ELNS1_3repE0EEENS1_48merge_mergepath_partition_config_static_selectorELNS0_4arch9wavefront6targetE1EEEvSH_.uses_flat_scratch, 0
	.set _ZN7rocprim17ROCPRIM_400000_NS6detail17trampoline_kernelINS0_14default_configENS1_38merge_sort_block_merge_config_selectorIisEEZZNS1_27merge_sort_block_merge_implIS3_N6thrust23THRUST_200600_302600_NS10device_ptrIiEENS9_IsEEjNS1_19radix_merge_compareILb0ELb0EiNS0_19identity_decomposerEEEEE10hipError_tT0_T1_T2_jT3_P12ihipStream_tbPNSt15iterator_traitsISG_E10value_typeEPNSM_ISH_E10value_typeEPSI_NS1_7vsmem_tEENKUlT_SG_SH_SI_E_clIPiSA_PsSB_EESF_SV_SG_SH_SI_EUlSV_E_NS1_11comp_targetILNS1_3genE2ELNS1_11target_archE906ELNS1_3gpuE6ELNS1_3repE0EEENS1_48merge_mergepath_partition_config_static_selectorELNS0_4arch9wavefront6targetE1EEEvSH_.has_dyn_sized_stack, 0
	.set _ZN7rocprim17ROCPRIM_400000_NS6detail17trampoline_kernelINS0_14default_configENS1_38merge_sort_block_merge_config_selectorIisEEZZNS1_27merge_sort_block_merge_implIS3_N6thrust23THRUST_200600_302600_NS10device_ptrIiEENS9_IsEEjNS1_19radix_merge_compareILb0ELb0EiNS0_19identity_decomposerEEEEE10hipError_tT0_T1_T2_jT3_P12ihipStream_tbPNSt15iterator_traitsISG_E10value_typeEPNSM_ISH_E10value_typeEPSI_NS1_7vsmem_tEENKUlT_SG_SH_SI_E_clIPiSA_PsSB_EESF_SV_SG_SH_SI_EUlSV_E_NS1_11comp_targetILNS1_3genE2ELNS1_11target_archE906ELNS1_3gpuE6ELNS1_3repE0EEENS1_48merge_mergepath_partition_config_static_selectorELNS0_4arch9wavefront6targetE1EEEvSH_.has_recursion, 0
	.set _ZN7rocprim17ROCPRIM_400000_NS6detail17trampoline_kernelINS0_14default_configENS1_38merge_sort_block_merge_config_selectorIisEEZZNS1_27merge_sort_block_merge_implIS3_N6thrust23THRUST_200600_302600_NS10device_ptrIiEENS9_IsEEjNS1_19radix_merge_compareILb0ELb0EiNS0_19identity_decomposerEEEEE10hipError_tT0_T1_T2_jT3_P12ihipStream_tbPNSt15iterator_traitsISG_E10value_typeEPNSM_ISH_E10value_typeEPSI_NS1_7vsmem_tEENKUlT_SG_SH_SI_E_clIPiSA_PsSB_EESF_SV_SG_SH_SI_EUlSV_E_NS1_11comp_targetILNS1_3genE2ELNS1_11target_archE906ELNS1_3gpuE6ELNS1_3repE0EEENS1_48merge_mergepath_partition_config_static_selectorELNS0_4arch9wavefront6targetE1EEEvSH_.has_indirect_call, 0
	.section	.AMDGPU.csdata,"",@progbits
; Kernel info:
; codeLenInByte = 0
; TotalNumSgprs: 6
; NumVgprs: 0
; NumAgprs: 0
; TotalNumVgprs: 0
; ScratchSize: 0
; MemoryBound: 0
; FloatMode: 240
; IeeeMode: 1
; LDSByteSize: 0 bytes/workgroup (compile time only)
; SGPRBlocks: 0
; VGPRBlocks: 0
; NumSGPRsForWavesPerEU: 6
; NumVGPRsForWavesPerEU: 1
; AccumOffset: 4
; Occupancy: 8
; WaveLimiterHint : 0
; COMPUTE_PGM_RSRC2:SCRATCH_EN: 0
; COMPUTE_PGM_RSRC2:USER_SGPR: 2
; COMPUTE_PGM_RSRC2:TRAP_HANDLER: 0
; COMPUTE_PGM_RSRC2:TGID_X_EN: 1
; COMPUTE_PGM_RSRC2:TGID_Y_EN: 0
; COMPUTE_PGM_RSRC2:TGID_Z_EN: 0
; COMPUTE_PGM_RSRC2:TIDIG_COMP_CNT: 0
; COMPUTE_PGM_RSRC3_GFX90A:ACCUM_OFFSET: 0
; COMPUTE_PGM_RSRC3_GFX90A:TG_SPLIT: 0
	.section	.text._ZN7rocprim17ROCPRIM_400000_NS6detail17trampoline_kernelINS0_14default_configENS1_38merge_sort_block_merge_config_selectorIisEEZZNS1_27merge_sort_block_merge_implIS3_N6thrust23THRUST_200600_302600_NS10device_ptrIiEENS9_IsEEjNS1_19radix_merge_compareILb0ELb0EiNS0_19identity_decomposerEEEEE10hipError_tT0_T1_T2_jT3_P12ihipStream_tbPNSt15iterator_traitsISG_E10value_typeEPNSM_ISH_E10value_typeEPSI_NS1_7vsmem_tEENKUlT_SG_SH_SI_E_clIPiSA_PsSB_EESF_SV_SG_SH_SI_EUlSV_E_NS1_11comp_targetILNS1_3genE9ELNS1_11target_archE1100ELNS1_3gpuE3ELNS1_3repE0EEENS1_48merge_mergepath_partition_config_static_selectorELNS0_4arch9wavefront6targetE1EEEvSH_,"axG",@progbits,_ZN7rocprim17ROCPRIM_400000_NS6detail17trampoline_kernelINS0_14default_configENS1_38merge_sort_block_merge_config_selectorIisEEZZNS1_27merge_sort_block_merge_implIS3_N6thrust23THRUST_200600_302600_NS10device_ptrIiEENS9_IsEEjNS1_19radix_merge_compareILb0ELb0EiNS0_19identity_decomposerEEEEE10hipError_tT0_T1_T2_jT3_P12ihipStream_tbPNSt15iterator_traitsISG_E10value_typeEPNSM_ISH_E10value_typeEPSI_NS1_7vsmem_tEENKUlT_SG_SH_SI_E_clIPiSA_PsSB_EESF_SV_SG_SH_SI_EUlSV_E_NS1_11comp_targetILNS1_3genE9ELNS1_11target_archE1100ELNS1_3gpuE3ELNS1_3repE0EEENS1_48merge_mergepath_partition_config_static_selectorELNS0_4arch9wavefront6targetE1EEEvSH_,comdat
	.protected	_ZN7rocprim17ROCPRIM_400000_NS6detail17trampoline_kernelINS0_14default_configENS1_38merge_sort_block_merge_config_selectorIisEEZZNS1_27merge_sort_block_merge_implIS3_N6thrust23THRUST_200600_302600_NS10device_ptrIiEENS9_IsEEjNS1_19radix_merge_compareILb0ELb0EiNS0_19identity_decomposerEEEEE10hipError_tT0_T1_T2_jT3_P12ihipStream_tbPNSt15iterator_traitsISG_E10value_typeEPNSM_ISH_E10value_typeEPSI_NS1_7vsmem_tEENKUlT_SG_SH_SI_E_clIPiSA_PsSB_EESF_SV_SG_SH_SI_EUlSV_E_NS1_11comp_targetILNS1_3genE9ELNS1_11target_archE1100ELNS1_3gpuE3ELNS1_3repE0EEENS1_48merge_mergepath_partition_config_static_selectorELNS0_4arch9wavefront6targetE1EEEvSH_ ; -- Begin function _ZN7rocprim17ROCPRIM_400000_NS6detail17trampoline_kernelINS0_14default_configENS1_38merge_sort_block_merge_config_selectorIisEEZZNS1_27merge_sort_block_merge_implIS3_N6thrust23THRUST_200600_302600_NS10device_ptrIiEENS9_IsEEjNS1_19radix_merge_compareILb0ELb0EiNS0_19identity_decomposerEEEEE10hipError_tT0_T1_T2_jT3_P12ihipStream_tbPNSt15iterator_traitsISG_E10value_typeEPNSM_ISH_E10value_typeEPSI_NS1_7vsmem_tEENKUlT_SG_SH_SI_E_clIPiSA_PsSB_EESF_SV_SG_SH_SI_EUlSV_E_NS1_11comp_targetILNS1_3genE9ELNS1_11target_archE1100ELNS1_3gpuE3ELNS1_3repE0EEENS1_48merge_mergepath_partition_config_static_selectorELNS0_4arch9wavefront6targetE1EEEvSH_
	.globl	_ZN7rocprim17ROCPRIM_400000_NS6detail17trampoline_kernelINS0_14default_configENS1_38merge_sort_block_merge_config_selectorIisEEZZNS1_27merge_sort_block_merge_implIS3_N6thrust23THRUST_200600_302600_NS10device_ptrIiEENS9_IsEEjNS1_19radix_merge_compareILb0ELb0EiNS0_19identity_decomposerEEEEE10hipError_tT0_T1_T2_jT3_P12ihipStream_tbPNSt15iterator_traitsISG_E10value_typeEPNSM_ISH_E10value_typeEPSI_NS1_7vsmem_tEENKUlT_SG_SH_SI_E_clIPiSA_PsSB_EESF_SV_SG_SH_SI_EUlSV_E_NS1_11comp_targetILNS1_3genE9ELNS1_11target_archE1100ELNS1_3gpuE3ELNS1_3repE0EEENS1_48merge_mergepath_partition_config_static_selectorELNS0_4arch9wavefront6targetE1EEEvSH_
	.p2align	8
	.type	_ZN7rocprim17ROCPRIM_400000_NS6detail17trampoline_kernelINS0_14default_configENS1_38merge_sort_block_merge_config_selectorIisEEZZNS1_27merge_sort_block_merge_implIS3_N6thrust23THRUST_200600_302600_NS10device_ptrIiEENS9_IsEEjNS1_19radix_merge_compareILb0ELb0EiNS0_19identity_decomposerEEEEE10hipError_tT0_T1_T2_jT3_P12ihipStream_tbPNSt15iterator_traitsISG_E10value_typeEPNSM_ISH_E10value_typeEPSI_NS1_7vsmem_tEENKUlT_SG_SH_SI_E_clIPiSA_PsSB_EESF_SV_SG_SH_SI_EUlSV_E_NS1_11comp_targetILNS1_3genE9ELNS1_11target_archE1100ELNS1_3gpuE3ELNS1_3repE0EEENS1_48merge_mergepath_partition_config_static_selectorELNS0_4arch9wavefront6targetE1EEEvSH_,@function
_ZN7rocprim17ROCPRIM_400000_NS6detail17trampoline_kernelINS0_14default_configENS1_38merge_sort_block_merge_config_selectorIisEEZZNS1_27merge_sort_block_merge_implIS3_N6thrust23THRUST_200600_302600_NS10device_ptrIiEENS9_IsEEjNS1_19radix_merge_compareILb0ELb0EiNS0_19identity_decomposerEEEEE10hipError_tT0_T1_T2_jT3_P12ihipStream_tbPNSt15iterator_traitsISG_E10value_typeEPNSM_ISH_E10value_typeEPSI_NS1_7vsmem_tEENKUlT_SG_SH_SI_E_clIPiSA_PsSB_EESF_SV_SG_SH_SI_EUlSV_E_NS1_11comp_targetILNS1_3genE9ELNS1_11target_archE1100ELNS1_3gpuE3ELNS1_3repE0EEENS1_48merge_mergepath_partition_config_static_selectorELNS0_4arch9wavefront6targetE1EEEvSH_: ; @_ZN7rocprim17ROCPRIM_400000_NS6detail17trampoline_kernelINS0_14default_configENS1_38merge_sort_block_merge_config_selectorIisEEZZNS1_27merge_sort_block_merge_implIS3_N6thrust23THRUST_200600_302600_NS10device_ptrIiEENS9_IsEEjNS1_19radix_merge_compareILb0ELb0EiNS0_19identity_decomposerEEEEE10hipError_tT0_T1_T2_jT3_P12ihipStream_tbPNSt15iterator_traitsISG_E10value_typeEPNSM_ISH_E10value_typeEPSI_NS1_7vsmem_tEENKUlT_SG_SH_SI_E_clIPiSA_PsSB_EESF_SV_SG_SH_SI_EUlSV_E_NS1_11comp_targetILNS1_3genE9ELNS1_11target_archE1100ELNS1_3gpuE3ELNS1_3repE0EEENS1_48merge_mergepath_partition_config_static_selectorELNS0_4arch9wavefront6targetE1EEEvSH_
; %bb.0:
	.section	.rodata,"a",@progbits
	.p2align	6, 0x0
	.amdhsa_kernel _ZN7rocprim17ROCPRIM_400000_NS6detail17trampoline_kernelINS0_14default_configENS1_38merge_sort_block_merge_config_selectorIisEEZZNS1_27merge_sort_block_merge_implIS3_N6thrust23THRUST_200600_302600_NS10device_ptrIiEENS9_IsEEjNS1_19radix_merge_compareILb0ELb0EiNS0_19identity_decomposerEEEEE10hipError_tT0_T1_T2_jT3_P12ihipStream_tbPNSt15iterator_traitsISG_E10value_typeEPNSM_ISH_E10value_typeEPSI_NS1_7vsmem_tEENKUlT_SG_SH_SI_E_clIPiSA_PsSB_EESF_SV_SG_SH_SI_EUlSV_E_NS1_11comp_targetILNS1_3genE9ELNS1_11target_archE1100ELNS1_3gpuE3ELNS1_3repE0EEENS1_48merge_mergepath_partition_config_static_selectorELNS0_4arch9wavefront6targetE1EEEvSH_
		.amdhsa_group_segment_fixed_size 0
		.amdhsa_private_segment_fixed_size 0
		.amdhsa_kernarg_size 40
		.amdhsa_user_sgpr_count 2
		.amdhsa_user_sgpr_dispatch_ptr 0
		.amdhsa_user_sgpr_queue_ptr 0
		.amdhsa_user_sgpr_kernarg_segment_ptr 1
		.amdhsa_user_sgpr_dispatch_id 0
		.amdhsa_user_sgpr_kernarg_preload_length 0
		.amdhsa_user_sgpr_kernarg_preload_offset 0
		.amdhsa_user_sgpr_private_segment_size 0
		.amdhsa_uses_dynamic_stack 0
		.amdhsa_enable_private_segment 0
		.amdhsa_system_sgpr_workgroup_id_x 1
		.amdhsa_system_sgpr_workgroup_id_y 0
		.amdhsa_system_sgpr_workgroup_id_z 0
		.amdhsa_system_sgpr_workgroup_info 0
		.amdhsa_system_vgpr_workitem_id 0
		.amdhsa_next_free_vgpr 1
		.amdhsa_next_free_sgpr 0
		.amdhsa_accum_offset 4
		.amdhsa_reserve_vcc 0
		.amdhsa_float_round_mode_32 0
		.amdhsa_float_round_mode_16_64 0
		.amdhsa_float_denorm_mode_32 3
		.amdhsa_float_denorm_mode_16_64 3
		.amdhsa_dx10_clamp 1
		.amdhsa_ieee_mode 1
		.amdhsa_fp16_overflow 0
		.amdhsa_tg_split 0
		.amdhsa_exception_fp_ieee_invalid_op 0
		.amdhsa_exception_fp_denorm_src 0
		.amdhsa_exception_fp_ieee_div_zero 0
		.amdhsa_exception_fp_ieee_overflow 0
		.amdhsa_exception_fp_ieee_underflow 0
		.amdhsa_exception_fp_ieee_inexact 0
		.amdhsa_exception_int_div_zero 0
	.end_amdhsa_kernel
	.section	.text._ZN7rocprim17ROCPRIM_400000_NS6detail17trampoline_kernelINS0_14default_configENS1_38merge_sort_block_merge_config_selectorIisEEZZNS1_27merge_sort_block_merge_implIS3_N6thrust23THRUST_200600_302600_NS10device_ptrIiEENS9_IsEEjNS1_19radix_merge_compareILb0ELb0EiNS0_19identity_decomposerEEEEE10hipError_tT0_T1_T2_jT3_P12ihipStream_tbPNSt15iterator_traitsISG_E10value_typeEPNSM_ISH_E10value_typeEPSI_NS1_7vsmem_tEENKUlT_SG_SH_SI_E_clIPiSA_PsSB_EESF_SV_SG_SH_SI_EUlSV_E_NS1_11comp_targetILNS1_3genE9ELNS1_11target_archE1100ELNS1_3gpuE3ELNS1_3repE0EEENS1_48merge_mergepath_partition_config_static_selectorELNS0_4arch9wavefront6targetE1EEEvSH_,"axG",@progbits,_ZN7rocprim17ROCPRIM_400000_NS6detail17trampoline_kernelINS0_14default_configENS1_38merge_sort_block_merge_config_selectorIisEEZZNS1_27merge_sort_block_merge_implIS3_N6thrust23THRUST_200600_302600_NS10device_ptrIiEENS9_IsEEjNS1_19radix_merge_compareILb0ELb0EiNS0_19identity_decomposerEEEEE10hipError_tT0_T1_T2_jT3_P12ihipStream_tbPNSt15iterator_traitsISG_E10value_typeEPNSM_ISH_E10value_typeEPSI_NS1_7vsmem_tEENKUlT_SG_SH_SI_E_clIPiSA_PsSB_EESF_SV_SG_SH_SI_EUlSV_E_NS1_11comp_targetILNS1_3genE9ELNS1_11target_archE1100ELNS1_3gpuE3ELNS1_3repE0EEENS1_48merge_mergepath_partition_config_static_selectorELNS0_4arch9wavefront6targetE1EEEvSH_,comdat
.Lfunc_end2296:
	.size	_ZN7rocprim17ROCPRIM_400000_NS6detail17trampoline_kernelINS0_14default_configENS1_38merge_sort_block_merge_config_selectorIisEEZZNS1_27merge_sort_block_merge_implIS3_N6thrust23THRUST_200600_302600_NS10device_ptrIiEENS9_IsEEjNS1_19radix_merge_compareILb0ELb0EiNS0_19identity_decomposerEEEEE10hipError_tT0_T1_T2_jT3_P12ihipStream_tbPNSt15iterator_traitsISG_E10value_typeEPNSM_ISH_E10value_typeEPSI_NS1_7vsmem_tEENKUlT_SG_SH_SI_E_clIPiSA_PsSB_EESF_SV_SG_SH_SI_EUlSV_E_NS1_11comp_targetILNS1_3genE9ELNS1_11target_archE1100ELNS1_3gpuE3ELNS1_3repE0EEENS1_48merge_mergepath_partition_config_static_selectorELNS0_4arch9wavefront6targetE1EEEvSH_, .Lfunc_end2296-_ZN7rocprim17ROCPRIM_400000_NS6detail17trampoline_kernelINS0_14default_configENS1_38merge_sort_block_merge_config_selectorIisEEZZNS1_27merge_sort_block_merge_implIS3_N6thrust23THRUST_200600_302600_NS10device_ptrIiEENS9_IsEEjNS1_19radix_merge_compareILb0ELb0EiNS0_19identity_decomposerEEEEE10hipError_tT0_T1_T2_jT3_P12ihipStream_tbPNSt15iterator_traitsISG_E10value_typeEPNSM_ISH_E10value_typeEPSI_NS1_7vsmem_tEENKUlT_SG_SH_SI_E_clIPiSA_PsSB_EESF_SV_SG_SH_SI_EUlSV_E_NS1_11comp_targetILNS1_3genE9ELNS1_11target_archE1100ELNS1_3gpuE3ELNS1_3repE0EEENS1_48merge_mergepath_partition_config_static_selectorELNS0_4arch9wavefront6targetE1EEEvSH_
                                        ; -- End function
	.set _ZN7rocprim17ROCPRIM_400000_NS6detail17trampoline_kernelINS0_14default_configENS1_38merge_sort_block_merge_config_selectorIisEEZZNS1_27merge_sort_block_merge_implIS3_N6thrust23THRUST_200600_302600_NS10device_ptrIiEENS9_IsEEjNS1_19radix_merge_compareILb0ELb0EiNS0_19identity_decomposerEEEEE10hipError_tT0_T1_T2_jT3_P12ihipStream_tbPNSt15iterator_traitsISG_E10value_typeEPNSM_ISH_E10value_typeEPSI_NS1_7vsmem_tEENKUlT_SG_SH_SI_E_clIPiSA_PsSB_EESF_SV_SG_SH_SI_EUlSV_E_NS1_11comp_targetILNS1_3genE9ELNS1_11target_archE1100ELNS1_3gpuE3ELNS1_3repE0EEENS1_48merge_mergepath_partition_config_static_selectorELNS0_4arch9wavefront6targetE1EEEvSH_.num_vgpr, 0
	.set _ZN7rocprim17ROCPRIM_400000_NS6detail17trampoline_kernelINS0_14default_configENS1_38merge_sort_block_merge_config_selectorIisEEZZNS1_27merge_sort_block_merge_implIS3_N6thrust23THRUST_200600_302600_NS10device_ptrIiEENS9_IsEEjNS1_19radix_merge_compareILb0ELb0EiNS0_19identity_decomposerEEEEE10hipError_tT0_T1_T2_jT3_P12ihipStream_tbPNSt15iterator_traitsISG_E10value_typeEPNSM_ISH_E10value_typeEPSI_NS1_7vsmem_tEENKUlT_SG_SH_SI_E_clIPiSA_PsSB_EESF_SV_SG_SH_SI_EUlSV_E_NS1_11comp_targetILNS1_3genE9ELNS1_11target_archE1100ELNS1_3gpuE3ELNS1_3repE0EEENS1_48merge_mergepath_partition_config_static_selectorELNS0_4arch9wavefront6targetE1EEEvSH_.num_agpr, 0
	.set _ZN7rocprim17ROCPRIM_400000_NS6detail17trampoline_kernelINS0_14default_configENS1_38merge_sort_block_merge_config_selectorIisEEZZNS1_27merge_sort_block_merge_implIS3_N6thrust23THRUST_200600_302600_NS10device_ptrIiEENS9_IsEEjNS1_19radix_merge_compareILb0ELb0EiNS0_19identity_decomposerEEEEE10hipError_tT0_T1_T2_jT3_P12ihipStream_tbPNSt15iterator_traitsISG_E10value_typeEPNSM_ISH_E10value_typeEPSI_NS1_7vsmem_tEENKUlT_SG_SH_SI_E_clIPiSA_PsSB_EESF_SV_SG_SH_SI_EUlSV_E_NS1_11comp_targetILNS1_3genE9ELNS1_11target_archE1100ELNS1_3gpuE3ELNS1_3repE0EEENS1_48merge_mergepath_partition_config_static_selectorELNS0_4arch9wavefront6targetE1EEEvSH_.numbered_sgpr, 0
	.set _ZN7rocprim17ROCPRIM_400000_NS6detail17trampoline_kernelINS0_14default_configENS1_38merge_sort_block_merge_config_selectorIisEEZZNS1_27merge_sort_block_merge_implIS3_N6thrust23THRUST_200600_302600_NS10device_ptrIiEENS9_IsEEjNS1_19radix_merge_compareILb0ELb0EiNS0_19identity_decomposerEEEEE10hipError_tT0_T1_T2_jT3_P12ihipStream_tbPNSt15iterator_traitsISG_E10value_typeEPNSM_ISH_E10value_typeEPSI_NS1_7vsmem_tEENKUlT_SG_SH_SI_E_clIPiSA_PsSB_EESF_SV_SG_SH_SI_EUlSV_E_NS1_11comp_targetILNS1_3genE9ELNS1_11target_archE1100ELNS1_3gpuE3ELNS1_3repE0EEENS1_48merge_mergepath_partition_config_static_selectorELNS0_4arch9wavefront6targetE1EEEvSH_.num_named_barrier, 0
	.set _ZN7rocprim17ROCPRIM_400000_NS6detail17trampoline_kernelINS0_14default_configENS1_38merge_sort_block_merge_config_selectorIisEEZZNS1_27merge_sort_block_merge_implIS3_N6thrust23THRUST_200600_302600_NS10device_ptrIiEENS9_IsEEjNS1_19radix_merge_compareILb0ELb0EiNS0_19identity_decomposerEEEEE10hipError_tT0_T1_T2_jT3_P12ihipStream_tbPNSt15iterator_traitsISG_E10value_typeEPNSM_ISH_E10value_typeEPSI_NS1_7vsmem_tEENKUlT_SG_SH_SI_E_clIPiSA_PsSB_EESF_SV_SG_SH_SI_EUlSV_E_NS1_11comp_targetILNS1_3genE9ELNS1_11target_archE1100ELNS1_3gpuE3ELNS1_3repE0EEENS1_48merge_mergepath_partition_config_static_selectorELNS0_4arch9wavefront6targetE1EEEvSH_.private_seg_size, 0
	.set _ZN7rocprim17ROCPRIM_400000_NS6detail17trampoline_kernelINS0_14default_configENS1_38merge_sort_block_merge_config_selectorIisEEZZNS1_27merge_sort_block_merge_implIS3_N6thrust23THRUST_200600_302600_NS10device_ptrIiEENS9_IsEEjNS1_19radix_merge_compareILb0ELb0EiNS0_19identity_decomposerEEEEE10hipError_tT0_T1_T2_jT3_P12ihipStream_tbPNSt15iterator_traitsISG_E10value_typeEPNSM_ISH_E10value_typeEPSI_NS1_7vsmem_tEENKUlT_SG_SH_SI_E_clIPiSA_PsSB_EESF_SV_SG_SH_SI_EUlSV_E_NS1_11comp_targetILNS1_3genE9ELNS1_11target_archE1100ELNS1_3gpuE3ELNS1_3repE0EEENS1_48merge_mergepath_partition_config_static_selectorELNS0_4arch9wavefront6targetE1EEEvSH_.uses_vcc, 0
	.set _ZN7rocprim17ROCPRIM_400000_NS6detail17trampoline_kernelINS0_14default_configENS1_38merge_sort_block_merge_config_selectorIisEEZZNS1_27merge_sort_block_merge_implIS3_N6thrust23THRUST_200600_302600_NS10device_ptrIiEENS9_IsEEjNS1_19radix_merge_compareILb0ELb0EiNS0_19identity_decomposerEEEEE10hipError_tT0_T1_T2_jT3_P12ihipStream_tbPNSt15iterator_traitsISG_E10value_typeEPNSM_ISH_E10value_typeEPSI_NS1_7vsmem_tEENKUlT_SG_SH_SI_E_clIPiSA_PsSB_EESF_SV_SG_SH_SI_EUlSV_E_NS1_11comp_targetILNS1_3genE9ELNS1_11target_archE1100ELNS1_3gpuE3ELNS1_3repE0EEENS1_48merge_mergepath_partition_config_static_selectorELNS0_4arch9wavefront6targetE1EEEvSH_.uses_flat_scratch, 0
	.set _ZN7rocprim17ROCPRIM_400000_NS6detail17trampoline_kernelINS0_14default_configENS1_38merge_sort_block_merge_config_selectorIisEEZZNS1_27merge_sort_block_merge_implIS3_N6thrust23THRUST_200600_302600_NS10device_ptrIiEENS9_IsEEjNS1_19radix_merge_compareILb0ELb0EiNS0_19identity_decomposerEEEEE10hipError_tT0_T1_T2_jT3_P12ihipStream_tbPNSt15iterator_traitsISG_E10value_typeEPNSM_ISH_E10value_typeEPSI_NS1_7vsmem_tEENKUlT_SG_SH_SI_E_clIPiSA_PsSB_EESF_SV_SG_SH_SI_EUlSV_E_NS1_11comp_targetILNS1_3genE9ELNS1_11target_archE1100ELNS1_3gpuE3ELNS1_3repE0EEENS1_48merge_mergepath_partition_config_static_selectorELNS0_4arch9wavefront6targetE1EEEvSH_.has_dyn_sized_stack, 0
	.set _ZN7rocprim17ROCPRIM_400000_NS6detail17trampoline_kernelINS0_14default_configENS1_38merge_sort_block_merge_config_selectorIisEEZZNS1_27merge_sort_block_merge_implIS3_N6thrust23THRUST_200600_302600_NS10device_ptrIiEENS9_IsEEjNS1_19radix_merge_compareILb0ELb0EiNS0_19identity_decomposerEEEEE10hipError_tT0_T1_T2_jT3_P12ihipStream_tbPNSt15iterator_traitsISG_E10value_typeEPNSM_ISH_E10value_typeEPSI_NS1_7vsmem_tEENKUlT_SG_SH_SI_E_clIPiSA_PsSB_EESF_SV_SG_SH_SI_EUlSV_E_NS1_11comp_targetILNS1_3genE9ELNS1_11target_archE1100ELNS1_3gpuE3ELNS1_3repE0EEENS1_48merge_mergepath_partition_config_static_selectorELNS0_4arch9wavefront6targetE1EEEvSH_.has_recursion, 0
	.set _ZN7rocprim17ROCPRIM_400000_NS6detail17trampoline_kernelINS0_14default_configENS1_38merge_sort_block_merge_config_selectorIisEEZZNS1_27merge_sort_block_merge_implIS3_N6thrust23THRUST_200600_302600_NS10device_ptrIiEENS9_IsEEjNS1_19radix_merge_compareILb0ELb0EiNS0_19identity_decomposerEEEEE10hipError_tT0_T1_T2_jT3_P12ihipStream_tbPNSt15iterator_traitsISG_E10value_typeEPNSM_ISH_E10value_typeEPSI_NS1_7vsmem_tEENKUlT_SG_SH_SI_E_clIPiSA_PsSB_EESF_SV_SG_SH_SI_EUlSV_E_NS1_11comp_targetILNS1_3genE9ELNS1_11target_archE1100ELNS1_3gpuE3ELNS1_3repE0EEENS1_48merge_mergepath_partition_config_static_selectorELNS0_4arch9wavefront6targetE1EEEvSH_.has_indirect_call, 0
	.section	.AMDGPU.csdata,"",@progbits
; Kernel info:
; codeLenInByte = 0
; TotalNumSgprs: 6
; NumVgprs: 0
; NumAgprs: 0
; TotalNumVgprs: 0
; ScratchSize: 0
; MemoryBound: 0
; FloatMode: 240
; IeeeMode: 1
; LDSByteSize: 0 bytes/workgroup (compile time only)
; SGPRBlocks: 0
; VGPRBlocks: 0
; NumSGPRsForWavesPerEU: 6
; NumVGPRsForWavesPerEU: 1
; AccumOffset: 4
; Occupancy: 8
; WaveLimiterHint : 0
; COMPUTE_PGM_RSRC2:SCRATCH_EN: 0
; COMPUTE_PGM_RSRC2:USER_SGPR: 2
; COMPUTE_PGM_RSRC2:TRAP_HANDLER: 0
; COMPUTE_PGM_RSRC2:TGID_X_EN: 1
; COMPUTE_PGM_RSRC2:TGID_Y_EN: 0
; COMPUTE_PGM_RSRC2:TGID_Z_EN: 0
; COMPUTE_PGM_RSRC2:TIDIG_COMP_CNT: 0
; COMPUTE_PGM_RSRC3_GFX90A:ACCUM_OFFSET: 0
; COMPUTE_PGM_RSRC3_GFX90A:TG_SPLIT: 0
	.section	.text._ZN7rocprim17ROCPRIM_400000_NS6detail17trampoline_kernelINS0_14default_configENS1_38merge_sort_block_merge_config_selectorIisEEZZNS1_27merge_sort_block_merge_implIS3_N6thrust23THRUST_200600_302600_NS10device_ptrIiEENS9_IsEEjNS1_19radix_merge_compareILb0ELb0EiNS0_19identity_decomposerEEEEE10hipError_tT0_T1_T2_jT3_P12ihipStream_tbPNSt15iterator_traitsISG_E10value_typeEPNSM_ISH_E10value_typeEPSI_NS1_7vsmem_tEENKUlT_SG_SH_SI_E_clIPiSA_PsSB_EESF_SV_SG_SH_SI_EUlSV_E_NS1_11comp_targetILNS1_3genE8ELNS1_11target_archE1030ELNS1_3gpuE2ELNS1_3repE0EEENS1_48merge_mergepath_partition_config_static_selectorELNS0_4arch9wavefront6targetE1EEEvSH_,"axG",@progbits,_ZN7rocprim17ROCPRIM_400000_NS6detail17trampoline_kernelINS0_14default_configENS1_38merge_sort_block_merge_config_selectorIisEEZZNS1_27merge_sort_block_merge_implIS3_N6thrust23THRUST_200600_302600_NS10device_ptrIiEENS9_IsEEjNS1_19radix_merge_compareILb0ELb0EiNS0_19identity_decomposerEEEEE10hipError_tT0_T1_T2_jT3_P12ihipStream_tbPNSt15iterator_traitsISG_E10value_typeEPNSM_ISH_E10value_typeEPSI_NS1_7vsmem_tEENKUlT_SG_SH_SI_E_clIPiSA_PsSB_EESF_SV_SG_SH_SI_EUlSV_E_NS1_11comp_targetILNS1_3genE8ELNS1_11target_archE1030ELNS1_3gpuE2ELNS1_3repE0EEENS1_48merge_mergepath_partition_config_static_selectorELNS0_4arch9wavefront6targetE1EEEvSH_,comdat
	.protected	_ZN7rocprim17ROCPRIM_400000_NS6detail17trampoline_kernelINS0_14default_configENS1_38merge_sort_block_merge_config_selectorIisEEZZNS1_27merge_sort_block_merge_implIS3_N6thrust23THRUST_200600_302600_NS10device_ptrIiEENS9_IsEEjNS1_19radix_merge_compareILb0ELb0EiNS0_19identity_decomposerEEEEE10hipError_tT0_T1_T2_jT3_P12ihipStream_tbPNSt15iterator_traitsISG_E10value_typeEPNSM_ISH_E10value_typeEPSI_NS1_7vsmem_tEENKUlT_SG_SH_SI_E_clIPiSA_PsSB_EESF_SV_SG_SH_SI_EUlSV_E_NS1_11comp_targetILNS1_3genE8ELNS1_11target_archE1030ELNS1_3gpuE2ELNS1_3repE0EEENS1_48merge_mergepath_partition_config_static_selectorELNS0_4arch9wavefront6targetE1EEEvSH_ ; -- Begin function _ZN7rocprim17ROCPRIM_400000_NS6detail17trampoline_kernelINS0_14default_configENS1_38merge_sort_block_merge_config_selectorIisEEZZNS1_27merge_sort_block_merge_implIS3_N6thrust23THRUST_200600_302600_NS10device_ptrIiEENS9_IsEEjNS1_19radix_merge_compareILb0ELb0EiNS0_19identity_decomposerEEEEE10hipError_tT0_T1_T2_jT3_P12ihipStream_tbPNSt15iterator_traitsISG_E10value_typeEPNSM_ISH_E10value_typeEPSI_NS1_7vsmem_tEENKUlT_SG_SH_SI_E_clIPiSA_PsSB_EESF_SV_SG_SH_SI_EUlSV_E_NS1_11comp_targetILNS1_3genE8ELNS1_11target_archE1030ELNS1_3gpuE2ELNS1_3repE0EEENS1_48merge_mergepath_partition_config_static_selectorELNS0_4arch9wavefront6targetE1EEEvSH_
	.globl	_ZN7rocprim17ROCPRIM_400000_NS6detail17trampoline_kernelINS0_14default_configENS1_38merge_sort_block_merge_config_selectorIisEEZZNS1_27merge_sort_block_merge_implIS3_N6thrust23THRUST_200600_302600_NS10device_ptrIiEENS9_IsEEjNS1_19radix_merge_compareILb0ELb0EiNS0_19identity_decomposerEEEEE10hipError_tT0_T1_T2_jT3_P12ihipStream_tbPNSt15iterator_traitsISG_E10value_typeEPNSM_ISH_E10value_typeEPSI_NS1_7vsmem_tEENKUlT_SG_SH_SI_E_clIPiSA_PsSB_EESF_SV_SG_SH_SI_EUlSV_E_NS1_11comp_targetILNS1_3genE8ELNS1_11target_archE1030ELNS1_3gpuE2ELNS1_3repE0EEENS1_48merge_mergepath_partition_config_static_selectorELNS0_4arch9wavefront6targetE1EEEvSH_
	.p2align	8
	.type	_ZN7rocprim17ROCPRIM_400000_NS6detail17trampoline_kernelINS0_14default_configENS1_38merge_sort_block_merge_config_selectorIisEEZZNS1_27merge_sort_block_merge_implIS3_N6thrust23THRUST_200600_302600_NS10device_ptrIiEENS9_IsEEjNS1_19radix_merge_compareILb0ELb0EiNS0_19identity_decomposerEEEEE10hipError_tT0_T1_T2_jT3_P12ihipStream_tbPNSt15iterator_traitsISG_E10value_typeEPNSM_ISH_E10value_typeEPSI_NS1_7vsmem_tEENKUlT_SG_SH_SI_E_clIPiSA_PsSB_EESF_SV_SG_SH_SI_EUlSV_E_NS1_11comp_targetILNS1_3genE8ELNS1_11target_archE1030ELNS1_3gpuE2ELNS1_3repE0EEENS1_48merge_mergepath_partition_config_static_selectorELNS0_4arch9wavefront6targetE1EEEvSH_,@function
_ZN7rocprim17ROCPRIM_400000_NS6detail17trampoline_kernelINS0_14default_configENS1_38merge_sort_block_merge_config_selectorIisEEZZNS1_27merge_sort_block_merge_implIS3_N6thrust23THRUST_200600_302600_NS10device_ptrIiEENS9_IsEEjNS1_19radix_merge_compareILb0ELb0EiNS0_19identity_decomposerEEEEE10hipError_tT0_T1_T2_jT3_P12ihipStream_tbPNSt15iterator_traitsISG_E10value_typeEPNSM_ISH_E10value_typeEPSI_NS1_7vsmem_tEENKUlT_SG_SH_SI_E_clIPiSA_PsSB_EESF_SV_SG_SH_SI_EUlSV_E_NS1_11comp_targetILNS1_3genE8ELNS1_11target_archE1030ELNS1_3gpuE2ELNS1_3repE0EEENS1_48merge_mergepath_partition_config_static_selectorELNS0_4arch9wavefront6targetE1EEEvSH_: ; @_ZN7rocprim17ROCPRIM_400000_NS6detail17trampoline_kernelINS0_14default_configENS1_38merge_sort_block_merge_config_selectorIisEEZZNS1_27merge_sort_block_merge_implIS3_N6thrust23THRUST_200600_302600_NS10device_ptrIiEENS9_IsEEjNS1_19radix_merge_compareILb0ELb0EiNS0_19identity_decomposerEEEEE10hipError_tT0_T1_T2_jT3_P12ihipStream_tbPNSt15iterator_traitsISG_E10value_typeEPNSM_ISH_E10value_typeEPSI_NS1_7vsmem_tEENKUlT_SG_SH_SI_E_clIPiSA_PsSB_EESF_SV_SG_SH_SI_EUlSV_E_NS1_11comp_targetILNS1_3genE8ELNS1_11target_archE1030ELNS1_3gpuE2ELNS1_3repE0EEENS1_48merge_mergepath_partition_config_static_selectorELNS0_4arch9wavefront6targetE1EEEvSH_
; %bb.0:
	.section	.rodata,"a",@progbits
	.p2align	6, 0x0
	.amdhsa_kernel _ZN7rocprim17ROCPRIM_400000_NS6detail17trampoline_kernelINS0_14default_configENS1_38merge_sort_block_merge_config_selectorIisEEZZNS1_27merge_sort_block_merge_implIS3_N6thrust23THRUST_200600_302600_NS10device_ptrIiEENS9_IsEEjNS1_19radix_merge_compareILb0ELb0EiNS0_19identity_decomposerEEEEE10hipError_tT0_T1_T2_jT3_P12ihipStream_tbPNSt15iterator_traitsISG_E10value_typeEPNSM_ISH_E10value_typeEPSI_NS1_7vsmem_tEENKUlT_SG_SH_SI_E_clIPiSA_PsSB_EESF_SV_SG_SH_SI_EUlSV_E_NS1_11comp_targetILNS1_3genE8ELNS1_11target_archE1030ELNS1_3gpuE2ELNS1_3repE0EEENS1_48merge_mergepath_partition_config_static_selectorELNS0_4arch9wavefront6targetE1EEEvSH_
		.amdhsa_group_segment_fixed_size 0
		.amdhsa_private_segment_fixed_size 0
		.amdhsa_kernarg_size 40
		.amdhsa_user_sgpr_count 2
		.amdhsa_user_sgpr_dispatch_ptr 0
		.amdhsa_user_sgpr_queue_ptr 0
		.amdhsa_user_sgpr_kernarg_segment_ptr 1
		.amdhsa_user_sgpr_dispatch_id 0
		.amdhsa_user_sgpr_kernarg_preload_length 0
		.amdhsa_user_sgpr_kernarg_preload_offset 0
		.amdhsa_user_sgpr_private_segment_size 0
		.amdhsa_uses_dynamic_stack 0
		.amdhsa_enable_private_segment 0
		.amdhsa_system_sgpr_workgroup_id_x 1
		.amdhsa_system_sgpr_workgroup_id_y 0
		.amdhsa_system_sgpr_workgroup_id_z 0
		.amdhsa_system_sgpr_workgroup_info 0
		.amdhsa_system_vgpr_workitem_id 0
		.amdhsa_next_free_vgpr 1
		.amdhsa_next_free_sgpr 0
		.amdhsa_accum_offset 4
		.amdhsa_reserve_vcc 0
		.amdhsa_float_round_mode_32 0
		.amdhsa_float_round_mode_16_64 0
		.amdhsa_float_denorm_mode_32 3
		.amdhsa_float_denorm_mode_16_64 3
		.amdhsa_dx10_clamp 1
		.amdhsa_ieee_mode 1
		.amdhsa_fp16_overflow 0
		.amdhsa_tg_split 0
		.amdhsa_exception_fp_ieee_invalid_op 0
		.amdhsa_exception_fp_denorm_src 0
		.amdhsa_exception_fp_ieee_div_zero 0
		.amdhsa_exception_fp_ieee_overflow 0
		.amdhsa_exception_fp_ieee_underflow 0
		.amdhsa_exception_fp_ieee_inexact 0
		.amdhsa_exception_int_div_zero 0
	.end_amdhsa_kernel
	.section	.text._ZN7rocprim17ROCPRIM_400000_NS6detail17trampoline_kernelINS0_14default_configENS1_38merge_sort_block_merge_config_selectorIisEEZZNS1_27merge_sort_block_merge_implIS3_N6thrust23THRUST_200600_302600_NS10device_ptrIiEENS9_IsEEjNS1_19radix_merge_compareILb0ELb0EiNS0_19identity_decomposerEEEEE10hipError_tT0_T1_T2_jT3_P12ihipStream_tbPNSt15iterator_traitsISG_E10value_typeEPNSM_ISH_E10value_typeEPSI_NS1_7vsmem_tEENKUlT_SG_SH_SI_E_clIPiSA_PsSB_EESF_SV_SG_SH_SI_EUlSV_E_NS1_11comp_targetILNS1_3genE8ELNS1_11target_archE1030ELNS1_3gpuE2ELNS1_3repE0EEENS1_48merge_mergepath_partition_config_static_selectorELNS0_4arch9wavefront6targetE1EEEvSH_,"axG",@progbits,_ZN7rocprim17ROCPRIM_400000_NS6detail17trampoline_kernelINS0_14default_configENS1_38merge_sort_block_merge_config_selectorIisEEZZNS1_27merge_sort_block_merge_implIS3_N6thrust23THRUST_200600_302600_NS10device_ptrIiEENS9_IsEEjNS1_19radix_merge_compareILb0ELb0EiNS0_19identity_decomposerEEEEE10hipError_tT0_T1_T2_jT3_P12ihipStream_tbPNSt15iterator_traitsISG_E10value_typeEPNSM_ISH_E10value_typeEPSI_NS1_7vsmem_tEENKUlT_SG_SH_SI_E_clIPiSA_PsSB_EESF_SV_SG_SH_SI_EUlSV_E_NS1_11comp_targetILNS1_3genE8ELNS1_11target_archE1030ELNS1_3gpuE2ELNS1_3repE0EEENS1_48merge_mergepath_partition_config_static_selectorELNS0_4arch9wavefront6targetE1EEEvSH_,comdat
.Lfunc_end2297:
	.size	_ZN7rocprim17ROCPRIM_400000_NS6detail17trampoline_kernelINS0_14default_configENS1_38merge_sort_block_merge_config_selectorIisEEZZNS1_27merge_sort_block_merge_implIS3_N6thrust23THRUST_200600_302600_NS10device_ptrIiEENS9_IsEEjNS1_19radix_merge_compareILb0ELb0EiNS0_19identity_decomposerEEEEE10hipError_tT0_T1_T2_jT3_P12ihipStream_tbPNSt15iterator_traitsISG_E10value_typeEPNSM_ISH_E10value_typeEPSI_NS1_7vsmem_tEENKUlT_SG_SH_SI_E_clIPiSA_PsSB_EESF_SV_SG_SH_SI_EUlSV_E_NS1_11comp_targetILNS1_3genE8ELNS1_11target_archE1030ELNS1_3gpuE2ELNS1_3repE0EEENS1_48merge_mergepath_partition_config_static_selectorELNS0_4arch9wavefront6targetE1EEEvSH_, .Lfunc_end2297-_ZN7rocprim17ROCPRIM_400000_NS6detail17trampoline_kernelINS0_14default_configENS1_38merge_sort_block_merge_config_selectorIisEEZZNS1_27merge_sort_block_merge_implIS3_N6thrust23THRUST_200600_302600_NS10device_ptrIiEENS9_IsEEjNS1_19radix_merge_compareILb0ELb0EiNS0_19identity_decomposerEEEEE10hipError_tT0_T1_T2_jT3_P12ihipStream_tbPNSt15iterator_traitsISG_E10value_typeEPNSM_ISH_E10value_typeEPSI_NS1_7vsmem_tEENKUlT_SG_SH_SI_E_clIPiSA_PsSB_EESF_SV_SG_SH_SI_EUlSV_E_NS1_11comp_targetILNS1_3genE8ELNS1_11target_archE1030ELNS1_3gpuE2ELNS1_3repE0EEENS1_48merge_mergepath_partition_config_static_selectorELNS0_4arch9wavefront6targetE1EEEvSH_
                                        ; -- End function
	.set _ZN7rocprim17ROCPRIM_400000_NS6detail17trampoline_kernelINS0_14default_configENS1_38merge_sort_block_merge_config_selectorIisEEZZNS1_27merge_sort_block_merge_implIS3_N6thrust23THRUST_200600_302600_NS10device_ptrIiEENS9_IsEEjNS1_19radix_merge_compareILb0ELb0EiNS0_19identity_decomposerEEEEE10hipError_tT0_T1_T2_jT3_P12ihipStream_tbPNSt15iterator_traitsISG_E10value_typeEPNSM_ISH_E10value_typeEPSI_NS1_7vsmem_tEENKUlT_SG_SH_SI_E_clIPiSA_PsSB_EESF_SV_SG_SH_SI_EUlSV_E_NS1_11comp_targetILNS1_3genE8ELNS1_11target_archE1030ELNS1_3gpuE2ELNS1_3repE0EEENS1_48merge_mergepath_partition_config_static_selectorELNS0_4arch9wavefront6targetE1EEEvSH_.num_vgpr, 0
	.set _ZN7rocprim17ROCPRIM_400000_NS6detail17trampoline_kernelINS0_14default_configENS1_38merge_sort_block_merge_config_selectorIisEEZZNS1_27merge_sort_block_merge_implIS3_N6thrust23THRUST_200600_302600_NS10device_ptrIiEENS9_IsEEjNS1_19radix_merge_compareILb0ELb0EiNS0_19identity_decomposerEEEEE10hipError_tT0_T1_T2_jT3_P12ihipStream_tbPNSt15iterator_traitsISG_E10value_typeEPNSM_ISH_E10value_typeEPSI_NS1_7vsmem_tEENKUlT_SG_SH_SI_E_clIPiSA_PsSB_EESF_SV_SG_SH_SI_EUlSV_E_NS1_11comp_targetILNS1_3genE8ELNS1_11target_archE1030ELNS1_3gpuE2ELNS1_3repE0EEENS1_48merge_mergepath_partition_config_static_selectorELNS0_4arch9wavefront6targetE1EEEvSH_.num_agpr, 0
	.set _ZN7rocprim17ROCPRIM_400000_NS6detail17trampoline_kernelINS0_14default_configENS1_38merge_sort_block_merge_config_selectorIisEEZZNS1_27merge_sort_block_merge_implIS3_N6thrust23THRUST_200600_302600_NS10device_ptrIiEENS9_IsEEjNS1_19radix_merge_compareILb0ELb0EiNS0_19identity_decomposerEEEEE10hipError_tT0_T1_T2_jT3_P12ihipStream_tbPNSt15iterator_traitsISG_E10value_typeEPNSM_ISH_E10value_typeEPSI_NS1_7vsmem_tEENKUlT_SG_SH_SI_E_clIPiSA_PsSB_EESF_SV_SG_SH_SI_EUlSV_E_NS1_11comp_targetILNS1_3genE8ELNS1_11target_archE1030ELNS1_3gpuE2ELNS1_3repE0EEENS1_48merge_mergepath_partition_config_static_selectorELNS0_4arch9wavefront6targetE1EEEvSH_.numbered_sgpr, 0
	.set _ZN7rocprim17ROCPRIM_400000_NS6detail17trampoline_kernelINS0_14default_configENS1_38merge_sort_block_merge_config_selectorIisEEZZNS1_27merge_sort_block_merge_implIS3_N6thrust23THRUST_200600_302600_NS10device_ptrIiEENS9_IsEEjNS1_19radix_merge_compareILb0ELb0EiNS0_19identity_decomposerEEEEE10hipError_tT0_T1_T2_jT3_P12ihipStream_tbPNSt15iterator_traitsISG_E10value_typeEPNSM_ISH_E10value_typeEPSI_NS1_7vsmem_tEENKUlT_SG_SH_SI_E_clIPiSA_PsSB_EESF_SV_SG_SH_SI_EUlSV_E_NS1_11comp_targetILNS1_3genE8ELNS1_11target_archE1030ELNS1_3gpuE2ELNS1_3repE0EEENS1_48merge_mergepath_partition_config_static_selectorELNS0_4arch9wavefront6targetE1EEEvSH_.num_named_barrier, 0
	.set _ZN7rocprim17ROCPRIM_400000_NS6detail17trampoline_kernelINS0_14default_configENS1_38merge_sort_block_merge_config_selectorIisEEZZNS1_27merge_sort_block_merge_implIS3_N6thrust23THRUST_200600_302600_NS10device_ptrIiEENS9_IsEEjNS1_19radix_merge_compareILb0ELb0EiNS0_19identity_decomposerEEEEE10hipError_tT0_T1_T2_jT3_P12ihipStream_tbPNSt15iterator_traitsISG_E10value_typeEPNSM_ISH_E10value_typeEPSI_NS1_7vsmem_tEENKUlT_SG_SH_SI_E_clIPiSA_PsSB_EESF_SV_SG_SH_SI_EUlSV_E_NS1_11comp_targetILNS1_3genE8ELNS1_11target_archE1030ELNS1_3gpuE2ELNS1_3repE0EEENS1_48merge_mergepath_partition_config_static_selectorELNS0_4arch9wavefront6targetE1EEEvSH_.private_seg_size, 0
	.set _ZN7rocprim17ROCPRIM_400000_NS6detail17trampoline_kernelINS0_14default_configENS1_38merge_sort_block_merge_config_selectorIisEEZZNS1_27merge_sort_block_merge_implIS3_N6thrust23THRUST_200600_302600_NS10device_ptrIiEENS9_IsEEjNS1_19radix_merge_compareILb0ELb0EiNS0_19identity_decomposerEEEEE10hipError_tT0_T1_T2_jT3_P12ihipStream_tbPNSt15iterator_traitsISG_E10value_typeEPNSM_ISH_E10value_typeEPSI_NS1_7vsmem_tEENKUlT_SG_SH_SI_E_clIPiSA_PsSB_EESF_SV_SG_SH_SI_EUlSV_E_NS1_11comp_targetILNS1_3genE8ELNS1_11target_archE1030ELNS1_3gpuE2ELNS1_3repE0EEENS1_48merge_mergepath_partition_config_static_selectorELNS0_4arch9wavefront6targetE1EEEvSH_.uses_vcc, 0
	.set _ZN7rocprim17ROCPRIM_400000_NS6detail17trampoline_kernelINS0_14default_configENS1_38merge_sort_block_merge_config_selectorIisEEZZNS1_27merge_sort_block_merge_implIS3_N6thrust23THRUST_200600_302600_NS10device_ptrIiEENS9_IsEEjNS1_19radix_merge_compareILb0ELb0EiNS0_19identity_decomposerEEEEE10hipError_tT0_T1_T2_jT3_P12ihipStream_tbPNSt15iterator_traitsISG_E10value_typeEPNSM_ISH_E10value_typeEPSI_NS1_7vsmem_tEENKUlT_SG_SH_SI_E_clIPiSA_PsSB_EESF_SV_SG_SH_SI_EUlSV_E_NS1_11comp_targetILNS1_3genE8ELNS1_11target_archE1030ELNS1_3gpuE2ELNS1_3repE0EEENS1_48merge_mergepath_partition_config_static_selectorELNS0_4arch9wavefront6targetE1EEEvSH_.uses_flat_scratch, 0
	.set _ZN7rocprim17ROCPRIM_400000_NS6detail17trampoline_kernelINS0_14default_configENS1_38merge_sort_block_merge_config_selectorIisEEZZNS1_27merge_sort_block_merge_implIS3_N6thrust23THRUST_200600_302600_NS10device_ptrIiEENS9_IsEEjNS1_19radix_merge_compareILb0ELb0EiNS0_19identity_decomposerEEEEE10hipError_tT0_T1_T2_jT3_P12ihipStream_tbPNSt15iterator_traitsISG_E10value_typeEPNSM_ISH_E10value_typeEPSI_NS1_7vsmem_tEENKUlT_SG_SH_SI_E_clIPiSA_PsSB_EESF_SV_SG_SH_SI_EUlSV_E_NS1_11comp_targetILNS1_3genE8ELNS1_11target_archE1030ELNS1_3gpuE2ELNS1_3repE0EEENS1_48merge_mergepath_partition_config_static_selectorELNS0_4arch9wavefront6targetE1EEEvSH_.has_dyn_sized_stack, 0
	.set _ZN7rocprim17ROCPRIM_400000_NS6detail17trampoline_kernelINS0_14default_configENS1_38merge_sort_block_merge_config_selectorIisEEZZNS1_27merge_sort_block_merge_implIS3_N6thrust23THRUST_200600_302600_NS10device_ptrIiEENS9_IsEEjNS1_19radix_merge_compareILb0ELb0EiNS0_19identity_decomposerEEEEE10hipError_tT0_T1_T2_jT3_P12ihipStream_tbPNSt15iterator_traitsISG_E10value_typeEPNSM_ISH_E10value_typeEPSI_NS1_7vsmem_tEENKUlT_SG_SH_SI_E_clIPiSA_PsSB_EESF_SV_SG_SH_SI_EUlSV_E_NS1_11comp_targetILNS1_3genE8ELNS1_11target_archE1030ELNS1_3gpuE2ELNS1_3repE0EEENS1_48merge_mergepath_partition_config_static_selectorELNS0_4arch9wavefront6targetE1EEEvSH_.has_recursion, 0
	.set _ZN7rocprim17ROCPRIM_400000_NS6detail17trampoline_kernelINS0_14default_configENS1_38merge_sort_block_merge_config_selectorIisEEZZNS1_27merge_sort_block_merge_implIS3_N6thrust23THRUST_200600_302600_NS10device_ptrIiEENS9_IsEEjNS1_19radix_merge_compareILb0ELb0EiNS0_19identity_decomposerEEEEE10hipError_tT0_T1_T2_jT3_P12ihipStream_tbPNSt15iterator_traitsISG_E10value_typeEPNSM_ISH_E10value_typeEPSI_NS1_7vsmem_tEENKUlT_SG_SH_SI_E_clIPiSA_PsSB_EESF_SV_SG_SH_SI_EUlSV_E_NS1_11comp_targetILNS1_3genE8ELNS1_11target_archE1030ELNS1_3gpuE2ELNS1_3repE0EEENS1_48merge_mergepath_partition_config_static_selectorELNS0_4arch9wavefront6targetE1EEEvSH_.has_indirect_call, 0
	.section	.AMDGPU.csdata,"",@progbits
; Kernel info:
; codeLenInByte = 0
; TotalNumSgprs: 6
; NumVgprs: 0
; NumAgprs: 0
; TotalNumVgprs: 0
; ScratchSize: 0
; MemoryBound: 0
; FloatMode: 240
; IeeeMode: 1
; LDSByteSize: 0 bytes/workgroup (compile time only)
; SGPRBlocks: 0
; VGPRBlocks: 0
; NumSGPRsForWavesPerEU: 6
; NumVGPRsForWavesPerEU: 1
; AccumOffset: 4
; Occupancy: 8
; WaveLimiterHint : 0
; COMPUTE_PGM_RSRC2:SCRATCH_EN: 0
; COMPUTE_PGM_RSRC2:USER_SGPR: 2
; COMPUTE_PGM_RSRC2:TRAP_HANDLER: 0
; COMPUTE_PGM_RSRC2:TGID_X_EN: 1
; COMPUTE_PGM_RSRC2:TGID_Y_EN: 0
; COMPUTE_PGM_RSRC2:TGID_Z_EN: 0
; COMPUTE_PGM_RSRC2:TIDIG_COMP_CNT: 0
; COMPUTE_PGM_RSRC3_GFX90A:ACCUM_OFFSET: 0
; COMPUTE_PGM_RSRC3_GFX90A:TG_SPLIT: 0
	.section	.text._ZN7rocprim17ROCPRIM_400000_NS6detail17trampoline_kernelINS0_14default_configENS1_38merge_sort_block_merge_config_selectorIisEEZZNS1_27merge_sort_block_merge_implIS3_N6thrust23THRUST_200600_302600_NS10device_ptrIiEENS9_IsEEjNS1_19radix_merge_compareILb0ELb0EiNS0_19identity_decomposerEEEEE10hipError_tT0_T1_T2_jT3_P12ihipStream_tbPNSt15iterator_traitsISG_E10value_typeEPNSM_ISH_E10value_typeEPSI_NS1_7vsmem_tEENKUlT_SG_SH_SI_E_clIPiSA_PsSB_EESF_SV_SG_SH_SI_EUlSV_E0_NS1_11comp_targetILNS1_3genE0ELNS1_11target_archE4294967295ELNS1_3gpuE0ELNS1_3repE0EEENS1_38merge_mergepath_config_static_selectorELNS0_4arch9wavefront6targetE1EEEvSH_,"axG",@progbits,_ZN7rocprim17ROCPRIM_400000_NS6detail17trampoline_kernelINS0_14default_configENS1_38merge_sort_block_merge_config_selectorIisEEZZNS1_27merge_sort_block_merge_implIS3_N6thrust23THRUST_200600_302600_NS10device_ptrIiEENS9_IsEEjNS1_19radix_merge_compareILb0ELb0EiNS0_19identity_decomposerEEEEE10hipError_tT0_T1_T2_jT3_P12ihipStream_tbPNSt15iterator_traitsISG_E10value_typeEPNSM_ISH_E10value_typeEPSI_NS1_7vsmem_tEENKUlT_SG_SH_SI_E_clIPiSA_PsSB_EESF_SV_SG_SH_SI_EUlSV_E0_NS1_11comp_targetILNS1_3genE0ELNS1_11target_archE4294967295ELNS1_3gpuE0ELNS1_3repE0EEENS1_38merge_mergepath_config_static_selectorELNS0_4arch9wavefront6targetE1EEEvSH_,comdat
	.protected	_ZN7rocprim17ROCPRIM_400000_NS6detail17trampoline_kernelINS0_14default_configENS1_38merge_sort_block_merge_config_selectorIisEEZZNS1_27merge_sort_block_merge_implIS3_N6thrust23THRUST_200600_302600_NS10device_ptrIiEENS9_IsEEjNS1_19radix_merge_compareILb0ELb0EiNS0_19identity_decomposerEEEEE10hipError_tT0_T1_T2_jT3_P12ihipStream_tbPNSt15iterator_traitsISG_E10value_typeEPNSM_ISH_E10value_typeEPSI_NS1_7vsmem_tEENKUlT_SG_SH_SI_E_clIPiSA_PsSB_EESF_SV_SG_SH_SI_EUlSV_E0_NS1_11comp_targetILNS1_3genE0ELNS1_11target_archE4294967295ELNS1_3gpuE0ELNS1_3repE0EEENS1_38merge_mergepath_config_static_selectorELNS0_4arch9wavefront6targetE1EEEvSH_ ; -- Begin function _ZN7rocprim17ROCPRIM_400000_NS6detail17trampoline_kernelINS0_14default_configENS1_38merge_sort_block_merge_config_selectorIisEEZZNS1_27merge_sort_block_merge_implIS3_N6thrust23THRUST_200600_302600_NS10device_ptrIiEENS9_IsEEjNS1_19radix_merge_compareILb0ELb0EiNS0_19identity_decomposerEEEEE10hipError_tT0_T1_T2_jT3_P12ihipStream_tbPNSt15iterator_traitsISG_E10value_typeEPNSM_ISH_E10value_typeEPSI_NS1_7vsmem_tEENKUlT_SG_SH_SI_E_clIPiSA_PsSB_EESF_SV_SG_SH_SI_EUlSV_E0_NS1_11comp_targetILNS1_3genE0ELNS1_11target_archE4294967295ELNS1_3gpuE0ELNS1_3repE0EEENS1_38merge_mergepath_config_static_selectorELNS0_4arch9wavefront6targetE1EEEvSH_
	.globl	_ZN7rocprim17ROCPRIM_400000_NS6detail17trampoline_kernelINS0_14default_configENS1_38merge_sort_block_merge_config_selectorIisEEZZNS1_27merge_sort_block_merge_implIS3_N6thrust23THRUST_200600_302600_NS10device_ptrIiEENS9_IsEEjNS1_19radix_merge_compareILb0ELb0EiNS0_19identity_decomposerEEEEE10hipError_tT0_T1_T2_jT3_P12ihipStream_tbPNSt15iterator_traitsISG_E10value_typeEPNSM_ISH_E10value_typeEPSI_NS1_7vsmem_tEENKUlT_SG_SH_SI_E_clIPiSA_PsSB_EESF_SV_SG_SH_SI_EUlSV_E0_NS1_11comp_targetILNS1_3genE0ELNS1_11target_archE4294967295ELNS1_3gpuE0ELNS1_3repE0EEENS1_38merge_mergepath_config_static_selectorELNS0_4arch9wavefront6targetE1EEEvSH_
	.p2align	8
	.type	_ZN7rocprim17ROCPRIM_400000_NS6detail17trampoline_kernelINS0_14default_configENS1_38merge_sort_block_merge_config_selectorIisEEZZNS1_27merge_sort_block_merge_implIS3_N6thrust23THRUST_200600_302600_NS10device_ptrIiEENS9_IsEEjNS1_19radix_merge_compareILb0ELb0EiNS0_19identity_decomposerEEEEE10hipError_tT0_T1_T2_jT3_P12ihipStream_tbPNSt15iterator_traitsISG_E10value_typeEPNSM_ISH_E10value_typeEPSI_NS1_7vsmem_tEENKUlT_SG_SH_SI_E_clIPiSA_PsSB_EESF_SV_SG_SH_SI_EUlSV_E0_NS1_11comp_targetILNS1_3genE0ELNS1_11target_archE4294967295ELNS1_3gpuE0ELNS1_3repE0EEENS1_38merge_mergepath_config_static_selectorELNS0_4arch9wavefront6targetE1EEEvSH_,@function
_ZN7rocprim17ROCPRIM_400000_NS6detail17trampoline_kernelINS0_14default_configENS1_38merge_sort_block_merge_config_selectorIisEEZZNS1_27merge_sort_block_merge_implIS3_N6thrust23THRUST_200600_302600_NS10device_ptrIiEENS9_IsEEjNS1_19radix_merge_compareILb0ELb0EiNS0_19identity_decomposerEEEEE10hipError_tT0_T1_T2_jT3_P12ihipStream_tbPNSt15iterator_traitsISG_E10value_typeEPNSM_ISH_E10value_typeEPSI_NS1_7vsmem_tEENKUlT_SG_SH_SI_E_clIPiSA_PsSB_EESF_SV_SG_SH_SI_EUlSV_E0_NS1_11comp_targetILNS1_3genE0ELNS1_11target_archE4294967295ELNS1_3gpuE0ELNS1_3repE0EEENS1_38merge_mergepath_config_static_selectorELNS0_4arch9wavefront6targetE1EEEvSH_: ; @_ZN7rocprim17ROCPRIM_400000_NS6detail17trampoline_kernelINS0_14default_configENS1_38merge_sort_block_merge_config_selectorIisEEZZNS1_27merge_sort_block_merge_implIS3_N6thrust23THRUST_200600_302600_NS10device_ptrIiEENS9_IsEEjNS1_19radix_merge_compareILb0ELb0EiNS0_19identity_decomposerEEEEE10hipError_tT0_T1_T2_jT3_P12ihipStream_tbPNSt15iterator_traitsISG_E10value_typeEPNSM_ISH_E10value_typeEPSI_NS1_7vsmem_tEENKUlT_SG_SH_SI_E_clIPiSA_PsSB_EESF_SV_SG_SH_SI_EUlSV_E0_NS1_11comp_targetILNS1_3genE0ELNS1_11target_archE4294967295ELNS1_3gpuE0ELNS1_3repE0EEENS1_38merge_mergepath_config_static_selectorELNS0_4arch9wavefront6targetE1EEEvSH_
; %bb.0:
	s_load_dwordx2 s[26:27], s[0:1], 0x40
	s_load_dword s5, s[0:1], 0x30
	s_add_u32 s22, s0, 64
	s_addc_u32 s23, s1, 0
	s_waitcnt lgkmcnt(0)
	s_mul_i32 s4, s27, s4
	s_add_i32 s3, s4, s3
	s_mul_i32 s3, s3, s26
	s_add_i32 s24, s3, s2
	s_cmp_ge_u32 s24, s5
	s_cbranch_scc1 .LBB2298_46
; %bb.1:
	s_load_dwordx8 s[8:15], s[0:1], 0x10
	s_load_dwordx2 s[20:21], s[0:1], 0x8
	s_load_dwordx2 s[4:5], s[0:1], 0x38
	s_mov_b32 s25, 0
	v_mov_b32_e32 v7, 0
	s_waitcnt lgkmcnt(0)
	s_lshr_b32 s27, s14, 10
	s_cmp_lg_u32 s24, s27
	s_cselect_b64 s[18:19], -1, 0
	s_lshl_b64 s[0:1], s[24:25], 2
	s_add_u32 s4, s4, s0
	s_addc_u32 s5, s5, s1
	s_lshr_b32 s3, s15, 9
	s_and_b32 s3, s3, 0x7ffffe
	s_load_dwordx2 s[0:1], s[4:5], 0x0
	s_sub_i32 s3, 0, s3
	s_and_b32 s4, s24, s3
	s_lshl_b32 s5, s4, 10
	s_lshl_b32 s16, s24, 10
	s_lshl_b32 s4, s4, 11
	s_sub_i32 s6, s16, s5
	s_add_i32 s7, s4, s15
	s_add_i32 s6, s7, s6
	s_waitcnt lgkmcnt(0)
	s_sub_i32 s4, s6, s0
	s_sub_i32 s6, s6, s1
	;; [unrolled: 1-line block ×3, first 2 shown]
	s_min_u32 s4, s14, s4
	s_addk_i32 s6, 0x400
	s_or_b32 s3, s24, s3
	s_min_u32 s7, s14, s5
	s_add_i32 s5, s5, s15
	s_cmp_eq_u32 s3, -1
	s_cselect_b32 s1, s7, s1
	s_cselect_b32 s3, s5, s6
	s_sub_i32 s15, s1, s0
	s_mov_b32 s1, s25
	s_min_u32 s17, s3, s14
	s_lshl_b64 s[6:7], s[0:1], 2
	s_add_u32 s6, s20, s6
	s_mov_b32 s5, s25
	s_addc_u32 s7, s21, s7
	s_lshl_b64 s[28:29], s[4:5], 2
	s_add_u32 s20, s20, s28
	s_addc_u32 s21, s21, s29
	s_cmp_lt_u32 s2, s26
	s_cselect_b32 s2, 12, 18
	global_load_dword v1, v7, s[22:23] offset:14
	s_add_u32 s2, s22, s2
	s_addc_u32 s3, s23, 0
	global_load_ushort v2, v7, s[2:3]
	s_cmp_eq_u32 s24, s27
	v_lshlrev_b32_e32 v6, 2, v0
	s_waitcnt vmcnt(1)
	v_lshrrev_b32_e32 v3, 16, v1
	v_and_b32_e32 v1, 0xffff, v1
	v_mul_lo_u32 v1, v1, v3
	s_waitcnt vmcnt(0)
	v_mul_lo_u32 v1, v1, v2
	v_add_u32_e32 v12, v1, v0
	v_add_u32_e32 v10, v12, v1
	s_cbranch_scc1 .LBB2298_3
; %bb.2:
	v_subrev_co_u32_e32 v4, vcc, s15, v0
	v_mov_b32_e32 v5, v7
	v_lshl_add_u64 v[2:3], s[6:7], 0, v[6:7]
	v_lshl_add_u64 v[4:5], v[4:5], 2, s[20:21]
	v_cndmask_b32_e32 v3, v5, v3, vcc
	v_cndmask_b32_e32 v2, v4, v2, vcc
	global_load_dword v2, v[2:3], off
	v_mov_b32_e32 v13, v7
	v_subrev_co_u32_e32 v8, vcc, s15, v12
	v_mov_b32_e32 v9, v7
	v_lshl_add_u64 v[4:5], v[12:13], 2, s[6:7]
	v_lshl_add_u64 v[8:9], v[8:9], 2, s[20:21]
	v_cndmask_b32_e32 v5, v9, v5, vcc
	v_cndmask_b32_e32 v4, v8, v4, vcc
	v_mov_b32_e32 v11, v7
	v_subrev_co_u32_e32 v8, vcc, s15, v10
	v_mov_b32_e32 v9, v7
	global_load_dword v3, v[4:5], off
	v_lshl_add_u64 v[4:5], v[10:11], 2, s[6:7]
	v_lshl_add_u64 v[8:9], v[8:9], 2, s[20:21]
	v_cndmask_b32_e32 v5, v9, v5, vcc
	v_cndmask_b32_e32 v4, v8, v4, vcc
	global_load_dword v4, v[4:5], off
	v_add_u32_e32 v8, v10, v1
	s_mov_b64 s[2:3], -1
	s_sub_i32 s17, s17, s4
	s_cbranch_execz .LBB2298_4
	s_branch .LBB2298_9
.LBB2298_3:
	s_mov_b64 s[2:3], 0
                                        ; implicit-def: $vgpr8
                                        ; implicit-def: $vgpr2_vgpr3_vgpr4_vgpr5
	s_sub_i32 s17, s17, s4
.LBB2298_4:
	s_add_i32 s22, s17, s15
	s_waitcnt vmcnt(2)
	v_mov_b32_e32 v2, 0
	v_cmp_gt_u32_e32 vcc, s22, v0
	s_waitcnt vmcnt(1)
	v_mov_b32_e32 v3, v2
	s_waitcnt vmcnt(0)
	v_mov_b32_e32 v4, v2
	v_mov_b32_e32 v5, v2
	s_and_saveexec_b64 s[2:3], vcc
	s_cbranch_execnz .LBB2298_47
; %bb.5:
	s_or_b64 exec, exec, s[2:3]
	v_cmp_gt_u32_e32 vcc, s22, v12
	s_and_saveexec_b64 s[2:3], vcc
	s_cbranch_execnz .LBB2298_48
.LBB2298_6:
	s_or_b64 exec, exec, s[2:3]
	v_cmp_gt_u32_e32 vcc, s22, v10
	s_and_saveexec_b64 s[2:3], vcc
	s_cbranch_execz .LBB2298_8
.LBB2298_7:
	v_mov_b32_e32 v11, 0
	v_subrev_co_u32_e32 v14, vcc, s15, v10
	v_mov_b32_e32 v15, v11
	v_lshl_add_u64 v[8:9], v[10:11], 2, s[6:7]
	v_lshl_add_u64 v[14:15], v[14:15], 2, s[20:21]
	v_cndmask_b32_e32 v9, v15, v9, vcc
	v_cndmask_b32_e32 v8, v14, v8, vcc
	global_load_dword v4, v[8:9], off
.LBB2298_8:
	s_or_b64 exec, exec, s[2:3]
	v_add_u32_e32 v8, v10, v1
	v_cmp_gt_u32_e64 s[2:3], s22, v8
.LBB2298_9:
	s_and_saveexec_b64 s[22:23], s[2:3]
	s_cbranch_execz .LBB2298_11
; %bb.10:
	v_mov_b32_e32 v9, 0
	v_lshl_add_u64 v[14:15], v[8:9], 2, s[6:7]
	v_subrev_co_u32_e32 v8, vcc, s15, v8
	v_lshl_add_u64 v[8:9], v[8:9], 2, s[20:21]
	s_nop 0
	v_cndmask_b32_e32 v9, v9, v15, vcc
	v_cndmask_b32_e32 v8, v8, v14, vcc
	global_load_dword v5, v[8:9], off
.LBB2298_11:
	s_or_b64 exec, exec, s[22:23]
	s_lshl_b64 s[0:1], s[0:1], 1
	s_add_u32 s0, s10, s0
	s_addc_u32 s1, s11, s1
	s_lshl_b64 s[2:3], s[4:5], 1
	s_add_u32 s2, s10, s2
	v_mov_b32_e32 v9, 0
	s_addc_u32 s3, s11, s3
	s_andn2_b64 vcc, exec, s[18:19]
	v_lshlrev_b32_e32 v8, 1, v0
	s_waitcnt vmcnt(0)
	ds_write2st64_b32 v6, v2, v3 offset1:4
	ds_write2st64_b32 v6, v4, v5 offset0:8 offset1:12
	s_cbranch_vccnz .LBB2298_13
; %bb.12:
	v_subrev_co_u32_e32 v16, vcc, s15, v0
	v_mov_b32_e32 v17, v9
	v_lshl_add_u64 v[14:15], s[0:1], 0, v[8:9]
	v_lshl_add_u64 v[16:17], v[16:17], 1, s[2:3]
	v_cndmask_b32_e32 v15, v17, v15, vcc
	v_cndmask_b32_e32 v14, v16, v14, vcc
	v_mov_b32_e32 v13, v9
	v_subrev_co_u32_e32 v16, vcc, s15, v12
	v_mov_b32_e32 v17, v9
	global_load_ushort v7, v[14:15], off
	v_lshl_add_u64 v[14:15], v[12:13], 1, s[0:1]
	v_lshl_add_u64 v[16:17], v[16:17], 1, s[2:3]
	v_cndmask_b32_e32 v15, v17, v15, vcc
	v_cndmask_b32_e32 v14, v16, v14, vcc
	v_mov_b32_e32 v11, v9
	v_subrev_co_u32_e32 v16, vcc, s15, v10
	v_mov_b32_e32 v17, v9
	global_load_ushort v13, v[14:15], off
	v_lshl_add_u64 v[14:15], v[10:11], 1, s[0:1]
	v_lshl_add_u64 v[16:17], v[16:17], 1, s[2:3]
	v_cndmask_b32_e32 v15, v17, v15, vcc
	v_cndmask_b32_e32 v14, v16, v14, vcc
	global_load_ushort v11, v[14:15], off
	v_add_u32_e32 v14, v10, v1
	v_mov_b32_e32 v15, v9
	v_lshl_add_u64 v[16:17], v[14:15], 1, s[0:1]
	v_subrev_co_u32_e32 v14, vcc, s15, v14
	v_lshl_add_u64 v[14:15], v[14:15], 1, s[2:3]
	s_nop 0
	v_cndmask_b32_e32 v15, v15, v17, vcc
	v_cndmask_b32_e32 v14, v14, v16, vcc
	global_load_ushort v9, v[14:15], off
	s_mov_b32 s4, 0x5040100
	s_add_i32 s20, s17, s15
	s_waitcnt vmcnt(2)
	v_perm_b32 v14, v13, v7, s4
	s_waitcnt vmcnt(0)
	v_perm_b32 v15, v9, v11, s4
	s_cbranch_execz .LBB2298_14
	s_branch .LBB2298_21
.LBB2298_13:
                                        ; implicit-def: $vgpr14_vgpr15
                                        ; implicit-def: $sgpr20
.LBB2298_14:
	s_add_i32 s20, s17, s15
	v_mov_b32_e32 v14, 0
	v_cmp_gt_u32_e32 vcc, s20, v0
	v_mov_b32_e32 v15, v14
	s_and_saveexec_b64 s[4:5], vcc
	s_cbranch_execnz .LBB2298_49
; %bb.15:
	s_or_b64 exec, exec, s[4:5]
	v_cmp_gt_u32_e32 vcc, s20, v12
	s_and_saveexec_b64 s[4:5], vcc
	s_cbranch_execnz .LBB2298_50
.LBB2298_16:
	s_or_b64 exec, exec, s[4:5]
	v_cmp_gt_u32_e32 vcc, s20, v10
	s_and_saveexec_b64 s[4:5], vcc
	s_cbranch_execz .LBB2298_18
.LBB2298_17:
	v_mov_b32_e32 v11, 0
	v_subrev_co_u32_e32 v16, vcc, s15, v10
	v_mov_b32_e32 v17, v11
	v_lshl_add_u64 v[12:13], v[10:11], 1, s[0:1]
	v_lshl_add_u64 v[16:17], v[16:17], 1, s[2:3]
	v_cndmask_b32_e32 v13, v17, v13, vcc
	v_cndmask_b32_e32 v12, v16, v12, vcc
	global_load_ushort v7, v[12:13], off
	s_mov_b32 s6, 0xffff
	s_waitcnt vmcnt(0)
	v_bfi_b32 v15, s6, v7, v15
.LBB2298_18:
	s_or_b64 exec, exec, s[4:5]
	v_add_u32_e32 v10, v10, v1
	v_cmp_gt_u32_e32 vcc, s20, v10
	s_and_saveexec_b64 s[4:5], vcc
	s_cbranch_execz .LBB2298_20
; %bb.19:
	v_mov_b32_e32 v11, 0
	v_lshl_add_u64 v[12:13], v[10:11], 1, s[0:1]
	v_subrev_co_u32_e32 v10, vcc, s15, v10
	v_lshl_add_u64 v[10:11], v[10:11], 1, s[2:3]
	s_nop 0
	v_cndmask_b32_e32 v11, v11, v13, vcc
	v_cndmask_b32_e32 v10, v10, v12, vcc
	global_load_ushort v1, v[10:11], off
	s_mov_b32 s0, 0x5040100
	s_waitcnt vmcnt(0)
	v_perm_b32 v15, v1, v15, s0
.LBB2298_20:
	s_or_b64 exec, exec, s[4:5]
.LBB2298_21:
	v_min_u32_e32 v7, s20, v6
	v_sub_u32_e64 v1, v7, s17 clamp
	v_min_u32_e32 v9, s15, v7
	v_cmp_lt_u32_e32 vcc, v1, v9
	s_waitcnt lgkmcnt(0)
	s_barrier
	s_and_saveexec_b64 s[0:1], vcc
	s_cbranch_execz .LBB2298_25
; %bb.22:
	v_lshlrev_b32_e32 v10, 2, v7
	v_lshl_add_u32 v10, s15, 2, v10
	s_mov_b64 s[2:3], 0
.LBB2298_23:                            ; =>This Inner Loop Header: Depth=1
	v_add_u32_e32 v11, v9, v1
	v_lshrrev_b32_e32 v11, 1, v11
	v_not_b32_e32 v12, v11
	v_lshlrev_b32_e32 v13, 2, v11
	v_lshl_add_u32 v12, v12, 2, v10
	ds_read_b32 v13, v13
	ds_read_b32 v12, v12
	v_add_u32_e32 v16, 1, v11
	s_waitcnt lgkmcnt(0)
	v_cmp_gt_i32_e32 vcc, v13, v12
	s_nop 1
	v_cndmask_b32_e32 v9, v9, v11, vcc
	v_cndmask_b32_e32 v1, v16, v1, vcc
	v_cmp_ge_u32_e32 vcc, v1, v9
	s_or_b64 s[2:3], vcc, s[2:3]
	s_andn2_b64 exec, exec, s[2:3]
	s_cbranch_execnz .LBB2298_23
; %bb.24:
	s_or_b64 exec, exec, s[2:3]
.LBB2298_25:
	s_or_b64 exec, exec, s[0:1]
	v_sub_u32_e32 v7, v7, v1
	v_add_u32_e32 v11, s15, v7
	v_cmp_ge_u32_e32 vcc, s15, v1
	v_cmp_ge_u32_e64 s[0:1], s20, v11
	s_or_b64 s[0:1], vcc, s[0:1]
	v_mov_b32_e32 v12, 0
	v_mov_b32_e32 v10, 0
	;; [unrolled: 1-line block ×4, first 2 shown]
	s_and_saveexec_b64 s[10:11], s[0:1]
	s_cbranch_execz .LBB2298_31
; %bb.26:
	v_cmp_gt_u32_e32 vcc, s15, v1
                                        ; implicit-def: $vgpr2
	s_and_saveexec_b64 s[0:1], vcc
; %bb.27:
	v_lshlrev_b32_e32 v2, 2, v1
	ds_read_b32 v2, v2
; %bb.28:
	s_or_b64 exec, exec, s[0:1]
	v_cmp_le_u32_e64 s[0:1], s20, v11
	v_cmp_gt_u32_e64 s[2:3], s20, v11
                                        ; implicit-def: $vgpr3
	s_and_saveexec_b64 s[4:5], s[2:3]
; %bb.29:
	v_lshlrev_b32_e32 v3, 2, v11
	ds_read_b32 v3, v3
; %bb.30:
	s_or_b64 exec, exec, s[4:5]
	s_waitcnt lgkmcnt(0)
	v_cmp_le_i32_e64 s[2:3], v2, v3
	s_and_b64 s[2:3], vcc, s[2:3]
	s_or_b64 vcc, s[0:1], s[2:3]
	v_mov_b32_e32 v4, s20
	v_mov_b32_e32 v5, s15
	v_cndmask_b32_e32 v7, v11, v1, vcc
	v_cndmask_b32_e32 v9, v4, v5, vcc
	v_add_u32_e32 v10, 1, v7
	v_add_u32_e32 v9, -1, v9
	v_min_u32_e32 v9, v10, v9
	v_lshlrev_b32_e32 v9, 2, v9
	ds_read_b32 v9, v9
	v_cndmask_b32_e32 v1, v1, v10, vcc
	v_cndmask_b32_e32 v11, v10, v11, vcc
	v_cmp_gt_u32_e64 s[2:3], s15, v1
	v_cmp_le_u32_e64 s[0:1], s20, v11
	s_waitcnt lgkmcnt(0)
	v_cndmask_b32_e32 v12, v9, v3, vcc
	v_cndmask_b32_e32 v13, v2, v9, vcc
	v_cmp_le_i32_e64 s[4:5], v13, v12
	s_and_b64 s[2:3], s[2:3], s[4:5]
	s_or_b64 s[0:1], s[0:1], s[2:3]
	v_cndmask_b32_e64 v9, v11, v1, s[0:1]
	v_cndmask_b32_e64 v10, v4, v5, s[0:1]
	v_add_u32_e32 v16, 1, v9
	v_add_u32_e32 v10, -1, v10
	v_min_u32_e32 v10, v16, v10
	v_lshlrev_b32_e32 v10, 2, v10
	ds_read_b32 v10, v10
	v_cndmask_b32_e64 v1, v1, v16, s[0:1]
	v_cndmask_b32_e64 v11, v16, v11, s[0:1]
	v_cmp_gt_u32_e64 s[4:5], s15, v1
	v_cmp_le_u32_e64 s[2:3], s20, v11
	s_waitcnt lgkmcnt(0)
	v_cndmask_b32_e64 v17, v10, v12, s[0:1]
	v_cndmask_b32_e64 v18, v13, v10, s[0:1]
	v_cmp_le_i32_e64 s[6:7], v18, v17
	s_and_b64 s[4:5], s[4:5], s[6:7]
	s_or_b64 s[2:3], s[2:3], s[4:5]
	v_cndmask_b32_e64 v10, v11, v1, s[2:3]
	v_cndmask_b32_e64 v4, v4, v5, s[2:3]
	v_add_u32_e32 v5, 1, v10
	v_add_u32_e32 v4, -1, v4
	v_min_u32_e32 v4, v5, v4
	v_lshlrev_b32_e32 v4, 2, v4
	ds_read_b32 v16, v4
	v_cndmask_b32_e32 v2, v3, v2, vcc
	v_cndmask_b32_e64 v3, v12, v13, s[0:1]
	v_cndmask_b32_e64 v1, v1, v5, s[2:3]
	;; [unrolled: 1-line block ×3, first 2 shown]
	s_waitcnt lgkmcnt(0)
	v_cndmask_b32_e64 v13, v16, v17, s[2:3]
	v_cndmask_b32_e64 v16, v18, v16, s[2:3]
	;; [unrolled: 1-line block ×3, first 2 shown]
	v_cmp_gt_u32_e64 s[0:1], s15, v1
	v_cmp_le_i32_e64 s[2:3], v16, v13
	v_cmp_le_u32_e32 vcc, s20, v11
	s_and_b64 s[0:1], s[0:1], s[2:3]
	s_or_b64 vcc, vcc, s[0:1]
	v_cndmask_b32_e32 v12, v11, v1, vcc
	v_cndmask_b32_e32 v5, v13, v16, vcc
.LBB2298_31:
	s_or_b64 exec, exec, s[10:11]
	v_sub_u32_e32 v1, v6, v8
	s_barrier
	ds_write_b16 v1, v14
	ds_write_b16_d16_hi v1, v14 offset:512
	ds_write_b16 v1, v15 offset:1024
	ds_write_b16_d16_hi v1, v15 offset:1536
	v_lshlrev_b32_e32 v1, 1, v7
	v_lshlrev_b32_e32 v10, 1, v10
	;; [unrolled: 1-line block ×3, first 2 shown]
	s_waitcnt lgkmcnt(0)
	s_barrier
	v_lshlrev_b32_e32 v7, 1, v9
	ds_read_u16 v1, v1
	ds_read_u16 v9, v7
	;; [unrolled: 1-line block ×4, first 2 shown]
	s_mov_b32 s17, 0
	s_lshl_b64 s[0:1], s[16:17], 2
	v_lshrrev_b32_e32 v12, 3, v0
	v_lshlrev_b32_e32 v7, 2, v6
	s_add_u32 s0, s8, s0
	v_lshl_add_u32 v7, v12, 2, v7
	v_or_b32_e32 v16, 0x100, v0
	v_or_b32_e32 v15, 0x200, v0
	;; [unrolled: 1-line block ×3, first 2 shown]
	s_waitcnt lgkmcnt(0)
	s_barrier
	s_barrier
	s_addc_u32 s1, s9, s1
	ds_write2_b32 v7, v2, v3 offset1:1
	ds_write2_b32 v7, v4, v5 offset0:2 offset1:3
	v_lshrrev_b32_e32 v4, 5, v0
	v_lshrrev_b32_e32 v5, 5, v16
	;; [unrolled: 1-line block ×4, first 2 shown]
	v_mov_b32_e32 v7, 0
	v_lshl_add_u32 v17, v4, 2, v6
	v_lshl_add_u32 v18, v5, 2, v6
	;; [unrolled: 1-line block ×4, first 2 shown]
	v_lshl_add_u64 v[2:3], s[0:1], 0, v[6:7]
	s_and_b64 vcc, exec, s[18:19]
	v_and_b32_e32 v12, 30, v12
	v_lshlrev_b32_e32 v13, 1, v6
	v_and_b32_e32 v7, 14, v5
	v_and_b32_e32 v6, 30, v21
	v_and_b32_e32 v5, 30, v22
	s_waitcnt lgkmcnt(0)
	s_cbranch_vccz .LBB2298_33
; %bb.32:
	s_barrier
	ds_read_b32 v21, v17
	ds_read_b32 v22, v18 offset:1024
	ds_read_b32 v23, v19 offset:2048
	;; [unrolled: 1-line block ×3, first 2 shown]
	s_mov_b32 s2, 0x5040100
	s_lshl_b64 s[0:1], s[16:17], 1
	s_waitcnt lgkmcnt(3)
	global_store_dword v[2:3], v21, off
	s_waitcnt lgkmcnt(2)
	global_store_dword v[2:3], v22, off offset:1024
	s_waitcnt lgkmcnt(1)
	global_store_dword v[2:3], v23, off offset:2048
	;; [unrolled: 2-line block ×3, first 2 shown]
	v_lshl_add_u32 v21, v12, 1, v13
	v_perm_b32 v22, v11, v10, s2
	v_perm_b32 v23, v9, v1, s2
	s_barrier
	ds_write2_b32 v21, v23, v22 offset1:1
	v_and_b32_e32 v21, 6, v4
	v_lshl_add_u32 v21, v21, 1, v8
	v_lshl_add_u32 v22, v7, 1, v8
	;; [unrolled: 1-line block ×3, first 2 shown]
	s_waitcnt lgkmcnt(0)
	s_barrier
	ds_read_u16 v24, v21
	ds_read_u16 v22, v22 offset:512
	ds_read_u16 v23, v23 offset:1024
	v_lshl_add_u32 v21, v5, 1, v8
	ds_read_u16 v21, v21 offset:1536
	s_add_u32 s0, s12, s0
	s_addc_u32 s1, s13, s1
	s_waitcnt lgkmcnt(3)
	global_store_short v8, v24, s[0:1]
	s_waitcnt lgkmcnt(2)
	global_store_short v8, v22, s[0:1] offset:512
	s_waitcnt lgkmcnt(1)
	global_store_short v8, v23, s[0:1] offset:1024
	s_mov_b64 s[4:5], -1
	s_cbranch_execz .LBB2298_34
	s_branch .LBB2298_44
.LBB2298_33:
	s_mov_b64 s[4:5], 0
                                        ; implicit-def: $vgpr21
.LBB2298_34:
	s_barrier
	s_waitcnt lgkmcnt(0)
	ds_read_b32 v21, v18 offset:1024
	ds_read_b32 v19, v19 offset:2048
	;; [unrolled: 1-line block ×3, first 2 shown]
	s_sub_i32 s6, s14, s16
	v_cmp_gt_u32_e32 vcc, s6, v0
	s_and_saveexec_b64 s[0:1], vcc
	s_cbranch_execnz .LBB2298_51
; %bb.35:
	s_or_b64 exec, exec, s[0:1]
	v_cmp_gt_u32_e64 s[0:1], s6, v16
	s_and_saveexec_b64 s[2:3], s[0:1]
	s_cbranch_execnz .LBB2298_52
.LBB2298_36:
	s_or_b64 exec, exec, s[2:3]
	v_cmp_gt_u32_e64 s[2:3], s6, v15
	s_and_saveexec_b64 s[4:5], s[2:3]
	s_cbranch_execnz .LBB2298_53
.LBB2298_37:
	s_or_b64 exec, exec, s[4:5]
	v_cmp_gt_u32_e64 s[4:5], s6, v14
	s_and_saveexec_b64 s[6:7], s[4:5]
	s_cbranch_execz .LBB2298_39
.LBB2298_38:
	s_waitcnt lgkmcnt(0)
	global_store_dword v[2:3], v18, off offset:3072
.LBB2298_39:
	s_or_b64 exec, exec, s[6:7]
	s_mov_b32 s8, 0x5040100
	v_lshl_add_u32 v0, v12, 1, v13
	v_perm_b32 v2, v11, v10, s8
	v_perm_b32 v1, v9, v1, s8
	s_waitcnt lgkmcnt(0)
	s_barrier
	ds_write2_b32 v0, v1, v2 offset1:1
	v_lshl_add_u32 v0, v7, 1, v8
	s_waitcnt lgkmcnt(0)
	s_barrier
	v_lshl_add_u32 v1, v6, 1, v8
	v_lshl_add_u32 v5, v5, 1, v8
	ds_read_u16 v3, v0 offset:512
	ds_read_u16 v2, v1 offset:1024
	;; [unrolled: 1-line block ×3, first 2 shown]
	s_lshl_b64 s[6:7], s[16:17], 1
	s_add_u32 s6, s12, s6
	s_addc_u32 s7, s13, s7
	v_mov_b32_e32 v9, 0
	v_lshl_add_u64 v[0:1], s[6:7], 0, v[8:9]
	s_and_saveexec_b64 s[6:7], vcc
	s_cbranch_execnz .LBB2298_54
; %bb.40:
	s_or_b64 exec, exec, s[6:7]
	s_and_saveexec_b64 s[6:7], s[0:1]
	s_cbranch_execnz .LBB2298_55
.LBB2298_41:
	s_or_b64 exec, exec, s[6:7]
	s_and_saveexec_b64 s[0:1], s[2:3]
	s_cbranch_execz .LBB2298_43
.LBB2298_42:
	s_waitcnt lgkmcnt(1)
	global_store_short v[0:1], v2, off offset:1024
.LBB2298_43:
	s_or_b64 exec, exec, s[0:1]
.LBB2298_44:
	s_and_saveexec_b64 s[0:1], s[4:5]
	s_cbranch_execz .LBB2298_46
; %bb.45:
	s_lshl_b64 s[0:1], s[16:17], 1
	s_add_u32 s0, s12, s0
	s_addc_u32 s1, s13, s1
	s_waitcnt lgkmcnt(0)
	global_store_short v8, v21, s[0:1] offset:1536
.LBB2298_46:
	s_endpgm
.LBB2298_47:
	v_mov_b32_e32 v7, v2
	v_subrev_co_u32_e32 v8, vcc, s15, v0
	v_mov_b32_e32 v9, v2
	v_lshl_add_u64 v[4:5], s[6:7], 0, v[6:7]
	v_lshl_add_u64 v[8:9], v[8:9], 2, s[20:21]
	v_cndmask_b32_e32 v5, v9, v5, vcc
	v_cndmask_b32_e32 v4, v8, v4, vcc
	global_load_dword v14, v[4:5], off
	v_mov_b32_e32 v15, v2
	v_mov_b32_e32 v16, v2
	;; [unrolled: 1-line block ×3, first 2 shown]
	s_waitcnt vmcnt(0)
	v_mov_b64_e32 v[2:3], v[14:15]
	v_mov_b64_e32 v[4:5], v[16:17]
	s_or_b64 exec, exec, s[2:3]
	v_cmp_gt_u32_e32 vcc, s22, v12
	s_and_saveexec_b64 s[2:3], vcc
	s_cbranch_execz .LBB2298_6
.LBB2298_48:
	v_mov_b32_e32 v13, 0
	v_subrev_co_u32_e32 v14, vcc, s15, v12
	v_mov_b32_e32 v15, v13
	v_lshl_add_u64 v[8:9], v[12:13], 2, s[6:7]
	v_lshl_add_u64 v[14:15], v[14:15], 2, s[20:21]
	v_cndmask_b32_e32 v9, v15, v9, vcc
	v_cndmask_b32_e32 v8, v14, v8, vcc
	global_load_dword v3, v[8:9], off
	s_or_b64 exec, exec, s[2:3]
	v_cmp_gt_u32_e32 vcc, s22, v10
	s_and_saveexec_b64 s[2:3], vcc
	s_cbranch_execnz .LBB2298_7
	s_branch .LBB2298_8
.LBB2298_49:
	v_mov_b32_e32 v9, v14
	v_subrev_co_u32_e32 v18, vcc, s15, v0
	v_mov_b32_e32 v19, v14
	v_lshl_add_u64 v[16:17], s[0:1], 0, v[8:9]
	v_lshl_add_u64 v[18:19], v[18:19], 1, s[2:3]
	v_cndmask_b32_e32 v17, v19, v17, vcc
	v_cndmask_b32_e32 v16, v18, v16, vcc
	global_load_ushort v7, v[16:17], off
	v_mov_b32_e32 v17, v14
	s_waitcnt vmcnt(0)
	v_and_b32_e32 v16, 0xffff, v7
	v_mov_b64_e32 v[14:15], v[16:17]
	s_or_b64 exec, exec, s[4:5]
	v_cmp_gt_u32_e32 vcc, s20, v12
	s_and_saveexec_b64 s[4:5], vcc
	s_cbranch_execz .LBB2298_16
.LBB2298_50:
	v_mov_b32_e32 v13, 0
	v_lshl_add_u64 v[16:17], v[12:13], 1, s[0:1]
	v_subrev_co_u32_e32 v12, vcc, s15, v12
	v_lshl_add_u64 v[12:13], v[12:13], 1, s[2:3]
	s_nop 0
	v_cndmask_b32_e32 v13, v13, v17, vcc
	v_cndmask_b32_e32 v12, v12, v16, vcc
	global_load_ushort v7, v[12:13], off
	s_mov_b32 s6, 0x5040100
	s_waitcnt vmcnt(0)
	v_perm_b32 v14, v7, v14, s6
	s_or_b64 exec, exec, s[4:5]
	v_cmp_gt_u32_e32 vcc, s20, v10
	s_and_saveexec_b64 s[4:5], vcc
	s_cbranch_execnz .LBB2298_17
	s_branch .LBB2298_18
.LBB2298_51:
	ds_read_b32 v0, v17
	s_waitcnt lgkmcnt(0)
	global_store_dword v[2:3], v0, off
	s_or_b64 exec, exec, s[0:1]
	v_cmp_gt_u32_e64 s[0:1], s6, v16
	s_and_saveexec_b64 s[2:3], s[0:1]
	s_cbranch_execz .LBB2298_36
.LBB2298_52:
	s_waitcnt lgkmcnt(2)
	global_store_dword v[2:3], v21, off offset:1024
	s_or_b64 exec, exec, s[2:3]
	v_cmp_gt_u32_e64 s[2:3], s6, v15
	s_and_saveexec_b64 s[4:5], s[2:3]
	s_cbranch_execz .LBB2298_37
.LBB2298_53:
	s_waitcnt lgkmcnt(1)
	global_store_dword v[2:3], v19, off offset:2048
	s_or_b64 exec, exec, s[4:5]
	v_cmp_gt_u32_e64 s[4:5], s6, v14
	s_and_saveexec_b64 s[6:7], s[4:5]
	s_cbranch_execnz .LBB2298_38
	s_branch .LBB2298_39
.LBB2298_54:
	v_and_b32_e32 v4, 6, v4
	v_lshl_add_u32 v4, v4, 1, v8
	ds_read_u16 v4, v4
	s_waitcnt lgkmcnt(0)
	global_store_short v[0:1], v4, off
	s_or_b64 exec, exec, s[6:7]
	s_and_saveexec_b64 s[6:7], s[0:1]
	s_cbranch_execz .LBB2298_41
.LBB2298_55:
	s_waitcnt lgkmcnt(2)
	global_store_short v[0:1], v3, off offset:512
	s_or_b64 exec, exec, s[6:7]
	s_and_saveexec_b64 s[0:1], s[2:3]
	s_cbranch_execnz .LBB2298_42
	s_branch .LBB2298_43
	.section	.rodata,"a",@progbits
	.p2align	6, 0x0
	.amdhsa_kernel _ZN7rocprim17ROCPRIM_400000_NS6detail17trampoline_kernelINS0_14default_configENS1_38merge_sort_block_merge_config_selectorIisEEZZNS1_27merge_sort_block_merge_implIS3_N6thrust23THRUST_200600_302600_NS10device_ptrIiEENS9_IsEEjNS1_19radix_merge_compareILb0ELb0EiNS0_19identity_decomposerEEEEE10hipError_tT0_T1_T2_jT3_P12ihipStream_tbPNSt15iterator_traitsISG_E10value_typeEPNSM_ISH_E10value_typeEPSI_NS1_7vsmem_tEENKUlT_SG_SH_SI_E_clIPiSA_PsSB_EESF_SV_SG_SH_SI_EUlSV_E0_NS1_11comp_targetILNS1_3genE0ELNS1_11target_archE4294967295ELNS1_3gpuE0ELNS1_3repE0EEENS1_38merge_mergepath_config_static_selectorELNS0_4arch9wavefront6targetE1EEEvSH_
		.amdhsa_group_segment_fixed_size 4224
		.amdhsa_private_segment_fixed_size 0
		.amdhsa_kernarg_size 320
		.amdhsa_user_sgpr_count 2
		.amdhsa_user_sgpr_dispatch_ptr 0
		.amdhsa_user_sgpr_queue_ptr 0
		.amdhsa_user_sgpr_kernarg_segment_ptr 1
		.amdhsa_user_sgpr_dispatch_id 0
		.amdhsa_user_sgpr_kernarg_preload_length 0
		.amdhsa_user_sgpr_kernarg_preload_offset 0
		.amdhsa_user_sgpr_private_segment_size 0
		.amdhsa_uses_dynamic_stack 0
		.amdhsa_enable_private_segment 0
		.amdhsa_system_sgpr_workgroup_id_x 1
		.amdhsa_system_sgpr_workgroup_id_y 1
		.amdhsa_system_sgpr_workgroup_id_z 1
		.amdhsa_system_sgpr_workgroup_info 0
		.amdhsa_system_vgpr_workitem_id 0
		.amdhsa_next_free_vgpr 25
		.amdhsa_next_free_sgpr 30
		.amdhsa_accum_offset 28
		.amdhsa_reserve_vcc 1
		.amdhsa_float_round_mode_32 0
		.amdhsa_float_round_mode_16_64 0
		.amdhsa_float_denorm_mode_32 3
		.amdhsa_float_denorm_mode_16_64 3
		.amdhsa_dx10_clamp 1
		.amdhsa_ieee_mode 1
		.amdhsa_fp16_overflow 0
		.amdhsa_tg_split 0
		.amdhsa_exception_fp_ieee_invalid_op 0
		.amdhsa_exception_fp_denorm_src 0
		.amdhsa_exception_fp_ieee_div_zero 0
		.amdhsa_exception_fp_ieee_overflow 0
		.amdhsa_exception_fp_ieee_underflow 0
		.amdhsa_exception_fp_ieee_inexact 0
		.amdhsa_exception_int_div_zero 0
	.end_amdhsa_kernel
	.section	.text._ZN7rocprim17ROCPRIM_400000_NS6detail17trampoline_kernelINS0_14default_configENS1_38merge_sort_block_merge_config_selectorIisEEZZNS1_27merge_sort_block_merge_implIS3_N6thrust23THRUST_200600_302600_NS10device_ptrIiEENS9_IsEEjNS1_19radix_merge_compareILb0ELb0EiNS0_19identity_decomposerEEEEE10hipError_tT0_T1_T2_jT3_P12ihipStream_tbPNSt15iterator_traitsISG_E10value_typeEPNSM_ISH_E10value_typeEPSI_NS1_7vsmem_tEENKUlT_SG_SH_SI_E_clIPiSA_PsSB_EESF_SV_SG_SH_SI_EUlSV_E0_NS1_11comp_targetILNS1_3genE0ELNS1_11target_archE4294967295ELNS1_3gpuE0ELNS1_3repE0EEENS1_38merge_mergepath_config_static_selectorELNS0_4arch9wavefront6targetE1EEEvSH_,"axG",@progbits,_ZN7rocprim17ROCPRIM_400000_NS6detail17trampoline_kernelINS0_14default_configENS1_38merge_sort_block_merge_config_selectorIisEEZZNS1_27merge_sort_block_merge_implIS3_N6thrust23THRUST_200600_302600_NS10device_ptrIiEENS9_IsEEjNS1_19radix_merge_compareILb0ELb0EiNS0_19identity_decomposerEEEEE10hipError_tT0_T1_T2_jT3_P12ihipStream_tbPNSt15iterator_traitsISG_E10value_typeEPNSM_ISH_E10value_typeEPSI_NS1_7vsmem_tEENKUlT_SG_SH_SI_E_clIPiSA_PsSB_EESF_SV_SG_SH_SI_EUlSV_E0_NS1_11comp_targetILNS1_3genE0ELNS1_11target_archE4294967295ELNS1_3gpuE0ELNS1_3repE0EEENS1_38merge_mergepath_config_static_selectorELNS0_4arch9wavefront6targetE1EEEvSH_,comdat
.Lfunc_end2298:
	.size	_ZN7rocprim17ROCPRIM_400000_NS6detail17trampoline_kernelINS0_14default_configENS1_38merge_sort_block_merge_config_selectorIisEEZZNS1_27merge_sort_block_merge_implIS3_N6thrust23THRUST_200600_302600_NS10device_ptrIiEENS9_IsEEjNS1_19radix_merge_compareILb0ELb0EiNS0_19identity_decomposerEEEEE10hipError_tT0_T1_T2_jT3_P12ihipStream_tbPNSt15iterator_traitsISG_E10value_typeEPNSM_ISH_E10value_typeEPSI_NS1_7vsmem_tEENKUlT_SG_SH_SI_E_clIPiSA_PsSB_EESF_SV_SG_SH_SI_EUlSV_E0_NS1_11comp_targetILNS1_3genE0ELNS1_11target_archE4294967295ELNS1_3gpuE0ELNS1_3repE0EEENS1_38merge_mergepath_config_static_selectorELNS0_4arch9wavefront6targetE1EEEvSH_, .Lfunc_end2298-_ZN7rocprim17ROCPRIM_400000_NS6detail17trampoline_kernelINS0_14default_configENS1_38merge_sort_block_merge_config_selectorIisEEZZNS1_27merge_sort_block_merge_implIS3_N6thrust23THRUST_200600_302600_NS10device_ptrIiEENS9_IsEEjNS1_19radix_merge_compareILb0ELb0EiNS0_19identity_decomposerEEEEE10hipError_tT0_T1_T2_jT3_P12ihipStream_tbPNSt15iterator_traitsISG_E10value_typeEPNSM_ISH_E10value_typeEPSI_NS1_7vsmem_tEENKUlT_SG_SH_SI_E_clIPiSA_PsSB_EESF_SV_SG_SH_SI_EUlSV_E0_NS1_11comp_targetILNS1_3genE0ELNS1_11target_archE4294967295ELNS1_3gpuE0ELNS1_3repE0EEENS1_38merge_mergepath_config_static_selectorELNS0_4arch9wavefront6targetE1EEEvSH_
                                        ; -- End function
	.set _ZN7rocprim17ROCPRIM_400000_NS6detail17trampoline_kernelINS0_14default_configENS1_38merge_sort_block_merge_config_selectorIisEEZZNS1_27merge_sort_block_merge_implIS3_N6thrust23THRUST_200600_302600_NS10device_ptrIiEENS9_IsEEjNS1_19radix_merge_compareILb0ELb0EiNS0_19identity_decomposerEEEEE10hipError_tT0_T1_T2_jT3_P12ihipStream_tbPNSt15iterator_traitsISG_E10value_typeEPNSM_ISH_E10value_typeEPSI_NS1_7vsmem_tEENKUlT_SG_SH_SI_E_clIPiSA_PsSB_EESF_SV_SG_SH_SI_EUlSV_E0_NS1_11comp_targetILNS1_3genE0ELNS1_11target_archE4294967295ELNS1_3gpuE0ELNS1_3repE0EEENS1_38merge_mergepath_config_static_selectorELNS0_4arch9wavefront6targetE1EEEvSH_.num_vgpr, 25
	.set _ZN7rocprim17ROCPRIM_400000_NS6detail17trampoline_kernelINS0_14default_configENS1_38merge_sort_block_merge_config_selectorIisEEZZNS1_27merge_sort_block_merge_implIS3_N6thrust23THRUST_200600_302600_NS10device_ptrIiEENS9_IsEEjNS1_19radix_merge_compareILb0ELb0EiNS0_19identity_decomposerEEEEE10hipError_tT0_T1_T2_jT3_P12ihipStream_tbPNSt15iterator_traitsISG_E10value_typeEPNSM_ISH_E10value_typeEPSI_NS1_7vsmem_tEENKUlT_SG_SH_SI_E_clIPiSA_PsSB_EESF_SV_SG_SH_SI_EUlSV_E0_NS1_11comp_targetILNS1_3genE0ELNS1_11target_archE4294967295ELNS1_3gpuE0ELNS1_3repE0EEENS1_38merge_mergepath_config_static_selectorELNS0_4arch9wavefront6targetE1EEEvSH_.num_agpr, 0
	.set _ZN7rocprim17ROCPRIM_400000_NS6detail17trampoline_kernelINS0_14default_configENS1_38merge_sort_block_merge_config_selectorIisEEZZNS1_27merge_sort_block_merge_implIS3_N6thrust23THRUST_200600_302600_NS10device_ptrIiEENS9_IsEEjNS1_19radix_merge_compareILb0ELb0EiNS0_19identity_decomposerEEEEE10hipError_tT0_T1_T2_jT3_P12ihipStream_tbPNSt15iterator_traitsISG_E10value_typeEPNSM_ISH_E10value_typeEPSI_NS1_7vsmem_tEENKUlT_SG_SH_SI_E_clIPiSA_PsSB_EESF_SV_SG_SH_SI_EUlSV_E0_NS1_11comp_targetILNS1_3genE0ELNS1_11target_archE4294967295ELNS1_3gpuE0ELNS1_3repE0EEENS1_38merge_mergepath_config_static_selectorELNS0_4arch9wavefront6targetE1EEEvSH_.numbered_sgpr, 30
	.set _ZN7rocprim17ROCPRIM_400000_NS6detail17trampoline_kernelINS0_14default_configENS1_38merge_sort_block_merge_config_selectorIisEEZZNS1_27merge_sort_block_merge_implIS3_N6thrust23THRUST_200600_302600_NS10device_ptrIiEENS9_IsEEjNS1_19radix_merge_compareILb0ELb0EiNS0_19identity_decomposerEEEEE10hipError_tT0_T1_T2_jT3_P12ihipStream_tbPNSt15iterator_traitsISG_E10value_typeEPNSM_ISH_E10value_typeEPSI_NS1_7vsmem_tEENKUlT_SG_SH_SI_E_clIPiSA_PsSB_EESF_SV_SG_SH_SI_EUlSV_E0_NS1_11comp_targetILNS1_3genE0ELNS1_11target_archE4294967295ELNS1_3gpuE0ELNS1_3repE0EEENS1_38merge_mergepath_config_static_selectorELNS0_4arch9wavefront6targetE1EEEvSH_.num_named_barrier, 0
	.set _ZN7rocprim17ROCPRIM_400000_NS6detail17trampoline_kernelINS0_14default_configENS1_38merge_sort_block_merge_config_selectorIisEEZZNS1_27merge_sort_block_merge_implIS3_N6thrust23THRUST_200600_302600_NS10device_ptrIiEENS9_IsEEjNS1_19radix_merge_compareILb0ELb0EiNS0_19identity_decomposerEEEEE10hipError_tT0_T1_T2_jT3_P12ihipStream_tbPNSt15iterator_traitsISG_E10value_typeEPNSM_ISH_E10value_typeEPSI_NS1_7vsmem_tEENKUlT_SG_SH_SI_E_clIPiSA_PsSB_EESF_SV_SG_SH_SI_EUlSV_E0_NS1_11comp_targetILNS1_3genE0ELNS1_11target_archE4294967295ELNS1_3gpuE0ELNS1_3repE0EEENS1_38merge_mergepath_config_static_selectorELNS0_4arch9wavefront6targetE1EEEvSH_.private_seg_size, 0
	.set _ZN7rocprim17ROCPRIM_400000_NS6detail17trampoline_kernelINS0_14default_configENS1_38merge_sort_block_merge_config_selectorIisEEZZNS1_27merge_sort_block_merge_implIS3_N6thrust23THRUST_200600_302600_NS10device_ptrIiEENS9_IsEEjNS1_19radix_merge_compareILb0ELb0EiNS0_19identity_decomposerEEEEE10hipError_tT0_T1_T2_jT3_P12ihipStream_tbPNSt15iterator_traitsISG_E10value_typeEPNSM_ISH_E10value_typeEPSI_NS1_7vsmem_tEENKUlT_SG_SH_SI_E_clIPiSA_PsSB_EESF_SV_SG_SH_SI_EUlSV_E0_NS1_11comp_targetILNS1_3genE0ELNS1_11target_archE4294967295ELNS1_3gpuE0ELNS1_3repE0EEENS1_38merge_mergepath_config_static_selectorELNS0_4arch9wavefront6targetE1EEEvSH_.uses_vcc, 1
	.set _ZN7rocprim17ROCPRIM_400000_NS6detail17trampoline_kernelINS0_14default_configENS1_38merge_sort_block_merge_config_selectorIisEEZZNS1_27merge_sort_block_merge_implIS3_N6thrust23THRUST_200600_302600_NS10device_ptrIiEENS9_IsEEjNS1_19radix_merge_compareILb0ELb0EiNS0_19identity_decomposerEEEEE10hipError_tT0_T1_T2_jT3_P12ihipStream_tbPNSt15iterator_traitsISG_E10value_typeEPNSM_ISH_E10value_typeEPSI_NS1_7vsmem_tEENKUlT_SG_SH_SI_E_clIPiSA_PsSB_EESF_SV_SG_SH_SI_EUlSV_E0_NS1_11comp_targetILNS1_3genE0ELNS1_11target_archE4294967295ELNS1_3gpuE0ELNS1_3repE0EEENS1_38merge_mergepath_config_static_selectorELNS0_4arch9wavefront6targetE1EEEvSH_.uses_flat_scratch, 0
	.set _ZN7rocprim17ROCPRIM_400000_NS6detail17trampoline_kernelINS0_14default_configENS1_38merge_sort_block_merge_config_selectorIisEEZZNS1_27merge_sort_block_merge_implIS3_N6thrust23THRUST_200600_302600_NS10device_ptrIiEENS9_IsEEjNS1_19radix_merge_compareILb0ELb0EiNS0_19identity_decomposerEEEEE10hipError_tT0_T1_T2_jT3_P12ihipStream_tbPNSt15iterator_traitsISG_E10value_typeEPNSM_ISH_E10value_typeEPSI_NS1_7vsmem_tEENKUlT_SG_SH_SI_E_clIPiSA_PsSB_EESF_SV_SG_SH_SI_EUlSV_E0_NS1_11comp_targetILNS1_3genE0ELNS1_11target_archE4294967295ELNS1_3gpuE0ELNS1_3repE0EEENS1_38merge_mergepath_config_static_selectorELNS0_4arch9wavefront6targetE1EEEvSH_.has_dyn_sized_stack, 0
	.set _ZN7rocprim17ROCPRIM_400000_NS6detail17trampoline_kernelINS0_14default_configENS1_38merge_sort_block_merge_config_selectorIisEEZZNS1_27merge_sort_block_merge_implIS3_N6thrust23THRUST_200600_302600_NS10device_ptrIiEENS9_IsEEjNS1_19radix_merge_compareILb0ELb0EiNS0_19identity_decomposerEEEEE10hipError_tT0_T1_T2_jT3_P12ihipStream_tbPNSt15iterator_traitsISG_E10value_typeEPNSM_ISH_E10value_typeEPSI_NS1_7vsmem_tEENKUlT_SG_SH_SI_E_clIPiSA_PsSB_EESF_SV_SG_SH_SI_EUlSV_E0_NS1_11comp_targetILNS1_3genE0ELNS1_11target_archE4294967295ELNS1_3gpuE0ELNS1_3repE0EEENS1_38merge_mergepath_config_static_selectorELNS0_4arch9wavefront6targetE1EEEvSH_.has_recursion, 0
	.set _ZN7rocprim17ROCPRIM_400000_NS6detail17trampoline_kernelINS0_14default_configENS1_38merge_sort_block_merge_config_selectorIisEEZZNS1_27merge_sort_block_merge_implIS3_N6thrust23THRUST_200600_302600_NS10device_ptrIiEENS9_IsEEjNS1_19radix_merge_compareILb0ELb0EiNS0_19identity_decomposerEEEEE10hipError_tT0_T1_T2_jT3_P12ihipStream_tbPNSt15iterator_traitsISG_E10value_typeEPNSM_ISH_E10value_typeEPSI_NS1_7vsmem_tEENKUlT_SG_SH_SI_E_clIPiSA_PsSB_EESF_SV_SG_SH_SI_EUlSV_E0_NS1_11comp_targetILNS1_3genE0ELNS1_11target_archE4294967295ELNS1_3gpuE0ELNS1_3repE0EEENS1_38merge_mergepath_config_static_selectorELNS0_4arch9wavefront6targetE1EEEvSH_.has_indirect_call, 0
	.section	.AMDGPU.csdata,"",@progbits
; Kernel info:
; codeLenInByte = 3148
; TotalNumSgprs: 36
; NumVgprs: 25
; NumAgprs: 0
; TotalNumVgprs: 25
; ScratchSize: 0
; MemoryBound: 0
; FloatMode: 240
; IeeeMode: 1
; LDSByteSize: 4224 bytes/workgroup (compile time only)
; SGPRBlocks: 4
; VGPRBlocks: 3
; NumSGPRsForWavesPerEU: 36
; NumVGPRsForWavesPerEU: 25
; AccumOffset: 28
; Occupancy: 8
; WaveLimiterHint : 1
; COMPUTE_PGM_RSRC2:SCRATCH_EN: 0
; COMPUTE_PGM_RSRC2:USER_SGPR: 2
; COMPUTE_PGM_RSRC2:TRAP_HANDLER: 0
; COMPUTE_PGM_RSRC2:TGID_X_EN: 1
; COMPUTE_PGM_RSRC2:TGID_Y_EN: 1
; COMPUTE_PGM_RSRC2:TGID_Z_EN: 1
; COMPUTE_PGM_RSRC2:TIDIG_COMP_CNT: 0
; COMPUTE_PGM_RSRC3_GFX90A:ACCUM_OFFSET: 6
; COMPUTE_PGM_RSRC3_GFX90A:TG_SPLIT: 0
	.section	.text._ZN7rocprim17ROCPRIM_400000_NS6detail17trampoline_kernelINS0_14default_configENS1_38merge_sort_block_merge_config_selectorIisEEZZNS1_27merge_sort_block_merge_implIS3_N6thrust23THRUST_200600_302600_NS10device_ptrIiEENS9_IsEEjNS1_19radix_merge_compareILb0ELb0EiNS0_19identity_decomposerEEEEE10hipError_tT0_T1_T2_jT3_P12ihipStream_tbPNSt15iterator_traitsISG_E10value_typeEPNSM_ISH_E10value_typeEPSI_NS1_7vsmem_tEENKUlT_SG_SH_SI_E_clIPiSA_PsSB_EESF_SV_SG_SH_SI_EUlSV_E0_NS1_11comp_targetILNS1_3genE10ELNS1_11target_archE1201ELNS1_3gpuE5ELNS1_3repE0EEENS1_38merge_mergepath_config_static_selectorELNS0_4arch9wavefront6targetE1EEEvSH_,"axG",@progbits,_ZN7rocprim17ROCPRIM_400000_NS6detail17trampoline_kernelINS0_14default_configENS1_38merge_sort_block_merge_config_selectorIisEEZZNS1_27merge_sort_block_merge_implIS3_N6thrust23THRUST_200600_302600_NS10device_ptrIiEENS9_IsEEjNS1_19radix_merge_compareILb0ELb0EiNS0_19identity_decomposerEEEEE10hipError_tT0_T1_T2_jT3_P12ihipStream_tbPNSt15iterator_traitsISG_E10value_typeEPNSM_ISH_E10value_typeEPSI_NS1_7vsmem_tEENKUlT_SG_SH_SI_E_clIPiSA_PsSB_EESF_SV_SG_SH_SI_EUlSV_E0_NS1_11comp_targetILNS1_3genE10ELNS1_11target_archE1201ELNS1_3gpuE5ELNS1_3repE0EEENS1_38merge_mergepath_config_static_selectorELNS0_4arch9wavefront6targetE1EEEvSH_,comdat
	.protected	_ZN7rocprim17ROCPRIM_400000_NS6detail17trampoline_kernelINS0_14default_configENS1_38merge_sort_block_merge_config_selectorIisEEZZNS1_27merge_sort_block_merge_implIS3_N6thrust23THRUST_200600_302600_NS10device_ptrIiEENS9_IsEEjNS1_19radix_merge_compareILb0ELb0EiNS0_19identity_decomposerEEEEE10hipError_tT0_T1_T2_jT3_P12ihipStream_tbPNSt15iterator_traitsISG_E10value_typeEPNSM_ISH_E10value_typeEPSI_NS1_7vsmem_tEENKUlT_SG_SH_SI_E_clIPiSA_PsSB_EESF_SV_SG_SH_SI_EUlSV_E0_NS1_11comp_targetILNS1_3genE10ELNS1_11target_archE1201ELNS1_3gpuE5ELNS1_3repE0EEENS1_38merge_mergepath_config_static_selectorELNS0_4arch9wavefront6targetE1EEEvSH_ ; -- Begin function _ZN7rocprim17ROCPRIM_400000_NS6detail17trampoline_kernelINS0_14default_configENS1_38merge_sort_block_merge_config_selectorIisEEZZNS1_27merge_sort_block_merge_implIS3_N6thrust23THRUST_200600_302600_NS10device_ptrIiEENS9_IsEEjNS1_19radix_merge_compareILb0ELb0EiNS0_19identity_decomposerEEEEE10hipError_tT0_T1_T2_jT3_P12ihipStream_tbPNSt15iterator_traitsISG_E10value_typeEPNSM_ISH_E10value_typeEPSI_NS1_7vsmem_tEENKUlT_SG_SH_SI_E_clIPiSA_PsSB_EESF_SV_SG_SH_SI_EUlSV_E0_NS1_11comp_targetILNS1_3genE10ELNS1_11target_archE1201ELNS1_3gpuE5ELNS1_3repE0EEENS1_38merge_mergepath_config_static_selectorELNS0_4arch9wavefront6targetE1EEEvSH_
	.globl	_ZN7rocprim17ROCPRIM_400000_NS6detail17trampoline_kernelINS0_14default_configENS1_38merge_sort_block_merge_config_selectorIisEEZZNS1_27merge_sort_block_merge_implIS3_N6thrust23THRUST_200600_302600_NS10device_ptrIiEENS9_IsEEjNS1_19radix_merge_compareILb0ELb0EiNS0_19identity_decomposerEEEEE10hipError_tT0_T1_T2_jT3_P12ihipStream_tbPNSt15iterator_traitsISG_E10value_typeEPNSM_ISH_E10value_typeEPSI_NS1_7vsmem_tEENKUlT_SG_SH_SI_E_clIPiSA_PsSB_EESF_SV_SG_SH_SI_EUlSV_E0_NS1_11comp_targetILNS1_3genE10ELNS1_11target_archE1201ELNS1_3gpuE5ELNS1_3repE0EEENS1_38merge_mergepath_config_static_selectorELNS0_4arch9wavefront6targetE1EEEvSH_
	.p2align	8
	.type	_ZN7rocprim17ROCPRIM_400000_NS6detail17trampoline_kernelINS0_14default_configENS1_38merge_sort_block_merge_config_selectorIisEEZZNS1_27merge_sort_block_merge_implIS3_N6thrust23THRUST_200600_302600_NS10device_ptrIiEENS9_IsEEjNS1_19radix_merge_compareILb0ELb0EiNS0_19identity_decomposerEEEEE10hipError_tT0_T1_T2_jT3_P12ihipStream_tbPNSt15iterator_traitsISG_E10value_typeEPNSM_ISH_E10value_typeEPSI_NS1_7vsmem_tEENKUlT_SG_SH_SI_E_clIPiSA_PsSB_EESF_SV_SG_SH_SI_EUlSV_E0_NS1_11comp_targetILNS1_3genE10ELNS1_11target_archE1201ELNS1_3gpuE5ELNS1_3repE0EEENS1_38merge_mergepath_config_static_selectorELNS0_4arch9wavefront6targetE1EEEvSH_,@function
_ZN7rocprim17ROCPRIM_400000_NS6detail17trampoline_kernelINS0_14default_configENS1_38merge_sort_block_merge_config_selectorIisEEZZNS1_27merge_sort_block_merge_implIS3_N6thrust23THRUST_200600_302600_NS10device_ptrIiEENS9_IsEEjNS1_19radix_merge_compareILb0ELb0EiNS0_19identity_decomposerEEEEE10hipError_tT0_T1_T2_jT3_P12ihipStream_tbPNSt15iterator_traitsISG_E10value_typeEPNSM_ISH_E10value_typeEPSI_NS1_7vsmem_tEENKUlT_SG_SH_SI_E_clIPiSA_PsSB_EESF_SV_SG_SH_SI_EUlSV_E0_NS1_11comp_targetILNS1_3genE10ELNS1_11target_archE1201ELNS1_3gpuE5ELNS1_3repE0EEENS1_38merge_mergepath_config_static_selectorELNS0_4arch9wavefront6targetE1EEEvSH_: ; @_ZN7rocprim17ROCPRIM_400000_NS6detail17trampoline_kernelINS0_14default_configENS1_38merge_sort_block_merge_config_selectorIisEEZZNS1_27merge_sort_block_merge_implIS3_N6thrust23THRUST_200600_302600_NS10device_ptrIiEENS9_IsEEjNS1_19radix_merge_compareILb0ELb0EiNS0_19identity_decomposerEEEEE10hipError_tT0_T1_T2_jT3_P12ihipStream_tbPNSt15iterator_traitsISG_E10value_typeEPNSM_ISH_E10value_typeEPSI_NS1_7vsmem_tEENKUlT_SG_SH_SI_E_clIPiSA_PsSB_EESF_SV_SG_SH_SI_EUlSV_E0_NS1_11comp_targetILNS1_3genE10ELNS1_11target_archE1201ELNS1_3gpuE5ELNS1_3repE0EEENS1_38merge_mergepath_config_static_selectorELNS0_4arch9wavefront6targetE1EEEvSH_
; %bb.0:
	.section	.rodata,"a",@progbits
	.p2align	6, 0x0
	.amdhsa_kernel _ZN7rocprim17ROCPRIM_400000_NS6detail17trampoline_kernelINS0_14default_configENS1_38merge_sort_block_merge_config_selectorIisEEZZNS1_27merge_sort_block_merge_implIS3_N6thrust23THRUST_200600_302600_NS10device_ptrIiEENS9_IsEEjNS1_19radix_merge_compareILb0ELb0EiNS0_19identity_decomposerEEEEE10hipError_tT0_T1_T2_jT3_P12ihipStream_tbPNSt15iterator_traitsISG_E10value_typeEPNSM_ISH_E10value_typeEPSI_NS1_7vsmem_tEENKUlT_SG_SH_SI_E_clIPiSA_PsSB_EESF_SV_SG_SH_SI_EUlSV_E0_NS1_11comp_targetILNS1_3genE10ELNS1_11target_archE1201ELNS1_3gpuE5ELNS1_3repE0EEENS1_38merge_mergepath_config_static_selectorELNS0_4arch9wavefront6targetE1EEEvSH_
		.amdhsa_group_segment_fixed_size 0
		.amdhsa_private_segment_fixed_size 0
		.amdhsa_kernarg_size 64
		.amdhsa_user_sgpr_count 2
		.amdhsa_user_sgpr_dispatch_ptr 0
		.amdhsa_user_sgpr_queue_ptr 0
		.amdhsa_user_sgpr_kernarg_segment_ptr 1
		.amdhsa_user_sgpr_dispatch_id 0
		.amdhsa_user_sgpr_kernarg_preload_length 0
		.amdhsa_user_sgpr_kernarg_preload_offset 0
		.amdhsa_user_sgpr_private_segment_size 0
		.amdhsa_uses_dynamic_stack 0
		.amdhsa_enable_private_segment 0
		.amdhsa_system_sgpr_workgroup_id_x 1
		.amdhsa_system_sgpr_workgroup_id_y 0
		.amdhsa_system_sgpr_workgroup_id_z 0
		.amdhsa_system_sgpr_workgroup_info 0
		.amdhsa_system_vgpr_workitem_id 0
		.amdhsa_next_free_vgpr 1
		.amdhsa_next_free_sgpr 0
		.amdhsa_accum_offset 4
		.amdhsa_reserve_vcc 0
		.amdhsa_float_round_mode_32 0
		.amdhsa_float_round_mode_16_64 0
		.amdhsa_float_denorm_mode_32 3
		.amdhsa_float_denorm_mode_16_64 3
		.amdhsa_dx10_clamp 1
		.amdhsa_ieee_mode 1
		.amdhsa_fp16_overflow 0
		.amdhsa_tg_split 0
		.amdhsa_exception_fp_ieee_invalid_op 0
		.amdhsa_exception_fp_denorm_src 0
		.amdhsa_exception_fp_ieee_div_zero 0
		.amdhsa_exception_fp_ieee_overflow 0
		.amdhsa_exception_fp_ieee_underflow 0
		.amdhsa_exception_fp_ieee_inexact 0
		.amdhsa_exception_int_div_zero 0
	.end_amdhsa_kernel
	.section	.text._ZN7rocprim17ROCPRIM_400000_NS6detail17trampoline_kernelINS0_14default_configENS1_38merge_sort_block_merge_config_selectorIisEEZZNS1_27merge_sort_block_merge_implIS3_N6thrust23THRUST_200600_302600_NS10device_ptrIiEENS9_IsEEjNS1_19radix_merge_compareILb0ELb0EiNS0_19identity_decomposerEEEEE10hipError_tT0_T1_T2_jT3_P12ihipStream_tbPNSt15iterator_traitsISG_E10value_typeEPNSM_ISH_E10value_typeEPSI_NS1_7vsmem_tEENKUlT_SG_SH_SI_E_clIPiSA_PsSB_EESF_SV_SG_SH_SI_EUlSV_E0_NS1_11comp_targetILNS1_3genE10ELNS1_11target_archE1201ELNS1_3gpuE5ELNS1_3repE0EEENS1_38merge_mergepath_config_static_selectorELNS0_4arch9wavefront6targetE1EEEvSH_,"axG",@progbits,_ZN7rocprim17ROCPRIM_400000_NS6detail17trampoline_kernelINS0_14default_configENS1_38merge_sort_block_merge_config_selectorIisEEZZNS1_27merge_sort_block_merge_implIS3_N6thrust23THRUST_200600_302600_NS10device_ptrIiEENS9_IsEEjNS1_19radix_merge_compareILb0ELb0EiNS0_19identity_decomposerEEEEE10hipError_tT0_T1_T2_jT3_P12ihipStream_tbPNSt15iterator_traitsISG_E10value_typeEPNSM_ISH_E10value_typeEPSI_NS1_7vsmem_tEENKUlT_SG_SH_SI_E_clIPiSA_PsSB_EESF_SV_SG_SH_SI_EUlSV_E0_NS1_11comp_targetILNS1_3genE10ELNS1_11target_archE1201ELNS1_3gpuE5ELNS1_3repE0EEENS1_38merge_mergepath_config_static_selectorELNS0_4arch9wavefront6targetE1EEEvSH_,comdat
.Lfunc_end2299:
	.size	_ZN7rocprim17ROCPRIM_400000_NS6detail17trampoline_kernelINS0_14default_configENS1_38merge_sort_block_merge_config_selectorIisEEZZNS1_27merge_sort_block_merge_implIS3_N6thrust23THRUST_200600_302600_NS10device_ptrIiEENS9_IsEEjNS1_19radix_merge_compareILb0ELb0EiNS0_19identity_decomposerEEEEE10hipError_tT0_T1_T2_jT3_P12ihipStream_tbPNSt15iterator_traitsISG_E10value_typeEPNSM_ISH_E10value_typeEPSI_NS1_7vsmem_tEENKUlT_SG_SH_SI_E_clIPiSA_PsSB_EESF_SV_SG_SH_SI_EUlSV_E0_NS1_11comp_targetILNS1_3genE10ELNS1_11target_archE1201ELNS1_3gpuE5ELNS1_3repE0EEENS1_38merge_mergepath_config_static_selectorELNS0_4arch9wavefront6targetE1EEEvSH_, .Lfunc_end2299-_ZN7rocprim17ROCPRIM_400000_NS6detail17trampoline_kernelINS0_14default_configENS1_38merge_sort_block_merge_config_selectorIisEEZZNS1_27merge_sort_block_merge_implIS3_N6thrust23THRUST_200600_302600_NS10device_ptrIiEENS9_IsEEjNS1_19radix_merge_compareILb0ELb0EiNS0_19identity_decomposerEEEEE10hipError_tT0_T1_T2_jT3_P12ihipStream_tbPNSt15iterator_traitsISG_E10value_typeEPNSM_ISH_E10value_typeEPSI_NS1_7vsmem_tEENKUlT_SG_SH_SI_E_clIPiSA_PsSB_EESF_SV_SG_SH_SI_EUlSV_E0_NS1_11comp_targetILNS1_3genE10ELNS1_11target_archE1201ELNS1_3gpuE5ELNS1_3repE0EEENS1_38merge_mergepath_config_static_selectorELNS0_4arch9wavefront6targetE1EEEvSH_
                                        ; -- End function
	.set _ZN7rocprim17ROCPRIM_400000_NS6detail17trampoline_kernelINS0_14default_configENS1_38merge_sort_block_merge_config_selectorIisEEZZNS1_27merge_sort_block_merge_implIS3_N6thrust23THRUST_200600_302600_NS10device_ptrIiEENS9_IsEEjNS1_19radix_merge_compareILb0ELb0EiNS0_19identity_decomposerEEEEE10hipError_tT0_T1_T2_jT3_P12ihipStream_tbPNSt15iterator_traitsISG_E10value_typeEPNSM_ISH_E10value_typeEPSI_NS1_7vsmem_tEENKUlT_SG_SH_SI_E_clIPiSA_PsSB_EESF_SV_SG_SH_SI_EUlSV_E0_NS1_11comp_targetILNS1_3genE10ELNS1_11target_archE1201ELNS1_3gpuE5ELNS1_3repE0EEENS1_38merge_mergepath_config_static_selectorELNS0_4arch9wavefront6targetE1EEEvSH_.num_vgpr, 0
	.set _ZN7rocprim17ROCPRIM_400000_NS6detail17trampoline_kernelINS0_14default_configENS1_38merge_sort_block_merge_config_selectorIisEEZZNS1_27merge_sort_block_merge_implIS3_N6thrust23THRUST_200600_302600_NS10device_ptrIiEENS9_IsEEjNS1_19radix_merge_compareILb0ELb0EiNS0_19identity_decomposerEEEEE10hipError_tT0_T1_T2_jT3_P12ihipStream_tbPNSt15iterator_traitsISG_E10value_typeEPNSM_ISH_E10value_typeEPSI_NS1_7vsmem_tEENKUlT_SG_SH_SI_E_clIPiSA_PsSB_EESF_SV_SG_SH_SI_EUlSV_E0_NS1_11comp_targetILNS1_3genE10ELNS1_11target_archE1201ELNS1_3gpuE5ELNS1_3repE0EEENS1_38merge_mergepath_config_static_selectorELNS0_4arch9wavefront6targetE1EEEvSH_.num_agpr, 0
	.set _ZN7rocprim17ROCPRIM_400000_NS6detail17trampoline_kernelINS0_14default_configENS1_38merge_sort_block_merge_config_selectorIisEEZZNS1_27merge_sort_block_merge_implIS3_N6thrust23THRUST_200600_302600_NS10device_ptrIiEENS9_IsEEjNS1_19radix_merge_compareILb0ELb0EiNS0_19identity_decomposerEEEEE10hipError_tT0_T1_T2_jT3_P12ihipStream_tbPNSt15iterator_traitsISG_E10value_typeEPNSM_ISH_E10value_typeEPSI_NS1_7vsmem_tEENKUlT_SG_SH_SI_E_clIPiSA_PsSB_EESF_SV_SG_SH_SI_EUlSV_E0_NS1_11comp_targetILNS1_3genE10ELNS1_11target_archE1201ELNS1_3gpuE5ELNS1_3repE0EEENS1_38merge_mergepath_config_static_selectorELNS0_4arch9wavefront6targetE1EEEvSH_.numbered_sgpr, 0
	.set _ZN7rocprim17ROCPRIM_400000_NS6detail17trampoline_kernelINS0_14default_configENS1_38merge_sort_block_merge_config_selectorIisEEZZNS1_27merge_sort_block_merge_implIS3_N6thrust23THRUST_200600_302600_NS10device_ptrIiEENS9_IsEEjNS1_19radix_merge_compareILb0ELb0EiNS0_19identity_decomposerEEEEE10hipError_tT0_T1_T2_jT3_P12ihipStream_tbPNSt15iterator_traitsISG_E10value_typeEPNSM_ISH_E10value_typeEPSI_NS1_7vsmem_tEENKUlT_SG_SH_SI_E_clIPiSA_PsSB_EESF_SV_SG_SH_SI_EUlSV_E0_NS1_11comp_targetILNS1_3genE10ELNS1_11target_archE1201ELNS1_3gpuE5ELNS1_3repE0EEENS1_38merge_mergepath_config_static_selectorELNS0_4arch9wavefront6targetE1EEEvSH_.num_named_barrier, 0
	.set _ZN7rocprim17ROCPRIM_400000_NS6detail17trampoline_kernelINS0_14default_configENS1_38merge_sort_block_merge_config_selectorIisEEZZNS1_27merge_sort_block_merge_implIS3_N6thrust23THRUST_200600_302600_NS10device_ptrIiEENS9_IsEEjNS1_19radix_merge_compareILb0ELb0EiNS0_19identity_decomposerEEEEE10hipError_tT0_T1_T2_jT3_P12ihipStream_tbPNSt15iterator_traitsISG_E10value_typeEPNSM_ISH_E10value_typeEPSI_NS1_7vsmem_tEENKUlT_SG_SH_SI_E_clIPiSA_PsSB_EESF_SV_SG_SH_SI_EUlSV_E0_NS1_11comp_targetILNS1_3genE10ELNS1_11target_archE1201ELNS1_3gpuE5ELNS1_3repE0EEENS1_38merge_mergepath_config_static_selectorELNS0_4arch9wavefront6targetE1EEEvSH_.private_seg_size, 0
	.set _ZN7rocprim17ROCPRIM_400000_NS6detail17trampoline_kernelINS0_14default_configENS1_38merge_sort_block_merge_config_selectorIisEEZZNS1_27merge_sort_block_merge_implIS3_N6thrust23THRUST_200600_302600_NS10device_ptrIiEENS9_IsEEjNS1_19radix_merge_compareILb0ELb0EiNS0_19identity_decomposerEEEEE10hipError_tT0_T1_T2_jT3_P12ihipStream_tbPNSt15iterator_traitsISG_E10value_typeEPNSM_ISH_E10value_typeEPSI_NS1_7vsmem_tEENKUlT_SG_SH_SI_E_clIPiSA_PsSB_EESF_SV_SG_SH_SI_EUlSV_E0_NS1_11comp_targetILNS1_3genE10ELNS1_11target_archE1201ELNS1_3gpuE5ELNS1_3repE0EEENS1_38merge_mergepath_config_static_selectorELNS0_4arch9wavefront6targetE1EEEvSH_.uses_vcc, 0
	.set _ZN7rocprim17ROCPRIM_400000_NS6detail17trampoline_kernelINS0_14default_configENS1_38merge_sort_block_merge_config_selectorIisEEZZNS1_27merge_sort_block_merge_implIS3_N6thrust23THRUST_200600_302600_NS10device_ptrIiEENS9_IsEEjNS1_19radix_merge_compareILb0ELb0EiNS0_19identity_decomposerEEEEE10hipError_tT0_T1_T2_jT3_P12ihipStream_tbPNSt15iterator_traitsISG_E10value_typeEPNSM_ISH_E10value_typeEPSI_NS1_7vsmem_tEENKUlT_SG_SH_SI_E_clIPiSA_PsSB_EESF_SV_SG_SH_SI_EUlSV_E0_NS1_11comp_targetILNS1_3genE10ELNS1_11target_archE1201ELNS1_3gpuE5ELNS1_3repE0EEENS1_38merge_mergepath_config_static_selectorELNS0_4arch9wavefront6targetE1EEEvSH_.uses_flat_scratch, 0
	.set _ZN7rocprim17ROCPRIM_400000_NS6detail17trampoline_kernelINS0_14default_configENS1_38merge_sort_block_merge_config_selectorIisEEZZNS1_27merge_sort_block_merge_implIS3_N6thrust23THRUST_200600_302600_NS10device_ptrIiEENS9_IsEEjNS1_19radix_merge_compareILb0ELb0EiNS0_19identity_decomposerEEEEE10hipError_tT0_T1_T2_jT3_P12ihipStream_tbPNSt15iterator_traitsISG_E10value_typeEPNSM_ISH_E10value_typeEPSI_NS1_7vsmem_tEENKUlT_SG_SH_SI_E_clIPiSA_PsSB_EESF_SV_SG_SH_SI_EUlSV_E0_NS1_11comp_targetILNS1_3genE10ELNS1_11target_archE1201ELNS1_3gpuE5ELNS1_3repE0EEENS1_38merge_mergepath_config_static_selectorELNS0_4arch9wavefront6targetE1EEEvSH_.has_dyn_sized_stack, 0
	.set _ZN7rocprim17ROCPRIM_400000_NS6detail17trampoline_kernelINS0_14default_configENS1_38merge_sort_block_merge_config_selectorIisEEZZNS1_27merge_sort_block_merge_implIS3_N6thrust23THRUST_200600_302600_NS10device_ptrIiEENS9_IsEEjNS1_19radix_merge_compareILb0ELb0EiNS0_19identity_decomposerEEEEE10hipError_tT0_T1_T2_jT3_P12ihipStream_tbPNSt15iterator_traitsISG_E10value_typeEPNSM_ISH_E10value_typeEPSI_NS1_7vsmem_tEENKUlT_SG_SH_SI_E_clIPiSA_PsSB_EESF_SV_SG_SH_SI_EUlSV_E0_NS1_11comp_targetILNS1_3genE10ELNS1_11target_archE1201ELNS1_3gpuE5ELNS1_3repE0EEENS1_38merge_mergepath_config_static_selectorELNS0_4arch9wavefront6targetE1EEEvSH_.has_recursion, 0
	.set _ZN7rocprim17ROCPRIM_400000_NS6detail17trampoline_kernelINS0_14default_configENS1_38merge_sort_block_merge_config_selectorIisEEZZNS1_27merge_sort_block_merge_implIS3_N6thrust23THRUST_200600_302600_NS10device_ptrIiEENS9_IsEEjNS1_19radix_merge_compareILb0ELb0EiNS0_19identity_decomposerEEEEE10hipError_tT0_T1_T2_jT3_P12ihipStream_tbPNSt15iterator_traitsISG_E10value_typeEPNSM_ISH_E10value_typeEPSI_NS1_7vsmem_tEENKUlT_SG_SH_SI_E_clIPiSA_PsSB_EESF_SV_SG_SH_SI_EUlSV_E0_NS1_11comp_targetILNS1_3genE10ELNS1_11target_archE1201ELNS1_3gpuE5ELNS1_3repE0EEENS1_38merge_mergepath_config_static_selectorELNS0_4arch9wavefront6targetE1EEEvSH_.has_indirect_call, 0
	.section	.AMDGPU.csdata,"",@progbits
; Kernel info:
; codeLenInByte = 0
; TotalNumSgprs: 6
; NumVgprs: 0
; NumAgprs: 0
; TotalNumVgprs: 0
; ScratchSize: 0
; MemoryBound: 0
; FloatMode: 240
; IeeeMode: 1
; LDSByteSize: 0 bytes/workgroup (compile time only)
; SGPRBlocks: 0
; VGPRBlocks: 0
; NumSGPRsForWavesPerEU: 6
; NumVGPRsForWavesPerEU: 1
; AccumOffset: 4
; Occupancy: 8
; WaveLimiterHint : 0
; COMPUTE_PGM_RSRC2:SCRATCH_EN: 0
; COMPUTE_PGM_RSRC2:USER_SGPR: 2
; COMPUTE_PGM_RSRC2:TRAP_HANDLER: 0
; COMPUTE_PGM_RSRC2:TGID_X_EN: 1
; COMPUTE_PGM_RSRC2:TGID_Y_EN: 0
; COMPUTE_PGM_RSRC2:TGID_Z_EN: 0
; COMPUTE_PGM_RSRC2:TIDIG_COMP_CNT: 0
; COMPUTE_PGM_RSRC3_GFX90A:ACCUM_OFFSET: 0
; COMPUTE_PGM_RSRC3_GFX90A:TG_SPLIT: 0
	.section	.text._ZN7rocprim17ROCPRIM_400000_NS6detail17trampoline_kernelINS0_14default_configENS1_38merge_sort_block_merge_config_selectorIisEEZZNS1_27merge_sort_block_merge_implIS3_N6thrust23THRUST_200600_302600_NS10device_ptrIiEENS9_IsEEjNS1_19radix_merge_compareILb0ELb0EiNS0_19identity_decomposerEEEEE10hipError_tT0_T1_T2_jT3_P12ihipStream_tbPNSt15iterator_traitsISG_E10value_typeEPNSM_ISH_E10value_typeEPSI_NS1_7vsmem_tEENKUlT_SG_SH_SI_E_clIPiSA_PsSB_EESF_SV_SG_SH_SI_EUlSV_E0_NS1_11comp_targetILNS1_3genE5ELNS1_11target_archE942ELNS1_3gpuE9ELNS1_3repE0EEENS1_38merge_mergepath_config_static_selectorELNS0_4arch9wavefront6targetE1EEEvSH_,"axG",@progbits,_ZN7rocprim17ROCPRIM_400000_NS6detail17trampoline_kernelINS0_14default_configENS1_38merge_sort_block_merge_config_selectorIisEEZZNS1_27merge_sort_block_merge_implIS3_N6thrust23THRUST_200600_302600_NS10device_ptrIiEENS9_IsEEjNS1_19radix_merge_compareILb0ELb0EiNS0_19identity_decomposerEEEEE10hipError_tT0_T1_T2_jT3_P12ihipStream_tbPNSt15iterator_traitsISG_E10value_typeEPNSM_ISH_E10value_typeEPSI_NS1_7vsmem_tEENKUlT_SG_SH_SI_E_clIPiSA_PsSB_EESF_SV_SG_SH_SI_EUlSV_E0_NS1_11comp_targetILNS1_3genE5ELNS1_11target_archE942ELNS1_3gpuE9ELNS1_3repE0EEENS1_38merge_mergepath_config_static_selectorELNS0_4arch9wavefront6targetE1EEEvSH_,comdat
	.protected	_ZN7rocprim17ROCPRIM_400000_NS6detail17trampoline_kernelINS0_14default_configENS1_38merge_sort_block_merge_config_selectorIisEEZZNS1_27merge_sort_block_merge_implIS3_N6thrust23THRUST_200600_302600_NS10device_ptrIiEENS9_IsEEjNS1_19radix_merge_compareILb0ELb0EiNS0_19identity_decomposerEEEEE10hipError_tT0_T1_T2_jT3_P12ihipStream_tbPNSt15iterator_traitsISG_E10value_typeEPNSM_ISH_E10value_typeEPSI_NS1_7vsmem_tEENKUlT_SG_SH_SI_E_clIPiSA_PsSB_EESF_SV_SG_SH_SI_EUlSV_E0_NS1_11comp_targetILNS1_3genE5ELNS1_11target_archE942ELNS1_3gpuE9ELNS1_3repE0EEENS1_38merge_mergepath_config_static_selectorELNS0_4arch9wavefront6targetE1EEEvSH_ ; -- Begin function _ZN7rocprim17ROCPRIM_400000_NS6detail17trampoline_kernelINS0_14default_configENS1_38merge_sort_block_merge_config_selectorIisEEZZNS1_27merge_sort_block_merge_implIS3_N6thrust23THRUST_200600_302600_NS10device_ptrIiEENS9_IsEEjNS1_19radix_merge_compareILb0ELb0EiNS0_19identity_decomposerEEEEE10hipError_tT0_T1_T2_jT3_P12ihipStream_tbPNSt15iterator_traitsISG_E10value_typeEPNSM_ISH_E10value_typeEPSI_NS1_7vsmem_tEENKUlT_SG_SH_SI_E_clIPiSA_PsSB_EESF_SV_SG_SH_SI_EUlSV_E0_NS1_11comp_targetILNS1_3genE5ELNS1_11target_archE942ELNS1_3gpuE9ELNS1_3repE0EEENS1_38merge_mergepath_config_static_selectorELNS0_4arch9wavefront6targetE1EEEvSH_
	.globl	_ZN7rocprim17ROCPRIM_400000_NS6detail17trampoline_kernelINS0_14default_configENS1_38merge_sort_block_merge_config_selectorIisEEZZNS1_27merge_sort_block_merge_implIS3_N6thrust23THRUST_200600_302600_NS10device_ptrIiEENS9_IsEEjNS1_19radix_merge_compareILb0ELb0EiNS0_19identity_decomposerEEEEE10hipError_tT0_T1_T2_jT3_P12ihipStream_tbPNSt15iterator_traitsISG_E10value_typeEPNSM_ISH_E10value_typeEPSI_NS1_7vsmem_tEENKUlT_SG_SH_SI_E_clIPiSA_PsSB_EESF_SV_SG_SH_SI_EUlSV_E0_NS1_11comp_targetILNS1_3genE5ELNS1_11target_archE942ELNS1_3gpuE9ELNS1_3repE0EEENS1_38merge_mergepath_config_static_selectorELNS0_4arch9wavefront6targetE1EEEvSH_
	.p2align	8
	.type	_ZN7rocprim17ROCPRIM_400000_NS6detail17trampoline_kernelINS0_14default_configENS1_38merge_sort_block_merge_config_selectorIisEEZZNS1_27merge_sort_block_merge_implIS3_N6thrust23THRUST_200600_302600_NS10device_ptrIiEENS9_IsEEjNS1_19radix_merge_compareILb0ELb0EiNS0_19identity_decomposerEEEEE10hipError_tT0_T1_T2_jT3_P12ihipStream_tbPNSt15iterator_traitsISG_E10value_typeEPNSM_ISH_E10value_typeEPSI_NS1_7vsmem_tEENKUlT_SG_SH_SI_E_clIPiSA_PsSB_EESF_SV_SG_SH_SI_EUlSV_E0_NS1_11comp_targetILNS1_3genE5ELNS1_11target_archE942ELNS1_3gpuE9ELNS1_3repE0EEENS1_38merge_mergepath_config_static_selectorELNS0_4arch9wavefront6targetE1EEEvSH_,@function
_ZN7rocprim17ROCPRIM_400000_NS6detail17trampoline_kernelINS0_14default_configENS1_38merge_sort_block_merge_config_selectorIisEEZZNS1_27merge_sort_block_merge_implIS3_N6thrust23THRUST_200600_302600_NS10device_ptrIiEENS9_IsEEjNS1_19radix_merge_compareILb0ELb0EiNS0_19identity_decomposerEEEEE10hipError_tT0_T1_T2_jT3_P12ihipStream_tbPNSt15iterator_traitsISG_E10value_typeEPNSM_ISH_E10value_typeEPSI_NS1_7vsmem_tEENKUlT_SG_SH_SI_E_clIPiSA_PsSB_EESF_SV_SG_SH_SI_EUlSV_E0_NS1_11comp_targetILNS1_3genE5ELNS1_11target_archE942ELNS1_3gpuE9ELNS1_3repE0EEENS1_38merge_mergepath_config_static_selectorELNS0_4arch9wavefront6targetE1EEEvSH_: ; @_ZN7rocprim17ROCPRIM_400000_NS6detail17trampoline_kernelINS0_14default_configENS1_38merge_sort_block_merge_config_selectorIisEEZZNS1_27merge_sort_block_merge_implIS3_N6thrust23THRUST_200600_302600_NS10device_ptrIiEENS9_IsEEjNS1_19radix_merge_compareILb0ELb0EiNS0_19identity_decomposerEEEEE10hipError_tT0_T1_T2_jT3_P12ihipStream_tbPNSt15iterator_traitsISG_E10value_typeEPNSM_ISH_E10value_typeEPSI_NS1_7vsmem_tEENKUlT_SG_SH_SI_E_clIPiSA_PsSB_EESF_SV_SG_SH_SI_EUlSV_E0_NS1_11comp_targetILNS1_3genE5ELNS1_11target_archE942ELNS1_3gpuE9ELNS1_3repE0EEENS1_38merge_mergepath_config_static_selectorELNS0_4arch9wavefront6targetE1EEEvSH_
; %bb.0:
	.section	.rodata,"a",@progbits
	.p2align	6, 0x0
	.amdhsa_kernel _ZN7rocprim17ROCPRIM_400000_NS6detail17trampoline_kernelINS0_14default_configENS1_38merge_sort_block_merge_config_selectorIisEEZZNS1_27merge_sort_block_merge_implIS3_N6thrust23THRUST_200600_302600_NS10device_ptrIiEENS9_IsEEjNS1_19radix_merge_compareILb0ELb0EiNS0_19identity_decomposerEEEEE10hipError_tT0_T1_T2_jT3_P12ihipStream_tbPNSt15iterator_traitsISG_E10value_typeEPNSM_ISH_E10value_typeEPSI_NS1_7vsmem_tEENKUlT_SG_SH_SI_E_clIPiSA_PsSB_EESF_SV_SG_SH_SI_EUlSV_E0_NS1_11comp_targetILNS1_3genE5ELNS1_11target_archE942ELNS1_3gpuE9ELNS1_3repE0EEENS1_38merge_mergepath_config_static_selectorELNS0_4arch9wavefront6targetE1EEEvSH_
		.amdhsa_group_segment_fixed_size 0
		.amdhsa_private_segment_fixed_size 0
		.amdhsa_kernarg_size 64
		.amdhsa_user_sgpr_count 2
		.amdhsa_user_sgpr_dispatch_ptr 0
		.amdhsa_user_sgpr_queue_ptr 0
		.amdhsa_user_sgpr_kernarg_segment_ptr 1
		.amdhsa_user_sgpr_dispatch_id 0
		.amdhsa_user_sgpr_kernarg_preload_length 0
		.amdhsa_user_sgpr_kernarg_preload_offset 0
		.amdhsa_user_sgpr_private_segment_size 0
		.amdhsa_uses_dynamic_stack 0
		.amdhsa_enable_private_segment 0
		.amdhsa_system_sgpr_workgroup_id_x 1
		.amdhsa_system_sgpr_workgroup_id_y 0
		.amdhsa_system_sgpr_workgroup_id_z 0
		.amdhsa_system_sgpr_workgroup_info 0
		.amdhsa_system_vgpr_workitem_id 0
		.amdhsa_next_free_vgpr 1
		.amdhsa_next_free_sgpr 0
		.amdhsa_accum_offset 4
		.amdhsa_reserve_vcc 0
		.amdhsa_float_round_mode_32 0
		.amdhsa_float_round_mode_16_64 0
		.amdhsa_float_denorm_mode_32 3
		.amdhsa_float_denorm_mode_16_64 3
		.amdhsa_dx10_clamp 1
		.amdhsa_ieee_mode 1
		.amdhsa_fp16_overflow 0
		.amdhsa_tg_split 0
		.amdhsa_exception_fp_ieee_invalid_op 0
		.amdhsa_exception_fp_denorm_src 0
		.amdhsa_exception_fp_ieee_div_zero 0
		.amdhsa_exception_fp_ieee_overflow 0
		.amdhsa_exception_fp_ieee_underflow 0
		.amdhsa_exception_fp_ieee_inexact 0
		.amdhsa_exception_int_div_zero 0
	.end_amdhsa_kernel
	.section	.text._ZN7rocprim17ROCPRIM_400000_NS6detail17trampoline_kernelINS0_14default_configENS1_38merge_sort_block_merge_config_selectorIisEEZZNS1_27merge_sort_block_merge_implIS3_N6thrust23THRUST_200600_302600_NS10device_ptrIiEENS9_IsEEjNS1_19radix_merge_compareILb0ELb0EiNS0_19identity_decomposerEEEEE10hipError_tT0_T1_T2_jT3_P12ihipStream_tbPNSt15iterator_traitsISG_E10value_typeEPNSM_ISH_E10value_typeEPSI_NS1_7vsmem_tEENKUlT_SG_SH_SI_E_clIPiSA_PsSB_EESF_SV_SG_SH_SI_EUlSV_E0_NS1_11comp_targetILNS1_3genE5ELNS1_11target_archE942ELNS1_3gpuE9ELNS1_3repE0EEENS1_38merge_mergepath_config_static_selectorELNS0_4arch9wavefront6targetE1EEEvSH_,"axG",@progbits,_ZN7rocprim17ROCPRIM_400000_NS6detail17trampoline_kernelINS0_14default_configENS1_38merge_sort_block_merge_config_selectorIisEEZZNS1_27merge_sort_block_merge_implIS3_N6thrust23THRUST_200600_302600_NS10device_ptrIiEENS9_IsEEjNS1_19radix_merge_compareILb0ELb0EiNS0_19identity_decomposerEEEEE10hipError_tT0_T1_T2_jT3_P12ihipStream_tbPNSt15iterator_traitsISG_E10value_typeEPNSM_ISH_E10value_typeEPSI_NS1_7vsmem_tEENKUlT_SG_SH_SI_E_clIPiSA_PsSB_EESF_SV_SG_SH_SI_EUlSV_E0_NS1_11comp_targetILNS1_3genE5ELNS1_11target_archE942ELNS1_3gpuE9ELNS1_3repE0EEENS1_38merge_mergepath_config_static_selectorELNS0_4arch9wavefront6targetE1EEEvSH_,comdat
.Lfunc_end2300:
	.size	_ZN7rocprim17ROCPRIM_400000_NS6detail17trampoline_kernelINS0_14default_configENS1_38merge_sort_block_merge_config_selectorIisEEZZNS1_27merge_sort_block_merge_implIS3_N6thrust23THRUST_200600_302600_NS10device_ptrIiEENS9_IsEEjNS1_19radix_merge_compareILb0ELb0EiNS0_19identity_decomposerEEEEE10hipError_tT0_T1_T2_jT3_P12ihipStream_tbPNSt15iterator_traitsISG_E10value_typeEPNSM_ISH_E10value_typeEPSI_NS1_7vsmem_tEENKUlT_SG_SH_SI_E_clIPiSA_PsSB_EESF_SV_SG_SH_SI_EUlSV_E0_NS1_11comp_targetILNS1_3genE5ELNS1_11target_archE942ELNS1_3gpuE9ELNS1_3repE0EEENS1_38merge_mergepath_config_static_selectorELNS0_4arch9wavefront6targetE1EEEvSH_, .Lfunc_end2300-_ZN7rocprim17ROCPRIM_400000_NS6detail17trampoline_kernelINS0_14default_configENS1_38merge_sort_block_merge_config_selectorIisEEZZNS1_27merge_sort_block_merge_implIS3_N6thrust23THRUST_200600_302600_NS10device_ptrIiEENS9_IsEEjNS1_19radix_merge_compareILb0ELb0EiNS0_19identity_decomposerEEEEE10hipError_tT0_T1_T2_jT3_P12ihipStream_tbPNSt15iterator_traitsISG_E10value_typeEPNSM_ISH_E10value_typeEPSI_NS1_7vsmem_tEENKUlT_SG_SH_SI_E_clIPiSA_PsSB_EESF_SV_SG_SH_SI_EUlSV_E0_NS1_11comp_targetILNS1_3genE5ELNS1_11target_archE942ELNS1_3gpuE9ELNS1_3repE0EEENS1_38merge_mergepath_config_static_selectorELNS0_4arch9wavefront6targetE1EEEvSH_
                                        ; -- End function
	.set _ZN7rocprim17ROCPRIM_400000_NS6detail17trampoline_kernelINS0_14default_configENS1_38merge_sort_block_merge_config_selectorIisEEZZNS1_27merge_sort_block_merge_implIS3_N6thrust23THRUST_200600_302600_NS10device_ptrIiEENS9_IsEEjNS1_19radix_merge_compareILb0ELb0EiNS0_19identity_decomposerEEEEE10hipError_tT0_T1_T2_jT3_P12ihipStream_tbPNSt15iterator_traitsISG_E10value_typeEPNSM_ISH_E10value_typeEPSI_NS1_7vsmem_tEENKUlT_SG_SH_SI_E_clIPiSA_PsSB_EESF_SV_SG_SH_SI_EUlSV_E0_NS1_11comp_targetILNS1_3genE5ELNS1_11target_archE942ELNS1_3gpuE9ELNS1_3repE0EEENS1_38merge_mergepath_config_static_selectorELNS0_4arch9wavefront6targetE1EEEvSH_.num_vgpr, 0
	.set _ZN7rocprim17ROCPRIM_400000_NS6detail17trampoline_kernelINS0_14default_configENS1_38merge_sort_block_merge_config_selectorIisEEZZNS1_27merge_sort_block_merge_implIS3_N6thrust23THRUST_200600_302600_NS10device_ptrIiEENS9_IsEEjNS1_19radix_merge_compareILb0ELb0EiNS0_19identity_decomposerEEEEE10hipError_tT0_T1_T2_jT3_P12ihipStream_tbPNSt15iterator_traitsISG_E10value_typeEPNSM_ISH_E10value_typeEPSI_NS1_7vsmem_tEENKUlT_SG_SH_SI_E_clIPiSA_PsSB_EESF_SV_SG_SH_SI_EUlSV_E0_NS1_11comp_targetILNS1_3genE5ELNS1_11target_archE942ELNS1_3gpuE9ELNS1_3repE0EEENS1_38merge_mergepath_config_static_selectorELNS0_4arch9wavefront6targetE1EEEvSH_.num_agpr, 0
	.set _ZN7rocprim17ROCPRIM_400000_NS6detail17trampoline_kernelINS0_14default_configENS1_38merge_sort_block_merge_config_selectorIisEEZZNS1_27merge_sort_block_merge_implIS3_N6thrust23THRUST_200600_302600_NS10device_ptrIiEENS9_IsEEjNS1_19radix_merge_compareILb0ELb0EiNS0_19identity_decomposerEEEEE10hipError_tT0_T1_T2_jT3_P12ihipStream_tbPNSt15iterator_traitsISG_E10value_typeEPNSM_ISH_E10value_typeEPSI_NS1_7vsmem_tEENKUlT_SG_SH_SI_E_clIPiSA_PsSB_EESF_SV_SG_SH_SI_EUlSV_E0_NS1_11comp_targetILNS1_3genE5ELNS1_11target_archE942ELNS1_3gpuE9ELNS1_3repE0EEENS1_38merge_mergepath_config_static_selectorELNS0_4arch9wavefront6targetE1EEEvSH_.numbered_sgpr, 0
	.set _ZN7rocprim17ROCPRIM_400000_NS6detail17trampoline_kernelINS0_14default_configENS1_38merge_sort_block_merge_config_selectorIisEEZZNS1_27merge_sort_block_merge_implIS3_N6thrust23THRUST_200600_302600_NS10device_ptrIiEENS9_IsEEjNS1_19radix_merge_compareILb0ELb0EiNS0_19identity_decomposerEEEEE10hipError_tT0_T1_T2_jT3_P12ihipStream_tbPNSt15iterator_traitsISG_E10value_typeEPNSM_ISH_E10value_typeEPSI_NS1_7vsmem_tEENKUlT_SG_SH_SI_E_clIPiSA_PsSB_EESF_SV_SG_SH_SI_EUlSV_E0_NS1_11comp_targetILNS1_3genE5ELNS1_11target_archE942ELNS1_3gpuE9ELNS1_3repE0EEENS1_38merge_mergepath_config_static_selectorELNS0_4arch9wavefront6targetE1EEEvSH_.num_named_barrier, 0
	.set _ZN7rocprim17ROCPRIM_400000_NS6detail17trampoline_kernelINS0_14default_configENS1_38merge_sort_block_merge_config_selectorIisEEZZNS1_27merge_sort_block_merge_implIS3_N6thrust23THRUST_200600_302600_NS10device_ptrIiEENS9_IsEEjNS1_19radix_merge_compareILb0ELb0EiNS0_19identity_decomposerEEEEE10hipError_tT0_T1_T2_jT3_P12ihipStream_tbPNSt15iterator_traitsISG_E10value_typeEPNSM_ISH_E10value_typeEPSI_NS1_7vsmem_tEENKUlT_SG_SH_SI_E_clIPiSA_PsSB_EESF_SV_SG_SH_SI_EUlSV_E0_NS1_11comp_targetILNS1_3genE5ELNS1_11target_archE942ELNS1_3gpuE9ELNS1_3repE0EEENS1_38merge_mergepath_config_static_selectorELNS0_4arch9wavefront6targetE1EEEvSH_.private_seg_size, 0
	.set _ZN7rocprim17ROCPRIM_400000_NS6detail17trampoline_kernelINS0_14default_configENS1_38merge_sort_block_merge_config_selectorIisEEZZNS1_27merge_sort_block_merge_implIS3_N6thrust23THRUST_200600_302600_NS10device_ptrIiEENS9_IsEEjNS1_19radix_merge_compareILb0ELb0EiNS0_19identity_decomposerEEEEE10hipError_tT0_T1_T2_jT3_P12ihipStream_tbPNSt15iterator_traitsISG_E10value_typeEPNSM_ISH_E10value_typeEPSI_NS1_7vsmem_tEENKUlT_SG_SH_SI_E_clIPiSA_PsSB_EESF_SV_SG_SH_SI_EUlSV_E0_NS1_11comp_targetILNS1_3genE5ELNS1_11target_archE942ELNS1_3gpuE9ELNS1_3repE0EEENS1_38merge_mergepath_config_static_selectorELNS0_4arch9wavefront6targetE1EEEvSH_.uses_vcc, 0
	.set _ZN7rocprim17ROCPRIM_400000_NS6detail17trampoline_kernelINS0_14default_configENS1_38merge_sort_block_merge_config_selectorIisEEZZNS1_27merge_sort_block_merge_implIS3_N6thrust23THRUST_200600_302600_NS10device_ptrIiEENS9_IsEEjNS1_19radix_merge_compareILb0ELb0EiNS0_19identity_decomposerEEEEE10hipError_tT0_T1_T2_jT3_P12ihipStream_tbPNSt15iterator_traitsISG_E10value_typeEPNSM_ISH_E10value_typeEPSI_NS1_7vsmem_tEENKUlT_SG_SH_SI_E_clIPiSA_PsSB_EESF_SV_SG_SH_SI_EUlSV_E0_NS1_11comp_targetILNS1_3genE5ELNS1_11target_archE942ELNS1_3gpuE9ELNS1_3repE0EEENS1_38merge_mergepath_config_static_selectorELNS0_4arch9wavefront6targetE1EEEvSH_.uses_flat_scratch, 0
	.set _ZN7rocprim17ROCPRIM_400000_NS6detail17trampoline_kernelINS0_14default_configENS1_38merge_sort_block_merge_config_selectorIisEEZZNS1_27merge_sort_block_merge_implIS3_N6thrust23THRUST_200600_302600_NS10device_ptrIiEENS9_IsEEjNS1_19radix_merge_compareILb0ELb0EiNS0_19identity_decomposerEEEEE10hipError_tT0_T1_T2_jT3_P12ihipStream_tbPNSt15iterator_traitsISG_E10value_typeEPNSM_ISH_E10value_typeEPSI_NS1_7vsmem_tEENKUlT_SG_SH_SI_E_clIPiSA_PsSB_EESF_SV_SG_SH_SI_EUlSV_E0_NS1_11comp_targetILNS1_3genE5ELNS1_11target_archE942ELNS1_3gpuE9ELNS1_3repE0EEENS1_38merge_mergepath_config_static_selectorELNS0_4arch9wavefront6targetE1EEEvSH_.has_dyn_sized_stack, 0
	.set _ZN7rocprim17ROCPRIM_400000_NS6detail17trampoline_kernelINS0_14default_configENS1_38merge_sort_block_merge_config_selectorIisEEZZNS1_27merge_sort_block_merge_implIS3_N6thrust23THRUST_200600_302600_NS10device_ptrIiEENS9_IsEEjNS1_19radix_merge_compareILb0ELb0EiNS0_19identity_decomposerEEEEE10hipError_tT0_T1_T2_jT3_P12ihipStream_tbPNSt15iterator_traitsISG_E10value_typeEPNSM_ISH_E10value_typeEPSI_NS1_7vsmem_tEENKUlT_SG_SH_SI_E_clIPiSA_PsSB_EESF_SV_SG_SH_SI_EUlSV_E0_NS1_11comp_targetILNS1_3genE5ELNS1_11target_archE942ELNS1_3gpuE9ELNS1_3repE0EEENS1_38merge_mergepath_config_static_selectorELNS0_4arch9wavefront6targetE1EEEvSH_.has_recursion, 0
	.set _ZN7rocprim17ROCPRIM_400000_NS6detail17trampoline_kernelINS0_14default_configENS1_38merge_sort_block_merge_config_selectorIisEEZZNS1_27merge_sort_block_merge_implIS3_N6thrust23THRUST_200600_302600_NS10device_ptrIiEENS9_IsEEjNS1_19radix_merge_compareILb0ELb0EiNS0_19identity_decomposerEEEEE10hipError_tT0_T1_T2_jT3_P12ihipStream_tbPNSt15iterator_traitsISG_E10value_typeEPNSM_ISH_E10value_typeEPSI_NS1_7vsmem_tEENKUlT_SG_SH_SI_E_clIPiSA_PsSB_EESF_SV_SG_SH_SI_EUlSV_E0_NS1_11comp_targetILNS1_3genE5ELNS1_11target_archE942ELNS1_3gpuE9ELNS1_3repE0EEENS1_38merge_mergepath_config_static_selectorELNS0_4arch9wavefront6targetE1EEEvSH_.has_indirect_call, 0
	.section	.AMDGPU.csdata,"",@progbits
; Kernel info:
; codeLenInByte = 0
; TotalNumSgprs: 6
; NumVgprs: 0
; NumAgprs: 0
; TotalNumVgprs: 0
; ScratchSize: 0
; MemoryBound: 0
; FloatMode: 240
; IeeeMode: 1
; LDSByteSize: 0 bytes/workgroup (compile time only)
; SGPRBlocks: 0
; VGPRBlocks: 0
; NumSGPRsForWavesPerEU: 6
; NumVGPRsForWavesPerEU: 1
; AccumOffset: 4
; Occupancy: 8
; WaveLimiterHint : 0
; COMPUTE_PGM_RSRC2:SCRATCH_EN: 0
; COMPUTE_PGM_RSRC2:USER_SGPR: 2
; COMPUTE_PGM_RSRC2:TRAP_HANDLER: 0
; COMPUTE_PGM_RSRC2:TGID_X_EN: 1
; COMPUTE_PGM_RSRC2:TGID_Y_EN: 0
; COMPUTE_PGM_RSRC2:TGID_Z_EN: 0
; COMPUTE_PGM_RSRC2:TIDIG_COMP_CNT: 0
; COMPUTE_PGM_RSRC3_GFX90A:ACCUM_OFFSET: 0
; COMPUTE_PGM_RSRC3_GFX90A:TG_SPLIT: 0
	.section	.text._ZN7rocprim17ROCPRIM_400000_NS6detail17trampoline_kernelINS0_14default_configENS1_38merge_sort_block_merge_config_selectorIisEEZZNS1_27merge_sort_block_merge_implIS3_N6thrust23THRUST_200600_302600_NS10device_ptrIiEENS9_IsEEjNS1_19radix_merge_compareILb0ELb0EiNS0_19identity_decomposerEEEEE10hipError_tT0_T1_T2_jT3_P12ihipStream_tbPNSt15iterator_traitsISG_E10value_typeEPNSM_ISH_E10value_typeEPSI_NS1_7vsmem_tEENKUlT_SG_SH_SI_E_clIPiSA_PsSB_EESF_SV_SG_SH_SI_EUlSV_E0_NS1_11comp_targetILNS1_3genE4ELNS1_11target_archE910ELNS1_3gpuE8ELNS1_3repE0EEENS1_38merge_mergepath_config_static_selectorELNS0_4arch9wavefront6targetE1EEEvSH_,"axG",@progbits,_ZN7rocprim17ROCPRIM_400000_NS6detail17trampoline_kernelINS0_14default_configENS1_38merge_sort_block_merge_config_selectorIisEEZZNS1_27merge_sort_block_merge_implIS3_N6thrust23THRUST_200600_302600_NS10device_ptrIiEENS9_IsEEjNS1_19radix_merge_compareILb0ELb0EiNS0_19identity_decomposerEEEEE10hipError_tT0_T1_T2_jT3_P12ihipStream_tbPNSt15iterator_traitsISG_E10value_typeEPNSM_ISH_E10value_typeEPSI_NS1_7vsmem_tEENKUlT_SG_SH_SI_E_clIPiSA_PsSB_EESF_SV_SG_SH_SI_EUlSV_E0_NS1_11comp_targetILNS1_3genE4ELNS1_11target_archE910ELNS1_3gpuE8ELNS1_3repE0EEENS1_38merge_mergepath_config_static_selectorELNS0_4arch9wavefront6targetE1EEEvSH_,comdat
	.protected	_ZN7rocprim17ROCPRIM_400000_NS6detail17trampoline_kernelINS0_14default_configENS1_38merge_sort_block_merge_config_selectorIisEEZZNS1_27merge_sort_block_merge_implIS3_N6thrust23THRUST_200600_302600_NS10device_ptrIiEENS9_IsEEjNS1_19radix_merge_compareILb0ELb0EiNS0_19identity_decomposerEEEEE10hipError_tT0_T1_T2_jT3_P12ihipStream_tbPNSt15iterator_traitsISG_E10value_typeEPNSM_ISH_E10value_typeEPSI_NS1_7vsmem_tEENKUlT_SG_SH_SI_E_clIPiSA_PsSB_EESF_SV_SG_SH_SI_EUlSV_E0_NS1_11comp_targetILNS1_3genE4ELNS1_11target_archE910ELNS1_3gpuE8ELNS1_3repE0EEENS1_38merge_mergepath_config_static_selectorELNS0_4arch9wavefront6targetE1EEEvSH_ ; -- Begin function _ZN7rocprim17ROCPRIM_400000_NS6detail17trampoline_kernelINS0_14default_configENS1_38merge_sort_block_merge_config_selectorIisEEZZNS1_27merge_sort_block_merge_implIS3_N6thrust23THRUST_200600_302600_NS10device_ptrIiEENS9_IsEEjNS1_19radix_merge_compareILb0ELb0EiNS0_19identity_decomposerEEEEE10hipError_tT0_T1_T2_jT3_P12ihipStream_tbPNSt15iterator_traitsISG_E10value_typeEPNSM_ISH_E10value_typeEPSI_NS1_7vsmem_tEENKUlT_SG_SH_SI_E_clIPiSA_PsSB_EESF_SV_SG_SH_SI_EUlSV_E0_NS1_11comp_targetILNS1_3genE4ELNS1_11target_archE910ELNS1_3gpuE8ELNS1_3repE0EEENS1_38merge_mergepath_config_static_selectorELNS0_4arch9wavefront6targetE1EEEvSH_
	.globl	_ZN7rocprim17ROCPRIM_400000_NS6detail17trampoline_kernelINS0_14default_configENS1_38merge_sort_block_merge_config_selectorIisEEZZNS1_27merge_sort_block_merge_implIS3_N6thrust23THRUST_200600_302600_NS10device_ptrIiEENS9_IsEEjNS1_19radix_merge_compareILb0ELb0EiNS0_19identity_decomposerEEEEE10hipError_tT0_T1_T2_jT3_P12ihipStream_tbPNSt15iterator_traitsISG_E10value_typeEPNSM_ISH_E10value_typeEPSI_NS1_7vsmem_tEENKUlT_SG_SH_SI_E_clIPiSA_PsSB_EESF_SV_SG_SH_SI_EUlSV_E0_NS1_11comp_targetILNS1_3genE4ELNS1_11target_archE910ELNS1_3gpuE8ELNS1_3repE0EEENS1_38merge_mergepath_config_static_selectorELNS0_4arch9wavefront6targetE1EEEvSH_
	.p2align	8
	.type	_ZN7rocprim17ROCPRIM_400000_NS6detail17trampoline_kernelINS0_14default_configENS1_38merge_sort_block_merge_config_selectorIisEEZZNS1_27merge_sort_block_merge_implIS3_N6thrust23THRUST_200600_302600_NS10device_ptrIiEENS9_IsEEjNS1_19radix_merge_compareILb0ELb0EiNS0_19identity_decomposerEEEEE10hipError_tT0_T1_T2_jT3_P12ihipStream_tbPNSt15iterator_traitsISG_E10value_typeEPNSM_ISH_E10value_typeEPSI_NS1_7vsmem_tEENKUlT_SG_SH_SI_E_clIPiSA_PsSB_EESF_SV_SG_SH_SI_EUlSV_E0_NS1_11comp_targetILNS1_3genE4ELNS1_11target_archE910ELNS1_3gpuE8ELNS1_3repE0EEENS1_38merge_mergepath_config_static_selectorELNS0_4arch9wavefront6targetE1EEEvSH_,@function
_ZN7rocprim17ROCPRIM_400000_NS6detail17trampoline_kernelINS0_14default_configENS1_38merge_sort_block_merge_config_selectorIisEEZZNS1_27merge_sort_block_merge_implIS3_N6thrust23THRUST_200600_302600_NS10device_ptrIiEENS9_IsEEjNS1_19radix_merge_compareILb0ELb0EiNS0_19identity_decomposerEEEEE10hipError_tT0_T1_T2_jT3_P12ihipStream_tbPNSt15iterator_traitsISG_E10value_typeEPNSM_ISH_E10value_typeEPSI_NS1_7vsmem_tEENKUlT_SG_SH_SI_E_clIPiSA_PsSB_EESF_SV_SG_SH_SI_EUlSV_E0_NS1_11comp_targetILNS1_3genE4ELNS1_11target_archE910ELNS1_3gpuE8ELNS1_3repE0EEENS1_38merge_mergepath_config_static_selectorELNS0_4arch9wavefront6targetE1EEEvSH_: ; @_ZN7rocprim17ROCPRIM_400000_NS6detail17trampoline_kernelINS0_14default_configENS1_38merge_sort_block_merge_config_selectorIisEEZZNS1_27merge_sort_block_merge_implIS3_N6thrust23THRUST_200600_302600_NS10device_ptrIiEENS9_IsEEjNS1_19radix_merge_compareILb0ELb0EiNS0_19identity_decomposerEEEEE10hipError_tT0_T1_T2_jT3_P12ihipStream_tbPNSt15iterator_traitsISG_E10value_typeEPNSM_ISH_E10value_typeEPSI_NS1_7vsmem_tEENKUlT_SG_SH_SI_E_clIPiSA_PsSB_EESF_SV_SG_SH_SI_EUlSV_E0_NS1_11comp_targetILNS1_3genE4ELNS1_11target_archE910ELNS1_3gpuE8ELNS1_3repE0EEENS1_38merge_mergepath_config_static_selectorELNS0_4arch9wavefront6targetE1EEEvSH_
; %bb.0:
	.section	.rodata,"a",@progbits
	.p2align	6, 0x0
	.amdhsa_kernel _ZN7rocprim17ROCPRIM_400000_NS6detail17trampoline_kernelINS0_14default_configENS1_38merge_sort_block_merge_config_selectorIisEEZZNS1_27merge_sort_block_merge_implIS3_N6thrust23THRUST_200600_302600_NS10device_ptrIiEENS9_IsEEjNS1_19radix_merge_compareILb0ELb0EiNS0_19identity_decomposerEEEEE10hipError_tT0_T1_T2_jT3_P12ihipStream_tbPNSt15iterator_traitsISG_E10value_typeEPNSM_ISH_E10value_typeEPSI_NS1_7vsmem_tEENKUlT_SG_SH_SI_E_clIPiSA_PsSB_EESF_SV_SG_SH_SI_EUlSV_E0_NS1_11comp_targetILNS1_3genE4ELNS1_11target_archE910ELNS1_3gpuE8ELNS1_3repE0EEENS1_38merge_mergepath_config_static_selectorELNS0_4arch9wavefront6targetE1EEEvSH_
		.amdhsa_group_segment_fixed_size 0
		.amdhsa_private_segment_fixed_size 0
		.amdhsa_kernarg_size 64
		.amdhsa_user_sgpr_count 2
		.amdhsa_user_sgpr_dispatch_ptr 0
		.amdhsa_user_sgpr_queue_ptr 0
		.amdhsa_user_sgpr_kernarg_segment_ptr 1
		.amdhsa_user_sgpr_dispatch_id 0
		.amdhsa_user_sgpr_kernarg_preload_length 0
		.amdhsa_user_sgpr_kernarg_preload_offset 0
		.amdhsa_user_sgpr_private_segment_size 0
		.amdhsa_uses_dynamic_stack 0
		.amdhsa_enable_private_segment 0
		.amdhsa_system_sgpr_workgroup_id_x 1
		.amdhsa_system_sgpr_workgroup_id_y 0
		.amdhsa_system_sgpr_workgroup_id_z 0
		.amdhsa_system_sgpr_workgroup_info 0
		.amdhsa_system_vgpr_workitem_id 0
		.amdhsa_next_free_vgpr 1
		.amdhsa_next_free_sgpr 0
		.amdhsa_accum_offset 4
		.amdhsa_reserve_vcc 0
		.amdhsa_float_round_mode_32 0
		.amdhsa_float_round_mode_16_64 0
		.amdhsa_float_denorm_mode_32 3
		.amdhsa_float_denorm_mode_16_64 3
		.amdhsa_dx10_clamp 1
		.amdhsa_ieee_mode 1
		.amdhsa_fp16_overflow 0
		.amdhsa_tg_split 0
		.amdhsa_exception_fp_ieee_invalid_op 0
		.amdhsa_exception_fp_denorm_src 0
		.amdhsa_exception_fp_ieee_div_zero 0
		.amdhsa_exception_fp_ieee_overflow 0
		.amdhsa_exception_fp_ieee_underflow 0
		.amdhsa_exception_fp_ieee_inexact 0
		.amdhsa_exception_int_div_zero 0
	.end_amdhsa_kernel
	.section	.text._ZN7rocprim17ROCPRIM_400000_NS6detail17trampoline_kernelINS0_14default_configENS1_38merge_sort_block_merge_config_selectorIisEEZZNS1_27merge_sort_block_merge_implIS3_N6thrust23THRUST_200600_302600_NS10device_ptrIiEENS9_IsEEjNS1_19radix_merge_compareILb0ELb0EiNS0_19identity_decomposerEEEEE10hipError_tT0_T1_T2_jT3_P12ihipStream_tbPNSt15iterator_traitsISG_E10value_typeEPNSM_ISH_E10value_typeEPSI_NS1_7vsmem_tEENKUlT_SG_SH_SI_E_clIPiSA_PsSB_EESF_SV_SG_SH_SI_EUlSV_E0_NS1_11comp_targetILNS1_3genE4ELNS1_11target_archE910ELNS1_3gpuE8ELNS1_3repE0EEENS1_38merge_mergepath_config_static_selectorELNS0_4arch9wavefront6targetE1EEEvSH_,"axG",@progbits,_ZN7rocprim17ROCPRIM_400000_NS6detail17trampoline_kernelINS0_14default_configENS1_38merge_sort_block_merge_config_selectorIisEEZZNS1_27merge_sort_block_merge_implIS3_N6thrust23THRUST_200600_302600_NS10device_ptrIiEENS9_IsEEjNS1_19radix_merge_compareILb0ELb0EiNS0_19identity_decomposerEEEEE10hipError_tT0_T1_T2_jT3_P12ihipStream_tbPNSt15iterator_traitsISG_E10value_typeEPNSM_ISH_E10value_typeEPSI_NS1_7vsmem_tEENKUlT_SG_SH_SI_E_clIPiSA_PsSB_EESF_SV_SG_SH_SI_EUlSV_E0_NS1_11comp_targetILNS1_3genE4ELNS1_11target_archE910ELNS1_3gpuE8ELNS1_3repE0EEENS1_38merge_mergepath_config_static_selectorELNS0_4arch9wavefront6targetE1EEEvSH_,comdat
.Lfunc_end2301:
	.size	_ZN7rocprim17ROCPRIM_400000_NS6detail17trampoline_kernelINS0_14default_configENS1_38merge_sort_block_merge_config_selectorIisEEZZNS1_27merge_sort_block_merge_implIS3_N6thrust23THRUST_200600_302600_NS10device_ptrIiEENS9_IsEEjNS1_19radix_merge_compareILb0ELb0EiNS0_19identity_decomposerEEEEE10hipError_tT0_T1_T2_jT3_P12ihipStream_tbPNSt15iterator_traitsISG_E10value_typeEPNSM_ISH_E10value_typeEPSI_NS1_7vsmem_tEENKUlT_SG_SH_SI_E_clIPiSA_PsSB_EESF_SV_SG_SH_SI_EUlSV_E0_NS1_11comp_targetILNS1_3genE4ELNS1_11target_archE910ELNS1_3gpuE8ELNS1_3repE0EEENS1_38merge_mergepath_config_static_selectorELNS0_4arch9wavefront6targetE1EEEvSH_, .Lfunc_end2301-_ZN7rocprim17ROCPRIM_400000_NS6detail17trampoline_kernelINS0_14default_configENS1_38merge_sort_block_merge_config_selectorIisEEZZNS1_27merge_sort_block_merge_implIS3_N6thrust23THRUST_200600_302600_NS10device_ptrIiEENS9_IsEEjNS1_19radix_merge_compareILb0ELb0EiNS0_19identity_decomposerEEEEE10hipError_tT0_T1_T2_jT3_P12ihipStream_tbPNSt15iterator_traitsISG_E10value_typeEPNSM_ISH_E10value_typeEPSI_NS1_7vsmem_tEENKUlT_SG_SH_SI_E_clIPiSA_PsSB_EESF_SV_SG_SH_SI_EUlSV_E0_NS1_11comp_targetILNS1_3genE4ELNS1_11target_archE910ELNS1_3gpuE8ELNS1_3repE0EEENS1_38merge_mergepath_config_static_selectorELNS0_4arch9wavefront6targetE1EEEvSH_
                                        ; -- End function
	.set _ZN7rocprim17ROCPRIM_400000_NS6detail17trampoline_kernelINS0_14default_configENS1_38merge_sort_block_merge_config_selectorIisEEZZNS1_27merge_sort_block_merge_implIS3_N6thrust23THRUST_200600_302600_NS10device_ptrIiEENS9_IsEEjNS1_19radix_merge_compareILb0ELb0EiNS0_19identity_decomposerEEEEE10hipError_tT0_T1_T2_jT3_P12ihipStream_tbPNSt15iterator_traitsISG_E10value_typeEPNSM_ISH_E10value_typeEPSI_NS1_7vsmem_tEENKUlT_SG_SH_SI_E_clIPiSA_PsSB_EESF_SV_SG_SH_SI_EUlSV_E0_NS1_11comp_targetILNS1_3genE4ELNS1_11target_archE910ELNS1_3gpuE8ELNS1_3repE0EEENS1_38merge_mergepath_config_static_selectorELNS0_4arch9wavefront6targetE1EEEvSH_.num_vgpr, 0
	.set _ZN7rocprim17ROCPRIM_400000_NS6detail17trampoline_kernelINS0_14default_configENS1_38merge_sort_block_merge_config_selectorIisEEZZNS1_27merge_sort_block_merge_implIS3_N6thrust23THRUST_200600_302600_NS10device_ptrIiEENS9_IsEEjNS1_19radix_merge_compareILb0ELb0EiNS0_19identity_decomposerEEEEE10hipError_tT0_T1_T2_jT3_P12ihipStream_tbPNSt15iterator_traitsISG_E10value_typeEPNSM_ISH_E10value_typeEPSI_NS1_7vsmem_tEENKUlT_SG_SH_SI_E_clIPiSA_PsSB_EESF_SV_SG_SH_SI_EUlSV_E0_NS1_11comp_targetILNS1_3genE4ELNS1_11target_archE910ELNS1_3gpuE8ELNS1_3repE0EEENS1_38merge_mergepath_config_static_selectorELNS0_4arch9wavefront6targetE1EEEvSH_.num_agpr, 0
	.set _ZN7rocprim17ROCPRIM_400000_NS6detail17trampoline_kernelINS0_14default_configENS1_38merge_sort_block_merge_config_selectorIisEEZZNS1_27merge_sort_block_merge_implIS3_N6thrust23THRUST_200600_302600_NS10device_ptrIiEENS9_IsEEjNS1_19radix_merge_compareILb0ELb0EiNS0_19identity_decomposerEEEEE10hipError_tT0_T1_T2_jT3_P12ihipStream_tbPNSt15iterator_traitsISG_E10value_typeEPNSM_ISH_E10value_typeEPSI_NS1_7vsmem_tEENKUlT_SG_SH_SI_E_clIPiSA_PsSB_EESF_SV_SG_SH_SI_EUlSV_E0_NS1_11comp_targetILNS1_3genE4ELNS1_11target_archE910ELNS1_3gpuE8ELNS1_3repE0EEENS1_38merge_mergepath_config_static_selectorELNS0_4arch9wavefront6targetE1EEEvSH_.numbered_sgpr, 0
	.set _ZN7rocprim17ROCPRIM_400000_NS6detail17trampoline_kernelINS0_14default_configENS1_38merge_sort_block_merge_config_selectorIisEEZZNS1_27merge_sort_block_merge_implIS3_N6thrust23THRUST_200600_302600_NS10device_ptrIiEENS9_IsEEjNS1_19radix_merge_compareILb0ELb0EiNS0_19identity_decomposerEEEEE10hipError_tT0_T1_T2_jT3_P12ihipStream_tbPNSt15iterator_traitsISG_E10value_typeEPNSM_ISH_E10value_typeEPSI_NS1_7vsmem_tEENKUlT_SG_SH_SI_E_clIPiSA_PsSB_EESF_SV_SG_SH_SI_EUlSV_E0_NS1_11comp_targetILNS1_3genE4ELNS1_11target_archE910ELNS1_3gpuE8ELNS1_3repE0EEENS1_38merge_mergepath_config_static_selectorELNS0_4arch9wavefront6targetE1EEEvSH_.num_named_barrier, 0
	.set _ZN7rocprim17ROCPRIM_400000_NS6detail17trampoline_kernelINS0_14default_configENS1_38merge_sort_block_merge_config_selectorIisEEZZNS1_27merge_sort_block_merge_implIS3_N6thrust23THRUST_200600_302600_NS10device_ptrIiEENS9_IsEEjNS1_19radix_merge_compareILb0ELb0EiNS0_19identity_decomposerEEEEE10hipError_tT0_T1_T2_jT3_P12ihipStream_tbPNSt15iterator_traitsISG_E10value_typeEPNSM_ISH_E10value_typeEPSI_NS1_7vsmem_tEENKUlT_SG_SH_SI_E_clIPiSA_PsSB_EESF_SV_SG_SH_SI_EUlSV_E0_NS1_11comp_targetILNS1_3genE4ELNS1_11target_archE910ELNS1_3gpuE8ELNS1_3repE0EEENS1_38merge_mergepath_config_static_selectorELNS0_4arch9wavefront6targetE1EEEvSH_.private_seg_size, 0
	.set _ZN7rocprim17ROCPRIM_400000_NS6detail17trampoline_kernelINS0_14default_configENS1_38merge_sort_block_merge_config_selectorIisEEZZNS1_27merge_sort_block_merge_implIS3_N6thrust23THRUST_200600_302600_NS10device_ptrIiEENS9_IsEEjNS1_19radix_merge_compareILb0ELb0EiNS0_19identity_decomposerEEEEE10hipError_tT0_T1_T2_jT3_P12ihipStream_tbPNSt15iterator_traitsISG_E10value_typeEPNSM_ISH_E10value_typeEPSI_NS1_7vsmem_tEENKUlT_SG_SH_SI_E_clIPiSA_PsSB_EESF_SV_SG_SH_SI_EUlSV_E0_NS1_11comp_targetILNS1_3genE4ELNS1_11target_archE910ELNS1_3gpuE8ELNS1_3repE0EEENS1_38merge_mergepath_config_static_selectorELNS0_4arch9wavefront6targetE1EEEvSH_.uses_vcc, 0
	.set _ZN7rocprim17ROCPRIM_400000_NS6detail17trampoline_kernelINS0_14default_configENS1_38merge_sort_block_merge_config_selectorIisEEZZNS1_27merge_sort_block_merge_implIS3_N6thrust23THRUST_200600_302600_NS10device_ptrIiEENS9_IsEEjNS1_19radix_merge_compareILb0ELb0EiNS0_19identity_decomposerEEEEE10hipError_tT0_T1_T2_jT3_P12ihipStream_tbPNSt15iterator_traitsISG_E10value_typeEPNSM_ISH_E10value_typeEPSI_NS1_7vsmem_tEENKUlT_SG_SH_SI_E_clIPiSA_PsSB_EESF_SV_SG_SH_SI_EUlSV_E0_NS1_11comp_targetILNS1_3genE4ELNS1_11target_archE910ELNS1_3gpuE8ELNS1_3repE0EEENS1_38merge_mergepath_config_static_selectorELNS0_4arch9wavefront6targetE1EEEvSH_.uses_flat_scratch, 0
	.set _ZN7rocprim17ROCPRIM_400000_NS6detail17trampoline_kernelINS0_14default_configENS1_38merge_sort_block_merge_config_selectorIisEEZZNS1_27merge_sort_block_merge_implIS3_N6thrust23THRUST_200600_302600_NS10device_ptrIiEENS9_IsEEjNS1_19radix_merge_compareILb0ELb0EiNS0_19identity_decomposerEEEEE10hipError_tT0_T1_T2_jT3_P12ihipStream_tbPNSt15iterator_traitsISG_E10value_typeEPNSM_ISH_E10value_typeEPSI_NS1_7vsmem_tEENKUlT_SG_SH_SI_E_clIPiSA_PsSB_EESF_SV_SG_SH_SI_EUlSV_E0_NS1_11comp_targetILNS1_3genE4ELNS1_11target_archE910ELNS1_3gpuE8ELNS1_3repE0EEENS1_38merge_mergepath_config_static_selectorELNS0_4arch9wavefront6targetE1EEEvSH_.has_dyn_sized_stack, 0
	.set _ZN7rocprim17ROCPRIM_400000_NS6detail17trampoline_kernelINS0_14default_configENS1_38merge_sort_block_merge_config_selectorIisEEZZNS1_27merge_sort_block_merge_implIS3_N6thrust23THRUST_200600_302600_NS10device_ptrIiEENS9_IsEEjNS1_19radix_merge_compareILb0ELb0EiNS0_19identity_decomposerEEEEE10hipError_tT0_T1_T2_jT3_P12ihipStream_tbPNSt15iterator_traitsISG_E10value_typeEPNSM_ISH_E10value_typeEPSI_NS1_7vsmem_tEENKUlT_SG_SH_SI_E_clIPiSA_PsSB_EESF_SV_SG_SH_SI_EUlSV_E0_NS1_11comp_targetILNS1_3genE4ELNS1_11target_archE910ELNS1_3gpuE8ELNS1_3repE0EEENS1_38merge_mergepath_config_static_selectorELNS0_4arch9wavefront6targetE1EEEvSH_.has_recursion, 0
	.set _ZN7rocprim17ROCPRIM_400000_NS6detail17trampoline_kernelINS0_14default_configENS1_38merge_sort_block_merge_config_selectorIisEEZZNS1_27merge_sort_block_merge_implIS3_N6thrust23THRUST_200600_302600_NS10device_ptrIiEENS9_IsEEjNS1_19radix_merge_compareILb0ELb0EiNS0_19identity_decomposerEEEEE10hipError_tT0_T1_T2_jT3_P12ihipStream_tbPNSt15iterator_traitsISG_E10value_typeEPNSM_ISH_E10value_typeEPSI_NS1_7vsmem_tEENKUlT_SG_SH_SI_E_clIPiSA_PsSB_EESF_SV_SG_SH_SI_EUlSV_E0_NS1_11comp_targetILNS1_3genE4ELNS1_11target_archE910ELNS1_3gpuE8ELNS1_3repE0EEENS1_38merge_mergepath_config_static_selectorELNS0_4arch9wavefront6targetE1EEEvSH_.has_indirect_call, 0
	.section	.AMDGPU.csdata,"",@progbits
; Kernel info:
; codeLenInByte = 0
; TotalNumSgprs: 6
; NumVgprs: 0
; NumAgprs: 0
; TotalNumVgprs: 0
; ScratchSize: 0
; MemoryBound: 0
; FloatMode: 240
; IeeeMode: 1
; LDSByteSize: 0 bytes/workgroup (compile time only)
; SGPRBlocks: 0
; VGPRBlocks: 0
; NumSGPRsForWavesPerEU: 6
; NumVGPRsForWavesPerEU: 1
; AccumOffset: 4
; Occupancy: 8
; WaveLimiterHint : 0
; COMPUTE_PGM_RSRC2:SCRATCH_EN: 0
; COMPUTE_PGM_RSRC2:USER_SGPR: 2
; COMPUTE_PGM_RSRC2:TRAP_HANDLER: 0
; COMPUTE_PGM_RSRC2:TGID_X_EN: 1
; COMPUTE_PGM_RSRC2:TGID_Y_EN: 0
; COMPUTE_PGM_RSRC2:TGID_Z_EN: 0
; COMPUTE_PGM_RSRC2:TIDIG_COMP_CNT: 0
; COMPUTE_PGM_RSRC3_GFX90A:ACCUM_OFFSET: 0
; COMPUTE_PGM_RSRC3_GFX90A:TG_SPLIT: 0
	.section	.text._ZN7rocprim17ROCPRIM_400000_NS6detail17trampoline_kernelINS0_14default_configENS1_38merge_sort_block_merge_config_selectorIisEEZZNS1_27merge_sort_block_merge_implIS3_N6thrust23THRUST_200600_302600_NS10device_ptrIiEENS9_IsEEjNS1_19radix_merge_compareILb0ELb0EiNS0_19identity_decomposerEEEEE10hipError_tT0_T1_T2_jT3_P12ihipStream_tbPNSt15iterator_traitsISG_E10value_typeEPNSM_ISH_E10value_typeEPSI_NS1_7vsmem_tEENKUlT_SG_SH_SI_E_clIPiSA_PsSB_EESF_SV_SG_SH_SI_EUlSV_E0_NS1_11comp_targetILNS1_3genE3ELNS1_11target_archE908ELNS1_3gpuE7ELNS1_3repE0EEENS1_38merge_mergepath_config_static_selectorELNS0_4arch9wavefront6targetE1EEEvSH_,"axG",@progbits,_ZN7rocprim17ROCPRIM_400000_NS6detail17trampoline_kernelINS0_14default_configENS1_38merge_sort_block_merge_config_selectorIisEEZZNS1_27merge_sort_block_merge_implIS3_N6thrust23THRUST_200600_302600_NS10device_ptrIiEENS9_IsEEjNS1_19radix_merge_compareILb0ELb0EiNS0_19identity_decomposerEEEEE10hipError_tT0_T1_T2_jT3_P12ihipStream_tbPNSt15iterator_traitsISG_E10value_typeEPNSM_ISH_E10value_typeEPSI_NS1_7vsmem_tEENKUlT_SG_SH_SI_E_clIPiSA_PsSB_EESF_SV_SG_SH_SI_EUlSV_E0_NS1_11comp_targetILNS1_3genE3ELNS1_11target_archE908ELNS1_3gpuE7ELNS1_3repE0EEENS1_38merge_mergepath_config_static_selectorELNS0_4arch9wavefront6targetE1EEEvSH_,comdat
	.protected	_ZN7rocprim17ROCPRIM_400000_NS6detail17trampoline_kernelINS0_14default_configENS1_38merge_sort_block_merge_config_selectorIisEEZZNS1_27merge_sort_block_merge_implIS3_N6thrust23THRUST_200600_302600_NS10device_ptrIiEENS9_IsEEjNS1_19radix_merge_compareILb0ELb0EiNS0_19identity_decomposerEEEEE10hipError_tT0_T1_T2_jT3_P12ihipStream_tbPNSt15iterator_traitsISG_E10value_typeEPNSM_ISH_E10value_typeEPSI_NS1_7vsmem_tEENKUlT_SG_SH_SI_E_clIPiSA_PsSB_EESF_SV_SG_SH_SI_EUlSV_E0_NS1_11comp_targetILNS1_3genE3ELNS1_11target_archE908ELNS1_3gpuE7ELNS1_3repE0EEENS1_38merge_mergepath_config_static_selectorELNS0_4arch9wavefront6targetE1EEEvSH_ ; -- Begin function _ZN7rocprim17ROCPRIM_400000_NS6detail17trampoline_kernelINS0_14default_configENS1_38merge_sort_block_merge_config_selectorIisEEZZNS1_27merge_sort_block_merge_implIS3_N6thrust23THRUST_200600_302600_NS10device_ptrIiEENS9_IsEEjNS1_19radix_merge_compareILb0ELb0EiNS0_19identity_decomposerEEEEE10hipError_tT0_T1_T2_jT3_P12ihipStream_tbPNSt15iterator_traitsISG_E10value_typeEPNSM_ISH_E10value_typeEPSI_NS1_7vsmem_tEENKUlT_SG_SH_SI_E_clIPiSA_PsSB_EESF_SV_SG_SH_SI_EUlSV_E0_NS1_11comp_targetILNS1_3genE3ELNS1_11target_archE908ELNS1_3gpuE7ELNS1_3repE0EEENS1_38merge_mergepath_config_static_selectorELNS0_4arch9wavefront6targetE1EEEvSH_
	.globl	_ZN7rocprim17ROCPRIM_400000_NS6detail17trampoline_kernelINS0_14default_configENS1_38merge_sort_block_merge_config_selectorIisEEZZNS1_27merge_sort_block_merge_implIS3_N6thrust23THRUST_200600_302600_NS10device_ptrIiEENS9_IsEEjNS1_19radix_merge_compareILb0ELb0EiNS0_19identity_decomposerEEEEE10hipError_tT0_T1_T2_jT3_P12ihipStream_tbPNSt15iterator_traitsISG_E10value_typeEPNSM_ISH_E10value_typeEPSI_NS1_7vsmem_tEENKUlT_SG_SH_SI_E_clIPiSA_PsSB_EESF_SV_SG_SH_SI_EUlSV_E0_NS1_11comp_targetILNS1_3genE3ELNS1_11target_archE908ELNS1_3gpuE7ELNS1_3repE0EEENS1_38merge_mergepath_config_static_selectorELNS0_4arch9wavefront6targetE1EEEvSH_
	.p2align	8
	.type	_ZN7rocprim17ROCPRIM_400000_NS6detail17trampoline_kernelINS0_14default_configENS1_38merge_sort_block_merge_config_selectorIisEEZZNS1_27merge_sort_block_merge_implIS3_N6thrust23THRUST_200600_302600_NS10device_ptrIiEENS9_IsEEjNS1_19radix_merge_compareILb0ELb0EiNS0_19identity_decomposerEEEEE10hipError_tT0_T1_T2_jT3_P12ihipStream_tbPNSt15iterator_traitsISG_E10value_typeEPNSM_ISH_E10value_typeEPSI_NS1_7vsmem_tEENKUlT_SG_SH_SI_E_clIPiSA_PsSB_EESF_SV_SG_SH_SI_EUlSV_E0_NS1_11comp_targetILNS1_3genE3ELNS1_11target_archE908ELNS1_3gpuE7ELNS1_3repE0EEENS1_38merge_mergepath_config_static_selectorELNS0_4arch9wavefront6targetE1EEEvSH_,@function
_ZN7rocprim17ROCPRIM_400000_NS6detail17trampoline_kernelINS0_14default_configENS1_38merge_sort_block_merge_config_selectorIisEEZZNS1_27merge_sort_block_merge_implIS3_N6thrust23THRUST_200600_302600_NS10device_ptrIiEENS9_IsEEjNS1_19radix_merge_compareILb0ELb0EiNS0_19identity_decomposerEEEEE10hipError_tT0_T1_T2_jT3_P12ihipStream_tbPNSt15iterator_traitsISG_E10value_typeEPNSM_ISH_E10value_typeEPSI_NS1_7vsmem_tEENKUlT_SG_SH_SI_E_clIPiSA_PsSB_EESF_SV_SG_SH_SI_EUlSV_E0_NS1_11comp_targetILNS1_3genE3ELNS1_11target_archE908ELNS1_3gpuE7ELNS1_3repE0EEENS1_38merge_mergepath_config_static_selectorELNS0_4arch9wavefront6targetE1EEEvSH_: ; @_ZN7rocprim17ROCPRIM_400000_NS6detail17trampoline_kernelINS0_14default_configENS1_38merge_sort_block_merge_config_selectorIisEEZZNS1_27merge_sort_block_merge_implIS3_N6thrust23THRUST_200600_302600_NS10device_ptrIiEENS9_IsEEjNS1_19radix_merge_compareILb0ELb0EiNS0_19identity_decomposerEEEEE10hipError_tT0_T1_T2_jT3_P12ihipStream_tbPNSt15iterator_traitsISG_E10value_typeEPNSM_ISH_E10value_typeEPSI_NS1_7vsmem_tEENKUlT_SG_SH_SI_E_clIPiSA_PsSB_EESF_SV_SG_SH_SI_EUlSV_E0_NS1_11comp_targetILNS1_3genE3ELNS1_11target_archE908ELNS1_3gpuE7ELNS1_3repE0EEENS1_38merge_mergepath_config_static_selectorELNS0_4arch9wavefront6targetE1EEEvSH_
; %bb.0:
	.section	.rodata,"a",@progbits
	.p2align	6, 0x0
	.amdhsa_kernel _ZN7rocprim17ROCPRIM_400000_NS6detail17trampoline_kernelINS0_14default_configENS1_38merge_sort_block_merge_config_selectorIisEEZZNS1_27merge_sort_block_merge_implIS3_N6thrust23THRUST_200600_302600_NS10device_ptrIiEENS9_IsEEjNS1_19radix_merge_compareILb0ELb0EiNS0_19identity_decomposerEEEEE10hipError_tT0_T1_T2_jT3_P12ihipStream_tbPNSt15iterator_traitsISG_E10value_typeEPNSM_ISH_E10value_typeEPSI_NS1_7vsmem_tEENKUlT_SG_SH_SI_E_clIPiSA_PsSB_EESF_SV_SG_SH_SI_EUlSV_E0_NS1_11comp_targetILNS1_3genE3ELNS1_11target_archE908ELNS1_3gpuE7ELNS1_3repE0EEENS1_38merge_mergepath_config_static_selectorELNS0_4arch9wavefront6targetE1EEEvSH_
		.amdhsa_group_segment_fixed_size 0
		.amdhsa_private_segment_fixed_size 0
		.amdhsa_kernarg_size 64
		.amdhsa_user_sgpr_count 2
		.amdhsa_user_sgpr_dispatch_ptr 0
		.amdhsa_user_sgpr_queue_ptr 0
		.amdhsa_user_sgpr_kernarg_segment_ptr 1
		.amdhsa_user_sgpr_dispatch_id 0
		.amdhsa_user_sgpr_kernarg_preload_length 0
		.amdhsa_user_sgpr_kernarg_preload_offset 0
		.amdhsa_user_sgpr_private_segment_size 0
		.amdhsa_uses_dynamic_stack 0
		.amdhsa_enable_private_segment 0
		.amdhsa_system_sgpr_workgroup_id_x 1
		.amdhsa_system_sgpr_workgroup_id_y 0
		.amdhsa_system_sgpr_workgroup_id_z 0
		.amdhsa_system_sgpr_workgroup_info 0
		.amdhsa_system_vgpr_workitem_id 0
		.amdhsa_next_free_vgpr 1
		.amdhsa_next_free_sgpr 0
		.amdhsa_accum_offset 4
		.amdhsa_reserve_vcc 0
		.amdhsa_float_round_mode_32 0
		.amdhsa_float_round_mode_16_64 0
		.amdhsa_float_denorm_mode_32 3
		.amdhsa_float_denorm_mode_16_64 3
		.amdhsa_dx10_clamp 1
		.amdhsa_ieee_mode 1
		.amdhsa_fp16_overflow 0
		.amdhsa_tg_split 0
		.amdhsa_exception_fp_ieee_invalid_op 0
		.amdhsa_exception_fp_denorm_src 0
		.amdhsa_exception_fp_ieee_div_zero 0
		.amdhsa_exception_fp_ieee_overflow 0
		.amdhsa_exception_fp_ieee_underflow 0
		.amdhsa_exception_fp_ieee_inexact 0
		.amdhsa_exception_int_div_zero 0
	.end_amdhsa_kernel
	.section	.text._ZN7rocprim17ROCPRIM_400000_NS6detail17trampoline_kernelINS0_14default_configENS1_38merge_sort_block_merge_config_selectorIisEEZZNS1_27merge_sort_block_merge_implIS3_N6thrust23THRUST_200600_302600_NS10device_ptrIiEENS9_IsEEjNS1_19radix_merge_compareILb0ELb0EiNS0_19identity_decomposerEEEEE10hipError_tT0_T1_T2_jT3_P12ihipStream_tbPNSt15iterator_traitsISG_E10value_typeEPNSM_ISH_E10value_typeEPSI_NS1_7vsmem_tEENKUlT_SG_SH_SI_E_clIPiSA_PsSB_EESF_SV_SG_SH_SI_EUlSV_E0_NS1_11comp_targetILNS1_3genE3ELNS1_11target_archE908ELNS1_3gpuE7ELNS1_3repE0EEENS1_38merge_mergepath_config_static_selectorELNS0_4arch9wavefront6targetE1EEEvSH_,"axG",@progbits,_ZN7rocprim17ROCPRIM_400000_NS6detail17trampoline_kernelINS0_14default_configENS1_38merge_sort_block_merge_config_selectorIisEEZZNS1_27merge_sort_block_merge_implIS3_N6thrust23THRUST_200600_302600_NS10device_ptrIiEENS9_IsEEjNS1_19radix_merge_compareILb0ELb0EiNS0_19identity_decomposerEEEEE10hipError_tT0_T1_T2_jT3_P12ihipStream_tbPNSt15iterator_traitsISG_E10value_typeEPNSM_ISH_E10value_typeEPSI_NS1_7vsmem_tEENKUlT_SG_SH_SI_E_clIPiSA_PsSB_EESF_SV_SG_SH_SI_EUlSV_E0_NS1_11comp_targetILNS1_3genE3ELNS1_11target_archE908ELNS1_3gpuE7ELNS1_3repE0EEENS1_38merge_mergepath_config_static_selectorELNS0_4arch9wavefront6targetE1EEEvSH_,comdat
.Lfunc_end2302:
	.size	_ZN7rocprim17ROCPRIM_400000_NS6detail17trampoline_kernelINS0_14default_configENS1_38merge_sort_block_merge_config_selectorIisEEZZNS1_27merge_sort_block_merge_implIS3_N6thrust23THRUST_200600_302600_NS10device_ptrIiEENS9_IsEEjNS1_19radix_merge_compareILb0ELb0EiNS0_19identity_decomposerEEEEE10hipError_tT0_T1_T2_jT3_P12ihipStream_tbPNSt15iterator_traitsISG_E10value_typeEPNSM_ISH_E10value_typeEPSI_NS1_7vsmem_tEENKUlT_SG_SH_SI_E_clIPiSA_PsSB_EESF_SV_SG_SH_SI_EUlSV_E0_NS1_11comp_targetILNS1_3genE3ELNS1_11target_archE908ELNS1_3gpuE7ELNS1_3repE0EEENS1_38merge_mergepath_config_static_selectorELNS0_4arch9wavefront6targetE1EEEvSH_, .Lfunc_end2302-_ZN7rocprim17ROCPRIM_400000_NS6detail17trampoline_kernelINS0_14default_configENS1_38merge_sort_block_merge_config_selectorIisEEZZNS1_27merge_sort_block_merge_implIS3_N6thrust23THRUST_200600_302600_NS10device_ptrIiEENS9_IsEEjNS1_19radix_merge_compareILb0ELb0EiNS0_19identity_decomposerEEEEE10hipError_tT0_T1_T2_jT3_P12ihipStream_tbPNSt15iterator_traitsISG_E10value_typeEPNSM_ISH_E10value_typeEPSI_NS1_7vsmem_tEENKUlT_SG_SH_SI_E_clIPiSA_PsSB_EESF_SV_SG_SH_SI_EUlSV_E0_NS1_11comp_targetILNS1_3genE3ELNS1_11target_archE908ELNS1_3gpuE7ELNS1_3repE0EEENS1_38merge_mergepath_config_static_selectorELNS0_4arch9wavefront6targetE1EEEvSH_
                                        ; -- End function
	.set _ZN7rocprim17ROCPRIM_400000_NS6detail17trampoline_kernelINS0_14default_configENS1_38merge_sort_block_merge_config_selectorIisEEZZNS1_27merge_sort_block_merge_implIS3_N6thrust23THRUST_200600_302600_NS10device_ptrIiEENS9_IsEEjNS1_19radix_merge_compareILb0ELb0EiNS0_19identity_decomposerEEEEE10hipError_tT0_T1_T2_jT3_P12ihipStream_tbPNSt15iterator_traitsISG_E10value_typeEPNSM_ISH_E10value_typeEPSI_NS1_7vsmem_tEENKUlT_SG_SH_SI_E_clIPiSA_PsSB_EESF_SV_SG_SH_SI_EUlSV_E0_NS1_11comp_targetILNS1_3genE3ELNS1_11target_archE908ELNS1_3gpuE7ELNS1_3repE0EEENS1_38merge_mergepath_config_static_selectorELNS0_4arch9wavefront6targetE1EEEvSH_.num_vgpr, 0
	.set _ZN7rocprim17ROCPRIM_400000_NS6detail17trampoline_kernelINS0_14default_configENS1_38merge_sort_block_merge_config_selectorIisEEZZNS1_27merge_sort_block_merge_implIS3_N6thrust23THRUST_200600_302600_NS10device_ptrIiEENS9_IsEEjNS1_19radix_merge_compareILb0ELb0EiNS0_19identity_decomposerEEEEE10hipError_tT0_T1_T2_jT3_P12ihipStream_tbPNSt15iterator_traitsISG_E10value_typeEPNSM_ISH_E10value_typeEPSI_NS1_7vsmem_tEENKUlT_SG_SH_SI_E_clIPiSA_PsSB_EESF_SV_SG_SH_SI_EUlSV_E0_NS1_11comp_targetILNS1_3genE3ELNS1_11target_archE908ELNS1_3gpuE7ELNS1_3repE0EEENS1_38merge_mergepath_config_static_selectorELNS0_4arch9wavefront6targetE1EEEvSH_.num_agpr, 0
	.set _ZN7rocprim17ROCPRIM_400000_NS6detail17trampoline_kernelINS0_14default_configENS1_38merge_sort_block_merge_config_selectorIisEEZZNS1_27merge_sort_block_merge_implIS3_N6thrust23THRUST_200600_302600_NS10device_ptrIiEENS9_IsEEjNS1_19radix_merge_compareILb0ELb0EiNS0_19identity_decomposerEEEEE10hipError_tT0_T1_T2_jT3_P12ihipStream_tbPNSt15iterator_traitsISG_E10value_typeEPNSM_ISH_E10value_typeEPSI_NS1_7vsmem_tEENKUlT_SG_SH_SI_E_clIPiSA_PsSB_EESF_SV_SG_SH_SI_EUlSV_E0_NS1_11comp_targetILNS1_3genE3ELNS1_11target_archE908ELNS1_3gpuE7ELNS1_3repE0EEENS1_38merge_mergepath_config_static_selectorELNS0_4arch9wavefront6targetE1EEEvSH_.numbered_sgpr, 0
	.set _ZN7rocprim17ROCPRIM_400000_NS6detail17trampoline_kernelINS0_14default_configENS1_38merge_sort_block_merge_config_selectorIisEEZZNS1_27merge_sort_block_merge_implIS3_N6thrust23THRUST_200600_302600_NS10device_ptrIiEENS9_IsEEjNS1_19radix_merge_compareILb0ELb0EiNS0_19identity_decomposerEEEEE10hipError_tT0_T1_T2_jT3_P12ihipStream_tbPNSt15iterator_traitsISG_E10value_typeEPNSM_ISH_E10value_typeEPSI_NS1_7vsmem_tEENKUlT_SG_SH_SI_E_clIPiSA_PsSB_EESF_SV_SG_SH_SI_EUlSV_E0_NS1_11comp_targetILNS1_3genE3ELNS1_11target_archE908ELNS1_3gpuE7ELNS1_3repE0EEENS1_38merge_mergepath_config_static_selectorELNS0_4arch9wavefront6targetE1EEEvSH_.num_named_barrier, 0
	.set _ZN7rocprim17ROCPRIM_400000_NS6detail17trampoline_kernelINS0_14default_configENS1_38merge_sort_block_merge_config_selectorIisEEZZNS1_27merge_sort_block_merge_implIS3_N6thrust23THRUST_200600_302600_NS10device_ptrIiEENS9_IsEEjNS1_19radix_merge_compareILb0ELb0EiNS0_19identity_decomposerEEEEE10hipError_tT0_T1_T2_jT3_P12ihipStream_tbPNSt15iterator_traitsISG_E10value_typeEPNSM_ISH_E10value_typeEPSI_NS1_7vsmem_tEENKUlT_SG_SH_SI_E_clIPiSA_PsSB_EESF_SV_SG_SH_SI_EUlSV_E0_NS1_11comp_targetILNS1_3genE3ELNS1_11target_archE908ELNS1_3gpuE7ELNS1_3repE0EEENS1_38merge_mergepath_config_static_selectorELNS0_4arch9wavefront6targetE1EEEvSH_.private_seg_size, 0
	.set _ZN7rocprim17ROCPRIM_400000_NS6detail17trampoline_kernelINS0_14default_configENS1_38merge_sort_block_merge_config_selectorIisEEZZNS1_27merge_sort_block_merge_implIS3_N6thrust23THRUST_200600_302600_NS10device_ptrIiEENS9_IsEEjNS1_19radix_merge_compareILb0ELb0EiNS0_19identity_decomposerEEEEE10hipError_tT0_T1_T2_jT3_P12ihipStream_tbPNSt15iterator_traitsISG_E10value_typeEPNSM_ISH_E10value_typeEPSI_NS1_7vsmem_tEENKUlT_SG_SH_SI_E_clIPiSA_PsSB_EESF_SV_SG_SH_SI_EUlSV_E0_NS1_11comp_targetILNS1_3genE3ELNS1_11target_archE908ELNS1_3gpuE7ELNS1_3repE0EEENS1_38merge_mergepath_config_static_selectorELNS0_4arch9wavefront6targetE1EEEvSH_.uses_vcc, 0
	.set _ZN7rocprim17ROCPRIM_400000_NS6detail17trampoline_kernelINS0_14default_configENS1_38merge_sort_block_merge_config_selectorIisEEZZNS1_27merge_sort_block_merge_implIS3_N6thrust23THRUST_200600_302600_NS10device_ptrIiEENS9_IsEEjNS1_19radix_merge_compareILb0ELb0EiNS0_19identity_decomposerEEEEE10hipError_tT0_T1_T2_jT3_P12ihipStream_tbPNSt15iterator_traitsISG_E10value_typeEPNSM_ISH_E10value_typeEPSI_NS1_7vsmem_tEENKUlT_SG_SH_SI_E_clIPiSA_PsSB_EESF_SV_SG_SH_SI_EUlSV_E0_NS1_11comp_targetILNS1_3genE3ELNS1_11target_archE908ELNS1_3gpuE7ELNS1_3repE0EEENS1_38merge_mergepath_config_static_selectorELNS0_4arch9wavefront6targetE1EEEvSH_.uses_flat_scratch, 0
	.set _ZN7rocprim17ROCPRIM_400000_NS6detail17trampoline_kernelINS0_14default_configENS1_38merge_sort_block_merge_config_selectorIisEEZZNS1_27merge_sort_block_merge_implIS3_N6thrust23THRUST_200600_302600_NS10device_ptrIiEENS9_IsEEjNS1_19radix_merge_compareILb0ELb0EiNS0_19identity_decomposerEEEEE10hipError_tT0_T1_T2_jT3_P12ihipStream_tbPNSt15iterator_traitsISG_E10value_typeEPNSM_ISH_E10value_typeEPSI_NS1_7vsmem_tEENKUlT_SG_SH_SI_E_clIPiSA_PsSB_EESF_SV_SG_SH_SI_EUlSV_E0_NS1_11comp_targetILNS1_3genE3ELNS1_11target_archE908ELNS1_3gpuE7ELNS1_3repE0EEENS1_38merge_mergepath_config_static_selectorELNS0_4arch9wavefront6targetE1EEEvSH_.has_dyn_sized_stack, 0
	.set _ZN7rocprim17ROCPRIM_400000_NS6detail17trampoline_kernelINS0_14default_configENS1_38merge_sort_block_merge_config_selectorIisEEZZNS1_27merge_sort_block_merge_implIS3_N6thrust23THRUST_200600_302600_NS10device_ptrIiEENS9_IsEEjNS1_19radix_merge_compareILb0ELb0EiNS0_19identity_decomposerEEEEE10hipError_tT0_T1_T2_jT3_P12ihipStream_tbPNSt15iterator_traitsISG_E10value_typeEPNSM_ISH_E10value_typeEPSI_NS1_7vsmem_tEENKUlT_SG_SH_SI_E_clIPiSA_PsSB_EESF_SV_SG_SH_SI_EUlSV_E0_NS1_11comp_targetILNS1_3genE3ELNS1_11target_archE908ELNS1_3gpuE7ELNS1_3repE0EEENS1_38merge_mergepath_config_static_selectorELNS0_4arch9wavefront6targetE1EEEvSH_.has_recursion, 0
	.set _ZN7rocprim17ROCPRIM_400000_NS6detail17trampoline_kernelINS0_14default_configENS1_38merge_sort_block_merge_config_selectorIisEEZZNS1_27merge_sort_block_merge_implIS3_N6thrust23THRUST_200600_302600_NS10device_ptrIiEENS9_IsEEjNS1_19radix_merge_compareILb0ELb0EiNS0_19identity_decomposerEEEEE10hipError_tT0_T1_T2_jT3_P12ihipStream_tbPNSt15iterator_traitsISG_E10value_typeEPNSM_ISH_E10value_typeEPSI_NS1_7vsmem_tEENKUlT_SG_SH_SI_E_clIPiSA_PsSB_EESF_SV_SG_SH_SI_EUlSV_E0_NS1_11comp_targetILNS1_3genE3ELNS1_11target_archE908ELNS1_3gpuE7ELNS1_3repE0EEENS1_38merge_mergepath_config_static_selectorELNS0_4arch9wavefront6targetE1EEEvSH_.has_indirect_call, 0
	.section	.AMDGPU.csdata,"",@progbits
; Kernel info:
; codeLenInByte = 0
; TotalNumSgprs: 6
; NumVgprs: 0
; NumAgprs: 0
; TotalNumVgprs: 0
; ScratchSize: 0
; MemoryBound: 0
; FloatMode: 240
; IeeeMode: 1
; LDSByteSize: 0 bytes/workgroup (compile time only)
; SGPRBlocks: 0
; VGPRBlocks: 0
; NumSGPRsForWavesPerEU: 6
; NumVGPRsForWavesPerEU: 1
; AccumOffset: 4
; Occupancy: 8
; WaveLimiterHint : 0
; COMPUTE_PGM_RSRC2:SCRATCH_EN: 0
; COMPUTE_PGM_RSRC2:USER_SGPR: 2
; COMPUTE_PGM_RSRC2:TRAP_HANDLER: 0
; COMPUTE_PGM_RSRC2:TGID_X_EN: 1
; COMPUTE_PGM_RSRC2:TGID_Y_EN: 0
; COMPUTE_PGM_RSRC2:TGID_Z_EN: 0
; COMPUTE_PGM_RSRC2:TIDIG_COMP_CNT: 0
; COMPUTE_PGM_RSRC3_GFX90A:ACCUM_OFFSET: 0
; COMPUTE_PGM_RSRC3_GFX90A:TG_SPLIT: 0
	.section	.text._ZN7rocprim17ROCPRIM_400000_NS6detail17trampoline_kernelINS0_14default_configENS1_38merge_sort_block_merge_config_selectorIisEEZZNS1_27merge_sort_block_merge_implIS3_N6thrust23THRUST_200600_302600_NS10device_ptrIiEENS9_IsEEjNS1_19radix_merge_compareILb0ELb0EiNS0_19identity_decomposerEEEEE10hipError_tT0_T1_T2_jT3_P12ihipStream_tbPNSt15iterator_traitsISG_E10value_typeEPNSM_ISH_E10value_typeEPSI_NS1_7vsmem_tEENKUlT_SG_SH_SI_E_clIPiSA_PsSB_EESF_SV_SG_SH_SI_EUlSV_E0_NS1_11comp_targetILNS1_3genE2ELNS1_11target_archE906ELNS1_3gpuE6ELNS1_3repE0EEENS1_38merge_mergepath_config_static_selectorELNS0_4arch9wavefront6targetE1EEEvSH_,"axG",@progbits,_ZN7rocprim17ROCPRIM_400000_NS6detail17trampoline_kernelINS0_14default_configENS1_38merge_sort_block_merge_config_selectorIisEEZZNS1_27merge_sort_block_merge_implIS3_N6thrust23THRUST_200600_302600_NS10device_ptrIiEENS9_IsEEjNS1_19radix_merge_compareILb0ELb0EiNS0_19identity_decomposerEEEEE10hipError_tT0_T1_T2_jT3_P12ihipStream_tbPNSt15iterator_traitsISG_E10value_typeEPNSM_ISH_E10value_typeEPSI_NS1_7vsmem_tEENKUlT_SG_SH_SI_E_clIPiSA_PsSB_EESF_SV_SG_SH_SI_EUlSV_E0_NS1_11comp_targetILNS1_3genE2ELNS1_11target_archE906ELNS1_3gpuE6ELNS1_3repE0EEENS1_38merge_mergepath_config_static_selectorELNS0_4arch9wavefront6targetE1EEEvSH_,comdat
	.protected	_ZN7rocprim17ROCPRIM_400000_NS6detail17trampoline_kernelINS0_14default_configENS1_38merge_sort_block_merge_config_selectorIisEEZZNS1_27merge_sort_block_merge_implIS3_N6thrust23THRUST_200600_302600_NS10device_ptrIiEENS9_IsEEjNS1_19radix_merge_compareILb0ELb0EiNS0_19identity_decomposerEEEEE10hipError_tT0_T1_T2_jT3_P12ihipStream_tbPNSt15iterator_traitsISG_E10value_typeEPNSM_ISH_E10value_typeEPSI_NS1_7vsmem_tEENKUlT_SG_SH_SI_E_clIPiSA_PsSB_EESF_SV_SG_SH_SI_EUlSV_E0_NS1_11comp_targetILNS1_3genE2ELNS1_11target_archE906ELNS1_3gpuE6ELNS1_3repE0EEENS1_38merge_mergepath_config_static_selectorELNS0_4arch9wavefront6targetE1EEEvSH_ ; -- Begin function _ZN7rocprim17ROCPRIM_400000_NS6detail17trampoline_kernelINS0_14default_configENS1_38merge_sort_block_merge_config_selectorIisEEZZNS1_27merge_sort_block_merge_implIS3_N6thrust23THRUST_200600_302600_NS10device_ptrIiEENS9_IsEEjNS1_19radix_merge_compareILb0ELb0EiNS0_19identity_decomposerEEEEE10hipError_tT0_T1_T2_jT3_P12ihipStream_tbPNSt15iterator_traitsISG_E10value_typeEPNSM_ISH_E10value_typeEPSI_NS1_7vsmem_tEENKUlT_SG_SH_SI_E_clIPiSA_PsSB_EESF_SV_SG_SH_SI_EUlSV_E0_NS1_11comp_targetILNS1_3genE2ELNS1_11target_archE906ELNS1_3gpuE6ELNS1_3repE0EEENS1_38merge_mergepath_config_static_selectorELNS0_4arch9wavefront6targetE1EEEvSH_
	.globl	_ZN7rocprim17ROCPRIM_400000_NS6detail17trampoline_kernelINS0_14default_configENS1_38merge_sort_block_merge_config_selectorIisEEZZNS1_27merge_sort_block_merge_implIS3_N6thrust23THRUST_200600_302600_NS10device_ptrIiEENS9_IsEEjNS1_19radix_merge_compareILb0ELb0EiNS0_19identity_decomposerEEEEE10hipError_tT0_T1_T2_jT3_P12ihipStream_tbPNSt15iterator_traitsISG_E10value_typeEPNSM_ISH_E10value_typeEPSI_NS1_7vsmem_tEENKUlT_SG_SH_SI_E_clIPiSA_PsSB_EESF_SV_SG_SH_SI_EUlSV_E0_NS1_11comp_targetILNS1_3genE2ELNS1_11target_archE906ELNS1_3gpuE6ELNS1_3repE0EEENS1_38merge_mergepath_config_static_selectorELNS0_4arch9wavefront6targetE1EEEvSH_
	.p2align	8
	.type	_ZN7rocprim17ROCPRIM_400000_NS6detail17trampoline_kernelINS0_14default_configENS1_38merge_sort_block_merge_config_selectorIisEEZZNS1_27merge_sort_block_merge_implIS3_N6thrust23THRUST_200600_302600_NS10device_ptrIiEENS9_IsEEjNS1_19radix_merge_compareILb0ELb0EiNS0_19identity_decomposerEEEEE10hipError_tT0_T1_T2_jT3_P12ihipStream_tbPNSt15iterator_traitsISG_E10value_typeEPNSM_ISH_E10value_typeEPSI_NS1_7vsmem_tEENKUlT_SG_SH_SI_E_clIPiSA_PsSB_EESF_SV_SG_SH_SI_EUlSV_E0_NS1_11comp_targetILNS1_3genE2ELNS1_11target_archE906ELNS1_3gpuE6ELNS1_3repE0EEENS1_38merge_mergepath_config_static_selectorELNS0_4arch9wavefront6targetE1EEEvSH_,@function
_ZN7rocprim17ROCPRIM_400000_NS6detail17trampoline_kernelINS0_14default_configENS1_38merge_sort_block_merge_config_selectorIisEEZZNS1_27merge_sort_block_merge_implIS3_N6thrust23THRUST_200600_302600_NS10device_ptrIiEENS9_IsEEjNS1_19radix_merge_compareILb0ELb0EiNS0_19identity_decomposerEEEEE10hipError_tT0_T1_T2_jT3_P12ihipStream_tbPNSt15iterator_traitsISG_E10value_typeEPNSM_ISH_E10value_typeEPSI_NS1_7vsmem_tEENKUlT_SG_SH_SI_E_clIPiSA_PsSB_EESF_SV_SG_SH_SI_EUlSV_E0_NS1_11comp_targetILNS1_3genE2ELNS1_11target_archE906ELNS1_3gpuE6ELNS1_3repE0EEENS1_38merge_mergepath_config_static_selectorELNS0_4arch9wavefront6targetE1EEEvSH_: ; @_ZN7rocprim17ROCPRIM_400000_NS6detail17trampoline_kernelINS0_14default_configENS1_38merge_sort_block_merge_config_selectorIisEEZZNS1_27merge_sort_block_merge_implIS3_N6thrust23THRUST_200600_302600_NS10device_ptrIiEENS9_IsEEjNS1_19radix_merge_compareILb0ELb0EiNS0_19identity_decomposerEEEEE10hipError_tT0_T1_T2_jT3_P12ihipStream_tbPNSt15iterator_traitsISG_E10value_typeEPNSM_ISH_E10value_typeEPSI_NS1_7vsmem_tEENKUlT_SG_SH_SI_E_clIPiSA_PsSB_EESF_SV_SG_SH_SI_EUlSV_E0_NS1_11comp_targetILNS1_3genE2ELNS1_11target_archE906ELNS1_3gpuE6ELNS1_3repE0EEENS1_38merge_mergepath_config_static_selectorELNS0_4arch9wavefront6targetE1EEEvSH_
; %bb.0:
	.section	.rodata,"a",@progbits
	.p2align	6, 0x0
	.amdhsa_kernel _ZN7rocprim17ROCPRIM_400000_NS6detail17trampoline_kernelINS0_14default_configENS1_38merge_sort_block_merge_config_selectorIisEEZZNS1_27merge_sort_block_merge_implIS3_N6thrust23THRUST_200600_302600_NS10device_ptrIiEENS9_IsEEjNS1_19radix_merge_compareILb0ELb0EiNS0_19identity_decomposerEEEEE10hipError_tT0_T1_T2_jT3_P12ihipStream_tbPNSt15iterator_traitsISG_E10value_typeEPNSM_ISH_E10value_typeEPSI_NS1_7vsmem_tEENKUlT_SG_SH_SI_E_clIPiSA_PsSB_EESF_SV_SG_SH_SI_EUlSV_E0_NS1_11comp_targetILNS1_3genE2ELNS1_11target_archE906ELNS1_3gpuE6ELNS1_3repE0EEENS1_38merge_mergepath_config_static_selectorELNS0_4arch9wavefront6targetE1EEEvSH_
		.amdhsa_group_segment_fixed_size 0
		.amdhsa_private_segment_fixed_size 0
		.amdhsa_kernarg_size 64
		.amdhsa_user_sgpr_count 2
		.amdhsa_user_sgpr_dispatch_ptr 0
		.amdhsa_user_sgpr_queue_ptr 0
		.amdhsa_user_sgpr_kernarg_segment_ptr 1
		.amdhsa_user_sgpr_dispatch_id 0
		.amdhsa_user_sgpr_kernarg_preload_length 0
		.amdhsa_user_sgpr_kernarg_preload_offset 0
		.amdhsa_user_sgpr_private_segment_size 0
		.amdhsa_uses_dynamic_stack 0
		.amdhsa_enable_private_segment 0
		.amdhsa_system_sgpr_workgroup_id_x 1
		.amdhsa_system_sgpr_workgroup_id_y 0
		.amdhsa_system_sgpr_workgroup_id_z 0
		.amdhsa_system_sgpr_workgroup_info 0
		.amdhsa_system_vgpr_workitem_id 0
		.amdhsa_next_free_vgpr 1
		.amdhsa_next_free_sgpr 0
		.amdhsa_accum_offset 4
		.amdhsa_reserve_vcc 0
		.amdhsa_float_round_mode_32 0
		.amdhsa_float_round_mode_16_64 0
		.amdhsa_float_denorm_mode_32 3
		.amdhsa_float_denorm_mode_16_64 3
		.amdhsa_dx10_clamp 1
		.amdhsa_ieee_mode 1
		.amdhsa_fp16_overflow 0
		.amdhsa_tg_split 0
		.amdhsa_exception_fp_ieee_invalid_op 0
		.amdhsa_exception_fp_denorm_src 0
		.amdhsa_exception_fp_ieee_div_zero 0
		.amdhsa_exception_fp_ieee_overflow 0
		.amdhsa_exception_fp_ieee_underflow 0
		.amdhsa_exception_fp_ieee_inexact 0
		.amdhsa_exception_int_div_zero 0
	.end_amdhsa_kernel
	.section	.text._ZN7rocprim17ROCPRIM_400000_NS6detail17trampoline_kernelINS0_14default_configENS1_38merge_sort_block_merge_config_selectorIisEEZZNS1_27merge_sort_block_merge_implIS3_N6thrust23THRUST_200600_302600_NS10device_ptrIiEENS9_IsEEjNS1_19radix_merge_compareILb0ELb0EiNS0_19identity_decomposerEEEEE10hipError_tT0_T1_T2_jT3_P12ihipStream_tbPNSt15iterator_traitsISG_E10value_typeEPNSM_ISH_E10value_typeEPSI_NS1_7vsmem_tEENKUlT_SG_SH_SI_E_clIPiSA_PsSB_EESF_SV_SG_SH_SI_EUlSV_E0_NS1_11comp_targetILNS1_3genE2ELNS1_11target_archE906ELNS1_3gpuE6ELNS1_3repE0EEENS1_38merge_mergepath_config_static_selectorELNS0_4arch9wavefront6targetE1EEEvSH_,"axG",@progbits,_ZN7rocprim17ROCPRIM_400000_NS6detail17trampoline_kernelINS0_14default_configENS1_38merge_sort_block_merge_config_selectorIisEEZZNS1_27merge_sort_block_merge_implIS3_N6thrust23THRUST_200600_302600_NS10device_ptrIiEENS9_IsEEjNS1_19radix_merge_compareILb0ELb0EiNS0_19identity_decomposerEEEEE10hipError_tT0_T1_T2_jT3_P12ihipStream_tbPNSt15iterator_traitsISG_E10value_typeEPNSM_ISH_E10value_typeEPSI_NS1_7vsmem_tEENKUlT_SG_SH_SI_E_clIPiSA_PsSB_EESF_SV_SG_SH_SI_EUlSV_E0_NS1_11comp_targetILNS1_3genE2ELNS1_11target_archE906ELNS1_3gpuE6ELNS1_3repE0EEENS1_38merge_mergepath_config_static_selectorELNS0_4arch9wavefront6targetE1EEEvSH_,comdat
.Lfunc_end2303:
	.size	_ZN7rocprim17ROCPRIM_400000_NS6detail17trampoline_kernelINS0_14default_configENS1_38merge_sort_block_merge_config_selectorIisEEZZNS1_27merge_sort_block_merge_implIS3_N6thrust23THRUST_200600_302600_NS10device_ptrIiEENS9_IsEEjNS1_19radix_merge_compareILb0ELb0EiNS0_19identity_decomposerEEEEE10hipError_tT0_T1_T2_jT3_P12ihipStream_tbPNSt15iterator_traitsISG_E10value_typeEPNSM_ISH_E10value_typeEPSI_NS1_7vsmem_tEENKUlT_SG_SH_SI_E_clIPiSA_PsSB_EESF_SV_SG_SH_SI_EUlSV_E0_NS1_11comp_targetILNS1_3genE2ELNS1_11target_archE906ELNS1_3gpuE6ELNS1_3repE0EEENS1_38merge_mergepath_config_static_selectorELNS0_4arch9wavefront6targetE1EEEvSH_, .Lfunc_end2303-_ZN7rocprim17ROCPRIM_400000_NS6detail17trampoline_kernelINS0_14default_configENS1_38merge_sort_block_merge_config_selectorIisEEZZNS1_27merge_sort_block_merge_implIS3_N6thrust23THRUST_200600_302600_NS10device_ptrIiEENS9_IsEEjNS1_19radix_merge_compareILb0ELb0EiNS0_19identity_decomposerEEEEE10hipError_tT0_T1_T2_jT3_P12ihipStream_tbPNSt15iterator_traitsISG_E10value_typeEPNSM_ISH_E10value_typeEPSI_NS1_7vsmem_tEENKUlT_SG_SH_SI_E_clIPiSA_PsSB_EESF_SV_SG_SH_SI_EUlSV_E0_NS1_11comp_targetILNS1_3genE2ELNS1_11target_archE906ELNS1_3gpuE6ELNS1_3repE0EEENS1_38merge_mergepath_config_static_selectorELNS0_4arch9wavefront6targetE1EEEvSH_
                                        ; -- End function
	.set _ZN7rocprim17ROCPRIM_400000_NS6detail17trampoline_kernelINS0_14default_configENS1_38merge_sort_block_merge_config_selectorIisEEZZNS1_27merge_sort_block_merge_implIS3_N6thrust23THRUST_200600_302600_NS10device_ptrIiEENS9_IsEEjNS1_19radix_merge_compareILb0ELb0EiNS0_19identity_decomposerEEEEE10hipError_tT0_T1_T2_jT3_P12ihipStream_tbPNSt15iterator_traitsISG_E10value_typeEPNSM_ISH_E10value_typeEPSI_NS1_7vsmem_tEENKUlT_SG_SH_SI_E_clIPiSA_PsSB_EESF_SV_SG_SH_SI_EUlSV_E0_NS1_11comp_targetILNS1_3genE2ELNS1_11target_archE906ELNS1_3gpuE6ELNS1_3repE0EEENS1_38merge_mergepath_config_static_selectorELNS0_4arch9wavefront6targetE1EEEvSH_.num_vgpr, 0
	.set _ZN7rocprim17ROCPRIM_400000_NS6detail17trampoline_kernelINS0_14default_configENS1_38merge_sort_block_merge_config_selectorIisEEZZNS1_27merge_sort_block_merge_implIS3_N6thrust23THRUST_200600_302600_NS10device_ptrIiEENS9_IsEEjNS1_19radix_merge_compareILb0ELb0EiNS0_19identity_decomposerEEEEE10hipError_tT0_T1_T2_jT3_P12ihipStream_tbPNSt15iterator_traitsISG_E10value_typeEPNSM_ISH_E10value_typeEPSI_NS1_7vsmem_tEENKUlT_SG_SH_SI_E_clIPiSA_PsSB_EESF_SV_SG_SH_SI_EUlSV_E0_NS1_11comp_targetILNS1_3genE2ELNS1_11target_archE906ELNS1_3gpuE6ELNS1_3repE0EEENS1_38merge_mergepath_config_static_selectorELNS0_4arch9wavefront6targetE1EEEvSH_.num_agpr, 0
	.set _ZN7rocprim17ROCPRIM_400000_NS6detail17trampoline_kernelINS0_14default_configENS1_38merge_sort_block_merge_config_selectorIisEEZZNS1_27merge_sort_block_merge_implIS3_N6thrust23THRUST_200600_302600_NS10device_ptrIiEENS9_IsEEjNS1_19radix_merge_compareILb0ELb0EiNS0_19identity_decomposerEEEEE10hipError_tT0_T1_T2_jT3_P12ihipStream_tbPNSt15iterator_traitsISG_E10value_typeEPNSM_ISH_E10value_typeEPSI_NS1_7vsmem_tEENKUlT_SG_SH_SI_E_clIPiSA_PsSB_EESF_SV_SG_SH_SI_EUlSV_E0_NS1_11comp_targetILNS1_3genE2ELNS1_11target_archE906ELNS1_3gpuE6ELNS1_3repE0EEENS1_38merge_mergepath_config_static_selectorELNS0_4arch9wavefront6targetE1EEEvSH_.numbered_sgpr, 0
	.set _ZN7rocprim17ROCPRIM_400000_NS6detail17trampoline_kernelINS0_14default_configENS1_38merge_sort_block_merge_config_selectorIisEEZZNS1_27merge_sort_block_merge_implIS3_N6thrust23THRUST_200600_302600_NS10device_ptrIiEENS9_IsEEjNS1_19radix_merge_compareILb0ELb0EiNS0_19identity_decomposerEEEEE10hipError_tT0_T1_T2_jT3_P12ihipStream_tbPNSt15iterator_traitsISG_E10value_typeEPNSM_ISH_E10value_typeEPSI_NS1_7vsmem_tEENKUlT_SG_SH_SI_E_clIPiSA_PsSB_EESF_SV_SG_SH_SI_EUlSV_E0_NS1_11comp_targetILNS1_3genE2ELNS1_11target_archE906ELNS1_3gpuE6ELNS1_3repE0EEENS1_38merge_mergepath_config_static_selectorELNS0_4arch9wavefront6targetE1EEEvSH_.num_named_barrier, 0
	.set _ZN7rocprim17ROCPRIM_400000_NS6detail17trampoline_kernelINS0_14default_configENS1_38merge_sort_block_merge_config_selectorIisEEZZNS1_27merge_sort_block_merge_implIS3_N6thrust23THRUST_200600_302600_NS10device_ptrIiEENS9_IsEEjNS1_19radix_merge_compareILb0ELb0EiNS0_19identity_decomposerEEEEE10hipError_tT0_T1_T2_jT3_P12ihipStream_tbPNSt15iterator_traitsISG_E10value_typeEPNSM_ISH_E10value_typeEPSI_NS1_7vsmem_tEENKUlT_SG_SH_SI_E_clIPiSA_PsSB_EESF_SV_SG_SH_SI_EUlSV_E0_NS1_11comp_targetILNS1_3genE2ELNS1_11target_archE906ELNS1_3gpuE6ELNS1_3repE0EEENS1_38merge_mergepath_config_static_selectorELNS0_4arch9wavefront6targetE1EEEvSH_.private_seg_size, 0
	.set _ZN7rocprim17ROCPRIM_400000_NS6detail17trampoline_kernelINS0_14default_configENS1_38merge_sort_block_merge_config_selectorIisEEZZNS1_27merge_sort_block_merge_implIS3_N6thrust23THRUST_200600_302600_NS10device_ptrIiEENS9_IsEEjNS1_19radix_merge_compareILb0ELb0EiNS0_19identity_decomposerEEEEE10hipError_tT0_T1_T2_jT3_P12ihipStream_tbPNSt15iterator_traitsISG_E10value_typeEPNSM_ISH_E10value_typeEPSI_NS1_7vsmem_tEENKUlT_SG_SH_SI_E_clIPiSA_PsSB_EESF_SV_SG_SH_SI_EUlSV_E0_NS1_11comp_targetILNS1_3genE2ELNS1_11target_archE906ELNS1_3gpuE6ELNS1_3repE0EEENS1_38merge_mergepath_config_static_selectorELNS0_4arch9wavefront6targetE1EEEvSH_.uses_vcc, 0
	.set _ZN7rocprim17ROCPRIM_400000_NS6detail17trampoline_kernelINS0_14default_configENS1_38merge_sort_block_merge_config_selectorIisEEZZNS1_27merge_sort_block_merge_implIS3_N6thrust23THRUST_200600_302600_NS10device_ptrIiEENS9_IsEEjNS1_19radix_merge_compareILb0ELb0EiNS0_19identity_decomposerEEEEE10hipError_tT0_T1_T2_jT3_P12ihipStream_tbPNSt15iterator_traitsISG_E10value_typeEPNSM_ISH_E10value_typeEPSI_NS1_7vsmem_tEENKUlT_SG_SH_SI_E_clIPiSA_PsSB_EESF_SV_SG_SH_SI_EUlSV_E0_NS1_11comp_targetILNS1_3genE2ELNS1_11target_archE906ELNS1_3gpuE6ELNS1_3repE0EEENS1_38merge_mergepath_config_static_selectorELNS0_4arch9wavefront6targetE1EEEvSH_.uses_flat_scratch, 0
	.set _ZN7rocprim17ROCPRIM_400000_NS6detail17trampoline_kernelINS0_14default_configENS1_38merge_sort_block_merge_config_selectorIisEEZZNS1_27merge_sort_block_merge_implIS3_N6thrust23THRUST_200600_302600_NS10device_ptrIiEENS9_IsEEjNS1_19radix_merge_compareILb0ELb0EiNS0_19identity_decomposerEEEEE10hipError_tT0_T1_T2_jT3_P12ihipStream_tbPNSt15iterator_traitsISG_E10value_typeEPNSM_ISH_E10value_typeEPSI_NS1_7vsmem_tEENKUlT_SG_SH_SI_E_clIPiSA_PsSB_EESF_SV_SG_SH_SI_EUlSV_E0_NS1_11comp_targetILNS1_3genE2ELNS1_11target_archE906ELNS1_3gpuE6ELNS1_3repE0EEENS1_38merge_mergepath_config_static_selectorELNS0_4arch9wavefront6targetE1EEEvSH_.has_dyn_sized_stack, 0
	.set _ZN7rocprim17ROCPRIM_400000_NS6detail17trampoline_kernelINS0_14default_configENS1_38merge_sort_block_merge_config_selectorIisEEZZNS1_27merge_sort_block_merge_implIS3_N6thrust23THRUST_200600_302600_NS10device_ptrIiEENS9_IsEEjNS1_19radix_merge_compareILb0ELb0EiNS0_19identity_decomposerEEEEE10hipError_tT0_T1_T2_jT3_P12ihipStream_tbPNSt15iterator_traitsISG_E10value_typeEPNSM_ISH_E10value_typeEPSI_NS1_7vsmem_tEENKUlT_SG_SH_SI_E_clIPiSA_PsSB_EESF_SV_SG_SH_SI_EUlSV_E0_NS1_11comp_targetILNS1_3genE2ELNS1_11target_archE906ELNS1_3gpuE6ELNS1_3repE0EEENS1_38merge_mergepath_config_static_selectorELNS0_4arch9wavefront6targetE1EEEvSH_.has_recursion, 0
	.set _ZN7rocprim17ROCPRIM_400000_NS6detail17trampoline_kernelINS0_14default_configENS1_38merge_sort_block_merge_config_selectorIisEEZZNS1_27merge_sort_block_merge_implIS3_N6thrust23THRUST_200600_302600_NS10device_ptrIiEENS9_IsEEjNS1_19radix_merge_compareILb0ELb0EiNS0_19identity_decomposerEEEEE10hipError_tT0_T1_T2_jT3_P12ihipStream_tbPNSt15iterator_traitsISG_E10value_typeEPNSM_ISH_E10value_typeEPSI_NS1_7vsmem_tEENKUlT_SG_SH_SI_E_clIPiSA_PsSB_EESF_SV_SG_SH_SI_EUlSV_E0_NS1_11comp_targetILNS1_3genE2ELNS1_11target_archE906ELNS1_3gpuE6ELNS1_3repE0EEENS1_38merge_mergepath_config_static_selectorELNS0_4arch9wavefront6targetE1EEEvSH_.has_indirect_call, 0
	.section	.AMDGPU.csdata,"",@progbits
; Kernel info:
; codeLenInByte = 0
; TotalNumSgprs: 6
; NumVgprs: 0
; NumAgprs: 0
; TotalNumVgprs: 0
; ScratchSize: 0
; MemoryBound: 0
; FloatMode: 240
; IeeeMode: 1
; LDSByteSize: 0 bytes/workgroup (compile time only)
; SGPRBlocks: 0
; VGPRBlocks: 0
; NumSGPRsForWavesPerEU: 6
; NumVGPRsForWavesPerEU: 1
; AccumOffset: 4
; Occupancy: 8
; WaveLimiterHint : 0
; COMPUTE_PGM_RSRC2:SCRATCH_EN: 0
; COMPUTE_PGM_RSRC2:USER_SGPR: 2
; COMPUTE_PGM_RSRC2:TRAP_HANDLER: 0
; COMPUTE_PGM_RSRC2:TGID_X_EN: 1
; COMPUTE_PGM_RSRC2:TGID_Y_EN: 0
; COMPUTE_PGM_RSRC2:TGID_Z_EN: 0
; COMPUTE_PGM_RSRC2:TIDIG_COMP_CNT: 0
; COMPUTE_PGM_RSRC3_GFX90A:ACCUM_OFFSET: 0
; COMPUTE_PGM_RSRC3_GFX90A:TG_SPLIT: 0
	.section	.text._ZN7rocprim17ROCPRIM_400000_NS6detail17trampoline_kernelINS0_14default_configENS1_38merge_sort_block_merge_config_selectorIisEEZZNS1_27merge_sort_block_merge_implIS3_N6thrust23THRUST_200600_302600_NS10device_ptrIiEENS9_IsEEjNS1_19radix_merge_compareILb0ELb0EiNS0_19identity_decomposerEEEEE10hipError_tT0_T1_T2_jT3_P12ihipStream_tbPNSt15iterator_traitsISG_E10value_typeEPNSM_ISH_E10value_typeEPSI_NS1_7vsmem_tEENKUlT_SG_SH_SI_E_clIPiSA_PsSB_EESF_SV_SG_SH_SI_EUlSV_E0_NS1_11comp_targetILNS1_3genE9ELNS1_11target_archE1100ELNS1_3gpuE3ELNS1_3repE0EEENS1_38merge_mergepath_config_static_selectorELNS0_4arch9wavefront6targetE1EEEvSH_,"axG",@progbits,_ZN7rocprim17ROCPRIM_400000_NS6detail17trampoline_kernelINS0_14default_configENS1_38merge_sort_block_merge_config_selectorIisEEZZNS1_27merge_sort_block_merge_implIS3_N6thrust23THRUST_200600_302600_NS10device_ptrIiEENS9_IsEEjNS1_19radix_merge_compareILb0ELb0EiNS0_19identity_decomposerEEEEE10hipError_tT0_T1_T2_jT3_P12ihipStream_tbPNSt15iterator_traitsISG_E10value_typeEPNSM_ISH_E10value_typeEPSI_NS1_7vsmem_tEENKUlT_SG_SH_SI_E_clIPiSA_PsSB_EESF_SV_SG_SH_SI_EUlSV_E0_NS1_11comp_targetILNS1_3genE9ELNS1_11target_archE1100ELNS1_3gpuE3ELNS1_3repE0EEENS1_38merge_mergepath_config_static_selectorELNS0_4arch9wavefront6targetE1EEEvSH_,comdat
	.protected	_ZN7rocprim17ROCPRIM_400000_NS6detail17trampoline_kernelINS0_14default_configENS1_38merge_sort_block_merge_config_selectorIisEEZZNS1_27merge_sort_block_merge_implIS3_N6thrust23THRUST_200600_302600_NS10device_ptrIiEENS9_IsEEjNS1_19radix_merge_compareILb0ELb0EiNS0_19identity_decomposerEEEEE10hipError_tT0_T1_T2_jT3_P12ihipStream_tbPNSt15iterator_traitsISG_E10value_typeEPNSM_ISH_E10value_typeEPSI_NS1_7vsmem_tEENKUlT_SG_SH_SI_E_clIPiSA_PsSB_EESF_SV_SG_SH_SI_EUlSV_E0_NS1_11comp_targetILNS1_3genE9ELNS1_11target_archE1100ELNS1_3gpuE3ELNS1_3repE0EEENS1_38merge_mergepath_config_static_selectorELNS0_4arch9wavefront6targetE1EEEvSH_ ; -- Begin function _ZN7rocprim17ROCPRIM_400000_NS6detail17trampoline_kernelINS0_14default_configENS1_38merge_sort_block_merge_config_selectorIisEEZZNS1_27merge_sort_block_merge_implIS3_N6thrust23THRUST_200600_302600_NS10device_ptrIiEENS9_IsEEjNS1_19radix_merge_compareILb0ELb0EiNS0_19identity_decomposerEEEEE10hipError_tT0_T1_T2_jT3_P12ihipStream_tbPNSt15iterator_traitsISG_E10value_typeEPNSM_ISH_E10value_typeEPSI_NS1_7vsmem_tEENKUlT_SG_SH_SI_E_clIPiSA_PsSB_EESF_SV_SG_SH_SI_EUlSV_E0_NS1_11comp_targetILNS1_3genE9ELNS1_11target_archE1100ELNS1_3gpuE3ELNS1_3repE0EEENS1_38merge_mergepath_config_static_selectorELNS0_4arch9wavefront6targetE1EEEvSH_
	.globl	_ZN7rocprim17ROCPRIM_400000_NS6detail17trampoline_kernelINS0_14default_configENS1_38merge_sort_block_merge_config_selectorIisEEZZNS1_27merge_sort_block_merge_implIS3_N6thrust23THRUST_200600_302600_NS10device_ptrIiEENS9_IsEEjNS1_19radix_merge_compareILb0ELb0EiNS0_19identity_decomposerEEEEE10hipError_tT0_T1_T2_jT3_P12ihipStream_tbPNSt15iterator_traitsISG_E10value_typeEPNSM_ISH_E10value_typeEPSI_NS1_7vsmem_tEENKUlT_SG_SH_SI_E_clIPiSA_PsSB_EESF_SV_SG_SH_SI_EUlSV_E0_NS1_11comp_targetILNS1_3genE9ELNS1_11target_archE1100ELNS1_3gpuE3ELNS1_3repE0EEENS1_38merge_mergepath_config_static_selectorELNS0_4arch9wavefront6targetE1EEEvSH_
	.p2align	8
	.type	_ZN7rocprim17ROCPRIM_400000_NS6detail17trampoline_kernelINS0_14default_configENS1_38merge_sort_block_merge_config_selectorIisEEZZNS1_27merge_sort_block_merge_implIS3_N6thrust23THRUST_200600_302600_NS10device_ptrIiEENS9_IsEEjNS1_19radix_merge_compareILb0ELb0EiNS0_19identity_decomposerEEEEE10hipError_tT0_T1_T2_jT3_P12ihipStream_tbPNSt15iterator_traitsISG_E10value_typeEPNSM_ISH_E10value_typeEPSI_NS1_7vsmem_tEENKUlT_SG_SH_SI_E_clIPiSA_PsSB_EESF_SV_SG_SH_SI_EUlSV_E0_NS1_11comp_targetILNS1_3genE9ELNS1_11target_archE1100ELNS1_3gpuE3ELNS1_3repE0EEENS1_38merge_mergepath_config_static_selectorELNS0_4arch9wavefront6targetE1EEEvSH_,@function
_ZN7rocprim17ROCPRIM_400000_NS6detail17trampoline_kernelINS0_14default_configENS1_38merge_sort_block_merge_config_selectorIisEEZZNS1_27merge_sort_block_merge_implIS3_N6thrust23THRUST_200600_302600_NS10device_ptrIiEENS9_IsEEjNS1_19radix_merge_compareILb0ELb0EiNS0_19identity_decomposerEEEEE10hipError_tT0_T1_T2_jT3_P12ihipStream_tbPNSt15iterator_traitsISG_E10value_typeEPNSM_ISH_E10value_typeEPSI_NS1_7vsmem_tEENKUlT_SG_SH_SI_E_clIPiSA_PsSB_EESF_SV_SG_SH_SI_EUlSV_E0_NS1_11comp_targetILNS1_3genE9ELNS1_11target_archE1100ELNS1_3gpuE3ELNS1_3repE0EEENS1_38merge_mergepath_config_static_selectorELNS0_4arch9wavefront6targetE1EEEvSH_: ; @_ZN7rocprim17ROCPRIM_400000_NS6detail17trampoline_kernelINS0_14default_configENS1_38merge_sort_block_merge_config_selectorIisEEZZNS1_27merge_sort_block_merge_implIS3_N6thrust23THRUST_200600_302600_NS10device_ptrIiEENS9_IsEEjNS1_19radix_merge_compareILb0ELb0EiNS0_19identity_decomposerEEEEE10hipError_tT0_T1_T2_jT3_P12ihipStream_tbPNSt15iterator_traitsISG_E10value_typeEPNSM_ISH_E10value_typeEPSI_NS1_7vsmem_tEENKUlT_SG_SH_SI_E_clIPiSA_PsSB_EESF_SV_SG_SH_SI_EUlSV_E0_NS1_11comp_targetILNS1_3genE9ELNS1_11target_archE1100ELNS1_3gpuE3ELNS1_3repE0EEENS1_38merge_mergepath_config_static_selectorELNS0_4arch9wavefront6targetE1EEEvSH_
; %bb.0:
	.section	.rodata,"a",@progbits
	.p2align	6, 0x0
	.amdhsa_kernel _ZN7rocprim17ROCPRIM_400000_NS6detail17trampoline_kernelINS0_14default_configENS1_38merge_sort_block_merge_config_selectorIisEEZZNS1_27merge_sort_block_merge_implIS3_N6thrust23THRUST_200600_302600_NS10device_ptrIiEENS9_IsEEjNS1_19radix_merge_compareILb0ELb0EiNS0_19identity_decomposerEEEEE10hipError_tT0_T1_T2_jT3_P12ihipStream_tbPNSt15iterator_traitsISG_E10value_typeEPNSM_ISH_E10value_typeEPSI_NS1_7vsmem_tEENKUlT_SG_SH_SI_E_clIPiSA_PsSB_EESF_SV_SG_SH_SI_EUlSV_E0_NS1_11comp_targetILNS1_3genE9ELNS1_11target_archE1100ELNS1_3gpuE3ELNS1_3repE0EEENS1_38merge_mergepath_config_static_selectorELNS0_4arch9wavefront6targetE1EEEvSH_
		.amdhsa_group_segment_fixed_size 0
		.amdhsa_private_segment_fixed_size 0
		.amdhsa_kernarg_size 64
		.amdhsa_user_sgpr_count 2
		.amdhsa_user_sgpr_dispatch_ptr 0
		.amdhsa_user_sgpr_queue_ptr 0
		.amdhsa_user_sgpr_kernarg_segment_ptr 1
		.amdhsa_user_sgpr_dispatch_id 0
		.amdhsa_user_sgpr_kernarg_preload_length 0
		.amdhsa_user_sgpr_kernarg_preload_offset 0
		.amdhsa_user_sgpr_private_segment_size 0
		.amdhsa_uses_dynamic_stack 0
		.amdhsa_enable_private_segment 0
		.amdhsa_system_sgpr_workgroup_id_x 1
		.amdhsa_system_sgpr_workgroup_id_y 0
		.amdhsa_system_sgpr_workgroup_id_z 0
		.amdhsa_system_sgpr_workgroup_info 0
		.amdhsa_system_vgpr_workitem_id 0
		.amdhsa_next_free_vgpr 1
		.amdhsa_next_free_sgpr 0
		.amdhsa_accum_offset 4
		.amdhsa_reserve_vcc 0
		.amdhsa_float_round_mode_32 0
		.amdhsa_float_round_mode_16_64 0
		.amdhsa_float_denorm_mode_32 3
		.amdhsa_float_denorm_mode_16_64 3
		.amdhsa_dx10_clamp 1
		.amdhsa_ieee_mode 1
		.amdhsa_fp16_overflow 0
		.amdhsa_tg_split 0
		.amdhsa_exception_fp_ieee_invalid_op 0
		.amdhsa_exception_fp_denorm_src 0
		.amdhsa_exception_fp_ieee_div_zero 0
		.amdhsa_exception_fp_ieee_overflow 0
		.amdhsa_exception_fp_ieee_underflow 0
		.amdhsa_exception_fp_ieee_inexact 0
		.amdhsa_exception_int_div_zero 0
	.end_amdhsa_kernel
	.section	.text._ZN7rocprim17ROCPRIM_400000_NS6detail17trampoline_kernelINS0_14default_configENS1_38merge_sort_block_merge_config_selectorIisEEZZNS1_27merge_sort_block_merge_implIS3_N6thrust23THRUST_200600_302600_NS10device_ptrIiEENS9_IsEEjNS1_19radix_merge_compareILb0ELb0EiNS0_19identity_decomposerEEEEE10hipError_tT0_T1_T2_jT3_P12ihipStream_tbPNSt15iterator_traitsISG_E10value_typeEPNSM_ISH_E10value_typeEPSI_NS1_7vsmem_tEENKUlT_SG_SH_SI_E_clIPiSA_PsSB_EESF_SV_SG_SH_SI_EUlSV_E0_NS1_11comp_targetILNS1_3genE9ELNS1_11target_archE1100ELNS1_3gpuE3ELNS1_3repE0EEENS1_38merge_mergepath_config_static_selectorELNS0_4arch9wavefront6targetE1EEEvSH_,"axG",@progbits,_ZN7rocprim17ROCPRIM_400000_NS6detail17trampoline_kernelINS0_14default_configENS1_38merge_sort_block_merge_config_selectorIisEEZZNS1_27merge_sort_block_merge_implIS3_N6thrust23THRUST_200600_302600_NS10device_ptrIiEENS9_IsEEjNS1_19radix_merge_compareILb0ELb0EiNS0_19identity_decomposerEEEEE10hipError_tT0_T1_T2_jT3_P12ihipStream_tbPNSt15iterator_traitsISG_E10value_typeEPNSM_ISH_E10value_typeEPSI_NS1_7vsmem_tEENKUlT_SG_SH_SI_E_clIPiSA_PsSB_EESF_SV_SG_SH_SI_EUlSV_E0_NS1_11comp_targetILNS1_3genE9ELNS1_11target_archE1100ELNS1_3gpuE3ELNS1_3repE0EEENS1_38merge_mergepath_config_static_selectorELNS0_4arch9wavefront6targetE1EEEvSH_,comdat
.Lfunc_end2304:
	.size	_ZN7rocprim17ROCPRIM_400000_NS6detail17trampoline_kernelINS0_14default_configENS1_38merge_sort_block_merge_config_selectorIisEEZZNS1_27merge_sort_block_merge_implIS3_N6thrust23THRUST_200600_302600_NS10device_ptrIiEENS9_IsEEjNS1_19radix_merge_compareILb0ELb0EiNS0_19identity_decomposerEEEEE10hipError_tT0_T1_T2_jT3_P12ihipStream_tbPNSt15iterator_traitsISG_E10value_typeEPNSM_ISH_E10value_typeEPSI_NS1_7vsmem_tEENKUlT_SG_SH_SI_E_clIPiSA_PsSB_EESF_SV_SG_SH_SI_EUlSV_E0_NS1_11comp_targetILNS1_3genE9ELNS1_11target_archE1100ELNS1_3gpuE3ELNS1_3repE0EEENS1_38merge_mergepath_config_static_selectorELNS0_4arch9wavefront6targetE1EEEvSH_, .Lfunc_end2304-_ZN7rocprim17ROCPRIM_400000_NS6detail17trampoline_kernelINS0_14default_configENS1_38merge_sort_block_merge_config_selectorIisEEZZNS1_27merge_sort_block_merge_implIS3_N6thrust23THRUST_200600_302600_NS10device_ptrIiEENS9_IsEEjNS1_19radix_merge_compareILb0ELb0EiNS0_19identity_decomposerEEEEE10hipError_tT0_T1_T2_jT3_P12ihipStream_tbPNSt15iterator_traitsISG_E10value_typeEPNSM_ISH_E10value_typeEPSI_NS1_7vsmem_tEENKUlT_SG_SH_SI_E_clIPiSA_PsSB_EESF_SV_SG_SH_SI_EUlSV_E0_NS1_11comp_targetILNS1_3genE9ELNS1_11target_archE1100ELNS1_3gpuE3ELNS1_3repE0EEENS1_38merge_mergepath_config_static_selectorELNS0_4arch9wavefront6targetE1EEEvSH_
                                        ; -- End function
	.set _ZN7rocprim17ROCPRIM_400000_NS6detail17trampoline_kernelINS0_14default_configENS1_38merge_sort_block_merge_config_selectorIisEEZZNS1_27merge_sort_block_merge_implIS3_N6thrust23THRUST_200600_302600_NS10device_ptrIiEENS9_IsEEjNS1_19radix_merge_compareILb0ELb0EiNS0_19identity_decomposerEEEEE10hipError_tT0_T1_T2_jT3_P12ihipStream_tbPNSt15iterator_traitsISG_E10value_typeEPNSM_ISH_E10value_typeEPSI_NS1_7vsmem_tEENKUlT_SG_SH_SI_E_clIPiSA_PsSB_EESF_SV_SG_SH_SI_EUlSV_E0_NS1_11comp_targetILNS1_3genE9ELNS1_11target_archE1100ELNS1_3gpuE3ELNS1_3repE0EEENS1_38merge_mergepath_config_static_selectorELNS0_4arch9wavefront6targetE1EEEvSH_.num_vgpr, 0
	.set _ZN7rocprim17ROCPRIM_400000_NS6detail17trampoline_kernelINS0_14default_configENS1_38merge_sort_block_merge_config_selectorIisEEZZNS1_27merge_sort_block_merge_implIS3_N6thrust23THRUST_200600_302600_NS10device_ptrIiEENS9_IsEEjNS1_19radix_merge_compareILb0ELb0EiNS0_19identity_decomposerEEEEE10hipError_tT0_T1_T2_jT3_P12ihipStream_tbPNSt15iterator_traitsISG_E10value_typeEPNSM_ISH_E10value_typeEPSI_NS1_7vsmem_tEENKUlT_SG_SH_SI_E_clIPiSA_PsSB_EESF_SV_SG_SH_SI_EUlSV_E0_NS1_11comp_targetILNS1_3genE9ELNS1_11target_archE1100ELNS1_3gpuE3ELNS1_3repE0EEENS1_38merge_mergepath_config_static_selectorELNS0_4arch9wavefront6targetE1EEEvSH_.num_agpr, 0
	.set _ZN7rocprim17ROCPRIM_400000_NS6detail17trampoline_kernelINS0_14default_configENS1_38merge_sort_block_merge_config_selectorIisEEZZNS1_27merge_sort_block_merge_implIS3_N6thrust23THRUST_200600_302600_NS10device_ptrIiEENS9_IsEEjNS1_19radix_merge_compareILb0ELb0EiNS0_19identity_decomposerEEEEE10hipError_tT0_T1_T2_jT3_P12ihipStream_tbPNSt15iterator_traitsISG_E10value_typeEPNSM_ISH_E10value_typeEPSI_NS1_7vsmem_tEENKUlT_SG_SH_SI_E_clIPiSA_PsSB_EESF_SV_SG_SH_SI_EUlSV_E0_NS1_11comp_targetILNS1_3genE9ELNS1_11target_archE1100ELNS1_3gpuE3ELNS1_3repE0EEENS1_38merge_mergepath_config_static_selectorELNS0_4arch9wavefront6targetE1EEEvSH_.numbered_sgpr, 0
	.set _ZN7rocprim17ROCPRIM_400000_NS6detail17trampoline_kernelINS0_14default_configENS1_38merge_sort_block_merge_config_selectorIisEEZZNS1_27merge_sort_block_merge_implIS3_N6thrust23THRUST_200600_302600_NS10device_ptrIiEENS9_IsEEjNS1_19radix_merge_compareILb0ELb0EiNS0_19identity_decomposerEEEEE10hipError_tT0_T1_T2_jT3_P12ihipStream_tbPNSt15iterator_traitsISG_E10value_typeEPNSM_ISH_E10value_typeEPSI_NS1_7vsmem_tEENKUlT_SG_SH_SI_E_clIPiSA_PsSB_EESF_SV_SG_SH_SI_EUlSV_E0_NS1_11comp_targetILNS1_3genE9ELNS1_11target_archE1100ELNS1_3gpuE3ELNS1_3repE0EEENS1_38merge_mergepath_config_static_selectorELNS0_4arch9wavefront6targetE1EEEvSH_.num_named_barrier, 0
	.set _ZN7rocprim17ROCPRIM_400000_NS6detail17trampoline_kernelINS0_14default_configENS1_38merge_sort_block_merge_config_selectorIisEEZZNS1_27merge_sort_block_merge_implIS3_N6thrust23THRUST_200600_302600_NS10device_ptrIiEENS9_IsEEjNS1_19radix_merge_compareILb0ELb0EiNS0_19identity_decomposerEEEEE10hipError_tT0_T1_T2_jT3_P12ihipStream_tbPNSt15iterator_traitsISG_E10value_typeEPNSM_ISH_E10value_typeEPSI_NS1_7vsmem_tEENKUlT_SG_SH_SI_E_clIPiSA_PsSB_EESF_SV_SG_SH_SI_EUlSV_E0_NS1_11comp_targetILNS1_3genE9ELNS1_11target_archE1100ELNS1_3gpuE3ELNS1_3repE0EEENS1_38merge_mergepath_config_static_selectorELNS0_4arch9wavefront6targetE1EEEvSH_.private_seg_size, 0
	.set _ZN7rocprim17ROCPRIM_400000_NS6detail17trampoline_kernelINS0_14default_configENS1_38merge_sort_block_merge_config_selectorIisEEZZNS1_27merge_sort_block_merge_implIS3_N6thrust23THRUST_200600_302600_NS10device_ptrIiEENS9_IsEEjNS1_19radix_merge_compareILb0ELb0EiNS0_19identity_decomposerEEEEE10hipError_tT0_T1_T2_jT3_P12ihipStream_tbPNSt15iterator_traitsISG_E10value_typeEPNSM_ISH_E10value_typeEPSI_NS1_7vsmem_tEENKUlT_SG_SH_SI_E_clIPiSA_PsSB_EESF_SV_SG_SH_SI_EUlSV_E0_NS1_11comp_targetILNS1_3genE9ELNS1_11target_archE1100ELNS1_3gpuE3ELNS1_3repE0EEENS1_38merge_mergepath_config_static_selectorELNS0_4arch9wavefront6targetE1EEEvSH_.uses_vcc, 0
	.set _ZN7rocprim17ROCPRIM_400000_NS6detail17trampoline_kernelINS0_14default_configENS1_38merge_sort_block_merge_config_selectorIisEEZZNS1_27merge_sort_block_merge_implIS3_N6thrust23THRUST_200600_302600_NS10device_ptrIiEENS9_IsEEjNS1_19radix_merge_compareILb0ELb0EiNS0_19identity_decomposerEEEEE10hipError_tT0_T1_T2_jT3_P12ihipStream_tbPNSt15iterator_traitsISG_E10value_typeEPNSM_ISH_E10value_typeEPSI_NS1_7vsmem_tEENKUlT_SG_SH_SI_E_clIPiSA_PsSB_EESF_SV_SG_SH_SI_EUlSV_E0_NS1_11comp_targetILNS1_3genE9ELNS1_11target_archE1100ELNS1_3gpuE3ELNS1_3repE0EEENS1_38merge_mergepath_config_static_selectorELNS0_4arch9wavefront6targetE1EEEvSH_.uses_flat_scratch, 0
	.set _ZN7rocprim17ROCPRIM_400000_NS6detail17trampoline_kernelINS0_14default_configENS1_38merge_sort_block_merge_config_selectorIisEEZZNS1_27merge_sort_block_merge_implIS3_N6thrust23THRUST_200600_302600_NS10device_ptrIiEENS9_IsEEjNS1_19radix_merge_compareILb0ELb0EiNS0_19identity_decomposerEEEEE10hipError_tT0_T1_T2_jT3_P12ihipStream_tbPNSt15iterator_traitsISG_E10value_typeEPNSM_ISH_E10value_typeEPSI_NS1_7vsmem_tEENKUlT_SG_SH_SI_E_clIPiSA_PsSB_EESF_SV_SG_SH_SI_EUlSV_E0_NS1_11comp_targetILNS1_3genE9ELNS1_11target_archE1100ELNS1_3gpuE3ELNS1_3repE0EEENS1_38merge_mergepath_config_static_selectorELNS0_4arch9wavefront6targetE1EEEvSH_.has_dyn_sized_stack, 0
	.set _ZN7rocprim17ROCPRIM_400000_NS6detail17trampoline_kernelINS0_14default_configENS1_38merge_sort_block_merge_config_selectorIisEEZZNS1_27merge_sort_block_merge_implIS3_N6thrust23THRUST_200600_302600_NS10device_ptrIiEENS9_IsEEjNS1_19radix_merge_compareILb0ELb0EiNS0_19identity_decomposerEEEEE10hipError_tT0_T1_T2_jT3_P12ihipStream_tbPNSt15iterator_traitsISG_E10value_typeEPNSM_ISH_E10value_typeEPSI_NS1_7vsmem_tEENKUlT_SG_SH_SI_E_clIPiSA_PsSB_EESF_SV_SG_SH_SI_EUlSV_E0_NS1_11comp_targetILNS1_3genE9ELNS1_11target_archE1100ELNS1_3gpuE3ELNS1_3repE0EEENS1_38merge_mergepath_config_static_selectorELNS0_4arch9wavefront6targetE1EEEvSH_.has_recursion, 0
	.set _ZN7rocprim17ROCPRIM_400000_NS6detail17trampoline_kernelINS0_14default_configENS1_38merge_sort_block_merge_config_selectorIisEEZZNS1_27merge_sort_block_merge_implIS3_N6thrust23THRUST_200600_302600_NS10device_ptrIiEENS9_IsEEjNS1_19radix_merge_compareILb0ELb0EiNS0_19identity_decomposerEEEEE10hipError_tT0_T1_T2_jT3_P12ihipStream_tbPNSt15iterator_traitsISG_E10value_typeEPNSM_ISH_E10value_typeEPSI_NS1_7vsmem_tEENKUlT_SG_SH_SI_E_clIPiSA_PsSB_EESF_SV_SG_SH_SI_EUlSV_E0_NS1_11comp_targetILNS1_3genE9ELNS1_11target_archE1100ELNS1_3gpuE3ELNS1_3repE0EEENS1_38merge_mergepath_config_static_selectorELNS0_4arch9wavefront6targetE1EEEvSH_.has_indirect_call, 0
	.section	.AMDGPU.csdata,"",@progbits
; Kernel info:
; codeLenInByte = 0
; TotalNumSgprs: 6
; NumVgprs: 0
; NumAgprs: 0
; TotalNumVgprs: 0
; ScratchSize: 0
; MemoryBound: 0
; FloatMode: 240
; IeeeMode: 1
; LDSByteSize: 0 bytes/workgroup (compile time only)
; SGPRBlocks: 0
; VGPRBlocks: 0
; NumSGPRsForWavesPerEU: 6
; NumVGPRsForWavesPerEU: 1
; AccumOffset: 4
; Occupancy: 8
; WaveLimiterHint : 0
; COMPUTE_PGM_RSRC2:SCRATCH_EN: 0
; COMPUTE_PGM_RSRC2:USER_SGPR: 2
; COMPUTE_PGM_RSRC2:TRAP_HANDLER: 0
; COMPUTE_PGM_RSRC2:TGID_X_EN: 1
; COMPUTE_PGM_RSRC2:TGID_Y_EN: 0
; COMPUTE_PGM_RSRC2:TGID_Z_EN: 0
; COMPUTE_PGM_RSRC2:TIDIG_COMP_CNT: 0
; COMPUTE_PGM_RSRC3_GFX90A:ACCUM_OFFSET: 0
; COMPUTE_PGM_RSRC3_GFX90A:TG_SPLIT: 0
	.section	.text._ZN7rocprim17ROCPRIM_400000_NS6detail17trampoline_kernelINS0_14default_configENS1_38merge_sort_block_merge_config_selectorIisEEZZNS1_27merge_sort_block_merge_implIS3_N6thrust23THRUST_200600_302600_NS10device_ptrIiEENS9_IsEEjNS1_19radix_merge_compareILb0ELb0EiNS0_19identity_decomposerEEEEE10hipError_tT0_T1_T2_jT3_P12ihipStream_tbPNSt15iterator_traitsISG_E10value_typeEPNSM_ISH_E10value_typeEPSI_NS1_7vsmem_tEENKUlT_SG_SH_SI_E_clIPiSA_PsSB_EESF_SV_SG_SH_SI_EUlSV_E0_NS1_11comp_targetILNS1_3genE8ELNS1_11target_archE1030ELNS1_3gpuE2ELNS1_3repE0EEENS1_38merge_mergepath_config_static_selectorELNS0_4arch9wavefront6targetE1EEEvSH_,"axG",@progbits,_ZN7rocprim17ROCPRIM_400000_NS6detail17trampoline_kernelINS0_14default_configENS1_38merge_sort_block_merge_config_selectorIisEEZZNS1_27merge_sort_block_merge_implIS3_N6thrust23THRUST_200600_302600_NS10device_ptrIiEENS9_IsEEjNS1_19radix_merge_compareILb0ELb0EiNS0_19identity_decomposerEEEEE10hipError_tT0_T1_T2_jT3_P12ihipStream_tbPNSt15iterator_traitsISG_E10value_typeEPNSM_ISH_E10value_typeEPSI_NS1_7vsmem_tEENKUlT_SG_SH_SI_E_clIPiSA_PsSB_EESF_SV_SG_SH_SI_EUlSV_E0_NS1_11comp_targetILNS1_3genE8ELNS1_11target_archE1030ELNS1_3gpuE2ELNS1_3repE0EEENS1_38merge_mergepath_config_static_selectorELNS0_4arch9wavefront6targetE1EEEvSH_,comdat
	.protected	_ZN7rocprim17ROCPRIM_400000_NS6detail17trampoline_kernelINS0_14default_configENS1_38merge_sort_block_merge_config_selectorIisEEZZNS1_27merge_sort_block_merge_implIS3_N6thrust23THRUST_200600_302600_NS10device_ptrIiEENS9_IsEEjNS1_19radix_merge_compareILb0ELb0EiNS0_19identity_decomposerEEEEE10hipError_tT0_T1_T2_jT3_P12ihipStream_tbPNSt15iterator_traitsISG_E10value_typeEPNSM_ISH_E10value_typeEPSI_NS1_7vsmem_tEENKUlT_SG_SH_SI_E_clIPiSA_PsSB_EESF_SV_SG_SH_SI_EUlSV_E0_NS1_11comp_targetILNS1_3genE8ELNS1_11target_archE1030ELNS1_3gpuE2ELNS1_3repE0EEENS1_38merge_mergepath_config_static_selectorELNS0_4arch9wavefront6targetE1EEEvSH_ ; -- Begin function _ZN7rocprim17ROCPRIM_400000_NS6detail17trampoline_kernelINS0_14default_configENS1_38merge_sort_block_merge_config_selectorIisEEZZNS1_27merge_sort_block_merge_implIS3_N6thrust23THRUST_200600_302600_NS10device_ptrIiEENS9_IsEEjNS1_19radix_merge_compareILb0ELb0EiNS0_19identity_decomposerEEEEE10hipError_tT0_T1_T2_jT3_P12ihipStream_tbPNSt15iterator_traitsISG_E10value_typeEPNSM_ISH_E10value_typeEPSI_NS1_7vsmem_tEENKUlT_SG_SH_SI_E_clIPiSA_PsSB_EESF_SV_SG_SH_SI_EUlSV_E0_NS1_11comp_targetILNS1_3genE8ELNS1_11target_archE1030ELNS1_3gpuE2ELNS1_3repE0EEENS1_38merge_mergepath_config_static_selectorELNS0_4arch9wavefront6targetE1EEEvSH_
	.globl	_ZN7rocprim17ROCPRIM_400000_NS6detail17trampoline_kernelINS0_14default_configENS1_38merge_sort_block_merge_config_selectorIisEEZZNS1_27merge_sort_block_merge_implIS3_N6thrust23THRUST_200600_302600_NS10device_ptrIiEENS9_IsEEjNS1_19radix_merge_compareILb0ELb0EiNS0_19identity_decomposerEEEEE10hipError_tT0_T1_T2_jT3_P12ihipStream_tbPNSt15iterator_traitsISG_E10value_typeEPNSM_ISH_E10value_typeEPSI_NS1_7vsmem_tEENKUlT_SG_SH_SI_E_clIPiSA_PsSB_EESF_SV_SG_SH_SI_EUlSV_E0_NS1_11comp_targetILNS1_3genE8ELNS1_11target_archE1030ELNS1_3gpuE2ELNS1_3repE0EEENS1_38merge_mergepath_config_static_selectorELNS0_4arch9wavefront6targetE1EEEvSH_
	.p2align	8
	.type	_ZN7rocprim17ROCPRIM_400000_NS6detail17trampoline_kernelINS0_14default_configENS1_38merge_sort_block_merge_config_selectorIisEEZZNS1_27merge_sort_block_merge_implIS3_N6thrust23THRUST_200600_302600_NS10device_ptrIiEENS9_IsEEjNS1_19radix_merge_compareILb0ELb0EiNS0_19identity_decomposerEEEEE10hipError_tT0_T1_T2_jT3_P12ihipStream_tbPNSt15iterator_traitsISG_E10value_typeEPNSM_ISH_E10value_typeEPSI_NS1_7vsmem_tEENKUlT_SG_SH_SI_E_clIPiSA_PsSB_EESF_SV_SG_SH_SI_EUlSV_E0_NS1_11comp_targetILNS1_3genE8ELNS1_11target_archE1030ELNS1_3gpuE2ELNS1_3repE0EEENS1_38merge_mergepath_config_static_selectorELNS0_4arch9wavefront6targetE1EEEvSH_,@function
_ZN7rocprim17ROCPRIM_400000_NS6detail17trampoline_kernelINS0_14default_configENS1_38merge_sort_block_merge_config_selectorIisEEZZNS1_27merge_sort_block_merge_implIS3_N6thrust23THRUST_200600_302600_NS10device_ptrIiEENS9_IsEEjNS1_19radix_merge_compareILb0ELb0EiNS0_19identity_decomposerEEEEE10hipError_tT0_T1_T2_jT3_P12ihipStream_tbPNSt15iterator_traitsISG_E10value_typeEPNSM_ISH_E10value_typeEPSI_NS1_7vsmem_tEENKUlT_SG_SH_SI_E_clIPiSA_PsSB_EESF_SV_SG_SH_SI_EUlSV_E0_NS1_11comp_targetILNS1_3genE8ELNS1_11target_archE1030ELNS1_3gpuE2ELNS1_3repE0EEENS1_38merge_mergepath_config_static_selectorELNS0_4arch9wavefront6targetE1EEEvSH_: ; @_ZN7rocprim17ROCPRIM_400000_NS6detail17trampoline_kernelINS0_14default_configENS1_38merge_sort_block_merge_config_selectorIisEEZZNS1_27merge_sort_block_merge_implIS3_N6thrust23THRUST_200600_302600_NS10device_ptrIiEENS9_IsEEjNS1_19radix_merge_compareILb0ELb0EiNS0_19identity_decomposerEEEEE10hipError_tT0_T1_T2_jT3_P12ihipStream_tbPNSt15iterator_traitsISG_E10value_typeEPNSM_ISH_E10value_typeEPSI_NS1_7vsmem_tEENKUlT_SG_SH_SI_E_clIPiSA_PsSB_EESF_SV_SG_SH_SI_EUlSV_E0_NS1_11comp_targetILNS1_3genE8ELNS1_11target_archE1030ELNS1_3gpuE2ELNS1_3repE0EEENS1_38merge_mergepath_config_static_selectorELNS0_4arch9wavefront6targetE1EEEvSH_
; %bb.0:
	.section	.rodata,"a",@progbits
	.p2align	6, 0x0
	.amdhsa_kernel _ZN7rocprim17ROCPRIM_400000_NS6detail17trampoline_kernelINS0_14default_configENS1_38merge_sort_block_merge_config_selectorIisEEZZNS1_27merge_sort_block_merge_implIS3_N6thrust23THRUST_200600_302600_NS10device_ptrIiEENS9_IsEEjNS1_19radix_merge_compareILb0ELb0EiNS0_19identity_decomposerEEEEE10hipError_tT0_T1_T2_jT3_P12ihipStream_tbPNSt15iterator_traitsISG_E10value_typeEPNSM_ISH_E10value_typeEPSI_NS1_7vsmem_tEENKUlT_SG_SH_SI_E_clIPiSA_PsSB_EESF_SV_SG_SH_SI_EUlSV_E0_NS1_11comp_targetILNS1_3genE8ELNS1_11target_archE1030ELNS1_3gpuE2ELNS1_3repE0EEENS1_38merge_mergepath_config_static_selectorELNS0_4arch9wavefront6targetE1EEEvSH_
		.amdhsa_group_segment_fixed_size 0
		.amdhsa_private_segment_fixed_size 0
		.amdhsa_kernarg_size 64
		.amdhsa_user_sgpr_count 2
		.amdhsa_user_sgpr_dispatch_ptr 0
		.amdhsa_user_sgpr_queue_ptr 0
		.amdhsa_user_sgpr_kernarg_segment_ptr 1
		.amdhsa_user_sgpr_dispatch_id 0
		.amdhsa_user_sgpr_kernarg_preload_length 0
		.amdhsa_user_sgpr_kernarg_preload_offset 0
		.amdhsa_user_sgpr_private_segment_size 0
		.amdhsa_uses_dynamic_stack 0
		.amdhsa_enable_private_segment 0
		.amdhsa_system_sgpr_workgroup_id_x 1
		.amdhsa_system_sgpr_workgroup_id_y 0
		.amdhsa_system_sgpr_workgroup_id_z 0
		.amdhsa_system_sgpr_workgroup_info 0
		.amdhsa_system_vgpr_workitem_id 0
		.amdhsa_next_free_vgpr 1
		.amdhsa_next_free_sgpr 0
		.amdhsa_accum_offset 4
		.amdhsa_reserve_vcc 0
		.amdhsa_float_round_mode_32 0
		.amdhsa_float_round_mode_16_64 0
		.amdhsa_float_denorm_mode_32 3
		.amdhsa_float_denorm_mode_16_64 3
		.amdhsa_dx10_clamp 1
		.amdhsa_ieee_mode 1
		.amdhsa_fp16_overflow 0
		.amdhsa_tg_split 0
		.amdhsa_exception_fp_ieee_invalid_op 0
		.amdhsa_exception_fp_denorm_src 0
		.amdhsa_exception_fp_ieee_div_zero 0
		.amdhsa_exception_fp_ieee_overflow 0
		.amdhsa_exception_fp_ieee_underflow 0
		.amdhsa_exception_fp_ieee_inexact 0
		.amdhsa_exception_int_div_zero 0
	.end_amdhsa_kernel
	.section	.text._ZN7rocprim17ROCPRIM_400000_NS6detail17trampoline_kernelINS0_14default_configENS1_38merge_sort_block_merge_config_selectorIisEEZZNS1_27merge_sort_block_merge_implIS3_N6thrust23THRUST_200600_302600_NS10device_ptrIiEENS9_IsEEjNS1_19radix_merge_compareILb0ELb0EiNS0_19identity_decomposerEEEEE10hipError_tT0_T1_T2_jT3_P12ihipStream_tbPNSt15iterator_traitsISG_E10value_typeEPNSM_ISH_E10value_typeEPSI_NS1_7vsmem_tEENKUlT_SG_SH_SI_E_clIPiSA_PsSB_EESF_SV_SG_SH_SI_EUlSV_E0_NS1_11comp_targetILNS1_3genE8ELNS1_11target_archE1030ELNS1_3gpuE2ELNS1_3repE0EEENS1_38merge_mergepath_config_static_selectorELNS0_4arch9wavefront6targetE1EEEvSH_,"axG",@progbits,_ZN7rocprim17ROCPRIM_400000_NS6detail17trampoline_kernelINS0_14default_configENS1_38merge_sort_block_merge_config_selectorIisEEZZNS1_27merge_sort_block_merge_implIS3_N6thrust23THRUST_200600_302600_NS10device_ptrIiEENS9_IsEEjNS1_19radix_merge_compareILb0ELb0EiNS0_19identity_decomposerEEEEE10hipError_tT0_T1_T2_jT3_P12ihipStream_tbPNSt15iterator_traitsISG_E10value_typeEPNSM_ISH_E10value_typeEPSI_NS1_7vsmem_tEENKUlT_SG_SH_SI_E_clIPiSA_PsSB_EESF_SV_SG_SH_SI_EUlSV_E0_NS1_11comp_targetILNS1_3genE8ELNS1_11target_archE1030ELNS1_3gpuE2ELNS1_3repE0EEENS1_38merge_mergepath_config_static_selectorELNS0_4arch9wavefront6targetE1EEEvSH_,comdat
.Lfunc_end2305:
	.size	_ZN7rocprim17ROCPRIM_400000_NS6detail17trampoline_kernelINS0_14default_configENS1_38merge_sort_block_merge_config_selectorIisEEZZNS1_27merge_sort_block_merge_implIS3_N6thrust23THRUST_200600_302600_NS10device_ptrIiEENS9_IsEEjNS1_19radix_merge_compareILb0ELb0EiNS0_19identity_decomposerEEEEE10hipError_tT0_T1_T2_jT3_P12ihipStream_tbPNSt15iterator_traitsISG_E10value_typeEPNSM_ISH_E10value_typeEPSI_NS1_7vsmem_tEENKUlT_SG_SH_SI_E_clIPiSA_PsSB_EESF_SV_SG_SH_SI_EUlSV_E0_NS1_11comp_targetILNS1_3genE8ELNS1_11target_archE1030ELNS1_3gpuE2ELNS1_3repE0EEENS1_38merge_mergepath_config_static_selectorELNS0_4arch9wavefront6targetE1EEEvSH_, .Lfunc_end2305-_ZN7rocprim17ROCPRIM_400000_NS6detail17trampoline_kernelINS0_14default_configENS1_38merge_sort_block_merge_config_selectorIisEEZZNS1_27merge_sort_block_merge_implIS3_N6thrust23THRUST_200600_302600_NS10device_ptrIiEENS9_IsEEjNS1_19radix_merge_compareILb0ELb0EiNS0_19identity_decomposerEEEEE10hipError_tT0_T1_T2_jT3_P12ihipStream_tbPNSt15iterator_traitsISG_E10value_typeEPNSM_ISH_E10value_typeEPSI_NS1_7vsmem_tEENKUlT_SG_SH_SI_E_clIPiSA_PsSB_EESF_SV_SG_SH_SI_EUlSV_E0_NS1_11comp_targetILNS1_3genE8ELNS1_11target_archE1030ELNS1_3gpuE2ELNS1_3repE0EEENS1_38merge_mergepath_config_static_selectorELNS0_4arch9wavefront6targetE1EEEvSH_
                                        ; -- End function
	.set _ZN7rocprim17ROCPRIM_400000_NS6detail17trampoline_kernelINS0_14default_configENS1_38merge_sort_block_merge_config_selectorIisEEZZNS1_27merge_sort_block_merge_implIS3_N6thrust23THRUST_200600_302600_NS10device_ptrIiEENS9_IsEEjNS1_19radix_merge_compareILb0ELb0EiNS0_19identity_decomposerEEEEE10hipError_tT0_T1_T2_jT3_P12ihipStream_tbPNSt15iterator_traitsISG_E10value_typeEPNSM_ISH_E10value_typeEPSI_NS1_7vsmem_tEENKUlT_SG_SH_SI_E_clIPiSA_PsSB_EESF_SV_SG_SH_SI_EUlSV_E0_NS1_11comp_targetILNS1_3genE8ELNS1_11target_archE1030ELNS1_3gpuE2ELNS1_3repE0EEENS1_38merge_mergepath_config_static_selectorELNS0_4arch9wavefront6targetE1EEEvSH_.num_vgpr, 0
	.set _ZN7rocprim17ROCPRIM_400000_NS6detail17trampoline_kernelINS0_14default_configENS1_38merge_sort_block_merge_config_selectorIisEEZZNS1_27merge_sort_block_merge_implIS3_N6thrust23THRUST_200600_302600_NS10device_ptrIiEENS9_IsEEjNS1_19radix_merge_compareILb0ELb0EiNS0_19identity_decomposerEEEEE10hipError_tT0_T1_T2_jT3_P12ihipStream_tbPNSt15iterator_traitsISG_E10value_typeEPNSM_ISH_E10value_typeEPSI_NS1_7vsmem_tEENKUlT_SG_SH_SI_E_clIPiSA_PsSB_EESF_SV_SG_SH_SI_EUlSV_E0_NS1_11comp_targetILNS1_3genE8ELNS1_11target_archE1030ELNS1_3gpuE2ELNS1_3repE0EEENS1_38merge_mergepath_config_static_selectorELNS0_4arch9wavefront6targetE1EEEvSH_.num_agpr, 0
	.set _ZN7rocprim17ROCPRIM_400000_NS6detail17trampoline_kernelINS0_14default_configENS1_38merge_sort_block_merge_config_selectorIisEEZZNS1_27merge_sort_block_merge_implIS3_N6thrust23THRUST_200600_302600_NS10device_ptrIiEENS9_IsEEjNS1_19radix_merge_compareILb0ELb0EiNS0_19identity_decomposerEEEEE10hipError_tT0_T1_T2_jT3_P12ihipStream_tbPNSt15iterator_traitsISG_E10value_typeEPNSM_ISH_E10value_typeEPSI_NS1_7vsmem_tEENKUlT_SG_SH_SI_E_clIPiSA_PsSB_EESF_SV_SG_SH_SI_EUlSV_E0_NS1_11comp_targetILNS1_3genE8ELNS1_11target_archE1030ELNS1_3gpuE2ELNS1_3repE0EEENS1_38merge_mergepath_config_static_selectorELNS0_4arch9wavefront6targetE1EEEvSH_.numbered_sgpr, 0
	.set _ZN7rocprim17ROCPRIM_400000_NS6detail17trampoline_kernelINS0_14default_configENS1_38merge_sort_block_merge_config_selectorIisEEZZNS1_27merge_sort_block_merge_implIS3_N6thrust23THRUST_200600_302600_NS10device_ptrIiEENS9_IsEEjNS1_19radix_merge_compareILb0ELb0EiNS0_19identity_decomposerEEEEE10hipError_tT0_T1_T2_jT3_P12ihipStream_tbPNSt15iterator_traitsISG_E10value_typeEPNSM_ISH_E10value_typeEPSI_NS1_7vsmem_tEENKUlT_SG_SH_SI_E_clIPiSA_PsSB_EESF_SV_SG_SH_SI_EUlSV_E0_NS1_11comp_targetILNS1_3genE8ELNS1_11target_archE1030ELNS1_3gpuE2ELNS1_3repE0EEENS1_38merge_mergepath_config_static_selectorELNS0_4arch9wavefront6targetE1EEEvSH_.num_named_barrier, 0
	.set _ZN7rocprim17ROCPRIM_400000_NS6detail17trampoline_kernelINS0_14default_configENS1_38merge_sort_block_merge_config_selectorIisEEZZNS1_27merge_sort_block_merge_implIS3_N6thrust23THRUST_200600_302600_NS10device_ptrIiEENS9_IsEEjNS1_19radix_merge_compareILb0ELb0EiNS0_19identity_decomposerEEEEE10hipError_tT0_T1_T2_jT3_P12ihipStream_tbPNSt15iterator_traitsISG_E10value_typeEPNSM_ISH_E10value_typeEPSI_NS1_7vsmem_tEENKUlT_SG_SH_SI_E_clIPiSA_PsSB_EESF_SV_SG_SH_SI_EUlSV_E0_NS1_11comp_targetILNS1_3genE8ELNS1_11target_archE1030ELNS1_3gpuE2ELNS1_3repE0EEENS1_38merge_mergepath_config_static_selectorELNS0_4arch9wavefront6targetE1EEEvSH_.private_seg_size, 0
	.set _ZN7rocprim17ROCPRIM_400000_NS6detail17trampoline_kernelINS0_14default_configENS1_38merge_sort_block_merge_config_selectorIisEEZZNS1_27merge_sort_block_merge_implIS3_N6thrust23THRUST_200600_302600_NS10device_ptrIiEENS9_IsEEjNS1_19radix_merge_compareILb0ELb0EiNS0_19identity_decomposerEEEEE10hipError_tT0_T1_T2_jT3_P12ihipStream_tbPNSt15iterator_traitsISG_E10value_typeEPNSM_ISH_E10value_typeEPSI_NS1_7vsmem_tEENKUlT_SG_SH_SI_E_clIPiSA_PsSB_EESF_SV_SG_SH_SI_EUlSV_E0_NS1_11comp_targetILNS1_3genE8ELNS1_11target_archE1030ELNS1_3gpuE2ELNS1_3repE0EEENS1_38merge_mergepath_config_static_selectorELNS0_4arch9wavefront6targetE1EEEvSH_.uses_vcc, 0
	.set _ZN7rocprim17ROCPRIM_400000_NS6detail17trampoline_kernelINS0_14default_configENS1_38merge_sort_block_merge_config_selectorIisEEZZNS1_27merge_sort_block_merge_implIS3_N6thrust23THRUST_200600_302600_NS10device_ptrIiEENS9_IsEEjNS1_19radix_merge_compareILb0ELb0EiNS0_19identity_decomposerEEEEE10hipError_tT0_T1_T2_jT3_P12ihipStream_tbPNSt15iterator_traitsISG_E10value_typeEPNSM_ISH_E10value_typeEPSI_NS1_7vsmem_tEENKUlT_SG_SH_SI_E_clIPiSA_PsSB_EESF_SV_SG_SH_SI_EUlSV_E0_NS1_11comp_targetILNS1_3genE8ELNS1_11target_archE1030ELNS1_3gpuE2ELNS1_3repE0EEENS1_38merge_mergepath_config_static_selectorELNS0_4arch9wavefront6targetE1EEEvSH_.uses_flat_scratch, 0
	.set _ZN7rocprim17ROCPRIM_400000_NS6detail17trampoline_kernelINS0_14default_configENS1_38merge_sort_block_merge_config_selectorIisEEZZNS1_27merge_sort_block_merge_implIS3_N6thrust23THRUST_200600_302600_NS10device_ptrIiEENS9_IsEEjNS1_19radix_merge_compareILb0ELb0EiNS0_19identity_decomposerEEEEE10hipError_tT0_T1_T2_jT3_P12ihipStream_tbPNSt15iterator_traitsISG_E10value_typeEPNSM_ISH_E10value_typeEPSI_NS1_7vsmem_tEENKUlT_SG_SH_SI_E_clIPiSA_PsSB_EESF_SV_SG_SH_SI_EUlSV_E0_NS1_11comp_targetILNS1_3genE8ELNS1_11target_archE1030ELNS1_3gpuE2ELNS1_3repE0EEENS1_38merge_mergepath_config_static_selectorELNS0_4arch9wavefront6targetE1EEEvSH_.has_dyn_sized_stack, 0
	.set _ZN7rocprim17ROCPRIM_400000_NS6detail17trampoline_kernelINS0_14default_configENS1_38merge_sort_block_merge_config_selectorIisEEZZNS1_27merge_sort_block_merge_implIS3_N6thrust23THRUST_200600_302600_NS10device_ptrIiEENS9_IsEEjNS1_19radix_merge_compareILb0ELb0EiNS0_19identity_decomposerEEEEE10hipError_tT0_T1_T2_jT3_P12ihipStream_tbPNSt15iterator_traitsISG_E10value_typeEPNSM_ISH_E10value_typeEPSI_NS1_7vsmem_tEENKUlT_SG_SH_SI_E_clIPiSA_PsSB_EESF_SV_SG_SH_SI_EUlSV_E0_NS1_11comp_targetILNS1_3genE8ELNS1_11target_archE1030ELNS1_3gpuE2ELNS1_3repE0EEENS1_38merge_mergepath_config_static_selectorELNS0_4arch9wavefront6targetE1EEEvSH_.has_recursion, 0
	.set _ZN7rocprim17ROCPRIM_400000_NS6detail17trampoline_kernelINS0_14default_configENS1_38merge_sort_block_merge_config_selectorIisEEZZNS1_27merge_sort_block_merge_implIS3_N6thrust23THRUST_200600_302600_NS10device_ptrIiEENS9_IsEEjNS1_19radix_merge_compareILb0ELb0EiNS0_19identity_decomposerEEEEE10hipError_tT0_T1_T2_jT3_P12ihipStream_tbPNSt15iterator_traitsISG_E10value_typeEPNSM_ISH_E10value_typeEPSI_NS1_7vsmem_tEENKUlT_SG_SH_SI_E_clIPiSA_PsSB_EESF_SV_SG_SH_SI_EUlSV_E0_NS1_11comp_targetILNS1_3genE8ELNS1_11target_archE1030ELNS1_3gpuE2ELNS1_3repE0EEENS1_38merge_mergepath_config_static_selectorELNS0_4arch9wavefront6targetE1EEEvSH_.has_indirect_call, 0
	.section	.AMDGPU.csdata,"",@progbits
; Kernel info:
; codeLenInByte = 0
; TotalNumSgprs: 6
; NumVgprs: 0
; NumAgprs: 0
; TotalNumVgprs: 0
; ScratchSize: 0
; MemoryBound: 0
; FloatMode: 240
; IeeeMode: 1
; LDSByteSize: 0 bytes/workgroup (compile time only)
; SGPRBlocks: 0
; VGPRBlocks: 0
; NumSGPRsForWavesPerEU: 6
; NumVGPRsForWavesPerEU: 1
; AccumOffset: 4
; Occupancy: 8
; WaveLimiterHint : 0
; COMPUTE_PGM_RSRC2:SCRATCH_EN: 0
; COMPUTE_PGM_RSRC2:USER_SGPR: 2
; COMPUTE_PGM_RSRC2:TRAP_HANDLER: 0
; COMPUTE_PGM_RSRC2:TGID_X_EN: 1
; COMPUTE_PGM_RSRC2:TGID_Y_EN: 0
; COMPUTE_PGM_RSRC2:TGID_Z_EN: 0
; COMPUTE_PGM_RSRC2:TIDIG_COMP_CNT: 0
; COMPUTE_PGM_RSRC3_GFX90A:ACCUM_OFFSET: 0
; COMPUTE_PGM_RSRC3_GFX90A:TG_SPLIT: 0
	.section	.text._ZN7rocprim17ROCPRIM_400000_NS6detail17trampoline_kernelINS0_14default_configENS1_38merge_sort_block_merge_config_selectorIisEEZZNS1_27merge_sort_block_merge_implIS3_N6thrust23THRUST_200600_302600_NS10device_ptrIiEENS9_IsEEjNS1_19radix_merge_compareILb0ELb0EiNS0_19identity_decomposerEEEEE10hipError_tT0_T1_T2_jT3_P12ihipStream_tbPNSt15iterator_traitsISG_E10value_typeEPNSM_ISH_E10value_typeEPSI_NS1_7vsmem_tEENKUlT_SG_SH_SI_E_clIPiSA_PsSB_EESF_SV_SG_SH_SI_EUlSV_E1_NS1_11comp_targetILNS1_3genE0ELNS1_11target_archE4294967295ELNS1_3gpuE0ELNS1_3repE0EEENS1_36merge_oddeven_config_static_selectorELNS0_4arch9wavefront6targetE1EEEvSH_,"axG",@progbits,_ZN7rocprim17ROCPRIM_400000_NS6detail17trampoline_kernelINS0_14default_configENS1_38merge_sort_block_merge_config_selectorIisEEZZNS1_27merge_sort_block_merge_implIS3_N6thrust23THRUST_200600_302600_NS10device_ptrIiEENS9_IsEEjNS1_19radix_merge_compareILb0ELb0EiNS0_19identity_decomposerEEEEE10hipError_tT0_T1_T2_jT3_P12ihipStream_tbPNSt15iterator_traitsISG_E10value_typeEPNSM_ISH_E10value_typeEPSI_NS1_7vsmem_tEENKUlT_SG_SH_SI_E_clIPiSA_PsSB_EESF_SV_SG_SH_SI_EUlSV_E1_NS1_11comp_targetILNS1_3genE0ELNS1_11target_archE4294967295ELNS1_3gpuE0ELNS1_3repE0EEENS1_36merge_oddeven_config_static_selectorELNS0_4arch9wavefront6targetE1EEEvSH_,comdat
	.protected	_ZN7rocprim17ROCPRIM_400000_NS6detail17trampoline_kernelINS0_14default_configENS1_38merge_sort_block_merge_config_selectorIisEEZZNS1_27merge_sort_block_merge_implIS3_N6thrust23THRUST_200600_302600_NS10device_ptrIiEENS9_IsEEjNS1_19radix_merge_compareILb0ELb0EiNS0_19identity_decomposerEEEEE10hipError_tT0_T1_T2_jT3_P12ihipStream_tbPNSt15iterator_traitsISG_E10value_typeEPNSM_ISH_E10value_typeEPSI_NS1_7vsmem_tEENKUlT_SG_SH_SI_E_clIPiSA_PsSB_EESF_SV_SG_SH_SI_EUlSV_E1_NS1_11comp_targetILNS1_3genE0ELNS1_11target_archE4294967295ELNS1_3gpuE0ELNS1_3repE0EEENS1_36merge_oddeven_config_static_selectorELNS0_4arch9wavefront6targetE1EEEvSH_ ; -- Begin function _ZN7rocprim17ROCPRIM_400000_NS6detail17trampoline_kernelINS0_14default_configENS1_38merge_sort_block_merge_config_selectorIisEEZZNS1_27merge_sort_block_merge_implIS3_N6thrust23THRUST_200600_302600_NS10device_ptrIiEENS9_IsEEjNS1_19radix_merge_compareILb0ELb0EiNS0_19identity_decomposerEEEEE10hipError_tT0_T1_T2_jT3_P12ihipStream_tbPNSt15iterator_traitsISG_E10value_typeEPNSM_ISH_E10value_typeEPSI_NS1_7vsmem_tEENKUlT_SG_SH_SI_E_clIPiSA_PsSB_EESF_SV_SG_SH_SI_EUlSV_E1_NS1_11comp_targetILNS1_3genE0ELNS1_11target_archE4294967295ELNS1_3gpuE0ELNS1_3repE0EEENS1_36merge_oddeven_config_static_selectorELNS0_4arch9wavefront6targetE1EEEvSH_
	.globl	_ZN7rocprim17ROCPRIM_400000_NS6detail17trampoline_kernelINS0_14default_configENS1_38merge_sort_block_merge_config_selectorIisEEZZNS1_27merge_sort_block_merge_implIS3_N6thrust23THRUST_200600_302600_NS10device_ptrIiEENS9_IsEEjNS1_19radix_merge_compareILb0ELb0EiNS0_19identity_decomposerEEEEE10hipError_tT0_T1_T2_jT3_P12ihipStream_tbPNSt15iterator_traitsISG_E10value_typeEPNSM_ISH_E10value_typeEPSI_NS1_7vsmem_tEENKUlT_SG_SH_SI_E_clIPiSA_PsSB_EESF_SV_SG_SH_SI_EUlSV_E1_NS1_11comp_targetILNS1_3genE0ELNS1_11target_archE4294967295ELNS1_3gpuE0ELNS1_3repE0EEENS1_36merge_oddeven_config_static_selectorELNS0_4arch9wavefront6targetE1EEEvSH_
	.p2align	8
	.type	_ZN7rocprim17ROCPRIM_400000_NS6detail17trampoline_kernelINS0_14default_configENS1_38merge_sort_block_merge_config_selectorIisEEZZNS1_27merge_sort_block_merge_implIS3_N6thrust23THRUST_200600_302600_NS10device_ptrIiEENS9_IsEEjNS1_19radix_merge_compareILb0ELb0EiNS0_19identity_decomposerEEEEE10hipError_tT0_T1_T2_jT3_P12ihipStream_tbPNSt15iterator_traitsISG_E10value_typeEPNSM_ISH_E10value_typeEPSI_NS1_7vsmem_tEENKUlT_SG_SH_SI_E_clIPiSA_PsSB_EESF_SV_SG_SH_SI_EUlSV_E1_NS1_11comp_targetILNS1_3genE0ELNS1_11target_archE4294967295ELNS1_3gpuE0ELNS1_3repE0EEENS1_36merge_oddeven_config_static_selectorELNS0_4arch9wavefront6targetE1EEEvSH_,@function
_ZN7rocprim17ROCPRIM_400000_NS6detail17trampoline_kernelINS0_14default_configENS1_38merge_sort_block_merge_config_selectorIisEEZZNS1_27merge_sort_block_merge_implIS3_N6thrust23THRUST_200600_302600_NS10device_ptrIiEENS9_IsEEjNS1_19radix_merge_compareILb0ELb0EiNS0_19identity_decomposerEEEEE10hipError_tT0_T1_T2_jT3_P12ihipStream_tbPNSt15iterator_traitsISG_E10value_typeEPNSM_ISH_E10value_typeEPSI_NS1_7vsmem_tEENKUlT_SG_SH_SI_E_clIPiSA_PsSB_EESF_SV_SG_SH_SI_EUlSV_E1_NS1_11comp_targetILNS1_3genE0ELNS1_11target_archE4294967295ELNS1_3gpuE0ELNS1_3repE0EEENS1_36merge_oddeven_config_static_selectorELNS0_4arch9wavefront6targetE1EEEvSH_: ; @_ZN7rocprim17ROCPRIM_400000_NS6detail17trampoline_kernelINS0_14default_configENS1_38merge_sort_block_merge_config_selectorIisEEZZNS1_27merge_sort_block_merge_implIS3_N6thrust23THRUST_200600_302600_NS10device_ptrIiEENS9_IsEEjNS1_19radix_merge_compareILb0ELb0EiNS0_19identity_decomposerEEEEE10hipError_tT0_T1_T2_jT3_P12ihipStream_tbPNSt15iterator_traitsISG_E10value_typeEPNSM_ISH_E10value_typeEPSI_NS1_7vsmem_tEENKUlT_SG_SH_SI_E_clIPiSA_PsSB_EESF_SV_SG_SH_SI_EUlSV_E1_NS1_11comp_targetILNS1_3genE0ELNS1_11target_archE4294967295ELNS1_3gpuE0ELNS1_3repE0EEENS1_36merge_oddeven_config_static_selectorELNS0_4arch9wavefront6targetE1EEEvSH_
; %bb.0:
	s_load_dword s18, s[0:1], 0x20
	s_waitcnt lgkmcnt(0)
	s_lshr_b32 s3, s18, 8
	s_cmp_eq_u32 s2, s3
	s_cselect_b64 s[6:7], -1, 0
	s_cmp_lg_u32 s2, s3
	s_cselect_b64 s[8:9], -1, 0
	s_lshl_b32 s16, s2, 8
	s_sub_i32 s3, s18, s16
	v_cmp_gt_u32_e64 s[4:5], s3, v0
	s_or_b64 s[8:9], s[8:9], s[4:5]
	s_and_saveexec_b64 s[10:11], s[8:9]
	s_cbranch_execz .LBB2306_24
; %bb.1:
	s_load_dwordx8 s[8:15], s[0:1], 0x0
	s_mov_b32 s17, 0
	s_lshl_b64 s[20:21], s[16:17], 2
	v_lshlrev_b32_e32 v4, 1, v0
	v_lshlrev_b32_e32 v1, 2, v0
	s_waitcnt lgkmcnt(0)
	s_add_u32 s20, s8, s20
	s_addc_u32 s21, s9, s21
	s_lshl_b64 s[22:23], s[16:17], 1
	s_add_u32 s12, s12, s22
	s_addc_u32 s13, s13, s23
	global_load_ushort v2, v4, s[12:13]
	global_load_dword v3, v1, s[20:21]
	s_load_dword s17, s[0:1], 0x24
	v_add_u32_e32 v0, s16, v0
	s_waitcnt lgkmcnt(0)
	s_lshr_b32 s0, s17, 8
	s_sub_i32 s1, 0, s0
	s_and_b32 s1, s2, s1
	s_and_b32 s0, s1, s0
	s_lshl_b32 s19, s1, 8
	s_sub_i32 s12, 0, s17
	s_cmp_eq_u32 s0, 0
	s_cselect_b64 s[0:1], -1, 0
	s_and_b64 s[2:3], s[0:1], exec
	s_cselect_b32 s12, s17, s12
	s_add_i32 s12, s12, s19
	s_mov_b64 s[2:3], -1
	s_cmp_gt_u32 s18, s12
	s_cbranch_scc1 .LBB2306_9
; %bb.2:
	s_and_b64 vcc, exec, s[6:7]
	s_cbranch_vccz .LBB2306_6
; %bb.3:
	v_cmp_gt_u32_e32 vcc, s18, v0
	s_and_saveexec_b64 s[2:3], vcc
	s_cbranch_execz .LBB2306_5
; %bb.4:
	v_mov_b32_e32 v1, 0
	v_lshl_add_u64 v[4:5], v[0:1], 2, s[10:11]
	v_lshl_add_u64 v[6:7], v[0:1], 1, s[14:15]
	s_waitcnt vmcnt(0)
	global_store_dword v[4:5], v3, off
	global_store_short v[6:7], v2, off
.LBB2306_5:
	s_or_b64 exec, exec, s[2:3]
	s_mov_b64 s[2:3], 0
.LBB2306_6:
	s_andn2_b64 vcc, exec, s[2:3]
	s_cbranch_vccnz .LBB2306_8
; %bb.7:
	v_mov_b32_e32 v1, 0
	v_lshl_add_u64 v[4:5], v[0:1], 2, s[10:11]
	v_lshl_add_u64 v[6:7], v[0:1], 1, s[14:15]
	s_waitcnt vmcnt(0)
	global_store_dword v[4:5], v3, off
	global_store_short v[6:7], v2, off
.LBB2306_8:
	s_mov_b64 s[2:3], 0
.LBB2306_9:
	s_andn2_b64 vcc, exec, s[2:3]
	s_cbranch_vccnz .LBB2306_24
; %bb.10:
	s_min_u32 s13, s12, s18
	s_add_i32 s2, s13, s17
	s_min_u32 s16, s2, s18
	s_min_u32 s2, s19, s13
	s_add_i32 s19, s19, s13
	v_subrev_u32_e32 v0, s19, v0
	v_add_u32_e32 v4, s2, v0
	s_andn2_b64 vcc, exec, s[6:7]
	s_mov_b64 s[2:3], -1
	s_cbranch_vccnz .LBB2306_18
; %bb.11:
	s_and_saveexec_b64 s[2:3], s[4:5]
	s_cbranch_execz .LBB2306_17
; %bb.12:
	s_cmp_ge_u32 s12, s16
	v_mov_b32_e32 v5, s13
	s_cbranch_scc1 .LBB2306_16
; %bb.13:
	s_mov_b64 s[4:5], 0
	v_mov_b32_e32 v6, s16
	v_mov_b32_e32 v5, s13
	;; [unrolled: 1-line block ×3, first 2 shown]
.LBB2306_14:                            ; =>This Inner Loop Header: Depth=1
	v_add_u32_e32 v0, v5, v6
	v_lshrrev_b32_e32 v0, 1, v0
	v_lshl_add_u64 v[8:9], v[0:1], 2, s[8:9]
	global_load_dword v7, v[8:9], off
	v_add_u32_e32 v8, 1, v0
	s_waitcnt vmcnt(0)
	v_cmp_gt_i32_e32 vcc, v3, v7
	s_nop 1
	v_cndmask_b32_e64 v9, 0, 1, vcc
	v_cmp_le_i32_e32 vcc, v7, v3
	s_nop 1
	v_cndmask_b32_e64 v7, 0, 1, vcc
	v_cndmask_b32_e64 v7, v7, v9, s[0:1]
	v_and_b32_e32 v7, 1, v7
	v_cmp_eq_u32_e32 vcc, 1, v7
	s_nop 1
	v_cndmask_b32_e32 v6, v0, v6, vcc
	v_cndmask_b32_e32 v5, v5, v8, vcc
	v_cmp_ge_u32_e32 vcc, v5, v6
	s_or_b64 s[4:5], vcc, s[4:5]
	s_andn2_b64 exec, exec, s[4:5]
	s_cbranch_execnz .LBB2306_14
; %bb.15:
	s_or_b64 exec, exec, s[4:5]
.LBB2306_16:
	v_add_u32_e32 v0, v5, v4
	v_mov_b32_e32 v1, 0
	v_lshl_add_u64 v[6:7], v[0:1], 2, s[10:11]
	v_lshl_add_u64 v[0:1], v[0:1], 1, s[14:15]
	s_waitcnt vmcnt(0)
	global_store_dword v[6:7], v3, off
	global_store_short v[0:1], v2, off
.LBB2306_17:
	s_or_b64 exec, exec, s[2:3]
	s_mov_b64 s[2:3], 0
.LBB2306_18:
	s_andn2_b64 vcc, exec, s[2:3]
	s_cbranch_vccnz .LBB2306_24
; %bb.19:
	s_cmp_ge_u32 s12, s16
	v_mov_b32_e32 v5, s13
	s_cbranch_scc1 .LBB2306_23
; %bb.20:
	s_mov_b64 s[2:3], 0
	v_mov_b32_e32 v6, s16
	v_mov_b32_e32 v5, s13
	;; [unrolled: 1-line block ×3, first 2 shown]
.LBB2306_21:                            ; =>This Inner Loop Header: Depth=1
	v_add_u32_e32 v0, v5, v6
	v_lshrrev_b32_e32 v0, 1, v0
	v_lshl_add_u64 v[8:9], v[0:1], 2, s[8:9]
	global_load_dword v7, v[8:9], off
	v_add_u32_e32 v8, 1, v0
	s_waitcnt vmcnt(0)
	v_cmp_gt_i32_e32 vcc, v3, v7
	s_nop 1
	v_cndmask_b32_e64 v9, 0, 1, vcc
	v_cmp_le_i32_e32 vcc, v7, v3
	s_nop 1
	v_cndmask_b32_e64 v7, 0, 1, vcc
	v_cndmask_b32_e64 v7, v7, v9, s[0:1]
	v_and_b32_e32 v7, 1, v7
	v_cmp_eq_u32_e32 vcc, 1, v7
	s_nop 1
	v_cndmask_b32_e32 v6, v0, v6, vcc
	v_cndmask_b32_e32 v5, v5, v8, vcc
	v_cmp_ge_u32_e32 vcc, v5, v6
	s_or_b64 s[2:3], vcc, s[2:3]
	s_andn2_b64 exec, exec, s[2:3]
	s_cbranch_execnz .LBB2306_21
; %bb.22:
	s_or_b64 exec, exec, s[2:3]
.LBB2306_23:
	v_add_u32_e32 v0, v5, v4
	v_mov_b32_e32 v1, 0
	v_lshl_add_u64 v[4:5], v[0:1], 2, s[10:11]
	v_lshl_add_u64 v[0:1], v[0:1], 1, s[14:15]
	s_waitcnt vmcnt(0)
	global_store_dword v[4:5], v3, off
	global_store_short v[0:1], v2, off
.LBB2306_24:
	s_endpgm
	.section	.rodata,"a",@progbits
	.p2align	6, 0x0
	.amdhsa_kernel _ZN7rocprim17ROCPRIM_400000_NS6detail17trampoline_kernelINS0_14default_configENS1_38merge_sort_block_merge_config_selectorIisEEZZNS1_27merge_sort_block_merge_implIS3_N6thrust23THRUST_200600_302600_NS10device_ptrIiEENS9_IsEEjNS1_19radix_merge_compareILb0ELb0EiNS0_19identity_decomposerEEEEE10hipError_tT0_T1_T2_jT3_P12ihipStream_tbPNSt15iterator_traitsISG_E10value_typeEPNSM_ISH_E10value_typeEPSI_NS1_7vsmem_tEENKUlT_SG_SH_SI_E_clIPiSA_PsSB_EESF_SV_SG_SH_SI_EUlSV_E1_NS1_11comp_targetILNS1_3genE0ELNS1_11target_archE4294967295ELNS1_3gpuE0ELNS1_3repE0EEENS1_36merge_oddeven_config_static_selectorELNS0_4arch9wavefront6targetE1EEEvSH_
		.amdhsa_group_segment_fixed_size 0
		.amdhsa_private_segment_fixed_size 0
		.amdhsa_kernarg_size 48
		.amdhsa_user_sgpr_count 2
		.amdhsa_user_sgpr_dispatch_ptr 0
		.amdhsa_user_sgpr_queue_ptr 0
		.amdhsa_user_sgpr_kernarg_segment_ptr 1
		.amdhsa_user_sgpr_dispatch_id 0
		.amdhsa_user_sgpr_kernarg_preload_length 0
		.amdhsa_user_sgpr_kernarg_preload_offset 0
		.amdhsa_user_sgpr_private_segment_size 0
		.amdhsa_uses_dynamic_stack 0
		.amdhsa_enable_private_segment 0
		.amdhsa_system_sgpr_workgroup_id_x 1
		.amdhsa_system_sgpr_workgroup_id_y 0
		.amdhsa_system_sgpr_workgroup_id_z 0
		.amdhsa_system_sgpr_workgroup_info 0
		.amdhsa_system_vgpr_workitem_id 0
		.amdhsa_next_free_vgpr 10
		.amdhsa_next_free_sgpr 24
		.amdhsa_accum_offset 12
		.amdhsa_reserve_vcc 1
		.amdhsa_float_round_mode_32 0
		.amdhsa_float_round_mode_16_64 0
		.amdhsa_float_denorm_mode_32 3
		.amdhsa_float_denorm_mode_16_64 3
		.amdhsa_dx10_clamp 1
		.amdhsa_ieee_mode 1
		.amdhsa_fp16_overflow 0
		.amdhsa_tg_split 0
		.amdhsa_exception_fp_ieee_invalid_op 0
		.amdhsa_exception_fp_denorm_src 0
		.amdhsa_exception_fp_ieee_div_zero 0
		.amdhsa_exception_fp_ieee_overflow 0
		.amdhsa_exception_fp_ieee_underflow 0
		.amdhsa_exception_fp_ieee_inexact 0
		.amdhsa_exception_int_div_zero 0
	.end_amdhsa_kernel
	.section	.text._ZN7rocprim17ROCPRIM_400000_NS6detail17trampoline_kernelINS0_14default_configENS1_38merge_sort_block_merge_config_selectorIisEEZZNS1_27merge_sort_block_merge_implIS3_N6thrust23THRUST_200600_302600_NS10device_ptrIiEENS9_IsEEjNS1_19radix_merge_compareILb0ELb0EiNS0_19identity_decomposerEEEEE10hipError_tT0_T1_T2_jT3_P12ihipStream_tbPNSt15iterator_traitsISG_E10value_typeEPNSM_ISH_E10value_typeEPSI_NS1_7vsmem_tEENKUlT_SG_SH_SI_E_clIPiSA_PsSB_EESF_SV_SG_SH_SI_EUlSV_E1_NS1_11comp_targetILNS1_3genE0ELNS1_11target_archE4294967295ELNS1_3gpuE0ELNS1_3repE0EEENS1_36merge_oddeven_config_static_selectorELNS0_4arch9wavefront6targetE1EEEvSH_,"axG",@progbits,_ZN7rocprim17ROCPRIM_400000_NS6detail17trampoline_kernelINS0_14default_configENS1_38merge_sort_block_merge_config_selectorIisEEZZNS1_27merge_sort_block_merge_implIS3_N6thrust23THRUST_200600_302600_NS10device_ptrIiEENS9_IsEEjNS1_19radix_merge_compareILb0ELb0EiNS0_19identity_decomposerEEEEE10hipError_tT0_T1_T2_jT3_P12ihipStream_tbPNSt15iterator_traitsISG_E10value_typeEPNSM_ISH_E10value_typeEPSI_NS1_7vsmem_tEENKUlT_SG_SH_SI_E_clIPiSA_PsSB_EESF_SV_SG_SH_SI_EUlSV_E1_NS1_11comp_targetILNS1_3genE0ELNS1_11target_archE4294967295ELNS1_3gpuE0ELNS1_3repE0EEENS1_36merge_oddeven_config_static_selectorELNS0_4arch9wavefront6targetE1EEEvSH_,comdat
.Lfunc_end2306:
	.size	_ZN7rocprim17ROCPRIM_400000_NS6detail17trampoline_kernelINS0_14default_configENS1_38merge_sort_block_merge_config_selectorIisEEZZNS1_27merge_sort_block_merge_implIS3_N6thrust23THRUST_200600_302600_NS10device_ptrIiEENS9_IsEEjNS1_19radix_merge_compareILb0ELb0EiNS0_19identity_decomposerEEEEE10hipError_tT0_T1_T2_jT3_P12ihipStream_tbPNSt15iterator_traitsISG_E10value_typeEPNSM_ISH_E10value_typeEPSI_NS1_7vsmem_tEENKUlT_SG_SH_SI_E_clIPiSA_PsSB_EESF_SV_SG_SH_SI_EUlSV_E1_NS1_11comp_targetILNS1_3genE0ELNS1_11target_archE4294967295ELNS1_3gpuE0ELNS1_3repE0EEENS1_36merge_oddeven_config_static_selectorELNS0_4arch9wavefront6targetE1EEEvSH_, .Lfunc_end2306-_ZN7rocprim17ROCPRIM_400000_NS6detail17trampoline_kernelINS0_14default_configENS1_38merge_sort_block_merge_config_selectorIisEEZZNS1_27merge_sort_block_merge_implIS3_N6thrust23THRUST_200600_302600_NS10device_ptrIiEENS9_IsEEjNS1_19radix_merge_compareILb0ELb0EiNS0_19identity_decomposerEEEEE10hipError_tT0_T1_T2_jT3_P12ihipStream_tbPNSt15iterator_traitsISG_E10value_typeEPNSM_ISH_E10value_typeEPSI_NS1_7vsmem_tEENKUlT_SG_SH_SI_E_clIPiSA_PsSB_EESF_SV_SG_SH_SI_EUlSV_E1_NS1_11comp_targetILNS1_3genE0ELNS1_11target_archE4294967295ELNS1_3gpuE0ELNS1_3repE0EEENS1_36merge_oddeven_config_static_selectorELNS0_4arch9wavefront6targetE1EEEvSH_
                                        ; -- End function
	.set _ZN7rocprim17ROCPRIM_400000_NS6detail17trampoline_kernelINS0_14default_configENS1_38merge_sort_block_merge_config_selectorIisEEZZNS1_27merge_sort_block_merge_implIS3_N6thrust23THRUST_200600_302600_NS10device_ptrIiEENS9_IsEEjNS1_19radix_merge_compareILb0ELb0EiNS0_19identity_decomposerEEEEE10hipError_tT0_T1_T2_jT3_P12ihipStream_tbPNSt15iterator_traitsISG_E10value_typeEPNSM_ISH_E10value_typeEPSI_NS1_7vsmem_tEENKUlT_SG_SH_SI_E_clIPiSA_PsSB_EESF_SV_SG_SH_SI_EUlSV_E1_NS1_11comp_targetILNS1_3genE0ELNS1_11target_archE4294967295ELNS1_3gpuE0ELNS1_3repE0EEENS1_36merge_oddeven_config_static_selectorELNS0_4arch9wavefront6targetE1EEEvSH_.num_vgpr, 10
	.set _ZN7rocprim17ROCPRIM_400000_NS6detail17trampoline_kernelINS0_14default_configENS1_38merge_sort_block_merge_config_selectorIisEEZZNS1_27merge_sort_block_merge_implIS3_N6thrust23THRUST_200600_302600_NS10device_ptrIiEENS9_IsEEjNS1_19radix_merge_compareILb0ELb0EiNS0_19identity_decomposerEEEEE10hipError_tT0_T1_T2_jT3_P12ihipStream_tbPNSt15iterator_traitsISG_E10value_typeEPNSM_ISH_E10value_typeEPSI_NS1_7vsmem_tEENKUlT_SG_SH_SI_E_clIPiSA_PsSB_EESF_SV_SG_SH_SI_EUlSV_E1_NS1_11comp_targetILNS1_3genE0ELNS1_11target_archE4294967295ELNS1_3gpuE0ELNS1_3repE0EEENS1_36merge_oddeven_config_static_selectorELNS0_4arch9wavefront6targetE1EEEvSH_.num_agpr, 0
	.set _ZN7rocprim17ROCPRIM_400000_NS6detail17trampoline_kernelINS0_14default_configENS1_38merge_sort_block_merge_config_selectorIisEEZZNS1_27merge_sort_block_merge_implIS3_N6thrust23THRUST_200600_302600_NS10device_ptrIiEENS9_IsEEjNS1_19radix_merge_compareILb0ELb0EiNS0_19identity_decomposerEEEEE10hipError_tT0_T1_T2_jT3_P12ihipStream_tbPNSt15iterator_traitsISG_E10value_typeEPNSM_ISH_E10value_typeEPSI_NS1_7vsmem_tEENKUlT_SG_SH_SI_E_clIPiSA_PsSB_EESF_SV_SG_SH_SI_EUlSV_E1_NS1_11comp_targetILNS1_3genE0ELNS1_11target_archE4294967295ELNS1_3gpuE0ELNS1_3repE0EEENS1_36merge_oddeven_config_static_selectorELNS0_4arch9wavefront6targetE1EEEvSH_.numbered_sgpr, 24
	.set _ZN7rocprim17ROCPRIM_400000_NS6detail17trampoline_kernelINS0_14default_configENS1_38merge_sort_block_merge_config_selectorIisEEZZNS1_27merge_sort_block_merge_implIS3_N6thrust23THRUST_200600_302600_NS10device_ptrIiEENS9_IsEEjNS1_19radix_merge_compareILb0ELb0EiNS0_19identity_decomposerEEEEE10hipError_tT0_T1_T2_jT3_P12ihipStream_tbPNSt15iterator_traitsISG_E10value_typeEPNSM_ISH_E10value_typeEPSI_NS1_7vsmem_tEENKUlT_SG_SH_SI_E_clIPiSA_PsSB_EESF_SV_SG_SH_SI_EUlSV_E1_NS1_11comp_targetILNS1_3genE0ELNS1_11target_archE4294967295ELNS1_3gpuE0ELNS1_3repE0EEENS1_36merge_oddeven_config_static_selectorELNS0_4arch9wavefront6targetE1EEEvSH_.num_named_barrier, 0
	.set _ZN7rocprim17ROCPRIM_400000_NS6detail17trampoline_kernelINS0_14default_configENS1_38merge_sort_block_merge_config_selectorIisEEZZNS1_27merge_sort_block_merge_implIS3_N6thrust23THRUST_200600_302600_NS10device_ptrIiEENS9_IsEEjNS1_19radix_merge_compareILb0ELb0EiNS0_19identity_decomposerEEEEE10hipError_tT0_T1_T2_jT3_P12ihipStream_tbPNSt15iterator_traitsISG_E10value_typeEPNSM_ISH_E10value_typeEPSI_NS1_7vsmem_tEENKUlT_SG_SH_SI_E_clIPiSA_PsSB_EESF_SV_SG_SH_SI_EUlSV_E1_NS1_11comp_targetILNS1_3genE0ELNS1_11target_archE4294967295ELNS1_3gpuE0ELNS1_3repE0EEENS1_36merge_oddeven_config_static_selectorELNS0_4arch9wavefront6targetE1EEEvSH_.private_seg_size, 0
	.set _ZN7rocprim17ROCPRIM_400000_NS6detail17trampoline_kernelINS0_14default_configENS1_38merge_sort_block_merge_config_selectorIisEEZZNS1_27merge_sort_block_merge_implIS3_N6thrust23THRUST_200600_302600_NS10device_ptrIiEENS9_IsEEjNS1_19radix_merge_compareILb0ELb0EiNS0_19identity_decomposerEEEEE10hipError_tT0_T1_T2_jT3_P12ihipStream_tbPNSt15iterator_traitsISG_E10value_typeEPNSM_ISH_E10value_typeEPSI_NS1_7vsmem_tEENKUlT_SG_SH_SI_E_clIPiSA_PsSB_EESF_SV_SG_SH_SI_EUlSV_E1_NS1_11comp_targetILNS1_3genE0ELNS1_11target_archE4294967295ELNS1_3gpuE0ELNS1_3repE0EEENS1_36merge_oddeven_config_static_selectorELNS0_4arch9wavefront6targetE1EEEvSH_.uses_vcc, 1
	.set _ZN7rocprim17ROCPRIM_400000_NS6detail17trampoline_kernelINS0_14default_configENS1_38merge_sort_block_merge_config_selectorIisEEZZNS1_27merge_sort_block_merge_implIS3_N6thrust23THRUST_200600_302600_NS10device_ptrIiEENS9_IsEEjNS1_19radix_merge_compareILb0ELb0EiNS0_19identity_decomposerEEEEE10hipError_tT0_T1_T2_jT3_P12ihipStream_tbPNSt15iterator_traitsISG_E10value_typeEPNSM_ISH_E10value_typeEPSI_NS1_7vsmem_tEENKUlT_SG_SH_SI_E_clIPiSA_PsSB_EESF_SV_SG_SH_SI_EUlSV_E1_NS1_11comp_targetILNS1_3genE0ELNS1_11target_archE4294967295ELNS1_3gpuE0ELNS1_3repE0EEENS1_36merge_oddeven_config_static_selectorELNS0_4arch9wavefront6targetE1EEEvSH_.uses_flat_scratch, 0
	.set _ZN7rocprim17ROCPRIM_400000_NS6detail17trampoline_kernelINS0_14default_configENS1_38merge_sort_block_merge_config_selectorIisEEZZNS1_27merge_sort_block_merge_implIS3_N6thrust23THRUST_200600_302600_NS10device_ptrIiEENS9_IsEEjNS1_19radix_merge_compareILb0ELb0EiNS0_19identity_decomposerEEEEE10hipError_tT0_T1_T2_jT3_P12ihipStream_tbPNSt15iterator_traitsISG_E10value_typeEPNSM_ISH_E10value_typeEPSI_NS1_7vsmem_tEENKUlT_SG_SH_SI_E_clIPiSA_PsSB_EESF_SV_SG_SH_SI_EUlSV_E1_NS1_11comp_targetILNS1_3genE0ELNS1_11target_archE4294967295ELNS1_3gpuE0ELNS1_3repE0EEENS1_36merge_oddeven_config_static_selectorELNS0_4arch9wavefront6targetE1EEEvSH_.has_dyn_sized_stack, 0
	.set _ZN7rocprim17ROCPRIM_400000_NS6detail17trampoline_kernelINS0_14default_configENS1_38merge_sort_block_merge_config_selectorIisEEZZNS1_27merge_sort_block_merge_implIS3_N6thrust23THRUST_200600_302600_NS10device_ptrIiEENS9_IsEEjNS1_19radix_merge_compareILb0ELb0EiNS0_19identity_decomposerEEEEE10hipError_tT0_T1_T2_jT3_P12ihipStream_tbPNSt15iterator_traitsISG_E10value_typeEPNSM_ISH_E10value_typeEPSI_NS1_7vsmem_tEENKUlT_SG_SH_SI_E_clIPiSA_PsSB_EESF_SV_SG_SH_SI_EUlSV_E1_NS1_11comp_targetILNS1_3genE0ELNS1_11target_archE4294967295ELNS1_3gpuE0ELNS1_3repE0EEENS1_36merge_oddeven_config_static_selectorELNS0_4arch9wavefront6targetE1EEEvSH_.has_recursion, 0
	.set _ZN7rocprim17ROCPRIM_400000_NS6detail17trampoline_kernelINS0_14default_configENS1_38merge_sort_block_merge_config_selectorIisEEZZNS1_27merge_sort_block_merge_implIS3_N6thrust23THRUST_200600_302600_NS10device_ptrIiEENS9_IsEEjNS1_19radix_merge_compareILb0ELb0EiNS0_19identity_decomposerEEEEE10hipError_tT0_T1_T2_jT3_P12ihipStream_tbPNSt15iterator_traitsISG_E10value_typeEPNSM_ISH_E10value_typeEPSI_NS1_7vsmem_tEENKUlT_SG_SH_SI_E_clIPiSA_PsSB_EESF_SV_SG_SH_SI_EUlSV_E1_NS1_11comp_targetILNS1_3genE0ELNS1_11target_archE4294967295ELNS1_3gpuE0ELNS1_3repE0EEENS1_36merge_oddeven_config_static_selectorELNS0_4arch9wavefront6targetE1EEEvSH_.has_indirect_call, 0
	.section	.AMDGPU.csdata,"",@progbits
; Kernel info:
; codeLenInByte = 760
; TotalNumSgprs: 30
; NumVgprs: 10
; NumAgprs: 0
; TotalNumVgprs: 10
; ScratchSize: 0
; MemoryBound: 0
; FloatMode: 240
; IeeeMode: 1
; LDSByteSize: 0 bytes/workgroup (compile time only)
; SGPRBlocks: 3
; VGPRBlocks: 1
; NumSGPRsForWavesPerEU: 30
; NumVGPRsForWavesPerEU: 10
; AccumOffset: 12
; Occupancy: 8
; WaveLimiterHint : 0
; COMPUTE_PGM_RSRC2:SCRATCH_EN: 0
; COMPUTE_PGM_RSRC2:USER_SGPR: 2
; COMPUTE_PGM_RSRC2:TRAP_HANDLER: 0
; COMPUTE_PGM_RSRC2:TGID_X_EN: 1
; COMPUTE_PGM_RSRC2:TGID_Y_EN: 0
; COMPUTE_PGM_RSRC2:TGID_Z_EN: 0
; COMPUTE_PGM_RSRC2:TIDIG_COMP_CNT: 0
; COMPUTE_PGM_RSRC3_GFX90A:ACCUM_OFFSET: 2
; COMPUTE_PGM_RSRC3_GFX90A:TG_SPLIT: 0
	.section	.text._ZN7rocprim17ROCPRIM_400000_NS6detail17trampoline_kernelINS0_14default_configENS1_38merge_sort_block_merge_config_selectorIisEEZZNS1_27merge_sort_block_merge_implIS3_N6thrust23THRUST_200600_302600_NS10device_ptrIiEENS9_IsEEjNS1_19radix_merge_compareILb0ELb0EiNS0_19identity_decomposerEEEEE10hipError_tT0_T1_T2_jT3_P12ihipStream_tbPNSt15iterator_traitsISG_E10value_typeEPNSM_ISH_E10value_typeEPSI_NS1_7vsmem_tEENKUlT_SG_SH_SI_E_clIPiSA_PsSB_EESF_SV_SG_SH_SI_EUlSV_E1_NS1_11comp_targetILNS1_3genE10ELNS1_11target_archE1201ELNS1_3gpuE5ELNS1_3repE0EEENS1_36merge_oddeven_config_static_selectorELNS0_4arch9wavefront6targetE1EEEvSH_,"axG",@progbits,_ZN7rocprim17ROCPRIM_400000_NS6detail17trampoline_kernelINS0_14default_configENS1_38merge_sort_block_merge_config_selectorIisEEZZNS1_27merge_sort_block_merge_implIS3_N6thrust23THRUST_200600_302600_NS10device_ptrIiEENS9_IsEEjNS1_19radix_merge_compareILb0ELb0EiNS0_19identity_decomposerEEEEE10hipError_tT0_T1_T2_jT3_P12ihipStream_tbPNSt15iterator_traitsISG_E10value_typeEPNSM_ISH_E10value_typeEPSI_NS1_7vsmem_tEENKUlT_SG_SH_SI_E_clIPiSA_PsSB_EESF_SV_SG_SH_SI_EUlSV_E1_NS1_11comp_targetILNS1_3genE10ELNS1_11target_archE1201ELNS1_3gpuE5ELNS1_3repE0EEENS1_36merge_oddeven_config_static_selectorELNS0_4arch9wavefront6targetE1EEEvSH_,comdat
	.protected	_ZN7rocprim17ROCPRIM_400000_NS6detail17trampoline_kernelINS0_14default_configENS1_38merge_sort_block_merge_config_selectorIisEEZZNS1_27merge_sort_block_merge_implIS3_N6thrust23THRUST_200600_302600_NS10device_ptrIiEENS9_IsEEjNS1_19radix_merge_compareILb0ELb0EiNS0_19identity_decomposerEEEEE10hipError_tT0_T1_T2_jT3_P12ihipStream_tbPNSt15iterator_traitsISG_E10value_typeEPNSM_ISH_E10value_typeEPSI_NS1_7vsmem_tEENKUlT_SG_SH_SI_E_clIPiSA_PsSB_EESF_SV_SG_SH_SI_EUlSV_E1_NS1_11comp_targetILNS1_3genE10ELNS1_11target_archE1201ELNS1_3gpuE5ELNS1_3repE0EEENS1_36merge_oddeven_config_static_selectorELNS0_4arch9wavefront6targetE1EEEvSH_ ; -- Begin function _ZN7rocprim17ROCPRIM_400000_NS6detail17trampoline_kernelINS0_14default_configENS1_38merge_sort_block_merge_config_selectorIisEEZZNS1_27merge_sort_block_merge_implIS3_N6thrust23THRUST_200600_302600_NS10device_ptrIiEENS9_IsEEjNS1_19radix_merge_compareILb0ELb0EiNS0_19identity_decomposerEEEEE10hipError_tT0_T1_T2_jT3_P12ihipStream_tbPNSt15iterator_traitsISG_E10value_typeEPNSM_ISH_E10value_typeEPSI_NS1_7vsmem_tEENKUlT_SG_SH_SI_E_clIPiSA_PsSB_EESF_SV_SG_SH_SI_EUlSV_E1_NS1_11comp_targetILNS1_3genE10ELNS1_11target_archE1201ELNS1_3gpuE5ELNS1_3repE0EEENS1_36merge_oddeven_config_static_selectorELNS0_4arch9wavefront6targetE1EEEvSH_
	.globl	_ZN7rocprim17ROCPRIM_400000_NS6detail17trampoline_kernelINS0_14default_configENS1_38merge_sort_block_merge_config_selectorIisEEZZNS1_27merge_sort_block_merge_implIS3_N6thrust23THRUST_200600_302600_NS10device_ptrIiEENS9_IsEEjNS1_19radix_merge_compareILb0ELb0EiNS0_19identity_decomposerEEEEE10hipError_tT0_T1_T2_jT3_P12ihipStream_tbPNSt15iterator_traitsISG_E10value_typeEPNSM_ISH_E10value_typeEPSI_NS1_7vsmem_tEENKUlT_SG_SH_SI_E_clIPiSA_PsSB_EESF_SV_SG_SH_SI_EUlSV_E1_NS1_11comp_targetILNS1_3genE10ELNS1_11target_archE1201ELNS1_3gpuE5ELNS1_3repE0EEENS1_36merge_oddeven_config_static_selectorELNS0_4arch9wavefront6targetE1EEEvSH_
	.p2align	8
	.type	_ZN7rocprim17ROCPRIM_400000_NS6detail17trampoline_kernelINS0_14default_configENS1_38merge_sort_block_merge_config_selectorIisEEZZNS1_27merge_sort_block_merge_implIS3_N6thrust23THRUST_200600_302600_NS10device_ptrIiEENS9_IsEEjNS1_19radix_merge_compareILb0ELb0EiNS0_19identity_decomposerEEEEE10hipError_tT0_T1_T2_jT3_P12ihipStream_tbPNSt15iterator_traitsISG_E10value_typeEPNSM_ISH_E10value_typeEPSI_NS1_7vsmem_tEENKUlT_SG_SH_SI_E_clIPiSA_PsSB_EESF_SV_SG_SH_SI_EUlSV_E1_NS1_11comp_targetILNS1_3genE10ELNS1_11target_archE1201ELNS1_3gpuE5ELNS1_3repE0EEENS1_36merge_oddeven_config_static_selectorELNS0_4arch9wavefront6targetE1EEEvSH_,@function
_ZN7rocprim17ROCPRIM_400000_NS6detail17trampoline_kernelINS0_14default_configENS1_38merge_sort_block_merge_config_selectorIisEEZZNS1_27merge_sort_block_merge_implIS3_N6thrust23THRUST_200600_302600_NS10device_ptrIiEENS9_IsEEjNS1_19radix_merge_compareILb0ELb0EiNS0_19identity_decomposerEEEEE10hipError_tT0_T1_T2_jT3_P12ihipStream_tbPNSt15iterator_traitsISG_E10value_typeEPNSM_ISH_E10value_typeEPSI_NS1_7vsmem_tEENKUlT_SG_SH_SI_E_clIPiSA_PsSB_EESF_SV_SG_SH_SI_EUlSV_E1_NS1_11comp_targetILNS1_3genE10ELNS1_11target_archE1201ELNS1_3gpuE5ELNS1_3repE0EEENS1_36merge_oddeven_config_static_selectorELNS0_4arch9wavefront6targetE1EEEvSH_: ; @_ZN7rocprim17ROCPRIM_400000_NS6detail17trampoline_kernelINS0_14default_configENS1_38merge_sort_block_merge_config_selectorIisEEZZNS1_27merge_sort_block_merge_implIS3_N6thrust23THRUST_200600_302600_NS10device_ptrIiEENS9_IsEEjNS1_19radix_merge_compareILb0ELb0EiNS0_19identity_decomposerEEEEE10hipError_tT0_T1_T2_jT3_P12ihipStream_tbPNSt15iterator_traitsISG_E10value_typeEPNSM_ISH_E10value_typeEPSI_NS1_7vsmem_tEENKUlT_SG_SH_SI_E_clIPiSA_PsSB_EESF_SV_SG_SH_SI_EUlSV_E1_NS1_11comp_targetILNS1_3genE10ELNS1_11target_archE1201ELNS1_3gpuE5ELNS1_3repE0EEENS1_36merge_oddeven_config_static_selectorELNS0_4arch9wavefront6targetE1EEEvSH_
; %bb.0:
	.section	.rodata,"a",@progbits
	.p2align	6, 0x0
	.amdhsa_kernel _ZN7rocprim17ROCPRIM_400000_NS6detail17trampoline_kernelINS0_14default_configENS1_38merge_sort_block_merge_config_selectorIisEEZZNS1_27merge_sort_block_merge_implIS3_N6thrust23THRUST_200600_302600_NS10device_ptrIiEENS9_IsEEjNS1_19radix_merge_compareILb0ELb0EiNS0_19identity_decomposerEEEEE10hipError_tT0_T1_T2_jT3_P12ihipStream_tbPNSt15iterator_traitsISG_E10value_typeEPNSM_ISH_E10value_typeEPSI_NS1_7vsmem_tEENKUlT_SG_SH_SI_E_clIPiSA_PsSB_EESF_SV_SG_SH_SI_EUlSV_E1_NS1_11comp_targetILNS1_3genE10ELNS1_11target_archE1201ELNS1_3gpuE5ELNS1_3repE0EEENS1_36merge_oddeven_config_static_selectorELNS0_4arch9wavefront6targetE1EEEvSH_
		.amdhsa_group_segment_fixed_size 0
		.amdhsa_private_segment_fixed_size 0
		.amdhsa_kernarg_size 48
		.amdhsa_user_sgpr_count 2
		.amdhsa_user_sgpr_dispatch_ptr 0
		.amdhsa_user_sgpr_queue_ptr 0
		.amdhsa_user_sgpr_kernarg_segment_ptr 1
		.amdhsa_user_sgpr_dispatch_id 0
		.amdhsa_user_sgpr_kernarg_preload_length 0
		.amdhsa_user_sgpr_kernarg_preload_offset 0
		.amdhsa_user_sgpr_private_segment_size 0
		.amdhsa_uses_dynamic_stack 0
		.amdhsa_enable_private_segment 0
		.amdhsa_system_sgpr_workgroup_id_x 1
		.amdhsa_system_sgpr_workgroup_id_y 0
		.amdhsa_system_sgpr_workgroup_id_z 0
		.amdhsa_system_sgpr_workgroup_info 0
		.amdhsa_system_vgpr_workitem_id 0
		.amdhsa_next_free_vgpr 1
		.amdhsa_next_free_sgpr 0
		.amdhsa_accum_offset 4
		.amdhsa_reserve_vcc 0
		.amdhsa_float_round_mode_32 0
		.amdhsa_float_round_mode_16_64 0
		.amdhsa_float_denorm_mode_32 3
		.amdhsa_float_denorm_mode_16_64 3
		.amdhsa_dx10_clamp 1
		.amdhsa_ieee_mode 1
		.amdhsa_fp16_overflow 0
		.amdhsa_tg_split 0
		.amdhsa_exception_fp_ieee_invalid_op 0
		.amdhsa_exception_fp_denorm_src 0
		.amdhsa_exception_fp_ieee_div_zero 0
		.amdhsa_exception_fp_ieee_overflow 0
		.amdhsa_exception_fp_ieee_underflow 0
		.amdhsa_exception_fp_ieee_inexact 0
		.amdhsa_exception_int_div_zero 0
	.end_amdhsa_kernel
	.section	.text._ZN7rocprim17ROCPRIM_400000_NS6detail17trampoline_kernelINS0_14default_configENS1_38merge_sort_block_merge_config_selectorIisEEZZNS1_27merge_sort_block_merge_implIS3_N6thrust23THRUST_200600_302600_NS10device_ptrIiEENS9_IsEEjNS1_19radix_merge_compareILb0ELb0EiNS0_19identity_decomposerEEEEE10hipError_tT0_T1_T2_jT3_P12ihipStream_tbPNSt15iterator_traitsISG_E10value_typeEPNSM_ISH_E10value_typeEPSI_NS1_7vsmem_tEENKUlT_SG_SH_SI_E_clIPiSA_PsSB_EESF_SV_SG_SH_SI_EUlSV_E1_NS1_11comp_targetILNS1_3genE10ELNS1_11target_archE1201ELNS1_3gpuE5ELNS1_3repE0EEENS1_36merge_oddeven_config_static_selectorELNS0_4arch9wavefront6targetE1EEEvSH_,"axG",@progbits,_ZN7rocprim17ROCPRIM_400000_NS6detail17trampoline_kernelINS0_14default_configENS1_38merge_sort_block_merge_config_selectorIisEEZZNS1_27merge_sort_block_merge_implIS3_N6thrust23THRUST_200600_302600_NS10device_ptrIiEENS9_IsEEjNS1_19radix_merge_compareILb0ELb0EiNS0_19identity_decomposerEEEEE10hipError_tT0_T1_T2_jT3_P12ihipStream_tbPNSt15iterator_traitsISG_E10value_typeEPNSM_ISH_E10value_typeEPSI_NS1_7vsmem_tEENKUlT_SG_SH_SI_E_clIPiSA_PsSB_EESF_SV_SG_SH_SI_EUlSV_E1_NS1_11comp_targetILNS1_3genE10ELNS1_11target_archE1201ELNS1_3gpuE5ELNS1_3repE0EEENS1_36merge_oddeven_config_static_selectorELNS0_4arch9wavefront6targetE1EEEvSH_,comdat
.Lfunc_end2307:
	.size	_ZN7rocprim17ROCPRIM_400000_NS6detail17trampoline_kernelINS0_14default_configENS1_38merge_sort_block_merge_config_selectorIisEEZZNS1_27merge_sort_block_merge_implIS3_N6thrust23THRUST_200600_302600_NS10device_ptrIiEENS9_IsEEjNS1_19radix_merge_compareILb0ELb0EiNS0_19identity_decomposerEEEEE10hipError_tT0_T1_T2_jT3_P12ihipStream_tbPNSt15iterator_traitsISG_E10value_typeEPNSM_ISH_E10value_typeEPSI_NS1_7vsmem_tEENKUlT_SG_SH_SI_E_clIPiSA_PsSB_EESF_SV_SG_SH_SI_EUlSV_E1_NS1_11comp_targetILNS1_3genE10ELNS1_11target_archE1201ELNS1_3gpuE5ELNS1_3repE0EEENS1_36merge_oddeven_config_static_selectorELNS0_4arch9wavefront6targetE1EEEvSH_, .Lfunc_end2307-_ZN7rocprim17ROCPRIM_400000_NS6detail17trampoline_kernelINS0_14default_configENS1_38merge_sort_block_merge_config_selectorIisEEZZNS1_27merge_sort_block_merge_implIS3_N6thrust23THRUST_200600_302600_NS10device_ptrIiEENS9_IsEEjNS1_19radix_merge_compareILb0ELb0EiNS0_19identity_decomposerEEEEE10hipError_tT0_T1_T2_jT3_P12ihipStream_tbPNSt15iterator_traitsISG_E10value_typeEPNSM_ISH_E10value_typeEPSI_NS1_7vsmem_tEENKUlT_SG_SH_SI_E_clIPiSA_PsSB_EESF_SV_SG_SH_SI_EUlSV_E1_NS1_11comp_targetILNS1_3genE10ELNS1_11target_archE1201ELNS1_3gpuE5ELNS1_3repE0EEENS1_36merge_oddeven_config_static_selectorELNS0_4arch9wavefront6targetE1EEEvSH_
                                        ; -- End function
	.set _ZN7rocprim17ROCPRIM_400000_NS6detail17trampoline_kernelINS0_14default_configENS1_38merge_sort_block_merge_config_selectorIisEEZZNS1_27merge_sort_block_merge_implIS3_N6thrust23THRUST_200600_302600_NS10device_ptrIiEENS9_IsEEjNS1_19radix_merge_compareILb0ELb0EiNS0_19identity_decomposerEEEEE10hipError_tT0_T1_T2_jT3_P12ihipStream_tbPNSt15iterator_traitsISG_E10value_typeEPNSM_ISH_E10value_typeEPSI_NS1_7vsmem_tEENKUlT_SG_SH_SI_E_clIPiSA_PsSB_EESF_SV_SG_SH_SI_EUlSV_E1_NS1_11comp_targetILNS1_3genE10ELNS1_11target_archE1201ELNS1_3gpuE5ELNS1_3repE0EEENS1_36merge_oddeven_config_static_selectorELNS0_4arch9wavefront6targetE1EEEvSH_.num_vgpr, 0
	.set _ZN7rocprim17ROCPRIM_400000_NS6detail17trampoline_kernelINS0_14default_configENS1_38merge_sort_block_merge_config_selectorIisEEZZNS1_27merge_sort_block_merge_implIS3_N6thrust23THRUST_200600_302600_NS10device_ptrIiEENS9_IsEEjNS1_19radix_merge_compareILb0ELb0EiNS0_19identity_decomposerEEEEE10hipError_tT0_T1_T2_jT3_P12ihipStream_tbPNSt15iterator_traitsISG_E10value_typeEPNSM_ISH_E10value_typeEPSI_NS1_7vsmem_tEENKUlT_SG_SH_SI_E_clIPiSA_PsSB_EESF_SV_SG_SH_SI_EUlSV_E1_NS1_11comp_targetILNS1_3genE10ELNS1_11target_archE1201ELNS1_3gpuE5ELNS1_3repE0EEENS1_36merge_oddeven_config_static_selectorELNS0_4arch9wavefront6targetE1EEEvSH_.num_agpr, 0
	.set _ZN7rocprim17ROCPRIM_400000_NS6detail17trampoline_kernelINS0_14default_configENS1_38merge_sort_block_merge_config_selectorIisEEZZNS1_27merge_sort_block_merge_implIS3_N6thrust23THRUST_200600_302600_NS10device_ptrIiEENS9_IsEEjNS1_19radix_merge_compareILb0ELb0EiNS0_19identity_decomposerEEEEE10hipError_tT0_T1_T2_jT3_P12ihipStream_tbPNSt15iterator_traitsISG_E10value_typeEPNSM_ISH_E10value_typeEPSI_NS1_7vsmem_tEENKUlT_SG_SH_SI_E_clIPiSA_PsSB_EESF_SV_SG_SH_SI_EUlSV_E1_NS1_11comp_targetILNS1_3genE10ELNS1_11target_archE1201ELNS1_3gpuE5ELNS1_3repE0EEENS1_36merge_oddeven_config_static_selectorELNS0_4arch9wavefront6targetE1EEEvSH_.numbered_sgpr, 0
	.set _ZN7rocprim17ROCPRIM_400000_NS6detail17trampoline_kernelINS0_14default_configENS1_38merge_sort_block_merge_config_selectorIisEEZZNS1_27merge_sort_block_merge_implIS3_N6thrust23THRUST_200600_302600_NS10device_ptrIiEENS9_IsEEjNS1_19radix_merge_compareILb0ELb0EiNS0_19identity_decomposerEEEEE10hipError_tT0_T1_T2_jT3_P12ihipStream_tbPNSt15iterator_traitsISG_E10value_typeEPNSM_ISH_E10value_typeEPSI_NS1_7vsmem_tEENKUlT_SG_SH_SI_E_clIPiSA_PsSB_EESF_SV_SG_SH_SI_EUlSV_E1_NS1_11comp_targetILNS1_3genE10ELNS1_11target_archE1201ELNS1_3gpuE5ELNS1_3repE0EEENS1_36merge_oddeven_config_static_selectorELNS0_4arch9wavefront6targetE1EEEvSH_.num_named_barrier, 0
	.set _ZN7rocprim17ROCPRIM_400000_NS6detail17trampoline_kernelINS0_14default_configENS1_38merge_sort_block_merge_config_selectorIisEEZZNS1_27merge_sort_block_merge_implIS3_N6thrust23THRUST_200600_302600_NS10device_ptrIiEENS9_IsEEjNS1_19radix_merge_compareILb0ELb0EiNS0_19identity_decomposerEEEEE10hipError_tT0_T1_T2_jT3_P12ihipStream_tbPNSt15iterator_traitsISG_E10value_typeEPNSM_ISH_E10value_typeEPSI_NS1_7vsmem_tEENKUlT_SG_SH_SI_E_clIPiSA_PsSB_EESF_SV_SG_SH_SI_EUlSV_E1_NS1_11comp_targetILNS1_3genE10ELNS1_11target_archE1201ELNS1_3gpuE5ELNS1_3repE0EEENS1_36merge_oddeven_config_static_selectorELNS0_4arch9wavefront6targetE1EEEvSH_.private_seg_size, 0
	.set _ZN7rocprim17ROCPRIM_400000_NS6detail17trampoline_kernelINS0_14default_configENS1_38merge_sort_block_merge_config_selectorIisEEZZNS1_27merge_sort_block_merge_implIS3_N6thrust23THRUST_200600_302600_NS10device_ptrIiEENS9_IsEEjNS1_19radix_merge_compareILb0ELb0EiNS0_19identity_decomposerEEEEE10hipError_tT0_T1_T2_jT3_P12ihipStream_tbPNSt15iterator_traitsISG_E10value_typeEPNSM_ISH_E10value_typeEPSI_NS1_7vsmem_tEENKUlT_SG_SH_SI_E_clIPiSA_PsSB_EESF_SV_SG_SH_SI_EUlSV_E1_NS1_11comp_targetILNS1_3genE10ELNS1_11target_archE1201ELNS1_3gpuE5ELNS1_3repE0EEENS1_36merge_oddeven_config_static_selectorELNS0_4arch9wavefront6targetE1EEEvSH_.uses_vcc, 0
	.set _ZN7rocprim17ROCPRIM_400000_NS6detail17trampoline_kernelINS0_14default_configENS1_38merge_sort_block_merge_config_selectorIisEEZZNS1_27merge_sort_block_merge_implIS3_N6thrust23THRUST_200600_302600_NS10device_ptrIiEENS9_IsEEjNS1_19radix_merge_compareILb0ELb0EiNS0_19identity_decomposerEEEEE10hipError_tT0_T1_T2_jT3_P12ihipStream_tbPNSt15iterator_traitsISG_E10value_typeEPNSM_ISH_E10value_typeEPSI_NS1_7vsmem_tEENKUlT_SG_SH_SI_E_clIPiSA_PsSB_EESF_SV_SG_SH_SI_EUlSV_E1_NS1_11comp_targetILNS1_3genE10ELNS1_11target_archE1201ELNS1_3gpuE5ELNS1_3repE0EEENS1_36merge_oddeven_config_static_selectorELNS0_4arch9wavefront6targetE1EEEvSH_.uses_flat_scratch, 0
	.set _ZN7rocprim17ROCPRIM_400000_NS6detail17trampoline_kernelINS0_14default_configENS1_38merge_sort_block_merge_config_selectorIisEEZZNS1_27merge_sort_block_merge_implIS3_N6thrust23THRUST_200600_302600_NS10device_ptrIiEENS9_IsEEjNS1_19radix_merge_compareILb0ELb0EiNS0_19identity_decomposerEEEEE10hipError_tT0_T1_T2_jT3_P12ihipStream_tbPNSt15iterator_traitsISG_E10value_typeEPNSM_ISH_E10value_typeEPSI_NS1_7vsmem_tEENKUlT_SG_SH_SI_E_clIPiSA_PsSB_EESF_SV_SG_SH_SI_EUlSV_E1_NS1_11comp_targetILNS1_3genE10ELNS1_11target_archE1201ELNS1_3gpuE5ELNS1_3repE0EEENS1_36merge_oddeven_config_static_selectorELNS0_4arch9wavefront6targetE1EEEvSH_.has_dyn_sized_stack, 0
	.set _ZN7rocprim17ROCPRIM_400000_NS6detail17trampoline_kernelINS0_14default_configENS1_38merge_sort_block_merge_config_selectorIisEEZZNS1_27merge_sort_block_merge_implIS3_N6thrust23THRUST_200600_302600_NS10device_ptrIiEENS9_IsEEjNS1_19radix_merge_compareILb0ELb0EiNS0_19identity_decomposerEEEEE10hipError_tT0_T1_T2_jT3_P12ihipStream_tbPNSt15iterator_traitsISG_E10value_typeEPNSM_ISH_E10value_typeEPSI_NS1_7vsmem_tEENKUlT_SG_SH_SI_E_clIPiSA_PsSB_EESF_SV_SG_SH_SI_EUlSV_E1_NS1_11comp_targetILNS1_3genE10ELNS1_11target_archE1201ELNS1_3gpuE5ELNS1_3repE0EEENS1_36merge_oddeven_config_static_selectorELNS0_4arch9wavefront6targetE1EEEvSH_.has_recursion, 0
	.set _ZN7rocprim17ROCPRIM_400000_NS6detail17trampoline_kernelINS0_14default_configENS1_38merge_sort_block_merge_config_selectorIisEEZZNS1_27merge_sort_block_merge_implIS3_N6thrust23THRUST_200600_302600_NS10device_ptrIiEENS9_IsEEjNS1_19radix_merge_compareILb0ELb0EiNS0_19identity_decomposerEEEEE10hipError_tT0_T1_T2_jT3_P12ihipStream_tbPNSt15iterator_traitsISG_E10value_typeEPNSM_ISH_E10value_typeEPSI_NS1_7vsmem_tEENKUlT_SG_SH_SI_E_clIPiSA_PsSB_EESF_SV_SG_SH_SI_EUlSV_E1_NS1_11comp_targetILNS1_3genE10ELNS1_11target_archE1201ELNS1_3gpuE5ELNS1_3repE0EEENS1_36merge_oddeven_config_static_selectorELNS0_4arch9wavefront6targetE1EEEvSH_.has_indirect_call, 0
	.section	.AMDGPU.csdata,"",@progbits
; Kernel info:
; codeLenInByte = 0
; TotalNumSgprs: 6
; NumVgprs: 0
; NumAgprs: 0
; TotalNumVgprs: 0
; ScratchSize: 0
; MemoryBound: 0
; FloatMode: 240
; IeeeMode: 1
; LDSByteSize: 0 bytes/workgroup (compile time only)
; SGPRBlocks: 0
; VGPRBlocks: 0
; NumSGPRsForWavesPerEU: 6
; NumVGPRsForWavesPerEU: 1
; AccumOffset: 4
; Occupancy: 8
; WaveLimiterHint : 0
; COMPUTE_PGM_RSRC2:SCRATCH_EN: 0
; COMPUTE_PGM_RSRC2:USER_SGPR: 2
; COMPUTE_PGM_RSRC2:TRAP_HANDLER: 0
; COMPUTE_PGM_RSRC2:TGID_X_EN: 1
; COMPUTE_PGM_RSRC2:TGID_Y_EN: 0
; COMPUTE_PGM_RSRC2:TGID_Z_EN: 0
; COMPUTE_PGM_RSRC2:TIDIG_COMP_CNT: 0
; COMPUTE_PGM_RSRC3_GFX90A:ACCUM_OFFSET: 0
; COMPUTE_PGM_RSRC3_GFX90A:TG_SPLIT: 0
	.section	.text._ZN7rocprim17ROCPRIM_400000_NS6detail17trampoline_kernelINS0_14default_configENS1_38merge_sort_block_merge_config_selectorIisEEZZNS1_27merge_sort_block_merge_implIS3_N6thrust23THRUST_200600_302600_NS10device_ptrIiEENS9_IsEEjNS1_19radix_merge_compareILb0ELb0EiNS0_19identity_decomposerEEEEE10hipError_tT0_T1_T2_jT3_P12ihipStream_tbPNSt15iterator_traitsISG_E10value_typeEPNSM_ISH_E10value_typeEPSI_NS1_7vsmem_tEENKUlT_SG_SH_SI_E_clIPiSA_PsSB_EESF_SV_SG_SH_SI_EUlSV_E1_NS1_11comp_targetILNS1_3genE5ELNS1_11target_archE942ELNS1_3gpuE9ELNS1_3repE0EEENS1_36merge_oddeven_config_static_selectorELNS0_4arch9wavefront6targetE1EEEvSH_,"axG",@progbits,_ZN7rocprim17ROCPRIM_400000_NS6detail17trampoline_kernelINS0_14default_configENS1_38merge_sort_block_merge_config_selectorIisEEZZNS1_27merge_sort_block_merge_implIS3_N6thrust23THRUST_200600_302600_NS10device_ptrIiEENS9_IsEEjNS1_19radix_merge_compareILb0ELb0EiNS0_19identity_decomposerEEEEE10hipError_tT0_T1_T2_jT3_P12ihipStream_tbPNSt15iterator_traitsISG_E10value_typeEPNSM_ISH_E10value_typeEPSI_NS1_7vsmem_tEENKUlT_SG_SH_SI_E_clIPiSA_PsSB_EESF_SV_SG_SH_SI_EUlSV_E1_NS1_11comp_targetILNS1_3genE5ELNS1_11target_archE942ELNS1_3gpuE9ELNS1_3repE0EEENS1_36merge_oddeven_config_static_selectorELNS0_4arch9wavefront6targetE1EEEvSH_,comdat
	.protected	_ZN7rocprim17ROCPRIM_400000_NS6detail17trampoline_kernelINS0_14default_configENS1_38merge_sort_block_merge_config_selectorIisEEZZNS1_27merge_sort_block_merge_implIS3_N6thrust23THRUST_200600_302600_NS10device_ptrIiEENS9_IsEEjNS1_19radix_merge_compareILb0ELb0EiNS0_19identity_decomposerEEEEE10hipError_tT0_T1_T2_jT3_P12ihipStream_tbPNSt15iterator_traitsISG_E10value_typeEPNSM_ISH_E10value_typeEPSI_NS1_7vsmem_tEENKUlT_SG_SH_SI_E_clIPiSA_PsSB_EESF_SV_SG_SH_SI_EUlSV_E1_NS1_11comp_targetILNS1_3genE5ELNS1_11target_archE942ELNS1_3gpuE9ELNS1_3repE0EEENS1_36merge_oddeven_config_static_selectorELNS0_4arch9wavefront6targetE1EEEvSH_ ; -- Begin function _ZN7rocprim17ROCPRIM_400000_NS6detail17trampoline_kernelINS0_14default_configENS1_38merge_sort_block_merge_config_selectorIisEEZZNS1_27merge_sort_block_merge_implIS3_N6thrust23THRUST_200600_302600_NS10device_ptrIiEENS9_IsEEjNS1_19radix_merge_compareILb0ELb0EiNS0_19identity_decomposerEEEEE10hipError_tT0_T1_T2_jT3_P12ihipStream_tbPNSt15iterator_traitsISG_E10value_typeEPNSM_ISH_E10value_typeEPSI_NS1_7vsmem_tEENKUlT_SG_SH_SI_E_clIPiSA_PsSB_EESF_SV_SG_SH_SI_EUlSV_E1_NS1_11comp_targetILNS1_3genE5ELNS1_11target_archE942ELNS1_3gpuE9ELNS1_3repE0EEENS1_36merge_oddeven_config_static_selectorELNS0_4arch9wavefront6targetE1EEEvSH_
	.globl	_ZN7rocprim17ROCPRIM_400000_NS6detail17trampoline_kernelINS0_14default_configENS1_38merge_sort_block_merge_config_selectorIisEEZZNS1_27merge_sort_block_merge_implIS3_N6thrust23THRUST_200600_302600_NS10device_ptrIiEENS9_IsEEjNS1_19radix_merge_compareILb0ELb0EiNS0_19identity_decomposerEEEEE10hipError_tT0_T1_T2_jT3_P12ihipStream_tbPNSt15iterator_traitsISG_E10value_typeEPNSM_ISH_E10value_typeEPSI_NS1_7vsmem_tEENKUlT_SG_SH_SI_E_clIPiSA_PsSB_EESF_SV_SG_SH_SI_EUlSV_E1_NS1_11comp_targetILNS1_3genE5ELNS1_11target_archE942ELNS1_3gpuE9ELNS1_3repE0EEENS1_36merge_oddeven_config_static_selectorELNS0_4arch9wavefront6targetE1EEEvSH_
	.p2align	8
	.type	_ZN7rocprim17ROCPRIM_400000_NS6detail17trampoline_kernelINS0_14default_configENS1_38merge_sort_block_merge_config_selectorIisEEZZNS1_27merge_sort_block_merge_implIS3_N6thrust23THRUST_200600_302600_NS10device_ptrIiEENS9_IsEEjNS1_19radix_merge_compareILb0ELb0EiNS0_19identity_decomposerEEEEE10hipError_tT0_T1_T2_jT3_P12ihipStream_tbPNSt15iterator_traitsISG_E10value_typeEPNSM_ISH_E10value_typeEPSI_NS1_7vsmem_tEENKUlT_SG_SH_SI_E_clIPiSA_PsSB_EESF_SV_SG_SH_SI_EUlSV_E1_NS1_11comp_targetILNS1_3genE5ELNS1_11target_archE942ELNS1_3gpuE9ELNS1_3repE0EEENS1_36merge_oddeven_config_static_selectorELNS0_4arch9wavefront6targetE1EEEvSH_,@function
_ZN7rocprim17ROCPRIM_400000_NS6detail17trampoline_kernelINS0_14default_configENS1_38merge_sort_block_merge_config_selectorIisEEZZNS1_27merge_sort_block_merge_implIS3_N6thrust23THRUST_200600_302600_NS10device_ptrIiEENS9_IsEEjNS1_19radix_merge_compareILb0ELb0EiNS0_19identity_decomposerEEEEE10hipError_tT0_T1_T2_jT3_P12ihipStream_tbPNSt15iterator_traitsISG_E10value_typeEPNSM_ISH_E10value_typeEPSI_NS1_7vsmem_tEENKUlT_SG_SH_SI_E_clIPiSA_PsSB_EESF_SV_SG_SH_SI_EUlSV_E1_NS1_11comp_targetILNS1_3genE5ELNS1_11target_archE942ELNS1_3gpuE9ELNS1_3repE0EEENS1_36merge_oddeven_config_static_selectorELNS0_4arch9wavefront6targetE1EEEvSH_: ; @_ZN7rocprim17ROCPRIM_400000_NS6detail17trampoline_kernelINS0_14default_configENS1_38merge_sort_block_merge_config_selectorIisEEZZNS1_27merge_sort_block_merge_implIS3_N6thrust23THRUST_200600_302600_NS10device_ptrIiEENS9_IsEEjNS1_19radix_merge_compareILb0ELb0EiNS0_19identity_decomposerEEEEE10hipError_tT0_T1_T2_jT3_P12ihipStream_tbPNSt15iterator_traitsISG_E10value_typeEPNSM_ISH_E10value_typeEPSI_NS1_7vsmem_tEENKUlT_SG_SH_SI_E_clIPiSA_PsSB_EESF_SV_SG_SH_SI_EUlSV_E1_NS1_11comp_targetILNS1_3genE5ELNS1_11target_archE942ELNS1_3gpuE9ELNS1_3repE0EEENS1_36merge_oddeven_config_static_selectorELNS0_4arch9wavefront6targetE1EEEvSH_
; %bb.0:
	.section	.rodata,"a",@progbits
	.p2align	6, 0x0
	.amdhsa_kernel _ZN7rocprim17ROCPRIM_400000_NS6detail17trampoline_kernelINS0_14default_configENS1_38merge_sort_block_merge_config_selectorIisEEZZNS1_27merge_sort_block_merge_implIS3_N6thrust23THRUST_200600_302600_NS10device_ptrIiEENS9_IsEEjNS1_19radix_merge_compareILb0ELb0EiNS0_19identity_decomposerEEEEE10hipError_tT0_T1_T2_jT3_P12ihipStream_tbPNSt15iterator_traitsISG_E10value_typeEPNSM_ISH_E10value_typeEPSI_NS1_7vsmem_tEENKUlT_SG_SH_SI_E_clIPiSA_PsSB_EESF_SV_SG_SH_SI_EUlSV_E1_NS1_11comp_targetILNS1_3genE5ELNS1_11target_archE942ELNS1_3gpuE9ELNS1_3repE0EEENS1_36merge_oddeven_config_static_selectorELNS0_4arch9wavefront6targetE1EEEvSH_
		.amdhsa_group_segment_fixed_size 0
		.amdhsa_private_segment_fixed_size 0
		.amdhsa_kernarg_size 48
		.amdhsa_user_sgpr_count 2
		.amdhsa_user_sgpr_dispatch_ptr 0
		.amdhsa_user_sgpr_queue_ptr 0
		.amdhsa_user_sgpr_kernarg_segment_ptr 1
		.amdhsa_user_sgpr_dispatch_id 0
		.amdhsa_user_sgpr_kernarg_preload_length 0
		.amdhsa_user_sgpr_kernarg_preload_offset 0
		.amdhsa_user_sgpr_private_segment_size 0
		.amdhsa_uses_dynamic_stack 0
		.amdhsa_enable_private_segment 0
		.amdhsa_system_sgpr_workgroup_id_x 1
		.amdhsa_system_sgpr_workgroup_id_y 0
		.amdhsa_system_sgpr_workgroup_id_z 0
		.amdhsa_system_sgpr_workgroup_info 0
		.amdhsa_system_vgpr_workitem_id 0
		.amdhsa_next_free_vgpr 1
		.amdhsa_next_free_sgpr 0
		.amdhsa_accum_offset 4
		.amdhsa_reserve_vcc 0
		.amdhsa_float_round_mode_32 0
		.amdhsa_float_round_mode_16_64 0
		.amdhsa_float_denorm_mode_32 3
		.amdhsa_float_denorm_mode_16_64 3
		.amdhsa_dx10_clamp 1
		.amdhsa_ieee_mode 1
		.amdhsa_fp16_overflow 0
		.amdhsa_tg_split 0
		.amdhsa_exception_fp_ieee_invalid_op 0
		.amdhsa_exception_fp_denorm_src 0
		.amdhsa_exception_fp_ieee_div_zero 0
		.amdhsa_exception_fp_ieee_overflow 0
		.amdhsa_exception_fp_ieee_underflow 0
		.amdhsa_exception_fp_ieee_inexact 0
		.amdhsa_exception_int_div_zero 0
	.end_amdhsa_kernel
	.section	.text._ZN7rocprim17ROCPRIM_400000_NS6detail17trampoline_kernelINS0_14default_configENS1_38merge_sort_block_merge_config_selectorIisEEZZNS1_27merge_sort_block_merge_implIS3_N6thrust23THRUST_200600_302600_NS10device_ptrIiEENS9_IsEEjNS1_19radix_merge_compareILb0ELb0EiNS0_19identity_decomposerEEEEE10hipError_tT0_T1_T2_jT3_P12ihipStream_tbPNSt15iterator_traitsISG_E10value_typeEPNSM_ISH_E10value_typeEPSI_NS1_7vsmem_tEENKUlT_SG_SH_SI_E_clIPiSA_PsSB_EESF_SV_SG_SH_SI_EUlSV_E1_NS1_11comp_targetILNS1_3genE5ELNS1_11target_archE942ELNS1_3gpuE9ELNS1_3repE0EEENS1_36merge_oddeven_config_static_selectorELNS0_4arch9wavefront6targetE1EEEvSH_,"axG",@progbits,_ZN7rocprim17ROCPRIM_400000_NS6detail17trampoline_kernelINS0_14default_configENS1_38merge_sort_block_merge_config_selectorIisEEZZNS1_27merge_sort_block_merge_implIS3_N6thrust23THRUST_200600_302600_NS10device_ptrIiEENS9_IsEEjNS1_19radix_merge_compareILb0ELb0EiNS0_19identity_decomposerEEEEE10hipError_tT0_T1_T2_jT3_P12ihipStream_tbPNSt15iterator_traitsISG_E10value_typeEPNSM_ISH_E10value_typeEPSI_NS1_7vsmem_tEENKUlT_SG_SH_SI_E_clIPiSA_PsSB_EESF_SV_SG_SH_SI_EUlSV_E1_NS1_11comp_targetILNS1_3genE5ELNS1_11target_archE942ELNS1_3gpuE9ELNS1_3repE0EEENS1_36merge_oddeven_config_static_selectorELNS0_4arch9wavefront6targetE1EEEvSH_,comdat
.Lfunc_end2308:
	.size	_ZN7rocprim17ROCPRIM_400000_NS6detail17trampoline_kernelINS0_14default_configENS1_38merge_sort_block_merge_config_selectorIisEEZZNS1_27merge_sort_block_merge_implIS3_N6thrust23THRUST_200600_302600_NS10device_ptrIiEENS9_IsEEjNS1_19radix_merge_compareILb0ELb0EiNS0_19identity_decomposerEEEEE10hipError_tT0_T1_T2_jT3_P12ihipStream_tbPNSt15iterator_traitsISG_E10value_typeEPNSM_ISH_E10value_typeEPSI_NS1_7vsmem_tEENKUlT_SG_SH_SI_E_clIPiSA_PsSB_EESF_SV_SG_SH_SI_EUlSV_E1_NS1_11comp_targetILNS1_3genE5ELNS1_11target_archE942ELNS1_3gpuE9ELNS1_3repE0EEENS1_36merge_oddeven_config_static_selectorELNS0_4arch9wavefront6targetE1EEEvSH_, .Lfunc_end2308-_ZN7rocprim17ROCPRIM_400000_NS6detail17trampoline_kernelINS0_14default_configENS1_38merge_sort_block_merge_config_selectorIisEEZZNS1_27merge_sort_block_merge_implIS3_N6thrust23THRUST_200600_302600_NS10device_ptrIiEENS9_IsEEjNS1_19radix_merge_compareILb0ELb0EiNS0_19identity_decomposerEEEEE10hipError_tT0_T1_T2_jT3_P12ihipStream_tbPNSt15iterator_traitsISG_E10value_typeEPNSM_ISH_E10value_typeEPSI_NS1_7vsmem_tEENKUlT_SG_SH_SI_E_clIPiSA_PsSB_EESF_SV_SG_SH_SI_EUlSV_E1_NS1_11comp_targetILNS1_3genE5ELNS1_11target_archE942ELNS1_3gpuE9ELNS1_3repE0EEENS1_36merge_oddeven_config_static_selectorELNS0_4arch9wavefront6targetE1EEEvSH_
                                        ; -- End function
	.set _ZN7rocprim17ROCPRIM_400000_NS6detail17trampoline_kernelINS0_14default_configENS1_38merge_sort_block_merge_config_selectorIisEEZZNS1_27merge_sort_block_merge_implIS3_N6thrust23THRUST_200600_302600_NS10device_ptrIiEENS9_IsEEjNS1_19radix_merge_compareILb0ELb0EiNS0_19identity_decomposerEEEEE10hipError_tT0_T1_T2_jT3_P12ihipStream_tbPNSt15iterator_traitsISG_E10value_typeEPNSM_ISH_E10value_typeEPSI_NS1_7vsmem_tEENKUlT_SG_SH_SI_E_clIPiSA_PsSB_EESF_SV_SG_SH_SI_EUlSV_E1_NS1_11comp_targetILNS1_3genE5ELNS1_11target_archE942ELNS1_3gpuE9ELNS1_3repE0EEENS1_36merge_oddeven_config_static_selectorELNS0_4arch9wavefront6targetE1EEEvSH_.num_vgpr, 0
	.set _ZN7rocprim17ROCPRIM_400000_NS6detail17trampoline_kernelINS0_14default_configENS1_38merge_sort_block_merge_config_selectorIisEEZZNS1_27merge_sort_block_merge_implIS3_N6thrust23THRUST_200600_302600_NS10device_ptrIiEENS9_IsEEjNS1_19radix_merge_compareILb0ELb0EiNS0_19identity_decomposerEEEEE10hipError_tT0_T1_T2_jT3_P12ihipStream_tbPNSt15iterator_traitsISG_E10value_typeEPNSM_ISH_E10value_typeEPSI_NS1_7vsmem_tEENKUlT_SG_SH_SI_E_clIPiSA_PsSB_EESF_SV_SG_SH_SI_EUlSV_E1_NS1_11comp_targetILNS1_3genE5ELNS1_11target_archE942ELNS1_3gpuE9ELNS1_3repE0EEENS1_36merge_oddeven_config_static_selectorELNS0_4arch9wavefront6targetE1EEEvSH_.num_agpr, 0
	.set _ZN7rocprim17ROCPRIM_400000_NS6detail17trampoline_kernelINS0_14default_configENS1_38merge_sort_block_merge_config_selectorIisEEZZNS1_27merge_sort_block_merge_implIS3_N6thrust23THRUST_200600_302600_NS10device_ptrIiEENS9_IsEEjNS1_19radix_merge_compareILb0ELb0EiNS0_19identity_decomposerEEEEE10hipError_tT0_T1_T2_jT3_P12ihipStream_tbPNSt15iterator_traitsISG_E10value_typeEPNSM_ISH_E10value_typeEPSI_NS1_7vsmem_tEENKUlT_SG_SH_SI_E_clIPiSA_PsSB_EESF_SV_SG_SH_SI_EUlSV_E1_NS1_11comp_targetILNS1_3genE5ELNS1_11target_archE942ELNS1_3gpuE9ELNS1_3repE0EEENS1_36merge_oddeven_config_static_selectorELNS0_4arch9wavefront6targetE1EEEvSH_.numbered_sgpr, 0
	.set _ZN7rocprim17ROCPRIM_400000_NS6detail17trampoline_kernelINS0_14default_configENS1_38merge_sort_block_merge_config_selectorIisEEZZNS1_27merge_sort_block_merge_implIS3_N6thrust23THRUST_200600_302600_NS10device_ptrIiEENS9_IsEEjNS1_19radix_merge_compareILb0ELb0EiNS0_19identity_decomposerEEEEE10hipError_tT0_T1_T2_jT3_P12ihipStream_tbPNSt15iterator_traitsISG_E10value_typeEPNSM_ISH_E10value_typeEPSI_NS1_7vsmem_tEENKUlT_SG_SH_SI_E_clIPiSA_PsSB_EESF_SV_SG_SH_SI_EUlSV_E1_NS1_11comp_targetILNS1_3genE5ELNS1_11target_archE942ELNS1_3gpuE9ELNS1_3repE0EEENS1_36merge_oddeven_config_static_selectorELNS0_4arch9wavefront6targetE1EEEvSH_.num_named_barrier, 0
	.set _ZN7rocprim17ROCPRIM_400000_NS6detail17trampoline_kernelINS0_14default_configENS1_38merge_sort_block_merge_config_selectorIisEEZZNS1_27merge_sort_block_merge_implIS3_N6thrust23THRUST_200600_302600_NS10device_ptrIiEENS9_IsEEjNS1_19radix_merge_compareILb0ELb0EiNS0_19identity_decomposerEEEEE10hipError_tT0_T1_T2_jT3_P12ihipStream_tbPNSt15iterator_traitsISG_E10value_typeEPNSM_ISH_E10value_typeEPSI_NS1_7vsmem_tEENKUlT_SG_SH_SI_E_clIPiSA_PsSB_EESF_SV_SG_SH_SI_EUlSV_E1_NS1_11comp_targetILNS1_3genE5ELNS1_11target_archE942ELNS1_3gpuE9ELNS1_3repE0EEENS1_36merge_oddeven_config_static_selectorELNS0_4arch9wavefront6targetE1EEEvSH_.private_seg_size, 0
	.set _ZN7rocprim17ROCPRIM_400000_NS6detail17trampoline_kernelINS0_14default_configENS1_38merge_sort_block_merge_config_selectorIisEEZZNS1_27merge_sort_block_merge_implIS3_N6thrust23THRUST_200600_302600_NS10device_ptrIiEENS9_IsEEjNS1_19radix_merge_compareILb0ELb0EiNS0_19identity_decomposerEEEEE10hipError_tT0_T1_T2_jT3_P12ihipStream_tbPNSt15iterator_traitsISG_E10value_typeEPNSM_ISH_E10value_typeEPSI_NS1_7vsmem_tEENKUlT_SG_SH_SI_E_clIPiSA_PsSB_EESF_SV_SG_SH_SI_EUlSV_E1_NS1_11comp_targetILNS1_3genE5ELNS1_11target_archE942ELNS1_3gpuE9ELNS1_3repE0EEENS1_36merge_oddeven_config_static_selectorELNS0_4arch9wavefront6targetE1EEEvSH_.uses_vcc, 0
	.set _ZN7rocprim17ROCPRIM_400000_NS6detail17trampoline_kernelINS0_14default_configENS1_38merge_sort_block_merge_config_selectorIisEEZZNS1_27merge_sort_block_merge_implIS3_N6thrust23THRUST_200600_302600_NS10device_ptrIiEENS9_IsEEjNS1_19radix_merge_compareILb0ELb0EiNS0_19identity_decomposerEEEEE10hipError_tT0_T1_T2_jT3_P12ihipStream_tbPNSt15iterator_traitsISG_E10value_typeEPNSM_ISH_E10value_typeEPSI_NS1_7vsmem_tEENKUlT_SG_SH_SI_E_clIPiSA_PsSB_EESF_SV_SG_SH_SI_EUlSV_E1_NS1_11comp_targetILNS1_3genE5ELNS1_11target_archE942ELNS1_3gpuE9ELNS1_3repE0EEENS1_36merge_oddeven_config_static_selectorELNS0_4arch9wavefront6targetE1EEEvSH_.uses_flat_scratch, 0
	.set _ZN7rocprim17ROCPRIM_400000_NS6detail17trampoline_kernelINS0_14default_configENS1_38merge_sort_block_merge_config_selectorIisEEZZNS1_27merge_sort_block_merge_implIS3_N6thrust23THRUST_200600_302600_NS10device_ptrIiEENS9_IsEEjNS1_19radix_merge_compareILb0ELb0EiNS0_19identity_decomposerEEEEE10hipError_tT0_T1_T2_jT3_P12ihipStream_tbPNSt15iterator_traitsISG_E10value_typeEPNSM_ISH_E10value_typeEPSI_NS1_7vsmem_tEENKUlT_SG_SH_SI_E_clIPiSA_PsSB_EESF_SV_SG_SH_SI_EUlSV_E1_NS1_11comp_targetILNS1_3genE5ELNS1_11target_archE942ELNS1_3gpuE9ELNS1_3repE0EEENS1_36merge_oddeven_config_static_selectorELNS0_4arch9wavefront6targetE1EEEvSH_.has_dyn_sized_stack, 0
	.set _ZN7rocprim17ROCPRIM_400000_NS6detail17trampoline_kernelINS0_14default_configENS1_38merge_sort_block_merge_config_selectorIisEEZZNS1_27merge_sort_block_merge_implIS3_N6thrust23THRUST_200600_302600_NS10device_ptrIiEENS9_IsEEjNS1_19radix_merge_compareILb0ELb0EiNS0_19identity_decomposerEEEEE10hipError_tT0_T1_T2_jT3_P12ihipStream_tbPNSt15iterator_traitsISG_E10value_typeEPNSM_ISH_E10value_typeEPSI_NS1_7vsmem_tEENKUlT_SG_SH_SI_E_clIPiSA_PsSB_EESF_SV_SG_SH_SI_EUlSV_E1_NS1_11comp_targetILNS1_3genE5ELNS1_11target_archE942ELNS1_3gpuE9ELNS1_3repE0EEENS1_36merge_oddeven_config_static_selectorELNS0_4arch9wavefront6targetE1EEEvSH_.has_recursion, 0
	.set _ZN7rocprim17ROCPRIM_400000_NS6detail17trampoline_kernelINS0_14default_configENS1_38merge_sort_block_merge_config_selectorIisEEZZNS1_27merge_sort_block_merge_implIS3_N6thrust23THRUST_200600_302600_NS10device_ptrIiEENS9_IsEEjNS1_19radix_merge_compareILb0ELb0EiNS0_19identity_decomposerEEEEE10hipError_tT0_T1_T2_jT3_P12ihipStream_tbPNSt15iterator_traitsISG_E10value_typeEPNSM_ISH_E10value_typeEPSI_NS1_7vsmem_tEENKUlT_SG_SH_SI_E_clIPiSA_PsSB_EESF_SV_SG_SH_SI_EUlSV_E1_NS1_11comp_targetILNS1_3genE5ELNS1_11target_archE942ELNS1_3gpuE9ELNS1_3repE0EEENS1_36merge_oddeven_config_static_selectorELNS0_4arch9wavefront6targetE1EEEvSH_.has_indirect_call, 0
	.section	.AMDGPU.csdata,"",@progbits
; Kernel info:
; codeLenInByte = 0
; TotalNumSgprs: 6
; NumVgprs: 0
; NumAgprs: 0
; TotalNumVgprs: 0
; ScratchSize: 0
; MemoryBound: 0
; FloatMode: 240
; IeeeMode: 1
; LDSByteSize: 0 bytes/workgroup (compile time only)
; SGPRBlocks: 0
; VGPRBlocks: 0
; NumSGPRsForWavesPerEU: 6
; NumVGPRsForWavesPerEU: 1
; AccumOffset: 4
; Occupancy: 8
; WaveLimiterHint : 0
; COMPUTE_PGM_RSRC2:SCRATCH_EN: 0
; COMPUTE_PGM_RSRC2:USER_SGPR: 2
; COMPUTE_PGM_RSRC2:TRAP_HANDLER: 0
; COMPUTE_PGM_RSRC2:TGID_X_EN: 1
; COMPUTE_PGM_RSRC2:TGID_Y_EN: 0
; COMPUTE_PGM_RSRC2:TGID_Z_EN: 0
; COMPUTE_PGM_RSRC2:TIDIG_COMP_CNT: 0
; COMPUTE_PGM_RSRC3_GFX90A:ACCUM_OFFSET: 0
; COMPUTE_PGM_RSRC3_GFX90A:TG_SPLIT: 0
	.section	.text._ZN7rocprim17ROCPRIM_400000_NS6detail17trampoline_kernelINS0_14default_configENS1_38merge_sort_block_merge_config_selectorIisEEZZNS1_27merge_sort_block_merge_implIS3_N6thrust23THRUST_200600_302600_NS10device_ptrIiEENS9_IsEEjNS1_19radix_merge_compareILb0ELb0EiNS0_19identity_decomposerEEEEE10hipError_tT0_T1_T2_jT3_P12ihipStream_tbPNSt15iterator_traitsISG_E10value_typeEPNSM_ISH_E10value_typeEPSI_NS1_7vsmem_tEENKUlT_SG_SH_SI_E_clIPiSA_PsSB_EESF_SV_SG_SH_SI_EUlSV_E1_NS1_11comp_targetILNS1_3genE4ELNS1_11target_archE910ELNS1_3gpuE8ELNS1_3repE0EEENS1_36merge_oddeven_config_static_selectorELNS0_4arch9wavefront6targetE1EEEvSH_,"axG",@progbits,_ZN7rocprim17ROCPRIM_400000_NS6detail17trampoline_kernelINS0_14default_configENS1_38merge_sort_block_merge_config_selectorIisEEZZNS1_27merge_sort_block_merge_implIS3_N6thrust23THRUST_200600_302600_NS10device_ptrIiEENS9_IsEEjNS1_19radix_merge_compareILb0ELb0EiNS0_19identity_decomposerEEEEE10hipError_tT0_T1_T2_jT3_P12ihipStream_tbPNSt15iterator_traitsISG_E10value_typeEPNSM_ISH_E10value_typeEPSI_NS1_7vsmem_tEENKUlT_SG_SH_SI_E_clIPiSA_PsSB_EESF_SV_SG_SH_SI_EUlSV_E1_NS1_11comp_targetILNS1_3genE4ELNS1_11target_archE910ELNS1_3gpuE8ELNS1_3repE0EEENS1_36merge_oddeven_config_static_selectorELNS0_4arch9wavefront6targetE1EEEvSH_,comdat
	.protected	_ZN7rocprim17ROCPRIM_400000_NS6detail17trampoline_kernelINS0_14default_configENS1_38merge_sort_block_merge_config_selectorIisEEZZNS1_27merge_sort_block_merge_implIS3_N6thrust23THRUST_200600_302600_NS10device_ptrIiEENS9_IsEEjNS1_19radix_merge_compareILb0ELb0EiNS0_19identity_decomposerEEEEE10hipError_tT0_T1_T2_jT3_P12ihipStream_tbPNSt15iterator_traitsISG_E10value_typeEPNSM_ISH_E10value_typeEPSI_NS1_7vsmem_tEENKUlT_SG_SH_SI_E_clIPiSA_PsSB_EESF_SV_SG_SH_SI_EUlSV_E1_NS1_11comp_targetILNS1_3genE4ELNS1_11target_archE910ELNS1_3gpuE8ELNS1_3repE0EEENS1_36merge_oddeven_config_static_selectorELNS0_4arch9wavefront6targetE1EEEvSH_ ; -- Begin function _ZN7rocprim17ROCPRIM_400000_NS6detail17trampoline_kernelINS0_14default_configENS1_38merge_sort_block_merge_config_selectorIisEEZZNS1_27merge_sort_block_merge_implIS3_N6thrust23THRUST_200600_302600_NS10device_ptrIiEENS9_IsEEjNS1_19radix_merge_compareILb0ELb0EiNS0_19identity_decomposerEEEEE10hipError_tT0_T1_T2_jT3_P12ihipStream_tbPNSt15iterator_traitsISG_E10value_typeEPNSM_ISH_E10value_typeEPSI_NS1_7vsmem_tEENKUlT_SG_SH_SI_E_clIPiSA_PsSB_EESF_SV_SG_SH_SI_EUlSV_E1_NS1_11comp_targetILNS1_3genE4ELNS1_11target_archE910ELNS1_3gpuE8ELNS1_3repE0EEENS1_36merge_oddeven_config_static_selectorELNS0_4arch9wavefront6targetE1EEEvSH_
	.globl	_ZN7rocprim17ROCPRIM_400000_NS6detail17trampoline_kernelINS0_14default_configENS1_38merge_sort_block_merge_config_selectorIisEEZZNS1_27merge_sort_block_merge_implIS3_N6thrust23THRUST_200600_302600_NS10device_ptrIiEENS9_IsEEjNS1_19radix_merge_compareILb0ELb0EiNS0_19identity_decomposerEEEEE10hipError_tT0_T1_T2_jT3_P12ihipStream_tbPNSt15iterator_traitsISG_E10value_typeEPNSM_ISH_E10value_typeEPSI_NS1_7vsmem_tEENKUlT_SG_SH_SI_E_clIPiSA_PsSB_EESF_SV_SG_SH_SI_EUlSV_E1_NS1_11comp_targetILNS1_3genE4ELNS1_11target_archE910ELNS1_3gpuE8ELNS1_3repE0EEENS1_36merge_oddeven_config_static_selectorELNS0_4arch9wavefront6targetE1EEEvSH_
	.p2align	8
	.type	_ZN7rocprim17ROCPRIM_400000_NS6detail17trampoline_kernelINS0_14default_configENS1_38merge_sort_block_merge_config_selectorIisEEZZNS1_27merge_sort_block_merge_implIS3_N6thrust23THRUST_200600_302600_NS10device_ptrIiEENS9_IsEEjNS1_19radix_merge_compareILb0ELb0EiNS0_19identity_decomposerEEEEE10hipError_tT0_T1_T2_jT3_P12ihipStream_tbPNSt15iterator_traitsISG_E10value_typeEPNSM_ISH_E10value_typeEPSI_NS1_7vsmem_tEENKUlT_SG_SH_SI_E_clIPiSA_PsSB_EESF_SV_SG_SH_SI_EUlSV_E1_NS1_11comp_targetILNS1_3genE4ELNS1_11target_archE910ELNS1_3gpuE8ELNS1_3repE0EEENS1_36merge_oddeven_config_static_selectorELNS0_4arch9wavefront6targetE1EEEvSH_,@function
_ZN7rocprim17ROCPRIM_400000_NS6detail17trampoline_kernelINS0_14default_configENS1_38merge_sort_block_merge_config_selectorIisEEZZNS1_27merge_sort_block_merge_implIS3_N6thrust23THRUST_200600_302600_NS10device_ptrIiEENS9_IsEEjNS1_19radix_merge_compareILb0ELb0EiNS0_19identity_decomposerEEEEE10hipError_tT0_T1_T2_jT3_P12ihipStream_tbPNSt15iterator_traitsISG_E10value_typeEPNSM_ISH_E10value_typeEPSI_NS1_7vsmem_tEENKUlT_SG_SH_SI_E_clIPiSA_PsSB_EESF_SV_SG_SH_SI_EUlSV_E1_NS1_11comp_targetILNS1_3genE4ELNS1_11target_archE910ELNS1_3gpuE8ELNS1_3repE0EEENS1_36merge_oddeven_config_static_selectorELNS0_4arch9wavefront6targetE1EEEvSH_: ; @_ZN7rocprim17ROCPRIM_400000_NS6detail17trampoline_kernelINS0_14default_configENS1_38merge_sort_block_merge_config_selectorIisEEZZNS1_27merge_sort_block_merge_implIS3_N6thrust23THRUST_200600_302600_NS10device_ptrIiEENS9_IsEEjNS1_19radix_merge_compareILb0ELb0EiNS0_19identity_decomposerEEEEE10hipError_tT0_T1_T2_jT3_P12ihipStream_tbPNSt15iterator_traitsISG_E10value_typeEPNSM_ISH_E10value_typeEPSI_NS1_7vsmem_tEENKUlT_SG_SH_SI_E_clIPiSA_PsSB_EESF_SV_SG_SH_SI_EUlSV_E1_NS1_11comp_targetILNS1_3genE4ELNS1_11target_archE910ELNS1_3gpuE8ELNS1_3repE0EEENS1_36merge_oddeven_config_static_selectorELNS0_4arch9wavefront6targetE1EEEvSH_
; %bb.0:
	.section	.rodata,"a",@progbits
	.p2align	6, 0x0
	.amdhsa_kernel _ZN7rocprim17ROCPRIM_400000_NS6detail17trampoline_kernelINS0_14default_configENS1_38merge_sort_block_merge_config_selectorIisEEZZNS1_27merge_sort_block_merge_implIS3_N6thrust23THRUST_200600_302600_NS10device_ptrIiEENS9_IsEEjNS1_19radix_merge_compareILb0ELb0EiNS0_19identity_decomposerEEEEE10hipError_tT0_T1_T2_jT3_P12ihipStream_tbPNSt15iterator_traitsISG_E10value_typeEPNSM_ISH_E10value_typeEPSI_NS1_7vsmem_tEENKUlT_SG_SH_SI_E_clIPiSA_PsSB_EESF_SV_SG_SH_SI_EUlSV_E1_NS1_11comp_targetILNS1_3genE4ELNS1_11target_archE910ELNS1_3gpuE8ELNS1_3repE0EEENS1_36merge_oddeven_config_static_selectorELNS0_4arch9wavefront6targetE1EEEvSH_
		.amdhsa_group_segment_fixed_size 0
		.amdhsa_private_segment_fixed_size 0
		.amdhsa_kernarg_size 48
		.amdhsa_user_sgpr_count 2
		.amdhsa_user_sgpr_dispatch_ptr 0
		.amdhsa_user_sgpr_queue_ptr 0
		.amdhsa_user_sgpr_kernarg_segment_ptr 1
		.amdhsa_user_sgpr_dispatch_id 0
		.amdhsa_user_sgpr_kernarg_preload_length 0
		.amdhsa_user_sgpr_kernarg_preload_offset 0
		.amdhsa_user_sgpr_private_segment_size 0
		.amdhsa_uses_dynamic_stack 0
		.amdhsa_enable_private_segment 0
		.amdhsa_system_sgpr_workgroup_id_x 1
		.amdhsa_system_sgpr_workgroup_id_y 0
		.amdhsa_system_sgpr_workgroup_id_z 0
		.amdhsa_system_sgpr_workgroup_info 0
		.amdhsa_system_vgpr_workitem_id 0
		.amdhsa_next_free_vgpr 1
		.amdhsa_next_free_sgpr 0
		.amdhsa_accum_offset 4
		.amdhsa_reserve_vcc 0
		.amdhsa_float_round_mode_32 0
		.amdhsa_float_round_mode_16_64 0
		.amdhsa_float_denorm_mode_32 3
		.amdhsa_float_denorm_mode_16_64 3
		.amdhsa_dx10_clamp 1
		.amdhsa_ieee_mode 1
		.amdhsa_fp16_overflow 0
		.amdhsa_tg_split 0
		.amdhsa_exception_fp_ieee_invalid_op 0
		.amdhsa_exception_fp_denorm_src 0
		.amdhsa_exception_fp_ieee_div_zero 0
		.amdhsa_exception_fp_ieee_overflow 0
		.amdhsa_exception_fp_ieee_underflow 0
		.amdhsa_exception_fp_ieee_inexact 0
		.amdhsa_exception_int_div_zero 0
	.end_amdhsa_kernel
	.section	.text._ZN7rocprim17ROCPRIM_400000_NS6detail17trampoline_kernelINS0_14default_configENS1_38merge_sort_block_merge_config_selectorIisEEZZNS1_27merge_sort_block_merge_implIS3_N6thrust23THRUST_200600_302600_NS10device_ptrIiEENS9_IsEEjNS1_19radix_merge_compareILb0ELb0EiNS0_19identity_decomposerEEEEE10hipError_tT0_T1_T2_jT3_P12ihipStream_tbPNSt15iterator_traitsISG_E10value_typeEPNSM_ISH_E10value_typeEPSI_NS1_7vsmem_tEENKUlT_SG_SH_SI_E_clIPiSA_PsSB_EESF_SV_SG_SH_SI_EUlSV_E1_NS1_11comp_targetILNS1_3genE4ELNS1_11target_archE910ELNS1_3gpuE8ELNS1_3repE0EEENS1_36merge_oddeven_config_static_selectorELNS0_4arch9wavefront6targetE1EEEvSH_,"axG",@progbits,_ZN7rocprim17ROCPRIM_400000_NS6detail17trampoline_kernelINS0_14default_configENS1_38merge_sort_block_merge_config_selectorIisEEZZNS1_27merge_sort_block_merge_implIS3_N6thrust23THRUST_200600_302600_NS10device_ptrIiEENS9_IsEEjNS1_19radix_merge_compareILb0ELb0EiNS0_19identity_decomposerEEEEE10hipError_tT0_T1_T2_jT3_P12ihipStream_tbPNSt15iterator_traitsISG_E10value_typeEPNSM_ISH_E10value_typeEPSI_NS1_7vsmem_tEENKUlT_SG_SH_SI_E_clIPiSA_PsSB_EESF_SV_SG_SH_SI_EUlSV_E1_NS1_11comp_targetILNS1_3genE4ELNS1_11target_archE910ELNS1_3gpuE8ELNS1_3repE0EEENS1_36merge_oddeven_config_static_selectorELNS0_4arch9wavefront6targetE1EEEvSH_,comdat
.Lfunc_end2309:
	.size	_ZN7rocprim17ROCPRIM_400000_NS6detail17trampoline_kernelINS0_14default_configENS1_38merge_sort_block_merge_config_selectorIisEEZZNS1_27merge_sort_block_merge_implIS3_N6thrust23THRUST_200600_302600_NS10device_ptrIiEENS9_IsEEjNS1_19radix_merge_compareILb0ELb0EiNS0_19identity_decomposerEEEEE10hipError_tT0_T1_T2_jT3_P12ihipStream_tbPNSt15iterator_traitsISG_E10value_typeEPNSM_ISH_E10value_typeEPSI_NS1_7vsmem_tEENKUlT_SG_SH_SI_E_clIPiSA_PsSB_EESF_SV_SG_SH_SI_EUlSV_E1_NS1_11comp_targetILNS1_3genE4ELNS1_11target_archE910ELNS1_3gpuE8ELNS1_3repE0EEENS1_36merge_oddeven_config_static_selectorELNS0_4arch9wavefront6targetE1EEEvSH_, .Lfunc_end2309-_ZN7rocprim17ROCPRIM_400000_NS6detail17trampoline_kernelINS0_14default_configENS1_38merge_sort_block_merge_config_selectorIisEEZZNS1_27merge_sort_block_merge_implIS3_N6thrust23THRUST_200600_302600_NS10device_ptrIiEENS9_IsEEjNS1_19radix_merge_compareILb0ELb0EiNS0_19identity_decomposerEEEEE10hipError_tT0_T1_T2_jT3_P12ihipStream_tbPNSt15iterator_traitsISG_E10value_typeEPNSM_ISH_E10value_typeEPSI_NS1_7vsmem_tEENKUlT_SG_SH_SI_E_clIPiSA_PsSB_EESF_SV_SG_SH_SI_EUlSV_E1_NS1_11comp_targetILNS1_3genE4ELNS1_11target_archE910ELNS1_3gpuE8ELNS1_3repE0EEENS1_36merge_oddeven_config_static_selectorELNS0_4arch9wavefront6targetE1EEEvSH_
                                        ; -- End function
	.set _ZN7rocprim17ROCPRIM_400000_NS6detail17trampoline_kernelINS0_14default_configENS1_38merge_sort_block_merge_config_selectorIisEEZZNS1_27merge_sort_block_merge_implIS3_N6thrust23THRUST_200600_302600_NS10device_ptrIiEENS9_IsEEjNS1_19radix_merge_compareILb0ELb0EiNS0_19identity_decomposerEEEEE10hipError_tT0_T1_T2_jT3_P12ihipStream_tbPNSt15iterator_traitsISG_E10value_typeEPNSM_ISH_E10value_typeEPSI_NS1_7vsmem_tEENKUlT_SG_SH_SI_E_clIPiSA_PsSB_EESF_SV_SG_SH_SI_EUlSV_E1_NS1_11comp_targetILNS1_3genE4ELNS1_11target_archE910ELNS1_3gpuE8ELNS1_3repE0EEENS1_36merge_oddeven_config_static_selectorELNS0_4arch9wavefront6targetE1EEEvSH_.num_vgpr, 0
	.set _ZN7rocprim17ROCPRIM_400000_NS6detail17trampoline_kernelINS0_14default_configENS1_38merge_sort_block_merge_config_selectorIisEEZZNS1_27merge_sort_block_merge_implIS3_N6thrust23THRUST_200600_302600_NS10device_ptrIiEENS9_IsEEjNS1_19radix_merge_compareILb0ELb0EiNS0_19identity_decomposerEEEEE10hipError_tT0_T1_T2_jT3_P12ihipStream_tbPNSt15iterator_traitsISG_E10value_typeEPNSM_ISH_E10value_typeEPSI_NS1_7vsmem_tEENKUlT_SG_SH_SI_E_clIPiSA_PsSB_EESF_SV_SG_SH_SI_EUlSV_E1_NS1_11comp_targetILNS1_3genE4ELNS1_11target_archE910ELNS1_3gpuE8ELNS1_3repE0EEENS1_36merge_oddeven_config_static_selectorELNS0_4arch9wavefront6targetE1EEEvSH_.num_agpr, 0
	.set _ZN7rocprim17ROCPRIM_400000_NS6detail17trampoline_kernelINS0_14default_configENS1_38merge_sort_block_merge_config_selectorIisEEZZNS1_27merge_sort_block_merge_implIS3_N6thrust23THRUST_200600_302600_NS10device_ptrIiEENS9_IsEEjNS1_19radix_merge_compareILb0ELb0EiNS0_19identity_decomposerEEEEE10hipError_tT0_T1_T2_jT3_P12ihipStream_tbPNSt15iterator_traitsISG_E10value_typeEPNSM_ISH_E10value_typeEPSI_NS1_7vsmem_tEENKUlT_SG_SH_SI_E_clIPiSA_PsSB_EESF_SV_SG_SH_SI_EUlSV_E1_NS1_11comp_targetILNS1_3genE4ELNS1_11target_archE910ELNS1_3gpuE8ELNS1_3repE0EEENS1_36merge_oddeven_config_static_selectorELNS0_4arch9wavefront6targetE1EEEvSH_.numbered_sgpr, 0
	.set _ZN7rocprim17ROCPRIM_400000_NS6detail17trampoline_kernelINS0_14default_configENS1_38merge_sort_block_merge_config_selectorIisEEZZNS1_27merge_sort_block_merge_implIS3_N6thrust23THRUST_200600_302600_NS10device_ptrIiEENS9_IsEEjNS1_19radix_merge_compareILb0ELb0EiNS0_19identity_decomposerEEEEE10hipError_tT0_T1_T2_jT3_P12ihipStream_tbPNSt15iterator_traitsISG_E10value_typeEPNSM_ISH_E10value_typeEPSI_NS1_7vsmem_tEENKUlT_SG_SH_SI_E_clIPiSA_PsSB_EESF_SV_SG_SH_SI_EUlSV_E1_NS1_11comp_targetILNS1_3genE4ELNS1_11target_archE910ELNS1_3gpuE8ELNS1_3repE0EEENS1_36merge_oddeven_config_static_selectorELNS0_4arch9wavefront6targetE1EEEvSH_.num_named_barrier, 0
	.set _ZN7rocprim17ROCPRIM_400000_NS6detail17trampoline_kernelINS0_14default_configENS1_38merge_sort_block_merge_config_selectorIisEEZZNS1_27merge_sort_block_merge_implIS3_N6thrust23THRUST_200600_302600_NS10device_ptrIiEENS9_IsEEjNS1_19radix_merge_compareILb0ELb0EiNS0_19identity_decomposerEEEEE10hipError_tT0_T1_T2_jT3_P12ihipStream_tbPNSt15iterator_traitsISG_E10value_typeEPNSM_ISH_E10value_typeEPSI_NS1_7vsmem_tEENKUlT_SG_SH_SI_E_clIPiSA_PsSB_EESF_SV_SG_SH_SI_EUlSV_E1_NS1_11comp_targetILNS1_3genE4ELNS1_11target_archE910ELNS1_3gpuE8ELNS1_3repE0EEENS1_36merge_oddeven_config_static_selectorELNS0_4arch9wavefront6targetE1EEEvSH_.private_seg_size, 0
	.set _ZN7rocprim17ROCPRIM_400000_NS6detail17trampoline_kernelINS0_14default_configENS1_38merge_sort_block_merge_config_selectorIisEEZZNS1_27merge_sort_block_merge_implIS3_N6thrust23THRUST_200600_302600_NS10device_ptrIiEENS9_IsEEjNS1_19radix_merge_compareILb0ELb0EiNS0_19identity_decomposerEEEEE10hipError_tT0_T1_T2_jT3_P12ihipStream_tbPNSt15iterator_traitsISG_E10value_typeEPNSM_ISH_E10value_typeEPSI_NS1_7vsmem_tEENKUlT_SG_SH_SI_E_clIPiSA_PsSB_EESF_SV_SG_SH_SI_EUlSV_E1_NS1_11comp_targetILNS1_3genE4ELNS1_11target_archE910ELNS1_3gpuE8ELNS1_3repE0EEENS1_36merge_oddeven_config_static_selectorELNS0_4arch9wavefront6targetE1EEEvSH_.uses_vcc, 0
	.set _ZN7rocprim17ROCPRIM_400000_NS6detail17trampoline_kernelINS0_14default_configENS1_38merge_sort_block_merge_config_selectorIisEEZZNS1_27merge_sort_block_merge_implIS3_N6thrust23THRUST_200600_302600_NS10device_ptrIiEENS9_IsEEjNS1_19radix_merge_compareILb0ELb0EiNS0_19identity_decomposerEEEEE10hipError_tT0_T1_T2_jT3_P12ihipStream_tbPNSt15iterator_traitsISG_E10value_typeEPNSM_ISH_E10value_typeEPSI_NS1_7vsmem_tEENKUlT_SG_SH_SI_E_clIPiSA_PsSB_EESF_SV_SG_SH_SI_EUlSV_E1_NS1_11comp_targetILNS1_3genE4ELNS1_11target_archE910ELNS1_3gpuE8ELNS1_3repE0EEENS1_36merge_oddeven_config_static_selectorELNS0_4arch9wavefront6targetE1EEEvSH_.uses_flat_scratch, 0
	.set _ZN7rocprim17ROCPRIM_400000_NS6detail17trampoline_kernelINS0_14default_configENS1_38merge_sort_block_merge_config_selectorIisEEZZNS1_27merge_sort_block_merge_implIS3_N6thrust23THRUST_200600_302600_NS10device_ptrIiEENS9_IsEEjNS1_19radix_merge_compareILb0ELb0EiNS0_19identity_decomposerEEEEE10hipError_tT0_T1_T2_jT3_P12ihipStream_tbPNSt15iterator_traitsISG_E10value_typeEPNSM_ISH_E10value_typeEPSI_NS1_7vsmem_tEENKUlT_SG_SH_SI_E_clIPiSA_PsSB_EESF_SV_SG_SH_SI_EUlSV_E1_NS1_11comp_targetILNS1_3genE4ELNS1_11target_archE910ELNS1_3gpuE8ELNS1_3repE0EEENS1_36merge_oddeven_config_static_selectorELNS0_4arch9wavefront6targetE1EEEvSH_.has_dyn_sized_stack, 0
	.set _ZN7rocprim17ROCPRIM_400000_NS6detail17trampoline_kernelINS0_14default_configENS1_38merge_sort_block_merge_config_selectorIisEEZZNS1_27merge_sort_block_merge_implIS3_N6thrust23THRUST_200600_302600_NS10device_ptrIiEENS9_IsEEjNS1_19radix_merge_compareILb0ELb0EiNS0_19identity_decomposerEEEEE10hipError_tT0_T1_T2_jT3_P12ihipStream_tbPNSt15iterator_traitsISG_E10value_typeEPNSM_ISH_E10value_typeEPSI_NS1_7vsmem_tEENKUlT_SG_SH_SI_E_clIPiSA_PsSB_EESF_SV_SG_SH_SI_EUlSV_E1_NS1_11comp_targetILNS1_3genE4ELNS1_11target_archE910ELNS1_3gpuE8ELNS1_3repE0EEENS1_36merge_oddeven_config_static_selectorELNS0_4arch9wavefront6targetE1EEEvSH_.has_recursion, 0
	.set _ZN7rocprim17ROCPRIM_400000_NS6detail17trampoline_kernelINS0_14default_configENS1_38merge_sort_block_merge_config_selectorIisEEZZNS1_27merge_sort_block_merge_implIS3_N6thrust23THRUST_200600_302600_NS10device_ptrIiEENS9_IsEEjNS1_19radix_merge_compareILb0ELb0EiNS0_19identity_decomposerEEEEE10hipError_tT0_T1_T2_jT3_P12ihipStream_tbPNSt15iterator_traitsISG_E10value_typeEPNSM_ISH_E10value_typeEPSI_NS1_7vsmem_tEENKUlT_SG_SH_SI_E_clIPiSA_PsSB_EESF_SV_SG_SH_SI_EUlSV_E1_NS1_11comp_targetILNS1_3genE4ELNS1_11target_archE910ELNS1_3gpuE8ELNS1_3repE0EEENS1_36merge_oddeven_config_static_selectorELNS0_4arch9wavefront6targetE1EEEvSH_.has_indirect_call, 0
	.section	.AMDGPU.csdata,"",@progbits
; Kernel info:
; codeLenInByte = 0
; TotalNumSgprs: 6
; NumVgprs: 0
; NumAgprs: 0
; TotalNumVgprs: 0
; ScratchSize: 0
; MemoryBound: 0
; FloatMode: 240
; IeeeMode: 1
; LDSByteSize: 0 bytes/workgroup (compile time only)
; SGPRBlocks: 0
; VGPRBlocks: 0
; NumSGPRsForWavesPerEU: 6
; NumVGPRsForWavesPerEU: 1
; AccumOffset: 4
; Occupancy: 8
; WaveLimiterHint : 0
; COMPUTE_PGM_RSRC2:SCRATCH_EN: 0
; COMPUTE_PGM_RSRC2:USER_SGPR: 2
; COMPUTE_PGM_RSRC2:TRAP_HANDLER: 0
; COMPUTE_PGM_RSRC2:TGID_X_EN: 1
; COMPUTE_PGM_RSRC2:TGID_Y_EN: 0
; COMPUTE_PGM_RSRC2:TGID_Z_EN: 0
; COMPUTE_PGM_RSRC2:TIDIG_COMP_CNT: 0
; COMPUTE_PGM_RSRC3_GFX90A:ACCUM_OFFSET: 0
; COMPUTE_PGM_RSRC3_GFX90A:TG_SPLIT: 0
	.section	.text._ZN7rocprim17ROCPRIM_400000_NS6detail17trampoline_kernelINS0_14default_configENS1_38merge_sort_block_merge_config_selectorIisEEZZNS1_27merge_sort_block_merge_implIS3_N6thrust23THRUST_200600_302600_NS10device_ptrIiEENS9_IsEEjNS1_19radix_merge_compareILb0ELb0EiNS0_19identity_decomposerEEEEE10hipError_tT0_T1_T2_jT3_P12ihipStream_tbPNSt15iterator_traitsISG_E10value_typeEPNSM_ISH_E10value_typeEPSI_NS1_7vsmem_tEENKUlT_SG_SH_SI_E_clIPiSA_PsSB_EESF_SV_SG_SH_SI_EUlSV_E1_NS1_11comp_targetILNS1_3genE3ELNS1_11target_archE908ELNS1_3gpuE7ELNS1_3repE0EEENS1_36merge_oddeven_config_static_selectorELNS0_4arch9wavefront6targetE1EEEvSH_,"axG",@progbits,_ZN7rocprim17ROCPRIM_400000_NS6detail17trampoline_kernelINS0_14default_configENS1_38merge_sort_block_merge_config_selectorIisEEZZNS1_27merge_sort_block_merge_implIS3_N6thrust23THRUST_200600_302600_NS10device_ptrIiEENS9_IsEEjNS1_19radix_merge_compareILb0ELb0EiNS0_19identity_decomposerEEEEE10hipError_tT0_T1_T2_jT3_P12ihipStream_tbPNSt15iterator_traitsISG_E10value_typeEPNSM_ISH_E10value_typeEPSI_NS1_7vsmem_tEENKUlT_SG_SH_SI_E_clIPiSA_PsSB_EESF_SV_SG_SH_SI_EUlSV_E1_NS1_11comp_targetILNS1_3genE3ELNS1_11target_archE908ELNS1_3gpuE7ELNS1_3repE0EEENS1_36merge_oddeven_config_static_selectorELNS0_4arch9wavefront6targetE1EEEvSH_,comdat
	.protected	_ZN7rocprim17ROCPRIM_400000_NS6detail17trampoline_kernelINS0_14default_configENS1_38merge_sort_block_merge_config_selectorIisEEZZNS1_27merge_sort_block_merge_implIS3_N6thrust23THRUST_200600_302600_NS10device_ptrIiEENS9_IsEEjNS1_19radix_merge_compareILb0ELb0EiNS0_19identity_decomposerEEEEE10hipError_tT0_T1_T2_jT3_P12ihipStream_tbPNSt15iterator_traitsISG_E10value_typeEPNSM_ISH_E10value_typeEPSI_NS1_7vsmem_tEENKUlT_SG_SH_SI_E_clIPiSA_PsSB_EESF_SV_SG_SH_SI_EUlSV_E1_NS1_11comp_targetILNS1_3genE3ELNS1_11target_archE908ELNS1_3gpuE7ELNS1_3repE0EEENS1_36merge_oddeven_config_static_selectorELNS0_4arch9wavefront6targetE1EEEvSH_ ; -- Begin function _ZN7rocprim17ROCPRIM_400000_NS6detail17trampoline_kernelINS0_14default_configENS1_38merge_sort_block_merge_config_selectorIisEEZZNS1_27merge_sort_block_merge_implIS3_N6thrust23THRUST_200600_302600_NS10device_ptrIiEENS9_IsEEjNS1_19radix_merge_compareILb0ELb0EiNS0_19identity_decomposerEEEEE10hipError_tT0_T1_T2_jT3_P12ihipStream_tbPNSt15iterator_traitsISG_E10value_typeEPNSM_ISH_E10value_typeEPSI_NS1_7vsmem_tEENKUlT_SG_SH_SI_E_clIPiSA_PsSB_EESF_SV_SG_SH_SI_EUlSV_E1_NS1_11comp_targetILNS1_3genE3ELNS1_11target_archE908ELNS1_3gpuE7ELNS1_3repE0EEENS1_36merge_oddeven_config_static_selectorELNS0_4arch9wavefront6targetE1EEEvSH_
	.globl	_ZN7rocprim17ROCPRIM_400000_NS6detail17trampoline_kernelINS0_14default_configENS1_38merge_sort_block_merge_config_selectorIisEEZZNS1_27merge_sort_block_merge_implIS3_N6thrust23THRUST_200600_302600_NS10device_ptrIiEENS9_IsEEjNS1_19radix_merge_compareILb0ELb0EiNS0_19identity_decomposerEEEEE10hipError_tT0_T1_T2_jT3_P12ihipStream_tbPNSt15iterator_traitsISG_E10value_typeEPNSM_ISH_E10value_typeEPSI_NS1_7vsmem_tEENKUlT_SG_SH_SI_E_clIPiSA_PsSB_EESF_SV_SG_SH_SI_EUlSV_E1_NS1_11comp_targetILNS1_3genE3ELNS1_11target_archE908ELNS1_3gpuE7ELNS1_3repE0EEENS1_36merge_oddeven_config_static_selectorELNS0_4arch9wavefront6targetE1EEEvSH_
	.p2align	8
	.type	_ZN7rocprim17ROCPRIM_400000_NS6detail17trampoline_kernelINS0_14default_configENS1_38merge_sort_block_merge_config_selectorIisEEZZNS1_27merge_sort_block_merge_implIS3_N6thrust23THRUST_200600_302600_NS10device_ptrIiEENS9_IsEEjNS1_19radix_merge_compareILb0ELb0EiNS0_19identity_decomposerEEEEE10hipError_tT0_T1_T2_jT3_P12ihipStream_tbPNSt15iterator_traitsISG_E10value_typeEPNSM_ISH_E10value_typeEPSI_NS1_7vsmem_tEENKUlT_SG_SH_SI_E_clIPiSA_PsSB_EESF_SV_SG_SH_SI_EUlSV_E1_NS1_11comp_targetILNS1_3genE3ELNS1_11target_archE908ELNS1_3gpuE7ELNS1_3repE0EEENS1_36merge_oddeven_config_static_selectorELNS0_4arch9wavefront6targetE1EEEvSH_,@function
_ZN7rocprim17ROCPRIM_400000_NS6detail17trampoline_kernelINS0_14default_configENS1_38merge_sort_block_merge_config_selectorIisEEZZNS1_27merge_sort_block_merge_implIS3_N6thrust23THRUST_200600_302600_NS10device_ptrIiEENS9_IsEEjNS1_19radix_merge_compareILb0ELb0EiNS0_19identity_decomposerEEEEE10hipError_tT0_T1_T2_jT3_P12ihipStream_tbPNSt15iterator_traitsISG_E10value_typeEPNSM_ISH_E10value_typeEPSI_NS1_7vsmem_tEENKUlT_SG_SH_SI_E_clIPiSA_PsSB_EESF_SV_SG_SH_SI_EUlSV_E1_NS1_11comp_targetILNS1_3genE3ELNS1_11target_archE908ELNS1_3gpuE7ELNS1_3repE0EEENS1_36merge_oddeven_config_static_selectorELNS0_4arch9wavefront6targetE1EEEvSH_: ; @_ZN7rocprim17ROCPRIM_400000_NS6detail17trampoline_kernelINS0_14default_configENS1_38merge_sort_block_merge_config_selectorIisEEZZNS1_27merge_sort_block_merge_implIS3_N6thrust23THRUST_200600_302600_NS10device_ptrIiEENS9_IsEEjNS1_19radix_merge_compareILb0ELb0EiNS0_19identity_decomposerEEEEE10hipError_tT0_T1_T2_jT3_P12ihipStream_tbPNSt15iterator_traitsISG_E10value_typeEPNSM_ISH_E10value_typeEPSI_NS1_7vsmem_tEENKUlT_SG_SH_SI_E_clIPiSA_PsSB_EESF_SV_SG_SH_SI_EUlSV_E1_NS1_11comp_targetILNS1_3genE3ELNS1_11target_archE908ELNS1_3gpuE7ELNS1_3repE0EEENS1_36merge_oddeven_config_static_selectorELNS0_4arch9wavefront6targetE1EEEvSH_
; %bb.0:
	.section	.rodata,"a",@progbits
	.p2align	6, 0x0
	.amdhsa_kernel _ZN7rocprim17ROCPRIM_400000_NS6detail17trampoline_kernelINS0_14default_configENS1_38merge_sort_block_merge_config_selectorIisEEZZNS1_27merge_sort_block_merge_implIS3_N6thrust23THRUST_200600_302600_NS10device_ptrIiEENS9_IsEEjNS1_19radix_merge_compareILb0ELb0EiNS0_19identity_decomposerEEEEE10hipError_tT0_T1_T2_jT3_P12ihipStream_tbPNSt15iterator_traitsISG_E10value_typeEPNSM_ISH_E10value_typeEPSI_NS1_7vsmem_tEENKUlT_SG_SH_SI_E_clIPiSA_PsSB_EESF_SV_SG_SH_SI_EUlSV_E1_NS1_11comp_targetILNS1_3genE3ELNS1_11target_archE908ELNS1_3gpuE7ELNS1_3repE0EEENS1_36merge_oddeven_config_static_selectorELNS0_4arch9wavefront6targetE1EEEvSH_
		.amdhsa_group_segment_fixed_size 0
		.amdhsa_private_segment_fixed_size 0
		.amdhsa_kernarg_size 48
		.amdhsa_user_sgpr_count 2
		.amdhsa_user_sgpr_dispatch_ptr 0
		.amdhsa_user_sgpr_queue_ptr 0
		.amdhsa_user_sgpr_kernarg_segment_ptr 1
		.amdhsa_user_sgpr_dispatch_id 0
		.amdhsa_user_sgpr_kernarg_preload_length 0
		.amdhsa_user_sgpr_kernarg_preload_offset 0
		.amdhsa_user_sgpr_private_segment_size 0
		.amdhsa_uses_dynamic_stack 0
		.amdhsa_enable_private_segment 0
		.amdhsa_system_sgpr_workgroup_id_x 1
		.amdhsa_system_sgpr_workgroup_id_y 0
		.amdhsa_system_sgpr_workgroup_id_z 0
		.amdhsa_system_sgpr_workgroup_info 0
		.amdhsa_system_vgpr_workitem_id 0
		.amdhsa_next_free_vgpr 1
		.amdhsa_next_free_sgpr 0
		.amdhsa_accum_offset 4
		.amdhsa_reserve_vcc 0
		.amdhsa_float_round_mode_32 0
		.amdhsa_float_round_mode_16_64 0
		.amdhsa_float_denorm_mode_32 3
		.amdhsa_float_denorm_mode_16_64 3
		.amdhsa_dx10_clamp 1
		.amdhsa_ieee_mode 1
		.amdhsa_fp16_overflow 0
		.amdhsa_tg_split 0
		.amdhsa_exception_fp_ieee_invalid_op 0
		.amdhsa_exception_fp_denorm_src 0
		.amdhsa_exception_fp_ieee_div_zero 0
		.amdhsa_exception_fp_ieee_overflow 0
		.amdhsa_exception_fp_ieee_underflow 0
		.amdhsa_exception_fp_ieee_inexact 0
		.amdhsa_exception_int_div_zero 0
	.end_amdhsa_kernel
	.section	.text._ZN7rocprim17ROCPRIM_400000_NS6detail17trampoline_kernelINS0_14default_configENS1_38merge_sort_block_merge_config_selectorIisEEZZNS1_27merge_sort_block_merge_implIS3_N6thrust23THRUST_200600_302600_NS10device_ptrIiEENS9_IsEEjNS1_19radix_merge_compareILb0ELb0EiNS0_19identity_decomposerEEEEE10hipError_tT0_T1_T2_jT3_P12ihipStream_tbPNSt15iterator_traitsISG_E10value_typeEPNSM_ISH_E10value_typeEPSI_NS1_7vsmem_tEENKUlT_SG_SH_SI_E_clIPiSA_PsSB_EESF_SV_SG_SH_SI_EUlSV_E1_NS1_11comp_targetILNS1_3genE3ELNS1_11target_archE908ELNS1_3gpuE7ELNS1_3repE0EEENS1_36merge_oddeven_config_static_selectorELNS0_4arch9wavefront6targetE1EEEvSH_,"axG",@progbits,_ZN7rocprim17ROCPRIM_400000_NS6detail17trampoline_kernelINS0_14default_configENS1_38merge_sort_block_merge_config_selectorIisEEZZNS1_27merge_sort_block_merge_implIS3_N6thrust23THRUST_200600_302600_NS10device_ptrIiEENS9_IsEEjNS1_19radix_merge_compareILb0ELb0EiNS0_19identity_decomposerEEEEE10hipError_tT0_T1_T2_jT3_P12ihipStream_tbPNSt15iterator_traitsISG_E10value_typeEPNSM_ISH_E10value_typeEPSI_NS1_7vsmem_tEENKUlT_SG_SH_SI_E_clIPiSA_PsSB_EESF_SV_SG_SH_SI_EUlSV_E1_NS1_11comp_targetILNS1_3genE3ELNS1_11target_archE908ELNS1_3gpuE7ELNS1_3repE0EEENS1_36merge_oddeven_config_static_selectorELNS0_4arch9wavefront6targetE1EEEvSH_,comdat
.Lfunc_end2310:
	.size	_ZN7rocprim17ROCPRIM_400000_NS6detail17trampoline_kernelINS0_14default_configENS1_38merge_sort_block_merge_config_selectorIisEEZZNS1_27merge_sort_block_merge_implIS3_N6thrust23THRUST_200600_302600_NS10device_ptrIiEENS9_IsEEjNS1_19radix_merge_compareILb0ELb0EiNS0_19identity_decomposerEEEEE10hipError_tT0_T1_T2_jT3_P12ihipStream_tbPNSt15iterator_traitsISG_E10value_typeEPNSM_ISH_E10value_typeEPSI_NS1_7vsmem_tEENKUlT_SG_SH_SI_E_clIPiSA_PsSB_EESF_SV_SG_SH_SI_EUlSV_E1_NS1_11comp_targetILNS1_3genE3ELNS1_11target_archE908ELNS1_3gpuE7ELNS1_3repE0EEENS1_36merge_oddeven_config_static_selectorELNS0_4arch9wavefront6targetE1EEEvSH_, .Lfunc_end2310-_ZN7rocprim17ROCPRIM_400000_NS6detail17trampoline_kernelINS0_14default_configENS1_38merge_sort_block_merge_config_selectorIisEEZZNS1_27merge_sort_block_merge_implIS3_N6thrust23THRUST_200600_302600_NS10device_ptrIiEENS9_IsEEjNS1_19radix_merge_compareILb0ELb0EiNS0_19identity_decomposerEEEEE10hipError_tT0_T1_T2_jT3_P12ihipStream_tbPNSt15iterator_traitsISG_E10value_typeEPNSM_ISH_E10value_typeEPSI_NS1_7vsmem_tEENKUlT_SG_SH_SI_E_clIPiSA_PsSB_EESF_SV_SG_SH_SI_EUlSV_E1_NS1_11comp_targetILNS1_3genE3ELNS1_11target_archE908ELNS1_3gpuE7ELNS1_3repE0EEENS1_36merge_oddeven_config_static_selectorELNS0_4arch9wavefront6targetE1EEEvSH_
                                        ; -- End function
	.set _ZN7rocprim17ROCPRIM_400000_NS6detail17trampoline_kernelINS0_14default_configENS1_38merge_sort_block_merge_config_selectorIisEEZZNS1_27merge_sort_block_merge_implIS3_N6thrust23THRUST_200600_302600_NS10device_ptrIiEENS9_IsEEjNS1_19radix_merge_compareILb0ELb0EiNS0_19identity_decomposerEEEEE10hipError_tT0_T1_T2_jT3_P12ihipStream_tbPNSt15iterator_traitsISG_E10value_typeEPNSM_ISH_E10value_typeEPSI_NS1_7vsmem_tEENKUlT_SG_SH_SI_E_clIPiSA_PsSB_EESF_SV_SG_SH_SI_EUlSV_E1_NS1_11comp_targetILNS1_3genE3ELNS1_11target_archE908ELNS1_3gpuE7ELNS1_3repE0EEENS1_36merge_oddeven_config_static_selectorELNS0_4arch9wavefront6targetE1EEEvSH_.num_vgpr, 0
	.set _ZN7rocprim17ROCPRIM_400000_NS6detail17trampoline_kernelINS0_14default_configENS1_38merge_sort_block_merge_config_selectorIisEEZZNS1_27merge_sort_block_merge_implIS3_N6thrust23THRUST_200600_302600_NS10device_ptrIiEENS9_IsEEjNS1_19radix_merge_compareILb0ELb0EiNS0_19identity_decomposerEEEEE10hipError_tT0_T1_T2_jT3_P12ihipStream_tbPNSt15iterator_traitsISG_E10value_typeEPNSM_ISH_E10value_typeEPSI_NS1_7vsmem_tEENKUlT_SG_SH_SI_E_clIPiSA_PsSB_EESF_SV_SG_SH_SI_EUlSV_E1_NS1_11comp_targetILNS1_3genE3ELNS1_11target_archE908ELNS1_3gpuE7ELNS1_3repE0EEENS1_36merge_oddeven_config_static_selectorELNS0_4arch9wavefront6targetE1EEEvSH_.num_agpr, 0
	.set _ZN7rocprim17ROCPRIM_400000_NS6detail17trampoline_kernelINS0_14default_configENS1_38merge_sort_block_merge_config_selectorIisEEZZNS1_27merge_sort_block_merge_implIS3_N6thrust23THRUST_200600_302600_NS10device_ptrIiEENS9_IsEEjNS1_19radix_merge_compareILb0ELb0EiNS0_19identity_decomposerEEEEE10hipError_tT0_T1_T2_jT3_P12ihipStream_tbPNSt15iterator_traitsISG_E10value_typeEPNSM_ISH_E10value_typeEPSI_NS1_7vsmem_tEENKUlT_SG_SH_SI_E_clIPiSA_PsSB_EESF_SV_SG_SH_SI_EUlSV_E1_NS1_11comp_targetILNS1_3genE3ELNS1_11target_archE908ELNS1_3gpuE7ELNS1_3repE0EEENS1_36merge_oddeven_config_static_selectorELNS0_4arch9wavefront6targetE1EEEvSH_.numbered_sgpr, 0
	.set _ZN7rocprim17ROCPRIM_400000_NS6detail17trampoline_kernelINS0_14default_configENS1_38merge_sort_block_merge_config_selectorIisEEZZNS1_27merge_sort_block_merge_implIS3_N6thrust23THRUST_200600_302600_NS10device_ptrIiEENS9_IsEEjNS1_19radix_merge_compareILb0ELb0EiNS0_19identity_decomposerEEEEE10hipError_tT0_T1_T2_jT3_P12ihipStream_tbPNSt15iterator_traitsISG_E10value_typeEPNSM_ISH_E10value_typeEPSI_NS1_7vsmem_tEENKUlT_SG_SH_SI_E_clIPiSA_PsSB_EESF_SV_SG_SH_SI_EUlSV_E1_NS1_11comp_targetILNS1_3genE3ELNS1_11target_archE908ELNS1_3gpuE7ELNS1_3repE0EEENS1_36merge_oddeven_config_static_selectorELNS0_4arch9wavefront6targetE1EEEvSH_.num_named_barrier, 0
	.set _ZN7rocprim17ROCPRIM_400000_NS6detail17trampoline_kernelINS0_14default_configENS1_38merge_sort_block_merge_config_selectorIisEEZZNS1_27merge_sort_block_merge_implIS3_N6thrust23THRUST_200600_302600_NS10device_ptrIiEENS9_IsEEjNS1_19radix_merge_compareILb0ELb0EiNS0_19identity_decomposerEEEEE10hipError_tT0_T1_T2_jT3_P12ihipStream_tbPNSt15iterator_traitsISG_E10value_typeEPNSM_ISH_E10value_typeEPSI_NS1_7vsmem_tEENKUlT_SG_SH_SI_E_clIPiSA_PsSB_EESF_SV_SG_SH_SI_EUlSV_E1_NS1_11comp_targetILNS1_3genE3ELNS1_11target_archE908ELNS1_3gpuE7ELNS1_3repE0EEENS1_36merge_oddeven_config_static_selectorELNS0_4arch9wavefront6targetE1EEEvSH_.private_seg_size, 0
	.set _ZN7rocprim17ROCPRIM_400000_NS6detail17trampoline_kernelINS0_14default_configENS1_38merge_sort_block_merge_config_selectorIisEEZZNS1_27merge_sort_block_merge_implIS3_N6thrust23THRUST_200600_302600_NS10device_ptrIiEENS9_IsEEjNS1_19radix_merge_compareILb0ELb0EiNS0_19identity_decomposerEEEEE10hipError_tT0_T1_T2_jT3_P12ihipStream_tbPNSt15iterator_traitsISG_E10value_typeEPNSM_ISH_E10value_typeEPSI_NS1_7vsmem_tEENKUlT_SG_SH_SI_E_clIPiSA_PsSB_EESF_SV_SG_SH_SI_EUlSV_E1_NS1_11comp_targetILNS1_3genE3ELNS1_11target_archE908ELNS1_3gpuE7ELNS1_3repE0EEENS1_36merge_oddeven_config_static_selectorELNS0_4arch9wavefront6targetE1EEEvSH_.uses_vcc, 0
	.set _ZN7rocprim17ROCPRIM_400000_NS6detail17trampoline_kernelINS0_14default_configENS1_38merge_sort_block_merge_config_selectorIisEEZZNS1_27merge_sort_block_merge_implIS3_N6thrust23THRUST_200600_302600_NS10device_ptrIiEENS9_IsEEjNS1_19radix_merge_compareILb0ELb0EiNS0_19identity_decomposerEEEEE10hipError_tT0_T1_T2_jT3_P12ihipStream_tbPNSt15iterator_traitsISG_E10value_typeEPNSM_ISH_E10value_typeEPSI_NS1_7vsmem_tEENKUlT_SG_SH_SI_E_clIPiSA_PsSB_EESF_SV_SG_SH_SI_EUlSV_E1_NS1_11comp_targetILNS1_3genE3ELNS1_11target_archE908ELNS1_3gpuE7ELNS1_3repE0EEENS1_36merge_oddeven_config_static_selectorELNS0_4arch9wavefront6targetE1EEEvSH_.uses_flat_scratch, 0
	.set _ZN7rocprim17ROCPRIM_400000_NS6detail17trampoline_kernelINS0_14default_configENS1_38merge_sort_block_merge_config_selectorIisEEZZNS1_27merge_sort_block_merge_implIS3_N6thrust23THRUST_200600_302600_NS10device_ptrIiEENS9_IsEEjNS1_19radix_merge_compareILb0ELb0EiNS0_19identity_decomposerEEEEE10hipError_tT0_T1_T2_jT3_P12ihipStream_tbPNSt15iterator_traitsISG_E10value_typeEPNSM_ISH_E10value_typeEPSI_NS1_7vsmem_tEENKUlT_SG_SH_SI_E_clIPiSA_PsSB_EESF_SV_SG_SH_SI_EUlSV_E1_NS1_11comp_targetILNS1_3genE3ELNS1_11target_archE908ELNS1_3gpuE7ELNS1_3repE0EEENS1_36merge_oddeven_config_static_selectorELNS0_4arch9wavefront6targetE1EEEvSH_.has_dyn_sized_stack, 0
	.set _ZN7rocprim17ROCPRIM_400000_NS6detail17trampoline_kernelINS0_14default_configENS1_38merge_sort_block_merge_config_selectorIisEEZZNS1_27merge_sort_block_merge_implIS3_N6thrust23THRUST_200600_302600_NS10device_ptrIiEENS9_IsEEjNS1_19radix_merge_compareILb0ELb0EiNS0_19identity_decomposerEEEEE10hipError_tT0_T1_T2_jT3_P12ihipStream_tbPNSt15iterator_traitsISG_E10value_typeEPNSM_ISH_E10value_typeEPSI_NS1_7vsmem_tEENKUlT_SG_SH_SI_E_clIPiSA_PsSB_EESF_SV_SG_SH_SI_EUlSV_E1_NS1_11comp_targetILNS1_3genE3ELNS1_11target_archE908ELNS1_3gpuE7ELNS1_3repE0EEENS1_36merge_oddeven_config_static_selectorELNS0_4arch9wavefront6targetE1EEEvSH_.has_recursion, 0
	.set _ZN7rocprim17ROCPRIM_400000_NS6detail17trampoline_kernelINS0_14default_configENS1_38merge_sort_block_merge_config_selectorIisEEZZNS1_27merge_sort_block_merge_implIS3_N6thrust23THRUST_200600_302600_NS10device_ptrIiEENS9_IsEEjNS1_19radix_merge_compareILb0ELb0EiNS0_19identity_decomposerEEEEE10hipError_tT0_T1_T2_jT3_P12ihipStream_tbPNSt15iterator_traitsISG_E10value_typeEPNSM_ISH_E10value_typeEPSI_NS1_7vsmem_tEENKUlT_SG_SH_SI_E_clIPiSA_PsSB_EESF_SV_SG_SH_SI_EUlSV_E1_NS1_11comp_targetILNS1_3genE3ELNS1_11target_archE908ELNS1_3gpuE7ELNS1_3repE0EEENS1_36merge_oddeven_config_static_selectorELNS0_4arch9wavefront6targetE1EEEvSH_.has_indirect_call, 0
	.section	.AMDGPU.csdata,"",@progbits
; Kernel info:
; codeLenInByte = 0
; TotalNumSgprs: 6
; NumVgprs: 0
; NumAgprs: 0
; TotalNumVgprs: 0
; ScratchSize: 0
; MemoryBound: 0
; FloatMode: 240
; IeeeMode: 1
; LDSByteSize: 0 bytes/workgroup (compile time only)
; SGPRBlocks: 0
; VGPRBlocks: 0
; NumSGPRsForWavesPerEU: 6
; NumVGPRsForWavesPerEU: 1
; AccumOffset: 4
; Occupancy: 8
; WaveLimiterHint : 0
; COMPUTE_PGM_RSRC2:SCRATCH_EN: 0
; COMPUTE_PGM_RSRC2:USER_SGPR: 2
; COMPUTE_PGM_RSRC2:TRAP_HANDLER: 0
; COMPUTE_PGM_RSRC2:TGID_X_EN: 1
; COMPUTE_PGM_RSRC2:TGID_Y_EN: 0
; COMPUTE_PGM_RSRC2:TGID_Z_EN: 0
; COMPUTE_PGM_RSRC2:TIDIG_COMP_CNT: 0
; COMPUTE_PGM_RSRC3_GFX90A:ACCUM_OFFSET: 0
; COMPUTE_PGM_RSRC3_GFX90A:TG_SPLIT: 0
	.section	.text._ZN7rocprim17ROCPRIM_400000_NS6detail17trampoline_kernelINS0_14default_configENS1_38merge_sort_block_merge_config_selectorIisEEZZNS1_27merge_sort_block_merge_implIS3_N6thrust23THRUST_200600_302600_NS10device_ptrIiEENS9_IsEEjNS1_19radix_merge_compareILb0ELb0EiNS0_19identity_decomposerEEEEE10hipError_tT0_T1_T2_jT3_P12ihipStream_tbPNSt15iterator_traitsISG_E10value_typeEPNSM_ISH_E10value_typeEPSI_NS1_7vsmem_tEENKUlT_SG_SH_SI_E_clIPiSA_PsSB_EESF_SV_SG_SH_SI_EUlSV_E1_NS1_11comp_targetILNS1_3genE2ELNS1_11target_archE906ELNS1_3gpuE6ELNS1_3repE0EEENS1_36merge_oddeven_config_static_selectorELNS0_4arch9wavefront6targetE1EEEvSH_,"axG",@progbits,_ZN7rocprim17ROCPRIM_400000_NS6detail17trampoline_kernelINS0_14default_configENS1_38merge_sort_block_merge_config_selectorIisEEZZNS1_27merge_sort_block_merge_implIS3_N6thrust23THRUST_200600_302600_NS10device_ptrIiEENS9_IsEEjNS1_19radix_merge_compareILb0ELb0EiNS0_19identity_decomposerEEEEE10hipError_tT0_T1_T2_jT3_P12ihipStream_tbPNSt15iterator_traitsISG_E10value_typeEPNSM_ISH_E10value_typeEPSI_NS1_7vsmem_tEENKUlT_SG_SH_SI_E_clIPiSA_PsSB_EESF_SV_SG_SH_SI_EUlSV_E1_NS1_11comp_targetILNS1_3genE2ELNS1_11target_archE906ELNS1_3gpuE6ELNS1_3repE0EEENS1_36merge_oddeven_config_static_selectorELNS0_4arch9wavefront6targetE1EEEvSH_,comdat
	.protected	_ZN7rocprim17ROCPRIM_400000_NS6detail17trampoline_kernelINS0_14default_configENS1_38merge_sort_block_merge_config_selectorIisEEZZNS1_27merge_sort_block_merge_implIS3_N6thrust23THRUST_200600_302600_NS10device_ptrIiEENS9_IsEEjNS1_19radix_merge_compareILb0ELb0EiNS0_19identity_decomposerEEEEE10hipError_tT0_T1_T2_jT3_P12ihipStream_tbPNSt15iterator_traitsISG_E10value_typeEPNSM_ISH_E10value_typeEPSI_NS1_7vsmem_tEENKUlT_SG_SH_SI_E_clIPiSA_PsSB_EESF_SV_SG_SH_SI_EUlSV_E1_NS1_11comp_targetILNS1_3genE2ELNS1_11target_archE906ELNS1_3gpuE6ELNS1_3repE0EEENS1_36merge_oddeven_config_static_selectorELNS0_4arch9wavefront6targetE1EEEvSH_ ; -- Begin function _ZN7rocprim17ROCPRIM_400000_NS6detail17trampoline_kernelINS0_14default_configENS1_38merge_sort_block_merge_config_selectorIisEEZZNS1_27merge_sort_block_merge_implIS3_N6thrust23THRUST_200600_302600_NS10device_ptrIiEENS9_IsEEjNS1_19radix_merge_compareILb0ELb0EiNS0_19identity_decomposerEEEEE10hipError_tT0_T1_T2_jT3_P12ihipStream_tbPNSt15iterator_traitsISG_E10value_typeEPNSM_ISH_E10value_typeEPSI_NS1_7vsmem_tEENKUlT_SG_SH_SI_E_clIPiSA_PsSB_EESF_SV_SG_SH_SI_EUlSV_E1_NS1_11comp_targetILNS1_3genE2ELNS1_11target_archE906ELNS1_3gpuE6ELNS1_3repE0EEENS1_36merge_oddeven_config_static_selectorELNS0_4arch9wavefront6targetE1EEEvSH_
	.globl	_ZN7rocprim17ROCPRIM_400000_NS6detail17trampoline_kernelINS0_14default_configENS1_38merge_sort_block_merge_config_selectorIisEEZZNS1_27merge_sort_block_merge_implIS3_N6thrust23THRUST_200600_302600_NS10device_ptrIiEENS9_IsEEjNS1_19radix_merge_compareILb0ELb0EiNS0_19identity_decomposerEEEEE10hipError_tT0_T1_T2_jT3_P12ihipStream_tbPNSt15iterator_traitsISG_E10value_typeEPNSM_ISH_E10value_typeEPSI_NS1_7vsmem_tEENKUlT_SG_SH_SI_E_clIPiSA_PsSB_EESF_SV_SG_SH_SI_EUlSV_E1_NS1_11comp_targetILNS1_3genE2ELNS1_11target_archE906ELNS1_3gpuE6ELNS1_3repE0EEENS1_36merge_oddeven_config_static_selectorELNS0_4arch9wavefront6targetE1EEEvSH_
	.p2align	8
	.type	_ZN7rocprim17ROCPRIM_400000_NS6detail17trampoline_kernelINS0_14default_configENS1_38merge_sort_block_merge_config_selectorIisEEZZNS1_27merge_sort_block_merge_implIS3_N6thrust23THRUST_200600_302600_NS10device_ptrIiEENS9_IsEEjNS1_19radix_merge_compareILb0ELb0EiNS0_19identity_decomposerEEEEE10hipError_tT0_T1_T2_jT3_P12ihipStream_tbPNSt15iterator_traitsISG_E10value_typeEPNSM_ISH_E10value_typeEPSI_NS1_7vsmem_tEENKUlT_SG_SH_SI_E_clIPiSA_PsSB_EESF_SV_SG_SH_SI_EUlSV_E1_NS1_11comp_targetILNS1_3genE2ELNS1_11target_archE906ELNS1_3gpuE6ELNS1_3repE0EEENS1_36merge_oddeven_config_static_selectorELNS0_4arch9wavefront6targetE1EEEvSH_,@function
_ZN7rocprim17ROCPRIM_400000_NS6detail17trampoline_kernelINS0_14default_configENS1_38merge_sort_block_merge_config_selectorIisEEZZNS1_27merge_sort_block_merge_implIS3_N6thrust23THRUST_200600_302600_NS10device_ptrIiEENS9_IsEEjNS1_19radix_merge_compareILb0ELb0EiNS0_19identity_decomposerEEEEE10hipError_tT0_T1_T2_jT3_P12ihipStream_tbPNSt15iterator_traitsISG_E10value_typeEPNSM_ISH_E10value_typeEPSI_NS1_7vsmem_tEENKUlT_SG_SH_SI_E_clIPiSA_PsSB_EESF_SV_SG_SH_SI_EUlSV_E1_NS1_11comp_targetILNS1_3genE2ELNS1_11target_archE906ELNS1_3gpuE6ELNS1_3repE0EEENS1_36merge_oddeven_config_static_selectorELNS0_4arch9wavefront6targetE1EEEvSH_: ; @_ZN7rocprim17ROCPRIM_400000_NS6detail17trampoline_kernelINS0_14default_configENS1_38merge_sort_block_merge_config_selectorIisEEZZNS1_27merge_sort_block_merge_implIS3_N6thrust23THRUST_200600_302600_NS10device_ptrIiEENS9_IsEEjNS1_19radix_merge_compareILb0ELb0EiNS0_19identity_decomposerEEEEE10hipError_tT0_T1_T2_jT3_P12ihipStream_tbPNSt15iterator_traitsISG_E10value_typeEPNSM_ISH_E10value_typeEPSI_NS1_7vsmem_tEENKUlT_SG_SH_SI_E_clIPiSA_PsSB_EESF_SV_SG_SH_SI_EUlSV_E1_NS1_11comp_targetILNS1_3genE2ELNS1_11target_archE906ELNS1_3gpuE6ELNS1_3repE0EEENS1_36merge_oddeven_config_static_selectorELNS0_4arch9wavefront6targetE1EEEvSH_
; %bb.0:
	.section	.rodata,"a",@progbits
	.p2align	6, 0x0
	.amdhsa_kernel _ZN7rocprim17ROCPRIM_400000_NS6detail17trampoline_kernelINS0_14default_configENS1_38merge_sort_block_merge_config_selectorIisEEZZNS1_27merge_sort_block_merge_implIS3_N6thrust23THRUST_200600_302600_NS10device_ptrIiEENS9_IsEEjNS1_19radix_merge_compareILb0ELb0EiNS0_19identity_decomposerEEEEE10hipError_tT0_T1_T2_jT3_P12ihipStream_tbPNSt15iterator_traitsISG_E10value_typeEPNSM_ISH_E10value_typeEPSI_NS1_7vsmem_tEENKUlT_SG_SH_SI_E_clIPiSA_PsSB_EESF_SV_SG_SH_SI_EUlSV_E1_NS1_11comp_targetILNS1_3genE2ELNS1_11target_archE906ELNS1_3gpuE6ELNS1_3repE0EEENS1_36merge_oddeven_config_static_selectorELNS0_4arch9wavefront6targetE1EEEvSH_
		.amdhsa_group_segment_fixed_size 0
		.amdhsa_private_segment_fixed_size 0
		.amdhsa_kernarg_size 48
		.amdhsa_user_sgpr_count 2
		.amdhsa_user_sgpr_dispatch_ptr 0
		.amdhsa_user_sgpr_queue_ptr 0
		.amdhsa_user_sgpr_kernarg_segment_ptr 1
		.amdhsa_user_sgpr_dispatch_id 0
		.amdhsa_user_sgpr_kernarg_preload_length 0
		.amdhsa_user_sgpr_kernarg_preload_offset 0
		.amdhsa_user_sgpr_private_segment_size 0
		.amdhsa_uses_dynamic_stack 0
		.amdhsa_enable_private_segment 0
		.amdhsa_system_sgpr_workgroup_id_x 1
		.amdhsa_system_sgpr_workgroup_id_y 0
		.amdhsa_system_sgpr_workgroup_id_z 0
		.amdhsa_system_sgpr_workgroup_info 0
		.amdhsa_system_vgpr_workitem_id 0
		.amdhsa_next_free_vgpr 1
		.amdhsa_next_free_sgpr 0
		.amdhsa_accum_offset 4
		.amdhsa_reserve_vcc 0
		.amdhsa_float_round_mode_32 0
		.amdhsa_float_round_mode_16_64 0
		.amdhsa_float_denorm_mode_32 3
		.amdhsa_float_denorm_mode_16_64 3
		.amdhsa_dx10_clamp 1
		.amdhsa_ieee_mode 1
		.amdhsa_fp16_overflow 0
		.amdhsa_tg_split 0
		.amdhsa_exception_fp_ieee_invalid_op 0
		.amdhsa_exception_fp_denorm_src 0
		.amdhsa_exception_fp_ieee_div_zero 0
		.amdhsa_exception_fp_ieee_overflow 0
		.amdhsa_exception_fp_ieee_underflow 0
		.amdhsa_exception_fp_ieee_inexact 0
		.amdhsa_exception_int_div_zero 0
	.end_amdhsa_kernel
	.section	.text._ZN7rocprim17ROCPRIM_400000_NS6detail17trampoline_kernelINS0_14default_configENS1_38merge_sort_block_merge_config_selectorIisEEZZNS1_27merge_sort_block_merge_implIS3_N6thrust23THRUST_200600_302600_NS10device_ptrIiEENS9_IsEEjNS1_19radix_merge_compareILb0ELb0EiNS0_19identity_decomposerEEEEE10hipError_tT0_T1_T2_jT3_P12ihipStream_tbPNSt15iterator_traitsISG_E10value_typeEPNSM_ISH_E10value_typeEPSI_NS1_7vsmem_tEENKUlT_SG_SH_SI_E_clIPiSA_PsSB_EESF_SV_SG_SH_SI_EUlSV_E1_NS1_11comp_targetILNS1_3genE2ELNS1_11target_archE906ELNS1_3gpuE6ELNS1_3repE0EEENS1_36merge_oddeven_config_static_selectorELNS0_4arch9wavefront6targetE1EEEvSH_,"axG",@progbits,_ZN7rocprim17ROCPRIM_400000_NS6detail17trampoline_kernelINS0_14default_configENS1_38merge_sort_block_merge_config_selectorIisEEZZNS1_27merge_sort_block_merge_implIS3_N6thrust23THRUST_200600_302600_NS10device_ptrIiEENS9_IsEEjNS1_19radix_merge_compareILb0ELb0EiNS0_19identity_decomposerEEEEE10hipError_tT0_T1_T2_jT3_P12ihipStream_tbPNSt15iterator_traitsISG_E10value_typeEPNSM_ISH_E10value_typeEPSI_NS1_7vsmem_tEENKUlT_SG_SH_SI_E_clIPiSA_PsSB_EESF_SV_SG_SH_SI_EUlSV_E1_NS1_11comp_targetILNS1_3genE2ELNS1_11target_archE906ELNS1_3gpuE6ELNS1_3repE0EEENS1_36merge_oddeven_config_static_selectorELNS0_4arch9wavefront6targetE1EEEvSH_,comdat
.Lfunc_end2311:
	.size	_ZN7rocprim17ROCPRIM_400000_NS6detail17trampoline_kernelINS0_14default_configENS1_38merge_sort_block_merge_config_selectorIisEEZZNS1_27merge_sort_block_merge_implIS3_N6thrust23THRUST_200600_302600_NS10device_ptrIiEENS9_IsEEjNS1_19radix_merge_compareILb0ELb0EiNS0_19identity_decomposerEEEEE10hipError_tT0_T1_T2_jT3_P12ihipStream_tbPNSt15iterator_traitsISG_E10value_typeEPNSM_ISH_E10value_typeEPSI_NS1_7vsmem_tEENKUlT_SG_SH_SI_E_clIPiSA_PsSB_EESF_SV_SG_SH_SI_EUlSV_E1_NS1_11comp_targetILNS1_3genE2ELNS1_11target_archE906ELNS1_3gpuE6ELNS1_3repE0EEENS1_36merge_oddeven_config_static_selectorELNS0_4arch9wavefront6targetE1EEEvSH_, .Lfunc_end2311-_ZN7rocprim17ROCPRIM_400000_NS6detail17trampoline_kernelINS0_14default_configENS1_38merge_sort_block_merge_config_selectorIisEEZZNS1_27merge_sort_block_merge_implIS3_N6thrust23THRUST_200600_302600_NS10device_ptrIiEENS9_IsEEjNS1_19radix_merge_compareILb0ELb0EiNS0_19identity_decomposerEEEEE10hipError_tT0_T1_T2_jT3_P12ihipStream_tbPNSt15iterator_traitsISG_E10value_typeEPNSM_ISH_E10value_typeEPSI_NS1_7vsmem_tEENKUlT_SG_SH_SI_E_clIPiSA_PsSB_EESF_SV_SG_SH_SI_EUlSV_E1_NS1_11comp_targetILNS1_3genE2ELNS1_11target_archE906ELNS1_3gpuE6ELNS1_3repE0EEENS1_36merge_oddeven_config_static_selectorELNS0_4arch9wavefront6targetE1EEEvSH_
                                        ; -- End function
	.set _ZN7rocprim17ROCPRIM_400000_NS6detail17trampoline_kernelINS0_14default_configENS1_38merge_sort_block_merge_config_selectorIisEEZZNS1_27merge_sort_block_merge_implIS3_N6thrust23THRUST_200600_302600_NS10device_ptrIiEENS9_IsEEjNS1_19radix_merge_compareILb0ELb0EiNS0_19identity_decomposerEEEEE10hipError_tT0_T1_T2_jT3_P12ihipStream_tbPNSt15iterator_traitsISG_E10value_typeEPNSM_ISH_E10value_typeEPSI_NS1_7vsmem_tEENKUlT_SG_SH_SI_E_clIPiSA_PsSB_EESF_SV_SG_SH_SI_EUlSV_E1_NS1_11comp_targetILNS1_3genE2ELNS1_11target_archE906ELNS1_3gpuE6ELNS1_3repE0EEENS1_36merge_oddeven_config_static_selectorELNS0_4arch9wavefront6targetE1EEEvSH_.num_vgpr, 0
	.set _ZN7rocprim17ROCPRIM_400000_NS6detail17trampoline_kernelINS0_14default_configENS1_38merge_sort_block_merge_config_selectorIisEEZZNS1_27merge_sort_block_merge_implIS3_N6thrust23THRUST_200600_302600_NS10device_ptrIiEENS9_IsEEjNS1_19radix_merge_compareILb0ELb0EiNS0_19identity_decomposerEEEEE10hipError_tT0_T1_T2_jT3_P12ihipStream_tbPNSt15iterator_traitsISG_E10value_typeEPNSM_ISH_E10value_typeEPSI_NS1_7vsmem_tEENKUlT_SG_SH_SI_E_clIPiSA_PsSB_EESF_SV_SG_SH_SI_EUlSV_E1_NS1_11comp_targetILNS1_3genE2ELNS1_11target_archE906ELNS1_3gpuE6ELNS1_3repE0EEENS1_36merge_oddeven_config_static_selectorELNS0_4arch9wavefront6targetE1EEEvSH_.num_agpr, 0
	.set _ZN7rocprim17ROCPRIM_400000_NS6detail17trampoline_kernelINS0_14default_configENS1_38merge_sort_block_merge_config_selectorIisEEZZNS1_27merge_sort_block_merge_implIS3_N6thrust23THRUST_200600_302600_NS10device_ptrIiEENS9_IsEEjNS1_19radix_merge_compareILb0ELb0EiNS0_19identity_decomposerEEEEE10hipError_tT0_T1_T2_jT3_P12ihipStream_tbPNSt15iterator_traitsISG_E10value_typeEPNSM_ISH_E10value_typeEPSI_NS1_7vsmem_tEENKUlT_SG_SH_SI_E_clIPiSA_PsSB_EESF_SV_SG_SH_SI_EUlSV_E1_NS1_11comp_targetILNS1_3genE2ELNS1_11target_archE906ELNS1_3gpuE6ELNS1_3repE0EEENS1_36merge_oddeven_config_static_selectorELNS0_4arch9wavefront6targetE1EEEvSH_.numbered_sgpr, 0
	.set _ZN7rocprim17ROCPRIM_400000_NS6detail17trampoline_kernelINS0_14default_configENS1_38merge_sort_block_merge_config_selectorIisEEZZNS1_27merge_sort_block_merge_implIS3_N6thrust23THRUST_200600_302600_NS10device_ptrIiEENS9_IsEEjNS1_19radix_merge_compareILb0ELb0EiNS0_19identity_decomposerEEEEE10hipError_tT0_T1_T2_jT3_P12ihipStream_tbPNSt15iterator_traitsISG_E10value_typeEPNSM_ISH_E10value_typeEPSI_NS1_7vsmem_tEENKUlT_SG_SH_SI_E_clIPiSA_PsSB_EESF_SV_SG_SH_SI_EUlSV_E1_NS1_11comp_targetILNS1_3genE2ELNS1_11target_archE906ELNS1_3gpuE6ELNS1_3repE0EEENS1_36merge_oddeven_config_static_selectorELNS0_4arch9wavefront6targetE1EEEvSH_.num_named_barrier, 0
	.set _ZN7rocprim17ROCPRIM_400000_NS6detail17trampoline_kernelINS0_14default_configENS1_38merge_sort_block_merge_config_selectorIisEEZZNS1_27merge_sort_block_merge_implIS3_N6thrust23THRUST_200600_302600_NS10device_ptrIiEENS9_IsEEjNS1_19radix_merge_compareILb0ELb0EiNS0_19identity_decomposerEEEEE10hipError_tT0_T1_T2_jT3_P12ihipStream_tbPNSt15iterator_traitsISG_E10value_typeEPNSM_ISH_E10value_typeEPSI_NS1_7vsmem_tEENKUlT_SG_SH_SI_E_clIPiSA_PsSB_EESF_SV_SG_SH_SI_EUlSV_E1_NS1_11comp_targetILNS1_3genE2ELNS1_11target_archE906ELNS1_3gpuE6ELNS1_3repE0EEENS1_36merge_oddeven_config_static_selectorELNS0_4arch9wavefront6targetE1EEEvSH_.private_seg_size, 0
	.set _ZN7rocprim17ROCPRIM_400000_NS6detail17trampoline_kernelINS0_14default_configENS1_38merge_sort_block_merge_config_selectorIisEEZZNS1_27merge_sort_block_merge_implIS3_N6thrust23THRUST_200600_302600_NS10device_ptrIiEENS9_IsEEjNS1_19radix_merge_compareILb0ELb0EiNS0_19identity_decomposerEEEEE10hipError_tT0_T1_T2_jT3_P12ihipStream_tbPNSt15iterator_traitsISG_E10value_typeEPNSM_ISH_E10value_typeEPSI_NS1_7vsmem_tEENKUlT_SG_SH_SI_E_clIPiSA_PsSB_EESF_SV_SG_SH_SI_EUlSV_E1_NS1_11comp_targetILNS1_3genE2ELNS1_11target_archE906ELNS1_3gpuE6ELNS1_3repE0EEENS1_36merge_oddeven_config_static_selectorELNS0_4arch9wavefront6targetE1EEEvSH_.uses_vcc, 0
	.set _ZN7rocprim17ROCPRIM_400000_NS6detail17trampoline_kernelINS0_14default_configENS1_38merge_sort_block_merge_config_selectorIisEEZZNS1_27merge_sort_block_merge_implIS3_N6thrust23THRUST_200600_302600_NS10device_ptrIiEENS9_IsEEjNS1_19radix_merge_compareILb0ELb0EiNS0_19identity_decomposerEEEEE10hipError_tT0_T1_T2_jT3_P12ihipStream_tbPNSt15iterator_traitsISG_E10value_typeEPNSM_ISH_E10value_typeEPSI_NS1_7vsmem_tEENKUlT_SG_SH_SI_E_clIPiSA_PsSB_EESF_SV_SG_SH_SI_EUlSV_E1_NS1_11comp_targetILNS1_3genE2ELNS1_11target_archE906ELNS1_3gpuE6ELNS1_3repE0EEENS1_36merge_oddeven_config_static_selectorELNS0_4arch9wavefront6targetE1EEEvSH_.uses_flat_scratch, 0
	.set _ZN7rocprim17ROCPRIM_400000_NS6detail17trampoline_kernelINS0_14default_configENS1_38merge_sort_block_merge_config_selectorIisEEZZNS1_27merge_sort_block_merge_implIS3_N6thrust23THRUST_200600_302600_NS10device_ptrIiEENS9_IsEEjNS1_19radix_merge_compareILb0ELb0EiNS0_19identity_decomposerEEEEE10hipError_tT0_T1_T2_jT3_P12ihipStream_tbPNSt15iterator_traitsISG_E10value_typeEPNSM_ISH_E10value_typeEPSI_NS1_7vsmem_tEENKUlT_SG_SH_SI_E_clIPiSA_PsSB_EESF_SV_SG_SH_SI_EUlSV_E1_NS1_11comp_targetILNS1_3genE2ELNS1_11target_archE906ELNS1_3gpuE6ELNS1_3repE0EEENS1_36merge_oddeven_config_static_selectorELNS0_4arch9wavefront6targetE1EEEvSH_.has_dyn_sized_stack, 0
	.set _ZN7rocprim17ROCPRIM_400000_NS6detail17trampoline_kernelINS0_14default_configENS1_38merge_sort_block_merge_config_selectorIisEEZZNS1_27merge_sort_block_merge_implIS3_N6thrust23THRUST_200600_302600_NS10device_ptrIiEENS9_IsEEjNS1_19radix_merge_compareILb0ELb0EiNS0_19identity_decomposerEEEEE10hipError_tT0_T1_T2_jT3_P12ihipStream_tbPNSt15iterator_traitsISG_E10value_typeEPNSM_ISH_E10value_typeEPSI_NS1_7vsmem_tEENKUlT_SG_SH_SI_E_clIPiSA_PsSB_EESF_SV_SG_SH_SI_EUlSV_E1_NS1_11comp_targetILNS1_3genE2ELNS1_11target_archE906ELNS1_3gpuE6ELNS1_3repE0EEENS1_36merge_oddeven_config_static_selectorELNS0_4arch9wavefront6targetE1EEEvSH_.has_recursion, 0
	.set _ZN7rocprim17ROCPRIM_400000_NS6detail17trampoline_kernelINS0_14default_configENS1_38merge_sort_block_merge_config_selectorIisEEZZNS1_27merge_sort_block_merge_implIS3_N6thrust23THRUST_200600_302600_NS10device_ptrIiEENS9_IsEEjNS1_19radix_merge_compareILb0ELb0EiNS0_19identity_decomposerEEEEE10hipError_tT0_T1_T2_jT3_P12ihipStream_tbPNSt15iterator_traitsISG_E10value_typeEPNSM_ISH_E10value_typeEPSI_NS1_7vsmem_tEENKUlT_SG_SH_SI_E_clIPiSA_PsSB_EESF_SV_SG_SH_SI_EUlSV_E1_NS1_11comp_targetILNS1_3genE2ELNS1_11target_archE906ELNS1_3gpuE6ELNS1_3repE0EEENS1_36merge_oddeven_config_static_selectorELNS0_4arch9wavefront6targetE1EEEvSH_.has_indirect_call, 0
	.section	.AMDGPU.csdata,"",@progbits
; Kernel info:
; codeLenInByte = 0
; TotalNumSgprs: 6
; NumVgprs: 0
; NumAgprs: 0
; TotalNumVgprs: 0
; ScratchSize: 0
; MemoryBound: 0
; FloatMode: 240
; IeeeMode: 1
; LDSByteSize: 0 bytes/workgroup (compile time only)
; SGPRBlocks: 0
; VGPRBlocks: 0
; NumSGPRsForWavesPerEU: 6
; NumVGPRsForWavesPerEU: 1
; AccumOffset: 4
; Occupancy: 8
; WaveLimiterHint : 0
; COMPUTE_PGM_RSRC2:SCRATCH_EN: 0
; COMPUTE_PGM_RSRC2:USER_SGPR: 2
; COMPUTE_PGM_RSRC2:TRAP_HANDLER: 0
; COMPUTE_PGM_RSRC2:TGID_X_EN: 1
; COMPUTE_PGM_RSRC2:TGID_Y_EN: 0
; COMPUTE_PGM_RSRC2:TGID_Z_EN: 0
; COMPUTE_PGM_RSRC2:TIDIG_COMP_CNT: 0
; COMPUTE_PGM_RSRC3_GFX90A:ACCUM_OFFSET: 0
; COMPUTE_PGM_RSRC3_GFX90A:TG_SPLIT: 0
	.section	.text._ZN7rocprim17ROCPRIM_400000_NS6detail17trampoline_kernelINS0_14default_configENS1_38merge_sort_block_merge_config_selectorIisEEZZNS1_27merge_sort_block_merge_implIS3_N6thrust23THRUST_200600_302600_NS10device_ptrIiEENS9_IsEEjNS1_19radix_merge_compareILb0ELb0EiNS0_19identity_decomposerEEEEE10hipError_tT0_T1_T2_jT3_P12ihipStream_tbPNSt15iterator_traitsISG_E10value_typeEPNSM_ISH_E10value_typeEPSI_NS1_7vsmem_tEENKUlT_SG_SH_SI_E_clIPiSA_PsSB_EESF_SV_SG_SH_SI_EUlSV_E1_NS1_11comp_targetILNS1_3genE9ELNS1_11target_archE1100ELNS1_3gpuE3ELNS1_3repE0EEENS1_36merge_oddeven_config_static_selectorELNS0_4arch9wavefront6targetE1EEEvSH_,"axG",@progbits,_ZN7rocprim17ROCPRIM_400000_NS6detail17trampoline_kernelINS0_14default_configENS1_38merge_sort_block_merge_config_selectorIisEEZZNS1_27merge_sort_block_merge_implIS3_N6thrust23THRUST_200600_302600_NS10device_ptrIiEENS9_IsEEjNS1_19radix_merge_compareILb0ELb0EiNS0_19identity_decomposerEEEEE10hipError_tT0_T1_T2_jT3_P12ihipStream_tbPNSt15iterator_traitsISG_E10value_typeEPNSM_ISH_E10value_typeEPSI_NS1_7vsmem_tEENKUlT_SG_SH_SI_E_clIPiSA_PsSB_EESF_SV_SG_SH_SI_EUlSV_E1_NS1_11comp_targetILNS1_3genE9ELNS1_11target_archE1100ELNS1_3gpuE3ELNS1_3repE0EEENS1_36merge_oddeven_config_static_selectorELNS0_4arch9wavefront6targetE1EEEvSH_,comdat
	.protected	_ZN7rocprim17ROCPRIM_400000_NS6detail17trampoline_kernelINS0_14default_configENS1_38merge_sort_block_merge_config_selectorIisEEZZNS1_27merge_sort_block_merge_implIS3_N6thrust23THRUST_200600_302600_NS10device_ptrIiEENS9_IsEEjNS1_19radix_merge_compareILb0ELb0EiNS0_19identity_decomposerEEEEE10hipError_tT0_T1_T2_jT3_P12ihipStream_tbPNSt15iterator_traitsISG_E10value_typeEPNSM_ISH_E10value_typeEPSI_NS1_7vsmem_tEENKUlT_SG_SH_SI_E_clIPiSA_PsSB_EESF_SV_SG_SH_SI_EUlSV_E1_NS1_11comp_targetILNS1_3genE9ELNS1_11target_archE1100ELNS1_3gpuE3ELNS1_3repE0EEENS1_36merge_oddeven_config_static_selectorELNS0_4arch9wavefront6targetE1EEEvSH_ ; -- Begin function _ZN7rocprim17ROCPRIM_400000_NS6detail17trampoline_kernelINS0_14default_configENS1_38merge_sort_block_merge_config_selectorIisEEZZNS1_27merge_sort_block_merge_implIS3_N6thrust23THRUST_200600_302600_NS10device_ptrIiEENS9_IsEEjNS1_19radix_merge_compareILb0ELb0EiNS0_19identity_decomposerEEEEE10hipError_tT0_T1_T2_jT3_P12ihipStream_tbPNSt15iterator_traitsISG_E10value_typeEPNSM_ISH_E10value_typeEPSI_NS1_7vsmem_tEENKUlT_SG_SH_SI_E_clIPiSA_PsSB_EESF_SV_SG_SH_SI_EUlSV_E1_NS1_11comp_targetILNS1_3genE9ELNS1_11target_archE1100ELNS1_3gpuE3ELNS1_3repE0EEENS1_36merge_oddeven_config_static_selectorELNS0_4arch9wavefront6targetE1EEEvSH_
	.globl	_ZN7rocprim17ROCPRIM_400000_NS6detail17trampoline_kernelINS0_14default_configENS1_38merge_sort_block_merge_config_selectorIisEEZZNS1_27merge_sort_block_merge_implIS3_N6thrust23THRUST_200600_302600_NS10device_ptrIiEENS9_IsEEjNS1_19radix_merge_compareILb0ELb0EiNS0_19identity_decomposerEEEEE10hipError_tT0_T1_T2_jT3_P12ihipStream_tbPNSt15iterator_traitsISG_E10value_typeEPNSM_ISH_E10value_typeEPSI_NS1_7vsmem_tEENKUlT_SG_SH_SI_E_clIPiSA_PsSB_EESF_SV_SG_SH_SI_EUlSV_E1_NS1_11comp_targetILNS1_3genE9ELNS1_11target_archE1100ELNS1_3gpuE3ELNS1_3repE0EEENS1_36merge_oddeven_config_static_selectorELNS0_4arch9wavefront6targetE1EEEvSH_
	.p2align	8
	.type	_ZN7rocprim17ROCPRIM_400000_NS6detail17trampoline_kernelINS0_14default_configENS1_38merge_sort_block_merge_config_selectorIisEEZZNS1_27merge_sort_block_merge_implIS3_N6thrust23THRUST_200600_302600_NS10device_ptrIiEENS9_IsEEjNS1_19radix_merge_compareILb0ELb0EiNS0_19identity_decomposerEEEEE10hipError_tT0_T1_T2_jT3_P12ihipStream_tbPNSt15iterator_traitsISG_E10value_typeEPNSM_ISH_E10value_typeEPSI_NS1_7vsmem_tEENKUlT_SG_SH_SI_E_clIPiSA_PsSB_EESF_SV_SG_SH_SI_EUlSV_E1_NS1_11comp_targetILNS1_3genE9ELNS1_11target_archE1100ELNS1_3gpuE3ELNS1_3repE0EEENS1_36merge_oddeven_config_static_selectorELNS0_4arch9wavefront6targetE1EEEvSH_,@function
_ZN7rocprim17ROCPRIM_400000_NS6detail17trampoline_kernelINS0_14default_configENS1_38merge_sort_block_merge_config_selectorIisEEZZNS1_27merge_sort_block_merge_implIS3_N6thrust23THRUST_200600_302600_NS10device_ptrIiEENS9_IsEEjNS1_19radix_merge_compareILb0ELb0EiNS0_19identity_decomposerEEEEE10hipError_tT0_T1_T2_jT3_P12ihipStream_tbPNSt15iterator_traitsISG_E10value_typeEPNSM_ISH_E10value_typeEPSI_NS1_7vsmem_tEENKUlT_SG_SH_SI_E_clIPiSA_PsSB_EESF_SV_SG_SH_SI_EUlSV_E1_NS1_11comp_targetILNS1_3genE9ELNS1_11target_archE1100ELNS1_3gpuE3ELNS1_3repE0EEENS1_36merge_oddeven_config_static_selectorELNS0_4arch9wavefront6targetE1EEEvSH_: ; @_ZN7rocprim17ROCPRIM_400000_NS6detail17trampoline_kernelINS0_14default_configENS1_38merge_sort_block_merge_config_selectorIisEEZZNS1_27merge_sort_block_merge_implIS3_N6thrust23THRUST_200600_302600_NS10device_ptrIiEENS9_IsEEjNS1_19radix_merge_compareILb0ELb0EiNS0_19identity_decomposerEEEEE10hipError_tT0_T1_T2_jT3_P12ihipStream_tbPNSt15iterator_traitsISG_E10value_typeEPNSM_ISH_E10value_typeEPSI_NS1_7vsmem_tEENKUlT_SG_SH_SI_E_clIPiSA_PsSB_EESF_SV_SG_SH_SI_EUlSV_E1_NS1_11comp_targetILNS1_3genE9ELNS1_11target_archE1100ELNS1_3gpuE3ELNS1_3repE0EEENS1_36merge_oddeven_config_static_selectorELNS0_4arch9wavefront6targetE1EEEvSH_
; %bb.0:
	.section	.rodata,"a",@progbits
	.p2align	6, 0x0
	.amdhsa_kernel _ZN7rocprim17ROCPRIM_400000_NS6detail17trampoline_kernelINS0_14default_configENS1_38merge_sort_block_merge_config_selectorIisEEZZNS1_27merge_sort_block_merge_implIS3_N6thrust23THRUST_200600_302600_NS10device_ptrIiEENS9_IsEEjNS1_19radix_merge_compareILb0ELb0EiNS0_19identity_decomposerEEEEE10hipError_tT0_T1_T2_jT3_P12ihipStream_tbPNSt15iterator_traitsISG_E10value_typeEPNSM_ISH_E10value_typeEPSI_NS1_7vsmem_tEENKUlT_SG_SH_SI_E_clIPiSA_PsSB_EESF_SV_SG_SH_SI_EUlSV_E1_NS1_11comp_targetILNS1_3genE9ELNS1_11target_archE1100ELNS1_3gpuE3ELNS1_3repE0EEENS1_36merge_oddeven_config_static_selectorELNS0_4arch9wavefront6targetE1EEEvSH_
		.amdhsa_group_segment_fixed_size 0
		.amdhsa_private_segment_fixed_size 0
		.amdhsa_kernarg_size 48
		.amdhsa_user_sgpr_count 2
		.amdhsa_user_sgpr_dispatch_ptr 0
		.amdhsa_user_sgpr_queue_ptr 0
		.amdhsa_user_sgpr_kernarg_segment_ptr 1
		.amdhsa_user_sgpr_dispatch_id 0
		.amdhsa_user_sgpr_kernarg_preload_length 0
		.amdhsa_user_sgpr_kernarg_preload_offset 0
		.amdhsa_user_sgpr_private_segment_size 0
		.amdhsa_uses_dynamic_stack 0
		.amdhsa_enable_private_segment 0
		.amdhsa_system_sgpr_workgroup_id_x 1
		.amdhsa_system_sgpr_workgroup_id_y 0
		.amdhsa_system_sgpr_workgroup_id_z 0
		.amdhsa_system_sgpr_workgroup_info 0
		.amdhsa_system_vgpr_workitem_id 0
		.amdhsa_next_free_vgpr 1
		.amdhsa_next_free_sgpr 0
		.amdhsa_accum_offset 4
		.amdhsa_reserve_vcc 0
		.amdhsa_float_round_mode_32 0
		.amdhsa_float_round_mode_16_64 0
		.amdhsa_float_denorm_mode_32 3
		.amdhsa_float_denorm_mode_16_64 3
		.amdhsa_dx10_clamp 1
		.amdhsa_ieee_mode 1
		.amdhsa_fp16_overflow 0
		.amdhsa_tg_split 0
		.amdhsa_exception_fp_ieee_invalid_op 0
		.amdhsa_exception_fp_denorm_src 0
		.amdhsa_exception_fp_ieee_div_zero 0
		.amdhsa_exception_fp_ieee_overflow 0
		.amdhsa_exception_fp_ieee_underflow 0
		.amdhsa_exception_fp_ieee_inexact 0
		.amdhsa_exception_int_div_zero 0
	.end_amdhsa_kernel
	.section	.text._ZN7rocprim17ROCPRIM_400000_NS6detail17trampoline_kernelINS0_14default_configENS1_38merge_sort_block_merge_config_selectorIisEEZZNS1_27merge_sort_block_merge_implIS3_N6thrust23THRUST_200600_302600_NS10device_ptrIiEENS9_IsEEjNS1_19radix_merge_compareILb0ELb0EiNS0_19identity_decomposerEEEEE10hipError_tT0_T1_T2_jT3_P12ihipStream_tbPNSt15iterator_traitsISG_E10value_typeEPNSM_ISH_E10value_typeEPSI_NS1_7vsmem_tEENKUlT_SG_SH_SI_E_clIPiSA_PsSB_EESF_SV_SG_SH_SI_EUlSV_E1_NS1_11comp_targetILNS1_3genE9ELNS1_11target_archE1100ELNS1_3gpuE3ELNS1_3repE0EEENS1_36merge_oddeven_config_static_selectorELNS0_4arch9wavefront6targetE1EEEvSH_,"axG",@progbits,_ZN7rocprim17ROCPRIM_400000_NS6detail17trampoline_kernelINS0_14default_configENS1_38merge_sort_block_merge_config_selectorIisEEZZNS1_27merge_sort_block_merge_implIS3_N6thrust23THRUST_200600_302600_NS10device_ptrIiEENS9_IsEEjNS1_19radix_merge_compareILb0ELb0EiNS0_19identity_decomposerEEEEE10hipError_tT0_T1_T2_jT3_P12ihipStream_tbPNSt15iterator_traitsISG_E10value_typeEPNSM_ISH_E10value_typeEPSI_NS1_7vsmem_tEENKUlT_SG_SH_SI_E_clIPiSA_PsSB_EESF_SV_SG_SH_SI_EUlSV_E1_NS1_11comp_targetILNS1_3genE9ELNS1_11target_archE1100ELNS1_3gpuE3ELNS1_3repE0EEENS1_36merge_oddeven_config_static_selectorELNS0_4arch9wavefront6targetE1EEEvSH_,comdat
.Lfunc_end2312:
	.size	_ZN7rocprim17ROCPRIM_400000_NS6detail17trampoline_kernelINS0_14default_configENS1_38merge_sort_block_merge_config_selectorIisEEZZNS1_27merge_sort_block_merge_implIS3_N6thrust23THRUST_200600_302600_NS10device_ptrIiEENS9_IsEEjNS1_19radix_merge_compareILb0ELb0EiNS0_19identity_decomposerEEEEE10hipError_tT0_T1_T2_jT3_P12ihipStream_tbPNSt15iterator_traitsISG_E10value_typeEPNSM_ISH_E10value_typeEPSI_NS1_7vsmem_tEENKUlT_SG_SH_SI_E_clIPiSA_PsSB_EESF_SV_SG_SH_SI_EUlSV_E1_NS1_11comp_targetILNS1_3genE9ELNS1_11target_archE1100ELNS1_3gpuE3ELNS1_3repE0EEENS1_36merge_oddeven_config_static_selectorELNS0_4arch9wavefront6targetE1EEEvSH_, .Lfunc_end2312-_ZN7rocprim17ROCPRIM_400000_NS6detail17trampoline_kernelINS0_14default_configENS1_38merge_sort_block_merge_config_selectorIisEEZZNS1_27merge_sort_block_merge_implIS3_N6thrust23THRUST_200600_302600_NS10device_ptrIiEENS9_IsEEjNS1_19radix_merge_compareILb0ELb0EiNS0_19identity_decomposerEEEEE10hipError_tT0_T1_T2_jT3_P12ihipStream_tbPNSt15iterator_traitsISG_E10value_typeEPNSM_ISH_E10value_typeEPSI_NS1_7vsmem_tEENKUlT_SG_SH_SI_E_clIPiSA_PsSB_EESF_SV_SG_SH_SI_EUlSV_E1_NS1_11comp_targetILNS1_3genE9ELNS1_11target_archE1100ELNS1_3gpuE3ELNS1_3repE0EEENS1_36merge_oddeven_config_static_selectorELNS0_4arch9wavefront6targetE1EEEvSH_
                                        ; -- End function
	.set _ZN7rocprim17ROCPRIM_400000_NS6detail17trampoline_kernelINS0_14default_configENS1_38merge_sort_block_merge_config_selectorIisEEZZNS1_27merge_sort_block_merge_implIS3_N6thrust23THRUST_200600_302600_NS10device_ptrIiEENS9_IsEEjNS1_19radix_merge_compareILb0ELb0EiNS0_19identity_decomposerEEEEE10hipError_tT0_T1_T2_jT3_P12ihipStream_tbPNSt15iterator_traitsISG_E10value_typeEPNSM_ISH_E10value_typeEPSI_NS1_7vsmem_tEENKUlT_SG_SH_SI_E_clIPiSA_PsSB_EESF_SV_SG_SH_SI_EUlSV_E1_NS1_11comp_targetILNS1_3genE9ELNS1_11target_archE1100ELNS1_3gpuE3ELNS1_3repE0EEENS1_36merge_oddeven_config_static_selectorELNS0_4arch9wavefront6targetE1EEEvSH_.num_vgpr, 0
	.set _ZN7rocprim17ROCPRIM_400000_NS6detail17trampoline_kernelINS0_14default_configENS1_38merge_sort_block_merge_config_selectorIisEEZZNS1_27merge_sort_block_merge_implIS3_N6thrust23THRUST_200600_302600_NS10device_ptrIiEENS9_IsEEjNS1_19radix_merge_compareILb0ELb0EiNS0_19identity_decomposerEEEEE10hipError_tT0_T1_T2_jT3_P12ihipStream_tbPNSt15iterator_traitsISG_E10value_typeEPNSM_ISH_E10value_typeEPSI_NS1_7vsmem_tEENKUlT_SG_SH_SI_E_clIPiSA_PsSB_EESF_SV_SG_SH_SI_EUlSV_E1_NS1_11comp_targetILNS1_3genE9ELNS1_11target_archE1100ELNS1_3gpuE3ELNS1_3repE0EEENS1_36merge_oddeven_config_static_selectorELNS0_4arch9wavefront6targetE1EEEvSH_.num_agpr, 0
	.set _ZN7rocprim17ROCPRIM_400000_NS6detail17trampoline_kernelINS0_14default_configENS1_38merge_sort_block_merge_config_selectorIisEEZZNS1_27merge_sort_block_merge_implIS3_N6thrust23THRUST_200600_302600_NS10device_ptrIiEENS9_IsEEjNS1_19radix_merge_compareILb0ELb0EiNS0_19identity_decomposerEEEEE10hipError_tT0_T1_T2_jT3_P12ihipStream_tbPNSt15iterator_traitsISG_E10value_typeEPNSM_ISH_E10value_typeEPSI_NS1_7vsmem_tEENKUlT_SG_SH_SI_E_clIPiSA_PsSB_EESF_SV_SG_SH_SI_EUlSV_E1_NS1_11comp_targetILNS1_3genE9ELNS1_11target_archE1100ELNS1_3gpuE3ELNS1_3repE0EEENS1_36merge_oddeven_config_static_selectorELNS0_4arch9wavefront6targetE1EEEvSH_.numbered_sgpr, 0
	.set _ZN7rocprim17ROCPRIM_400000_NS6detail17trampoline_kernelINS0_14default_configENS1_38merge_sort_block_merge_config_selectorIisEEZZNS1_27merge_sort_block_merge_implIS3_N6thrust23THRUST_200600_302600_NS10device_ptrIiEENS9_IsEEjNS1_19radix_merge_compareILb0ELb0EiNS0_19identity_decomposerEEEEE10hipError_tT0_T1_T2_jT3_P12ihipStream_tbPNSt15iterator_traitsISG_E10value_typeEPNSM_ISH_E10value_typeEPSI_NS1_7vsmem_tEENKUlT_SG_SH_SI_E_clIPiSA_PsSB_EESF_SV_SG_SH_SI_EUlSV_E1_NS1_11comp_targetILNS1_3genE9ELNS1_11target_archE1100ELNS1_3gpuE3ELNS1_3repE0EEENS1_36merge_oddeven_config_static_selectorELNS0_4arch9wavefront6targetE1EEEvSH_.num_named_barrier, 0
	.set _ZN7rocprim17ROCPRIM_400000_NS6detail17trampoline_kernelINS0_14default_configENS1_38merge_sort_block_merge_config_selectorIisEEZZNS1_27merge_sort_block_merge_implIS3_N6thrust23THRUST_200600_302600_NS10device_ptrIiEENS9_IsEEjNS1_19radix_merge_compareILb0ELb0EiNS0_19identity_decomposerEEEEE10hipError_tT0_T1_T2_jT3_P12ihipStream_tbPNSt15iterator_traitsISG_E10value_typeEPNSM_ISH_E10value_typeEPSI_NS1_7vsmem_tEENKUlT_SG_SH_SI_E_clIPiSA_PsSB_EESF_SV_SG_SH_SI_EUlSV_E1_NS1_11comp_targetILNS1_3genE9ELNS1_11target_archE1100ELNS1_3gpuE3ELNS1_3repE0EEENS1_36merge_oddeven_config_static_selectorELNS0_4arch9wavefront6targetE1EEEvSH_.private_seg_size, 0
	.set _ZN7rocprim17ROCPRIM_400000_NS6detail17trampoline_kernelINS0_14default_configENS1_38merge_sort_block_merge_config_selectorIisEEZZNS1_27merge_sort_block_merge_implIS3_N6thrust23THRUST_200600_302600_NS10device_ptrIiEENS9_IsEEjNS1_19radix_merge_compareILb0ELb0EiNS0_19identity_decomposerEEEEE10hipError_tT0_T1_T2_jT3_P12ihipStream_tbPNSt15iterator_traitsISG_E10value_typeEPNSM_ISH_E10value_typeEPSI_NS1_7vsmem_tEENKUlT_SG_SH_SI_E_clIPiSA_PsSB_EESF_SV_SG_SH_SI_EUlSV_E1_NS1_11comp_targetILNS1_3genE9ELNS1_11target_archE1100ELNS1_3gpuE3ELNS1_3repE0EEENS1_36merge_oddeven_config_static_selectorELNS0_4arch9wavefront6targetE1EEEvSH_.uses_vcc, 0
	.set _ZN7rocprim17ROCPRIM_400000_NS6detail17trampoline_kernelINS0_14default_configENS1_38merge_sort_block_merge_config_selectorIisEEZZNS1_27merge_sort_block_merge_implIS3_N6thrust23THRUST_200600_302600_NS10device_ptrIiEENS9_IsEEjNS1_19radix_merge_compareILb0ELb0EiNS0_19identity_decomposerEEEEE10hipError_tT0_T1_T2_jT3_P12ihipStream_tbPNSt15iterator_traitsISG_E10value_typeEPNSM_ISH_E10value_typeEPSI_NS1_7vsmem_tEENKUlT_SG_SH_SI_E_clIPiSA_PsSB_EESF_SV_SG_SH_SI_EUlSV_E1_NS1_11comp_targetILNS1_3genE9ELNS1_11target_archE1100ELNS1_3gpuE3ELNS1_3repE0EEENS1_36merge_oddeven_config_static_selectorELNS0_4arch9wavefront6targetE1EEEvSH_.uses_flat_scratch, 0
	.set _ZN7rocprim17ROCPRIM_400000_NS6detail17trampoline_kernelINS0_14default_configENS1_38merge_sort_block_merge_config_selectorIisEEZZNS1_27merge_sort_block_merge_implIS3_N6thrust23THRUST_200600_302600_NS10device_ptrIiEENS9_IsEEjNS1_19radix_merge_compareILb0ELb0EiNS0_19identity_decomposerEEEEE10hipError_tT0_T1_T2_jT3_P12ihipStream_tbPNSt15iterator_traitsISG_E10value_typeEPNSM_ISH_E10value_typeEPSI_NS1_7vsmem_tEENKUlT_SG_SH_SI_E_clIPiSA_PsSB_EESF_SV_SG_SH_SI_EUlSV_E1_NS1_11comp_targetILNS1_3genE9ELNS1_11target_archE1100ELNS1_3gpuE3ELNS1_3repE0EEENS1_36merge_oddeven_config_static_selectorELNS0_4arch9wavefront6targetE1EEEvSH_.has_dyn_sized_stack, 0
	.set _ZN7rocprim17ROCPRIM_400000_NS6detail17trampoline_kernelINS0_14default_configENS1_38merge_sort_block_merge_config_selectorIisEEZZNS1_27merge_sort_block_merge_implIS3_N6thrust23THRUST_200600_302600_NS10device_ptrIiEENS9_IsEEjNS1_19radix_merge_compareILb0ELb0EiNS0_19identity_decomposerEEEEE10hipError_tT0_T1_T2_jT3_P12ihipStream_tbPNSt15iterator_traitsISG_E10value_typeEPNSM_ISH_E10value_typeEPSI_NS1_7vsmem_tEENKUlT_SG_SH_SI_E_clIPiSA_PsSB_EESF_SV_SG_SH_SI_EUlSV_E1_NS1_11comp_targetILNS1_3genE9ELNS1_11target_archE1100ELNS1_3gpuE3ELNS1_3repE0EEENS1_36merge_oddeven_config_static_selectorELNS0_4arch9wavefront6targetE1EEEvSH_.has_recursion, 0
	.set _ZN7rocprim17ROCPRIM_400000_NS6detail17trampoline_kernelINS0_14default_configENS1_38merge_sort_block_merge_config_selectorIisEEZZNS1_27merge_sort_block_merge_implIS3_N6thrust23THRUST_200600_302600_NS10device_ptrIiEENS9_IsEEjNS1_19radix_merge_compareILb0ELb0EiNS0_19identity_decomposerEEEEE10hipError_tT0_T1_T2_jT3_P12ihipStream_tbPNSt15iterator_traitsISG_E10value_typeEPNSM_ISH_E10value_typeEPSI_NS1_7vsmem_tEENKUlT_SG_SH_SI_E_clIPiSA_PsSB_EESF_SV_SG_SH_SI_EUlSV_E1_NS1_11comp_targetILNS1_3genE9ELNS1_11target_archE1100ELNS1_3gpuE3ELNS1_3repE0EEENS1_36merge_oddeven_config_static_selectorELNS0_4arch9wavefront6targetE1EEEvSH_.has_indirect_call, 0
	.section	.AMDGPU.csdata,"",@progbits
; Kernel info:
; codeLenInByte = 0
; TotalNumSgprs: 6
; NumVgprs: 0
; NumAgprs: 0
; TotalNumVgprs: 0
; ScratchSize: 0
; MemoryBound: 0
; FloatMode: 240
; IeeeMode: 1
; LDSByteSize: 0 bytes/workgroup (compile time only)
; SGPRBlocks: 0
; VGPRBlocks: 0
; NumSGPRsForWavesPerEU: 6
; NumVGPRsForWavesPerEU: 1
; AccumOffset: 4
; Occupancy: 8
; WaveLimiterHint : 0
; COMPUTE_PGM_RSRC2:SCRATCH_EN: 0
; COMPUTE_PGM_RSRC2:USER_SGPR: 2
; COMPUTE_PGM_RSRC2:TRAP_HANDLER: 0
; COMPUTE_PGM_RSRC2:TGID_X_EN: 1
; COMPUTE_PGM_RSRC2:TGID_Y_EN: 0
; COMPUTE_PGM_RSRC2:TGID_Z_EN: 0
; COMPUTE_PGM_RSRC2:TIDIG_COMP_CNT: 0
; COMPUTE_PGM_RSRC3_GFX90A:ACCUM_OFFSET: 0
; COMPUTE_PGM_RSRC3_GFX90A:TG_SPLIT: 0
	.section	.text._ZN7rocprim17ROCPRIM_400000_NS6detail17trampoline_kernelINS0_14default_configENS1_38merge_sort_block_merge_config_selectorIisEEZZNS1_27merge_sort_block_merge_implIS3_N6thrust23THRUST_200600_302600_NS10device_ptrIiEENS9_IsEEjNS1_19radix_merge_compareILb0ELb0EiNS0_19identity_decomposerEEEEE10hipError_tT0_T1_T2_jT3_P12ihipStream_tbPNSt15iterator_traitsISG_E10value_typeEPNSM_ISH_E10value_typeEPSI_NS1_7vsmem_tEENKUlT_SG_SH_SI_E_clIPiSA_PsSB_EESF_SV_SG_SH_SI_EUlSV_E1_NS1_11comp_targetILNS1_3genE8ELNS1_11target_archE1030ELNS1_3gpuE2ELNS1_3repE0EEENS1_36merge_oddeven_config_static_selectorELNS0_4arch9wavefront6targetE1EEEvSH_,"axG",@progbits,_ZN7rocprim17ROCPRIM_400000_NS6detail17trampoline_kernelINS0_14default_configENS1_38merge_sort_block_merge_config_selectorIisEEZZNS1_27merge_sort_block_merge_implIS3_N6thrust23THRUST_200600_302600_NS10device_ptrIiEENS9_IsEEjNS1_19radix_merge_compareILb0ELb0EiNS0_19identity_decomposerEEEEE10hipError_tT0_T1_T2_jT3_P12ihipStream_tbPNSt15iterator_traitsISG_E10value_typeEPNSM_ISH_E10value_typeEPSI_NS1_7vsmem_tEENKUlT_SG_SH_SI_E_clIPiSA_PsSB_EESF_SV_SG_SH_SI_EUlSV_E1_NS1_11comp_targetILNS1_3genE8ELNS1_11target_archE1030ELNS1_3gpuE2ELNS1_3repE0EEENS1_36merge_oddeven_config_static_selectorELNS0_4arch9wavefront6targetE1EEEvSH_,comdat
	.protected	_ZN7rocprim17ROCPRIM_400000_NS6detail17trampoline_kernelINS0_14default_configENS1_38merge_sort_block_merge_config_selectorIisEEZZNS1_27merge_sort_block_merge_implIS3_N6thrust23THRUST_200600_302600_NS10device_ptrIiEENS9_IsEEjNS1_19radix_merge_compareILb0ELb0EiNS0_19identity_decomposerEEEEE10hipError_tT0_T1_T2_jT3_P12ihipStream_tbPNSt15iterator_traitsISG_E10value_typeEPNSM_ISH_E10value_typeEPSI_NS1_7vsmem_tEENKUlT_SG_SH_SI_E_clIPiSA_PsSB_EESF_SV_SG_SH_SI_EUlSV_E1_NS1_11comp_targetILNS1_3genE8ELNS1_11target_archE1030ELNS1_3gpuE2ELNS1_3repE0EEENS1_36merge_oddeven_config_static_selectorELNS0_4arch9wavefront6targetE1EEEvSH_ ; -- Begin function _ZN7rocprim17ROCPRIM_400000_NS6detail17trampoline_kernelINS0_14default_configENS1_38merge_sort_block_merge_config_selectorIisEEZZNS1_27merge_sort_block_merge_implIS3_N6thrust23THRUST_200600_302600_NS10device_ptrIiEENS9_IsEEjNS1_19radix_merge_compareILb0ELb0EiNS0_19identity_decomposerEEEEE10hipError_tT0_T1_T2_jT3_P12ihipStream_tbPNSt15iterator_traitsISG_E10value_typeEPNSM_ISH_E10value_typeEPSI_NS1_7vsmem_tEENKUlT_SG_SH_SI_E_clIPiSA_PsSB_EESF_SV_SG_SH_SI_EUlSV_E1_NS1_11comp_targetILNS1_3genE8ELNS1_11target_archE1030ELNS1_3gpuE2ELNS1_3repE0EEENS1_36merge_oddeven_config_static_selectorELNS0_4arch9wavefront6targetE1EEEvSH_
	.globl	_ZN7rocprim17ROCPRIM_400000_NS6detail17trampoline_kernelINS0_14default_configENS1_38merge_sort_block_merge_config_selectorIisEEZZNS1_27merge_sort_block_merge_implIS3_N6thrust23THRUST_200600_302600_NS10device_ptrIiEENS9_IsEEjNS1_19radix_merge_compareILb0ELb0EiNS0_19identity_decomposerEEEEE10hipError_tT0_T1_T2_jT3_P12ihipStream_tbPNSt15iterator_traitsISG_E10value_typeEPNSM_ISH_E10value_typeEPSI_NS1_7vsmem_tEENKUlT_SG_SH_SI_E_clIPiSA_PsSB_EESF_SV_SG_SH_SI_EUlSV_E1_NS1_11comp_targetILNS1_3genE8ELNS1_11target_archE1030ELNS1_3gpuE2ELNS1_3repE0EEENS1_36merge_oddeven_config_static_selectorELNS0_4arch9wavefront6targetE1EEEvSH_
	.p2align	8
	.type	_ZN7rocprim17ROCPRIM_400000_NS6detail17trampoline_kernelINS0_14default_configENS1_38merge_sort_block_merge_config_selectorIisEEZZNS1_27merge_sort_block_merge_implIS3_N6thrust23THRUST_200600_302600_NS10device_ptrIiEENS9_IsEEjNS1_19radix_merge_compareILb0ELb0EiNS0_19identity_decomposerEEEEE10hipError_tT0_T1_T2_jT3_P12ihipStream_tbPNSt15iterator_traitsISG_E10value_typeEPNSM_ISH_E10value_typeEPSI_NS1_7vsmem_tEENKUlT_SG_SH_SI_E_clIPiSA_PsSB_EESF_SV_SG_SH_SI_EUlSV_E1_NS1_11comp_targetILNS1_3genE8ELNS1_11target_archE1030ELNS1_3gpuE2ELNS1_3repE0EEENS1_36merge_oddeven_config_static_selectorELNS0_4arch9wavefront6targetE1EEEvSH_,@function
_ZN7rocprim17ROCPRIM_400000_NS6detail17trampoline_kernelINS0_14default_configENS1_38merge_sort_block_merge_config_selectorIisEEZZNS1_27merge_sort_block_merge_implIS3_N6thrust23THRUST_200600_302600_NS10device_ptrIiEENS9_IsEEjNS1_19radix_merge_compareILb0ELb0EiNS0_19identity_decomposerEEEEE10hipError_tT0_T1_T2_jT3_P12ihipStream_tbPNSt15iterator_traitsISG_E10value_typeEPNSM_ISH_E10value_typeEPSI_NS1_7vsmem_tEENKUlT_SG_SH_SI_E_clIPiSA_PsSB_EESF_SV_SG_SH_SI_EUlSV_E1_NS1_11comp_targetILNS1_3genE8ELNS1_11target_archE1030ELNS1_3gpuE2ELNS1_3repE0EEENS1_36merge_oddeven_config_static_selectorELNS0_4arch9wavefront6targetE1EEEvSH_: ; @_ZN7rocprim17ROCPRIM_400000_NS6detail17trampoline_kernelINS0_14default_configENS1_38merge_sort_block_merge_config_selectorIisEEZZNS1_27merge_sort_block_merge_implIS3_N6thrust23THRUST_200600_302600_NS10device_ptrIiEENS9_IsEEjNS1_19radix_merge_compareILb0ELb0EiNS0_19identity_decomposerEEEEE10hipError_tT0_T1_T2_jT3_P12ihipStream_tbPNSt15iterator_traitsISG_E10value_typeEPNSM_ISH_E10value_typeEPSI_NS1_7vsmem_tEENKUlT_SG_SH_SI_E_clIPiSA_PsSB_EESF_SV_SG_SH_SI_EUlSV_E1_NS1_11comp_targetILNS1_3genE8ELNS1_11target_archE1030ELNS1_3gpuE2ELNS1_3repE0EEENS1_36merge_oddeven_config_static_selectorELNS0_4arch9wavefront6targetE1EEEvSH_
; %bb.0:
	.section	.rodata,"a",@progbits
	.p2align	6, 0x0
	.amdhsa_kernel _ZN7rocprim17ROCPRIM_400000_NS6detail17trampoline_kernelINS0_14default_configENS1_38merge_sort_block_merge_config_selectorIisEEZZNS1_27merge_sort_block_merge_implIS3_N6thrust23THRUST_200600_302600_NS10device_ptrIiEENS9_IsEEjNS1_19radix_merge_compareILb0ELb0EiNS0_19identity_decomposerEEEEE10hipError_tT0_T1_T2_jT3_P12ihipStream_tbPNSt15iterator_traitsISG_E10value_typeEPNSM_ISH_E10value_typeEPSI_NS1_7vsmem_tEENKUlT_SG_SH_SI_E_clIPiSA_PsSB_EESF_SV_SG_SH_SI_EUlSV_E1_NS1_11comp_targetILNS1_3genE8ELNS1_11target_archE1030ELNS1_3gpuE2ELNS1_3repE0EEENS1_36merge_oddeven_config_static_selectorELNS0_4arch9wavefront6targetE1EEEvSH_
		.amdhsa_group_segment_fixed_size 0
		.amdhsa_private_segment_fixed_size 0
		.amdhsa_kernarg_size 48
		.amdhsa_user_sgpr_count 2
		.amdhsa_user_sgpr_dispatch_ptr 0
		.amdhsa_user_sgpr_queue_ptr 0
		.amdhsa_user_sgpr_kernarg_segment_ptr 1
		.amdhsa_user_sgpr_dispatch_id 0
		.amdhsa_user_sgpr_kernarg_preload_length 0
		.amdhsa_user_sgpr_kernarg_preload_offset 0
		.amdhsa_user_sgpr_private_segment_size 0
		.amdhsa_uses_dynamic_stack 0
		.amdhsa_enable_private_segment 0
		.amdhsa_system_sgpr_workgroup_id_x 1
		.amdhsa_system_sgpr_workgroup_id_y 0
		.amdhsa_system_sgpr_workgroup_id_z 0
		.amdhsa_system_sgpr_workgroup_info 0
		.amdhsa_system_vgpr_workitem_id 0
		.amdhsa_next_free_vgpr 1
		.amdhsa_next_free_sgpr 0
		.amdhsa_accum_offset 4
		.amdhsa_reserve_vcc 0
		.amdhsa_float_round_mode_32 0
		.amdhsa_float_round_mode_16_64 0
		.amdhsa_float_denorm_mode_32 3
		.amdhsa_float_denorm_mode_16_64 3
		.amdhsa_dx10_clamp 1
		.amdhsa_ieee_mode 1
		.amdhsa_fp16_overflow 0
		.amdhsa_tg_split 0
		.amdhsa_exception_fp_ieee_invalid_op 0
		.amdhsa_exception_fp_denorm_src 0
		.amdhsa_exception_fp_ieee_div_zero 0
		.amdhsa_exception_fp_ieee_overflow 0
		.amdhsa_exception_fp_ieee_underflow 0
		.amdhsa_exception_fp_ieee_inexact 0
		.amdhsa_exception_int_div_zero 0
	.end_amdhsa_kernel
	.section	.text._ZN7rocprim17ROCPRIM_400000_NS6detail17trampoline_kernelINS0_14default_configENS1_38merge_sort_block_merge_config_selectorIisEEZZNS1_27merge_sort_block_merge_implIS3_N6thrust23THRUST_200600_302600_NS10device_ptrIiEENS9_IsEEjNS1_19radix_merge_compareILb0ELb0EiNS0_19identity_decomposerEEEEE10hipError_tT0_T1_T2_jT3_P12ihipStream_tbPNSt15iterator_traitsISG_E10value_typeEPNSM_ISH_E10value_typeEPSI_NS1_7vsmem_tEENKUlT_SG_SH_SI_E_clIPiSA_PsSB_EESF_SV_SG_SH_SI_EUlSV_E1_NS1_11comp_targetILNS1_3genE8ELNS1_11target_archE1030ELNS1_3gpuE2ELNS1_3repE0EEENS1_36merge_oddeven_config_static_selectorELNS0_4arch9wavefront6targetE1EEEvSH_,"axG",@progbits,_ZN7rocprim17ROCPRIM_400000_NS6detail17trampoline_kernelINS0_14default_configENS1_38merge_sort_block_merge_config_selectorIisEEZZNS1_27merge_sort_block_merge_implIS3_N6thrust23THRUST_200600_302600_NS10device_ptrIiEENS9_IsEEjNS1_19radix_merge_compareILb0ELb0EiNS0_19identity_decomposerEEEEE10hipError_tT0_T1_T2_jT3_P12ihipStream_tbPNSt15iterator_traitsISG_E10value_typeEPNSM_ISH_E10value_typeEPSI_NS1_7vsmem_tEENKUlT_SG_SH_SI_E_clIPiSA_PsSB_EESF_SV_SG_SH_SI_EUlSV_E1_NS1_11comp_targetILNS1_3genE8ELNS1_11target_archE1030ELNS1_3gpuE2ELNS1_3repE0EEENS1_36merge_oddeven_config_static_selectorELNS0_4arch9wavefront6targetE1EEEvSH_,comdat
.Lfunc_end2313:
	.size	_ZN7rocprim17ROCPRIM_400000_NS6detail17trampoline_kernelINS0_14default_configENS1_38merge_sort_block_merge_config_selectorIisEEZZNS1_27merge_sort_block_merge_implIS3_N6thrust23THRUST_200600_302600_NS10device_ptrIiEENS9_IsEEjNS1_19radix_merge_compareILb0ELb0EiNS0_19identity_decomposerEEEEE10hipError_tT0_T1_T2_jT3_P12ihipStream_tbPNSt15iterator_traitsISG_E10value_typeEPNSM_ISH_E10value_typeEPSI_NS1_7vsmem_tEENKUlT_SG_SH_SI_E_clIPiSA_PsSB_EESF_SV_SG_SH_SI_EUlSV_E1_NS1_11comp_targetILNS1_3genE8ELNS1_11target_archE1030ELNS1_3gpuE2ELNS1_3repE0EEENS1_36merge_oddeven_config_static_selectorELNS0_4arch9wavefront6targetE1EEEvSH_, .Lfunc_end2313-_ZN7rocprim17ROCPRIM_400000_NS6detail17trampoline_kernelINS0_14default_configENS1_38merge_sort_block_merge_config_selectorIisEEZZNS1_27merge_sort_block_merge_implIS3_N6thrust23THRUST_200600_302600_NS10device_ptrIiEENS9_IsEEjNS1_19radix_merge_compareILb0ELb0EiNS0_19identity_decomposerEEEEE10hipError_tT0_T1_T2_jT3_P12ihipStream_tbPNSt15iterator_traitsISG_E10value_typeEPNSM_ISH_E10value_typeEPSI_NS1_7vsmem_tEENKUlT_SG_SH_SI_E_clIPiSA_PsSB_EESF_SV_SG_SH_SI_EUlSV_E1_NS1_11comp_targetILNS1_3genE8ELNS1_11target_archE1030ELNS1_3gpuE2ELNS1_3repE0EEENS1_36merge_oddeven_config_static_selectorELNS0_4arch9wavefront6targetE1EEEvSH_
                                        ; -- End function
	.set _ZN7rocprim17ROCPRIM_400000_NS6detail17trampoline_kernelINS0_14default_configENS1_38merge_sort_block_merge_config_selectorIisEEZZNS1_27merge_sort_block_merge_implIS3_N6thrust23THRUST_200600_302600_NS10device_ptrIiEENS9_IsEEjNS1_19radix_merge_compareILb0ELb0EiNS0_19identity_decomposerEEEEE10hipError_tT0_T1_T2_jT3_P12ihipStream_tbPNSt15iterator_traitsISG_E10value_typeEPNSM_ISH_E10value_typeEPSI_NS1_7vsmem_tEENKUlT_SG_SH_SI_E_clIPiSA_PsSB_EESF_SV_SG_SH_SI_EUlSV_E1_NS1_11comp_targetILNS1_3genE8ELNS1_11target_archE1030ELNS1_3gpuE2ELNS1_3repE0EEENS1_36merge_oddeven_config_static_selectorELNS0_4arch9wavefront6targetE1EEEvSH_.num_vgpr, 0
	.set _ZN7rocprim17ROCPRIM_400000_NS6detail17trampoline_kernelINS0_14default_configENS1_38merge_sort_block_merge_config_selectorIisEEZZNS1_27merge_sort_block_merge_implIS3_N6thrust23THRUST_200600_302600_NS10device_ptrIiEENS9_IsEEjNS1_19radix_merge_compareILb0ELb0EiNS0_19identity_decomposerEEEEE10hipError_tT0_T1_T2_jT3_P12ihipStream_tbPNSt15iterator_traitsISG_E10value_typeEPNSM_ISH_E10value_typeEPSI_NS1_7vsmem_tEENKUlT_SG_SH_SI_E_clIPiSA_PsSB_EESF_SV_SG_SH_SI_EUlSV_E1_NS1_11comp_targetILNS1_3genE8ELNS1_11target_archE1030ELNS1_3gpuE2ELNS1_3repE0EEENS1_36merge_oddeven_config_static_selectorELNS0_4arch9wavefront6targetE1EEEvSH_.num_agpr, 0
	.set _ZN7rocprim17ROCPRIM_400000_NS6detail17trampoline_kernelINS0_14default_configENS1_38merge_sort_block_merge_config_selectorIisEEZZNS1_27merge_sort_block_merge_implIS3_N6thrust23THRUST_200600_302600_NS10device_ptrIiEENS9_IsEEjNS1_19radix_merge_compareILb0ELb0EiNS0_19identity_decomposerEEEEE10hipError_tT0_T1_T2_jT3_P12ihipStream_tbPNSt15iterator_traitsISG_E10value_typeEPNSM_ISH_E10value_typeEPSI_NS1_7vsmem_tEENKUlT_SG_SH_SI_E_clIPiSA_PsSB_EESF_SV_SG_SH_SI_EUlSV_E1_NS1_11comp_targetILNS1_3genE8ELNS1_11target_archE1030ELNS1_3gpuE2ELNS1_3repE0EEENS1_36merge_oddeven_config_static_selectorELNS0_4arch9wavefront6targetE1EEEvSH_.numbered_sgpr, 0
	.set _ZN7rocprim17ROCPRIM_400000_NS6detail17trampoline_kernelINS0_14default_configENS1_38merge_sort_block_merge_config_selectorIisEEZZNS1_27merge_sort_block_merge_implIS3_N6thrust23THRUST_200600_302600_NS10device_ptrIiEENS9_IsEEjNS1_19radix_merge_compareILb0ELb0EiNS0_19identity_decomposerEEEEE10hipError_tT0_T1_T2_jT3_P12ihipStream_tbPNSt15iterator_traitsISG_E10value_typeEPNSM_ISH_E10value_typeEPSI_NS1_7vsmem_tEENKUlT_SG_SH_SI_E_clIPiSA_PsSB_EESF_SV_SG_SH_SI_EUlSV_E1_NS1_11comp_targetILNS1_3genE8ELNS1_11target_archE1030ELNS1_3gpuE2ELNS1_3repE0EEENS1_36merge_oddeven_config_static_selectorELNS0_4arch9wavefront6targetE1EEEvSH_.num_named_barrier, 0
	.set _ZN7rocprim17ROCPRIM_400000_NS6detail17trampoline_kernelINS0_14default_configENS1_38merge_sort_block_merge_config_selectorIisEEZZNS1_27merge_sort_block_merge_implIS3_N6thrust23THRUST_200600_302600_NS10device_ptrIiEENS9_IsEEjNS1_19radix_merge_compareILb0ELb0EiNS0_19identity_decomposerEEEEE10hipError_tT0_T1_T2_jT3_P12ihipStream_tbPNSt15iterator_traitsISG_E10value_typeEPNSM_ISH_E10value_typeEPSI_NS1_7vsmem_tEENKUlT_SG_SH_SI_E_clIPiSA_PsSB_EESF_SV_SG_SH_SI_EUlSV_E1_NS1_11comp_targetILNS1_3genE8ELNS1_11target_archE1030ELNS1_3gpuE2ELNS1_3repE0EEENS1_36merge_oddeven_config_static_selectorELNS0_4arch9wavefront6targetE1EEEvSH_.private_seg_size, 0
	.set _ZN7rocprim17ROCPRIM_400000_NS6detail17trampoline_kernelINS0_14default_configENS1_38merge_sort_block_merge_config_selectorIisEEZZNS1_27merge_sort_block_merge_implIS3_N6thrust23THRUST_200600_302600_NS10device_ptrIiEENS9_IsEEjNS1_19radix_merge_compareILb0ELb0EiNS0_19identity_decomposerEEEEE10hipError_tT0_T1_T2_jT3_P12ihipStream_tbPNSt15iterator_traitsISG_E10value_typeEPNSM_ISH_E10value_typeEPSI_NS1_7vsmem_tEENKUlT_SG_SH_SI_E_clIPiSA_PsSB_EESF_SV_SG_SH_SI_EUlSV_E1_NS1_11comp_targetILNS1_3genE8ELNS1_11target_archE1030ELNS1_3gpuE2ELNS1_3repE0EEENS1_36merge_oddeven_config_static_selectorELNS0_4arch9wavefront6targetE1EEEvSH_.uses_vcc, 0
	.set _ZN7rocprim17ROCPRIM_400000_NS6detail17trampoline_kernelINS0_14default_configENS1_38merge_sort_block_merge_config_selectorIisEEZZNS1_27merge_sort_block_merge_implIS3_N6thrust23THRUST_200600_302600_NS10device_ptrIiEENS9_IsEEjNS1_19radix_merge_compareILb0ELb0EiNS0_19identity_decomposerEEEEE10hipError_tT0_T1_T2_jT3_P12ihipStream_tbPNSt15iterator_traitsISG_E10value_typeEPNSM_ISH_E10value_typeEPSI_NS1_7vsmem_tEENKUlT_SG_SH_SI_E_clIPiSA_PsSB_EESF_SV_SG_SH_SI_EUlSV_E1_NS1_11comp_targetILNS1_3genE8ELNS1_11target_archE1030ELNS1_3gpuE2ELNS1_3repE0EEENS1_36merge_oddeven_config_static_selectorELNS0_4arch9wavefront6targetE1EEEvSH_.uses_flat_scratch, 0
	.set _ZN7rocprim17ROCPRIM_400000_NS6detail17trampoline_kernelINS0_14default_configENS1_38merge_sort_block_merge_config_selectorIisEEZZNS1_27merge_sort_block_merge_implIS3_N6thrust23THRUST_200600_302600_NS10device_ptrIiEENS9_IsEEjNS1_19radix_merge_compareILb0ELb0EiNS0_19identity_decomposerEEEEE10hipError_tT0_T1_T2_jT3_P12ihipStream_tbPNSt15iterator_traitsISG_E10value_typeEPNSM_ISH_E10value_typeEPSI_NS1_7vsmem_tEENKUlT_SG_SH_SI_E_clIPiSA_PsSB_EESF_SV_SG_SH_SI_EUlSV_E1_NS1_11comp_targetILNS1_3genE8ELNS1_11target_archE1030ELNS1_3gpuE2ELNS1_3repE0EEENS1_36merge_oddeven_config_static_selectorELNS0_4arch9wavefront6targetE1EEEvSH_.has_dyn_sized_stack, 0
	.set _ZN7rocprim17ROCPRIM_400000_NS6detail17trampoline_kernelINS0_14default_configENS1_38merge_sort_block_merge_config_selectorIisEEZZNS1_27merge_sort_block_merge_implIS3_N6thrust23THRUST_200600_302600_NS10device_ptrIiEENS9_IsEEjNS1_19radix_merge_compareILb0ELb0EiNS0_19identity_decomposerEEEEE10hipError_tT0_T1_T2_jT3_P12ihipStream_tbPNSt15iterator_traitsISG_E10value_typeEPNSM_ISH_E10value_typeEPSI_NS1_7vsmem_tEENKUlT_SG_SH_SI_E_clIPiSA_PsSB_EESF_SV_SG_SH_SI_EUlSV_E1_NS1_11comp_targetILNS1_3genE8ELNS1_11target_archE1030ELNS1_3gpuE2ELNS1_3repE0EEENS1_36merge_oddeven_config_static_selectorELNS0_4arch9wavefront6targetE1EEEvSH_.has_recursion, 0
	.set _ZN7rocprim17ROCPRIM_400000_NS6detail17trampoline_kernelINS0_14default_configENS1_38merge_sort_block_merge_config_selectorIisEEZZNS1_27merge_sort_block_merge_implIS3_N6thrust23THRUST_200600_302600_NS10device_ptrIiEENS9_IsEEjNS1_19radix_merge_compareILb0ELb0EiNS0_19identity_decomposerEEEEE10hipError_tT0_T1_T2_jT3_P12ihipStream_tbPNSt15iterator_traitsISG_E10value_typeEPNSM_ISH_E10value_typeEPSI_NS1_7vsmem_tEENKUlT_SG_SH_SI_E_clIPiSA_PsSB_EESF_SV_SG_SH_SI_EUlSV_E1_NS1_11comp_targetILNS1_3genE8ELNS1_11target_archE1030ELNS1_3gpuE2ELNS1_3repE0EEENS1_36merge_oddeven_config_static_selectorELNS0_4arch9wavefront6targetE1EEEvSH_.has_indirect_call, 0
	.section	.AMDGPU.csdata,"",@progbits
; Kernel info:
; codeLenInByte = 0
; TotalNumSgprs: 6
; NumVgprs: 0
; NumAgprs: 0
; TotalNumVgprs: 0
; ScratchSize: 0
; MemoryBound: 0
; FloatMode: 240
; IeeeMode: 1
; LDSByteSize: 0 bytes/workgroup (compile time only)
; SGPRBlocks: 0
; VGPRBlocks: 0
; NumSGPRsForWavesPerEU: 6
; NumVGPRsForWavesPerEU: 1
; AccumOffset: 4
; Occupancy: 8
; WaveLimiterHint : 0
; COMPUTE_PGM_RSRC2:SCRATCH_EN: 0
; COMPUTE_PGM_RSRC2:USER_SGPR: 2
; COMPUTE_PGM_RSRC2:TRAP_HANDLER: 0
; COMPUTE_PGM_RSRC2:TGID_X_EN: 1
; COMPUTE_PGM_RSRC2:TGID_Y_EN: 0
; COMPUTE_PGM_RSRC2:TGID_Z_EN: 0
; COMPUTE_PGM_RSRC2:TIDIG_COMP_CNT: 0
; COMPUTE_PGM_RSRC3_GFX90A:ACCUM_OFFSET: 0
; COMPUTE_PGM_RSRC3_GFX90A:TG_SPLIT: 0
	.section	.text._ZN7rocprim17ROCPRIM_400000_NS6detail17trampoline_kernelINS0_14default_configENS1_38merge_sort_block_merge_config_selectorIisEEZZNS1_27merge_sort_block_merge_implIS3_N6thrust23THRUST_200600_302600_NS10device_ptrIiEENS9_IsEEjNS1_19radix_merge_compareILb0ELb0EiNS0_19identity_decomposerEEEEE10hipError_tT0_T1_T2_jT3_P12ihipStream_tbPNSt15iterator_traitsISG_E10value_typeEPNSM_ISH_E10value_typeEPSI_NS1_7vsmem_tEENKUlT_SG_SH_SI_E_clISA_PiSB_PsEESF_SV_SG_SH_SI_EUlSV_E_NS1_11comp_targetILNS1_3genE0ELNS1_11target_archE4294967295ELNS1_3gpuE0ELNS1_3repE0EEENS1_48merge_mergepath_partition_config_static_selectorELNS0_4arch9wavefront6targetE1EEEvSH_,"axG",@progbits,_ZN7rocprim17ROCPRIM_400000_NS6detail17trampoline_kernelINS0_14default_configENS1_38merge_sort_block_merge_config_selectorIisEEZZNS1_27merge_sort_block_merge_implIS3_N6thrust23THRUST_200600_302600_NS10device_ptrIiEENS9_IsEEjNS1_19radix_merge_compareILb0ELb0EiNS0_19identity_decomposerEEEEE10hipError_tT0_T1_T2_jT3_P12ihipStream_tbPNSt15iterator_traitsISG_E10value_typeEPNSM_ISH_E10value_typeEPSI_NS1_7vsmem_tEENKUlT_SG_SH_SI_E_clISA_PiSB_PsEESF_SV_SG_SH_SI_EUlSV_E_NS1_11comp_targetILNS1_3genE0ELNS1_11target_archE4294967295ELNS1_3gpuE0ELNS1_3repE0EEENS1_48merge_mergepath_partition_config_static_selectorELNS0_4arch9wavefront6targetE1EEEvSH_,comdat
	.protected	_ZN7rocprim17ROCPRIM_400000_NS6detail17trampoline_kernelINS0_14default_configENS1_38merge_sort_block_merge_config_selectorIisEEZZNS1_27merge_sort_block_merge_implIS3_N6thrust23THRUST_200600_302600_NS10device_ptrIiEENS9_IsEEjNS1_19radix_merge_compareILb0ELb0EiNS0_19identity_decomposerEEEEE10hipError_tT0_T1_T2_jT3_P12ihipStream_tbPNSt15iterator_traitsISG_E10value_typeEPNSM_ISH_E10value_typeEPSI_NS1_7vsmem_tEENKUlT_SG_SH_SI_E_clISA_PiSB_PsEESF_SV_SG_SH_SI_EUlSV_E_NS1_11comp_targetILNS1_3genE0ELNS1_11target_archE4294967295ELNS1_3gpuE0ELNS1_3repE0EEENS1_48merge_mergepath_partition_config_static_selectorELNS0_4arch9wavefront6targetE1EEEvSH_ ; -- Begin function _ZN7rocprim17ROCPRIM_400000_NS6detail17trampoline_kernelINS0_14default_configENS1_38merge_sort_block_merge_config_selectorIisEEZZNS1_27merge_sort_block_merge_implIS3_N6thrust23THRUST_200600_302600_NS10device_ptrIiEENS9_IsEEjNS1_19radix_merge_compareILb0ELb0EiNS0_19identity_decomposerEEEEE10hipError_tT0_T1_T2_jT3_P12ihipStream_tbPNSt15iterator_traitsISG_E10value_typeEPNSM_ISH_E10value_typeEPSI_NS1_7vsmem_tEENKUlT_SG_SH_SI_E_clISA_PiSB_PsEESF_SV_SG_SH_SI_EUlSV_E_NS1_11comp_targetILNS1_3genE0ELNS1_11target_archE4294967295ELNS1_3gpuE0ELNS1_3repE0EEENS1_48merge_mergepath_partition_config_static_selectorELNS0_4arch9wavefront6targetE1EEEvSH_
	.globl	_ZN7rocprim17ROCPRIM_400000_NS6detail17trampoline_kernelINS0_14default_configENS1_38merge_sort_block_merge_config_selectorIisEEZZNS1_27merge_sort_block_merge_implIS3_N6thrust23THRUST_200600_302600_NS10device_ptrIiEENS9_IsEEjNS1_19radix_merge_compareILb0ELb0EiNS0_19identity_decomposerEEEEE10hipError_tT0_T1_T2_jT3_P12ihipStream_tbPNSt15iterator_traitsISG_E10value_typeEPNSM_ISH_E10value_typeEPSI_NS1_7vsmem_tEENKUlT_SG_SH_SI_E_clISA_PiSB_PsEESF_SV_SG_SH_SI_EUlSV_E_NS1_11comp_targetILNS1_3genE0ELNS1_11target_archE4294967295ELNS1_3gpuE0ELNS1_3repE0EEENS1_48merge_mergepath_partition_config_static_selectorELNS0_4arch9wavefront6targetE1EEEvSH_
	.p2align	8
	.type	_ZN7rocprim17ROCPRIM_400000_NS6detail17trampoline_kernelINS0_14default_configENS1_38merge_sort_block_merge_config_selectorIisEEZZNS1_27merge_sort_block_merge_implIS3_N6thrust23THRUST_200600_302600_NS10device_ptrIiEENS9_IsEEjNS1_19radix_merge_compareILb0ELb0EiNS0_19identity_decomposerEEEEE10hipError_tT0_T1_T2_jT3_P12ihipStream_tbPNSt15iterator_traitsISG_E10value_typeEPNSM_ISH_E10value_typeEPSI_NS1_7vsmem_tEENKUlT_SG_SH_SI_E_clISA_PiSB_PsEESF_SV_SG_SH_SI_EUlSV_E_NS1_11comp_targetILNS1_3genE0ELNS1_11target_archE4294967295ELNS1_3gpuE0ELNS1_3repE0EEENS1_48merge_mergepath_partition_config_static_selectorELNS0_4arch9wavefront6targetE1EEEvSH_,@function
_ZN7rocprim17ROCPRIM_400000_NS6detail17trampoline_kernelINS0_14default_configENS1_38merge_sort_block_merge_config_selectorIisEEZZNS1_27merge_sort_block_merge_implIS3_N6thrust23THRUST_200600_302600_NS10device_ptrIiEENS9_IsEEjNS1_19radix_merge_compareILb0ELb0EiNS0_19identity_decomposerEEEEE10hipError_tT0_T1_T2_jT3_P12ihipStream_tbPNSt15iterator_traitsISG_E10value_typeEPNSM_ISH_E10value_typeEPSI_NS1_7vsmem_tEENKUlT_SG_SH_SI_E_clISA_PiSB_PsEESF_SV_SG_SH_SI_EUlSV_E_NS1_11comp_targetILNS1_3genE0ELNS1_11target_archE4294967295ELNS1_3gpuE0ELNS1_3repE0EEENS1_48merge_mergepath_partition_config_static_selectorELNS0_4arch9wavefront6targetE1EEEvSH_: ; @_ZN7rocprim17ROCPRIM_400000_NS6detail17trampoline_kernelINS0_14default_configENS1_38merge_sort_block_merge_config_selectorIisEEZZNS1_27merge_sort_block_merge_implIS3_N6thrust23THRUST_200600_302600_NS10device_ptrIiEENS9_IsEEjNS1_19radix_merge_compareILb0ELb0EiNS0_19identity_decomposerEEEEE10hipError_tT0_T1_T2_jT3_P12ihipStream_tbPNSt15iterator_traitsISG_E10value_typeEPNSM_ISH_E10value_typeEPSI_NS1_7vsmem_tEENKUlT_SG_SH_SI_E_clISA_PiSB_PsEESF_SV_SG_SH_SI_EUlSV_E_NS1_11comp_targetILNS1_3genE0ELNS1_11target_archE4294967295ELNS1_3gpuE0ELNS1_3repE0EEENS1_48merge_mergepath_partition_config_static_selectorELNS0_4arch9wavefront6targetE1EEEvSH_
; %bb.0:
	s_load_dword s3, s[0:1], 0x0
	v_lshl_or_b32 v0, s2, 7, v0
	s_waitcnt lgkmcnt(0)
	v_cmp_gt_u32_e32 vcc, s3, v0
	s_and_saveexec_b64 s[2:3], vcc
	s_cbranch_execz .LBB2314_6
; %bb.1:
	s_load_dwordx2 s[4:5], s[0:1], 0x4
	s_load_dwordx2 s[2:3], s[0:1], 0x20
	s_waitcnt lgkmcnt(0)
	s_lshr_b32 s6, s4, 9
	s_and_b32 s6, s6, 0x7ffffe
	s_add_i32 s7, s6, -1
	s_sub_i32 s6, 0, s6
	v_and_b32_e32 v1, s6, v0
	v_lshlrev_b32_e32 v1, 10, v1
	v_min_u32_e32 v2, s5, v1
	v_add_u32_e32 v1, s4, v1
	v_min_u32_e32 v4, s5, v1
	v_add_u32_e32 v1, s4, v4
	v_and_b32_e32 v3, s7, v0
	v_min_u32_e32 v1, s5, v1
	v_sub_u32_e32 v5, v1, v2
	v_lshlrev_b32_e32 v3, 10, v3
	v_min_u32_e32 v10, v5, v3
	v_sub_u32_e32 v3, v4, v2
	v_sub_u32_e32 v1, v1, v4
	v_sub_u32_e64 v1, v10, v1 clamp
	v_min_u32_e32 v11, v10, v3
	v_cmp_lt_u32_e32 vcc, v1, v11
	s_and_saveexec_b64 s[4:5], vcc
	s_cbranch_execz .LBB2314_5
; %bb.2:
	s_load_dwordx2 s[0:1], s[0:1], 0x10
	v_mov_b32_e32 v5, 0
	v_mov_b32_e32 v3, v5
	s_waitcnt lgkmcnt(0)
	v_lshl_add_u64 v[6:7], v[2:3], 2, s[0:1]
	v_lshl_add_u64 v[8:9], v[4:5], 2, s[0:1]
	s_mov_b64 s[0:1], 0
.LBB2314_3:                             ; =>This Inner Loop Header: Depth=1
	v_add_u32_e32 v3, v11, v1
	v_lshrrev_b32_e32 v4, 1, v3
	v_mov_b32_e32 v13, v5
	v_xad_u32 v12, v4, -1, v10
	v_lshl_add_u64 v[14:15], v[4:5], 2, v[6:7]
	v_lshl_add_u64 v[12:13], v[12:13], 2, v[8:9]
	flat_load_dword v3, v[14:15]
	flat_load_dword v16, v[12:13]
	v_add_u32_e32 v12, 1, v4
	s_waitcnt vmcnt(0) lgkmcnt(0)
	v_cmp_gt_i32_e32 vcc, v3, v16
	s_nop 1
	v_cndmask_b32_e32 v11, v11, v4, vcc
	v_cndmask_b32_e32 v1, v12, v1, vcc
	v_cmp_ge_u32_e32 vcc, v1, v11
	s_or_b64 s[0:1], vcc, s[0:1]
	s_andn2_b64 exec, exec, s[0:1]
	s_cbranch_execnz .LBB2314_3
; %bb.4:
	s_or_b64 exec, exec, s[0:1]
.LBB2314_5:
	s_or_b64 exec, exec, s[4:5]
	v_add_u32_e32 v2, v1, v2
	v_mov_b32_e32 v1, 0
	v_lshl_add_u64 v[0:1], v[0:1], 2, s[2:3]
	global_store_dword v[0:1], v2, off
.LBB2314_6:
	s_endpgm
	.section	.rodata,"a",@progbits
	.p2align	6, 0x0
	.amdhsa_kernel _ZN7rocprim17ROCPRIM_400000_NS6detail17trampoline_kernelINS0_14default_configENS1_38merge_sort_block_merge_config_selectorIisEEZZNS1_27merge_sort_block_merge_implIS3_N6thrust23THRUST_200600_302600_NS10device_ptrIiEENS9_IsEEjNS1_19radix_merge_compareILb0ELb0EiNS0_19identity_decomposerEEEEE10hipError_tT0_T1_T2_jT3_P12ihipStream_tbPNSt15iterator_traitsISG_E10value_typeEPNSM_ISH_E10value_typeEPSI_NS1_7vsmem_tEENKUlT_SG_SH_SI_E_clISA_PiSB_PsEESF_SV_SG_SH_SI_EUlSV_E_NS1_11comp_targetILNS1_3genE0ELNS1_11target_archE4294967295ELNS1_3gpuE0ELNS1_3repE0EEENS1_48merge_mergepath_partition_config_static_selectorELNS0_4arch9wavefront6targetE1EEEvSH_
		.amdhsa_group_segment_fixed_size 0
		.amdhsa_private_segment_fixed_size 0
		.amdhsa_kernarg_size 40
		.amdhsa_user_sgpr_count 2
		.amdhsa_user_sgpr_dispatch_ptr 0
		.amdhsa_user_sgpr_queue_ptr 0
		.amdhsa_user_sgpr_kernarg_segment_ptr 1
		.amdhsa_user_sgpr_dispatch_id 0
		.amdhsa_user_sgpr_kernarg_preload_length 0
		.amdhsa_user_sgpr_kernarg_preload_offset 0
		.amdhsa_user_sgpr_private_segment_size 0
		.amdhsa_uses_dynamic_stack 0
		.amdhsa_enable_private_segment 0
		.amdhsa_system_sgpr_workgroup_id_x 1
		.amdhsa_system_sgpr_workgroup_id_y 0
		.amdhsa_system_sgpr_workgroup_id_z 0
		.amdhsa_system_sgpr_workgroup_info 0
		.amdhsa_system_vgpr_workitem_id 0
		.amdhsa_next_free_vgpr 17
		.amdhsa_next_free_sgpr 8
		.amdhsa_accum_offset 20
		.amdhsa_reserve_vcc 1
		.amdhsa_float_round_mode_32 0
		.amdhsa_float_round_mode_16_64 0
		.amdhsa_float_denorm_mode_32 3
		.amdhsa_float_denorm_mode_16_64 3
		.amdhsa_dx10_clamp 1
		.amdhsa_ieee_mode 1
		.amdhsa_fp16_overflow 0
		.amdhsa_tg_split 0
		.amdhsa_exception_fp_ieee_invalid_op 0
		.amdhsa_exception_fp_denorm_src 0
		.amdhsa_exception_fp_ieee_div_zero 0
		.amdhsa_exception_fp_ieee_overflow 0
		.amdhsa_exception_fp_ieee_underflow 0
		.amdhsa_exception_fp_ieee_inexact 0
		.amdhsa_exception_int_div_zero 0
	.end_amdhsa_kernel
	.section	.text._ZN7rocprim17ROCPRIM_400000_NS6detail17trampoline_kernelINS0_14default_configENS1_38merge_sort_block_merge_config_selectorIisEEZZNS1_27merge_sort_block_merge_implIS3_N6thrust23THRUST_200600_302600_NS10device_ptrIiEENS9_IsEEjNS1_19radix_merge_compareILb0ELb0EiNS0_19identity_decomposerEEEEE10hipError_tT0_T1_T2_jT3_P12ihipStream_tbPNSt15iterator_traitsISG_E10value_typeEPNSM_ISH_E10value_typeEPSI_NS1_7vsmem_tEENKUlT_SG_SH_SI_E_clISA_PiSB_PsEESF_SV_SG_SH_SI_EUlSV_E_NS1_11comp_targetILNS1_3genE0ELNS1_11target_archE4294967295ELNS1_3gpuE0ELNS1_3repE0EEENS1_48merge_mergepath_partition_config_static_selectorELNS0_4arch9wavefront6targetE1EEEvSH_,"axG",@progbits,_ZN7rocprim17ROCPRIM_400000_NS6detail17trampoline_kernelINS0_14default_configENS1_38merge_sort_block_merge_config_selectorIisEEZZNS1_27merge_sort_block_merge_implIS3_N6thrust23THRUST_200600_302600_NS10device_ptrIiEENS9_IsEEjNS1_19radix_merge_compareILb0ELb0EiNS0_19identity_decomposerEEEEE10hipError_tT0_T1_T2_jT3_P12ihipStream_tbPNSt15iterator_traitsISG_E10value_typeEPNSM_ISH_E10value_typeEPSI_NS1_7vsmem_tEENKUlT_SG_SH_SI_E_clISA_PiSB_PsEESF_SV_SG_SH_SI_EUlSV_E_NS1_11comp_targetILNS1_3genE0ELNS1_11target_archE4294967295ELNS1_3gpuE0ELNS1_3repE0EEENS1_48merge_mergepath_partition_config_static_selectorELNS0_4arch9wavefront6targetE1EEEvSH_,comdat
.Lfunc_end2314:
	.size	_ZN7rocprim17ROCPRIM_400000_NS6detail17trampoline_kernelINS0_14default_configENS1_38merge_sort_block_merge_config_selectorIisEEZZNS1_27merge_sort_block_merge_implIS3_N6thrust23THRUST_200600_302600_NS10device_ptrIiEENS9_IsEEjNS1_19radix_merge_compareILb0ELb0EiNS0_19identity_decomposerEEEEE10hipError_tT0_T1_T2_jT3_P12ihipStream_tbPNSt15iterator_traitsISG_E10value_typeEPNSM_ISH_E10value_typeEPSI_NS1_7vsmem_tEENKUlT_SG_SH_SI_E_clISA_PiSB_PsEESF_SV_SG_SH_SI_EUlSV_E_NS1_11comp_targetILNS1_3genE0ELNS1_11target_archE4294967295ELNS1_3gpuE0ELNS1_3repE0EEENS1_48merge_mergepath_partition_config_static_selectorELNS0_4arch9wavefront6targetE1EEEvSH_, .Lfunc_end2314-_ZN7rocprim17ROCPRIM_400000_NS6detail17trampoline_kernelINS0_14default_configENS1_38merge_sort_block_merge_config_selectorIisEEZZNS1_27merge_sort_block_merge_implIS3_N6thrust23THRUST_200600_302600_NS10device_ptrIiEENS9_IsEEjNS1_19radix_merge_compareILb0ELb0EiNS0_19identity_decomposerEEEEE10hipError_tT0_T1_T2_jT3_P12ihipStream_tbPNSt15iterator_traitsISG_E10value_typeEPNSM_ISH_E10value_typeEPSI_NS1_7vsmem_tEENKUlT_SG_SH_SI_E_clISA_PiSB_PsEESF_SV_SG_SH_SI_EUlSV_E_NS1_11comp_targetILNS1_3genE0ELNS1_11target_archE4294967295ELNS1_3gpuE0ELNS1_3repE0EEENS1_48merge_mergepath_partition_config_static_selectorELNS0_4arch9wavefront6targetE1EEEvSH_
                                        ; -- End function
	.set _ZN7rocprim17ROCPRIM_400000_NS6detail17trampoline_kernelINS0_14default_configENS1_38merge_sort_block_merge_config_selectorIisEEZZNS1_27merge_sort_block_merge_implIS3_N6thrust23THRUST_200600_302600_NS10device_ptrIiEENS9_IsEEjNS1_19radix_merge_compareILb0ELb0EiNS0_19identity_decomposerEEEEE10hipError_tT0_T1_T2_jT3_P12ihipStream_tbPNSt15iterator_traitsISG_E10value_typeEPNSM_ISH_E10value_typeEPSI_NS1_7vsmem_tEENKUlT_SG_SH_SI_E_clISA_PiSB_PsEESF_SV_SG_SH_SI_EUlSV_E_NS1_11comp_targetILNS1_3genE0ELNS1_11target_archE4294967295ELNS1_3gpuE0ELNS1_3repE0EEENS1_48merge_mergepath_partition_config_static_selectorELNS0_4arch9wavefront6targetE1EEEvSH_.num_vgpr, 17
	.set _ZN7rocprim17ROCPRIM_400000_NS6detail17trampoline_kernelINS0_14default_configENS1_38merge_sort_block_merge_config_selectorIisEEZZNS1_27merge_sort_block_merge_implIS3_N6thrust23THRUST_200600_302600_NS10device_ptrIiEENS9_IsEEjNS1_19radix_merge_compareILb0ELb0EiNS0_19identity_decomposerEEEEE10hipError_tT0_T1_T2_jT3_P12ihipStream_tbPNSt15iterator_traitsISG_E10value_typeEPNSM_ISH_E10value_typeEPSI_NS1_7vsmem_tEENKUlT_SG_SH_SI_E_clISA_PiSB_PsEESF_SV_SG_SH_SI_EUlSV_E_NS1_11comp_targetILNS1_3genE0ELNS1_11target_archE4294967295ELNS1_3gpuE0ELNS1_3repE0EEENS1_48merge_mergepath_partition_config_static_selectorELNS0_4arch9wavefront6targetE1EEEvSH_.num_agpr, 0
	.set _ZN7rocprim17ROCPRIM_400000_NS6detail17trampoline_kernelINS0_14default_configENS1_38merge_sort_block_merge_config_selectorIisEEZZNS1_27merge_sort_block_merge_implIS3_N6thrust23THRUST_200600_302600_NS10device_ptrIiEENS9_IsEEjNS1_19radix_merge_compareILb0ELb0EiNS0_19identity_decomposerEEEEE10hipError_tT0_T1_T2_jT3_P12ihipStream_tbPNSt15iterator_traitsISG_E10value_typeEPNSM_ISH_E10value_typeEPSI_NS1_7vsmem_tEENKUlT_SG_SH_SI_E_clISA_PiSB_PsEESF_SV_SG_SH_SI_EUlSV_E_NS1_11comp_targetILNS1_3genE0ELNS1_11target_archE4294967295ELNS1_3gpuE0ELNS1_3repE0EEENS1_48merge_mergepath_partition_config_static_selectorELNS0_4arch9wavefront6targetE1EEEvSH_.numbered_sgpr, 8
	.set _ZN7rocprim17ROCPRIM_400000_NS6detail17trampoline_kernelINS0_14default_configENS1_38merge_sort_block_merge_config_selectorIisEEZZNS1_27merge_sort_block_merge_implIS3_N6thrust23THRUST_200600_302600_NS10device_ptrIiEENS9_IsEEjNS1_19radix_merge_compareILb0ELb0EiNS0_19identity_decomposerEEEEE10hipError_tT0_T1_T2_jT3_P12ihipStream_tbPNSt15iterator_traitsISG_E10value_typeEPNSM_ISH_E10value_typeEPSI_NS1_7vsmem_tEENKUlT_SG_SH_SI_E_clISA_PiSB_PsEESF_SV_SG_SH_SI_EUlSV_E_NS1_11comp_targetILNS1_3genE0ELNS1_11target_archE4294967295ELNS1_3gpuE0ELNS1_3repE0EEENS1_48merge_mergepath_partition_config_static_selectorELNS0_4arch9wavefront6targetE1EEEvSH_.num_named_barrier, 0
	.set _ZN7rocprim17ROCPRIM_400000_NS6detail17trampoline_kernelINS0_14default_configENS1_38merge_sort_block_merge_config_selectorIisEEZZNS1_27merge_sort_block_merge_implIS3_N6thrust23THRUST_200600_302600_NS10device_ptrIiEENS9_IsEEjNS1_19radix_merge_compareILb0ELb0EiNS0_19identity_decomposerEEEEE10hipError_tT0_T1_T2_jT3_P12ihipStream_tbPNSt15iterator_traitsISG_E10value_typeEPNSM_ISH_E10value_typeEPSI_NS1_7vsmem_tEENKUlT_SG_SH_SI_E_clISA_PiSB_PsEESF_SV_SG_SH_SI_EUlSV_E_NS1_11comp_targetILNS1_3genE0ELNS1_11target_archE4294967295ELNS1_3gpuE0ELNS1_3repE0EEENS1_48merge_mergepath_partition_config_static_selectorELNS0_4arch9wavefront6targetE1EEEvSH_.private_seg_size, 0
	.set _ZN7rocprim17ROCPRIM_400000_NS6detail17trampoline_kernelINS0_14default_configENS1_38merge_sort_block_merge_config_selectorIisEEZZNS1_27merge_sort_block_merge_implIS3_N6thrust23THRUST_200600_302600_NS10device_ptrIiEENS9_IsEEjNS1_19radix_merge_compareILb0ELb0EiNS0_19identity_decomposerEEEEE10hipError_tT0_T1_T2_jT3_P12ihipStream_tbPNSt15iterator_traitsISG_E10value_typeEPNSM_ISH_E10value_typeEPSI_NS1_7vsmem_tEENKUlT_SG_SH_SI_E_clISA_PiSB_PsEESF_SV_SG_SH_SI_EUlSV_E_NS1_11comp_targetILNS1_3genE0ELNS1_11target_archE4294967295ELNS1_3gpuE0ELNS1_3repE0EEENS1_48merge_mergepath_partition_config_static_selectorELNS0_4arch9wavefront6targetE1EEEvSH_.uses_vcc, 1
	.set _ZN7rocprim17ROCPRIM_400000_NS6detail17trampoline_kernelINS0_14default_configENS1_38merge_sort_block_merge_config_selectorIisEEZZNS1_27merge_sort_block_merge_implIS3_N6thrust23THRUST_200600_302600_NS10device_ptrIiEENS9_IsEEjNS1_19radix_merge_compareILb0ELb0EiNS0_19identity_decomposerEEEEE10hipError_tT0_T1_T2_jT3_P12ihipStream_tbPNSt15iterator_traitsISG_E10value_typeEPNSM_ISH_E10value_typeEPSI_NS1_7vsmem_tEENKUlT_SG_SH_SI_E_clISA_PiSB_PsEESF_SV_SG_SH_SI_EUlSV_E_NS1_11comp_targetILNS1_3genE0ELNS1_11target_archE4294967295ELNS1_3gpuE0ELNS1_3repE0EEENS1_48merge_mergepath_partition_config_static_selectorELNS0_4arch9wavefront6targetE1EEEvSH_.uses_flat_scratch, 0
	.set _ZN7rocprim17ROCPRIM_400000_NS6detail17trampoline_kernelINS0_14default_configENS1_38merge_sort_block_merge_config_selectorIisEEZZNS1_27merge_sort_block_merge_implIS3_N6thrust23THRUST_200600_302600_NS10device_ptrIiEENS9_IsEEjNS1_19radix_merge_compareILb0ELb0EiNS0_19identity_decomposerEEEEE10hipError_tT0_T1_T2_jT3_P12ihipStream_tbPNSt15iterator_traitsISG_E10value_typeEPNSM_ISH_E10value_typeEPSI_NS1_7vsmem_tEENKUlT_SG_SH_SI_E_clISA_PiSB_PsEESF_SV_SG_SH_SI_EUlSV_E_NS1_11comp_targetILNS1_3genE0ELNS1_11target_archE4294967295ELNS1_3gpuE0ELNS1_3repE0EEENS1_48merge_mergepath_partition_config_static_selectorELNS0_4arch9wavefront6targetE1EEEvSH_.has_dyn_sized_stack, 0
	.set _ZN7rocprim17ROCPRIM_400000_NS6detail17trampoline_kernelINS0_14default_configENS1_38merge_sort_block_merge_config_selectorIisEEZZNS1_27merge_sort_block_merge_implIS3_N6thrust23THRUST_200600_302600_NS10device_ptrIiEENS9_IsEEjNS1_19radix_merge_compareILb0ELb0EiNS0_19identity_decomposerEEEEE10hipError_tT0_T1_T2_jT3_P12ihipStream_tbPNSt15iterator_traitsISG_E10value_typeEPNSM_ISH_E10value_typeEPSI_NS1_7vsmem_tEENKUlT_SG_SH_SI_E_clISA_PiSB_PsEESF_SV_SG_SH_SI_EUlSV_E_NS1_11comp_targetILNS1_3genE0ELNS1_11target_archE4294967295ELNS1_3gpuE0ELNS1_3repE0EEENS1_48merge_mergepath_partition_config_static_selectorELNS0_4arch9wavefront6targetE1EEEvSH_.has_recursion, 0
	.set _ZN7rocprim17ROCPRIM_400000_NS6detail17trampoline_kernelINS0_14default_configENS1_38merge_sort_block_merge_config_selectorIisEEZZNS1_27merge_sort_block_merge_implIS3_N6thrust23THRUST_200600_302600_NS10device_ptrIiEENS9_IsEEjNS1_19radix_merge_compareILb0ELb0EiNS0_19identity_decomposerEEEEE10hipError_tT0_T1_T2_jT3_P12ihipStream_tbPNSt15iterator_traitsISG_E10value_typeEPNSM_ISH_E10value_typeEPSI_NS1_7vsmem_tEENKUlT_SG_SH_SI_E_clISA_PiSB_PsEESF_SV_SG_SH_SI_EUlSV_E_NS1_11comp_targetILNS1_3genE0ELNS1_11target_archE4294967295ELNS1_3gpuE0ELNS1_3repE0EEENS1_48merge_mergepath_partition_config_static_selectorELNS0_4arch9wavefront6targetE1EEEvSH_.has_indirect_call, 0
	.section	.AMDGPU.csdata,"",@progbits
; Kernel info:
; codeLenInByte = 316
; TotalNumSgprs: 14
; NumVgprs: 17
; NumAgprs: 0
; TotalNumVgprs: 17
; ScratchSize: 0
; MemoryBound: 0
; FloatMode: 240
; IeeeMode: 1
; LDSByteSize: 0 bytes/workgroup (compile time only)
; SGPRBlocks: 1
; VGPRBlocks: 2
; NumSGPRsForWavesPerEU: 14
; NumVGPRsForWavesPerEU: 17
; AccumOffset: 20
; Occupancy: 8
; WaveLimiterHint : 0
; COMPUTE_PGM_RSRC2:SCRATCH_EN: 0
; COMPUTE_PGM_RSRC2:USER_SGPR: 2
; COMPUTE_PGM_RSRC2:TRAP_HANDLER: 0
; COMPUTE_PGM_RSRC2:TGID_X_EN: 1
; COMPUTE_PGM_RSRC2:TGID_Y_EN: 0
; COMPUTE_PGM_RSRC2:TGID_Z_EN: 0
; COMPUTE_PGM_RSRC2:TIDIG_COMP_CNT: 0
; COMPUTE_PGM_RSRC3_GFX90A:ACCUM_OFFSET: 4
; COMPUTE_PGM_RSRC3_GFX90A:TG_SPLIT: 0
	.section	.text._ZN7rocprim17ROCPRIM_400000_NS6detail17trampoline_kernelINS0_14default_configENS1_38merge_sort_block_merge_config_selectorIisEEZZNS1_27merge_sort_block_merge_implIS3_N6thrust23THRUST_200600_302600_NS10device_ptrIiEENS9_IsEEjNS1_19radix_merge_compareILb0ELb0EiNS0_19identity_decomposerEEEEE10hipError_tT0_T1_T2_jT3_P12ihipStream_tbPNSt15iterator_traitsISG_E10value_typeEPNSM_ISH_E10value_typeEPSI_NS1_7vsmem_tEENKUlT_SG_SH_SI_E_clISA_PiSB_PsEESF_SV_SG_SH_SI_EUlSV_E_NS1_11comp_targetILNS1_3genE10ELNS1_11target_archE1201ELNS1_3gpuE5ELNS1_3repE0EEENS1_48merge_mergepath_partition_config_static_selectorELNS0_4arch9wavefront6targetE1EEEvSH_,"axG",@progbits,_ZN7rocprim17ROCPRIM_400000_NS6detail17trampoline_kernelINS0_14default_configENS1_38merge_sort_block_merge_config_selectorIisEEZZNS1_27merge_sort_block_merge_implIS3_N6thrust23THRUST_200600_302600_NS10device_ptrIiEENS9_IsEEjNS1_19radix_merge_compareILb0ELb0EiNS0_19identity_decomposerEEEEE10hipError_tT0_T1_T2_jT3_P12ihipStream_tbPNSt15iterator_traitsISG_E10value_typeEPNSM_ISH_E10value_typeEPSI_NS1_7vsmem_tEENKUlT_SG_SH_SI_E_clISA_PiSB_PsEESF_SV_SG_SH_SI_EUlSV_E_NS1_11comp_targetILNS1_3genE10ELNS1_11target_archE1201ELNS1_3gpuE5ELNS1_3repE0EEENS1_48merge_mergepath_partition_config_static_selectorELNS0_4arch9wavefront6targetE1EEEvSH_,comdat
	.protected	_ZN7rocprim17ROCPRIM_400000_NS6detail17trampoline_kernelINS0_14default_configENS1_38merge_sort_block_merge_config_selectorIisEEZZNS1_27merge_sort_block_merge_implIS3_N6thrust23THRUST_200600_302600_NS10device_ptrIiEENS9_IsEEjNS1_19radix_merge_compareILb0ELb0EiNS0_19identity_decomposerEEEEE10hipError_tT0_T1_T2_jT3_P12ihipStream_tbPNSt15iterator_traitsISG_E10value_typeEPNSM_ISH_E10value_typeEPSI_NS1_7vsmem_tEENKUlT_SG_SH_SI_E_clISA_PiSB_PsEESF_SV_SG_SH_SI_EUlSV_E_NS1_11comp_targetILNS1_3genE10ELNS1_11target_archE1201ELNS1_3gpuE5ELNS1_3repE0EEENS1_48merge_mergepath_partition_config_static_selectorELNS0_4arch9wavefront6targetE1EEEvSH_ ; -- Begin function _ZN7rocprim17ROCPRIM_400000_NS6detail17trampoline_kernelINS0_14default_configENS1_38merge_sort_block_merge_config_selectorIisEEZZNS1_27merge_sort_block_merge_implIS3_N6thrust23THRUST_200600_302600_NS10device_ptrIiEENS9_IsEEjNS1_19radix_merge_compareILb0ELb0EiNS0_19identity_decomposerEEEEE10hipError_tT0_T1_T2_jT3_P12ihipStream_tbPNSt15iterator_traitsISG_E10value_typeEPNSM_ISH_E10value_typeEPSI_NS1_7vsmem_tEENKUlT_SG_SH_SI_E_clISA_PiSB_PsEESF_SV_SG_SH_SI_EUlSV_E_NS1_11comp_targetILNS1_3genE10ELNS1_11target_archE1201ELNS1_3gpuE5ELNS1_3repE0EEENS1_48merge_mergepath_partition_config_static_selectorELNS0_4arch9wavefront6targetE1EEEvSH_
	.globl	_ZN7rocprim17ROCPRIM_400000_NS6detail17trampoline_kernelINS0_14default_configENS1_38merge_sort_block_merge_config_selectorIisEEZZNS1_27merge_sort_block_merge_implIS3_N6thrust23THRUST_200600_302600_NS10device_ptrIiEENS9_IsEEjNS1_19radix_merge_compareILb0ELb0EiNS0_19identity_decomposerEEEEE10hipError_tT0_T1_T2_jT3_P12ihipStream_tbPNSt15iterator_traitsISG_E10value_typeEPNSM_ISH_E10value_typeEPSI_NS1_7vsmem_tEENKUlT_SG_SH_SI_E_clISA_PiSB_PsEESF_SV_SG_SH_SI_EUlSV_E_NS1_11comp_targetILNS1_3genE10ELNS1_11target_archE1201ELNS1_3gpuE5ELNS1_3repE0EEENS1_48merge_mergepath_partition_config_static_selectorELNS0_4arch9wavefront6targetE1EEEvSH_
	.p2align	8
	.type	_ZN7rocprim17ROCPRIM_400000_NS6detail17trampoline_kernelINS0_14default_configENS1_38merge_sort_block_merge_config_selectorIisEEZZNS1_27merge_sort_block_merge_implIS3_N6thrust23THRUST_200600_302600_NS10device_ptrIiEENS9_IsEEjNS1_19radix_merge_compareILb0ELb0EiNS0_19identity_decomposerEEEEE10hipError_tT0_T1_T2_jT3_P12ihipStream_tbPNSt15iterator_traitsISG_E10value_typeEPNSM_ISH_E10value_typeEPSI_NS1_7vsmem_tEENKUlT_SG_SH_SI_E_clISA_PiSB_PsEESF_SV_SG_SH_SI_EUlSV_E_NS1_11comp_targetILNS1_3genE10ELNS1_11target_archE1201ELNS1_3gpuE5ELNS1_3repE0EEENS1_48merge_mergepath_partition_config_static_selectorELNS0_4arch9wavefront6targetE1EEEvSH_,@function
_ZN7rocprim17ROCPRIM_400000_NS6detail17trampoline_kernelINS0_14default_configENS1_38merge_sort_block_merge_config_selectorIisEEZZNS1_27merge_sort_block_merge_implIS3_N6thrust23THRUST_200600_302600_NS10device_ptrIiEENS9_IsEEjNS1_19radix_merge_compareILb0ELb0EiNS0_19identity_decomposerEEEEE10hipError_tT0_T1_T2_jT3_P12ihipStream_tbPNSt15iterator_traitsISG_E10value_typeEPNSM_ISH_E10value_typeEPSI_NS1_7vsmem_tEENKUlT_SG_SH_SI_E_clISA_PiSB_PsEESF_SV_SG_SH_SI_EUlSV_E_NS1_11comp_targetILNS1_3genE10ELNS1_11target_archE1201ELNS1_3gpuE5ELNS1_3repE0EEENS1_48merge_mergepath_partition_config_static_selectorELNS0_4arch9wavefront6targetE1EEEvSH_: ; @_ZN7rocprim17ROCPRIM_400000_NS6detail17trampoline_kernelINS0_14default_configENS1_38merge_sort_block_merge_config_selectorIisEEZZNS1_27merge_sort_block_merge_implIS3_N6thrust23THRUST_200600_302600_NS10device_ptrIiEENS9_IsEEjNS1_19radix_merge_compareILb0ELb0EiNS0_19identity_decomposerEEEEE10hipError_tT0_T1_T2_jT3_P12ihipStream_tbPNSt15iterator_traitsISG_E10value_typeEPNSM_ISH_E10value_typeEPSI_NS1_7vsmem_tEENKUlT_SG_SH_SI_E_clISA_PiSB_PsEESF_SV_SG_SH_SI_EUlSV_E_NS1_11comp_targetILNS1_3genE10ELNS1_11target_archE1201ELNS1_3gpuE5ELNS1_3repE0EEENS1_48merge_mergepath_partition_config_static_selectorELNS0_4arch9wavefront6targetE1EEEvSH_
; %bb.0:
	.section	.rodata,"a",@progbits
	.p2align	6, 0x0
	.amdhsa_kernel _ZN7rocprim17ROCPRIM_400000_NS6detail17trampoline_kernelINS0_14default_configENS1_38merge_sort_block_merge_config_selectorIisEEZZNS1_27merge_sort_block_merge_implIS3_N6thrust23THRUST_200600_302600_NS10device_ptrIiEENS9_IsEEjNS1_19radix_merge_compareILb0ELb0EiNS0_19identity_decomposerEEEEE10hipError_tT0_T1_T2_jT3_P12ihipStream_tbPNSt15iterator_traitsISG_E10value_typeEPNSM_ISH_E10value_typeEPSI_NS1_7vsmem_tEENKUlT_SG_SH_SI_E_clISA_PiSB_PsEESF_SV_SG_SH_SI_EUlSV_E_NS1_11comp_targetILNS1_3genE10ELNS1_11target_archE1201ELNS1_3gpuE5ELNS1_3repE0EEENS1_48merge_mergepath_partition_config_static_selectorELNS0_4arch9wavefront6targetE1EEEvSH_
		.amdhsa_group_segment_fixed_size 0
		.amdhsa_private_segment_fixed_size 0
		.amdhsa_kernarg_size 40
		.amdhsa_user_sgpr_count 2
		.amdhsa_user_sgpr_dispatch_ptr 0
		.amdhsa_user_sgpr_queue_ptr 0
		.amdhsa_user_sgpr_kernarg_segment_ptr 1
		.amdhsa_user_sgpr_dispatch_id 0
		.amdhsa_user_sgpr_kernarg_preload_length 0
		.amdhsa_user_sgpr_kernarg_preload_offset 0
		.amdhsa_user_sgpr_private_segment_size 0
		.amdhsa_uses_dynamic_stack 0
		.amdhsa_enable_private_segment 0
		.amdhsa_system_sgpr_workgroup_id_x 1
		.amdhsa_system_sgpr_workgroup_id_y 0
		.amdhsa_system_sgpr_workgroup_id_z 0
		.amdhsa_system_sgpr_workgroup_info 0
		.amdhsa_system_vgpr_workitem_id 0
		.amdhsa_next_free_vgpr 1
		.amdhsa_next_free_sgpr 0
		.amdhsa_accum_offset 4
		.amdhsa_reserve_vcc 0
		.amdhsa_float_round_mode_32 0
		.amdhsa_float_round_mode_16_64 0
		.amdhsa_float_denorm_mode_32 3
		.amdhsa_float_denorm_mode_16_64 3
		.amdhsa_dx10_clamp 1
		.amdhsa_ieee_mode 1
		.amdhsa_fp16_overflow 0
		.amdhsa_tg_split 0
		.amdhsa_exception_fp_ieee_invalid_op 0
		.amdhsa_exception_fp_denorm_src 0
		.amdhsa_exception_fp_ieee_div_zero 0
		.amdhsa_exception_fp_ieee_overflow 0
		.amdhsa_exception_fp_ieee_underflow 0
		.amdhsa_exception_fp_ieee_inexact 0
		.amdhsa_exception_int_div_zero 0
	.end_amdhsa_kernel
	.section	.text._ZN7rocprim17ROCPRIM_400000_NS6detail17trampoline_kernelINS0_14default_configENS1_38merge_sort_block_merge_config_selectorIisEEZZNS1_27merge_sort_block_merge_implIS3_N6thrust23THRUST_200600_302600_NS10device_ptrIiEENS9_IsEEjNS1_19radix_merge_compareILb0ELb0EiNS0_19identity_decomposerEEEEE10hipError_tT0_T1_T2_jT3_P12ihipStream_tbPNSt15iterator_traitsISG_E10value_typeEPNSM_ISH_E10value_typeEPSI_NS1_7vsmem_tEENKUlT_SG_SH_SI_E_clISA_PiSB_PsEESF_SV_SG_SH_SI_EUlSV_E_NS1_11comp_targetILNS1_3genE10ELNS1_11target_archE1201ELNS1_3gpuE5ELNS1_3repE0EEENS1_48merge_mergepath_partition_config_static_selectorELNS0_4arch9wavefront6targetE1EEEvSH_,"axG",@progbits,_ZN7rocprim17ROCPRIM_400000_NS6detail17trampoline_kernelINS0_14default_configENS1_38merge_sort_block_merge_config_selectorIisEEZZNS1_27merge_sort_block_merge_implIS3_N6thrust23THRUST_200600_302600_NS10device_ptrIiEENS9_IsEEjNS1_19radix_merge_compareILb0ELb0EiNS0_19identity_decomposerEEEEE10hipError_tT0_T1_T2_jT3_P12ihipStream_tbPNSt15iterator_traitsISG_E10value_typeEPNSM_ISH_E10value_typeEPSI_NS1_7vsmem_tEENKUlT_SG_SH_SI_E_clISA_PiSB_PsEESF_SV_SG_SH_SI_EUlSV_E_NS1_11comp_targetILNS1_3genE10ELNS1_11target_archE1201ELNS1_3gpuE5ELNS1_3repE0EEENS1_48merge_mergepath_partition_config_static_selectorELNS0_4arch9wavefront6targetE1EEEvSH_,comdat
.Lfunc_end2315:
	.size	_ZN7rocprim17ROCPRIM_400000_NS6detail17trampoline_kernelINS0_14default_configENS1_38merge_sort_block_merge_config_selectorIisEEZZNS1_27merge_sort_block_merge_implIS3_N6thrust23THRUST_200600_302600_NS10device_ptrIiEENS9_IsEEjNS1_19radix_merge_compareILb0ELb0EiNS0_19identity_decomposerEEEEE10hipError_tT0_T1_T2_jT3_P12ihipStream_tbPNSt15iterator_traitsISG_E10value_typeEPNSM_ISH_E10value_typeEPSI_NS1_7vsmem_tEENKUlT_SG_SH_SI_E_clISA_PiSB_PsEESF_SV_SG_SH_SI_EUlSV_E_NS1_11comp_targetILNS1_3genE10ELNS1_11target_archE1201ELNS1_3gpuE5ELNS1_3repE0EEENS1_48merge_mergepath_partition_config_static_selectorELNS0_4arch9wavefront6targetE1EEEvSH_, .Lfunc_end2315-_ZN7rocprim17ROCPRIM_400000_NS6detail17trampoline_kernelINS0_14default_configENS1_38merge_sort_block_merge_config_selectorIisEEZZNS1_27merge_sort_block_merge_implIS3_N6thrust23THRUST_200600_302600_NS10device_ptrIiEENS9_IsEEjNS1_19radix_merge_compareILb0ELb0EiNS0_19identity_decomposerEEEEE10hipError_tT0_T1_T2_jT3_P12ihipStream_tbPNSt15iterator_traitsISG_E10value_typeEPNSM_ISH_E10value_typeEPSI_NS1_7vsmem_tEENKUlT_SG_SH_SI_E_clISA_PiSB_PsEESF_SV_SG_SH_SI_EUlSV_E_NS1_11comp_targetILNS1_3genE10ELNS1_11target_archE1201ELNS1_3gpuE5ELNS1_3repE0EEENS1_48merge_mergepath_partition_config_static_selectorELNS0_4arch9wavefront6targetE1EEEvSH_
                                        ; -- End function
	.set _ZN7rocprim17ROCPRIM_400000_NS6detail17trampoline_kernelINS0_14default_configENS1_38merge_sort_block_merge_config_selectorIisEEZZNS1_27merge_sort_block_merge_implIS3_N6thrust23THRUST_200600_302600_NS10device_ptrIiEENS9_IsEEjNS1_19radix_merge_compareILb0ELb0EiNS0_19identity_decomposerEEEEE10hipError_tT0_T1_T2_jT3_P12ihipStream_tbPNSt15iterator_traitsISG_E10value_typeEPNSM_ISH_E10value_typeEPSI_NS1_7vsmem_tEENKUlT_SG_SH_SI_E_clISA_PiSB_PsEESF_SV_SG_SH_SI_EUlSV_E_NS1_11comp_targetILNS1_3genE10ELNS1_11target_archE1201ELNS1_3gpuE5ELNS1_3repE0EEENS1_48merge_mergepath_partition_config_static_selectorELNS0_4arch9wavefront6targetE1EEEvSH_.num_vgpr, 0
	.set _ZN7rocprim17ROCPRIM_400000_NS6detail17trampoline_kernelINS0_14default_configENS1_38merge_sort_block_merge_config_selectorIisEEZZNS1_27merge_sort_block_merge_implIS3_N6thrust23THRUST_200600_302600_NS10device_ptrIiEENS9_IsEEjNS1_19radix_merge_compareILb0ELb0EiNS0_19identity_decomposerEEEEE10hipError_tT0_T1_T2_jT3_P12ihipStream_tbPNSt15iterator_traitsISG_E10value_typeEPNSM_ISH_E10value_typeEPSI_NS1_7vsmem_tEENKUlT_SG_SH_SI_E_clISA_PiSB_PsEESF_SV_SG_SH_SI_EUlSV_E_NS1_11comp_targetILNS1_3genE10ELNS1_11target_archE1201ELNS1_3gpuE5ELNS1_3repE0EEENS1_48merge_mergepath_partition_config_static_selectorELNS0_4arch9wavefront6targetE1EEEvSH_.num_agpr, 0
	.set _ZN7rocprim17ROCPRIM_400000_NS6detail17trampoline_kernelINS0_14default_configENS1_38merge_sort_block_merge_config_selectorIisEEZZNS1_27merge_sort_block_merge_implIS3_N6thrust23THRUST_200600_302600_NS10device_ptrIiEENS9_IsEEjNS1_19radix_merge_compareILb0ELb0EiNS0_19identity_decomposerEEEEE10hipError_tT0_T1_T2_jT3_P12ihipStream_tbPNSt15iterator_traitsISG_E10value_typeEPNSM_ISH_E10value_typeEPSI_NS1_7vsmem_tEENKUlT_SG_SH_SI_E_clISA_PiSB_PsEESF_SV_SG_SH_SI_EUlSV_E_NS1_11comp_targetILNS1_3genE10ELNS1_11target_archE1201ELNS1_3gpuE5ELNS1_3repE0EEENS1_48merge_mergepath_partition_config_static_selectorELNS0_4arch9wavefront6targetE1EEEvSH_.numbered_sgpr, 0
	.set _ZN7rocprim17ROCPRIM_400000_NS6detail17trampoline_kernelINS0_14default_configENS1_38merge_sort_block_merge_config_selectorIisEEZZNS1_27merge_sort_block_merge_implIS3_N6thrust23THRUST_200600_302600_NS10device_ptrIiEENS9_IsEEjNS1_19radix_merge_compareILb0ELb0EiNS0_19identity_decomposerEEEEE10hipError_tT0_T1_T2_jT3_P12ihipStream_tbPNSt15iterator_traitsISG_E10value_typeEPNSM_ISH_E10value_typeEPSI_NS1_7vsmem_tEENKUlT_SG_SH_SI_E_clISA_PiSB_PsEESF_SV_SG_SH_SI_EUlSV_E_NS1_11comp_targetILNS1_3genE10ELNS1_11target_archE1201ELNS1_3gpuE5ELNS1_3repE0EEENS1_48merge_mergepath_partition_config_static_selectorELNS0_4arch9wavefront6targetE1EEEvSH_.num_named_barrier, 0
	.set _ZN7rocprim17ROCPRIM_400000_NS6detail17trampoline_kernelINS0_14default_configENS1_38merge_sort_block_merge_config_selectorIisEEZZNS1_27merge_sort_block_merge_implIS3_N6thrust23THRUST_200600_302600_NS10device_ptrIiEENS9_IsEEjNS1_19radix_merge_compareILb0ELb0EiNS0_19identity_decomposerEEEEE10hipError_tT0_T1_T2_jT3_P12ihipStream_tbPNSt15iterator_traitsISG_E10value_typeEPNSM_ISH_E10value_typeEPSI_NS1_7vsmem_tEENKUlT_SG_SH_SI_E_clISA_PiSB_PsEESF_SV_SG_SH_SI_EUlSV_E_NS1_11comp_targetILNS1_3genE10ELNS1_11target_archE1201ELNS1_3gpuE5ELNS1_3repE0EEENS1_48merge_mergepath_partition_config_static_selectorELNS0_4arch9wavefront6targetE1EEEvSH_.private_seg_size, 0
	.set _ZN7rocprim17ROCPRIM_400000_NS6detail17trampoline_kernelINS0_14default_configENS1_38merge_sort_block_merge_config_selectorIisEEZZNS1_27merge_sort_block_merge_implIS3_N6thrust23THRUST_200600_302600_NS10device_ptrIiEENS9_IsEEjNS1_19radix_merge_compareILb0ELb0EiNS0_19identity_decomposerEEEEE10hipError_tT0_T1_T2_jT3_P12ihipStream_tbPNSt15iterator_traitsISG_E10value_typeEPNSM_ISH_E10value_typeEPSI_NS1_7vsmem_tEENKUlT_SG_SH_SI_E_clISA_PiSB_PsEESF_SV_SG_SH_SI_EUlSV_E_NS1_11comp_targetILNS1_3genE10ELNS1_11target_archE1201ELNS1_3gpuE5ELNS1_3repE0EEENS1_48merge_mergepath_partition_config_static_selectorELNS0_4arch9wavefront6targetE1EEEvSH_.uses_vcc, 0
	.set _ZN7rocprim17ROCPRIM_400000_NS6detail17trampoline_kernelINS0_14default_configENS1_38merge_sort_block_merge_config_selectorIisEEZZNS1_27merge_sort_block_merge_implIS3_N6thrust23THRUST_200600_302600_NS10device_ptrIiEENS9_IsEEjNS1_19radix_merge_compareILb0ELb0EiNS0_19identity_decomposerEEEEE10hipError_tT0_T1_T2_jT3_P12ihipStream_tbPNSt15iterator_traitsISG_E10value_typeEPNSM_ISH_E10value_typeEPSI_NS1_7vsmem_tEENKUlT_SG_SH_SI_E_clISA_PiSB_PsEESF_SV_SG_SH_SI_EUlSV_E_NS1_11comp_targetILNS1_3genE10ELNS1_11target_archE1201ELNS1_3gpuE5ELNS1_3repE0EEENS1_48merge_mergepath_partition_config_static_selectorELNS0_4arch9wavefront6targetE1EEEvSH_.uses_flat_scratch, 0
	.set _ZN7rocprim17ROCPRIM_400000_NS6detail17trampoline_kernelINS0_14default_configENS1_38merge_sort_block_merge_config_selectorIisEEZZNS1_27merge_sort_block_merge_implIS3_N6thrust23THRUST_200600_302600_NS10device_ptrIiEENS9_IsEEjNS1_19radix_merge_compareILb0ELb0EiNS0_19identity_decomposerEEEEE10hipError_tT0_T1_T2_jT3_P12ihipStream_tbPNSt15iterator_traitsISG_E10value_typeEPNSM_ISH_E10value_typeEPSI_NS1_7vsmem_tEENKUlT_SG_SH_SI_E_clISA_PiSB_PsEESF_SV_SG_SH_SI_EUlSV_E_NS1_11comp_targetILNS1_3genE10ELNS1_11target_archE1201ELNS1_3gpuE5ELNS1_3repE0EEENS1_48merge_mergepath_partition_config_static_selectorELNS0_4arch9wavefront6targetE1EEEvSH_.has_dyn_sized_stack, 0
	.set _ZN7rocprim17ROCPRIM_400000_NS6detail17trampoline_kernelINS0_14default_configENS1_38merge_sort_block_merge_config_selectorIisEEZZNS1_27merge_sort_block_merge_implIS3_N6thrust23THRUST_200600_302600_NS10device_ptrIiEENS9_IsEEjNS1_19radix_merge_compareILb0ELb0EiNS0_19identity_decomposerEEEEE10hipError_tT0_T1_T2_jT3_P12ihipStream_tbPNSt15iterator_traitsISG_E10value_typeEPNSM_ISH_E10value_typeEPSI_NS1_7vsmem_tEENKUlT_SG_SH_SI_E_clISA_PiSB_PsEESF_SV_SG_SH_SI_EUlSV_E_NS1_11comp_targetILNS1_3genE10ELNS1_11target_archE1201ELNS1_3gpuE5ELNS1_3repE0EEENS1_48merge_mergepath_partition_config_static_selectorELNS0_4arch9wavefront6targetE1EEEvSH_.has_recursion, 0
	.set _ZN7rocprim17ROCPRIM_400000_NS6detail17trampoline_kernelINS0_14default_configENS1_38merge_sort_block_merge_config_selectorIisEEZZNS1_27merge_sort_block_merge_implIS3_N6thrust23THRUST_200600_302600_NS10device_ptrIiEENS9_IsEEjNS1_19radix_merge_compareILb0ELb0EiNS0_19identity_decomposerEEEEE10hipError_tT0_T1_T2_jT3_P12ihipStream_tbPNSt15iterator_traitsISG_E10value_typeEPNSM_ISH_E10value_typeEPSI_NS1_7vsmem_tEENKUlT_SG_SH_SI_E_clISA_PiSB_PsEESF_SV_SG_SH_SI_EUlSV_E_NS1_11comp_targetILNS1_3genE10ELNS1_11target_archE1201ELNS1_3gpuE5ELNS1_3repE0EEENS1_48merge_mergepath_partition_config_static_selectorELNS0_4arch9wavefront6targetE1EEEvSH_.has_indirect_call, 0
	.section	.AMDGPU.csdata,"",@progbits
; Kernel info:
; codeLenInByte = 0
; TotalNumSgprs: 6
; NumVgprs: 0
; NumAgprs: 0
; TotalNumVgprs: 0
; ScratchSize: 0
; MemoryBound: 0
; FloatMode: 240
; IeeeMode: 1
; LDSByteSize: 0 bytes/workgroup (compile time only)
; SGPRBlocks: 0
; VGPRBlocks: 0
; NumSGPRsForWavesPerEU: 6
; NumVGPRsForWavesPerEU: 1
; AccumOffset: 4
; Occupancy: 8
; WaveLimiterHint : 0
; COMPUTE_PGM_RSRC2:SCRATCH_EN: 0
; COMPUTE_PGM_RSRC2:USER_SGPR: 2
; COMPUTE_PGM_RSRC2:TRAP_HANDLER: 0
; COMPUTE_PGM_RSRC2:TGID_X_EN: 1
; COMPUTE_PGM_RSRC2:TGID_Y_EN: 0
; COMPUTE_PGM_RSRC2:TGID_Z_EN: 0
; COMPUTE_PGM_RSRC2:TIDIG_COMP_CNT: 0
; COMPUTE_PGM_RSRC3_GFX90A:ACCUM_OFFSET: 0
; COMPUTE_PGM_RSRC3_GFX90A:TG_SPLIT: 0
	.section	.text._ZN7rocprim17ROCPRIM_400000_NS6detail17trampoline_kernelINS0_14default_configENS1_38merge_sort_block_merge_config_selectorIisEEZZNS1_27merge_sort_block_merge_implIS3_N6thrust23THRUST_200600_302600_NS10device_ptrIiEENS9_IsEEjNS1_19radix_merge_compareILb0ELb0EiNS0_19identity_decomposerEEEEE10hipError_tT0_T1_T2_jT3_P12ihipStream_tbPNSt15iterator_traitsISG_E10value_typeEPNSM_ISH_E10value_typeEPSI_NS1_7vsmem_tEENKUlT_SG_SH_SI_E_clISA_PiSB_PsEESF_SV_SG_SH_SI_EUlSV_E_NS1_11comp_targetILNS1_3genE5ELNS1_11target_archE942ELNS1_3gpuE9ELNS1_3repE0EEENS1_48merge_mergepath_partition_config_static_selectorELNS0_4arch9wavefront6targetE1EEEvSH_,"axG",@progbits,_ZN7rocprim17ROCPRIM_400000_NS6detail17trampoline_kernelINS0_14default_configENS1_38merge_sort_block_merge_config_selectorIisEEZZNS1_27merge_sort_block_merge_implIS3_N6thrust23THRUST_200600_302600_NS10device_ptrIiEENS9_IsEEjNS1_19radix_merge_compareILb0ELb0EiNS0_19identity_decomposerEEEEE10hipError_tT0_T1_T2_jT3_P12ihipStream_tbPNSt15iterator_traitsISG_E10value_typeEPNSM_ISH_E10value_typeEPSI_NS1_7vsmem_tEENKUlT_SG_SH_SI_E_clISA_PiSB_PsEESF_SV_SG_SH_SI_EUlSV_E_NS1_11comp_targetILNS1_3genE5ELNS1_11target_archE942ELNS1_3gpuE9ELNS1_3repE0EEENS1_48merge_mergepath_partition_config_static_selectorELNS0_4arch9wavefront6targetE1EEEvSH_,comdat
	.protected	_ZN7rocprim17ROCPRIM_400000_NS6detail17trampoline_kernelINS0_14default_configENS1_38merge_sort_block_merge_config_selectorIisEEZZNS1_27merge_sort_block_merge_implIS3_N6thrust23THRUST_200600_302600_NS10device_ptrIiEENS9_IsEEjNS1_19radix_merge_compareILb0ELb0EiNS0_19identity_decomposerEEEEE10hipError_tT0_T1_T2_jT3_P12ihipStream_tbPNSt15iterator_traitsISG_E10value_typeEPNSM_ISH_E10value_typeEPSI_NS1_7vsmem_tEENKUlT_SG_SH_SI_E_clISA_PiSB_PsEESF_SV_SG_SH_SI_EUlSV_E_NS1_11comp_targetILNS1_3genE5ELNS1_11target_archE942ELNS1_3gpuE9ELNS1_3repE0EEENS1_48merge_mergepath_partition_config_static_selectorELNS0_4arch9wavefront6targetE1EEEvSH_ ; -- Begin function _ZN7rocprim17ROCPRIM_400000_NS6detail17trampoline_kernelINS0_14default_configENS1_38merge_sort_block_merge_config_selectorIisEEZZNS1_27merge_sort_block_merge_implIS3_N6thrust23THRUST_200600_302600_NS10device_ptrIiEENS9_IsEEjNS1_19radix_merge_compareILb0ELb0EiNS0_19identity_decomposerEEEEE10hipError_tT0_T1_T2_jT3_P12ihipStream_tbPNSt15iterator_traitsISG_E10value_typeEPNSM_ISH_E10value_typeEPSI_NS1_7vsmem_tEENKUlT_SG_SH_SI_E_clISA_PiSB_PsEESF_SV_SG_SH_SI_EUlSV_E_NS1_11comp_targetILNS1_3genE5ELNS1_11target_archE942ELNS1_3gpuE9ELNS1_3repE0EEENS1_48merge_mergepath_partition_config_static_selectorELNS0_4arch9wavefront6targetE1EEEvSH_
	.globl	_ZN7rocprim17ROCPRIM_400000_NS6detail17trampoline_kernelINS0_14default_configENS1_38merge_sort_block_merge_config_selectorIisEEZZNS1_27merge_sort_block_merge_implIS3_N6thrust23THRUST_200600_302600_NS10device_ptrIiEENS9_IsEEjNS1_19radix_merge_compareILb0ELb0EiNS0_19identity_decomposerEEEEE10hipError_tT0_T1_T2_jT3_P12ihipStream_tbPNSt15iterator_traitsISG_E10value_typeEPNSM_ISH_E10value_typeEPSI_NS1_7vsmem_tEENKUlT_SG_SH_SI_E_clISA_PiSB_PsEESF_SV_SG_SH_SI_EUlSV_E_NS1_11comp_targetILNS1_3genE5ELNS1_11target_archE942ELNS1_3gpuE9ELNS1_3repE0EEENS1_48merge_mergepath_partition_config_static_selectorELNS0_4arch9wavefront6targetE1EEEvSH_
	.p2align	8
	.type	_ZN7rocprim17ROCPRIM_400000_NS6detail17trampoline_kernelINS0_14default_configENS1_38merge_sort_block_merge_config_selectorIisEEZZNS1_27merge_sort_block_merge_implIS3_N6thrust23THRUST_200600_302600_NS10device_ptrIiEENS9_IsEEjNS1_19radix_merge_compareILb0ELb0EiNS0_19identity_decomposerEEEEE10hipError_tT0_T1_T2_jT3_P12ihipStream_tbPNSt15iterator_traitsISG_E10value_typeEPNSM_ISH_E10value_typeEPSI_NS1_7vsmem_tEENKUlT_SG_SH_SI_E_clISA_PiSB_PsEESF_SV_SG_SH_SI_EUlSV_E_NS1_11comp_targetILNS1_3genE5ELNS1_11target_archE942ELNS1_3gpuE9ELNS1_3repE0EEENS1_48merge_mergepath_partition_config_static_selectorELNS0_4arch9wavefront6targetE1EEEvSH_,@function
_ZN7rocprim17ROCPRIM_400000_NS6detail17trampoline_kernelINS0_14default_configENS1_38merge_sort_block_merge_config_selectorIisEEZZNS1_27merge_sort_block_merge_implIS3_N6thrust23THRUST_200600_302600_NS10device_ptrIiEENS9_IsEEjNS1_19radix_merge_compareILb0ELb0EiNS0_19identity_decomposerEEEEE10hipError_tT0_T1_T2_jT3_P12ihipStream_tbPNSt15iterator_traitsISG_E10value_typeEPNSM_ISH_E10value_typeEPSI_NS1_7vsmem_tEENKUlT_SG_SH_SI_E_clISA_PiSB_PsEESF_SV_SG_SH_SI_EUlSV_E_NS1_11comp_targetILNS1_3genE5ELNS1_11target_archE942ELNS1_3gpuE9ELNS1_3repE0EEENS1_48merge_mergepath_partition_config_static_selectorELNS0_4arch9wavefront6targetE1EEEvSH_: ; @_ZN7rocprim17ROCPRIM_400000_NS6detail17trampoline_kernelINS0_14default_configENS1_38merge_sort_block_merge_config_selectorIisEEZZNS1_27merge_sort_block_merge_implIS3_N6thrust23THRUST_200600_302600_NS10device_ptrIiEENS9_IsEEjNS1_19radix_merge_compareILb0ELb0EiNS0_19identity_decomposerEEEEE10hipError_tT0_T1_T2_jT3_P12ihipStream_tbPNSt15iterator_traitsISG_E10value_typeEPNSM_ISH_E10value_typeEPSI_NS1_7vsmem_tEENKUlT_SG_SH_SI_E_clISA_PiSB_PsEESF_SV_SG_SH_SI_EUlSV_E_NS1_11comp_targetILNS1_3genE5ELNS1_11target_archE942ELNS1_3gpuE9ELNS1_3repE0EEENS1_48merge_mergepath_partition_config_static_selectorELNS0_4arch9wavefront6targetE1EEEvSH_
; %bb.0:
	.section	.rodata,"a",@progbits
	.p2align	6, 0x0
	.amdhsa_kernel _ZN7rocprim17ROCPRIM_400000_NS6detail17trampoline_kernelINS0_14default_configENS1_38merge_sort_block_merge_config_selectorIisEEZZNS1_27merge_sort_block_merge_implIS3_N6thrust23THRUST_200600_302600_NS10device_ptrIiEENS9_IsEEjNS1_19radix_merge_compareILb0ELb0EiNS0_19identity_decomposerEEEEE10hipError_tT0_T1_T2_jT3_P12ihipStream_tbPNSt15iterator_traitsISG_E10value_typeEPNSM_ISH_E10value_typeEPSI_NS1_7vsmem_tEENKUlT_SG_SH_SI_E_clISA_PiSB_PsEESF_SV_SG_SH_SI_EUlSV_E_NS1_11comp_targetILNS1_3genE5ELNS1_11target_archE942ELNS1_3gpuE9ELNS1_3repE0EEENS1_48merge_mergepath_partition_config_static_selectorELNS0_4arch9wavefront6targetE1EEEvSH_
		.amdhsa_group_segment_fixed_size 0
		.amdhsa_private_segment_fixed_size 0
		.amdhsa_kernarg_size 40
		.amdhsa_user_sgpr_count 2
		.amdhsa_user_sgpr_dispatch_ptr 0
		.amdhsa_user_sgpr_queue_ptr 0
		.amdhsa_user_sgpr_kernarg_segment_ptr 1
		.amdhsa_user_sgpr_dispatch_id 0
		.amdhsa_user_sgpr_kernarg_preload_length 0
		.amdhsa_user_sgpr_kernarg_preload_offset 0
		.amdhsa_user_sgpr_private_segment_size 0
		.amdhsa_uses_dynamic_stack 0
		.amdhsa_enable_private_segment 0
		.amdhsa_system_sgpr_workgroup_id_x 1
		.amdhsa_system_sgpr_workgroup_id_y 0
		.amdhsa_system_sgpr_workgroup_id_z 0
		.amdhsa_system_sgpr_workgroup_info 0
		.amdhsa_system_vgpr_workitem_id 0
		.amdhsa_next_free_vgpr 1
		.amdhsa_next_free_sgpr 0
		.amdhsa_accum_offset 4
		.amdhsa_reserve_vcc 0
		.amdhsa_float_round_mode_32 0
		.amdhsa_float_round_mode_16_64 0
		.amdhsa_float_denorm_mode_32 3
		.amdhsa_float_denorm_mode_16_64 3
		.amdhsa_dx10_clamp 1
		.amdhsa_ieee_mode 1
		.amdhsa_fp16_overflow 0
		.amdhsa_tg_split 0
		.amdhsa_exception_fp_ieee_invalid_op 0
		.amdhsa_exception_fp_denorm_src 0
		.amdhsa_exception_fp_ieee_div_zero 0
		.amdhsa_exception_fp_ieee_overflow 0
		.amdhsa_exception_fp_ieee_underflow 0
		.amdhsa_exception_fp_ieee_inexact 0
		.amdhsa_exception_int_div_zero 0
	.end_amdhsa_kernel
	.section	.text._ZN7rocprim17ROCPRIM_400000_NS6detail17trampoline_kernelINS0_14default_configENS1_38merge_sort_block_merge_config_selectorIisEEZZNS1_27merge_sort_block_merge_implIS3_N6thrust23THRUST_200600_302600_NS10device_ptrIiEENS9_IsEEjNS1_19radix_merge_compareILb0ELb0EiNS0_19identity_decomposerEEEEE10hipError_tT0_T1_T2_jT3_P12ihipStream_tbPNSt15iterator_traitsISG_E10value_typeEPNSM_ISH_E10value_typeEPSI_NS1_7vsmem_tEENKUlT_SG_SH_SI_E_clISA_PiSB_PsEESF_SV_SG_SH_SI_EUlSV_E_NS1_11comp_targetILNS1_3genE5ELNS1_11target_archE942ELNS1_3gpuE9ELNS1_3repE0EEENS1_48merge_mergepath_partition_config_static_selectorELNS0_4arch9wavefront6targetE1EEEvSH_,"axG",@progbits,_ZN7rocprim17ROCPRIM_400000_NS6detail17trampoline_kernelINS0_14default_configENS1_38merge_sort_block_merge_config_selectorIisEEZZNS1_27merge_sort_block_merge_implIS3_N6thrust23THRUST_200600_302600_NS10device_ptrIiEENS9_IsEEjNS1_19radix_merge_compareILb0ELb0EiNS0_19identity_decomposerEEEEE10hipError_tT0_T1_T2_jT3_P12ihipStream_tbPNSt15iterator_traitsISG_E10value_typeEPNSM_ISH_E10value_typeEPSI_NS1_7vsmem_tEENKUlT_SG_SH_SI_E_clISA_PiSB_PsEESF_SV_SG_SH_SI_EUlSV_E_NS1_11comp_targetILNS1_3genE5ELNS1_11target_archE942ELNS1_3gpuE9ELNS1_3repE0EEENS1_48merge_mergepath_partition_config_static_selectorELNS0_4arch9wavefront6targetE1EEEvSH_,comdat
.Lfunc_end2316:
	.size	_ZN7rocprim17ROCPRIM_400000_NS6detail17trampoline_kernelINS0_14default_configENS1_38merge_sort_block_merge_config_selectorIisEEZZNS1_27merge_sort_block_merge_implIS3_N6thrust23THRUST_200600_302600_NS10device_ptrIiEENS9_IsEEjNS1_19radix_merge_compareILb0ELb0EiNS0_19identity_decomposerEEEEE10hipError_tT0_T1_T2_jT3_P12ihipStream_tbPNSt15iterator_traitsISG_E10value_typeEPNSM_ISH_E10value_typeEPSI_NS1_7vsmem_tEENKUlT_SG_SH_SI_E_clISA_PiSB_PsEESF_SV_SG_SH_SI_EUlSV_E_NS1_11comp_targetILNS1_3genE5ELNS1_11target_archE942ELNS1_3gpuE9ELNS1_3repE0EEENS1_48merge_mergepath_partition_config_static_selectorELNS0_4arch9wavefront6targetE1EEEvSH_, .Lfunc_end2316-_ZN7rocprim17ROCPRIM_400000_NS6detail17trampoline_kernelINS0_14default_configENS1_38merge_sort_block_merge_config_selectorIisEEZZNS1_27merge_sort_block_merge_implIS3_N6thrust23THRUST_200600_302600_NS10device_ptrIiEENS9_IsEEjNS1_19radix_merge_compareILb0ELb0EiNS0_19identity_decomposerEEEEE10hipError_tT0_T1_T2_jT3_P12ihipStream_tbPNSt15iterator_traitsISG_E10value_typeEPNSM_ISH_E10value_typeEPSI_NS1_7vsmem_tEENKUlT_SG_SH_SI_E_clISA_PiSB_PsEESF_SV_SG_SH_SI_EUlSV_E_NS1_11comp_targetILNS1_3genE5ELNS1_11target_archE942ELNS1_3gpuE9ELNS1_3repE0EEENS1_48merge_mergepath_partition_config_static_selectorELNS0_4arch9wavefront6targetE1EEEvSH_
                                        ; -- End function
	.set _ZN7rocprim17ROCPRIM_400000_NS6detail17trampoline_kernelINS0_14default_configENS1_38merge_sort_block_merge_config_selectorIisEEZZNS1_27merge_sort_block_merge_implIS3_N6thrust23THRUST_200600_302600_NS10device_ptrIiEENS9_IsEEjNS1_19radix_merge_compareILb0ELb0EiNS0_19identity_decomposerEEEEE10hipError_tT0_T1_T2_jT3_P12ihipStream_tbPNSt15iterator_traitsISG_E10value_typeEPNSM_ISH_E10value_typeEPSI_NS1_7vsmem_tEENKUlT_SG_SH_SI_E_clISA_PiSB_PsEESF_SV_SG_SH_SI_EUlSV_E_NS1_11comp_targetILNS1_3genE5ELNS1_11target_archE942ELNS1_3gpuE9ELNS1_3repE0EEENS1_48merge_mergepath_partition_config_static_selectorELNS0_4arch9wavefront6targetE1EEEvSH_.num_vgpr, 0
	.set _ZN7rocprim17ROCPRIM_400000_NS6detail17trampoline_kernelINS0_14default_configENS1_38merge_sort_block_merge_config_selectorIisEEZZNS1_27merge_sort_block_merge_implIS3_N6thrust23THRUST_200600_302600_NS10device_ptrIiEENS9_IsEEjNS1_19radix_merge_compareILb0ELb0EiNS0_19identity_decomposerEEEEE10hipError_tT0_T1_T2_jT3_P12ihipStream_tbPNSt15iterator_traitsISG_E10value_typeEPNSM_ISH_E10value_typeEPSI_NS1_7vsmem_tEENKUlT_SG_SH_SI_E_clISA_PiSB_PsEESF_SV_SG_SH_SI_EUlSV_E_NS1_11comp_targetILNS1_3genE5ELNS1_11target_archE942ELNS1_3gpuE9ELNS1_3repE0EEENS1_48merge_mergepath_partition_config_static_selectorELNS0_4arch9wavefront6targetE1EEEvSH_.num_agpr, 0
	.set _ZN7rocprim17ROCPRIM_400000_NS6detail17trampoline_kernelINS0_14default_configENS1_38merge_sort_block_merge_config_selectorIisEEZZNS1_27merge_sort_block_merge_implIS3_N6thrust23THRUST_200600_302600_NS10device_ptrIiEENS9_IsEEjNS1_19radix_merge_compareILb0ELb0EiNS0_19identity_decomposerEEEEE10hipError_tT0_T1_T2_jT3_P12ihipStream_tbPNSt15iterator_traitsISG_E10value_typeEPNSM_ISH_E10value_typeEPSI_NS1_7vsmem_tEENKUlT_SG_SH_SI_E_clISA_PiSB_PsEESF_SV_SG_SH_SI_EUlSV_E_NS1_11comp_targetILNS1_3genE5ELNS1_11target_archE942ELNS1_3gpuE9ELNS1_3repE0EEENS1_48merge_mergepath_partition_config_static_selectorELNS0_4arch9wavefront6targetE1EEEvSH_.numbered_sgpr, 0
	.set _ZN7rocprim17ROCPRIM_400000_NS6detail17trampoline_kernelINS0_14default_configENS1_38merge_sort_block_merge_config_selectorIisEEZZNS1_27merge_sort_block_merge_implIS3_N6thrust23THRUST_200600_302600_NS10device_ptrIiEENS9_IsEEjNS1_19radix_merge_compareILb0ELb0EiNS0_19identity_decomposerEEEEE10hipError_tT0_T1_T2_jT3_P12ihipStream_tbPNSt15iterator_traitsISG_E10value_typeEPNSM_ISH_E10value_typeEPSI_NS1_7vsmem_tEENKUlT_SG_SH_SI_E_clISA_PiSB_PsEESF_SV_SG_SH_SI_EUlSV_E_NS1_11comp_targetILNS1_3genE5ELNS1_11target_archE942ELNS1_3gpuE9ELNS1_3repE0EEENS1_48merge_mergepath_partition_config_static_selectorELNS0_4arch9wavefront6targetE1EEEvSH_.num_named_barrier, 0
	.set _ZN7rocprim17ROCPRIM_400000_NS6detail17trampoline_kernelINS0_14default_configENS1_38merge_sort_block_merge_config_selectorIisEEZZNS1_27merge_sort_block_merge_implIS3_N6thrust23THRUST_200600_302600_NS10device_ptrIiEENS9_IsEEjNS1_19radix_merge_compareILb0ELb0EiNS0_19identity_decomposerEEEEE10hipError_tT0_T1_T2_jT3_P12ihipStream_tbPNSt15iterator_traitsISG_E10value_typeEPNSM_ISH_E10value_typeEPSI_NS1_7vsmem_tEENKUlT_SG_SH_SI_E_clISA_PiSB_PsEESF_SV_SG_SH_SI_EUlSV_E_NS1_11comp_targetILNS1_3genE5ELNS1_11target_archE942ELNS1_3gpuE9ELNS1_3repE0EEENS1_48merge_mergepath_partition_config_static_selectorELNS0_4arch9wavefront6targetE1EEEvSH_.private_seg_size, 0
	.set _ZN7rocprim17ROCPRIM_400000_NS6detail17trampoline_kernelINS0_14default_configENS1_38merge_sort_block_merge_config_selectorIisEEZZNS1_27merge_sort_block_merge_implIS3_N6thrust23THRUST_200600_302600_NS10device_ptrIiEENS9_IsEEjNS1_19radix_merge_compareILb0ELb0EiNS0_19identity_decomposerEEEEE10hipError_tT0_T1_T2_jT3_P12ihipStream_tbPNSt15iterator_traitsISG_E10value_typeEPNSM_ISH_E10value_typeEPSI_NS1_7vsmem_tEENKUlT_SG_SH_SI_E_clISA_PiSB_PsEESF_SV_SG_SH_SI_EUlSV_E_NS1_11comp_targetILNS1_3genE5ELNS1_11target_archE942ELNS1_3gpuE9ELNS1_3repE0EEENS1_48merge_mergepath_partition_config_static_selectorELNS0_4arch9wavefront6targetE1EEEvSH_.uses_vcc, 0
	.set _ZN7rocprim17ROCPRIM_400000_NS6detail17trampoline_kernelINS0_14default_configENS1_38merge_sort_block_merge_config_selectorIisEEZZNS1_27merge_sort_block_merge_implIS3_N6thrust23THRUST_200600_302600_NS10device_ptrIiEENS9_IsEEjNS1_19radix_merge_compareILb0ELb0EiNS0_19identity_decomposerEEEEE10hipError_tT0_T1_T2_jT3_P12ihipStream_tbPNSt15iterator_traitsISG_E10value_typeEPNSM_ISH_E10value_typeEPSI_NS1_7vsmem_tEENKUlT_SG_SH_SI_E_clISA_PiSB_PsEESF_SV_SG_SH_SI_EUlSV_E_NS1_11comp_targetILNS1_3genE5ELNS1_11target_archE942ELNS1_3gpuE9ELNS1_3repE0EEENS1_48merge_mergepath_partition_config_static_selectorELNS0_4arch9wavefront6targetE1EEEvSH_.uses_flat_scratch, 0
	.set _ZN7rocprim17ROCPRIM_400000_NS6detail17trampoline_kernelINS0_14default_configENS1_38merge_sort_block_merge_config_selectorIisEEZZNS1_27merge_sort_block_merge_implIS3_N6thrust23THRUST_200600_302600_NS10device_ptrIiEENS9_IsEEjNS1_19radix_merge_compareILb0ELb0EiNS0_19identity_decomposerEEEEE10hipError_tT0_T1_T2_jT3_P12ihipStream_tbPNSt15iterator_traitsISG_E10value_typeEPNSM_ISH_E10value_typeEPSI_NS1_7vsmem_tEENKUlT_SG_SH_SI_E_clISA_PiSB_PsEESF_SV_SG_SH_SI_EUlSV_E_NS1_11comp_targetILNS1_3genE5ELNS1_11target_archE942ELNS1_3gpuE9ELNS1_3repE0EEENS1_48merge_mergepath_partition_config_static_selectorELNS0_4arch9wavefront6targetE1EEEvSH_.has_dyn_sized_stack, 0
	.set _ZN7rocprim17ROCPRIM_400000_NS6detail17trampoline_kernelINS0_14default_configENS1_38merge_sort_block_merge_config_selectorIisEEZZNS1_27merge_sort_block_merge_implIS3_N6thrust23THRUST_200600_302600_NS10device_ptrIiEENS9_IsEEjNS1_19radix_merge_compareILb0ELb0EiNS0_19identity_decomposerEEEEE10hipError_tT0_T1_T2_jT3_P12ihipStream_tbPNSt15iterator_traitsISG_E10value_typeEPNSM_ISH_E10value_typeEPSI_NS1_7vsmem_tEENKUlT_SG_SH_SI_E_clISA_PiSB_PsEESF_SV_SG_SH_SI_EUlSV_E_NS1_11comp_targetILNS1_3genE5ELNS1_11target_archE942ELNS1_3gpuE9ELNS1_3repE0EEENS1_48merge_mergepath_partition_config_static_selectorELNS0_4arch9wavefront6targetE1EEEvSH_.has_recursion, 0
	.set _ZN7rocprim17ROCPRIM_400000_NS6detail17trampoline_kernelINS0_14default_configENS1_38merge_sort_block_merge_config_selectorIisEEZZNS1_27merge_sort_block_merge_implIS3_N6thrust23THRUST_200600_302600_NS10device_ptrIiEENS9_IsEEjNS1_19radix_merge_compareILb0ELb0EiNS0_19identity_decomposerEEEEE10hipError_tT0_T1_T2_jT3_P12ihipStream_tbPNSt15iterator_traitsISG_E10value_typeEPNSM_ISH_E10value_typeEPSI_NS1_7vsmem_tEENKUlT_SG_SH_SI_E_clISA_PiSB_PsEESF_SV_SG_SH_SI_EUlSV_E_NS1_11comp_targetILNS1_3genE5ELNS1_11target_archE942ELNS1_3gpuE9ELNS1_3repE0EEENS1_48merge_mergepath_partition_config_static_selectorELNS0_4arch9wavefront6targetE1EEEvSH_.has_indirect_call, 0
	.section	.AMDGPU.csdata,"",@progbits
; Kernel info:
; codeLenInByte = 0
; TotalNumSgprs: 6
; NumVgprs: 0
; NumAgprs: 0
; TotalNumVgprs: 0
; ScratchSize: 0
; MemoryBound: 0
; FloatMode: 240
; IeeeMode: 1
; LDSByteSize: 0 bytes/workgroup (compile time only)
; SGPRBlocks: 0
; VGPRBlocks: 0
; NumSGPRsForWavesPerEU: 6
; NumVGPRsForWavesPerEU: 1
; AccumOffset: 4
; Occupancy: 8
; WaveLimiterHint : 0
; COMPUTE_PGM_RSRC2:SCRATCH_EN: 0
; COMPUTE_PGM_RSRC2:USER_SGPR: 2
; COMPUTE_PGM_RSRC2:TRAP_HANDLER: 0
; COMPUTE_PGM_RSRC2:TGID_X_EN: 1
; COMPUTE_PGM_RSRC2:TGID_Y_EN: 0
; COMPUTE_PGM_RSRC2:TGID_Z_EN: 0
; COMPUTE_PGM_RSRC2:TIDIG_COMP_CNT: 0
; COMPUTE_PGM_RSRC3_GFX90A:ACCUM_OFFSET: 0
; COMPUTE_PGM_RSRC3_GFX90A:TG_SPLIT: 0
	.section	.text._ZN7rocprim17ROCPRIM_400000_NS6detail17trampoline_kernelINS0_14default_configENS1_38merge_sort_block_merge_config_selectorIisEEZZNS1_27merge_sort_block_merge_implIS3_N6thrust23THRUST_200600_302600_NS10device_ptrIiEENS9_IsEEjNS1_19radix_merge_compareILb0ELb0EiNS0_19identity_decomposerEEEEE10hipError_tT0_T1_T2_jT3_P12ihipStream_tbPNSt15iterator_traitsISG_E10value_typeEPNSM_ISH_E10value_typeEPSI_NS1_7vsmem_tEENKUlT_SG_SH_SI_E_clISA_PiSB_PsEESF_SV_SG_SH_SI_EUlSV_E_NS1_11comp_targetILNS1_3genE4ELNS1_11target_archE910ELNS1_3gpuE8ELNS1_3repE0EEENS1_48merge_mergepath_partition_config_static_selectorELNS0_4arch9wavefront6targetE1EEEvSH_,"axG",@progbits,_ZN7rocprim17ROCPRIM_400000_NS6detail17trampoline_kernelINS0_14default_configENS1_38merge_sort_block_merge_config_selectorIisEEZZNS1_27merge_sort_block_merge_implIS3_N6thrust23THRUST_200600_302600_NS10device_ptrIiEENS9_IsEEjNS1_19radix_merge_compareILb0ELb0EiNS0_19identity_decomposerEEEEE10hipError_tT0_T1_T2_jT3_P12ihipStream_tbPNSt15iterator_traitsISG_E10value_typeEPNSM_ISH_E10value_typeEPSI_NS1_7vsmem_tEENKUlT_SG_SH_SI_E_clISA_PiSB_PsEESF_SV_SG_SH_SI_EUlSV_E_NS1_11comp_targetILNS1_3genE4ELNS1_11target_archE910ELNS1_3gpuE8ELNS1_3repE0EEENS1_48merge_mergepath_partition_config_static_selectorELNS0_4arch9wavefront6targetE1EEEvSH_,comdat
	.protected	_ZN7rocprim17ROCPRIM_400000_NS6detail17trampoline_kernelINS0_14default_configENS1_38merge_sort_block_merge_config_selectorIisEEZZNS1_27merge_sort_block_merge_implIS3_N6thrust23THRUST_200600_302600_NS10device_ptrIiEENS9_IsEEjNS1_19radix_merge_compareILb0ELb0EiNS0_19identity_decomposerEEEEE10hipError_tT0_T1_T2_jT3_P12ihipStream_tbPNSt15iterator_traitsISG_E10value_typeEPNSM_ISH_E10value_typeEPSI_NS1_7vsmem_tEENKUlT_SG_SH_SI_E_clISA_PiSB_PsEESF_SV_SG_SH_SI_EUlSV_E_NS1_11comp_targetILNS1_3genE4ELNS1_11target_archE910ELNS1_3gpuE8ELNS1_3repE0EEENS1_48merge_mergepath_partition_config_static_selectorELNS0_4arch9wavefront6targetE1EEEvSH_ ; -- Begin function _ZN7rocprim17ROCPRIM_400000_NS6detail17trampoline_kernelINS0_14default_configENS1_38merge_sort_block_merge_config_selectorIisEEZZNS1_27merge_sort_block_merge_implIS3_N6thrust23THRUST_200600_302600_NS10device_ptrIiEENS9_IsEEjNS1_19radix_merge_compareILb0ELb0EiNS0_19identity_decomposerEEEEE10hipError_tT0_T1_T2_jT3_P12ihipStream_tbPNSt15iterator_traitsISG_E10value_typeEPNSM_ISH_E10value_typeEPSI_NS1_7vsmem_tEENKUlT_SG_SH_SI_E_clISA_PiSB_PsEESF_SV_SG_SH_SI_EUlSV_E_NS1_11comp_targetILNS1_3genE4ELNS1_11target_archE910ELNS1_3gpuE8ELNS1_3repE0EEENS1_48merge_mergepath_partition_config_static_selectorELNS0_4arch9wavefront6targetE1EEEvSH_
	.globl	_ZN7rocprim17ROCPRIM_400000_NS6detail17trampoline_kernelINS0_14default_configENS1_38merge_sort_block_merge_config_selectorIisEEZZNS1_27merge_sort_block_merge_implIS3_N6thrust23THRUST_200600_302600_NS10device_ptrIiEENS9_IsEEjNS1_19radix_merge_compareILb0ELb0EiNS0_19identity_decomposerEEEEE10hipError_tT0_T1_T2_jT3_P12ihipStream_tbPNSt15iterator_traitsISG_E10value_typeEPNSM_ISH_E10value_typeEPSI_NS1_7vsmem_tEENKUlT_SG_SH_SI_E_clISA_PiSB_PsEESF_SV_SG_SH_SI_EUlSV_E_NS1_11comp_targetILNS1_3genE4ELNS1_11target_archE910ELNS1_3gpuE8ELNS1_3repE0EEENS1_48merge_mergepath_partition_config_static_selectorELNS0_4arch9wavefront6targetE1EEEvSH_
	.p2align	8
	.type	_ZN7rocprim17ROCPRIM_400000_NS6detail17trampoline_kernelINS0_14default_configENS1_38merge_sort_block_merge_config_selectorIisEEZZNS1_27merge_sort_block_merge_implIS3_N6thrust23THRUST_200600_302600_NS10device_ptrIiEENS9_IsEEjNS1_19radix_merge_compareILb0ELb0EiNS0_19identity_decomposerEEEEE10hipError_tT0_T1_T2_jT3_P12ihipStream_tbPNSt15iterator_traitsISG_E10value_typeEPNSM_ISH_E10value_typeEPSI_NS1_7vsmem_tEENKUlT_SG_SH_SI_E_clISA_PiSB_PsEESF_SV_SG_SH_SI_EUlSV_E_NS1_11comp_targetILNS1_3genE4ELNS1_11target_archE910ELNS1_3gpuE8ELNS1_3repE0EEENS1_48merge_mergepath_partition_config_static_selectorELNS0_4arch9wavefront6targetE1EEEvSH_,@function
_ZN7rocprim17ROCPRIM_400000_NS6detail17trampoline_kernelINS0_14default_configENS1_38merge_sort_block_merge_config_selectorIisEEZZNS1_27merge_sort_block_merge_implIS3_N6thrust23THRUST_200600_302600_NS10device_ptrIiEENS9_IsEEjNS1_19radix_merge_compareILb0ELb0EiNS0_19identity_decomposerEEEEE10hipError_tT0_T1_T2_jT3_P12ihipStream_tbPNSt15iterator_traitsISG_E10value_typeEPNSM_ISH_E10value_typeEPSI_NS1_7vsmem_tEENKUlT_SG_SH_SI_E_clISA_PiSB_PsEESF_SV_SG_SH_SI_EUlSV_E_NS1_11comp_targetILNS1_3genE4ELNS1_11target_archE910ELNS1_3gpuE8ELNS1_3repE0EEENS1_48merge_mergepath_partition_config_static_selectorELNS0_4arch9wavefront6targetE1EEEvSH_: ; @_ZN7rocprim17ROCPRIM_400000_NS6detail17trampoline_kernelINS0_14default_configENS1_38merge_sort_block_merge_config_selectorIisEEZZNS1_27merge_sort_block_merge_implIS3_N6thrust23THRUST_200600_302600_NS10device_ptrIiEENS9_IsEEjNS1_19radix_merge_compareILb0ELb0EiNS0_19identity_decomposerEEEEE10hipError_tT0_T1_T2_jT3_P12ihipStream_tbPNSt15iterator_traitsISG_E10value_typeEPNSM_ISH_E10value_typeEPSI_NS1_7vsmem_tEENKUlT_SG_SH_SI_E_clISA_PiSB_PsEESF_SV_SG_SH_SI_EUlSV_E_NS1_11comp_targetILNS1_3genE4ELNS1_11target_archE910ELNS1_3gpuE8ELNS1_3repE0EEENS1_48merge_mergepath_partition_config_static_selectorELNS0_4arch9wavefront6targetE1EEEvSH_
; %bb.0:
	.section	.rodata,"a",@progbits
	.p2align	6, 0x0
	.amdhsa_kernel _ZN7rocprim17ROCPRIM_400000_NS6detail17trampoline_kernelINS0_14default_configENS1_38merge_sort_block_merge_config_selectorIisEEZZNS1_27merge_sort_block_merge_implIS3_N6thrust23THRUST_200600_302600_NS10device_ptrIiEENS9_IsEEjNS1_19radix_merge_compareILb0ELb0EiNS0_19identity_decomposerEEEEE10hipError_tT0_T1_T2_jT3_P12ihipStream_tbPNSt15iterator_traitsISG_E10value_typeEPNSM_ISH_E10value_typeEPSI_NS1_7vsmem_tEENKUlT_SG_SH_SI_E_clISA_PiSB_PsEESF_SV_SG_SH_SI_EUlSV_E_NS1_11comp_targetILNS1_3genE4ELNS1_11target_archE910ELNS1_3gpuE8ELNS1_3repE0EEENS1_48merge_mergepath_partition_config_static_selectorELNS0_4arch9wavefront6targetE1EEEvSH_
		.amdhsa_group_segment_fixed_size 0
		.amdhsa_private_segment_fixed_size 0
		.amdhsa_kernarg_size 40
		.amdhsa_user_sgpr_count 2
		.amdhsa_user_sgpr_dispatch_ptr 0
		.amdhsa_user_sgpr_queue_ptr 0
		.amdhsa_user_sgpr_kernarg_segment_ptr 1
		.amdhsa_user_sgpr_dispatch_id 0
		.amdhsa_user_sgpr_kernarg_preload_length 0
		.amdhsa_user_sgpr_kernarg_preload_offset 0
		.amdhsa_user_sgpr_private_segment_size 0
		.amdhsa_uses_dynamic_stack 0
		.amdhsa_enable_private_segment 0
		.amdhsa_system_sgpr_workgroup_id_x 1
		.amdhsa_system_sgpr_workgroup_id_y 0
		.amdhsa_system_sgpr_workgroup_id_z 0
		.amdhsa_system_sgpr_workgroup_info 0
		.amdhsa_system_vgpr_workitem_id 0
		.amdhsa_next_free_vgpr 1
		.amdhsa_next_free_sgpr 0
		.amdhsa_accum_offset 4
		.amdhsa_reserve_vcc 0
		.amdhsa_float_round_mode_32 0
		.amdhsa_float_round_mode_16_64 0
		.amdhsa_float_denorm_mode_32 3
		.amdhsa_float_denorm_mode_16_64 3
		.amdhsa_dx10_clamp 1
		.amdhsa_ieee_mode 1
		.amdhsa_fp16_overflow 0
		.amdhsa_tg_split 0
		.amdhsa_exception_fp_ieee_invalid_op 0
		.amdhsa_exception_fp_denorm_src 0
		.amdhsa_exception_fp_ieee_div_zero 0
		.amdhsa_exception_fp_ieee_overflow 0
		.amdhsa_exception_fp_ieee_underflow 0
		.amdhsa_exception_fp_ieee_inexact 0
		.amdhsa_exception_int_div_zero 0
	.end_amdhsa_kernel
	.section	.text._ZN7rocprim17ROCPRIM_400000_NS6detail17trampoline_kernelINS0_14default_configENS1_38merge_sort_block_merge_config_selectorIisEEZZNS1_27merge_sort_block_merge_implIS3_N6thrust23THRUST_200600_302600_NS10device_ptrIiEENS9_IsEEjNS1_19radix_merge_compareILb0ELb0EiNS0_19identity_decomposerEEEEE10hipError_tT0_T1_T2_jT3_P12ihipStream_tbPNSt15iterator_traitsISG_E10value_typeEPNSM_ISH_E10value_typeEPSI_NS1_7vsmem_tEENKUlT_SG_SH_SI_E_clISA_PiSB_PsEESF_SV_SG_SH_SI_EUlSV_E_NS1_11comp_targetILNS1_3genE4ELNS1_11target_archE910ELNS1_3gpuE8ELNS1_3repE0EEENS1_48merge_mergepath_partition_config_static_selectorELNS0_4arch9wavefront6targetE1EEEvSH_,"axG",@progbits,_ZN7rocprim17ROCPRIM_400000_NS6detail17trampoline_kernelINS0_14default_configENS1_38merge_sort_block_merge_config_selectorIisEEZZNS1_27merge_sort_block_merge_implIS3_N6thrust23THRUST_200600_302600_NS10device_ptrIiEENS9_IsEEjNS1_19radix_merge_compareILb0ELb0EiNS0_19identity_decomposerEEEEE10hipError_tT0_T1_T2_jT3_P12ihipStream_tbPNSt15iterator_traitsISG_E10value_typeEPNSM_ISH_E10value_typeEPSI_NS1_7vsmem_tEENKUlT_SG_SH_SI_E_clISA_PiSB_PsEESF_SV_SG_SH_SI_EUlSV_E_NS1_11comp_targetILNS1_3genE4ELNS1_11target_archE910ELNS1_3gpuE8ELNS1_3repE0EEENS1_48merge_mergepath_partition_config_static_selectorELNS0_4arch9wavefront6targetE1EEEvSH_,comdat
.Lfunc_end2317:
	.size	_ZN7rocprim17ROCPRIM_400000_NS6detail17trampoline_kernelINS0_14default_configENS1_38merge_sort_block_merge_config_selectorIisEEZZNS1_27merge_sort_block_merge_implIS3_N6thrust23THRUST_200600_302600_NS10device_ptrIiEENS9_IsEEjNS1_19radix_merge_compareILb0ELb0EiNS0_19identity_decomposerEEEEE10hipError_tT0_T1_T2_jT3_P12ihipStream_tbPNSt15iterator_traitsISG_E10value_typeEPNSM_ISH_E10value_typeEPSI_NS1_7vsmem_tEENKUlT_SG_SH_SI_E_clISA_PiSB_PsEESF_SV_SG_SH_SI_EUlSV_E_NS1_11comp_targetILNS1_3genE4ELNS1_11target_archE910ELNS1_3gpuE8ELNS1_3repE0EEENS1_48merge_mergepath_partition_config_static_selectorELNS0_4arch9wavefront6targetE1EEEvSH_, .Lfunc_end2317-_ZN7rocprim17ROCPRIM_400000_NS6detail17trampoline_kernelINS0_14default_configENS1_38merge_sort_block_merge_config_selectorIisEEZZNS1_27merge_sort_block_merge_implIS3_N6thrust23THRUST_200600_302600_NS10device_ptrIiEENS9_IsEEjNS1_19radix_merge_compareILb0ELb0EiNS0_19identity_decomposerEEEEE10hipError_tT0_T1_T2_jT3_P12ihipStream_tbPNSt15iterator_traitsISG_E10value_typeEPNSM_ISH_E10value_typeEPSI_NS1_7vsmem_tEENKUlT_SG_SH_SI_E_clISA_PiSB_PsEESF_SV_SG_SH_SI_EUlSV_E_NS1_11comp_targetILNS1_3genE4ELNS1_11target_archE910ELNS1_3gpuE8ELNS1_3repE0EEENS1_48merge_mergepath_partition_config_static_selectorELNS0_4arch9wavefront6targetE1EEEvSH_
                                        ; -- End function
	.set _ZN7rocprim17ROCPRIM_400000_NS6detail17trampoline_kernelINS0_14default_configENS1_38merge_sort_block_merge_config_selectorIisEEZZNS1_27merge_sort_block_merge_implIS3_N6thrust23THRUST_200600_302600_NS10device_ptrIiEENS9_IsEEjNS1_19radix_merge_compareILb0ELb0EiNS0_19identity_decomposerEEEEE10hipError_tT0_T1_T2_jT3_P12ihipStream_tbPNSt15iterator_traitsISG_E10value_typeEPNSM_ISH_E10value_typeEPSI_NS1_7vsmem_tEENKUlT_SG_SH_SI_E_clISA_PiSB_PsEESF_SV_SG_SH_SI_EUlSV_E_NS1_11comp_targetILNS1_3genE4ELNS1_11target_archE910ELNS1_3gpuE8ELNS1_3repE0EEENS1_48merge_mergepath_partition_config_static_selectorELNS0_4arch9wavefront6targetE1EEEvSH_.num_vgpr, 0
	.set _ZN7rocprim17ROCPRIM_400000_NS6detail17trampoline_kernelINS0_14default_configENS1_38merge_sort_block_merge_config_selectorIisEEZZNS1_27merge_sort_block_merge_implIS3_N6thrust23THRUST_200600_302600_NS10device_ptrIiEENS9_IsEEjNS1_19radix_merge_compareILb0ELb0EiNS0_19identity_decomposerEEEEE10hipError_tT0_T1_T2_jT3_P12ihipStream_tbPNSt15iterator_traitsISG_E10value_typeEPNSM_ISH_E10value_typeEPSI_NS1_7vsmem_tEENKUlT_SG_SH_SI_E_clISA_PiSB_PsEESF_SV_SG_SH_SI_EUlSV_E_NS1_11comp_targetILNS1_3genE4ELNS1_11target_archE910ELNS1_3gpuE8ELNS1_3repE0EEENS1_48merge_mergepath_partition_config_static_selectorELNS0_4arch9wavefront6targetE1EEEvSH_.num_agpr, 0
	.set _ZN7rocprim17ROCPRIM_400000_NS6detail17trampoline_kernelINS0_14default_configENS1_38merge_sort_block_merge_config_selectorIisEEZZNS1_27merge_sort_block_merge_implIS3_N6thrust23THRUST_200600_302600_NS10device_ptrIiEENS9_IsEEjNS1_19radix_merge_compareILb0ELb0EiNS0_19identity_decomposerEEEEE10hipError_tT0_T1_T2_jT3_P12ihipStream_tbPNSt15iterator_traitsISG_E10value_typeEPNSM_ISH_E10value_typeEPSI_NS1_7vsmem_tEENKUlT_SG_SH_SI_E_clISA_PiSB_PsEESF_SV_SG_SH_SI_EUlSV_E_NS1_11comp_targetILNS1_3genE4ELNS1_11target_archE910ELNS1_3gpuE8ELNS1_3repE0EEENS1_48merge_mergepath_partition_config_static_selectorELNS0_4arch9wavefront6targetE1EEEvSH_.numbered_sgpr, 0
	.set _ZN7rocprim17ROCPRIM_400000_NS6detail17trampoline_kernelINS0_14default_configENS1_38merge_sort_block_merge_config_selectorIisEEZZNS1_27merge_sort_block_merge_implIS3_N6thrust23THRUST_200600_302600_NS10device_ptrIiEENS9_IsEEjNS1_19radix_merge_compareILb0ELb0EiNS0_19identity_decomposerEEEEE10hipError_tT0_T1_T2_jT3_P12ihipStream_tbPNSt15iterator_traitsISG_E10value_typeEPNSM_ISH_E10value_typeEPSI_NS1_7vsmem_tEENKUlT_SG_SH_SI_E_clISA_PiSB_PsEESF_SV_SG_SH_SI_EUlSV_E_NS1_11comp_targetILNS1_3genE4ELNS1_11target_archE910ELNS1_3gpuE8ELNS1_3repE0EEENS1_48merge_mergepath_partition_config_static_selectorELNS0_4arch9wavefront6targetE1EEEvSH_.num_named_barrier, 0
	.set _ZN7rocprim17ROCPRIM_400000_NS6detail17trampoline_kernelINS0_14default_configENS1_38merge_sort_block_merge_config_selectorIisEEZZNS1_27merge_sort_block_merge_implIS3_N6thrust23THRUST_200600_302600_NS10device_ptrIiEENS9_IsEEjNS1_19radix_merge_compareILb0ELb0EiNS0_19identity_decomposerEEEEE10hipError_tT0_T1_T2_jT3_P12ihipStream_tbPNSt15iterator_traitsISG_E10value_typeEPNSM_ISH_E10value_typeEPSI_NS1_7vsmem_tEENKUlT_SG_SH_SI_E_clISA_PiSB_PsEESF_SV_SG_SH_SI_EUlSV_E_NS1_11comp_targetILNS1_3genE4ELNS1_11target_archE910ELNS1_3gpuE8ELNS1_3repE0EEENS1_48merge_mergepath_partition_config_static_selectorELNS0_4arch9wavefront6targetE1EEEvSH_.private_seg_size, 0
	.set _ZN7rocprim17ROCPRIM_400000_NS6detail17trampoline_kernelINS0_14default_configENS1_38merge_sort_block_merge_config_selectorIisEEZZNS1_27merge_sort_block_merge_implIS3_N6thrust23THRUST_200600_302600_NS10device_ptrIiEENS9_IsEEjNS1_19radix_merge_compareILb0ELb0EiNS0_19identity_decomposerEEEEE10hipError_tT0_T1_T2_jT3_P12ihipStream_tbPNSt15iterator_traitsISG_E10value_typeEPNSM_ISH_E10value_typeEPSI_NS1_7vsmem_tEENKUlT_SG_SH_SI_E_clISA_PiSB_PsEESF_SV_SG_SH_SI_EUlSV_E_NS1_11comp_targetILNS1_3genE4ELNS1_11target_archE910ELNS1_3gpuE8ELNS1_3repE0EEENS1_48merge_mergepath_partition_config_static_selectorELNS0_4arch9wavefront6targetE1EEEvSH_.uses_vcc, 0
	.set _ZN7rocprim17ROCPRIM_400000_NS6detail17trampoline_kernelINS0_14default_configENS1_38merge_sort_block_merge_config_selectorIisEEZZNS1_27merge_sort_block_merge_implIS3_N6thrust23THRUST_200600_302600_NS10device_ptrIiEENS9_IsEEjNS1_19radix_merge_compareILb0ELb0EiNS0_19identity_decomposerEEEEE10hipError_tT0_T1_T2_jT3_P12ihipStream_tbPNSt15iterator_traitsISG_E10value_typeEPNSM_ISH_E10value_typeEPSI_NS1_7vsmem_tEENKUlT_SG_SH_SI_E_clISA_PiSB_PsEESF_SV_SG_SH_SI_EUlSV_E_NS1_11comp_targetILNS1_3genE4ELNS1_11target_archE910ELNS1_3gpuE8ELNS1_3repE0EEENS1_48merge_mergepath_partition_config_static_selectorELNS0_4arch9wavefront6targetE1EEEvSH_.uses_flat_scratch, 0
	.set _ZN7rocprim17ROCPRIM_400000_NS6detail17trampoline_kernelINS0_14default_configENS1_38merge_sort_block_merge_config_selectorIisEEZZNS1_27merge_sort_block_merge_implIS3_N6thrust23THRUST_200600_302600_NS10device_ptrIiEENS9_IsEEjNS1_19radix_merge_compareILb0ELb0EiNS0_19identity_decomposerEEEEE10hipError_tT0_T1_T2_jT3_P12ihipStream_tbPNSt15iterator_traitsISG_E10value_typeEPNSM_ISH_E10value_typeEPSI_NS1_7vsmem_tEENKUlT_SG_SH_SI_E_clISA_PiSB_PsEESF_SV_SG_SH_SI_EUlSV_E_NS1_11comp_targetILNS1_3genE4ELNS1_11target_archE910ELNS1_3gpuE8ELNS1_3repE0EEENS1_48merge_mergepath_partition_config_static_selectorELNS0_4arch9wavefront6targetE1EEEvSH_.has_dyn_sized_stack, 0
	.set _ZN7rocprim17ROCPRIM_400000_NS6detail17trampoline_kernelINS0_14default_configENS1_38merge_sort_block_merge_config_selectorIisEEZZNS1_27merge_sort_block_merge_implIS3_N6thrust23THRUST_200600_302600_NS10device_ptrIiEENS9_IsEEjNS1_19radix_merge_compareILb0ELb0EiNS0_19identity_decomposerEEEEE10hipError_tT0_T1_T2_jT3_P12ihipStream_tbPNSt15iterator_traitsISG_E10value_typeEPNSM_ISH_E10value_typeEPSI_NS1_7vsmem_tEENKUlT_SG_SH_SI_E_clISA_PiSB_PsEESF_SV_SG_SH_SI_EUlSV_E_NS1_11comp_targetILNS1_3genE4ELNS1_11target_archE910ELNS1_3gpuE8ELNS1_3repE0EEENS1_48merge_mergepath_partition_config_static_selectorELNS0_4arch9wavefront6targetE1EEEvSH_.has_recursion, 0
	.set _ZN7rocprim17ROCPRIM_400000_NS6detail17trampoline_kernelINS0_14default_configENS1_38merge_sort_block_merge_config_selectorIisEEZZNS1_27merge_sort_block_merge_implIS3_N6thrust23THRUST_200600_302600_NS10device_ptrIiEENS9_IsEEjNS1_19radix_merge_compareILb0ELb0EiNS0_19identity_decomposerEEEEE10hipError_tT0_T1_T2_jT3_P12ihipStream_tbPNSt15iterator_traitsISG_E10value_typeEPNSM_ISH_E10value_typeEPSI_NS1_7vsmem_tEENKUlT_SG_SH_SI_E_clISA_PiSB_PsEESF_SV_SG_SH_SI_EUlSV_E_NS1_11comp_targetILNS1_3genE4ELNS1_11target_archE910ELNS1_3gpuE8ELNS1_3repE0EEENS1_48merge_mergepath_partition_config_static_selectorELNS0_4arch9wavefront6targetE1EEEvSH_.has_indirect_call, 0
	.section	.AMDGPU.csdata,"",@progbits
; Kernel info:
; codeLenInByte = 0
; TotalNumSgprs: 6
; NumVgprs: 0
; NumAgprs: 0
; TotalNumVgprs: 0
; ScratchSize: 0
; MemoryBound: 0
; FloatMode: 240
; IeeeMode: 1
; LDSByteSize: 0 bytes/workgroup (compile time only)
; SGPRBlocks: 0
; VGPRBlocks: 0
; NumSGPRsForWavesPerEU: 6
; NumVGPRsForWavesPerEU: 1
; AccumOffset: 4
; Occupancy: 8
; WaveLimiterHint : 0
; COMPUTE_PGM_RSRC2:SCRATCH_EN: 0
; COMPUTE_PGM_RSRC2:USER_SGPR: 2
; COMPUTE_PGM_RSRC2:TRAP_HANDLER: 0
; COMPUTE_PGM_RSRC2:TGID_X_EN: 1
; COMPUTE_PGM_RSRC2:TGID_Y_EN: 0
; COMPUTE_PGM_RSRC2:TGID_Z_EN: 0
; COMPUTE_PGM_RSRC2:TIDIG_COMP_CNT: 0
; COMPUTE_PGM_RSRC3_GFX90A:ACCUM_OFFSET: 0
; COMPUTE_PGM_RSRC3_GFX90A:TG_SPLIT: 0
	.section	.text._ZN7rocprim17ROCPRIM_400000_NS6detail17trampoline_kernelINS0_14default_configENS1_38merge_sort_block_merge_config_selectorIisEEZZNS1_27merge_sort_block_merge_implIS3_N6thrust23THRUST_200600_302600_NS10device_ptrIiEENS9_IsEEjNS1_19radix_merge_compareILb0ELb0EiNS0_19identity_decomposerEEEEE10hipError_tT0_T1_T2_jT3_P12ihipStream_tbPNSt15iterator_traitsISG_E10value_typeEPNSM_ISH_E10value_typeEPSI_NS1_7vsmem_tEENKUlT_SG_SH_SI_E_clISA_PiSB_PsEESF_SV_SG_SH_SI_EUlSV_E_NS1_11comp_targetILNS1_3genE3ELNS1_11target_archE908ELNS1_3gpuE7ELNS1_3repE0EEENS1_48merge_mergepath_partition_config_static_selectorELNS0_4arch9wavefront6targetE1EEEvSH_,"axG",@progbits,_ZN7rocprim17ROCPRIM_400000_NS6detail17trampoline_kernelINS0_14default_configENS1_38merge_sort_block_merge_config_selectorIisEEZZNS1_27merge_sort_block_merge_implIS3_N6thrust23THRUST_200600_302600_NS10device_ptrIiEENS9_IsEEjNS1_19radix_merge_compareILb0ELb0EiNS0_19identity_decomposerEEEEE10hipError_tT0_T1_T2_jT3_P12ihipStream_tbPNSt15iterator_traitsISG_E10value_typeEPNSM_ISH_E10value_typeEPSI_NS1_7vsmem_tEENKUlT_SG_SH_SI_E_clISA_PiSB_PsEESF_SV_SG_SH_SI_EUlSV_E_NS1_11comp_targetILNS1_3genE3ELNS1_11target_archE908ELNS1_3gpuE7ELNS1_3repE0EEENS1_48merge_mergepath_partition_config_static_selectorELNS0_4arch9wavefront6targetE1EEEvSH_,comdat
	.protected	_ZN7rocprim17ROCPRIM_400000_NS6detail17trampoline_kernelINS0_14default_configENS1_38merge_sort_block_merge_config_selectorIisEEZZNS1_27merge_sort_block_merge_implIS3_N6thrust23THRUST_200600_302600_NS10device_ptrIiEENS9_IsEEjNS1_19radix_merge_compareILb0ELb0EiNS0_19identity_decomposerEEEEE10hipError_tT0_T1_T2_jT3_P12ihipStream_tbPNSt15iterator_traitsISG_E10value_typeEPNSM_ISH_E10value_typeEPSI_NS1_7vsmem_tEENKUlT_SG_SH_SI_E_clISA_PiSB_PsEESF_SV_SG_SH_SI_EUlSV_E_NS1_11comp_targetILNS1_3genE3ELNS1_11target_archE908ELNS1_3gpuE7ELNS1_3repE0EEENS1_48merge_mergepath_partition_config_static_selectorELNS0_4arch9wavefront6targetE1EEEvSH_ ; -- Begin function _ZN7rocprim17ROCPRIM_400000_NS6detail17trampoline_kernelINS0_14default_configENS1_38merge_sort_block_merge_config_selectorIisEEZZNS1_27merge_sort_block_merge_implIS3_N6thrust23THRUST_200600_302600_NS10device_ptrIiEENS9_IsEEjNS1_19radix_merge_compareILb0ELb0EiNS0_19identity_decomposerEEEEE10hipError_tT0_T1_T2_jT3_P12ihipStream_tbPNSt15iterator_traitsISG_E10value_typeEPNSM_ISH_E10value_typeEPSI_NS1_7vsmem_tEENKUlT_SG_SH_SI_E_clISA_PiSB_PsEESF_SV_SG_SH_SI_EUlSV_E_NS1_11comp_targetILNS1_3genE3ELNS1_11target_archE908ELNS1_3gpuE7ELNS1_3repE0EEENS1_48merge_mergepath_partition_config_static_selectorELNS0_4arch9wavefront6targetE1EEEvSH_
	.globl	_ZN7rocprim17ROCPRIM_400000_NS6detail17trampoline_kernelINS0_14default_configENS1_38merge_sort_block_merge_config_selectorIisEEZZNS1_27merge_sort_block_merge_implIS3_N6thrust23THRUST_200600_302600_NS10device_ptrIiEENS9_IsEEjNS1_19radix_merge_compareILb0ELb0EiNS0_19identity_decomposerEEEEE10hipError_tT0_T1_T2_jT3_P12ihipStream_tbPNSt15iterator_traitsISG_E10value_typeEPNSM_ISH_E10value_typeEPSI_NS1_7vsmem_tEENKUlT_SG_SH_SI_E_clISA_PiSB_PsEESF_SV_SG_SH_SI_EUlSV_E_NS1_11comp_targetILNS1_3genE3ELNS1_11target_archE908ELNS1_3gpuE7ELNS1_3repE0EEENS1_48merge_mergepath_partition_config_static_selectorELNS0_4arch9wavefront6targetE1EEEvSH_
	.p2align	8
	.type	_ZN7rocprim17ROCPRIM_400000_NS6detail17trampoline_kernelINS0_14default_configENS1_38merge_sort_block_merge_config_selectorIisEEZZNS1_27merge_sort_block_merge_implIS3_N6thrust23THRUST_200600_302600_NS10device_ptrIiEENS9_IsEEjNS1_19radix_merge_compareILb0ELb0EiNS0_19identity_decomposerEEEEE10hipError_tT0_T1_T2_jT3_P12ihipStream_tbPNSt15iterator_traitsISG_E10value_typeEPNSM_ISH_E10value_typeEPSI_NS1_7vsmem_tEENKUlT_SG_SH_SI_E_clISA_PiSB_PsEESF_SV_SG_SH_SI_EUlSV_E_NS1_11comp_targetILNS1_3genE3ELNS1_11target_archE908ELNS1_3gpuE7ELNS1_3repE0EEENS1_48merge_mergepath_partition_config_static_selectorELNS0_4arch9wavefront6targetE1EEEvSH_,@function
_ZN7rocprim17ROCPRIM_400000_NS6detail17trampoline_kernelINS0_14default_configENS1_38merge_sort_block_merge_config_selectorIisEEZZNS1_27merge_sort_block_merge_implIS3_N6thrust23THRUST_200600_302600_NS10device_ptrIiEENS9_IsEEjNS1_19radix_merge_compareILb0ELb0EiNS0_19identity_decomposerEEEEE10hipError_tT0_T1_T2_jT3_P12ihipStream_tbPNSt15iterator_traitsISG_E10value_typeEPNSM_ISH_E10value_typeEPSI_NS1_7vsmem_tEENKUlT_SG_SH_SI_E_clISA_PiSB_PsEESF_SV_SG_SH_SI_EUlSV_E_NS1_11comp_targetILNS1_3genE3ELNS1_11target_archE908ELNS1_3gpuE7ELNS1_3repE0EEENS1_48merge_mergepath_partition_config_static_selectorELNS0_4arch9wavefront6targetE1EEEvSH_: ; @_ZN7rocprim17ROCPRIM_400000_NS6detail17trampoline_kernelINS0_14default_configENS1_38merge_sort_block_merge_config_selectorIisEEZZNS1_27merge_sort_block_merge_implIS3_N6thrust23THRUST_200600_302600_NS10device_ptrIiEENS9_IsEEjNS1_19radix_merge_compareILb0ELb0EiNS0_19identity_decomposerEEEEE10hipError_tT0_T1_T2_jT3_P12ihipStream_tbPNSt15iterator_traitsISG_E10value_typeEPNSM_ISH_E10value_typeEPSI_NS1_7vsmem_tEENKUlT_SG_SH_SI_E_clISA_PiSB_PsEESF_SV_SG_SH_SI_EUlSV_E_NS1_11comp_targetILNS1_3genE3ELNS1_11target_archE908ELNS1_3gpuE7ELNS1_3repE0EEENS1_48merge_mergepath_partition_config_static_selectorELNS0_4arch9wavefront6targetE1EEEvSH_
; %bb.0:
	.section	.rodata,"a",@progbits
	.p2align	6, 0x0
	.amdhsa_kernel _ZN7rocprim17ROCPRIM_400000_NS6detail17trampoline_kernelINS0_14default_configENS1_38merge_sort_block_merge_config_selectorIisEEZZNS1_27merge_sort_block_merge_implIS3_N6thrust23THRUST_200600_302600_NS10device_ptrIiEENS9_IsEEjNS1_19radix_merge_compareILb0ELb0EiNS0_19identity_decomposerEEEEE10hipError_tT0_T1_T2_jT3_P12ihipStream_tbPNSt15iterator_traitsISG_E10value_typeEPNSM_ISH_E10value_typeEPSI_NS1_7vsmem_tEENKUlT_SG_SH_SI_E_clISA_PiSB_PsEESF_SV_SG_SH_SI_EUlSV_E_NS1_11comp_targetILNS1_3genE3ELNS1_11target_archE908ELNS1_3gpuE7ELNS1_3repE0EEENS1_48merge_mergepath_partition_config_static_selectorELNS0_4arch9wavefront6targetE1EEEvSH_
		.amdhsa_group_segment_fixed_size 0
		.amdhsa_private_segment_fixed_size 0
		.amdhsa_kernarg_size 40
		.amdhsa_user_sgpr_count 2
		.amdhsa_user_sgpr_dispatch_ptr 0
		.amdhsa_user_sgpr_queue_ptr 0
		.amdhsa_user_sgpr_kernarg_segment_ptr 1
		.amdhsa_user_sgpr_dispatch_id 0
		.amdhsa_user_sgpr_kernarg_preload_length 0
		.amdhsa_user_sgpr_kernarg_preload_offset 0
		.amdhsa_user_sgpr_private_segment_size 0
		.amdhsa_uses_dynamic_stack 0
		.amdhsa_enable_private_segment 0
		.amdhsa_system_sgpr_workgroup_id_x 1
		.amdhsa_system_sgpr_workgroup_id_y 0
		.amdhsa_system_sgpr_workgroup_id_z 0
		.amdhsa_system_sgpr_workgroup_info 0
		.amdhsa_system_vgpr_workitem_id 0
		.amdhsa_next_free_vgpr 1
		.amdhsa_next_free_sgpr 0
		.amdhsa_accum_offset 4
		.amdhsa_reserve_vcc 0
		.amdhsa_float_round_mode_32 0
		.amdhsa_float_round_mode_16_64 0
		.amdhsa_float_denorm_mode_32 3
		.amdhsa_float_denorm_mode_16_64 3
		.amdhsa_dx10_clamp 1
		.amdhsa_ieee_mode 1
		.amdhsa_fp16_overflow 0
		.amdhsa_tg_split 0
		.amdhsa_exception_fp_ieee_invalid_op 0
		.amdhsa_exception_fp_denorm_src 0
		.amdhsa_exception_fp_ieee_div_zero 0
		.amdhsa_exception_fp_ieee_overflow 0
		.amdhsa_exception_fp_ieee_underflow 0
		.amdhsa_exception_fp_ieee_inexact 0
		.amdhsa_exception_int_div_zero 0
	.end_amdhsa_kernel
	.section	.text._ZN7rocprim17ROCPRIM_400000_NS6detail17trampoline_kernelINS0_14default_configENS1_38merge_sort_block_merge_config_selectorIisEEZZNS1_27merge_sort_block_merge_implIS3_N6thrust23THRUST_200600_302600_NS10device_ptrIiEENS9_IsEEjNS1_19radix_merge_compareILb0ELb0EiNS0_19identity_decomposerEEEEE10hipError_tT0_T1_T2_jT3_P12ihipStream_tbPNSt15iterator_traitsISG_E10value_typeEPNSM_ISH_E10value_typeEPSI_NS1_7vsmem_tEENKUlT_SG_SH_SI_E_clISA_PiSB_PsEESF_SV_SG_SH_SI_EUlSV_E_NS1_11comp_targetILNS1_3genE3ELNS1_11target_archE908ELNS1_3gpuE7ELNS1_3repE0EEENS1_48merge_mergepath_partition_config_static_selectorELNS0_4arch9wavefront6targetE1EEEvSH_,"axG",@progbits,_ZN7rocprim17ROCPRIM_400000_NS6detail17trampoline_kernelINS0_14default_configENS1_38merge_sort_block_merge_config_selectorIisEEZZNS1_27merge_sort_block_merge_implIS3_N6thrust23THRUST_200600_302600_NS10device_ptrIiEENS9_IsEEjNS1_19radix_merge_compareILb0ELb0EiNS0_19identity_decomposerEEEEE10hipError_tT0_T1_T2_jT3_P12ihipStream_tbPNSt15iterator_traitsISG_E10value_typeEPNSM_ISH_E10value_typeEPSI_NS1_7vsmem_tEENKUlT_SG_SH_SI_E_clISA_PiSB_PsEESF_SV_SG_SH_SI_EUlSV_E_NS1_11comp_targetILNS1_3genE3ELNS1_11target_archE908ELNS1_3gpuE7ELNS1_3repE0EEENS1_48merge_mergepath_partition_config_static_selectorELNS0_4arch9wavefront6targetE1EEEvSH_,comdat
.Lfunc_end2318:
	.size	_ZN7rocprim17ROCPRIM_400000_NS6detail17trampoline_kernelINS0_14default_configENS1_38merge_sort_block_merge_config_selectorIisEEZZNS1_27merge_sort_block_merge_implIS3_N6thrust23THRUST_200600_302600_NS10device_ptrIiEENS9_IsEEjNS1_19radix_merge_compareILb0ELb0EiNS0_19identity_decomposerEEEEE10hipError_tT0_T1_T2_jT3_P12ihipStream_tbPNSt15iterator_traitsISG_E10value_typeEPNSM_ISH_E10value_typeEPSI_NS1_7vsmem_tEENKUlT_SG_SH_SI_E_clISA_PiSB_PsEESF_SV_SG_SH_SI_EUlSV_E_NS1_11comp_targetILNS1_3genE3ELNS1_11target_archE908ELNS1_3gpuE7ELNS1_3repE0EEENS1_48merge_mergepath_partition_config_static_selectorELNS0_4arch9wavefront6targetE1EEEvSH_, .Lfunc_end2318-_ZN7rocprim17ROCPRIM_400000_NS6detail17trampoline_kernelINS0_14default_configENS1_38merge_sort_block_merge_config_selectorIisEEZZNS1_27merge_sort_block_merge_implIS3_N6thrust23THRUST_200600_302600_NS10device_ptrIiEENS9_IsEEjNS1_19radix_merge_compareILb0ELb0EiNS0_19identity_decomposerEEEEE10hipError_tT0_T1_T2_jT3_P12ihipStream_tbPNSt15iterator_traitsISG_E10value_typeEPNSM_ISH_E10value_typeEPSI_NS1_7vsmem_tEENKUlT_SG_SH_SI_E_clISA_PiSB_PsEESF_SV_SG_SH_SI_EUlSV_E_NS1_11comp_targetILNS1_3genE3ELNS1_11target_archE908ELNS1_3gpuE7ELNS1_3repE0EEENS1_48merge_mergepath_partition_config_static_selectorELNS0_4arch9wavefront6targetE1EEEvSH_
                                        ; -- End function
	.set _ZN7rocprim17ROCPRIM_400000_NS6detail17trampoline_kernelINS0_14default_configENS1_38merge_sort_block_merge_config_selectorIisEEZZNS1_27merge_sort_block_merge_implIS3_N6thrust23THRUST_200600_302600_NS10device_ptrIiEENS9_IsEEjNS1_19radix_merge_compareILb0ELb0EiNS0_19identity_decomposerEEEEE10hipError_tT0_T1_T2_jT3_P12ihipStream_tbPNSt15iterator_traitsISG_E10value_typeEPNSM_ISH_E10value_typeEPSI_NS1_7vsmem_tEENKUlT_SG_SH_SI_E_clISA_PiSB_PsEESF_SV_SG_SH_SI_EUlSV_E_NS1_11comp_targetILNS1_3genE3ELNS1_11target_archE908ELNS1_3gpuE7ELNS1_3repE0EEENS1_48merge_mergepath_partition_config_static_selectorELNS0_4arch9wavefront6targetE1EEEvSH_.num_vgpr, 0
	.set _ZN7rocprim17ROCPRIM_400000_NS6detail17trampoline_kernelINS0_14default_configENS1_38merge_sort_block_merge_config_selectorIisEEZZNS1_27merge_sort_block_merge_implIS3_N6thrust23THRUST_200600_302600_NS10device_ptrIiEENS9_IsEEjNS1_19radix_merge_compareILb0ELb0EiNS0_19identity_decomposerEEEEE10hipError_tT0_T1_T2_jT3_P12ihipStream_tbPNSt15iterator_traitsISG_E10value_typeEPNSM_ISH_E10value_typeEPSI_NS1_7vsmem_tEENKUlT_SG_SH_SI_E_clISA_PiSB_PsEESF_SV_SG_SH_SI_EUlSV_E_NS1_11comp_targetILNS1_3genE3ELNS1_11target_archE908ELNS1_3gpuE7ELNS1_3repE0EEENS1_48merge_mergepath_partition_config_static_selectorELNS0_4arch9wavefront6targetE1EEEvSH_.num_agpr, 0
	.set _ZN7rocprim17ROCPRIM_400000_NS6detail17trampoline_kernelINS0_14default_configENS1_38merge_sort_block_merge_config_selectorIisEEZZNS1_27merge_sort_block_merge_implIS3_N6thrust23THRUST_200600_302600_NS10device_ptrIiEENS9_IsEEjNS1_19radix_merge_compareILb0ELb0EiNS0_19identity_decomposerEEEEE10hipError_tT0_T1_T2_jT3_P12ihipStream_tbPNSt15iterator_traitsISG_E10value_typeEPNSM_ISH_E10value_typeEPSI_NS1_7vsmem_tEENKUlT_SG_SH_SI_E_clISA_PiSB_PsEESF_SV_SG_SH_SI_EUlSV_E_NS1_11comp_targetILNS1_3genE3ELNS1_11target_archE908ELNS1_3gpuE7ELNS1_3repE0EEENS1_48merge_mergepath_partition_config_static_selectorELNS0_4arch9wavefront6targetE1EEEvSH_.numbered_sgpr, 0
	.set _ZN7rocprim17ROCPRIM_400000_NS6detail17trampoline_kernelINS0_14default_configENS1_38merge_sort_block_merge_config_selectorIisEEZZNS1_27merge_sort_block_merge_implIS3_N6thrust23THRUST_200600_302600_NS10device_ptrIiEENS9_IsEEjNS1_19radix_merge_compareILb0ELb0EiNS0_19identity_decomposerEEEEE10hipError_tT0_T1_T2_jT3_P12ihipStream_tbPNSt15iterator_traitsISG_E10value_typeEPNSM_ISH_E10value_typeEPSI_NS1_7vsmem_tEENKUlT_SG_SH_SI_E_clISA_PiSB_PsEESF_SV_SG_SH_SI_EUlSV_E_NS1_11comp_targetILNS1_3genE3ELNS1_11target_archE908ELNS1_3gpuE7ELNS1_3repE0EEENS1_48merge_mergepath_partition_config_static_selectorELNS0_4arch9wavefront6targetE1EEEvSH_.num_named_barrier, 0
	.set _ZN7rocprim17ROCPRIM_400000_NS6detail17trampoline_kernelINS0_14default_configENS1_38merge_sort_block_merge_config_selectorIisEEZZNS1_27merge_sort_block_merge_implIS3_N6thrust23THRUST_200600_302600_NS10device_ptrIiEENS9_IsEEjNS1_19radix_merge_compareILb0ELb0EiNS0_19identity_decomposerEEEEE10hipError_tT0_T1_T2_jT3_P12ihipStream_tbPNSt15iterator_traitsISG_E10value_typeEPNSM_ISH_E10value_typeEPSI_NS1_7vsmem_tEENKUlT_SG_SH_SI_E_clISA_PiSB_PsEESF_SV_SG_SH_SI_EUlSV_E_NS1_11comp_targetILNS1_3genE3ELNS1_11target_archE908ELNS1_3gpuE7ELNS1_3repE0EEENS1_48merge_mergepath_partition_config_static_selectorELNS0_4arch9wavefront6targetE1EEEvSH_.private_seg_size, 0
	.set _ZN7rocprim17ROCPRIM_400000_NS6detail17trampoline_kernelINS0_14default_configENS1_38merge_sort_block_merge_config_selectorIisEEZZNS1_27merge_sort_block_merge_implIS3_N6thrust23THRUST_200600_302600_NS10device_ptrIiEENS9_IsEEjNS1_19radix_merge_compareILb0ELb0EiNS0_19identity_decomposerEEEEE10hipError_tT0_T1_T2_jT3_P12ihipStream_tbPNSt15iterator_traitsISG_E10value_typeEPNSM_ISH_E10value_typeEPSI_NS1_7vsmem_tEENKUlT_SG_SH_SI_E_clISA_PiSB_PsEESF_SV_SG_SH_SI_EUlSV_E_NS1_11comp_targetILNS1_3genE3ELNS1_11target_archE908ELNS1_3gpuE7ELNS1_3repE0EEENS1_48merge_mergepath_partition_config_static_selectorELNS0_4arch9wavefront6targetE1EEEvSH_.uses_vcc, 0
	.set _ZN7rocprim17ROCPRIM_400000_NS6detail17trampoline_kernelINS0_14default_configENS1_38merge_sort_block_merge_config_selectorIisEEZZNS1_27merge_sort_block_merge_implIS3_N6thrust23THRUST_200600_302600_NS10device_ptrIiEENS9_IsEEjNS1_19radix_merge_compareILb0ELb0EiNS0_19identity_decomposerEEEEE10hipError_tT0_T1_T2_jT3_P12ihipStream_tbPNSt15iterator_traitsISG_E10value_typeEPNSM_ISH_E10value_typeEPSI_NS1_7vsmem_tEENKUlT_SG_SH_SI_E_clISA_PiSB_PsEESF_SV_SG_SH_SI_EUlSV_E_NS1_11comp_targetILNS1_3genE3ELNS1_11target_archE908ELNS1_3gpuE7ELNS1_3repE0EEENS1_48merge_mergepath_partition_config_static_selectorELNS0_4arch9wavefront6targetE1EEEvSH_.uses_flat_scratch, 0
	.set _ZN7rocprim17ROCPRIM_400000_NS6detail17trampoline_kernelINS0_14default_configENS1_38merge_sort_block_merge_config_selectorIisEEZZNS1_27merge_sort_block_merge_implIS3_N6thrust23THRUST_200600_302600_NS10device_ptrIiEENS9_IsEEjNS1_19radix_merge_compareILb0ELb0EiNS0_19identity_decomposerEEEEE10hipError_tT0_T1_T2_jT3_P12ihipStream_tbPNSt15iterator_traitsISG_E10value_typeEPNSM_ISH_E10value_typeEPSI_NS1_7vsmem_tEENKUlT_SG_SH_SI_E_clISA_PiSB_PsEESF_SV_SG_SH_SI_EUlSV_E_NS1_11comp_targetILNS1_3genE3ELNS1_11target_archE908ELNS1_3gpuE7ELNS1_3repE0EEENS1_48merge_mergepath_partition_config_static_selectorELNS0_4arch9wavefront6targetE1EEEvSH_.has_dyn_sized_stack, 0
	.set _ZN7rocprim17ROCPRIM_400000_NS6detail17trampoline_kernelINS0_14default_configENS1_38merge_sort_block_merge_config_selectorIisEEZZNS1_27merge_sort_block_merge_implIS3_N6thrust23THRUST_200600_302600_NS10device_ptrIiEENS9_IsEEjNS1_19radix_merge_compareILb0ELb0EiNS0_19identity_decomposerEEEEE10hipError_tT0_T1_T2_jT3_P12ihipStream_tbPNSt15iterator_traitsISG_E10value_typeEPNSM_ISH_E10value_typeEPSI_NS1_7vsmem_tEENKUlT_SG_SH_SI_E_clISA_PiSB_PsEESF_SV_SG_SH_SI_EUlSV_E_NS1_11comp_targetILNS1_3genE3ELNS1_11target_archE908ELNS1_3gpuE7ELNS1_3repE0EEENS1_48merge_mergepath_partition_config_static_selectorELNS0_4arch9wavefront6targetE1EEEvSH_.has_recursion, 0
	.set _ZN7rocprim17ROCPRIM_400000_NS6detail17trampoline_kernelINS0_14default_configENS1_38merge_sort_block_merge_config_selectorIisEEZZNS1_27merge_sort_block_merge_implIS3_N6thrust23THRUST_200600_302600_NS10device_ptrIiEENS9_IsEEjNS1_19radix_merge_compareILb0ELb0EiNS0_19identity_decomposerEEEEE10hipError_tT0_T1_T2_jT3_P12ihipStream_tbPNSt15iterator_traitsISG_E10value_typeEPNSM_ISH_E10value_typeEPSI_NS1_7vsmem_tEENKUlT_SG_SH_SI_E_clISA_PiSB_PsEESF_SV_SG_SH_SI_EUlSV_E_NS1_11comp_targetILNS1_3genE3ELNS1_11target_archE908ELNS1_3gpuE7ELNS1_3repE0EEENS1_48merge_mergepath_partition_config_static_selectorELNS0_4arch9wavefront6targetE1EEEvSH_.has_indirect_call, 0
	.section	.AMDGPU.csdata,"",@progbits
; Kernel info:
; codeLenInByte = 0
; TotalNumSgprs: 6
; NumVgprs: 0
; NumAgprs: 0
; TotalNumVgprs: 0
; ScratchSize: 0
; MemoryBound: 0
; FloatMode: 240
; IeeeMode: 1
; LDSByteSize: 0 bytes/workgroup (compile time only)
; SGPRBlocks: 0
; VGPRBlocks: 0
; NumSGPRsForWavesPerEU: 6
; NumVGPRsForWavesPerEU: 1
; AccumOffset: 4
; Occupancy: 8
; WaveLimiterHint : 0
; COMPUTE_PGM_RSRC2:SCRATCH_EN: 0
; COMPUTE_PGM_RSRC2:USER_SGPR: 2
; COMPUTE_PGM_RSRC2:TRAP_HANDLER: 0
; COMPUTE_PGM_RSRC2:TGID_X_EN: 1
; COMPUTE_PGM_RSRC2:TGID_Y_EN: 0
; COMPUTE_PGM_RSRC2:TGID_Z_EN: 0
; COMPUTE_PGM_RSRC2:TIDIG_COMP_CNT: 0
; COMPUTE_PGM_RSRC3_GFX90A:ACCUM_OFFSET: 0
; COMPUTE_PGM_RSRC3_GFX90A:TG_SPLIT: 0
	.section	.text._ZN7rocprim17ROCPRIM_400000_NS6detail17trampoline_kernelINS0_14default_configENS1_38merge_sort_block_merge_config_selectorIisEEZZNS1_27merge_sort_block_merge_implIS3_N6thrust23THRUST_200600_302600_NS10device_ptrIiEENS9_IsEEjNS1_19radix_merge_compareILb0ELb0EiNS0_19identity_decomposerEEEEE10hipError_tT0_T1_T2_jT3_P12ihipStream_tbPNSt15iterator_traitsISG_E10value_typeEPNSM_ISH_E10value_typeEPSI_NS1_7vsmem_tEENKUlT_SG_SH_SI_E_clISA_PiSB_PsEESF_SV_SG_SH_SI_EUlSV_E_NS1_11comp_targetILNS1_3genE2ELNS1_11target_archE906ELNS1_3gpuE6ELNS1_3repE0EEENS1_48merge_mergepath_partition_config_static_selectorELNS0_4arch9wavefront6targetE1EEEvSH_,"axG",@progbits,_ZN7rocprim17ROCPRIM_400000_NS6detail17trampoline_kernelINS0_14default_configENS1_38merge_sort_block_merge_config_selectorIisEEZZNS1_27merge_sort_block_merge_implIS3_N6thrust23THRUST_200600_302600_NS10device_ptrIiEENS9_IsEEjNS1_19radix_merge_compareILb0ELb0EiNS0_19identity_decomposerEEEEE10hipError_tT0_T1_T2_jT3_P12ihipStream_tbPNSt15iterator_traitsISG_E10value_typeEPNSM_ISH_E10value_typeEPSI_NS1_7vsmem_tEENKUlT_SG_SH_SI_E_clISA_PiSB_PsEESF_SV_SG_SH_SI_EUlSV_E_NS1_11comp_targetILNS1_3genE2ELNS1_11target_archE906ELNS1_3gpuE6ELNS1_3repE0EEENS1_48merge_mergepath_partition_config_static_selectorELNS0_4arch9wavefront6targetE1EEEvSH_,comdat
	.protected	_ZN7rocprim17ROCPRIM_400000_NS6detail17trampoline_kernelINS0_14default_configENS1_38merge_sort_block_merge_config_selectorIisEEZZNS1_27merge_sort_block_merge_implIS3_N6thrust23THRUST_200600_302600_NS10device_ptrIiEENS9_IsEEjNS1_19radix_merge_compareILb0ELb0EiNS0_19identity_decomposerEEEEE10hipError_tT0_T1_T2_jT3_P12ihipStream_tbPNSt15iterator_traitsISG_E10value_typeEPNSM_ISH_E10value_typeEPSI_NS1_7vsmem_tEENKUlT_SG_SH_SI_E_clISA_PiSB_PsEESF_SV_SG_SH_SI_EUlSV_E_NS1_11comp_targetILNS1_3genE2ELNS1_11target_archE906ELNS1_3gpuE6ELNS1_3repE0EEENS1_48merge_mergepath_partition_config_static_selectorELNS0_4arch9wavefront6targetE1EEEvSH_ ; -- Begin function _ZN7rocprim17ROCPRIM_400000_NS6detail17trampoline_kernelINS0_14default_configENS1_38merge_sort_block_merge_config_selectorIisEEZZNS1_27merge_sort_block_merge_implIS3_N6thrust23THRUST_200600_302600_NS10device_ptrIiEENS9_IsEEjNS1_19radix_merge_compareILb0ELb0EiNS0_19identity_decomposerEEEEE10hipError_tT0_T1_T2_jT3_P12ihipStream_tbPNSt15iterator_traitsISG_E10value_typeEPNSM_ISH_E10value_typeEPSI_NS1_7vsmem_tEENKUlT_SG_SH_SI_E_clISA_PiSB_PsEESF_SV_SG_SH_SI_EUlSV_E_NS1_11comp_targetILNS1_3genE2ELNS1_11target_archE906ELNS1_3gpuE6ELNS1_3repE0EEENS1_48merge_mergepath_partition_config_static_selectorELNS0_4arch9wavefront6targetE1EEEvSH_
	.globl	_ZN7rocprim17ROCPRIM_400000_NS6detail17trampoline_kernelINS0_14default_configENS1_38merge_sort_block_merge_config_selectorIisEEZZNS1_27merge_sort_block_merge_implIS3_N6thrust23THRUST_200600_302600_NS10device_ptrIiEENS9_IsEEjNS1_19radix_merge_compareILb0ELb0EiNS0_19identity_decomposerEEEEE10hipError_tT0_T1_T2_jT3_P12ihipStream_tbPNSt15iterator_traitsISG_E10value_typeEPNSM_ISH_E10value_typeEPSI_NS1_7vsmem_tEENKUlT_SG_SH_SI_E_clISA_PiSB_PsEESF_SV_SG_SH_SI_EUlSV_E_NS1_11comp_targetILNS1_3genE2ELNS1_11target_archE906ELNS1_3gpuE6ELNS1_3repE0EEENS1_48merge_mergepath_partition_config_static_selectorELNS0_4arch9wavefront6targetE1EEEvSH_
	.p2align	8
	.type	_ZN7rocprim17ROCPRIM_400000_NS6detail17trampoline_kernelINS0_14default_configENS1_38merge_sort_block_merge_config_selectorIisEEZZNS1_27merge_sort_block_merge_implIS3_N6thrust23THRUST_200600_302600_NS10device_ptrIiEENS9_IsEEjNS1_19radix_merge_compareILb0ELb0EiNS0_19identity_decomposerEEEEE10hipError_tT0_T1_T2_jT3_P12ihipStream_tbPNSt15iterator_traitsISG_E10value_typeEPNSM_ISH_E10value_typeEPSI_NS1_7vsmem_tEENKUlT_SG_SH_SI_E_clISA_PiSB_PsEESF_SV_SG_SH_SI_EUlSV_E_NS1_11comp_targetILNS1_3genE2ELNS1_11target_archE906ELNS1_3gpuE6ELNS1_3repE0EEENS1_48merge_mergepath_partition_config_static_selectorELNS0_4arch9wavefront6targetE1EEEvSH_,@function
_ZN7rocprim17ROCPRIM_400000_NS6detail17trampoline_kernelINS0_14default_configENS1_38merge_sort_block_merge_config_selectorIisEEZZNS1_27merge_sort_block_merge_implIS3_N6thrust23THRUST_200600_302600_NS10device_ptrIiEENS9_IsEEjNS1_19radix_merge_compareILb0ELb0EiNS0_19identity_decomposerEEEEE10hipError_tT0_T1_T2_jT3_P12ihipStream_tbPNSt15iterator_traitsISG_E10value_typeEPNSM_ISH_E10value_typeEPSI_NS1_7vsmem_tEENKUlT_SG_SH_SI_E_clISA_PiSB_PsEESF_SV_SG_SH_SI_EUlSV_E_NS1_11comp_targetILNS1_3genE2ELNS1_11target_archE906ELNS1_3gpuE6ELNS1_3repE0EEENS1_48merge_mergepath_partition_config_static_selectorELNS0_4arch9wavefront6targetE1EEEvSH_: ; @_ZN7rocprim17ROCPRIM_400000_NS6detail17trampoline_kernelINS0_14default_configENS1_38merge_sort_block_merge_config_selectorIisEEZZNS1_27merge_sort_block_merge_implIS3_N6thrust23THRUST_200600_302600_NS10device_ptrIiEENS9_IsEEjNS1_19radix_merge_compareILb0ELb0EiNS0_19identity_decomposerEEEEE10hipError_tT0_T1_T2_jT3_P12ihipStream_tbPNSt15iterator_traitsISG_E10value_typeEPNSM_ISH_E10value_typeEPSI_NS1_7vsmem_tEENKUlT_SG_SH_SI_E_clISA_PiSB_PsEESF_SV_SG_SH_SI_EUlSV_E_NS1_11comp_targetILNS1_3genE2ELNS1_11target_archE906ELNS1_3gpuE6ELNS1_3repE0EEENS1_48merge_mergepath_partition_config_static_selectorELNS0_4arch9wavefront6targetE1EEEvSH_
; %bb.0:
	.section	.rodata,"a",@progbits
	.p2align	6, 0x0
	.amdhsa_kernel _ZN7rocprim17ROCPRIM_400000_NS6detail17trampoline_kernelINS0_14default_configENS1_38merge_sort_block_merge_config_selectorIisEEZZNS1_27merge_sort_block_merge_implIS3_N6thrust23THRUST_200600_302600_NS10device_ptrIiEENS9_IsEEjNS1_19radix_merge_compareILb0ELb0EiNS0_19identity_decomposerEEEEE10hipError_tT0_T1_T2_jT3_P12ihipStream_tbPNSt15iterator_traitsISG_E10value_typeEPNSM_ISH_E10value_typeEPSI_NS1_7vsmem_tEENKUlT_SG_SH_SI_E_clISA_PiSB_PsEESF_SV_SG_SH_SI_EUlSV_E_NS1_11comp_targetILNS1_3genE2ELNS1_11target_archE906ELNS1_3gpuE6ELNS1_3repE0EEENS1_48merge_mergepath_partition_config_static_selectorELNS0_4arch9wavefront6targetE1EEEvSH_
		.amdhsa_group_segment_fixed_size 0
		.amdhsa_private_segment_fixed_size 0
		.amdhsa_kernarg_size 40
		.amdhsa_user_sgpr_count 2
		.amdhsa_user_sgpr_dispatch_ptr 0
		.amdhsa_user_sgpr_queue_ptr 0
		.amdhsa_user_sgpr_kernarg_segment_ptr 1
		.amdhsa_user_sgpr_dispatch_id 0
		.amdhsa_user_sgpr_kernarg_preload_length 0
		.amdhsa_user_sgpr_kernarg_preload_offset 0
		.amdhsa_user_sgpr_private_segment_size 0
		.amdhsa_uses_dynamic_stack 0
		.amdhsa_enable_private_segment 0
		.amdhsa_system_sgpr_workgroup_id_x 1
		.amdhsa_system_sgpr_workgroup_id_y 0
		.amdhsa_system_sgpr_workgroup_id_z 0
		.amdhsa_system_sgpr_workgroup_info 0
		.amdhsa_system_vgpr_workitem_id 0
		.amdhsa_next_free_vgpr 1
		.amdhsa_next_free_sgpr 0
		.amdhsa_accum_offset 4
		.amdhsa_reserve_vcc 0
		.amdhsa_float_round_mode_32 0
		.amdhsa_float_round_mode_16_64 0
		.amdhsa_float_denorm_mode_32 3
		.amdhsa_float_denorm_mode_16_64 3
		.amdhsa_dx10_clamp 1
		.amdhsa_ieee_mode 1
		.amdhsa_fp16_overflow 0
		.amdhsa_tg_split 0
		.amdhsa_exception_fp_ieee_invalid_op 0
		.amdhsa_exception_fp_denorm_src 0
		.amdhsa_exception_fp_ieee_div_zero 0
		.amdhsa_exception_fp_ieee_overflow 0
		.amdhsa_exception_fp_ieee_underflow 0
		.amdhsa_exception_fp_ieee_inexact 0
		.amdhsa_exception_int_div_zero 0
	.end_amdhsa_kernel
	.section	.text._ZN7rocprim17ROCPRIM_400000_NS6detail17trampoline_kernelINS0_14default_configENS1_38merge_sort_block_merge_config_selectorIisEEZZNS1_27merge_sort_block_merge_implIS3_N6thrust23THRUST_200600_302600_NS10device_ptrIiEENS9_IsEEjNS1_19radix_merge_compareILb0ELb0EiNS0_19identity_decomposerEEEEE10hipError_tT0_T1_T2_jT3_P12ihipStream_tbPNSt15iterator_traitsISG_E10value_typeEPNSM_ISH_E10value_typeEPSI_NS1_7vsmem_tEENKUlT_SG_SH_SI_E_clISA_PiSB_PsEESF_SV_SG_SH_SI_EUlSV_E_NS1_11comp_targetILNS1_3genE2ELNS1_11target_archE906ELNS1_3gpuE6ELNS1_3repE0EEENS1_48merge_mergepath_partition_config_static_selectorELNS0_4arch9wavefront6targetE1EEEvSH_,"axG",@progbits,_ZN7rocprim17ROCPRIM_400000_NS6detail17trampoline_kernelINS0_14default_configENS1_38merge_sort_block_merge_config_selectorIisEEZZNS1_27merge_sort_block_merge_implIS3_N6thrust23THRUST_200600_302600_NS10device_ptrIiEENS9_IsEEjNS1_19radix_merge_compareILb0ELb0EiNS0_19identity_decomposerEEEEE10hipError_tT0_T1_T2_jT3_P12ihipStream_tbPNSt15iterator_traitsISG_E10value_typeEPNSM_ISH_E10value_typeEPSI_NS1_7vsmem_tEENKUlT_SG_SH_SI_E_clISA_PiSB_PsEESF_SV_SG_SH_SI_EUlSV_E_NS1_11comp_targetILNS1_3genE2ELNS1_11target_archE906ELNS1_3gpuE6ELNS1_3repE0EEENS1_48merge_mergepath_partition_config_static_selectorELNS0_4arch9wavefront6targetE1EEEvSH_,comdat
.Lfunc_end2319:
	.size	_ZN7rocprim17ROCPRIM_400000_NS6detail17trampoline_kernelINS0_14default_configENS1_38merge_sort_block_merge_config_selectorIisEEZZNS1_27merge_sort_block_merge_implIS3_N6thrust23THRUST_200600_302600_NS10device_ptrIiEENS9_IsEEjNS1_19radix_merge_compareILb0ELb0EiNS0_19identity_decomposerEEEEE10hipError_tT0_T1_T2_jT3_P12ihipStream_tbPNSt15iterator_traitsISG_E10value_typeEPNSM_ISH_E10value_typeEPSI_NS1_7vsmem_tEENKUlT_SG_SH_SI_E_clISA_PiSB_PsEESF_SV_SG_SH_SI_EUlSV_E_NS1_11comp_targetILNS1_3genE2ELNS1_11target_archE906ELNS1_3gpuE6ELNS1_3repE0EEENS1_48merge_mergepath_partition_config_static_selectorELNS0_4arch9wavefront6targetE1EEEvSH_, .Lfunc_end2319-_ZN7rocprim17ROCPRIM_400000_NS6detail17trampoline_kernelINS0_14default_configENS1_38merge_sort_block_merge_config_selectorIisEEZZNS1_27merge_sort_block_merge_implIS3_N6thrust23THRUST_200600_302600_NS10device_ptrIiEENS9_IsEEjNS1_19radix_merge_compareILb0ELb0EiNS0_19identity_decomposerEEEEE10hipError_tT0_T1_T2_jT3_P12ihipStream_tbPNSt15iterator_traitsISG_E10value_typeEPNSM_ISH_E10value_typeEPSI_NS1_7vsmem_tEENKUlT_SG_SH_SI_E_clISA_PiSB_PsEESF_SV_SG_SH_SI_EUlSV_E_NS1_11comp_targetILNS1_3genE2ELNS1_11target_archE906ELNS1_3gpuE6ELNS1_3repE0EEENS1_48merge_mergepath_partition_config_static_selectorELNS0_4arch9wavefront6targetE1EEEvSH_
                                        ; -- End function
	.set _ZN7rocprim17ROCPRIM_400000_NS6detail17trampoline_kernelINS0_14default_configENS1_38merge_sort_block_merge_config_selectorIisEEZZNS1_27merge_sort_block_merge_implIS3_N6thrust23THRUST_200600_302600_NS10device_ptrIiEENS9_IsEEjNS1_19radix_merge_compareILb0ELb0EiNS0_19identity_decomposerEEEEE10hipError_tT0_T1_T2_jT3_P12ihipStream_tbPNSt15iterator_traitsISG_E10value_typeEPNSM_ISH_E10value_typeEPSI_NS1_7vsmem_tEENKUlT_SG_SH_SI_E_clISA_PiSB_PsEESF_SV_SG_SH_SI_EUlSV_E_NS1_11comp_targetILNS1_3genE2ELNS1_11target_archE906ELNS1_3gpuE6ELNS1_3repE0EEENS1_48merge_mergepath_partition_config_static_selectorELNS0_4arch9wavefront6targetE1EEEvSH_.num_vgpr, 0
	.set _ZN7rocprim17ROCPRIM_400000_NS6detail17trampoline_kernelINS0_14default_configENS1_38merge_sort_block_merge_config_selectorIisEEZZNS1_27merge_sort_block_merge_implIS3_N6thrust23THRUST_200600_302600_NS10device_ptrIiEENS9_IsEEjNS1_19radix_merge_compareILb0ELb0EiNS0_19identity_decomposerEEEEE10hipError_tT0_T1_T2_jT3_P12ihipStream_tbPNSt15iterator_traitsISG_E10value_typeEPNSM_ISH_E10value_typeEPSI_NS1_7vsmem_tEENKUlT_SG_SH_SI_E_clISA_PiSB_PsEESF_SV_SG_SH_SI_EUlSV_E_NS1_11comp_targetILNS1_3genE2ELNS1_11target_archE906ELNS1_3gpuE6ELNS1_3repE0EEENS1_48merge_mergepath_partition_config_static_selectorELNS0_4arch9wavefront6targetE1EEEvSH_.num_agpr, 0
	.set _ZN7rocprim17ROCPRIM_400000_NS6detail17trampoline_kernelINS0_14default_configENS1_38merge_sort_block_merge_config_selectorIisEEZZNS1_27merge_sort_block_merge_implIS3_N6thrust23THRUST_200600_302600_NS10device_ptrIiEENS9_IsEEjNS1_19radix_merge_compareILb0ELb0EiNS0_19identity_decomposerEEEEE10hipError_tT0_T1_T2_jT3_P12ihipStream_tbPNSt15iterator_traitsISG_E10value_typeEPNSM_ISH_E10value_typeEPSI_NS1_7vsmem_tEENKUlT_SG_SH_SI_E_clISA_PiSB_PsEESF_SV_SG_SH_SI_EUlSV_E_NS1_11comp_targetILNS1_3genE2ELNS1_11target_archE906ELNS1_3gpuE6ELNS1_3repE0EEENS1_48merge_mergepath_partition_config_static_selectorELNS0_4arch9wavefront6targetE1EEEvSH_.numbered_sgpr, 0
	.set _ZN7rocprim17ROCPRIM_400000_NS6detail17trampoline_kernelINS0_14default_configENS1_38merge_sort_block_merge_config_selectorIisEEZZNS1_27merge_sort_block_merge_implIS3_N6thrust23THRUST_200600_302600_NS10device_ptrIiEENS9_IsEEjNS1_19radix_merge_compareILb0ELb0EiNS0_19identity_decomposerEEEEE10hipError_tT0_T1_T2_jT3_P12ihipStream_tbPNSt15iterator_traitsISG_E10value_typeEPNSM_ISH_E10value_typeEPSI_NS1_7vsmem_tEENKUlT_SG_SH_SI_E_clISA_PiSB_PsEESF_SV_SG_SH_SI_EUlSV_E_NS1_11comp_targetILNS1_3genE2ELNS1_11target_archE906ELNS1_3gpuE6ELNS1_3repE0EEENS1_48merge_mergepath_partition_config_static_selectorELNS0_4arch9wavefront6targetE1EEEvSH_.num_named_barrier, 0
	.set _ZN7rocprim17ROCPRIM_400000_NS6detail17trampoline_kernelINS0_14default_configENS1_38merge_sort_block_merge_config_selectorIisEEZZNS1_27merge_sort_block_merge_implIS3_N6thrust23THRUST_200600_302600_NS10device_ptrIiEENS9_IsEEjNS1_19radix_merge_compareILb0ELb0EiNS0_19identity_decomposerEEEEE10hipError_tT0_T1_T2_jT3_P12ihipStream_tbPNSt15iterator_traitsISG_E10value_typeEPNSM_ISH_E10value_typeEPSI_NS1_7vsmem_tEENKUlT_SG_SH_SI_E_clISA_PiSB_PsEESF_SV_SG_SH_SI_EUlSV_E_NS1_11comp_targetILNS1_3genE2ELNS1_11target_archE906ELNS1_3gpuE6ELNS1_3repE0EEENS1_48merge_mergepath_partition_config_static_selectorELNS0_4arch9wavefront6targetE1EEEvSH_.private_seg_size, 0
	.set _ZN7rocprim17ROCPRIM_400000_NS6detail17trampoline_kernelINS0_14default_configENS1_38merge_sort_block_merge_config_selectorIisEEZZNS1_27merge_sort_block_merge_implIS3_N6thrust23THRUST_200600_302600_NS10device_ptrIiEENS9_IsEEjNS1_19radix_merge_compareILb0ELb0EiNS0_19identity_decomposerEEEEE10hipError_tT0_T1_T2_jT3_P12ihipStream_tbPNSt15iterator_traitsISG_E10value_typeEPNSM_ISH_E10value_typeEPSI_NS1_7vsmem_tEENKUlT_SG_SH_SI_E_clISA_PiSB_PsEESF_SV_SG_SH_SI_EUlSV_E_NS1_11comp_targetILNS1_3genE2ELNS1_11target_archE906ELNS1_3gpuE6ELNS1_3repE0EEENS1_48merge_mergepath_partition_config_static_selectorELNS0_4arch9wavefront6targetE1EEEvSH_.uses_vcc, 0
	.set _ZN7rocprim17ROCPRIM_400000_NS6detail17trampoline_kernelINS0_14default_configENS1_38merge_sort_block_merge_config_selectorIisEEZZNS1_27merge_sort_block_merge_implIS3_N6thrust23THRUST_200600_302600_NS10device_ptrIiEENS9_IsEEjNS1_19radix_merge_compareILb0ELb0EiNS0_19identity_decomposerEEEEE10hipError_tT0_T1_T2_jT3_P12ihipStream_tbPNSt15iterator_traitsISG_E10value_typeEPNSM_ISH_E10value_typeEPSI_NS1_7vsmem_tEENKUlT_SG_SH_SI_E_clISA_PiSB_PsEESF_SV_SG_SH_SI_EUlSV_E_NS1_11comp_targetILNS1_3genE2ELNS1_11target_archE906ELNS1_3gpuE6ELNS1_3repE0EEENS1_48merge_mergepath_partition_config_static_selectorELNS0_4arch9wavefront6targetE1EEEvSH_.uses_flat_scratch, 0
	.set _ZN7rocprim17ROCPRIM_400000_NS6detail17trampoline_kernelINS0_14default_configENS1_38merge_sort_block_merge_config_selectorIisEEZZNS1_27merge_sort_block_merge_implIS3_N6thrust23THRUST_200600_302600_NS10device_ptrIiEENS9_IsEEjNS1_19radix_merge_compareILb0ELb0EiNS0_19identity_decomposerEEEEE10hipError_tT0_T1_T2_jT3_P12ihipStream_tbPNSt15iterator_traitsISG_E10value_typeEPNSM_ISH_E10value_typeEPSI_NS1_7vsmem_tEENKUlT_SG_SH_SI_E_clISA_PiSB_PsEESF_SV_SG_SH_SI_EUlSV_E_NS1_11comp_targetILNS1_3genE2ELNS1_11target_archE906ELNS1_3gpuE6ELNS1_3repE0EEENS1_48merge_mergepath_partition_config_static_selectorELNS0_4arch9wavefront6targetE1EEEvSH_.has_dyn_sized_stack, 0
	.set _ZN7rocprim17ROCPRIM_400000_NS6detail17trampoline_kernelINS0_14default_configENS1_38merge_sort_block_merge_config_selectorIisEEZZNS1_27merge_sort_block_merge_implIS3_N6thrust23THRUST_200600_302600_NS10device_ptrIiEENS9_IsEEjNS1_19radix_merge_compareILb0ELb0EiNS0_19identity_decomposerEEEEE10hipError_tT0_T1_T2_jT3_P12ihipStream_tbPNSt15iterator_traitsISG_E10value_typeEPNSM_ISH_E10value_typeEPSI_NS1_7vsmem_tEENKUlT_SG_SH_SI_E_clISA_PiSB_PsEESF_SV_SG_SH_SI_EUlSV_E_NS1_11comp_targetILNS1_3genE2ELNS1_11target_archE906ELNS1_3gpuE6ELNS1_3repE0EEENS1_48merge_mergepath_partition_config_static_selectorELNS0_4arch9wavefront6targetE1EEEvSH_.has_recursion, 0
	.set _ZN7rocprim17ROCPRIM_400000_NS6detail17trampoline_kernelINS0_14default_configENS1_38merge_sort_block_merge_config_selectorIisEEZZNS1_27merge_sort_block_merge_implIS3_N6thrust23THRUST_200600_302600_NS10device_ptrIiEENS9_IsEEjNS1_19radix_merge_compareILb0ELb0EiNS0_19identity_decomposerEEEEE10hipError_tT0_T1_T2_jT3_P12ihipStream_tbPNSt15iterator_traitsISG_E10value_typeEPNSM_ISH_E10value_typeEPSI_NS1_7vsmem_tEENKUlT_SG_SH_SI_E_clISA_PiSB_PsEESF_SV_SG_SH_SI_EUlSV_E_NS1_11comp_targetILNS1_3genE2ELNS1_11target_archE906ELNS1_3gpuE6ELNS1_3repE0EEENS1_48merge_mergepath_partition_config_static_selectorELNS0_4arch9wavefront6targetE1EEEvSH_.has_indirect_call, 0
	.section	.AMDGPU.csdata,"",@progbits
; Kernel info:
; codeLenInByte = 0
; TotalNumSgprs: 6
; NumVgprs: 0
; NumAgprs: 0
; TotalNumVgprs: 0
; ScratchSize: 0
; MemoryBound: 0
; FloatMode: 240
; IeeeMode: 1
; LDSByteSize: 0 bytes/workgroup (compile time only)
; SGPRBlocks: 0
; VGPRBlocks: 0
; NumSGPRsForWavesPerEU: 6
; NumVGPRsForWavesPerEU: 1
; AccumOffset: 4
; Occupancy: 8
; WaveLimiterHint : 0
; COMPUTE_PGM_RSRC2:SCRATCH_EN: 0
; COMPUTE_PGM_RSRC2:USER_SGPR: 2
; COMPUTE_PGM_RSRC2:TRAP_HANDLER: 0
; COMPUTE_PGM_RSRC2:TGID_X_EN: 1
; COMPUTE_PGM_RSRC2:TGID_Y_EN: 0
; COMPUTE_PGM_RSRC2:TGID_Z_EN: 0
; COMPUTE_PGM_RSRC2:TIDIG_COMP_CNT: 0
; COMPUTE_PGM_RSRC3_GFX90A:ACCUM_OFFSET: 0
; COMPUTE_PGM_RSRC3_GFX90A:TG_SPLIT: 0
	.section	.text._ZN7rocprim17ROCPRIM_400000_NS6detail17trampoline_kernelINS0_14default_configENS1_38merge_sort_block_merge_config_selectorIisEEZZNS1_27merge_sort_block_merge_implIS3_N6thrust23THRUST_200600_302600_NS10device_ptrIiEENS9_IsEEjNS1_19radix_merge_compareILb0ELb0EiNS0_19identity_decomposerEEEEE10hipError_tT0_T1_T2_jT3_P12ihipStream_tbPNSt15iterator_traitsISG_E10value_typeEPNSM_ISH_E10value_typeEPSI_NS1_7vsmem_tEENKUlT_SG_SH_SI_E_clISA_PiSB_PsEESF_SV_SG_SH_SI_EUlSV_E_NS1_11comp_targetILNS1_3genE9ELNS1_11target_archE1100ELNS1_3gpuE3ELNS1_3repE0EEENS1_48merge_mergepath_partition_config_static_selectorELNS0_4arch9wavefront6targetE1EEEvSH_,"axG",@progbits,_ZN7rocprim17ROCPRIM_400000_NS6detail17trampoline_kernelINS0_14default_configENS1_38merge_sort_block_merge_config_selectorIisEEZZNS1_27merge_sort_block_merge_implIS3_N6thrust23THRUST_200600_302600_NS10device_ptrIiEENS9_IsEEjNS1_19radix_merge_compareILb0ELb0EiNS0_19identity_decomposerEEEEE10hipError_tT0_T1_T2_jT3_P12ihipStream_tbPNSt15iterator_traitsISG_E10value_typeEPNSM_ISH_E10value_typeEPSI_NS1_7vsmem_tEENKUlT_SG_SH_SI_E_clISA_PiSB_PsEESF_SV_SG_SH_SI_EUlSV_E_NS1_11comp_targetILNS1_3genE9ELNS1_11target_archE1100ELNS1_3gpuE3ELNS1_3repE0EEENS1_48merge_mergepath_partition_config_static_selectorELNS0_4arch9wavefront6targetE1EEEvSH_,comdat
	.protected	_ZN7rocprim17ROCPRIM_400000_NS6detail17trampoline_kernelINS0_14default_configENS1_38merge_sort_block_merge_config_selectorIisEEZZNS1_27merge_sort_block_merge_implIS3_N6thrust23THRUST_200600_302600_NS10device_ptrIiEENS9_IsEEjNS1_19radix_merge_compareILb0ELb0EiNS0_19identity_decomposerEEEEE10hipError_tT0_T1_T2_jT3_P12ihipStream_tbPNSt15iterator_traitsISG_E10value_typeEPNSM_ISH_E10value_typeEPSI_NS1_7vsmem_tEENKUlT_SG_SH_SI_E_clISA_PiSB_PsEESF_SV_SG_SH_SI_EUlSV_E_NS1_11comp_targetILNS1_3genE9ELNS1_11target_archE1100ELNS1_3gpuE3ELNS1_3repE0EEENS1_48merge_mergepath_partition_config_static_selectorELNS0_4arch9wavefront6targetE1EEEvSH_ ; -- Begin function _ZN7rocprim17ROCPRIM_400000_NS6detail17trampoline_kernelINS0_14default_configENS1_38merge_sort_block_merge_config_selectorIisEEZZNS1_27merge_sort_block_merge_implIS3_N6thrust23THRUST_200600_302600_NS10device_ptrIiEENS9_IsEEjNS1_19radix_merge_compareILb0ELb0EiNS0_19identity_decomposerEEEEE10hipError_tT0_T1_T2_jT3_P12ihipStream_tbPNSt15iterator_traitsISG_E10value_typeEPNSM_ISH_E10value_typeEPSI_NS1_7vsmem_tEENKUlT_SG_SH_SI_E_clISA_PiSB_PsEESF_SV_SG_SH_SI_EUlSV_E_NS1_11comp_targetILNS1_3genE9ELNS1_11target_archE1100ELNS1_3gpuE3ELNS1_3repE0EEENS1_48merge_mergepath_partition_config_static_selectorELNS0_4arch9wavefront6targetE1EEEvSH_
	.globl	_ZN7rocprim17ROCPRIM_400000_NS6detail17trampoline_kernelINS0_14default_configENS1_38merge_sort_block_merge_config_selectorIisEEZZNS1_27merge_sort_block_merge_implIS3_N6thrust23THRUST_200600_302600_NS10device_ptrIiEENS9_IsEEjNS1_19radix_merge_compareILb0ELb0EiNS0_19identity_decomposerEEEEE10hipError_tT0_T1_T2_jT3_P12ihipStream_tbPNSt15iterator_traitsISG_E10value_typeEPNSM_ISH_E10value_typeEPSI_NS1_7vsmem_tEENKUlT_SG_SH_SI_E_clISA_PiSB_PsEESF_SV_SG_SH_SI_EUlSV_E_NS1_11comp_targetILNS1_3genE9ELNS1_11target_archE1100ELNS1_3gpuE3ELNS1_3repE0EEENS1_48merge_mergepath_partition_config_static_selectorELNS0_4arch9wavefront6targetE1EEEvSH_
	.p2align	8
	.type	_ZN7rocprim17ROCPRIM_400000_NS6detail17trampoline_kernelINS0_14default_configENS1_38merge_sort_block_merge_config_selectorIisEEZZNS1_27merge_sort_block_merge_implIS3_N6thrust23THRUST_200600_302600_NS10device_ptrIiEENS9_IsEEjNS1_19radix_merge_compareILb0ELb0EiNS0_19identity_decomposerEEEEE10hipError_tT0_T1_T2_jT3_P12ihipStream_tbPNSt15iterator_traitsISG_E10value_typeEPNSM_ISH_E10value_typeEPSI_NS1_7vsmem_tEENKUlT_SG_SH_SI_E_clISA_PiSB_PsEESF_SV_SG_SH_SI_EUlSV_E_NS1_11comp_targetILNS1_3genE9ELNS1_11target_archE1100ELNS1_3gpuE3ELNS1_3repE0EEENS1_48merge_mergepath_partition_config_static_selectorELNS0_4arch9wavefront6targetE1EEEvSH_,@function
_ZN7rocprim17ROCPRIM_400000_NS6detail17trampoline_kernelINS0_14default_configENS1_38merge_sort_block_merge_config_selectorIisEEZZNS1_27merge_sort_block_merge_implIS3_N6thrust23THRUST_200600_302600_NS10device_ptrIiEENS9_IsEEjNS1_19radix_merge_compareILb0ELb0EiNS0_19identity_decomposerEEEEE10hipError_tT0_T1_T2_jT3_P12ihipStream_tbPNSt15iterator_traitsISG_E10value_typeEPNSM_ISH_E10value_typeEPSI_NS1_7vsmem_tEENKUlT_SG_SH_SI_E_clISA_PiSB_PsEESF_SV_SG_SH_SI_EUlSV_E_NS1_11comp_targetILNS1_3genE9ELNS1_11target_archE1100ELNS1_3gpuE3ELNS1_3repE0EEENS1_48merge_mergepath_partition_config_static_selectorELNS0_4arch9wavefront6targetE1EEEvSH_: ; @_ZN7rocprim17ROCPRIM_400000_NS6detail17trampoline_kernelINS0_14default_configENS1_38merge_sort_block_merge_config_selectorIisEEZZNS1_27merge_sort_block_merge_implIS3_N6thrust23THRUST_200600_302600_NS10device_ptrIiEENS9_IsEEjNS1_19radix_merge_compareILb0ELb0EiNS0_19identity_decomposerEEEEE10hipError_tT0_T1_T2_jT3_P12ihipStream_tbPNSt15iterator_traitsISG_E10value_typeEPNSM_ISH_E10value_typeEPSI_NS1_7vsmem_tEENKUlT_SG_SH_SI_E_clISA_PiSB_PsEESF_SV_SG_SH_SI_EUlSV_E_NS1_11comp_targetILNS1_3genE9ELNS1_11target_archE1100ELNS1_3gpuE3ELNS1_3repE0EEENS1_48merge_mergepath_partition_config_static_selectorELNS0_4arch9wavefront6targetE1EEEvSH_
; %bb.0:
	.section	.rodata,"a",@progbits
	.p2align	6, 0x0
	.amdhsa_kernel _ZN7rocprim17ROCPRIM_400000_NS6detail17trampoline_kernelINS0_14default_configENS1_38merge_sort_block_merge_config_selectorIisEEZZNS1_27merge_sort_block_merge_implIS3_N6thrust23THRUST_200600_302600_NS10device_ptrIiEENS9_IsEEjNS1_19radix_merge_compareILb0ELb0EiNS0_19identity_decomposerEEEEE10hipError_tT0_T1_T2_jT3_P12ihipStream_tbPNSt15iterator_traitsISG_E10value_typeEPNSM_ISH_E10value_typeEPSI_NS1_7vsmem_tEENKUlT_SG_SH_SI_E_clISA_PiSB_PsEESF_SV_SG_SH_SI_EUlSV_E_NS1_11comp_targetILNS1_3genE9ELNS1_11target_archE1100ELNS1_3gpuE3ELNS1_3repE0EEENS1_48merge_mergepath_partition_config_static_selectorELNS0_4arch9wavefront6targetE1EEEvSH_
		.amdhsa_group_segment_fixed_size 0
		.amdhsa_private_segment_fixed_size 0
		.amdhsa_kernarg_size 40
		.amdhsa_user_sgpr_count 2
		.amdhsa_user_sgpr_dispatch_ptr 0
		.amdhsa_user_sgpr_queue_ptr 0
		.amdhsa_user_sgpr_kernarg_segment_ptr 1
		.amdhsa_user_sgpr_dispatch_id 0
		.amdhsa_user_sgpr_kernarg_preload_length 0
		.amdhsa_user_sgpr_kernarg_preload_offset 0
		.amdhsa_user_sgpr_private_segment_size 0
		.amdhsa_uses_dynamic_stack 0
		.amdhsa_enable_private_segment 0
		.amdhsa_system_sgpr_workgroup_id_x 1
		.amdhsa_system_sgpr_workgroup_id_y 0
		.amdhsa_system_sgpr_workgroup_id_z 0
		.amdhsa_system_sgpr_workgroup_info 0
		.amdhsa_system_vgpr_workitem_id 0
		.amdhsa_next_free_vgpr 1
		.amdhsa_next_free_sgpr 0
		.amdhsa_accum_offset 4
		.amdhsa_reserve_vcc 0
		.amdhsa_float_round_mode_32 0
		.amdhsa_float_round_mode_16_64 0
		.amdhsa_float_denorm_mode_32 3
		.amdhsa_float_denorm_mode_16_64 3
		.amdhsa_dx10_clamp 1
		.amdhsa_ieee_mode 1
		.amdhsa_fp16_overflow 0
		.amdhsa_tg_split 0
		.amdhsa_exception_fp_ieee_invalid_op 0
		.amdhsa_exception_fp_denorm_src 0
		.amdhsa_exception_fp_ieee_div_zero 0
		.amdhsa_exception_fp_ieee_overflow 0
		.amdhsa_exception_fp_ieee_underflow 0
		.amdhsa_exception_fp_ieee_inexact 0
		.amdhsa_exception_int_div_zero 0
	.end_amdhsa_kernel
	.section	.text._ZN7rocprim17ROCPRIM_400000_NS6detail17trampoline_kernelINS0_14default_configENS1_38merge_sort_block_merge_config_selectorIisEEZZNS1_27merge_sort_block_merge_implIS3_N6thrust23THRUST_200600_302600_NS10device_ptrIiEENS9_IsEEjNS1_19radix_merge_compareILb0ELb0EiNS0_19identity_decomposerEEEEE10hipError_tT0_T1_T2_jT3_P12ihipStream_tbPNSt15iterator_traitsISG_E10value_typeEPNSM_ISH_E10value_typeEPSI_NS1_7vsmem_tEENKUlT_SG_SH_SI_E_clISA_PiSB_PsEESF_SV_SG_SH_SI_EUlSV_E_NS1_11comp_targetILNS1_3genE9ELNS1_11target_archE1100ELNS1_3gpuE3ELNS1_3repE0EEENS1_48merge_mergepath_partition_config_static_selectorELNS0_4arch9wavefront6targetE1EEEvSH_,"axG",@progbits,_ZN7rocprim17ROCPRIM_400000_NS6detail17trampoline_kernelINS0_14default_configENS1_38merge_sort_block_merge_config_selectorIisEEZZNS1_27merge_sort_block_merge_implIS3_N6thrust23THRUST_200600_302600_NS10device_ptrIiEENS9_IsEEjNS1_19radix_merge_compareILb0ELb0EiNS0_19identity_decomposerEEEEE10hipError_tT0_T1_T2_jT3_P12ihipStream_tbPNSt15iterator_traitsISG_E10value_typeEPNSM_ISH_E10value_typeEPSI_NS1_7vsmem_tEENKUlT_SG_SH_SI_E_clISA_PiSB_PsEESF_SV_SG_SH_SI_EUlSV_E_NS1_11comp_targetILNS1_3genE9ELNS1_11target_archE1100ELNS1_3gpuE3ELNS1_3repE0EEENS1_48merge_mergepath_partition_config_static_selectorELNS0_4arch9wavefront6targetE1EEEvSH_,comdat
.Lfunc_end2320:
	.size	_ZN7rocprim17ROCPRIM_400000_NS6detail17trampoline_kernelINS0_14default_configENS1_38merge_sort_block_merge_config_selectorIisEEZZNS1_27merge_sort_block_merge_implIS3_N6thrust23THRUST_200600_302600_NS10device_ptrIiEENS9_IsEEjNS1_19radix_merge_compareILb0ELb0EiNS0_19identity_decomposerEEEEE10hipError_tT0_T1_T2_jT3_P12ihipStream_tbPNSt15iterator_traitsISG_E10value_typeEPNSM_ISH_E10value_typeEPSI_NS1_7vsmem_tEENKUlT_SG_SH_SI_E_clISA_PiSB_PsEESF_SV_SG_SH_SI_EUlSV_E_NS1_11comp_targetILNS1_3genE9ELNS1_11target_archE1100ELNS1_3gpuE3ELNS1_3repE0EEENS1_48merge_mergepath_partition_config_static_selectorELNS0_4arch9wavefront6targetE1EEEvSH_, .Lfunc_end2320-_ZN7rocprim17ROCPRIM_400000_NS6detail17trampoline_kernelINS0_14default_configENS1_38merge_sort_block_merge_config_selectorIisEEZZNS1_27merge_sort_block_merge_implIS3_N6thrust23THRUST_200600_302600_NS10device_ptrIiEENS9_IsEEjNS1_19radix_merge_compareILb0ELb0EiNS0_19identity_decomposerEEEEE10hipError_tT0_T1_T2_jT3_P12ihipStream_tbPNSt15iterator_traitsISG_E10value_typeEPNSM_ISH_E10value_typeEPSI_NS1_7vsmem_tEENKUlT_SG_SH_SI_E_clISA_PiSB_PsEESF_SV_SG_SH_SI_EUlSV_E_NS1_11comp_targetILNS1_3genE9ELNS1_11target_archE1100ELNS1_3gpuE3ELNS1_3repE0EEENS1_48merge_mergepath_partition_config_static_selectorELNS0_4arch9wavefront6targetE1EEEvSH_
                                        ; -- End function
	.set _ZN7rocprim17ROCPRIM_400000_NS6detail17trampoline_kernelINS0_14default_configENS1_38merge_sort_block_merge_config_selectorIisEEZZNS1_27merge_sort_block_merge_implIS3_N6thrust23THRUST_200600_302600_NS10device_ptrIiEENS9_IsEEjNS1_19radix_merge_compareILb0ELb0EiNS0_19identity_decomposerEEEEE10hipError_tT0_T1_T2_jT3_P12ihipStream_tbPNSt15iterator_traitsISG_E10value_typeEPNSM_ISH_E10value_typeEPSI_NS1_7vsmem_tEENKUlT_SG_SH_SI_E_clISA_PiSB_PsEESF_SV_SG_SH_SI_EUlSV_E_NS1_11comp_targetILNS1_3genE9ELNS1_11target_archE1100ELNS1_3gpuE3ELNS1_3repE0EEENS1_48merge_mergepath_partition_config_static_selectorELNS0_4arch9wavefront6targetE1EEEvSH_.num_vgpr, 0
	.set _ZN7rocprim17ROCPRIM_400000_NS6detail17trampoline_kernelINS0_14default_configENS1_38merge_sort_block_merge_config_selectorIisEEZZNS1_27merge_sort_block_merge_implIS3_N6thrust23THRUST_200600_302600_NS10device_ptrIiEENS9_IsEEjNS1_19radix_merge_compareILb0ELb0EiNS0_19identity_decomposerEEEEE10hipError_tT0_T1_T2_jT3_P12ihipStream_tbPNSt15iterator_traitsISG_E10value_typeEPNSM_ISH_E10value_typeEPSI_NS1_7vsmem_tEENKUlT_SG_SH_SI_E_clISA_PiSB_PsEESF_SV_SG_SH_SI_EUlSV_E_NS1_11comp_targetILNS1_3genE9ELNS1_11target_archE1100ELNS1_3gpuE3ELNS1_3repE0EEENS1_48merge_mergepath_partition_config_static_selectorELNS0_4arch9wavefront6targetE1EEEvSH_.num_agpr, 0
	.set _ZN7rocprim17ROCPRIM_400000_NS6detail17trampoline_kernelINS0_14default_configENS1_38merge_sort_block_merge_config_selectorIisEEZZNS1_27merge_sort_block_merge_implIS3_N6thrust23THRUST_200600_302600_NS10device_ptrIiEENS9_IsEEjNS1_19radix_merge_compareILb0ELb0EiNS0_19identity_decomposerEEEEE10hipError_tT0_T1_T2_jT3_P12ihipStream_tbPNSt15iterator_traitsISG_E10value_typeEPNSM_ISH_E10value_typeEPSI_NS1_7vsmem_tEENKUlT_SG_SH_SI_E_clISA_PiSB_PsEESF_SV_SG_SH_SI_EUlSV_E_NS1_11comp_targetILNS1_3genE9ELNS1_11target_archE1100ELNS1_3gpuE3ELNS1_3repE0EEENS1_48merge_mergepath_partition_config_static_selectorELNS0_4arch9wavefront6targetE1EEEvSH_.numbered_sgpr, 0
	.set _ZN7rocprim17ROCPRIM_400000_NS6detail17trampoline_kernelINS0_14default_configENS1_38merge_sort_block_merge_config_selectorIisEEZZNS1_27merge_sort_block_merge_implIS3_N6thrust23THRUST_200600_302600_NS10device_ptrIiEENS9_IsEEjNS1_19radix_merge_compareILb0ELb0EiNS0_19identity_decomposerEEEEE10hipError_tT0_T1_T2_jT3_P12ihipStream_tbPNSt15iterator_traitsISG_E10value_typeEPNSM_ISH_E10value_typeEPSI_NS1_7vsmem_tEENKUlT_SG_SH_SI_E_clISA_PiSB_PsEESF_SV_SG_SH_SI_EUlSV_E_NS1_11comp_targetILNS1_3genE9ELNS1_11target_archE1100ELNS1_3gpuE3ELNS1_3repE0EEENS1_48merge_mergepath_partition_config_static_selectorELNS0_4arch9wavefront6targetE1EEEvSH_.num_named_barrier, 0
	.set _ZN7rocprim17ROCPRIM_400000_NS6detail17trampoline_kernelINS0_14default_configENS1_38merge_sort_block_merge_config_selectorIisEEZZNS1_27merge_sort_block_merge_implIS3_N6thrust23THRUST_200600_302600_NS10device_ptrIiEENS9_IsEEjNS1_19radix_merge_compareILb0ELb0EiNS0_19identity_decomposerEEEEE10hipError_tT0_T1_T2_jT3_P12ihipStream_tbPNSt15iterator_traitsISG_E10value_typeEPNSM_ISH_E10value_typeEPSI_NS1_7vsmem_tEENKUlT_SG_SH_SI_E_clISA_PiSB_PsEESF_SV_SG_SH_SI_EUlSV_E_NS1_11comp_targetILNS1_3genE9ELNS1_11target_archE1100ELNS1_3gpuE3ELNS1_3repE0EEENS1_48merge_mergepath_partition_config_static_selectorELNS0_4arch9wavefront6targetE1EEEvSH_.private_seg_size, 0
	.set _ZN7rocprim17ROCPRIM_400000_NS6detail17trampoline_kernelINS0_14default_configENS1_38merge_sort_block_merge_config_selectorIisEEZZNS1_27merge_sort_block_merge_implIS3_N6thrust23THRUST_200600_302600_NS10device_ptrIiEENS9_IsEEjNS1_19radix_merge_compareILb0ELb0EiNS0_19identity_decomposerEEEEE10hipError_tT0_T1_T2_jT3_P12ihipStream_tbPNSt15iterator_traitsISG_E10value_typeEPNSM_ISH_E10value_typeEPSI_NS1_7vsmem_tEENKUlT_SG_SH_SI_E_clISA_PiSB_PsEESF_SV_SG_SH_SI_EUlSV_E_NS1_11comp_targetILNS1_3genE9ELNS1_11target_archE1100ELNS1_3gpuE3ELNS1_3repE0EEENS1_48merge_mergepath_partition_config_static_selectorELNS0_4arch9wavefront6targetE1EEEvSH_.uses_vcc, 0
	.set _ZN7rocprim17ROCPRIM_400000_NS6detail17trampoline_kernelINS0_14default_configENS1_38merge_sort_block_merge_config_selectorIisEEZZNS1_27merge_sort_block_merge_implIS3_N6thrust23THRUST_200600_302600_NS10device_ptrIiEENS9_IsEEjNS1_19radix_merge_compareILb0ELb0EiNS0_19identity_decomposerEEEEE10hipError_tT0_T1_T2_jT3_P12ihipStream_tbPNSt15iterator_traitsISG_E10value_typeEPNSM_ISH_E10value_typeEPSI_NS1_7vsmem_tEENKUlT_SG_SH_SI_E_clISA_PiSB_PsEESF_SV_SG_SH_SI_EUlSV_E_NS1_11comp_targetILNS1_3genE9ELNS1_11target_archE1100ELNS1_3gpuE3ELNS1_3repE0EEENS1_48merge_mergepath_partition_config_static_selectorELNS0_4arch9wavefront6targetE1EEEvSH_.uses_flat_scratch, 0
	.set _ZN7rocprim17ROCPRIM_400000_NS6detail17trampoline_kernelINS0_14default_configENS1_38merge_sort_block_merge_config_selectorIisEEZZNS1_27merge_sort_block_merge_implIS3_N6thrust23THRUST_200600_302600_NS10device_ptrIiEENS9_IsEEjNS1_19radix_merge_compareILb0ELb0EiNS0_19identity_decomposerEEEEE10hipError_tT0_T1_T2_jT3_P12ihipStream_tbPNSt15iterator_traitsISG_E10value_typeEPNSM_ISH_E10value_typeEPSI_NS1_7vsmem_tEENKUlT_SG_SH_SI_E_clISA_PiSB_PsEESF_SV_SG_SH_SI_EUlSV_E_NS1_11comp_targetILNS1_3genE9ELNS1_11target_archE1100ELNS1_3gpuE3ELNS1_3repE0EEENS1_48merge_mergepath_partition_config_static_selectorELNS0_4arch9wavefront6targetE1EEEvSH_.has_dyn_sized_stack, 0
	.set _ZN7rocprim17ROCPRIM_400000_NS6detail17trampoline_kernelINS0_14default_configENS1_38merge_sort_block_merge_config_selectorIisEEZZNS1_27merge_sort_block_merge_implIS3_N6thrust23THRUST_200600_302600_NS10device_ptrIiEENS9_IsEEjNS1_19radix_merge_compareILb0ELb0EiNS0_19identity_decomposerEEEEE10hipError_tT0_T1_T2_jT3_P12ihipStream_tbPNSt15iterator_traitsISG_E10value_typeEPNSM_ISH_E10value_typeEPSI_NS1_7vsmem_tEENKUlT_SG_SH_SI_E_clISA_PiSB_PsEESF_SV_SG_SH_SI_EUlSV_E_NS1_11comp_targetILNS1_3genE9ELNS1_11target_archE1100ELNS1_3gpuE3ELNS1_3repE0EEENS1_48merge_mergepath_partition_config_static_selectorELNS0_4arch9wavefront6targetE1EEEvSH_.has_recursion, 0
	.set _ZN7rocprim17ROCPRIM_400000_NS6detail17trampoline_kernelINS0_14default_configENS1_38merge_sort_block_merge_config_selectorIisEEZZNS1_27merge_sort_block_merge_implIS3_N6thrust23THRUST_200600_302600_NS10device_ptrIiEENS9_IsEEjNS1_19radix_merge_compareILb0ELb0EiNS0_19identity_decomposerEEEEE10hipError_tT0_T1_T2_jT3_P12ihipStream_tbPNSt15iterator_traitsISG_E10value_typeEPNSM_ISH_E10value_typeEPSI_NS1_7vsmem_tEENKUlT_SG_SH_SI_E_clISA_PiSB_PsEESF_SV_SG_SH_SI_EUlSV_E_NS1_11comp_targetILNS1_3genE9ELNS1_11target_archE1100ELNS1_3gpuE3ELNS1_3repE0EEENS1_48merge_mergepath_partition_config_static_selectorELNS0_4arch9wavefront6targetE1EEEvSH_.has_indirect_call, 0
	.section	.AMDGPU.csdata,"",@progbits
; Kernel info:
; codeLenInByte = 0
; TotalNumSgprs: 6
; NumVgprs: 0
; NumAgprs: 0
; TotalNumVgprs: 0
; ScratchSize: 0
; MemoryBound: 0
; FloatMode: 240
; IeeeMode: 1
; LDSByteSize: 0 bytes/workgroup (compile time only)
; SGPRBlocks: 0
; VGPRBlocks: 0
; NumSGPRsForWavesPerEU: 6
; NumVGPRsForWavesPerEU: 1
; AccumOffset: 4
; Occupancy: 8
; WaveLimiterHint : 0
; COMPUTE_PGM_RSRC2:SCRATCH_EN: 0
; COMPUTE_PGM_RSRC2:USER_SGPR: 2
; COMPUTE_PGM_RSRC2:TRAP_HANDLER: 0
; COMPUTE_PGM_RSRC2:TGID_X_EN: 1
; COMPUTE_PGM_RSRC2:TGID_Y_EN: 0
; COMPUTE_PGM_RSRC2:TGID_Z_EN: 0
; COMPUTE_PGM_RSRC2:TIDIG_COMP_CNT: 0
; COMPUTE_PGM_RSRC3_GFX90A:ACCUM_OFFSET: 0
; COMPUTE_PGM_RSRC3_GFX90A:TG_SPLIT: 0
	.section	.text._ZN7rocprim17ROCPRIM_400000_NS6detail17trampoline_kernelINS0_14default_configENS1_38merge_sort_block_merge_config_selectorIisEEZZNS1_27merge_sort_block_merge_implIS3_N6thrust23THRUST_200600_302600_NS10device_ptrIiEENS9_IsEEjNS1_19radix_merge_compareILb0ELb0EiNS0_19identity_decomposerEEEEE10hipError_tT0_T1_T2_jT3_P12ihipStream_tbPNSt15iterator_traitsISG_E10value_typeEPNSM_ISH_E10value_typeEPSI_NS1_7vsmem_tEENKUlT_SG_SH_SI_E_clISA_PiSB_PsEESF_SV_SG_SH_SI_EUlSV_E_NS1_11comp_targetILNS1_3genE8ELNS1_11target_archE1030ELNS1_3gpuE2ELNS1_3repE0EEENS1_48merge_mergepath_partition_config_static_selectorELNS0_4arch9wavefront6targetE1EEEvSH_,"axG",@progbits,_ZN7rocprim17ROCPRIM_400000_NS6detail17trampoline_kernelINS0_14default_configENS1_38merge_sort_block_merge_config_selectorIisEEZZNS1_27merge_sort_block_merge_implIS3_N6thrust23THRUST_200600_302600_NS10device_ptrIiEENS9_IsEEjNS1_19radix_merge_compareILb0ELb0EiNS0_19identity_decomposerEEEEE10hipError_tT0_T1_T2_jT3_P12ihipStream_tbPNSt15iterator_traitsISG_E10value_typeEPNSM_ISH_E10value_typeEPSI_NS1_7vsmem_tEENKUlT_SG_SH_SI_E_clISA_PiSB_PsEESF_SV_SG_SH_SI_EUlSV_E_NS1_11comp_targetILNS1_3genE8ELNS1_11target_archE1030ELNS1_3gpuE2ELNS1_3repE0EEENS1_48merge_mergepath_partition_config_static_selectorELNS0_4arch9wavefront6targetE1EEEvSH_,comdat
	.protected	_ZN7rocprim17ROCPRIM_400000_NS6detail17trampoline_kernelINS0_14default_configENS1_38merge_sort_block_merge_config_selectorIisEEZZNS1_27merge_sort_block_merge_implIS3_N6thrust23THRUST_200600_302600_NS10device_ptrIiEENS9_IsEEjNS1_19radix_merge_compareILb0ELb0EiNS0_19identity_decomposerEEEEE10hipError_tT0_T1_T2_jT3_P12ihipStream_tbPNSt15iterator_traitsISG_E10value_typeEPNSM_ISH_E10value_typeEPSI_NS1_7vsmem_tEENKUlT_SG_SH_SI_E_clISA_PiSB_PsEESF_SV_SG_SH_SI_EUlSV_E_NS1_11comp_targetILNS1_3genE8ELNS1_11target_archE1030ELNS1_3gpuE2ELNS1_3repE0EEENS1_48merge_mergepath_partition_config_static_selectorELNS0_4arch9wavefront6targetE1EEEvSH_ ; -- Begin function _ZN7rocprim17ROCPRIM_400000_NS6detail17trampoline_kernelINS0_14default_configENS1_38merge_sort_block_merge_config_selectorIisEEZZNS1_27merge_sort_block_merge_implIS3_N6thrust23THRUST_200600_302600_NS10device_ptrIiEENS9_IsEEjNS1_19radix_merge_compareILb0ELb0EiNS0_19identity_decomposerEEEEE10hipError_tT0_T1_T2_jT3_P12ihipStream_tbPNSt15iterator_traitsISG_E10value_typeEPNSM_ISH_E10value_typeEPSI_NS1_7vsmem_tEENKUlT_SG_SH_SI_E_clISA_PiSB_PsEESF_SV_SG_SH_SI_EUlSV_E_NS1_11comp_targetILNS1_3genE8ELNS1_11target_archE1030ELNS1_3gpuE2ELNS1_3repE0EEENS1_48merge_mergepath_partition_config_static_selectorELNS0_4arch9wavefront6targetE1EEEvSH_
	.globl	_ZN7rocprim17ROCPRIM_400000_NS6detail17trampoline_kernelINS0_14default_configENS1_38merge_sort_block_merge_config_selectorIisEEZZNS1_27merge_sort_block_merge_implIS3_N6thrust23THRUST_200600_302600_NS10device_ptrIiEENS9_IsEEjNS1_19radix_merge_compareILb0ELb0EiNS0_19identity_decomposerEEEEE10hipError_tT0_T1_T2_jT3_P12ihipStream_tbPNSt15iterator_traitsISG_E10value_typeEPNSM_ISH_E10value_typeEPSI_NS1_7vsmem_tEENKUlT_SG_SH_SI_E_clISA_PiSB_PsEESF_SV_SG_SH_SI_EUlSV_E_NS1_11comp_targetILNS1_3genE8ELNS1_11target_archE1030ELNS1_3gpuE2ELNS1_3repE0EEENS1_48merge_mergepath_partition_config_static_selectorELNS0_4arch9wavefront6targetE1EEEvSH_
	.p2align	8
	.type	_ZN7rocprim17ROCPRIM_400000_NS6detail17trampoline_kernelINS0_14default_configENS1_38merge_sort_block_merge_config_selectorIisEEZZNS1_27merge_sort_block_merge_implIS3_N6thrust23THRUST_200600_302600_NS10device_ptrIiEENS9_IsEEjNS1_19radix_merge_compareILb0ELb0EiNS0_19identity_decomposerEEEEE10hipError_tT0_T1_T2_jT3_P12ihipStream_tbPNSt15iterator_traitsISG_E10value_typeEPNSM_ISH_E10value_typeEPSI_NS1_7vsmem_tEENKUlT_SG_SH_SI_E_clISA_PiSB_PsEESF_SV_SG_SH_SI_EUlSV_E_NS1_11comp_targetILNS1_3genE8ELNS1_11target_archE1030ELNS1_3gpuE2ELNS1_3repE0EEENS1_48merge_mergepath_partition_config_static_selectorELNS0_4arch9wavefront6targetE1EEEvSH_,@function
_ZN7rocprim17ROCPRIM_400000_NS6detail17trampoline_kernelINS0_14default_configENS1_38merge_sort_block_merge_config_selectorIisEEZZNS1_27merge_sort_block_merge_implIS3_N6thrust23THRUST_200600_302600_NS10device_ptrIiEENS9_IsEEjNS1_19radix_merge_compareILb0ELb0EiNS0_19identity_decomposerEEEEE10hipError_tT0_T1_T2_jT3_P12ihipStream_tbPNSt15iterator_traitsISG_E10value_typeEPNSM_ISH_E10value_typeEPSI_NS1_7vsmem_tEENKUlT_SG_SH_SI_E_clISA_PiSB_PsEESF_SV_SG_SH_SI_EUlSV_E_NS1_11comp_targetILNS1_3genE8ELNS1_11target_archE1030ELNS1_3gpuE2ELNS1_3repE0EEENS1_48merge_mergepath_partition_config_static_selectorELNS0_4arch9wavefront6targetE1EEEvSH_: ; @_ZN7rocprim17ROCPRIM_400000_NS6detail17trampoline_kernelINS0_14default_configENS1_38merge_sort_block_merge_config_selectorIisEEZZNS1_27merge_sort_block_merge_implIS3_N6thrust23THRUST_200600_302600_NS10device_ptrIiEENS9_IsEEjNS1_19radix_merge_compareILb0ELb0EiNS0_19identity_decomposerEEEEE10hipError_tT0_T1_T2_jT3_P12ihipStream_tbPNSt15iterator_traitsISG_E10value_typeEPNSM_ISH_E10value_typeEPSI_NS1_7vsmem_tEENKUlT_SG_SH_SI_E_clISA_PiSB_PsEESF_SV_SG_SH_SI_EUlSV_E_NS1_11comp_targetILNS1_3genE8ELNS1_11target_archE1030ELNS1_3gpuE2ELNS1_3repE0EEENS1_48merge_mergepath_partition_config_static_selectorELNS0_4arch9wavefront6targetE1EEEvSH_
; %bb.0:
	.section	.rodata,"a",@progbits
	.p2align	6, 0x0
	.amdhsa_kernel _ZN7rocprim17ROCPRIM_400000_NS6detail17trampoline_kernelINS0_14default_configENS1_38merge_sort_block_merge_config_selectorIisEEZZNS1_27merge_sort_block_merge_implIS3_N6thrust23THRUST_200600_302600_NS10device_ptrIiEENS9_IsEEjNS1_19radix_merge_compareILb0ELb0EiNS0_19identity_decomposerEEEEE10hipError_tT0_T1_T2_jT3_P12ihipStream_tbPNSt15iterator_traitsISG_E10value_typeEPNSM_ISH_E10value_typeEPSI_NS1_7vsmem_tEENKUlT_SG_SH_SI_E_clISA_PiSB_PsEESF_SV_SG_SH_SI_EUlSV_E_NS1_11comp_targetILNS1_3genE8ELNS1_11target_archE1030ELNS1_3gpuE2ELNS1_3repE0EEENS1_48merge_mergepath_partition_config_static_selectorELNS0_4arch9wavefront6targetE1EEEvSH_
		.amdhsa_group_segment_fixed_size 0
		.amdhsa_private_segment_fixed_size 0
		.amdhsa_kernarg_size 40
		.amdhsa_user_sgpr_count 2
		.amdhsa_user_sgpr_dispatch_ptr 0
		.amdhsa_user_sgpr_queue_ptr 0
		.amdhsa_user_sgpr_kernarg_segment_ptr 1
		.amdhsa_user_sgpr_dispatch_id 0
		.amdhsa_user_sgpr_kernarg_preload_length 0
		.amdhsa_user_sgpr_kernarg_preload_offset 0
		.amdhsa_user_sgpr_private_segment_size 0
		.amdhsa_uses_dynamic_stack 0
		.amdhsa_enable_private_segment 0
		.amdhsa_system_sgpr_workgroup_id_x 1
		.amdhsa_system_sgpr_workgroup_id_y 0
		.amdhsa_system_sgpr_workgroup_id_z 0
		.amdhsa_system_sgpr_workgroup_info 0
		.amdhsa_system_vgpr_workitem_id 0
		.amdhsa_next_free_vgpr 1
		.amdhsa_next_free_sgpr 0
		.amdhsa_accum_offset 4
		.amdhsa_reserve_vcc 0
		.amdhsa_float_round_mode_32 0
		.amdhsa_float_round_mode_16_64 0
		.amdhsa_float_denorm_mode_32 3
		.amdhsa_float_denorm_mode_16_64 3
		.amdhsa_dx10_clamp 1
		.amdhsa_ieee_mode 1
		.amdhsa_fp16_overflow 0
		.amdhsa_tg_split 0
		.amdhsa_exception_fp_ieee_invalid_op 0
		.amdhsa_exception_fp_denorm_src 0
		.amdhsa_exception_fp_ieee_div_zero 0
		.amdhsa_exception_fp_ieee_overflow 0
		.amdhsa_exception_fp_ieee_underflow 0
		.amdhsa_exception_fp_ieee_inexact 0
		.amdhsa_exception_int_div_zero 0
	.end_amdhsa_kernel
	.section	.text._ZN7rocprim17ROCPRIM_400000_NS6detail17trampoline_kernelINS0_14default_configENS1_38merge_sort_block_merge_config_selectorIisEEZZNS1_27merge_sort_block_merge_implIS3_N6thrust23THRUST_200600_302600_NS10device_ptrIiEENS9_IsEEjNS1_19radix_merge_compareILb0ELb0EiNS0_19identity_decomposerEEEEE10hipError_tT0_T1_T2_jT3_P12ihipStream_tbPNSt15iterator_traitsISG_E10value_typeEPNSM_ISH_E10value_typeEPSI_NS1_7vsmem_tEENKUlT_SG_SH_SI_E_clISA_PiSB_PsEESF_SV_SG_SH_SI_EUlSV_E_NS1_11comp_targetILNS1_3genE8ELNS1_11target_archE1030ELNS1_3gpuE2ELNS1_3repE0EEENS1_48merge_mergepath_partition_config_static_selectorELNS0_4arch9wavefront6targetE1EEEvSH_,"axG",@progbits,_ZN7rocprim17ROCPRIM_400000_NS6detail17trampoline_kernelINS0_14default_configENS1_38merge_sort_block_merge_config_selectorIisEEZZNS1_27merge_sort_block_merge_implIS3_N6thrust23THRUST_200600_302600_NS10device_ptrIiEENS9_IsEEjNS1_19radix_merge_compareILb0ELb0EiNS0_19identity_decomposerEEEEE10hipError_tT0_T1_T2_jT3_P12ihipStream_tbPNSt15iterator_traitsISG_E10value_typeEPNSM_ISH_E10value_typeEPSI_NS1_7vsmem_tEENKUlT_SG_SH_SI_E_clISA_PiSB_PsEESF_SV_SG_SH_SI_EUlSV_E_NS1_11comp_targetILNS1_3genE8ELNS1_11target_archE1030ELNS1_3gpuE2ELNS1_3repE0EEENS1_48merge_mergepath_partition_config_static_selectorELNS0_4arch9wavefront6targetE1EEEvSH_,comdat
.Lfunc_end2321:
	.size	_ZN7rocprim17ROCPRIM_400000_NS6detail17trampoline_kernelINS0_14default_configENS1_38merge_sort_block_merge_config_selectorIisEEZZNS1_27merge_sort_block_merge_implIS3_N6thrust23THRUST_200600_302600_NS10device_ptrIiEENS9_IsEEjNS1_19radix_merge_compareILb0ELb0EiNS0_19identity_decomposerEEEEE10hipError_tT0_T1_T2_jT3_P12ihipStream_tbPNSt15iterator_traitsISG_E10value_typeEPNSM_ISH_E10value_typeEPSI_NS1_7vsmem_tEENKUlT_SG_SH_SI_E_clISA_PiSB_PsEESF_SV_SG_SH_SI_EUlSV_E_NS1_11comp_targetILNS1_3genE8ELNS1_11target_archE1030ELNS1_3gpuE2ELNS1_3repE0EEENS1_48merge_mergepath_partition_config_static_selectorELNS0_4arch9wavefront6targetE1EEEvSH_, .Lfunc_end2321-_ZN7rocprim17ROCPRIM_400000_NS6detail17trampoline_kernelINS0_14default_configENS1_38merge_sort_block_merge_config_selectorIisEEZZNS1_27merge_sort_block_merge_implIS3_N6thrust23THRUST_200600_302600_NS10device_ptrIiEENS9_IsEEjNS1_19radix_merge_compareILb0ELb0EiNS0_19identity_decomposerEEEEE10hipError_tT0_T1_T2_jT3_P12ihipStream_tbPNSt15iterator_traitsISG_E10value_typeEPNSM_ISH_E10value_typeEPSI_NS1_7vsmem_tEENKUlT_SG_SH_SI_E_clISA_PiSB_PsEESF_SV_SG_SH_SI_EUlSV_E_NS1_11comp_targetILNS1_3genE8ELNS1_11target_archE1030ELNS1_3gpuE2ELNS1_3repE0EEENS1_48merge_mergepath_partition_config_static_selectorELNS0_4arch9wavefront6targetE1EEEvSH_
                                        ; -- End function
	.set _ZN7rocprim17ROCPRIM_400000_NS6detail17trampoline_kernelINS0_14default_configENS1_38merge_sort_block_merge_config_selectorIisEEZZNS1_27merge_sort_block_merge_implIS3_N6thrust23THRUST_200600_302600_NS10device_ptrIiEENS9_IsEEjNS1_19radix_merge_compareILb0ELb0EiNS0_19identity_decomposerEEEEE10hipError_tT0_T1_T2_jT3_P12ihipStream_tbPNSt15iterator_traitsISG_E10value_typeEPNSM_ISH_E10value_typeEPSI_NS1_7vsmem_tEENKUlT_SG_SH_SI_E_clISA_PiSB_PsEESF_SV_SG_SH_SI_EUlSV_E_NS1_11comp_targetILNS1_3genE8ELNS1_11target_archE1030ELNS1_3gpuE2ELNS1_3repE0EEENS1_48merge_mergepath_partition_config_static_selectorELNS0_4arch9wavefront6targetE1EEEvSH_.num_vgpr, 0
	.set _ZN7rocprim17ROCPRIM_400000_NS6detail17trampoline_kernelINS0_14default_configENS1_38merge_sort_block_merge_config_selectorIisEEZZNS1_27merge_sort_block_merge_implIS3_N6thrust23THRUST_200600_302600_NS10device_ptrIiEENS9_IsEEjNS1_19radix_merge_compareILb0ELb0EiNS0_19identity_decomposerEEEEE10hipError_tT0_T1_T2_jT3_P12ihipStream_tbPNSt15iterator_traitsISG_E10value_typeEPNSM_ISH_E10value_typeEPSI_NS1_7vsmem_tEENKUlT_SG_SH_SI_E_clISA_PiSB_PsEESF_SV_SG_SH_SI_EUlSV_E_NS1_11comp_targetILNS1_3genE8ELNS1_11target_archE1030ELNS1_3gpuE2ELNS1_3repE0EEENS1_48merge_mergepath_partition_config_static_selectorELNS0_4arch9wavefront6targetE1EEEvSH_.num_agpr, 0
	.set _ZN7rocprim17ROCPRIM_400000_NS6detail17trampoline_kernelINS0_14default_configENS1_38merge_sort_block_merge_config_selectorIisEEZZNS1_27merge_sort_block_merge_implIS3_N6thrust23THRUST_200600_302600_NS10device_ptrIiEENS9_IsEEjNS1_19radix_merge_compareILb0ELb0EiNS0_19identity_decomposerEEEEE10hipError_tT0_T1_T2_jT3_P12ihipStream_tbPNSt15iterator_traitsISG_E10value_typeEPNSM_ISH_E10value_typeEPSI_NS1_7vsmem_tEENKUlT_SG_SH_SI_E_clISA_PiSB_PsEESF_SV_SG_SH_SI_EUlSV_E_NS1_11comp_targetILNS1_3genE8ELNS1_11target_archE1030ELNS1_3gpuE2ELNS1_3repE0EEENS1_48merge_mergepath_partition_config_static_selectorELNS0_4arch9wavefront6targetE1EEEvSH_.numbered_sgpr, 0
	.set _ZN7rocprim17ROCPRIM_400000_NS6detail17trampoline_kernelINS0_14default_configENS1_38merge_sort_block_merge_config_selectorIisEEZZNS1_27merge_sort_block_merge_implIS3_N6thrust23THRUST_200600_302600_NS10device_ptrIiEENS9_IsEEjNS1_19radix_merge_compareILb0ELb0EiNS0_19identity_decomposerEEEEE10hipError_tT0_T1_T2_jT3_P12ihipStream_tbPNSt15iterator_traitsISG_E10value_typeEPNSM_ISH_E10value_typeEPSI_NS1_7vsmem_tEENKUlT_SG_SH_SI_E_clISA_PiSB_PsEESF_SV_SG_SH_SI_EUlSV_E_NS1_11comp_targetILNS1_3genE8ELNS1_11target_archE1030ELNS1_3gpuE2ELNS1_3repE0EEENS1_48merge_mergepath_partition_config_static_selectorELNS0_4arch9wavefront6targetE1EEEvSH_.num_named_barrier, 0
	.set _ZN7rocprim17ROCPRIM_400000_NS6detail17trampoline_kernelINS0_14default_configENS1_38merge_sort_block_merge_config_selectorIisEEZZNS1_27merge_sort_block_merge_implIS3_N6thrust23THRUST_200600_302600_NS10device_ptrIiEENS9_IsEEjNS1_19radix_merge_compareILb0ELb0EiNS0_19identity_decomposerEEEEE10hipError_tT0_T1_T2_jT3_P12ihipStream_tbPNSt15iterator_traitsISG_E10value_typeEPNSM_ISH_E10value_typeEPSI_NS1_7vsmem_tEENKUlT_SG_SH_SI_E_clISA_PiSB_PsEESF_SV_SG_SH_SI_EUlSV_E_NS1_11comp_targetILNS1_3genE8ELNS1_11target_archE1030ELNS1_3gpuE2ELNS1_3repE0EEENS1_48merge_mergepath_partition_config_static_selectorELNS0_4arch9wavefront6targetE1EEEvSH_.private_seg_size, 0
	.set _ZN7rocprim17ROCPRIM_400000_NS6detail17trampoline_kernelINS0_14default_configENS1_38merge_sort_block_merge_config_selectorIisEEZZNS1_27merge_sort_block_merge_implIS3_N6thrust23THRUST_200600_302600_NS10device_ptrIiEENS9_IsEEjNS1_19radix_merge_compareILb0ELb0EiNS0_19identity_decomposerEEEEE10hipError_tT0_T1_T2_jT3_P12ihipStream_tbPNSt15iterator_traitsISG_E10value_typeEPNSM_ISH_E10value_typeEPSI_NS1_7vsmem_tEENKUlT_SG_SH_SI_E_clISA_PiSB_PsEESF_SV_SG_SH_SI_EUlSV_E_NS1_11comp_targetILNS1_3genE8ELNS1_11target_archE1030ELNS1_3gpuE2ELNS1_3repE0EEENS1_48merge_mergepath_partition_config_static_selectorELNS0_4arch9wavefront6targetE1EEEvSH_.uses_vcc, 0
	.set _ZN7rocprim17ROCPRIM_400000_NS6detail17trampoline_kernelINS0_14default_configENS1_38merge_sort_block_merge_config_selectorIisEEZZNS1_27merge_sort_block_merge_implIS3_N6thrust23THRUST_200600_302600_NS10device_ptrIiEENS9_IsEEjNS1_19radix_merge_compareILb0ELb0EiNS0_19identity_decomposerEEEEE10hipError_tT0_T1_T2_jT3_P12ihipStream_tbPNSt15iterator_traitsISG_E10value_typeEPNSM_ISH_E10value_typeEPSI_NS1_7vsmem_tEENKUlT_SG_SH_SI_E_clISA_PiSB_PsEESF_SV_SG_SH_SI_EUlSV_E_NS1_11comp_targetILNS1_3genE8ELNS1_11target_archE1030ELNS1_3gpuE2ELNS1_3repE0EEENS1_48merge_mergepath_partition_config_static_selectorELNS0_4arch9wavefront6targetE1EEEvSH_.uses_flat_scratch, 0
	.set _ZN7rocprim17ROCPRIM_400000_NS6detail17trampoline_kernelINS0_14default_configENS1_38merge_sort_block_merge_config_selectorIisEEZZNS1_27merge_sort_block_merge_implIS3_N6thrust23THRUST_200600_302600_NS10device_ptrIiEENS9_IsEEjNS1_19radix_merge_compareILb0ELb0EiNS0_19identity_decomposerEEEEE10hipError_tT0_T1_T2_jT3_P12ihipStream_tbPNSt15iterator_traitsISG_E10value_typeEPNSM_ISH_E10value_typeEPSI_NS1_7vsmem_tEENKUlT_SG_SH_SI_E_clISA_PiSB_PsEESF_SV_SG_SH_SI_EUlSV_E_NS1_11comp_targetILNS1_3genE8ELNS1_11target_archE1030ELNS1_3gpuE2ELNS1_3repE0EEENS1_48merge_mergepath_partition_config_static_selectorELNS0_4arch9wavefront6targetE1EEEvSH_.has_dyn_sized_stack, 0
	.set _ZN7rocprim17ROCPRIM_400000_NS6detail17trampoline_kernelINS0_14default_configENS1_38merge_sort_block_merge_config_selectorIisEEZZNS1_27merge_sort_block_merge_implIS3_N6thrust23THRUST_200600_302600_NS10device_ptrIiEENS9_IsEEjNS1_19radix_merge_compareILb0ELb0EiNS0_19identity_decomposerEEEEE10hipError_tT0_T1_T2_jT3_P12ihipStream_tbPNSt15iterator_traitsISG_E10value_typeEPNSM_ISH_E10value_typeEPSI_NS1_7vsmem_tEENKUlT_SG_SH_SI_E_clISA_PiSB_PsEESF_SV_SG_SH_SI_EUlSV_E_NS1_11comp_targetILNS1_3genE8ELNS1_11target_archE1030ELNS1_3gpuE2ELNS1_3repE0EEENS1_48merge_mergepath_partition_config_static_selectorELNS0_4arch9wavefront6targetE1EEEvSH_.has_recursion, 0
	.set _ZN7rocprim17ROCPRIM_400000_NS6detail17trampoline_kernelINS0_14default_configENS1_38merge_sort_block_merge_config_selectorIisEEZZNS1_27merge_sort_block_merge_implIS3_N6thrust23THRUST_200600_302600_NS10device_ptrIiEENS9_IsEEjNS1_19radix_merge_compareILb0ELb0EiNS0_19identity_decomposerEEEEE10hipError_tT0_T1_T2_jT3_P12ihipStream_tbPNSt15iterator_traitsISG_E10value_typeEPNSM_ISH_E10value_typeEPSI_NS1_7vsmem_tEENKUlT_SG_SH_SI_E_clISA_PiSB_PsEESF_SV_SG_SH_SI_EUlSV_E_NS1_11comp_targetILNS1_3genE8ELNS1_11target_archE1030ELNS1_3gpuE2ELNS1_3repE0EEENS1_48merge_mergepath_partition_config_static_selectorELNS0_4arch9wavefront6targetE1EEEvSH_.has_indirect_call, 0
	.section	.AMDGPU.csdata,"",@progbits
; Kernel info:
; codeLenInByte = 0
; TotalNumSgprs: 6
; NumVgprs: 0
; NumAgprs: 0
; TotalNumVgprs: 0
; ScratchSize: 0
; MemoryBound: 0
; FloatMode: 240
; IeeeMode: 1
; LDSByteSize: 0 bytes/workgroup (compile time only)
; SGPRBlocks: 0
; VGPRBlocks: 0
; NumSGPRsForWavesPerEU: 6
; NumVGPRsForWavesPerEU: 1
; AccumOffset: 4
; Occupancy: 8
; WaveLimiterHint : 0
; COMPUTE_PGM_RSRC2:SCRATCH_EN: 0
; COMPUTE_PGM_RSRC2:USER_SGPR: 2
; COMPUTE_PGM_RSRC2:TRAP_HANDLER: 0
; COMPUTE_PGM_RSRC2:TGID_X_EN: 1
; COMPUTE_PGM_RSRC2:TGID_Y_EN: 0
; COMPUTE_PGM_RSRC2:TGID_Z_EN: 0
; COMPUTE_PGM_RSRC2:TIDIG_COMP_CNT: 0
; COMPUTE_PGM_RSRC3_GFX90A:ACCUM_OFFSET: 0
; COMPUTE_PGM_RSRC3_GFX90A:TG_SPLIT: 0
	.section	.text._ZN7rocprim17ROCPRIM_400000_NS6detail17trampoline_kernelINS0_14default_configENS1_38merge_sort_block_merge_config_selectorIisEEZZNS1_27merge_sort_block_merge_implIS3_N6thrust23THRUST_200600_302600_NS10device_ptrIiEENS9_IsEEjNS1_19radix_merge_compareILb0ELb0EiNS0_19identity_decomposerEEEEE10hipError_tT0_T1_T2_jT3_P12ihipStream_tbPNSt15iterator_traitsISG_E10value_typeEPNSM_ISH_E10value_typeEPSI_NS1_7vsmem_tEENKUlT_SG_SH_SI_E_clISA_PiSB_PsEESF_SV_SG_SH_SI_EUlSV_E0_NS1_11comp_targetILNS1_3genE0ELNS1_11target_archE4294967295ELNS1_3gpuE0ELNS1_3repE0EEENS1_38merge_mergepath_config_static_selectorELNS0_4arch9wavefront6targetE1EEEvSH_,"axG",@progbits,_ZN7rocprim17ROCPRIM_400000_NS6detail17trampoline_kernelINS0_14default_configENS1_38merge_sort_block_merge_config_selectorIisEEZZNS1_27merge_sort_block_merge_implIS3_N6thrust23THRUST_200600_302600_NS10device_ptrIiEENS9_IsEEjNS1_19radix_merge_compareILb0ELb0EiNS0_19identity_decomposerEEEEE10hipError_tT0_T1_T2_jT3_P12ihipStream_tbPNSt15iterator_traitsISG_E10value_typeEPNSM_ISH_E10value_typeEPSI_NS1_7vsmem_tEENKUlT_SG_SH_SI_E_clISA_PiSB_PsEESF_SV_SG_SH_SI_EUlSV_E0_NS1_11comp_targetILNS1_3genE0ELNS1_11target_archE4294967295ELNS1_3gpuE0ELNS1_3repE0EEENS1_38merge_mergepath_config_static_selectorELNS0_4arch9wavefront6targetE1EEEvSH_,comdat
	.protected	_ZN7rocprim17ROCPRIM_400000_NS6detail17trampoline_kernelINS0_14default_configENS1_38merge_sort_block_merge_config_selectorIisEEZZNS1_27merge_sort_block_merge_implIS3_N6thrust23THRUST_200600_302600_NS10device_ptrIiEENS9_IsEEjNS1_19radix_merge_compareILb0ELb0EiNS0_19identity_decomposerEEEEE10hipError_tT0_T1_T2_jT3_P12ihipStream_tbPNSt15iterator_traitsISG_E10value_typeEPNSM_ISH_E10value_typeEPSI_NS1_7vsmem_tEENKUlT_SG_SH_SI_E_clISA_PiSB_PsEESF_SV_SG_SH_SI_EUlSV_E0_NS1_11comp_targetILNS1_3genE0ELNS1_11target_archE4294967295ELNS1_3gpuE0ELNS1_3repE0EEENS1_38merge_mergepath_config_static_selectorELNS0_4arch9wavefront6targetE1EEEvSH_ ; -- Begin function _ZN7rocprim17ROCPRIM_400000_NS6detail17trampoline_kernelINS0_14default_configENS1_38merge_sort_block_merge_config_selectorIisEEZZNS1_27merge_sort_block_merge_implIS3_N6thrust23THRUST_200600_302600_NS10device_ptrIiEENS9_IsEEjNS1_19radix_merge_compareILb0ELb0EiNS0_19identity_decomposerEEEEE10hipError_tT0_T1_T2_jT3_P12ihipStream_tbPNSt15iterator_traitsISG_E10value_typeEPNSM_ISH_E10value_typeEPSI_NS1_7vsmem_tEENKUlT_SG_SH_SI_E_clISA_PiSB_PsEESF_SV_SG_SH_SI_EUlSV_E0_NS1_11comp_targetILNS1_3genE0ELNS1_11target_archE4294967295ELNS1_3gpuE0ELNS1_3repE0EEENS1_38merge_mergepath_config_static_selectorELNS0_4arch9wavefront6targetE1EEEvSH_
	.globl	_ZN7rocprim17ROCPRIM_400000_NS6detail17trampoline_kernelINS0_14default_configENS1_38merge_sort_block_merge_config_selectorIisEEZZNS1_27merge_sort_block_merge_implIS3_N6thrust23THRUST_200600_302600_NS10device_ptrIiEENS9_IsEEjNS1_19radix_merge_compareILb0ELb0EiNS0_19identity_decomposerEEEEE10hipError_tT0_T1_T2_jT3_P12ihipStream_tbPNSt15iterator_traitsISG_E10value_typeEPNSM_ISH_E10value_typeEPSI_NS1_7vsmem_tEENKUlT_SG_SH_SI_E_clISA_PiSB_PsEESF_SV_SG_SH_SI_EUlSV_E0_NS1_11comp_targetILNS1_3genE0ELNS1_11target_archE4294967295ELNS1_3gpuE0ELNS1_3repE0EEENS1_38merge_mergepath_config_static_selectorELNS0_4arch9wavefront6targetE1EEEvSH_
	.p2align	8
	.type	_ZN7rocprim17ROCPRIM_400000_NS6detail17trampoline_kernelINS0_14default_configENS1_38merge_sort_block_merge_config_selectorIisEEZZNS1_27merge_sort_block_merge_implIS3_N6thrust23THRUST_200600_302600_NS10device_ptrIiEENS9_IsEEjNS1_19radix_merge_compareILb0ELb0EiNS0_19identity_decomposerEEEEE10hipError_tT0_T1_T2_jT3_P12ihipStream_tbPNSt15iterator_traitsISG_E10value_typeEPNSM_ISH_E10value_typeEPSI_NS1_7vsmem_tEENKUlT_SG_SH_SI_E_clISA_PiSB_PsEESF_SV_SG_SH_SI_EUlSV_E0_NS1_11comp_targetILNS1_3genE0ELNS1_11target_archE4294967295ELNS1_3gpuE0ELNS1_3repE0EEENS1_38merge_mergepath_config_static_selectorELNS0_4arch9wavefront6targetE1EEEvSH_,@function
_ZN7rocprim17ROCPRIM_400000_NS6detail17trampoline_kernelINS0_14default_configENS1_38merge_sort_block_merge_config_selectorIisEEZZNS1_27merge_sort_block_merge_implIS3_N6thrust23THRUST_200600_302600_NS10device_ptrIiEENS9_IsEEjNS1_19radix_merge_compareILb0ELb0EiNS0_19identity_decomposerEEEEE10hipError_tT0_T1_T2_jT3_P12ihipStream_tbPNSt15iterator_traitsISG_E10value_typeEPNSM_ISH_E10value_typeEPSI_NS1_7vsmem_tEENKUlT_SG_SH_SI_E_clISA_PiSB_PsEESF_SV_SG_SH_SI_EUlSV_E0_NS1_11comp_targetILNS1_3genE0ELNS1_11target_archE4294967295ELNS1_3gpuE0ELNS1_3repE0EEENS1_38merge_mergepath_config_static_selectorELNS0_4arch9wavefront6targetE1EEEvSH_: ; @_ZN7rocprim17ROCPRIM_400000_NS6detail17trampoline_kernelINS0_14default_configENS1_38merge_sort_block_merge_config_selectorIisEEZZNS1_27merge_sort_block_merge_implIS3_N6thrust23THRUST_200600_302600_NS10device_ptrIiEENS9_IsEEjNS1_19radix_merge_compareILb0ELb0EiNS0_19identity_decomposerEEEEE10hipError_tT0_T1_T2_jT3_P12ihipStream_tbPNSt15iterator_traitsISG_E10value_typeEPNSM_ISH_E10value_typeEPSI_NS1_7vsmem_tEENKUlT_SG_SH_SI_E_clISA_PiSB_PsEESF_SV_SG_SH_SI_EUlSV_E0_NS1_11comp_targetILNS1_3genE0ELNS1_11target_archE4294967295ELNS1_3gpuE0ELNS1_3repE0EEENS1_38merge_mergepath_config_static_selectorELNS0_4arch9wavefront6targetE1EEEvSH_
; %bb.0:
	s_load_dwordx2 s[26:27], s[0:1], 0x40
	s_load_dword s5, s[0:1], 0x30
	s_add_u32 s22, s0, 64
	s_addc_u32 s23, s1, 0
	s_waitcnt lgkmcnt(0)
	s_mul_i32 s4, s27, s4
	s_add_i32 s3, s4, s3
	s_mul_i32 s3, s3, s26
	s_add_i32 s24, s3, s2
	s_cmp_ge_u32 s24, s5
	s_cbranch_scc1 .LBB2322_46
; %bb.1:
	s_load_dwordx8 s[8:15], s[0:1], 0x10
	s_load_dwordx2 s[20:21], s[0:1], 0x8
	s_load_dwordx2 s[4:5], s[0:1], 0x38
	s_mov_b32 s25, 0
	v_mov_b32_e32 v5, 0
	s_waitcnt lgkmcnt(0)
	s_lshr_b32 s27, s14, 10
	s_cmp_lg_u32 s24, s27
	s_cselect_b64 s[18:19], -1, 0
	s_lshl_b64 s[0:1], s[24:25], 2
	s_add_u32 s4, s4, s0
	s_addc_u32 s5, s5, s1
	s_lshr_b32 s3, s15, 9
	s_and_b32 s3, s3, 0x7ffffe
	s_load_dwordx2 s[0:1], s[4:5], 0x0
	s_sub_i32 s3, 0, s3
	s_and_b32 s4, s24, s3
	s_lshl_b32 s5, s4, 10
	s_lshl_b32 s16, s24, 10
	;; [unrolled: 1-line block ×3, first 2 shown]
	s_sub_i32 s6, s16, s5
	s_add_i32 s7, s4, s15
	s_add_i32 s6, s7, s6
	s_waitcnt lgkmcnt(0)
	s_sub_i32 s4, s6, s0
	s_sub_i32 s6, s6, s1
	;; [unrolled: 1-line block ×3, first 2 shown]
	s_min_u32 s4, s14, s4
	s_addk_i32 s6, 0x400
	s_or_b32 s3, s24, s3
	s_min_u32 s7, s14, s5
	s_add_i32 s5, s5, s15
	s_cmp_eq_u32 s3, -1
	s_cselect_b32 s1, s7, s1
	s_cselect_b32 s3, s5, s6
	s_sub_i32 s15, s1, s0
	s_mov_b32 s1, s25
	s_min_u32 s17, s3, s14
	s_lshl_b64 s[6:7], s[0:1], 2
	s_add_u32 s6, s20, s6
	s_mov_b32 s5, s25
	s_addc_u32 s7, s21, s7
	s_lshl_b64 s[28:29], s[4:5], 2
	s_add_u32 s20, s20, s28
	s_addc_u32 s21, s21, s29
	s_cmp_lt_u32 s2, s26
	s_cselect_b32 s2, 12, 18
	global_load_dword v1, v5, s[22:23] offset:14
	s_add_u32 s2, s22, s2
	s_addc_u32 s3, s23, 0
	global_load_ushort v2, v5, s[2:3]
	s_cmp_eq_u32 s24, s27
	v_lshlrev_b32_e32 v6, 2, v0
	s_waitcnt vmcnt(1)
	v_lshrrev_b32_e32 v3, 16, v1
	v_and_b32_e32 v1, 0xffff, v1
	v_mul_lo_u32 v1, v1, v3
	s_waitcnt vmcnt(0)
	v_mul_lo_u32 v1, v1, v2
	v_add_u32_e32 v12, v1, v0
	v_add_u32_e32 v10, v12, v1
	s_cbranch_scc1 .LBB2322_3
; %bb.2:
	v_mov_b32_e32 v7, v5
	v_subrev_co_u32_e32 v4, vcc, s15, v0
	v_lshl_add_u64 v[2:3], s[6:7], 0, v[6:7]
	v_lshl_add_u64 v[8:9], v[4:5], 2, s[20:21]
	v_cndmask_b32_e32 v3, v9, v3, vcc
	v_cndmask_b32_e32 v2, v8, v2, vcc
	v_mov_b32_e32 v13, v5
	v_subrev_co_u32_e32 v4, vcc, s15, v12
	v_lshl_add_u64 v[8:9], v[12:13], 2, s[6:7]
	v_lshl_add_u64 v[14:15], v[4:5], 2, s[20:21]
	v_cndmask_b32_e32 v9, v15, v9, vcc
	v_cndmask_b32_e32 v8, v14, v8, vcc
	v_mov_b32_e32 v11, v5
	v_subrev_co_u32_e32 v4, vcc, s15, v10
	global_load_dword v2, v[2:3], off
	v_lshl_add_u64 v[14:15], v[4:5], 2, s[20:21]
	global_load_dword v3, v[8:9], off
	v_lshl_add_u64 v[8:9], v[10:11], 2, s[6:7]
	v_cndmask_b32_e32 v9, v15, v9, vcc
	v_cndmask_b32_e32 v8, v14, v8, vcc
	global_load_dword v4, v[8:9], off
	v_add_u32_e32 v8, v10, v1
	s_mov_b64 s[2:3], -1
	s_sub_i32 s17, s17, s4
	s_cbranch_execz .LBB2322_4
	s_branch .LBB2322_9
.LBB2322_3:
	s_mov_b64 s[2:3], 0
                                        ; implicit-def: $vgpr8
                                        ; implicit-def: $vgpr2_vgpr3_vgpr4_vgpr5
	s_sub_i32 s17, s17, s4
.LBB2322_4:
	s_add_i32 s22, s17, s15
	s_waitcnt vmcnt(2)
	v_mov_b32_e32 v2, 0
	v_cmp_gt_u32_e32 vcc, s22, v0
	s_waitcnt vmcnt(1)
	v_mov_b32_e32 v3, v2
	s_waitcnt vmcnt(0)
	v_mov_b32_e32 v4, v2
	v_mov_b32_e32 v5, v2
	s_and_saveexec_b64 s[2:3], vcc
	s_cbranch_execnz .LBB2322_47
; %bb.5:
	s_or_b64 exec, exec, s[2:3]
	v_cmp_gt_u32_e32 vcc, s22, v12
	s_and_saveexec_b64 s[2:3], vcc
	s_cbranch_execnz .LBB2322_48
.LBB2322_6:
	s_or_b64 exec, exec, s[2:3]
	v_cmp_gt_u32_e32 vcc, s22, v10
	s_and_saveexec_b64 s[2:3], vcc
	s_cbranch_execz .LBB2322_8
.LBB2322_7:
	v_mov_b32_e32 v11, 0
	v_subrev_co_u32_e32 v14, vcc, s15, v10
	v_mov_b32_e32 v15, v11
	v_lshl_add_u64 v[8:9], v[10:11], 2, s[6:7]
	v_lshl_add_u64 v[14:15], v[14:15], 2, s[20:21]
	v_cndmask_b32_e32 v9, v15, v9, vcc
	v_cndmask_b32_e32 v8, v14, v8, vcc
	global_load_dword v4, v[8:9], off
.LBB2322_8:
	s_or_b64 exec, exec, s[2:3]
	v_add_u32_e32 v8, v10, v1
	v_cmp_gt_u32_e64 s[2:3], s22, v8
.LBB2322_9:
	s_and_saveexec_b64 s[22:23], s[2:3]
	s_cbranch_execz .LBB2322_11
; %bb.10:
	v_mov_b32_e32 v15, 0
	v_mov_b32_e32 v9, v15
	v_subrev_co_u32_e32 v14, vcc, s15, v8
	v_lshl_add_u64 v[16:17], v[8:9], 2, s[6:7]
	v_lshl_add_u64 v[8:9], v[14:15], 2, s[20:21]
	v_cndmask_b32_e32 v9, v9, v17, vcc
	v_cndmask_b32_e32 v8, v8, v16, vcc
	global_load_dword v5, v[8:9], off
.LBB2322_11:
	s_or_b64 exec, exec, s[22:23]
	s_lshl_b64 s[0:1], s[0:1], 1
	s_add_u32 s0, s10, s0
	s_addc_u32 s1, s11, s1
	s_lshl_b64 s[2:3], s[4:5], 1
	s_add_u32 s2, s10, s2
	v_mov_b32_e32 v15, 0
	s_addc_u32 s3, s11, s3
	s_andn2_b64 vcc, exec, s[18:19]
	v_lshlrev_b32_e32 v8, 1, v0
	s_waitcnt vmcnt(0)
	ds_write2st64_b32 v6, v2, v3 offset1:4
	ds_write2st64_b32 v6, v4, v5 offset0:8 offset1:12
	s_cbranch_vccnz .LBB2322_13
; %bb.12:
	v_mov_b32_e32 v9, v15
	v_subrev_co_u32_e32 v14, vcc, s15, v0
	v_lshl_add_u64 v[16:17], s[0:1], 0, v[8:9]
	v_lshl_add_u64 v[18:19], v[14:15], 1, s[2:3]
	v_cndmask_b32_e32 v17, v19, v17, vcc
	v_cndmask_b32_e32 v16, v18, v16, vcc
	v_mov_b32_e32 v13, v15
	v_subrev_co_u32_e32 v14, vcc, s15, v12
	global_load_ushort v7, v[16:17], off
	v_lshl_add_u64 v[16:17], v[12:13], 1, s[0:1]
	v_lshl_add_u64 v[18:19], v[14:15], 1, s[2:3]
	v_cndmask_b32_e32 v17, v19, v17, vcc
	v_cndmask_b32_e32 v16, v18, v16, vcc
	v_mov_b32_e32 v11, v15
	v_subrev_co_u32_e32 v14, vcc, s15, v10
	global_load_ushort v9, v[16:17], off
	v_lshl_add_u64 v[16:17], v[10:11], 1, s[0:1]
	v_lshl_add_u64 v[14:15], v[14:15], 1, s[2:3]
	v_cndmask_b32_e32 v15, v15, v17, vcc
	v_cndmask_b32_e32 v14, v14, v16, vcc
	global_load_ushort v11, v[14:15], off
	s_mov_b32 s10, 0x5040100
	s_add_i32 s11, s17, s15
	v_add_u32_e32 v16, v10, v1
	s_mov_b64 s[4:5], -1
	s_waitcnt vmcnt(1)
	v_perm_b32 v14, v9, v7, s10
	v_mov_b32_e32 v7, s11
	s_waitcnt vmcnt(0)
	v_and_b32_e32 v15, 0xffff, v11
	s_cbranch_execz .LBB2322_14
	s_branch .LBB2322_19
.LBB2322_13:
	s_mov_b64 s[4:5], 0
                                        ; implicit-def: $vgpr16
                                        ; implicit-def: $vgpr14_vgpr15
                                        ; implicit-def: $vgpr7
.LBB2322_14:
	s_add_i32 s6, s17, s15
	v_mov_b32_e32 v14, 0
	v_cmp_gt_u32_e32 vcc, s6, v0
	v_mov_b32_e32 v15, v14
	s_and_saveexec_b64 s[4:5], vcc
	s_cbranch_execnz .LBB2322_49
; %bb.15:
	s_or_b64 exec, exec, s[4:5]
	v_cmp_gt_u32_e32 vcc, s6, v12
	s_and_saveexec_b64 s[4:5], vcc
	s_cbranch_execnz .LBB2322_50
.LBB2322_16:
	s_or_b64 exec, exec, s[4:5]
	v_cmp_gt_u32_e32 vcc, s6, v10
	s_and_saveexec_b64 s[4:5], vcc
	s_cbranch_execz .LBB2322_18
.LBB2322_17:
	v_mov_b32_e32 v11, 0
	v_subrev_co_u32_e32 v16, vcc, s15, v10
	v_mov_b32_e32 v17, v11
	v_lshl_add_u64 v[12:13], v[10:11], 1, s[0:1]
	v_lshl_add_u64 v[16:17], v[16:17], 1, s[2:3]
	v_cndmask_b32_e32 v13, v17, v13, vcc
	v_cndmask_b32_e32 v12, v16, v12, vcc
	global_load_ushort v7, v[12:13], off
	s_mov_b32 s7, 0xffff
	s_waitcnt vmcnt(0)
	v_bfi_b32 v15, s7, v7, v15
.LBB2322_18:
	s_or_b64 exec, exec, s[4:5]
	v_add_u32_e32 v16, v10, v1
	v_cmp_gt_u32_e64 s[4:5], s6, v16
	v_mov_b32_e32 v7, s6
.LBB2322_19:
	s_and_saveexec_b64 s[6:7], s[4:5]
	s_cbranch_execz .LBB2322_21
; %bb.20:
	v_mov_b32_e32 v11, 0
	v_mov_b32_e32 v17, v11
	v_subrev_co_u32_e32 v10, vcc, s15, v16
	v_lshl_add_u64 v[12:13], v[16:17], 1, s[0:1]
	v_lshl_add_u64 v[10:11], v[10:11], 1, s[2:3]
	v_cndmask_b32_e32 v11, v11, v13, vcc
	v_cndmask_b32_e32 v10, v10, v12, vcc
	global_load_ushort v1, v[10:11], off
	s_mov_b32 s0, 0x5040100
	s_waitcnt vmcnt(0)
	v_perm_b32 v15, v1, v15, s0
.LBB2322_21:
	s_or_b64 exec, exec, s[6:7]
	v_min_u32_e32 v9, v7, v6
	v_sub_u32_e64 v1, v9, s17 clamp
	v_min_u32_e32 v10, s15, v9
	v_cmp_lt_u32_e32 vcc, v1, v10
	s_waitcnt lgkmcnt(0)
	s_barrier
	s_and_saveexec_b64 s[0:1], vcc
	s_cbranch_execz .LBB2322_25
; %bb.22:
	v_lshlrev_b32_e32 v11, 2, v9
	v_lshl_add_u32 v11, s15, 2, v11
	s_mov_b64 s[2:3], 0
.LBB2322_23:                            ; =>This Inner Loop Header: Depth=1
	v_add_u32_e32 v12, v10, v1
	v_lshrrev_b32_e32 v12, 1, v12
	v_not_b32_e32 v13, v12
	v_lshlrev_b32_e32 v16, 2, v12
	v_lshl_add_u32 v13, v13, 2, v11
	ds_read_b32 v16, v16
	ds_read_b32 v13, v13
	v_add_u32_e32 v17, 1, v12
	s_waitcnt lgkmcnt(0)
	v_cmp_gt_i32_e32 vcc, v16, v13
	s_nop 1
	v_cndmask_b32_e32 v10, v10, v12, vcc
	v_cndmask_b32_e32 v1, v17, v1, vcc
	v_cmp_ge_u32_e32 vcc, v1, v10
	s_or_b64 s[2:3], vcc, s[2:3]
	s_andn2_b64 exec, exec, s[2:3]
	s_cbranch_execnz .LBB2322_23
; %bb.24:
	s_or_b64 exec, exec, s[2:3]
.LBB2322_25:
	s_or_b64 exec, exec, s[0:1]
	v_sub_u32_e32 v9, v9, v1
	v_add_u32_e32 v12, s15, v9
	v_cmp_ge_u32_e32 vcc, s15, v1
	v_cmp_le_u32_e64 s[0:1], v12, v7
	s_or_b64 s[0:1], vcc, s[0:1]
	v_mov_b32_e32 v13, 0
	v_mov_b32_e32 v11, 0
	;; [unrolled: 1-line block ×4, first 2 shown]
	s_and_saveexec_b64 s[10:11], s[0:1]
	s_cbranch_execz .LBB2322_31
; %bb.26:
	v_cmp_gt_u32_e32 vcc, s15, v1
                                        ; implicit-def: $vgpr2
	s_and_saveexec_b64 s[0:1], vcc
; %bb.27:
	v_lshlrev_b32_e32 v2, 2, v1
	ds_read_b32 v2, v2
; %bb.28:
	s_or_b64 exec, exec, s[0:1]
	v_cmp_ge_u32_e64 s[0:1], v12, v7
	v_cmp_lt_u32_e64 s[2:3], v12, v7
                                        ; implicit-def: $vgpr3
	s_and_saveexec_b64 s[4:5], s[2:3]
; %bb.29:
	v_lshlrev_b32_e32 v3, 2, v12
	ds_read_b32 v3, v3
; %bb.30:
	s_or_b64 exec, exec, s[4:5]
	s_waitcnt lgkmcnt(0)
	v_cmp_le_i32_e64 s[2:3], v2, v3
	s_and_b64 s[2:3], vcc, s[2:3]
	s_or_b64 vcc, s[0:1], s[2:3]
	v_mov_b32_e32 v4, s15
	v_cndmask_b32_e32 v9, v12, v1, vcc
	v_cndmask_b32_e32 v5, v7, v4, vcc
	v_add_u32_e32 v10, 1, v9
	v_add_u32_e32 v5, -1, v5
	v_min_u32_e32 v5, v10, v5
	v_lshlrev_b32_e32 v5, 2, v5
	ds_read_b32 v5, v5
	v_cndmask_b32_e32 v1, v1, v10, vcc
	v_cndmask_b32_e32 v11, v10, v12, vcc
	v_cmp_gt_u32_e64 s[2:3], s15, v1
	v_cmp_ge_u32_e64 s[0:1], v11, v7
	s_waitcnt lgkmcnt(0)
	v_cndmask_b32_e32 v13, v5, v3, vcc
	v_cndmask_b32_e32 v5, v2, v5, vcc
	v_cmp_le_i32_e64 s[4:5], v5, v13
	s_and_b64 s[2:3], s[2:3], s[4:5]
	s_or_b64 s[0:1], s[0:1], s[2:3]
	v_cndmask_b32_e64 v10, v11, v1, s[0:1]
	v_cndmask_b32_e64 v12, v7, v4, s[0:1]
	v_add_u32_e32 v16, 1, v10
	v_add_u32_e32 v12, -1, v12
	v_min_u32_e32 v12, v16, v12
	v_lshlrev_b32_e32 v12, 2, v12
	ds_read_b32 v12, v12
	v_cndmask_b32_e64 v1, v1, v16, s[0:1]
	v_cndmask_b32_e64 v18, v16, v11, s[0:1]
	v_cmp_gt_u32_e64 s[4:5], s15, v1
	v_cmp_ge_u32_e64 s[2:3], v18, v7
	s_waitcnt lgkmcnt(0)
	v_cndmask_b32_e64 v17, v12, v13, s[0:1]
	v_cndmask_b32_e64 v12, v5, v12, s[0:1]
	v_cmp_le_i32_e64 s[6:7], v12, v17
	s_and_b64 s[4:5], s[4:5], s[6:7]
	s_or_b64 s[2:3], s[2:3], s[4:5]
	v_cndmask_b32_e64 v11, v18, v1, s[2:3]
	v_cndmask_b32_e64 v4, v7, v4, s[2:3]
	v_add_u32_e32 v16, 1, v11
	v_add_u32_e32 v4, -1, v4
	v_min_u32_e32 v4, v16, v4
	v_lshlrev_b32_e32 v4, 2, v4
	ds_read_b32 v19, v4
	v_cndmask_b32_e32 v2, v3, v2, vcc
	v_cndmask_b32_e64 v3, v13, v5, s[0:1]
	v_cndmask_b32_e64 v4, v17, v12, s[2:3]
	;; [unrolled: 1-line block ×3, first 2 shown]
	s_waitcnt lgkmcnt(0)
	v_cndmask_b32_e64 v5, v19, v17, s[2:3]
	v_cndmask_b32_e64 v12, v12, v19, s[2:3]
	;; [unrolled: 1-line block ×3, first 2 shown]
	v_cmp_gt_u32_e64 s[0:1], s15, v1
	v_cmp_le_i32_e64 s[2:3], v12, v5
	v_cmp_ge_u32_e32 vcc, v13, v7
	s_and_b64 s[0:1], s[0:1], s[2:3]
	s_or_b64 vcc, vcc, s[0:1]
	v_cndmask_b32_e32 v13, v13, v1, vcc
	v_cndmask_b32_e32 v5, v5, v12, vcc
.LBB2322_31:
	s_or_b64 exec, exec, s[10:11]
	v_sub_u32_e32 v1, v6, v8
	s_barrier
	ds_write_b16 v1, v14
	ds_write_b16_d16_hi v1, v14 offset:512
	ds_write_b16 v1, v15 offset:1024
	ds_write_b16_d16_hi v1, v15 offset:1536
	v_lshlrev_b32_e32 v1, 1, v9
	v_lshlrev_b32_e32 v7, 1, v10
	;; [unrolled: 1-line block ×4, first 2 shown]
	s_waitcnt lgkmcnt(0)
	s_barrier
	ds_read_u16 v1, v1
	ds_read_u16 v9, v7
	;; [unrolled: 1-line block ×4, first 2 shown]
	s_mov_b32 s17, 0
	s_lshl_b64 s[0:1], s[16:17], 2
	v_lshrrev_b32_e32 v12, 3, v0
	v_lshlrev_b32_e32 v7, 2, v6
	s_add_u32 s0, s8, s0
	v_lshl_add_u32 v7, v12, 2, v7
	v_or_b32_e32 v16, 0x100, v0
	v_or_b32_e32 v15, 0x200, v0
	;; [unrolled: 1-line block ×3, first 2 shown]
	s_waitcnt lgkmcnt(0)
	s_barrier
	s_barrier
	s_addc_u32 s1, s9, s1
	ds_write2_b32 v7, v2, v3 offset1:1
	ds_write2_b32 v7, v4, v5 offset0:2 offset1:3
	v_lshrrev_b32_e32 v4, 5, v0
	v_lshrrev_b32_e32 v5, 5, v16
	;; [unrolled: 1-line block ×4, first 2 shown]
	v_mov_b32_e32 v7, 0
	v_lshl_add_u32 v17, v4, 2, v6
	v_lshl_add_u32 v18, v5, 2, v6
	;; [unrolled: 1-line block ×4, first 2 shown]
	v_lshl_add_u64 v[2:3], s[0:1], 0, v[6:7]
	s_and_b64 vcc, exec, s[18:19]
	v_and_b32_e32 v12, 30, v12
	v_lshlrev_b32_e32 v13, 1, v6
	v_and_b32_e32 v7, 14, v5
	v_and_b32_e32 v6, 30, v21
	;; [unrolled: 1-line block ×3, first 2 shown]
	s_waitcnt lgkmcnt(0)
	s_cbranch_vccz .LBB2322_33
; %bb.32:
	s_barrier
	ds_read_b32 v21, v17
	ds_read_b32 v22, v18 offset:1024
	ds_read_b32 v23, v19 offset:2048
	;; [unrolled: 1-line block ×3, first 2 shown]
	s_mov_b32 s2, 0x5040100
	s_lshl_b64 s[0:1], s[16:17], 1
	s_waitcnt lgkmcnt(3)
	global_store_dword v[2:3], v21, off
	s_waitcnt lgkmcnt(2)
	global_store_dword v[2:3], v22, off offset:1024
	s_waitcnt lgkmcnt(1)
	global_store_dword v[2:3], v23, off offset:2048
	;; [unrolled: 2-line block ×3, first 2 shown]
	v_lshl_add_u32 v21, v12, 1, v13
	v_perm_b32 v22, v11, v10, s2
	v_perm_b32 v23, v9, v1, s2
	s_barrier
	ds_write2_b32 v21, v23, v22 offset1:1
	v_and_b32_e32 v21, 6, v4
	v_lshl_add_u32 v21, v21, 1, v8
	v_lshl_add_u32 v22, v7, 1, v8
	;; [unrolled: 1-line block ×3, first 2 shown]
	s_waitcnt lgkmcnt(0)
	s_barrier
	ds_read_u16 v24, v21
	ds_read_u16 v22, v22 offset:512
	ds_read_u16 v23, v23 offset:1024
	v_lshl_add_u32 v21, v5, 1, v8
	ds_read_u16 v21, v21 offset:1536
	s_add_u32 s0, s12, s0
	s_addc_u32 s1, s13, s1
	s_waitcnt lgkmcnt(3)
	global_store_short v8, v24, s[0:1]
	s_waitcnt lgkmcnt(2)
	global_store_short v8, v22, s[0:1] offset:512
	s_waitcnt lgkmcnt(1)
	global_store_short v8, v23, s[0:1] offset:1024
	s_mov_b64 s[4:5], -1
	s_cbranch_execz .LBB2322_34
	s_branch .LBB2322_44
.LBB2322_33:
	s_mov_b64 s[4:5], 0
                                        ; implicit-def: $vgpr21
.LBB2322_34:
	s_barrier
	s_waitcnt lgkmcnt(0)
	ds_read_b32 v21, v18 offset:1024
	ds_read_b32 v19, v19 offset:2048
	ds_read_b32 v18, v20 offset:3072
	s_sub_i32 s6, s14, s16
	v_cmp_gt_u32_e32 vcc, s6, v0
	s_and_saveexec_b64 s[0:1], vcc
	s_cbranch_execnz .LBB2322_51
; %bb.35:
	s_or_b64 exec, exec, s[0:1]
	v_cmp_gt_u32_e64 s[0:1], s6, v16
	s_and_saveexec_b64 s[2:3], s[0:1]
	s_cbranch_execnz .LBB2322_52
.LBB2322_36:
	s_or_b64 exec, exec, s[2:3]
	v_cmp_gt_u32_e64 s[2:3], s6, v15
	s_and_saveexec_b64 s[4:5], s[2:3]
	s_cbranch_execnz .LBB2322_53
.LBB2322_37:
	s_or_b64 exec, exec, s[4:5]
	v_cmp_gt_u32_e64 s[4:5], s6, v14
	s_and_saveexec_b64 s[6:7], s[4:5]
	s_cbranch_execz .LBB2322_39
.LBB2322_38:
	s_waitcnt lgkmcnt(0)
	global_store_dword v[2:3], v18, off offset:3072
.LBB2322_39:
	s_or_b64 exec, exec, s[6:7]
	s_mov_b32 s8, 0x5040100
	v_lshl_add_u32 v0, v12, 1, v13
	v_perm_b32 v2, v11, v10, s8
	v_perm_b32 v1, v9, v1, s8
	s_waitcnt lgkmcnt(0)
	s_barrier
	ds_write2_b32 v0, v1, v2 offset1:1
	v_lshl_add_u32 v0, v7, 1, v8
	s_waitcnt lgkmcnt(0)
	s_barrier
	v_lshl_add_u32 v1, v6, 1, v8
	v_lshl_add_u32 v5, v5, 1, v8
	ds_read_u16 v3, v0 offset:512
	ds_read_u16 v2, v1 offset:1024
	ds_read_u16 v21, v5 offset:1536
	s_lshl_b64 s[6:7], s[16:17], 1
	s_add_u32 s6, s12, s6
	s_addc_u32 s7, s13, s7
	v_mov_b32_e32 v9, 0
	v_lshl_add_u64 v[0:1], s[6:7], 0, v[8:9]
	s_and_saveexec_b64 s[6:7], vcc
	s_cbranch_execnz .LBB2322_54
; %bb.40:
	s_or_b64 exec, exec, s[6:7]
	s_and_saveexec_b64 s[6:7], s[0:1]
	s_cbranch_execnz .LBB2322_55
.LBB2322_41:
	s_or_b64 exec, exec, s[6:7]
	s_and_saveexec_b64 s[0:1], s[2:3]
	s_cbranch_execz .LBB2322_43
.LBB2322_42:
	s_waitcnt lgkmcnt(1)
	global_store_short v[0:1], v2, off offset:1024
.LBB2322_43:
	s_or_b64 exec, exec, s[0:1]
.LBB2322_44:
	s_and_saveexec_b64 s[0:1], s[4:5]
	s_cbranch_execz .LBB2322_46
; %bb.45:
	s_lshl_b64 s[0:1], s[16:17], 1
	s_add_u32 s0, s12, s0
	s_addc_u32 s1, s13, s1
	s_waitcnt lgkmcnt(0)
	global_store_short v8, v21, s[0:1] offset:1536
.LBB2322_46:
	s_endpgm
.LBB2322_47:
	v_mov_b32_e32 v7, v2
	v_subrev_co_u32_e32 v8, vcc, s15, v0
	v_mov_b32_e32 v9, v2
	v_lshl_add_u64 v[4:5], s[6:7], 0, v[6:7]
	v_lshl_add_u64 v[8:9], v[8:9], 2, s[20:21]
	v_cndmask_b32_e32 v5, v9, v5, vcc
	v_cndmask_b32_e32 v4, v8, v4, vcc
	global_load_dword v14, v[4:5], off
	v_mov_b32_e32 v15, v2
	v_mov_b32_e32 v16, v2
	;; [unrolled: 1-line block ×3, first 2 shown]
	s_waitcnt vmcnt(0)
	v_mov_b64_e32 v[2:3], v[14:15]
	v_mov_b64_e32 v[4:5], v[16:17]
	s_or_b64 exec, exec, s[2:3]
	v_cmp_gt_u32_e32 vcc, s22, v12
	s_and_saveexec_b64 s[2:3], vcc
	s_cbranch_execz .LBB2322_6
.LBB2322_48:
	v_mov_b32_e32 v13, 0
	v_subrev_co_u32_e32 v14, vcc, s15, v12
	v_mov_b32_e32 v15, v13
	v_lshl_add_u64 v[8:9], v[12:13], 2, s[6:7]
	v_lshl_add_u64 v[14:15], v[14:15], 2, s[20:21]
	v_cndmask_b32_e32 v9, v15, v9, vcc
	v_cndmask_b32_e32 v8, v14, v8, vcc
	global_load_dword v3, v[8:9], off
	s_or_b64 exec, exec, s[2:3]
	v_cmp_gt_u32_e32 vcc, s22, v10
	s_and_saveexec_b64 s[2:3], vcc
	s_cbranch_execnz .LBB2322_7
	s_branch .LBB2322_8
.LBB2322_49:
	v_mov_b32_e32 v9, v14
	v_subrev_co_u32_e32 v18, vcc, s15, v0
	v_mov_b32_e32 v19, v14
	v_lshl_add_u64 v[16:17], s[0:1], 0, v[8:9]
	v_lshl_add_u64 v[18:19], v[18:19], 1, s[2:3]
	v_cndmask_b32_e32 v17, v19, v17, vcc
	v_cndmask_b32_e32 v16, v18, v16, vcc
	global_load_ushort v7, v[16:17], off
	v_mov_b32_e32 v17, v14
	s_waitcnt vmcnt(0)
	v_and_b32_e32 v16, 0xffff, v7
	v_mov_b64_e32 v[14:15], v[16:17]
	s_or_b64 exec, exec, s[4:5]
	v_cmp_gt_u32_e32 vcc, s6, v12
	s_and_saveexec_b64 s[4:5], vcc
	s_cbranch_execz .LBB2322_16
.LBB2322_50:
	v_mov_b32_e32 v13, 0
	v_lshl_add_u64 v[16:17], v[12:13], 1, s[0:1]
	v_subrev_co_u32_e32 v12, vcc, s15, v12
	v_lshl_add_u64 v[12:13], v[12:13], 1, s[2:3]
	s_nop 0
	v_cndmask_b32_e32 v13, v13, v17, vcc
	v_cndmask_b32_e32 v12, v12, v16, vcc
	global_load_ushort v7, v[12:13], off
	s_mov_b32 s7, 0x5040100
	s_waitcnt vmcnt(0)
	v_perm_b32 v14, v7, v14, s7
	s_or_b64 exec, exec, s[4:5]
	v_cmp_gt_u32_e32 vcc, s6, v10
	s_and_saveexec_b64 s[4:5], vcc
	s_cbranch_execnz .LBB2322_17
	s_branch .LBB2322_18
.LBB2322_51:
	ds_read_b32 v0, v17
	s_waitcnt lgkmcnt(0)
	global_store_dword v[2:3], v0, off
	s_or_b64 exec, exec, s[0:1]
	v_cmp_gt_u32_e64 s[0:1], s6, v16
	s_and_saveexec_b64 s[2:3], s[0:1]
	s_cbranch_execz .LBB2322_36
.LBB2322_52:
	s_waitcnt lgkmcnt(2)
	global_store_dword v[2:3], v21, off offset:1024
	s_or_b64 exec, exec, s[2:3]
	v_cmp_gt_u32_e64 s[2:3], s6, v15
	s_and_saveexec_b64 s[4:5], s[2:3]
	s_cbranch_execz .LBB2322_37
.LBB2322_53:
	s_waitcnt lgkmcnt(1)
	global_store_dword v[2:3], v19, off offset:2048
	s_or_b64 exec, exec, s[4:5]
	v_cmp_gt_u32_e64 s[4:5], s6, v14
	s_and_saveexec_b64 s[6:7], s[4:5]
	s_cbranch_execnz .LBB2322_38
	s_branch .LBB2322_39
.LBB2322_54:
	v_and_b32_e32 v4, 6, v4
	v_lshl_add_u32 v4, v4, 1, v8
	ds_read_u16 v4, v4
	s_waitcnt lgkmcnt(0)
	global_store_short v[0:1], v4, off
	s_or_b64 exec, exec, s[6:7]
	s_and_saveexec_b64 s[6:7], s[0:1]
	s_cbranch_execz .LBB2322_41
.LBB2322_55:
	s_waitcnt lgkmcnt(2)
	global_store_short v[0:1], v3, off offset:512
	s_or_b64 exec, exec, s[6:7]
	s_and_saveexec_b64 s[0:1], s[2:3]
	s_cbranch_execnz .LBB2322_42
	s_branch .LBB2322_43
	.section	.rodata,"a",@progbits
	.p2align	6, 0x0
	.amdhsa_kernel _ZN7rocprim17ROCPRIM_400000_NS6detail17trampoline_kernelINS0_14default_configENS1_38merge_sort_block_merge_config_selectorIisEEZZNS1_27merge_sort_block_merge_implIS3_N6thrust23THRUST_200600_302600_NS10device_ptrIiEENS9_IsEEjNS1_19radix_merge_compareILb0ELb0EiNS0_19identity_decomposerEEEEE10hipError_tT0_T1_T2_jT3_P12ihipStream_tbPNSt15iterator_traitsISG_E10value_typeEPNSM_ISH_E10value_typeEPSI_NS1_7vsmem_tEENKUlT_SG_SH_SI_E_clISA_PiSB_PsEESF_SV_SG_SH_SI_EUlSV_E0_NS1_11comp_targetILNS1_3genE0ELNS1_11target_archE4294967295ELNS1_3gpuE0ELNS1_3repE0EEENS1_38merge_mergepath_config_static_selectorELNS0_4arch9wavefront6targetE1EEEvSH_
		.amdhsa_group_segment_fixed_size 4224
		.amdhsa_private_segment_fixed_size 0
		.amdhsa_kernarg_size 320
		.amdhsa_user_sgpr_count 2
		.amdhsa_user_sgpr_dispatch_ptr 0
		.amdhsa_user_sgpr_queue_ptr 0
		.amdhsa_user_sgpr_kernarg_segment_ptr 1
		.amdhsa_user_sgpr_dispatch_id 0
		.amdhsa_user_sgpr_kernarg_preload_length 0
		.amdhsa_user_sgpr_kernarg_preload_offset 0
		.amdhsa_user_sgpr_private_segment_size 0
		.amdhsa_uses_dynamic_stack 0
		.amdhsa_enable_private_segment 0
		.amdhsa_system_sgpr_workgroup_id_x 1
		.amdhsa_system_sgpr_workgroup_id_y 1
		.amdhsa_system_sgpr_workgroup_id_z 1
		.amdhsa_system_sgpr_workgroup_info 0
		.amdhsa_system_vgpr_workitem_id 0
		.amdhsa_next_free_vgpr 25
		.amdhsa_next_free_sgpr 30
		.amdhsa_accum_offset 28
		.amdhsa_reserve_vcc 1
		.amdhsa_float_round_mode_32 0
		.amdhsa_float_round_mode_16_64 0
		.amdhsa_float_denorm_mode_32 3
		.amdhsa_float_denorm_mode_16_64 3
		.amdhsa_dx10_clamp 1
		.amdhsa_ieee_mode 1
		.amdhsa_fp16_overflow 0
		.amdhsa_tg_split 0
		.amdhsa_exception_fp_ieee_invalid_op 0
		.amdhsa_exception_fp_denorm_src 0
		.amdhsa_exception_fp_ieee_div_zero 0
		.amdhsa_exception_fp_ieee_overflow 0
		.amdhsa_exception_fp_ieee_underflow 0
		.amdhsa_exception_fp_ieee_inexact 0
		.amdhsa_exception_int_div_zero 0
	.end_amdhsa_kernel
	.section	.text._ZN7rocprim17ROCPRIM_400000_NS6detail17trampoline_kernelINS0_14default_configENS1_38merge_sort_block_merge_config_selectorIisEEZZNS1_27merge_sort_block_merge_implIS3_N6thrust23THRUST_200600_302600_NS10device_ptrIiEENS9_IsEEjNS1_19radix_merge_compareILb0ELb0EiNS0_19identity_decomposerEEEEE10hipError_tT0_T1_T2_jT3_P12ihipStream_tbPNSt15iterator_traitsISG_E10value_typeEPNSM_ISH_E10value_typeEPSI_NS1_7vsmem_tEENKUlT_SG_SH_SI_E_clISA_PiSB_PsEESF_SV_SG_SH_SI_EUlSV_E0_NS1_11comp_targetILNS1_3genE0ELNS1_11target_archE4294967295ELNS1_3gpuE0ELNS1_3repE0EEENS1_38merge_mergepath_config_static_selectorELNS0_4arch9wavefront6targetE1EEEvSH_,"axG",@progbits,_ZN7rocprim17ROCPRIM_400000_NS6detail17trampoline_kernelINS0_14default_configENS1_38merge_sort_block_merge_config_selectorIisEEZZNS1_27merge_sort_block_merge_implIS3_N6thrust23THRUST_200600_302600_NS10device_ptrIiEENS9_IsEEjNS1_19radix_merge_compareILb0ELb0EiNS0_19identity_decomposerEEEEE10hipError_tT0_T1_T2_jT3_P12ihipStream_tbPNSt15iterator_traitsISG_E10value_typeEPNSM_ISH_E10value_typeEPSI_NS1_7vsmem_tEENKUlT_SG_SH_SI_E_clISA_PiSB_PsEESF_SV_SG_SH_SI_EUlSV_E0_NS1_11comp_targetILNS1_3genE0ELNS1_11target_archE4294967295ELNS1_3gpuE0ELNS1_3repE0EEENS1_38merge_mergepath_config_static_selectorELNS0_4arch9wavefront6targetE1EEEvSH_,comdat
.Lfunc_end2322:
	.size	_ZN7rocprim17ROCPRIM_400000_NS6detail17trampoline_kernelINS0_14default_configENS1_38merge_sort_block_merge_config_selectorIisEEZZNS1_27merge_sort_block_merge_implIS3_N6thrust23THRUST_200600_302600_NS10device_ptrIiEENS9_IsEEjNS1_19radix_merge_compareILb0ELb0EiNS0_19identity_decomposerEEEEE10hipError_tT0_T1_T2_jT3_P12ihipStream_tbPNSt15iterator_traitsISG_E10value_typeEPNSM_ISH_E10value_typeEPSI_NS1_7vsmem_tEENKUlT_SG_SH_SI_E_clISA_PiSB_PsEESF_SV_SG_SH_SI_EUlSV_E0_NS1_11comp_targetILNS1_3genE0ELNS1_11target_archE4294967295ELNS1_3gpuE0ELNS1_3repE0EEENS1_38merge_mergepath_config_static_selectorELNS0_4arch9wavefront6targetE1EEEvSH_, .Lfunc_end2322-_ZN7rocprim17ROCPRIM_400000_NS6detail17trampoline_kernelINS0_14default_configENS1_38merge_sort_block_merge_config_selectorIisEEZZNS1_27merge_sort_block_merge_implIS3_N6thrust23THRUST_200600_302600_NS10device_ptrIiEENS9_IsEEjNS1_19radix_merge_compareILb0ELb0EiNS0_19identity_decomposerEEEEE10hipError_tT0_T1_T2_jT3_P12ihipStream_tbPNSt15iterator_traitsISG_E10value_typeEPNSM_ISH_E10value_typeEPSI_NS1_7vsmem_tEENKUlT_SG_SH_SI_E_clISA_PiSB_PsEESF_SV_SG_SH_SI_EUlSV_E0_NS1_11comp_targetILNS1_3genE0ELNS1_11target_archE4294967295ELNS1_3gpuE0ELNS1_3repE0EEENS1_38merge_mergepath_config_static_selectorELNS0_4arch9wavefront6targetE1EEEvSH_
                                        ; -- End function
	.set _ZN7rocprim17ROCPRIM_400000_NS6detail17trampoline_kernelINS0_14default_configENS1_38merge_sort_block_merge_config_selectorIisEEZZNS1_27merge_sort_block_merge_implIS3_N6thrust23THRUST_200600_302600_NS10device_ptrIiEENS9_IsEEjNS1_19radix_merge_compareILb0ELb0EiNS0_19identity_decomposerEEEEE10hipError_tT0_T1_T2_jT3_P12ihipStream_tbPNSt15iterator_traitsISG_E10value_typeEPNSM_ISH_E10value_typeEPSI_NS1_7vsmem_tEENKUlT_SG_SH_SI_E_clISA_PiSB_PsEESF_SV_SG_SH_SI_EUlSV_E0_NS1_11comp_targetILNS1_3genE0ELNS1_11target_archE4294967295ELNS1_3gpuE0ELNS1_3repE0EEENS1_38merge_mergepath_config_static_selectorELNS0_4arch9wavefront6targetE1EEEvSH_.num_vgpr, 25
	.set _ZN7rocprim17ROCPRIM_400000_NS6detail17trampoline_kernelINS0_14default_configENS1_38merge_sort_block_merge_config_selectorIisEEZZNS1_27merge_sort_block_merge_implIS3_N6thrust23THRUST_200600_302600_NS10device_ptrIiEENS9_IsEEjNS1_19radix_merge_compareILb0ELb0EiNS0_19identity_decomposerEEEEE10hipError_tT0_T1_T2_jT3_P12ihipStream_tbPNSt15iterator_traitsISG_E10value_typeEPNSM_ISH_E10value_typeEPSI_NS1_7vsmem_tEENKUlT_SG_SH_SI_E_clISA_PiSB_PsEESF_SV_SG_SH_SI_EUlSV_E0_NS1_11comp_targetILNS1_3genE0ELNS1_11target_archE4294967295ELNS1_3gpuE0ELNS1_3repE0EEENS1_38merge_mergepath_config_static_selectorELNS0_4arch9wavefront6targetE1EEEvSH_.num_agpr, 0
	.set _ZN7rocprim17ROCPRIM_400000_NS6detail17trampoline_kernelINS0_14default_configENS1_38merge_sort_block_merge_config_selectorIisEEZZNS1_27merge_sort_block_merge_implIS3_N6thrust23THRUST_200600_302600_NS10device_ptrIiEENS9_IsEEjNS1_19radix_merge_compareILb0ELb0EiNS0_19identity_decomposerEEEEE10hipError_tT0_T1_T2_jT3_P12ihipStream_tbPNSt15iterator_traitsISG_E10value_typeEPNSM_ISH_E10value_typeEPSI_NS1_7vsmem_tEENKUlT_SG_SH_SI_E_clISA_PiSB_PsEESF_SV_SG_SH_SI_EUlSV_E0_NS1_11comp_targetILNS1_3genE0ELNS1_11target_archE4294967295ELNS1_3gpuE0ELNS1_3repE0EEENS1_38merge_mergepath_config_static_selectorELNS0_4arch9wavefront6targetE1EEEvSH_.numbered_sgpr, 30
	.set _ZN7rocprim17ROCPRIM_400000_NS6detail17trampoline_kernelINS0_14default_configENS1_38merge_sort_block_merge_config_selectorIisEEZZNS1_27merge_sort_block_merge_implIS3_N6thrust23THRUST_200600_302600_NS10device_ptrIiEENS9_IsEEjNS1_19radix_merge_compareILb0ELb0EiNS0_19identity_decomposerEEEEE10hipError_tT0_T1_T2_jT3_P12ihipStream_tbPNSt15iterator_traitsISG_E10value_typeEPNSM_ISH_E10value_typeEPSI_NS1_7vsmem_tEENKUlT_SG_SH_SI_E_clISA_PiSB_PsEESF_SV_SG_SH_SI_EUlSV_E0_NS1_11comp_targetILNS1_3genE0ELNS1_11target_archE4294967295ELNS1_3gpuE0ELNS1_3repE0EEENS1_38merge_mergepath_config_static_selectorELNS0_4arch9wavefront6targetE1EEEvSH_.num_named_barrier, 0
	.set _ZN7rocprim17ROCPRIM_400000_NS6detail17trampoline_kernelINS0_14default_configENS1_38merge_sort_block_merge_config_selectorIisEEZZNS1_27merge_sort_block_merge_implIS3_N6thrust23THRUST_200600_302600_NS10device_ptrIiEENS9_IsEEjNS1_19radix_merge_compareILb0ELb0EiNS0_19identity_decomposerEEEEE10hipError_tT0_T1_T2_jT3_P12ihipStream_tbPNSt15iterator_traitsISG_E10value_typeEPNSM_ISH_E10value_typeEPSI_NS1_7vsmem_tEENKUlT_SG_SH_SI_E_clISA_PiSB_PsEESF_SV_SG_SH_SI_EUlSV_E0_NS1_11comp_targetILNS1_3genE0ELNS1_11target_archE4294967295ELNS1_3gpuE0ELNS1_3repE0EEENS1_38merge_mergepath_config_static_selectorELNS0_4arch9wavefront6targetE1EEEvSH_.private_seg_size, 0
	.set _ZN7rocprim17ROCPRIM_400000_NS6detail17trampoline_kernelINS0_14default_configENS1_38merge_sort_block_merge_config_selectorIisEEZZNS1_27merge_sort_block_merge_implIS3_N6thrust23THRUST_200600_302600_NS10device_ptrIiEENS9_IsEEjNS1_19radix_merge_compareILb0ELb0EiNS0_19identity_decomposerEEEEE10hipError_tT0_T1_T2_jT3_P12ihipStream_tbPNSt15iterator_traitsISG_E10value_typeEPNSM_ISH_E10value_typeEPSI_NS1_7vsmem_tEENKUlT_SG_SH_SI_E_clISA_PiSB_PsEESF_SV_SG_SH_SI_EUlSV_E0_NS1_11comp_targetILNS1_3genE0ELNS1_11target_archE4294967295ELNS1_3gpuE0ELNS1_3repE0EEENS1_38merge_mergepath_config_static_selectorELNS0_4arch9wavefront6targetE1EEEvSH_.uses_vcc, 1
	.set _ZN7rocprim17ROCPRIM_400000_NS6detail17trampoline_kernelINS0_14default_configENS1_38merge_sort_block_merge_config_selectorIisEEZZNS1_27merge_sort_block_merge_implIS3_N6thrust23THRUST_200600_302600_NS10device_ptrIiEENS9_IsEEjNS1_19radix_merge_compareILb0ELb0EiNS0_19identity_decomposerEEEEE10hipError_tT0_T1_T2_jT3_P12ihipStream_tbPNSt15iterator_traitsISG_E10value_typeEPNSM_ISH_E10value_typeEPSI_NS1_7vsmem_tEENKUlT_SG_SH_SI_E_clISA_PiSB_PsEESF_SV_SG_SH_SI_EUlSV_E0_NS1_11comp_targetILNS1_3genE0ELNS1_11target_archE4294967295ELNS1_3gpuE0ELNS1_3repE0EEENS1_38merge_mergepath_config_static_selectorELNS0_4arch9wavefront6targetE1EEEvSH_.uses_flat_scratch, 0
	.set _ZN7rocprim17ROCPRIM_400000_NS6detail17trampoline_kernelINS0_14default_configENS1_38merge_sort_block_merge_config_selectorIisEEZZNS1_27merge_sort_block_merge_implIS3_N6thrust23THRUST_200600_302600_NS10device_ptrIiEENS9_IsEEjNS1_19radix_merge_compareILb0ELb0EiNS0_19identity_decomposerEEEEE10hipError_tT0_T1_T2_jT3_P12ihipStream_tbPNSt15iterator_traitsISG_E10value_typeEPNSM_ISH_E10value_typeEPSI_NS1_7vsmem_tEENKUlT_SG_SH_SI_E_clISA_PiSB_PsEESF_SV_SG_SH_SI_EUlSV_E0_NS1_11comp_targetILNS1_3genE0ELNS1_11target_archE4294967295ELNS1_3gpuE0ELNS1_3repE0EEENS1_38merge_mergepath_config_static_selectorELNS0_4arch9wavefront6targetE1EEEvSH_.has_dyn_sized_stack, 0
	.set _ZN7rocprim17ROCPRIM_400000_NS6detail17trampoline_kernelINS0_14default_configENS1_38merge_sort_block_merge_config_selectorIisEEZZNS1_27merge_sort_block_merge_implIS3_N6thrust23THRUST_200600_302600_NS10device_ptrIiEENS9_IsEEjNS1_19radix_merge_compareILb0ELb0EiNS0_19identity_decomposerEEEEE10hipError_tT0_T1_T2_jT3_P12ihipStream_tbPNSt15iterator_traitsISG_E10value_typeEPNSM_ISH_E10value_typeEPSI_NS1_7vsmem_tEENKUlT_SG_SH_SI_E_clISA_PiSB_PsEESF_SV_SG_SH_SI_EUlSV_E0_NS1_11comp_targetILNS1_3genE0ELNS1_11target_archE4294967295ELNS1_3gpuE0ELNS1_3repE0EEENS1_38merge_mergepath_config_static_selectorELNS0_4arch9wavefront6targetE1EEEvSH_.has_recursion, 0
	.set _ZN7rocprim17ROCPRIM_400000_NS6detail17trampoline_kernelINS0_14default_configENS1_38merge_sort_block_merge_config_selectorIisEEZZNS1_27merge_sort_block_merge_implIS3_N6thrust23THRUST_200600_302600_NS10device_ptrIiEENS9_IsEEjNS1_19radix_merge_compareILb0ELb0EiNS0_19identity_decomposerEEEEE10hipError_tT0_T1_T2_jT3_P12ihipStream_tbPNSt15iterator_traitsISG_E10value_typeEPNSM_ISH_E10value_typeEPSI_NS1_7vsmem_tEENKUlT_SG_SH_SI_E_clISA_PiSB_PsEESF_SV_SG_SH_SI_EUlSV_E0_NS1_11comp_targetILNS1_3genE0ELNS1_11target_archE4294967295ELNS1_3gpuE0ELNS1_3repE0EEENS1_38merge_mergepath_config_static_selectorELNS0_4arch9wavefront6targetE1EEEvSH_.has_indirect_call, 0
	.section	.AMDGPU.csdata,"",@progbits
; Kernel info:
; codeLenInByte = 3104
; TotalNumSgprs: 36
; NumVgprs: 25
; NumAgprs: 0
; TotalNumVgprs: 25
; ScratchSize: 0
; MemoryBound: 0
; FloatMode: 240
; IeeeMode: 1
; LDSByteSize: 4224 bytes/workgroup (compile time only)
; SGPRBlocks: 4
; VGPRBlocks: 3
; NumSGPRsForWavesPerEU: 36
; NumVGPRsForWavesPerEU: 25
; AccumOffset: 28
; Occupancy: 8
; WaveLimiterHint : 1
; COMPUTE_PGM_RSRC2:SCRATCH_EN: 0
; COMPUTE_PGM_RSRC2:USER_SGPR: 2
; COMPUTE_PGM_RSRC2:TRAP_HANDLER: 0
; COMPUTE_PGM_RSRC2:TGID_X_EN: 1
; COMPUTE_PGM_RSRC2:TGID_Y_EN: 1
; COMPUTE_PGM_RSRC2:TGID_Z_EN: 1
; COMPUTE_PGM_RSRC2:TIDIG_COMP_CNT: 0
; COMPUTE_PGM_RSRC3_GFX90A:ACCUM_OFFSET: 6
; COMPUTE_PGM_RSRC3_GFX90A:TG_SPLIT: 0
	.section	.text._ZN7rocprim17ROCPRIM_400000_NS6detail17trampoline_kernelINS0_14default_configENS1_38merge_sort_block_merge_config_selectorIisEEZZNS1_27merge_sort_block_merge_implIS3_N6thrust23THRUST_200600_302600_NS10device_ptrIiEENS9_IsEEjNS1_19radix_merge_compareILb0ELb0EiNS0_19identity_decomposerEEEEE10hipError_tT0_T1_T2_jT3_P12ihipStream_tbPNSt15iterator_traitsISG_E10value_typeEPNSM_ISH_E10value_typeEPSI_NS1_7vsmem_tEENKUlT_SG_SH_SI_E_clISA_PiSB_PsEESF_SV_SG_SH_SI_EUlSV_E0_NS1_11comp_targetILNS1_3genE10ELNS1_11target_archE1201ELNS1_3gpuE5ELNS1_3repE0EEENS1_38merge_mergepath_config_static_selectorELNS0_4arch9wavefront6targetE1EEEvSH_,"axG",@progbits,_ZN7rocprim17ROCPRIM_400000_NS6detail17trampoline_kernelINS0_14default_configENS1_38merge_sort_block_merge_config_selectorIisEEZZNS1_27merge_sort_block_merge_implIS3_N6thrust23THRUST_200600_302600_NS10device_ptrIiEENS9_IsEEjNS1_19radix_merge_compareILb0ELb0EiNS0_19identity_decomposerEEEEE10hipError_tT0_T1_T2_jT3_P12ihipStream_tbPNSt15iterator_traitsISG_E10value_typeEPNSM_ISH_E10value_typeEPSI_NS1_7vsmem_tEENKUlT_SG_SH_SI_E_clISA_PiSB_PsEESF_SV_SG_SH_SI_EUlSV_E0_NS1_11comp_targetILNS1_3genE10ELNS1_11target_archE1201ELNS1_3gpuE5ELNS1_3repE0EEENS1_38merge_mergepath_config_static_selectorELNS0_4arch9wavefront6targetE1EEEvSH_,comdat
	.protected	_ZN7rocprim17ROCPRIM_400000_NS6detail17trampoline_kernelINS0_14default_configENS1_38merge_sort_block_merge_config_selectorIisEEZZNS1_27merge_sort_block_merge_implIS3_N6thrust23THRUST_200600_302600_NS10device_ptrIiEENS9_IsEEjNS1_19radix_merge_compareILb0ELb0EiNS0_19identity_decomposerEEEEE10hipError_tT0_T1_T2_jT3_P12ihipStream_tbPNSt15iterator_traitsISG_E10value_typeEPNSM_ISH_E10value_typeEPSI_NS1_7vsmem_tEENKUlT_SG_SH_SI_E_clISA_PiSB_PsEESF_SV_SG_SH_SI_EUlSV_E0_NS1_11comp_targetILNS1_3genE10ELNS1_11target_archE1201ELNS1_3gpuE5ELNS1_3repE0EEENS1_38merge_mergepath_config_static_selectorELNS0_4arch9wavefront6targetE1EEEvSH_ ; -- Begin function _ZN7rocprim17ROCPRIM_400000_NS6detail17trampoline_kernelINS0_14default_configENS1_38merge_sort_block_merge_config_selectorIisEEZZNS1_27merge_sort_block_merge_implIS3_N6thrust23THRUST_200600_302600_NS10device_ptrIiEENS9_IsEEjNS1_19radix_merge_compareILb0ELb0EiNS0_19identity_decomposerEEEEE10hipError_tT0_T1_T2_jT3_P12ihipStream_tbPNSt15iterator_traitsISG_E10value_typeEPNSM_ISH_E10value_typeEPSI_NS1_7vsmem_tEENKUlT_SG_SH_SI_E_clISA_PiSB_PsEESF_SV_SG_SH_SI_EUlSV_E0_NS1_11comp_targetILNS1_3genE10ELNS1_11target_archE1201ELNS1_3gpuE5ELNS1_3repE0EEENS1_38merge_mergepath_config_static_selectorELNS0_4arch9wavefront6targetE1EEEvSH_
	.globl	_ZN7rocprim17ROCPRIM_400000_NS6detail17trampoline_kernelINS0_14default_configENS1_38merge_sort_block_merge_config_selectorIisEEZZNS1_27merge_sort_block_merge_implIS3_N6thrust23THRUST_200600_302600_NS10device_ptrIiEENS9_IsEEjNS1_19radix_merge_compareILb0ELb0EiNS0_19identity_decomposerEEEEE10hipError_tT0_T1_T2_jT3_P12ihipStream_tbPNSt15iterator_traitsISG_E10value_typeEPNSM_ISH_E10value_typeEPSI_NS1_7vsmem_tEENKUlT_SG_SH_SI_E_clISA_PiSB_PsEESF_SV_SG_SH_SI_EUlSV_E0_NS1_11comp_targetILNS1_3genE10ELNS1_11target_archE1201ELNS1_3gpuE5ELNS1_3repE0EEENS1_38merge_mergepath_config_static_selectorELNS0_4arch9wavefront6targetE1EEEvSH_
	.p2align	8
	.type	_ZN7rocprim17ROCPRIM_400000_NS6detail17trampoline_kernelINS0_14default_configENS1_38merge_sort_block_merge_config_selectorIisEEZZNS1_27merge_sort_block_merge_implIS3_N6thrust23THRUST_200600_302600_NS10device_ptrIiEENS9_IsEEjNS1_19radix_merge_compareILb0ELb0EiNS0_19identity_decomposerEEEEE10hipError_tT0_T1_T2_jT3_P12ihipStream_tbPNSt15iterator_traitsISG_E10value_typeEPNSM_ISH_E10value_typeEPSI_NS1_7vsmem_tEENKUlT_SG_SH_SI_E_clISA_PiSB_PsEESF_SV_SG_SH_SI_EUlSV_E0_NS1_11comp_targetILNS1_3genE10ELNS1_11target_archE1201ELNS1_3gpuE5ELNS1_3repE0EEENS1_38merge_mergepath_config_static_selectorELNS0_4arch9wavefront6targetE1EEEvSH_,@function
_ZN7rocprim17ROCPRIM_400000_NS6detail17trampoline_kernelINS0_14default_configENS1_38merge_sort_block_merge_config_selectorIisEEZZNS1_27merge_sort_block_merge_implIS3_N6thrust23THRUST_200600_302600_NS10device_ptrIiEENS9_IsEEjNS1_19radix_merge_compareILb0ELb0EiNS0_19identity_decomposerEEEEE10hipError_tT0_T1_T2_jT3_P12ihipStream_tbPNSt15iterator_traitsISG_E10value_typeEPNSM_ISH_E10value_typeEPSI_NS1_7vsmem_tEENKUlT_SG_SH_SI_E_clISA_PiSB_PsEESF_SV_SG_SH_SI_EUlSV_E0_NS1_11comp_targetILNS1_3genE10ELNS1_11target_archE1201ELNS1_3gpuE5ELNS1_3repE0EEENS1_38merge_mergepath_config_static_selectorELNS0_4arch9wavefront6targetE1EEEvSH_: ; @_ZN7rocprim17ROCPRIM_400000_NS6detail17trampoline_kernelINS0_14default_configENS1_38merge_sort_block_merge_config_selectorIisEEZZNS1_27merge_sort_block_merge_implIS3_N6thrust23THRUST_200600_302600_NS10device_ptrIiEENS9_IsEEjNS1_19radix_merge_compareILb0ELb0EiNS0_19identity_decomposerEEEEE10hipError_tT0_T1_T2_jT3_P12ihipStream_tbPNSt15iterator_traitsISG_E10value_typeEPNSM_ISH_E10value_typeEPSI_NS1_7vsmem_tEENKUlT_SG_SH_SI_E_clISA_PiSB_PsEESF_SV_SG_SH_SI_EUlSV_E0_NS1_11comp_targetILNS1_3genE10ELNS1_11target_archE1201ELNS1_3gpuE5ELNS1_3repE0EEENS1_38merge_mergepath_config_static_selectorELNS0_4arch9wavefront6targetE1EEEvSH_
; %bb.0:
	.section	.rodata,"a",@progbits
	.p2align	6, 0x0
	.amdhsa_kernel _ZN7rocprim17ROCPRIM_400000_NS6detail17trampoline_kernelINS0_14default_configENS1_38merge_sort_block_merge_config_selectorIisEEZZNS1_27merge_sort_block_merge_implIS3_N6thrust23THRUST_200600_302600_NS10device_ptrIiEENS9_IsEEjNS1_19radix_merge_compareILb0ELb0EiNS0_19identity_decomposerEEEEE10hipError_tT0_T1_T2_jT3_P12ihipStream_tbPNSt15iterator_traitsISG_E10value_typeEPNSM_ISH_E10value_typeEPSI_NS1_7vsmem_tEENKUlT_SG_SH_SI_E_clISA_PiSB_PsEESF_SV_SG_SH_SI_EUlSV_E0_NS1_11comp_targetILNS1_3genE10ELNS1_11target_archE1201ELNS1_3gpuE5ELNS1_3repE0EEENS1_38merge_mergepath_config_static_selectorELNS0_4arch9wavefront6targetE1EEEvSH_
		.amdhsa_group_segment_fixed_size 0
		.amdhsa_private_segment_fixed_size 0
		.amdhsa_kernarg_size 64
		.amdhsa_user_sgpr_count 2
		.amdhsa_user_sgpr_dispatch_ptr 0
		.amdhsa_user_sgpr_queue_ptr 0
		.amdhsa_user_sgpr_kernarg_segment_ptr 1
		.amdhsa_user_sgpr_dispatch_id 0
		.amdhsa_user_sgpr_kernarg_preload_length 0
		.amdhsa_user_sgpr_kernarg_preload_offset 0
		.amdhsa_user_sgpr_private_segment_size 0
		.amdhsa_uses_dynamic_stack 0
		.amdhsa_enable_private_segment 0
		.amdhsa_system_sgpr_workgroup_id_x 1
		.amdhsa_system_sgpr_workgroup_id_y 0
		.amdhsa_system_sgpr_workgroup_id_z 0
		.amdhsa_system_sgpr_workgroup_info 0
		.amdhsa_system_vgpr_workitem_id 0
		.amdhsa_next_free_vgpr 1
		.amdhsa_next_free_sgpr 0
		.amdhsa_accum_offset 4
		.amdhsa_reserve_vcc 0
		.amdhsa_float_round_mode_32 0
		.amdhsa_float_round_mode_16_64 0
		.amdhsa_float_denorm_mode_32 3
		.amdhsa_float_denorm_mode_16_64 3
		.amdhsa_dx10_clamp 1
		.amdhsa_ieee_mode 1
		.amdhsa_fp16_overflow 0
		.amdhsa_tg_split 0
		.amdhsa_exception_fp_ieee_invalid_op 0
		.amdhsa_exception_fp_denorm_src 0
		.amdhsa_exception_fp_ieee_div_zero 0
		.amdhsa_exception_fp_ieee_overflow 0
		.amdhsa_exception_fp_ieee_underflow 0
		.amdhsa_exception_fp_ieee_inexact 0
		.amdhsa_exception_int_div_zero 0
	.end_amdhsa_kernel
	.section	.text._ZN7rocprim17ROCPRIM_400000_NS6detail17trampoline_kernelINS0_14default_configENS1_38merge_sort_block_merge_config_selectorIisEEZZNS1_27merge_sort_block_merge_implIS3_N6thrust23THRUST_200600_302600_NS10device_ptrIiEENS9_IsEEjNS1_19radix_merge_compareILb0ELb0EiNS0_19identity_decomposerEEEEE10hipError_tT0_T1_T2_jT3_P12ihipStream_tbPNSt15iterator_traitsISG_E10value_typeEPNSM_ISH_E10value_typeEPSI_NS1_7vsmem_tEENKUlT_SG_SH_SI_E_clISA_PiSB_PsEESF_SV_SG_SH_SI_EUlSV_E0_NS1_11comp_targetILNS1_3genE10ELNS1_11target_archE1201ELNS1_3gpuE5ELNS1_3repE0EEENS1_38merge_mergepath_config_static_selectorELNS0_4arch9wavefront6targetE1EEEvSH_,"axG",@progbits,_ZN7rocprim17ROCPRIM_400000_NS6detail17trampoline_kernelINS0_14default_configENS1_38merge_sort_block_merge_config_selectorIisEEZZNS1_27merge_sort_block_merge_implIS3_N6thrust23THRUST_200600_302600_NS10device_ptrIiEENS9_IsEEjNS1_19radix_merge_compareILb0ELb0EiNS0_19identity_decomposerEEEEE10hipError_tT0_T1_T2_jT3_P12ihipStream_tbPNSt15iterator_traitsISG_E10value_typeEPNSM_ISH_E10value_typeEPSI_NS1_7vsmem_tEENKUlT_SG_SH_SI_E_clISA_PiSB_PsEESF_SV_SG_SH_SI_EUlSV_E0_NS1_11comp_targetILNS1_3genE10ELNS1_11target_archE1201ELNS1_3gpuE5ELNS1_3repE0EEENS1_38merge_mergepath_config_static_selectorELNS0_4arch9wavefront6targetE1EEEvSH_,comdat
.Lfunc_end2323:
	.size	_ZN7rocprim17ROCPRIM_400000_NS6detail17trampoline_kernelINS0_14default_configENS1_38merge_sort_block_merge_config_selectorIisEEZZNS1_27merge_sort_block_merge_implIS3_N6thrust23THRUST_200600_302600_NS10device_ptrIiEENS9_IsEEjNS1_19radix_merge_compareILb0ELb0EiNS0_19identity_decomposerEEEEE10hipError_tT0_T1_T2_jT3_P12ihipStream_tbPNSt15iterator_traitsISG_E10value_typeEPNSM_ISH_E10value_typeEPSI_NS1_7vsmem_tEENKUlT_SG_SH_SI_E_clISA_PiSB_PsEESF_SV_SG_SH_SI_EUlSV_E0_NS1_11comp_targetILNS1_3genE10ELNS1_11target_archE1201ELNS1_3gpuE5ELNS1_3repE0EEENS1_38merge_mergepath_config_static_selectorELNS0_4arch9wavefront6targetE1EEEvSH_, .Lfunc_end2323-_ZN7rocprim17ROCPRIM_400000_NS6detail17trampoline_kernelINS0_14default_configENS1_38merge_sort_block_merge_config_selectorIisEEZZNS1_27merge_sort_block_merge_implIS3_N6thrust23THRUST_200600_302600_NS10device_ptrIiEENS9_IsEEjNS1_19radix_merge_compareILb0ELb0EiNS0_19identity_decomposerEEEEE10hipError_tT0_T1_T2_jT3_P12ihipStream_tbPNSt15iterator_traitsISG_E10value_typeEPNSM_ISH_E10value_typeEPSI_NS1_7vsmem_tEENKUlT_SG_SH_SI_E_clISA_PiSB_PsEESF_SV_SG_SH_SI_EUlSV_E0_NS1_11comp_targetILNS1_3genE10ELNS1_11target_archE1201ELNS1_3gpuE5ELNS1_3repE0EEENS1_38merge_mergepath_config_static_selectorELNS0_4arch9wavefront6targetE1EEEvSH_
                                        ; -- End function
	.set _ZN7rocprim17ROCPRIM_400000_NS6detail17trampoline_kernelINS0_14default_configENS1_38merge_sort_block_merge_config_selectorIisEEZZNS1_27merge_sort_block_merge_implIS3_N6thrust23THRUST_200600_302600_NS10device_ptrIiEENS9_IsEEjNS1_19radix_merge_compareILb0ELb0EiNS0_19identity_decomposerEEEEE10hipError_tT0_T1_T2_jT3_P12ihipStream_tbPNSt15iterator_traitsISG_E10value_typeEPNSM_ISH_E10value_typeEPSI_NS1_7vsmem_tEENKUlT_SG_SH_SI_E_clISA_PiSB_PsEESF_SV_SG_SH_SI_EUlSV_E0_NS1_11comp_targetILNS1_3genE10ELNS1_11target_archE1201ELNS1_3gpuE5ELNS1_3repE0EEENS1_38merge_mergepath_config_static_selectorELNS0_4arch9wavefront6targetE1EEEvSH_.num_vgpr, 0
	.set _ZN7rocprim17ROCPRIM_400000_NS6detail17trampoline_kernelINS0_14default_configENS1_38merge_sort_block_merge_config_selectorIisEEZZNS1_27merge_sort_block_merge_implIS3_N6thrust23THRUST_200600_302600_NS10device_ptrIiEENS9_IsEEjNS1_19radix_merge_compareILb0ELb0EiNS0_19identity_decomposerEEEEE10hipError_tT0_T1_T2_jT3_P12ihipStream_tbPNSt15iterator_traitsISG_E10value_typeEPNSM_ISH_E10value_typeEPSI_NS1_7vsmem_tEENKUlT_SG_SH_SI_E_clISA_PiSB_PsEESF_SV_SG_SH_SI_EUlSV_E0_NS1_11comp_targetILNS1_3genE10ELNS1_11target_archE1201ELNS1_3gpuE5ELNS1_3repE0EEENS1_38merge_mergepath_config_static_selectorELNS0_4arch9wavefront6targetE1EEEvSH_.num_agpr, 0
	.set _ZN7rocprim17ROCPRIM_400000_NS6detail17trampoline_kernelINS0_14default_configENS1_38merge_sort_block_merge_config_selectorIisEEZZNS1_27merge_sort_block_merge_implIS3_N6thrust23THRUST_200600_302600_NS10device_ptrIiEENS9_IsEEjNS1_19radix_merge_compareILb0ELb0EiNS0_19identity_decomposerEEEEE10hipError_tT0_T1_T2_jT3_P12ihipStream_tbPNSt15iterator_traitsISG_E10value_typeEPNSM_ISH_E10value_typeEPSI_NS1_7vsmem_tEENKUlT_SG_SH_SI_E_clISA_PiSB_PsEESF_SV_SG_SH_SI_EUlSV_E0_NS1_11comp_targetILNS1_3genE10ELNS1_11target_archE1201ELNS1_3gpuE5ELNS1_3repE0EEENS1_38merge_mergepath_config_static_selectorELNS0_4arch9wavefront6targetE1EEEvSH_.numbered_sgpr, 0
	.set _ZN7rocprim17ROCPRIM_400000_NS6detail17trampoline_kernelINS0_14default_configENS1_38merge_sort_block_merge_config_selectorIisEEZZNS1_27merge_sort_block_merge_implIS3_N6thrust23THRUST_200600_302600_NS10device_ptrIiEENS9_IsEEjNS1_19radix_merge_compareILb0ELb0EiNS0_19identity_decomposerEEEEE10hipError_tT0_T1_T2_jT3_P12ihipStream_tbPNSt15iterator_traitsISG_E10value_typeEPNSM_ISH_E10value_typeEPSI_NS1_7vsmem_tEENKUlT_SG_SH_SI_E_clISA_PiSB_PsEESF_SV_SG_SH_SI_EUlSV_E0_NS1_11comp_targetILNS1_3genE10ELNS1_11target_archE1201ELNS1_3gpuE5ELNS1_3repE0EEENS1_38merge_mergepath_config_static_selectorELNS0_4arch9wavefront6targetE1EEEvSH_.num_named_barrier, 0
	.set _ZN7rocprim17ROCPRIM_400000_NS6detail17trampoline_kernelINS0_14default_configENS1_38merge_sort_block_merge_config_selectorIisEEZZNS1_27merge_sort_block_merge_implIS3_N6thrust23THRUST_200600_302600_NS10device_ptrIiEENS9_IsEEjNS1_19radix_merge_compareILb0ELb0EiNS0_19identity_decomposerEEEEE10hipError_tT0_T1_T2_jT3_P12ihipStream_tbPNSt15iterator_traitsISG_E10value_typeEPNSM_ISH_E10value_typeEPSI_NS1_7vsmem_tEENKUlT_SG_SH_SI_E_clISA_PiSB_PsEESF_SV_SG_SH_SI_EUlSV_E0_NS1_11comp_targetILNS1_3genE10ELNS1_11target_archE1201ELNS1_3gpuE5ELNS1_3repE0EEENS1_38merge_mergepath_config_static_selectorELNS0_4arch9wavefront6targetE1EEEvSH_.private_seg_size, 0
	.set _ZN7rocprim17ROCPRIM_400000_NS6detail17trampoline_kernelINS0_14default_configENS1_38merge_sort_block_merge_config_selectorIisEEZZNS1_27merge_sort_block_merge_implIS3_N6thrust23THRUST_200600_302600_NS10device_ptrIiEENS9_IsEEjNS1_19radix_merge_compareILb0ELb0EiNS0_19identity_decomposerEEEEE10hipError_tT0_T1_T2_jT3_P12ihipStream_tbPNSt15iterator_traitsISG_E10value_typeEPNSM_ISH_E10value_typeEPSI_NS1_7vsmem_tEENKUlT_SG_SH_SI_E_clISA_PiSB_PsEESF_SV_SG_SH_SI_EUlSV_E0_NS1_11comp_targetILNS1_3genE10ELNS1_11target_archE1201ELNS1_3gpuE5ELNS1_3repE0EEENS1_38merge_mergepath_config_static_selectorELNS0_4arch9wavefront6targetE1EEEvSH_.uses_vcc, 0
	.set _ZN7rocprim17ROCPRIM_400000_NS6detail17trampoline_kernelINS0_14default_configENS1_38merge_sort_block_merge_config_selectorIisEEZZNS1_27merge_sort_block_merge_implIS3_N6thrust23THRUST_200600_302600_NS10device_ptrIiEENS9_IsEEjNS1_19radix_merge_compareILb0ELb0EiNS0_19identity_decomposerEEEEE10hipError_tT0_T1_T2_jT3_P12ihipStream_tbPNSt15iterator_traitsISG_E10value_typeEPNSM_ISH_E10value_typeEPSI_NS1_7vsmem_tEENKUlT_SG_SH_SI_E_clISA_PiSB_PsEESF_SV_SG_SH_SI_EUlSV_E0_NS1_11comp_targetILNS1_3genE10ELNS1_11target_archE1201ELNS1_3gpuE5ELNS1_3repE0EEENS1_38merge_mergepath_config_static_selectorELNS0_4arch9wavefront6targetE1EEEvSH_.uses_flat_scratch, 0
	.set _ZN7rocprim17ROCPRIM_400000_NS6detail17trampoline_kernelINS0_14default_configENS1_38merge_sort_block_merge_config_selectorIisEEZZNS1_27merge_sort_block_merge_implIS3_N6thrust23THRUST_200600_302600_NS10device_ptrIiEENS9_IsEEjNS1_19radix_merge_compareILb0ELb0EiNS0_19identity_decomposerEEEEE10hipError_tT0_T1_T2_jT3_P12ihipStream_tbPNSt15iterator_traitsISG_E10value_typeEPNSM_ISH_E10value_typeEPSI_NS1_7vsmem_tEENKUlT_SG_SH_SI_E_clISA_PiSB_PsEESF_SV_SG_SH_SI_EUlSV_E0_NS1_11comp_targetILNS1_3genE10ELNS1_11target_archE1201ELNS1_3gpuE5ELNS1_3repE0EEENS1_38merge_mergepath_config_static_selectorELNS0_4arch9wavefront6targetE1EEEvSH_.has_dyn_sized_stack, 0
	.set _ZN7rocprim17ROCPRIM_400000_NS6detail17trampoline_kernelINS0_14default_configENS1_38merge_sort_block_merge_config_selectorIisEEZZNS1_27merge_sort_block_merge_implIS3_N6thrust23THRUST_200600_302600_NS10device_ptrIiEENS9_IsEEjNS1_19radix_merge_compareILb0ELb0EiNS0_19identity_decomposerEEEEE10hipError_tT0_T1_T2_jT3_P12ihipStream_tbPNSt15iterator_traitsISG_E10value_typeEPNSM_ISH_E10value_typeEPSI_NS1_7vsmem_tEENKUlT_SG_SH_SI_E_clISA_PiSB_PsEESF_SV_SG_SH_SI_EUlSV_E0_NS1_11comp_targetILNS1_3genE10ELNS1_11target_archE1201ELNS1_3gpuE5ELNS1_3repE0EEENS1_38merge_mergepath_config_static_selectorELNS0_4arch9wavefront6targetE1EEEvSH_.has_recursion, 0
	.set _ZN7rocprim17ROCPRIM_400000_NS6detail17trampoline_kernelINS0_14default_configENS1_38merge_sort_block_merge_config_selectorIisEEZZNS1_27merge_sort_block_merge_implIS3_N6thrust23THRUST_200600_302600_NS10device_ptrIiEENS9_IsEEjNS1_19radix_merge_compareILb0ELb0EiNS0_19identity_decomposerEEEEE10hipError_tT0_T1_T2_jT3_P12ihipStream_tbPNSt15iterator_traitsISG_E10value_typeEPNSM_ISH_E10value_typeEPSI_NS1_7vsmem_tEENKUlT_SG_SH_SI_E_clISA_PiSB_PsEESF_SV_SG_SH_SI_EUlSV_E0_NS1_11comp_targetILNS1_3genE10ELNS1_11target_archE1201ELNS1_3gpuE5ELNS1_3repE0EEENS1_38merge_mergepath_config_static_selectorELNS0_4arch9wavefront6targetE1EEEvSH_.has_indirect_call, 0
	.section	.AMDGPU.csdata,"",@progbits
; Kernel info:
; codeLenInByte = 0
; TotalNumSgprs: 6
; NumVgprs: 0
; NumAgprs: 0
; TotalNumVgprs: 0
; ScratchSize: 0
; MemoryBound: 0
; FloatMode: 240
; IeeeMode: 1
; LDSByteSize: 0 bytes/workgroup (compile time only)
; SGPRBlocks: 0
; VGPRBlocks: 0
; NumSGPRsForWavesPerEU: 6
; NumVGPRsForWavesPerEU: 1
; AccumOffset: 4
; Occupancy: 8
; WaveLimiterHint : 0
; COMPUTE_PGM_RSRC2:SCRATCH_EN: 0
; COMPUTE_PGM_RSRC2:USER_SGPR: 2
; COMPUTE_PGM_RSRC2:TRAP_HANDLER: 0
; COMPUTE_PGM_RSRC2:TGID_X_EN: 1
; COMPUTE_PGM_RSRC2:TGID_Y_EN: 0
; COMPUTE_PGM_RSRC2:TGID_Z_EN: 0
; COMPUTE_PGM_RSRC2:TIDIG_COMP_CNT: 0
; COMPUTE_PGM_RSRC3_GFX90A:ACCUM_OFFSET: 0
; COMPUTE_PGM_RSRC3_GFX90A:TG_SPLIT: 0
	.section	.text._ZN7rocprim17ROCPRIM_400000_NS6detail17trampoline_kernelINS0_14default_configENS1_38merge_sort_block_merge_config_selectorIisEEZZNS1_27merge_sort_block_merge_implIS3_N6thrust23THRUST_200600_302600_NS10device_ptrIiEENS9_IsEEjNS1_19radix_merge_compareILb0ELb0EiNS0_19identity_decomposerEEEEE10hipError_tT0_T1_T2_jT3_P12ihipStream_tbPNSt15iterator_traitsISG_E10value_typeEPNSM_ISH_E10value_typeEPSI_NS1_7vsmem_tEENKUlT_SG_SH_SI_E_clISA_PiSB_PsEESF_SV_SG_SH_SI_EUlSV_E0_NS1_11comp_targetILNS1_3genE5ELNS1_11target_archE942ELNS1_3gpuE9ELNS1_3repE0EEENS1_38merge_mergepath_config_static_selectorELNS0_4arch9wavefront6targetE1EEEvSH_,"axG",@progbits,_ZN7rocprim17ROCPRIM_400000_NS6detail17trampoline_kernelINS0_14default_configENS1_38merge_sort_block_merge_config_selectorIisEEZZNS1_27merge_sort_block_merge_implIS3_N6thrust23THRUST_200600_302600_NS10device_ptrIiEENS9_IsEEjNS1_19radix_merge_compareILb0ELb0EiNS0_19identity_decomposerEEEEE10hipError_tT0_T1_T2_jT3_P12ihipStream_tbPNSt15iterator_traitsISG_E10value_typeEPNSM_ISH_E10value_typeEPSI_NS1_7vsmem_tEENKUlT_SG_SH_SI_E_clISA_PiSB_PsEESF_SV_SG_SH_SI_EUlSV_E0_NS1_11comp_targetILNS1_3genE5ELNS1_11target_archE942ELNS1_3gpuE9ELNS1_3repE0EEENS1_38merge_mergepath_config_static_selectorELNS0_4arch9wavefront6targetE1EEEvSH_,comdat
	.protected	_ZN7rocprim17ROCPRIM_400000_NS6detail17trampoline_kernelINS0_14default_configENS1_38merge_sort_block_merge_config_selectorIisEEZZNS1_27merge_sort_block_merge_implIS3_N6thrust23THRUST_200600_302600_NS10device_ptrIiEENS9_IsEEjNS1_19radix_merge_compareILb0ELb0EiNS0_19identity_decomposerEEEEE10hipError_tT0_T1_T2_jT3_P12ihipStream_tbPNSt15iterator_traitsISG_E10value_typeEPNSM_ISH_E10value_typeEPSI_NS1_7vsmem_tEENKUlT_SG_SH_SI_E_clISA_PiSB_PsEESF_SV_SG_SH_SI_EUlSV_E0_NS1_11comp_targetILNS1_3genE5ELNS1_11target_archE942ELNS1_3gpuE9ELNS1_3repE0EEENS1_38merge_mergepath_config_static_selectorELNS0_4arch9wavefront6targetE1EEEvSH_ ; -- Begin function _ZN7rocprim17ROCPRIM_400000_NS6detail17trampoline_kernelINS0_14default_configENS1_38merge_sort_block_merge_config_selectorIisEEZZNS1_27merge_sort_block_merge_implIS3_N6thrust23THRUST_200600_302600_NS10device_ptrIiEENS9_IsEEjNS1_19radix_merge_compareILb0ELb0EiNS0_19identity_decomposerEEEEE10hipError_tT0_T1_T2_jT3_P12ihipStream_tbPNSt15iterator_traitsISG_E10value_typeEPNSM_ISH_E10value_typeEPSI_NS1_7vsmem_tEENKUlT_SG_SH_SI_E_clISA_PiSB_PsEESF_SV_SG_SH_SI_EUlSV_E0_NS1_11comp_targetILNS1_3genE5ELNS1_11target_archE942ELNS1_3gpuE9ELNS1_3repE0EEENS1_38merge_mergepath_config_static_selectorELNS0_4arch9wavefront6targetE1EEEvSH_
	.globl	_ZN7rocprim17ROCPRIM_400000_NS6detail17trampoline_kernelINS0_14default_configENS1_38merge_sort_block_merge_config_selectorIisEEZZNS1_27merge_sort_block_merge_implIS3_N6thrust23THRUST_200600_302600_NS10device_ptrIiEENS9_IsEEjNS1_19radix_merge_compareILb0ELb0EiNS0_19identity_decomposerEEEEE10hipError_tT0_T1_T2_jT3_P12ihipStream_tbPNSt15iterator_traitsISG_E10value_typeEPNSM_ISH_E10value_typeEPSI_NS1_7vsmem_tEENKUlT_SG_SH_SI_E_clISA_PiSB_PsEESF_SV_SG_SH_SI_EUlSV_E0_NS1_11comp_targetILNS1_3genE5ELNS1_11target_archE942ELNS1_3gpuE9ELNS1_3repE0EEENS1_38merge_mergepath_config_static_selectorELNS0_4arch9wavefront6targetE1EEEvSH_
	.p2align	8
	.type	_ZN7rocprim17ROCPRIM_400000_NS6detail17trampoline_kernelINS0_14default_configENS1_38merge_sort_block_merge_config_selectorIisEEZZNS1_27merge_sort_block_merge_implIS3_N6thrust23THRUST_200600_302600_NS10device_ptrIiEENS9_IsEEjNS1_19radix_merge_compareILb0ELb0EiNS0_19identity_decomposerEEEEE10hipError_tT0_T1_T2_jT3_P12ihipStream_tbPNSt15iterator_traitsISG_E10value_typeEPNSM_ISH_E10value_typeEPSI_NS1_7vsmem_tEENKUlT_SG_SH_SI_E_clISA_PiSB_PsEESF_SV_SG_SH_SI_EUlSV_E0_NS1_11comp_targetILNS1_3genE5ELNS1_11target_archE942ELNS1_3gpuE9ELNS1_3repE0EEENS1_38merge_mergepath_config_static_selectorELNS0_4arch9wavefront6targetE1EEEvSH_,@function
_ZN7rocprim17ROCPRIM_400000_NS6detail17trampoline_kernelINS0_14default_configENS1_38merge_sort_block_merge_config_selectorIisEEZZNS1_27merge_sort_block_merge_implIS3_N6thrust23THRUST_200600_302600_NS10device_ptrIiEENS9_IsEEjNS1_19radix_merge_compareILb0ELb0EiNS0_19identity_decomposerEEEEE10hipError_tT0_T1_T2_jT3_P12ihipStream_tbPNSt15iterator_traitsISG_E10value_typeEPNSM_ISH_E10value_typeEPSI_NS1_7vsmem_tEENKUlT_SG_SH_SI_E_clISA_PiSB_PsEESF_SV_SG_SH_SI_EUlSV_E0_NS1_11comp_targetILNS1_3genE5ELNS1_11target_archE942ELNS1_3gpuE9ELNS1_3repE0EEENS1_38merge_mergepath_config_static_selectorELNS0_4arch9wavefront6targetE1EEEvSH_: ; @_ZN7rocprim17ROCPRIM_400000_NS6detail17trampoline_kernelINS0_14default_configENS1_38merge_sort_block_merge_config_selectorIisEEZZNS1_27merge_sort_block_merge_implIS3_N6thrust23THRUST_200600_302600_NS10device_ptrIiEENS9_IsEEjNS1_19radix_merge_compareILb0ELb0EiNS0_19identity_decomposerEEEEE10hipError_tT0_T1_T2_jT3_P12ihipStream_tbPNSt15iterator_traitsISG_E10value_typeEPNSM_ISH_E10value_typeEPSI_NS1_7vsmem_tEENKUlT_SG_SH_SI_E_clISA_PiSB_PsEESF_SV_SG_SH_SI_EUlSV_E0_NS1_11comp_targetILNS1_3genE5ELNS1_11target_archE942ELNS1_3gpuE9ELNS1_3repE0EEENS1_38merge_mergepath_config_static_selectorELNS0_4arch9wavefront6targetE1EEEvSH_
; %bb.0:
	.section	.rodata,"a",@progbits
	.p2align	6, 0x0
	.amdhsa_kernel _ZN7rocprim17ROCPRIM_400000_NS6detail17trampoline_kernelINS0_14default_configENS1_38merge_sort_block_merge_config_selectorIisEEZZNS1_27merge_sort_block_merge_implIS3_N6thrust23THRUST_200600_302600_NS10device_ptrIiEENS9_IsEEjNS1_19radix_merge_compareILb0ELb0EiNS0_19identity_decomposerEEEEE10hipError_tT0_T1_T2_jT3_P12ihipStream_tbPNSt15iterator_traitsISG_E10value_typeEPNSM_ISH_E10value_typeEPSI_NS1_7vsmem_tEENKUlT_SG_SH_SI_E_clISA_PiSB_PsEESF_SV_SG_SH_SI_EUlSV_E0_NS1_11comp_targetILNS1_3genE5ELNS1_11target_archE942ELNS1_3gpuE9ELNS1_3repE0EEENS1_38merge_mergepath_config_static_selectorELNS0_4arch9wavefront6targetE1EEEvSH_
		.amdhsa_group_segment_fixed_size 0
		.amdhsa_private_segment_fixed_size 0
		.amdhsa_kernarg_size 64
		.amdhsa_user_sgpr_count 2
		.amdhsa_user_sgpr_dispatch_ptr 0
		.amdhsa_user_sgpr_queue_ptr 0
		.amdhsa_user_sgpr_kernarg_segment_ptr 1
		.amdhsa_user_sgpr_dispatch_id 0
		.amdhsa_user_sgpr_kernarg_preload_length 0
		.amdhsa_user_sgpr_kernarg_preload_offset 0
		.amdhsa_user_sgpr_private_segment_size 0
		.amdhsa_uses_dynamic_stack 0
		.amdhsa_enable_private_segment 0
		.amdhsa_system_sgpr_workgroup_id_x 1
		.amdhsa_system_sgpr_workgroup_id_y 0
		.amdhsa_system_sgpr_workgroup_id_z 0
		.amdhsa_system_sgpr_workgroup_info 0
		.amdhsa_system_vgpr_workitem_id 0
		.amdhsa_next_free_vgpr 1
		.amdhsa_next_free_sgpr 0
		.amdhsa_accum_offset 4
		.amdhsa_reserve_vcc 0
		.amdhsa_float_round_mode_32 0
		.amdhsa_float_round_mode_16_64 0
		.amdhsa_float_denorm_mode_32 3
		.amdhsa_float_denorm_mode_16_64 3
		.amdhsa_dx10_clamp 1
		.amdhsa_ieee_mode 1
		.amdhsa_fp16_overflow 0
		.amdhsa_tg_split 0
		.amdhsa_exception_fp_ieee_invalid_op 0
		.amdhsa_exception_fp_denorm_src 0
		.amdhsa_exception_fp_ieee_div_zero 0
		.amdhsa_exception_fp_ieee_overflow 0
		.amdhsa_exception_fp_ieee_underflow 0
		.amdhsa_exception_fp_ieee_inexact 0
		.amdhsa_exception_int_div_zero 0
	.end_amdhsa_kernel
	.section	.text._ZN7rocprim17ROCPRIM_400000_NS6detail17trampoline_kernelINS0_14default_configENS1_38merge_sort_block_merge_config_selectorIisEEZZNS1_27merge_sort_block_merge_implIS3_N6thrust23THRUST_200600_302600_NS10device_ptrIiEENS9_IsEEjNS1_19radix_merge_compareILb0ELb0EiNS0_19identity_decomposerEEEEE10hipError_tT0_T1_T2_jT3_P12ihipStream_tbPNSt15iterator_traitsISG_E10value_typeEPNSM_ISH_E10value_typeEPSI_NS1_7vsmem_tEENKUlT_SG_SH_SI_E_clISA_PiSB_PsEESF_SV_SG_SH_SI_EUlSV_E0_NS1_11comp_targetILNS1_3genE5ELNS1_11target_archE942ELNS1_3gpuE9ELNS1_3repE0EEENS1_38merge_mergepath_config_static_selectorELNS0_4arch9wavefront6targetE1EEEvSH_,"axG",@progbits,_ZN7rocprim17ROCPRIM_400000_NS6detail17trampoline_kernelINS0_14default_configENS1_38merge_sort_block_merge_config_selectorIisEEZZNS1_27merge_sort_block_merge_implIS3_N6thrust23THRUST_200600_302600_NS10device_ptrIiEENS9_IsEEjNS1_19radix_merge_compareILb0ELb0EiNS0_19identity_decomposerEEEEE10hipError_tT0_T1_T2_jT3_P12ihipStream_tbPNSt15iterator_traitsISG_E10value_typeEPNSM_ISH_E10value_typeEPSI_NS1_7vsmem_tEENKUlT_SG_SH_SI_E_clISA_PiSB_PsEESF_SV_SG_SH_SI_EUlSV_E0_NS1_11comp_targetILNS1_3genE5ELNS1_11target_archE942ELNS1_3gpuE9ELNS1_3repE0EEENS1_38merge_mergepath_config_static_selectorELNS0_4arch9wavefront6targetE1EEEvSH_,comdat
.Lfunc_end2324:
	.size	_ZN7rocprim17ROCPRIM_400000_NS6detail17trampoline_kernelINS0_14default_configENS1_38merge_sort_block_merge_config_selectorIisEEZZNS1_27merge_sort_block_merge_implIS3_N6thrust23THRUST_200600_302600_NS10device_ptrIiEENS9_IsEEjNS1_19radix_merge_compareILb0ELb0EiNS0_19identity_decomposerEEEEE10hipError_tT0_T1_T2_jT3_P12ihipStream_tbPNSt15iterator_traitsISG_E10value_typeEPNSM_ISH_E10value_typeEPSI_NS1_7vsmem_tEENKUlT_SG_SH_SI_E_clISA_PiSB_PsEESF_SV_SG_SH_SI_EUlSV_E0_NS1_11comp_targetILNS1_3genE5ELNS1_11target_archE942ELNS1_3gpuE9ELNS1_3repE0EEENS1_38merge_mergepath_config_static_selectorELNS0_4arch9wavefront6targetE1EEEvSH_, .Lfunc_end2324-_ZN7rocprim17ROCPRIM_400000_NS6detail17trampoline_kernelINS0_14default_configENS1_38merge_sort_block_merge_config_selectorIisEEZZNS1_27merge_sort_block_merge_implIS3_N6thrust23THRUST_200600_302600_NS10device_ptrIiEENS9_IsEEjNS1_19radix_merge_compareILb0ELb0EiNS0_19identity_decomposerEEEEE10hipError_tT0_T1_T2_jT3_P12ihipStream_tbPNSt15iterator_traitsISG_E10value_typeEPNSM_ISH_E10value_typeEPSI_NS1_7vsmem_tEENKUlT_SG_SH_SI_E_clISA_PiSB_PsEESF_SV_SG_SH_SI_EUlSV_E0_NS1_11comp_targetILNS1_3genE5ELNS1_11target_archE942ELNS1_3gpuE9ELNS1_3repE0EEENS1_38merge_mergepath_config_static_selectorELNS0_4arch9wavefront6targetE1EEEvSH_
                                        ; -- End function
	.set _ZN7rocprim17ROCPRIM_400000_NS6detail17trampoline_kernelINS0_14default_configENS1_38merge_sort_block_merge_config_selectorIisEEZZNS1_27merge_sort_block_merge_implIS3_N6thrust23THRUST_200600_302600_NS10device_ptrIiEENS9_IsEEjNS1_19radix_merge_compareILb0ELb0EiNS0_19identity_decomposerEEEEE10hipError_tT0_T1_T2_jT3_P12ihipStream_tbPNSt15iterator_traitsISG_E10value_typeEPNSM_ISH_E10value_typeEPSI_NS1_7vsmem_tEENKUlT_SG_SH_SI_E_clISA_PiSB_PsEESF_SV_SG_SH_SI_EUlSV_E0_NS1_11comp_targetILNS1_3genE5ELNS1_11target_archE942ELNS1_3gpuE9ELNS1_3repE0EEENS1_38merge_mergepath_config_static_selectorELNS0_4arch9wavefront6targetE1EEEvSH_.num_vgpr, 0
	.set _ZN7rocprim17ROCPRIM_400000_NS6detail17trampoline_kernelINS0_14default_configENS1_38merge_sort_block_merge_config_selectorIisEEZZNS1_27merge_sort_block_merge_implIS3_N6thrust23THRUST_200600_302600_NS10device_ptrIiEENS9_IsEEjNS1_19radix_merge_compareILb0ELb0EiNS0_19identity_decomposerEEEEE10hipError_tT0_T1_T2_jT3_P12ihipStream_tbPNSt15iterator_traitsISG_E10value_typeEPNSM_ISH_E10value_typeEPSI_NS1_7vsmem_tEENKUlT_SG_SH_SI_E_clISA_PiSB_PsEESF_SV_SG_SH_SI_EUlSV_E0_NS1_11comp_targetILNS1_3genE5ELNS1_11target_archE942ELNS1_3gpuE9ELNS1_3repE0EEENS1_38merge_mergepath_config_static_selectorELNS0_4arch9wavefront6targetE1EEEvSH_.num_agpr, 0
	.set _ZN7rocprim17ROCPRIM_400000_NS6detail17trampoline_kernelINS0_14default_configENS1_38merge_sort_block_merge_config_selectorIisEEZZNS1_27merge_sort_block_merge_implIS3_N6thrust23THRUST_200600_302600_NS10device_ptrIiEENS9_IsEEjNS1_19radix_merge_compareILb0ELb0EiNS0_19identity_decomposerEEEEE10hipError_tT0_T1_T2_jT3_P12ihipStream_tbPNSt15iterator_traitsISG_E10value_typeEPNSM_ISH_E10value_typeEPSI_NS1_7vsmem_tEENKUlT_SG_SH_SI_E_clISA_PiSB_PsEESF_SV_SG_SH_SI_EUlSV_E0_NS1_11comp_targetILNS1_3genE5ELNS1_11target_archE942ELNS1_3gpuE9ELNS1_3repE0EEENS1_38merge_mergepath_config_static_selectorELNS0_4arch9wavefront6targetE1EEEvSH_.numbered_sgpr, 0
	.set _ZN7rocprim17ROCPRIM_400000_NS6detail17trampoline_kernelINS0_14default_configENS1_38merge_sort_block_merge_config_selectorIisEEZZNS1_27merge_sort_block_merge_implIS3_N6thrust23THRUST_200600_302600_NS10device_ptrIiEENS9_IsEEjNS1_19radix_merge_compareILb0ELb0EiNS0_19identity_decomposerEEEEE10hipError_tT0_T1_T2_jT3_P12ihipStream_tbPNSt15iterator_traitsISG_E10value_typeEPNSM_ISH_E10value_typeEPSI_NS1_7vsmem_tEENKUlT_SG_SH_SI_E_clISA_PiSB_PsEESF_SV_SG_SH_SI_EUlSV_E0_NS1_11comp_targetILNS1_3genE5ELNS1_11target_archE942ELNS1_3gpuE9ELNS1_3repE0EEENS1_38merge_mergepath_config_static_selectorELNS0_4arch9wavefront6targetE1EEEvSH_.num_named_barrier, 0
	.set _ZN7rocprim17ROCPRIM_400000_NS6detail17trampoline_kernelINS0_14default_configENS1_38merge_sort_block_merge_config_selectorIisEEZZNS1_27merge_sort_block_merge_implIS3_N6thrust23THRUST_200600_302600_NS10device_ptrIiEENS9_IsEEjNS1_19radix_merge_compareILb0ELb0EiNS0_19identity_decomposerEEEEE10hipError_tT0_T1_T2_jT3_P12ihipStream_tbPNSt15iterator_traitsISG_E10value_typeEPNSM_ISH_E10value_typeEPSI_NS1_7vsmem_tEENKUlT_SG_SH_SI_E_clISA_PiSB_PsEESF_SV_SG_SH_SI_EUlSV_E0_NS1_11comp_targetILNS1_3genE5ELNS1_11target_archE942ELNS1_3gpuE9ELNS1_3repE0EEENS1_38merge_mergepath_config_static_selectorELNS0_4arch9wavefront6targetE1EEEvSH_.private_seg_size, 0
	.set _ZN7rocprim17ROCPRIM_400000_NS6detail17trampoline_kernelINS0_14default_configENS1_38merge_sort_block_merge_config_selectorIisEEZZNS1_27merge_sort_block_merge_implIS3_N6thrust23THRUST_200600_302600_NS10device_ptrIiEENS9_IsEEjNS1_19radix_merge_compareILb0ELb0EiNS0_19identity_decomposerEEEEE10hipError_tT0_T1_T2_jT3_P12ihipStream_tbPNSt15iterator_traitsISG_E10value_typeEPNSM_ISH_E10value_typeEPSI_NS1_7vsmem_tEENKUlT_SG_SH_SI_E_clISA_PiSB_PsEESF_SV_SG_SH_SI_EUlSV_E0_NS1_11comp_targetILNS1_3genE5ELNS1_11target_archE942ELNS1_3gpuE9ELNS1_3repE0EEENS1_38merge_mergepath_config_static_selectorELNS0_4arch9wavefront6targetE1EEEvSH_.uses_vcc, 0
	.set _ZN7rocprim17ROCPRIM_400000_NS6detail17trampoline_kernelINS0_14default_configENS1_38merge_sort_block_merge_config_selectorIisEEZZNS1_27merge_sort_block_merge_implIS3_N6thrust23THRUST_200600_302600_NS10device_ptrIiEENS9_IsEEjNS1_19radix_merge_compareILb0ELb0EiNS0_19identity_decomposerEEEEE10hipError_tT0_T1_T2_jT3_P12ihipStream_tbPNSt15iterator_traitsISG_E10value_typeEPNSM_ISH_E10value_typeEPSI_NS1_7vsmem_tEENKUlT_SG_SH_SI_E_clISA_PiSB_PsEESF_SV_SG_SH_SI_EUlSV_E0_NS1_11comp_targetILNS1_3genE5ELNS1_11target_archE942ELNS1_3gpuE9ELNS1_3repE0EEENS1_38merge_mergepath_config_static_selectorELNS0_4arch9wavefront6targetE1EEEvSH_.uses_flat_scratch, 0
	.set _ZN7rocprim17ROCPRIM_400000_NS6detail17trampoline_kernelINS0_14default_configENS1_38merge_sort_block_merge_config_selectorIisEEZZNS1_27merge_sort_block_merge_implIS3_N6thrust23THRUST_200600_302600_NS10device_ptrIiEENS9_IsEEjNS1_19radix_merge_compareILb0ELb0EiNS0_19identity_decomposerEEEEE10hipError_tT0_T1_T2_jT3_P12ihipStream_tbPNSt15iterator_traitsISG_E10value_typeEPNSM_ISH_E10value_typeEPSI_NS1_7vsmem_tEENKUlT_SG_SH_SI_E_clISA_PiSB_PsEESF_SV_SG_SH_SI_EUlSV_E0_NS1_11comp_targetILNS1_3genE5ELNS1_11target_archE942ELNS1_3gpuE9ELNS1_3repE0EEENS1_38merge_mergepath_config_static_selectorELNS0_4arch9wavefront6targetE1EEEvSH_.has_dyn_sized_stack, 0
	.set _ZN7rocprim17ROCPRIM_400000_NS6detail17trampoline_kernelINS0_14default_configENS1_38merge_sort_block_merge_config_selectorIisEEZZNS1_27merge_sort_block_merge_implIS3_N6thrust23THRUST_200600_302600_NS10device_ptrIiEENS9_IsEEjNS1_19radix_merge_compareILb0ELb0EiNS0_19identity_decomposerEEEEE10hipError_tT0_T1_T2_jT3_P12ihipStream_tbPNSt15iterator_traitsISG_E10value_typeEPNSM_ISH_E10value_typeEPSI_NS1_7vsmem_tEENKUlT_SG_SH_SI_E_clISA_PiSB_PsEESF_SV_SG_SH_SI_EUlSV_E0_NS1_11comp_targetILNS1_3genE5ELNS1_11target_archE942ELNS1_3gpuE9ELNS1_3repE0EEENS1_38merge_mergepath_config_static_selectorELNS0_4arch9wavefront6targetE1EEEvSH_.has_recursion, 0
	.set _ZN7rocprim17ROCPRIM_400000_NS6detail17trampoline_kernelINS0_14default_configENS1_38merge_sort_block_merge_config_selectorIisEEZZNS1_27merge_sort_block_merge_implIS3_N6thrust23THRUST_200600_302600_NS10device_ptrIiEENS9_IsEEjNS1_19radix_merge_compareILb0ELb0EiNS0_19identity_decomposerEEEEE10hipError_tT0_T1_T2_jT3_P12ihipStream_tbPNSt15iterator_traitsISG_E10value_typeEPNSM_ISH_E10value_typeEPSI_NS1_7vsmem_tEENKUlT_SG_SH_SI_E_clISA_PiSB_PsEESF_SV_SG_SH_SI_EUlSV_E0_NS1_11comp_targetILNS1_3genE5ELNS1_11target_archE942ELNS1_3gpuE9ELNS1_3repE0EEENS1_38merge_mergepath_config_static_selectorELNS0_4arch9wavefront6targetE1EEEvSH_.has_indirect_call, 0
	.section	.AMDGPU.csdata,"",@progbits
; Kernel info:
; codeLenInByte = 0
; TotalNumSgprs: 6
; NumVgprs: 0
; NumAgprs: 0
; TotalNumVgprs: 0
; ScratchSize: 0
; MemoryBound: 0
; FloatMode: 240
; IeeeMode: 1
; LDSByteSize: 0 bytes/workgroup (compile time only)
; SGPRBlocks: 0
; VGPRBlocks: 0
; NumSGPRsForWavesPerEU: 6
; NumVGPRsForWavesPerEU: 1
; AccumOffset: 4
; Occupancy: 8
; WaveLimiterHint : 0
; COMPUTE_PGM_RSRC2:SCRATCH_EN: 0
; COMPUTE_PGM_RSRC2:USER_SGPR: 2
; COMPUTE_PGM_RSRC2:TRAP_HANDLER: 0
; COMPUTE_PGM_RSRC2:TGID_X_EN: 1
; COMPUTE_PGM_RSRC2:TGID_Y_EN: 0
; COMPUTE_PGM_RSRC2:TGID_Z_EN: 0
; COMPUTE_PGM_RSRC2:TIDIG_COMP_CNT: 0
; COMPUTE_PGM_RSRC3_GFX90A:ACCUM_OFFSET: 0
; COMPUTE_PGM_RSRC3_GFX90A:TG_SPLIT: 0
	.section	.text._ZN7rocprim17ROCPRIM_400000_NS6detail17trampoline_kernelINS0_14default_configENS1_38merge_sort_block_merge_config_selectorIisEEZZNS1_27merge_sort_block_merge_implIS3_N6thrust23THRUST_200600_302600_NS10device_ptrIiEENS9_IsEEjNS1_19radix_merge_compareILb0ELb0EiNS0_19identity_decomposerEEEEE10hipError_tT0_T1_T2_jT3_P12ihipStream_tbPNSt15iterator_traitsISG_E10value_typeEPNSM_ISH_E10value_typeEPSI_NS1_7vsmem_tEENKUlT_SG_SH_SI_E_clISA_PiSB_PsEESF_SV_SG_SH_SI_EUlSV_E0_NS1_11comp_targetILNS1_3genE4ELNS1_11target_archE910ELNS1_3gpuE8ELNS1_3repE0EEENS1_38merge_mergepath_config_static_selectorELNS0_4arch9wavefront6targetE1EEEvSH_,"axG",@progbits,_ZN7rocprim17ROCPRIM_400000_NS6detail17trampoline_kernelINS0_14default_configENS1_38merge_sort_block_merge_config_selectorIisEEZZNS1_27merge_sort_block_merge_implIS3_N6thrust23THRUST_200600_302600_NS10device_ptrIiEENS9_IsEEjNS1_19radix_merge_compareILb0ELb0EiNS0_19identity_decomposerEEEEE10hipError_tT0_T1_T2_jT3_P12ihipStream_tbPNSt15iterator_traitsISG_E10value_typeEPNSM_ISH_E10value_typeEPSI_NS1_7vsmem_tEENKUlT_SG_SH_SI_E_clISA_PiSB_PsEESF_SV_SG_SH_SI_EUlSV_E0_NS1_11comp_targetILNS1_3genE4ELNS1_11target_archE910ELNS1_3gpuE8ELNS1_3repE0EEENS1_38merge_mergepath_config_static_selectorELNS0_4arch9wavefront6targetE1EEEvSH_,comdat
	.protected	_ZN7rocprim17ROCPRIM_400000_NS6detail17trampoline_kernelINS0_14default_configENS1_38merge_sort_block_merge_config_selectorIisEEZZNS1_27merge_sort_block_merge_implIS3_N6thrust23THRUST_200600_302600_NS10device_ptrIiEENS9_IsEEjNS1_19radix_merge_compareILb0ELb0EiNS0_19identity_decomposerEEEEE10hipError_tT0_T1_T2_jT3_P12ihipStream_tbPNSt15iterator_traitsISG_E10value_typeEPNSM_ISH_E10value_typeEPSI_NS1_7vsmem_tEENKUlT_SG_SH_SI_E_clISA_PiSB_PsEESF_SV_SG_SH_SI_EUlSV_E0_NS1_11comp_targetILNS1_3genE4ELNS1_11target_archE910ELNS1_3gpuE8ELNS1_3repE0EEENS1_38merge_mergepath_config_static_selectorELNS0_4arch9wavefront6targetE1EEEvSH_ ; -- Begin function _ZN7rocprim17ROCPRIM_400000_NS6detail17trampoline_kernelINS0_14default_configENS1_38merge_sort_block_merge_config_selectorIisEEZZNS1_27merge_sort_block_merge_implIS3_N6thrust23THRUST_200600_302600_NS10device_ptrIiEENS9_IsEEjNS1_19radix_merge_compareILb0ELb0EiNS0_19identity_decomposerEEEEE10hipError_tT0_T1_T2_jT3_P12ihipStream_tbPNSt15iterator_traitsISG_E10value_typeEPNSM_ISH_E10value_typeEPSI_NS1_7vsmem_tEENKUlT_SG_SH_SI_E_clISA_PiSB_PsEESF_SV_SG_SH_SI_EUlSV_E0_NS1_11comp_targetILNS1_3genE4ELNS1_11target_archE910ELNS1_3gpuE8ELNS1_3repE0EEENS1_38merge_mergepath_config_static_selectorELNS0_4arch9wavefront6targetE1EEEvSH_
	.globl	_ZN7rocprim17ROCPRIM_400000_NS6detail17trampoline_kernelINS0_14default_configENS1_38merge_sort_block_merge_config_selectorIisEEZZNS1_27merge_sort_block_merge_implIS3_N6thrust23THRUST_200600_302600_NS10device_ptrIiEENS9_IsEEjNS1_19radix_merge_compareILb0ELb0EiNS0_19identity_decomposerEEEEE10hipError_tT0_T1_T2_jT3_P12ihipStream_tbPNSt15iterator_traitsISG_E10value_typeEPNSM_ISH_E10value_typeEPSI_NS1_7vsmem_tEENKUlT_SG_SH_SI_E_clISA_PiSB_PsEESF_SV_SG_SH_SI_EUlSV_E0_NS1_11comp_targetILNS1_3genE4ELNS1_11target_archE910ELNS1_3gpuE8ELNS1_3repE0EEENS1_38merge_mergepath_config_static_selectorELNS0_4arch9wavefront6targetE1EEEvSH_
	.p2align	8
	.type	_ZN7rocprim17ROCPRIM_400000_NS6detail17trampoline_kernelINS0_14default_configENS1_38merge_sort_block_merge_config_selectorIisEEZZNS1_27merge_sort_block_merge_implIS3_N6thrust23THRUST_200600_302600_NS10device_ptrIiEENS9_IsEEjNS1_19radix_merge_compareILb0ELb0EiNS0_19identity_decomposerEEEEE10hipError_tT0_T1_T2_jT3_P12ihipStream_tbPNSt15iterator_traitsISG_E10value_typeEPNSM_ISH_E10value_typeEPSI_NS1_7vsmem_tEENKUlT_SG_SH_SI_E_clISA_PiSB_PsEESF_SV_SG_SH_SI_EUlSV_E0_NS1_11comp_targetILNS1_3genE4ELNS1_11target_archE910ELNS1_3gpuE8ELNS1_3repE0EEENS1_38merge_mergepath_config_static_selectorELNS0_4arch9wavefront6targetE1EEEvSH_,@function
_ZN7rocprim17ROCPRIM_400000_NS6detail17trampoline_kernelINS0_14default_configENS1_38merge_sort_block_merge_config_selectorIisEEZZNS1_27merge_sort_block_merge_implIS3_N6thrust23THRUST_200600_302600_NS10device_ptrIiEENS9_IsEEjNS1_19radix_merge_compareILb0ELb0EiNS0_19identity_decomposerEEEEE10hipError_tT0_T1_T2_jT3_P12ihipStream_tbPNSt15iterator_traitsISG_E10value_typeEPNSM_ISH_E10value_typeEPSI_NS1_7vsmem_tEENKUlT_SG_SH_SI_E_clISA_PiSB_PsEESF_SV_SG_SH_SI_EUlSV_E0_NS1_11comp_targetILNS1_3genE4ELNS1_11target_archE910ELNS1_3gpuE8ELNS1_3repE0EEENS1_38merge_mergepath_config_static_selectorELNS0_4arch9wavefront6targetE1EEEvSH_: ; @_ZN7rocprim17ROCPRIM_400000_NS6detail17trampoline_kernelINS0_14default_configENS1_38merge_sort_block_merge_config_selectorIisEEZZNS1_27merge_sort_block_merge_implIS3_N6thrust23THRUST_200600_302600_NS10device_ptrIiEENS9_IsEEjNS1_19radix_merge_compareILb0ELb0EiNS0_19identity_decomposerEEEEE10hipError_tT0_T1_T2_jT3_P12ihipStream_tbPNSt15iterator_traitsISG_E10value_typeEPNSM_ISH_E10value_typeEPSI_NS1_7vsmem_tEENKUlT_SG_SH_SI_E_clISA_PiSB_PsEESF_SV_SG_SH_SI_EUlSV_E0_NS1_11comp_targetILNS1_3genE4ELNS1_11target_archE910ELNS1_3gpuE8ELNS1_3repE0EEENS1_38merge_mergepath_config_static_selectorELNS0_4arch9wavefront6targetE1EEEvSH_
; %bb.0:
	.section	.rodata,"a",@progbits
	.p2align	6, 0x0
	.amdhsa_kernel _ZN7rocprim17ROCPRIM_400000_NS6detail17trampoline_kernelINS0_14default_configENS1_38merge_sort_block_merge_config_selectorIisEEZZNS1_27merge_sort_block_merge_implIS3_N6thrust23THRUST_200600_302600_NS10device_ptrIiEENS9_IsEEjNS1_19radix_merge_compareILb0ELb0EiNS0_19identity_decomposerEEEEE10hipError_tT0_T1_T2_jT3_P12ihipStream_tbPNSt15iterator_traitsISG_E10value_typeEPNSM_ISH_E10value_typeEPSI_NS1_7vsmem_tEENKUlT_SG_SH_SI_E_clISA_PiSB_PsEESF_SV_SG_SH_SI_EUlSV_E0_NS1_11comp_targetILNS1_3genE4ELNS1_11target_archE910ELNS1_3gpuE8ELNS1_3repE0EEENS1_38merge_mergepath_config_static_selectorELNS0_4arch9wavefront6targetE1EEEvSH_
		.amdhsa_group_segment_fixed_size 0
		.amdhsa_private_segment_fixed_size 0
		.amdhsa_kernarg_size 64
		.amdhsa_user_sgpr_count 2
		.amdhsa_user_sgpr_dispatch_ptr 0
		.amdhsa_user_sgpr_queue_ptr 0
		.amdhsa_user_sgpr_kernarg_segment_ptr 1
		.amdhsa_user_sgpr_dispatch_id 0
		.amdhsa_user_sgpr_kernarg_preload_length 0
		.amdhsa_user_sgpr_kernarg_preload_offset 0
		.amdhsa_user_sgpr_private_segment_size 0
		.amdhsa_uses_dynamic_stack 0
		.amdhsa_enable_private_segment 0
		.amdhsa_system_sgpr_workgroup_id_x 1
		.amdhsa_system_sgpr_workgroup_id_y 0
		.amdhsa_system_sgpr_workgroup_id_z 0
		.amdhsa_system_sgpr_workgroup_info 0
		.amdhsa_system_vgpr_workitem_id 0
		.amdhsa_next_free_vgpr 1
		.amdhsa_next_free_sgpr 0
		.amdhsa_accum_offset 4
		.amdhsa_reserve_vcc 0
		.amdhsa_float_round_mode_32 0
		.amdhsa_float_round_mode_16_64 0
		.amdhsa_float_denorm_mode_32 3
		.amdhsa_float_denorm_mode_16_64 3
		.amdhsa_dx10_clamp 1
		.amdhsa_ieee_mode 1
		.amdhsa_fp16_overflow 0
		.amdhsa_tg_split 0
		.amdhsa_exception_fp_ieee_invalid_op 0
		.amdhsa_exception_fp_denorm_src 0
		.amdhsa_exception_fp_ieee_div_zero 0
		.amdhsa_exception_fp_ieee_overflow 0
		.amdhsa_exception_fp_ieee_underflow 0
		.amdhsa_exception_fp_ieee_inexact 0
		.amdhsa_exception_int_div_zero 0
	.end_amdhsa_kernel
	.section	.text._ZN7rocprim17ROCPRIM_400000_NS6detail17trampoline_kernelINS0_14default_configENS1_38merge_sort_block_merge_config_selectorIisEEZZNS1_27merge_sort_block_merge_implIS3_N6thrust23THRUST_200600_302600_NS10device_ptrIiEENS9_IsEEjNS1_19radix_merge_compareILb0ELb0EiNS0_19identity_decomposerEEEEE10hipError_tT0_T1_T2_jT3_P12ihipStream_tbPNSt15iterator_traitsISG_E10value_typeEPNSM_ISH_E10value_typeEPSI_NS1_7vsmem_tEENKUlT_SG_SH_SI_E_clISA_PiSB_PsEESF_SV_SG_SH_SI_EUlSV_E0_NS1_11comp_targetILNS1_3genE4ELNS1_11target_archE910ELNS1_3gpuE8ELNS1_3repE0EEENS1_38merge_mergepath_config_static_selectorELNS0_4arch9wavefront6targetE1EEEvSH_,"axG",@progbits,_ZN7rocprim17ROCPRIM_400000_NS6detail17trampoline_kernelINS0_14default_configENS1_38merge_sort_block_merge_config_selectorIisEEZZNS1_27merge_sort_block_merge_implIS3_N6thrust23THRUST_200600_302600_NS10device_ptrIiEENS9_IsEEjNS1_19radix_merge_compareILb0ELb0EiNS0_19identity_decomposerEEEEE10hipError_tT0_T1_T2_jT3_P12ihipStream_tbPNSt15iterator_traitsISG_E10value_typeEPNSM_ISH_E10value_typeEPSI_NS1_7vsmem_tEENKUlT_SG_SH_SI_E_clISA_PiSB_PsEESF_SV_SG_SH_SI_EUlSV_E0_NS1_11comp_targetILNS1_3genE4ELNS1_11target_archE910ELNS1_3gpuE8ELNS1_3repE0EEENS1_38merge_mergepath_config_static_selectorELNS0_4arch9wavefront6targetE1EEEvSH_,comdat
.Lfunc_end2325:
	.size	_ZN7rocprim17ROCPRIM_400000_NS6detail17trampoline_kernelINS0_14default_configENS1_38merge_sort_block_merge_config_selectorIisEEZZNS1_27merge_sort_block_merge_implIS3_N6thrust23THRUST_200600_302600_NS10device_ptrIiEENS9_IsEEjNS1_19radix_merge_compareILb0ELb0EiNS0_19identity_decomposerEEEEE10hipError_tT0_T1_T2_jT3_P12ihipStream_tbPNSt15iterator_traitsISG_E10value_typeEPNSM_ISH_E10value_typeEPSI_NS1_7vsmem_tEENKUlT_SG_SH_SI_E_clISA_PiSB_PsEESF_SV_SG_SH_SI_EUlSV_E0_NS1_11comp_targetILNS1_3genE4ELNS1_11target_archE910ELNS1_3gpuE8ELNS1_3repE0EEENS1_38merge_mergepath_config_static_selectorELNS0_4arch9wavefront6targetE1EEEvSH_, .Lfunc_end2325-_ZN7rocprim17ROCPRIM_400000_NS6detail17trampoline_kernelINS0_14default_configENS1_38merge_sort_block_merge_config_selectorIisEEZZNS1_27merge_sort_block_merge_implIS3_N6thrust23THRUST_200600_302600_NS10device_ptrIiEENS9_IsEEjNS1_19radix_merge_compareILb0ELb0EiNS0_19identity_decomposerEEEEE10hipError_tT0_T1_T2_jT3_P12ihipStream_tbPNSt15iterator_traitsISG_E10value_typeEPNSM_ISH_E10value_typeEPSI_NS1_7vsmem_tEENKUlT_SG_SH_SI_E_clISA_PiSB_PsEESF_SV_SG_SH_SI_EUlSV_E0_NS1_11comp_targetILNS1_3genE4ELNS1_11target_archE910ELNS1_3gpuE8ELNS1_3repE0EEENS1_38merge_mergepath_config_static_selectorELNS0_4arch9wavefront6targetE1EEEvSH_
                                        ; -- End function
	.set _ZN7rocprim17ROCPRIM_400000_NS6detail17trampoline_kernelINS0_14default_configENS1_38merge_sort_block_merge_config_selectorIisEEZZNS1_27merge_sort_block_merge_implIS3_N6thrust23THRUST_200600_302600_NS10device_ptrIiEENS9_IsEEjNS1_19radix_merge_compareILb0ELb0EiNS0_19identity_decomposerEEEEE10hipError_tT0_T1_T2_jT3_P12ihipStream_tbPNSt15iterator_traitsISG_E10value_typeEPNSM_ISH_E10value_typeEPSI_NS1_7vsmem_tEENKUlT_SG_SH_SI_E_clISA_PiSB_PsEESF_SV_SG_SH_SI_EUlSV_E0_NS1_11comp_targetILNS1_3genE4ELNS1_11target_archE910ELNS1_3gpuE8ELNS1_3repE0EEENS1_38merge_mergepath_config_static_selectorELNS0_4arch9wavefront6targetE1EEEvSH_.num_vgpr, 0
	.set _ZN7rocprim17ROCPRIM_400000_NS6detail17trampoline_kernelINS0_14default_configENS1_38merge_sort_block_merge_config_selectorIisEEZZNS1_27merge_sort_block_merge_implIS3_N6thrust23THRUST_200600_302600_NS10device_ptrIiEENS9_IsEEjNS1_19radix_merge_compareILb0ELb0EiNS0_19identity_decomposerEEEEE10hipError_tT0_T1_T2_jT3_P12ihipStream_tbPNSt15iterator_traitsISG_E10value_typeEPNSM_ISH_E10value_typeEPSI_NS1_7vsmem_tEENKUlT_SG_SH_SI_E_clISA_PiSB_PsEESF_SV_SG_SH_SI_EUlSV_E0_NS1_11comp_targetILNS1_3genE4ELNS1_11target_archE910ELNS1_3gpuE8ELNS1_3repE0EEENS1_38merge_mergepath_config_static_selectorELNS0_4arch9wavefront6targetE1EEEvSH_.num_agpr, 0
	.set _ZN7rocprim17ROCPRIM_400000_NS6detail17trampoline_kernelINS0_14default_configENS1_38merge_sort_block_merge_config_selectorIisEEZZNS1_27merge_sort_block_merge_implIS3_N6thrust23THRUST_200600_302600_NS10device_ptrIiEENS9_IsEEjNS1_19radix_merge_compareILb0ELb0EiNS0_19identity_decomposerEEEEE10hipError_tT0_T1_T2_jT3_P12ihipStream_tbPNSt15iterator_traitsISG_E10value_typeEPNSM_ISH_E10value_typeEPSI_NS1_7vsmem_tEENKUlT_SG_SH_SI_E_clISA_PiSB_PsEESF_SV_SG_SH_SI_EUlSV_E0_NS1_11comp_targetILNS1_3genE4ELNS1_11target_archE910ELNS1_3gpuE8ELNS1_3repE0EEENS1_38merge_mergepath_config_static_selectorELNS0_4arch9wavefront6targetE1EEEvSH_.numbered_sgpr, 0
	.set _ZN7rocprim17ROCPRIM_400000_NS6detail17trampoline_kernelINS0_14default_configENS1_38merge_sort_block_merge_config_selectorIisEEZZNS1_27merge_sort_block_merge_implIS3_N6thrust23THRUST_200600_302600_NS10device_ptrIiEENS9_IsEEjNS1_19radix_merge_compareILb0ELb0EiNS0_19identity_decomposerEEEEE10hipError_tT0_T1_T2_jT3_P12ihipStream_tbPNSt15iterator_traitsISG_E10value_typeEPNSM_ISH_E10value_typeEPSI_NS1_7vsmem_tEENKUlT_SG_SH_SI_E_clISA_PiSB_PsEESF_SV_SG_SH_SI_EUlSV_E0_NS1_11comp_targetILNS1_3genE4ELNS1_11target_archE910ELNS1_3gpuE8ELNS1_3repE0EEENS1_38merge_mergepath_config_static_selectorELNS0_4arch9wavefront6targetE1EEEvSH_.num_named_barrier, 0
	.set _ZN7rocprim17ROCPRIM_400000_NS6detail17trampoline_kernelINS0_14default_configENS1_38merge_sort_block_merge_config_selectorIisEEZZNS1_27merge_sort_block_merge_implIS3_N6thrust23THRUST_200600_302600_NS10device_ptrIiEENS9_IsEEjNS1_19radix_merge_compareILb0ELb0EiNS0_19identity_decomposerEEEEE10hipError_tT0_T1_T2_jT3_P12ihipStream_tbPNSt15iterator_traitsISG_E10value_typeEPNSM_ISH_E10value_typeEPSI_NS1_7vsmem_tEENKUlT_SG_SH_SI_E_clISA_PiSB_PsEESF_SV_SG_SH_SI_EUlSV_E0_NS1_11comp_targetILNS1_3genE4ELNS1_11target_archE910ELNS1_3gpuE8ELNS1_3repE0EEENS1_38merge_mergepath_config_static_selectorELNS0_4arch9wavefront6targetE1EEEvSH_.private_seg_size, 0
	.set _ZN7rocprim17ROCPRIM_400000_NS6detail17trampoline_kernelINS0_14default_configENS1_38merge_sort_block_merge_config_selectorIisEEZZNS1_27merge_sort_block_merge_implIS3_N6thrust23THRUST_200600_302600_NS10device_ptrIiEENS9_IsEEjNS1_19radix_merge_compareILb0ELb0EiNS0_19identity_decomposerEEEEE10hipError_tT0_T1_T2_jT3_P12ihipStream_tbPNSt15iterator_traitsISG_E10value_typeEPNSM_ISH_E10value_typeEPSI_NS1_7vsmem_tEENKUlT_SG_SH_SI_E_clISA_PiSB_PsEESF_SV_SG_SH_SI_EUlSV_E0_NS1_11comp_targetILNS1_3genE4ELNS1_11target_archE910ELNS1_3gpuE8ELNS1_3repE0EEENS1_38merge_mergepath_config_static_selectorELNS0_4arch9wavefront6targetE1EEEvSH_.uses_vcc, 0
	.set _ZN7rocprim17ROCPRIM_400000_NS6detail17trampoline_kernelINS0_14default_configENS1_38merge_sort_block_merge_config_selectorIisEEZZNS1_27merge_sort_block_merge_implIS3_N6thrust23THRUST_200600_302600_NS10device_ptrIiEENS9_IsEEjNS1_19radix_merge_compareILb0ELb0EiNS0_19identity_decomposerEEEEE10hipError_tT0_T1_T2_jT3_P12ihipStream_tbPNSt15iterator_traitsISG_E10value_typeEPNSM_ISH_E10value_typeEPSI_NS1_7vsmem_tEENKUlT_SG_SH_SI_E_clISA_PiSB_PsEESF_SV_SG_SH_SI_EUlSV_E0_NS1_11comp_targetILNS1_3genE4ELNS1_11target_archE910ELNS1_3gpuE8ELNS1_3repE0EEENS1_38merge_mergepath_config_static_selectorELNS0_4arch9wavefront6targetE1EEEvSH_.uses_flat_scratch, 0
	.set _ZN7rocprim17ROCPRIM_400000_NS6detail17trampoline_kernelINS0_14default_configENS1_38merge_sort_block_merge_config_selectorIisEEZZNS1_27merge_sort_block_merge_implIS3_N6thrust23THRUST_200600_302600_NS10device_ptrIiEENS9_IsEEjNS1_19radix_merge_compareILb0ELb0EiNS0_19identity_decomposerEEEEE10hipError_tT0_T1_T2_jT3_P12ihipStream_tbPNSt15iterator_traitsISG_E10value_typeEPNSM_ISH_E10value_typeEPSI_NS1_7vsmem_tEENKUlT_SG_SH_SI_E_clISA_PiSB_PsEESF_SV_SG_SH_SI_EUlSV_E0_NS1_11comp_targetILNS1_3genE4ELNS1_11target_archE910ELNS1_3gpuE8ELNS1_3repE0EEENS1_38merge_mergepath_config_static_selectorELNS0_4arch9wavefront6targetE1EEEvSH_.has_dyn_sized_stack, 0
	.set _ZN7rocprim17ROCPRIM_400000_NS6detail17trampoline_kernelINS0_14default_configENS1_38merge_sort_block_merge_config_selectorIisEEZZNS1_27merge_sort_block_merge_implIS3_N6thrust23THRUST_200600_302600_NS10device_ptrIiEENS9_IsEEjNS1_19radix_merge_compareILb0ELb0EiNS0_19identity_decomposerEEEEE10hipError_tT0_T1_T2_jT3_P12ihipStream_tbPNSt15iterator_traitsISG_E10value_typeEPNSM_ISH_E10value_typeEPSI_NS1_7vsmem_tEENKUlT_SG_SH_SI_E_clISA_PiSB_PsEESF_SV_SG_SH_SI_EUlSV_E0_NS1_11comp_targetILNS1_3genE4ELNS1_11target_archE910ELNS1_3gpuE8ELNS1_3repE0EEENS1_38merge_mergepath_config_static_selectorELNS0_4arch9wavefront6targetE1EEEvSH_.has_recursion, 0
	.set _ZN7rocprim17ROCPRIM_400000_NS6detail17trampoline_kernelINS0_14default_configENS1_38merge_sort_block_merge_config_selectorIisEEZZNS1_27merge_sort_block_merge_implIS3_N6thrust23THRUST_200600_302600_NS10device_ptrIiEENS9_IsEEjNS1_19radix_merge_compareILb0ELb0EiNS0_19identity_decomposerEEEEE10hipError_tT0_T1_T2_jT3_P12ihipStream_tbPNSt15iterator_traitsISG_E10value_typeEPNSM_ISH_E10value_typeEPSI_NS1_7vsmem_tEENKUlT_SG_SH_SI_E_clISA_PiSB_PsEESF_SV_SG_SH_SI_EUlSV_E0_NS1_11comp_targetILNS1_3genE4ELNS1_11target_archE910ELNS1_3gpuE8ELNS1_3repE0EEENS1_38merge_mergepath_config_static_selectorELNS0_4arch9wavefront6targetE1EEEvSH_.has_indirect_call, 0
	.section	.AMDGPU.csdata,"",@progbits
; Kernel info:
; codeLenInByte = 0
; TotalNumSgprs: 6
; NumVgprs: 0
; NumAgprs: 0
; TotalNumVgprs: 0
; ScratchSize: 0
; MemoryBound: 0
; FloatMode: 240
; IeeeMode: 1
; LDSByteSize: 0 bytes/workgroup (compile time only)
; SGPRBlocks: 0
; VGPRBlocks: 0
; NumSGPRsForWavesPerEU: 6
; NumVGPRsForWavesPerEU: 1
; AccumOffset: 4
; Occupancy: 8
; WaveLimiterHint : 0
; COMPUTE_PGM_RSRC2:SCRATCH_EN: 0
; COMPUTE_PGM_RSRC2:USER_SGPR: 2
; COMPUTE_PGM_RSRC2:TRAP_HANDLER: 0
; COMPUTE_PGM_RSRC2:TGID_X_EN: 1
; COMPUTE_PGM_RSRC2:TGID_Y_EN: 0
; COMPUTE_PGM_RSRC2:TGID_Z_EN: 0
; COMPUTE_PGM_RSRC2:TIDIG_COMP_CNT: 0
; COMPUTE_PGM_RSRC3_GFX90A:ACCUM_OFFSET: 0
; COMPUTE_PGM_RSRC3_GFX90A:TG_SPLIT: 0
	.section	.text._ZN7rocprim17ROCPRIM_400000_NS6detail17trampoline_kernelINS0_14default_configENS1_38merge_sort_block_merge_config_selectorIisEEZZNS1_27merge_sort_block_merge_implIS3_N6thrust23THRUST_200600_302600_NS10device_ptrIiEENS9_IsEEjNS1_19radix_merge_compareILb0ELb0EiNS0_19identity_decomposerEEEEE10hipError_tT0_T1_T2_jT3_P12ihipStream_tbPNSt15iterator_traitsISG_E10value_typeEPNSM_ISH_E10value_typeEPSI_NS1_7vsmem_tEENKUlT_SG_SH_SI_E_clISA_PiSB_PsEESF_SV_SG_SH_SI_EUlSV_E0_NS1_11comp_targetILNS1_3genE3ELNS1_11target_archE908ELNS1_3gpuE7ELNS1_3repE0EEENS1_38merge_mergepath_config_static_selectorELNS0_4arch9wavefront6targetE1EEEvSH_,"axG",@progbits,_ZN7rocprim17ROCPRIM_400000_NS6detail17trampoline_kernelINS0_14default_configENS1_38merge_sort_block_merge_config_selectorIisEEZZNS1_27merge_sort_block_merge_implIS3_N6thrust23THRUST_200600_302600_NS10device_ptrIiEENS9_IsEEjNS1_19radix_merge_compareILb0ELb0EiNS0_19identity_decomposerEEEEE10hipError_tT0_T1_T2_jT3_P12ihipStream_tbPNSt15iterator_traitsISG_E10value_typeEPNSM_ISH_E10value_typeEPSI_NS1_7vsmem_tEENKUlT_SG_SH_SI_E_clISA_PiSB_PsEESF_SV_SG_SH_SI_EUlSV_E0_NS1_11comp_targetILNS1_3genE3ELNS1_11target_archE908ELNS1_3gpuE7ELNS1_3repE0EEENS1_38merge_mergepath_config_static_selectorELNS0_4arch9wavefront6targetE1EEEvSH_,comdat
	.protected	_ZN7rocprim17ROCPRIM_400000_NS6detail17trampoline_kernelINS0_14default_configENS1_38merge_sort_block_merge_config_selectorIisEEZZNS1_27merge_sort_block_merge_implIS3_N6thrust23THRUST_200600_302600_NS10device_ptrIiEENS9_IsEEjNS1_19radix_merge_compareILb0ELb0EiNS0_19identity_decomposerEEEEE10hipError_tT0_T1_T2_jT3_P12ihipStream_tbPNSt15iterator_traitsISG_E10value_typeEPNSM_ISH_E10value_typeEPSI_NS1_7vsmem_tEENKUlT_SG_SH_SI_E_clISA_PiSB_PsEESF_SV_SG_SH_SI_EUlSV_E0_NS1_11comp_targetILNS1_3genE3ELNS1_11target_archE908ELNS1_3gpuE7ELNS1_3repE0EEENS1_38merge_mergepath_config_static_selectorELNS0_4arch9wavefront6targetE1EEEvSH_ ; -- Begin function _ZN7rocprim17ROCPRIM_400000_NS6detail17trampoline_kernelINS0_14default_configENS1_38merge_sort_block_merge_config_selectorIisEEZZNS1_27merge_sort_block_merge_implIS3_N6thrust23THRUST_200600_302600_NS10device_ptrIiEENS9_IsEEjNS1_19radix_merge_compareILb0ELb0EiNS0_19identity_decomposerEEEEE10hipError_tT0_T1_T2_jT3_P12ihipStream_tbPNSt15iterator_traitsISG_E10value_typeEPNSM_ISH_E10value_typeEPSI_NS1_7vsmem_tEENKUlT_SG_SH_SI_E_clISA_PiSB_PsEESF_SV_SG_SH_SI_EUlSV_E0_NS1_11comp_targetILNS1_3genE3ELNS1_11target_archE908ELNS1_3gpuE7ELNS1_3repE0EEENS1_38merge_mergepath_config_static_selectorELNS0_4arch9wavefront6targetE1EEEvSH_
	.globl	_ZN7rocprim17ROCPRIM_400000_NS6detail17trampoline_kernelINS0_14default_configENS1_38merge_sort_block_merge_config_selectorIisEEZZNS1_27merge_sort_block_merge_implIS3_N6thrust23THRUST_200600_302600_NS10device_ptrIiEENS9_IsEEjNS1_19radix_merge_compareILb0ELb0EiNS0_19identity_decomposerEEEEE10hipError_tT0_T1_T2_jT3_P12ihipStream_tbPNSt15iterator_traitsISG_E10value_typeEPNSM_ISH_E10value_typeEPSI_NS1_7vsmem_tEENKUlT_SG_SH_SI_E_clISA_PiSB_PsEESF_SV_SG_SH_SI_EUlSV_E0_NS1_11comp_targetILNS1_3genE3ELNS1_11target_archE908ELNS1_3gpuE7ELNS1_3repE0EEENS1_38merge_mergepath_config_static_selectorELNS0_4arch9wavefront6targetE1EEEvSH_
	.p2align	8
	.type	_ZN7rocprim17ROCPRIM_400000_NS6detail17trampoline_kernelINS0_14default_configENS1_38merge_sort_block_merge_config_selectorIisEEZZNS1_27merge_sort_block_merge_implIS3_N6thrust23THRUST_200600_302600_NS10device_ptrIiEENS9_IsEEjNS1_19radix_merge_compareILb0ELb0EiNS0_19identity_decomposerEEEEE10hipError_tT0_T1_T2_jT3_P12ihipStream_tbPNSt15iterator_traitsISG_E10value_typeEPNSM_ISH_E10value_typeEPSI_NS1_7vsmem_tEENKUlT_SG_SH_SI_E_clISA_PiSB_PsEESF_SV_SG_SH_SI_EUlSV_E0_NS1_11comp_targetILNS1_3genE3ELNS1_11target_archE908ELNS1_3gpuE7ELNS1_3repE0EEENS1_38merge_mergepath_config_static_selectorELNS0_4arch9wavefront6targetE1EEEvSH_,@function
_ZN7rocprim17ROCPRIM_400000_NS6detail17trampoline_kernelINS0_14default_configENS1_38merge_sort_block_merge_config_selectorIisEEZZNS1_27merge_sort_block_merge_implIS3_N6thrust23THRUST_200600_302600_NS10device_ptrIiEENS9_IsEEjNS1_19radix_merge_compareILb0ELb0EiNS0_19identity_decomposerEEEEE10hipError_tT0_T1_T2_jT3_P12ihipStream_tbPNSt15iterator_traitsISG_E10value_typeEPNSM_ISH_E10value_typeEPSI_NS1_7vsmem_tEENKUlT_SG_SH_SI_E_clISA_PiSB_PsEESF_SV_SG_SH_SI_EUlSV_E0_NS1_11comp_targetILNS1_3genE3ELNS1_11target_archE908ELNS1_3gpuE7ELNS1_3repE0EEENS1_38merge_mergepath_config_static_selectorELNS0_4arch9wavefront6targetE1EEEvSH_: ; @_ZN7rocprim17ROCPRIM_400000_NS6detail17trampoline_kernelINS0_14default_configENS1_38merge_sort_block_merge_config_selectorIisEEZZNS1_27merge_sort_block_merge_implIS3_N6thrust23THRUST_200600_302600_NS10device_ptrIiEENS9_IsEEjNS1_19radix_merge_compareILb0ELb0EiNS0_19identity_decomposerEEEEE10hipError_tT0_T1_T2_jT3_P12ihipStream_tbPNSt15iterator_traitsISG_E10value_typeEPNSM_ISH_E10value_typeEPSI_NS1_7vsmem_tEENKUlT_SG_SH_SI_E_clISA_PiSB_PsEESF_SV_SG_SH_SI_EUlSV_E0_NS1_11comp_targetILNS1_3genE3ELNS1_11target_archE908ELNS1_3gpuE7ELNS1_3repE0EEENS1_38merge_mergepath_config_static_selectorELNS0_4arch9wavefront6targetE1EEEvSH_
; %bb.0:
	.section	.rodata,"a",@progbits
	.p2align	6, 0x0
	.amdhsa_kernel _ZN7rocprim17ROCPRIM_400000_NS6detail17trampoline_kernelINS0_14default_configENS1_38merge_sort_block_merge_config_selectorIisEEZZNS1_27merge_sort_block_merge_implIS3_N6thrust23THRUST_200600_302600_NS10device_ptrIiEENS9_IsEEjNS1_19radix_merge_compareILb0ELb0EiNS0_19identity_decomposerEEEEE10hipError_tT0_T1_T2_jT3_P12ihipStream_tbPNSt15iterator_traitsISG_E10value_typeEPNSM_ISH_E10value_typeEPSI_NS1_7vsmem_tEENKUlT_SG_SH_SI_E_clISA_PiSB_PsEESF_SV_SG_SH_SI_EUlSV_E0_NS1_11comp_targetILNS1_3genE3ELNS1_11target_archE908ELNS1_3gpuE7ELNS1_3repE0EEENS1_38merge_mergepath_config_static_selectorELNS0_4arch9wavefront6targetE1EEEvSH_
		.amdhsa_group_segment_fixed_size 0
		.amdhsa_private_segment_fixed_size 0
		.amdhsa_kernarg_size 64
		.amdhsa_user_sgpr_count 2
		.amdhsa_user_sgpr_dispatch_ptr 0
		.amdhsa_user_sgpr_queue_ptr 0
		.amdhsa_user_sgpr_kernarg_segment_ptr 1
		.amdhsa_user_sgpr_dispatch_id 0
		.amdhsa_user_sgpr_kernarg_preload_length 0
		.amdhsa_user_sgpr_kernarg_preload_offset 0
		.amdhsa_user_sgpr_private_segment_size 0
		.amdhsa_uses_dynamic_stack 0
		.amdhsa_enable_private_segment 0
		.amdhsa_system_sgpr_workgroup_id_x 1
		.amdhsa_system_sgpr_workgroup_id_y 0
		.amdhsa_system_sgpr_workgroup_id_z 0
		.amdhsa_system_sgpr_workgroup_info 0
		.amdhsa_system_vgpr_workitem_id 0
		.amdhsa_next_free_vgpr 1
		.amdhsa_next_free_sgpr 0
		.amdhsa_accum_offset 4
		.amdhsa_reserve_vcc 0
		.amdhsa_float_round_mode_32 0
		.amdhsa_float_round_mode_16_64 0
		.amdhsa_float_denorm_mode_32 3
		.amdhsa_float_denorm_mode_16_64 3
		.amdhsa_dx10_clamp 1
		.amdhsa_ieee_mode 1
		.amdhsa_fp16_overflow 0
		.amdhsa_tg_split 0
		.amdhsa_exception_fp_ieee_invalid_op 0
		.amdhsa_exception_fp_denorm_src 0
		.amdhsa_exception_fp_ieee_div_zero 0
		.amdhsa_exception_fp_ieee_overflow 0
		.amdhsa_exception_fp_ieee_underflow 0
		.amdhsa_exception_fp_ieee_inexact 0
		.amdhsa_exception_int_div_zero 0
	.end_amdhsa_kernel
	.section	.text._ZN7rocprim17ROCPRIM_400000_NS6detail17trampoline_kernelINS0_14default_configENS1_38merge_sort_block_merge_config_selectorIisEEZZNS1_27merge_sort_block_merge_implIS3_N6thrust23THRUST_200600_302600_NS10device_ptrIiEENS9_IsEEjNS1_19radix_merge_compareILb0ELb0EiNS0_19identity_decomposerEEEEE10hipError_tT0_T1_T2_jT3_P12ihipStream_tbPNSt15iterator_traitsISG_E10value_typeEPNSM_ISH_E10value_typeEPSI_NS1_7vsmem_tEENKUlT_SG_SH_SI_E_clISA_PiSB_PsEESF_SV_SG_SH_SI_EUlSV_E0_NS1_11comp_targetILNS1_3genE3ELNS1_11target_archE908ELNS1_3gpuE7ELNS1_3repE0EEENS1_38merge_mergepath_config_static_selectorELNS0_4arch9wavefront6targetE1EEEvSH_,"axG",@progbits,_ZN7rocprim17ROCPRIM_400000_NS6detail17trampoline_kernelINS0_14default_configENS1_38merge_sort_block_merge_config_selectorIisEEZZNS1_27merge_sort_block_merge_implIS3_N6thrust23THRUST_200600_302600_NS10device_ptrIiEENS9_IsEEjNS1_19radix_merge_compareILb0ELb0EiNS0_19identity_decomposerEEEEE10hipError_tT0_T1_T2_jT3_P12ihipStream_tbPNSt15iterator_traitsISG_E10value_typeEPNSM_ISH_E10value_typeEPSI_NS1_7vsmem_tEENKUlT_SG_SH_SI_E_clISA_PiSB_PsEESF_SV_SG_SH_SI_EUlSV_E0_NS1_11comp_targetILNS1_3genE3ELNS1_11target_archE908ELNS1_3gpuE7ELNS1_3repE0EEENS1_38merge_mergepath_config_static_selectorELNS0_4arch9wavefront6targetE1EEEvSH_,comdat
.Lfunc_end2326:
	.size	_ZN7rocprim17ROCPRIM_400000_NS6detail17trampoline_kernelINS0_14default_configENS1_38merge_sort_block_merge_config_selectorIisEEZZNS1_27merge_sort_block_merge_implIS3_N6thrust23THRUST_200600_302600_NS10device_ptrIiEENS9_IsEEjNS1_19radix_merge_compareILb0ELb0EiNS0_19identity_decomposerEEEEE10hipError_tT0_T1_T2_jT3_P12ihipStream_tbPNSt15iterator_traitsISG_E10value_typeEPNSM_ISH_E10value_typeEPSI_NS1_7vsmem_tEENKUlT_SG_SH_SI_E_clISA_PiSB_PsEESF_SV_SG_SH_SI_EUlSV_E0_NS1_11comp_targetILNS1_3genE3ELNS1_11target_archE908ELNS1_3gpuE7ELNS1_3repE0EEENS1_38merge_mergepath_config_static_selectorELNS0_4arch9wavefront6targetE1EEEvSH_, .Lfunc_end2326-_ZN7rocprim17ROCPRIM_400000_NS6detail17trampoline_kernelINS0_14default_configENS1_38merge_sort_block_merge_config_selectorIisEEZZNS1_27merge_sort_block_merge_implIS3_N6thrust23THRUST_200600_302600_NS10device_ptrIiEENS9_IsEEjNS1_19radix_merge_compareILb0ELb0EiNS0_19identity_decomposerEEEEE10hipError_tT0_T1_T2_jT3_P12ihipStream_tbPNSt15iterator_traitsISG_E10value_typeEPNSM_ISH_E10value_typeEPSI_NS1_7vsmem_tEENKUlT_SG_SH_SI_E_clISA_PiSB_PsEESF_SV_SG_SH_SI_EUlSV_E0_NS1_11comp_targetILNS1_3genE3ELNS1_11target_archE908ELNS1_3gpuE7ELNS1_3repE0EEENS1_38merge_mergepath_config_static_selectorELNS0_4arch9wavefront6targetE1EEEvSH_
                                        ; -- End function
	.set _ZN7rocprim17ROCPRIM_400000_NS6detail17trampoline_kernelINS0_14default_configENS1_38merge_sort_block_merge_config_selectorIisEEZZNS1_27merge_sort_block_merge_implIS3_N6thrust23THRUST_200600_302600_NS10device_ptrIiEENS9_IsEEjNS1_19radix_merge_compareILb0ELb0EiNS0_19identity_decomposerEEEEE10hipError_tT0_T1_T2_jT3_P12ihipStream_tbPNSt15iterator_traitsISG_E10value_typeEPNSM_ISH_E10value_typeEPSI_NS1_7vsmem_tEENKUlT_SG_SH_SI_E_clISA_PiSB_PsEESF_SV_SG_SH_SI_EUlSV_E0_NS1_11comp_targetILNS1_3genE3ELNS1_11target_archE908ELNS1_3gpuE7ELNS1_3repE0EEENS1_38merge_mergepath_config_static_selectorELNS0_4arch9wavefront6targetE1EEEvSH_.num_vgpr, 0
	.set _ZN7rocprim17ROCPRIM_400000_NS6detail17trampoline_kernelINS0_14default_configENS1_38merge_sort_block_merge_config_selectorIisEEZZNS1_27merge_sort_block_merge_implIS3_N6thrust23THRUST_200600_302600_NS10device_ptrIiEENS9_IsEEjNS1_19radix_merge_compareILb0ELb0EiNS0_19identity_decomposerEEEEE10hipError_tT0_T1_T2_jT3_P12ihipStream_tbPNSt15iterator_traitsISG_E10value_typeEPNSM_ISH_E10value_typeEPSI_NS1_7vsmem_tEENKUlT_SG_SH_SI_E_clISA_PiSB_PsEESF_SV_SG_SH_SI_EUlSV_E0_NS1_11comp_targetILNS1_3genE3ELNS1_11target_archE908ELNS1_3gpuE7ELNS1_3repE0EEENS1_38merge_mergepath_config_static_selectorELNS0_4arch9wavefront6targetE1EEEvSH_.num_agpr, 0
	.set _ZN7rocprim17ROCPRIM_400000_NS6detail17trampoline_kernelINS0_14default_configENS1_38merge_sort_block_merge_config_selectorIisEEZZNS1_27merge_sort_block_merge_implIS3_N6thrust23THRUST_200600_302600_NS10device_ptrIiEENS9_IsEEjNS1_19radix_merge_compareILb0ELb0EiNS0_19identity_decomposerEEEEE10hipError_tT0_T1_T2_jT3_P12ihipStream_tbPNSt15iterator_traitsISG_E10value_typeEPNSM_ISH_E10value_typeEPSI_NS1_7vsmem_tEENKUlT_SG_SH_SI_E_clISA_PiSB_PsEESF_SV_SG_SH_SI_EUlSV_E0_NS1_11comp_targetILNS1_3genE3ELNS1_11target_archE908ELNS1_3gpuE7ELNS1_3repE0EEENS1_38merge_mergepath_config_static_selectorELNS0_4arch9wavefront6targetE1EEEvSH_.numbered_sgpr, 0
	.set _ZN7rocprim17ROCPRIM_400000_NS6detail17trampoline_kernelINS0_14default_configENS1_38merge_sort_block_merge_config_selectorIisEEZZNS1_27merge_sort_block_merge_implIS3_N6thrust23THRUST_200600_302600_NS10device_ptrIiEENS9_IsEEjNS1_19radix_merge_compareILb0ELb0EiNS0_19identity_decomposerEEEEE10hipError_tT0_T1_T2_jT3_P12ihipStream_tbPNSt15iterator_traitsISG_E10value_typeEPNSM_ISH_E10value_typeEPSI_NS1_7vsmem_tEENKUlT_SG_SH_SI_E_clISA_PiSB_PsEESF_SV_SG_SH_SI_EUlSV_E0_NS1_11comp_targetILNS1_3genE3ELNS1_11target_archE908ELNS1_3gpuE7ELNS1_3repE0EEENS1_38merge_mergepath_config_static_selectorELNS0_4arch9wavefront6targetE1EEEvSH_.num_named_barrier, 0
	.set _ZN7rocprim17ROCPRIM_400000_NS6detail17trampoline_kernelINS0_14default_configENS1_38merge_sort_block_merge_config_selectorIisEEZZNS1_27merge_sort_block_merge_implIS3_N6thrust23THRUST_200600_302600_NS10device_ptrIiEENS9_IsEEjNS1_19radix_merge_compareILb0ELb0EiNS0_19identity_decomposerEEEEE10hipError_tT0_T1_T2_jT3_P12ihipStream_tbPNSt15iterator_traitsISG_E10value_typeEPNSM_ISH_E10value_typeEPSI_NS1_7vsmem_tEENKUlT_SG_SH_SI_E_clISA_PiSB_PsEESF_SV_SG_SH_SI_EUlSV_E0_NS1_11comp_targetILNS1_3genE3ELNS1_11target_archE908ELNS1_3gpuE7ELNS1_3repE0EEENS1_38merge_mergepath_config_static_selectorELNS0_4arch9wavefront6targetE1EEEvSH_.private_seg_size, 0
	.set _ZN7rocprim17ROCPRIM_400000_NS6detail17trampoline_kernelINS0_14default_configENS1_38merge_sort_block_merge_config_selectorIisEEZZNS1_27merge_sort_block_merge_implIS3_N6thrust23THRUST_200600_302600_NS10device_ptrIiEENS9_IsEEjNS1_19radix_merge_compareILb0ELb0EiNS0_19identity_decomposerEEEEE10hipError_tT0_T1_T2_jT3_P12ihipStream_tbPNSt15iterator_traitsISG_E10value_typeEPNSM_ISH_E10value_typeEPSI_NS1_7vsmem_tEENKUlT_SG_SH_SI_E_clISA_PiSB_PsEESF_SV_SG_SH_SI_EUlSV_E0_NS1_11comp_targetILNS1_3genE3ELNS1_11target_archE908ELNS1_3gpuE7ELNS1_3repE0EEENS1_38merge_mergepath_config_static_selectorELNS0_4arch9wavefront6targetE1EEEvSH_.uses_vcc, 0
	.set _ZN7rocprim17ROCPRIM_400000_NS6detail17trampoline_kernelINS0_14default_configENS1_38merge_sort_block_merge_config_selectorIisEEZZNS1_27merge_sort_block_merge_implIS3_N6thrust23THRUST_200600_302600_NS10device_ptrIiEENS9_IsEEjNS1_19radix_merge_compareILb0ELb0EiNS0_19identity_decomposerEEEEE10hipError_tT0_T1_T2_jT3_P12ihipStream_tbPNSt15iterator_traitsISG_E10value_typeEPNSM_ISH_E10value_typeEPSI_NS1_7vsmem_tEENKUlT_SG_SH_SI_E_clISA_PiSB_PsEESF_SV_SG_SH_SI_EUlSV_E0_NS1_11comp_targetILNS1_3genE3ELNS1_11target_archE908ELNS1_3gpuE7ELNS1_3repE0EEENS1_38merge_mergepath_config_static_selectorELNS0_4arch9wavefront6targetE1EEEvSH_.uses_flat_scratch, 0
	.set _ZN7rocprim17ROCPRIM_400000_NS6detail17trampoline_kernelINS0_14default_configENS1_38merge_sort_block_merge_config_selectorIisEEZZNS1_27merge_sort_block_merge_implIS3_N6thrust23THRUST_200600_302600_NS10device_ptrIiEENS9_IsEEjNS1_19radix_merge_compareILb0ELb0EiNS0_19identity_decomposerEEEEE10hipError_tT0_T1_T2_jT3_P12ihipStream_tbPNSt15iterator_traitsISG_E10value_typeEPNSM_ISH_E10value_typeEPSI_NS1_7vsmem_tEENKUlT_SG_SH_SI_E_clISA_PiSB_PsEESF_SV_SG_SH_SI_EUlSV_E0_NS1_11comp_targetILNS1_3genE3ELNS1_11target_archE908ELNS1_3gpuE7ELNS1_3repE0EEENS1_38merge_mergepath_config_static_selectorELNS0_4arch9wavefront6targetE1EEEvSH_.has_dyn_sized_stack, 0
	.set _ZN7rocprim17ROCPRIM_400000_NS6detail17trampoline_kernelINS0_14default_configENS1_38merge_sort_block_merge_config_selectorIisEEZZNS1_27merge_sort_block_merge_implIS3_N6thrust23THRUST_200600_302600_NS10device_ptrIiEENS9_IsEEjNS1_19radix_merge_compareILb0ELb0EiNS0_19identity_decomposerEEEEE10hipError_tT0_T1_T2_jT3_P12ihipStream_tbPNSt15iterator_traitsISG_E10value_typeEPNSM_ISH_E10value_typeEPSI_NS1_7vsmem_tEENKUlT_SG_SH_SI_E_clISA_PiSB_PsEESF_SV_SG_SH_SI_EUlSV_E0_NS1_11comp_targetILNS1_3genE3ELNS1_11target_archE908ELNS1_3gpuE7ELNS1_3repE0EEENS1_38merge_mergepath_config_static_selectorELNS0_4arch9wavefront6targetE1EEEvSH_.has_recursion, 0
	.set _ZN7rocprim17ROCPRIM_400000_NS6detail17trampoline_kernelINS0_14default_configENS1_38merge_sort_block_merge_config_selectorIisEEZZNS1_27merge_sort_block_merge_implIS3_N6thrust23THRUST_200600_302600_NS10device_ptrIiEENS9_IsEEjNS1_19radix_merge_compareILb0ELb0EiNS0_19identity_decomposerEEEEE10hipError_tT0_T1_T2_jT3_P12ihipStream_tbPNSt15iterator_traitsISG_E10value_typeEPNSM_ISH_E10value_typeEPSI_NS1_7vsmem_tEENKUlT_SG_SH_SI_E_clISA_PiSB_PsEESF_SV_SG_SH_SI_EUlSV_E0_NS1_11comp_targetILNS1_3genE3ELNS1_11target_archE908ELNS1_3gpuE7ELNS1_3repE0EEENS1_38merge_mergepath_config_static_selectorELNS0_4arch9wavefront6targetE1EEEvSH_.has_indirect_call, 0
	.section	.AMDGPU.csdata,"",@progbits
; Kernel info:
; codeLenInByte = 0
; TotalNumSgprs: 6
; NumVgprs: 0
; NumAgprs: 0
; TotalNumVgprs: 0
; ScratchSize: 0
; MemoryBound: 0
; FloatMode: 240
; IeeeMode: 1
; LDSByteSize: 0 bytes/workgroup (compile time only)
; SGPRBlocks: 0
; VGPRBlocks: 0
; NumSGPRsForWavesPerEU: 6
; NumVGPRsForWavesPerEU: 1
; AccumOffset: 4
; Occupancy: 8
; WaveLimiterHint : 0
; COMPUTE_PGM_RSRC2:SCRATCH_EN: 0
; COMPUTE_PGM_RSRC2:USER_SGPR: 2
; COMPUTE_PGM_RSRC2:TRAP_HANDLER: 0
; COMPUTE_PGM_RSRC2:TGID_X_EN: 1
; COMPUTE_PGM_RSRC2:TGID_Y_EN: 0
; COMPUTE_PGM_RSRC2:TGID_Z_EN: 0
; COMPUTE_PGM_RSRC2:TIDIG_COMP_CNT: 0
; COMPUTE_PGM_RSRC3_GFX90A:ACCUM_OFFSET: 0
; COMPUTE_PGM_RSRC3_GFX90A:TG_SPLIT: 0
	.section	.text._ZN7rocprim17ROCPRIM_400000_NS6detail17trampoline_kernelINS0_14default_configENS1_38merge_sort_block_merge_config_selectorIisEEZZNS1_27merge_sort_block_merge_implIS3_N6thrust23THRUST_200600_302600_NS10device_ptrIiEENS9_IsEEjNS1_19radix_merge_compareILb0ELb0EiNS0_19identity_decomposerEEEEE10hipError_tT0_T1_T2_jT3_P12ihipStream_tbPNSt15iterator_traitsISG_E10value_typeEPNSM_ISH_E10value_typeEPSI_NS1_7vsmem_tEENKUlT_SG_SH_SI_E_clISA_PiSB_PsEESF_SV_SG_SH_SI_EUlSV_E0_NS1_11comp_targetILNS1_3genE2ELNS1_11target_archE906ELNS1_3gpuE6ELNS1_3repE0EEENS1_38merge_mergepath_config_static_selectorELNS0_4arch9wavefront6targetE1EEEvSH_,"axG",@progbits,_ZN7rocprim17ROCPRIM_400000_NS6detail17trampoline_kernelINS0_14default_configENS1_38merge_sort_block_merge_config_selectorIisEEZZNS1_27merge_sort_block_merge_implIS3_N6thrust23THRUST_200600_302600_NS10device_ptrIiEENS9_IsEEjNS1_19radix_merge_compareILb0ELb0EiNS0_19identity_decomposerEEEEE10hipError_tT0_T1_T2_jT3_P12ihipStream_tbPNSt15iterator_traitsISG_E10value_typeEPNSM_ISH_E10value_typeEPSI_NS1_7vsmem_tEENKUlT_SG_SH_SI_E_clISA_PiSB_PsEESF_SV_SG_SH_SI_EUlSV_E0_NS1_11comp_targetILNS1_3genE2ELNS1_11target_archE906ELNS1_3gpuE6ELNS1_3repE0EEENS1_38merge_mergepath_config_static_selectorELNS0_4arch9wavefront6targetE1EEEvSH_,comdat
	.protected	_ZN7rocprim17ROCPRIM_400000_NS6detail17trampoline_kernelINS0_14default_configENS1_38merge_sort_block_merge_config_selectorIisEEZZNS1_27merge_sort_block_merge_implIS3_N6thrust23THRUST_200600_302600_NS10device_ptrIiEENS9_IsEEjNS1_19radix_merge_compareILb0ELb0EiNS0_19identity_decomposerEEEEE10hipError_tT0_T1_T2_jT3_P12ihipStream_tbPNSt15iterator_traitsISG_E10value_typeEPNSM_ISH_E10value_typeEPSI_NS1_7vsmem_tEENKUlT_SG_SH_SI_E_clISA_PiSB_PsEESF_SV_SG_SH_SI_EUlSV_E0_NS1_11comp_targetILNS1_3genE2ELNS1_11target_archE906ELNS1_3gpuE6ELNS1_3repE0EEENS1_38merge_mergepath_config_static_selectorELNS0_4arch9wavefront6targetE1EEEvSH_ ; -- Begin function _ZN7rocprim17ROCPRIM_400000_NS6detail17trampoline_kernelINS0_14default_configENS1_38merge_sort_block_merge_config_selectorIisEEZZNS1_27merge_sort_block_merge_implIS3_N6thrust23THRUST_200600_302600_NS10device_ptrIiEENS9_IsEEjNS1_19radix_merge_compareILb0ELb0EiNS0_19identity_decomposerEEEEE10hipError_tT0_T1_T2_jT3_P12ihipStream_tbPNSt15iterator_traitsISG_E10value_typeEPNSM_ISH_E10value_typeEPSI_NS1_7vsmem_tEENKUlT_SG_SH_SI_E_clISA_PiSB_PsEESF_SV_SG_SH_SI_EUlSV_E0_NS1_11comp_targetILNS1_3genE2ELNS1_11target_archE906ELNS1_3gpuE6ELNS1_3repE0EEENS1_38merge_mergepath_config_static_selectorELNS0_4arch9wavefront6targetE1EEEvSH_
	.globl	_ZN7rocprim17ROCPRIM_400000_NS6detail17trampoline_kernelINS0_14default_configENS1_38merge_sort_block_merge_config_selectorIisEEZZNS1_27merge_sort_block_merge_implIS3_N6thrust23THRUST_200600_302600_NS10device_ptrIiEENS9_IsEEjNS1_19radix_merge_compareILb0ELb0EiNS0_19identity_decomposerEEEEE10hipError_tT0_T1_T2_jT3_P12ihipStream_tbPNSt15iterator_traitsISG_E10value_typeEPNSM_ISH_E10value_typeEPSI_NS1_7vsmem_tEENKUlT_SG_SH_SI_E_clISA_PiSB_PsEESF_SV_SG_SH_SI_EUlSV_E0_NS1_11comp_targetILNS1_3genE2ELNS1_11target_archE906ELNS1_3gpuE6ELNS1_3repE0EEENS1_38merge_mergepath_config_static_selectorELNS0_4arch9wavefront6targetE1EEEvSH_
	.p2align	8
	.type	_ZN7rocprim17ROCPRIM_400000_NS6detail17trampoline_kernelINS0_14default_configENS1_38merge_sort_block_merge_config_selectorIisEEZZNS1_27merge_sort_block_merge_implIS3_N6thrust23THRUST_200600_302600_NS10device_ptrIiEENS9_IsEEjNS1_19radix_merge_compareILb0ELb0EiNS0_19identity_decomposerEEEEE10hipError_tT0_T1_T2_jT3_P12ihipStream_tbPNSt15iterator_traitsISG_E10value_typeEPNSM_ISH_E10value_typeEPSI_NS1_7vsmem_tEENKUlT_SG_SH_SI_E_clISA_PiSB_PsEESF_SV_SG_SH_SI_EUlSV_E0_NS1_11comp_targetILNS1_3genE2ELNS1_11target_archE906ELNS1_3gpuE6ELNS1_3repE0EEENS1_38merge_mergepath_config_static_selectorELNS0_4arch9wavefront6targetE1EEEvSH_,@function
_ZN7rocprim17ROCPRIM_400000_NS6detail17trampoline_kernelINS0_14default_configENS1_38merge_sort_block_merge_config_selectorIisEEZZNS1_27merge_sort_block_merge_implIS3_N6thrust23THRUST_200600_302600_NS10device_ptrIiEENS9_IsEEjNS1_19radix_merge_compareILb0ELb0EiNS0_19identity_decomposerEEEEE10hipError_tT0_T1_T2_jT3_P12ihipStream_tbPNSt15iterator_traitsISG_E10value_typeEPNSM_ISH_E10value_typeEPSI_NS1_7vsmem_tEENKUlT_SG_SH_SI_E_clISA_PiSB_PsEESF_SV_SG_SH_SI_EUlSV_E0_NS1_11comp_targetILNS1_3genE2ELNS1_11target_archE906ELNS1_3gpuE6ELNS1_3repE0EEENS1_38merge_mergepath_config_static_selectorELNS0_4arch9wavefront6targetE1EEEvSH_: ; @_ZN7rocprim17ROCPRIM_400000_NS6detail17trampoline_kernelINS0_14default_configENS1_38merge_sort_block_merge_config_selectorIisEEZZNS1_27merge_sort_block_merge_implIS3_N6thrust23THRUST_200600_302600_NS10device_ptrIiEENS9_IsEEjNS1_19radix_merge_compareILb0ELb0EiNS0_19identity_decomposerEEEEE10hipError_tT0_T1_T2_jT3_P12ihipStream_tbPNSt15iterator_traitsISG_E10value_typeEPNSM_ISH_E10value_typeEPSI_NS1_7vsmem_tEENKUlT_SG_SH_SI_E_clISA_PiSB_PsEESF_SV_SG_SH_SI_EUlSV_E0_NS1_11comp_targetILNS1_3genE2ELNS1_11target_archE906ELNS1_3gpuE6ELNS1_3repE0EEENS1_38merge_mergepath_config_static_selectorELNS0_4arch9wavefront6targetE1EEEvSH_
; %bb.0:
	.section	.rodata,"a",@progbits
	.p2align	6, 0x0
	.amdhsa_kernel _ZN7rocprim17ROCPRIM_400000_NS6detail17trampoline_kernelINS0_14default_configENS1_38merge_sort_block_merge_config_selectorIisEEZZNS1_27merge_sort_block_merge_implIS3_N6thrust23THRUST_200600_302600_NS10device_ptrIiEENS9_IsEEjNS1_19radix_merge_compareILb0ELb0EiNS0_19identity_decomposerEEEEE10hipError_tT0_T1_T2_jT3_P12ihipStream_tbPNSt15iterator_traitsISG_E10value_typeEPNSM_ISH_E10value_typeEPSI_NS1_7vsmem_tEENKUlT_SG_SH_SI_E_clISA_PiSB_PsEESF_SV_SG_SH_SI_EUlSV_E0_NS1_11comp_targetILNS1_3genE2ELNS1_11target_archE906ELNS1_3gpuE6ELNS1_3repE0EEENS1_38merge_mergepath_config_static_selectorELNS0_4arch9wavefront6targetE1EEEvSH_
		.amdhsa_group_segment_fixed_size 0
		.amdhsa_private_segment_fixed_size 0
		.amdhsa_kernarg_size 64
		.amdhsa_user_sgpr_count 2
		.amdhsa_user_sgpr_dispatch_ptr 0
		.amdhsa_user_sgpr_queue_ptr 0
		.amdhsa_user_sgpr_kernarg_segment_ptr 1
		.amdhsa_user_sgpr_dispatch_id 0
		.amdhsa_user_sgpr_kernarg_preload_length 0
		.amdhsa_user_sgpr_kernarg_preload_offset 0
		.amdhsa_user_sgpr_private_segment_size 0
		.amdhsa_uses_dynamic_stack 0
		.amdhsa_enable_private_segment 0
		.amdhsa_system_sgpr_workgroup_id_x 1
		.amdhsa_system_sgpr_workgroup_id_y 0
		.amdhsa_system_sgpr_workgroup_id_z 0
		.amdhsa_system_sgpr_workgroup_info 0
		.amdhsa_system_vgpr_workitem_id 0
		.amdhsa_next_free_vgpr 1
		.amdhsa_next_free_sgpr 0
		.amdhsa_accum_offset 4
		.amdhsa_reserve_vcc 0
		.amdhsa_float_round_mode_32 0
		.amdhsa_float_round_mode_16_64 0
		.amdhsa_float_denorm_mode_32 3
		.amdhsa_float_denorm_mode_16_64 3
		.amdhsa_dx10_clamp 1
		.amdhsa_ieee_mode 1
		.amdhsa_fp16_overflow 0
		.amdhsa_tg_split 0
		.amdhsa_exception_fp_ieee_invalid_op 0
		.amdhsa_exception_fp_denorm_src 0
		.amdhsa_exception_fp_ieee_div_zero 0
		.amdhsa_exception_fp_ieee_overflow 0
		.amdhsa_exception_fp_ieee_underflow 0
		.amdhsa_exception_fp_ieee_inexact 0
		.amdhsa_exception_int_div_zero 0
	.end_amdhsa_kernel
	.section	.text._ZN7rocprim17ROCPRIM_400000_NS6detail17trampoline_kernelINS0_14default_configENS1_38merge_sort_block_merge_config_selectorIisEEZZNS1_27merge_sort_block_merge_implIS3_N6thrust23THRUST_200600_302600_NS10device_ptrIiEENS9_IsEEjNS1_19radix_merge_compareILb0ELb0EiNS0_19identity_decomposerEEEEE10hipError_tT0_T1_T2_jT3_P12ihipStream_tbPNSt15iterator_traitsISG_E10value_typeEPNSM_ISH_E10value_typeEPSI_NS1_7vsmem_tEENKUlT_SG_SH_SI_E_clISA_PiSB_PsEESF_SV_SG_SH_SI_EUlSV_E0_NS1_11comp_targetILNS1_3genE2ELNS1_11target_archE906ELNS1_3gpuE6ELNS1_3repE0EEENS1_38merge_mergepath_config_static_selectorELNS0_4arch9wavefront6targetE1EEEvSH_,"axG",@progbits,_ZN7rocprim17ROCPRIM_400000_NS6detail17trampoline_kernelINS0_14default_configENS1_38merge_sort_block_merge_config_selectorIisEEZZNS1_27merge_sort_block_merge_implIS3_N6thrust23THRUST_200600_302600_NS10device_ptrIiEENS9_IsEEjNS1_19radix_merge_compareILb0ELb0EiNS0_19identity_decomposerEEEEE10hipError_tT0_T1_T2_jT3_P12ihipStream_tbPNSt15iterator_traitsISG_E10value_typeEPNSM_ISH_E10value_typeEPSI_NS1_7vsmem_tEENKUlT_SG_SH_SI_E_clISA_PiSB_PsEESF_SV_SG_SH_SI_EUlSV_E0_NS1_11comp_targetILNS1_3genE2ELNS1_11target_archE906ELNS1_3gpuE6ELNS1_3repE0EEENS1_38merge_mergepath_config_static_selectorELNS0_4arch9wavefront6targetE1EEEvSH_,comdat
.Lfunc_end2327:
	.size	_ZN7rocprim17ROCPRIM_400000_NS6detail17trampoline_kernelINS0_14default_configENS1_38merge_sort_block_merge_config_selectorIisEEZZNS1_27merge_sort_block_merge_implIS3_N6thrust23THRUST_200600_302600_NS10device_ptrIiEENS9_IsEEjNS1_19radix_merge_compareILb0ELb0EiNS0_19identity_decomposerEEEEE10hipError_tT0_T1_T2_jT3_P12ihipStream_tbPNSt15iterator_traitsISG_E10value_typeEPNSM_ISH_E10value_typeEPSI_NS1_7vsmem_tEENKUlT_SG_SH_SI_E_clISA_PiSB_PsEESF_SV_SG_SH_SI_EUlSV_E0_NS1_11comp_targetILNS1_3genE2ELNS1_11target_archE906ELNS1_3gpuE6ELNS1_3repE0EEENS1_38merge_mergepath_config_static_selectorELNS0_4arch9wavefront6targetE1EEEvSH_, .Lfunc_end2327-_ZN7rocprim17ROCPRIM_400000_NS6detail17trampoline_kernelINS0_14default_configENS1_38merge_sort_block_merge_config_selectorIisEEZZNS1_27merge_sort_block_merge_implIS3_N6thrust23THRUST_200600_302600_NS10device_ptrIiEENS9_IsEEjNS1_19radix_merge_compareILb0ELb0EiNS0_19identity_decomposerEEEEE10hipError_tT0_T1_T2_jT3_P12ihipStream_tbPNSt15iterator_traitsISG_E10value_typeEPNSM_ISH_E10value_typeEPSI_NS1_7vsmem_tEENKUlT_SG_SH_SI_E_clISA_PiSB_PsEESF_SV_SG_SH_SI_EUlSV_E0_NS1_11comp_targetILNS1_3genE2ELNS1_11target_archE906ELNS1_3gpuE6ELNS1_3repE0EEENS1_38merge_mergepath_config_static_selectorELNS0_4arch9wavefront6targetE1EEEvSH_
                                        ; -- End function
	.set _ZN7rocprim17ROCPRIM_400000_NS6detail17trampoline_kernelINS0_14default_configENS1_38merge_sort_block_merge_config_selectorIisEEZZNS1_27merge_sort_block_merge_implIS3_N6thrust23THRUST_200600_302600_NS10device_ptrIiEENS9_IsEEjNS1_19radix_merge_compareILb0ELb0EiNS0_19identity_decomposerEEEEE10hipError_tT0_T1_T2_jT3_P12ihipStream_tbPNSt15iterator_traitsISG_E10value_typeEPNSM_ISH_E10value_typeEPSI_NS1_7vsmem_tEENKUlT_SG_SH_SI_E_clISA_PiSB_PsEESF_SV_SG_SH_SI_EUlSV_E0_NS1_11comp_targetILNS1_3genE2ELNS1_11target_archE906ELNS1_3gpuE6ELNS1_3repE0EEENS1_38merge_mergepath_config_static_selectorELNS0_4arch9wavefront6targetE1EEEvSH_.num_vgpr, 0
	.set _ZN7rocprim17ROCPRIM_400000_NS6detail17trampoline_kernelINS0_14default_configENS1_38merge_sort_block_merge_config_selectorIisEEZZNS1_27merge_sort_block_merge_implIS3_N6thrust23THRUST_200600_302600_NS10device_ptrIiEENS9_IsEEjNS1_19radix_merge_compareILb0ELb0EiNS0_19identity_decomposerEEEEE10hipError_tT0_T1_T2_jT3_P12ihipStream_tbPNSt15iterator_traitsISG_E10value_typeEPNSM_ISH_E10value_typeEPSI_NS1_7vsmem_tEENKUlT_SG_SH_SI_E_clISA_PiSB_PsEESF_SV_SG_SH_SI_EUlSV_E0_NS1_11comp_targetILNS1_3genE2ELNS1_11target_archE906ELNS1_3gpuE6ELNS1_3repE0EEENS1_38merge_mergepath_config_static_selectorELNS0_4arch9wavefront6targetE1EEEvSH_.num_agpr, 0
	.set _ZN7rocprim17ROCPRIM_400000_NS6detail17trampoline_kernelINS0_14default_configENS1_38merge_sort_block_merge_config_selectorIisEEZZNS1_27merge_sort_block_merge_implIS3_N6thrust23THRUST_200600_302600_NS10device_ptrIiEENS9_IsEEjNS1_19radix_merge_compareILb0ELb0EiNS0_19identity_decomposerEEEEE10hipError_tT0_T1_T2_jT3_P12ihipStream_tbPNSt15iterator_traitsISG_E10value_typeEPNSM_ISH_E10value_typeEPSI_NS1_7vsmem_tEENKUlT_SG_SH_SI_E_clISA_PiSB_PsEESF_SV_SG_SH_SI_EUlSV_E0_NS1_11comp_targetILNS1_3genE2ELNS1_11target_archE906ELNS1_3gpuE6ELNS1_3repE0EEENS1_38merge_mergepath_config_static_selectorELNS0_4arch9wavefront6targetE1EEEvSH_.numbered_sgpr, 0
	.set _ZN7rocprim17ROCPRIM_400000_NS6detail17trampoline_kernelINS0_14default_configENS1_38merge_sort_block_merge_config_selectorIisEEZZNS1_27merge_sort_block_merge_implIS3_N6thrust23THRUST_200600_302600_NS10device_ptrIiEENS9_IsEEjNS1_19radix_merge_compareILb0ELb0EiNS0_19identity_decomposerEEEEE10hipError_tT0_T1_T2_jT3_P12ihipStream_tbPNSt15iterator_traitsISG_E10value_typeEPNSM_ISH_E10value_typeEPSI_NS1_7vsmem_tEENKUlT_SG_SH_SI_E_clISA_PiSB_PsEESF_SV_SG_SH_SI_EUlSV_E0_NS1_11comp_targetILNS1_3genE2ELNS1_11target_archE906ELNS1_3gpuE6ELNS1_3repE0EEENS1_38merge_mergepath_config_static_selectorELNS0_4arch9wavefront6targetE1EEEvSH_.num_named_barrier, 0
	.set _ZN7rocprim17ROCPRIM_400000_NS6detail17trampoline_kernelINS0_14default_configENS1_38merge_sort_block_merge_config_selectorIisEEZZNS1_27merge_sort_block_merge_implIS3_N6thrust23THRUST_200600_302600_NS10device_ptrIiEENS9_IsEEjNS1_19radix_merge_compareILb0ELb0EiNS0_19identity_decomposerEEEEE10hipError_tT0_T1_T2_jT3_P12ihipStream_tbPNSt15iterator_traitsISG_E10value_typeEPNSM_ISH_E10value_typeEPSI_NS1_7vsmem_tEENKUlT_SG_SH_SI_E_clISA_PiSB_PsEESF_SV_SG_SH_SI_EUlSV_E0_NS1_11comp_targetILNS1_3genE2ELNS1_11target_archE906ELNS1_3gpuE6ELNS1_3repE0EEENS1_38merge_mergepath_config_static_selectorELNS0_4arch9wavefront6targetE1EEEvSH_.private_seg_size, 0
	.set _ZN7rocprim17ROCPRIM_400000_NS6detail17trampoline_kernelINS0_14default_configENS1_38merge_sort_block_merge_config_selectorIisEEZZNS1_27merge_sort_block_merge_implIS3_N6thrust23THRUST_200600_302600_NS10device_ptrIiEENS9_IsEEjNS1_19radix_merge_compareILb0ELb0EiNS0_19identity_decomposerEEEEE10hipError_tT0_T1_T2_jT3_P12ihipStream_tbPNSt15iterator_traitsISG_E10value_typeEPNSM_ISH_E10value_typeEPSI_NS1_7vsmem_tEENKUlT_SG_SH_SI_E_clISA_PiSB_PsEESF_SV_SG_SH_SI_EUlSV_E0_NS1_11comp_targetILNS1_3genE2ELNS1_11target_archE906ELNS1_3gpuE6ELNS1_3repE0EEENS1_38merge_mergepath_config_static_selectorELNS0_4arch9wavefront6targetE1EEEvSH_.uses_vcc, 0
	.set _ZN7rocprim17ROCPRIM_400000_NS6detail17trampoline_kernelINS0_14default_configENS1_38merge_sort_block_merge_config_selectorIisEEZZNS1_27merge_sort_block_merge_implIS3_N6thrust23THRUST_200600_302600_NS10device_ptrIiEENS9_IsEEjNS1_19radix_merge_compareILb0ELb0EiNS0_19identity_decomposerEEEEE10hipError_tT0_T1_T2_jT3_P12ihipStream_tbPNSt15iterator_traitsISG_E10value_typeEPNSM_ISH_E10value_typeEPSI_NS1_7vsmem_tEENKUlT_SG_SH_SI_E_clISA_PiSB_PsEESF_SV_SG_SH_SI_EUlSV_E0_NS1_11comp_targetILNS1_3genE2ELNS1_11target_archE906ELNS1_3gpuE6ELNS1_3repE0EEENS1_38merge_mergepath_config_static_selectorELNS0_4arch9wavefront6targetE1EEEvSH_.uses_flat_scratch, 0
	.set _ZN7rocprim17ROCPRIM_400000_NS6detail17trampoline_kernelINS0_14default_configENS1_38merge_sort_block_merge_config_selectorIisEEZZNS1_27merge_sort_block_merge_implIS3_N6thrust23THRUST_200600_302600_NS10device_ptrIiEENS9_IsEEjNS1_19radix_merge_compareILb0ELb0EiNS0_19identity_decomposerEEEEE10hipError_tT0_T1_T2_jT3_P12ihipStream_tbPNSt15iterator_traitsISG_E10value_typeEPNSM_ISH_E10value_typeEPSI_NS1_7vsmem_tEENKUlT_SG_SH_SI_E_clISA_PiSB_PsEESF_SV_SG_SH_SI_EUlSV_E0_NS1_11comp_targetILNS1_3genE2ELNS1_11target_archE906ELNS1_3gpuE6ELNS1_3repE0EEENS1_38merge_mergepath_config_static_selectorELNS0_4arch9wavefront6targetE1EEEvSH_.has_dyn_sized_stack, 0
	.set _ZN7rocprim17ROCPRIM_400000_NS6detail17trampoline_kernelINS0_14default_configENS1_38merge_sort_block_merge_config_selectorIisEEZZNS1_27merge_sort_block_merge_implIS3_N6thrust23THRUST_200600_302600_NS10device_ptrIiEENS9_IsEEjNS1_19radix_merge_compareILb0ELb0EiNS0_19identity_decomposerEEEEE10hipError_tT0_T1_T2_jT3_P12ihipStream_tbPNSt15iterator_traitsISG_E10value_typeEPNSM_ISH_E10value_typeEPSI_NS1_7vsmem_tEENKUlT_SG_SH_SI_E_clISA_PiSB_PsEESF_SV_SG_SH_SI_EUlSV_E0_NS1_11comp_targetILNS1_3genE2ELNS1_11target_archE906ELNS1_3gpuE6ELNS1_3repE0EEENS1_38merge_mergepath_config_static_selectorELNS0_4arch9wavefront6targetE1EEEvSH_.has_recursion, 0
	.set _ZN7rocprim17ROCPRIM_400000_NS6detail17trampoline_kernelINS0_14default_configENS1_38merge_sort_block_merge_config_selectorIisEEZZNS1_27merge_sort_block_merge_implIS3_N6thrust23THRUST_200600_302600_NS10device_ptrIiEENS9_IsEEjNS1_19radix_merge_compareILb0ELb0EiNS0_19identity_decomposerEEEEE10hipError_tT0_T1_T2_jT3_P12ihipStream_tbPNSt15iterator_traitsISG_E10value_typeEPNSM_ISH_E10value_typeEPSI_NS1_7vsmem_tEENKUlT_SG_SH_SI_E_clISA_PiSB_PsEESF_SV_SG_SH_SI_EUlSV_E0_NS1_11comp_targetILNS1_3genE2ELNS1_11target_archE906ELNS1_3gpuE6ELNS1_3repE0EEENS1_38merge_mergepath_config_static_selectorELNS0_4arch9wavefront6targetE1EEEvSH_.has_indirect_call, 0
	.section	.AMDGPU.csdata,"",@progbits
; Kernel info:
; codeLenInByte = 0
; TotalNumSgprs: 6
; NumVgprs: 0
; NumAgprs: 0
; TotalNumVgprs: 0
; ScratchSize: 0
; MemoryBound: 0
; FloatMode: 240
; IeeeMode: 1
; LDSByteSize: 0 bytes/workgroup (compile time only)
; SGPRBlocks: 0
; VGPRBlocks: 0
; NumSGPRsForWavesPerEU: 6
; NumVGPRsForWavesPerEU: 1
; AccumOffset: 4
; Occupancy: 8
; WaveLimiterHint : 0
; COMPUTE_PGM_RSRC2:SCRATCH_EN: 0
; COMPUTE_PGM_RSRC2:USER_SGPR: 2
; COMPUTE_PGM_RSRC2:TRAP_HANDLER: 0
; COMPUTE_PGM_RSRC2:TGID_X_EN: 1
; COMPUTE_PGM_RSRC2:TGID_Y_EN: 0
; COMPUTE_PGM_RSRC2:TGID_Z_EN: 0
; COMPUTE_PGM_RSRC2:TIDIG_COMP_CNT: 0
; COMPUTE_PGM_RSRC3_GFX90A:ACCUM_OFFSET: 0
; COMPUTE_PGM_RSRC3_GFX90A:TG_SPLIT: 0
	.section	.text._ZN7rocprim17ROCPRIM_400000_NS6detail17trampoline_kernelINS0_14default_configENS1_38merge_sort_block_merge_config_selectorIisEEZZNS1_27merge_sort_block_merge_implIS3_N6thrust23THRUST_200600_302600_NS10device_ptrIiEENS9_IsEEjNS1_19radix_merge_compareILb0ELb0EiNS0_19identity_decomposerEEEEE10hipError_tT0_T1_T2_jT3_P12ihipStream_tbPNSt15iterator_traitsISG_E10value_typeEPNSM_ISH_E10value_typeEPSI_NS1_7vsmem_tEENKUlT_SG_SH_SI_E_clISA_PiSB_PsEESF_SV_SG_SH_SI_EUlSV_E0_NS1_11comp_targetILNS1_3genE9ELNS1_11target_archE1100ELNS1_3gpuE3ELNS1_3repE0EEENS1_38merge_mergepath_config_static_selectorELNS0_4arch9wavefront6targetE1EEEvSH_,"axG",@progbits,_ZN7rocprim17ROCPRIM_400000_NS6detail17trampoline_kernelINS0_14default_configENS1_38merge_sort_block_merge_config_selectorIisEEZZNS1_27merge_sort_block_merge_implIS3_N6thrust23THRUST_200600_302600_NS10device_ptrIiEENS9_IsEEjNS1_19radix_merge_compareILb0ELb0EiNS0_19identity_decomposerEEEEE10hipError_tT0_T1_T2_jT3_P12ihipStream_tbPNSt15iterator_traitsISG_E10value_typeEPNSM_ISH_E10value_typeEPSI_NS1_7vsmem_tEENKUlT_SG_SH_SI_E_clISA_PiSB_PsEESF_SV_SG_SH_SI_EUlSV_E0_NS1_11comp_targetILNS1_3genE9ELNS1_11target_archE1100ELNS1_3gpuE3ELNS1_3repE0EEENS1_38merge_mergepath_config_static_selectorELNS0_4arch9wavefront6targetE1EEEvSH_,comdat
	.protected	_ZN7rocprim17ROCPRIM_400000_NS6detail17trampoline_kernelINS0_14default_configENS1_38merge_sort_block_merge_config_selectorIisEEZZNS1_27merge_sort_block_merge_implIS3_N6thrust23THRUST_200600_302600_NS10device_ptrIiEENS9_IsEEjNS1_19radix_merge_compareILb0ELb0EiNS0_19identity_decomposerEEEEE10hipError_tT0_T1_T2_jT3_P12ihipStream_tbPNSt15iterator_traitsISG_E10value_typeEPNSM_ISH_E10value_typeEPSI_NS1_7vsmem_tEENKUlT_SG_SH_SI_E_clISA_PiSB_PsEESF_SV_SG_SH_SI_EUlSV_E0_NS1_11comp_targetILNS1_3genE9ELNS1_11target_archE1100ELNS1_3gpuE3ELNS1_3repE0EEENS1_38merge_mergepath_config_static_selectorELNS0_4arch9wavefront6targetE1EEEvSH_ ; -- Begin function _ZN7rocprim17ROCPRIM_400000_NS6detail17trampoline_kernelINS0_14default_configENS1_38merge_sort_block_merge_config_selectorIisEEZZNS1_27merge_sort_block_merge_implIS3_N6thrust23THRUST_200600_302600_NS10device_ptrIiEENS9_IsEEjNS1_19radix_merge_compareILb0ELb0EiNS0_19identity_decomposerEEEEE10hipError_tT0_T1_T2_jT3_P12ihipStream_tbPNSt15iterator_traitsISG_E10value_typeEPNSM_ISH_E10value_typeEPSI_NS1_7vsmem_tEENKUlT_SG_SH_SI_E_clISA_PiSB_PsEESF_SV_SG_SH_SI_EUlSV_E0_NS1_11comp_targetILNS1_3genE9ELNS1_11target_archE1100ELNS1_3gpuE3ELNS1_3repE0EEENS1_38merge_mergepath_config_static_selectorELNS0_4arch9wavefront6targetE1EEEvSH_
	.globl	_ZN7rocprim17ROCPRIM_400000_NS6detail17trampoline_kernelINS0_14default_configENS1_38merge_sort_block_merge_config_selectorIisEEZZNS1_27merge_sort_block_merge_implIS3_N6thrust23THRUST_200600_302600_NS10device_ptrIiEENS9_IsEEjNS1_19radix_merge_compareILb0ELb0EiNS0_19identity_decomposerEEEEE10hipError_tT0_T1_T2_jT3_P12ihipStream_tbPNSt15iterator_traitsISG_E10value_typeEPNSM_ISH_E10value_typeEPSI_NS1_7vsmem_tEENKUlT_SG_SH_SI_E_clISA_PiSB_PsEESF_SV_SG_SH_SI_EUlSV_E0_NS1_11comp_targetILNS1_3genE9ELNS1_11target_archE1100ELNS1_3gpuE3ELNS1_3repE0EEENS1_38merge_mergepath_config_static_selectorELNS0_4arch9wavefront6targetE1EEEvSH_
	.p2align	8
	.type	_ZN7rocprim17ROCPRIM_400000_NS6detail17trampoline_kernelINS0_14default_configENS1_38merge_sort_block_merge_config_selectorIisEEZZNS1_27merge_sort_block_merge_implIS3_N6thrust23THRUST_200600_302600_NS10device_ptrIiEENS9_IsEEjNS1_19radix_merge_compareILb0ELb0EiNS0_19identity_decomposerEEEEE10hipError_tT0_T1_T2_jT3_P12ihipStream_tbPNSt15iterator_traitsISG_E10value_typeEPNSM_ISH_E10value_typeEPSI_NS1_7vsmem_tEENKUlT_SG_SH_SI_E_clISA_PiSB_PsEESF_SV_SG_SH_SI_EUlSV_E0_NS1_11comp_targetILNS1_3genE9ELNS1_11target_archE1100ELNS1_3gpuE3ELNS1_3repE0EEENS1_38merge_mergepath_config_static_selectorELNS0_4arch9wavefront6targetE1EEEvSH_,@function
_ZN7rocprim17ROCPRIM_400000_NS6detail17trampoline_kernelINS0_14default_configENS1_38merge_sort_block_merge_config_selectorIisEEZZNS1_27merge_sort_block_merge_implIS3_N6thrust23THRUST_200600_302600_NS10device_ptrIiEENS9_IsEEjNS1_19radix_merge_compareILb0ELb0EiNS0_19identity_decomposerEEEEE10hipError_tT0_T1_T2_jT3_P12ihipStream_tbPNSt15iterator_traitsISG_E10value_typeEPNSM_ISH_E10value_typeEPSI_NS1_7vsmem_tEENKUlT_SG_SH_SI_E_clISA_PiSB_PsEESF_SV_SG_SH_SI_EUlSV_E0_NS1_11comp_targetILNS1_3genE9ELNS1_11target_archE1100ELNS1_3gpuE3ELNS1_3repE0EEENS1_38merge_mergepath_config_static_selectorELNS0_4arch9wavefront6targetE1EEEvSH_: ; @_ZN7rocprim17ROCPRIM_400000_NS6detail17trampoline_kernelINS0_14default_configENS1_38merge_sort_block_merge_config_selectorIisEEZZNS1_27merge_sort_block_merge_implIS3_N6thrust23THRUST_200600_302600_NS10device_ptrIiEENS9_IsEEjNS1_19radix_merge_compareILb0ELb0EiNS0_19identity_decomposerEEEEE10hipError_tT0_T1_T2_jT3_P12ihipStream_tbPNSt15iterator_traitsISG_E10value_typeEPNSM_ISH_E10value_typeEPSI_NS1_7vsmem_tEENKUlT_SG_SH_SI_E_clISA_PiSB_PsEESF_SV_SG_SH_SI_EUlSV_E0_NS1_11comp_targetILNS1_3genE9ELNS1_11target_archE1100ELNS1_3gpuE3ELNS1_3repE0EEENS1_38merge_mergepath_config_static_selectorELNS0_4arch9wavefront6targetE1EEEvSH_
; %bb.0:
	.section	.rodata,"a",@progbits
	.p2align	6, 0x0
	.amdhsa_kernel _ZN7rocprim17ROCPRIM_400000_NS6detail17trampoline_kernelINS0_14default_configENS1_38merge_sort_block_merge_config_selectorIisEEZZNS1_27merge_sort_block_merge_implIS3_N6thrust23THRUST_200600_302600_NS10device_ptrIiEENS9_IsEEjNS1_19radix_merge_compareILb0ELb0EiNS0_19identity_decomposerEEEEE10hipError_tT0_T1_T2_jT3_P12ihipStream_tbPNSt15iterator_traitsISG_E10value_typeEPNSM_ISH_E10value_typeEPSI_NS1_7vsmem_tEENKUlT_SG_SH_SI_E_clISA_PiSB_PsEESF_SV_SG_SH_SI_EUlSV_E0_NS1_11comp_targetILNS1_3genE9ELNS1_11target_archE1100ELNS1_3gpuE3ELNS1_3repE0EEENS1_38merge_mergepath_config_static_selectorELNS0_4arch9wavefront6targetE1EEEvSH_
		.amdhsa_group_segment_fixed_size 0
		.amdhsa_private_segment_fixed_size 0
		.amdhsa_kernarg_size 64
		.amdhsa_user_sgpr_count 2
		.amdhsa_user_sgpr_dispatch_ptr 0
		.amdhsa_user_sgpr_queue_ptr 0
		.amdhsa_user_sgpr_kernarg_segment_ptr 1
		.amdhsa_user_sgpr_dispatch_id 0
		.amdhsa_user_sgpr_kernarg_preload_length 0
		.amdhsa_user_sgpr_kernarg_preload_offset 0
		.amdhsa_user_sgpr_private_segment_size 0
		.amdhsa_uses_dynamic_stack 0
		.amdhsa_enable_private_segment 0
		.amdhsa_system_sgpr_workgroup_id_x 1
		.amdhsa_system_sgpr_workgroup_id_y 0
		.amdhsa_system_sgpr_workgroup_id_z 0
		.amdhsa_system_sgpr_workgroup_info 0
		.amdhsa_system_vgpr_workitem_id 0
		.amdhsa_next_free_vgpr 1
		.amdhsa_next_free_sgpr 0
		.amdhsa_accum_offset 4
		.amdhsa_reserve_vcc 0
		.amdhsa_float_round_mode_32 0
		.amdhsa_float_round_mode_16_64 0
		.amdhsa_float_denorm_mode_32 3
		.amdhsa_float_denorm_mode_16_64 3
		.amdhsa_dx10_clamp 1
		.amdhsa_ieee_mode 1
		.amdhsa_fp16_overflow 0
		.amdhsa_tg_split 0
		.amdhsa_exception_fp_ieee_invalid_op 0
		.amdhsa_exception_fp_denorm_src 0
		.amdhsa_exception_fp_ieee_div_zero 0
		.amdhsa_exception_fp_ieee_overflow 0
		.amdhsa_exception_fp_ieee_underflow 0
		.amdhsa_exception_fp_ieee_inexact 0
		.amdhsa_exception_int_div_zero 0
	.end_amdhsa_kernel
	.section	.text._ZN7rocprim17ROCPRIM_400000_NS6detail17trampoline_kernelINS0_14default_configENS1_38merge_sort_block_merge_config_selectorIisEEZZNS1_27merge_sort_block_merge_implIS3_N6thrust23THRUST_200600_302600_NS10device_ptrIiEENS9_IsEEjNS1_19radix_merge_compareILb0ELb0EiNS0_19identity_decomposerEEEEE10hipError_tT0_T1_T2_jT3_P12ihipStream_tbPNSt15iterator_traitsISG_E10value_typeEPNSM_ISH_E10value_typeEPSI_NS1_7vsmem_tEENKUlT_SG_SH_SI_E_clISA_PiSB_PsEESF_SV_SG_SH_SI_EUlSV_E0_NS1_11comp_targetILNS1_3genE9ELNS1_11target_archE1100ELNS1_3gpuE3ELNS1_3repE0EEENS1_38merge_mergepath_config_static_selectorELNS0_4arch9wavefront6targetE1EEEvSH_,"axG",@progbits,_ZN7rocprim17ROCPRIM_400000_NS6detail17trampoline_kernelINS0_14default_configENS1_38merge_sort_block_merge_config_selectorIisEEZZNS1_27merge_sort_block_merge_implIS3_N6thrust23THRUST_200600_302600_NS10device_ptrIiEENS9_IsEEjNS1_19radix_merge_compareILb0ELb0EiNS0_19identity_decomposerEEEEE10hipError_tT0_T1_T2_jT3_P12ihipStream_tbPNSt15iterator_traitsISG_E10value_typeEPNSM_ISH_E10value_typeEPSI_NS1_7vsmem_tEENKUlT_SG_SH_SI_E_clISA_PiSB_PsEESF_SV_SG_SH_SI_EUlSV_E0_NS1_11comp_targetILNS1_3genE9ELNS1_11target_archE1100ELNS1_3gpuE3ELNS1_3repE0EEENS1_38merge_mergepath_config_static_selectorELNS0_4arch9wavefront6targetE1EEEvSH_,comdat
.Lfunc_end2328:
	.size	_ZN7rocprim17ROCPRIM_400000_NS6detail17trampoline_kernelINS0_14default_configENS1_38merge_sort_block_merge_config_selectorIisEEZZNS1_27merge_sort_block_merge_implIS3_N6thrust23THRUST_200600_302600_NS10device_ptrIiEENS9_IsEEjNS1_19radix_merge_compareILb0ELb0EiNS0_19identity_decomposerEEEEE10hipError_tT0_T1_T2_jT3_P12ihipStream_tbPNSt15iterator_traitsISG_E10value_typeEPNSM_ISH_E10value_typeEPSI_NS1_7vsmem_tEENKUlT_SG_SH_SI_E_clISA_PiSB_PsEESF_SV_SG_SH_SI_EUlSV_E0_NS1_11comp_targetILNS1_3genE9ELNS1_11target_archE1100ELNS1_3gpuE3ELNS1_3repE0EEENS1_38merge_mergepath_config_static_selectorELNS0_4arch9wavefront6targetE1EEEvSH_, .Lfunc_end2328-_ZN7rocprim17ROCPRIM_400000_NS6detail17trampoline_kernelINS0_14default_configENS1_38merge_sort_block_merge_config_selectorIisEEZZNS1_27merge_sort_block_merge_implIS3_N6thrust23THRUST_200600_302600_NS10device_ptrIiEENS9_IsEEjNS1_19radix_merge_compareILb0ELb0EiNS0_19identity_decomposerEEEEE10hipError_tT0_T1_T2_jT3_P12ihipStream_tbPNSt15iterator_traitsISG_E10value_typeEPNSM_ISH_E10value_typeEPSI_NS1_7vsmem_tEENKUlT_SG_SH_SI_E_clISA_PiSB_PsEESF_SV_SG_SH_SI_EUlSV_E0_NS1_11comp_targetILNS1_3genE9ELNS1_11target_archE1100ELNS1_3gpuE3ELNS1_3repE0EEENS1_38merge_mergepath_config_static_selectorELNS0_4arch9wavefront6targetE1EEEvSH_
                                        ; -- End function
	.set _ZN7rocprim17ROCPRIM_400000_NS6detail17trampoline_kernelINS0_14default_configENS1_38merge_sort_block_merge_config_selectorIisEEZZNS1_27merge_sort_block_merge_implIS3_N6thrust23THRUST_200600_302600_NS10device_ptrIiEENS9_IsEEjNS1_19radix_merge_compareILb0ELb0EiNS0_19identity_decomposerEEEEE10hipError_tT0_T1_T2_jT3_P12ihipStream_tbPNSt15iterator_traitsISG_E10value_typeEPNSM_ISH_E10value_typeEPSI_NS1_7vsmem_tEENKUlT_SG_SH_SI_E_clISA_PiSB_PsEESF_SV_SG_SH_SI_EUlSV_E0_NS1_11comp_targetILNS1_3genE9ELNS1_11target_archE1100ELNS1_3gpuE3ELNS1_3repE0EEENS1_38merge_mergepath_config_static_selectorELNS0_4arch9wavefront6targetE1EEEvSH_.num_vgpr, 0
	.set _ZN7rocprim17ROCPRIM_400000_NS6detail17trampoline_kernelINS0_14default_configENS1_38merge_sort_block_merge_config_selectorIisEEZZNS1_27merge_sort_block_merge_implIS3_N6thrust23THRUST_200600_302600_NS10device_ptrIiEENS9_IsEEjNS1_19radix_merge_compareILb0ELb0EiNS0_19identity_decomposerEEEEE10hipError_tT0_T1_T2_jT3_P12ihipStream_tbPNSt15iterator_traitsISG_E10value_typeEPNSM_ISH_E10value_typeEPSI_NS1_7vsmem_tEENKUlT_SG_SH_SI_E_clISA_PiSB_PsEESF_SV_SG_SH_SI_EUlSV_E0_NS1_11comp_targetILNS1_3genE9ELNS1_11target_archE1100ELNS1_3gpuE3ELNS1_3repE0EEENS1_38merge_mergepath_config_static_selectorELNS0_4arch9wavefront6targetE1EEEvSH_.num_agpr, 0
	.set _ZN7rocprim17ROCPRIM_400000_NS6detail17trampoline_kernelINS0_14default_configENS1_38merge_sort_block_merge_config_selectorIisEEZZNS1_27merge_sort_block_merge_implIS3_N6thrust23THRUST_200600_302600_NS10device_ptrIiEENS9_IsEEjNS1_19radix_merge_compareILb0ELb0EiNS0_19identity_decomposerEEEEE10hipError_tT0_T1_T2_jT3_P12ihipStream_tbPNSt15iterator_traitsISG_E10value_typeEPNSM_ISH_E10value_typeEPSI_NS1_7vsmem_tEENKUlT_SG_SH_SI_E_clISA_PiSB_PsEESF_SV_SG_SH_SI_EUlSV_E0_NS1_11comp_targetILNS1_3genE9ELNS1_11target_archE1100ELNS1_3gpuE3ELNS1_3repE0EEENS1_38merge_mergepath_config_static_selectorELNS0_4arch9wavefront6targetE1EEEvSH_.numbered_sgpr, 0
	.set _ZN7rocprim17ROCPRIM_400000_NS6detail17trampoline_kernelINS0_14default_configENS1_38merge_sort_block_merge_config_selectorIisEEZZNS1_27merge_sort_block_merge_implIS3_N6thrust23THRUST_200600_302600_NS10device_ptrIiEENS9_IsEEjNS1_19radix_merge_compareILb0ELb0EiNS0_19identity_decomposerEEEEE10hipError_tT0_T1_T2_jT3_P12ihipStream_tbPNSt15iterator_traitsISG_E10value_typeEPNSM_ISH_E10value_typeEPSI_NS1_7vsmem_tEENKUlT_SG_SH_SI_E_clISA_PiSB_PsEESF_SV_SG_SH_SI_EUlSV_E0_NS1_11comp_targetILNS1_3genE9ELNS1_11target_archE1100ELNS1_3gpuE3ELNS1_3repE0EEENS1_38merge_mergepath_config_static_selectorELNS0_4arch9wavefront6targetE1EEEvSH_.num_named_barrier, 0
	.set _ZN7rocprim17ROCPRIM_400000_NS6detail17trampoline_kernelINS0_14default_configENS1_38merge_sort_block_merge_config_selectorIisEEZZNS1_27merge_sort_block_merge_implIS3_N6thrust23THRUST_200600_302600_NS10device_ptrIiEENS9_IsEEjNS1_19radix_merge_compareILb0ELb0EiNS0_19identity_decomposerEEEEE10hipError_tT0_T1_T2_jT3_P12ihipStream_tbPNSt15iterator_traitsISG_E10value_typeEPNSM_ISH_E10value_typeEPSI_NS1_7vsmem_tEENKUlT_SG_SH_SI_E_clISA_PiSB_PsEESF_SV_SG_SH_SI_EUlSV_E0_NS1_11comp_targetILNS1_3genE9ELNS1_11target_archE1100ELNS1_3gpuE3ELNS1_3repE0EEENS1_38merge_mergepath_config_static_selectorELNS0_4arch9wavefront6targetE1EEEvSH_.private_seg_size, 0
	.set _ZN7rocprim17ROCPRIM_400000_NS6detail17trampoline_kernelINS0_14default_configENS1_38merge_sort_block_merge_config_selectorIisEEZZNS1_27merge_sort_block_merge_implIS3_N6thrust23THRUST_200600_302600_NS10device_ptrIiEENS9_IsEEjNS1_19radix_merge_compareILb0ELb0EiNS0_19identity_decomposerEEEEE10hipError_tT0_T1_T2_jT3_P12ihipStream_tbPNSt15iterator_traitsISG_E10value_typeEPNSM_ISH_E10value_typeEPSI_NS1_7vsmem_tEENKUlT_SG_SH_SI_E_clISA_PiSB_PsEESF_SV_SG_SH_SI_EUlSV_E0_NS1_11comp_targetILNS1_3genE9ELNS1_11target_archE1100ELNS1_3gpuE3ELNS1_3repE0EEENS1_38merge_mergepath_config_static_selectorELNS0_4arch9wavefront6targetE1EEEvSH_.uses_vcc, 0
	.set _ZN7rocprim17ROCPRIM_400000_NS6detail17trampoline_kernelINS0_14default_configENS1_38merge_sort_block_merge_config_selectorIisEEZZNS1_27merge_sort_block_merge_implIS3_N6thrust23THRUST_200600_302600_NS10device_ptrIiEENS9_IsEEjNS1_19radix_merge_compareILb0ELb0EiNS0_19identity_decomposerEEEEE10hipError_tT0_T1_T2_jT3_P12ihipStream_tbPNSt15iterator_traitsISG_E10value_typeEPNSM_ISH_E10value_typeEPSI_NS1_7vsmem_tEENKUlT_SG_SH_SI_E_clISA_PiSB_PsEESF_SV_SG_SH_SI_EUlSV_E0_NS1_11comp_targetILNS1_3genE9ELNS1_11target_archE1100ELNS1_3gpuE3ELNS1_3repE0EEENS1_38merge_mergepath_config_static_selectorELNS0_4arch9wavefront6targetE1EEEvSH_.uses_flat_scratch, 0
	.set _ZN7rocprim17ROCPRIM_400000_NS6detail17trampoline_kernelINS0_14default_configENS1_38merge_sort_block_merge_config_selectorIisEEZZNS1_27merge_sort_block_merge_implIS3_N6thrust23THRUST_200600_302600_NS10device_ptrIiEENS9_IsEEjNS1_19radix_merge_compareILb0ELb0EiNS0_19identity_decomposerEEEEE10hipError_tT0_T1_T2_jT3_P12ihipStream_tbPNSt15iterator_traitsISG_E10value_typeEPNSM_ISH_E10value_typeEPSI_NS1_7vsmem_tEENKUlT_SG_SH_SI_E_clISA_PiSB_PsEESF_SV_SG_SH_SI_EUlSV_E0_NS1_11comp_targetILNS1_3genE9ELNS1_11target_archE1100ELNS1_3gpuE3ELNS1_3repE0EEENS1_38merge_mergepath_config_static_selectorELNS0_4arch9wavefront6targetE1EEEvSH_.has_dyn_sized_stack, 0
	.set _ZN7rocprim17ROCPRIM_400000_NS6detail17trampoline_kernelINS0_14default_configENS1_38merge_sort_block_merge_config_selectorIisEEZZNS1_27merge_sort_block_merge_implIS3_N6thrust23THRUST_200600_302600_NS10device_ptrIiEENS9_IsEEjNS1_19radix_merge_compareILb0ELb0EiNS0_19identity_decomposerEEEEE10hipError_tT0_T1_T2_jT3_P12ihipStream_tbPNSt15iterator_traitsISG_E10value_typeEPNSM_ISH_E10value_typeEPSI_NS1_7vsmem_tEENKUlT_SG_SH_SI_E_clISA_PiSB_PsEESF_SV_SG_SH_SI_EUlSV_E0_NS1_11comp_targetILNS1_3genE9ELNS1_11target_archE1100ELNS1_3gpuE3ELNS1_3repE0EEENS1_38merge_mergepath_config_static_selectorELNS0_4arch9wavefront6targetE1EEEvSH_.has_recursion, 0
	.set _ZN7rocprim17ROCPRIM_400000_NS6detail17trampoline_kernelINS0_14default_configENS1_38merge_sort_block_merge_config_selectorIisEEZZNS1_27merge_sort_block_merge_implIS3_N6thrust23THRUST_200600_302600_NS10device_ptrIiEENS9_IsEEjNS1_19radix_merge_compareILb0ELb0EiNS0_19identity_decomposerEEEEE10hipError_tT0_T1_T2_jT3_P12ihipStream_tbPNSt15iterator_traitsISG_E10value_typeEPNSM_ISH_E10value_typeEPSI_NS1_7vsmem_tEENKUlT_SG_SH_SI_E_clISA_PiSB_PsEESF_SV_SG_SH_SI_EUlSV_E0_NS1_11comp_targetILNS1_3genE9ELNS1_11target_archE1100ELNS1_3gpuE3ELNS1_3repE0EEENS1_38merge_mergepath_config_static_selectorELNS0_4arch9wavefront6targetE1EEEvSH_.has_indirect_call, 0
	.section	.AMDGPU.csdata,"",@progbits
; Kernel info:
; codeLenInByte = 0
; TotalNumSgprs: 6
; NumVgprs: 0
; NumAgprs: 0
; TotalNumVgprs: 0
; ScratchSize: 0
; MemoryBound: 0
; FloatMode: 240
; IeeeMode: 1
; LDSByteSize: 0 bytes/workgroup (compile time only)
; SGPRBlocks: 0
; VGPRBlocks: 0
; NumSGPRsForWavesPerEU: 6
; NumVGPRsForWavesPerEU: 1
; AccumOffset: 4
; Occupancy: 8
; WaveLimiterHint : 0
; COMPUTE_PGM_RSRC2:SCRATCH_EN: 0
; COMPUTE_PGM_RSRC2:USER_SGPR: 2
; COMPUTE_PGM_RSRC2:TRAP_HANDLER: 0
; COMPUTE_PGM_RSRC2:TGID_X_EN: 1
; COMPUTE_PGM_RSRC2:TGID_Y_EN: 0
; COMPUTE_PGM_RSRC2:TGID_Z_EN: 0
; COMPUTE_PGM_RSRC2:TIDIG_COMP_CNT: 0
; COMPUTE_PGM_RSRC3_GFX90A:ACCUM_OFFSET: 0
; COMPUTE_PGM_RSRC3_GFX90A:TG_SPLIT: 0
	.section	.text._ZN7rocprim17ROCPRIM_400000_NS6detail17trampoline_kernelINS0_14default_configENS1_38merge_sort_block_merge_config_selectorIisEEZZNS1_27merge_sort_block_merge_implIS3_N6thrust23THRUST_200600_302600_NS10device_ptrIiEENS9_IsEEjNS1_19radix_merge_compareILb0ELb0EiNS0_19identity_decomposerEEEEE10hipError_tT0_T1_T2_jT3_P12ihipStream_tbPNSt15iterator_traitsISG_E10value_typeEPNSM_ISH_E10value_typeEPSI_NS1_7vsmem_tEENKUlT_SG_SH_SI_E_clISA_PiSB_PsEESF_SV_SG_SH_SI_EUlSV_E0_NS1_11comp_targetILNS1_3genE8ELNS1_11target_archE1030ELNS1_3gpuE2ELNS1_3repE0EEENS1_38merge_mergepath_config_static_selectorELNS0_4arch9wavefront6targetE1EEEvSH_,"axG",@progbits,_ZN7rocprim17ROCPRIM_400000_NS6detail17trampoline_kernelINS0_14default_configENS1_38merge_sort_block_merge_config_selectorIisEEZZNS1_27merge_sort_block_merge_implIS3_N6thrust23THRUST_200600_302600_NS10device_ptrIiEENS9_IsEEjNS1_19radix_merge_compareILb0ELb0EiNS0_19identity_decomposerEEEEE10hipError_tT0_T1_T2_jT3_P12ihipStream_tbPNSt15iterator_traitsISG_E10value_typeEPNSM_ISH_E10value_typeEPSI_NS1_7vsmem_tEENKUlT_SG_SH_SI_E_clISA_PiSB_PsEESF_SV_SG_SH_SI_EUlSV_E0_NS1_11comp_targetILNS1_3genE8ELNS1_11target_archE1030ELNS1_3gpuE2ELNS1_3repE0EEENS1_38merge_mergepath_config_static_selectorELNS0_4arch9wavefront6targetE1EEEvSH_,comdat
	.protected	_ZN7rocprim17ROCPRIM_400000_NS6detail17trampoline_kernelINS0_14default_configENS1_38merge_sort_block_merge_config_selectorIisEEZZNS1_27merge_sort_block_merge_implIS3_N6thrust23THRUST_200600_302600_NS10device_ptrIiEENS9_IsEEjNS1_19radix_merge_compareILb0ELb0EiNS0_19identity_decomposerEEEEE10hipError_tT0_T1_T2_jT3_P12ihipStream_tbPNSt15iterator_traitsISG_E10value_typeEPNSM_ISH_E10value_typeEPSI_NS1_7vsmem_tEENKUlT_SG_SH_SI_E_clISA_PiSB_PsEESF_SV_SG_SH_SI_EUlSV_E0_NS1_11comp_targetILNS1_3genE8ELNS1_11target_archE1030ELNS1_3gpuE2ELNS1_3repE0EEENS1_38merge_mergepath_config_static_selectorELNS0_4arch9wavefront6targetE1EEEvSH_ ; -- Begin function _ZN7rocprim17ROCPRIM_400000_NS6detail17trampoline_kernelINS0_14default_configENS1_38merge_sort_block_merge_config_selectorIisEEZZNS1_27merge_sort_block_merge_implIS3_N6thrust23THRUST_200600_302600_NS10device_ptrIiEENS9_IsEEjNS1_19radix_merge_compareILb0ELb0EiNS0_19identity_decomposerEEEEE10hipError_tT0_T1_T2_jT3_P12ihipStream_tbPNSt15iterator_traitsISG_E10value_typeEPNSM_ISH_E10value_typeEPSI_NS1_7vsmem_tEENKUlT_SG_SH_SI_E_clISA_PiSB_PsEESF_SV_SG_SH_SI_EUlSV_E0_NS1_11comp_targetILNS1_3genE8ELNS1_11target_archE1030ELNS1_3gpuE2ELNS1_3repE0EEENS1_38merge_mergepath_config_static_selectorELNS0_4arch9wavefront6targetE1EEEvSH_
	.globl	_ZN7rocprim17ROCPRIM_400000_NS6detail17trampoline_kernelINS0_14default_configENS1_38merge_sort_block_merge_config_selectorIisEEZZNS1_27merge_sort_block_merge_implIS3_N6thrust23THRUST_200600_302600_NS10device_ptrIiEENS9_IsEEjNS1_19radix_merge_compareILb0ELb0EiNS0_19identity_decomposerEEEEE10hipError_tT0_T1_T2_jT3_P12ihipStream_tbPNSt15iterator_traitsISG_E10value_typeEPNSM_ISH_E10value_typeEPSI_NS1_7vsmem_tEENKUlT_SG_SH_SI_E_clISA_PiSB_PsEESF_SV_SG_SH_SI_EUlSV_E0_NS1_11comp_targetILNS1_3genE8ELNS1_11target_archE1030ELNS1_3gpuE2ELNS1_3repE0EEENS1_38merge_mergepath_config_static_selectorELNS0_4arch9wavefront6targetE1EEEvSH_
	.p2align	8
	.type	_ZN7rocprim17ROCPRIM_400000_NS6detail17trampoline_kernelINS0_14default_configENS1_38merge_sort_block_merge_config_selectorIisEEZZNS1_27merge_sort_block_merge_implIS3_N6thrust23THRUST_200600_302600_NS10device_ptrIiEENS9_IsEEjNS1_19radix_merge_compareILb0ELb0EiNS0_19identity_decomposerEEEEE10hipError_tT0_T1_T2_jT3_P12ihipStream_tbPNSt15iterator_traitsISG_E10value_typeEPNSM_ISH_E10value_typeEPSI_NS1_7vsmem_tEENKUlT_SG_SH_SI_E_clISA_PiSB_PsEESF_SV_SG_SH_SI_EUlSV_E0_NS1_11comp_targetILNS1_3genE8ELNS1_11target_archE1030ELNS1_3gpuE2ELNS1_3repE0EEENS1_38merge_mergepath_config_static_selectorELNS0_4arch9wavefront6targetE1EEEvSH_,@function
_ZN7rocprim17ROCPRIM_400000_NS6detail17trampoline_kernelINS0_14default_configENS1_38merge_sort_block_merge_config_selectorIisEEZZNS1_27merge_sort_block_merge_implIS3_N6thrust23THRUST_200600_302600_NS10device_ptrIiEENS9_IsEEjNS1_19radix_merge_compareILb0ELb0EiNS0_19identity_decomposerEEEEE10hipError_tT0_T1_T2_jT3_P12ihipStream_tbPNSt15iterator_traitsISG_E10value_typeEPNSM_ISH_E10value_typeEPSI_NS1_7vsmem_tEENKUlT_SG_SH_SI_E_clISA_PiSB_PsEESF_SV_SG_SH_SI_EUlSV_E0_NS1_11comp_targetILNS1_3genE8ELNS1_11target_archE1030ELNS1_3gpuE2ELNS1_3repE0EEENS1_38merge_mergepath_config_static_selectorELNS0_4arch9wavefront6targetE1EEEvSH_: ; @_ZN7rocprim17ROCPRIM_400000_NS6detail17trampoline_kernelINS0_14default_configENS1_38merge_sort_block_merge_config_selectorIisEEZZNS1_27merge_sort_block_merge_implIS3_N6thrust23THRUST_200600_302600_NS10device_ptrIiEENS9_IsEEjNS1_19radix_merge_compareILb0ELb0EiNS0_19identity_decomposerEEEEE10hipError_tT0_T1_T2_jT3_P12ihipStream_tbPNSt15iterator_traitsISG_E10value_typeEPNSM_ISH_E10value_typeEPSI_NS1_7vsmem_tEENKUlT_SG_SH_SI_E_clISA_PiSB_PsEESF_SV_SG_SH_SI_EUlSV_E0_NS1_11comp_targetILNS1_3genE8ELNS1_11target_archE1030ELNS1_3gpuE2ELNS1_3repE0EEENS1_38merge_mergepath_config_static_selectorELNS0_4arch9wavefront6targetE1EEEvSH_
; %bb.0:
	.section	.rodata,"a",@progbits
	.p2align	6, 0x0
	.amdhsa_kernel _ZN7rocprim17ROCPRIM_400000_NS6detail17trampoline_kernelINS0_14default_configENS1_38merge_sort_block_merge_config_selectorIisEEZZNS1_27merge_sort_block_merge_implIS3_N6thrust23THRUST_200600_302600_NS10device_ptrIiEENS9_IsEEjNS1_19radix_merge_compareILb0ELb0EiNS0_19identity_decomposerEEEEE10hipError_tT0_T1_T2_jT3_P12ihipStream_tbPNSt15iterator_traitsISG_E10value_typeEPNSM_ISH_E10value_typeEPSI_NS1_7vsmem_tEENKUlT_SG_SH_SI_E_clISA_PiSB_PsEESF_SV_SG_SH_SI_EUlSV_E0_NS1_11comp_targetILNS1_3genE8ELNS1_11target_archE1030ELNS1_3gpuE2ELNS1_3repE0EEENS1_38merge_mergepath_config_static_selectorELNS0_4arch9wavefront6targetE1EEEvSH_
		.amdhsa_group_segment_fixed_size 0
		.amdhsa_private_segment_fixed_size 0
		.amdhsa_kernarg_size 64
		.amdhsa_user_sgpr_count 2
		.amdhsa_user_sgpr_dispatch_ptr 0
		.amdhsa_user_sgpr_queue_ptr 0
		.amdhsa_user_sgpr_kernarg_segment_ptr 1
		.amdhsa_user_sgpr_dispatch_id 0
		.amdhsa_user_sgpr_kernarg_preload_length 0
		.amdhsa_user_sgpr_kernarg_preload_offset 0
		.amdhsa_user_sgpr_private_segment_size 0
		.amdhsa_uses_dynamic_stack 0
		.amdhsa_enable_private_segment 0
		.amdhsa_system_sgpr_workgroup_id_x 1
		.amdhsa_system_sgpr_workgroup_id_y 0
		.amdhsa_system_sgpr_workgroup_id_z 0
		.amdhsa_system_sgpr_workgroup_info 0
		.amdhsa_system_vgpr_workitem_id 0
		.amdhsa_next_free_vgpr 1
		.amdhsa_next_free_sgpr 0
		.amdhsa_accum_offset 4
		.amdhsa_reserve_vcc 0
		.amdhsa_float_round_mode_32 0
		.amdhsa_float_round_mode_16_64 0
		.amdhsa_float_denorm_mode_32 3
		.amdhsa_float_denorm_mode_16_64 3
		.amdhsa_dx10_clamp 1
		.amdhsa_ieee_mode 1
		.amdhsa_fp16_overflow 0
		.amdhsa_tg_split 0
		.amdhsa_exception_fp_ieee_invalid_op 0
		.amdhsa_exception_fp_denorm_src 0
		.amdhsa_exception_fp_ieee_div_zero 0
		.amdhsa_exception_fp_ieee_overflow 0
		.amdhsa_exception_fp_ieee_underflow 0
		.amdhsa_exception_fp_ieee_inexact 0
		.amdhsa_exception_int_div_zero 0
	.end_amdhsa_kernel
	.section	.text._ZN7rocprim17ROCPRIM_400000_NS6detail17trampoline_kernelINS0_14default_configENS1_38merge_sort_block_merge_config_selectorIisEEZZNS1_27merge_sort_block_merge_implIS3_N6thrust23THRUST_200600_302600_NS10device_ptrIiEENS9_IsEEjNS1_19radix_merge_compareILb0ELb0EiNS0_19identity_decomposerEEEEE10hipError_tT0_T1_T2_jT3_P12ihipStream_tbPNSt15iterator_traitsISG_E10value_typeEPNSM_ISH_E10value_typeEPSI_NS1_7vsmem_tEENKUlT_SG_SH_SI_E_clISA_PiSB_PsEESF_SV_SG_SH_SI_EUlSV_E0_NS1_11comp_targetILNS1_3genE8ELNS1_11target_archE1030ELNS1_3gpuE2ELNS1_3repE0EEENS1_38merge_mergepath_config_static_selectorELNS0_4arch9wavefront6targetE1EEEvSH_,"axG",@progbits,_ZN7rocprim17ROCPRIM_400000_NS6detail17trampoline_kernelINS0_14default_configENS1_38merge_sort_block_merge_config_selectorIisEEZZNS1_27merge_sort_block_merge_implIS3_N6thrust23THRUST_200600_302600_NS10device_ptrIiEENS9_IsEEjNS1_19radix_merge_compareILb0ELb0EiNS0_19identity_decomposerEEEEE10hipError_tT0_T1_T2_jT3_P12ihipStream_tbPNSt15iterator_traitsISG_E10value_typeEPNSM_ISH_E10value_typeEPSI_NS1_7vsmem_tEENKUlT_SG_SH_SI_E_clISA_PiSB_PsEESF_SV_SG_SH_SI_EUlSV_E0_NS1_11comp_targetILNS1_3genE8ELNS1_11target_archE1030ELNS1_3gpuE2ELNS1_3repE0EEENS1_38merge_mergepath_config_static_selectorELNS0_4arch9wavefront6targetE1EEEvSH_,comdat
.Lfunc_end2329:
	.size	_ZN7rocprim17ROCPRIM_400000_NS6detail17trampoline_kernelINS0_14default_configENS1_38merge_sort_block_merge_config_selectorIisEEZZNS1_27merge_sort_block_merge_implIS3_N6thrust23THRUST_200600_302600_NS10device_ptrIiEENS9_IsEEjNS1_19radix_merge_compareILb0ELb0EiNS0_19identity_decomposerEEEEE10hipError_tT0_T1_T2_jT3_P12ihipStream_tbPNSt15iterator_traitsISG_E10value_typeEPNSM_ISH_E10value_typeEPSI_NS1_7vsmem_tEENKUlT_SG_SH_SI_E_clISA_PiSB_PsEESF_SV_SG_SH_SI_EUlSV_E0_NS1_11comp_targetILNS1_3genE8ELNS1_11target_archE1030ELNS1_3gpuE2ELNS1_3repE0EEENS1_38merge_mergepath_config_static_selectorELNS0_4arch9wavefront6targetE1EEEvSH_, .Lfunc_end2329-_ZN7rocprim17ROCPRIM_400000_NS6detail17trampoline_kernelINS0_14default_configENS1_38merge_sort_block_merge_config_selectorIisEEZZNS1_27merge_sort_block_merge_implIS3_N6thrust23THRUST_200600_302600_NS10device_ptrIiEENS9_IsEEjNS1_19radix_merge_compareILb0ELb0EiNS0_19identity_decomposerEEEEE10hipError_tT0_T1_T2_jT3_P12ihipStream_tbPNSt15iterator_traitsISG_E10value_typeEPNSM_ISH_E10value_typeEPSI_NS1_7vsmem_tEENKUlT_SG_SH_SI_E_clISA_PiSB_PsEESF_SV_SG_SH_SI_EUlSV_E0_NS1_11comp_targetILNS1_3genE8ELNS1_11target_archE1030ELNS1_3gpuE2ELNS1_3repE0EEENS1_38merge_mergepath_config_static_selectorELNS0_4arch9wavefront6targetE1EEEvSH_
                                        ; -- End function
	.set _ZN7rocprim17ROCPRIM_400000_NS6detail17trampoline_kernelINS0_14default_configENS1_38merge_sort_block_merge_config_selectorIisEEZZNS1_27merge_sort_block_merge_implIS3_N6thrust23THRUST_200600_302600_NS10device_ptrIiEENS9_IsEEjNS1_19radix_merge_compareILb0ELb0EiNS0_19identity_decomposerEEEEE10hipError_tT0_T1_T2_jT3_P12ihipStream_tbPNSt15iterator_traitsISG_E10value_typeEPNSM_ISH_E10value_typeEPSI_NS1_7vsmem_tEENKUlT_SG_SH_SI_E_clISA_PiSB_PsEESF_SV_SG_SH_SI_EUlSV_E0_NS1_11comp_targetILNS1_3genE8ELNS1_11target_archE1030ELNS1_3gpuE2ELNS1_3repE0EEENS1_38merge_mergepath_config_static_selectorELNS0_4arch9wavefront6targetE1EEEvSH_.num_vgpr, 0
	.set _ZN7rocprim17ROCPRIM_400000_NS6detail17trampoline_kernelINS0_14default_configENS1_38merge_sort_block_merge_config_selectorIisEEZZNS1_27merge_sort_block_merge_implIS3_N6thrust23THRUST_200600_302600_NS10device_ptrIiEENS9_IsEEjNS1_19radix_merge_compareILb0ELb0EiNS0_19identity_decomposerEEEEE10hipError_tT0_T1_T2_jT3_P12ihipStream_tbPNSt15iterator_traitsISG_E10value_typeEPNSM_ISH_E10value_typeEPSI_NS1_7vsmem_tEENKUlT_SG_SH_SI_E_clISA_PiSB_PsEESF_SV_SG_SH_SI_EUlSV_E0_NS1_11comp_targetILNS1_3genE8ELNS1_11target_archE1030ELNS1_3gpuE2ELNS1_3repE0EEENS1_38merge_mergepath_config_static_selectorELNS0_4arch9wavefront6targetE1EEEvSH_.num_agpr, 0
	.set _ZN7rocprim17ROCPRIM_400000_NS6detail17trampoline_kernelINS0_14default_configENS1_38merge_sort_block_merge_config_selectorIisEEZZNS1_27merge_sort_block_merge_implIS3_N6thrust23THRUST_200600_302600_NS10device_ptrIiEENS9_IsEEjNS1_19radix_merge_compareILb0ELb0EiNS0_19identity_decomposerEEEEE10hipError_tT0_T1_T2_jT3_P12ihipStream_tbPNSt15iterator_traitsISG_E10value_typeEPNSM_ISH_E10value_typeEPSI_NS1_7vsmem_tEENKUlT_SG_SH_SI_E_clISA_PiSB_PsEESF_SV_SG_SH_SI_EUlSV_E0_NS1_11comp_targetILNS1_3genE8ELNS1_11target_archE1030ELNS1_3gpuE2ELNS1_3repE0EEENS1_38merge_mergepath_config_static_selectorELNS0_4arch9wavefront6targetE1EEEvSH_.numbered_sgpr, 0
	.set _ZN7rocprim17ROCPRIM_400000_NS6detail17trampoline_kernelINS0_14default_configENS1_38merge_sort_block_merge_config_selectorIisEEZZNS1_27merge_sort_block_merge_implIS3_N6thrust23THRUST_200600_302600_NS10device_ptrIiEENS9_IsEEjNS1_19radix_merge_compareILb0ELb0EiNS0_19identity_decomposerEEEEE10hipError_tT0_T1_T2_jT3_P12ihipStream_tbPNSt15iterator_traitsISG_E10value_typeEPNSM_ISH_E10value_typeEPSI_NS1_7vsmem_tEENKUlT_SG_SH_SI_E_clISA_PiSB_PsEESF_SV_SG_SH_SI_EUlSV_E0_NS1_11comp_targetILNS1_3genE8ELNS1_11target_archE1030ELNS1_3gpuE2ELNS1_3repE0EEENS1_38merge_mergepath_config_static_selectorELNS0_4arch9wavefront6targetE1EEEvSH_.num_named_barrier, 0
	.set _ZN7rocprim17ROCPRIM_400000_NS6detail17trampoline_kernelINS0_14default_configENS1_38merge_sort_block_merge_config_selectorIisEEZZNS1_27merge_sort_block_merge_implIS3_N6thrust23THRUST_200600_302600_NS10device_ptrIiEENS9_IsEEjNS1_19radix_merge_compareILb0ELb0EiNS0_19identity_decomposerEEEEE10hipError_tT0_T1_T2_jT3_P12ihipStream_tbPNSt15iterator_traitsISG_E10value_typeEPNSM_ISH_E10value_typeEPSI_NS1_7vsmem_tEENKUlT_SG_SH_SI_E_clISA_PiSB_PsEESF_SV_SG_SH_SI_EUlSV_E0_NS1_11comp_targetILNS1_3genE8ELNS1_11target_archE1030ELNS1_3gpuE2ELNS1_3repE0EEENS1_38merge_mergepath_config_static_selectorELNS0_4arch9wavefront6targetE1EEEvSH_.private_seg_size, 0
	.set _ZN7rocprim17ROCPRIM_400000_NS6detail17trampoline_kernelINS0_14default_configENS1_38merge_sort_block_merge_config_selectorIisEEZZNS1_27merge_sort_block_merge_implIS3_N6thrust23THRUST_200600_302600_NS10device_ptrIiEENS9_IsEEjNS1_19radix_merge_compareILb0ELb0EiNS0_19identity_decomposerEEEEE10hipError_tT0_T1_T2_jT3_P12ihipStream_tbPNSt15iterator_traitsISG_E10value_typeEPNSM_ISH_E10value_typeEPSI_NS1_7vsmem_tEENKUlT_SG_SH_SI_E_clISA_PiSB_PsEESF_SV_SG_SH_SI_EUlSV_E0_NS1_11comp_targetILNS1_3genE8ELNS1_11target_archE1030ELNS1_3gpuE2ELNS1_3repE0EEENS1_38merge_mergepath_config_static_selectorELNS0_4arch9wavefront6targetE1EEEvSH_.uses_vcc, 0
	.set _ZN7rocprim17ROCPRIM_400000_NS6detail17trampoline_kernelINS0_14default_configENS1_38merge_sort_block_merge_config_selectorIisEEZZNS1_27merge_sort_block_merge_implIS3_N6thrust23THRUST_200600_302600_NS10device_ptrIiEENS9_IsEEjNS1_19radix_merge_compareILb0ELb0EiNS0_19identity_decomposerEEEEE10hipError_tT0_T1_T2_jT3_P12ihipStream_tbPNSt15iterator_traitsISG_E10value_typeEPNSM_ISH_E10value_typeEPSI_NS1_7vsmem_tEENKUlT_SG_SH_SI_E_clISA_PiSB_PsEESF_SV_SG_SH_SI_EUlSV_E0_NS1_11comp_targetILNS1_3genE8ELNS1_11target_archE1030ELNS1_3gpuE2ELNS1_3repE0EEENS1_38merge_mergepath_config_static_selectorELNS0_4arch9wavefront6targetE1EEEvSH_.uses_flat_scratch, 0
	.set _ZN7rocprim17ROCPRIM_400000_NS6detail17trampoline_kernelINS0_14default_configENS1_38merge_sort_block_merge_config_selectorIisEEZZNS1_27merge_sort_block_merge_implIS3_N6thrust23THRUST_200600_302600_NS10device_ptrIiEENS9_IsEEjNS1_19radix_merge_compareILb0ELb0EiNS0_19identity_decomposerEEEEE10hipError_tT0_T1_T2_jT3_P12ihipStream_tbPNSt15iterator_traitsISG_E10value_typeEPNSM_ISH_E10value_typeEPSI_NS1_7vsmem_tEENKUlT_SG_SH_SI_E_clISA_PiSB_PsEESF_SV_SG_SH_SI_EUlSV_E0_NS1_11comp_targetILNS1_3genE8ELNS1_11target_archE1030ELNS1_3gpuE2ELNS1_3repE0EEENS1_38merge_mergepath_config_static_selectorELNS0_4arch9wavefront6targetE1EEEvSH_.has_dyn_sized_stack, 0
	.set _ZN7rocprim17ROCPRIM_400000_NS6detail17trampoline_kernelINS0_14default_configENS1_38merge_sort_block_merge_config_selectorIisEEZZNS1_27merge_sort_block_merge_implIS3_N6thrust23THRUST_200600_302600_NS10device_ptrIiEENS9_IsEEjNS1_19radix_merge_compareILb0ELb0EiNS0_19identity_decomposerEEEEE10hipError_tT0_T1_T2_jT3_P12ihipStream_tbPNSt15iterator_traitsISG_E10value_typeEPNSM_ISH_E10value_typeEPSI_NS1_7vsmem_tEENKUlT_SG_SH_SI_E_clISA_PiSB_PsEESF_SV_SG_SH_SI_EUlSV_E0_NS1_11comp_targetILNS1_3genE8ELNS1_11target_archE1030ELNS1_3gpuE2ELNS1_3repE0EEENS1_38merge_mergepath_config_static_selectorELNS0_4arch9wavefront6targetE1EEEvSH_.has_recursion, 0
	.set _ZN7rocprim17ROCPRIM_400000_NS6detail17trampoline_kernelINS0_14default_configENS1_38merge_sort_block_merge_config_selectorIisEEZZNS1_27merge_sort_block_merge_implIS3_N6thrust23THRUST_200600_302600_NS10device_ptrIiEENS9_IsEEjNS1_19radix_merge_compareILb0ELb0EiNS0_19identity_decomposerEEEEE10hipError_tT0_T1_T2_jT3_P12ihipStream_tbPNSt15iterator_traitsISG_E10value_typeEPNSM_ISH_E10value_typeEPSI_NS1_7vsmem_tEENKUlT_SG_SH_SI_E_clISA_PiSB_PsEESF_SV_SG_SH_SI_EUlSV_E0_NS1_11comp_targetILNS1_3genE8ELNS1_11target_archE1030ELNS1_3gpuE2ELNS1_3repE0EEENS1_38merge_mergepath_config_static_selectorELNS0_4arch9wavefront6targetE1EEEvSH_.has_indirect_call, 0
	.section	.AMDGPU.csdata,"",@progbits
; Kernel info:
; codeLenInByte = 0
; TotalNumSgprs: 6
; NumVgprs: 0
; NumAgprs: 0
; TotalNumVgprs: 0
; ScratchSize: 0
; MemoryBound: 0
; FloatMode: 240
; IeeeMode: 1
; LDSByteSize: 0 bytes/workgroup (compile time only)
; SGPRBlocks: 0
; VGPRBlocks: 0
; NumSGPRsForWavesPerEU: 6
; NumVGPRsForWavesPerEU: 1
; AccumOffset: 4
; Occupancy: 8
; WaveLimiterHint : 0
; COMPUTE_PGM_RSRC2:SCRATCH_EN: 0
; COMPUTE_PGM_RSRC2:USER_SGPR: 2
; COMPUTE_PGM_RSRC2:TRAP_HANDLER: 0
; COMPUTE_PGM_RSRC2:TGID_X_EN: 1
; COMPUTE_PGM_RSRC2:TGID_Y_EN: 0
; COMPUTE_PGM_RSRC2:TGID_Z_EN: 0
; COMPUTE_PGM_RSRC2:TIDIG_COMP_CNT: 0
; COMPUTE_PGM_RSRC3_GFX90A:ACCUM_OFFSET: 0
; COMPUTE_PGM_RSRC3_GFX90A:TG_SPLIT: 0
	.section	.text._ZN7rocprim17ROCPRIM_400000_NS6detail17trampoline_kernelINS0_14default_configENS1_38merge_sort_block_merge_config_selectorIisEEZZNS1_27merge_sort_block_merge_implIS3_N6thrust23THRUST_200600_302600_NS10device_ptrIiEENS9_IsEEjNS1_19radix_merge_compareILb0ELb0EiNS0_19identity_decomposerEEEEE10hipError_tT0_T1_T2_jT3_P12ihipStream_tbPNSt15iterator_traitsISG_E10value_typeEPNSM_ISH_E10value_typeEPSI_NS1_7vsmem_tEENKUlT_SG_SH_SI_E_clISA_PiSB_PsEESF_SV_SG_SH_SI_EUlSV_E1_NS1_11comp_targetILNS1_3genE0ELNS1_11target_archE4294967295ELNS1_3gpuE0ELNS1_3repE0EEENS1_36merge_oddeven_config_static_selectorELNS0_4arch9wavefront6targetE1EEEvSH_,"axG",@progbits,_ZN7rocprim17ROCPRIM_400000_NS6detail17trampoline_kernelINS0_14default_configENS1_38merge_sort_block_merge_config_selectorIisEEZZNS1_27merge_sort_block_merge_implIS3_N6thrust23THRUST_200600_302600_NS10device_ptrIiEENS9_IsEEjNS1_19radix_merge_compareILb0ELb0EiNS0_19identity_decomposerEEEEE10hipError_tT0_T1_T2_jT3_P12ihipStream_tbPNSt15iterator_traitsISG_E10value_typeEPNSM_ISH_E10value_typeEPSI_NS1_7vsmem_tEENKUlT_SG_SH_SI_E_clISA_PiSB_PsEESF_SV_SG_SH_SI_EUlSV_E1_NS1_11comp_targetILNS1_3genE0ELNS1_11target_archE4294967295ELNS1_3gpuE0ELNS1_3repE0EEENS1_36merge_oddeven_config_static_selectorELNS0_4arch9wavefront6targetE1EEEvSH_,comdat
	.protected	_ZN7rocprim17ROCPRIM_400000_NS6detail17trampoline_kernelINS0_14default_configENS1_38merge_sort_block_merge_config_selectorIisEEZZNS1_27merge_sort_block_merge_implIS3_N6thrust23THRUST_200600_302600_NS10device_ptrIiEENS9_IsEEjNS1_19radix_merge_compareILb0ELb0EiNS0_19identity_decomposerEEEEE10hipError_tT0_T1_T2_jT3_P12ihipStream_tbPNSt15iterator_traitsISG_E10value_typeEPNSM_ISH_E10value_typeEPSI_NS1_7vsmem_tEENKUlT_SG_SH_SI_E_clISA_PiSB_PsEESF_SV_SG_SH_SI_EUlSV_E1_NS1_11comp_targetILNS1_3genE0ELNS1_11target_archE4294967295ELNS1_3gpuE0ELNS1_3repE0EEENS1_36merge_oddeven_config_static_selectorELNS0_4arch9wavefront6targetE1EEEvSH_ ; -- Begin function _ZN7rocprim17ROCPRIM_400000_NS6detail17trampoline_kernelINS0_14default_configENS1_38merge_sort_block_merge_config_selectorIisEEZZNS1_27merge_sort_block_merge_implIS3_N6thrust23THRUST_200600_302600_NS10device_ptrIiEENS9_IsEEjNS1_19radix_merge_compareILb0ELb0EiNS0_19identity_decomposerEEEEE10hipError_tT0_T1_T2_jT3_P12ihipStream_tbPNSt15iterator_traitsISG_E10value_typeEPNSM_ISH_E10value_typeEPSI_NS1_7vsmem_tEENKUlT_SG_SH_SI_E_clISA_PiSB_PsEESF_SV_SG_SH_SI_EUlSV_E1_NS1_11comp_targetILNS1_3genE0ELNS1_11target_archE4294967295ELNS1_3gpuE0ELNS1_3repE0EEENS1_36merge_oddeven_config_static_selectorELNS0_4arch9wavefront6targetE1EEEvSH_
	.globl	_ZN7rocprim17ROCPRIM_400000_NS6detail17trampoline_kernelINS0_14default_configENS1_38merge_sort_block_merge_config_selectorIisEEZZNS1_27merge_sort_block_merge_implIS3_N6thrust23THRUST_200600_302600_NS10device_ptrIiEENS9_IsEEjNS1_19radix_merge_compareILb0ELb0EiNS0_19identity_decomposerEEEEE10hipError_tT0_T1_T2_jT3_P12ihipStream_tbPNSt15iterator_traitsISG_E10value_typeEPNSM_ISH_E10value_typeEPSI_NS1_7vsmem_tEENKUlT_SG_SH_SI_E_clISA_PiSB_PsEESF_SV_SG_SH_SI_EUlSV_E1_NS1_11comp_targetILNS1_3genE0ELNS1_11target_archE4294967295ELNS1_3gpuE0ELNS1_3repE0EEENS1_36merge_oddeven_config_static_selectorELNS0_4arch9wavefront6targetE1EEEvSH_
	.p2align	8
	.type	_ZN7rocprim17ROCPRIM_400000_NS6detail17trampoline_kernelINS0_14default_configENS1_38merge_sort_block_merge_config_selectorIisEEZZNS1_27merge_sort_block_merge_implIS3_N6thrust23THRUST_200600_302600_NS10device_ptrIiEENS9_IsEEjNS1_19radix_merge_compareILb0ELb0EiNS0_19identity_decomposerEEEEE10hipError_tT0_T1_T2_jT3_P12ihipStream_tbPNSt15iterator_traitsISG_E10value_typeEPNSM_ISH_E10value_typeEPSI_NS1_7vsmem_tEENKUlT_SG_SH_SI_E_clISA_PiSB_PsEESF_SV_SG_SH_SI_EUlSV_E1_NS1_11comp_targetILNS1_3genE0ELNS1_11target_archE4294967295ELNS1_3gpuE0ELNS1_3repE0EEENS1_36merge_oddeven_config_static_selectorELNS0_4arch9wavefront6targetE1EEEvSH_,@function
_ZN7rocprim17ROCPRIM_400000_NS6detail17trampoline_kernelINS0_14default_configENS1_38merge_sort_block_merge_config_selectorIisEEZZNS1_27merge_sort_block_merge_implIS3_N6thrust23THRUST_200600_302600_NS10device_ptrIiEENS9_IsEEjNS1_19radix_merge_compareILb0ELb0EiNS0_19identity_decomposerEEEEE10hipError_tT0_T1_T2_jT3_P12ihipStream_tbPNSt15iterator_traitsISG_E10value_typeEPNSM_ISH_E10value_typeEPSI_NS1_7vsmem_tEENKUlT_SG_SH_SI_E_clISA_PiSB_PsEESF_SV_SG_SH_SI_EUlSV_E1_NS1_11comp_targetILNS1_3genE0ELNS1_11target_archE4294967295ELNS1_3gpuE0ELNS1_3repE0EEENS1_36merge_oddeven_config_static_selectorELNS0_4arch9wavefront6targetE1EEEvSH_: ; @_ZN7rocprim17ROCPRIM_400000_NS6detail17trampoline_kernelINS0_14default_configENS1_38merge_sort_block_merge_config_selectorIisEEZZNS1_27merge_sort_block_merge_implIS3_N6thrust23THRUST_200600_302600_NS10device_ptrIiEENS9_IsEEjNS1_19radix_merge_compareILb0ELb0EiNS0_19identity_decomposerEEEEE10hipError_tT0_T1_T2_jT3_P12ihipStream_tbPNSt15iterator_traitsISG_E10value_typeEPNSM_ISH_E10value_typeEPSI_NS1_7vsmem_tEENKUlT_SG_SH_SI_E_clISA_PiSB_PsEESF_SV_SG_SH_SI_EUlSV_E1_NS1_11comp_targetILNS1_3genE0ELNS1_11target_archE4294967295ELNS1_3gpuE0ELNS1_3repE0EEENS1_36merge_oddeven_config_static_selectorELNS0_4arch9wavefront6targetE1EEEvSH_
; %bb.0:
	s_load_dword s18, s[0:1], 0x20
	s_waitcnt lgkmcnt(0)
	s_lshr_b32 s3, s18, 8
	s_cmp_eq_u32 s2, s3
	s_cselect_b64 s[6:7], -1, 0
	s_cmp_lg_u32 s2, s3
	s_cselect_b64 s[8:9], -1, 0
	s_lshl_b32 s16, s2, 8
	s_sub_i32 s3, s18, s16
	v_cmp_gt_u32_e64 s[4:5], s3, v0
	s_or_b64 s[8:9], s[8:9], s[4:5]
	s_and_saveexec_b64 s[10:11], s[8:9]
	s_cbranch_execz .LBB2330_24
; %bb.1:
	s_load_dwordx8 s[8:15], s[0:1], 0x0
	s_mov_b32 s17, 0
	s_lshl_b64 s[20:21], s[16:17], 2
	v_lshlrev_b32_e32 v4, 1, v0
	v_lshlrev_b32_e32 v1, 2, v0
	s_waitcnt lgkmcnt(0)
	s_add_u32 s20, s8, s20
	s_addc_u32 s21, s9, s21
	s_lshl_b64 s[22:23], s[16:17], 1
	s_add_u32 s12, s12, s22
	s_addc_u32 s13, s13, s23
	global_load_ushort v2, v4, s[12:13]
	global_load_dword v3, v1, s[20:21]
	s_load_dword s17, s[0:1], 0x24
	v_add_u32_e32 v0, s16, v0
	s_waitcnt lgkmcnt(0)
	s_lshr_b32 s0, s17, 8
	s_sub_i32 s1, 0, s0
	s_and_b32 s1, s2, s1
	s_and_b32 s0, s1, s0
	s_lshl_b32 s19, s1, 8
	s_sub_i32 s12, 0, s17
	s_cmp_eq_u32 s0, 0
	s_cselect_b64 s[0:1], -1, 0
	s_and_b64 s[2:3], s[0:1], exec
	s_cselect_b32 s12, s17, s12
	s_add_i32 s12, s12, s19
	s_mov_b64 s[2:3], -1
	s_cmp_gt_u32 s18, s12
	s_cbranch_scc1 .LBB2330_9
; %bb.2:
	s_and_b64 vcc, exec, s[6:7]
	s_cbranch_vccz .LBB2330_6
; %bb.3:
	v_cmp_gt_u32_e32 vcc, s18, v0
	s_and_saveexec_b64 s[2:3], vcc
	s_cbranch_execz .LBB2330_5
; %bb.4:
	v_mov_b32_e32 v1, 0
	v_lshl_add_u64 v[4:5], v[0:1], 2, s[10:11]
	v_lshl_add_u64 v[6:7], v[0:1], 1, s[14:15]
	s_waitcnt vmcnt(0)
	global_store_dword v[4:5], v3, off
	global_store_short v[6:7], v2, off
.LBB2330_5:
	s_or_b64 exec, exec, s[2:3]
	s_mov_b64 s[2:3], 0
.LBB2330_6:
	s_andn2_b64 vcc, exec, s[2:3]
	s_cbranch_vccnz .LBB2330_8
; %bb.7:
	v_mov_b32_e32 v1, 0
	v_lshl_add_u64 v[4:5], v[0:1], 2, s[10:11]
	v_lshl_add_u64 v[6:7], v[0:1], 1, s[14:15]
	s_waitcnt vmcnt(0)
	global_store_dword v[4:5], v3, off
	global_store_short v[6:7], v2, off
.LBB2330_8:
	s_mov_b64 s[2:3], 0
.LBB2330_9:
	s_andn2_b64 vcc, exec, s[2:3]
	s_cbranch_vccnz .LBB2330_24
; %bb.10:
	s_min_u32 s13, s12, s18
	s_add_i32 s2, s13, s17
	s_min_u32 s16, s2, s18
	s_min_u32 s2, s19, s13
	s_add_i32 s19, s19, s13
	v_subrev_u32_e32 v0, s19, v0
	v_add_u32_e32 v4, s2, v0
	s_andn2_b64 vcc, exec, s[6:7]
	s_mov_b64 s[2:3], -1
	s_cbranch_vccnz .LBB2330_18
; %bb.11:
	s_and_saveexec_b64 s[2:3], s[4:5]
	s_cbranch_execz .LBB2330_17
; %bb.12:
	s_cmp_ge_u32 s12, s16
	v_mov_b32_e32 v5, s13
	s_cbranch_scc1 .LBB2330_16
; %bb.13:
	s_mov_b64 s[4:5], 0
	v_mov_b32_e32 v6, s16
	v_mov_b32_e32 v5, s13
	;; [unrolled: 1-line block ×3, first 2 shown]
.LBB2330_14:                            ; =>This Inner Loop Header: Depth=1
	v_add_u32_e32 v0, v5, v6
	v_lshrrev_b32_e32 v0, 1, v0
	v_lshl_add_u64 v[8:9], v[0:1], 2, s[8:9]
	global_load_dword v7, v[8:9], off
	v_add_u32_e32 v8, 1, v0
	s_waitcnt vmcnt(0)
	v_cmp_gt_i32_e32 vcc, v3, v7
	s_nop 1
	v_cndmask_b32_e64 v9, 0, 1, vcc
	v_cmp_le_i32_e32 vcc, v7, v3
	s_nop 1
	v_cndmask_b32_e64 v7, 0, 1, vcc
	v_cndmask_b32_e64 v7, v7, v9, s[0:1]
	v_and_b32_e32 v7, 1, v7
	v_cmp_eq_u32_e32 vcc, 1, v7
	s_nop 1
	v_cndmask_b32_e32 v6, v0, v6, vcc
	v_cndmask_b32_e32 v5, v5, v8, vcc
	v_cmp_ge_u32_e32 vcc, v5, v6
	s_or_b64 s[4:5], vcc, s[4:5]
	s_andn2_b64 exec, exec, s[4:5]
	s_cbranch_execnz .LBB2330_14
; %bb.15:
	s_or_b64 exec, exec, s[4:5]
.LBB2330_16:
	v_add_u32_e32 v0, v5, v4
	v_mov_b32_e32 v1, 0
	v_lshl_add_u64 v[6:7], v[0:1], 2, s[10:11]
	v_lshl_add_u64 v[0:1], v[0:1], 1, s[14:15]
	s_waitcnt vmcnt(0)
	global_store_dword v[6:7], v3, off
	global_store_short v[0:1], v2, off
.LBB2330_17:
	s_or_b64 exec, exec, s[2:3]
	s_mov_b64 s[2:3], 0
.LBB2330_18:
	s_andn2_b64 vcc, exec, s[2:3]
	s_cbranch_vccnz .LBB2330_24
; %bb.19:
	s_cmp_ge_u32 s12, s16
	v_mov_b32_e32 v5, s13
	s_cbranch_scc1 .LBB2330_23
; %bb.20:
	s_mov_b64 s[2:3], 0
	v_mov_b32_e32 v6, s16
	v_mov_b32_e32 v5, s13
	;; [unrolled: 1-line block ×3, first 2 shown]
.LBB2330_21:                            ; =>This Inner Loop Header: Depth=1
	v_add_u32_e32 v0, v5, v6
	v_lshrrev_b32_e32 v0, 1, v0
	v_lshl_add_u64 v[8:9], v[0:1], 2, s[8:9]
	global_load_dword v7, v[8:9], off
	v_add_u32_e32 v8, 1, v0
	s_waitcnt vmcnt(0)
	v_cmp_gt_i32_e32 vcc, v3, v7
	s_nop 1
	v_cndmask_b32_e64 v9, 0, 1, vcc
	v_cmp_le_i32_e32 vcc, v7, v3
	s_nop 1
	v_cndmask_b32_e64 v7, 0, 1, vcc
	v_cndmask_b32_e64 v7, v7, v9, s[0:1]
	v_and_b32_e32 v7, 1, v7
	v_cmp_eq_u32_e32 vcc, 1, v7
	s_nop 1
	v_cndmask_b32_e32 v6, v0, v6, vcc
	v_cndmask_b32_e32 v5, v5, v8, vcc
	v_cmp_ge_u32_e32 vcc, v5, v6
	s_or_b64 s[2:3], vcc, s[2:3]
	s_andn2_b64 exec, exec, s[2:3]
	s_cbranch_execnz .LBB2330_21
; %bb.22:
	s_or_b64 exec, exec, s[2:3]
.LBB2330_23:
	v_add_u32_e32 v0, v5, v4
	v_mov_b32_e32 v1, 0
	v_lshl_add_u64 v[4:5], v[0:1], 2, s[10:11]
	v_lshl_add_u64 v[0:1], v[0:1], 1, s[14:15]
	s_waitcnt vmcnt(0)
	global_store_dword v[4:5], v3, off
	global_store_short v[0:1], v2, off
.LBB2330_24:
	s_endpgm
	.section	.rodata,"a",@progbits
	.p2align	6, 0x0
	.amdhsa_kernel _ZN7rocprim17ROCPRIM_400000_NS6detail17trampoline_kernelINS0_14default_configENS1_38merge_sort_block_merge_config_selectorIisEEZZNS1_27merge_sort_block_merge_implIS3_N6thrust23THRUST_200600_302600_NS10device_ptrIiEENS9_IsEEjNS1_19radix_merge_compareILb0ELb0EiNS0_19identity_decomposerEEEEE10hipError_tT0_T1_T2_jT3_P12ihipStream_tbPNSt15iterator_traitsISG_E10value_typeEPNSM_ISH_E10value_typeEPSI_NS1_7vsmem_tEENKUlT_SG_SH_SI_E_clISA_PiSB_PsEESF_SV_SG_SH_SI_EUlSV_E1_NS1_11comp_targetILNS1_3genE0ELNS1_11target_archE4294967295ELNS1_3gpuE0ELNS1_3repE0EEENS1_36merge_oddeven_config_static_selectorELNS0_4arch9wavefront6targetE1EEEvSH_
		.amdhsa_group_segment_fixed_size 0
		.amdhsa_private_segment_fixed_size 0
		.amdhsa_kernarg_size 48
		.amdhsa_user_sgpr_count 2
		.amdhsa_user_sgpr_dispatch_ptr 0
		.amdhsa_user_sgpr_queue_ptr 0
		.amdhsa_user_sgpr_kernarg_segment_ptr 1
		.amdhsa_user_sgpr_dispatch_id 0
		.amdhsa_user_sgpr_kernarg_preload_length 0
		.amdhsa_user_sgpr_kernarg_preload_offset 0
		.amdhsa_user_sgpr_private_segment_size 0
		.amdhsa_uses_dynamic_stack 0
		.amdhsa_enable_private_segment 0
		.amdhsa_system_sgpr_workgroup_id_x 1
		.amdhsa_system_sgpr_workgroup_id_y 0
		.amdhsa_system_sgpr_workgroup_id_z 0
		.amdhsa_system_sgpr_workgroup_info 0
		.amdhsa_system_vgpr_workitem_id 0
		.amdhsa_next_free_vgpr 10
		.amdhsa_next_free_sgpr 24
		.amdhsa_accum_offset 12
		.amdhsa_reserve_vcc 1
		.amdhsa_float_round_mode_32 0
		.amdhsa_float_round_mode_16_64 0
		.amdhsa_float_denorm_mode_32 3
		.amdhsa_float_denorm_mode_16_64 3
		.amdhsa_dx10_clamp 1
		.amdhsa_ieee_mode 1
		.amdhsa_fp16_overflow 0
		.amdhsa_tg_split 0
		.amdhsa_exception_fp_ieee_invalid_op 0
		.amdhsa_exception_fp_denorm_src 0
		.amdhsa_exception_fp_ieee_div_zero 0
		.amdhsa_exception_fp_ieee_overflow 0
		.amdhsa_exception_fp_ieee_underflow 0
		.amdhsa_exception_fp_ieee_inexact 0
		.amdhsa_exception_int_div_zero 0
	.end_amdhsa_kernel
	.section	.text._ZN7rocprim17ROCPRIM_400000_NS6detail17trampoline_kernelINS0_14default_configENS1_38merge_sort_block_merge_config_selectorIisEEZZNS1_27merge_sort_block_merge_implIS3_N6thrust23THRUST_200600_302600_NS10device_ptrIiEENS9_IsEEjNS1_19radix_merge_compareILb0ELb0EiNS0_19identity_decomposerEEEEE10hipError_tT0_T1_T2_jT3_P12ihipStream_tbPNSt15iterator_traitsISG_E10value_typeEPNSM_ISH_E10value_typeEPSI_NS1_7vsmem_tEENKUlT_SG_SH_SI_E_clISA_PiSB_PsEESF_SV_SG_SH_SI_EUlSV_E1_NS1_11comp_targetILNS1_3genE0ELNS1_11target_archE4294967295ELNS1_3gpuE0ELNS1_3repE0EEENS1_36merge_oddeven_config_static_selectorELNS0_4arch9wavefront6targetE1EEEvSH_,"axG",@progbits,_ZN7rocprim17ROCPRIM_400000_NS6detail17trampoline_kernelINS0_14default_configENS1_38merge_sort_block_merge_config_selectorIisEEZZNS1_27merge_sort_block_merge_implIS3_N6thrust23THRUST_200600_302600_NS10device_ptrIiEENS9_IsEEjNS1_19radix_merge_compareILb0ELb0EiNS0_19identity_decomposerEEEEE10hipError_tT0_T1_T2_jT3_P12ihipStream_tbPNSt15iterator_traitsISG_E10value_typeEPNSM_ISH_E10value_typeEPSI_NS1_7vsmem_tEENKUlT_SG_SH_SI_E_clISA_PiSB_PsEESF_SV_SG_SH_SI_EUlSV_E1_NS1_11comp_targetILNS1_3genE0ELNS1_11target_archE4294967295ELNS1_3gpuE0ELNS1_3repE0EEENS1_36merge_oddeven_config_static_selectorELNS0_4arch9wavefront6targetE1EEEvSH_,comdat
.Lfunc_end2330:
	.size	_ZN7rocprim17ROCPRIM_400000_NS6detail17trampoline_kernelINS0_14default_configENS1_38merge_sort_block_merge_config_selectorIisEEZZNS1_27merge_sort_block_merge_implIS3_N6thrust23THRUST_200600_302600_NS10device_ptrIiEENS9_IsEEjNS1_19radix_merge_compareILb0ELb0EiNS0_19identity_decomposerEEEEE10hipError_tT0_T1_T2_jT3_P12ihipStream_tbPNSt15iterator_traitsISG_E10value_typeEPNSM_ISH_E10value_typeEPSI_NS1_7vsmem_tEENKUlT_SG_SH_SI_E_clISA_PiSB_PsEESF_SV_SG_SH_SI_EUlSV_E1_NS1_11comp_targetILNS1_3genE0ELNS1_11target_archE4294967295ELNS1_3gpuE0ELNS1_3repE0EEENS1_36merge_oddeven_config_static_selectorELNS0_4arch9wavefront6targetE1EEEvSH_, .Lfunc_end2330-_ZN7rocprim17ROCPRIM_400000_NS6detail17trampoline_kernelINS0_14default_configENS1_38merge_sort_block_merge_config_selectorIisEEZZNS1_27merge_sort_block_merge_implIS3_N6thrust23THRUST_200600_302600_NS10device_ptrIiEENS9_IsEEjNS1_19radix_merge_compareILb0ELb0EiNS0_19identity_decomposerEEEEE10hipError_tT0_T1_T2_jT3_P12ihipStream_tbPNSt15iterator_traitsISG_E10value_typeEPNSM_ISH_E10value_typeEPSI_NS1_7vsmem_tEENKUlT_SG_SH_SI_E_clISA_PiSB_PsEESF_SV_SG_SH_SI_EUlSV_E1_NS1_11comp_targetILNS1_3genE0ELNS1_11target_archE4294967295ELNS1_3gpuE0ELNS1_3repE0EEENS1_36merge_oddeven_config_static_selectorELNS0_4arch9wavefront6targetE1EEEvSH_
                                        ; -- End function
	.set _ZN7rocprim17ROCPRIM_400000_NS6detail17trampoline_kernelINS0_14default_configENS1_38merge_sort_block_merge_config_selectorIisEEZZNS1_27merge_sort_block_merge_implIS3_N6thrust23THRUST_200600_302600_NS10device_ptrIiEENS9_IsEEjNS1_19radix_merge_compareILb0ELb0EiNS0_19identity_decomposerEEEEE10hipError_tT0_T1_T2_jT3_P12ihipStream_tbPNSt15iterator_traitsISG_E10value_typeEPNSM_ISH_E10value_typeEPSI_NS1_7vsmem_tEENKUlT_SG_SH_SI_E_clISA_PiSB_PsEESF_SV_SG_SH_SI_EUlSV_E1_NS1_11comp_targetILNS1_3genE0ELNS1_11target_archE4294967295ELNS1_3gpuE0ELNS1_3repE0EEENS1_36merge_oddeven_config_static_selectorELNS0_4arch9wavefront6targetE1EEEvSH_.num_vgpr, 10
	.set _ZN7rocprim17ROCPRIM_400000_NS6detail17trampoline_kernelINS0_14default_configENS1_38merge_sort_block_merge_config_selectorIisEEZZNS1_27merge_sort_block_merge_implIS3_N6thrust23THRUST_200600_302600_NS10device_ptrIiEENS9_IsEEjNS1_19radix_merge_compareILb0ELb0EiNS0_19identity_decomposerEEEEE10hipError_tT0_T1_T2_jT3_P12ihipStream_tbPNSt15iterator_traitsISG_E10value_typeEPNSM_ISH_E10value_typeEPSI_NS1_7vsmem_tEENKUlT_SG_SH_SI_E_clISA_PiSB_PsEESF_SV_SG_SH_SI_EUlSV_E1_NS1_11comp_targetILNS1_3genE0ELNS1_11target_archE4294967295ELNS1_3gpuE0ELNS1_3repE0EEENS1_36merge_oddeven_config_static_selectorELNS0_4arch9wavefront6targetE1EEEvSH_.num_agpr, 0
	.set _ZN7rocprim17ROCPRIM_400000_NS6detail17trampoline_kernelINS0_14default_configENS1_38merge_sort_block_merge_config_selectorIisEEZZNS1_27merge_sort_block_merge_implIS3_N6thrust23THRUST_200600_302600_NS10device_ptrIiEENS9_IsEEjNS1_19radix_merge_compareILb0ELb0EiNS0_19identity_decomposerEEEEE10hipError_tT0_T1_T2_jT3_P12ihipStream_tbPNSt15iterator_traitsISG_E10value_typeEPNSM_ISH_E10value_typeEPSI_NS1_7vsmem_tEENKUlT_SG_SH_SI_E_clISA_PiSB_PsEESF_SV_SG_SH_SI_EUlSV_E1_NS1_11comp_targetILNS1_3genE0ELNS1_11target_archE4294967295ELNS1_3gpuE0ELNS1_3repE0EEENS1_36merge_oddeven_config_static_selectorELNS0_4arch9wavefront6targetE1EEEvSH_.numbered_sgpr, 24
	.set _ZN7rocprim17ROCPRIM_400000_NS6detail17trampoline_kernelINS0_14default_configENS1_38merge_sort_block_merge_config_selectorIisEEZZNS1_27merge_sort_block_merge_implIS3_N6thrust23THRUST_200600_302600_NS10device_ptrIiEENS9_IsEEjNS1_19radix_merge_compareILb0ELb0EiNS0_19identity_decomposerEEEEE10hipError_tT0_T1_T2_jT3_P12ihipStream_tbPNSt15iterator_traitsISG_E10value_typeEPNSM_ISH_E10value_typeEPSI_NS1_7vsmem_tEENKUlT_SG_SH_SI_E_clISA_PiSB_PsEESF_SV_SG_SH_SI_EUlSV_E1_NS1_11comp_targetILNS1_3genE0ELNS1_11target_archE4294967295ELNS1_3gpuE0ELNS1_3repE0EEENS1_36merge_oddeven_config_static_selectorELNS0_4arch9wavefront6targetE1EEEvSH_.num_named_barrier, 0
	.set _ZN7rocprim17ROCPRIM_400000_NS6detail17trampoline_kernelINS0_14default_configENS1_38merge_sort_block_merge_config_selectorIisEEZZNS1_27merge_sort_block_merge_implIS3_N6thrust23THRUST_200600_302600_NS10device_ptrIiEENS9_IsEEjNS1_19radix_merge_compareILb0ELb0EiNS0_19identity_decomposerEEEEE10hipError_tT0_T1_T2_jT3_P12ihipStream_tbPNSt15iterator_traitsISG_E10value_typeEPNSM_ISH_E10value_typeEPSI_NS1_7vsmem_tEENKUlT_SG_SH_SI_E_clISA_PiSB_PsEESF_SV_SG_SH_SI_EUlSV_E1_NS1_11comp_targetILNS1_3genE0ELNS1_11target_archE4294967295ELNS1_3gpuE0ELNS1_3repE0EEENS1_36merge_oddeven_config_static_selectorELNS0_4arch9wavefront6targetE1EEEvSH_.private_seg_size, 0
	.set _ZN7rocprim17ROCPRIM_400000_NS6detail17trampoline_kernelINS0_14default_configENS1_38merge_sort_block_merge_config_selectorIisEEZZNS1_27merge_sort_block_merge_implIS3_N6thrust23THRUST_200600_302600_NS10device_ptrIiEENS9_IsEEjNS1_19radix_merge_compareILb0ELb0EiNS0_19identity_decomposerEEEEE10hipError_tT0_T1_T2_jT3_P12ihipStream_tbPNSt15iterator_traitsISG_E10value_typeEPNSM_ISH_E10value_typeEPSI_NS1_7vsmem_tEENKUlT_SG_SH_SI_E_clISA_PiSB_PsEESF_SV_SG_SH_SI_EUlSV_E1_NS1_11comp_targetILNS1_3genE0ELNS1_11target_archE4294967295ELNS1_3gpuE0ELNS1_3repE0EEENS1_36merge_oddeven_config_static_selectorELNS0_4arch9wavefront6targetE1EEEvSH_.uses_vcc, 1
	.set _ZN7rocprim17ROCPRIM_400000_NS6detail17trampoline_kernelINS0_14default_configENS1_38merge_sort_block_merge_config_selectorIisEEZZNS1_27merge_sort_block_merge_implIS3_N6thrust23THRUST_200600_302600_NS10device_ptrIiEENS9_IsEEjNS1_19radix_merge_compareILb0ELb0EiNS0_19identity_decomposerEEEEE10hipError_tT0_T1_T2_jT3_P12ihipStream_tbPNSt15iterator_traitsISG_E10value_typeEPNSM_ISH_E10value_typeEPSI_NS1_7vsmem_tEENKUlT_SG_SH_SI_E_clISA_PiSB_PsEESF_SV_SG_SH_SI_EUlSV_E1_NS1_11comp_targetILNS1_3genE0ELNS1_11target_archE4294967295ELNS1_3gpuE0ELNS1_3repE0EEENS1_36merge_oddeven_config_static_selectorELNS0_4arch9wavefront6targetE1EEEvSH_.uses_flat_scratch, 0
	.set _ZN7rocprim17ROCPRIM_400000_NS6detail17trampoline_kernelINS0_14default_configENS1_38merge_sort_block_merge_config_selectorIisEEZZNS1_27merge_sort_block_merge_implIS3_N6thrust23THRUST_200600_302600_NS10device_ptrIiEENS9_IsEEjNS1_19radix_merge_compareILb0ELb0EiNS0_19identity_decomposerEEEEE10hipError_tT0_T1_T2_jT3_P12ihipStream_tbPNSt15iterator_traitsISG_E10value_typeEPNSM_ISH_E10value_typeEPSI_NS1_7vsmem_tEENKUlT_SG_SH_SI_E_clISA_PiSB_PsEESF_SV_SG_SH_SI_EUlSV_E1_NS1_11comp_targetILNS1_3genE0ELNS1_11target_archE4294967295ELNS1_3gpuE0ELNS1_3repE0EEENS1_36merge_oddeven_config_static_selectorELNS0_4arch9wavefront6targetE1EEEvSH_.has_dyn_sized_stack, 0
	.set _ZN7rocprim17ROCPRIM_400000_NS6detail17trampoline_kernelINS0_14default_configENS1_38merge_sort_block_merge_config_selectorIisEEZZNS1_27merge_sort_block_merge_implIS3_N6thrust23THRUST_200600_302600_NS10device_ptrIiEENS9_IsEEjNS1_19radix_merge_compareILb0ELb0EiNS0_19identity_decomposerEEEEE10hipError_tT0_T1_T2_jT3_P12ihipStream_tbPNSt15iterator_traitsISG_E10value_typeEPNSM_ISH_E10value_typeEPSI_NS1_7vsmem_tEENKUlT_SG_SH_SI_E_clISA_PiSB_PsEESF_SV_SG_SH_SI_EUlSV_E1_NS1_11comp_targetILNS1_3genE0ELNS1_11target_archE4294967295ELNS1_3gpuE0ELNS1_3repE0EEENS1_36merge_oddeven_config_static_selectorELNS0_4arch9wavefront6targetE1EEEvSH_.has_recursion, 0
	.set _ZN7rocprim17ROCPRIM_400000_NS6detail17trampoline_kernelINS0_14default_configENS1_38merge_sort_block_merge_config_selectorIisEEZZNS1_27merge_sort_block_merge_implIS3_N6thrust23THRUST_200600_302600_NS10device_ptrIiEENS9_IsEEjNS1_19radix_merge_compareILb0ELb0EiNS0_19identity_decomposerEEEEE10hipError_tT0_T1_T2_jT3_P12ihipStream_tbPNSt15iterator_traitsISG_E10value_typeEPNSM_ISH_E10value_typeEPSI_NS1_7vsmem_tEENKUlT_SG_SH_SI_E_clISA_PiSB_PsEESF_SV_SG_SH_SI_EUlSV_E1_NS1_11comp_targetILNS1_3genE0ELNS1_11target_archE4294967295ELNS1_3gpuE0ELNS1_3repE0EEENS1_36merge_oddeven_config_static_selectorELNS0_4arch9wavefront6targetE1EEEvSH_.has_indirect_call, 0
	.section	.AMDGPU.csdata,"",@progbits
; Kernel info:
; codeLenInByte = 760
; TotalNumSgprs: 30
; NumVgprs: 10
; NumAgprs: 0
; TotalNumVgprs: 10
; ScratchSize: 0
; MemoryBound: 0
; FloatMode: 240
; IeeeMode: 1
; LDSByteSize: 0 bytes/workgroup (compile time only)
; SGPRBlocks: 3
; VGPRBlocks: 1
; NumSGPRsForWavesPerEU: 30
; NumVGPRsForWavesPerEU: 10
; AccumOffset: 12
; Occupancy: 8
; WaveLimiterHint : 0
; COMPUTE_PGM_RSRC2:SCRATCH_EN: 0
; COMPUTE_PGM_RSRC2:USER_SGPR: 2
; COMPUTE_PGM_RSRC2:TRAP_HANDLER: 0
; COMPUTE_PGM_RSRC2:TGID_X_EN: 1
; COMPUTE_PGM_RSRC2:TGID_Y_EN: 0
; COMPUTE_PGM_RSRC2:TGID_Z_EN: 0
; COMPUTE_PGM_RSRC2:TIDIG_COMP_CNT: 0
; COMPUTE_PGM_RSRC3_GFX90A:ACCUM_OFFSET: 2
; COMPUTE_PGM_RSRC3_GFX90A:TG_SPLIT: 0
	.section	.text._ZN7rocprim17ROCPRIM_400000_NS6detail17trampoline_kernelINS0_14default_configENS1_38merge_sort_block_merge_config_selectorIisEEZZNS1_27merge_sort_block_merge_implIS3_N6thrust23THRUST_200600_302600_NS10device_ptrIiEENS9_IsEEjNS1_19radix_merge_compareILb0ELb0EiNS0_19identity_decomposerEEEEE10hipError_tT0_T1_T2_jT3_P12ihipStream_tbPNSt15iterator_traitsISG_E10value_typeEPNSM_ISH_E10value_typeEPSI_NS1_7vsmem_tEENKUlT_SG_SH_SI_E_clISA_PiSB_PsEESF_SV_SG_SH_SI_EUlSV_E1_NS1_11comp_targetILNS1_3genE10ELNS1_11target_archE1201ELNS1_3gpuE5ELNS1_3repE0EEENS1_36merge_oddeven_config_static_selectorELNS0_4arch9wavefront6targetE1EEEvSH_,"axG",@progbits,_ZN7rocprim17ROCPRIM_400000_NS6detail17trampoline_kernelINS0_14default_configENS1_38merge_sort_block_merge_config_selectorIisEEZZNS1_27merge_sort_block_merge_implIS3_N6thrust23THRUST_200600_302600_NS10device_ptrIiEENS9_IsEEjNS1_19radix_merge_compareILb0ELb0EiNS0_19identity_decomposerEEEEE10hipError_tT0_T1_T2_jT3_P12ihipStream_tbPNSt15iterator_traitsISG_E10value_typeEPNSM_ISH_E10value_typeEPSI_NS1_7vsmem_tEENKUlT_SG_SH_SI_E_clISA_PiSB_PsEESF_SV_SG_SH_SI_EUlSV_E1_NS1_11comp_targetILNS1_3genE10ELNS1_11target_archE1201ELNS1_3gpuE5ELNS1_3repE0EEENS1_36merge_oddeven_config_static_selectorELNS0_4arch9wavefront6targetE1EEEvSH_,comdat
	.protected	_ZN7rocprim17ROCPRIM_400000_NS6detail17trampoline_kernelINS0_14default_configENS1_38merge_sort_block_merge_config_selectorIisEEZZNS1_27merge_sort_block_merge_implIS3_N6thrust23THRUST_200600_302600_NS10device_ptrIiEENS9_IsEEjNS1_19radix_merge_compareILb0ELb0EiNS0_19identity_decomposerEEEEE10hipError_tT0_T1_T2_jT3_P12ihipStream_tbPNSt15iterator_traitsISG_E10value_typeEPNSM_ISH_E10value_typeEPSI_NS1_7vsmem_tEENKUlT_SG_SH_SI_E_clISA_PiSB_PsEESF_SV_SG_SH_SI_EUlSV_E1_NS1_11comp_targetILNS1_3genE10ELNS1_11target_archE1201ELNS1_3gpuE5ELNS1_3repE0EEENS1_36merge_oddeven_config_static_selectorELNS0_4arch9wavefront6targetE1EEEvSH_ ; -- Begin function _ZN7rocprim17ROCPRIM_400000_NS6detail17trampoline_kernelINS0_14default_configENS1_38merge_sort_block_merge_config_selectorIisEEZZNS1_27merge_sort_block_merge_implIS3_N6thrust23THRUST_200600_302600_NS10device_ptrIiEENS9_IsEEjNS1_19radix_merge_compareILb0ELb0EiNS0_19identity_decomposerEEEEE10hipError_tT0_T1_T2_jT3_P12ihipStream_tbPNSt15iterator_traitsISG_E10value_typeEPNSM_ISH_E10value_typeEPSI_NS1_7vsmem_tEENKUlT_SG_SH_SI_E_clISA_PiSB_PsEESF_SV_SG_SH_SI_EUlSV_E1_NS1_11comp_targetILNS1_3genE10ELNS1_11target_archE1201ELNS1_3gpuE5ELNS1_3repE0EEENS1_36merge_oddeven_config_static_selectorELNS0_4arch9wavefront6targetE1EEEvSH_
	.globl	_ZN7rocprim17ROCPRIM_400000_NS6detail17trampoline_kernelINS0_14default_configENS1_38merge_sort_block_merge_config_selectorIisEEZZNS1_27merge_sort_block_merge_implIS3_N6thrust23THRUST_200600_302600_NS10device_ptrIiEENS9_IsEEjNS1_19radix_merge_compareILb0ELb0EiNS0_19identity_decomposerEEEEE10hipError_tT0_T1_T2_jT3_P12ihipStream_tbPNSt15iterator_traitsISG_E10value_typeEPNSM_ISH_E10value_typeEPSI_NS1_7vsmem_tEENKUlT_SG_SH_SI_E_clISA_PiSB_PsEESF_SV_SG_SH_SI_EUlSV_E1_NS1_11comp_targetILNS1_3genE10ELNS1_11target_archE1201ELNS1_3gpuE5ELNS1_3repE0EEENS1_36merge_oddeven_config_static_selectorELNS0_4arch9wavefront6targetE1EEEvSH_
	.p2align	8
	.type	_ZN7rocprim17ROCPRIM_400000_NS6detail17trampoline_kernelINS0_14default_configENS1_38merge_sort_block_merge_config_selectorIisEEZZNS1_27merge_sort_block_merge_implIS3_N6thrust23THRUST_200600_302600_NS10device_ptrIiEENS9_IsEEjNS1_19radix_merge_compareILb0ELb0EiNS0_19identity_decomposerEEEEE10hipError_tT0_T1_T2_jT3_P12ihipStream_tbPNSt15iterator_traitsISG_E10value_typeEPNSM_ISH_E10value_typeEPSI_NS1_7vsmem_tEENKUlT_SG_SH_SI_E_clISA_PiSB_PsEESF_SV_SG_SH_SI_EUlSV_E1_NS1_11comp_targetILNS1_3genE10ELNS1_11target_archE1201ELNS1_3gpuE5ELNS1_3repE0EEENS1_36merge_oddeven_config_static_selectorELNS0_4arch9wavefront6targetE1EEEvSH_,@function
_ZN7rocprim17ROCPRIM_400000_NS6detail17trampoline_kernelINS0_14default_configENS1_38merge_sort_block_merge_config_selectorIisEEZZNS1_27merge_sort_block_merge_implIS3_N6thrust23THRUST_200600_302600_NS10device_ptrIiEENS9_IsEEjNS1_19radix_merge_compareILb0ELb0EiNS0_19identity_decomposerEEEEE10hipError_tT0_T1_T2_jT3_P12ihipStream_tbPNSt15iterator_traitsISG_E10value_typeEPNSM_ISH_E10value_typeEPSI_NS1_7vsmem_tEENKUlT_SG_SH_SI_E_clISA_PiSB_PsEESF_SV_SG_SH_SI_EUlSV_E1_NS1_11comp_targetILNS1_3genE10ELNS1_11target_archE1201ELNS1_3gpuE5ELNS1_3repE0EEENS1_36merge_oddeven_config_static_selectorELNS0_4arch9wavefront6targetE1EEEvSH_: ; @_ZN7rocprim17ROCPRIM_400000_NS6detail17trampoline_kernelINS0_14default_configENS1_38merge_sort_block_merge_config_selectorIisEEZZNS1_27merge_sort_block_merge_implIS3_N6thrust23THRUST_200600_302600_NS10device_ptrIiEENS9_IsEEjNS1_19radix_merge_compareILb0ELb0EiNS0_19identity_decomposerEEEEE10hipError_tT0_T1_T2_jT3_P12ihipStream_tbPNSt15iterator_traitsISG_E10value_typeEPNSM_ISH_E10value_typeEPSI_NS1_7vsmem_tEENKUlT_SG_SH_SI_E_clISA_PiSB_PsEESF_SV_SG_SH_SI_EUlSV_E1_NS1_11comp_targetILNS1_3genE10ELNS1_11target_archE1201ELNS1_3gpuE5ELNS1_3repE0EEENS1_36merge_oddeven_config_static_selectorELNS0_4arch9wavefront6targetE1EEEvSH_
; %bb.0:
	.section	.rodata,"a",@progbits
	.p2align	6, 0x0
	.amdhsa_kernel _ZN7rocprim17ROCPRIM_400000_NS6detail17trampoline_kernelINS0_14default_configENS1_38merge_sort_block_merge_config_selectorIisEEZZNS1_27merge_sort_block_merge_implIS3_N6thrust23THRUST_200600_302600_NS10device_ptrIiEENS9_IsEEjNS1_19radix_merge_compareILb0ELb0EiNS0_19identity_decomposerEEEEE10hipError_tT0_T1_T2_jT3_P12ihipStream_tbPNSt15iterator_traitsISG_E10value_typeEPNSM_ISH_E10value_typeEPSI_NS1_7vsmem_tEENKUlT_SG_SH_SI_E_clISA_PiSB_PsEESF_SV_SG_SH_SI_EUlSV_E1_NS1_11comp_targetILNS1_3genE10ELNS1_11target_archE1201ELNS1_3gpuE5ELNS1_3repE0EEENS1_36merge_oddeven_config_static_selectorELNS0_4arch9wavefront6targetE1EEEvSH_
		.amdhsa_group_segment_fixed_size 0
		.amdhsa_private_segment_fixed_size 0
		.amdhsa_kernarg_size 48
		.amdhsa_user_sgpr_count 2
		.amdhsa_user_sgpr_dispatch_ptr 0
		.amdhsa_user_sgpr_queue_ptr 0
		.amdhsa_user_sgpr_kernarg_segment_ptr 1
		.amdhsa_user_sgpr_dispatch_id 0
		.amdhsa_user_sgpr_kernarg_preload_length 0
		.amdhsa_user_sgpr_kernarg_preload_offset 0
		.amdhsa_user_sgpr_private_segment_size 0
		.amdhsa_uses_dynamic_stack 0
		.amdhsa_enable_private_segment 0
		.amdhsa_system_sgpr_workgroup_id_x 1
		.amdhsa_system_sgpr_workgroup_id_y 0
		.amdhsa_system_sgpr_workgroup_id_z 0
		.amdhsa_system_sgpr_workgroup_info 0
		.amdhsa_system_vgpr_workitem_id 0
		.amdhsa_next_free_vgpr 1
		.amdhsa_next_free_sgpr 0
		.amdhsa_accum_offset 4
		.amdhsa_reserve_vcc 0
		.amdhsa_float_round_mode_32 0
		.amdhsa_float_round_mode_16_64 0
		.amdhsa_float_denorm_mode_32 3
		.amdhsa_float_denorm_mode_16_64 3
		.amdhsa_dx10_clamp 1
		.amdhsa_ieee_mode 1
		.amdhsa_fp16_overflow 0
		.amdhsa_tg_split 0
		.amdhsa_exception_fp_ieee_invalid_op 0
		.amdhsa_exception_fp_denorm_src 0
		.amdhsa_exception_fp_ieee_div_zero 0
		.amdhsa_exception_fp_ieee_overflow 0
		.amdhsa_exception_fp_ieee_underflow 0
		.amdhsa_exception_fp_ieee_inexact 0
		.amdhsa_exception_int_div_zero 0
	.end_amdhsa_kernel
	.section	.text._ZN7rocprim17ROCPRIM_400000_NS6detail17trampoline_kernelINS0_14default_configENS1_38merge_sort_block_merge_config_selectorIisEEZZNS1_27merge_sort_block_merge_implIS3_N6thrust23THRUST_200600_302600_NS10device_ptrIiEENS9_IsEEjNS1_19radix_merge_compareILb0ELb0EiNS0_19identity_decomposerEEEEE10hipError_tT0_T1_T2_jT3_P12ihipStream_tbPNSt15iterator_traitsISG_E10value_typeEPNSM_ISH_E10value_typeEPSI_NS1_7vsmem_tEENKUlT_SG_SH_SI_E_clISA_PiSB_PsEESF_SV_SG_SH_SI_EUlSV_E1_NS1_11comp_targetILNS1_3genE10ELNS1_11target_archE1201ELNS1_3gpuE5ELNS1_3repE0EEENS1_36merge_oddeven_config_static_selectorELNS0_4arch9wavefront6targetE1EEEvSH_,"axG",@progbits,_ZN7rocprim17ROCPRIM_400000_NS6detail17trampoline_kernelINS0_14default_configENS1_38merge_sort_block_merge_config_selectorIisEEZZNS1_27merge_sort_block_merge_implIS3_N6thrust23THRUST_200600_302600_NS10device_ptrIiEENS9_IsEEjNS1_19radix_merge_compareILb0ELb0EiNS0_19identity_decomposerEEEEE10hipError_tT0_T1_T2_jT3_P12ihipStream_tbPNSt15iterator_traitsISG_E10value_typeEPNSM_ISH_E10value_typeEPSI_NS1_7vsmem_tEENKUlT_SG_SH_SI_E_clISA_PiSB_PsEESF_SV_SG_SH_SI_EUlSV_E1_NS1_11comp_targetILNS1_3genE10ELNS1_11target_archE1201ELNS1_3gpuE5ELNS1_3repE0EEENS1_36merge_oddeven_config_static_selectorELNS0_4arch9wavefront6targetE1EEEvSH_,comdat
.Lfunc_end2331:
	.size	_ZN7rocprim17ROCPRIM_400000_NS6detail17trampoline_kernelINS0_14default_configENS1_38merge_sort_block_merge_config_selectorIisEEZZNS1_27merge_sort_block_merge_implIS3_N6thrust23THRUST_200600_302600_NS10device_ptrIiEENS9_IsEEjNS1_19radix_merge_compareILb0ELb0EiNS0_19identity_decomposerEEEEE10hipError_tT0_T1_T2_jT3_P12ihipStream_tbPNSt15iterator_traitsISG_E10value_typeEPNSM_ISH_E10value_typeEPSI_NS1_7vsmem_tEENKUlT_SG_SH_SI_E_clISA_PiSB_PsEESF_SV_SG_SH_SI_EUlSV_E1_NS1_11comp_targetILNS1_3genE10ELNS1_11target_archE1201ELNS1_3gpuE5ELNS1_3repE0EEENS1_36merge_oddeven_config_static_selectorELNS0_4arch9wavefront6targetE1EEEvSH_, .Lfunc_end2331-_ZN7rocprim17ROCPRIM_400000_NS6detail17trampoline_kernelINS0_14default_configENS1_38merge_sort_block_merge_config_selectorIisEEZZNS1_27merge_sort_block_merge_implIS3_N6thrust23THRUST_200600_302600_NS10device_ptrIiEENS9_IsEEjNS1_19radix_merge_compareILb0ELb0EiNS0_19identity_decomposerEEEEE10hipError_tT0_T1_T2_jT3_P12ihipStream_tbPNSt15iterator_traitsISG_E10value_typeEPNSM_ISH_E10value_typeEPSI_NS1_7vsmem_tEENKUlT_SG_SH_SI_E_clISA_PiSB_PsEESF_SV_SG_SH_SI_EUlSV_E1_NS1_11comp_targetILNS1_3genE10ELNS1_11target_archE1201ELNS1_3gpuE5ELNS1_3repE0EEENS1_36merge_oddeven_config_static_selectorELNS0_4arch9wavefront6targetE1EEEvSH_
                                        ; -- End function
	.set _ZN7rocprim17ROCPRIM_400000_NS6detail17trampoline_kernelINS0_14default_configENS1_38merge_sort_block_merge_config_selectorIisEEZZNS1_27merge_sort_block_merge_implIS3_N6thrust23THRUST_200600_302600_NS10device_ptrIiEENS9_IsEEjNS1_19radix_merge_compareILb0ELb0EiNS0_19identity_decomposerEEEEE10hipError_tT0_T1_T2_jT3_P12ihipStream_tbPNSt15iterator_traitsISG_E10value_typeEPNSM_ISH_E10value_typeEPSI_NS1_7vsmem_tEENKUlT_SG_SH_SI_E_clISA_PiSB_PsEESF_SV_SG_SH_SI_EUlSV_E1_NS1_11comp_targetILNS1_3genE10ELNS1_11target_archE1201ELNS1_3gpuE5ELNS1_3repE0EEENS1_36merge_oddeven_config_static_selectorELNS0_4arch9wavefront6targetE1EEEvSH_.num_vgpr, 0
	.set _ZN7rocprim17ROCPRIM_400000_NS6detail17trampoline_kernelINS0_14default_configENS1_38merge_sort_block_merge_config_selectorIisEEZZNS1_27merge_sort_block_merge_implIS3_N6thrust23THRUST_200600_302600_NS10device_ptrIiEENS9_IsEEjNS1_19radix_merge_compareILb0ELb0EiNS0_19identity_decomposerEEEEE10hipError_tT0_T1_T2_jT3_P12ihipStream_tbPNSt15iterator_traitsISG_E10value_typeEPNSM_ISH_E10value_typeEPSI_NS1_7vsmem_tEENKUlT_SG_SH_SI_E_clISA_PiSB_PsEESF_SV_SG_SH_SI_EUlSV_E1_NS1_11comp_targetILNS1_3genE10ELNS1_11target_archE1201ELNS1_3gpuE5ELNS1_3repE0EEENS1_36merge_oddeven_config_static_selectorELNS0_4arch9wavefront6targetE1EEEvSH_.num_agpr, 0
	.set _ZN7rocprim17ROCPRIM_400000_NS6detail17trampoline_kernelINS0_14default_configENS1_38merge_sort_block_merge_config_selectorIisEEZZNS1_27merge_sort_block_merge_implIS3_N6thrust23THRUST_200600_302600_NS10device_ptrIiEENS9_IsEEjNS1_19radix_merge_compareILb0ELb0EiNS0_19identity_decomposerEEEEE10hipError_tT0_T1_T2_jT3_P12ihipStream_tbPNSt15iterator_traitsISG_E10value_typeEPNSM_ISH_E10value_typeEPSI_NS1_7vsmem_tEENKUlT_SG_SH_SI_E_clISA_PiSB_PsEESF_SV_SG_SH_SI_EUlSV_E1_NS1_11comp_targetILNS1_3genE10ELNS1_11target_archE1201ELNS1_3gpuE5ELNS1_3repE0EEENS1_36merge_oddeven_config_static_selectorELNS0_4arch9wavefront6targetE1EEEvSH_.numbered_sgpr, 0
	.set _ZN7rocprim17ROCPRIM_400000_NS6detail17trampoline_kernelINS0_14default_configENS1_38merge_sort_block_merge_config_selectorIisEEZZNS1_27merge_sort_block_merge_implIS3_N6thrust23THRUST_200600_302600_NS10device_ptrIiEENS9_IsEEjNS1_19radix_merge_compareILb0ELb0EiNS0_19identity_decomposerEEEEE10hipError_tT0_T1_T2_jT3_P12ihipStream_tbPNSt15iterator_traitsISG_E10value_typeEPNSM_ISH_E10value_typeEPSI_NS1_7vsmem_tEENKUlT_SG_SH_SI_E_clISA_PiSB_PsEESF_SV_SG_SH_SI_EUlSV_E1_NS1_11comp_targetILNS1_3genE10ELNS1_11target_archE1201ELNS1_3gpuE5ELNS1_3repE0EEENS1_36merge_oddeven_config_static_selectorELNS0_4arch9wavefront6targetE1EEEvSH_.num_named_barrier, 0
	.set _ZN7rocprim17ROCPRIM_400000_NS6detail17trampoline_kernelINS0_14default_configENS1_38merge_sort_block_merge_config_selectorIisEEZZNS1_27merge_sort_block_merge_implIS3_N6thrust23THRUST_200600_302600_NS10device_ptrIiEENS9_IsEEjNS1_19radix_merge_compareILb0ELb0EiNS0_19identity_decomposerEEEEE10hipError_tT0_T1_T2_jT3_P12ihipStream_tbPNSt15iterator_traitsISG_E10value_typeEPNSM_ISH_E10value_typeEPSI_NS1_7vsmem_tEENKUlT_SG_SH_SI_E_clISA_PiSB_PsEESF_SV_SG_SH_SI_EUlSV_E1_NS1_11comp_targetILNS1_3genE10ELNS1_11target_archE1201ELNS1_3gpuE5ELNS1_3repE0EEENS1_36merge_oddeven_config_static_selectorELNS0_4arch9wavefront6targetE1EEEvSH_.private_seg_size, 0
	.set _ZN7rocprim17ROCPRIM_400000_NS6detail17trampoline_kernelINS0_14default_configENS1_38merge_sort_block_merge_config_selectorIisEEZZNS1_27merge_sort_block_merge_implIS3_N6thrust23THRUST_200600_302600_NS10device_ptrIiEENS9_IsEEjNS1_19radix_merge_compareILb0ELb0EiNS0_19identity_decomposerEEEEE10hipError_tT0_T1_T2_jT3_P12ihipStream_tbPNSt15iterator_traitsISG_E10value_typeEPNSM_ISH_E10value_typeEPSI_NS1_7vsmem_tEENKUlT_SG_SH_SI_E_clISA_PiSB_PsEESF_SV_SG_SH_SI_EUlSV_E1_NS1_11comp_targetILNS1_3genE10ELNS1_11target_archE1201ELNS1_3gpuE5ELNS1_3repE0EEENS1_36merge_oddeven_config_static_selectorELNS0_4arch9wavefront6targetE1EEEvSH_.uses_vcc, 0
	.set _ZN7rocprim17ROCPRIM_400000_NS6detail17trampoline_kernelINS0_14default_configENS1_38merge_sort_block_merge_config_selectorIisEEZZNS1_27merge_sort_block_merge_implIS3_N6thrust23THRUST_200600_302600_NS10device_ptrIiEENS9_IsEEjNS1_19radix_merge_compareILb0ELb0EiNS0_19identity_decomposerEEEEE10hipError_tT0_T1_T2_jT3_P12ihipStream_tbPNSt15iterator_traitsISG_E10value_typeEPNSM_ISH_E10value_typeEPSI_NS1_7vsmem_tEENKUlT_SG_SH_SI_E_clISA_PiSB_PsEESF_SV_SG_SH_SI_EUlSV_E1_NS1_11comp_targetILNS1_3genE10ELNS1_11target_archE1201ELNS1_3gpuE5ELNS1_3repE0EEENS1_36merge_oddeven_config_static_selectorELNS0_4arch9wavefront6targetE1EEEvSH_.uses_flat_scratch, 0
	.set _ZN7rocprim17ROCPRIM_400000_NS6detail17trampoline_kernelINS0_14default_configENS1_38merge_sort_block_merge_config_selectorIisEEZZNS1_27merge_sort_block_merge_implIS3_N6thrust23THRUST_200600_302600_NS10device_ptrIiEENS9_IsEEjNS1_19radix_merge_compareILb0ELb0EiNS0_19identity_decomposerEEEEE10hipError_tT0_T1_T2_jT3_P12ihipStream_tbPNSt15iterator_traitsISG_E10value_typeEPNSM_ISH_E10value_typeEPSI_NS1_7vsmem_tEENKUlT_SG_SH_SI_E_clISA_PiSB_PsEESF_SV_SG_SH_SI_EUlSV_E1_NS1_11comp_targetILNS1_3genE10ELNS1_11target_archE1201ELNS1_3gpuE5ELNS1_3repE0EEENS1_36merge_oddeven_config_static_selectorELNS0_4arch9wavefront6targetE1EEEvSH_.has_dyn_sized_stack, 0
	.set _ZN7rocprim17ROCPRIM_400000_NS6detail17trampoline_kernelINS0_14default_configENS1_38merge_sort_block_merge_config_selectorIisEEZZNS1_27merge_sort_block_merge_implIS3_N6thrust23THRUST_200600_302600_NS10device_ptrIiEENS9_IsEEjNS1_19radix_merge_compareILb0ELb0EiNS0_19identity_decomposerEEEEE10hipError_tT0_T1_T2_jT3_P12ihipStream_tbPNSt15iterator_traitsISG_E10value_typeEPNSM_ISH_E10value_typeEPSI_NS1_7vsmem_tEENKUlT_SG_SH_SI_E_clISA_PiSB_PsEESF_SV_SG_SH_SI_EUlSV_E1_NS1_11comp_targetILNS1_3genE10ELNS1_11target_archE1201ELNS1_3gpuE5ELNS1_3repE0EEENS1_36merge_oddeven_config_static_selectorELNS0_4arch9wavefront6targetE1EEEvSH_.has_recursion, 0
	.set _ZN7rocprim17ROCPRIM_400000_NS6detail17trampoline_kernelINS0_14default_configENS1_38merge_sort_block_merge_config_selectorIisEEZZNS1_27merge_sort_block_merge_implIS3_N6thrust23THRUST_200600_302600_NS10device_ptrIiEENS9_IsEEjNS1_19radix_merge_compareILb0ELb0EiNS0_19identity_decomposerEEEEE10hipError_tT0_T1_T2_jT3_P12ihipStream_tbPNSt15iterator_traitsISG_E10value_typeEPNSM_ISH_E10value_typeEPSI_NS1_7vsmem_tEENKUlT_SG_SH_SI_E_clISA_PiSB_PsEESF_SV_SG_SH_SI_EUlSV_E1_NS1_11comp_targetILNS1_3genE10ELNS1_11target_archE1201ELNS1_3gpuE5ELNS1_3repE0EEENS1_36merge_oddeven_config_static_selectorELNS0_4arch9wavefront6targetE1EEEvSH_.has_indirect_call, 0
	.section	.AMDGPU.csdata,"",@progbits
; Kernel info:
; codeLenInByte = 0
; TotalNumSgprs: 6
; NumVgprs: 0
; NumAgprs: 0
; TotalNumVgprs: 0
; ScratchSize: 0
; MemoryBound: 0
; FloatMode: 240
; IeeeMode: 1
; LDSByteSize: 0 bytes/workgroup (compile time only)
; SGPRBlocks: 0
; VGPRBlocks: 0
; NumSGPRsForWavesPerEU: 6
; NumVGPRsForWavesPerEU: 1
; AccumOffset: 4
; Occupancy: 8
; WaveLimiterHint : 0
; COMPUTE_PGM_RSRC2:SCRATCH_EN: 0
; COMPUTE_PGM_RSRC2:USER_SGPR: 2
; COMPUTE_PGM_RSRC2:TRAP_HANDLER: 0
; COMPUTE_PGM_RSRC2:TGID_X_EN: 1
; COMPUTE_PGM_RSRC2:TGID_Y_EN: 0
; COMPUTE_PGM_RSRC2:TGID_Z_EN: 0
; COMPUTE_PGM_RSRC2:TIDIG_COMP_CNT: 0
; COMPUTE_PGM_RSRC3_GFX90A:ACCUM_OFFSET: 0
; COMPUTE_PGM_RSRC3_GFX90A:TG_SPLIT: 0
	.section	.text._ZN7rocprim17ROCPRIM_400000_NS6detail17trampoline_kernelINS0_14default_configENS1_38merge_sort_block_merge_config_selectorIisEEZZNS1_27merge_sort_block_merge_implIS3_N6thrust23THRUST_200600_302600_NS10device_ptrIiEENS9_IsEEjNS1_19radix_merge_compareILb0ELb0EiNS0_19identity_decomposerEEEEE10hipError_tT0_T1_T2_jT3_P12ihipStream_tbPNSt15iterator_traitsISG_E10value_typeEPNSM_ISH_E10value_typeEPSI_NS1_7vsmem_tEENKUlT_SG_SH_SI_E_clISA_PiSB_PsEESF_SV_SG_SH_SI_EUlSV_E1_NS1_11comp_targetILNS1_3genE5ELNS1_11target_archE942ELNS1_3gpuE9ELNS1_3repE0EEENS1_36merge_oddeven_config_static_selectorELNS0_4arch9wavefront6targetE1EEEvSH_,"axG",@progbits,_ZN7rocprim17ROCPRIM_400000_NS6detail17trampoline_kernelINS0_14default_configENS1_38merge_sort_block_merge_config_selectorIisEEZZNS1_27merge_sort_block_merge_implIS3_N6thrust23THRUST_200600_302600_NS10device_ptrIiEENS9_IsEEjNS1_19radix_merge_compareILb0ELb0EiNS0_19identity_decomposerEEEEE10hipError_tT0_T1_T2_jT3_P12ihipStream_tbPNSt15iterator_traitsISG_E10value_typeEPNSM_ISH_E10value_typeEPSI_NS1_7vsmem_tEENKUlT_SG_SH_SI_E_clISA_PiSB_PsEESF_SV_SG_SH_SI_EUlSV_E1_NS1_11comp_targetILNS1_3genE5ELNS1_11target_archE942ELNS1_3gpuE9ELNS1_3repE0EEENS1_36merge_oddeven_config_static_selectorELNS0_4arch9wavefront6targetE1EEEvSH_,comdat
	.protected	_ZN7rocprim17ROCPRIM_400000_NS6detail17trampoline_kernelINS0_14default_configENS1_38merge_sort_block_merge_config_selectorIisEEZZNS1_27merge_sort_block_merge_implIS3_N6thrust23THRUST_200600_302600_NS10device_ptrIiEENS9_IsEEjNS1_19radix_merge_compareILb0ELb0EiNS0_19identity_decomposerEEEEE10hipError_tT0_T1_T2_jT3_P12ihipStream_tbPNSt15iterator_traitsISG_E10value_typeEPNSM_ISH_E10value_typeEPSI_NS1_7vsmem_tEENKUlT_SG_SH_SI_E_clISA_PiSB_PsEESF_SV_SG_SH_SI_EUlSV_E1_NS1_11comp_targetILNS1_3genE5ELNS1_11target_archE942ELNS1_3gpuE9ELNS1_3repE0EEENS1_36merge_oddeven_config_static_selectorELNS0_4arch9wavefront6targetE1EEEvSH_ ; -- Begin function _ZN7rocprim17ROCPRIM_400000_NS6detail17trampoline_kernelINS0_14default_configENS1_38merge_sort_block_merge_config_selectorIisEEZZNS1_27merge_sort_block_merge_implIS3_N6thrust23THRUST_200600_302600_NS10device_ptrIiEENS9_IsEEjNS1_19radix_merge_compareILb0ELb0EiNS0_19identity_decomposerEEEEE10hipError_tT0_T1_T2_jT3_P12ihipStream_tbPNSt15iterator_traitsISG_E10value_typeEPNSM_ISH_E10value_typeEPSI_NS1_7vsmem_tEENKUlT_SG_SH_SI_E_clISA_PiSB_PsEESF_SV_SG_SH_SI_EUlSV_E1_NS1_11comp_targetILNS1_3genE5ELNS1_11target_archE942ELNS1_3gpuE9ELNS1_3repE0EEENS1_36merge_oddeven_config_static_selectorELNS0_4arch9wavefront6targetE1EEEvSH_
	.globl	_ZN7rocprim17ROCPRIM_400000_NS6detail17trampoline_kernelINS0_14default_configENS1_38merge_sort_block_merge_config_selectorIisEEZZNS1_27merge_sort_block_merge_implIS3_N6thrust23THRUST_200600_302600_NS10device_ptrIiEENS9_IsEEjNS1_19radix_merge_compareILb0ELb0EiNS0_19identity_decomposerEEEEE10hipError_tT0_T1_T2_jT3_P12ihipStream_tbPNSt15iterator_traitsISG_E10value_typeEPNSM_ISH_E10value_typeEPSI_NS1_7vsmem_tEENKUlT_SG_SH_SI_E_clISA_PiSB_PsEESF_SV_SG_SH_SI_EUlSV_E1_NS1_11comp_targetILNS1_3genE5ELNS1_11target_archE942ELNS1_3gpuE9ELNS1_3repE0EEENS1_36merge_oddeven_config_static_selectorELNS0_4arch9wavefront6targetE1EEEvSH_
	.p2align	8
	.type	_ZN7rocprim17ROCPRIM_400000_NS6detail17trampoline_kernelINS0_14default_configENS1_38merge_sort_block_merge_config_selectorIisEEZZNS1_27merge_sort_block_merge_implIS3_N6thrust23THRUST_200600_302600_NS10device_ptrIiEENS9_IsEEjNS1_19radix_merge_compareILb0ELb0EiNS0_19identity_decomposerEEEEE10hipError_tT0_T1_T2_jT3_P12ihipStream_tbPNSt15iterator_traitsISG_E10value_typeEPNSM_ISH_E10value_typeEPSI_NS1_7vsmem_tEENKUlT_SG_SH_SI_E_clISA_PiSB_PsEESF_SV_SG_SH_SI_EUlSV_E1_NS1_11comp_targetILNS1_3genE5ELNS1_11target_archE942ELNS1_3gpuE9ELNS1_3repE0EEENS1_36merge_oddeven_config_static_selectorELNS0_4arch9wavefront6targetE1EEEvSH_,@function
_ZN7rocprim17ROCPRIM_400000_NS6detail17trampoline_kernelINS0_14default_configENS1_38merge_sort_block_merge_config_selectorIisEEZZNS1_27merge_sort_block_merge_implIS3_N6thrust23THRUST_200600_302600_NS10device_ptrIiEENS9_IsEEjNS1_19radix_merge_compareILb0ELb0EiNS0_19identity_decomposerEEEEE10hipError_tT0_T1_T2_jT3_P12ihipStream_tbPNSt15iterator_traitsISG_E10value_typeEPNSM_ISH_E10value_typeEPSI_NS1_7vsmem_tEENKUlT_SG_SH_SI_E_clISA_PiSB_PsEESF_SV_SG_SH_SI_EUlSV_E1_NS1_11comp_targetILNS1_3genE5ELNS1_11target_archE942ELNS1_3gpuE9ELNS1_3repE0EEENS1_36merge_oddeven_config_static_selectorELNS0_4arch9wavefront6targetE1EEEvSH_: ; @_ZN7rocprim17ROCPRIM_400000_NS6detail17trampoline_kernelINS0_14default_configENS1_38merge_sort_block_merge_config_selectorIisEEZZNS1_27merge_sort_block_merge_implIS3_N6thrust23THRUST_200600_302600_NS10device_ptrIiEENS9_IsEEjNS1_19radix_merge_compareILb0ELb0EiNS0_19identity_decomposerEEEEE10hipError_tT0_T1_T2_jT3_P12ihipStream_tbPNSt15iterator_traitsISG_E10value_typeEPNSM_ISH_E10value_typeEPSI_NS1_7vsmem_tEENKUlT_SG_SH_SI_E_clISA_PiSB_PsEESF_SV_SG_SH_SI_EUlSV_E1_NS1_11comp_targetILNS1_3genE5ELNS1_11target_archE942ELNS1_3gpuE9ELNS1_3repE0EEENS1_36merge_oddeven_config_static_selectorELNS0_4arch9wavefront6targetE1EEEvSH_
; %bb.0:
	.section	.rodata,"a",@progbits
	.p2align	6, 0x0
	.amdhsa_kernel _ZN7rocprim17ROCPRIM_400000_NS6detail17trampoline_kernelINS0_14default_configENS1_38merge_sort_block_merge_config_selectorIisEEZZNS1_27merge_sort_block_merge_implIS3_N6thrust23THRUST_200600_302600_NS10device_ptrIiEENS9_IsEEjNS1_19radix_merge_compareILb0ELb0EiNS0_19identity_decomposerEEEEE10hipError_tT0_T1_T2_jT3_P12ihipStream_tbPNSt15iterator_traitsISG_E10value_typeEPNSM_ISH_E10value_typeEPSI_NS1_7vsmem_tEENKUlT_SG_SH_SI_E_clISA_PiSB_PsEESF_SV_SG_SH_SI_EUlSV_E1_NS1_11comp_targetILNS1_3genE5ELNS1_11target_archE942ELNS1_3gpuE9ELNS1_3repE0EEENS1_36merge_oddeven_config_static_selectorELNS0_4arch9wavefront6targetE1EEEvSH_
		.amdhsa_group_segment_fixed_size 0
		.amdhsa_private_segment_fixed_size 0
		.amdhsa_kernarg_size 48
		.amdhsa_user_sgpr_count 2
		.amdhsa_user_sgpr_dispatch_ptr 0
		.amdhsa_user_sgpr_queue_ptr 0
		.amdhsa_user_sgpr_kernarg_segment_ptr 1
		.amdhsa_user_sgpr_dispatch_id 0
		.amdhsa_user_sgpr_kernarg_preload_length 0
		.amdhsa_user_sgpr_kernarg_preload_offset 0
		.amdhsa_user_sgpr_private_segment_size 0
		.amdhsa_uses_dynamic_stack 0
		.amdhsa_enable_private_segment 0
		.amdhsa_system_sgpr_workgroup_id_x 1
		.amdhsa_system_sgpr_workgroup_id_y 0
		.amdhsa_system_sgpr_workgroup_id_z 0
		.amdhsa_system_sgpr_workgroup_info 0
		.amdhsa_system_vgpr_workitem_id 0
		.amdhsa_next_free_vgpr 1
		.amdhsa_next_free_sgpr 0
		.amdhsa_accum_offset 4
		.amdhsa_reserve_vcc 0
		.amdhsa_float_round_mode_32 0
		.amdhsa_float_round_mode_16_64 0
		.amdhsa_float_denorm_mode_32 3
		.amdhsa_float_denorm_mode_16_64 3
		.amdhsa_dx10_clamp 1
		.amdhsa_ieee_mode 1
		.amdhsa_fp16_overflow 0
		.amdhsa_tg_split 0
		.amdhsa_exception_fp_ieee_invalid_op 0
		.amdhsa_exception_fp_denorm_src 0
		.amdhsa_exception_fp_ieee_div_zero 0
		.amdhsa_exception_fp_ieee_overflow 0
		.amdhsa_exception_fp_ieee_underflow 0
		.amdhsa_exception_fp_ieee_inexact 0
		.amdhsa_exception_int_div_zero 0
	.end_amdhsa_kernel
	.section	.text._ZN7rocprim17ROCPRIM_400000_NS6detail17trampoline_kernelINS0_14default_configENS1_38merge_sort_block_merge_config_selectorIisEEZZNS1_27merge_sort_block_merge_implIS3_N6thrust23THRUST_200600_302600_NS10device_ptrIiEENS9_IsEEjNS1_19radix_merge_compareILb0ELb0EiNS0_19identity_decomposerEEEEE10hipError_tT0_T1_T2_jT3_P12ihipStream_tbPNSt15iterator_traitsISG_E10value_typeEPNSM_ISH_E10value_typeEPSI_NS1_7vsmem_tEENKUlT_SG_SH_SI_E_clISA_PiSB_PsEESF_SV_SG_SH_SI_EUlSV_E1_NS1_11comp_targetILNS1_3genE5ELNS1_11target_archE942ELNS1_3gpuE9ELNS1_3repE0EEENS1_36merge_oddeven_config_static_selectorELNS0_4arch9wavefront6targetE1EEEvSH_,"axG",@progbits,_ZN7rocprim17ROCPRIM_400000_NS6detail17trampoline_kernelINS0_14default_configENS1_38merge_sort_block_merge_config_selectorIisEEZZNS1_27merge_sort_block_merge_implIS3_N6thrust23THRUST_200600_302600_NS10device_ptrIiEENS9_IsEEjNS1_19radix_merge_compareILb0ELb0EiNS0_19identity_decomposerEEEEE10hipError_tT0_T1_T2_jT3_P12ihipStream_tbPNSt15iterator_traitsISG_E10value_typeEPNSM_ISH_E10value_typeEPSI_NS1_7vsmem_tEENKUlT_SG_SH_SI_E_clISA_PiSB_PsEESF_SV_SG_SH_SI_EUlSV_E1_NS1_11comp_targetILNS1_3genE5ELNS1_11target_archE942ELNS1_3gpuE9ELNS1_3repE0EEENS1_36merge_oddeven_config_static_selectorELNS0_4arch9wavefront6targetE1EEEvSH_,comdat
.Lfunc_end2332:
	.size	_ZN7rocprim17ROCPRIM_400000_NS6detail17trampoline_kernelINS0_14default_configENS1_38merge_sort_block_merge_config_selectorIisEEZZNS1_27merge_sort_block_merge_implIS3_N6thrust23THRUST_200600_302600_NS10device_ptrIiEENS9_IsEEjNS1_19radix_merge_compareILb0ELb0EiNS0_19identity_decomposerEEEEE10hipError_tT0_T1_T2_jT3_P12ihipStream_tbPNSt15iterator_traitsISG_E10value_typeEPNSM_ISH_E10value_typeEPSI_NS1_7vsmem_tEENKUlT_SG_SH_SI_E_clISA_PiSB_PsEESF_SV_SG_SH_SI_EUlSV_E1_NS1_11comp_targetILNS1_3genE5ELNS1_11target_archE942ELNS1_3gpuE9ELNS1_3repE0EEENS1_36merge_oddeven_config_static_selectorELNS0_4arch9wavefront6targetE1EEEvSH_, .Lfunc_end2332-_ZN7rocprim17ROCPRIM_400000_NS6detail17trampoline_kernelINS0_14default_configENS1_38merge_sort_block_merge_config_selectorIisEEZZNS1_27merge_sort_block_merge_implIS3_N6thrust23THRUST_200600_302600_NS10device_ptrIiEENS9_IsEEjNS1_19radix_merge_compareILb0ELb0EiNS0_19identity_decomposerEEEEE10hipError_tT0_T1_T2_jT3_P12ihipStream_tbPNSt15iterator_traitsISG_E10value_typeEPNSM_ISH_E10value_typeEPSI_NS1_7vsmem_tEENKUlT_SG_SH_SI_E_clISA_PiSB_PsEESF_SV_SG_SH_SI_EUlSV_E1_NS1_11comp_targetILNS1_3genE5ELNS1_11target_archE942ELNS1_3gpuE9ELNS1_3repE0EEENS1_36merge_oddeven_config_static_selectorELNS0_4arch9wavefront6targetE1EEEvSH_
                                        ; -- End function
	.set _ZN7rocprim17ROCPRIM_400000_NS6detail17trampoline_kernelINS0_14default_configENS1_38merge_sort_block_merge_config_selectorIisEEZZNS1_27merge_sort_block_merge_implIS3_N6thrust23THRUST_200600_302600_NS10device_ptrIiEENS9_IsEEjNS1_19radix_merge_compareILb0ELb0EiNS0_19identity_decomposerEEEEE10hipError_tT0_T1_T2_jT3_P12ihipStream_tbPNSt15iterator_traitsISG_E10value_typeEPNSM_ISH_E10value_typeEPSI_NS1_7vsmem_tEENKUlT_SG_SH_SI_E_clISA_PiSB_PsEESF_SV_SG_SH_SI_EUlSV_E1_NS1_11comp_targetILNS1_3genE5ELNS1_11target_archE942ELNS1_3gpuE9ELNS1_3repE0EEENS1_36merge_oddeven_config_static_selectorELNS0_4arch9wavefront6targetE1EEEvSH_.num_vgpr, 0
	.set _ZN7rocprim17ROCPRIM_400000_NS6detail17trampoline_kernelINS0_14default_configENS1_38merge_sort_block_merge_config_selectorIisEEZZNS1_27merge_sort_block_merge_implIS3_N6thrust23THRUST_200600_302600_NS10device_ptrIiEENS9_IsEEjNS1_19radix_merge_compareILb0ELb0EiNS0_19identity_decomposerEEEEE10hipError_tT0_T1_T2_jT3_P12ihipStream_tbPNSt15iterator_traitsISG_E10value_typeEPNSM_ISH_E10value_typeEPSI_NS1_7vsmem_tEENKUlT_SG_SH_SI_E_clISA_PiSB_PsEESF_SV_SG_SH_SI_EUlSV_E1_NS1_11comp_targetILNS1_3genE5ELNS1_11target_archE942ELNS1_3gpuE9ELNS1_3repE0EEENS1_36merge_oddeven_config_static_selectorELNS0_4arch9wavefront6targetE1EEEvSH_.num_agpr, 0
	.set _ZN7rocprim17ROCPRIM_400000_NS6detail17trampoline_kernelINS0_14default_configENS1_38merge_sort_block_merge_config_selectorIisEEZZNS1_27merge_sort_block_merge_implIS3_N6thrust23THRUST_200600_302600_NS10device_ptrIiEENS9_IsEEjNS1_19radix_merge_compareILb0ELb0EiNS0_19identity_decomposerEEEEE10hipError_tT0_T1_T2_jT3_P12ihipStream_tbPNSt15iterator_traitsISG_E10value_typeEPNSM_ISH_E10value_typeEPSI_NS1_7vsmem_tEENKUlT_SG_SH_SI_E_clISA_PiSB_PsEESF_SV_SG_SH_SI_EUlSV_E1_NS1_11comp_targetILNS1_3genE5ELNS1_11target_archE942ELNS1_3gpuE9ELNS1_3repE0EEENS1_36merge_oddeven_config_static_selectorELNS0_4arch9wavefront6targetE1EEEvSH_.numbered_sgpr, 0
	.set _ZN7rocprim17ROCPRIM_400000_NS6detail17trampoline_kernelINS0_14default_configENS1_38merge_sort_block_merge_config_selectorIisEEZZNS1_27merge_sort_block_merge_implIS3_N6thrust23THRUST_200600_302600_NS10device_ptrIiEENS9_IsEEjNS1_19radix_merge_compareILb0ELb0EiNS0_19identity_decomposerEEEEE10hipError_tT0_T1_T2_jT3_P12ihipStream_tbPNSt15iterator_traitsISG_E10value_typeEPNSM_ISH_E10value_typeEPSI_NS1_7vsmem_tEENKUlT_SG_SH_SI_E_clISA_PiSB_PsEESF_SV_SG_SH_SI_EUlSV_E1_NS1_11comp_targetILNS1_3genE5ELNS1_11target_archE942ELNS1_3gpuE9ELNS1_3repE0EEENS1_36merge_oddeven_config_static_selectorELNS0_4arch9wavefront6targetE1EEEvSH_.num_named_barrier, 0
	.set _ZN7rocprim17ROCPRIM_400000_NS6detail17trampoline_kernelINS0_14default_configENS1_38merge_sort_block_merge_config_selectorIisEEZZNS1_27merge_sort_block_merge_implIS3_N6thrust23THRUST_200600_302600_NS10device_ptrIiEENS9_IsEEjNS1_19radix_merge_compareILb0ELb0EiNS0_19identity_decomposerEEEEE10hipError_tT0_T1_T2_jT3_P12ihipStream_tbPNSt15iterator_traitsISG_E10value_typeEPNSM_ISH_E10value_typeEPSI_NS1_7vsmem_tEENKUlT_SG_SH_SI_E_clISA_PiSB_PsEESF_SV_SG_SH_SI_EUlSV_E1_NS1_11comp_targetILNS1_3genE5ELNS1_11target_archE942ELNS1_3gpuE9ELNS1_3repE0EEENS1_36merge_oddeven_config_static_selectorELNS0_4arch9wavefront6targetE1EEEvSH_.private_seg_size, 0
	.set _ZN7rocprim17ROCPRIM_400000_NS6detail17trampoline_kernelINS0_14default_configENS1_38merge_sort_block_merge_config_selectorIisEEZZNS1_27merge_sort_block_merge_implIS3_N6thrust23THRUST_200600_302600_NS10device_ptrIiEENS9_IsEEjNS1_19radix_merge_compareILb0ELb0EiNS0_19identity_decomposerEEEEE10hipError_tT0_T1_T2_jT3_P12ihipStream_tbPNSt15iterator_traitsISG_E10value_typeEPNSM_ISH_E10value_typeEPSI_NS1_7vsmem_tEENKUlT_SG_SH_SI_E_clISA_PiSB_PsEESF_SV_SG_SH_SI_EUlSV_E1_NS1_11comp_targetILNS1_3genE5ELNS1_11target_archE942ELNS1_3gpuE9ELNS1_3repE0EEENS1_36merge_oddeven_config_static_selectorELNS0_4arch9wavefront6targetE1EEEvSH_.uses_vcc, 0
	.set _ZN7rocprim17ROCPRIM_400000_NS6detail17trampoline_kernelINS0_14default_configENS1_38merge_sort_block_merge_config_selectorIisEEZZNS1_27merge_sort_block_merge_implIS3_N6thrust23THRUST_200600_302600_NS10device_ptrIiEENS9_IsEEjNS1_19radix_merge_compareILb0ELb0EiNS0_19identity_decomposerEEEEE10hipError_tT0_T1_T2_jT3_P12ihipStream_tbPNSt15iterator_traitsISG_E10value_typeEPNSM_ISH_E10value_typeEPSI_NS1_7vsmem_tEENKUlT_SG_SH_SI_E_clISA_PiSB_PsEESF_SV_SG_SH_SI_EUlSV_E1_NS1_11comp_targetILNS1_3genE5ELNS1_11target_archE942ELNS1_3gpuE9ELNS1_3repE0EEENS1_36merge_oddeven_config_static_selectorELNS0_4arch9wavefront6targetE1EEEvSH_.uses_flat_scratch, 0
	.set _ZN7rocprim17ROCPRIM_400000_NS6detail17trampoline_kernelINS0_14default_configENS1_38merge_sort_block_merge_config_selectorIisEEZZNS1_27merge_sort_block_merge_implIS3_N6thrust23THRUST_200600_302600_NS10device_ptrIiEENS9_IsEEjNS1_19radix_merge_compareILb0ELb0EiNS0_19identity_decomposerEEEEE10hipError_tT0_T1_T2_jT3_P12ihipStream_tbPNSt15iterator_traitsISG_E10value_typeEPNSM_ISH_E10value_typeEPSI_NS1_7vsmem_tEENKUlT_SG_SH_SI_E_clISA_PiSB_PsEESF_SV_SG_SH_SI_EUlSV_E1_NS1_11comp_targetILNS1_3genE5ELNS1_11target_archE942ELNS1_3gpuE9ELNS1_3repE0EEENS1_36merge_oddeven_config_static_selectorELNS0_4arch9wavefront6targetE1EEEvSH_.has_dyn_sized_stack, 0
	.set _ZN7rocprim17ROCPRIM_400000_NS6detail17trampoline_kernelINS0_14default_configENS1_38merge_sort_block_merge_config_selectorIisEEZZNS1_27merge_sort_block_merge_implIS3_N6thrust23THRUST_200600_302600_NS10device_ptrIiEENS9_IsEEjNS1_19radix_merge_compareILb0ELb0EiNS0_19identity_decomposerEEEEE10hipError_tT0_T1_T2_jT3_P12ihipStream_tbPNSt15iterator_traitsISG_E10value_typeEPNSM_ISH_E10value_typeEPSI_NS1_7vsmem_tEENKUlT_SG_SH_SI_E_clISA_PiSB_PsEESF_SV_SG_SH_SI_EUlSV_E1_NS1_11comp_targetILNS1_3genE5ELNS1_11target_archE942ELNS1_3gpuE9ELNS1_3repE0EEENS1_36merge_oddeven_config_static_selectorELNS0_4arch9wavefront6targetE1EEEvSH_.has_recursion, 0
	.set _ZN7rocprim17ROCPRIM_400000_NS6detail17trampoline_kernelINS0_14default_configENS1_38merge_sort_block_merge_config_selectorIisEEZZNS1_27merge_sort_block_merge_implIS3_N6thrust23THRUST_200600_302600_NS10device_ptrIiEENS9_IsEEjNS1_19radix_merge_compareILb0ELb0EiNS0_19identity_decomposerEEEEE10hipError_tT0_T1_T2_jT3_P12ihipStream_tbPNSt15iterator_traitsISG_E10value_typeEPNSM_ISH_E10value_typeEPSI_NS1_7vsmem_tEENKUlT_SG_SH_SI_E_clISA_PiSB_PsEESF_SV_SG_SH_SI_EUlSV_E1_NS1_11comp_targetILNS1_3genE5ELNS1_11target_archE942ELNS1_3gpuE9ELNS1_3repE0EEENS1_36merge_oddeven_config_static_selectorELNS0_4arch9wavefront6targetE1EEEvSH_.has_indirect_call, 0
	.section	.AMDGPU.csdata,"",@progbits
; Kernel info:
; codeLenInByte = 0
; TotalNumSgprs: 6
; NumVgprs: 0
; NumAgprs: 0
; TotalNumVgprs: 0
; ScratchSize: 0
; MemoryBound: 0
; FloatMode: 240
; IeeeMode: 1
; LDSByteSize: 0 bytes/workgroup (compile time only)
; SGPRBlocks: 0
; VGPRBlocks: 0
; NumSGPRsForWavesPerEU: 6
; NumVGPRsForWavesPerEU: 1
; AccumOffset: 4
; Occupancy: 8
; WaveLimiterHint : 0
; COMPUTE_PGM_RSRC2:SCRATCH_EN: 0
; COMPUTE_PGM_RSRC2:USER_SGPR: 2
; COMPUTE_PGM_RSRC2:TRAP_HANDLER: 0
; COMPUTE_PGM_RSRC2:TGID_X_EN: 1
; COMPUTE_PGM_RSRC2:TGID_Y_EN: 0
; COMPUTE_PGM_RSRC2:TGID_Z_EN: 0
; COMPUTE_PGM_RSRC2:TIDIG_COMP_CNT: 0
; COMPUTE_PGM_RSRC3_GFX90A:ACCUM_OFFSET: 0
; COMPUTE_PGM_RSRC3_GFX90A:TG_SPLIT: 0
	.section	.text._ZN7rocprim17ROCPRIM_400000_NS6detail17trampoline_kernelINS0_14default_configENS1_38merge_sort_block_merge_config_selectorIisEEZZNS1_27merge_sort_block_merge_implIS3_N6thrust23THRUST_200600_302600_NS10device_ptrIiEENS9_IsEEjNS1_19radix_merge_compareILb0ELb0EiNS0_19identity_decomposerEEEEE10hipError_tT0_T1_T2_jT3_P12ihipStream_tbPNSt15iterator_traitsISG_E10value_typeEPNSM_ISH_E10value_typeEPSI_NS1_7vsmem_tEENKUlT_SG_SH_SI_E_clISA_PiSB_PsEESF_SV_SG_SH_SI_EUlSV_E1_NS1_11comp_targetILNS1_3genE4ELNS1_11target_archE910ELNS1_3gpuE8ELNS1_3repE0EEENS1_36merge_oddeven_config_static_selectorELNS0_4arch9wavefront6targetE1EEEvSH_,"axG",@progbits,_ZN7rocprim17ROCPRIM_400000_NS6detail17trampoline_kernelINS0_14default_configENS1_38merge_sort_block_merge_config_selectorIisEEZZNS1_27merge_sort_block_merge_implIS3_N6thrust23THRUST_200600_302600_NS10device_ptrIiEENS9_IsEEjNS1_19radix_merge_compareILb0ELb0EiNS0_19identity_decomposerEEEEE10hipError_tT0_T1_T2_jT3_P12ihipStream_tbPNSt15iterator_traitsISG_E10value_typeEPNSM_ISH_E10value_typeEPSI_NS1_7vsmem_tEENKUlT_SG_SH_SI_E_clISA_PiSB_PsEESF_SV_SG_SH_SI_EUlSV_E1_NS1_11comp_targetILNS1_3genE4ELNS1_11target_archE910ELNS1_3gpuE8ELNS1_3repE0EEENS1_36merge_oddeven_config_static_selectorELNS0_4arch9wavefront6targetE1EEEvSH_,comdat
	.protected	_ZN7rocprim17ROCPRIM_400000_NS6detail17trampoline_kernelINS0_14default_configENS1_38merge_sort_block_merge_config_selectorIisEEZZNS1_27merge_sort_block_merge_implIS3_N6thrust23THRUST_200600_302600_NS10device_ptrIiEENS9_IsEEjNS1_19radix_merge_compareILb0ELb0EiNS0_19identity_decomposerEEEEE10hipError_tT0_T1_T2_jT3_P12ihipStream_tbPNSt15iterator_traitsISG_E10value_typeEPNSM_ISH_E10value_typeEPSI_NS1_7vsmem_tEENKUlT_SG_SH_SI_E_clISA_PiSB_PsEESF_SV_SG_SH_SI_EUlSV_E1_NS1_11comp_targetILNS1_3genE4ELNS1_11target_archE910ELNS1_3gpuE8ELNS1_3repE0EEENS1_36merge_oddeven_config_static_selectorELNS0_4arch9wavefront6targetE1EEEvSH_ ; -- Begin function _ZN7rocprim17ROCPRIM_400000_NS6detail17trampoline_kernelINS0_14default_configENS1_38merge_sort_block_merge_config_selectorIisEEZZNS1_27merge_sort_block_merge_implIS3_N6thrust23THRUST_200600_302600_NS10device_ptrIiEENS9_IsEEjNS1_19radix_merge_compareILb0ELb0EiNS0_19identity_decomposerEEEEE10hipError_tT0_T1_T2_jT3_P12ihipStream_tbPNSt15iterator_traitsISG_E10value_typeEPNSM_ISH_E10value_typeEPSI_NS1_7vsmem_tEENKUlT_SG_SH_SI_E_clISA_PiSB_PsEESF_SV_SG_SH_SI_EUlSV_E1_NS1_11comp_targetILNS1_3genE4ELNS1_11target_archE910ELNS1_3gpuE8ELNS1_3repE0EEENS1_36merge_oddeven_config_static_selectorELNS0_4arch9wavefront6targetE1EEEvSH_
	.globl	_ZN7rocprim17ROCPRIM_400000_NS6detail17trampoline_kernelINS0_14default_configENS1_38merge_sort_block_merge_config_selectorIisEEZZNS1_27merge_sort_block_merge_implIS3_N6thrust23THRUST_200600_302600_NS10device_ptrIiEENS9_IsEEjNS1_19radix_merge_compareILb0ELb0EiNS0_19identity_decomposerEEEEE10hipError_tT0_T1_T2_jT3_P12ihipStream_tbPNSt15iterator_traitsISG_E10value_typeEPNSM_ISH_E10value_typeEPSI_NS1_7vsmem_tEENKUlT_SG_SH_SI_E_clISA_PiSB_PsEESF_SV_SG_SH_SI_EUlSV_E1_NS1_11comp_targetILNS1_3genE4ELNS1_11target_archE910ELNS1_3gpuE8ELNS1_3repE0EEENS1_36merge_oddeven_config_static_selectorELNS0_4arch9wavefront6targetE1EEEvSH_
	.p2align	8
	.type	_ZN7rocprim17ROCPRIM_400000_NS6detail17trampoline_kernelINS0_14default_configENS1_38merge_sort_block_merge_config_selectorIisEEZZNS1_27merge_sort_block_merge_implIS3_N6thrust23THRUST_200600_302600_NS10device_ptrIiEENS9_IsEEjNS1_19radix_merge_compareILb0ELb0EiNS0_19identity_decomposerEEEEE10hipError_tT0_T1_T2_jT3_P12ihipStream_tbPNSt15iterator_traitsISG_E10value_typeEPNSM_ISH_E10value_typeEPSI_NS1_7vsmem_tEENKUlT_SG_SH_SI_E_clISA_PiSB_PsEESF_SV_SG_SH_SI_EUlSV_E1_NS1_11comp_targetILNS1_3genE4ELNS1_11target_archE910ELNS1_3gpuE8ELNS1_3repE0EEENS1_36merge_oddeven_config_static_selectorELNS0_4arch9wavefront6targetE1EEEvSH_,@function
_ZN7rocprim17ROCPRIM_400000_NS6detail17trampoline_kernelINS0_14default_configENS1_38merge_sort_block_merge_config_selectorIisEEZZNS1_27merge_sort_block_merge_implIS3_N6thrust23THRUST_200600_302600_NS10device_ptrIiEENS9_IsEEjNS1_19radix_merge_compareILb0ELb0EiNS0_19identity_decomposerEEEEE10hipError_tT0_T1_T2_jT3_P12ihipStream_tbPNSt15iterator_traitsISG_E10value_typeEPNSM_ISH_E10value_typeEPSI_NS1_7vsmem_tEENKUlT_SG_SH_SI_E_clISA_PiSB_PsEESF_SV_SG_SH_SI_EUlSV_E1_NS1_11comp_targetILNS1_3genE4ELNS1_11target_archE910ELNS1_3gpuE8ELNS1_3repE0EEENS1_36merge_oddeven_config_static_selectorELNS0_4arch9wavefront6targetE1EEEvSH_: ; @_ZN7rocprim17ROCPRIM_400000_NS6detail17trampoline_kernelINS0_14default_configENS1_38merge_sort_block_merge_config_selectorIisEEZZNS1_27merge_sort_block_merge_implIS3_N6thrust23THRUST_200600_302600_NS10device_ptrIiEENS9_IsEEjNS1_19radix_merge_compareILb0ELb0EiNS0_19identity_decomposerEEEEE10hipError_tT0_T1_T2_jT3_P12ihipStream_tbPNSt15iterator_traitsISG_E10value_typeEPNSM_ISH_E10value_typeEPSI_NS1_7vsmem_tEENKUlT_SG_SH_SI_E_clISA_PiSB_PsEESF_SV_SG_SH_SI_EUlSV_E1_NS1_11comp_targetILNS1_3genE4ELNS1_11target_archE910ELNS1_3gpuE8ELNS1_3repE0EEENS1_36merge_oddeven_config_static_selectorELNS0_4arch9wavefront6targetE1EEEvSH_
; %bb.0:
	.section	.rodata,"a",@progbits
	.p2align	6, 0x0
	.amdhsa_kernel _ZN7rocprim17ROCPRIM_400000_NS6detail17trampoline_kernelINS0_14default_configENS1_38merge_sort_block_merge_config_selectorIisEEZZNS1_27merge_sort_block_merge_implIS3_N6thrust23THRUST_200600_302600_NS10device_ptrIiEENS9_IsEEjNS1_19radix_merge_compareILb0ELb0EiNS0_19identity_decomposerEEEEE10hipError_tT0_T1_T2_jT3_P12ihipStream_tbPNSt15iterator_traitsISG_E10value_typeEPNSM_ISH_E10value_typeEPSI_NS1_7vsmem_tEENKUlT_SG_SH_SI_E_clISA_PiSB_PsEESF_SV_SG_SH_SI_EUlSV_E1_NS1_11comp_targetILNS1_3genE4ELNS1_11target_archE910ELNS1_3gpuE8ELNS1_3repE0EEENS1_36merge_oddeven_config_static_selectorELNS0_4arch9wavefront6targetE1EEEvSH_
		.amdhsa_group_segment_fixed_size 0
		.amdhsa_private_segment_fixed_size 0
		.amdhsa_kernarg_size 48
		.amdhsa_user_sgpr_count 2
		.amdhsa_user_sgpr_dispatch_ptr 0
		.amdhsa_user_sgpr_queue_ptr 0
		.amdhsa_user_sgpr_kernarg_segment_ptr 1
		.amdhsa_user_sgpr_dispatch_id 0
		.amdhsa_user_sgpr_kernarg_preload_length 0
		.amdhsa_user_sgpr_kernarg_preload_offset 0
		.amdhsa_user_sgpr_private_segment_size 0
		.amdhsa_uses_dynamic_stack 0
		.amdhsa_enable_private_segment 0
		.amdhsa_system_sgpr_workgroup_id_x 1
		.amdhsa_system_sgpr_workgroup_id_y 0
		.amdhsa_system_sgpr_workgroup_id_z 0
		.amdhsa_system_sgpr_workgroup_info 0
		.amdhsa_system_vgpr_workitem_id 0
		.amdhsa_next_free_vgpr 1
		.amdhsa_next_free_sgpr 0
		.amdhsa_accum_offset 4
		.amdhsa_reserve_vcc 0
		.amdhsa_float_round_mode_32 0
		.amdhsa_float_round_mode_16_64 0
		.amdhsa_float_denorm_mode_32 3
		.amdhsa_float_denorm_mode_16_64 3
		.amdhsa_dx10_clamp 1
		.amdhsa_ieee_mode 1
		.amdhsa_fp16_overflow 0
		.amdhsa_tg_split 0
		.amdhsa_exception_fp_ieee_invalid_op 0
		.amdhsa_exception_fp_denorm_src 0
		.amdhsa_exception_fp_ieee_div_zero 0
		.amdhsa_exception_fp_ieee_overflow 0
		.amdhsa_exception_fp_ieee_underflow 0
		.amdhsa_exception_fp_ieee_inexact 0
		.amdhsa_exception_int_div_zero 0
	.end_amdhsa_kernel
	.section	.text._ZN7rocprim17ROCPRIM_400000_NS6detail17trampoline_kernelINS0_14default_configENS1_38merge_sort_block_merge_config_selectorIisEEZZNS1_27merge_sort_block_merge_implIS3_N6thrust23THRUST_200600_302600_NS10device_ptrIiEENS9_IsEEjNS1_19radix_merge_compareILb0ELb0EiNS0_19identity_decomposerEEEEE10hipError_tT0_T1_T2_jT3_P12ihipStream_tbPNSt15iterator_traitsISG_E10value_typeEPNSM_ISH_E10value_typeEPSI_NS1_7vsmem_tEENKUlT_SG_SH_SI_E_clISA_PiSB_PsEESF_SV_SG_SH_SI_EUlSV_E1_NS1_11comp_targetILNS1_3genE4ELNS1_11target_archE910ELNS1_3gpuE8ELNS1_3repE0EEENS1_36merge_oddeven_config_static_selectorELNS0_4arch9wavefront6targetE1EEEvSH_,"axG",@progbits,_ZN7rocprim17ROCPRIM_400000_NS6detail17trampoline_kernelINS0_14default_configENS1_38merge_sort_block_merge_config_selectorIisEEZZNS1_27merge_sort_block_merge_implIS3_N6thrust23THRUST_200600_302600_NS10device_ptrIiEENS9_IsEEjNS1_19radix_merge_compareILb0ELb0EiNS0_19identity_decomposerEEEEE10hipError_tT0_T1_T2_jT3_P12ihipStream_tbPNSt15iterator_traitsISG_E10value_typeEPNSM_ISH_E10value_typeEPSI_NS1_7vsmem_tEENKUlT_SG_SH_SI_E_clISA_PiSB_PsEESF_SV_SG_SH_SI_EUlSV_E1_NS1_11comp_targetILNS1_3genE4ELNS1_11target_archE910ELNS1_3gpuE8ELNS1_3repE0EEENS1_36merge_oddeven_config_static_selectorELNS0_4arch9wavefront6targetE1EEEvSH_,comdat
.Lfunc_end2333:
	.size	_ZN7rocprim17ROCPRIM_400000_NS6detail17trampoline_kernelINS0_14default_configENS1_38merge_sort_block_merge_config_selectorIisEEZZNS1_27merge_sort_block_merge_implIS3_N6thrust23THRUST_200600_302600_NS10device_ptrIiEENS9_IsEEjNS1_19radix_merge_compareILb0ELb0EiNS0_19identity_decomposerEEEEE10hipError_tT0_T1_T2_jT3_P12ihipStream_tbPNSt15iterator_traitsISG_E10value_typeEPNSM_ISH_E10value_typeEPSI_NS1_7vsmem_tEENKUlT_SG_SH_SI_E_clISA_PiSB_PsEESF_SV_SG_SH_SI_EUlSV_E1_NS1_11comp_targetILNS1_3genE4ELNS1_11target_archE910ELNS1_3gpuE8ELNS1_3repE0EEENS1_36merge_oddeven_config_static_selectorELNS0_4arch9wavefront6targetE1EEEvSH_, .Lfunc_end2333-_ZN7rocprim17ROCPRIM_400000_NS6detail17trampoline_kernelINS0_14default_configENS1_38merge_sort_block_merge_config_selectorIisEEZZNS1_27merge_sort_block_merge_implIS3_N6thrust23THRUST_200600_302600_NS10device_ptrIiEENS9_IsEEjNS1_19radix_merge_compareILb0ELb0EiNS0_19identity_decomposerEEEEE10hipError_tT0_T1_T2_jT3_P12ihipStream_tbPNSt15iterator_traitsISG_E10value_typeEPNSM_ISH_E10value_typeEPSI_NS1_7vsmem_tEENKUlT_SG_SH_SI_E_clISA_PiSB_PsEESF_SV_SG_SH_SI_EUlSV_E1_NS1_11comp_targetILNS1_3genE4ELNS1_11target_archE910ELNS1_3gpuE8ELNS1_3repE0EEENS1_36merge_oddeven_config_static_selectorELNS0_4arch9wavefront6targetE1EEEvSH_
                                        ; -- End function
	.set _ZN7rocprim17ROCPRIM_400000_NS6detail17trampoline_kernelINS0_14default_configENS1_38merge_sort_block_merge_config_selectorIisEEZZNS1_27merge_sort_block_merge_implIS3_N6thrust23THRUST_200600_302600_NS10device_ptrIiEENS9_IsEEjNS1_19radix_merge_compareILb0ELb0EiNS0_19identity_decomposerEEEEE10hipError_tT0_T1_T2_jT3_P12ihipStream_tbPNSt15iterator_traitsISG_E10value_typeEPNSM_ISH_E10value_typeEPSI_NS1_7vsmem_tEENKUlT_SG_SH_SI_E_clISA_PiSB_PsEESF_SV_SG_SH_SI_EUlSV_E1_NS1_11comp_targetILNS1_3genE4ELNS1_11target_archE910ELNS1_3gpuE8ELNS1_3repE0EEENS1_36merge_oddeven_config_static_selectorELNS0_4arch9wavefront6targetE1EEEvSH_.num_vgpr, 0
	.set _ZN7rocprim17ROCPRIM_400000_NS6detail17trampoline_kernelINS0_14default_configENS1_38merge_sort_block_merge_config_selectorIisEEZZNS1_27merge_sort_block_merge_implIS3_N6thrust23THRUST_200600_302600_NS10device_ptrIiEENS9_IsEEjNS1_19radix_merge_compareILb0ELb0EiNS0_19identity_decomposerEEEEE10hipError_tT0_T1_T2_jT3_P12ihipStream_tbPNSt15iterator_traitsISG_E10value_typeEPNSM_ISH_E10value_typeEPSI_NS1_7vsmem_tEENKUlT_SG_SH_SI_E_clISA_PiSB_PsEESF_SV_SG_SH_SI_EUlSV_E1_NS1_11comp_targetILNS1_3genE4ELNS1_11target_archE910ELNS1_3gpuE8ELNS1_3repE0EEENS1_36merge_oddeven_config_static_selectorELNS0_4arch9wavefront6targetE1EEEvSH_.num_agpr, 0
	.set _ZN7rocprim17ROCPRIM_400000_NS6detail17trampoline_kernelINS0_14default_configENS1_38merge_sort_block_merge_config_selectorIisEEZZNS1_27merge_sort_block_merge_implIS3_N6thrust23THRUST_200600_302600_NS10device_ptrIiEENS9_IsEEjNS1_19radix_merge_compareILb0ELb0EiNS0_19identity_decomposerEEEEE10hipError_tT0_T1_T2_jT3_P12ihipStream_tbPNSt15iterator_traitsISG_E10value_typeEPNSM_ISH_E10value_typeEPSI_NS1_7vsmem_tEENKUlT_SG_SH_SI_E_clISA_PiSB_PsEESF_SV_SG_SH_SI_EUlSV_E1_NS1_11comp_targetILNS1_3genE4ELNS1_11target_archE910ELNS1_3gpuE8ELNS1_3repE0EEENS1_36merge_oddeven_config_static_selectorELNS0_4arch9wavefront6targetE1EEEvSH_.numbered_sgpr, 0
	.set _ZN7rocprim17ROCPRIM_400000_NS6detail17trampoline_kernelINS0_14default_configENS1_38merge_sort_block_merge_config_selectorIisEEZZNS1_27merge_sort_block_merge_implIS3_N6thrust23THRUST_200600_302600_NS10device_ptrIiEENS9_IsEEjNS1_19radix_merge_compareILb0ELb0EiNS0_19identity_decomposerEEEEE10hipError_tT0_T1_T2_jT3_P12ihipStream_tbPNSt15iterator_traitsISG_E10value_typeEPNSM_ISH_E10value_typeEPSI_NS1_7vsmem_tEENKUlT_SG_SH_SI_E_clISA_PiSB_PsEESF_SV_SG_SH_SI_EUlSV_E1_NS1_11comp_targetILNS1_3genE4ELNS1_11target_archE910ELNS1_3gpuE8ELNS1_3repE0EEENS1_36merge_oddeven_config_static_selectorELNS0_4arch9wavefront6targetE1EEEvSH_.num_named_barrier, 0
	.set _ZN7rocprim17ROCPRIM_400000_NS6detail17trampoline_kernelINS0_14default_configENS1_38merge_sort_block_merge_config_selectorIisEEZZNS1_27merge_sort_block_merge_implIS3_N6thrust23THRUST_200600_302600_NS10device_ptrIiEENS9_IsEEjNS1_19radix_merge_compareILb0ELb0EiNS0_19identity_decomposerEEEEE10hipError_tT0_T1_T2_jT3_P12ihipStream_tbPNSt15iterator_traitsISG_E10value_typeEPNSM_ISH_E10value_typeEPSI_NS1_7vsmem_tEENKUlT_SG_SH_SI_E_clISA_PiSB_PsEESF_SV_SG_SH_SI_EUlSV_E1_NS1_11comp_targetILNS1_3genE4ELNS1_11target_archE910ELNS1_3gpuE8ELNS1_3repE0EEENS1_36merge_oddeven_config_static_selectorELNS0_4arch9wavefront6targetE1EEEvSH_.private_seg_size, 0
	.set _ZN7rocprim17ROCPRIM_400000_NS6detail17trampoline_kernelINS0_14default_configENS1_38merge_sort_block_merge_config_selectorIisEEZZNS1_27merge_sort_block_merge_implIS3_N6thrust23THRUST_200600_302600_NS10device_ptrIiEENS9_IsEEjNS1_19radix_merge_compareILb0ELb0EiNS0_19identity_decomposerEEEEE10hipError_tT0_T1_T2_jT3_P12ihipStream_tbPNSt15iterator_traitsISG_E10value_typeEPNSM_ISH_E10value_typeEPSI_NS1_7vsmem_tEENKUlT_SG_SH_SI_E_clISA_PiSB_PsEESF_SV_SG_SH_SI_EUlSV_E1_NS1_11comp_targetILNS1_3genE4ELNS1_11target_archE910ELNS1_3gpuE8ELNS1_3repE0EEENS1_36merge_oddeven_config_static_selectorELNS0_4arch9wavefront6targetE1EEEvSH_.uses_vcc, 0
	.set _ZN7rocprim17ROCPRIM_400000_NS6detail17trampoline_kernelINS0_14default_configENS1_38merge_sort_block_merge_config_selectorIisEEZZNS1_27merge_sort_block_merge_implIS3_N6thrust23THRUST_200600_302600_NS10device_ptrIiEENS9_IsEEjNS1_19radix_merge_compareILb0ELb0EiNS0_19identity_decomposerEEEEE10hipError_tT0_T1_T2_jT3_P12ihipStream_tbPNSt15iterator_traitsISG_E10value_typeEPNSM_ISH_E10value_typeEPSI_NS1_7vsmem_tEENKUlT_SG_SH_SI_E_clISA_PiSB_PsEESF_SV_SG_SH_SI_EUlSV_E1_NS1_11comp_targetILNS1_3genE4ELNS1_11target_archE910ELNS1_3gpuE8ELNS1_3repE0EEENS1_36merge_oddeven_config_static_selectorELNS0_4arch9wavefront6targetE1EEEvSH_.uses_flat_scratch, 0
	.set _ZN7rocprim17ROCPRIM_400000_NS6detail17trampoline_kernelINS0_14default_configENS1_38merge_sort_block_merge_config_selectorIisEEZZNS1_27merge_sort_block_merge_implIS3_N6thrust23THRUST_200600_302600_NS10device_ptrIiEENS9_IsEEjNS1_19radix_merge_compareILb0ELb0EiNS0_19identity_decomposerEEEEE10hipError_tT0_T1_T2_jT3_P12ihipStream_tbPNSt15iterator_traitsISG_E10value_typeEPNSM_ISH_E10value_typeEPSI_NS1_7vsmem_tEENKUlT_SG_SH_SI_E_clISA_PiSB_PsEESF_SV_SG_SH_SI_EUlSV_E1_NS1_11comp_targetILNS1_3genE4ELNS1_11target_archE910ELNS1_3gpuE8ELNS1_3repE0EEENS1_36merge_oddeven_config_static_selectorELNS0_4arch9wavefront6targetE1EEEvSH_.has_dyn_sized_stack, 0
	.set _ZN7rocprim17ROCPRIM_400000_NS6detail17trampoline_kernelINS0_14default_configENS1_38merge_sort_block_merge_config_selectorIisEEZZNS1_27merge_sort_block_merge_implIS3_N6thrust23THRUST_200600_302600_NS10device_ptrIiEENS9_IsEEjNS1_19radix_merge_compareILb0ELb0EiNS0_19identity_decomposerEEEEE10hipError_tT0_T1_T2_jT3_P12ihipStream_tbPNSt15iterator_traitsISG_E10value_typeEPNSM_ISH_E10value_typeEPSI_NS1_7vsmem_tEENKUlT_SG_SH_SI_E_clISA_PiSB_PsEESF_SV_SG_SH_SI_EUlSV_E1_NS1_11comp_targetILNS1_3genE4ELNS1_11target_archE910ELNS1_3gpuE8ELNS1_3repE0EEENS1_36merge_oddeven_config_static_selectorELNS0_4arch9wavefront6targetE1EEEvSH_.has_recursion, 0
	.set _ZN7rocprim17ROCPRIM_400000_NS6detail17trampoline_kernelINS0_14default_configENS1_38merge_sort_block_merge_config_selectorIisEEZZNS1_27merge_sort_block_merge_implIS3_N6thrust23THRUST_200600_302600_NS10device_ptrIiEENS9_IsEEjNS1_19radix_merge_compareILb0ELb0EiNS0_19identity_decomposerEEEEE10hipError_tT0_T1_T2_jT3_P12ihipStream_tbPNSt15iterator_traitsISG_E10value_typeEPNSM_ISH_E10value_typeEPSI_NS1_7vsmem_tEENKUlT_SG_SH_SI_E_clISA_PiSB_PsEESF_SV_SG_SH_SI_EUlSV_E1_NS1_11comp_targetILNS1_3genE4ELNS1_11target_archE910ELNS1_3gpuE8ELNS1_3repE0EEENS1_36merge_oddeven_config_static_selectorELNS0_4arch9wavefront6targetE1EEEvSH_.has_indirect_call, 0
	.section	.AMDGPU.csdata,"",@progbits
; Kernel info:
; codeLenInByte = 0
; TotalNumSgprs: 6
; NumVgprs: 0
; NumAgprs: 0
; TotalNumVgprs: 0
; ScratchSize: 0
; MemoryBound: 0
; FloatMode: 240
; IeeeMode: 1
; LDSByteSize: 0 bytes/workgroup (compile time only)
; SGPRBlocks: 0
; VGPRBlocks: 0
; NumSGPRsForWavesPerEU: 6
; NumVGPRsForWavesPerEU: 1
; AccumOffset: 4
; Occupancy: 8
; WaveLimiterHint : 0
; COMPUTE_PGM_RSRC2:SCRATCH_EN: 0
; COMPUTE_PGM_RSRC2:USER_SGPR: 2
; COMPUTE_PGM_RSRC2:TRAP_HANDLER: 0
; COMPUTE_PGM_RSRC2:TGID_X_EN: 1
; COMPUTE_PGM_RSRC2:TGID_Y_EN: 0
; COMPUTE_PGM_RSRC2:TGID_Z_EN: 0
; COMPUTE_PGM_RSRC2:TIDIG_COMP_CNT: 0
; COMPUTE_PGM_RSRC3_GFX90A:ACCUM_OFFSET: 0
; COMPUTE_PGM_RSRC3_GFX90A:TG_SPLIT: 0
	.section	.text._ZN7rocprim17ROCPRIM_400000_NS6detail17trampoline_kernelINS0_14default_configENS1_38merge_sort_block_merge_config_selectorIisEEZZNS1_27merge_sort_block_merge_implIS3_N6thrust23THRUST_200600_302600_NS10device_ptrIiEENS9_IsEEjNS1_19radix_merge_compareILb0ELb0EiNS0_19identity_decomposerEEEEE10hipError_tT0_T1_T2_jT3_P12ihipStream_tbPNSt15iterator_traitsISG_E10value_typeEPNSM_ISH_E10value_typeEPSI_NS1_7vsmem_tEENKUlT_SG_SH_SI_E_clISA_PiSB_PsEESF_SV_SG_SH_SI_EUlSV_E1_NS1_11comp_targetILNS1_3genE3ELNS1_11target_archE908ELNS1_3gpuE7ELNS1_3repE0EEENS1_36merge_oddeven_config_static_selectorELNS0_4arch9wavefront6targetE1EEEvSH_,"axG",@progbits,_ZN7rocprim17ROCPRIM_400000_NS6detail17trampoline_kernelINS0_14default_configENS1_38merge_sort_block_merge_config_selectorIisEEZZNS1_27merge_sort_block_merge_implIS3_N6thrust23THRUST_200600_302600_NS10device_ptrIiEENS9_IsEEjNS1_19radix_merge_compareILb0ELb0EiNS0_19identity_decomposerEEEEE10hipError_tT0_T1_T2_jT3_P12ihipStream_tbPNSt15iterator_traitsISG_E10value_typeEPNSM_ISH_E10value_typeEPSI_NS1_7vsmem_tEENKUlT_SG_SH_SI_E_clISA_PiSB_PsEESF_SV_SG_SH_SI_EUlSV_E1_NS1_11comp_targetILNS1_3genE3ELNS1_11target_archE908ELNS1_3gpuE7ELNS1_3repE0EEENS1_36merge_oddeven_config_static_selectorELNS0_4arch9wavefront6targetE1EEEvSH_,comdat
	.protected	_ZN7rocprim17ROCPRIM_400000_NS6detail17trampoline_kernelINS0_14default_configENS1_38merge_sort_block_merge_config_selectorIisEEZZNS1_27merge_sort_block_merge_implIS3_N6thrust23THRUST_200600_302600_NS10device_ptrIiEENS9_IsEEjNS1_19radix_merge_compareILb0ELb0EiNS0_19identity_decomposerEEEEE10hipError_tT0_T1_T2_jT3_P12ihipStream_tbPNSt15iterator_traitsISG_E10value_typeEPNSM_ISH_E10value_typeEPSI_NS1_7vsmem_tEENKUlT_SG_SH_SI_E_clISA_PiSB_PsEESF_SV_SG_SH_SI_EUlSV_E1_NS1_11comp_targetILNS1_3genE3ELNS1_11target_archE908ELNS1_3gpuE7ELNS1_3repE0EEENS1_36merge_oddeven_config_static_selectorELNS0_4arch9wavefront6targetE1EEEvSH_ ; -- Begin function _ZN7rocprim17ROCPRIM_400000_NS6detail17trampoline_kernelINS0_14default_configENS1_38merge_sort_block_merge_config_selectorIisEEZZNS1_27merge_sort_block_merge_implIS3_N6thrust23THRUST_200600_302600_NS10device_ptrIiEENS9_IsEEjNS1_19radix_merge_compareILb0ELb0EiNS0_19identity_decomposerEEEEE10hipError_tT0_T1_T2_jT3_P12ihipStream_tbPNSt15iterator_traitsISG_E10value_typeEPNSM_ISH_E10value_typeEPSI_NS1_7vsmem_tEENKUlT_SG_SH_SI_E_clISA_PiSB_PsEESF_SV_SG_SH_SI_EUlSV_E1_NS1_11comp_targetILNS1_3genE3ELNS1_11target_archE908ELNS1_3gpuE7ELNS1_3repE0EEENS1_36merge_oddeven_config_static_selectorELNS0_4arch9wavefront6targetE1EEEvSH_
	.globl	_ZN7rocprim17ROCPRIM_400000_NS6detail17trampoline_kernelINS0_14default_configENS1_38merge_sort_block_merge_config_selectorIisEEZZNS1_27merge_sort_block_merge_implIS3_N6thrust23THRUST_200600_302600_NS10device_ptrIiEENS9_IsEEjNS1_19radix_merge_compareILb0ELb0EiNS0_19identity_decomposerEEEEE10hipError_tT0_T1_T2_jT3_P12ihipStream_tbPNSt15iterator_traitsISG_E10value_typeEPNSM_ISH_E10value_typeEPSI_NS1_7vsmem_tEENKUlT_SG_SH_SI_E_clISA_PiSB_PsEESF_SV_SG_SH_SI_EUlSV_E1_NS1_11comp_targetILNS1_3genE3ELNS1_11target_archE908ELNS1_3gpuE7ELNS1_3repE0EEENS1_36merge_oddeven_config_static_selectorELNS0_4arch9wavefront6targetE1EEEvSH_
	.p2align	8
	.type	_ZN7rocprim17ROCPRIM_400000_NS6detail17trampoline_kernelINS0_14default_configENS1_38merge_sort_block_merge_config_selectorIisEEZZNS1_27merge_sort_block_merge_implIS3_N6thrust23THRUST_200600_302600_NS10device_ptrIiEENS9_IsEEjNS1_19radix_merge_compareILb0ELb0EiNS0_19identity_decomposerEEEEE10hipError_tT0_T1_T2_jT3_P12ihipStream_tbPNSt15iterator_traitsISG_E10value_typeEPNSM_ISH_E10value_typeEPSI_NS1_7vsmem_tEENKUlT_SG_SH_SI_E_clISA_PiSB_PsEESF_SV_SG_SH_SI_EUlSV_E1_NS1_11comp_targetILNS1_3genE3ELNS1_11target_archE908ELNS1_3gpuE7ELNS1_3repE0EEENS1_36merge_oddeven_config_static_selectorELNS0_4arch9wavefront6targetE1EEEvSH_,@function
_ZN7rocprim17ROCPRIM_400000_NS6detail17trampoline_kernelINS0_14default_configENS1_38merge_sort_block_merge_config_selectorIisEEZZNS1_27merge_sort_block_merge_implIS3_N6thrust23THRUST_200600_302600_NS10device_ptrIiEENS9_IsEEjNS1_19radix_merge_compareILb0ELb0EiNS0_19identity_decomposerEEEEE10hipError_tT0_T1_T2_jT3_P12ihipStream_tbPNSt15iterator_traitsISG_E10value_typeEPNSM_ISH_E10value_typeEPSI_NS1_7vsmem_tEENKUlT_SG_SH_SI_E_clISA_PiSB_PsEESF_SV_SG_SH_SI_EUlSV_E1_NS1_11comp_targetILNS1_3genE3ELNS1_11target_archE908ELNS1_3gpuE7ELNS1_3repE0EEENS1_36merge_oddeven_config_static_selectorELNS0_4arch9wavefront6targetE1EEEvSH_: ; @_ZN7rocprim17ROCPRIM_400000_NS6detail17trampoline_kernelINS0_14default_configENS1_38merge_sort_block_merge_config_selectorIisEEZZNS1_27merge_sort_block_merge_implIS3_N6thrust23THRUST_200600_302600_NS10device_ptrIiEENS9_IsEEjNS1_19radix_merge_compareILb0ELb0EiNS0_19identity_decomposerEEEEE10hipError_tT0_T1_T2_jT3_P12ihipStream_tbPNSt15iterator_traitsISG_E10value_typeEPNSM_ISH_E10value_typeEPSI_NS1_7vsmem_tEENKUlT_SG_SH_SI_E_clISA_PiSB_PsEESF_SV_SG_SH_SI_EUlSV_E1_NS1_11comp_targetILNS1_3genE3ELNS1_11target_archE908ELNS1_3gpuE7ELNS1_3repE0EEENS1_36merge_oddeven_config_static_selectorELNS0_4arch9wavefront6targetE1EEEvSH_
; %bb.0:
	.section	.rodata,"a",@progbits
	.p2align	6, 0x0
	.amdhsa_kernel _ZN7rocprim17ROCPRIM_400000_NS6detail17trampoline_kernelINS0_14default_configENS1_38merge_sort_block_merge_config_selectorIisEEZZNS1_27merge_sort_block_merge_implIS3_N6thrust23THRUST_200600_302600_NS10device_ptrIiEENS9_IsEEjNS1_19radix_merge_compareILb0ELb0EiNS0_19identity_decomposerEEEEE10hipError_tT0_T1_T2_jT3_P12ihipStream_tbPNSt15iterator_traitsISG_E10value_typeEPNSM_ISH_E10value_typeEPSI_NS1_7vsmem_tEENKUlT_SG_SH_SI_E_clISA_PiSB_PsEESF_SV_SG_SH_SI_EUlSV_E1_NS1_11comp_targetILNS1_3genE3ELNS1_11target_archE908ELNS1_3gpuE7ELNS1_3repE0EEENS1_36merge_oddeven_config_static_selectorELNS0_4arch9wavefront6targetE1EEEvSH_
		.amdhsa_group_segment_fixed_size 0
		.amdhsa_private_segment_fixed_size 0
		.amdhsa_kernarg_size 48
		.amdhsa_user_sgpr_count 2
		.amdhsa_user_sgpr_dispatch_ptr 0
		.amdhsa_user_sgpr_queue_ptr 0
		.amdhsa_user_sgpr_kernarg_segment_ptr 1
		.amdhsa_user_sgpr_dispatch_id 0
		.amdhsa_user_sgpr_kernarg_preload_length 0
		.amdhsa_user_sgpr_kernarg_preload_offset 0
		.amdhsa_user_sgpr_private_segment_size 0
		.amdhsa_uses_dynamic_stack 0
		.amdhsa_enable_private_segment 0
		.amdhsa_system_sgpr_workgroup_id_x 1
		.amdhsa_system_sgpr_workgroup_id_y 0
		.amdhsa_system_sgpr_workgroup_id_z 0
		.amdhsa_system_sgpr_workgroup_info 0
		.amdhsa_system_vgpr_workitem_id 0
		.amdhsa_next_free_vgpr 1
		.amdhsa_next_free_sgpr 0
		.amdhsa_accum_offset 4
		.amdhsa_reserve_vcc 0
		.amdhsa_float_round_mode_32 0
		.amdhsa_float_round_mode_16_64 0
		.amdhsa_float_denorm_mode_32 3
		.amdhsa_float_denorm_mode_16_64 3
		.amdhsa_dx10_clamp 1
		.amdhsa_ieee_mode 1
		.amdhsa_fp16_overflow 0
		.amdhsa_tg_split 0
		.amdhsa_exception_fp_ieee_invalid_op 0
		.amdhsa_exception_fp_denorm_src 0
		.amdhsa_exception_fp_ieee_div_zero 0
		.amdhsa_exception_fp_ieee_overflow 0
		.amdhsa_exception_fp_ieee_underflow 0
		.amdhsa_exception_fp_ieee_inexact 0
		.amdhsa_exception_int_div_zero 0
	.end_amdhsa_kernel
	.section	.text._ZN7rocprim17ROCPRIM_400000_NS6detail17trampoline_kernelINS0_14default_configENS1_38merge_sort_block_merge_config_selectorIisEEZZNS1_27merge_sort_block_merge_implIS3_N6thrust23THRUST_200600_302600_NS10device_ptrIiEENS9_IsEEjNS1_19radix_merge_compareILb0ELb0EiNS0_19identity_decomposerEEEEE10hipError_tT0_T1_T2_jT3_P12ihipStream_tbPNSt15iterator_traitsISG_E10value_typeEPNSM_ISH_E10value_typeEPSI_NS1_7vsmem_tEENKUlT_SG_SH_SI_E_clISA_PiSB_PsEESF_SV_SG_SH_SI_EUlSV_E1_NS1_11comp_targetILNS1_3genE3ELNS1_11target_archE908ELNS1_3gpuE7ELNS1_3repE0EEENS1_36merge_oddeven_config_static_selectorELNS0_4arch9wavefront6targetE1EEEvSH_,"axG",@progbits,_ZN7rocprim17ROCPRIM_400000_NS6detail17trampoline_kernelINS0_14default_configENS1_38merge_sort_block_merge_config_selectorIisEEZZNS1_27merge_sort_block_merge_implIS3_N6thrust23THRUST_200600_302600_NS10device_ptrIiEENS9_IsEEjNS1_19radix_merge_compareILb0ELb0EiNS0_19identity_decomposerEEEEE10hipError_tT0_T1_T2_jT3_P12ihipStream_tbPNSt15iterator_traitsISG_E10value_typeEPNSM_ISH_E10value_typeEPSI_NS1_7vsmem_tEENKUlT_SG_SH_SI_E_clISA_PiSB_PsEESF_SV_SG_SH_SI_EUlSV_E1_NS1_11comp_targetILNS1_3genE3ELNS1_11target_archE908ELNS1_3gpuE7ELNS1_3repE0EEENS1_36merge_oddeven_config_static_selectorELNS0_4arch9wavefront6targetE1EEEvSH_,comdat
.Lfunc_end2334:
	.size	_ZN7rocprim17ROCPRIM_400000_NS6detail17trampoline_kernelINS0_14default_configENS1_38merge_sort_block_merge_config_selectorIisEEZZNS1_27merge_sort_block_merge_implIS3_N6thrust23THRUST_200600_302600_NS10device_ptrIiEENS9_IsEEjNS1_19radix_merge_compareILb0ELb0EiNS0_19identity_decomposerEEEEE10hipError_tT0_T1_T2_jT3_P12ihipStream_tbPNSt15iterator_traitsISG_E10value_typeEPNSM_ISH_E10value_typeEPSI_NS1_7vsmem_tEENKUlT_SG_SH_SI_E_clISA_PiSB_PsEESF_SV_SG_SH_SI_EUlSV_E1_NS1_11comp_targetILNS1_3genE3ELNS1_11target_archE908ELNS1_3gpuE7ELNS1_3repE0EEENS1_36merge_oddeven_config_static_selectorELNS0_4arch9wavefront6targetE1EEEvSH_, .Lfunc_end2334-_ZN7rocprim17ROCPRIM_400000_NS6detail17trampoline_kernelINS0_14default_configENS1_38merge_sort_block_merge_config_selectorIisEEZZNS1_27merge_sort_block_merge_implIS3_N6thrust23THRUST_200600_302600_NS10device_ptrIiEENS9_IsEEjNS1_19radix_merge_compareILb0ELb0EiNS0_19identity_decomposerEEEEE10hipError_tT0_T1_T2_jT3_P12ihipStream_tbPNSt15iterator_traitsISG_E10value_typeEPNSM_ISH_E10value_typeEPSI_NS1_7vsmem_tEENKUlT_SG_SH_SI_E_clISA_PiSB_PsEESF_SV_SG_SH_SI_EUlSV_E1_NS1_11comp_targetILNS1_3genE3ELNS1_11target_archE908ELNS1_3gpuE7ELNS1_3repE0EEENS1_36merge_oddeven_config_static_selectorELNS0_4arch9wavefront6targetE1EEEvSH_
                                        ; -- End function
	.set _ZN7rocprim17ROCPRIM_400000_NS6detail17trampoline_kernelINS0_14default_configENS1_38merge_sort_block_merge_config_selectorIisEEZZNS1_27merge_sort_block_merge_implIS3_N6thrust23THRUST_200600_302600_NS10device_ptrIiEENS9_IsEEjNS1_19radix_merge_compareILb0ELb0EiNS0_19identity_decomposerEEEEE10hipError_tT0_T1_T2_jT3_P12ihipStream_tbPNSt15iterator_traitsISG_E10value_typeEPNSM_ISH_E10value_typeEPSI_NS1_7vsmem_tEENKUlT_SG_SH_SI_E_clISA_PiSB_PsEESF_SV_SG_SH_SI_EUlSV_E1_NS1_11comp_targetILNS1_3genE3ELNS1_11target_archE908ELNS1_3gpuE7ELNS1_3repE0EEENS1_36merge_oddeven_config_static_selectorELNS0_4arch9wavefront6targetE1EEEvSH_.num_vgpr, 0
	.set _ZN7rocprim17ROCPRIM_400000_NS6detail17trampoline_kernelINS0_14default_configENS1_38merge_sort_block_merge_config_selectorIisEEZZNS1_27merge_sort_block_merge_implIS3_N6thrust23THRUST_200600_302600_NS10device_ptrIiEENS9_IsEEjNS1_19radix_merge_compareILb0ELb0EiNS0_19identity_decomposerEEEEE10hipError_tT0_T1_T2_jT3_P12ihipStream_tbPNSt15iterator_traitsISG_E10value_typeEPNSM_ISH_E10value_typeEPSI_NS1_7vsmem_tEENKUlT_SG_SH_SI_E_clISA_PiSB_PsEESF_SV_SG_SH_SI_EUlSV_E1_NS1_11comp_targetILNS1_3genE3ELNS1_11target_archE908ELNS1_3gpuE7ELNS1_3repE0EEENS1_36merge_oddeven_config_static_selectorELNS0_4arch9wavefront6targetE1EEEvSH_.num_agpr, 0
	.set _ZN7rocprim17ROCPRIM_400000_NS6detail17trampoline_kernelINS0_14default_configENS1_38merge_sort_block_merge_config_selectorIisEEZZNS1_27merge_sort_block_merge_implIS3_N6thrust23THRUST_200600_302600_NS10device_ptrIiEENS9_IsEEjNS1_19radix_merge_compareILb0ELb0EiNS0_19identity_decomposerEEEEE10hipError_tT0_T1_T2_jT3_P12ihipStream_tbPNSt15iterator_traitsISG_E10value_typeEPNSM_ISH_E10value_typeEPSI_NS1_7vsmem_tEENKUlT_SG_SH_SI_E_clISA_PiSB_PsEESF_SV_SG_SH_SI_EUlSV_E1_NS1_11comp_targetILNS1_3genE3ELNS1_11target_archE908ELNS1_3gpuE7ELNS1_3repE0EEENS1_36merge_oddeven_config_static_selectorELNS0_4arch9wavefront6targetE1EEEvSH_.numbered_sgpr, 0
	.set _ZN7rocprim17ROCPRIM_400000_NS6detail17trampoline_kernelINS0_14default_configENS1_38merge_sort_block_merge_config_selectorIisEEZZNS1_27merge_sort_block_merge_implIS3_N6thrust23THRUST_200600_302600_NS10device_ptrIiEENS9_IsEEjNS1_19radix_merge_compareILb0ELb0EiNS0_19identity_decomposerEEEEE10hipError_tT0_T1_T2_jT3_P12ihipStream_tbPNSt15iterator_traitsISG_E10value_typeEPNSM_ISH_E10value_typeEPSI_NS1_7vsmem_tEENKUlT_SG_SH_SI_E_clISA_PiSB_PsEESF_SV_SG_SH_SI_EUlSV_E1_NS1_11comp_targetILNS1_3genE3ELNS1_11target_archE908ELNS1_3gpuE7ELNS1_3repE0EEENS1_36merge_oddeven_config_static_selectorELNS0_4arch9wavefront6targetE1EEEvSH_.num_named_barrier, 0
	.set _ZN7rocprim17ROCPRIM_400000_NS6detail17trampoline_kernelINS0_14default_configENS1_38merge_sort_block_merge_config_selectorIisEEZZNS1_27merge_sort_block_merge_implIS3_N6thrust23THRUST_200600_302600_NS10device_ptrIiEENS9_IsEEjNS1_19radix_merge_compareILb0ELb0EiNS0_19identity_decomposerEEEEE10hipError_tT0_T1_T2_jT3_P12ihipStream_tbPNSt15iterator_traitsISG_E10value_typeEPNSM_ISH_E10value_typeEPSI_NS1_7vsmem_tEENKUlT_SG_SH_SI_E_clISA_PiSB_PsEESF_SV_SG_SH_SI_EUlSV_E1_NS1_11comp_targetILNS1_3genE3ELNS1_11target_archE908ELNS1_3gpuE7ELNS1_3repE0EEENS1_36merge_oddeven_config_static_selectorELNS0_4arch9wavefront6targetE1EEEvSH_.private_seg_size, 0
	.set _ZN7rocprim17ROCPRIM_400000_NS6detail17trampoline_kernelINS0_14default_configENS1_38merge_sort_block_merge_config_selectorIisEEZZNS1_27merge_sort_block_merge_implIS3_N6thrust23THRUST_200600_302600_NS10device_ptrIiEENS9_IsEEjNS1_19radix_merge_compareILb0ELb0EiNS0_19identity_decomposerEEEEE10hipError_tT0_T1_T2_jT3_P12ihipStream_tbPNSt15iterator_traitsISG_E10value_typeEPNSM_ISH_E10value_typeEPSI_NS1_7vsmem_tEENKUlT_SG_SH_SI_E_clISA_PiSB_PsEESF_SV_SG_SH_SI_EUlSV_E1_NS1_11comp_targetILNS1_3genE3ELNS1_11target_archE908ELNS1_3gpuE7ELNS1_3repE0EEENS1_36merge_oddeven_config_static_selectorELNS0_4arch9wavefront6targetE1EEEvSH_.uses_vcc, 0
	.set _ZN7rocprim17ROCPRIM_400000_NS6detail17trampoline_kernelINS0_14default_configENS1_38merge_sort_block_merge_config_selectorIisEEZZNS1_27merge_sort_block_merge_implIS3_N6thrust23THRUST_200600_302600_NS10device_ptrIiEENS9_IsEEjNS1_19radix_merge_compareILb0ELb0EiNS0_19identity_decomposerEEEEE10hipError_tT0_T1_T2_jT3_P12ihipStream_tbPNSt15iterator_traitsISG_E10value_typeEPNSM_ISH_E10value_typeEPSI_NS1_7vsmem_tEENKUlT_SG_SH_SI_E_clISA_PiSB_PsEESF_SV_SG_SH_SI_EUlSV_E1_NS1_11comp_targetILNS1_3genE3ELNS1_11target_archE908ELNS1_3gpuE7ELNS1_3repE0EEENS1_36merge_oddeven_config_static_selectorELNS0_4arch9wavefront6targetE1EEEvSH_.uses_flat_scratch, 0
	.set _ZN7rocprim17ROCPRIM_400000_NS6detail17trampoline_kernelINS0_14default_configENS1_38merge_sort_block_merge_config_selectorIisEEZZNS1_27merge_sort_block_merge_implIS3_N6thrust23THRUST_200600_302600_NS10device_ptrIiEENS9_IsEEjNS1_19radix_merge_compareILb0ELb0EiNS0_19identity_decomposerEEEEE10hipError_tT0_T1_T2_jT3_P12ihipStream_tbPNSt15iterator_traitsISG_E10value_typeEPNSM_ISH_E10value_typeEPSI_NS1_7vsmem_tEENKUlT_SG_SH_SI_E_clISA_PiSB_PsEESF_SV_SG_SH_SI_EUlSV_E1_NS1_11comp_targetILNS1_3genE3ELNS1_11target_archE908ELNS1_3gpuE7ELNS1_3repE0EEENS1_36merge_oddeven_config_static_selectorELNS0_4arch9wavefront6targetE1EEEvSH_.has_dyn_sized_stack, 0
	.set _ZN7rocprim17ROCPRIM_400000_NS6detail17trampoline_kernelINS0_14default_configENS1_38merge_sort_block_merge_config_selectorIisEEZZNS1_27merge_sort_block_merge_implIS3_N6thrust23THRUST_200600_302600_NS10device_ptrIiEENS9_IsEEjNS1_19radix_merge_compareILb0ELb0EiNS0_19identity_decomposerEEEEE10hipError_tT0_T1_T2_jT3_P12ihipStream_tbPNSt15iterator_traitsISG_E10value_typeEPNSM_ISH_E10value_typeEPSI_NS1_7vsmem_tEENKUlT_SG_SH_SI_E_clISA_PiSB_PsEESF_SV_SG_SH_SI_EUlSV_E1_NS1_11comp_targetILNS1_3genE3ELNS1_11target_archE908ELNS1_3gpuE7ELNS1_3repE0EEENS1_36merge_oddeven_config_static_selectorELNS0_4arch9wavefront6targetE1EEEvSH_.has_recursion, 0
	.set _ZN7rocprim17ROCPRIM_400000_NS6detail17trampoline_kernelINS0_14default_configENS1_38merge_sort_block_merge_config_selectorIisEEZZNS1_27merge_sort_block_merge_implIS3_N6thrust23THRUST_200600_302600_NS10device_ptrIiEENS9_IsEEjNS1_19radix_merge_compareILb0ELb0EiNS0_19identity_decomposerEEEEE10hipError_tT0_T1_T2_jT3_P12ihipStream_tbPNSt15iterator_traitsISG_E10value_typeEPNSM_ISH_E10value_typeEPSI_NS1_7vsmem_tEENKUlT_SG_SH_SI_E_clISA_PiSB_PsEESF_SV_SG_SH_SI_EUlSV_E1_NS1_11comp_targetILNS1_3genE3ELNS1_11target_archE908ELNS1_3gpuE7ELNS1_3repE0EEENS1_36merge_oddeven_config_static_selectorELNS0_4arch9wavefront6targetE1EEEvSH_.has_indirect_call, 0
	.section	.AMDGPU.csdata,"",@progbits
; Kernel info:
; codeLenInByte = 0
; TotalNumSgprs: 6
; NumVgprs: 0
; NumAgprs: 0
; TotalNumVgprs: 0
; ScratchSize: 0
; MemoryBound: 0
; FloatMode: 240
; IeeeMode: 1
; LDSByteSize: 0 bytes/workgroup (compile time only)
; SGPRBlocks: 0
; VGPRBlocks: 0
; NumSGPRsForWavesPerEU: 6
; NumVGPRsForWavesPerEU: 1
; AccumOffset: 4
; Occupancy: 8
; WaveLimiterHint : 0
; COMPUTE_PGM_RSRC2:SCRATCH_EN: 0
; COMPUTE_PGM_RSRC2:USER_SGPR: 2
; COMPUTE_PGM_RSRC2:TRAP_HANDLER: 0
; COMPUTE_PGM_RSRC2:TGID_X_EN: 1
; COMPUTE_PGM_RSRC2:TGID_Y_EN: 0
; COMPUTE_PGM_RSRC2:TGID_Z_EN: 0
; COMPUTE_PGM_RSRC2:TIDIG_COMP_CNT: 0
; COMPUTE_PGM_RSRC3_GFX90A:ACCUM_OFFSET: 0
; COMPUTE_PGM_RSRC3_GFX90A:TG_SPLIT: 0
	.section	.text._ZN7rocprim17ROCPRIM_400000_NS6detail17trampoline_kernelINS0_14default_configENS1_38merge_sort_block_merge_config_selectorIisEEZZNS1_27merge_sort_block_merge_implIS3_N6thrust23THRUST_200600_302600_NS10device_ptrIiEENS9_IsEEjNS1_19radix_merge_compareILb0ELb0EiNS0_19identity_decomposerEEEEE10hipError_tT0_T1_T2_jT3_P12ihipStream_tbPNSt15iterator_traitsISG_E10value_typeEPNSM_ISH_E10value_typeEPSI_NS1_7vsmem_tEENKUlT_SG_SH_SI_E_clISA_PiSB_PsEESF_SV_SG_SH_SI_EUlSV_E1_NS1_11comp_targetILNS1_3genE2ELNS1_11target_archE906ELNS1_3gpuE6ELNS1_3repE0EEENS1_36merge_oddeven_config_static_selectorELNS0_4arch9wavefront6targetE1EEEvSH_,"axG",@progbits,_ZN7rocprim17ROCPRIM_400000_NS6detail17trampoline_kernelINS0_14default_configENS1_38merge_sort_block_merge_config_selectorIisEEZZNS1_27merge_sort_block_merge_implIS3_N6thrust23THRUST_200600_302600_NS10device_ptrIiEENS9_IsEEjNS1_19radix_merge_compareILb0ELb0EiNS0_19identity_decomposerEEEEE10hipError_tT0_T1_T2_jT3_P12ihipStream_tbPNSt15iterator_traitsISG_E10value_typeEPNSM_ISH_E10value_typeEPSI_NS1_7vsmem_tEENKUlT_SG_SH_SI_E_clISA_PiSB_PsEESF_SV_SG_SH_SI_EUlSV_E1_NS1_11comp_targetILNS1_3genE2ELNS1_11target_archE906ELNS1_3gpuE6ELNS1_3repE0EEENS1_36merge_oddeven_config_static_selectorELNS0_4arch9wavefront6targetE1EEEvSH_,comdat
	.protected	_ZN7rocprim17ROCPRIM_400000_NS6detail17trampoline_kernelINS0_14default_configENS1_38merge_sort_block_merge_config_selectorIisEEZZNS1_27merge_sort_block_merge_implIS3_N6thrust23THRUST_200600_302600_NS10device_ptrIiEENS9_IsEEjNS1_19radix_merge_compareILb0ELb0EiNS0_19identity_decomposerEEEEE10hipError_tT0_T1_T2_jT3_P12ihipStream_tbPNSt15iterator_traitsISG_E10value_typeEPNSM_ISH_E10value_typeEPSI_NS1_7vsmem_tEENKUlT_SG_SH_SI_E_clISA_PiSB_PsEESF_SV_SG_SH_SI_EUlSV_E1_NS1_11comp_targetILNS1_3genE2ELNS1_11target_archE906ELNS1_3gpuE6ELNS1_3repE0EEENS1_36merge_oddeven_config_static_selectorELNS0_4arch9wavefront6targetE1EEEvSH_ ; -- Begin function _ZN7rocprim17ROCPRIM_400000_NS6detail17trampoline_kernelINS0_14default_configENS1_38merge_sort_block_merge_config_selectorIisEEZZNS1_27merge_sort_block_merge_implIS3_N6thrust23THRUST_200600_302600_NS10device_ptrIiEENS9_IsEEjNS1_19radix_merge_compareILb0ELb0EiNS0_19identity_decomposerEEEEE10hipError_tT0_T1_T2_jT3_P12ihipStream_tbPNSt15iterator_traitsISG_E10value_typeEPNSM_ISH_E10value_typeEPSI_NS1_7vsmem_tEENKUlT_SG_SH_SI_E_clISA_PiSB_PsEESF_SV_SG_SH_SI_EUlSV_E1_NS1_11comp_targetILNS1_3genE2ELNS1_11target_archE906ELNS1_3gpuE6ELNS1_3repE0EEENS1_36merge_oddeven_config_static_selectorELNS0_4arch9wavefront6targetE1EEEvSH_
	.globl	_ZN7rocprim17ROCPRIM_400000_NS6detail17trampoline_kernelINS0_14default_configENS1_38merge_sort_block_merge_config_selectorIisEEZZNS1_27merge_sort_block_merge_implIS3_N6thrust23THRUST_200600_302600_NS10device_ptrIiEENS9_IsEEjNS1_19radix_merge_compareILb0ELb0EiNS0_19identity_decomposerEEEEE10hipError_tT0_T1_T2_jT3_P12ihipStream_tbPNSt15iterator_traitsISG_E10value_typeEPNSM_ISH_E10value_typeEPSI_NS1_7vsmem_tEENKUlT_SG_SH_SI_E_clISA_PiSB_PsEESF_SV_SG_SH_SI_EUlSV_E1_NS1_11comp_targetILNS1_3genE2ELNS1_11target_archE906ELNS1_3gpuE6ELNS1_3repE0EEENS1_36merge_oddeven_config_static_selectorELNS0_4arch9wavefront6targetE1EEEvSH_
	.p2align	8
	.type	_ZN7rocprim17ROCPRIM_400000_NS6detail17trampoline_kernelINS0_14default_configENS1_38merge_sort_block_merge_config_selectorIisEEZZNS1_27merge_sort_block_merge_implIS3_N6thrust23THRUST_200600_302600_NS10device_ptrIiEENS9_IsEEjNS1_19radix_merge_compareILb0ELb0EiNS0_19identity_decomposerEEEEE10hipError_tT0_T1_T2_jT3_P12ihipStream_tbPNSt15iterator_traitsISG_E10value_typeEPNSM_ISH_E10value_typeEPSI_NS1_7vsmem_tEENKUlT_SG_SH_SI_E_clISA_PiSB_PsEESF_SV_SG_SH_SI_EUlSV_E1_NS1_11comp_targetILNS1_3genE2ELNS1_11target_archE906ELNS1_3gpuE6ELNS1_3repE0EEENS1_36merge_oddeven_config_static_selectorELNS0_4arch9wavefront6targetE1EEEvSH_,@function
_ZN7rocprim17ROCPRIM_400000_NS6detail17trampoline_kernelINS0_14default_configENS1_38merge_sort_block_merge_config_selectorIisEEZZNS1_27merge_sort_block_merge_implIS3_N6thrust23THRUST_200600_302600_NS10device_ptrIiEENS9_IsEEjNS1_19radix_merge_compareILb0ELb0EiNS0_19identity_decomposerEEEEE10hipError_tT0_T1_T2_jT3_P12ihipStream_tbPNSt15iterator_traitsISG_E10value_typeEPNSM_ISH_E10value_typeEPSI_NS1_7vsmem_tEENKUlT_SG_SH_SI_E_clISA_PiSB_PsEESF_SV_SG_SH_SI_EUlSV_E1_NS1_11comp_targetILNS1_3genE2ELNS1_11target_archE906ELNS1_3gpuE6ELNS1_3repE0EEENS1_36merge_oddeven_config_static_selectorELNS0_4arch9wavefront6targetE1EEEvSH_: ; @_ZN7rocprim17ROCPRIM_400000_NS6detail17trampoline_kernelINS0_14default_configENS1_38merge_sort_block_merge_config_selectorIisEEZZNS1_27merge_sort_block_merge_implIS3_N6thrust23THRUST_200600_302600_NS10device_ptrIiEENS9_IsEEjNS1_19radix_merge_compareILb0ELb0EiNS0_19identity_decomposerEEEEE10hipError_tT0_T1_T2_jT3_P12ihipStream_tbPNSt15iterator_traitsISG_E10value_typeEPNSM_ISH_E10value_typeEPSI_NS1_7vsmem_tEENKUlT_SG_SH_SI_E_clISA_PiSB_PsEESF_SV_SG_SH_SI_EUlSV_E1_NS1_11comp_targetILNS1_3genE2ELNS1_11target_archE906ELNS1_3gpuE6ELNS1_3repE0EEENS1_36merge_oddeven_config_static_selectorELNS0_4arch9wavefront6targetE1EEEvSH_
; %bb.0:
	.section	.rodata,"a",@progbits
	.p2align	6, 0x0
	.amdhsa_kernel _ZN7rocprim17ROCPRIM_400000_NS6detail17trampoline_kernelINS0_14default_configENS1_38merge_sort_block_merge_config_selectorIisEEZZNS1_27merge_sort_block_merge_implIS3_N6thrust23THRUST_200600_302600_NS10device_ptrIiEENS9_IsEEjNS1_19radix_merge_compareILb0ELb0EiNS0_19identity_decomposerEEEEE10hipError_tT0_T1_T2_jT3_P12ihipStream_tbPNSt15iterator_traitsISG_E10value_typeEPNSM_ISH_E10value_typeEPSI_NS1_7vsmem_tEENKUlT_SG_SH_SI_E_clISA_PiSB_PsEESF_SV_SG_SH_SI_EUlSV_E1_NS1_11comp_targetILNS1_3genE2ELNS1_11target_archE906ELNS1_3gpuE6ELNS1_3repE0EEENS1_36merge_oddeven_config_static_selectorELNS0_4arch9wavefront6targetE1EEEvSH_
		.amdhsa_group_segment_fixed_size 0
		.amdhsa_private_segment_fixed_size 0
		.amdhsa_kernarg_size 48
		.amdhsa_user_sgpr_count 2
		.amdhsa_user_sgpr_dispatch_ptr 0
		.amdhsa_user_sgpr_queue_ptr 0
		.amdhsa_user_sgpr_kernarg_segment_ptr 1
		.amdhsa_user_sgpr_dispatch_id 0
		.amdhsa_user_sgpr_kernarg_preload_length 0
		.amdhsa_user_sgpr_kernarg_preload_offset 0
		.amdhsa_user_sgpr_private_segment_size 0
		.amdhsa_uses_dynamic_stack 0
		.amdhsa_enable_private_segment 0
		.amdhsa_system_sgpr_workgroup_id_x 1
		.amdhsa_system_sgpr_workgroup_id_y 0
		.amdhsa_system_sgpr_workgroup_id_z 0
		.amdhsa_system_sgpr_workgroup_info 0
		.amdhsa_system_vgpr_workitem_id 0
		.amdhsa_next_free_vgpr 1
		.amdhsa_next_free_sgpr 0
		.amdhsa_accum_offset 4
		.amdhsa_reserve_vcc 0
		.amdhsa_float_round_mode_32 0
		.amdhsa_float_round_mode_16_64 0
		.amdhsa_float_denorm_mode_32 3
		.amdhsa_float_denorm_mode_16_64 3
		.amdhsa_dx10_clamp 1
		.amdhsa_ieee_mode 1
		.amdhsa_fp16_overflow 0
		.amdhsa_tg_split 0
		.amdhsa_exception_fp_ieee_invalid_op 0
		.amdhsa_exception_fp_denorm_src 0
		.amdhsa_exception_fp_ieee_div_zero 0
		.amdhsa_exception_fp_ieee_overflow 0
		.amdhsa_exception_fp_ieee_underflow 0
		.amdhsa_exception_fp_ieee_inexact 0
		.amdhsa_exception_int_div_zero 0
	.end_amdhsa_kernel
	.section	.text._ZN7rocprim17ROCPRIM_400000_NS6detail17trampoline_kernelINS0_14default_configENS1_38merge_sort_block_merge_config_selectorIisEEZZNS1_27merge_sort_block_merge_implIS3_N6thrust23THRUST_200600_302600_NS10device_ptrIiEENS9_IsEEjNS1_19radix_merge_compareILb0ELb0EiNS0_19identity_decomposerEEEEE10hipError_tT0_T1_T2_jT3_P12ihipStream_tbPNSt15iterator_traitsISG_E10value_typeEPNSM_ISH_E10value_typeEPSI_NS1_7vsmem_tEENKUlT_SG_SH_SI_E_clISA_PiSB_PsEESF_SV_SG_SH_SI_EUlSV_E1_NS1_11comp_targetILNS1_3genE2ELNS1_11target_archE906ELNS1_3gpuE6ELNS1_3repE0EEENS1_36merge_oddeven_config_static_selectorELNS0_4arch9wavefront6targetE1EEEvSH_,"axG",@progbits,_ZN7rocprim17ROCPRIM_400000_NS6detail17trampoline_kernelINS0_14default_configENS1_38merge_sort_block_merge_config_selectorIisEEZZNS1_27merge_sort_block_merge_implIS3_N6thrust23THRUST_200600_302600_NS10device_ptrIiEENS9_IsEEjNS1_19radix_merge_compareILb0ELb0EiNS0_19identity_decomposerEEEEE10hipError_tT0_T1_T2_jT3_P12ihipStream_tbPNSt15iterator_traitsISG_E10value_typeEPNSM_ISH_E10value_typeEPSI_NS1_7vsmem_tEENKUlT_SG_SH_SI_E_clISA_PiSB_PsEESF_SV_SG_SH_SI_EUlSV_E1_NS1_11comp_targetILNS1_3genE2ELNS1_11target_archE906ELNS1_3gpuE6ELNS1_3repE0EEENS1_36merge_oddeven_config_static_selectorELNS0_4arch9wavefront6targetE1EEEvSH_,comdat
.Lfunc_end2335:
	.size	_ZN7rocprim17ROCPRIM_400000_NS6detail17trampoline_kernelINS0_14default_configENS1_38merge_sort_block_merge_config_selectorIisEEZZNS1_27merge_sort_block_merge_implIS3_N6thrust23THRUST_200600_302600_NS10device_ptrIiEENS9_IsEEjNS1_19radix_merge_compareILb0ELb0EiNS0_19identity_decomposerEEEEE10hipError_tT0_T1_T2_jT3_P12ihipStream_tbPNSt15iterator_traitsISG_E10value_typeEPNSM_ISH_E10value_typeEPSI_NS1_7vsmem_tEENKUlT_SG_SH_SI_E_clISA_PiSB_PsEESF_SV_SG_SH_SI_EUlSV_E1_NS1_11comp_targetILNS1_3genE2ELNS1_11target_archE906ELNS1_3gpuE6ELNS1_3repE0EEENS1_36merge_oddeven_config_static_selectorELNS0_4arch9wavefront6targetE1EEEvSH_, .Lfunc_end2335-_ZN7rocprim17ROCPRIM_400000_NS6detail17trampoline_kernelINS0_14default_configENS1_38merge_sort_block_merge_config_selectorIisEEZZNS1_27merge_sort_block_merge_implIS3_N6thrust23THRUST_200600_302600_NS10device_ptrIiEENS9_IsEEjNS1_19radix_merge_compareILb0ELb0EiNS0_19identity_decomposerEEEEE10hipError_tT0_T1_T2_jT3_P12ihipStream_tbPNSt15iterator_traitsISG_E10value_typeEPNSM_ISH_E10value_typeEPSI_NS1_7vsmem_tEENKUlT_SG_SH_SI_E_clISA_PiSB_PsEESF_SV_SG_SH_SI_EUlSV_E1_NS1_11comp_targetILNS1_3genE2ELNS1_11target_archE906ELNS1_3gpuE6ELNS1_3repE0EEENS1_36merge_oddeven_config_static_selectorELNS0_4arch9wavefront6targetE1EEEvSH_
                                        ; -- End function
	.set _ZN7rocprim17ROCPRIM_400000_NS6detail17trampoline_kernelINS0_14default_configENS1_38merge_sort_block_merge_config_selectorIisEEZZNS1_27merge_sort_block_merge_implIS3_N6thrust23THRUST_200600_302600_NS10device_ptrIiEENS9_IsEEjNS1_19radix_merge_compareILb0ELb0EiNS0_19identity_decomposerEEEEE10hipError_tT0_T1_T2_jT3_P12ihipStream_tbPNSt15iterator_traitsISG_E10value_typeEPNSM_ISH_E10value_typeEPSI_NS1_7vsmem_tEENKUlT_SG_SH_SI_E_clISA_PiSB_PsEESF_SV_SG_SH_SI_EUlSV_E1_NS1_11comp_targetILNS1_3genE2ELNS1_11target_archE906ELNS1_3gpuE6ELNS1_3repE0EEENS1_36merge_oddeven_config_static_selectorELNS0_4arch9wavefront6targetE1EEEvSH_.num_vgpr, 0
	.set _ZN7rocprim17ROCPRIM_400000_NS6detail17trampoline_kernelINS0_14default_configENS1_38merge_sort_block_merge_config_selectorIisEEZZNS1_27merge_sort_block_merge_implIS3_N6thrust23THRUST_200600_302600_NS10device_ptrIiEENS9_IsEEjNS1_19radix_merge_compareILb0ELb0EiNS0_19identity_decomposerEEEEE10hipError_tT0_T1_T2_jT3_P12ihipStream_tbPNSt15iterator_traitsISG_E10value_typeEPNSM_ISH_E10value_typeEPSI_NS1_7vsmem_tEENKUlT_SG_SH_SI_E_clISA_PiSB_PsEESF_SV_SG_SH_SI_EUlSV_E1_NS1_11comp_targetILNS1_3genE2ELNS1_11target_archE906ELNS1_3gpuE6ELNS1_3repE0EEENS1_36merge_oddeven_config_static_selectorELNS0_4arch9wavefront6targetE1EEEvSH_.num_agpr, 0
	.set _ZN7rocprim17ROCPRIM_400000_NS6detail17trampoline_kernelINS0_14default_configENS1_38merge_sort_block_merge_config_selectorIisEEZZNS1_27merge_sort_block_merge_implIS3_N6thrust23THRUST_200600_302600_NS10device_ptrIiEENS9_IsEEjNS1_19radix_merge_compareILb0ELb0EiNS0_19identity_decomposerEEEEE10hipError_tT0_T1_T2_jT3_P12ihipStream_tbPNSt15iterator_traitsISG_E10value_typeEPNSM_ISH_E10value_typeEPSI_NS1_7vsmem_tEENKUlT_SG_SH_SI_E_clISA_PiSB_PsEESF_SV_SG_SH_SI_EUlSV_E1_NS1_11comp_targetILNS1_3genE2ELNS1_11target_archE906ELNS1_3gpuE6ELNS1_3repE0EEENS1_36merge_oddeven_config_static_selectorELNS0_4arch9wavefront6targetE1EEEvSH_.numbered_sgpr, 0
	.set _ZN7rocprim17ROCPRIM_400000_NS6detail17trampoline_kernelINS0_14default_configENS1_38merge_sort_block_merge_config_selectorIisEEZZNS1_27merge_sort_block_merge_implIS3_N6thrust23THRUST_200600_302600_NS10device_ptrIiEENS9_IsEEjNS1_19radix_merge_compareILb0ELb0EiNS0_19identity_decomposerEEEEE10hipError_tT0_T1_T2_jT3_P12ihipStream_tbPNSt15iterator_traitsISG_E10value_typeEPNSM_ISH_E10value_typeEPSI_NS1_7vsmem_tEENKUlT_SG_SH_SI_E_clISA_PiSB_PsEESF_SV_SG_SH_SI_EUlSV_E1_NS1_11comp_targetILNS1_3genE2ELNS1_11target_archE906ELNS1_3gpuE6ELNS1_3repE0EEENS1_36merge_oddeven_config_static_selectorELNS0_4arch9wavefront6targetE1EEEvSH_.num_named_barrier, 0
	.set _ZN7rocprim17ROCPRIM_400000_NS6detail17trampoline_kernelINS0_14default_configENS1_38merge_sort_block_merge_config_selectorIisEEZZNS1_27merge_sort_block_merge_implIS3_N6thrust23THRUST_200600_302600_NS10device_ptrIiEENS9_IsEEjNS1_19radix_merge_compareILb0ELb0EiNS0_19identity_decomposerEEEEE10hipError_tT0_T1_T2_jT3_P12ihipStream_tbPNSt15iterator_traitsISG_E10value_typeEPNSM_ISH_E10value_typeEPSI_NS1_7vsmem_tEENKUlT_SG_SH_SI_E_clISA_PiSB_PsEESF_SV_SG_SH_SI_EUlSV_E1_NS1_11comp_targetILNS1_3genE2ELNS1_11target_archE906ELNS1_3gpuE6ELNS1_3repE0EEENS1_36merge_oddeven_config_static_selectorELNS0_4arch9wavefront6targetE1EEEvSH_.private_seg_size, 0
	.set _ZN7rocprim17ROCPRIM_400000_NS6detail17trampoline_kernelINS0_14default_configENS1_38merge_sort_block_merge_config_selectorIisEEZZNS1_27merge_sort_block_merge_implIS3_N6thrust23THRUST_200600_302600_NS10device_ptrIiEENS9_IsEEjNS1_19radix_merge_compareILb0ELb0EiNS0_19identity_decomposerEEEEE10hipError_tT0_T1_T2_jT3_P12ihipStream_tbPNSt15iterator_traitsISG_E10value_typeEPNSM_ISH_E10value_typeEPSI_NS1_7vsmem_tEENKUlT_SG_SH_SI_E_clISA_PiSB_PsEESF_SV_SG_SH_SI_EUlSV_E1_NS1_11comp_targetILNS1_3genE2ELNS1_11target_archE906ELNS1_3gpuE6ELNS1_3repE0EEENS1_36merge_oddeven_config_static_selectorELNS0_4arch9wavefront6targetE1EEEvSH_.uses_vcc, 0
	.set _ZN7rocprim17ROCPRIM_400000_NS6detail17trampoline_kernelINS0_14default_configENS1_38merge_sort_block_merge_config_selectorIisEEZZNS1_27merge_sort_block_merge_implIS3_N6thrust23THRUST_200600_302600_NS10device_ptrIiEENS9_IsEEjNS1_19radix_merge_compareILb0ELb0EiNS0_19identity_decomposerEEEEE10hipError_tT0_T1_T2_jT3_P12ihipStream_tbPNSt15iterator_traitsISG_E10value_typeEPNSM_ISH_E10value_typeEPSI_NS1_7vsmem_tEENKUlT_SG_SH_SI_E_clISA_PiSB_PsEESF_SV_SG_SH_SI_EUlSV_E1_NS1_11comp_targetILNS1_3genE2ELNS1_11target_archE906ELNS1_3gpuE6ELNS1_3repE0EEENS1_36merge_oddeven_config_static_selectorELNS0_4arch9wavefront6targetE1EEEvSH_.uses_flat_scratch, 0
	.set _ZN7rocprim17ROCPRIM_400000_NS6detail17trampoline_kernelINS0_14default_configENS1_38merge_sort_block_merge_config_selectorIisEEZZNS1_27merge_sort_block_merge_implIS3_N6thrust23THRUST_200600_302600_NS10device_ptrIiEENS9_IsEEjNS1_19radix_merge_compareILb0ELb0EiNS0_19identity_decomposerEEEEE10hipError_tT0_T1_T2_jT3_P12ihipStream_tbPNSt15iterator_traitsISG_E10value_typeEPNSM_ISH_E10value_typeEPSI_NS1_7vsmem_tEENKUlT_SG_SH_SI_E_clISA_PiSB_PsEESF_SV_SG_SH_SI_EUlSV_E1_NS1_11comp_targetILNS1_3genE2ELNS1_11target_archE906ELNS1_3gpuE6ELNS1_3repE0EEENS1_36merge_oddeven_config_static_selectorELNS0_4arch9wavefront6targetE1EEEvSH_.has_dyn_sized_stack, 0
	.set _ZN7rocprim17ROCPRIM_400000_NS6detail17trampoline_kernelINS0_14default_configENS1_38merge_sort_block_merge_config_selectorIisEEZZNS1_27merge_sort_block_merge_implIS3_N6thrust23THRUST_200600_302600_NS10device_ptrIiEENS9_IsEEjNS1_19radix_merge_compareILb0ELb0EiNS0_19identity_decomposerEEEEE10hipError_tT0_T1_T2_jT3_P12ihipStream_tbPNSt15iterator_traitsISG_E10value_typeEPNSM_ISH_E10value_typeEPSI_NS1_7vsmem_tEENKUlT_SG_SH_SI_E_clISA_PiSB_PsEESF_SV_SG_SH_SI_EUlSV_E1_NS1_11comp_targetILNS1_3genE2ELNS1_11target_archE906ELNS1_3gpuE6ELNS1_3repE0EEENS1_36merge_oddeven_config_static_selectorELNS0_4arch9wavefront6targetE1EEEvSH_.has_recursion, 0
	.set _ZN7rocprim17ROCPRIM_400000_NS6detail17trampoline_kernelINS0_14default_configENS1_38merge_sort_block_merge_config_selectorIisEEZZNS1_27merge_sort_block_merge_implIS3_N6thrust23THRUST_200600_302600_NS10device_ptrIiEENS9_IsEEjNS1_19radix_merge_compareILb0ELb0EiNS0_19identity_decomposerEEEEE10hipError_tT0_T1_T2_jT3_P12ihipStream_tbPNSt15iterator_traitsISG_E10value_typeEPNSM_ISH_E10value_typeEPSI_NS1_7vsmem_tEENKUlT_SG_SH_SI_E_clISA_PiSB_PsEESF_SV_SG_SH_SI_EUlSV_E1_NS1_11comp_targetILNS1_3genE2ELNS1_11target_archE906ELNS1_3gpuE6ELNS1_3repE0EEENS1_36merge_oddeven_config_static_selectorELNS0_4arch9wavefront6targetE1EEEvSH_.has_indirect_call, 0
	.section	.AMDGPU.csdata,"",@progbits
; Kernel info:
; codeLenInByte = 0
; TotalNumSgprs: 6
; NumVgprs: 0
; NumAgprs: 0
; TotalNumVgprs: 0
; ScratchSize: 0
; MemoryBound: 0
; FloatMode: 240
; IeeeMode: 1
; LDSByteSize: 0 bytes/workgroup (compile time only)
; SGPRBlocks: 0
; VGPRBlocks: 0
; NumSGPRsForWavesPerEU: 6
; NumVGPRsForWavesPerEU: 1
; AccumOffset: 4
; Occupancy: 8
; WaveLimiterHint : 0
; COMPUTE_PGM_RSRC2:SCRATCH_EN: 0
; COMPUTE_PGM_RSRC2:USER_SGPR: 2
; COMPUTE_PGM_RSRC2:TRAP_HANDLER: 0
; COMPUTE_PGM_RSRC2:TGID_X_EN: 1
; COMPUTE_PGM_RSRC2:TGID_Y_EN: 0
; COMPUTE_PGM_RSRC2:TGID_Z_EN: 0
; COMPUTE_PGM_RSRC2:TIDIG_COMP_CNT: 0
; COMPUTE_PGM_RSRC3_GFX90A:ACCUM_OFFSET: 0
; COMPUTE_PGM_RSRC3_GFX90A:TG_SPLIT: 0
	.section	.text._ZN7rocprim17ROCPRIM_400000_NS6detail17trampoline_kernelINS0_14default_configENS1_38merge_sort_block_merge_config_selectorIisEEZZNS1_27merge_sort_block_merge_implIS3_N6thrust23THRUST_200600_302600_NS10device_ptrIiEENS9_IsEEjNS1_19radix_merge_compareILb0ELb0EiNS0_19identity_decomposerEEEEE10hipError_tT0_T1_T2_jT3_P12ihipStream_tbPNSt15iterator_traitsISG_E10value_typeEPNSM_ISH_E10value_typeEPSI_NS1_7vsmem_tEENKUlT_SG_SH_SI_E_clISA_PiSB_PsEESF_SV_SG_SH_SI_EUlSV_E1_NS1_11comp_targetILNS1_3genE9ELNS1_11target_archE1100ELNS1_3gpuE3ELNS1_3repE0EEENS1_36merge_oddeven_config_static_selectorELNS0_4arch9wavefront6targetE1EEEvSH_,"axG",@progbits,_ZN7rocprim17ROCPRIM_400000_NS6detail17trampoline_kernelINS0_14default_configENS1_38merge_sort_block_merge_config_selectorIisEEZZNS1_27merge_sort_block_merge_implIS3_N6thrust23THRUST_200600_302600_NS10device_ptrIiEENS9_IsEEjNS1_19radix_merge_compareILb0ELb0EiNS0_19identity_decomposerEEEEE10hipError_tT0_T1_T2_jT3_P12ihipStream_tbPNSt15iterator_traitsISG_E10value_typeEPNSM_ISH_E10value_typeEPSI_NS1_7vsmem_tEENKUlT_SG_SH_SI_E_clISA_PiSB_PsEESF_SV_SG_SH_SI_EUlSV_E1_NS1_11comp_targetILNS1_3genE9ELNS1_11target_archE1100ELNS1_3gpuE3ELNS1_3repE0EEENS1_36merge_oddeven_config_static_selectorELNS0_4arch9wavefront6targetE1EEEvSH_,comdat
	.protected	_ZN7rocprim17ROCPRIM_400000_NS6detail17trampoline_kernelINS0_14default_configENS1_38merge_sort_block_merge_config_selectorIisEEZZNS1_27merge_sort_block_merge_implIS3_N6thrust23THRUST_200600_302600_NS10device_ptrIiEENS9_IsEEjNS1_19radix_merge_compareILb0ELb0EiNS0_19identity_decomposerEEEEE10hipError_tT0_T1_T2_jT3_P12ihipStream_tbPNSt15iterator_traitsISG_E10value_typeEPNSM_ISH_E10value_typeEPSI_NS1_7vsmem_tEENKUlT_SG_SH_SI_E_clISA_PiSB_PsEESF_SV_SG_SH_SI_EUlSV_E1_NS1_11comp_targetILNS1_3genE9ELNS1_11target_archE1100ELNS1_3gpuE3ELNS1_3repE0EEENS1_36merge_oddeven_config_static_selectorELNS0_4arch9wavefront6targetE1EEEvSH_ ; -- Begin function _ZN7rocprim17ROCPRIM_400000_NS6detail17trampoline_kernelINS0_14default_configENS1_38merge_sort_block_merge_config_selectorIisEEZZNS1_27merge_sort_block_merge_implIS3_N6thrust23THRUST_200600_302600_NS10device_ptrIiEENS9_IsEEjNS1_19radix_merge_compareILb0ELb0EiNS0_19identity_decomposerEEEEE10hipError_tT0_T1_T2_jT3_P12ihipStream_tbPNSt15iterator_traitsISG_E10value_typeEPNSM_ISH_E10value_typeEPSI_NS1_7vsmem_tEENKUlT_SG_SH_SI_E_clISA_PiSB_PsEESF_SV_SG_SH_SI_EUlSV_E1_NS1_11comp_targetILNS1_3genE9ELNS1_11target_archE1100ELNS1_3gpuE3ELNS1_3repE0EEENS1_36merge_oddeven_config_static_selectorELNS0_4arch9wavefront6targetE1EEEvSH_
	.globl	_ZN7rocprim17ROCPRIM_400000_NS6detail17trampoline_kernelINS0_14default_configENS1_38merge_sort_block_merge_config_selectorIisEEZZNS1_27merge_sort_block_merge_implIS3_N6thrust23THRUST_200600_302600_NS10device_ptrIiEENS9_IsEEjNS1_19radix_merge_compareILb0ELb0EiNS0_19identity_decomposerEEEEE10hipError_tT0_T1_T2_jT3_P12ihipStream_tbPNSt15iterator_traitsISG_E10value_typeEPNSM_ISH_E10value_typeEPSI_NS1_7vsmem_tEENKUlT_SG_SH_SI_E_clISA_PiSB_PsEESF_SV_SG_SH_SI_EUlSV_E1_NS1_11comp_targetILNS1_3genE9ELNS1_11target_archE1100ELNS1_3gpuE3ELNS1_3repE0EEENS1_36merge_oddeven_config_static_selectorELNS0_4arch9wavefront6targetE1EEEvSH_
	.p2align	8
	.type	_ZN7rocprim17ROCPRIM_400000_NS6detail17trampoline_kernelINS0_14default_configENS1_38merge_sort_block_merge_config_selectorIisEEZZNS1_27merge_sort_block_merge_implIS3_N6thrust23THRUST_200600_302600_NS10device_ptrIiEENS9_IsEEjNS1_19radix_merge_compareILb0ELb0EiNS0_19identity_decomposerEEEEE10hipError_tT0_T1_T2_jT3_P12ihipStream_tbPNSt15iterator_traitsISG_E10value_typeEPNSM_ISH_E10value_typeEPSI_NS1_7vsmem_tEENKUlT_SG_SH_SI_E_clISA_PiSB_PsEESF_SV_SG_SH_SI_EUlSV_E1_NS1_11comp_targetILNS1_3genE9ELNS1_11target_archE1100ELNS1_3gpuE3ELNS1_3repE0EEENS1_36merge_oddeven_config_static_selectorELNS0_4arch9wavefront6targetE1EEEvSH_,@function
_ZN7rocprim17ROCPRIM_400000_NS6detail17trampoline_kernelINS0_14default_configENS1_38merge_sort_block_merge_config_selectorIisEEZZNS1_27merge_sort_block_merge_implIS3_N6thrust23THRUST_200600_302600_NS10device_ptrIiEENS9_IsEEjNS1_19radix_merge_compareILb0ELb0EiNS0_19identity_decomposerEEEEE10hipError_tT0_T1_T2_jT3_P12ihipStream_tbPNSt15iterator_traitsISG_E10value_typeEPNSM_ISH_E10value_typeEPSI_NS1_7vsmem_tEENKUlT_SG_SH_SI_E_clISA_PiSB_PsEESF_SV_SG_SH_SI_EUlSV_E1_NS1_11comp_targetILNS1_3genE9ELNS1_11target_archE1100ELNS1_3gpuE3ELNS1_3repE0EEENS1_36merge_oddeven_config_static_selectorELNS0_4arch9wavefront6targetE1EEEvSH_: ; @_ZN7rocprim17ROCPRIM_400000_NS6detail17trampoline_kernelINS0_14default_configENS1_38merge_sort_block_merge_config_selectorIisEEZZNS1_27merge_sort_block_merge_implIS3_N6thrust23THRUST_200600_302600_NS10device_ptrIiEENS9_IsEEjNS1_19radix_merge_compareILb0ELb0EiNS0_19identity_decomposerEEEEE10hipError_tT0_T1_T2_jT3_P12ihipStream_tbPNSt15iterator_traitsISG_E10value_typeEPNSM_ISH_E10value_typeEPSI_NS1_7vsmem_tEENKUlT_SG_SH_SI_E_clISA_PiSB_PsEESF_SV_SG_SH_SI_EUlSV_E1_NS1_11comp_targetILNS1_3genE9ELNS1_11target_archE1100ELNS1_3gpuE3ELNS1_3repE0EEENS1_36merge_oddeven_config_static_selectorELNS0_4arch9wavefront6targetE1EEEvSH_
; %bb.0:
	.section	.rodata,"a",@progbits
	.p2align	6, 0x0
	.amdhsa_kernel _ZN7rocprim17ROCPRIM_400000_NS6detail17trampoline_kernelINS0_14default_configENS1_38merge_sort_block_merge_config_selectorIisEEZZNS1_27merge_sort_block_merge_implIS3_N6thrust23THRUST_200600_302600_NS10device_ptrIiEENS9_IsEEjNS1_19radix_merge_compareILb0ELb0EiNS0_19identity_decomposerEEEEE10hipError_tT0_T1_T2_jT3_P12ihipStream_tbPNSt15iterator_traitsISG_E10value_typeEPNSM_ISH_E10value_typeEPSI_NS1_7vsmem_tEENKUlT_SG_SH_SI_E_clISA_PiSB_PsEESF_SV_SG_SH_SI_EUlSV_E1_NS1_11comp_targetILNS1_3genE9ELNS1_11target_archE1100ELNS1_3gpuE3ELNS1_3repE0EEENS1_36merge_oddeven_config_static_selectorELNS0_4arch9wavefront6targetE1EEEvSH_
		.amdhsa_group_segment_fixed_size 0
		.amdhsa_private_segment_fixed_size 0
		.amdhsa_kernarg_size 48
		.amdhsa_user_sgpr_count 2
		.amdhsa_user_sgpr_dispatch_ptr 0
		.amdhsa_user_sgpr_queue_ptr 0
		.amdhsa_user_sgpr_kernarg_segment_ptr 1
		.amdhsa_user_sgpr_dispatch_id 0
		.amdhsa_user_sgpr_kernarg_preload_length 0
		.amdhsa_user_sgpr_kernarg_preload_offset 0
		.amdhsa_user_sgpr_private_segment_size 0
		.amdhsa_uses_dynamic_stack 0
		.amdhsa_enable_private_segment 0
		.amdhsa_system_sgpr_workgroup_id_x 1
		.amdhsa_system_sgpr_workgroup_id_y 0
		.amdhsa_system_sgpr_workgroup_id_z 0
		.amdhsa_system_sgpr_workgroup_info 0
		.amdhsa_system_vgpr_workitem_id 0
		.amdhsa_next_free_vgpr 1
		.amdhsa_next_free_sgpr 0
		.amdhsa_accum_offset 4
		.amdhsa_reserve_vcc 0
		.amdhsa_float_round_mode_32 0
		.amdhsa_float_round_mode_16_64 0
		.amdhsa_float_denorm_mode_32 3
		.amdhsa_float_denorm_mode_16_64 3
		.amdhsa_dx10_clamp 1
		.amdhsa_ieee_mode 1
		.amdhsa_fp16_overflow 0
		.amdhsa_tg_split 0
		.amdhsa_exception_fp_ieee_invalid_op 0
		.amdhsa_exception_fp_denorm_src 0
		.amdhsa_exception_fp_ieee_div_zero 0
		.amdhsa_exception_fp_ieee_overflow 0
		.amdhsa_exception_fp_ieee_underflow 0
		.amdhsa_exception_fp_ieee_inexact 0
		.amdhsa_exception_int_div_zero 0
	.end_amdhsa_kernel
	.section	.text._ZN7rocprim17ROCPRIM_400000_NS6detail17trampoline_kernelINS0_14default_configENS1_38merge_sort_block_merge_config_selectorIisEEZZNS1_27merge_sort_block_merge_implIS3_N6thrust23THRUST_200600_302600_NS10device_ptrIiEENS9_IsEEjNS1_19radix_merge_compareILb0ELb0EiNS0_19identity_decomposerEEEEE10hipError_tT0_T1_T2_jT3_P12ihipStream_tbPNSt15iterator_traitsISG_E10value_typeEPNSM_ISH_E10value_typeEPSI_NS1_7vsmem_tEENKUlT_SG_SH_SI_E_clISA_PiSB_PsEESF_SV_SG_SH_SI_EUlSV_E1_NS1_11comp_targetILNS1_3genE9ELNS1_11target_archE1100ELNS1_3gpuE3ELNS1_3repE0EEENS1_36merge_oddeven_config_static_selectorELNS0_4arch9wavefront6targetE1EEEvSH_,"axG",@progbits,_ZN7rocprim17ROCPRIM_400000_NS6detail17trampoline_kernelINS0_14default_configENS1_38merge_sort_block_merge_config_selectorIisEEZZNS1_27merge_sort_block_merge_implIS3_N6thrust23THRUST_200600_302600_NS10device_ptrIiEENS9_IsEEjNS1_19radix_merge_compareILb0ELb0EiNS0_19identity_decomposerEEEEE10hipError_tT0_T1_T2_jT3_P12ihipStream_tbPNSt15iterator_traitsISG_E10value_typeEPNSM_ISH_E10value_typeEPSI_NS1_7vsmem_tEENKUlT_SG_SH_SI_E_clISA_PiSB_PsEESF_SV_SG_SH_SI_EUlSV_E1_NS1_11comp_targetILNS1_3genE9ELNS1_11target_archE1100ELNS1_3gpuE3ELNS1_3repE0EEENS1_36merge_oddeven_config_static_selectorELNS0_4arch9wavefront6targetE1EEEvSH_,comdat
.Lfunc_end2336:
	.size	_ZN7rocprim17ROCPRIM_400000_NS6detail17trampoline_kernelINS0_14default_configENS1_38merge_sort_block_merge_config_selectorIisEEZZNS1_27merge_sort_block_merge_implIS3_N6thrust23THRUST_200600_302600_NS10device_ptrIiEENS9_IsEEjNS1_19radix_merge_compareILb0ELb0EiNS0_19identity_decomposerEEEEE10hipError_tT0_T1_T2_jT3_P12ihipStream_tbPNSt15iterator_traitsISG_E10value_typeEPNSM_ISH_E10value_typeEPSI_NS1_7vsmem_tEENKUlT_SG_SH_SI_E_clISA_PiSB_PsEESF_SV_SG_SH_SI_EUlSV_E1_NS1_11comp_targetILNS1_3genE9ELNS1_11target_archE1100ELNS1_3gpuE3ELNS1_3repE0EEENS1_36merge_oddeven_config_static_selectorELNS0_4arch9wavefront6targetE1EEEvSH_, .Lfunc_end2336-_ZN7rocprim17ROCPRIM_400000_NS6detail17trampoline_kernelINS0_14default_configENS1_38merge_sort_block_merge_config_selectorIisEEZZNS1_27merge_sort_block_merge_implIS3_N6thrust23THRUST_200600_302600_NS10device_ptrIiEENS9_IsEEjNS1_19radix_merge_compareILb0ELb0EiNS0_19identity_decomposerEEEEE10hipError_tT0_T1_T2_jT3_P12ihipStream_tbPNSt15iterator_traitsISG_E10value_typeEPNSM_ISH_E10value_typeEPSI_NS1_7vsmem_tEENKUlT_SG_SH_SI_E_clISA_PiSB_PsEESF_SV_SG_SH_SI_EUlSV_E1_NS1_11comp_targetILNS1_3genE9ELNS1_11target_archE1100ELNS1_3gpuE3ELNS1_3repE0EEENS1_36merge_oddeven_config_static_selectorELNS0_4arch9wavefront6targetE1EEEvSH_
                                        ; -- End function
	.set _ZN7rocprim17ROCPRIM_400000_NS6detail17trampoline_kernelINS0_14default_configENS1_38merge_sort_block_merge_config_selectorIisEEZZNS1_27merge_sort_block_merge_implIS3_N6thrust23THRUST_200600_302600_NS10device_ptrIiEENS9_IsEEjNS1_19radix_merge_compareILb0ELb0EiNS0_19identity_decomposerEEEEE10hipError_tT0_T1_T2_jT3_P12ihipStream_tbPNSt15iterator_traitsISG_E10value_typeEPNSM_ISH_E10value_typeEPSI_NS1_7vsmem_tEENKUlT_SG_SH_SI_E_clISA_PiSB_PsEESF_SV_SG_SH_SI_EUlSV_E1_NS1_11comp_targetILNS1_3genE9ELNS1_11target_archE1100ELNS1_3gpuE3ELNS1_3repE0EEENS1_36merge_oddeven_config_static_selectorELNS0_4arch9wavefront6targetE1EEEvSH_.num_vgpr, 0
	.set _ZN7rocprim17ROCPRIM_400000_NS6detail17trampoline_kernelINS0_14default_configENS1_38merge_sort_block_merge_config_selectorIisEEZZNS1_27merge_sort_block_merge_implIS3_N6thrust23THRUST_200600_302600_NS10device_ptrIiEENS9_IsEEjNS1_19radix_merge_compareILb0ELb0EiNS0_19identity_decomposerEEEEE10hipError_tT0_T1_T2_jT3_P12ihipStream_tbPNSt15iterator_traitsISG_E10value_typeEPNSM_ISH_E10value_typeEPSI_NS1_7vsmem_tEENKUlT_SG_SH_SI_E_clISA_PiSB_PsEESF_SV_SG_SH_SI_EUlSV_E1_NS1_11comp_targetILNS1_3genE9ELNS1_11target_archE1100ELNS1_3gpuE3ELNS1_3repE0EEENS1_36merge_oddeven_config_static_selectorELNS0_4arch9wavefront6targetE1EEEvSH_.num_agpr, 0
	.set _ZN7rocprim17ROCPRIM_400000_NS6detail17trampoline_kernelINS0_14default_configENS1_38merge_sort_block_merge_config_selectorIisEEZZNS1_27merge_sort_block_merge_implIS3_N6thrust23THRUST_200600_302600_NS10device_ptrIiEENS9_IsEEjNS1_19radix_merge_compareILb0ELb0EiNS0_19identity_decomposerEEEEE10hipError_tT0_T1_T2_jT3_P12ihipStream_tbPNSt15iterator_traitsISG_E10value_typeEPNSM_ISH_E10value_typeEPSI_NS1_7vsmem_tEENKUlT_SG_SH_SI_E_clISA_PiSB_PsEESF_SV_SG_SH_SI_EUlSV_E1_NS1_11comp_targetILNS1_3genE9ELNS1_11target_archE1100ELNS1_3gpuE3ELNS1_3repE0EEENS1_36merge_oddeven_config_static_selectorELNS0_4arch9wavefront6targetE1EEEvSH_.numbered_sgpr, 0
	.set _ZN7rocprim17ROCPRIM_400000_NS6detail17trampoline_kernelINS0_14default_configENS1_38merge_sort_block_merge_config_selectorIisEEZZNS1_27merge_sort_block_merge_implIS3_N6thrust23THRUST_200600_302600_NS10device_ptrIiEENS9_IsEEjNS1_19radix_merge_compareILb0ELb0EiNS0_19identity_decomposerEEEEE10hipError_tT0_T1_T2_jT3_P12ihipStream_tbPNSt15iterator_traitsISG_E10value_typeEPNSM_ISH_E10value_typeEPSI_NS1_7vsmem_tEENKUlT_SG_SH_SI_E_clISA_PiSB_PsEESF_SV_SG_SH_SI_EUlSV_E1_NS1_11comp_targetILNS1_3genE9ELNS1_11target_archE1100ELNS1_3gpuE3ELNS1_3repE0EEENS1_36merge_oddeven_config_static_selectorELNS0_4arch9wavefront6targetE1EEEvSH_.num_named_barrier, 0
	.set _ZN7rocprim17ROCPRIM_400000_NS6detail17trampoline_kernelINS0_14default_configENS1_38merge_sort_block_merge_config_selectorIisEEZZNS1_27merge_sort_block_merge_implIS3_N6thrust23THRUST_200600_302600_NS10device_ptrIiEENS9_IsEEjNS1_19radix_merge_compareILb0ELb0EiNS0_19identity_decomposerEEEEE10hipError_tT0_T1_T2_jT3_P12ihipStream_tbPNSt15iterator_traitsISG_E10value_typeEPNSM_ISH_E10value_typeEPSI_NS1_7vsmem_tEENKUlT_SG_SH_SI_E_clISA_PiSB_PsEESF_SV_SG_SH_SI_EUlSV_E1_NS1_11comp_targetILNS1_3genE9ELNS1_11target_archE1100ELNS1_3gpuE3ELNS1_3repE0EEENS1_36merge_oddeven_config_static_selectorELNS0_4arch9wavefront6targetE1EEEvSH_.private_seg_size, 0
	.set _ZN7rocprim17ROCPRIM_400000_NS6detail17trampoline_kernelINS0_14default_configENS1_38merge_sort_block_merge_config_selectorIisEEZZNS1_27merge_sort_block_merge_implIS3_N6thrust23THRUST_200600_302600_NS10device_ptrIiEENS9_IsEEjNS1_19radix_merge_compareILb0ELb0EiNS0_19identity_decomposerEEEEE10hipError_tT0_T1_T2_jT3_P12ihipStream_tbPNSt15iterator_traitsISG_E10value_typeEPNSM_ISH_E10value_typeEPSI_NS1_7vsmem_tEENKUlT_SG_SH_SI_E_clISA_PiSB_PsEESF_SV_SG_SH_SI_EUlSV_E1_NS1_11comp_targetILNS1_3genE9ELNS1_11target_archE1100ELNS1_3gpuE3ELNS1_3repE0EEENS1_36merge_oddeven_config_static_selectorELNS0_4arch9wavefront6targetE1EEEvSH_.uses_vcc, 0
	.set _ZN7rocprim17ROCPRIM_400000_NS6detail17trampoline_kernelINS0_14default_configENS1_38merge_sort_block_merge_config_selectorIisEEZZNS1_27merge_sort_block_merge_implIS3_N6thrust23THRUST_200600_302600_NS10device_ptrIiEENS9_IsEEjNS1_19radix_merge_compareILb0ELb0EiNS0_19identity_decomposerEEEEE10hipError_tT0_T1_T2_jT3_P12ihipStream_tbPNSt15iterator_traitsISG_E10value_typeEPNSM_ISH_E10value_typeEPSI_NS1_7vsmem_tEENKUlT_SG_SH_SI_E_clISA_PiSB_PsEESF_SV_SG_SH_SI_EUlSV_E1_NS1_11comp_targetILNS1_3genE9ELNS1_11target_archE1100ELNS1_3gpuE3ELNS1_3repE0EEENS1_36merge_oddeven_config_static_selectorELNS0_4arch9wavefront6targetE1EEEvSH_.uses_flat_scratch, 0
	.set _ZN7rocprim17ROCPRIM_400000_NS6detail17trampoline_kernelINS0_14default_configENS1_38merge_sort_block_merge_config_selectorIisEEZZNS1_27merge_sort_block_merge_implIS3_N6thrust23THRUST_200600_302600_NS10device_ptrIiEENS9_IsEEjNS1_19radix_merge_compareILb0ELb0EiNS0_19identity_decomposerEEEEE10hipError_tT0_T1_T2_jT3_P12ihipStream_tbPNSt15iterator_traitsISG_E10value_typeEPNSM_ISH_E10value_typeEPSI_NS1_7vsmem_tEENKUlT_SG_SH_SI_E_clISA_PiSB_PsEESF_SV_SG_SH_SI_EUlSV_E1_NS1_11comp_targetILNS1_3genE9ELNS1_11target_archE1100ELNS1_3gpuE3ELNS1_3repE0EEENS1_36merge_oddeven_config_static_selectorELNS0_4arch9wavefront6targetE1EEEvSH_.has_dyn_sized_stack, 0
	.set _ZN7rocprim17ROCPRIM_400000_NS6detail17trampoline_kernelINS0_14default_configENS1_38merge_sort_block_merge_config_selectorIisEEZZNS1_27merge_sort_block_merge_implIS3_N6thrust23THRUST_200600_302600_NS10device_ptrIiEENS9_IsEEjNS1_19radix_merge_compareILb0ELb0EiNS0_19identity_decomposerEEEEE10hipError_tT0_T1_T2_jT3_P12ihipStream_tbPNSt15iterator_traitsISG_E10value_typeEPNSM_ISH_E10value_typeEPSI_NS1_7vsmem_tEENKUlT_SG_SH_SI_E_clISA_PiSB_PsEESF_SV_SG_SH_SI_EUlSV_E1_NS1_11comp_targetILNS1_3genE9ELNS1_11target_archE1100ELNS1_3gpuE3ELNS1_3repE0EEENS1_36merge_oddeven_config_static_selectorELNS0_4arch9wavefront6targetE1EEEvSH_.has_recursion, 0
	.set _ZN7rocprim17ROCPRIM_400000_NS6detail17trampoline_kernelINS0_14default_configENS1_38merge_sort_block_merge_config_selectorIisEEZZNS1_27merge_sort_block_merge_implIS3_N6thrust23THRUST_200600_302600_NS10device_ptrIiEENS9_IsEEjNS1_19radix_merge_compareILb0ELb0EiNS0_19identity_decomposerEEEEE10hipError_tT0_T1_T2_jT3_P12ihipStream_tbPNSt15iterator_traitsISG_E10value_typeEPNSM_ISH_E10value_typeEPSI_NS1_7vsmem_tEENKUlT_SG_SH_SI_E_clISA_PiSB_PsEESF_SV_SG_SH_SI_EUlSV_E1_NS1_11comp_targetILNS1_3genE9ELNS1_11target_archE1100ELNS1_3gpuE3ELNS1_3repE0EEENS1_36merge_oddeven_config_static_selectorELNS0_4arch9wavefront6targetE1EEEvSH_.has_indirect_call, 0
	.section	.AMDGPU.csdata,"",@progbits
; Kernel info:
; codeLenInByte = 0
; TotalNumSgprs: 6
; NumVgprs: 0
; NumAgprs: 0
; TotalNumVgprs: 0
; ScratchSize: 0
; MemoryBound: 0
; FloatMode: 240
; IeeeMode: 1
; LDSByteSize: 0 bytes/workgroup (compile time only)
; SGPRBlocks: 0
; VGPRBlocks: 0
; NumSGPRsForWavesPerEU: 6
; NumVGPRsForWavesPerEU: 1
; AccumOffset: 4
; Occupancy: 8
; WaveLimiterHint : 0
; COMPUTE_PGM_RSRC2:SCRATCH_EN: 0
; COMPUTE_PGM_RSRC2:USER_SGPR: 2
; COMPUTE_PGM_RSRC2:TRAP_HANDLER: 0
; COMPUTE_PGM_RSRC2:TGID_X_EN: 1
; COMPUTE_PGM_RSRC2:TGID_Y_EN: 0
; COMPUTE_PGM_RSRC2:TGID_Z_EN: 0
; COMPUTE_PGM_RSRC2:TIDIG_COMP_CNT: 0
; COMPUTE_PGM_RSRC3_GFX90A:ACCUM_OFFSET: 0
; COMPUTE_PGM_RSRC3_GFX90A:TG_SPLIT: 0
	.section	.text._ZN7rocprim17ROCPRIM_400000_NS6detail17trampoline_kernelINS0_14default_configENS1_38merge_sort_block_merge_config_selectorIisEEZZNS1_27merge_sort_block_merge_implIS3_N6thrust23THRUST_200600_302600_NS10device_ptrIiEENS9_IsEEjNS1_19radix_merge_compareILb0ELb0EiNS0_19identity_decomposerEEEEE10hipError_tT0_T1_T2_jT3_P12ihipStream_tbPNSt15iterator_traitsISG_E10value_typeEPNSM_ISH_E10value_typeEPSI_NS1_7vsmem_tEENKUlT_SG_SH_SI_E_clISA_PiSB_PsEESF_SV_SG_SH_SI_EUlSV_E1_NS1_11comp_targetILNS1_3genE8ELNS1_11target_archE1030ELNS1_3gpuE2ELNS1_3repE0EEENS1_36merge_oddeven_config_static_selectorELNS0_4arch9wavefront6targetE1EEEvSH_,"axG",@progbits,_ZN7rocprim17ROCPRIM_400000_NS6detail17trampoline_kernelINS0_14default_configENS1_38merge_sort_block_merge_config_selectorIisEEZZNS1_27merge_sort_block_merge_implIS3_N6thrust23THRUST_200600_302600_NS10device_ptrIiEENS9_IsEEjNS1_19radix_merge_compareILb0ELb0EiNS0_19identity_decomposerEEEEE10hipError_tT0_T1_T2_jT3_P12ihipStream_tbPNSt15iterator_traitsISG_E10value_typeEPNSM_ISH_E10value_typeEPSI_NS1_7vsmem_tEENKUlT_SG_SH_SI_E_clISA_PiSB_PsEESF_SV_SG_SH_SI_EUlSV_E1_NS1_11comp_targetILNS1_3genE8ELNS1_11target_archE1030ELNS1_3gpuE2ELNS1_3repE0EEENS1_36merge_oddeven_config_static_selectorELNS0_4arch9wavefront6targetE1EEEvSH_,comdat
	.protected	_ZN7rocprim17ROCPRIM_400000_NS6detail17trampoline_kernelINS0_14default_configENS1_38merge_sort_block_merge_config_selectorIisEEZZNS1_27merge_sort_block_merge_implIS3_N6thrust23THRUST_200600_302600_NS10device_ptrIiEENS9_IsEEjNS1_19radix_merge_compareILb0ELb0EiNS0_19identity_decomposerEEEEE10hipError_tT0_T1_T2_jT3_P12ihipStream_tbPNSt15iterator_traitsISG_E10value_typeEPNSM_ISH_E10value_typeEPSI_NS1_7vsmem_tEENKUlT_SG_SH_SI_E_clISA_PiSB_PsEESF_SV_SG_SH_SI_EUlSV_E1_NS1_11comp_targetILNS1_3genE8ELNS1_11target_archE1030ELNS1_3gpuE2ELNS1_3repE0EEENS1_36merge_oddeven_config_static_selectorELNS0_4arch9wavefront6targetE1EEEvSH_ ; -- Begin function _ZN7rocprim17ROCPRIM_400000_NS6detail17trampoline_kernelINS0_14default_configENS1_38merge_sort_block_merge_config_selectorIisEEZZNS1_27merge_sort_block_merge_implIS3_N6thrust23THRUST_200600_302600_NS10device_ptrIiEENS9_IsEEjNS1_19radix_merge_compareILb0ELb0EiNS0_19identity_decomposerEEEEE10hipError_tT0_T1_T2_jT3_P12ihipStream_tbPNSt15iterator_traitsISG_E10value_typeEPNSM_ISH_E10value_typeEPSI_NS1_7vsmem_tEENKUlT_SG_SH_SI_E_clISA_PiSB_PsEESF_SV_SG_SH_SI_EUlSV_E1_NS1_11comp_targetILNS1_3genE8ELNS1_11target_archE1030ELNS1_3gpuE2ELNS1_3repE0EEENS1_36merge_oddeven_config_static_selectorELNS0_4arch9wavefront6targetE1EEEvSH_
	.globl	_ZN7rocprim17ROCPRIM_400000_NS6detail17trampoline_kernelINS0_14default_configENS1_38merge_sort_block_merge_config_selectorIisEEZZNS1_27merge_sort_block_merge_implIS3_N6thrust23THRUST_200600_302600_NS10device_ptrIiEENS9_IsEEjNS1_19radix_merge_compareILb0ELb0EiNS0_19identity_decomposerEEEEE10hipError_tT0_T1_T2_jT3_P12ihipStream_tbPNSt15iterator_traitsISG_E10value_typeEPNSM_ISH_E10value_typeEPSI_NS1_7vsmem_tEENKUlT_SG_SH_SI_E_clISA_PiSB_PsEESF_SV_SG_SH_SI_EUlSV_E1_NS1_11comp_targetILNS1_3genE8ELNS1_11target_archE1030ELNS1_3gpuE2ELNS1_3repE0EEENS1_36merge_oddeven_config_static_selectorELNS0_4arch9wavefront6targetE1EEEvSH_
	.p2align	8
	.type	_ZN7rocprim17ROCPRIM_400000_NS6detail17trampoline_kernelINS0_14default_configENS1_38merge_sort_block_merge_config_selectorIisEEZZNS1_27merge_sort_block_merge_implIS3_N6thrust23THRUST_200600_302600_NS10device_ptrIiEENS9_IsEEjNS1_19radix_merge_compareILb0ELb0EiNS0_19identity_decomposerEEEEE10hipError_tT0_T1_T2_jT3_P12ihipStream_tbPNSt15iterator_traitsISG_E10value_typeEPNSM_ISH_E10value_typeEPSI_NS1_7vsmem_tEENKUlT_SG_SH_SI_E_clISA_PiSB_PsEESF_SV_SG_SH_SI_EUlSV_E1_NS1_11comp_targetILNS1_3genE8ELNS1_11target_archE1030ELNS1_3gpuE2ELNS1_3repE0EEENS1_36merge_oddeven_config_static_selectorELNS0_4arch9wavefront6targetE1EEEvSH_,@function
_ZN7rocprim17ROCPRIM_400000_NS6detail17trampoline_kernelINS0_14default_configENS1_38merge_sort_block_merge_config_selectorIisEEZZNS1_27merge_sort_block_merge_implIS3_N6thrust23THRUST_200600_302600_NS10device_ptrIiEENS9_IsEEjNS1_19radix_merge_compareILb0ELb0EiNS0_19identity_decomposerEEEEE10hipError_tT0_T1_T2_jT3_P12ihipStream_tbPNSt15iterator_traitsISG_E10value_typeEPNSM_ISH_E10value_typeEPSI_NS1_7vsmem_tEENKUlT_SG_SH_SI_E_clISA_PiSB_PsEESF_SV_SG_SH_SI_EUlSV_E1_NS1_11comp_targetILNS1_3genE8ELNS1_11target_archE1030ELNS1_3gpuE2ELNS1_3repE0EEENS1_36merge_oddeven_config_static_selectorELNS0_4arch9wavefront6targetE1EEEvSH_: ; @_ZN7rocprim17ROCPRIM_400000_NS6detail17trampoline_kernelINS0_14default_configENS1_38merge_sort_block_merge_config_selectorIisEEZZNS1_27merge_sort_block_merge_implIS3_N6thrust23THRUST_200600_302600_NS10device_ptrIiEENS9_IsEEjNS1_19radix_merge_compareILb0ELb0EiNS0_19identity_decomposerEEEEE10hipError_tT0_T1_T2_jT3_P12ihipStream_tbPNSt15iterator_traitsISG_E10value_typeEPNSM_ISH_E10value_typeEPSI_NS1_7vsmem_tEENKUlT_SG_SH_SI_E_clISA_PiSB_PsEESF_SV_SG_SH_SI_EUlSV_E1_NS1_11comp_targetILNS1_3genE8ELNS1_11target_archE1030ELNS1_3gpuE2ELNS1_3repE0EEENS1_36merge_oddeven_config_static_selectorELNS0_4arch9wavefront6targetE1EEEvSH_
; %bb.0:
	.section	.rodata,"a",@progbits
	.p2align	6, 0x0
	.amdhsa_kernel _ZN7rocprim17ROCPRIM_400000_NS6detail17trampoline_kernelINS0_14default_configENS1_38merge_sort_block_merge_config_selectorIisEEZZNS1_27merge_sort_block_merge_implIS3_N6thrust23THRUST_200600_302600_NS10device_ptrIiEENS9_IsEEjNS1_19radix_merge_compareILb0ELb0EiNS0_19identity_decomposerEEEEE10hipError_tT0_T1_T2_jT3_P12ihipStream_tbPNSt15iterator_traitsISG_E10value_typeEPNSM_ISH_E10value_typeEPSI_NS1_7vsmem_tEENKUlT_SG_SH_SI_E_clISA_PiSB_PsEESF_SV_SG_SH_SI_EUlSV_E1_NS1_11comp_targetILNS1_3genE8ELNS1_11target_archE1030ELNS1_3gpuE2ELNS1_3repE0EEENS1_36merge_oddeven_config_static_selectorELNS0_4arch9wavefront6targetE1EEEvSH_
		.amdhsa_group_segment_fixed_size 0
		.amdhsa_private_segment_fixed_size 0
		.amdhsa_kernarg_size 48
		.amdhsa_user_sgpr_count 2
		.amdhsa_user_sgpr_dispatch_ptr 0
		.amdhsa_user_sgpr_queue_ptr 0
		.amdhsa_user_sgpr_kernarg_segment_ptr 1
		.amdhsa_user_sgpr_dispatch_id 0
		.amdhsa_user_sgpr_kernarg_preload_length 0
		.amdhsa_user_sgpr_kernarg_preload_offset 0
		.amdhsa_user_sgpr_private_segment_size 0
		.amdhsa_uses_dynamic_stack 0
		.amdhsa_enable_private_segment 0
		.amdhsa_system_sgpr_workgroup_id_x 1
		.amdhsa_system_sgpr_workgroup_id_y 0
		.amdhsa_system_sgpr_workgroup_id_z 0
		.amdhsa_system_sgpr_workgroup_info 0
		.amdhsa_system_vgpr_workitem_id 0
		.amdhsa_next_free_vgpr 1
		.amdhsa_next_free_sgpr 0
		.amdhsa_accum_offset 4
		.amdhsa_reserve_vcc 0
		.amdhsa_float_round_mode_32 0
		.amdhsa_float_round_mode_16_64 0
		.amdhsa_float_denorm_mode_32 3
		.amdhsa_float_denorm_mode_16_64 3
		.amdhsa_dx10_clamp 1
		.amdhsa_ieee_mode 1
		.amdhsa_fp16_overflow 0
		.amdhsa_tg_split 0
		.amdhsa_exception_fp_ieee_invalid_op 0
		.amdhsa_exception_fp_denorm_src 0
		.amdhsa_exception_fp_ieee_div_zero 0
		.amdhsa_exception_fp_ieee_overflow 0
		.amdhsa_exception_fp_ieee_underflow 0
		.amdhsa_exception_fp_ieee_inexact 0
		.amdhsa_exception_int_div_zero 0
	.end_amdhsa_kernel
	.section	.text._ZN7rocprim17ROCPRIM_400000_NS6detail17trampoline_kernelINS0_14default_configENS1_38merge_sort_block_merge_config_selectorIisEEZZNS1_27merge_sort_block_merge_implIS3_N6thrust23THRUST_200600_302600_NS10device_ptrIiEENS9_IsEEjNS1_19radix_merge_compareILb0ELb0EiNS0_19identity_decomposerEEEEE10hipError_tT0_T1_T2_jT3_P12ihipStream_tbPNSt15iterator_traitsISG_E10value_typeEPNSM_ISH_E10value_typeEPSI_NS1_7vsmem_tEENKUlT_SG_SH_SI_E_clISA_PiSB_PsEESF_SV_SG_SH_SI_EUlSV_E1_NS1_11comp_targetILNS1_3genE8ELNS1_11target_archE1030ELNS1_3gpuE2ELNS1_3repE0EEENS1_36merge_oddeven_config_static_selectorELNS0_4arch9wavefront6targetE1EEEvSH_,"axG",@progbits,_ZN7rocprim17ROCPRIM_400000_NS6detail17trampoline_kernelINS0_14default_configENS1_38merge_sort_block_merge_config_selectorIisEEZZNS1_27merge_sort_block_merge_implIS3_N6thrust23THRUST_200600_302600_NS10device_ptrIiEENS9_IsEEjNS1_19radix_merge_compareILb0ELb0EiNS0_19identity_decomposerEEEEE10hipError_tT0_T1_T2_jT3_P12ihipStream_tbPNSt15iterator_traitsISG_E10value_typeEPNSM_ISH_E10value_typeEPSI_NS1_7vsmem_tEENKUlT_SG_SH_SI_E_clISA_PiSB_PsEESF_SV_SG_SH_SI_EUlSV_E1_NS1_11comp_targetILNS1_3genE8ELNS1_11target_archE1030ELNS1_3gpuE2ELNS1_3repE0EEENS1_36merge_oddeven_config_static_selectorELNS0_4arch9wavefront6targetE1EEEvSH_,comdat
.Lfunc_end2337:
	.size	_ZN7rocprim17ROCPRIM_400000_NS6detail17trampoline_kernelINS0_14default_configENS1_38merge_sort_block_merge_config_selectorIisEEZZNS1_27merge_sort_block_merge_implIS3_N6thrust23THRUST_200600_302600_NS10device_ptrIiEENS9_IsEEjNS1_19radix_merge_compareILb0ELb0EiNS0_19identity_decomposerEEEEE10hipError_tT0_T1_T2_jT3_P12ihipStream_tbPNSt15iterator_traitsISG_E10value_typeEPNSM_ISH_E10value_typeEPSI_NS1_7vsmem_tEENKUlT_SG_SH_SI_E_clISA_PiSB_PsEESF_SV_SG_SH_SI_EUlSV_E1_NS1_11comp_targetILNS1_3genE8ELNS1_11target_archE1030ELNS1_3gpuE2ELNS1_3repE0EEENS1_36merge_oddeven_config_static_selectorELNS0_4arch9wavefront6targetE1EEEvSH_, .Lfunc_end2337-_ZN7rocprim17ROCPRIM_400000_NS6detail17trampoline_kernelINS0_14default_configENS1_38merge_sort_block_merge_config_selectorIisEEZZNS1_27merge_sort_block_merge_implIS3_N6thrust23THRUST_200600_302600_NS10device_ptrIiEENS9_IsEEjNS1_19radix_merge_compareILb0ELb0EiNS0_19identity_decomposerEEEEE10hipError_tT0_T1_T2_jT3_P12ihipStream_tbPNSt15iterator_traitsISG_E10value_typeEPNSM_ISH_E10value_typeEPSI_NS1_7vsmem_tEENKUlT_SG_SH_SI_E_clISA_PiSB_PsEESF_SV_SG_SH_SI_EUlSV_E1_NS1_11comp_targetILNS1_3genE8ELNS1_11target_archE1030ELNS1_3gpuE2ELNS1_3repE0EEENS1_36merge_oddeven_config_static_selectorELNS0_4arch9wavefront6targetE1EEEvSH_
                                        ; -- End function
	.set _ZN7rocprim17ROCPRIM_400000_NS6detail17trampoline_kernelINS0_14default_configENS1_38merge_sort_block_merge_config_selectorIisEEZZNS1_27merge_sort_block_merge_implIS3_N6thrust23THRUST_200600_302600_NS10device_ptrIiEENS9_IsEEjNS1_19radix_merge_compareILb0ELb0EiNS0_19identity_decomposerEEEEE10hipError_tT0_T1_T2_jT3_P12ihipStream_tbPNSt15iterator_traitsISG_E10value_typeEPNSM_ISH_E10value_typeEPSI_NS1_7vsmem_tEENKUlT_SG_SH_SI_E_clISA_PiSB_PsEESF_SV_SG_SH_SI_EUlSV_E1_NS1_11comp_targetILNS1_3genE8ELNS1_11target_archE1030ELNS1_3gpuE2ELNS1_3repE0EEENS1_36merge_oddeven_config_static_selectorELNS0_4arch9wavefront6targetE1EEEvSH_.num_vgpr, 0
	.set _ZN7rocprim17ROCPRIM_400000_NS6detail17trampoline_kernelINS0_14default_configENS1_38merge_sort_block_merge_config_selectorIisEEZZNS1_27merge_sort_block_merge_implIS3_N6thrust23THRUST_200600_302600_NS10device_ptrIiEENS9_IsEEjNS1_19radix_merge_compareILb0ELb0EiNS0_19identity_decomposerEEEEE10hipError_tT0_T1_T2_jT3_P12ihipStream_tbPNSt15iterator_traitsISG_E10value_typeEPNSM_ISH_E10value_typeEPSI_NS1_7vsmem_tEENKUlT_SG_SH_SI_E_clISA_PiSB_PsEESF_SV_SG_SH_SI_EUlSV_E1_NS1_11comp_targetILNS1_3genE8ELNS1_11target_archE1030ELNS1_3gpuE2ELNS1_3repE0EEENS1_36merge_oddeven_config_static_selectorELNS0_4arch9wavefront6targetE1EEEvSH_.num_agpr, 0
	.set _ZN7rocprim17ROCPRIM_400000_NS6detail17trampoline_kernelINS0_14default_configENS1_38merge_sort_block_merge_config_selectorIisEEZZNS1_27merge_sort_block_merge_implIS3_N6thrust23THRUST_200600_302600_NS10device_ptrIiEENS9_IsEEjNS1_19radix_merge_compareILb0ELb0EiNS0_19identity_decomposerEEEEE10hipError_tT0_T1_T2_jT3_P12ihipStream_tbPNSt15iterator_traitsISG_E10value_typeEPNSM_ISH_E10value_typeEPSI_NS1_7vsmem_tEENKUlT_SG_SH_SI_E_clISA_PiSB_PsEESF_SV_SG_SH_SI_EUlSV_E1_NS1_11comp_targetILNS1_3genE8ELNS1_11target_archE1030ELNS1_3gpuE2ELNS1_3repE0EEENS1_36merge_oddeven_config_static_selectorELNS0_4arch9wavefront6targetE1EEEvSH_.numbered_sgpr, 0
	.set _ZN7rocprim17ROCPRIM_400000_NS6detail17trampoline_kernelINS0_14default_configENS1_38merge_sort_block_merge_config_selectorIisEEZZNS1_27merge_sort_block_merge_implIS3_N6thrust23THRUST_200600_302600_NS10device_ptrIiEENS9_IsEEjNS1_19radix_merge_compareILb0ELb0EiNS0_19identity_decomposerEEEEE10hipError_tT0_T1_T2_jT3_P12ihipStream_tbPNSt15iterator_traitsISG_E10value_typeEPNSM_ISH_E10value_typeEPSI_NS1_7vsmem_tEENKUlT_SG_SH_SI_E_clISA_PiSB_PsEESF_SV_SG_SH_SI_EUlSV_E1_NS1_11comp_targetILNS1_3genE8ELNS1_11target_archE1030ELNS1_3gpuE2ELNS1_3repE0EEENS1_36merge_oddeven_config_static_selectorELNS0_4arch9wavefront6targetE1EEEvSH_.num_named_barrier, 0
	.set _ZN7rocprim17ROCPRIM_400000_NS6detail17trampoline_kernelINS0_14default_configENS1_38merge_sort_block_merge_config_selectorIisEEZZNS1_27merge_sort_block_merge_implIS3_N6thrust23THRUST_200600_302600_NS10device_ptrIiEENS9_IsEEjNS1_19radix_merge_compareILb0ELb0EiNS0_19identity_decomposerEEEEE10hipError_tT0_T1_T2_jT3_P12ihipStream_tbPNSt15iterator_traitsISG_E10value_typeEPNSM_ISH_E10value_typeEPSI_NS1_7vsmem_tEENKUlT_SG_SH_SI_E_clISA_PiSB_PsEESF_SV_SG_SH_SI_EUlSV_E1_NS1_11comp_targetILNS1_3genE8ELNS1_11target_archE1030ELNS1_3gpuE2ELNS1_3repE0EEENS1_36merge_oddeven_config_static_selectorELNS0_4arch9wavefront6targetE1EEEvSH_.private_seg_size, 0
	.set _ZN7rocprim17ROCPRIM_400000_NS6detail17trampoline_kernelINS0_14default_configENS1_38merge_sort_block_merge_config_selectorIisEEZZNS1_27merge_sort_block_merge_implIS3_N6thrust23THRUST_200600_302600_NS10device_ptrIiEENS9_IsEEjNS1_19radix_merge_compareILb0ELb0EiNS0_19identity_decomposerEEEEE10hipError_tT0_T1_T2_jT3_P12ihipStream_tbPNSt15iterator_traitsISG_E10value_typeEPNSM_ISH_E10value_typeEPSI_NS1_7vsmem_tEENKUlT_SG_SH_SI_E_clISA_PiSB_PsEESF_SV_SG_SH_SI_EUlSV_E1_NS1_11comp_targetILNS1_3genE8ELNS1_11target_archE1030ELNS1_3gpuE2ELNS1_3repE0EEENS1_36merge_oddeven_config_static_selectorELNS0_4arch9wavefront6targetE1EEEvSH_.uses_vcc, 0
	.set _ZN7rocprim17ROCPRIM_400000_NS6detail17trampoline_kernelINS0_14default_configENS1_38merge_sort_block_merge_config_selectorIisEEZZNS1_27merge_sort_block_merge_implIS3_N6thrust23THRUST_200600_302600_NS10device_ptrIiEENS9_IsEEjNS1_19radix_merge_compareILb0ELb0EiNS0_19identity_decomposerEEEEE10hipError_tT0_T1_T2_jT3_P12ihipStream_tbPNSt15iterator_traitsISG_E10value_typeEPNSM_ISH_E10value_typeEPSI_NS1_7vsmem_tEENKUlT_SG_SH_SI_E_clISA_PiSB_PsEESF_SV_SG_SH_SI_EUlSV_E1_NS1_11comp_targetILNS1_3genE8ELNS1_11target_archE1030ELNS1_3gpuE2ELNS1_3repE0EEENS1_36merge_oddeven_config_static_selectorELNS0_4arch9wavefront6targetE1EEEvSH_.uses_flat_scratch, 0
	.set _ZN7rocprim17ROCPRIM_400000_NS6detail17trampoline_kernelINS0_14default_configENS1_38merge_sort_block_merge_config_selectorIisEEZZNS1_27merge_sort_block_merge_implIS3_N6thrust23THRUST_200600_302600_NS10device_ptrIiEENS9_IsEEjNS1_19radix_merge_compareILb0ELb0EiNS0_19identity_decomposerEEEEE10hipError_tT0_T1_T2_jT3_P12ihipStream_tbPNSt15iterator_traitsISG_E10value_typeEPNSM_ISH_E10value_typeEPSI_NS1_7vsmem_tEENKUlT_SG_SH_SI_E_clISA_PiSB_PsEESF_SV_SG_SH_SI_EUlSV_E1_NS1_11comp_targetILNS1_3genE8ELNS1_11target_archE1030ELNS1_3gpuE2ELNS1_3repE0EEENS1_36merge_oddeven_config_static_selectorELNS0_4arch9wavefront6targetE1EEEvSH_.has_dyn_sized_stack, 0
	.set _ZN7rocprim17ROCPRIM_400000_NS6detail17trampoline_kernelINS0_14default_configENS1_38merge_sort_block_merge_config_selectorIisEEZZNS1_27merge_sort_block_merge_implIS3_N6thrust23THRUST_200600_302600_NS10device_ptrIiEENS9_IsEEjNS1_19radix_merge_compareILb0ELb0EiNS0_19identity_decomposerEEEEE10hipError_tT0_T1_T2_jT3_P12ihipStream_tbPNSt15iterator_traitsISG_E10value_typeEPNSM_ISH_E10value_typeEPSI_NS1_7vsmem_tEENKUlT_SG_SH_SI_E_clISA_PiSB_PsEESF_SV_SG_SH_SI_EUlSV_E1_NS1_11comp_targetILNS1_3genE8ELNS1_11target_archE1030ELNS1_3gpuE2ELNS1_3repE0EEENS1_36merge_oddeven_config_static_selectorELNS0_4arch9wavefront6targetE1EEEvSH_.has_recursion, 0
	.set _ZN7rocprim17ROCPRIM_400000_NS6detail17trampoline_kernelINS0_14default_configENS1_38merge_sort_block_merge_config_selectorIisEEZZNS1_27merge_sort_block_merge_implIS3_N6thrust23THRUST_200600_302600_NS10device_ptrIiEENS9_IsEEjNS1_19radix_merge_compareILb0ELb0EiNS0_19identity_decomposerEEEEE10hipError_tT0_T1_T2_jT3_P12ihipStream_tbPNSt15iterator_traitsISG_E10value_typeEPNSM_ISH_E10value_typeEPSI_NS1_7vsmem_tEENKUlT_SG_SH_SI_E_clISA_PiSB_PsEESF_SV_SG_SH_SI_EUlSV_E1_NS1_11comp_targetILNS1_3genE8ELNS1_11target_archE1030ELNS1_3gpuE2ELNS1_3repE0EEENS1_36merge_oddeven_config_static_selectorELNS0_4arch9wavefront6targetE1EEEvSH_.has_indirect_call, 0
	.section	.AMDGPU.csdata,"",@progbits
; Kernel info:
; codeLenInByte = 0
; TotalNumSgprs: 6
; NumVgprs: 0
; NumAgprs: 0
; TotalNumVgprs: 0
; ScratchSize: 0
; MemoryBound: 0
; FloatMode: 240
; IeeeMode: 1
; LDSByteSize: 0 bytes/workgroup (compile time only)
; SGPRBlocks: 0
; VGPRBlocks: 0
; NumSGPRsForWavesPerEU: 6
; NumVGPRsForWavesPerEU: 1
; AccumOffset: 4
; Occupancy: 8
; WaveLimiterHint : 0
; COMPUTE_PGM_RSRC2:SCRATCH_EN: 0
; COMPUTE_PGM_RSRC2:USER_SGPR: 2
; COMPUTE_PGM_RSRC2:TRAP_HANDLER: 0
; COMPUTE_PGM_RSRC2:TGID_X_EN: 1
; COMPUTE_PGM_RSRC2:TGID_Y_EN: 0
; COMPUTE_PGM_RSRC2:TGID_Z_EN: 0
; COMPUTE_PGM_RSRC2:TIDIG_COMP_CNT: 0
; COMPUTE_PGM_RSRC3_GFX90A:ACCUM_OFFSET: 0
; COMPUTE_PGM_RSRC3_GFX90A:TG_SPLIT: 0
	.section	.text._ZN7rocprim17ROCPRIM_400000_NS6detail17trampoline_kernelINS0_14default_configENS1_25transform_config_selectorIiLb0EEEZNS1_14transform_implILb0ES3_S5_PiN6thrust23THRUST_200600_302600_NS10device_ptrIiEENS0_8identityIiEEEE10hipError_tT2_T3_mT4_P12ihipStream_tbEUlT_E_NS1_11comp_targetILNS1_3genE0ELNS1_11target_archE4294967295ELNS1_3gpuE0ELNS1_3repE0EEENS1_30default_config_static_selectorELNS0_4arch9wavefront6targetE1EEEvT1_,"axG",@progbits,_ZN7rocprim17ROCPRIM_400000_NS6detail17trampoline_kernelINS0_14default_configENS1_25transform_config_selectorIiLb0EEEZNS1_14transform_implILb0ES3_S5_PiN6thrust23THRUST_200600_302600_NS10device_ptrIiEENS0_8identityIiEEEE10hipError_tT2_T3_mT4_P12ihipStream_tbEUlT_E_NS1_11comp_targetILNS1_3genE0ELNS1_11target_archE4294967295ELNS1_3gpuE0ELNS1_3repE0EEENS1_30default_config_static_selectorELNS0_4arch9wavefront6targetE1EEEvT1_,comdat
	.protected	_ZN7rocprim17ROCPRIM_400000_NS6detail17trampoline_kernelINS0_14default_configENS1_25transform_config_selectorIiLb0EEEZNS1_14transform_implILb0ES3_S5_PiN6thrust23THRUST_200600_302600_NS10device_ptrIiEENS0_8identityIiEEEE10hipError_tT2_T3_mT4_P12ihipStream_tbEUlT_E_NS1_11comp_targetILNS1_3genE0ELNS1_11target_archE4294967295ELNS1_3gpuE0ELNS1_3repE0EEENS1_30default_config_static_selectorELNS0_4arch9wavefront6targetE1EEEvT1_ ; -- Begin function _ZN7rocprim17ROCPRIM_400000_NS6detail17trampoline_kernelINS0_14default_configENS1_25transform_config_selectorIiLb0EEEZNS1_14transform_implILb0ES3_S5_PiN6thrust23THRUST_200600_302600_NS10device_ptrIiEENS0_8identityIiEEEE10hipError_tT2_T3_mT4_P12ihipStream_tbEUlT_E_NS1_11comp_targetILNS1_3genE0ELNS1_11target_archE4294967295ELNS1_3gpuE0ELNS1_3repE0EEENS1_30default_config_static_selectorELNS0_4arch9wavefront6targetE1EEEvT1_
	.globl	_ZN7rocprim17ROCPRIM_400000_NS6detail17trampoline_kernelINS0_14default_configENS1_25transform_config_selectorIiLb0EEEZNS1_14transform_implILb0ES3_S5_PiN6thrust23THRUST_200600_302600_NS10device_ptrIiEENS0_8identityIiEEEE10hipError_tT2_T3_mT4_P12ihipStream_tbEUlT_E_NS1_11comp_targetILNS1_3genE0ELNS1_11target_archE4294967295ELNS1_3gpuE0ELNS1_3repE0EEENS1_30default_config_static_selectorELNS0_4arch9wavefront6targetE1EEEvT1_
	.p2align	8
	.type	_ZN7rocprim17ROCPRIM_400000_NS6detail17trampoline_kernelINS0_14default_configENS1_25transform_config_selectorIiLb0EEEZNS1_14transform_implILb0ES3_S5_PiN6thrust23THRUST_200600_302600_NS10device_ptrIiEENS0_8identityIiEEEE10hipError_tT2_T3_mT4_P12ihipStream_tbEUlT_E_NS1_11comp_targetILNS1_3genE0ELNS1_11target_archE4294967295ELNS1_3gpuE0ELNS1_3repE0EEENS1_30default_config_static_selectorELNS0_4arch9wavefront6targetE1EEEvT1_,@function
_ZN7rocprim17ROCPRIM_400000_NS6detail17trampoline_kernelINS0_14default_configENS1_25transform_config_selectorIiLb0EEEZNS1_14transform_implILb0ES3_S5_PiN6thrust23THRUST_200600_302600_NS10device_ptrIiEENS0_8identityIiEEEE10hipError_tT2_T3_mT4_P12ihipStream_tbEUlT_E_NS1_11comp_targetILNS1_3genE0ELNS1_11target_archE4294967295ELNS1_3gpuE0ELNS1_3repE0EEENS1_30default_config_static_selectorELNS0_4arch9wavefront6targetE1EEEvT1_: ; @_ZN7rocprim17ROCPRIM_400000_NS6detail17trampoline_kernelINS0_14default_configENS1_25transform_config_selectorIiLb0EEEZNS1_14transform_implILb0ES3_S5_PiN6thrust23THRUST_200600_302600_NS10device_ptrIiEENS0_8identityIiEEEE10hipError_tT2_T3_mT4_P12ihipStream_tbEUlT_E_NS1_11comp_targetILNS1_3genE0ELNS1_11target_archE4294967295ELNS1_3gpuE0ELNS1_3repE0EEENS1_30default_config_static_selectorELNS0_4arch9wavefront6targetE1EEEvT1_
; %bb.0:
	s_load_dwordx8 s[4:11], s[0:1], 0x0
	s_load_dword s3, s[0:1], 0x28
	s_waitcnt lgkmcnt(0)
	s_lshl_b64 s[0:1], s[6:7], 2
	s_add_u32 s4, s4, s0
	s_addc_u32 s5, s5, s1
	s_add_u32 s9, s10, s0
	s_addc_u32 s12, s11, s1
	s_lshl_b32 s0, s2, 8
	s_mov_b32 s1, 0
	s_add_i32 s3, s3, -1
	s_lshl_b64 s[6:7], s[0:1], 2
	s_add_u32 s10, s4, s6
	s_addc_u32 s11, s5, s7
	s_cmp_lg_u32 s2, s3
	s_cbranch_scc0 .LBB2338_2
; %bb.1:
	v_lshlrev_b32_e32 v2, 2, v0
	global_load_dword v6, v2, s[10:11]
	global_load_dword v1, v2, s[10:11] offset:512
	s_add_u32 s4, s9, s6
	v_mov_b32_e32 v3, 0
	s_addc_u32 s5, s12, s7
	v_lshl_add_u64 v[4:5], s[4:5], 0, v[2:3]
	s_mov_b64 s[4:5], -1
	s_waitcnt vmcnt(1)
	flat_store_dword v[4:5], v6
	s_cbranch_execz .LBB2338_3
	s_branch .LBB2338_12
.LBB2338_2:
	s_mov_b64 s[4:5], 0
                                        ; implicit-def: $vgpr1
                                        ; implicit-def: $vgpr4_vgpr5
.LBB2338_3:
	s_sub_i32 s2, s8, s0
	v_mov_b32_e32 v2, 0
	v_cmp_gt_u32_e32 vcc, s2, v0
	v_mov_b32_e32 v3, v2
	s_and_saveexec_b64 s[0:1], vcc
	s_cbranch_execz .LBB2338_5
; %bb.4:
	s_waitcnt vmcnt(0)
	v_lshlrev_b32_e32 v1, 2, v0
	global_load_dword v4, v1, s[10:11]
	v_mov_b32_e32 v5, v2
	s_waitcnt vmcnt(0)
	v_mov_b64_e32 v[2:3], v[4:5]
.LBB2338_5:
	s_or_b64 exec, exec, s[0:1]
	s_waitcnt vmcnt(0)
	v_or_b32_e32 v1, 0x80, v0
	v_cmp_gt_u32_e64 s[0:1], s2, v1
	v_cmp_le_u32_e64 s[2:3], s2, v1
	s_and_saveexec_b64 s[14:15], s[2:3]
	s_xor_b64 s[2:3], exec, s[14:15]
	s_andn2_saveexec_b64 s[2:3], s[2:3]
	s_cbranch_execz .LBB2338_7
; %bb.6:
	v_lshlrev_b32_e32 v1, 2, v0
	global_load_dword v3, v1, s[10:11] offset:512
.LBB2338_7:
	s_or_b64 exec, exec, s[2:3]
	s_add_u32 s2, s9, s6
	v_mov_b32_e32 v5, 0
	s_addc_u32 s3, s12, s7
	v_lshlrev_b32_e32 v4, 2, v0
	v_cndmask_b32_e32 v1, 0, v2, vcc
	v_lshl_add_u64 v[4:5], s[2:3], 0, v[4:5]
	s_and_saveexec_b64 s[2:3], vcc
	s_cbranch_execz .LBB2338_9
; %bb.8:
	flat_store_dword v[4:5], v1
.LBB2338_9:
	s_or_b64 exec, exec, s[2:3]
                                        ; implicit-def: $vgpr1
	s_and_saveexec_b64 s[2:3], s[0:1]
	s_cbranch_execz .LBB2338_11
; %bb.10:
	s_waitcnt vmcnt(0)
	v_cndmask_b32_e64 v1, 0, v3, s[0:1]
	s_or_b64 s[4:5], s[4:5], exec
.LBB2338_11:
	s_or_b64 exec, exec, s[2:3]
.LBB2338_12:
	s_and_saveexec_b64 s[0:1], s[4:5]
	s_cbranch_execnz .LBB2338_14
; %bb.13:
	s_endpgm
.LBB2338_14:
	s_waitcnt vmcnt(0)
	flat_store_dword v[4:5], v1 offset:512
	s_endpgm
	.section	.rodata,"a",@progbits
	.p2align	6, 0x0
	.amdhsa_kernel _ZN7rocprim17ROCPRIM_400000_NS6detail17trampoline_kernelINS0_14default_configENS1_25transform_config_selectorIiLb0EEEZNS1_14transform_implILb0ES3_S5_PiN6thrust23THRUST_200600_302600_NS10device_ptrIiEENS0_8identityIiEEEE10hipError_tT2_T3_mT4_P12ihipStream_tbEUlT_E_NS1_11comp_targetILNS1_3genE0ELNS1_11target_archE4294967295ELNS1_3gpuE0ELNS1_3repE0EEENS1_30default_config_static_selectorELNS0_4arch9wavefront6targetE1EEEvT1_
		.amdhsa_group_segment_fixed_size 0
		.amdhsa_private_segment_fixed_size 0
		.amdhsa_kernarg_size 296
		.amdhsa_user_sgpr_count 2
		.amdhsa_user_sgpr_dispatch_ptr 0
		.amdhsa_user_sgpr_queue_ptr 0
		.amdhsa_user_sgpr_kernarg_segment_ptr 1
		.amdhsa_user_sgpr_dispatch_id 0
		.amdhsa_user_sgpr_kernarg_preload_length 0
		.amdhsa_user_sgpr_kernarg_preload_offset 0
		.amdhsa_user_sgpr_private_segment_size 0
		.amdhsa_uses_dynamic_stack 0
		.amdhsa_enable_private_segment 0
		.amdhsa_system_sgpr_workgroup_id_x 1
		.amdhsa_system_sgpr_workgroup_id_y 0
		.amdhsa_system_sgpr_workgroup_id_z 0
		.amdhsa_system_sgpr_workgroup_info 0
		.amdhsa_system_vgpr_workitem_id 0
		.amdhsa_next_free_vgpr 7
		.amdhsa_next_free_sgpr 16
		.amdhsa_accum_offset 8
		.amdhsa_reserve_vcc 1
		.amdhsa_float_round_mode_32 0
		.amdhsa_float_round_mode_16_64 0
		.amdhsa_float_denorm_mode_32 3
		.amdhsa_float_denorm_mode_16_64 3
		.amdhsa_dx10_clamp 1
		.amdhsa_ieee_mode 1
		.amdhsa_fp16_overflow 0
		.amdhsa_tg_split 0
		.amdhsa_exception_fp_ieee_invalid_op 0
		.amdhsa_exception_fp_denorm_src 0
		.amdhsa_exception_fp_ieee_div_zero 0
		.amdhsa_exception_fp_ieee_overflow 0
		.amdhsa_exception_fp_ieee_underflow 0
		.amdhsa_exception_fp_ieee_inexact 0
		.amdhsa_exception_int_div_zero 0
	.end_amdhsa_kernel
	.section	.text._ZN7rocprim17ROCPRIM_400000_NS6detail17trampoline_kernelINS0_14default_configENS1_25transform_config_selectorIiLb0EEEZNS1_14transform_implILb0ES3_S5_PiN6thrust23THRUST_200600_302600_NS10device_ptrIiEENS0_8identityIiEEEE10hipError_tT2_T3_mT4_P12ihipStream_tbEUlT_E_NS1_11comp_targetILNS1_3genE0ELNS1_11target_archE4294967295ELNS1_3gpuE0ELNS1_3repE0EEENS1_30default_config_static_selectorELNS0_4arch9wavefront6targetE1EEEvT1_,"axG",@progbits,_ZN7rocprim17ROCPRIM_400000_NS6detail17trampoline_kernelINS0_14default_configENS1_25transform_config_selectorIiLb0EEEZNS1_14transform_implILb0ES3_S5_PiN6thrust23THRUST_200600_302600_NS10device_ptrIiEENS0_8identityIiEEEE10hipError_tT2_T3_mT4_P12ihipStream_tbEUlT_E_NS1_11comp_targetILNS1_3genE0ELNS1_11target_archE4294967295ELNS1_3gpuE0ELNS1_3repE0EEENS1_30default_config_static_selectorELNS0_4arch9wavefront6targetE1EEEvT1_,comdat
.Lfunc_end2338:
	.size	_ZN7rocprim17ROCPRIM_400000_NS6detail17trampoline_kernelINS0_14default_configENS1_25transform_config_selectorIiLb0EEEZNS1_14transform_implILb0ES3_S5_PiN6thrust23THRUST_200600_302600_NS10device_ptrIiEENS0_8identityIiEEEE10hipError_tT2_T3_mT4_P12ihipStream_tbEUlT_E_NS1_11comp_targetILNS1_3genE0ELNS1_11target_archE4294967295ELNS1_3gpuE0ELNS1_3repE0EEENS1_30default_config_static_selectorELNS0_4arch9wavefront6targetE1EEEvT1_, .Lfunc_end2338-_ZN7rocprim17ROCPRIM_400000_NS6detail17trampoline_kernelINS0_14default_configENS1_25transform_config_selectorIiLb0EEEZNS1_14transform_implILb0ES3_S5_PiN6thrust23THRUST_200600_302600_NS10device_ptrIiEENS0_8identityIiEEEE10hipError_tT2_T3_mT4_P12ihipStream_tbEUlT_E_NS1_11comp_targetILNS1_3genE0ELNS1_11target_archE4294967295ELNS1_3gpuE0ELNS1_3repE0EEENS1_30default_config_static_selectorELNS0_4arch9wavefront6targetE1EEEvT1_
                                        ; -- End function
	.set _ZN7rocprim17ROCPRIM_400000_NS6detail17trampoline_kernelINS0_14default_configENS1_25transform_config_selectorIiLb0EEEZNS1_14transform_implILb0ES3_S5_PiN6thrust23THRUST_200600_302600_NS10device_ptrIiEENS0_8identityIiEEEE10hipError_tT2_T3_mT4_P12ihipStream_tbEUlT_E_NS1_11comp_targetILNS1_3genE0ELNS1_11target_archE4294967295ELNS1_3gpuE0ELNS1_3repE0EEENS1_30default_config_static_selectorELNS0_4arch9wavefront6targetE1EEEvT1_.num_vgpr, 7
	.set _ZN7rocprim17ROCPRIM_400000_NS6detail17trampoline_kernelINS0_14default_configENS1_25transform_config_selectorIiLb0EEEZNS1_14transform_implILb0ES3_S5_PiN6thrust23THRUST_200600_302600_NS10device_ptrIiEENS0_8identityIiEEEE10hipError_tT2_T3_mT4_P12ihipStream_tbEUlT_E_NS1_11comp_targetILNS1_3genE0ELNS1_11target_archE4294967295ELNS1_3gpuE0ELNS1_3repE0EEENS1_30default_config_static_selectorELNS0_4arch9wavefront6targetE1EEEvT1_.num_agpr, 0
	.set _ZN7rocprim17ROCPRIM_400000_NS6detail17trampoline_kernelINS0_14default_configENS1_25transform_config_selectorIiLb0EEEZNS1_14transform_implILb0ES3_S5_PiN6thrust23THRUST_200600_302600_NS10device_ptrIiEENS0_8identityIiEEEE10hipError_tT2_T3_mT4_P12ihipStream_tbEUlT_E_NS1_11comp_targetILNS1_3genE0ELNS1_11target_archE4294967295ELNS1_3gpuE0ELNS1_3repE0EEENS1_30default_config_static_selectorELNS0_4arch9wavefront6targetE1EEEvT1_.numbered_sgpr, 16
	.set _ZN7rocprim17ROCPRIM_400000_NS6detail17trampoline_kernelINS0_14default_configENS1_25transform_config_selectorIiLb0EEEZNS1_14transform_implILb0ES3_S5_PiN6thrust23THRUST_200600_302600_NS10device_ptrIiEENS0_8identityIiEEEE10hipError_tT2_T3_mT4_P12ihipStream_tbEUlT_E_NS1_11comp_targetILNS1_3genE0ELNS1_11target_archE4294967295ELNS1_3gpuE0ELNS1_3repE0EEENS1_30default_config_static_selectorELNS0_4arch9wavefront6targetE1EEEvT1_.num_named_barrier, 0
	.set _ZN7rocprim17ROCPRIM_400000_NS6detail17trampoline_kernelINS0_14default_configENS1_25transform_config_selectorIiLb0EEEZNS1_14transform_implILb0ES3_S5_PiN6thrust23THRUST_200600_302600_NS10device_ptrIiEENS0_8identityIiEEEE10hipError_tT2_T3_mT4_P12ihipStream_tbEUlT_E_NS1_11comp_targetILNS1_3genE0ELNS1_11target_archE4294967295ELNS1_3gpuE0ELNS1_3repE0EEENS1_30default_config_static_selectorELNS0_4arch9wavefront6targetE1EEEvT1_.private_seg_size, 0
	.set _ZN7rocprim17ROCPRIM_400000_NS6detail17trampoline_kernelINS0_14default_configENS1_25transform_config_selectorIiLb0EEEZNS1_14transform_implILb0ES3_S5_PiN6thrust23THRUST_200600_302600_NS10device_ptrIiEENS0_8identityIiEEEE10hipError_tT2_T3_mT4_P12ihipStream_tbEUlT_E_NS1_11comp_targetILNS1_3genE0ELNS1_11target_archE4294967295ELNS1_3gpuE0ELNS1_3repE0EEENS1_30default_config_static_selectorELNS0_4arch9wavefront6targetE1EEEvT1_.uses_vcc, 1
	.set _ZN7rocprim17ROCPRIM_400000_NS6detail17trampoline_kernelINS0_14default_configENS1_25transform_config_selectorIiLb0EEEZNS1_14transform_implILb0ES3_S5_PiN6thrust23THRUST_200600_302600_NS10device_ptrIiEENS0_8identityIiEEEE10hipError_tT2_T3_mT4_P12ihipStream_tbEUlT_E_NS1_11comp_targetILNS1_3genE0ELNS1_11target_archE4294967295ELNS1_3gpuE0ELNS1_3repE0EEENS1_30default_config_static_selectorELNS0_4arch9wavefront6targetE1EEEvT1_.uses_flat_scratch, 0
	.set _ZN7rocprim17ROCPRIM_400000_NS6detail17trampoline_kernelINS0_14default_configENS1_25transform_config_selectorIiLb0EEEZNS1_14transform_implILb0ES3_S5_PiN6thrust23THRUST_200600_302600_NS10device_ptrIiEENS0_8identityIiEEEE10hipError_tT2_T3_mT4_P12ihipStream_tbEUlT_E_NS1_11comp_targetILNS1_3genE0ELNS1_11target_archE4294967295ELNS1_3gpuE0ELNS1_3repE0EEENS1_30default_config_static_selectorELNS0_4arch9wavefront6targetE1EEEvT1_.has_dyn_sized_stack, 0
	.set _ZN7rocprim17ROCPRIM_400000_NS6detail17trampoline_kernelINS0_14default_configENS1_25transform_config_selectorIiLb0EEEZNS1_14transform_implILb0ES3_S5_PiN6thrust23THRUST_200600_302600_NS10device_ptrIiEENS0_8identityIiEEEE10hipError_tT2_T3_mT4_P12ihipStream_tbEUlT_E_NS1_11comp_targetILNS1_3genE0ELNS1_11target_archE4294967295ELNS1_3gpuE0ELNS1_3repE0EEENS1_30default_config_static_selectorELNS0_4arch9wavefront6targetE1EEEvT1_.has_recursion, 0
	.set _ZN7rocprim17ROCPRIM_400000_NS6detail17trampoline_kernelINS0_14default_configENS1_25transform_config_selectorIiLb0EEEZNS1_14transform_implILb0ES3_S5_PiN6thrust23THRUST_200600_302600_NS10device_ptrIiEENS0_8identityIiEEEE10hipError_tT2_T3_mT4_P12ihipStream_tbEUlT_E_NS1_11comp_targetILNS1_3genE0ELNS1_11target_archE4294967295ELNS1_3gpuE0ELNS1_3repE0EEENS1_30default_config_static_selectorELNS0_4arch9wavefront6targetE1EEEvT1_.has_indirect_call, 0
	.section	.AMDGPU.csdata,"",@progbits
; Kernel info:
; codeLenInByte = 360
; TotalNumSgprs: 22
; NumVgprs: 7
; NumAgprs: 0
; TotalNumVgprs: 7
; ScratchSize: 0
; MemoryBound: 0
; FloatMode: 240
; IeeeMode: 1
; LDSByteSize: 0 bytes/workgroup (compile time only)
; SGPRBlocks: 2
; VGPRBlocks: 0
; NumSGPRsForWavesPerEU: 22
; NumVGPRsForWavesPerEU: 7
; AccumOffset: 8
; Occupancy: 8
; WaveLimiterHint : 1
; COMPUTE_PGM_RSRC2:SCRATCH_EN: 0
; COMPUTE_PGM_RSRC2:USER_SGPR: 2
; COMPUTE_PGM_RSRC2:TRAP_HANDLER: 0
; COMPUTE_PGM_RSRC2:TGID_X_EN: 1
; COMPUTE_PGM_RSRC2:TGID_Y_EN: 0
; COMPUTE_PGM_RSRC2:TGID_Z_EN: 0
; COMPUTE_PGM_RSRC2:TIDIG_COMP_CNT: 0
; COMPUTE_PGM_RSRC3_GFX90A:ACCUM_OFFSET: 1
; COMPUTE_PGM_RSRC3_GFX90A:TG_SPLIT: 0
	.section	.text._ZN7rocprim17ROCPRIM_400000_NS6detail17trampoline_kernelINS0_14default_configENS1_25transform_config_selectorIiLb0EEEZNS1_14transform_implILb0ES3_S5_PiN6thrust23THRUST_200600_302600_NS10device_ptrIiEENS0_8identityIiEEEE10hipError_tT2_T3_mT4_P12ihipStream_tbEUlT_E_NS1_11comp_targetILNS1_3genE5ELNS1_11target_archE942ELNS1_3gpuE9ELNS1_3repE0EEENS1_30default_config_static_selectorELNS0_4arch9wavefront6targetE1EEEvT1_,"axG",@progbits,_ZN7rocprim17ROCPRIM_400000_NS6detail17trampoline_kernelINS0_14default_configENS1_25transform_config_selectorIiLb0EEEZNS1_14transform_implILb0ES3_S5_PiN6thrust23THRUST_200600_302600_NS10device_ptrIiEENS0_8identityIiEEEE10hipError_tT2_T3_mT4_P12ihipStream_tbEUlT_E_NS1_11comp_targetILNS1_3genE5ELNS1_11target_archE942ELNS1_3gpuE9ELNS1_3repE0EEENS1_30default_config_static_selectorELNS0_4arch9wavefront6targetE1EEEvT1_,comdat
	.protected	_ZN7rocprim17ROCPRIM_400000_NS6detail17trampoline_kernelINS0_14default_configENS1_25transform_config_selectorIiLb0EEEZNS1_14transform_implILb0ES3_S5_PiN6thrust23THRUST_200600_302600_NS10device_ptrIiEENS0_8identityIiEEEE10hipError_tT2_T3_mT4_P12ihipStream_tbEUlT_E_NS1_11comp_targetILNS1_3genE5ELNS1_11target_archE942ELNS1_3gpuE9ELNS1_3repE0EEENS1_30default_config_static_selectorELNS0_4arch9wavefront6targetE1EEEvT1_ ; -- Begin function _ZN7rocprim17ROCPRIM_400000_NS6detail17trampoline_kernelINS0_14default_configENS1_25transform_config_selectorIiLb0EEEZNS1_14transform_implILb0ES3_S5_PiN6thrust23THRUST_200600_302600_NS10device_ptrIiEENS0_8identityIiEEEE10hipError_tT2_T3_mT4_P12ihipStream_tbEUlT_E_NS1_11comp_targetILNS1_3genE5ELNS1_11target_archE942ELNS1_3gpuE9ELNS1_3repE0EEENS1_30default_config_static_selectorELNS0_4arch9wavefront6targetE1EEEvT1_
	.globl	_ZN7rocprim17ROCPRIM_400000_NS6detail17trampoline_kernelINS0_14default_configENS1_25transform_config_selectorIiLb0EEEZNS1_14transform_implILb0ES3_S5_PiN6thrust23THRUST_200600_302600_NS10device_ptrIiEENS0_8identityIiEEEE10hipError_tT2_T3_mT4_P12ihipStream_tbEUlT_E_NS1_11comp_targetILNS1_3genE5ELNS1_11target_archE942ELNS1_3gpuE9ELNS1_3repE0EEENS1_30default_config_static_selectorELNS0_4arch9wavefront6targetE1EEEvT1_
	.p2align	8
	.type	_ZN7rocprim17ROCPRIM_400000_NS6detail17trampoline_kernelINS0_14default_configENS1_25transform_config_selectorIiLb0EEEZNS1_14transform_implILb0ES3_S5_PiN6thrust23THRUST_200600_302600_NS10device_ptrIiEENS0_8identityIiEEEE10hipError_tT2_T3_mT4_P12ihipStream_tbEUlT_E_NS1_11comp_targetILNS1_3genE5ELNS1_11target_archE942ELNS1_3gpuE9ELNS1_3repE0EEENS1_30default_config_static_selectorELNS0_4arch9wavefront6targetE1EEEvT1_,@function
_ZN7rocprim17ROCPRIM_400000_NS6detail17trampoline_kernelINS0_14default_configENS1_25transform_config_selectorIiLb0EEEZNS1_14transform_implILb0ES3_S5_PiN6thrust23THRUST_200600_302600_NS10device_ptrIiEENS0_8identityIiEEEE10hipError_tT2_T3_mT4_P12ihipStream_tbEUlT_E_NS1_11comp_targetILNS1_3genE5ELNS1_11target_archE942ELNS1_3gpuE9ELNS1_3repE0EEENS1_30default_config_static_selectorELNS0_4arch9wavefront6targetE1EEEvT1_: ; @_ZN7rocprim17ROCPRIM_400000_NS6detail17trampoline_kernelINS0_14default_configENS1_25transform_config_selectorIiLb0EEEZNS1_14transform_implILb0ES3_S5_PiN6thrust23THRUST_200600_302600_NS10device_ptrIiEENS0_8identityIiEEEE10hipError_tT2_T3_mT4_P12ihipStream_tbEUlT_E_NS1_11comp_targetILNS1_3genE5ELNS1_11target_archE942ELNS1_3gpuE9ELNS1_3repE0EEENS1_30default_config_static_selectorELNS0_4arch9wavefront6targetE1EEEvT1_
; %bb.0:
	.section	.rodata,"a",@progbits
	.p2align	6, 0x0
	.amdhsa_kernel _ZN7rocprim17ROCPRIM_400000_NS6detail17trampoline_kernelINS0_14default_configENS1_25transform_config_selectorIiLb0EEEZNS1_14transform_implILb0ES3_S5_PiN6thrust23THRUST_200600_302600_NS10device_ptrIiEENS0_8identityIiEEEE10hipError_tT2_T3_mT4_P12ihipStream_tbEUlT_E_NS1_11comp_targetILNS1_3genE5ELNS1_11target_archE942ELNS1_3gpuE9ELNS1_3repE0EEENS1_30default_config_static_selectorELNS0_4arch9wavefront6targetE1EEEvT1_
		.amdhsa_group_segment_fixed_size 0
		.amdhsa_private_segment_fixed_size 0
		.amdhsa_kernarg_size 40
		.amdhsa_user_sgpr_count 2
		.amdhsa_user_sgpr_dispatch_ptr 0
		.amdhsa_user_sgpr_queue_ptr 0
		.amdhsa_user_sgpr_kernarg_segment_ptr 1
		.amdhsa_user_sgpr_dispatch_id 0
		.amdhsa_user_sgpr_kernarg_preload_length 0
		.amdhsa_user_sgpr_kernarg_preload_offset 0
		.amdhsa_user_sgpr_private_segment_size 0
		.amdhsa_uses_dynamic_stack 0
		.amdhsa_enable_private_segment 0
		.amdhsa_system_sgpr_workgroup_id_x 1
		.amdhsa_system_sgpr_workgroup_id_y 0
		.amdhsa_system_sgpr_workgroup_id_z 0
		.amdhsa_system_sgpr_workgroup_info 0
		.amdhsa_system_vgpr_workitem_id 0
		.amdhsa_next_free_vgpr 1
		.amdhsa_next_free_sgpr 0
		.amdhsa_accum_offset 4
		.amdhsa_reserve_vcc 0
		.amdhsa_float_round_mode_32 0
		.amdhsa_float_round_mode_16_64 0
		.amdhsa_float_denorm_mode_32 3
		.amdhsa_float_denorm_mode_16_64 3
		.amdhsa_dx10_clamp 1
		.amdhsa_ieee_mode 1
		.amdhsa_fp16_overflow 0
		.amdhsa_tg_split 0
		.amdhsa_exception_fp_ieee_invalid_op 0
		.amdhsa_exception_fp_denorm_src 0
		.amdhsa_exception_fp_ieee_div_zero 0
		.amdhsa_exception_fp_ieee_overflow 0
		.amdhsa_exception_fp_ieee_underflow 0
		.amdhsa_exception_fp_ieee_inexact 0
		.amdhsa_exception_int_div_zero 0
	.end_amdhsa_kernel
	.section	.text._ZN7rocprim17ROCPRIM_400000_NS6detail17trampoline_kernelINS0_14default_configENS1_25transform_config_selectorIiLb0EEEZNS1_14transform_implILb0ES3_S5_PiN6thrust23THRUST_200600_302600_NS10device_ptrIiEENS0_8identityIiEEEE10hipError_tT2_T3_mT4_P12ihipStream_tbEUlT_E_NS1_11comp_targetILNS1_3genE5ELNS1_11target_archE942ELNS1_3gpuE9ELNS1_3repE0EEENS1_30default_config_static_selectorELNS0_4arch9wavefront6targetE1EEEvT1_,"axG",@progbits,_ZN7rocprim17ROCPRIM_400000_NS6detail17trampoline_kernelINS0_14default_configENS1_25transform_config_selectorIiLb0EEEZNS1_14transform_implILb0ES3_S5_PiN6thrust23THRUST_200600_302600_NS10device_ptrIiEENS0_8identityIiEEEE10hipError_tT2_T3_mT4_P12ihipStream_tbEUlT_E_NS1_11comp_targetILNS1_3genE5ELNS1_11target_archE942ELNS1_3gpuE9ELNS1_3repE0EEENS1_30default_config_static_selectorELNS0_4arch9wavefront6targetE1EEEvT1_,comdat
.Lfunc_end2339:
	.size	_ZN7rocprim17ROCPRIM_400000_NS6detail17trampoline_kernelINS0_14default_configENS1_25transform_config_selectorIiLb0EEEZNS1_14transform_implILb0ES3_S5_PiN6thrust23THRUST_200600_302600_NS10device_ptrIiEENS0_8identityIiEEEE10hipError_tT2_T3_mT4_P12ihipStream_tbEUlT_E_NS1_11comp_targetILNS1_3genE5ELNS1_11target_archE942ELNS1_3gpuE9ELNS1_3repE0EEENS1_30default_config_static_selectorELNS0_4arch9wavefront6targetE1EEEvT1_, .Lfunc_end2339-_ZN7rocprim17ROCPRIM_400000_NS6detail17trampoline_kernelINS0_14default_configENS1_25transform_config_selectorIiLb0EEEZNS1_14transform_implILb0ES3_S5_PiN6thrust23THRUST_200600_302600_NS10device_ptrIiEENS0_8identityIiEEEE10hipError_tT2_T3_mT4_P12ihipStream_tbEUlT_E_NS1_11comp_targetILNS1_3genE5ELNS1_11target_archE942ELNS1_3gpuE9ELNS1_3repE0EEENS1_30default_config_static_selectorELNS0_4arch9wavefront6targetE1EEEvT1_
                                        ; -- End function
	.set _ZN7rocprim17ROCPRIM_400000_NS6detail17trampoline_kernelINS0_14default_configENS1_25transform_config_selectorIiLb0EEEZNS1_14transform_implILb0ES3_S5_PiN6thrust23THRUST_200600_302600_NS10device_ptrIiEENS0_8identityIiEEEE10hipError_tT2_T3_mT4_P12ihipStream_tbEUlT_E_NS1_11comp_targetILNS1_3genE5ELNS1_11target_archE942ELNS1_3gpuE9ELNS1_3repE0EEENS1_30default_config_static_selectorELNS0_4arch9wavefront6targetE1EEEvT1_.num_vgpr, 0
	.set _ZN7rocprim17ROCPRIM_400000_NS6detail17trampoline_kernelINS0_14default_configENS1_25transform_config_selectorIiLb0EEEZNS1_14transform_implILb0ES3_S5_PiN6thrust23THRUST_200600_302600_NS10device_ptrIiEENS0_8identityIiEEEE10hipError_tT2_T3_mT4_P12ihipStream_tbEUlT_E_NS1_11comp_targetILNS1_3genE5ELNS1_11target_archE942ELNS1_3gpuE9ELNS1_3repE0EEENS1_30default_config_static_selectorELNS0_4arch9wavefront6targetE1EEEvT1_.num_agpr, 0
	.set _ZN7rocprim17ROCPRIM_400000_NS6detail17trampoline_kernelINS0_14default_configENS1_25transform_config_selectorIiLb0EEEZNS1_14transform_implILb0ES3_S5_PiN6thrust23THRUST_200600_302600_NS10device_ptrIiEENS0_8identityIiEEEE10hipError_tT2_T3_mT4_P12ihipStream_tbEUlT_E_NS1_11comp_targetILNS1_3genE5ELNS1_11target_archE942ELNS1_3gpuE9ELNS1_3repE0EEENS1_30default_config_static_selectorELNS0_4arch9wavefront6targetE1EEEvT1_.numbered_sgpr, 0
	.set _ZN7rocprim17ROCPRIM_400000_NS6detail17trampoline_kernelINS0_14default_configENS1_25transform_config_selectorIiLb0EEEZNS1_14transform_implILb0ES3_S5_PiN6thrust23THRUST_200600_302600_NS10device_ptrIiEENS0_8identityIiEEEE10hipError_tT2_T3_mT4_P12ihipStream_tbEUlT_E_NS1_11comp_targetILNS1_3genE5ELNS1_11target_archE942ELNS1_3gpuE9ELNS1_3repE0EEENS1_30default_config_static_selectorELNS0_4arch9wavefront6targetE1EEEvT1_.num_named_barrier, 0
	.set _ZN7rocprim17ROCPRIM_400000_NS6detail17trampoline_kernelINS0_14default_configENS1_25transform_config_selectorIiLb0EEEZNS1_14transform_implILb0ES3_S5_PiN6thrust23THRUST_200600_302600_NS10device_ptrIiEENS0_8identityIiEEEE10hipError_tT2_T3_mT4_P12ihipStream_tbEUlT_E_NS1_11comp_targetILNS1_3genE5ELNS1_11target_archE942ELNS1_3gpuE9ELNS1_3repE0EEENS1_30default_config_static_selectorELNS0_4arch9wavefront6targetE1EEEvT1_.private_seg_size, 0
	.set _ZN7rocprim17ROCPRIM_400000_NS6detail17trampoline_kernelINS0_14default_configENS1_25transform_config_selectorIiLb0EEEZNS1_14transform_implILb0ES3_S5_PiN6thrust23THRUST_200600_302600_NS10device_ptrIiEENS0_8identityIiEEEE10hipError_tT2_T3_mT4_P12ihipStream_tbEUlT_E_NS1_11comp_targetILNS1_3genE5ELNS1_11target_archE942ELNS1_3gpuE9ELNS1_3repE0EEENS1_30default_config_static_selectorELNS0_4arch9wavefront6targetE1EEEvT1_.uses_vcc, 0
	.set _ZN7rocprim17ROCPRIM_400000_NS6detail17trampoline_kernelINS0_14default_configENS1_25transform_config_selectorIiLb0EEEZNS1_14transform_implILb0ES3_S5_PiN6thrust23THRUST_200600_302600_NS10device_ptrIiEENS0_8identityIiEEEE10hipError_tT2_T3_mT4_P12ihipStream_tbEUlT_E_NS1_11comp_targetILNS1_3genE5ELNS1_11target_archE942ELNS1_3gpuE9ELNS1_3repE0EEENS1_30default_config_static_selectorELNS0_4arch9wavefront6targetE1EEEvT1_.uses_flat_scratch, 0
	.set _ZN7rocprim17ROCPRIM_400000_NS6detail17trampoline_kernelINS0_14default_configENS1_25transform_config_selectorIiLb0EEEZNS1_14transform_implILb0ES3_S5_PiN6thrust23THRUST_200600_302600_NS10device_ptrIiEENS0_8identityIiEEEE10hipError_tT2_T3_mT4_P12ihipStream_tbEUlT_E_NS1_11comp_targetILNS1_3genE5ELNS1_11target_archE942ELNS1_3gpuE9ELNS1_3repE0EEENS1_30default_config_static_selectorELNS0_4arch9wavefront6targetE1EEEvT1_.has_dyn_sized_stack, 0
	.set _ZN7rocprim17ROCPRIM_400000_NS6detail17trampoline_kernelINS0_14default_configENS1_25transform_config_selectorIiLb0EEEZNS1_14transform_implILb0ES3_S5_PiN6thrust23THRUST_200600_302600_NS10device_ptrIiEENS0_8identityIiEEEE10hipError_tT2_T3_mT4_P12ihipStream_tbEUlT_E_NS1_11comp_targetILNS1_3genE5ELNS1_11target_archE942ELNS1_3gpuE9ELNS1_3repE0EEENS1_30default_config_static_selectorELNS0_4arch9wavefront6targetE1EEEvT1_.has_recursion, 0
	.set _ZN7rocprim17ROCPRIM_400000_NS6detail17trampoline_kernelINS0_14default_configENS1_25transform_config_selectorIiLb0EEEZNS1_14transform_implILb0ES3_S5_PiN6thrust23THRUST_200600_302600_NS10device_ptrIiEENS0_8identityIiEEEE10hipError_tT2_T3_mT4_P12ihipStream_tbEUlT_E_NS1_11comp_targetILNS1_3genE5ELNS1_11target_archE942ELNS1_3gpuE9ELNS1_3repE0EEENS1_30default_config_static_selectorELNS0_4arch9wavefront6targetE1EEEvT1_.has_indirect_call, 0
	.section	.AMDGPU.csdata,"",@progbits
; Kernel info:
; codeLenInByte = 0
; TotalNumSgprs: 6
; NumVgprs: 0
; NumAgprs: 0
; TotalNumVgprs: 0
; ScratchSize: 0
; MemoryBound: 0
; FloatMode: 240
; IeeeMode: 1
; LDSByteSize: 0 bytes/workgroup (compile time only)
; SGPRBlocks: 0
; VGPRBlocks: 0
; NumSGPRsForWavesPerEU: 6
; NumVGPRsForWavesPerEU: 1
; AccumOffset: 4
; Occupancy: 8
; WaveLimiterHint : 0
; COMPUTE_PGM_RSRC2:SCRATCH_EN: 0
; COMPUTE_PGM_RSRC2:USER_SGPR: 2
; COMPUTE_PGM_RSRC2:TRAP_HANDLER: 0
; COMPUTE_PGM_RSRC2:TGID_X_EN: 1
; COMPUTE_PGM_RSRC2:TGID_Y_EN: 0
; COMPUTE_PGM_RSRC2:TGID_Z_EN: 0
; COMPUTE_PGM_RSRC2:TIDIG_COMP_CNT: 0
; COMPUTE_PGM_RSRC3_GFX90A:ACCUM_OFFSET: 0
; COMPUTE_PGM_RSRC3_GFX90A:TG_SPLIT: 0
	.section	.text._ZN7rocprim17ROCPRIM_400000_NS6detail17trampoline_kernelINS0_14default_configENS1_25transform_config_selectorIiLb0EEEZNS1_14transform_implILb0ES3_S5_PiN6thrust23THRUST_200600_302600_NS10device_ptrIiEENS0_8identityIiEEEE10hipError_tT2_T3_mT4_P12ihipStream_tbEUlT_E_NS1_11comp_targetILNS1_3genE4ELNS1_11target_archE910ELNS1_3gpuE8ELNS1_3repE0EEENS1_30default_config_static_selectorELNS0_4arch9wavefront6targetE1EEEvT1_,"axG",@progbits,_ZN7rocprim17ROCPRIM_400000_NS6detail17trampoline_kernelINS0_14default_configENS1_25transform_config_selectorIiLb0EEEZNS1_14transform_implILb0ES3_S5_PiN6thrust23THRUST_200600_302600_NS10device_ptrIiEENS0_8identityIiEEEE10hipError_tT2_T3_mT4_P12ihipStream_tbEUlT_E_NS1_11comp_targetILNS1_3genE4ELNS1_11target_archE910ELNS1_3gpuE8ELNS1_3repE0EEENS1_30default_config_static_selectorELNS0_4arch9wavefront6targetE1EEEvT1_,comdat
	.protected	_ZN7rocprim17ROCPRIM_400000_NS6detail17trampoline_kernelINS0_14default_configENS1_25transform_config_selectorIiLb0EEEZNS1_14transform_implILb0ES3_S5_PiN6thrust23THRUST_200600_302600_NS10device_ptrIiEENS0_8identityIiEEEE10hipError_tT2_T3_mT4_P12ihipStream_tbEUlT_E_NS1_11comp_targetILNS1_3genE4ELNS1_11target_archE910ELNS1_3gpuE8ELNS1_3repE0EEENS1_30default_config_static_selectorELNS0_4arch9wavefront6targetE1EEEvT1_ ; -- Begin function _ZN7rocprim17ROCPRIM_400000_NS6detail17trampoline_kernelINS0_14default_configENS1_25transform_config_selectorIiLb0EEEZNS1_14transform_implILb0ES3_S5_PiN6thrust23THRUST_200600_302600_NS10device_ptrIiEENS0_8identityIiEEEE10hipError_tT2_T3_mT4_P12ihipStream_tbEUlT_E_NS1_11comp_targetILNS1_3genE4ELNS1_11target_archE910ELNS1_3gpuE8ELNS1_3repE0EEENS1_30default_config_static_selectorELNS0_4arch9wavefront6targetE1EEEvT1_
	.globl	_ZN7rocprim17ROCPRIM_400000_NS6detail17trampoline_kernelINS0_14default_configENS1_25transform_config_selectorIiLb0EEEZNS1_14transform_implILb0ES3_S5_PiN6thrust23THRUST_200600_302600_NS10device_ptrIiEENS0_8identityIiEEEE10hipError_tT2_T3_mT4_P12ihipStream_tbEUlT_E_NS1_11comp_targetILNS1_3genE4ELNS1_11target_archE910ELNS1_3gpuE8ELNS1_3repE0EEENS1_30default_config_static_selectorELNS0_4arch9wavefront6targetE1EEEvT1_
	.p2align	8
	.type	_ZN7rocprim17ROCPRIM_400000_NS6detail17trampoline_kernelINS0_14default_configENS1_25transform_config_selectorIiLb0EEEZNS1_14transform_implILb0ES3_S5_PiN6thrust23THRUST_200600_302600_NS10device_ptrIiEENS0_8identityIiEEEE10hipError_tT2_T3_mT4_P12ihipStream_tbEUlT_E_NS1_11comp_targetILNS1_3genE4ELNS1_11target_archE910ELNS1_3gpuE8ELNS1_3repE0EEENS1_30default_config_static_selectorELNS0_4arch9wavefront6targetE1EEEvT1_,@function
_ZN7rocprim17ROCPRIM_400000_NS6detail17trampoline_kernelINS0_14default_configENS1_25transform_config_selectorIiLb0EEEZNS1_14transform_implILb0ES3_S5_PiN6thrust23THRUST_200600_302600_NS10device_ptrIiEENS0_8identityIiEEEE10hipError_tT2_T3_mT4_P12ihipStream_tbEUlT_E_NS1_11comp_targetILNS1_3genE4ELNS1_11target_archE910ELNS1_3gpuE8ELNS1_3repE0EEENS1_30default_config_static_selectorELNS0_4arch9wavefront6targetE1EEEvT1_: ; @_ZN7rocprim17ROCPRIM_400000_NS6detail17trampoline_kernelINS0_14default_configENS1_25transform_config_selectorIiLb0EEEZNS1_14transform_implILb0ES3_S5_PiN6thrust23THRUST_200600_302600_NS10device_ptrIiEENS0_8identityIiEEEE10hipError_tT2_T3_mT4_P12ihipStream_tbEUlT_E_NS1_11comp_targetILNS1_3genE4ELNS1_11target_archE910ELNS1_3gpuE8ELNS1_3repE0EEENS1_30default_config_static_selectorELNS0_4arch9wavefront6targetE1EEEvT1_
; %bb.0:
	.section	.rodata,"a",@progbits
	.p2align	6, 0x0
	.amdhsa_kernel _ZN7rocprim17ROCPRIM_400000_NS6detail17trampoline_kernelINS0_14default_configENS1_25transform_config_selectorIiLb0EEEZNS1_14transform_implILb0ES3_S5_PiN6thrust23THRUST_200600_302600_NS10device_ptrIiEENS0_8identityIiEEEE10hipError_tT2_T3_mT4_P12ihipStream_tbEUlT_E_NS1_11comp_targetILNS1_3genE4ELNS1_11target_archE910ELNS1_3gpuE8ELNS1_3repE0EEENS1_30default_config_static_selectorELNS0_4arch9wavefront6targetE1EEEvT1_
		.amdhsa_group_segment_fixed_size 0
		.amdhsa_private_segment_fixed_size 0
		.amdhsa_kernarg_size 40
		.amdhsa_user_sgpr_count 2
		.amdhsa_user_sgpr_dispatch_ptr 0
		.amdhsa_user_sgpr_queue_ptr 0
		.amdhsa_user_sgpr_kernarg_segment_ptr 1
		.amdhsa_user_sgpr_dispatch_id 0
		.amdhsa_user_sgpr_kernarg_preload_length 0
		.amdhsa_user_sgpr_kernarg_preload_offset 0
		.amdhsa_user_sgpr_private_segment_size 0
		.amdhsa_uses_dynamic_stack 0
		.amdhsa_enable_private_segment 0
		.amdhsa_system_sgpr_workgroup_id_x 1
		.amdhsa_system_sgpr_workgroup_id_y 0
		.amdhsa_system_sgpr_workgroup_id_z 0
		.amdhsa_system_sgpr_workgroup_info 0
		.amdhsa_system_vgpr_workitem_id 0
		.amdhsa_next_free_vgpr 1
		.amdhsa_next_free_sgpr 0
		.amdhsa_accum_offset 4
		.amdhsa_reserve_vcc 0
		.amdhsa_float_round_mode_32 0
		.amdhsa_float_round_mode_16_64 0
		.amdhsa_float_denorm_mode_32 3
		.amdhsa_float_denorm_mode_16_64 3
		.amdhsa_dx10_clamp 1
		.amdhsa_ieee_mode 1
		.amdhsa_fp16_overflow 0
		.amdhsa_tg_split 0
		.amdhsa_exception_fp_ieee_invalid_op 0
		.amdhsa_exception_fp_denorm_src 0
		.amdhsa_exception_fp_ieee_div_zero 0
		.amdhsa_exception_fp_ieee_overflow 0
		.amdhsa_exception_fp_ieee_underflow 0
		.amdhsa_exception_fp_ieee_inexact 0
		.amdhsa_exception_int_div_zero 0
	.end_amdhsa_kernel
	.section	.text._ZN7rocprim17ROCPRIM_400000_NS6detail17trampoline_kernelINS0_14default_configENS1_25transform_config_selectorIiLb0EEEZNS1_14transform_implILb0ES3_S5_PiN6thrust23THRUST_200600_302600_NS10device_ptrIiEENS0_8identityIiEEEE10hipError_tT2_T3_mT4_P12ihipStream_tbEUlT_E_NS1_11comp_targetILNS1_3genE4ELNS1_11target_archE910ELNS1_3gpuE8ELNS1_3repE0EEENS1_30default_config_static_selectorELNS0_4arch9wavefront6targetE1EEEvT1_,"axG",@progbits,_ZN7rocprim17ROCPRIM_400000_NS6detail17trampoline_kernelINS0_14default_configENS1_25transform_config_selectorIiLb0EEEZNS1_14transform_implILb0ES3_S5_PiN6thrust23THRUST_200600_302600_NS10device_ptrIiEENS0_8identityIiEEEE10hipError_tT2_T3_mT4_P12ihipStream_tbEUlT_E_NS1_11comp_targetILNS1_3genE4ELNS1_11target_archE910ELNS1_3gpuE8ELNS1_3repE0EEENS1_30default_config_static_selectorELNS0_4arch9wavefront6targetE1EEEvT1_,comdat
.Lfunc_end2340:
	.size	_ZN7rocprim17ROCPRIM_400000_NS6detail17trampoline_kernelINS0_14default_configENS1_25transform_config_selectorIiLb0EEEZNS1_14transform_implILb0ES3_S5_PiN6thrust23THRUST_200600_302600_NS10device_ptrIiEENS0_8identityIiEEEE10hipError_tT2_T3_mT4_P12ihipStream_tbEUlT_E_NS1_11comp_targetILNS1_3genE4ELNS1_11target_archE910ELNS1_3gpuE8ELNS1_3repE0EEENS1_30default_config_static_selectorELNS0_4arch9wavefront6targetE1EEEvT1_, .Lfunc_end2340-_ZN7rocprim17ROCPRIM_400000_NS6detail17trampoline_kernelINS0_14default_configENS1_25transform_config_selectorIiLb0EEEZNS1_14transform_implILb0ES3_S5_PiN6thrust23THRUST_200600_302600_NS10device_ptrIiEENS0_8identityIiEEEE10hipError_tT2_T3_mT4_P12ihipStream_tbEUlT_E_NS1_11comp_targetILNS1_3genE4ELNS1_11target_archE910ELNS1_3gpuE8ELNS1_3repE0EEENS1_30default_config_static_selectorELNS0_4arch9wavefront6targetE1EEEvT1_
                                        ; -- End function
	.set _ZN7rocprim17ROCPRIM_400000_NS6detail17trampoline_kernelINS0_14default_configENS1_25transform_config_selectorIiLb0EEEZNS1_14transform_implILb0ES3_S5_PiN6thrust23THRUST_200600_302600_NS10device_ptrIiEENS0_8identityIiEEEE10hipError_tT2_T3_mT4_P12ihipStream_tbEUlT_E_NS1_11comp_targetILNS1_3genE4ELNS1_11target_archE910ELNS1_3gpuE8ELNS1_3repE0EEENS1_30default_config_static_selectorELNS0_4arch9wavefront6targetE1EEEvT1_.num_vgpr, 0
	.set _ZN7rocprim17ROCPRIM_400000_NS6detail17trampoline_kernelINS0_14default_configENS1_25transform_config_selectorIiLb0EEEZNS1_14transform_implILb0ES3_S5_PiN6thrust23THRUST_200600_302600_NS10device_ptrIiEENS0_8identityIiEEEE10hipError_tT2_T3_mT4_P12ihipStream_tbEUlT_E_NS1_11comp_targetILNS1_3genE4ELNS1_11target_archE910ELNS1_3gpuE8ELNS1_3repE0EEENS1_30default_config_static_selectorELNS0_4arch9wavefront6targetE1EEEvT1_.num_agpr, 0
	.set _ZN7rocprim17ROCPRIM_400000_NS6detail17trampoline_kernelINS0_14default_configENS1_25transform_config_selectorIiLb0EEEZNS1_14transform_implILb0ES3_S5_PiN6thrust23THRUST_200600_302600_NS10device_ptrIiEENS0_8identityIiEEEE10hipError_tT2_T3_mT4_P12ihipStream_tbEUlT_E_NS1_11comp_targetILNS1_3genE4ELNS1_11target_archE910ELNS1_3gpuE8ELNS1_3repE0EEENS1_30default_config_static_selectorELNS0_4arch9wavefront6targetE1EEEvT1_.numbered_sgpr, 0
	.set _ZN7rocprim17ROCPRIM_400000_NS6detail17trampoline_kernelINS0_14default_configENS1_25transform_config_selectorIiLb0EEEZNS1_14transform_implILb0ES3_S5_PiN6thrust23THRUST_200600_302600_NS10device_ptrIiEENS0_8identityIiEEEE10hipError_tT2_T3_mT4_P12ihipStream_tbEUlT_E_NS1_11comp_targetILNS1_3genE4ELNS1_11target_archE910ELNS1_3gpuE8ELNS1_3repE0EEENS1_30default_config_static_selectorELNS0_4arch9wavefront6targetE1EEEvT1_.num_named_barrier, 0
	.set _ZN7rocprim17ROCPRIM_400000_NS6detail17trampoline_kernelINS0_14default_configENS1_25transform_config_selectorIiLb0EEEZNS1_14transform_implILb0ES3_S5_PiN6thrust23THRUST_200600_302600_NS10device_ptrIiEENS0_8identityIiEEEE10hipError_tT2_T3_mT4_P12ihipStream_tbEUlT_E_NS1_11comp_targetILNS1_3genE4ELNS1_11target_archE910ELNS1_3gpuE8ELNS1_3repE0EEENS1_30default_config_static_selectorELNS0_4arch9wavefront6targetE1EEEvT1_.private_seg_size, 0
	.set _ZN7rocprim17ROCPRIM_400000_NS6detail17trampoline_kernelINS0_14default_configENS1_25transform_config_selectorIiLb0EEEZNS1_14transform_implILb0ES3_S5_PiN6thrust23THRUST_200600_302600_NS10device_ptrIiEENS0_8identityIiEEEE10hipError_tT2_T3_mT4_P12ihipStream_tbEUlT_E_NS1_11comp_targetILNS1_3genE4ELNS1_11target_archE910ELNS1_3gpuE8ELNS1_3repE0EEENS1_30default_config_static_selectorELNS0_4arch9wavefront6targetE1EEEvT1_.uses_vcc, 0
	.set _ZN7rocprim17ROCPRIM_400000_NS6detail17trampoline_kernelINS0_14default_configENS1_25transform_config_selectorIiLb0EEEZNS1_14transform_implILb0ES3_S5_PiN6thrust23THRUST_200600_302600_NS10device_ptrIiEENS0_8identityIiEEEE10hipError_tT2_T3_mT4_P12ihipStream_tbEUlT_E_NS1_11comp_targetILNS1_3genE4ELNS1_11target_archE910ELNS1_3gpuE8ELNS1_3repE0EEENS1_30default_config_static_selectorELNS0_4arch9wavefront6targetE1EEEvT1_.uses_flat_scratch, 0
	.set _ZN7rocprim17ROCPRIM_400000_NS6detail17trampoline_kernelINS0_14default_configENS1_25transform_config_selectorIiLb0EEEZNS1_14transform_implILb0ES3_S5_PiN6thrust23THRUST_200600_302600_NS10device_ptrIiEENS0_8identityIiEEEE10hipError_tT2_T3_mT4_P12ihipStream_tbEUlT_E_NS1_11comp_targetILNS1_3genE4ELNS1_11target_archE910ELNS1_3gpuE8ELNS1_3repE0EEENS1_30default_config_static_selectorELNS0_4arch9wavefront6targetE1EEEvT1_.has_dyn_sized_stack, 0
	.set _ZN7rocprim17ROCPRIM_400000_NS6detail17trampoline_kernelINS0_14default_configENS1_25transform_config_selectorIiLb0EEEZNS1_14transform_implILb0ES3_S5_PiN6thrust23THRUST_200600_302600_NS10device_ptrIiEENS0_8identityIiEEEE10hipError_tT2_T3_mT4_P12ihipStream_tbEUlT_E_NS1_11comp_targetILNS1_3genE4ELNS1_11target_archE910ELNS1_3gpuE8ELNS1_3repE0EEENS1_30default_config_static_selectorELNS0_4arch9wavefront6targetE1EEEvT1_.has_recursion, 0
	.set _ZN7rocprim17ROCPRIM_400000_NS6detail17trampoline_kernelINS0_14default_configENS1_25transform_config_selectorIiLb0EEEZNS1_14transform_implILb0ES3_S5_PiN6thrust23THRUST_200600_302600_NS10device_ptrIiEENS0_8identityIiEEEE10hipError_tT2_T3_mT4_P12ihipStream_tbEUlT_E_NS1_11comp_targetILNS1_3genE4ELNS1_11target_archE910ELNS1_3gpuE8ELNS1_3repE0EEENS1_30default_config_static_selectorELNS0_4arch9wavefront6targetE1EEEvT1_.has_indirect_call, 0
	.section	.AMDGPU.csdata,"",@progbits
; Kernel info:
; codeLenInByte = 0
; TotalNumSgprs: 6
; NumVgprs: 0
; NumAgprs: 0
; TotalNumVgprs: 0
; ScratchSize: 0
; MemoryBound: 0
; FloatMode: 240
; IeeeMode: 1
; LDSByteSize: 0 bytes/workgroup (compile time only)
; SGPRBlocks: 0
; VGPRBlocks: 0
; NumSGPRsForWavesPerEU: 6
; NumVGPRsForWavesPerEU: 1
; AccumOffset: 4
; Occupancy: 8
; WaveLimiterHint : 0
; COMPUTE_PGM_RSRC2:SCRATCH_EN: 0
; COMPUTE_PGM_RSRC2:USER_SGPR: 2
; COMPUTE_PGM_RSRC2:TRAP_HANDLER: 0
; COMPUTE_PGM_RSRC2:TGID_X_EN: 1
; COMPUTE_PGM_RSRC2:TGID_Y_EN: 0
; COMPUTE_PGM_RSRC2:TGID_Z_EN: 0
; COMPUTE_PGM_RSRC2:TIDIG_COMP_CNT: 0
; COMPUTE_PGM_RSRC3_GFX90A:ACCUM_OFFSET: 0
; COMPUTE_PGM_RSRC3_GFX90A:TG_SPLIT: 0
	.section	.text._ZN7rocprim17ROCPRIM_400000_NS6detail17trampoline_kernelINS0_14default_configENS1_25transform_config_selectorIiLb0EEEZNS1_14transform_implILb0ES3_S5_PiN6thrust23THRUST_200600_302600_NS10device_ptrIiEENS0_8identityIiEEEE10hipError_tT2_T3_mT4_P12ihipStream_tbEUlT_E_NS1_11comp_targetILNS1_3genE3ELNS1_11target_archE908ELNS1_3gpuE7ELNS1_3repE0EEENS1_30default_config_static_selectorELNS0_4arch9wavefront6targetE1EEEvT1_,"axG",@progbits,_ZN7rocprim17ROCPRIM_400000_NS6detail17trampoline_kernelINS0_14default_configENS1_25transform_config_selectorIiLb0EEEZNS1_14transform_implILb0ES3_S5_PiN6thrust23THRUST_200600_302600_NS10device_ptrIiEENS0_8identityIiEEEE10hipError_tT2_T3_mT4_P12ihipStream_tbEUlT_E_NS1_11comp_targetILNS1_3genE3ELNS1_11target_archE908ELNS1_3gpuE7ELNS1_3repE0EEENS1_30default_config_static_selectorELNS0_4arch9wavefront6targetE1EEEvT1_,comdat
	.protected	_ZN7rocprim17ROCPRIM_400000_NS6detail17trampoline_kernelINS0_14default_configENS1_25transform_config_selectorIiLb0EEEZNS1_14transform_implILb0ES3_S5_PiN6thrust23THRUST_200600_302600_NS10device_ptrIiEENS0_8identityIiEEEE10hipError_tT2_T3_mT4_P12ihipStream_tbEUlT_E_NS1_11comp_targetILNS1_3genE3ELNS1_11target_archE908ELNS1_3gpuE7ELNS1_3repE0EEENS1_30default_config_static_selectorELNS0_4arch9wavefront6targetE1EEEvT1_ ; -- Begin function _ZN7rocprim17ROCPRIM_400000_NS6detail17trampoline_kernelINS0_14default_configENS1_25transform_config_selectorIiLb0EEEZNS1_14transform_implILb0ES3_S5_PiN6thrust23THRUST_200600_302600_NS10device_ptrIiEENS0_8identityIiEEEE10hipError_tT2_T3_mT4_P12ihipStream_tbEUlT_E_NS1_11comp_targetILNS1_3genE3ELNS1_11target_archE908ELNS1_3gpuE7ELNS1_3repE0EEENS1_30default_config_static_selectorELNS0_4arch9wavefront6targetE1EEEvT1_
	.globl	_ZN7rocprim17ROCPRIM_400000_NS6detail17trampoline_kernelINS0_14default_configENS1_25transform_config_selectorIiLb0EEEZNS1_14transform_implILb0ES3_S5_PiN6thrust23THRUST_200600_302600_NS10device_ptrIiEENS0_8identityIiEEEE10hipError_tT2_T3_mT4_P12ihipStream_tbEUlT_E_NS1_11comp_targetILNS1_3genE3ELNS1_11target_archE908ELNS1_3gpuE7ELNS1_3repE0EEENS1_30default_config_static_selectorELNS0_4arch9wavefront6targetE1EEEvT1_
	.p2align	8
	.type	_ZN7rocprim17ROCPRIM_400000_NS6detail17trampoline_kernelINS0_14default_configENS1_25transform_config_selectorIiLb0EEEZNS1_14transform_implILb0ES3_S5_PiN6thrust23THRUST_200600_302600_NS10device_ptrIiEENS0_8identityIiEEEE10hipError_tT2_T3_mT4_P12ihipStream_tbEUlT_E_NS1_11comp_targetILNS1_3genE3ELNS1_11target_archE908ELNS1_3gpuE7ELNS1_3repE0EEENS1_30default_config_static_selectorELNS0_4arch9wavefront6targetE1EEEvT1_,@function
_ZN7rocprim17ROCPRIM_400000_NS6detail17trampoline_kernelINS0_14default_configENS1_25transform_config_selectorIiLb0EEEZNS1_14transform_implILb0ES3_S5_PiN6thrust23THRUST_200600_302600_NS10device_ptrIiEENS0_8identityIiEEEE10hipError_tT2_T3_mT4_P12ihipStream_tbEUlT_E_NS1_11comp_targetILNS1_3genE3ELNS1_11target_archE908ELNS1_3gpuE7ELNS1_3repE0EEENS1_30default_config_static_selectorELNS0_4arch9wavefront6targetE1EEEvT1_: ; @_ZN7rocprim17ROCPRIM_400000_NS6detail17trampoline_kernelINS0_14default_configENS1_25transform_config_selectorIiLb0EEEZNS1_14transform_implILb0ES3_S5_PiN6thrust23THRUST_200600_302600_NS10device_ptrIiEENS0_8identityIiEEEE10hipError_tT2_T3_mT4_P12ihipStream_tbEUlT_E_NS1_11comp_targetILNS1_3genE3ELNS1_11target_archE908ELNS1_3gpuE7ELNS1_3repE0EEENS1_30default_config_static_selectorELNS0_4arch9wavefront6targetE1EEEvT1_
; %bb.0:
	.section	.rodata,"a",@progbits
	.p2align	6, 0x0
	.amdhsa_kernel _ZN7rocprim17ROCPRIM_400000_NS6detail17trampoline_kernelINS0_14default_configENS1_25transform_config_selectorIiLb0EEEZNS1_14transform_implILb0ES3_S5_PiN6thrust23THRUST_200600_302600_NS10device_ptrIiEENS0_8identityIiEEEE10hipError_tT2_T3_mT4_P12ihipStream_tbEUlT_E_NS1_11comp_targetILNS1_3genE3ELNS1_11target_archE908ELNS1_3gpuE7ELNS1_3repE0EEENS1_30default_config_static_selectorELNS0_4arch9wavefront6targetE1EEEvT1_
		.amdhsa_group_segment_fixed_size 0
		.amdhsa_private_segment_fixed_size 0
		.amdhsa_kernarg_size 40
		.amdhsa_user_sgpr_count 2
		.amdhsa_user_sgpr_dispatch_ptr 0
		.amdhsa_user_sgpr_queue_ptr 0
		.amdhsa_user_sgpr_kernarg_segment_ptr 1
		.amdhsa_user_sgpr_dispatch_id 0
		.amdhsa_user_sgpr_kernarg_preload_length 0
		.amdhsa_user_sgpr_kernarg_preload_offset 0
		.amdhsa_user_sgpr_private_segment_size 0
		.amdhsa_uses_dynamic_stack 0
		.amdhsa_enable_private_segment 0
		.amdhsa_system_sgpr_workgroup_id_x 1
		.amdhsa_system_sgpr_workgroup_id_y 0
		.amdhsa_system_sgpr_workgroup_id_z 0
		.amdhsa_system_sgpr_workgroup_info 0
		.amdhsa_system_vgpr_workitem_id 0
		.amdhsa_next_free_vgpr 1
		.amdhsa_next_free_sgpr 0
		.amdhsa_accum_offset 4
		.amdhsa_reserve_vcc 0
		.amdhsa_float_round_mode_32 0
		.amdhsa_float_round_mode_16_64 0
		.amdhsa_float_denorm_mode_32 3
		.amdhsa_float_denorm_mode_16_64 3
		.amdhsa_dx10_clamp 1
		.amdhsa_ieee_mode 1
		.amdhsa_fp16_overflow 0
		.amdhsa_tg_split 0
		.amdhsa_exception_fp_ieee_invalid_op 0
		.amdhsa_exception_fp_denorm_src 0
		.amdhsa_exception_fp_ieee_div_zero 0
		.amdhsa_exception_fp_ieee_overflow 0
		.amdhsa_exception_fp_ieee_underflow 0
		.amdhsa_exception_fp_ieee_inexact 0
		.amdhsa_exception_int_div_zero 0
	.end_amdhsa_kernel
	.section	.text._ZN7rocprim17ROCPRIM_400000_NS6detail17trampoline_kernelINS0_14default_configENS1_25transform_config_selectorIiLb0EEEZNS1_14transform_implILb0ES3_S5_PiN6thrust23THRUST_200600_302600_NS10device_ptrIiEENS0_8identityIiEEEE10hipError_tT2_T3_mT4_P12ihipStream_tbEUlT_E_NS1_11comp_targetILNS1_3genE3ELNS1_11target_archE908ELNS1_3gpuE7ELNS1_3repE0EEENS1_30default_config_static_selectorELNS0_4arch9wavefront6targetE1EEEvT1_,"axG",@progbits,_ZN7rocprim17ROCPRIM_400000_NS6detail17trampoline_kernelINS0_14default_configENS1_25transform_config_selectorIiLb0EEEZNS1_14transform_implILb0ES3_S5_PiN6thrust23THRUST_200600_302600_NS10device_ptrIiEENS0_8identityIiEEEE10hipError_tT2_T3_mT4_P12ihipStream_tbEUlT_E_NS1_11comp_targetILNS1_3genE3ELNS1_11target_archE908ELNS1_3gpuE7ELNS1_3repE0EEENS1_30default_config_static_selectorELNS0_4arch9wavefront6targetE1EEEvT1_,comdat
.Lfunc_end2341:
	.size	_ZN7rocprim17ROCPRIM_400000_NS6detail17trampoline_kernelINS0_14default_configENS1_25transform_config_selectorIiLb0EEEZNS1_14transform_implILb0ES3_S5_PiN6thrust23THRUST_200600_302600_NS10device_ptrIiEENS0_8identityIiEEEE10hipError_tT2_T3_mT4_P12ihipStream_tbEUlT_E_NS1_11comp_targetILNS1_3genE3ELNS1_11target_archE908ELNS1_3gpuE7ELNS1_3repE0EEENS1_30default_config_static_selectorELNS0_4arch9wavefront6targetE1EEEvT1_, .Lfunc_end2341-_ZN7rocprim17ROCPRIM_400000_NS6detail17trampoline_kernelINS0_14default_configENS1_25transform_config_selectorIiLb0EEEZNS1_14transform_implILb0ES3_S5_PiN6thrust23THRUST_200600_302600_NS10device_ptrIiEENS0_8identityIiEEEE10hipError_tT2_T3_mT4_P12ihipStream_tbEUlT_E_NS1_11comp_targetILNS1_3genE3ELNS1_11target_archE908ELNS1_3gpuE7ELNS1_3repE0EEENS1_30default_config_static_selectorELNS0_4arch9wavefront6targetE1EEEvT1_
                                        ; -- End function
	.set _ZN7rocprim17ROCPRIM_400000_NS6detail17trampoline_kernelINS0_14default_configENS1_25transform_config_selectorIiLb0EEEZNS1_14transform_implILb0ES3_S5_PiN6thrust23THRUST_200600_302600_NS10device_ptrIiEENS0_8identityIiEEEE10hipError_tT2_T3_mT4_P12ihipStream_tbEUlT_E_NS1_11comp_targetILNS1_3genE3ELNS1_11target_archE908ELNS1_3gpuE7ELNS1_3repE0EEENS1_30default_config_static_selectorELNS0_4arch9wavefront6targetE1EEEvT1_.num_vgpr, 0
	.set _ZN7rocprim17ROCPRIM_400000_NS6detail17trampoline_kernelINS0_14default_configENS1_25transform_config_selectorIiLb0EEEZNS1_14transform_implILb0ES3_S5_PiN6thrust23THRUST_200600_302600_NS10device_ptrIiEENS0_8identityIiEEEE10hipError_tT2_T3_mT4_P12ihipStream_tbEUlT_E_NS1_11comp_targetILNS1_3genE3ELNS1_11target_archE908ELNS1_3gpuE7ELNS1_3repE0EEENS1_30default_config_static_selectorELNS0_4arch9wavefront6targetE1EEEvT1_.num_agpr, 0
	.set _ZN7rocprim17ROCPRIM_400000_NS6detail17trampoline_kernelINS0_14default_configENS1_25transform_config_selectorIiLb0EEEZNS1_14transform_implILb0ES3_S5_PiN6thrust23THRUST_200600_302600_NS10device_ptrIiEENS0_8identityIiEEEE10hipError_tT2_T3_mT4_P12ihipStream_tbEUlT_E_NS1_11comp_targetILNS1_3genE3ELNS1_11target_archE908ELNS1_3gpuE7ELNS1_3repE0EEENS1_30default_config_static_selectorELNS0_4arch9wavefront6targetE1EEEvT1_.numbered_sgpr, 0
	.set _ZN7rocprim17ROCPRIM_400000_NS6detail17trampoline_kernelINS0_14default_configENS1_25transform_config_selectorIiLb0EEEZNS1_14transform_implILb0ES3_S5_PiN6thrust23THRUST_200600_302600_NS10device_ptrIiEENS0_8identityIiEEEE10hipError_tT2_T3_mT4_P12ihipStream_tbEUlT_E_NS1_11comp_targetILNS1_3genE3ELNS1_11target_archE908ELNS1_3gpuE7ELNS1_3repE0EEENS1_30default_config_static_selectorELNS0_4arch9wavefront6targetE1EEEvT1_.num_named_barrier, 0
	.set _ZN7rocprim17ROCPRIM_400000_NS6detail17trampoline_kernelINS0_14default_configENS1_25transform_config_selectorIiLb0EEEZNS1_14transform_implILb0ES3_S5_PiN6thrust23THRUST_200600_302600_NS10device_ptrIiEENS0_8identityIiEEEE10hipError_tT2_T3_mT4_P12ihipStream_tbEUlT_E_NS1_11comp_targetILNS1_3genE3ELNS1_11target_archE908ELNS1_3gpuE7ELNS1_3repE0EEENS1_30default_config_static_selectorELNS0_4arch9wavefront6targetE1EEEvT1_.private_seg_size, 0
	.set _ZN7rocprim17ROCPRIM_400000_NS6detail17trampoline_kernelINS0_14default_configENS1_25transform_config_selectorIiLb0EEEZNS1_14transform_implILb0ES3_S5_PiN6thrust23THRUST_200600_302600_NS10device_ptrIiEENS0_8identityIiEEEE10hipError_tT2_T3_mT4_P12ihipStream_tbEUlT_E_NS1_11comp_targetILNS1_3genE3ELNS1_11target_archE908ELNS1_3gpuE7ELNS1_3repE0EEENS1_30default_config_static_selectorELNS0_4arch9wavefront6targetE1EEEvT1_.uses_vcc, 0
	.set _ZN7rocprim17ROCPRIM_400000_NS6detail17trampoline_kernelINS0_14default_configENS1_25transform_config_selectorIiLb0EEEZNS1_14transform_implILb0ES3_S5_PiN6thrust23THRUST_200600_302600_NS10device_ptrIiEENS0_8identityIiEEEE10hipError_tT2_T3_mT4_P12ihipStream_tbEUlT_E_NS1_11comp_targetILNS1_3genE3ELNS1_11target_archE908ELNS1_3gpuE7ELNS1_3repE0EEENS1_30default_config_static_selectorELNS0_4arch9wavefront6targetE1EEEvT1_.uses_flat_scratch, 0
	.set _ZN7rocprim17ROCPRIM_400000_NS6detail17trampoline_kernelINS0_14default_configENS1_25transform_config_selectorIiLb0EEEZNS1_14transform_implILb0ES3_S5_PiN6thrust23THRUST_200600_302600_NS10device_ptrIiEENS0_8identityIiEEEE10hipError_tT2_T3_mT4_P12ihipStream_tbEUlT_E_NS1_11comp_targetILNS1_3genE3ELNS1_11target_archE908ELNS1_3gpuE7ELNS1_3repE0EEENS1_30default_config_static_selectorELNS0_4arch9wavefront6targetE1EEEvT1_.has_dyn_sized_stack, 0
	.set _ZN7rocprim17ROCPRIM_400000_NS6detail17trampoline_kernelINS0_14default_configENS1_25transform_config_selectorIiLb0EEEZNS1_14transform_implILb0ES3_S5_PiN6thrust23THRUST_200600_302600_NS10device_ptrIiEENS0_8identityIiEEEE10hipError_tT2_T3_mT4_P12ihipStream_tbEUlT_E_NS1_11comp_targetILNS1_3genE3ELNS1_11target_archE908ELNS1_3gpuE7ELNS1_3repE0EEENS1_30default_config_static_selectorELNS0_4arch9wavefront6targetE1EEEvT1_.has_recursion, 0
	.set _ZN7rocprim17ROCPRIM_400000_NS6detail17trampoline_kernelINS0_14default_configENS1_25transform_config_selectorIiLb0EEEZNS1_14transform_implILb0ES3_S5_PiN6thrust23THRUST_200600_302600_NS10device_ptrIiEENS0_8identityIiEEEE10hipError_tT2_T3_mT4_P12ihipStream_tbEUlT_E_NS1_11comp_targetILNS1_3genE3ELNS1_11target_archE908ELNS1_3gpuE7ELNS1_3repE0EEENS1_30default_config_static_selectorELNS0_4arch9wavefront6targetE1EEEvT1_.has_indirect_call, 0
	.section	.AMDGPU.csdata,"",@progbits
; Kernel info:
; codeLenInByte = 0
; TotalNumSgprs: 6
; NumVgprs: 0
; NumAgprs: 0
; TotalNumVgprs: 0
; ScratchSize: 0
; MemoryBound: 0
; FloatMode: 240
; IeeeMode: 1
; LDSByteSize: 0 bytes/workgroup (compile time only)
; SGPRBlocks: 0
; VGPRBlocks: 0
; NumSGPRsForWavesPerEU: 6
; NumVGPRsForWavesPerEU: 1
; AccumOffset: 4
; Occupancy: 8
; WaveLimiterHint : 0
; COMPUTE_PGM_RSRC2:SCRATCH_EN: 0
; COMPUTE_PGM_RSRC2:USER_SGPR: 2
; COMPUTE_PGM_RSRC2:TRAP_HANDLER: 0
; COMPUTE_PGM_RSRC2:TGID_X_EN: 1
; COMPUTE_PGM_RSRC2:TGID_Y_EN: 0
; COMPUTE_PGM_RSRC2:TGID_Z_EN: 0
; COMPUTE_PGM_RSRC2:TIDIG_COMP_CNT: 0
; COMPUTE_PGM_RSRC3_GFX90A:ACCUM_OFFSET: 0
; COMPUTE_PGM_RSRC3_GFX90A:TG_SPLIT: 0
	.section	.text._ZN7rocprim17ROCPRIM_400000_NS6detail17trampoline_kernelINS0_14default_configENS1_25transform_config_selectorIiLb0EEEZNS1_14transform_implILb0ES3_S5_PiN6thrust23THRUST_200600_302600_NS10device_ptrIiEENS0_8identityIiEEEE10hipError_tT2_T3_mT4_P12ihipStream_tbEUlT_E_NS1_11comp_targetILNS1_3genE2ELNS1_11target_archE906ELNS1_3gpuE6ELNS1_3repE0EEENS1_30default_config_static_selectorELNS0_4arch9wavefront6targetE1EEEvT1_,"axG",@progbits,_ZN7rocprim17ROCPRIM_400000_NS6detail17trampoline_kernelINS0_14default_configENS1_25transform_config_selectorIiLb0EEEZNS1_14transform_implILb0ES3_S5_PiN6thrust23THRUST_200600_302600_NS10device_ptrIiEENS0_8identityIiEEEE10hipError_tT2_T3_mT4_P12ihipStream_tbEUlT_E_NS1_11comp_targetILNS1_3genE2ELNS1_11target_archE906ELNS1_3gpuE6ELNS1_3repE0EEENS1_30default_config_static_selectorELNS0_4arch9wavefront6targetE1EEEvT1_,comdat
	.protected	_ZN7rocprim17ROCPRIM_400000_NS6detail17trampoline_kernelINS0_14default_configENS1_25transform_config_selectorIiLb0EEEZNS1_14transform_implILb0ES3_S5_PiN6thrust23THRUST_200600_302600_NS10device_ptrIiEENS0_8identityIiEEEE10hipError_tT2_T3_mT4_P12ihipStream_tbEUlT_E_NS1_11comp_targetILNS1_3genE2ELNS1_11target_archE906ELNS1_3gpuE6ELNS1_3repE0EEENS1_30default_config_static_selectorELNS0_4arch9wavefront6targetE1EEEvT1_ ; -- Begin function _ZN7rocprim17ROCPRIM_400000_NS6detail17trampoline_kernelINS0_14default_configENS1_25transform_config_selectorIiLb0EEEZNS1_14transform_implILb0ES3_S5_PiN6thrust23THRUST_200600_302600_NS10device_ptrIiEENS0_8identityIiEEEE10hipError_tT2_T3_mT4_P12ihipStream_tbEUlT_E_NS1_11comp_targetILNS1_3genE2ELNS1_11target_archE906ELNS1_3gpuE6ELNS1_3repE0EEENS1_30default_config_static_selectorELNS0_4arch9wavefront6targetE1EEEvT1_
	.globl	_ZN7rocprim17ROCPRIM_400000_NS6detail17trampoline_kernelINS0_14default_configENS1_25transform_config_selectorIiLb0EEEZNS1_14transform_implILb0ES3_S5_PiN6thrust23THRUST_200600_302600_NS10device_ptrIiEENS0_8identityIiEEEE10hipError_tT2_T3_mT4_P12ihipStream_tbEUlT_E_NS1_11comp_targetILNS1_3genE2ELNS1_11target_archE906ELNS1_3gpuE6ELNS1_3repE0EEENS1_30default_config_static_selectorELNS0_4arch9wavefront6targetE1EEEvT1_
	.p2align	8
	.type	_ZN7rocprim17ROCPRIM_400000_NS6detail17trampoline_kernelINS0_14default_configENS1_25transform_config_selectorIiLb0EEEZNS1_14transform_implILb0ES3_S5_PiN6thrust23THRUST_200600_302600_NS10device_ptrIiEENS0_8identityIiEEEE10hipError_tT2_T3_mT4_P12ihipStream_tbEUlT_E_NS1_11comp_targetILNS1_3genE2ELNS1_11target_archE906ELNS1_3gpuE6ELNS1_3repE0EEENS1_30default_config_static_selectorELNS0_4arch9wavefront6targetE1EEEvT1_,@function
_ZN7rocprim17ROCPRIM_400000_NS6detail17trampoline_kernelINS0_14default_configENS1_25transform_config_selectorIiLb0EEEZNS1_14transform_implILb0ES3_S5_PiN6thrust23THRUST_200600_302600_NS10device_ptrIiEENS0_8identityIiEEEE10hipError_tT2_T3_mT4_P12ihipStream_tbEUlT_E_NS1_11comp_targetILNS1_3genE2ELNS1_11target_archE906ELNS1_3gpuE6ELNS1_3repE0EEENS1_30default_config_static_selectorELNS0_4arch9wavefront6targetE1EEEvT1_: ; @_ZN7rocprim17ROCPRIM_400000_NS6detail17trampoline_kernelINS0_14default_configENS1_25transform_config_selectorIiLb0EEEZNS1_14transform_implILb0ES3_S5_PiN6thrust23THRUST_200600_302600_NS10device_ptrIiEENS0_8identityIiEEEE10hipError_tT2_T3_mT4_P12ihipStream_tbEUlT_E_NS1_11comp_targetILNS1_3genE2ELNS1_11target_archE906ELNS1_3gpuE6ELNS1_3repE0EEENS1_30default_config_static_selectorELNS0_4arch9wavefront6targetE1EEEvT1_
; %bb.0:
	.section	.rodata,"a",@progbits
	.p2align	6, 0x0
	.amdhsa_kernel _ZN7rocprim17ROCPRIM_400000_NS6detail17trampoline_kernelINS0_14default_configENS1_25transform_config_selectorIiLb0EEEZNS1_14transform_implILb0ES3_S5_PiN6thrust23THRUST_200600_302600_NS10device_ptrIiEENS0_8identityIiEEEE10hipError_tT2_T3_mT4_P12ihipStream_tbEUlT_E_NS1_11comp_targetILNS1_3genE2ELNS1_11target_archE906ELNS1_3gpuE6ELNS1_3repE0EEENS1_30default_config_static_selectorELNS0_4arch9wavefront6targetE1EEEvT1_
		.amdhsa_group_segment_fixed_size 0
		.amdhsa_private_segment_fixed_size 0
		.amdhsa_kernarg_size 40
		.amdhsa_user_sgpr_count 2
		.amdhsa_user_sgpr_dispatch_ptr 0
		.amdhsa_user_sgpr_queue_ptr 0
		.amdhsa_user_sgpr_kernarg_segment_ptr 1
		.amdhsa_user_sgpr_dispatch_id 0
		.amdhsa_user_sgpr_kernarg_preload_length 0
		.amdhsa_user_sgpr_kernarg_preload_offset 0
		.amdhsa_user_sgpr_private_segment_size 0
		.amdhsa_uses_dynamic_stack 0
		.amdhsa_enable_private_segment 0
		.amdhsa_system_sgpr_workgroup_id_x 1
		.amdhsa_system_sgpr_workgroup_id_y 0
		.amdhsa_system_sgpr_workgroup_id_z 0
		.amdhsa_system_sgpr_workgroup_info 0
		.amdhsa_system_vgpr_workitem_id 0
		.amdhsa_next_free_vgpr 1
		.amdhsa_next_free_sgpr 0
		.amdhsa_accum_offset 4
		.amdhsa_reserve_vcc 0
		.amdhsa_float_round_mode_32 0
		.amdhsa_float_round_mode_16_64 0
		.amdhsa_float_denorm_mode_32 3
		.amdhsa_float_denorm_mode_16_64 3
		.amdhsa_dx10_clamp 1
		.amdhsa_ieee_mode 1
		.amdhsa_fp16_overflow 0
		.amdhsa_tg_split 0
		.amdhsa_exception_fp_ieee_invalid_op 0
		.amdhsa_exception_fp_denorm_src 0
		.amdhsa_exception_fp_ieee_div_zero 0
		.amdhsa_exception_fp_ieee_overflow 0
		.amdhsa_exception_fp_ieee_underflow 0
		.amdhsa_exception_fp_ieee_inexact 0
		.amdhsa_exception_int_div_zero 0
	.end_amdhsa_kernel
	.section	.text._ZN7rocprim17ROCPRIM_400000_NS6detail17trampoline_kernelINS0_14default_configENS1_25transform_config_selectorIiLb0EEEZNS1_14transform_implILb0ES3_S5_PiN6thrust23THRUST_200600_302600_NS10device_ptrIiEENS0_8identityIiEEEE10hipError_tT2_T3_mT4_P12ihipStream_tbEUlT_E_NS1_11comp_targetILNS1_3genE2ELNS1_11target_archE906ELNS1_3gpuE6ELNS1_3repE0EEENS1_30default_config_static_selectorELNS0_4arch9wavefront6targetE1EEEvT1_,"axG",@progbits,_ZN7rocprim17ROCPRIM_400000_NS6detail17trampoline_kernelINS0_14default_configENS1_25transform_config_selectorIiLb0EEEZNS1_14transform_implILb0ES3_S5_PiN6thrust23THRUST_200600_302600_NS10device_ptrIiEENS0_8identityIiEEEE10hipError_tT2_T3_mT4_P12ihipStream_tbEUlT_E_NS1_11comp_targetILNS1_3genE2ELNS1_11target_archE906ELNS1_3gpuE6ELNS1_3repE0EEENS1_30default_config_static_selectorELNS0_4arch9wavefront6targetE1EEEvT1_,comdat
.Lfunc_end2342:
	.size	_ZN7rocprim17ROCPRIM_400000_NS6detail17trampoline_kernelINS0_14default_configENS1_25transform_config_selectorIiLb0EEEZNS1_14transform_implILb0ES3_S5_PiN6thrust23THRUST_200600_302600_NS10device_ptrIiEENS0_8identityIiEEEE10hipError_tT2_T3_mT4_P12ihipStream_tbEUlT_E_NS1_11comp_targetILNS1_3genE2ELNS1_11target_archE906ELNS1_3gpuE6ELNS1_3repE0EEENS1_30default_config_static_selectorELNS0_4arch9wavefront6targetE1EEEvT1_, .Lfunc_end2342-_ZN7rocprim17ROCPRIM_400000_NS6detail17trampoline_kernelINS0_14default_configENS1_25transform_config_selectorIiLb0EEEZNS1_14transform_implILb0ES3_S5_PiN6thrust23THRUST_200600_302600_NS10device_ptrIiEENS0_8identityIiEEEE10hipError_tT2_T3_mT4_P12ihipStream_tbEUlT_E_NS1_11comp_targetILNS1_3genE2ELNS1_11target_archE906ELNS1_3gpuE6ELNS1_3repE0EEENS1_30default_config_static_selectorELNS0_4arch9wavefront6targetE1EEEvT1_
                                        ; -- End function
	.set _ZN7rocprim17ROCPRIM_400000_NS6detail17trampoline_kernelINS0_14default_configENS1_25transform_config_selectorIiLb0EEEZNS1_14transform_implILb0ES3_S5_PiN6thrust23THRUST_200600_302600_NS10device_ptrIiEENS0_8identityIiEEEE10hipError_tT2_T3_mT4_P12ihipStream_tbEUlT_E_NS1_11comp_targetILNS1_3genE2ELNS1_11target_archE906ELNS1_3gpuE6ELNS1_3repE0EEENS1_30default_config_static_selectorELNS0_4arch9wavefront6targetE1EEEvT1_.num_vgpr, 0
	.set _ZN7rocprim17ROCPRIM_400000_NS6detail17trampoline_kernelINS0_14default_configENS1_25transform_config_selectorIiLb0EEEZNS1_14transform_implILb0ES3_S5_PiN6thrust23THRUST_200600_302600_NS10device_ptrIiEENS0_8identityIiEEEE10hipError_tT2_T3_mT4_P12ihipStream_tbEUlT_E_NS1_11comp_targetILNS1_3genE2ELNS1_11target_archE906ELNS1_3gpuE6ELNS1_3repE0EEENS1_30default_config_static_selectorELNS0_4arch9wavefront6targetE1EEEvT1_.num_agpr, 0
	.set _ZN7rocprim17ROCPRIM_400000_NS6detail17trampoline_kernelINS0_14default_configENS1_25transform_config_selectorIiLb0EEEZNS1_14transform_implILb0ES3_S5_PiN6thrust23THRUST_200600_302600_NS10device_ptrIiEENS0_8identityIiEEEE10hipError_tT2_T3_mT4_P12ihipStream_tbEUlT_E_NS1_11comp_targetILNS1_3genE2ELNS1_11target_archE906ELNS1_3gpuE6ELNS1_3repE0EEENS1_30default_config_static_selectorELNS0_4arch9wavefront6targetE1EEEvT1_.numbered_sgpr, 0
	.set _ZN7rocprim17ROCPRIM_400000_NS6detail17trampoline_kernelINS0_14default_configENS1_25transform_config_selectorIiLb0EEEZNS1_14transform_implILb0ES3_S5_PiN6thrust23THRUST_200600_302600_NS10device_ptrIiEENS0_8identityIiEEEE10hipError_tT2_T3_mT4_P12ihipStream_tbEUlT_E_NS1_11comp_targetILNS1_3genE2ELNS1_11target_archE906ELNS1_3gpuE6ELNS1_3repE0EEENS1_30default_config_static_selectorELNS0_4arch9wavefront6targetE1EEEvT1_.num_named_barrier, 0
	.set _ZN7rocprim17ROCPRIM_400000_NS6detail17trampoline_kernelINS0_14default_configENS1_25transform_config_selectorIiLb0EEEZNS1_14transform_implILb0ES3_S5_PiN6thrust23THRUST_200600_302600_NS10device_ptrIiEENS0_8identityIiEEEE10hipError_tT2_T3_mT4_P12ihipStream_tbEUlT_E_NS1_11comp_targetILNS1_3genE2ELNS1_11target_archE906ELNS1_3gpuE6ELNS1_3repE0EEENS1_30default_config_static_selectorELNS0_4arch9wavefront6targetE1EEEvT1_.private_seg_size, 0
	.set _ZN7rocprim17ROCPRIM_400000_NS6detail17trampoline_kernelINS0_14default_configENS1_25transform_config_selectorIiLb0EEEZNS1_14transform_implILb0ES3_S5_PiN6thrust23THRUST_200600_302600_NS10device_ptrIiEENS0_8identityIiEEEE10hipError_tT2_T3_mT4_P12ihipStream_tbEUlT_E_NS1_11comp_targetILNS1_3genE2ELNS1_11target_archE906ELNS1_3gpuE6ELNS1_3repE0EEENS1_30default_config_static_selectorELNS0_4arch9wavefront6targetE1EEEvT1_.uses_vcc, 0
	.set _ZN7rocprim17ROCPRIM_400000_NS6detail17trampoline_kernelINS0_14default_configENS1_25transform_config_selectorIiLb0EEEZNS1_14transform_implILb0ES3_S5_PiN6thrust23THRUST_200600_302600_NS10device_ptrIiEENS0_8identityIiEEEE10hipError_tT2_T3_mT4_P12ihipStream_tbEUlT_E_NS1_11comp_targetILNS1_3genE2ELNS1_11target_archE906ELNS1_3gpuE6ELNS1_3repE0EEENS1_30default_config_static_selectorELNS0_4arch9wavefront6targetE1EEEvT1_.uses_flat_scratch, 0
	.set _ZN7rocprim17ROCPRIM_400000_NS6detail17trampoline_kernelINS0_14default_configENS1_25transform_config_selectorIiLb0EEEZNS1_14transform_implILb0ES3_S5_PiN6thrust23THRUST_200600_302600_NS10device_ptrIiEENS0_8identityIiEEEE10hipError_tT2_T3_mT4_P12ihipStream_tbEUlT_E_NS1_11comp_targetILNS1_3genE2ELNS1_11target_archE906ELNS1_3gpuE6ELNS1_3repE0EEENS1_30default_config_static_selectorELNS0_4arch9wavefront6targetE1EEEvT1_.has_dyn_sized_stack, 0
	.set _ZN7rocprim17ROCPRIM_400000_NS6detail17trampoline_kernelINS0_14default_configENS1_25transform_config_selectorIiLb0EEEZNS1_14transform_implILb0ES3_S5_PiN6thrust23THRUST_200600_302600_NS10device_ptrIiEENS0_8identityIiEEEE10hipError_tT2_T3_mT4_P12ihipStream_tbEUlT_E_NS1_11comp_targetILNS1_3genE2ELNS1_11target_archE906ELNS1_3gpuE6ELNS1_3repE0EEENS1_30default_config_static_selectorELNS0_4arch9wavefront6targetE1EEEvT1_.has_recursion, 0
	.set _ZN7rocprim17ROCPRIM_400000_NS6detail17trampoline_kernelINS0_14default_configENS1_25transform_config_selectorIiLb0EEEZNS1_14transform_implILb0ES3_S5_PiN6thrust23THRUST_200600_302600_NS10device_ptrIiEENS0_8identityIiEEEE10hipError_tT2_T3_mT4_P12ihipStream_tbEUlT_E_NS1_11comp_targetILNS1_3genE2ELNS1_11target_archE906ELNS1_3gpuE6ELNS1_3repE0EEENS1_30default_config_static_selectorELNS0_4arch9wavefront6targetE1EEEvT1_.has_indirect_call, 0
	.section	.AMDGPU.csdata,"",@progbits
; Kernel info:
; codeLenInByte = 0
; TotalNumSgprs: 6
; NumVgprs: 0
; NumAgprs: 0
; TotalNumVgprs: 0
; ScratchSize: 0
; MemoryBound: 0
; FloatMode: 240
; IeeeMode: 1
; LDSByteSize: 0 bytes/workgroup (compile time only)
; SGPRBlocks: 0
; VGPRBlocks: 0
; NumSGPRsForWavesPerEU: 6
; NumVGPRsForWavesPerEU: 1
; AccumOffset: 4
; Occupancy: 8
; WaveLimiterHint : 0
; COMPUTE_PGM_RSRC2:SCRATCH_EN: 0
; COMPUTE_PGM_RSRC2:USER_SGPR: 2
; COMPUTE_PGM_RSRC2:TRAP_HANDLER: 0
; COMPUTE_PGM_RSRC2:TGID_X_EN: 1
; COMPUTE_PGM_RSRC2:TGID_Y_EN: 0
; COMPUTE_PGM_RSRC2:TGID_Z_EN: 0
; COMPUTE_PGM_RSRC2:TIDIG_COMP_CNT: 0
; COMPUTE_PGM_RSRC3_GFX90A:ACCUM_OFFSET: 0
; COMPUTE_PGM_RSRC3_GFX90A:TG_SPLIT: 0
	.section	.text._ZN7rocprim17ROCPRIM_400000_NS6detail17trampoline_kernelINS0_14default_configENS1_25transform_config_selectorIiLb0EEEZNS1_14transform_implILb0ES3_S5_PiN6thrust23THRUST_200600_302600_NS10device_ptrIiEENS0_8identityIiEEEE10hipError_tT2_T3_mT4_P12ihipStream_tbEUlT_E_NS1_11comp_targetILNS1_3genE10ELNS1_11target_archE1201ELNS1_3gpuE5ELNS1_3repE0EEENS1_30default_config_static_selectorELNS0_4arch9wavefront6targetE1EEEvT1_,"axG",@progbits,_ZN7rocprim17ROCPRIM_400000_NS6detail17trampoline_kernelINS0_14default_configENS1_25transform_config_selectorIiLb0EEEZNS1_14transform_implILb0ES3_S5_PiN6thrust23THRUST_200600_302600_NS10device_ptrIiEENS0_8identityIiEEEE10hipError_tT2_T3_mT4_P12ihipStream_tbEUlT_E_NS1_11comp_targetILNS1_3genE10ELNS1_11target_archE1201ELNS1_3gpuE5ELNS1_3repE0EEENS1_30default_config_static_selectorELNS0_4arch9wavefront6targetE1EEEvT1_,comdat
	.protected	_ZN7rocprim17ROCPRIM_400000_NS6detail17trampoline_kernelINS0_14default_configENS1_25transform_config_selectorIiLb0EEEZNS1_14transform_implILb0ES3_S5_PiN6thrust23THRUST_200600_302600_NS10device_ptrIiEENS0_8identityIiEEEE10hipError_tT2_T3_mT4_P12ihipStream_tbEUlT_E_NS1_11comp_targetILNS1_3genE10ELNS1_11target_archE1201ELNS1_3gpuE5ELNS1_3repE0EEENS1_30default_config_static_selectorELNS0_4arch9wavefront6targetE1EEEvT1_ ; -- Begin function _ZN7rocprim17ROCPRIM_400000_NS6detail17trampoline_kernelINS0_14default_configENS1_25transform_config_selectorIiLb0EEEZNS1_14transform_implILb0ES3_S5_PiN6thrust23THRUST_200600_302600_NS10device_ptrIiEENS0_8identityIiEEEE10hipError_tT2_T3_mT4_P12ihipStream_tbEUlT_E_NS1_11comp_targetILNS1_3genE10ELNS1_11target_archE1201ELNS1_3gpuE5ELNS1_3repE0EEENS1_30default_config_static_selectorELNS0_4arch9wavefront6targetE1EEEvT1_
	.globl	_ZN7rocprim17ROCPRIM_400000_NS6detail17trampoline_kernelINS0_14default_configENS1_25transform_config_selectorIiLb0EEEZNS1_14transform_implILb0ES3_S5_PiN6thrust23THRUST_200600_302600_NS10device_ptrIiEENS0_8identityIiEEEE10hipError_tT2_T3_mT4_P12ihipStream_tbEUlT_E_NS1_11comp_targetILNS1_3genE10ELNS1_11target_archE1201ELNS1_3gpuE5ELNS1_3repE0EEENS1_30default_config_static_selectorELNS0_4arch9wavefront6targetE1EEEvT1_
	.p2align	8
	.type	_ZN7rocprim17ROCPRIM_400000_NS6detail17trampoline_kernelINS0_14default_configENS1_25transform_config_selectorIiLb0EEEZNS1_14transform_implILb0ES3_S5_PiN6thrust23THRUST_200600_302600_NS10device_ptrIiEENS0_8identityIiEEEE10hipError_tT2_T3_mT4_P12ihipStream_tbEUlT_E_NS1_11comp_targetILNS1_3genE10ELNS1_11target_archE1201ELNS1_3gpuE5ELNS1_3repE0EEENS1_30default_config_static_selectorELNS0_4arch9wavefront6targetE1EEEvT1_,@function
_ZN7rocprim17ROCPRIM_400000_NS6detail17trampoline_kernelINS0_14default_configENS1_25transform_config_selectorIiLb0EEEZNS1_14transform_implILb0ES3_S5_PiN6thrust23THRUST_200600_302600_NS10device_ptrIiEENS0_8identityIiEEEE10hipError_tT2_T3_mT4_P12ihipStream_tbEUlT_E_NS1_11comp_targetILNS1_3genE10ELNS1_11target_archE1201ELNS1_3gpuE5ELNS1_3repE0EEENS1_30default_config_static_selectorELNS0_4arch9wavefront6targetE1EEEvT1_: ; @_ZN7rocprim17ROCPRIM_400000_NS6detail17trampoline_kernelINS0_14default_configENS1_25transform_config_selectorIiLb0EEEZNS1_14transform_implILb0ES3_S5_PiN6thrust23THRUST_200600_302600_NS10device_ptrIiEENS0_8identityIiEEEE10hipError_tT2_T3_mT4_P12ihipStream_tbEUlT_E_NS1_11comp_targetILNS1_3genE10ELNS1_11target_archE1201ELNS1_3gpuE5ELNS1_3repE0EEENS1_30default_config_static_selectorELNS0_4arch9wavefront6targetE1EEEvT1_
; %bb.0:
	.section	.rodata,"a",@progbits
	.p2align	6, 0x0
	.amdhsa_kernel _ZN7rocprim17ROCPRIM_400000_NS6detail17trampoline_kernelINS0_14default_configENS1_25transform_config_selectorIiLb0EEEZNS1_14transform_implILb0ES3_S5_PiN6thrust23THRUST_200600_302600_NS10device_ptrIiEENS0_8identityIiEEEE10hipError_tT2_T3_mT4_P12ihipStream_tbEUlT_E_NS1_11comp_targetILNS1_3genE10ELNS1_11target_archE1201ELNS1_3gpuE5ELNS1_3repE0EEENS1_30default_config_static_selectorELNS0_4arch9wavefront6targetE1EEEvT1_
		.amdhsa_group_segment_fixed_size 0
		.amdhsa_private_segment_fixed_size 0
		.amdhsa_kernarg_size 40
		.amdhsa_user_sgpr_count 2
		.amdhsa_user_sgpr_dispatch_ptr 0
		.amdhsa_user_sgpr_queue_ptr 0
		.amdhsa_user_sgpr_kernarg_segment_ptr 1
		.amdhsa_user_sgpr_dispatch_id 0
		.amdhsa_user_sgpr_kernarg_preload_length 0
		.amdhsa_user_sgpr_kernarg_preload_offset 0
		.amdhsa_user_sgpr_private_segment_size 0
		.amdhsa_uses_dynamic_stack 0
		.amdhsa_enable_private_segment 0
		.amdhsa_system_sgpr_workgroup_id_x 1
		.amdhsa_system_sgpr_workgroup_id_y 0
		.amdhsa_system_sgpr_workgroup_id_z 0
		.amdhsa_system_sgpr_workgroup_info 0
		.amdhsa_system_vgpr_workitem_id 0
		.amdhsa_next_free_vgpr 1
		.amdhsa_next_free_sgpr 0
		.amdhsa_accum_offset 4
		.amdhsa_reserve_vcc 0
		.amdhsa_float_round_mode_32 0
		.amdhsa_float_round_mode_16_64 0
		.amdhsa_float_denorm_mode_32 3
		.amdhsa_float_denorm_mode_16_64 3
		.amdhsa_dx10_clamp 1
		.amdhsa_ieee_mode 1
		.amdhsa_fp16_overflow 0
		.amdhsa_tg_split 0
		.amdhsa_exception_fp_ieee_invalid_op 0
		.amdhsa_exception_fp_denorm_src 0
		.amdhsa_exception_fp_ieee_div_zero 0
		.amdhsa_exception_fp_ieee_overflow 0
		.amdhsa_exception_fp_ieee_underflow 0
		.amdhsa_exception_fp_ieee_inexact 0
		.amdhsa_exception_int_div_zero 0
	.end_amdhsa_kernel
	.section	.text._ZN7rocprim17ROCPRIM_400000_NS6detail17trampoline_kernelINS0_14default_configENS1_25transform_config_selectorIiLb0EEEZNS1_14transform_implILb0ES3_S5_PiN6thrust23THRUST_200600_302600_NS10device_ptrIiEENS0_8identityIiEEEE10hipError_tT2_T3_mT4_P12ihipStream_tbEUlT_E_NS1_11comp_targetILNS1_3genE10ELNS1_11target_archE1201ELNS1_3gpuE5ELNS1_3repE0EEENS1_30default_config_static_selectorELNS0_4arch9wavefront6targetE1EEEvT1_,"axG",@progbits,_ZN7rocprim17ROCPRIM_400000_NS6detail17trampoline_kernelINS0_14default_configENS1_25transform_config_selectorIiLb0EEEZNS1_14transform_implILb0ES3_S5_PiN6thrust23THRUST_200600_302600_NS10device_ptrIiEENS0_8identityIiEEEE10hipError_tT2_T3_mT4_P12ihipStream_tbEUlT_E_NS1_11comp_targetILNS1_3genE10ELNS1_11target_archE1201ELNS1_3gpuE5ELNS1_3repE0EEENS1_30default_config_static_selectorELNS0_4arch9wavefront6targetE1EEEvT1_,comdat
.Lfunc_end2343:
	.size	_ZN7rocprim17ROCPRIM_400000_NS6detail17trampoline_kernelINS0_14default_configENS1_25transform_config_selectorIiLb0EEEZNS1_14transform_implILb0ES3_S5_PiN6thrust23THRUST_200600_302600_NS10device_ptrIiEENS0_8identityIiEEEE10hipError_tT2_T3_mT4_P12ihipStream_tbEUlT_E_NS1_11comp_targetILNS1_3genE10ELNS1_11target_archE1201ELNS1_3gpuE5ELNS1_3repE0EEENS1_30default_config_static_selectorELNS0_4arch9wavefront6targetE1EEEvT1_, .Lfunc_end2343-_ZN7rocprim17ROCPRIM_400000_NS6detail17trampoline_kernelINS0_14default_configENS1_25transform_config_selectorIiLb0EEEZNS1_14transform_implILb0ES3_S5_PiN6thrust23THRUST_200600_302600_NS10device_ptrIiEENS0_8identityIiEEEE10hipError_tT2_T3_mT4_P12ihipStream_tbEUlT_E_NS1_11comp_targetILNS1_3genE10ELNS1_11target_archE1201ELNS1_3gpuE5ELNS1_3repE0EEENS1_30default_config_static_selectorELNS0_4arch9wavefront6targetE1EEEvT1_
                                        ; -- End function
	.set _ZN7rocprim17ROCPRIM_400000_NS6detail17trampoline_kernelINS0_14default_configENS1_25transform_config_selectorIiLb0EEEZNS1_14transform_implILb0ES3_S5_PiN6thrust23THRUST_200600_302600_NS10device_ptrIiEENS0_8identityIiEEEE10hipError_tT2_T3_mT4_P12ihipStream_tbEUlT_E_NS1_11comp_targetILNS1_3genE10ELNS1_11target_archE1201ELNS1_3gpuE5ELNS1_3repE0EEENS1_30default_config_static_selectorELNS0_4arch9wavefront6targetE1EEEvT1_.num_vgpr, 0
	.set _ZN7rocprim17ROCPRIM_400000_NS6detail17trampoline_kernelINS0_14default_configENS1_25transform_config_selectorIiLb0EEEZNS1_14transform_implILb0ES3_S5_PiN6thrust23THRUST_200600_302600_NS10device_ptrIiEENS0_8identityIiEEEE10hipError_tT2_T3_mT4_P12ihipStream_tbEUlT_E_NS1_11comp_targetILNS1_3genE10ELNS1_11target_archE1201ELNS1_3gpuE5ELNS1_3repE0EEENS1_30default_config_static_selectorELNS0_4arch9wavefront6targetE1EEEvT1_.num_agpr, 0
	.set _ZN7rocprim17ROCPRIM_400000_NS6detail17trampoline_kernelINS0_14default_configENS1_25transform_config_selectorIiLb0EEEZNS1_14transform_implILb0ES3_S5_PiN6thrust23THRUST_200600_302600_NS10device_ptrIiEENS0_8identityIiEEEE10hipError_tT2_T3_mT4_P12ihipStream_tbEUlT_E_NS1_11comp_targetILNS1_3genE10ELNS1_11target_archE1201ELNS1_3gpuE5ELNS1_3repE0EEENS1_30default_config_static_selectorELNS0_4arch9wavefront6targetE1EEEvT1_.numbered_sgpr, 0
	.set _ZN7rocprim17ROCPRIM_400000_NS6detail17trampoline_kernelINS0_14default_configENS1_25transform_config_selectorIiLb0EEEZNS1_14transform_implILb0ES3_S5_PiN6thrust23THRUST_200600_302600_NS10device_ptrIiEENS0_8identityIiEEEE10hipError_tT2_T3_mT4_P12ihipStream_tbEUlT_E_NS1_11comp_targetILNS1_3genE10ELNS1_11target_archE1201ELNS1_3gpuE5ELNS1_3repE0EEENS1_30default_config_static_selectorELNS0_4arch9wavefront6targetE1EEEvT1_.num_named_barrier, 0
	.set _ZN7rocprim17ROCPRIM_400000_NS6detail17trampoline_kernelINS0_14default_configENS1_25transform_config_selectorIiLb0EEEZNS1_14transform_implILb0ES3_S5_PiN6thrust23THRUST_200600_302600_NS10device_ptrIiEENS0_8identityIiEEEE10hipError_tT2_T3_mT4_P12ihipStream_tbEUlT_E_NS1_11comp_targetILNS1_3genE10ELNS1_11target_archE1201ELNS1_3gpuE5ELNS1_3repE0EEENS1_30default_config_static_selectorELNS0_4arch9wavefront6targetE1EEEvT1_.private_seg_size, 0
	.set _ZN7rocprim17ROCPRIM_400000_NS6detail17trampoline_kernelINS0_14default_configENS1_25transform_config_selectorIiLb0EEEZNS1_14transform_implILb0ES3_S5_PiN6thrust23THRUST_200600_302600_NS10device_ptrIiEENS0_8identityIiEEEE10hipError_tT2_T3_mT4_P12ihipStream_tbEUlT_E_NS1_11comp_targetILNS1_3genE10ELNS1_11target_archE1201ELNS1_3gpuE5ELNS1_3repE0EEENS1_30default_config_static_selectorELNS0_4arch9wavefront6targetE1EEEvT1_.uses_vcc, 0
	.set _ZN7rocprim17ROCPRIM_400000_NS6detail17trampoline_kernelINS0_14default_configENS1_25transform_config_selectorIiLb0EEEZNS1_14transform_implILb0ES3_S5_PiN6thrust23THRUST_200600_302600_NS10device_ptrIiEENS0_8identityIiEEEE10hipError_tT2_T3_mT4_P12ihipStream_tbEUlT_E_NS1_11comp_targetILNS1_3genE10ELNS1_11target_archE1201ELNS1_3gpuE5ELNS1_3repE0EEENS1_30default_config_static_selectorELNS0_4arch9wavefront6targetE1EEEvT1_.uses_flat_scratch, 0
	.set _ZN7rocprim17ROCPRIM_400000_NS6detail17trampoline_kernelINS0_14default_configENS1_25transform_config_selectorIiLb0EEEZNS1_14transform_implILb0ES3_S5_PiN6thrust23THRUST_200600_302600_NS10device_ptrIiEENS0_8identityIiEEEE10hipError_tT2_T3_mT4_P12ihipStream_tbEUlT_E_NS1_11comp_targetILNS1_3genE10ELNS1_11target_archE1201ELNS1_3gpuE5ELNS1_3repE0EEENS1_30default_config_static_selectorELNS0_4arch9wavefront6targetE1EEEvT1_.has_dyn_sized_stack, 0
	.set _ZN7rocprim17ROCPRIM_400000_NS6detail17trampoline_kernelINS0_14default_configENS1_25transform_config_selectorIiLb0EEEZNS1_14transform_implILb0ES3_S5_PiN6thrust23THRUST_200600_302600_NS10device_ptrIiEENS0_8identityIiEEEE10hipError_tT2_T3_mT4_P12ihipStream_tbEUlT_E_NS1_11comp_targetILNS1_3genE10ELNS1_11target_archE1201ELNS1_3gpuE5ELNS1_3repE0EEENS1_30default_config_static_selectorELNS0_4arch9wavefront6targetE1EEEvT1_.has_recursion, 0
	.set _ZN7rocprim17ROCPRIM_400000_NS6detail17trampoline_kernelINS0_14default_configENS1_25transform_config_selectorIiLb0EEEZNS1_14transform_implILb0ES3_S5_PiN6thrust23THRUST_200600_302600_NS10device_ptrIiEENS0_8identityIiEEEE10hipError_tT2_T3_mT4_P12ihipStream_tbEUlT_E_NS1_11comp_targetILNS1_3genE10ELNS1_11target_archE1201ELNS1_3gpuE5ELNS1_3repE0EEENS1_30default_config_static_selectorELNS0_4arch9wavefront6targetE1EEEvT1_.has_indirect_call, 0
	.section	.AMDGPU.csdata,"",@progbits
; Kernel info:
; codeLenInByte = 0
; TotalNumSgprs: 6
; NumVgprs: 0
; NumAgprs: 0
; TotalNumVgprs: 0
; ScratchSize: 0
; MemoryBound: 0
; FloatMode: 240
; IeeeMode: 1
; LDSByteSize: 0 bytes/workgroup (compile time only)
; SGPRBlocks: 0
; VGPRBlocks: 0
; NumSGPRsForWavesPerEU: 6
; NumVGPRsForWavesPerEU: 1
; AccumOffset: 4
; Occupancy: 8
; WaveLimiterHint : 0
; COMPUTE_PGM_RSRC2:SCRATCH_EN: 0
; COMPUTE_PGM_RSRC2:USER_SGPR: 2
; COMPUTE_PGM_RSRC2:TRAP_HANDLER: 0
; COMPUTE_PGM_RSRC2:TGID_X_EN: 1
; COMPUTE_PGM_RSRC2:TGID_Y_EN: 0
; COMPUTE_PGM_RSRC2:TGID_Z_EN: 0
; COMPUTE_PGM_RSRC2:TIDIG_COMP_CNT: 0
; COMPUTE_PGM_RSRC3_GFX90A:ACCUM_OFFSET: 0
; COMPUTE_PGM_RSRC3_GFX90A:TG_SPLIT: 0
	.section	.text._ZN7rocprim17ROCPRIM_400000_NS6detail17trampoline_kernelINS0_14default_configENS1_25transform_config_selectorIiLb0EEEZNS1_14transform_implILb0ES3_S5_PiN6thrust23THRUST_200600_302600_NS10device_ptrIiEENS0_8identityIiEEEE10hipError_tT2_T3_mT4_P12ihipStream_tbEUlT_E_NS1_11comp_targetILNS1_3genE10ELNS1_11target_archE1200ELNS1_3gpuE4ELNS1_3repE0EEENS1_30default_config_static_selectorELNS0_4arch9wavefront6targetE1EEEvT1_,"axG",@progbits,_ZN7rocprim17ROCPRIM_400000_NS6detail17trampoline_kernelINS0_14default_configENS1_25transform_config_selectorIiLb0EEEZNS1_14transform_implILb0ES3_S5_PiN6thrust23THRUST_200600_302600_NS10device_ptrIiEENS0_8identityIiEEEE10hipError_tT2_T3_mT4_P12ihipStream_tbEUlT_E_NS1_11comp_targetILNS1_3genE10ELNS1_11target_archE1200ELNS1_3gpuE4ELNS1_3repE0EEENS1_30default_config_static_selectorELNS0_4arch9wavefront6targetE1EEEvT1_,comdat
	.protected	_ZN7rocprim17ROCPRIM_400000_NS6detail17trampoline_kernelINS0_14default_configENS1_25transform_config_selectorIiLb0EEEZNS1_14transform_implILb0ES3_S5_PiN6thrust23THRUST_200600_302600_NS10device_ptrIiEENS0_8identityIiEEEE10hipError_tT2_T3_mT4_P12ihipStream_tbEUlT_E_NS1_11comp_targetILNS1_3genE10ELNS1_11target_archE1200ELNS1_3gpuE4ELNS1_3repE0EEENS1_30default_config_static_selectorELNS0_4arch9wavefront6targetE1EEEvT1_ ; -- Begin function _ZN7rocprim17ROCPRIM_400000_NS6detail17trampoline_kernelINS0_14default_configENS1_25transform_config_selectorIiLb0EEEZNS1_14transform_implILb0ES3_S5_PiN6thrust23THRUST_200600_302600_NS10device_ptrIiEENS0_8identityIiEEEE10hipError_tT2_T3_mT4_P12ihipStream_tbEUlT_E_NS1_11comp_targetILNS1_3genE10ELNS1_11target_archE1200ELNS1_3gpuE4ELNS1_3repE0EEENS1_30default_config_static_selectorELNS0_4arch9wavefront6targetE1EEEvT1_
	.globl	_ZN7rocprim17ROCPRIM_400000_NS6detail17trampoline_kernelINS0_14default_configENS1_25transform_config_selectorIiLb0EEEZNS1_14transform_implILb0ES3_S5_PiN6thrust23THRUST_200600_302600_NS10device_ptrIiEENS0_8identityIiEEEE10hipError_tT2_T3_mT4_P12ihipStream_tbEUlT_E_NS1_11comp_targetILNS1_3genE10ELNS1_11target_archE1200ELNS1_3gpuE4ELNS1_3repE0EEENS1_30default_config_static_selectorELNS0_4arch9wavefront6targetE1EEEvT1_
	.p2align	8
	.type	_ZN7rocprim17ROCPRIM_400000_NS6detail17trampoline_kernelINS0_14default_configENS1_25transform_config_selectorIiLb0EEEZNS1_14transform_implILb0ES3_S5_PiN6thrust23THRUST_200600_302600_NS10device_ptrIiEENS0_8identityIiEEEE10hipError_tT2_T3_mT4_P12ihipStream_tbEUlT_E_NS1_11comp_targetILNS1_3genE10ELNS1_11target_archE1200ELNS1_3gpuE4ELNS1_3repE0EEENS1_30default_config_static_selectorELNS0_4arch9wavefront6targetE1EEEvT1_,@function
_ZN7rocprim17ROCPRIM_400000_NS6detail17trampoline_kernelINS0_14default_configENS1_25transform_config_selectorIiLb0EEEZNS1_14transform_implILb0ES3_S5_PiN6thrust23THRUST_200600_302600_NS10device_ptrIiEENS0_8identityIiEEEE10hipError_tT2_T3_mT4_P12ihipStream_tbEUlT_E_NS1_11comp_targetILNS1_3genE10ELNS1_11target_archE1200ELNS1_3gpuE4ELNS1_3repE0EEENS1_30default_config_static_selectorELNS0_4arch9wavefront6targetE1EEEvT1_: ; @_ZN7rocprim17ROCPRIM_400000_NS6detail17trampoline_kernelINS0_14default_configENS1_25transform_config_selectorIiLb0EEEZNS1_14transform_implILb0ES3_S5_PiN6thrust23THRUST_200600_302600_NS10device_ptrIiEENS0_8identityIiEEEE10hipError_tT2_T3_mT4_P12ihipStream_tbEUlT_E_NS1_11comp_targetILNS1_3genE10ELNS1_11target_archE1200ELNS1_3gpuE4ELNS1_3repE0EEENS1_30default_config_static_selectorELNS0_4arch9wavefront6targetE1EEEvT1_
; %bb.0:
	.section	.rodata,"a",@progbits
	.p2align	6, 0x0
	.amdhsa_kernel _ZN7rocprim17ROCPRIM_400000_NS6detail17trampoline_kernelINS0_14default_configENS1_25transform_config_selectorIiLb0EEEZNS1_14transform_implILb0ES3_S5_PiN6thrust23THRUST_200600_302600_NS10device_ptrIiEENS0_8identityIiEEEE10hipError_tT2_T3_mT4_P12ihipStream_tbEUlT_E_NS1_11comp_targetILNS1_3genE10ELNS1_11target_archE1200ELNS1_3gpuE4ELNS1_3repE0EEENS1_30default_config_static_selectorELNS0_4arch9wavefront6targetE1EEEvT1_
		.amdhsa_group_segment_fixed_size 0
		.amdhsa_private_segment_fixed_size 0
		.amdhsa_kernarg_size 40
		.amdhsa_user_sgpr_count 2
		.amdhsa_user_sgpr_dispatch_ptr 0
		.amdhsa_user_sgpr_queue_ptr 0
		.amdhsa_user_sgpr_kernarg_segment_ptr 1
		.amdhsa_user_sgpr_dispatch_id 0
		.amdhsa_user_sgpr_kernarg_preload_length 0
		.amdhsa_user_sgpr_kernarg_preload_offset 0
		.amdhsa_user_sgpr_private_segment_size 0
		.amdhsa_uses_dynamic_stack 0
		.amdhsa_enable_private_segment 0
		.amdhsa_system_sgpr_workgroup_id_x 1
		.amdhsa_system_sgpr_workgroup_id_y 0
		.amdhsa_system_sgpr_workgroup_id_z 0
		.amdhsa_system_sgpr_workgroup_info 0
		.amdhsa_system_vgpr_workitem_id 0
		.amdhsa_next_free_vgpr 1
		.amdhsa_next_free_sgpr 0
		.amdhsa_accum_offset 4
		.amdhsa_reserve_vcc 0
		.amdhsa_float_round_mode_32 0
		.amdhsa_float_round_mode_16_64 0
		.amdhsa_float_denorm_mode_32 3
		.amdhsa_float_denorm_mode_16_64 3
		.amdhsa_dx10_clamp 1
		.amdhsa_ieee_mode 1
		.amdhsa_fp16_overflow 0
		.amdhsa_tg_split 0
		.amdhsa_exception_fp_ieee_invalid_op 0
		.amdhsa_exception_fp_denorm_src 0
		.amdhsa_exception_fp_ieee_div_zero 0
		.amdhsa_exception_fp_ieee_overflow 0
		.amdhsa_exception_fp_ieee_underflow 0
		.amdhsa_exception_fp_ieee_inexact 0
		.amdhsa_exception_int_div_zero 0
	.end_amdhsa_kernel
	.section	.text._ZN7rocprim17ROCPRIM_400000_NS6detail17trampoline_kernelINS0_14default_configENS1_25transform_config_selectorIiLb0EEEZNS1_14transform_implILb0ES3_S5_PiN6thrust23THRUST_200600_302600_NS10device_ptrIiEENS0_8identityIiEEEE10hipError_tT2_T3_mT4_P12ihipStream_tbEUlT_E_NS1_11comp_targetILNS1_3genE10ELNS1_11target_archE1200ELNS1_3gpuE4ELNS1_3repE0EEENS1_30default_config_static_selectorELNS0_4arch9wavefront6targetE1EEEvT1_,"axG",@progbits,_ZN7rocprim17ROCPRIM_400000_NS6detail17trampoline_kernelINS0_14default_configENS1_25transform_config_selectorIiLb0EEEZNS1_14transform_implILb0ES3_S5_PiN6thrust23THRUST_200600_302600_NS10device_ptrIiEENS0_8identityIiEEEE10hipError_tT2_T3_mT4_P12ihipStream_tbEUlT_E_NS1_11comp_targetILNS1_3genE10ELNS1_11target_archE1200ELNS1_3gpuE4ELNS1_3repE0EEENS1_30default_config_static_selectorELNS0_4arch9wavefront6targetE1EEEvT1_,comdat
.Lfunc_end2344:
	.size	_ZN7rocprim17ROCPRIM_400000_NS6detail17trampoline_kernelINS0_14default_configENS1_25transform_config_selectorIiLb0EEEZNS1_14transform_implILb0ES3_S5_PiN6thrust23THRUST_200600_302600_NS10device_ptrIiEENS0_8identityIiEEEE10hipError_tT2_T3_mT4_P12ihipStream_tbEUlT_E_NS1_11comp_targetILNS1_3genE10ELNS1_11target_archE1200ELNS1_3gpuE4ELNS1_3repE0EEENS1_30default_config_static_selectorELNS0_4arch9wavefront6targetE1EEEvT1_, .Lfunc_end2344-_ZN7rocprim17ROCPRIM_400000_NS6detail17trampoline_kernelINS0_14default_configENS1_25transform_config_selectorIiLb0EEEZNS1_14transform_implILb0ES3_S5_PiN6thrust23THRUST_200600_302600_NS10device_ptrIiEENS0_8identityIiEEEE10hipError_tT2_T3_mT4_P12ihipStream_tbEUlT_E_NS1_11comp_targetILNS1_3genE10ELNS1_11target_archE1200ELNS1_3gpuE4ELNS1_3repE0EEENS1_30default_config_static_selectorELNS0_4arch9wavefront6targetE1EEEvT1_
                                        ; -- End function
	.set _ZN7rocprim17ROCPRIM_400000_NS6detail17trampoline_kernelINS0_14default_configENS1_25transform_config_selectorIiLb0EEEZNS1_14transform_implILb0ES3_S5_PiN6thrust23THRUST_200600_302600_NS10device_ptrIiEENS0_8identityIiEEEE10hipError_tT2_T3_mT4_P12ihipStream_tbEUlT_E_NS1_11comp_targetILNS1_3genE10ELNS1_11target_archE1200ELNS1_3gpuE4ELNS1_3repE0EEENS1_30default_config_static_selectorELNS0_4arch9wavefront6targetE1EEEvT1_.num_vgpr, 0
	.set _ZN7rocprim17ROCPRIM_400000_NS6detail17trampoline_kernelINS0_14default_configENS1_25transform_config_selectorIiLb0EEEZNS1_14transform_implILb0ES3_S5_PiN6thrust23THRUST_200600_302600_NS10device_ptrIiEENS0_8identityIiEEEE10hipError_tT2_T3_mT4_P12ihipStream_tbEUlT_E_NS1_11comp_targetILNS1_3genE10ELNS1_11target_archE1200ELNS1_3gpuE4ELNS1_3repE0EEENS1_30default_config_static_selectorELNS0_4arch9wavefront6targetE1EEEvT1_.num_agpr, 0
	.set _ZN7rocprim17ROCPRIM_400000_NS6detail17trampoline_kernelINS0_14default_configENS1_25transform_config_selectorIiLb0EEEZNS1_14transform_implILb0ES3_S5_PiN6thrust23THRUST_200600_302600_NS10device_ptrIiEENS0_8identityIiEEEE10hipError_tT2_T3_mT4_P12ihipStream_tbEUlT_E_NS1_11comp_targetILNS1_3genE10ELNS1_11target_archE1200ELNS1_3gpuE4ELNS1_3repE0EEENS1_30default_config_static_selectorELNS0_4arch9wavefront6targetE1EEEvT1_.numbered_sgpr, 0
	.set _ZN7rocprim17ROCPRIM_400000_NS6detail17trampoline_kernelINS0_14default_configENS1_25transform_config_selectorIiLb0EEEZNS1_14transform_implILb0ES3_S5_PiN6thrust23THRUST_200600_302600_NS10device_ptrIiEENS0_8identityIiEEEE10hipError_tT2_T3_mT4_P12ihipStream_tbEUlT_E_NS1_11comp_targetILNS1_3genE10ELNS1_11target_archE1200ELNS1_3gpuE4ELNS1_3repE0EEENS1_30default_config_static_selectorELNS0_4arch9wavefront6targetE1EEEvT1_.num_named_barrier, 0
	.set _ZN7rocprim17ROCPRIM_400000_NS6detail17trampoline_kernelINS0_14default_configENS1_25transform_config_selectorIiLb0EEEZNS1_14transform_implILb0ES3_S5_PiN6thrust23THRUST_200600_302600_NS10device_ptrIiEENS0_8identityIiEEEE10hipError_tT2_T3_mT4_P12ihipStream_tbEUlT_E_NS1_11comp_targetILNS1_3genE10ELNS1_11target_archE1200ELNS1_3gpuE4ELNS1_3repE0EEENS1_30default_config_static_selectorELNS0_4arch9wavefront6targetE1EEEvT1_.private_seg_size, 0
	.set _ZN7rocprim17ROCPRIM_400000_NS6detail17trampoline_kernelINS0_14default_configENS1_25transform_config_selectorIiLb0EEEZNS1_14transform_implILb0ES3_S5_PiN6thrust23THRUST_200600_302600_NS10device_ptrIiEENS0_8identityIiEEEE10hipError_tT2_T3_mT4_P12ihipStream_tbEUlT_E_NS1_11comp_targetILNS1_3genE10ELNS1_11target_archE1200ELNS1_3gpuE4ELNS1_3repE0EEENS1_30default_config_static_selectorELNS0_4arch9wavefront6targetE1EEEvT1_.uses_vcc, 0
	.set _ZN7rocprim17ROCPRIM_400000_NS6detail17trampoline_kernelINS0_14default_configENS1_25transform_config_selectorIiLb0EEEZNS1_14transform_implILb0ES3_S5_PiN6thrust23THRUST_200600_302600_NS10device_ptrIiEENS0_8identityIiEEEE10hipError_tT2_T3_mT4_P12ihipStream_tbEUlT_E_NS1_11comp_targetILNS1_3genE10ELNS1_11target_archE1200ELNS1_3gpuE4ELNS1_3repE0EEENS1_30default_config_static_selectorELNS0_4arch9wavefront6targetE1EEEvT1_.uses_flat_scratch, 0
	.set _ZN7rocprim17ROCPRIM_400000_NS6detail17trampoline_kernelINS0_14default_configENS1_25transform_config_selectorIiLb0EEEZNS1_14transform_implILb0ES3_S5_PiN6thrust23THRUST_200600_302600_NS10device_ptrIiEENS0_8identityIiEEEE10hipError_tT2_T3_mT4_P12ihipStream_tbEUlT_E_NS1_11comp_targetILNS1_3genE10ELNS1_11target_archE1200ELNS1_3gpuE4ELNS1_3repE0EEENS1_30default_config_static_selectorELNS0_4arch9wavefront6targetE1EEEvT1_.has_dyn_sized_stack, 0
	.set _ZN7rocprim17ROCPRIM_400000_NS6detail17trampoline_kernelINS0_14default_configENS1_25transform_config_selectorIiLb0EEEZNS1_14transform_implILb0ES3_S5_PiN6thrust23THRUST_200600_302600_NS10device_ptrIiEENS0_8identityIiEEEE10hipError_tT2_T3_mT4_P12ihipStream_tbEUlT_E_NS1_11comp_targetILNS1_3genE10ELNS1_11target_archE1200ELNS1_3gpuE4ELNS1_3repE0EEENS1_30default_config_static_selectorELNS0_4arch9wavefront6targetE1EEEvT1_.has_recursion, 0
	.set _ZN7rocprim17ROCPRIM_400000_NS6detail17trampoline_kernelINS0_14default_configENS1_25transform_config_selectorIiLb0EEEZNS1_14transform_implILb0ES3_S5_PiN6thrust23THRUST_200600_302600_NS10device_ptrIiEENS0_8identityIiEEEE10hipError_tT2_T3_mT4_P12ihipStream_tbEUlT_E_NS1_11comp_targetILNS1_3genE10ELNS1_11target_archE1200ELNS1_3gpuE4ELNS1_3repE0EEENS1_30default_config_static_selectorELNS0_4arch9wavefront6targetE1EEEvT1_.has_indirect_call, 0
	.section	.AMDGPU.csdata,"",@progbits
; Kernel info:
; codeLenInByte = 0
; TotalNumSgprs: 6
; NumVgprs: 0
; NumAgprs: 0
; TotalNumVgprs: 0
; ScratchSize: 0
; MemoryBound: 0
; FloatMode: 240
; IeeeMode: 1
; LDSByteSize: 0 bytes/workgroup (compile time only)
; SGPRBlocks: 0
; VGPRBlocks: 0
; NumSGPRsForWavesPerEU: 6
; NumVGPRsForWavesPerEU: 1
; AccumOffset: 4
; Occupancy: 8
; WaveLimiterHint : 0
; COMPUTE_PGM_RSRC2:SCRATCH_EN: 0
; COMPUTE_PGM_RSRC2:USER_SGPR: 2
; COMPUTE_PGM_RSRC2:TRAP_HANDLER: 0
; COMPUTE_PGM_RSRC2:TGID_X_EN: 1
; COMPUTE_PGM_RSRC2:TGID_Y_EN: 0
; COMPUTE_PGM_RSRC2:TGID_Z_EN: 0
; COMPUTE_PGM_RSRC2:TIDIG_COMP_CNT: 0
; COMPUTE_PGM_RSRC3_GFX90A:ACCUM_OFFSET: 0
; COMPUTE_PGM_RSRC3_GFX90A:TG_SPLIT: 0
	.section	.text._ZN7rocprim17ROCPRIM_400000_NS6detail17trampoline_kernelINS0_14default_configENS1_25transform_config_selectorIiLb0EEEZNS1_14transform_implILb0ES3_S5_PiN6thrust23THRUST_200600_302600_NS10device_ptrIiEENS0_8identityIiEEEE10hipError_tT2_T3_mT4_P12ihipStream_tbEUlT_E_NS1_11comp_targetILNS1_3genE9ELNS1_11target_archE1100ELNS1_3gpuE3ELNS1_3repE0EEENS1_30default_config_static_selectorELNS0_4arch9wavefront6targetE1EEEvT1_,"axG",@progbits,_ZN7rocprim17ROCPRIM_400000_NS6detail17trampoline_kernelINS0_14default_configENS1_25transform_config_selectorIiLb0EEEZNS1_14transform_implILb0ES3_S5_PiN6thrust23THRUST_200600_302600_NS10device_ptrIiEENS0_8identityIiEEEE10hipError_tT2_T3_mT4_P12ihipStream_tbEUlT_E_NS1_11comp_targetILNS1_3genE9ELNS1_11target_archE1100ELNS1_3gpuE3ELNS1_3repE0EEENS1_30default_config_static_selectorELNS0_4arch9wavefront6targetE1EEEvT1_,comdat
	.protected	_ZN7rocprim17ROCPRIM_400000_NS6detail17trampoline_kernelINS0_14default_configENS1_25transform_config_selectorIiLb0EEEZNS1_14transform_implILb0ES3_S5_PiN6thrust23THRUST_200600_302600_NS10device_ptrIiEENS0_8identityIiEEEE10hipError_tT2_T3_mT4_P12ihipStream_tbEUlT_E_NS1_11comp_targetILNS1_3genE9ELNS1_11target_archE1100ELNS1_3gpuE3ELNS1_3repE0EEENS1_30default_config_static_selectorELNS0_4arch9wavefront6targetE1EEEvT1_ ; -- Begin function _ZN7rocprim17ROCPRIM_400000_NS6detail17trampoline_kernelINS0_14default_configENS1_25transform_config_selectorIiLb0EEEZNS1_14transform_implILb0ES3_S5_PiN6thrust23THRUST_200600_302600_NS10device_ptrIiEENS0_8identityIiEEEE10hipError_tT2_T3_mT4_P12ihipStream_tbEUlT_E_NS1_11comp_targetILNS1_3genE9ELNS1_11target_archE1100ELNS1_3gpuE3ELNS1_3repE0EEENS1_30default_config_static_selectorELNS0_4arch9wavefront6targetE1EEEvT1_
	.globl	_ZN7rocprim17ROCPRIM_400000_NS6detail17trampoline_kernelINS0_14default_configENS1_25transform_config_selectorIiLb0EEEZNS1_14transform_implILb0ES3_S5_PiN6thrust23THRUST_200600_302600_NS10device_ptrIiEENS0_8identityIiEEEE10hipError_tT2_T3_mT4_P12ihipStream_tbEUlT_E_NS1_11comp_targetILNS1_3genE9ELNS1_11target_archE1100ELNS1_3gpuE3ELNS1_3repE0EEENS1_30default_config_static_selectorELNS0_4arch9wavefront6targetE1EEEvT1_
	.p2align	8
	.type	_ZN7rocprim17ROCPRIM_400000_NS6detail17trampoline_kernelINS0_14default_configENS1_25transform_config_selectorIiLb0EEEZNS1_14transform_implILb0ES3_S5_PiN6thrust23THRUST_200600_302600_NS10device_ptrIiEENS0_8identityIiEEEE10hipError_tT2_T3_mT4_P12ihipStream_tbEUlT_E_NS1_11comp_targetILNS1_3genE9ELNS1_11target_archE1100ELNS1_3gpuE3ELNS1_3repE0EEENS1_30default_config_static_selectorELNS0_4arch9wavefront6targetE1EEEvT1_,@function
_ZN7rocprim17ROCPRIM_400000_NS6detail17trampoline_kernelINS0_14default_configENS1_25transform_config_selectorIiLb0EEEZNS1_14transform_implILb0ES3_S5_PiN6thrust23THRUST_200600_302600_NS10device_ptrIiEENS0_8identityIiEEEE10hipError_tT2_T3_mT4_P12ihipStream_tbEUlT_E_NS1_11comp_targetILNS1_3genE9ELNS1_11target_archE1100ELNS1_3gpuE3ELNS1_3repE0EEENS1_30default_config_static_selectorELNS0_4arch9wavefront6targetE1EEEvT1_: ; @_ZN7rocprim17ROCPRIM_400000_NS6detail17trampoline_kernelINS0_14default_configENS1_25transform_config_selectorIiLb0EEEZNS1_14transform_implILb0ES3_S5_PiN6thrust23THRUST_200600_302600_NS10device_ptrIiEENS0_8identityIiEEEE10hipError_tT2_T3_mT4_P12ihipStream_tbEUlT_E_NS1_11comp_targetILNS1_3genE9ELNS1_11target_archE1100ELNS1_3gpuE3ELNS1_3repE0EEENS1_30default_config_static_selectorELNS0_4arch9wavefront6targetE1EEEvT1_
; %bb.0:
	.section	.rodata,"a",@progbits
	.p2align	6, 0x0
	.amdhsa_kernel _ZN7rocprim17ROCPRIM_400000_NS6detail17trampoline_kernelINS0_14default_configENS1_25transform_config_selectorIiLb0EEEZNS1_14transform_implILb0ES3_S5_PiN6thrust23THRUST_200600_302600_NS10device_ptrIiEENS0_8identityIiEEEE10hipError_tT2_T3_mT4_P12ihipStream_tbEUlT_E_NS1_11comp_targetILNS1_3genE9ELNS1_11target_archE1100ELNS1_3gpuE3ELNS1_3repE0EEENS1_30default_config_static_selectorELNS0_4arch9wavefront6targetE1EEEvT1_
		.amdhsa_group_segment_fixed_size 0
		.amdhsa_private_segment_fixed_size 0
		.amdhsa_kernarg_size 40
		.amdhsa_user_sgpr_count 2
		.amdhsa_user_sgpr_dispatch_ptr 0
		.amdhsa_user_sgpr_queue_ptr 0
		.amdhsa_user_sgpr_kernarg_segment_ptr 1
		.amdhsa_user_sgpr_dispatch_id 0
		.amdhsa_user_sgpr_kernarg_preload_length 0
		.amdhsa_user_sgpr_kernarg_preload_offset 0
		.amdhsa_user_sgpr_private_segment_size 0
		.amdhsa_uses_dynamic_stack 0
		.amdhsa_enable_private_segment 0
		.amdhsa_system_sgpr_workgroup_id_x 1
		.amdhsa_system_sgpr_workgroup_id_y 0
		.amdhsa_system_sgpr_workgroup_id_z 0
		.amdhsa_system_sgpr_workgroup_info 0
		.amdhsa_system_vgpr_workitem_id 0
		.amdhsa_next_free_vgpr 1
		.amdhsa_next_free_sgpr 0
		.amdhsa_accum_offset 4
		.amdhsa_reserve_vcc 0
		.amdhsa_float_round_mode_32 0
		.amdhsa_float_round_mode_16_64 0
		.amdhsa_float_denorm_mode_32 3
		.amdhsa_float_denorm_mode_16_64 3
		.amdhsa_dx10_clamp 1
		.amdhsa_ieee_mode 1
		.amdhsa_fp16_overflow 0
		.amdhsa_tg_split 0
		.amdhsa_exception_fp_ieee_invalid_op 0
		.amdhsa_exception_fp_denorm_src 0
		.amdhsa_exception_fp_ieee_div_zero 0
		.amdhsa_exception_fp_ieee_overflow 0
		.amdhsa_exception_fp_ieee_underflow 0
		.amdhsa_exception_fp_ieee_inexact 0
		.amdhsa_exception_int_div_zero 0
	.end_amdhsa_kernel
	.section	.text._ZN7rocprim17ROCPRIM_400000_NS6detail17trampoline_kernelINS0_14default_configENS1_25transform_config_selectorIiLb0EEEZNS1_14transform_implILb0ES3_S5_PiN6thrust23THRUST_200600_302600_NS10device_ptrIiEENS0_8identityIiEEEE10hipError_tT2_T3_mT4_P12ihipStream_tbEUlT_E_NS1_11comp_targetILNS1_3genE9ELNS1_11target_archE1100ELNS1_3gpuE3ELNS1_3repE0EEENS1_30default_config_static_selectorELNS0_4arch9wavefront6targetE1EEEvT1_,"axG",@progbits,_ZN7rocprim17ROCPRIM_400000_NS6detail17trampoline_kernelINS0_14default_configENS1_25transform_config_selectorIiLb0EEEZNS1_14transform_implILb0ES3_S5_PiN6thrust23THRUST_200600_302600_NS10device_ptrIiEENS0_8identityIiEEEE10hipError_tT2_T3_mT4_P12ihipStream_tbEUlT_E_NS1_11comp_targetILNS1_3genE9ELNS1_11target_archE1100ELNS1_3gpuE3ELNS1_3repE0EEENS1_30default_config_static_selectorELNS0_4arch9wavefront6targetE1EEEvT1_,comdat
.Lfunc_end2345:
	.size	_ZN7rocprim17ROCPRIM_400000_NS6detail17trampoline_kernelINS0_14default_configENS1_25transform_config_selectorIiLb0EEEZNS1_14transform_implILb0ES3_S5_PiN6thrust23THRUST_200600_302600_NS10device_ptrIiEENS0_8identityIiEEEE10hipError_tT2_T3_mT4_P12ihipStream_tbEUlT_E_NS1_11comp_targetILNS1_3genE9ELNS1_11target_archE1100ELNS1_3gpuE3ELNS1_3repE0EEENS1_30default_config_static_selectorELNS0_4arch9wavefront6targetE1EEEvT1_, .Lfunc_end2345-_ZN7rocprim17ROCPRIM_400000_NS6detail17trampoline_kernelINS0_14default_configENS1_25transform_config_selectorIiLb0EEEZNS1_14transform_implILb0ES3_S5_PiN6thrust23THRUST_200600_302600_NS10device_ptrIiEENS0_8identityIiEEEE10hipError_tT2_T3_mT4_P12ihipStream_tbEUlT_E_NS1_11comp_targetILNS1_3genE9ELNS1_11target_archE1100ELNS1_3gpuE3ELNS1_3repE0EEENS1_30default_config_static_selectorELNS0_4arch9wavefront6targetE1EEEvT1_
                                        ; -- End function
	.set _ZN7rocprim17ROCPRIM_400000_NS6detail17trampoline_kernelINS0_14default_configENS1_25transform_config_selectorIiLb0EEEZNS1_14transform_implILb0ES3_S5_PiN6thrust23THRUST_200600_302600_NS10device_ptrIiEENS0_8identityIiEEEE10hipError_tT2_T3_mT4_P12ihipStream_tbEUlT_E_NS1_11comp_targetILNS1_3genE9ELNS1_11target_archE1100ELNS1_3gpuE3ELNS1_3repE0EEENS1_30default_config_static_selectorELNS0_4arch9wavefront6targetE1EEEvT1_.num_vgpr, 0
	.set _ZN7rocprim17ROCPRIM_400000_NS6detail17trampoline_kernelINS0_14default_configENS1_25transform_config_selectorIiLb0EEEZNS1_14transform_implILb0ES3_S5_PiN6thrust23THRUST_200600_302600_NS10device_ptrIiEENS0_8identityIiEEEE10hipError_tT2_T3_mT4_P12ihipStream_tbEUlT_E_NS1_11comp_targetILNS1_3genE9ELNS1_11target_archE1100ELNS1_3gpuE3ELNS1_3repE0EEENS1_30default_config_static_selectorELNS0_4arch9wavefront6targetE1EEEvT1_.num_agpr, 0
	.set _ZN7rocprim17ROCPRIM_400000_NS6detail17trampoline_kernelINS0_14default_configENS1_25transform_config_selectorIiLb0EEEZNS1_14transform_implILb0ES3_S5_PiN6thrust23THRUST_200600_302600_NS10device_ptrIiEENS0_8identityIiEEEE10hipError_tT2_T3_mT4_P12ihipStream_tbEUlT_E_NS1_11comp_targetILNS1_3genE9ELNS1_11target_archE1100ELNS1_3gpuE3ELNS1_3repE0EEENS1_30default_config_static_selectorELNS0_4arch9wavefront6targetE1EEEvT1_.numbered_sgpr, 0
	.set _ZN7rocprim17ROCPRIM_400000_NS6detail17trampoline_kernelINS0_14default_configENS1_25transform_config_selectorIiLb0EEEZNS1_14transform_implILb0ES3_S5_PiN6thrust23THRUST_200600_302600_NS10device_ptrIiEENS0_8identityIiEEEE10hipError_tT2_T3_mT4_P12ihipStream_tbEUlT_E_NS1_11comp_targetILNS1_3genE9ELNS1_11target_archE1100ELNS1_3gpuE3ELNS1_3repE0EEENS1_30default_config_static_selectorELNS0_4arch9wavefront6targetE1EEEvT1_.num_named_barrier, 0
	.set _ZN7rocprim17ROCPRIM_400000_NS6detail17trampoline_kernelINS0_14default_configENS1_25transform_config_selectorIiLb0EEEZNS1_14transform_implILb0ES3_S5_PiN6thrust23THRUST_200600_302600_NS10device_ptrIiEENS0_8identityIiEEEE10hipError_tT2_T3_mT4_P12ihipStream_tbEUlT_E_NS1_11comp_targetILNS1_3genE9ELNS1_11target_archE1100ELNS1_3gpuE3ELNS1_3repE0EEENS1_30default_config_static_selectorELNS0_4arch9wavefront6targetE1EEEvT1_.private_seg_size, 0
	.set _ZN7rocprim17ROCPRIM_400000_NS6detail17trampoline_kernelINS0_14default_configENS1_25transform_config_selectorIiLb0EEEZNS1_14transform_implILb0ES3_S5_PiN6thrust23THRUST_200600_302600_NS10device_ptrIiEENS0_8identityIiEEEE10hipError_tT2_T3_mT4_P12ihipStream_tbEUlT_E_NS1_11comp_targetILNS1_3genE9ELNS1_11target_archE1100ELNS1_3gpuE3ELNS1_3repE0EEENS1_30default_config_static_selectorELNS0_4arch9wavefront6targetE1EEEvT1_.uses_vcc, 0
	.set _ZN7rocprim17ROCPRIM_400000_NS6detail17trampoline_kernelINS0_14default_configENS1_25transform_config_selectorIiLb0EEEZNS1_14transform_implILb0ES3_S5_PiN6thrust23THRUST_200600_302600_NS10device_ptrIiEENS0_8identityIiEEEE10hipError_tT2_T3_mT4_P12ihipStream_tbEUlT_E_NS1_11comp_targetILNS1_3genE9ELNS1_11target_archE1100ELNS1_3gpuE3ELNS1_3repE0EEENS1_30default_config_static_selectorELNS0_4arch9wavefront6targetE1EEEvT1_.uses_flat_scratch, 0
	.set _ZN7rocprim17ROCPRIM_400000_NS6detail17trampoline_kernelINS0_14default_configENS1_25transform_config_selectorIiLb0EEEZNS1_14transform_implILb0ES3_S5_PiN6thrust23THRUST_200600_302600_NS10device_ptrIiEENS0_8identityIiEEEE10hipError_tT2_T3_mT4_P12ihipStream_tbEUlT_E_NS1_11comp_targetILNS1_3genE9ELNS1_11target_archE1100ELNS1_3gpuE3ELNS1_3repE0EEENS1_30default_config_static_selectorELNS0_4arch9wavefront6targetE1EEEvT1_.has_dyn_sized_stack, 0
	.set _ZN7rocprim17ROCPRIM_400000_NS6detail17trampoline_kernelINS0_14default_configENS1_25transform_config_selectorIiLb0EEEZNS1_14transform_implILb0ES3_S5_PiN6thrust23THRUST_200600_302600_NS10device_ptrIiEENS0_8identityIiEEEE10hipError_tT2_T3_mT4_P12ihipStream_tbEUlT_E_NS1_11comp_targetILNS1_3genE9ELNS1_11target_archE1100ELNS1_3gpuE3ELNS1_3repE0EEENS1_30default_config_static_selectorELNS0_4arch9wavefront6targetE1EEEvT1_.has_recursion, 0
	.set _ZN7rocprim17ROCPRIM_400000_NS6detail17trampoline_kernelINS0_14default_configENS1_25transform_config_selectorIiLb0EEEZNS1_14transform_implILb0ES3_S5_PiN6thrust23THRUST_200600_302600_NS10device_ptrIiEENS0_8identityIiEEEE10hipError_tT2_T3_mT4_P12ihipStream_tbEUlT_E_NS1_11comp_targetILNS1_3genE9ELNS1_11target_archE1100ELNS1_3gpuE3ELNS1_3repE0EEENS1_30default_config_static_selectorELNS0_4arch9wavefront6targetE1EEEvT1_.has_indirect_call, 0
	.section	.AMDGPU.csdata,"",@progbits
; Kernel info:
; codeLenInByte = 0
; TotalNumSgprs: 6
; NumVgprs: 0
; NumAgprs: 0
; TotalNumVgprs: 0
; ScratchSize: 0
; MemoryBound: 0
; FloatMode: 240
; IeeeMode: 1
; LDSByteSize: 0 bytes/workgroup (compile time only)
; SGPRBlocks: 0
; VGPRBlocks: 0
; NumSGPRsForWavesPerEU: 6
; NumVGPRsForWavesPerEU: 1
; AccumOffset: 4
; Occupancy: 8
; WaveLimiterHint : 0
; COMPUTE_PGM_RSRC2:SCRATCH_EN: 0
; COMPUTE_PGM_RSRC2:USER_SGPR: 2
; COMPUTE_PGM_RSRC2:TRAP_HANDLER: 0
; COMPUTE_PGM_RSRC2:TGID_X_EN: 1
; COMPUTE_PGM_RSRC2:TGID_Y_EN: 0
; COMPUTE_PGM_RSRC2:TGID_Z_EN: 0
; COMPUTE_PGM_RSRC2:TIDIG_COMP_CNT: 0
; COMPUTE_PGM_RSRC3_GFX90A:ACCUM_OFFSET: 0
; COMPUTE_PGM_RSRC3_GFX90A:TG_SPLIT: 0
	.section	.text._ZN7rocprim17ROCPRIM_400000_NS6detail17trampoline_kernelINS0_14default_configENS1_25transform_config_selectorIiLb0EEEZNS1_14transform_implILb0ES3_S5_PiN6thrust23THRUST_200600_302600_NS10device_ptrIiEENS0_8identityIiEEEE10hipError_tT2_T3_mT4_P12ihipStream_tbEUlT_E_NS1_11comp_targetILNS1_3genE8ELNS1_11target_archE1030ELNS1_3gpuE2ELNS1_3repE0EEENS1_30default_config_static_selectorELNS0_4arch9wavefront6targetE1EEEvT1_,"axG",@progbits,_ZN7rocprim17ROCPRIM_400000_NS6detail17trampoline_kernelINS0_14default_configENS1_25transform_config_selectorIiLb0EEEZNS1_14transform_implILb0ES3_S5_PiN6thrust23THRUST_200600_302600_NS10device_ptrIiEENS0_8identityIiEEEE10hipError_tT2_T3_mT4_P12ihipStream_tbEUlT_E_NS1_11comp_targetILNS1_3genE8ELNS1_11target_archE1030ELNS1_3gpuE2ELNS1_3repE0EEENS1_30default_config_static_selectorELNS0_4arch9wavefront6targetE1EEEvT1_,comdat
	.protected	_ZN7rocprim17ROCPRIM_400000_NS6detail17trampoline_kernelINS0_14default_configENS1_25transform_config_selectorIiLb0EEEZNS1_14transform_implILb0ES3_S5_PiN6thrust23THRUST_200600_302600_NS10device_ptrIiEENS0_8identityIiEEEE10hipError_tT2_T3_mT4_P12ihipStream_tbEUlT_E_NS1_11comp_targetILNS1_3genE8ELNS1_11target_archE1030ELNS1_3gpuE2ELNS1_3repE0EEENS1_30default_config_static_selectorELNS0_4arch9wavefront6targetE1EEEvT1_ ; -- Begin function _ZN7rocprim17ROCPRIM_400000_NS6detail17trampoline_kernelINS0_14default_configENS1_25transform_config_selectorIiLb0EEEZNS1_14transform_implILb0ES3_S5_PiN6thrust23THRUST_200600_302600_NS10device_ptrIiEENS0_8identityIiEEEE10hipError_tT2_T3_mT4_P12ihipStream_tbEUlT_E_NS1_11comp_targetILNS1_3genE8ELNS1_11target_archE1030ELNS1_3gpuE2ELNS1_3repE0EEENS1_30default_config_static_selectorELNS0_4arch9wavefront6targetE1EEEvT1_
	.globl	_ZN7rocprim17ROCPRIM_400000_NS6detail17trampoline_kernelINS0_14default_configENS1_25transform_config_selectorIiLb0EEEZNS1_14transform_implILb0ES3_S5_PiN6thrust23THRUST_200600_302600_NS10device_ptrIiEENS0_8identityIiEEEE10hipError_tT2_T3_mT4_P12ihipStream_tbEUlT_E_NS1_11comp_targetILNS1_3genE8ELNS1_11target_archE1030ELNS1_3gpuE2ELNS1_3repE0EEENS1_30default_config_static_selectorELNS0_4arch9wavefront6targetE1EEEvT1_
	.p2align	8
	.type	_ZN7rocprim17ROCPRIM_400000_NS6detail17trampoline_kernelINS0_14default_configENS1_25transform_config_selectorIiLb0EEEZNS1_14transform_implILb0ES3_S5_PiN6thrust23THRUST_200600_302600_NS10device_ptrIiEENS0_8identityIiEEEE10hipError_tT2_T3_mT4_P12ihipStream_tbEUlT_E_NS1_11comp_targetILNS1_3genE8ELNS1_11target_archE1030ELNS1_3gpuE2ELNS1_3repE0EEENS1_30default_config_static_selectorELNS0_4arch9wavefront6targetE1EEEvT1_,@function
_ZN7rocprim17ROCPRIM_400000_NS6detail17trampoline_kernelINS0_14default_configENS1_25transform_config_selectorIiLb0EEEZNS1_14transform_implILb0ES3_S5_PiN6thrust23THRUST_200600_302600_NS10device_ptrIiEENS0_8identityIiEEEE10hipError_tT2_T3_mT4_P12ihipStream_tbEUlT_E_NS1_11comp_targetILNS1_3genE8ELNS1_11target_archE1030ELNS1_3gpuE2ELNS1_3repE0EEENS1_30default_config_static_selectorELNS0_4arch9wavefront6targetE1EEEvT1_: ; @_ZN7rocprim17ROCPRIM_400000_NS6detail17trampoline_kernelINS0_14default_configENS1_25transform_config_selectorIiLb0EEEZNS1_14transform_implILb0ES3_S5_PiN6thrust23THRUST_200600_302600_NS10device_ptrIiEENS0_8identityIiEEEE10hipError_tT2_T3_mT4_P12ihipStream_tbEUlT_E_NS1_11comp_targetILNS1_3genE8ELNS1_11target_archE1030ELNS1_3gpuE2ELNS1_3repE0EEENS1_30default_config_static_selectorELNS0_4arch9wavefront6targetE1EEEvT1_
; %bb.0:
	.section	.rodata,"a",@progbits
	.p2align	6, 0x0
	.amdhsa_kernel _ZN7rocprim17ROCPRIM_400000_NS6detail17trampoline_kernelINS0_14default_configENS1_25transform_config_selectorIiLb0EEEZNS1_14transform_implILb0ES3_S5_PiN6thrust23THRUST_200600_302600_NS10device_ptrIiEENS0_8identityIiEEEE10hipError_tT2_T3_mT4_P12ihipStream_tbEUlT_E_NS1_11comp_targetILNS1_3genE8ELNS1_11target_archE1030ELNS1_3gpuE2ELNS1_3repE0EEENS1_30default_config_static_selectorELNS0_4arch9wavefront6targetE1EEEvT1_
		.amdhsa_group_segment_fixed_size 0
		.amdhsa_private_segment_fixed_size 0
		.amdhsa_kernarg_size 40
		.amdhsa_user_sgpr_count 2
		.amdhsa_user_sgpr_dispatch_ptr 0
		.amdhsa_user_sgpr_queue_ptr 0
		.amdhsa_user_sgpr_kernarg_segment_ptr 1
		.amdhsa_user_sgpr_dispatch_id 0
		.amdhsa_user_sgpr_kernarg_preload_length 0
		.amdhsa_user_sgpr_kernarg_preload_offset 0
		.amdhsa_user_sgpr_private_segment_size 0
		.amdhsa_uses_dynamic_stack 0
		.amdhsa_enable_private_segment 0
		.amdhsa_system_sgpr_workgroup_id_x 1
		.amdhsa_system_sgpr_workgroup_id_y 0
		.amdhsa_system_sgpr_workgroup_id_z 0
		.amdhsa_system_sgpr_workgroup_info 0
		.amdhsa_system_vgpr_workitem_id 0
		.amdhsa_next_free_vgpr 1
		.amdhsa_next_free_sgpr 0
		.amdhsa_accum_offset 4
		.amdhsa_reserve_vcc 0
		.amdhsa_float_round_mode_32 0
		.amdhsa_float_round_mode_16_64 0
		.amdhsa_float_denorm_mode_32 3
		.amdhsa_float_denorm_mode_16_64 3
		.amdhsa_dx10_clamp 1
		.amdhsa_ieee_mode 1
		.amdhsa_fp16_overflow 0
		.amdhsa_tg_split 0
		.amdhsa_exception_fp_ieee_invalid_op 0
		.amdhsa_exception_fp_denorm_src 0
		.amdhsa_exception_fp_ieee_div_zero 0
		.amdhsa_exception_fp_ieee_overflow 0
		.amdhsa_exception_fp_ieee_underflow 0
		.amdhsa_exception_fp_ieee_inexact 0
		.amdhsa_exception_int_div_zero 0
	.end_amdhsa_kernel
	.section	.text._ZN7rocprim17ROCPRIM_400000_NS6detail17trampoline_kernelINS0_14default_configENS1_25transform_config_selectorIiLb0EEEZNS1_14transform_implILb0ES3_S5_PiN6thrust23THRUST_200600_302600_NS10device_ptrIiEENS0_8identityIiEEEE10hipError_tT2_T3_mT4_P12ihipStream_tbEUlT_E_NS1_11comp_targetILNS1_3genE8ELNS1_11target_archE1030ELNS1_3gpuE2ELNS1_3repE0EEENS1_30default_config_static_selectorELNS0_4arch9wavefront6targetE1EEEvT1_,"axG",@progbits,_ZN7rocprim17ROCPRIM_400000_NS6detail17trampoline_kernelINS0_14default_configENS1_25transform_config_selectorIiLb0EEEZNS1_14transform_implILb0ES3_S5_PiN6thrust23THRUST_200600_302600_NS10device_ptrIiEENS0_8identityIiEEEE10hipError_tT2_T3_mT4_P12ihipStream_tbEUlT_E_NS1_11comp_targetILNS1_3genE8ELNS1_11target_archE1030ELNS1_3gpuE2ELNS1_3repE0EEENS1_30default_config_static_selectorELNS0_4arch9wavefront6targetE1EEEvT1_,comdat
.Lfunc_end2346:
	.size	_ZN7rocprim17ROCPRIM_400000_NS6detail17trampoline_kernelINS0_14default_configENS1_25transform_config_selectorIiLb0EEEZNS1_14transform_implILb0ES3_S5_PiN6thrust23THRUST_200600_302600_NS10device_ptrIiEENS0_8identityIiEEEE10hipError_tT2_T3_mT4_P12ihipStream_tbEUlT_E_NS1_11comp_targetILNS1_3genE8ELNS1_11target_archE1030ELNS1_3gpuE2ELNS1_3repE0EEENS1_30default_config_static_selectorELNS0_4arch9wavefront6targetE1EEEvT1_, .Lfunc_end2346-_ZN7rocprim17ROCPRIM_400000_NS6detail17trampoline_kernelINS0_14default_configENS1_25transform_config_selectorIiLb0EEEZNS1_14transform_implILb0ES3_S5_PiN6thrust23THRUST_200600_302600_NS10device_ptrIiEENS0_8identityIiEEEE10hipError_tT2_T3_mT4_P12ihipStream_tbEUlT_E_NS1_11comp_targetILNS1_3genE8ELNS1_11target_archE1030ELNS1_3gpuE2ELNS1_3repE0EEENS1_30default_config_static_selectorELNS0_4arch9wavefront6targetE1EEEvT1_
                                        ; -- End function
	.set _ZN7rocprim17ROCPRIM_400000_NS6detail17trampoline_kernelINS0_14default_configENS1_25transform_config_selectorIiLb0EEEZNS1_14transform_implILb0ES3_S5_PiN6thrust23THRUST_200600_302600_NS10device_ptrIiEENS0_8identityIiEEEE10hipError_tT2_T3_mT4_P12ihipStream_tbEUlT_E_NS1_11comp_targetILNS1_3genE8ELNS1_11target_archE1030ELNS1_3gpuE2ELNS1_3repE0EEENS1_30default_config_static_selectorELNS0_4arch9wavefront6targetE1EEEvT1_.num_vgpr, 0
	.set _ZN7rocprim17ROCPRIM_400000_NS6detail17trampoline_kernelINS0_14default_configENS1_25transform_config_selectorIiLb0EEEZNS1_14transform_implILb0ES3_S5_PiN6thrust23THRUST_200600_302600_NS10device_ptrIiEENS0_8identityIiEEEE10hipError_tT2_T3_mT4_P12ihipStream_tbEUlT_E_NS1_11comp_targetILNS1_3genE8ELNS1_11target_archE1030ELNS1_3gpuE2ELNS1_3repE0EEENS1_30default_config_static_selectorELNS0_4arch9wavefront6targetE1EEEvT1_.num_agpr, 0
	.set _ZN7rocprim17ROCPRIM_400000_NS6detail17trampoline_kernelINS0_14default_configENS1_25transform_config_selectorIiLb0EEEZNS1_14transform_implILb0ES3_S5_PiN6thrust23THRUST_200600_302600_NS10device_ptrIiEENS0_8identityIiEEEE10hipError_tT2_T3_mT4_P12ihipStream_tbEUlT_E_NS1_11comp_targetILNS1_3genE8ELNS1_11target_archE1030ELNS1_3gpuE2ELNS1_3repE0EEENS1_30default_config_static_selectorELNS0_4arch9wavefront6targetE1EEEvT1_.numbered_sgpr, 0
	.set _ZN7rocprim17ROCPRIM_400000_NS6detail17trampoline_kernelINS0_14default_configENS1_25transform_config_selectorIiLb0EEEZNS1_14transform_implILb0ES3_S5_PiN6thrust23THRUST_200600_302600_NS10device_ptrIiEENS0_8identityIiEEEE10hipError_tT2_T3_mT4_P12ihipStream_tbEUlT_E_NS1_11comp_targetILNS1_3genE8ELNS1_11target_archE1030ELNS1_3gpuE2ELNS1_3repE0EEENS1_30default_config_static_selectorELNS0_4arch9wavefront6targetE1EEEvT1_.num_named_barrier, 0
	.set _ZN7rocprim17ROCPRIM_400000_NS6detail17trampoline_kernelINS0_14default_configENS1_25transform_config_selectorIiLb0EEEZNS1_14transform_implILb0ES3_S5_PiN6thrust23THRUST_200600_302600_NS10device_ptrIiEENS0_8identityIiEEEE10hipError_tT2_T3_mT4_P12ihipStream_tbEUlT_E_NS1_11comp_targetILNS1_3genE8ELNS1_11target_archE1030ELNS1_3gpuE2ELNS1_3repE0EEENS1_30default_config_static_selectorELNS0_4arch9wavefront6targetE1EEEvT1_.private_seg_size, 0
	.set _ZN7rocprim17ROCPRIM_400000_NS6detail17trampoline_kernelINS0_14default_configENS1_25transform_config_selectorIiLb0EEEZNS1_14transform_implILb0ES3_S5_PiN6thrust23THRUST_200600_302600_NS10device_ptrIiEENS0_8identityIiEEEE10hipError_tT2_T3_mT4_P12ihipStream_tbEUlT_E_NS1_11comp_targetILNS1_3genE8ELNS1_11target_archE1030ELNS1_3gpuE2ELNS1_3repE0EEENS1_30default_config_static_selectorELNS0_4arch9wavefront6targetE1EEEvT1_.uses_vcc, 0
	.set _ZN7rocprim17ROCPRIM_400000_NS6detail17trampoline_kernelINS0_14default_configENS1_25transform_config_selectorIiLb0EEEZNS1_14transform_implILb0ES3_S5_PiN6thrust23THRUST_200600_302600_NS10device_ptrIiEENS0_8identityIiEEEE10hipError_tT2_T3_mT4_P12ihipStream_tbEUlT_E_NS1_11comp_targetILNS1_3genE8ELNS1_11target_archE1030ELNS1_3gpuE2ELNS1_3repE0EEENS1_30default_config_static_selectorELNS0_4arch9wavefront6targetE1EEEvT1_.uses_flat_scratch, 0
	.set _ZN7rocprim17ROCPRIM_400000_NS6detail17trampoline_kernelINS0_14default_configENS1_25transform_config_selectorIiLb0EEEZNS1_14transform_implILb0ES3_S5_PiN6thrust23THRUST_200600_302600_NS10device_ptrIiEENS0_8identityIiEEEE10hipError_tT2_T3_mT4_P12ihipStream_tbEUlT_E_NS1_11comp_targetILNS1_3genE8ELNS1_11target_archE1030ELNS1_3gpuE2ELNS1_3repE0EEENS1_30default_config_static_selectorELNS0_4arch9wavefront6targetE1EEEvT1_.has_dyn_sized_stack, 0
	.set _ZN7rocprim17ROCPRIM_400000_NS6detail17trampoline_kernelINS0_14default_configENS1_25transform_config_selectorIiLb0EEEZNS1_14transform_implILb0ES3_S5_PiN6thrust23THRUST_200600_302600_NS10device_ptrIiEENS0_8identityIiEEEE10hipError_tT2_T3_mT4_P12ihipStream_tbEUlT_E_NS1_11comp_targetILNS1_3genE8ELNS1_11target_archE1030ELNS1_3gpuE2ELNS1_3repE0EEENS1_30default_config_static_selectorELNS0_4arch9wavefront6targetE1EEEvT1_.has_recursion, 0
	.set _ZN7rocprim17ROCPRIM_400000_NS6detail17trampoline_kernelINS0_14default_configENS1_25transform_config_selectorIiLb0EEEZNS1_14transform_implILb0ES3_S5_PiN6thrust23THRUST_200600_302600_NS10device_ptrIiEENS0_8identityIiEEEE10hipError_tT2_T3_mT4_P12ihipStream_tbEUlT_E_NS1_11comp_targetILNS1_3genE8ELNS1_11target_archE1030ELNS1_3gpuE2ELNS1_3repE0EEENS1_30default_config_static_selectorELNS0_4arch9wavefront6targetE1EEEvT1_.has_indirect_call, 0
	.section	.AMDGPU.csdata,"",@progbits
; Kernel info:
; codeLenInByte = 0
; TotalNumSgprs: 6
; NumVgprs: 0
; NumAgprs: 0
; TotalNumVgprs: 0
; ScratchSize: 0
; MemoryBound: 0
; FloatMode: 240
; IeeeMode: 1
; LDSByteSize: 0 bytes/workgroup (compile time only)
; SGPRBlocks: 0
; VGPRBlocks: 0
; NumSGPRsForWavesPerEU: 6
; NumVGPRsForWavesPerEU: 1
; AccumOffset: 4
; Occupancy: 8
; WaveLimiterHint : 0
; COMPUTE_PGM_RSRC2:SCRATCH_EN: 0
; COMPUTE_PGM_RSRC2:USER_SGPR: 2
; COMPUTE_PGM_RSRC2:TRAP_HANDLER: 0
; COMPUTE_PGM_RSRC2:TGID_X_EN: 1
; COMPUTE_PGM_RSRC2:TGID_Y_EN: 0
; COMPUTE_PGM_RSRC2:TGID_Z_EN: 0
; COMPUTE_PGM_RSRC2:TIDIG_COMP_CNT: 0
; COMPUTE_PGM_RSRC3_GFX90A:ACCUM_OFFSET: 0
; COMPUTE_PGM_RSRC3_GFX90A:TG_SPLIT: 0
	.section	.text._ZN7rocprim17ROCPRIM_400000_NS6detail17trampoline_kernelINS0_14default_configENS1_25transform_config_selectorIsLb0EEEZNS1_14transform_implILb0ES3_S5_PsN6thrust23THRUST_200600_302600_NS10device_ptrIsEENS0_8identityIsEEEE10hipError_tT2_T3_mT4_P12ihipStream_tbEUlT_E_NS1_11comp_targetILNS1_3genE0ELNS1_11target_archE4294967295ELNS1_3gpuE0ELNS1_3repE0EEENS1_30default_config_static_selectorELNS0_4arch9wavefront6targetE1EEEvT1_,"axG",@progbits,_ZN7rocprim17ROCPRIM_400000_NS6detail17trampoline_kernelINS0_14default_configENS1_25transform_config_selectorIsLb0EEEZNS1_14transform_implILb0ES3_S5_PsN6thrust23THRUST_200600_302600_NS10device_ptrIsEENS0_8identityIsEEEE10hipError_tT2_T3_mT4_P12ihipStream_tbEUlT_E_NS1_11comp_targetILNS1_3genE0ELNS1_11target_archE4294967295ELNS1_3gpuE0ELNS1_3repE0EEENS1_30default_config_static_selectorELNS0_4arch9wavefront6targetE1EEEvT1_,comdat
	.protected	_ZN7rocprim17ROCPRIM_400000_NS6detail17trampoline_kernelINS0_14default_configENS1_25transform_config_selectorIsLb0EEEZNS1_14transform_implILb0ES3_S5_PsN6thrust23THRUST_200600_302600_NS10device_ptrIsEENS0_8identityIsEEEE10hipError_tT2_T3_mT4_P12ihipStream_tbEUlT_E_NS1_11comp_targetILNS1_3genE0ELNS1_11target_archE4294967295ELNS1_3gpuE0ELNS1_3repE0EEENS1_30default_config_static_selectorELNS0_4arch9wavefront6targetE1EEEvT1_ ; -- Begin function _ZN7rocprim17ROCPRIM_400000_NS6detail17trampoline_kernelINS0_14default_configENS1_25transform_config_selectorIsLb0EEEZNS1_14transform_implILb0ES3_S5_PsN6thrust23THRUST_200600_302600_NS10device_ptrIsEENS0_8identityIsEEEE10hipError_tT2_T3_mT4_P12ihipStream_tbEUlT_E_NS1_11comp_targetILNS1_3genE0ELNS1_11target_archE4294967295ELNS1_3gpuE0ELNS1_3repE0EEENS1_30default_config_static_selectorELNS0_4arch9wavefront6targetE1EEEvT1_
	.globl	_ZN7rocprim17ROCPRIM_400000_NS6detail17trampoline_kernelINS0_14default_configENS1_25transform_config_selectorIsLb0EEEZNS1_14transform_implILb0ES3_S5_PsN6thrust23THRUST_200600_302600_NS10device_ptrIsEENS0_8identityIsEEEE10hipError_tT2_T3_mT4_P12ihipStream_tbEUlT_E_NS1_11comp_targetILNS1_3genE0ELNS1_11target_archE4294967295ELNS1_3gpuE0ELNS1_3repE0EEENS1_30default_config_static_selectorELNS0_4arch9wavefront6targetE1EEEvT1_
	.p2align	8
	.type	_ZN7rocprim17ROCPRIM_400000_NS6detail17trampoline_kernelINS0_14default_configENS1_25transform_config_selectorIsLb0EEEZNS1_14transform_implILb0ES3_S5_PsN6thrust23THRUST_200600_302600_NS10device_ptrIsEENS0_8identityIsEEEE10hipError_tT2_T3_mT4_P12ihipStream_tbEUlT_E_NS1_11comp_targetILNS1_3genE0ELNS1_11target_archE4294967295ELNS1_3gpuE0ELNS1_3repE0EEENS1_30default_config_static_selectorELNS0_4arch9wavefront6targetE1EEEvT1_,@function
_ZN7rocprim17ROCPRIM_400000_NS6detail17trampoline_kernelINS0_14default_configENS1_25transform_config_selectorIsLb0EEEZNS1_14transform_implILb0ES3_S5_PsN6thrust23THRUST_200600_302600_NS10device_ptrIsEENS0_8identityIsEEEE10hipError_tT2_T3_mT4_P12ihipStream_tbEUlT_E_NS1_11comp_targetILNS1_3genE0ELNS1_11target_archE4294967295ELNS1_3gpuE0ELNS1_3repE0EEENS1_30default_config_static_selectorELNS0_4arch9wavefront6targetE1EEEvT1_: ; @_ZN7rocprim17ROCPRIM_400000_NS6detail17trampoline_kernelINS0_14default_configENS1_25transform_config_selectorIsLb0EEEZNS1_14transform_implILb0ES3_S5_PsN6thrust23THRUST_200600_302600_NS10device_ptrIsEENS0_8identityIsEEEE10hipError_tT2_T3_mT4_P12ihipStream_tbEUlT_E_NS1_11comp_targetILNS1_3genE0ELNS1_11target_archE4294967295ELNS1_3gpuE0ELNS1_3repE0EEENS1_30default_config_static_selectorELNS0_4arch9wavefront6targetE1EEEvT1_
; %bb.0:
	s_load_dwordx8 s[4:11], s[0:1], 0x0
	s_load_dword s3, s[0:1], 0x28
	v_lshlrev_b32_e32 v4, 1, v0
	s_waitcnt lgkmcnt(0)
	s_lshl_b64 s[0:1], s[6:7], 1
	s_add_u32 s4, s4, s0
	s_addc_u32 s5, s5, s1
	s_add_u32 s9, s10, s0
	s_addc_u32 s16, s11, s1
	s_lshl_b32 s0, s2, 9
	s_mov_b32 s1, 0
	s_add_i32 s3, s3, -1
	s_lshl_b64 s[12:13], s[0:1], 1
	s_add_u32 s14, s4, s12
	s_addc_u32 s15, s5, s13
	s_cmp_lg_u32 s2, s3
	s_cbranch_scc0 .LBB2347_2
; %bb.1:
	global_load_ushort v2, v4, s[14:15]
	global_load_ushort v3, v4, s[14:15] offset:256
	global_load_ushort v8, v4, s[14:15] offset:512
	;; [unrolled: 1-line block ×3, first 2 shown]
	s_add_u32 s4, s9, s12
	v_mov_b32_e32 v5, 0
	s_addc_u32 s5, s16, s13
	v_lshl_add_u64 v[6:7], s[4:5], 0, v[4:5]
	s_mov_b64 s[10:11], -1
	s_waitcnt vmcnt(3)
	flat_store_short v[6:7], v2
	s_waitcnt vmcnt(0)
	flat_store_short v[6:7], v3 offset:256
	flat_store_short v[6:7], v8 offset:512
	s_cbranch_execz .LBB2347_3
	s_branch .LBB2347_17
.LBB2347_2:
	s_mov_b64 s[10:11], 0
                                        ; implicit-def: $vgpr1
                                        ; implicit-def: $vgpr6_vgpr7
.LBB2347_3:
	s_sub_i32 s6, s8, s0
	v_mov_b32_e32 v2, 0
	v_cmp_gt_u32_e32 vcc, s6, v0
	v_mov_b32_e32 v3, v2
	s_and_saveexec_b64 s[0:1], vcc
	s_cbranch_execz .LBB2347_5
; %bb.4:
	global_load_ushort v1, v4, s[14:15]
	v_mov_b32_e32 v7, v2
	s_waitcnt vmcnt(0)
	v_and_b32_e32 v6, 0xffff, v1
	v_mov_b64_e32 v[2:3], v[6:7]
.LBB2347_5:
	s_or_b64 exec, exec, s[0:1]
	v_or_b32_e32 v1, 0x80, v0
	v_cmp_gt_u32_e64 s[0:1], s6, v1
	s_and_saveexec_b64 s[2:3], s[0:1]
	s_cbranch_execz .LBB2347_7
; %bb.6:
	global_load_ushort v1, v4, s[14:15] offset:256
	s_mov_b32 s4, 0x5040100
	s_waitcnt vmcnt(0)
	v_perm_b32 v2, v1, v2, s4
.LBB2347_7:
	s_or_b64 exec, exec, s[2:3]
	v_or_b32_e32 v1, 0x100, v0
	v_cmp_gt_u32_e64 s[2:3], s6, v1
	s_and_saveexec_b64 s[4:5], s[2:3]
	s_cbranch_execz .LBB2347_9
; %bb.8:
	global_load_ushort v1, v4, s[14:15] offset:512
	s_mov_b32 s7, 0xffff
	s_waitcnt vmcnt(0)
	v_bfi_b32 v3, s7, v1, v3
.LBB2347_9:
	s_or_b64 exec, exec, s[4:5]
	v_or_b32_e32 v1, 0x180, v0
	v_cmp_gt_u32_e64 s[4:5], s6, v1
	v_cmp_le_u32_e64 s[6:7], s6, v1
	s_and_saveexec_b64 s[18:19], s[6:7]
	s_xor_b64 s[6:7], exec, s[18:19]
	s_andn2_saveexec_b64 s[6:7], s[6:7]
	s_cbranch_execz .LBB2347_11
; %bb.10:
	v_lshlrev_b32_e32 v1, 1, v0
	global_load_ushort v1, v1, s[14:15] offset:768
	s_mov_b32 s8, 0x5040100
	s_waitcnt vmcnt(0)
	v_perm_b32 v3, v1, v3, s8
.LBB2347_11:
	s_or_b64 exec, exec, s[6:7]
	s_add_u32 s6, s9, s12
	v_mov_b32_e32 v5, 0
	s_addc_u32 s7, s16, s13
	v_lshlrev_b32_e32 v4, 1, v0
	v_cndmask_b32_sdwa v1, v5, v2, vcc dst_sel:DWORD dst_unused:UNUSED_PAD src0_sel:DWORD src1_sel:WORD_0
	v_lshl_add_u64 v[6:7], s[6:7], 0, v[4:5]
	s_and_saveexec_b64 s[6:7], vcc
	s_cbranch_execnz .LBB2347_20
; %bb.12:
	s_or_b64 exec, exec, s[6:7]
	v_cndmask_b32_e64 v0, v1, v2, s[0:1]
	s_and_saveexec_b64 s[6:7], s[0:1]
	s_cbranch_execnz .LBB2347_21
.LBB2347_13:
	s_or_b64 exec, exec, s[6:7]
	s_and_saveexec_b64 s[0:1], s[2:3]
	s_cbranch_execnz .LBB2347_22
.LBB2347_14:
	s_or_b64 exec, exec, s[0:1]
                                        ; implicit-def: $vgpr1
	s_and_saveexec_b64 s[0:1], s[4:5]
.LBB2347_15:
	v_cndmask_b32_e64 v0, 0, v3, s[4:5]
	v_lshrrev_b32_e32 v1, 16, v0
	s_or_b64 s[10:11], s[10:11], exec
.LBB2347_16:
	s_or_b64 exec, exec, s[0:1]
.LBB2347_17:
	s_and_saveexec_b64 s[0:1], s[10:11]
	s_cbranch_execnz .LBB2347_19
; %bb.18:
	s_endpgm
.LBB2347_19:
	flat_store_short v[6:7], v1 offset:768
	s_endpgm
.LBB2347_20:
	flat_store_short v[6:7], v1
	s_or_b64 exec, exec, s[6:7]
	v_cndmask_b32_e64 v0, v1, v2, s[0:1]
	s_and_saveexec_b64 s[6:7], s[0:1]
	s_cbranch_execz .LBB2347_13
.LBB2347_21:
	flat_store_short_d16_hi v[6:7], v0 offset:256
	s_or_b64 exec, exec, s[6:7]
	s_and_saveexec_b64 s[0:1], s[2:3]
	s_cbranch_execz .LBB2347_14
.LBB2347_22:
	v_cndmask_b32_e64 v0, 0, v3, s[2:3]
	flat_store_short v[6:7], v0 offset:512
	s_or_b64 exec, exec, s[0:1]
                                        ; implicit-def: $vgpr1
	s_and_saveexec_b64 s[0:1], s[4:5]
	s_cbranch_execnz .LBB2347_15
	s_branch .LBB2347_16
	.section	.rodata,"a",@progbits
	.p2align	6, 0x0
	.amdhsa_kernel _ZN7rocprim17ROCPRIM_400000_NS6detail17trampoline_kernelINS0_14default_configENS1_25transform_config_selectorIsLb0EEEZNS1_14transform_implILb0ES3_S5_PsN6thrust23THRUST_200600_302600_NS10device_ptrIsEENS0_8identityIsEEEE10hipError_tT2_T3_mT4_P12ihipStream_tbEUlT_E_NS1_11comp_targetILNS1_3genE0ELNS1_11target_archE4294967295ELNS1_3gpuE0ELNS1_3repE0EEENS1_30default_config_static_selectorELNS0_4arch9wavefront6targetE1EEEvT1_
		.amdhsa_group_segment_fixed_size 0
		.amdhsa_private_segment_fixed_size 0
		.amdhsa_kernarg_size 296
		.amdhsa_user_sgpr_count 2
		.amdhsa_user_sgpr_dispatch_ptr 0
		.amdhsa_user_sgpr_queue_ptr 0
		.amdhsa_user_sgpr_kernarg_segment_ptr 1
		.amdhsa_user_sgpr_dispatch_id 0
		.amdhsa_user_sgpr_kernarg_preload_length 0
		.amdhsa_user_sgpr_kernarg_preload_offset 0
		.amdhsa_user_sgpr_private_segment_size 0
		.amdhsa_uses_dynamic_stack 0
		.amdhsa_enable_private_segment 0
		.amdhsa_system_sgpr_workgroup_id_x 1
		.amdhsa_system_sgpr_workgroup_id_y 0
		.amdhsa_system_sgpr_workgroup_id_z 0
		.amdhsa_system_sgpr_workgroup_info 0
		.amdhsa_system_vgpr_workitem_id 0
		.amdhsa_next_free_vgpr 9
		.amdhsa_next_free_sgpr 20
		.amdhsa_accum_offset 12
		.amdhsa_reserve_vcc 1
		.amdhsa_float_round_mode_32 0
		.amdhsa_float_round_mode_16_64 0
		.amdhsa_float_denorm_mode_32 3
		.amdhsa_float_denorm_mode_16_64 3
		.amdhsa_dx10_clamp 1
		.amdhsa_ieee_mode 1
		.amdhsa_fp16_overflow 0
		.amdhsa_tg_split 0
		.amdhsa_exception_fp_ieee_invalid_op 0
		.amdhsa_exception_fp_denorm_src 0
		.amdhsa_exception_fp_ieee_div_zero 0
		.amdhsa_exception_fp_ieee_overflow 0
		.amdhsa_exception_fp_ieee_underflow 0
		.amdhsa_exception_fp_ieee_inexact 0
		.amdhsa_exception_int_div_zero 0
	.end_amdhsa_kernel
	.section	.text._ZN7rocprim17ROCPRIM_400000_NS6detail17trampoline_kernelINS0_14default_configENS1_25transform_config_selectorIsLb0EEEZNS1_14transform_implILb0ES3_S5_PsN6thrust23THRUST_200600_302600_NS10device_ptrIsEENS0_8identityIsEEEE10hipError_tT2_T3_mT4_P12ihipStream_tbEUlT_E_NS1_11comp_targetILNS1_3genE0ELNS1_11target_archE4294967295ELNS1_3gpuE0ELNS1_3repE0EEENS1_30default_config_static_selectorELNS0_4arch9wavefront6targetE1EEEvT1_,"axG",@progbits,_ZN7rocprim17ROCPRIM_400000_NS6detail17trampoline_kernelINS0_14default_configENS1_25transform_config_selectorIsLb0EEEZNS1_14transform_implILb0ES3_S5_PsN6thrust23THRUST_200600_302600_NS10device_ptrIsEENS0_8identityIsEEEE10hipError_tT2_T3_mT4_P12ihipStream_tbEUlT_E_NS1_11comp_targetILNS1_3genE0ELNS1_11target_archE4294967295ELNS1_3gpuE0ELNS1_3repE0EEENS1_30default_config_static_selectorELNS0_4arch9wavefront6targetE1EEEvT1_,comdat
.Lfunc_end2347:
	.size	_ZN7rocprim17ROCPRIM_400000_NS6detail17trampoline_kernelINS0_14default_configENS1_25transform_config_selectorIsLb0EEEZNS1_14transform_implILb0ES3_S5_PsN6thrust23THRUST_200600_302600_NS10device_ptrIsEENS0_8identityIsEEEE10hipError_tT2_T3_mT4_P12ihipStream_tbEUlT_E_NS1_11comp_targetILNS1_3genE0ELNS1_11target_archE4294967295ELNS1_3gpuE0ELNS1_3repE0EEENS1_30default_config_static_selectorELNS0_4arch9wavefront6targetE1EEEvT1_, .Lfunc_end2347-_ZN7rocprim17ROCPRIM_400000_NS6detail17trampoline_kernelINS0_14default_configENS1_25transform_config_selectorIsLb0EEEZNS1_14transform_implILb0ES3_S5_PsN6thrust23THRUST_200600_302600_NS10device_ptrIsEENS0_8identityIsEEEE10hipError_tT2_T3_mT4_P12ihipStream_tbEUlT_E_NS1_11comp_targetILNS1_3genE0ELNS1_11target_archE4294967295ELNS1_3gpuE0ELNS1_3repE0EEENS1_30default_config_static_selectorELNS0_4arch9wavefront6targetE1EEEvT1_
                                        ; -- End function
	.set _ZN7rocprim17ROCPRIM_400000_NS6detail17trampoline_kernelINS0_14default_configENS1_25transform_config_selectorIsLb0EEEZNS1_14transform_implILb0ES3_S5_PsN6thrust23THRUST_200600_302600_NS10device_ptrIsEENS0_8identityIsEEEE10hipError_tT2_T3_mT4_P12ihipStream_tbEUlT_E_NS1_11comp_targetILNS1_3genE0ELNS1_11target_archE4294967295ELNS1_3gpuE0ELNS1_3repE0EEENS1_30default_config_static_selectorELNS0_4arch9wavefront6targetE1EEEvT1_.num_vgpr, 9
	.set _ZN7rocprim17ROCPRIM_400000_NS6detail17trampoline_kernelINS0_14default_configENS1_25transform_config_selectorIsLb0EEEZNS1_14transform_implILb0ES3_S5_PsN6thrust23THRUST_200600_302600_NS10device_ptrIsEENS0_8identityIsEEEE10hipError_tT2_T3_mT4_P12ihipStream_tbEUlT_E_NS1_11comp_targetILNS1_3genE0ELNS1_11target_archE4294967295ELNS1_3gpuE0ELNS1_3repE0EEENS1_30default_config_static_selectorELNS0_4arch9wavefront6targetE1EEEvT1_.num_agpr, 0
	.set _ZN7rocprim17ROCPRIM_400000_NS6detail17trampoline_kernelINS0_14default_configENS1_25transform_config_selectorIsLb0EEEZNS1_14transform_implILb0ES3_S5_PsN6thrust23THRUST_200600_302600_NS10device_ptrIsEENS0_8identityIsEEEE10hipError_tT2_T3_mT4_P12ihipStream_tbEUlT_E_NS1_11comp_targetILNS1_3genE0ELNS1_11target_archE4294967295ELNS1_3gpuE0ELNS1_3repE0EEENS1_30default_config_static_selectorELNS0_4arch9wavefront6targetE1EEEvT1_.numbered_sgpr, 20
	.set _ZN7rocprim17ROCPRIM_400000_NS6detail17trampoline_kernelINS0_14default_configENS1_25transform_config_selectorIsLb0EEEZNS1_14transform_implILb0ES3_S5_PsN6thrust23THRUST_200600_302600_NS10device_ptrIsEENS0_8identityIsEEEE10hipError_tT2_T3_mT4_P12ihipStream_tbEUlT_E_NS1_11comp_targetILNS1_3genE0ELNS1_11target_archE4294967295ELNS1_3gpuE0ELNS1_3repE0EEENS1_30default_config_static_selectorELNS0_4arch9wavefront6targetE1EEEvT1_.num_named_barrier, 0
	.set _ZN7rocprim17ROCPRIM_400000_NS6detail17trampoline_kernelINS0_14default_configENS1_25transform_config_selectorIsLb0EEEZNS1_14transform_implILb0ES3_S5_PsN6thrust23THRUST_200600_302600_NS10device_ptrIsEENS0_8identityIsEEEE10hipError_tT2_T3_mT4_P12ihipStream_tbEUlT_E_NS1_11comp_targetILNS1_3genE0ELNS1_11target_archE4294967295ELNS1_3gpuE0ELNS1_3repE0EEENS1_30default_config_static_selectorELNS0_4arch9wavefront6targetE1EEEvT1_.private_seg_size, 0
	.set _ZN7rocprim17ROCPRIM_400000_NS6detail17trampoline_kernelINS0_14default_configENS1_25transform_config_selectorIsLb0EEEZNS1_14transform_implILb0ES3_S5_PsN6thrust23THRUST_200600_302600_NS10device_ptrIsEENS0_8identityIsEEEE10hipError_tT2_T3_mT4_P12ihipStream_tbEUlT_E_NS1_11comp_targetILNS1_3genE0ELNS1_11target_archE4294967295ELNS1_3gpuE0ELNS1_3repE0EEENS1_30default_config_static_selectorELNS0_4arch9wavefront6targetE1EEEvT1_.uses_vcc, 1
	.set _ZN7rocprim17ROCPRIM_400000_NS6detail17trampoline_kernelINS0_14default_configENS1_25transform_config_selectorIsLb0EEEZNS1_14transform_implILb0ES3_S5_PsN6thrust23THRUST_200600_302600_NS10device_ptrIsEENS0_8identityIsEEEE10hipError_tT2_T3_mT4_P12ihipStream_tbEUlT_E_NS1_11comp_targetILNS1_3genE0ELNS1_11target_archE4294967295ELNS1_3gpuE0ELNS1_3repE0EEENS1_30default_config_static_selectorELNS0_4arch9wavefront6targetE1EEEvT1_.uses_flat_scratch, 0
	.set _ZN7rocprim17ROCPRIM_400000_NS6detail17trampoline_kernelINS0_14default_configENS1_25transform_config_selectorIsLb0EEEZNS1_14transform_implILb0ES3_S5_PsN6thrust23THRUST_200600_302600_NS10device_ptrIsEENS0_8identityIsEEEE10hipError_tT2_T3_mT4_P12ihipStream_tbEUlT_E_NS1_11comp_targetILNS1_3genE0ELNS1_11target_archE4294967295ELNS1_3gpuE0ELNS1_3repE0EEENS1_30default_config_static_selectorELNS0_4arch9wavefront6targetE1EEEvT1_.has_dyn_sized_stack, 0
	.set _ZN7rocprim17ROCPRIM_400000_NS6detail17trampoline_kernelINS0_14default_configENS1_25transform_config_selectorIsLb0EEEZNS1_14transform_implILb0ES3_S5_PsN6thrust23THRUST_200600_302600_NS10device_ptrIsEENS0_8identityIsEEEE10hipError_tT2_T3_mT4_P12ihipStream_tbEUlT_E_NS1_11comp_targetILNS1_3genE0ELNS1_11target_archE4294967295ELNS1_3gpuE0ELNS1_3repE0EEENS1_30default_config_static_selectorELNS0_4arch9wavefront6targetE1EEEvT1_.has_recursion, 0
	.set _ZN7rocprim17ROCPRIM_400000_NS6detail17trampoline_kernelINS0_14default_configENS1_25transform_config_selectorIsLb0EEEZNS1_14transform_implILb0ES3_S5_PsN6thrust23THRUST_200600_302600_NS10device_ptrIsEENS0_8identityIsEEEE10hipError_tT2_T3_mT4_P12ihipStream_tbEUlT_E_NS1_11comp_targetILNS1_3genE0ELNS1_11target_archE4294967295ELNS1_3gpuE0ELNS1_3repE0EEENS1_30default_config_static_selectorELNS0_4arch9wavefront6targetE1EEEvT1_.has_indirect_call, 0
	.section	.AMDGPU.csdata,"",@progbits
; Kernel info:
; codeLenInByte = 624
; TotalNumSgprs: 26
; NumVgprs: 9
; NumAgprs: 0
; TotalNumVgprs: 9
; ScratchSize: 0
; MemoryBound: 0
; FloatMode: 240
; IeeeMode: 1
; LDSByteSize: 0 bytes/workgroup (compile time only)
; SGPRBlocks: 3
; VGPRBlocks: 1
; NumSGPRsForWavesPerEU: 26
; NumVGPRsForWavesPerEU: 9
; AccumOffset: 12
; Occupancy: 8
; WaveLimiterHint : 1
; COMPUTE_PGM_RSRC2:SCRATCH_EN: 0
; COMPUTE_PGM_RSRC2:USER_SGPR: 2
; COMPUTE_PGM_RSRC2:TRAP_HANDLER: 0
; COMPUTE_PGM_RSRC2:TGID_X_EN: 1
; COMPUTE_PGM_RSRC2:TGID_Y_EN: 0
; COMPUTE_PGM_RSRC2:TGID_Z_EN: 0
; COMPUTE_PGM_RSRC2:TIDIG_COMP_CNT: 0
; COMPUTE_PGM_RSRC3_GFX90A:ACCUM_OFFSET: 2
; COMPUTE_PGM_RSRC3_GFX90A:TG_SPLIT: 0
	.section	.text._ZN7rocprim17ROCPRIM_400000_NS6detail17trampoline_kernelINS0_14default_configENS1_25transform_config_selectorIsLb0EEEZNS1_14transform_implILb0ES3_S5_PsN6thrust23THRUST_200600_302600_NS10device_ptrIsEENS0_8identityIsEEEE10hipError_tT2_T3_mT4_P12ihipStream_tbEUlT_E_NS1_11comp_targetILNS1_3genE5ELNS1_11target_archE942ELNS1_3gpuE9ELNS1_3repE0EEENS1_30default_config_static_selectorELNS0_4arch9wavefront6targetE1EEEvT1_,"axG",@progbits,_ZN7rocprim17ROCPRIM_400000_NS6detail17trampoline_kernelINS0_14default_configENS1_25transform_config_selectorIsLb0EEEZNS1_14transform_implILb0ES3_S5_PsN6thrust23THRUST_200600_302600_NS10device_ptrIsEENS0_8identityIsEEEE10hipError_tT2_T3_mT4_P12ihipStream_tbEUlT_E_NS1_11comp_targetILNS1_3genE5ELNS1_11target_archE942ELNS1_3gpuE9ELNS1_3repE0EEENS1_30default_config_static_selectorELNS0_4arch9wavefront6targetE1EEEvT1_,comdat
	.protected	_ZN7rocprim17ROCPRIM_400000_NS6detail17trampoline_kernelINS0_14default_configENS1_25transform_config_selectorIsLb0EEEZNS1_14transform_implILb0ES3_S5_PsN6thrust23THRUST_200600_302600_NS10device_ptrIsEENS0_8identityIsEEEE10hipError_tT2_T3_mT4_P12ihipStream_tbEUlT_E_NS1_11comp_targetILNS1_3genE5ELNS1_11target_archE942ELNS1_3gpuE9ELNS1_3repE0EEENS1_30default_config_static_selectorELNS0_4arch9wavefront6targetE1EEEvT1_ ; -- Begin function _ZN7rocprim17ROCPRIM_400000_NS6detail17trampoline_kernelINS0_14default_configENS1_25transform_config_selectorIsLb0EEEZNS1_14transform_implILb0ES3_S5_PsN6thrust23THRUST_200600_302600_NS10device_ptrIsEENS0_8identityIsEEEE10hipError_tT2_T3_mT4_P12ihipStream_tbEUlT_E_NS1_11comp_targetILNS1_3genE5ELNS1_11target_archE942ELNS1_3gpuE9ELNS1_3repE0EEENS1_30default_config_static_selectorELNS0_4arch9wavefront6targetE1EEEvT1_
	.globl	_ZN7rocprim17ROCPRIM_400000_NS6detail17trampoline_kernelINS0_14default_configENS1_25transform_config_selectorIsLb0EEEZNS1_14transform_implILb0ES3_S5_PsN6thrust23THRUST_200600_302600_NS10device_ptrIsEENS0_8identityIsEEEE10hipError_tT2_T3_mT4_P12ihipStream_tbEUlT_E_NS1_11comp_targetILNS1_3genE5ELNS1_11target_archE942ELNS1_3gpuE9ELNS1_3repE0EEENS1_30default_config_static_selectorELNS0_4arch9wavefront6targetE1EEEvT1_
	.p2align	8
	.type	_ZN7rocprim17ROCPRIM_400000_NS6detail17trampoline_kernelINS0_14default_configENS1_25transform_config_selectorIsLb0EEEZNS1_14transform_implILb0ES3_S5_PsN6thrust23THRUST_200600_302600_NS10device_ptrIsEENS0_8identityIsEEEE10hipError_tT2_T3_mT4_P12ihipStream_tbEUlT_E_NS1_11comp_targetILNS1_3genE5ELNS1_11target_archE942ELNS1_3gpuE9ELNS1_3repE0EEENS1_30default_config_static_selectorELNS0_4arch9wavefront6targetE1EEEvT1_,@function
_ZN7rocprim17ROCPRIM_400000_NS6detail17trampoline_kernelINS0_14default_configENS1_25transform_config_selectorIsLb0EEEZNS1_14transform_implILb0ES3_S5_PsN6thrust23THRUST_200600_302600_NS10device_ptrIsEENS0_8identityIsEEEE10hipError_tT2_T3_mT4_P12ihipStream_tbEUlT_E_NS1_11comp_targetILNS1_3genE5ELNS1_11target_archE942ELNS1_3gpuE9ELNS1_3repE0EEENS1_30default_config_static_selectorELNS0_4arch9wavefront6targetE1EEEvT1_: ; @_ZN7rocprim17ROCPRIM_400000_NS6detail17trampoline_kernelINS0_14default_configENS1_25transform_config_selectorIsLb0EEEZNS1_14transform_implILb0ES3_S5_PsN6thrust23THRUST_200600_302600_NS10device_ptrIsEENS0_8identityIsEEEE10hipError_tT2_T3_mT4_P12ihipStream_tbEUlT_E_NS1_11comp_targetILNS1_3genE5ELNS1_11target_archE942ELNS1_3gpuE9ELNS1_3repE0EEENS1_30default_config_static_selectorELNS0_4arch9wavefront6targetE1EEEvT1_
; %bb.0:
	.section	.rodata,"a",@progbits
	.p2align	6, 0x0
	.amdhsa_kernel _ZN7rocprim17ROCPRIM_400000_NS6detail17trampoline_kernelINS0_14default_configENS1_25transform_config_selectorIsLb0EEEZNS1_14transform_implILb0ES3_S5_PsN6thrust23THRUST_200600_302600_NS10device_ptrIsEENS0_8identityIsEEEE10hipError_tT2_T3_mT4_P12ihipStream_tbEUlT_E_NS1_11comp_targetILNS1_3genE5ELNS1_11target_archE942ELNS1_3gpuE9ELNS1_3repE0EEENS1_30default_config_static_selectorELNS0_4arch9wavefront6targetE1EEEvT1_
		.amdhsa_group_segment_fixed_size 0
		.amdhsa_private_segment_fixed_size 0
		.amdhsa_kernarg_size 40
		.amdhsa_user_sgpr_count 2
		.amdhsa_user_sgpr_dispatch_ptr 0
		.amdhsa_user_sgpr_queue_ptr 0
		.amdhsa_user_sgpr_kernarg_segment_ptr 1
		.amdhsa_user_sgpr_dispatch_id 0
		.amdhsa_user_sgpr_kernarg_preload_length 0
		.amdhsa_user_sgpr_kernarg_preload_offset 0
		.amdhsa_user_sgpr_private_segment_size 0
		.amdhsa_uses_dynamic_stack 0
		.amdhsa_enable_private_segment 0
		.amdhsa_system_sgpr_workgroup_id_x 1
		.amdhsa_system_sgpr_workgroup_id_y 0
		.amdhsa_system_sgpr_workgroup_id_z 0
		.amdhsa_system_sgpr_workgroup_info 0
		.amdhsa_system_vgpr_workitem_id 0
		.amdhsa_next_free_vgpr 1
		.amdhsa_next_free_sgpr 0
		.amdhsa_accum_offset 4
		.amdhsa_reserve_vcc 0
		.amdhsa_float_round_mode_32 0
		.amdhsa_float_round_mode_16_64 0
		.amdhsa_float_denorm_mode_32 3
		.amdhsa_float_denorm_mode_16_64 3
		.amdhsa_dx10_clamp 1
		.amdhsa_ieee_mode 1
		.amdhsa_fp16_overflow 0
		.amdhsa_tg_split 0
		.amdhsa_exception_fp_ieee_invalid_op 0
		.amdhsa_exception_fp_denorm_src 0
		.amdhsa_exception_fp_ieee_div_zero 0
		.amdhsa_exception_fp_ieee_overflow 0
		.amdhsa_exception_fp_ieee_underflow 0
		.amdhsa_exception_fp_ieee_inexact 0
		.amdhsa_exception_int_div_zero 0
	.end_amdhsa_kernel
	.section	.text._ZN7rocprim17ROCPRIM_400000_NS6detail17trampoline_kernelINS0_14default_configENS1_25transform_config_selectorIsLb0EEEZNS1_14transform_implILb0ES3_S5_PsN6thrust23THRUST_200600_302600_NS10device_ptrIsEENS0_8identityIsEEEE10hipError_tT2_T3_mT4_P12ihipStream_tbEUlT_E_NS1_11comp_targetILNS1_3genE5ELNS1_11target_archE942ELNS1_3gpuE9ELNS1_3repE0EEENS1_30default_config_static_selectorELNS0_4arch9wavefront6targetE1EEEvT1_,"axG",@progbits,_ZN7rocprim17ROCPRIM_400000_NS6detail17trampoline_kernelINS0_14default_configENS1_25transform_config_selectorIsLb0EEEZNS1_14transform_implILb0ES3_S5_PsN6thrust23THRUST_200600_302600_NS10device_ptrIsEENS0_8identityIsEEEE10hipError_tT2_T3_mT4_P12ihipStream_tbEUlT_E_NS1_11comp_targetILNS1_3genE5ELNS1_11target_archE942ELNS1_3gpuE9ELNS1_3repE0EEENS1_30default_config_static_selectorELNS0_4arch9wavefront6targetE1EEEvT1_,comdat
.Lfunc_end2348:
	.size	_ZN7rocprim17ROCPRIM_400000_NS6detail17trampoline_kernelINS0_14default_configENS1_25transform_config_selectorIsLb0EEEZNS1_14transform_implILb0ES3_S5_PsN6thrust23THRUST_200600_302600_NS10device_ptrIsEENS0_8identityIsEEEE10hipError_tT2_T3_mT4_P12ihipStream_tbEUlT_E_NS1_11comp_targetILNS1_3genE5ELNS1_11target_archE942ELNS1_3gpuE9ELNS1_3repE0EEENS1_30default_config_static_selectorELNS0_4arch9wavefront6targetE1EEEvT1_, .Lfunc_end2348-_ZN7rocprim17ROCPRIM_400000_NS6detail17trampoline_kernelINS0_14default_configENS1_25transform_config_selectorIsLb0EEEZNS1_14transform_implILb0ES3_S5_PsN6thrust23THRUST_200600_302600_NS10device_ptrIsEENS0_8identityIsEEEE10hipError_tT2_T3_mT4_P12ihipStream_tbEUlT_E_NS1_11comp_targetILNS1_3genE5ELNS1_11target_archE942ELNS1_3gpuE9ELNS1_3repE0EEENS1_30default_config_static_selectorELNS0_4arch9wavefront6targetE1EEEvT1_
                                        ; -- End function
	.set _ZN7rocprim17ROCPRIM_400000_NS6detail17trampoline_kernelINS0_14default_configENS1_25transform_config_selectorIsLb0EEEZNS1_14transform_implILb0ES3_S5_PsN6thrust23THRUST_200600_302600_NS10device_ptrIsEENS0_8identityIsEEEE10hipError_tT2_T3_mT4_P12ihipStream_tbEUlT_E_NS1_11comp_targetILNS1_3genE5ELNS1_11target_archE942ELNS1_3gpuE9ELNS1_3repE0EEENS1_30default_config_static_selectorELNS0_4arch9wavefront6targetE1EEEvT1_.num_vgpr, 0
	.set _ZN7rocprim17ROCPRIM_400000_NS6detail17trampoline_kernelINS0_14default_configENS1_25transform_config_selectorIsLb0EEEZNS1_14transform_implILb0ES3_S5_PsN6thrust23THRUST_200600_302600_NS10device_ptrIsEENS0_8identityIsEEEE10hipError_tT2_T3_mT4_P12ihipStream_tbEUlT_E_NS1_11comp_targetILNS1_3genE5ELNS1_11target_archE942ELNS1_3gpuE9ELNS1_3repE0EEENS1_30default_config_static_selectorELNS0_4arch9wavefront6targetE1EEEvT1_.num_agpr, 0
	.set _ZN7rocprim17ROCPRIM_400000_NS6detail17trampoline_kernelINS0_14default_configENS1_25transform_config_selectorIsLb0EEEZNS1_14transform_implILb0ES3_S5_PsN6thrust23THRUST_200600_302600_NS10device_ptrIsEENS0_8identityIsEEEE10hipError_tT2_T3_mT4_P12ihipStream_tbEUlT_E_NS1_11comp_targetILNS1_3genE5ELNS1_11target_archE942ELNS1_3gpuE9ELNS1_3repE0EEENS1_30default_config_static_selectorELNS0_4arch9wavefront6targetE1EEEvT1_.numbered_sgpr, 0
	.set _ZN7rocprim17ROCPRIM_400000_NS6detail17trampoline_kernelINS0_14default_configENS1_25transform_config_selectorIsLb0EEEZNS1_14transform_implILb0ES3_S5_PsN6thrust23THRUST_200600_302600_NS10device_ptrIsEENS0_8identityIsEEEE10hipError_tT2_T3_mT4_P12ihipStream_tbEUlT_E_NS1_11comp_targetILNS1_3genE5ELNS1_11target_archE942ELNS1_3gpuE9ELNS1_3repE0EEENS1_30default_config_static_selectorELNS0_4arch9wavefront6targetE1EEEvT1_.num_named_barrier, 0
	.set _ZN7rocprim17ROCPRIM_400000_NS6detail17trampoline_kernelINS0_14default_configENS1_25transform_config_selectorIsLb0EEEZNS1_14transform_implILb0ES3_S5_PsN6thrust23THRUST_200600_302600_NS10device_ptrIsEENS0_8identityIsEEEE10hipError_tT2_T3_mT4_P12ihipStream_tbEUlT_E_NS1_11comp_targetILNS1_3genE5ELNS1_11target_archE942ELNS1_3gpuE9ELNS1_3repE0EEENS1_30default_config_static_selectorELNS0_4arch9wavefront6targetE1EEEvT1_.private_seg_size, 0
	.set _ZN7rocprim17ROCPRIM_400000_NS6detail17trampoline_kernelINS0_14default_configENS1_25transform_config_selectorIsLb0EEEZNS1_14transform_implILb0ES3_S5_PsN6thrust23THRUST_200600_302600_NS10device_ptrIsEENS0_8identityIsEEEE10hipError_tT2_T3_mT4_P12ihipStream_tbEUlT_E_NS1_11comp_targetILNS1_3genE5ELNS1_11target_archE942ELNS1_3gpuE9ELNS1_3repE0EEENS1_30default_config_static_selectorELNS0_4arch9wavefront6targetE1EEEvT1_.uses_vcc, 0
	.set _ZN7rocprim17ROCPRIM_400000_NS6detail17trampoline_kernelINS0_14default_configENS1_25transform_config_selectorIsLb0EEEZNS1_14transform_implILb0ES3_S5_PsN6thrust23THRUST_200600_302600_NS10device_ptrIsEENS0_8identityIsEEEE10hipError_tT2_T3_mT4_P12ihipStream_tbEUlT_E_NS1_11comp_targetILNS1_3genE5ELNS1_11target_archE942ELNS1_3gpuE9ELNS1_3repE0EEENS1_30default_config_static_selectorELNS0_4arch9wavefront6targetE1EEEvT1_.uses_flat_scratch, 0
	.set _ZN7rocprim17ROCPRIM_400000_NS6detail17trampoline_kernelINS0_14default_configENS1_25transform_config_selectorIsLb0EEEZNS1_14transform_implILb0ES3_S5_PsN6thrust23THRUST_200600_302600_NS10device_ptrIsEENS0_8identityIsEEEE10hipError_tT2_T3_mT4_P12ihipStream_tbEUlT_E_NS1_11comp_targetILNS1_3genE5ELNS1_11target_archE942ELNS1_3gpuE9ELNS1_3repE0EEENS1_30default_config_static_selectorELNS0_4arch9wavefront6targetE1EEEvT1_.has_dyn_sized_stack, 0
	.set _ZN7rocprim17ROCPRIM_400000_NS6detail17trampoline_kernelINS0_14default_configENS1_25transform_config_selectorIsLb0EEEZNS1_14transform_implILb0ES3_S5_PsN6thrust23THRUST_200600_302600_NS10device_ptrIsEENS0_8identityIsEEEE10hipError_tT2_T3_mT4_P12ihipStream_tbEUlT_E_NS1_11comp_targetILNS1_3genE5ELNS1_11target_archE942ELNS1_3gpuE9ELNS1_3repE0EEENS1_30default_config_static_selectorELNS0_4arch9wavefront6targetE1EEEvT1_.has_recursion, 0
	.set _ZN7rocprim17ROCPRIM_400000_NS6detail17trampoline_kernelINS0_14default_configENS1_25transform_config_selectorIsLb0EEEZNS1_14transform_implILb0ES3_S5_PsN6thrust23THRUST_200600_302600_NS10device_ptrIsEENS0_8identityIsEEEE10hipError_tT2_T3_mT4_P12ihipStream_tbEUlT_E_NS1_11comp_targetILNS1_3genE5ELNS1_11target_archE942ELNS1_3gpuE9ELNS1_3repE0EEENS1_30default_config_static_selectorELNS0_4arch9wavefront6targetE1EEEvT1_.has_indirect_call, 0
	.section	.AMDGPU.csdata,"",@progbits
; Kernel info:
; codeLenInByte = 0
; TotalNumSgprs: 6
; NumVgprs: 0
; NumAgprs: 0
; TotalNumVgprs: 0
; ScratchSize: 0
; MemoryBound: 0
; FloatMode: 240
; IeeeMode: 1
; LDSByteSize: 0 bytes/workgroup (compile time only)
; SGPRBlocks: 0
; VGPRBlocks: 0
; NumSGPRsForWavesPerEU: 6
; NumVGPRsForWavesPerEU: 1
; AccumOffset: 4
; Occupancy: 8
; WaveLimiterHint : 0
; COMPUTE_PGM_RSRC2:SCRATCH_EN: 0
; COMPUTE_PGM_RSRC2:USER_SGPR: 2
; COMPUTE_PGM_RSRC2:TRAP_HANDLER: 0
; COMPUTE_PGM_RSRC2:TGID_X_EN: 1
; COMPUTE_PGM_RSRC2:TGID_Y_EN: 0
; COMPUTE_PGM_RSRC2:TGID_Z_EN: 0
; COMPUTE_PGM_RSRC2:TIDIG_COMP_CNT: 0
; COMPUTE_PGM_RSRC3_GFX90A:ACCUM_OFFSET: 0
; COMPUTE_PGM_RSRC3_GFX90A:TG_SPLIT: 0
	.section	.text._ZN7rocprim17ROCPRIM_400000_NS6detail17trampoline_kernelINS0_14default_configENS1_25transform_config_selectorIsLb0EEEZNS1_14transform_implILb0ES3_S5_PsN6thrust23THRUST_200600_302600_NS10device_ptrIsEENS0_8identityIsEEEE10hipError_tT2_T3_mT4_P12ihipStream_tbEUlT_E_NS1_11comp_targetILNS1_3genE4ELNS1_11target_archE910ELNS1_3gpuE8ELNS1_3repE0EEENS1_30default_config_static_selectorELNS0_4arch9wavefront6targetE1EEEvT1_,"axG",@progbits,_ZN7rocprim17ROCPRIM_400000_NS6detail17trampoline_kernelINS0_14default_configENS1_25transform_config_selectorIsLb0EEEZNS1_14transform_implILb0ES3_S5_PsN6thrust23THRUST_200600_302600_NS10device_ptrIsEENS0_8identityIsEEEE10hipError_tT2_T3_mT4_P12ihipStream_tbEUlT_E_NS1_11comp_targetILNS1_3genE4ELNS1_11target_archE910ELNS1_3gpuE8ELNS1_3repE0EEENS1_30default_config_static_selectorELNS0_4arch9wavefront6targetE1EEEvT1_,comdat
	.protected	_ZN7rocprim17ROCPRIM_400000_NS6detail17trampoline_kernelINS0_14default_configENS1_25transform_config_selectorIsLb0EEEZNS1_14transform_implILb0ES3_S5_PsN6thrust23THRUST_200600_302600_NS10device_ptrIsEENS0_8identityIsEEEE10hipError_tT2_T3_mT4_P12ihipStream_tbEUlT_E_NS1_11comp_targetILNS1_3genE4ELNS1_11target_archE910ELNS1_3gpuE8ELNS1_3repE0EEENS1_30default_config_static_selectorELNS0_4arch9wavefront6targetE1EEEvT1_ ; -- Begin function _ZN7rocprim17ROCPRIM_400000_NS6detail17trampoline_kernelINS0_14default_configENS1_25transform_config_selectorIsLb0EEEZNS1_14transform_implILb0ES3_S5_PsN6thrust23THRUST_200600_302600_NS10device_ptrIsEENS0_8identityIsEEEE10hipError_tT2_T3_mT4_P12ihipStream_tbEUlT_E_NS1_11comp_targetILNS1_3genE4ELNS1_11target_archE910ELNS1_3gpuE8ELNS1_3repE0EEENS1_30default_config_static_selectorELNS0_4arch9wavefront6targetE1EEEvT1_
	.globl	_ZN7rocprim17ROCPRIM_400000_NS6detail17trampoline_kernelINS0_14default_configENS1_25transform_config_selectorIsLb0EEEZNS1_14transform_implILb0ES3_S5_PsN6thrust23THRUST_200600_302600_NS10device_ptrIsEENS0_8identityIsEEEE10hipError_tT2_T3_mT4_P12ihipStream_tbEUlT_E_NS1_11comp_targetILNS1_3genE4ELNS1_11target_archE910ELNS1_3gpuE8ELNS1_3repE0EEENS1_30default_config_static_selectorELNS0_4arch9wavefront6targetE1EEEvT1_
	.p2align	8
	.type	_ZN7rocprim17ROCPRIM_400000_NS6detail17trampoline_kernelINS0_14default_configENS1_25transform_config_selectorIsLb0EEEZNS1_14transform_implILb0ES3_S5_PsN6thrust23THRUST_200600_302600_NS10device_ptrIsEENS0_8identityIsEEEE10hipError_tT2_T3_mT4_P12ihipStream_tbEUlT_E_NS1_11comp_targetILNS1_3genE4ELNS1_11target_archE910ELNS1_3gpuE8ELNS1_3repE0EEENS1_30default_config_static_selectorELNS0_4arch9wavefront6targetE1EEEvT1_,@function
_ZN7rocprim17ROCPRIM_400000_NS6detail17trampoline_kernelINS0_14default_configENS1_25transform_config_selectorIsLb0EEEZNS1_14transform_implILb0ES3_S5_PsN6thrust23THRUST_200600_302600_NS10device_ptrIsEENS0_8identityIsEEEE10hipError_tT2_T3_mT4_P12ihipStream_tbEUlT_E_NS1_11comp_targetILNS1_3genE4ELNS1_11target_archE910ELNS1_3gpuE8ELNS1_3repE0EEENS1_30default_config_static_selectorELNS0_4arch9wavefront6targetE1EEEvT1_: ; @_ZN7rocprim17ROCPRIM_400000_NS6detail17trampoline_kernelINS0_14default_configENS1_25transform_config_selectorIsLb0EEEZNS1_14transform_implILb0ES3_S5_PsN6thrust23THRUST_200600_302600_NS10device_ptrIsEENS0_8identityIsEEEE10hipError_tT2_T3_mT4_P12ihipStream_tbEUlT_E_NS1_11comp_targetILNS1_3genE4ELNS1_11target_archE910ELNS1_3gpuE8ELNS1_3repE0EEENS1_30default_config_static_selectorELNS0_4arch9wavefront6targetE1EEEvT1_
; %bb.0:
	.section	.rodata,"a",@progbits
	.p2align	6, 0x0
	.amdhsa_kernel _ZN7rocprim17ROCPRIM_400000_NS6detail17trampoline_kernelINS0_14default_configENS1_25transform_config_selectorIsLb0EEEZNS1_14transform_implILb0ES3_S5_PsN6thrust23THRUST_200600_302600_NS10device_ptrIsEENS0_8identityIsEEEE10hipError_tT2_T3_mT4_P12ihipStream_tbEUlT_E_NS1_11comp_targetILNS1_3genE4ELNS1_11target_archE910ELNS1_3gpuE8ELNS1_3repE0EEENS1_30default_config_static_selectorELNS0_4arch9wavefront6targetE1EEEvT1_
		.amdhsa_group_segment_fixed_size 0
		.amdhsa_private_segment_fixed_size 0
		.amdhsa_kernarg_size 40
		.amdhsa_user_sgpr_count 2
		.amdhsa_user_sgpr_dispatch_ptr 0
		.amdhsa_user_sgpr_queue_ptr 0
		.amdhsa_user_sgpr_kernarg_segment_ptr 1
		.amdhsa_user_sgpr_dispatch_id 0
		.amdhsa_user_sgpr_kernarg_preload_length 0
		.amdhsa_user_sgpr_kernarg_preload_offset 0
		.amdhsa_user_sgpr_private_segment_size 0
		.amdhsa_uses_dynamic_stack 0
		.amdhsa_enable_private_segment 0
		.amdhsa_system_sgpr_workgroup_id_x 1
		.amdhsa_system_sgpr_workgroup_id_y 0
		.amdhsa_system_sgpr_workgroup_id_z 0
		.amdhsa_system_sgpr_workgroup_info 0
		.amdhsa_system_vgpr_workitem_id 0
		.amdhsa_next_free_vgpr 1
		.amdhsa_next_free_sgpr 0
		.amdhsa_accum_offset 4
		.amdhsa_reserve_vcc 0
		.amdhsa_float_round_mode_32 0
		.amdhsa_float_round_mode_16_64 0
		.amdhsa_float_denorm_mode_32 3
		.amdhsa_float_denorm_mode_16_64 3
		.amdhsa_dx10_clamp 1
		.amdhsa_ieee_mode 1
		.amdhsa_fp16_overflow 0
		.amdhsa_tg_split 0
		.amdhsa_exception_fp_ieee_invalid_op 0
		.amdhsa_exception_fp_denorm_src 0
		.amdhsa_exception_fp_ieee_div_zero 0
		.amdhsa_exception_fp_ieee_overflow 0
		.amdhsa_exception_fp_ieee_underflow 0
		.amdhsa_exception_fp_ieee_inexact 0
		.amdhsa_exception_int_div_zero 0
	.end_amdhsa_kernel
	.section	.text._ZN7rocprim17ROCPRIM_400000_NS6detail17trampoline_kernelINS0_14default_configENS1_25transform_config_selectorIsLb0EEEZNS1_14transform_implILb0ES3_S5_PsN6thrust23THRUST_200600_302600_NS10device_ptrIsEENS0_8identityIsEEEE10hipError_tT2_T3_mT4_P12ihipStream_tbEUlT_E_NS1_11comp_targetILNS1_3genE4ELNS1_11target_archE910ELNS1_3gpuE8ELNS1_3repE0EEENS1_30default_config_static_selectorELNS0_4arch9wavefront6targetE1EEEvT1_,"axG",@progbits,_ZN7rocprim17ROCPRIM_400000_NS6detail17trampoline_kernelINS0_14default_configENS1_25transform_config_selectorIsLb0EEEZNS1_14transform_implILb0ES3_S5_PsN6thrust23THRUST_200600_302600_NS10device_ptrIsEENS0_8identityIsEEEE10hipError_tT2_T3_mT4_P12ihipStream_tbEUlT_E_NS1_11comp_targetILNS1_3genE4ELNS1_11target_archE910ELNS1_3gpuE8ELNS1_3repE0EEENS1_30default_config_static_selectorELNS0_4arch9wavefront6targetE1EEEvT1_,comdat
.Lfunc_end2349:
	.size	_ZN7rocprim17ROCPRIM_400000_NS6detail17trampoline_kernelINS0_14default_configENS1_25transform_config_selectorIsLb0EEEZNS1_14transform_implILb0ES3_S5_PsN6thrust23THRUST_200600_302600_NS10device_ptrIsEENS0_8identityIsEEEE10hipError_tT2_T3_mT4_P12ihipStream_tbEUlT_E_NS1_11comp_targetILNS1_3genE4ELNS1_11target_archE910ELNS1_3gpuE8ELNS1_3repE0EEENS1_30default_config_static_selectorELNS0_4arch9wavefront6targetE1EEEvT1_, .Lfunc_end2349-_ZN7rocprim17ROCPRIM_400000_NS6detail17trampoline_kernelINS0_14default_configENS1_25transform_config_selectorIsLb0EEEZNS1_14transform_implILb0ES3_S5_PsN6thrust23THRUST_200600_302600_NS10device_ptrIsEENS0_8identityIsEEEE10hipError_tT2_T3_mT4_P12ihipStream_tbEUlT_E_NS1_11comp_targetILNS1_3genE4ELNS1_11target_archE910ELNS1_3gpuE8ELNS1_3repE0EEENS1_30default_config_static_selectorELNS0_4arch9wavefront6targetE1EEEvT1_
                                        ; -- End function
	.set _ZN7rocprim17ROCPRIM_400000_NS6detail17trampoline_kernelINS0_14default_configENS1_25transform_config_selectorIsLb0EEEZNS1_14transform_implILb0ES3_S5_PsN6thrust23THRUST_200600_302600_NS10device_ptrIsEENS0_8identityIsEEEE10hipError_tT2_T3_mT4_P12ihipStream_tbEUlT_E_NS1_11comp_targetILNS1_3genE4ELNS1_11target_archE910ELNS1_3gpuE8ELNS1_3repE0EEENS1_30default_config_static_selectorELNS0_4arch9wavefront6targetE1EEEvT1_.num_vgpr, 0
	.set _ZN7rocprim17ROCPRIM_400000_NS6detail17trampoline_kernelINS0_14default_configENS1_25transform_config_selectorIsLb0EEEZNS1_14transform_implILb0ES3_S5_PsN6thrust23THRUST_200600_302600_NS10device_ptrIsEENS0_8identityIsEEEE10hipError_tT2_T3_mT4_P12ihipStream_tbEUlT_E_NS1_11comp_targetILNS1_3genE4ELNS1_11target_archE910ELNS1_3gpuE8ELNS1_3repE0EEENS1_30default_config_static_selectorELNS0_4arch9wavefront6targetE1EEEvT1_.num_agpr, 0
	.set _ZN7rocprim17ROCPRIM_400000_NS6detail17trampoline_kernelINS0_14default_configENS1_25transform_config_selectorIsLb0EEEZNS1_14transform_implILb0ES3_S5_PsN6thrust23THRUST_200600_302600_NS10device_ptrIsEENS0_8identityIsEEEE10hipError_tT2_T3_mT4_P12ihipStream_tbEUlT_E_NS1_11comp_targetILNS1_3genE4ELNS1_11target_archE910ELNS1_3gpuE8ELNS1_3repE0EEENS1_30default_config_static_selectorELNS0_4arch9wavefront6targetE1EEEvT1_.numbered_sgpr, 0
	.set _ZN7rocprim17ROCPRIM_400000_NS6detail17trampoline_kernelINS0_14default_configENS1_25transform_config_selectorIsLb0EEEZNS1_14transform_implILb0ES3_S5_PsN6thrust23THRUST_200600_302600_NS10device_ptrIsEENS0_8identityIsEEEE10hipError_tT2_T3_mT4_P12ihipStream_tbEUlT_E_NS1_11comp_targetILNS1_3genE4ELNS1_11target_archE910ELNS1_3gpuE8ELNS1_3repE0EEENS1_30default_config_static_selectorELNS0_4arch9wavefront6targetE1EEEvT1_.num_named_barrier, 0
	.set _ZN7rocprim17ROCPRIM_400000_NS6detail17trampoline_kernelINS0_14default_configENS1_25transform_config_selectorIsLb0EEEZNS1_14transform_implILb0ES3_S5_PsN6thrust23THRUST_200600_302600_NS10device_ptrIsEENS0_8identityIsEEEE10hipError_tT2_T3_mT4_P12ihipStream_tbEUlT_E_NS1_11comp_targetILNS1_3genE4ELNS1_11target_archE910ELNS1_3gpuE8ELNS1_3repE0EEENS1_30default_config_static_selectorELNS0_4arch9wavefront6targetE1EEEvT1_.private_seg_size, 0
	.set _ZN7rocprim17ROCPRIM_400000_NS6detail17trampoline_kernelINS0_14default_configENS1_25transform_config_selectorIsLb0EEEZNS1_14transform_implILb0ES3_S5_PsN6thrust23THRUST_200600_302600_NS10device_ptrIsEENS0_8identityIsEEEE10hipError_tT2_T3_mT4_P12ihipStream_tbEUlT_E_NS1_11comp_targetILNS1_3genE4ELNS1_11target_archE910ELNS1_3gpuE8ELNS1_3repE0EEENS1_30default_config_static_selectorELNS0_4arch9wavefront6targetE1EEEvT1_.uses_vcc, 0
	.set _ZN7rocprim17ROCPRIM_400000_NS6detail17trampoline_kernelINS0_14default_configENS1_25transform_config_selectorIsLb0EEEZNS1_14transform_implILb0ES3_S5_PsN6thrust23THRUST_200600_302600_NS10device_ptrIsEENS0_8identityIsEEEE10hipError_tT2_T3_mT4_P12ihipStream_tbEUlT_E_NS1_11comp_targetILNS1_3genE4ELNS1_11target_archE910ELNS1_3gpuE8ELNS1_3repE0EEENS1_30default_config_static_selectorELNS0_4arch9wavefront6targetE1EEEvT1_.uses_flat_scratch, 0
	.set _ZN7rocprim17ROCPRIM_400000_NS6detail17trampoline_kernelINS0_14default_configENS1_25transform_config_selectorIsLb0EEEZNS1_14transform_implILb0ES3_S5_PsN6thrust23THRUST_200600_302600_NS10device_ptrIsEENS0_8identityIsEEEE10hipError_tT2_T3_mT4_P12ihipStream_tbEUlT_E_NS1_11comp_targetILNS1_3genE4ELNS1_11target_archE910ELNS1_3gpuE8ELNS1_3repE0EEENS1_30default_config_static_selectorELNS0_4arch9wavefront6targetE1EEEvT1_.has_dyn_sized_stack, 0
	.set _ZN7rocprim17ROCPRIM_400000_NS6detail17trampoline_kernelINS0_14default_configENS1_25transform_config_selectorIsLb0EEEZNS1_14transform_implILb0ES3_S5_PsN6thrust23THRUST_200600_302600_NS10device_ptrIsEENS0_8identityIsEEEE10hipError_tT2_T3_mT4_P12ihipStream_tbEUlT_E_NS1_11comp_targetILNS1_3genE4ELNS1_11target_archE910ELNS1_3gpuE8ELNS1_3repE0EEENS1_30default_config_static_selectorELNS0_4arch9wavefront6targetE1EEEvT1_.has_recursion, 0
	.set _ZN7rocprim17ROCPRIM_400000_NS6detail17trampoline_kernelINS0_14default_configENS1_25transform_config_selectorIsLb0EEEZNS1_14transform_implILb0ES3_S5_PsN6thrust23THRUST_200600_302600_NS10device_ptrIsEENS0_8identityIsEEEE10hipError_tT2_T3_mT4_P12ihipStream_tbEUlT_E_NS1_11comp_targetILNS1_3genE4ELNS1_11target_archE910ELNS1_3gpuE8ELNS1_3repE0EEENS1_30default_config_static_selectorELNS0_4arch9wavefront6targetE1EEEvT1_.has_indirect_call, 0
	.section	.AMDGPU.csdata,"",@progbits
; Kernel info:
; codeLenInByte = 0
; TotalNumSgprs: 6
; NumVgprs: 0
; NumAgprs: 0
; TotalNumVgprs: 0
; ScratchSize: 0
; MemoryBound: 0
; FloatMode: 240
; IeeeMode: 1
; LDSByteSize: 0 bytes/workgroup (compile time only)
; SGPRBlocks: 0
; VGPRBlocks: 0
; NumSGPRsForWavesPerEU: 6
; NumVGPRsForWavesPerEU: 1
; AccumOffset: 4
; Occupancy: 8
; WaveLimiterHint : 0
; COMPUTE_PGM_RSRC2:SCRATCH_EN: 0
; COMPUTE_PGM_RSRC2:USER_SGPR: 2
; COMPUTE_PGM_RSRC2:TRAP_HANDLER: 0
; COMPUTE_PGM_RSRC2:TGID_X_EN: 1
; COMPUTE_PGM_RSRC2:TGID_Y_EN: 0
; COMPUTE_PGM_RSRC2:TGID_Z_EN: 0
; COMPUTE_PGM_RSRC2:TIDIG_COMP_CNT: 0
; COMPUTE_PGM_RSRC3_GFX90A:ACCUM_OFFSET: 0
; COMPUTE_PGM_RSRC3_GFX90A:TG_SPLIT: 0
	.section	.text._ZN7rocprim17ROCPRIM_400000_NS6detail17trampoline_kernelINS0_14default_configENS1_25transform_config_selectorIsLb0EEEZNS1_14transform_implILb0ES3_S5_PsN6thrust23THRUST_200600_302600_NS10device_ptrIsEENS0_8identityIsEEEE10hipError_tT2_T3_mT4_P12ihipStream_tbEUlT_E_NS1_11comp_targetILNS1_3genE3ELNS1_11target_archE908ELNS1_3gpuE7ELNS1_3repE0EEENS1_30default_config_static_selectorELNS0_4arch9wavefront6targetE1EEEvT1_,"axG",@progbits,_ZN7rocprim17ROCPRIM_400000_NS6detail17trampoline_kernelINS0_14default_configENS1_25transform_config_selectorIsLb0EEEZNS1_14transform_implILb0ES3_S5_PsN6thrust23THRUST_200600_302600_NS10device_ptrIsEENS0_8identityIsEEEE10hipError_tT2_T3_mT4_P12ihipStream_tbEUlT_E_NS1_11comp_targetILNS1_3genE3ELNS1_11target_archE908ELNS1_3gpuE7ELNS1_3repE0EEENS1_30default_config_static_selectorELNS0_4arch9wavefront6targetE1EEEvT1_,comdat
	.protected	_ZN7rocprim17ROCPRIM_400000_NS6detail17trampoline_kernelINS0_14default_configENS1_25transform_config_selectorIsLb0EEEZNS1_14transform_implILb0ES3_S5_PsN6thrust23THRUST_200600_302600_NS10device_ptrIsEENS0_8identityIsEEEE10hipError_tT2_T3_mT4_P12ihipStream_tbEUlT_E_NS1_11comp_targetILNS1_3genE3ELNS1_11target_archE908ELNS1_3gpuE7ELNS1_3repE0EEENS1_30default_config_static_selectorELNS0_4arch9wavefront6targetE1EEEvT1_ ; -- Begin function _ZN7rocprim17ROCPRIM_400000_NS6detail17trampoline_kernelINS0_14default_configENS1_25transform_config_selectorIsLb0EEEZNS1_14transform_implILb0ES3_S5_PsN6thrust23THRUST_200600_302600_NS10device_ptrIsEENS0_8identityIsEEEE10hipError_tT2_T3_mT4_P12ihipStream_tbEUlT_E_NS1_11comp_targetILNS1_3genE3ELNS1_11target_archE908ELNS1_3gpuE7ELNS1_3repE0EEENS1_30default_config_static_selectorELNS0_4arch9wavefront6targetE1EEEvT1_
	.globl	_ZN7rocprim17ROCPRIM_400000_NS6detail17trampoline_kernelINS0_14default_configENS1_25transform_config_selectorIsLb0EEEZNS1_14transform_implILb0ES3_S5_PsN6thrust23THRUST_200600_302600_NS10device_ptrIsEENS0_8identityIsEEEE10hipError_tT2_T3_mT4_P12ihipStream_tbEUlT_E_NS1_11comp_targetILNS1_3genE3ELNS1_11target_archE908ELNS1_3gpuE7ELNS1_3repE0EEENS1_30default_config_static_selectorELNS0_4arch9wavefront6targetE1EEEvT1_
	.p2align	8
	.type	_ZN7rocprim17ROCPRIM_400000_NS6detail17trampoline_kernelINS0_14default_configENS1_25transform_config_selectorIsLb0EEEZNS1_14transform_implILb0ES3_S5_PsN6thrust23THRUST_200600_302600_NS10device_ptrIsEENS0_8identityIsEEEE10hipError_tT2_T3_mT4_P12ihipStream_tbEUlT_E_NS1_11comp_targetILNS1_3genE3ELNS1_11target_archE908ELNS1_3gpuE7ELNS1_3repE0EEENS1_30default_config_static_selectorELNS0_4arch9wavefront6targetE1EEEvT1_,@function
_ZN7rocprim17ROCPRIM_400000_NS6detail17trampoline_kernelINS0_14default_configENS1_25transform_config_selectorIsLb0EEEZNS1_14transform_implILb0ES3_S5_PsN6thrust23THRUST_200600_302600_NS10device_ptrIsEENS0_8identityIsEEEE10hipError_tT2_T3_mT4_P12ihipStream_tbEUlT_E_NS1_11comp_targetILNS1_3genE3ELNS1_11target_archE908ELNS1_3gpuE7ELNS1_3repE0EEENS1_30default_config_static_selectorELNS0_4arch9wavefront6targetE1EEEvT1_: ; @_ZN7rocprim17ROCPRIM_400000_NS6detail17trampoline_kernelINS0_14default_configENS1_25transform_config_selectorIsLb0EEEZNS1_14transform_implILb0ES3_S5_PsN6thrust23THRUST_200600_302600_NS10device_ptrIsEENS0_8identityIsEEEE10hipError_tT2_T3_mT4_P12ihipStream_tbEUlT_E_NS1_11comp_targetILNS1_3genE3ELNS1_11target_archE908ELNS1_3gpuE7ELNS1_3repE0EEENS1_30default_config_static_selectorELNS0_4arch9wavefront6targetE1EEEvT1_
; %bb.0:
	.section	.rodata,"a",@progbits
	.p2align	6, 0x0
	.amdhsa_kernel _ZN7rocprim17ROCPRIM_400000_NS6detail17trampoline_kernelINS0_14default_configENS1_25transform_config_selectorIsLb0EEEZNS1_14transform_implILb0ES3_S5_PsN6thrust23THRUST_200600_302600_NS10device_ptrIsEENS0_8identityIsEEEE10hipError_tT2_T3_mT4_P12ihipStream_tbEUlT_E_NS1_11comp_targetILNS1_3genE3ELNS1_11target_archE908ELNS1_3gpuE7ELNS1_3repE0EEENS1_30default_config_static_selectorELNS0_4arch9wavefront6targetE1EEEvT1_
		.amdhsa_group_segment_fixed_size 0
		.amdhsa_private_segment_fixed_size 0
		.amdhsa_kernarg_size 40
		.amdhsa_user_sgpr_count 2
		.amdhsa_user_sgpr_dispatch_ptr 0
		.amdhsa_user_sgpr_queue_ptr 0
		.amdhsa_user_sgpr_kernarg_segment_ptr 1
		.amdhsa_user_sgpr_dispatch_id 0
		.amdhsa_user_sgpr_kernarg_preload_length 0
		.amdhsa_user_sgpr_kernarg_preload_offset 0
		.amdhsa_user_sgpr_private_segment_size 0
		.amdhsa_uses_dynamic_stack 0
		.amdhsa_enable_private_segment 0
		.amdhsa_system_sgpr_workgroup_id_x 1
		.amdhsa_system_sgpr_workgroup_id_y 0
		.amdhsa_system_sgpr_workgroup_id_z 0
		.amdhsa_system_sgpr_workgroup_info 0
		.amdhsa_system_vgpr_workitem_id 0
		.amdhsa_next_free_vgpr 1
		.amdhsa_next_free_sgpr 0
		.amdhsa_accum_offset 4
		.amdhsa_reserve_vcc 0
		.amdhsa_float_round_mode_32 0
		.amdhsa_float_round_mode_16_64 0
		.amdhsa_float_denorm_mode_32 3
		.amdhsa_float_denorm_mode_16_64 3
		.amdhsa_dx10_clamp 1
		.amdhsa_ieee_mode 1
		.amdhsa_fp16_overflow 0
		.amdhsa_tg_split 0
		.amdhsa_exception_fp_ieee_invalid_op 0
		.amdhsa_exception_fp_denorm_src 0
		.amdhsa_exception_fp_ieee_div_zero 0
		.amdhsa_exception_fp_ieee_overflow 0
		.amdhsa_exception_fp_ieee_underflow 0
		.amdhsa_exception_fp_ieee_inexact 0
		.amdhsa_exception_int_div_zero 0
	.end_amdhsa_kernel
	.section	.text._ZN7rocprim17ROCPRIM_400000_NS6detail17trampoline_kernelINS0_14default_configENS1_25transform_config_selectorIsLb0EEEZNS1_14transform_implILb0ES3_S5_PsN6thrust23THRUST_200600_302600_NS10device_ptrIsEENS0_8identityIsEEEE10hipError_tT2_T3_mT4_P12ihipStream_tbEUlT_E_NS1_11comp_targetILNS1_3genE3ELNS1_11target_archE908ELNS1_3gpuE7ELNS1_3repE0EEENS1_30default_config_static_selectorELNS0_4arch9wavefront6targetE1EEEvT1_,"axG",@progbits,_ZN7rocprim17ROCPRIM_400000_NS6detail17trampoline_kernelINS0_14default_configENS1_25transform_config_selectorIsLb0EEEZNS1_14transform_implILb0ES3_S5_PsN6thrust23THRUST_200600_302600_NS10device_ptrIsEENS0_8identityIsEEEE10hipError_tT2_T3_mT4_P12ihipStream_tbEUlT_E_NS1_11comp_targetILNS1_3genE3ELNS1_11target_archE908ELNS1_3gpuE7ELNS1_3repE0EEENS1_30default_config_static_selectorELNS0_4arch9wavefront6targetE1EEEvT1_,comdat
.Lfunc_end2350:
	.size	_ZN7rocprim17ROCPRIM_400000_NS6detail17trampoline_kernelINS0_14default_configENS1_25transform_config_selectorIsLb0EEEZNS1_14transform_implILb0ES3_S5_PsN6thrust23THRUST_200600_302600_NS10device_ptrIsEENS0_8identityIsEEEE10hipError_tT2_T3_mT4_P12ihipStream_tbEUlT_E_NS1_11comp_targetILNS1_3genE3ELNS1_11target_archE908ELNS1_3gpuE7ELNS1_3repE0EEENS1_30default_config_static_selectorELNS0_4arch9wavefront6targetE1EEEvT1_, .Lfunc_end2350-_ZN7rocprim17ROCPRIM_400000_NS6detail17trampoline_kernelINS0_14default_configENS1_25transform_config_selectorIsLb0EEEZNS1_14transform_implILb0ES3_S5_PsN6thrust23THRUST_200600_302600_NS10device_ptrIsEENS0_8identityIsEEEE10hipError_tT2_T3_mT4_P12ihipStream_tbEUlT_E_NS1_11comp_targetILNS1_3genE3ELNS1_11target_archE908ELNS1_3gpuE7ELNS1_3repE0EEENS1_30default_config_static_selectorELNS0_4arch9wavefront6targetE1EEEvT1_
                                        ; -- End function
	.set _ZN7rocprim17ROCPRIM_400000_NS6detail17trampoline_kernelINS0_14default_configENS1_25transform_config_selectorIsLb0EEEZNS1_14transform_implILb0ES3_S5_PsN6thrust23THRUST_200600_302600_NS10device_ptrIsEENS0_8identityIsEEEE10hipError_tT2_T3_mT4_P12ihipStream_tbEUlT_E_NS1_11comp_targetILNS1_3genE3ELNS1_11target_archE908ELNS1_3gpuE7ELNS1_3repE0EEENS1_30default_config_static_selectorELNS0_4arch9wavefront6targetE1EEEvT1_.num_vgpr, 0
	.set _ZN7rocprim17ROCPRIM_400000_NS6detail17trampoline_kernelINS0_14default_configENS1_25transform_config_selectorIsLb0EEEZNS1_14transform_implILb0ES3_S5_PsN6thrust23THRUST_200600_302600_NS10device_ptrIsEENS0_8identityIsEEEE10hipError_tT2_T3_mT4_P12ihipStream_tbEUlT_E_NS1_11comp_targetILNS1_3genE3ELNS1_11target_archE908ELNS1_3gpuE7ELNS1_3repE0EEENS1_30default_config_static_selectorELNS0_4arch9wavefront6targetE1EEEvT1_.num_agpr, 0
	.set _ZN7rocprim17ROCPRIM_400000_NS6detail17trampoline_kernelINS0_14default_configENS1_25transform_config_selectorIsLb0EEEZNS1_14transform_implILb0ES3_S5_PsN6thrust23THRUST_200600_302600_NS10device_ptrIsEENS0_8identityIsEEEE10hipError_tT2_T3_mT4_P12ihipStream_tbEUlT_E_NS1_11comp_targetILNS1_3genE3ELNS1_11target_archE908ELNS1_3gpuE7ELNS1_3repE0EEENS1_30default_config_static_selectorELNS0_4arch9wavefront6targetE1EEEvT1_.numbered_sgpr, 0
	.set _ZN7rocprim17ROCPRIM_400000_NS6detail17trampoline_kernelINS0_14default_configENS1_25transform_config_selectorIsLb0EEEZNS1_14transform_implILb0ES3_S5_PsN6thrust23THRUST_200600_302600_NS10device_ptrIsEENS0_8identityIsEEEE10hipError_tT2_T3_mT4_P12ihipStream_tbEUlT_E_NS1_11comp_targetILNS1_3genE3ELNS1_11target_archE908ELNS1_3gpuE7ELNS1_3repE0EEENS1_30default_config_static_selectorELNS0_4arch9wavefront6targetE1EEEvT1_.num_named_barrier, 0
	.set _ZN7rocprim17ROCPRIM_400000_NS6detail17trampoline_kernelINS0_14default_configENS1_25transform_config_selectorIsLb0EEEZNS1_14transform_implILb0ES3_S5_PsN6thrust23THRUST_200600_302600_NS10device_ptrIsEENS0_8identityIsEEEE10hipError_tT2_T3_mT4_P12ihipStream_tbEUlT_E_NS1_11comp_targetILNS1_3genE3ELNS1_11target_archE908ELNS1_3gpuE7ELNS1_3repE0EEENS1_30default_config_static_selectorELNS0_4arch9wavefront6targetE1EEEvT1_.private_seg_size, 0
	.set _ZN7rocprim17ROCPRIM_400000_NS6detail17trampoline_kernelINS0_14default_configENS1_25transform_config_selectorIsLb0EEEZNS1_14transform_implILb0ES3_S5_PsN6thrust23THRUST_200600_302600_NS10device_ptrIsEENS0_8identityIsEEEE10hipError_tT2_T3_mT4_P12ihipStream_tbEUlT_E_NS1_11comp_targetILNS1_3genE3ELNS1_11target_archE908ELNS1_3gpuE7ELNS1_3repE0EEENS1_30default_config_static_selectorELNS0_4arch9wavefront6targetE1EEEvT1_.uses_vcc, 0
	.set _ZN7rocprim17ROCPRIM_400000_NS6detail17trampoline_kernelINS0_14default_configENS1_25transform_config_selectorIsLb0EEEZNS1_14transform_implILb0ES3_S5_PsN6thrust23THRUST_200600_302600_NS10device_ptrIsEENS0_8identityIsEEEE10hipError_tT2_T3_mT4_P12ihipStream_tbEUlT_E_NS1_11comp_targetILNS1_3genE3ELNS1_11target_archE908ELNS1_3gpuE7ELNS1_3repE0EEENS1_30default_config_static_selectorELNS0_4arch9wavefront6targetE1EEEvT1_.uses_flat_scratch, 0
	.set _ZN7rocprim17ROCPRIM_400000_NS6detail17trampoline_kernelINS0_14default_configENS1_25transform_config_selectorIsLb0EEEZNS1_14transform_implILb0ES3_S5_PsN6thrust23THRUST_200600_302600_NS10device_ptrIsEENS0_8identityIsEEEE10hipError_tT2_T3_mT4_P12ihipStream_tbEUlT_E_NS1_11comp_targetILNS1_3genE3ELNS1_11target_archE908ELNS1_3gpuE7ELNS1_3repE0EEENS1_30default_config_static_selectorELNS0_4arch9wavefront6targetE1EEEvT1_.has_dyn_sized_stack, 0
	.set _ZN7rocprim17ROCPRIM_400000_NS6detail17trampoline_kernelINS0_14default_configENS1_25transform_config_selectorIsLb0EEEZNS1_14transform_implILb0ES3_S5_PsN6thrust23THRUST_200600_302600_NS10device_ptrIsEENS0_8identityIsEEEE10hipError_tT2_T3_mT4_P12ihipStream_tbEUlT_E_NS1_11comp_targetILNS1_3genE3ELNS1_11target_archE908ELNS1_3gpuE7ELNS1_3repE0EEENS1_30default_config_static_selectorELNS0_4arch9wavefront6targetE1EEEvT1_.has_recursion, 0
	.set _ZN7rocprim17ROCPRIM_400000_NS6detail17trampoline_kernelINS0_14default_configENS1_25transform_config_selectorIsLb0EEEZNS1_14transform_implILb0ES3_S5_PsN6thrust23THRUST_200600_302600_NS10device_ptrIsEENS0_8identityIsEEEE10hipError_tT2_T3_mT4_P12ihipStream_tbEUlT_E_NS1_11comp_targetILNS1_3genE3ELNS1_11target_archE908ELNS1_3gpuE7ELNS1_3repE0EEENS1_30default_config_static_selectorELNS0_4arch9wavefront6targetE1EEEvT1_.has_indirect_call, 0
	.section	.AMDGPU.csdata,"",@progbits
; Kernel info:
; codeLenInByte = 0
; TotalNumSgprs: 6
; NumVgprs: 0
; NumAgprs: 0
; TotalNumVgprs: 0
; ScratchSize: 0
; MemoryBound: 0
; FloatMode: 240
; IeeeMode: 1
; LDSByteSize: 0 bytes/workgroup (compile time only)
; SGPRBlocks: 0
; VGPRBlocks: 0
; NumSGPRsForWavesPerEU: 6
; NumVGPRsForWavesPerEU: 1
; AccumOffset: 4
; Occupancy: 8
; WaveLimiterHint : 0
; COMPUTE_PGM_RSRC2:SCRATCH_EN: 0
; COMPUTE_PGM_RSRC2:USER_SGPR: 2
; COMPUTE_PGM_RSRC2:TRAP_HANDLER: 0
; COMPUTE_PGM_RSRC2:TGID_X_EN: 1
; COMPUTE_PGM_RSRC2:TGID_Y_EN: 0
; COMPUTE_PGM_RSRC2:TGID_Z_EN: 0
; COMPUTE_PGM_RSRC2:TIDIG_COMP_CNT: 0
; COMPUTE_PGM_RSRC3_GFX90A:ACCUM_OFFSET: 0
; COMPUTE_PGM_RSRC3_GFX90A:TG_SPLIT: 0
	.section	.text._ZN7rocprim17ROCPRIM_400000_NS6detail17trampoline_kernelINS0_14default_configENS1_25transform_config_selectorIsLb0EEEZNS1_14transform_implILb0ES3_S5_PsN6thrust23THRUST_200600_302600_NS10device_ptrIsEENS0_8identityIsEEEE10hipError_tT2_T3_mT4_P12ihipStream_tbEUlT_E_NS1_11comp_targetILNS1_3genE2ELNS1_11target_archE906ELNS1_3gpuE6ELNS1_3repE0EEENS1_30default_config_static_selectorELNS0_4arch9wavefront6targetE1EEEvT1_,"axG",@progbits,_ZN7rocprim17ROCPRIM_400000_NS6detail17trampoline_kernelINS0_14default_configENS1_25transform_config_selectorIsLb0EEEZNS1_14transform_implILb0ES3_S5_PsN6thrust23THRUST_200600_302600_NS10device_ptrIsEENS0_8identityIsEEEE10hipError_tT2_T3_mT4_P12ihipStream_tbEUlT_E_NS1_11comp_targetILNS1_3genE2ELNS1_11target_archE906ELNS1_3gpuE6ELNS1_3repE0EEENS1_30default_config_static_selectorELNS0_4arch9wavefront6targetE1EEEvT1_,comdat
	.protected	_ZN7rocprim17ROCPRIM_400000_NS6detail17trampoline_kernelINS0_14default_configENS1_25transform_config_selectorIsLb0EEEZNS1_14transform_implILb0ES3_S5_PsN6thrust23THRUST_200600_302600_NS10device_ptrIsEENS0_8identityIsEEEE10hipError_tT2_T3_mT4_P12ihipStream_tbEUlT_E_NS1_11comp_targetILNS1_3genE2ELNS1_11target_archE906ELNS1_3gpuE6ELNS1_3repE0EEENS1_30default_config_static_selectorELNS0_4arch9wavefront6targetE1EEEvT1_ ; -- Begin function _ZN7rocprim17ROCPRIM_400000_NS6detail17trampoline_kernelINS0_14default_configENS1_25transform_config_selectorIsLb0EEEZNS1_14transform_implILb0ES3_S5_PsN6thrust23THRUST_200600_302600_NS10device_ptrIsEENS0_8identityIsEEEE10hipError_tT2_T3_mT4_P12ihipStream_tbEUlT_E_NS1_11comp_targetILNS1_3genE2ELNS1_11target_archE906ELNS1_3gpuE6ELNS1_3repE0EEENS1_30default_config_static_selectorELNS0_4arch9wavefront6targetE1EEEvT1_
	.globl	_ZN7rocprim17ROCPRIM_400000_NS6detail17trampoline_kernelINS0_14default_configENS1_25transform_config_selectorIsLb0EEEZNS1_14transform_implILb0ES3_S5_PsN6thrust23THRUST_200600_302600_NS10device_ptrIsEENS0_8identityIsEEEE10hipError_tT2_T3_mT4_P12ihipStream_tbEUlT_E_NS1_11comp_targetILNS1_3genE2ELNS1_11target_archE906ELNS1_3gpuE6ELNS1_3repE0EEENS1_30default_config_static_selectorELNS0_4arch9wavefront6targetE1EEEvT1_
	.p2align	8
	.type	_ZN7rocprim17ROCPRIM_400000_NS6detail17trampoline_kernelINS0_14default_configENS1_25transform_config_selectorIsLb0EEEZNS1_14transform_implILb0ES3_S5_PsN6thrust23THRUST_200600_302600_NS10device_ptrIsEENS0_8identityIsEEEE10hipError_tT2_T3_mT4_P12ihipStream_tbEUlT_E_NS1_11comp_targetILNS1_3genE2ELNS1_11target_archE906ELNS1_3gpuE6ELNS1_3repE0EEENS1_30default_config_static_selectorELNS0_4arch9wavefront6targetE1EEEvT1_,@function
_ZN7rocprim17ROCPRIM_400000_NS6detail17trampoline_kernelINS0_14default_configENS1_25transform_config_selectorIsLb0EEEZNS1_14transform_implILb0ES3_S5_PsN6thrust23THRUST_200600_302600_NS10device_ptrIsEENS0_8identityIsEEEE10hipError_tT2_T3_mT4_P12ihipStream_tbEUlT_E_NS1_11comp_targetILNS1_3genE2ELNS1_11target_archE906ELNS1_3gpuE6ELNS1_3repE0EEENS1_30default_config_static_selectorELNS0_4arch9wavefront6targetE1EEEvT1_: ; @_ZN7rocprim17ROCPRIM_400000_NS6detail17trampoline_kernelINS0_14default_configENS1_25transform_config_selectorIsLb0EEEZNS1_14transform_implILb0ES3_S5_PsN6thrust23THRUST_200600_302600_NS10device_ptrIsEENS0_8identityIsEEEE10hipError_tT2_T3_mT4_P12ihipStream_tbEUlT_E_NS1_11comp_targetILNS1_3genE2ELNS1_11target_archE906ELNS1_3gpuE6ELNS1_3repE0EEENS1_30default_config_static_selectorELNS0_4arch9wavefront6targetE1EEEvT1_
; %bb.0:
	.section	.rodata,"a",@progbits
	.p2align	6, 0x0
	.amdhsa_kernel _ZN7rocprim17ROCPRIM_400000_NS6detail17trampoline_kernelINS0_14default_configENS1_25transform_config_selectorIsLb0EEEZNS1_14transform_implILb0ES3_S5_PsN6thrust23THRUST_200600_302600_NS10device_ptrIsEENS0_8identityIsEEEE10hipError_tT2_T3_mT4_P12ihipStream_tbEUlT_E_NS1_11comp_targetILNS1_3genE2ELNS1_11target_archE906ELNS1_3gpuE6ELNS1_3repE0EEENS1_30default_config_static_selectorELNS0_4arch9wavefront6targetE1EEEvT1_
		.amdhsa_group_segment_fixed_size 0
		.amdhsa_private_segment_fixed_size 0
		.amdhsa_kernarg_size 40
		.amdhsa_user_sgpr_count 2
		.amdhsa_user_sgpr_dispatch_ptr 0
		.amdhsa_user_sgpr_queue_ptr 0
		.amdhsa_user_sgpr_kernarg_segment_ptr 1
		.amdhsa_user_sgpr_dispatch_id 0
		.amdhsa_user_sgpr_kernarg_preload_length 0
		.amdhsa_user_sgpr_kernarg_preload_offset 0
		.amdhsa_user_sgpr_private_segment_size 0
		.amdhsa_uses_dynamic_stack 0
		.amdhsa_enable_private_segment 0
		.amdhsa_system_sgpr_workgroup_id_x 1
		.amdhsa_system_sgpr_workgroup_id_y 0
		.amdhsa_system_sgpr_workgroup_id_z 0
		.amdhsa_system_sgpr_workgroup_info 0
		.amdhsa_system_vgpr_workitem_id 0
		.amdhsa_next_free_vgpr 1
		.amdhsa_next_free_sgpr 0
		.amdhsa_accum_offset 4
		.amdhsa_reserve_vcc 0
		.amdhsa_float_round_mode_32 0
		.amdhsa_float_round_mode_16_64 0
		.amdhsa_float_denorm_mode_32 3
		.amdhsa_float_denorm_mode_16_64 3
		.amdhsa_dx10_clamp 1
		.amdhsa_ieee_mode 1
		.amdhsa_fp16_overflow 0
		.amdhsa_tg_split 0
		.amdhsa_exception_fp_ieee_invalid_op 0
		.amdhsa_exception_fp_denorm_src 0
		.amdhsa_exception_fp_ieee_div_zero 0
		.amdhsa_exception_fp_ieee_overflow 0
		.amdhsa_exception_fp_ieee_underflow 0
		.amdhsa_exception_fp_ieee_inexact 0
		.amdhsa_exception_int_div_zero 0
	.end_amdhsa_kernel
	.section	.text._ZN7rocprim17ROCPRIM_400000_NS6detail17trampoline_kernelINS0_14default_configENS1_25transform_config_selectorIsLb0EEEZNS1_14transform_implILb0ES3_S5_PsN6thrust23THRUST_200600_302600_NS10device_ptrIsEENS0_8identityIsEEEE10hipError_tT2_T3_mT4_P12ihipStream_tbEUlT_E_NS1_11comp_targetILNS1_3genE2ELNS1_11target_archE906ELNS1_3gpuE6ELNS1_3repE0EEENS1_30default_config_static_selectorELNS0_4arch9wavefront6targetE1EEEvT1_,"axG",@progbits,_ZN7rocprim17ROCPRIM_400000_NS6detail17trampoline_kernelINS0_14default_configENS1_25transform_config_selectorIsLb0EEEZNS1_14transform_implILb0ES3_S5_PsN6thrust23THRUST_200600_302600_NS10device_ptrIsEENS0_8identityIsEEEE10hipError_tT2_T3_mT4_P12ihipStream_tbEUlT_E_NS1_11comp_targetILNS1_3genE2ELNS1_11target_archE906ELNS1_3gpuE6ELNS1_3repE0EEENS1_30default_config_static_selectorELNS0_4arch9wavefront6targetE1EEEvT1_,comdat
.Lfunc_end2351:
	.size	_ZN7rocprim17ROCPRIM_400000_NS6detail17trampoline_kernelINS0_14default_configENS1_25transform_config_selectorIsLb0EEEZNS1_14transform_implILb0ES3_S5_PsN6thrust23THRUST_200600_302600_NS10device_ptrIsEENS0_8identityIsEEEE10hipError_tT2_T3_mT4_P12ihipStream_tbEUlT_E_NS1_11comp_targetILNS1_3genE2ELNS1_11target_archE906ELNS1_3gpuE6ELNS1_3repE0EEENS1_30default_config_static_selectorELNS0_4arch9wavefront6targetE1EEEvT1_, .Lfunc_end2351-_ZN7rocprim17ROCPRIM_400000_NS6detail17trampoline_kernelINS0_14default_configENS1_25transform_config_selectorIsLb0EEEZNS1_14transform_implILb0ES3_S5_PsN6thrust23THRUST_200600_302600_NS10device_ptrIsEENS0_8identityIsEEEE10hipError_tT2_T3_mT4_P12ihipStream_tbEUlT_E_NS1_11comp_targetILNS1_3genE2ELNS1_11target_archE906ELNS1_3gpuE6ELNS1_3repE0EEENS1_30default_config_static_selectorELNS0_4arch9wavefront6targetE1EEEvT1_
                                        ; -- End function
	.set _ZN7rocprim17ROCPRIM_400000_NS6detail17trampoline_kernelINS0_14default_configENS1_25transform_config_selectorIsLb0EEEZNS1_14transform_implILb0ES3_S5_PsN6thrust23THRUST_200600_302600_NS10device_ptrIsEENS0_8identityIsEEEE10hipError_tT2_T3_mT4_P12ihipStream_tbEUlT_E_NS1_11comp_targetILNS1_3genE2ELNS1_11target_archE906ELNS1_3gpuE6ELNS1_3repE0EEENS1_30default_config_static_selectorELNS0_4arch9wavefront6targetE1EEEvT1_.num_vgpr, 0
	.set _ZN7rocprim17ROCPRIM_400000_NS6detail17trampoline_kernelINS0_14default_configENS1_25transform_config_selectorIsLb0EEEZNS1_14transform_implILb0ES3_S5_PsN6thrust23THRUST_200600_302600_NS10device_ptrIsEENS0_8identityIsEEEE10hipError_tT2_T3_mT4_P12ihipStream_tbEUlT_E_NS1_11comp_targetILNS1_3genE2ELNS1_11target_archE906ELNS1_3gpuE6ELNS1_3repE0EEENS1_30default_config_static_selectorELNS0_4arch9wavefront6targetE1EEEvT1_.num_agpr, 0
	.set _ZN7rocprim17ROCPRIM_400000_NS6detail17trampoline_kernelINS0_14default_configENS1_25transform_config_selectorIsLb0EEEZNS1_14transform_implILb0ES3_S5_PsN6thrust23THRUST_200600_302600_NS10device_ptrIsEENS0_8identityIsEEEE10hipError_tT2_T3_mT4_P12ihipStream_tbEUlT_E_NS1_11comp_targetILNS1_3genE2ELNS1_11target_archE906ELNS1_3gpuE6ELNS1_3repE0EEENS1_30default_config_static_selectorELNS0_4arch9wavefront6targetE1EEEvT1_.numbered_sgpr, 0
	.set _ZN7rocprim17ROCPRIM_400000_NS6detail17trampoline_kernelINS0_14default_configENS1_25transform_config_selectorIsLb0EEEZNS1_14transform_implILb0ES3_S5_PsN6thrust23THRUST_200600_302600_NS10device_ptrIsEENS0_8identityIsEEEE10hipError_tT2_T3_mT4_P12ihipStream_tbEUlT_E_NS1_11comp_targetILNS1_3genE2ELNS1_11target_archE906ELNS1_3gpuE6ELNS1_3repE0EEENS1_30default_config_static_selectorELNS0_4arch9wavefront6targetE1EEEvT1_.num_named_barrier, 0
	.set _ZN7rocprim17ROCPRIM_400000_NS6detail17trampoline_kernelINS0_14default_configENS1_25transform_config_selectorIsLb0EEEZNS1_14transform_implILb0ES3_S5_PsN6thrust23THRUST_200600_302600_NS10device_ptrIsEENS0_8identityIsEEEE10hipError_tT2_T3_mT4_P12ihipStream_tbEUlT_E_NS1_11comp_targetILNS1_3genE2ELNS1_11target_archE906ELNS1_3gpuE6ELNS1_3repE0EEENS1_30default_config_static_selectorELNS0_4arch9wavefront6targetE1EEEvT1_.private_seg_size, 0
	.set _ZN7rocprim17ROCPRIM_400000_NS6detail17trampoline_kernelINS0_14default_configENS1_25transform_config_selectorIsLb0EEEZNS1_14transform_implILb0ES3_S5_PsN6thrust23THRUST_200600_302600_NS10device_ptrIsEENS0_8identityIsEEEE10hipError_tT2_T3_mT4_P12ihipStream_tbEUlT_E_NS1_11comp_targetILNS1_3genE2ELNS1_11target_archE906ELNS1_3gpuE6ELNS1_3repE0EEENS1_30default_config_static_selectorELNS0_4arch9wavefront6targetE1EEEvT1_.uses_vcc, 0
	.set _ZN7rocprim17ROCPRIM_400000_NS6detail17trampoline_kernelINS0_14default_configENS1_25transform_config_selectorIsLb0EEEZNS1_14transform_implILb0ES3_S5_PsN6thrust23THRUST_200600_302600_NS10device_ptrIsEENS0_8identityIsEEEE10hipError_tT2_T3_mT4_P12ihipStream_tbEUlT_E_NS1_11comp_targetILNS1_3genE2ELNS1_11target_archE906ELNS1_3gpuE6ELNS1_3repE0EEENS1_30default_config_static_selectorELNS0_4arch9wavefront6targetE1EEEvT1_.uses_flat_scratch, 0
	.set _ZN7rocprim17ROCPRIM_400000_NS6detail17trampoline_kernelINS0_14default_configENS1_25transform_config_selectorIsLb0EEEZNS1_14transform_implILb0ES3_S5_PsN6thrust23THRUST_200600_302600_NS10device_ptrIsEENS0_8identityIsEEEE10hipError_tT2_T3_mT4_P12ihipStream_tbEUlT_E_NS1_11comp_targetILNS1_3genE2ELNS1_11target_archE906ELNS1_3gpuE6ELNS1_3repE0EEENS1_30default_config_static_selectorELNS0_4arch9wavefront6targetE1EEEvT1_.has_dyn_sized_stack, 0
	.set _ZN7rocprim17ROCPRIM_400000_NS6detail17trampoline_kernelINS0_14default_configENS1_25transform_config_selectorIsLb0EEEZNS1_14transform_implILb0ES3_S5_PsN6thrust23THRUST_200600_302600_NS10device_ptrIsEENS0_8identityIsEEEE10hipError_tT2_T3_mT4_P12ihipStream_tbEUlT_E_NS1_11comp_targetILNS1_3genE2ELNS1_11target_archE906ELNS1_3gpuE6ELNS1_3repE0EEENS1_30default_config_static_selectorELNS0_4arch9wavefront6targetE1EEEvT1_.has_recursion, 0
	.set _ZN7rocprim17ROCPRIM_400000_NS6detail17trampoline_kernelINS0_14default_configENS1_25transform_config_selectorIsLb0EEEZNS1_14transform_implILb0ES3_S5_PsN6thrust23THRUST_200600_302600_NS10device_ptrIsEENS0_8identityIsEEEE10hipError_tT2_T3_mT4_P12ihipStream_tbEUlT_E_NS1_11comp_targetILNS1_3genE2ELNS1_11target_archE906ELNS1_3gpuE6ELNS1_3repE0EEENS1_30default_config_static_selectorELNS0_4arch9wavefront6targetE1EEEvT1_.has_indirect_call, 0
	.section	.AMDGPU.csdata,"",@progbits
; Kernel info:
; codeLenInByte = 0
; TotalNumSgprs: 6
; NumVgprs: 0
; NumAgprs: 0
; TotalNumVgprs: 0
; ScratchSize: 0
; MemoryBound: 0
; FloatMode: 240
; IeeeMode: 1
; LDSByteSize: 0 bytes/workgroup (compile time only)
; SGPRBlocks: 0
; VGPRBlocks: 0
; NumSGPRsForWavesPerEU: 6
; NumVGPRsForWavesPerEU: 1
; AccumOffset: 4
; Occupancy: 8
; WaveLimiterHint : 0
; COMPUTE_PGM_RSRC2:SCRATCH_EN: 0
; COMPUTE_PGM_RSRC2:USER_SGPR: 2
; COMPUTE_PGM_RSRC2:TRAP_HANDLER: 0
; COMPUTE_PGM_RSRC2:TGID_X_EN: 1
; COMPUTE_PGM_RSRC2:TGID_Y_EN: 0
; COMPUTE_PGM_RSRC2:TGID_Z_EN: 0
; COMPUTE_PGM_RSRC2:TIDIG_COMP_CNT: 0
; COMPUTE_PGM_RSRC3_GFX90A:ACCUM_OFFSET: 0
; COMPUTE_PGM_RSRC3_GFX90A:TG_SPLIT: 0
	.section	.text._ZN7rocprim17ROCPRIM_400000_NS6detail17trampoline_kernelINS0_14default_configENS1_25transform_config_selectorIsLb0EEEZNS1_14transform_implILb0ES3_S5_PsN6thrust23THRUST_200600_302600_NS10device_ptrIsEENS0_8identityIsEEEE10hipError_tT2_T3_mT4_P12ihipStream_tbEUlT_E_NS1_11comp_targetILNS1_3genE10ELNS1_11target_archE1201ELNS1_3gpuE5ELNS1_3repE0EEENS1_30default_config_static_selectorELNS0_4arch9wavefront6targetE1EEEvT1_,"axG",@progbits,_ZN7rocprim17ROCPRIM_400000_NS6detail17trampoline_kernelINS0_14default_configENS1_25transform_config_selectorIsLb0EEEZNS1_14transform_implILb0ES3_S5_PsN6thrust23THRUST_200600_302600_NS10device_ptrIsEENS0_8identityIsEEEE10hipError_tT2_T3_mT4_P12ihipStream_tbEUlT_E_NS1_11comp_targetILNS1_3genE10ELNS1_11target_archE1201ELNS1_3gpuE5ELNS1_3repE0EEENS1_30default_config_static_selectorELNS0_4arch9wavefront6targetE1EEEvT1_,comdat
	.protected	_ZN7rocprim17ROCPRIM_400000_NS6detail17trampoline_kernelINS0_14default_configENS1_25transform_config_selectorIsLb0EEEZNS1_14transform_implILb0ES3_S5_PsN6thrust23THRUST_200600_302600_NS10device_ptrIsEENS0_8identityIsEEEE10hipError_tT2_T3_mT4_P12ihipStream_tbEUlT_E_NS1_11comp_targetILNS1_3genE10ELNS1_11target_archE1201ELNS1_3gpuE5ELNS1_3repE0EEENS1_30default_config_static_selectorELNS0_4arch9wavefront6targetE1EEEvT1_ ; -- Begin function _ZN7rocprim17ROCPRIM_400000_NS6detail17trampoline_kernelINS0_14default_configENS1_25transform_config_selectorIsLb0EEEZNS1_14transform_implILb0ES3_S5_PsN6thrust23THRUST_200600_302600_NS10device_ptrIsEENS0_8identityIsEEEE10hipError_tT2_T3_mT4_P12ihipStream_tbEUlT_E_NS1_11comp_targetILNS1_3genE10ELNS1_11target_archE1201ELNS1_3gpuE5ELNS1_3repE0EEENS1_30default_config_static_selectorELNS0_4arch9wavefront6targetE1EEEvT1_
	.globl	_ZN7rocprim17ROCPRIM_400000_NS6detail17trampoline_kernelINS0_14default_configENS1_25transform_config_selectorIsLb0EEEZNS1_14transform_implILb0ES3_S5_PsN6thrust23THRUST_200600_302600_NS10device_ptrIsEENS0_8identityIsEEEE10hipError_tT2_T3_mT4_P12ihipStream_tbEUlT_E_NS1_11comp_targetILNS1_3genE10ELNS1_11target_archE1201ELNS1_3gpuE5ELNS1_3repE0EEENS1_30default_config_static_selectorELNS0_4arch9wavefront6targetE1EEEvT1_
	.p2align	8
	.type	_ZN7rocprim17ROCPRIM_400000_NS6detail17trampoline_kernelINS0_14default_configENS1_25transform_config_selectorIsLb0EEEZNS1_14transform_implILb0ES3_S5_PsN6thrust23THRUST_200600_302600_NS10device_ptrIsEENS0_8identityIsEEEE10hipError_tT2_T3_mT4_P12ihipStream_tbEUlT_E_NS1_11comp_targetILNS1_3genE10ELNS1_11target_archE1201ELNS1_3gpuE5ELNS1_3repE0EEENS1_30default_config_static_selectorELNS0_4arch9wavefront6targetE1EEEvT1_,@function
_ZN7rocprim17ROCPRIM_400000_NS6detail17trampoline_kernelINS0_14default_configENS1_25transform_config_selectorIsLb0EEEZNS1_14transform_implILb0ES3_S5_PsN6thrust23THRUST_200600_302600_NS10device_ptrIsEENS0_8identityIsEEEE10hipError_tT2_T3_mT4_P12ihipStream_tbEUlT_E_NS1_11comp_targetILNS1_3genE10ELNS1_11target_archE1201ELNS1_3gpuE5ELNS1_3repE0EEENS1_30default_config_static_selectorELNS0_4arch9wavefront6targetE1EEEvT1_: ; @_ZN7rocprim17ROCPRIM_400000_NS6detail17trampoline_kernelINS0_14default_configENS1_25transform_config_selectorIsLb0EEEZNS1_14transform_implILb0ES3_S5_PsN6thrust23THRUST_200600_302600_NS10device_ptrIsEENS0_8identityIsEEEE10hipError_tT2_T3_mT4_P12ihipStream_tbEUlT_E_NS1_11comp_targetILNS1_3genE10ELNS1_11target_archE1201ELNS1_3gpuE5ELNS1_3repE0EEENS1_30default_config_static_selectorELNS0_4arch9wavefront6targetE1EEEvT1_
; %bb.0:
	.section	.rodata,"a",@progbits
	.p2align	6, 0x0
	.amdhsa_kernel _ZN7rocprim17ROCPRIM_400000_NS6detail17trampoline_kernelINS0_14default_configENS1_25transform_config_selectorIsLb0EEEZNS1_14transform_implILb0ES3_S5_PsN6thrust23THRUST_200600_302600_NS10device_ptrIsEENS0_8identityIsEEEE10hipError_tT2_T3_mT4_P12ihipStream_tbEUlT_E_NS1_11comp_targetILNS1_3genE10ELNS1_11target_archE1201ELNS1_3gpuE5ELNS1_3repE0EEENS1_30default_config_static_selectorELNS0_4arch9wavefront6targetE1EEEvT1_
		.amdhsa_group_segment_fixed_size 0
		.amdhsa_private_segment_fixed_size 0
		.amdhsa_kernarg_size 40
		.amdhsa_user_sgpr_count 2
		.amdhsa_user_sgpr_dispatch_ptr 0
		.amdhsa_user_sgpr_queue_ptr 0
		.amdhsa_user_sgpr_kernarg_segment_ptr 1
		.amdhsa_user_sgpr_dispatch_id 0
		.amdhsa_user_sgpr_kernarg_preload_length 0
		.amdhsa_user_sgpr_kernarg_preload_offset 0
		.amdhsa_user_sgpr_private_segment_size 0
		.amdhsa_uses_dynamic_stack 0
		.amdhsa_enable_private_segment 0
		.amdhsa_system_sgpr_workgroup_id_x 1
		.amdhsa_system_sgpr_workgroup_id_y 0
		.amdhsa_system_sgpr_workgroup_id_z 0
		.amdhsa_system_sgpr_workgroup_info 0
		.amdhsa_system_vgpr_workitem_id 0
		.amdhsa_next_free_vgpr 1
		.amdhsa_next_free_sgpr 0
		.amdhsa_accum_offset 4
		.amdhsa_reserve_vcc 0
		.amdhsa_float_round_mode_32 0
		.amdhsa_float_round_mode_16_64 0
		.amdhsa_float_denorm_mode_32 3
		.amdhsa_float_denorm_mode_16_64 3
		.amdhsa_dx10_clamp 1
		.amdhsa_ieee_mode 1
		.amdhsa_fp16_overflow 0
		.amdhsa_tg_split 0
		.amdhsa_exception_fp_ieee_invalid_op 0
		.amdhsa_exception_fp_denorm_src 0
		.amdhsa_exception_fp_ieee_div_zero 0
		.amdhsa_exception_fp_ieee_overflow 0
		.amdhsa_exception_fp_ieee_underflow 0
		.amdhsa_exception_fp_ieee_inexact 0
		.amdhsa_exception_int_div_zero 0
	.end_amdhsa_kernel
	.section	.text._ZN7rocprim17ROCPRIM_400000_NS6detail17trampoline_kernelINS0_14default_configENS1_25transform_config_selectorIsLb0EEEZNS1_14transform_implILb0ES3_S5_PsN6thrust23THRUST_200600_302600_NS10device_ptrIsEENS0_8identityIsEEEE10hipError_tT2_T3_mT4_P12ihipStream_tbEUlT_E_NS1_11comp_targetILNS1_3genE10ELNS1_11target_archE1201ELNS1_3gpuE5ELNS1_3repE0EEENS1_30default_config_static_selectorELNS0_4arch9wavefront6targetE1EEEvT1_,"axG",@progbits,_ZN7rocprim17ROCPRIM_400000_NS6detail17trampoline_kernelINS0_14default_configENS1_25transform_config_selectorIsLb0EEEZNS1_14transform_implILb0ES3_S5_PsN6thrust23THRUST_200600_302600_NS10device_ptrIsEENS0_8identityIsEEEE10hipError_tT2_T3_mT4_P12ihipStream_tbEUlT_E_NS1_11comp_targetILNS1_3genE10ELNS1_11target_archE1201ELNS1_3gpuE5ELNS1_3repE0EEENS1_30default_config_static_selectorELNS0_4arch9wavefront6targetE1EEEvT1_,comdat
.Lfunc_end2352:
	.size	_ZN7rocprim17ROCPRIM_400000_NS6detail17trampoline_kernelINS0_14default_configENS1_25transform_config_selectorIsLb0EEEZNS1_14transform_implILb0ES3_S5_PsN6thrust23THRUST_200600_302600_NS10device_ptrIsEENS0_8identityIsEEEE10hipError_tT2_T3_mT4_P12ihipStream_tbEUlT_E_NS1_11comp_targetILNS1_3genE10ELNS1_11target_archE1201ELNS1_3gpuE5ELNS1_3repE0EEENS1_30default_config_static_selectorELNS0_4arch9wavefront6targetE1EEEvT1_, .Lfunc_end2352-_ZN7rocprim17ROCPRIM_400000_NS6detail17trampoline_kernelINS0_14default_configENS1_25transform_config_selectorIsLb0EEEZNS1_14transform_implILb0ES3_S5_PsN6thrust23THRUST_200600_302600_NS10device_ptrIsEENS0_8identityIsEEEE10hipError_tT2_T3_mT4_P12ihipStream_tbEUlT_E_NS1_11comp_targetILNS1_3genE10ELNS1_11target_archE1201ELNS1_3gpuE5ELNS1_3repE0EEENS1_30default_config_static_selectorELNS0_4arch9wavefront6targetE1EEEvT1_
                                        ; -- End function
	.set _ZN7rocprim17ROCPRIM_400000_NS6detail17trampoline_kernelINS0_14default_configENS1_25transform_config_selectorIsLb0EEEZNS1_14transform_implILb0ES3_S5_PsN6thrust23THRUST_200600_302600_NS10device_ptrIsEENS0_8identityIsEEEE10hipError_tT2_T3_mT4_P12ihipStream_tbEUlT_E_NS1_11comp_targetILNS1_3genE10ELNS1_11target_archE1201ELNS1_3gpuE5ELNS1_3repE0EEENS1_30default_config_static_selectorELNS0_4arch9wavefront6targetE1EEEvT1_.num_vgpr, 0
	.set _ZN7rocprim17ROCPRIM_400000_NS6detail17trampoline_kernelINS0_14default_configENS1_25transform_config_selectorIsLb0EEEZNS1_14transform_implILb0ES3_S5_PsN6thrust23THRUST_200600_302600_NS10device_ptrIsEENS0_8identityIsEEEE10hipError_tT2_T3_mT4_P12ihipStream_tbEUlT_E_NS1_11comp_targetILNS1_3genE10ELNS1_11target_archE1201ELNS1_3gpuE5ELNS1_3repE0EEENS1_30default_config_static_selectorELNS0_4arch9wavefront6targetE1EEEvT1_.num_agpr, 0
	.set _ZN7rocprim17ROCPRIM_400000_NS6detail17trampoline_kernelINS0_14default_configENS1_25transform_config_selectorIsLb0EEEZNS1_14transform_implILb0ES3_S5_PsN6thrust23THRUST_200600_302600_NS10device_ptrIsEENS0_8identityIsEEEE10hipError_tT2_T3_mT4_P12ihipStream_tbEUlT_E_NS1_11comp_targetILNS1_3genE10ELNS1_11target_archE1201ELNS1_3gpuE5ELNS1_3repE0EEENS1_30default_config_static_selectorELNS0_4arch9wavefront6targetE1EEEvT1_.numbered_sgpr, 0
	.set _ZN7rocprim17ROCPRIM_400000_NS6detail17trampoline_kernelINS0_14default_configENS1_25transform_config_selectorIsLb0EEEZNS1_14transform_implILb0ES3_S5_PsN6thrust23THRUST_200600_302600_NS10device_ptrIsEENS0_8identityIsEEEE10hipError_tT2_T3_mT4_P12ihipStream_tbEUlT_E_NS1_11comp_targetILNS1_3genE10ELNS1_11target_archE1201ELNS1_3gpuE5ELNS1_3repE0EEENS1_30default_config_static_selectorELNS0_4arch9wavefront6targetE1EEEvT1_.num_named_barrier, 0
	.set _ZN7rocprim17ROCPRIM_400000_NS6detail17trampoline_kernelINS0_14default_configENS1_25transform_config_selectorIsLb0EEEZNS1_14transform_implILb0ES3_S5_PsN6thrust23THRUST_200600_302600_NS10device_ptrIsEENS0_8identityIsEEEE10hipError_tT2_T3_mT4_P12ihipStream_tbEUlT_E_NS1_11comp_targetILNS1_3genE10ELNS1_11target_archE1201ELNS1_3gpuE5ELNS1_3repE0EEENS1_30default_config_static_selectorELNS0_4arch9wavefront6targetE1EEEvT1_.private_seg_size, 0
	.set _ZN7rocprim17ROCPRIM_400000_NS6detail17trampoline_kernelINS0_14default_configENS1_25transform_config_selectorIsLb0EEEZNS1_14transform_implILb0ES3_S5_PsN6thrust23THRUST_200600_302600_NS10device_ptrIsEENS0_8identityIsEEEE10hipError_tT2_T3_mT4_P12ihipStream_tbEUlT_E_NS1_11comp_targetILNS1_3genE10ELNS1_11target_archE1201ELNS1_3gpuE5ELNS1_3repE0EEENS1_30default_config_static_selectorELNS0_4arch9wavefront6targetE1EEEvT1_.uses_vcc, 0
	.set _ZN7rocprim17ROCPRIM_400000_NS6detail17trampoline_kernelINS0_14default_configENS1_25transform_config_selectorIsLb0EEEZNS1_14transform_implILb0ES3_S5_PsN6thrust23THRUST_200600_302600_NS10device_ptrIsEENS0_8identityIsEEEE10hipError_tT2_T3_mT4_P12ihipStream_tbEUlT_E_NS1_11comp_targetILNS1_3genE10ELNS1_11target_archE1201ELNS1_3gpuE5ELNS1_3repE0EEENS1_30default_config_static_selectorELNS0_4arch9wavefront6targetE1EEEvT1_.uses_flat_scratch, 0
	.set _ZN7rocprim17ROCPRIM_400000_NS6detail17trampoline_kernelINS0_14default_configENS1_25transform_config_selectorIsLb0EEEZNS1_14transform_implILb0ES3_S5_PsN6thrust23THRUST_200600_302600_NS10device_ptrIsEENS0_8identityIsEEEE10hipError_tT2_T3_mT4_P12ihipStream_tbEUlT_E_NS1_11comp_targetILNS1_3genE10ELNS1_11target_archE1201ELNS1_3gpuE5ELNS1_3repE0EEENS1_30default_config_static_selectorELNS0_4arch9wavefront6targetE1EEEvT1_.has_dyn_sized_stack, 0
	.set _ZN7rocprim17ROCPRIM_400000_NS6detail17trampoline_kernelINS0_14default_configENS1_25transform_config_selectorIsLb0EEEZNS1_14transform_implILb0ES3_S5_PsN6thrust23THRUST_200600_302600_NS10device_ptrIsEENS0_8identityIsEEEE10hipError_tT2_T3_mT4_P12ihipStream_tbEUlT_E_NS1_11comp_targetILNS1_3genE10ELNS1_11target_archE1201ELNS1_3gpuE5ELNS1_3repE0EEENS1_30default_config_static_selectorELNS0_4arch9wavefront6targetE1EEEvT1_.has_recursion, 0
	.set _ZN7rocprim17ROCPRIM_400000_NS6detail17trampoline_kernelINS0_14default_configENS1_25transform_config_selectorIsLb0EEEZNS1_14transform_implILb0ES3_S5_PsN6thrust23THRUST_200600_302600_NS10device_ptrIsEENS0_8identityIsEEEE10hipError_tT2_T3_mT4_P12ihipStream_tbEUlT_E_NS1_11comp_targetILNS1_3genE10ELNS1_11target_archE1201ELNS1_3gpuE5ELNS1_3repE0EEENS1_30default_config_static_selectorELNS0_4arch9wavefront6targetE1EEEvT1_.has_indirect_call, 0
	.section	.AMDGPU.csdata,"",@progbits
; Kernel info:
; codeLenInByte = 0
; TotalNumSgprs: 6
; NumVgprs: 0
; NumAgprs: 0
; TotalNumVgprs: 0
; ScratchSize: 0
; MemoryBound: 0
; FloatMode: 240
; IeeeMode: 1
; LDSByteSize: 0 bytes/workgroup (compile time only)
; SGPRBlocks: 0
; VGPRBlocks: 0
; NumSGPRsForWavesPerEU: 6
; NumVGPRsForWavesPerEU: 1
; AccumOffset: 4
; Occupancy: 8
; WaveLimiterHint : 0
; COMPUTE_PGM_RSRC2:SCRATCH_EN: 0
; COMPUTE_PGM_RSRC2:USER_SGPR: 2
; COMPUTE_PGM_RSRC2:TRAP_HANDLER: 0
; COMPUTE_PGM_RSRC2:TGID_X_EN: 1
; COMPUTE_PGM_RSRC2:TGID_Y_EN: 0
; COMPUTE_PGM_RSRC2:TGID_Z_EN: 0
; COMPUTE_PGM_RSRC2:TIDIG_COMP_CNT: 0
; COMPUTE_PGM_RSRC3_GFX90A:ACCUM_OFFSET: 0
; COMPUTE_PGM_RSRC3_GFX90A:TG_SPLIT: 0
	.section	.text._ZN7rocprim17ROCPRIM_400000_NS6detail17trampoline_kernelINS0_14default_configENS1_25transform_config_selectorIsLb0EEEZNS1_14transform_implILb0ES3_S5_PsN6thrust23THRUST_200600_302600_NS10device_ptrIsEENS0_8identityIsEEEE10hipError_tT2_T3_mT4_P12ihipStream_tbEUlT_E_NS1_11comp_targetILNS1_3genE10ELNS1_11target_archE1200ELNS1_3gpuE4ELNS1_3repE0EEENS1_30default_config_static_selectorELNS0_4arch9wavefront6targetE1EEEvT1_,"axG",@progbits,_ZN7rocprim17ROCPRIM_400000_NS6detail17trampoline_kernelINS0_14default_configENS1_25transform_config_selectorIsLb0EEEZNS1_14transform_implILb0ES3_S5_PsN6thrust23THRUST_200600_302600_NS10device_ptrIsEENS0_8identityIsEEEE10hipError_tT2_T3_mT4_P12ihipStream_tbEUlT_E_NS1_11comp_targetILNS1_3genE10ELNS1_11target_archE1200ELNS1_3gpuE4ELNS1_3repE0EEENS1_30default_config_static_selectorELNS0_4arch9wavefront6targetE1EEEvT1_,comdat
	.protected	_ZN7rocprim17ROCPRIM_400000_NS6detail17trampoline_kernelINS0_14default_configENS1_25transform_config_selectorIsLb0EEEZNS1_14transform_implILb0ES3_S5_PsN6thrust23THRUST_200600_302600_NS10device_ptrIsEENS0_8identityIsEEEE10hipError_tT2_T3_mT4_P12ihipStream_tbEUlT_E_NS1_11comp_targetILNS1_3genE10ELNS1_11target_archE1200ELNS1_3gpuE4ELNS1_3repE0EEENS1_30default_config_static_selectorELNS0_4arch9wavefront6targetE1EEEvT1_ ; -- Begin function _ZN7rocprim17ROCPRIM_400000_NS6detail17trampoline_kernelINS0_14default_configENS1_25transform_config_selectorIsLb0EEEZNS1_14transform_implILb0ES3_S5_PsN6thrust23THRUST_200600_302600_NS10device_ptrIsEENS0_8identityIsEEEE10hipError_tT2_T3_mT4_P12ihipStream_tbEUlT_E_NS1_11comp_targetILNS1_3genE10ELNS1_11target_archE1200ELNS1_3gpuE4ELNS1_3repE0EEENS1_30default_config_static_selectorELNS0_4arch9wavefront6targetE1EEEvT1_
	.globl	_ZN7rocprim17ROCPRIM_400000_NS6detail17trampoline_kernelINS0_14default_configENS1_25transform_config_selectorIsLb0EEEZNS1_14transform_implILb0ES3_S5_PsN6thrust23THRUST_200600_302600_NS10device_ptrIsEENS0_8identityIsEEEE10hipError_tT2_T3_mT4_P12ihipStream_tbEUlT_E_NS1_11comp_targetILNS1_3genE10ELNS1_11target_archE1200ELNS1_3gpuE4ELNS1_3repE0EEENS1_30default_config_static_selectorELNS0_4arch9wavefront6targetE1EEEvT1_
	.p2align	8
	.type	_ZN7rocprim17ROCPRIM_400000_NS6detail17trampoline_kernelINS0_14default_configENS1_25transform_config_selectorIsLb0EEEZNS1_14transform_implILb0ES3_S5_PsN6thrust23THRUST_200600_302600_NS10device_ptrIsEENS0_8identityIsEEEE10hipError_tT2_T3_mT4_P12ihipStream_tbEUlT_E_NS1_11comp_targetILNS1_3genE10ELNS1_11target_archE1200ELNS1_3gpuE4ELNS1_3repE0EEENS1_30default_config_static_selectorELNS0_4arch9wavefront6targetE1EEEvT1_,@function
_ZN7rocprim17ROCPRIM_400000_NS6detail17trampoline_kernelINS0_14default_configENS1_25transform_config_selectorIsLb0EEEZNS1_14transform_implILb0ES3_S5_PsN6thrust23THRUST_200600_302600_NS10device_ptrIsEENS0_8identityIsEEEE10hipError_tT2_T3_mT4_P12ihipStream_tbEUlT_E_NS1_11comp_targetILNS1_3genE10ELNS1_11target_archE1200ELNS1_3gpuE4ELNS1_3repE0EEENS1_30default_config_static_selectorELNS0_4arch9wavefront6targetE1EEEvT1_: ; @_ZN7rocprim17ROCPRIM_400000_NS6detail17trampoline_kernelINS0_14default_configENS1_25transform_config_selectorIsLb0EEEZNS1_14transform_implILb0ES3_S5_PsN6thrust23THRUST_200600_302600_NS10device_ptrIsEENS0_8identityIsEEEE10hipError_tT2_T3_mT4_P12ihipStream_tbEUlT_E_NS1_11comp_targetILNS1_3genE10ELNS1_11target_archE1200ELNS1_3gpuE4ELNS1_3repE0EEENS1_30default_config_static_selectorELNS0_4arch9wavefront6targetE1EEEvT1_
; %bb.0:
	.section	.rodata,"a",@progbits
	.p2align	6, 0x0
	.amdhsa_kernel _ZN7rocprim17ROCPRIM_400000_NS6detail17trampoline_kernelINS0_14default_configENS1_25transform_config_selectorIsLb0EEEZNS1_14transform_implILb0ES3_S5_PsN6thrust23THRUST_200600_302600_NS10device_ptrIsEENS0_8identityIsEEEE10hipError_tT2_T3_mT4_P12ihipStream_tbEUlT_E_NS1_11comp_targetILNS1_3genE10ELNS1_11target_archE1200ELNS1_3gpuE4ELNS1_3repE0EEENS1_30default_config_static_selectorELNS0_4arch9wavefront6targetE1EEEvT1_
		.amdhsa_group_segment_fixed_size 0
		.amdhsa_private_segment_fixed_size 0
		.amdhsa_kernarg_size 40
		.amdhsa_user_sgpr_count 2
		.amdhsa_user_sgpr_dispatch_ptr 0
		.amdhsa_user_sgpr_queue_ptr 0
		.amdhsa_user_sgpr_kernarg_segment_ptr 1
		.amdhsa_user_sgpr_dispatch_id 0
		.amdhsa_user_sgpr_kernarg_preload_length 0
		.amdhsa_user_sgpr_kernarg_preload_offset 0
		.amdhsa_user_sgpr_private_segment_size 0
		.amdhsa_uses_dynamic_stack 0
		.amdhsa_enable_private_segment 0
		.amdhsa_system_sgpr_workgroup_id_x 1
		.amdhsa_system_sgpr_workgroup_id_y 0
		.amdhsa_system_sgpr_workgroup_id_z 0
		.amdhsa_system_sgpr_workgroup_info 0
		.amdhsa_system_vgpr_workitem_id 0
		.amdhsa_next_free_vgpr 1
		.amdhsa_next_free_sgpr 0
		.amdhsa_accum_offset 4
		.amdhsa_reserve_vcc 0
		.amdhsa_float_round_mode_32 0
		.amdhsa_float_round_mode_16_64 0
		.amdhsa_float_denorm_mode_32 3
		.amdhsa_float_denorm_mode_16_64 3
		.amdhsa_dx10_clamp 1
		.amdhsa_ieee_mode 1
		.amdhsa_fp16_overflow 0
		.amdhsa_tg_split 0
		.amdhsa_exception_fp_ieee_invalid_op 0
		.amdhsa_exception_fp_denorm_src 0
		.amdhsa_exception_fp_ieee_div_zero 0
		.amdhsa_exception_fp_ieee_overflow 0
		.amdhsa_exception_fp_ieee_underflow 0
		.amdhsa_exception_fp_ieee_inexact 0
		.amdhsa_exception_int_div_zero 0
	.end_amdhsa_kernel
	.section	.text._ZN7rocprim17ROCPRIM_400000_NS6detail17trampoline_kernelINS0_14default_configENS1_25transform_config_selectorIsLb0EEEZNS1_14transform_implILb0ES3_S5_PsN6thrust23THRUST_200600_302600_NS10device_ptrIsEENS0_8identityIsEEEE10hipError_tT2_T3_mT4_P12ihipStream_tbEUlT_E_NS1_11comp_targetILNS1_3genE10ELNS1_11target_archE1200ELNS1_3gpuE4ELNS1_3repE0EEENS1_30default_config_static_selectorELNS0_4arch9wavefront6targetE1EEEvT1_,"axG",@progbits,_ZN7rocprim17ROCPRIM_400000_NS6detail17trampoline_kernelINS0_14default_configENS1_25transform_config_selectorIsLb0EEEZNS1_14transform_implILb0ES3_S5_PsN6thrust23THRUST_200600_302600_NS10device_ptrIsEENS0_8identityIsEEEE10hipError_tT2_T3_mT4_P12ihipStream_tbEUlT_E_NS1_11comp_targetILNS1_3genE10ELNS1_11target_archE1200ELNS1_3gpuE4ELNS1_3repE0EEENS1_30default_config_static_selectorELNS0_4arch9wavefront6targetE1EEEvT1_,comdat
.Lfunc_end2353:
	.size	_ZN7rocprim17ROCPRIM_400000_NS6detail17trampoline_kernelINS0_14default_configENS1_25transform_config_selectorIsLb0EEEZNS1_14transform_implILb0ES3_S5_PsN6thrust23THRUST_200600_302600_NS10device_ptrIsEENS0_8identityIsEEEE10hipError_tT2_T3_mT4_P12ihipStream_tbEUlT_E_NS1_11comp_targetILNS1_3genE10ELNS1_11target_archE1200ELNS1_3gpuE4ELNS1_3repE0EEENS1_30default_config_static_selectorELNS0_4arch9wavefront6targetE1EEEvT1_, .Lfunc_end2353-_ZN7rocprim17ROCPRIM_400000_NS6detail17trampoline_kernelINS0_14default_configENS1_25transform_config_selectorIsLb0EEEZNS1_14transform_implILb0ES3_S5_PsN6thrust23THRUST_200600_302600_NS10device_ptrIsEENS0_8identityIsEEEE10hipError_tT2_T3_mT4_P12ihipStream_tbEUlT_E_NS1_11comp_targetILNS1_3genE10ELNS1_11target_archE1200ELNS1_3gpuE4ELNS1_3repE0EEENS1_30default_config_static_selectorELNS0_4arch9wavefront6targetE1EEEvT1_
                                        ; -- End function
	.set _ZN7rocprim17ROCPRIM_400000_NS6detail17trampoline_kernelINS0_14default_configENS1_25transform_config_selectorIsLb0EEEZNS1_14transform_implILb0ES3_S5_PsN6thrust23THRUST_200600_302600_NS10device_ptrIsEENS0_8identityIsEEEE10hipError_tT2_T3_mT4_P12ihipStream_tbEUlT_E_NS1_11comp_targetILNS1_3genE10ELNS1_11target_archE1200ELNS1_3gpuE4ELNS1_3repE0EEENS1_30default_config_static_selectorELNS0_4arch9wavefront6targetE1EEEvT1_.num_vgpr, 0
	.set _ZN7rocprim17ROCPRIM_400000_NS6detail17trampoline_kernelINS0_14default_configENS1_25transform_config_selectorIsLb0EEEZNS1_14transform_implILb0ES3_S5_PsN6thrust23THRUST_200600_302600_NS10device_ptrIsEENS0_8identityIsEEEE10hipError_tT2_T3_mT4_P12ihipStream_tbEUlT_E_NS1_11comp_targetILNS1_3genE10ELNS1_11target_archE1200ELNS1_3gpuE4ELNS1_3repE0EEENS1_30default_config_static_selectorELNS0_4arch9wavefront6targetE1EEEvT1_.num_agpr, 0
	.set _ZN7rocprim17ROCPRIM_400000_NS6detail17trampoline_kernelINS0_14default_configENS1_25transform_config_selectorIsLb0EEEZNS1_14transform_implILb0ES3_S5_PsN6thrust23THRUST_200600_302600_NS10device_ptrIsEENS0_8identityIsEEEE10hipError_tT2_T3_mT4_P12ihipStream_tbEUlT_E_NS1_11comp_targetILNS1_3genE10ELNS1_11target_archE1200ELNS1_3gpuE4ELNS1_3repE0EEENS1_30default_config_static_selectorELNS0_4arch9wavefront6targetE1EEEvT1_.numbered_sgpr, 0
	.set _ZN7rocprim17ROCPRIM_400000_NS6detail17trampoline_kernelINS0_14default_configENS1_25transform_config_selectorIsLb0EEEZNS1_14transform_implILb0ES3_S5_PsN6thrust23THRUST_200600_302600_NS10device_ptrIsEENS0_8identityIsEEEE10hipError_tT2_T3_mT4_P12ihipStream_tbEUlT_E_NS1_11comp_targetILNS1_3genE10ELNS1_11target_archE1200ELNS1_3gpuE4ELNS1_3repE0EEENS1_30default_config_static_selectorELNS0_4arch9wavefront6targetE1EEEvT1_.num_named_barrier, 0
	.set _ZN7rocprim17ROCPRIM_400000_NS6detail17trampoline_kernelINS0_14default_configENS1_25transform_config_selectorIsLb0EEEZNS1_14transform_implILb0ES3_S5_PsN6thrust23THRUST_200600_302600_NS10device_ptrIsEENS0_8identityIsEEEE10hipError_tT2_T3_mT4_P12ihipStream_tbEUlT_E_NS1_11comp_targetILNS1_3genE10ELNS1_11target_archE1200ELNS1_3gpuE4ELNS1_3repE0EEENS1_30default_config_static_selectorELNS0_4arch9wavefront6targetE1EEEvT1_.private_seg_size, 0
	.set _ZN7rocprim17ROCPRIM_400000_NS6detail17trampoline_kernelINS0_14default_configENS1_25transform_config_selectorIsLb0EEEZNS1_14transform_implILb0ES3_S5_PsN6thrust23THRUST_200600_302600_NS10device_ptrIsEENS0_8identityIsEEEE10hipError_tT2_T3_mT4_P12ihipStream_tbEUlT_E_NS1_11comp_targetILNS1_3genE10ELNS1_11target_archE1200ELNS1_3gpuE4ELNS1_3repE0EEENS1_30default_config_static_selectorELNS0_4arch9wavefront6targetE1EEEvT1_.uses_vcc, 0
	.set _ZN7rocprim17ROCPRIM_400000_NS6detail17trampoline_kernelINS0_14default_configENS1_25transform_config_selectorIsLb0EEEZNS1_14transform_implILb0ES3_S5_PsN6thrust23THRUST_200600_302600_NS10device_ptrIsEENS0_8identityIsEEEE10hipError_tT2_T3_mT4_P12ihipStream_tbEUlT_E_NS1_11comp_targetILNS1_3genE10ELNS1_11target_archE1200ELNS1_3gpuE4ELNS1_3repE0EEENS1_30default_config_static_selectorELNS0_4arch9wavefront6targetE1EEEvT1_.uses_flat_scratch, 0
	.set _ZN7rocprim17ROCPRIM_400000_NS6detail17trampoline_kernelINS0_14default_configENS1_25transform_config_selectorIsLb0EEEZNS1_14transform_implILb0ES3_S5_PsN6thrust23THRUST_200600_302600_NS10device_ptrIsEENS0_8identityIsEEEE10hipError_tT2_T3_mT4_P12ihipStream_tbEUlT_E_NS1_11comp_targetILNS1_3genE10ELNS1_11target_archE1200ELNS1_3gpuE4ELNS1_3repE0EEENS1_30default_config_static_selectorELNS0_4arch9wavefront6targetE1EEEvT1_.has_dyn_sized_stack, 0
	.set _ZN7rocprim17ROCPRIM_400000_NS6detail17trampoline_kernelINS0_14default_configENS1_25transform_config_selectorIsLb0EEEZNS1_14transform_implILb0ES3_S5_PsN6thrust23THRUST_200600_302600_NS10device_ptrIsEENS0_8identityIsEEEE10hipError_tT2_T3_mT4_P12ihipStream_tbEUlT_E_NS1_11comp_targetILNS1_3genE10ELNS1_11target_archE1200ELNS1_3gpuE4ELNS1_3repE0EEENS1_30default_config_static_selectorELNS0_4arch9wavefront6targetE1EEEvT1_.has_recursion, 0
	.set _ZN7rocprim17ROCPRIM_400000_NS6detail17trampoline_kernelINS0_14default_configENS1_25transform_config_selectorIsLb0EEEZNS1_14transform_implILb0ES3_S5_PsN6thrust23THRUST_200600_302600_NS10device_ptrIsEENS0_8identityIsEEEE10hipError_tT2_T3_mT4_P12ihipStream_tbEUlT_E_NS1_11comp_targetILNS1_3genE10ELNS1_11target_archE1200ELNS1_3gpuE4ELNS1_3repE0EEENS1_30default_config_static_selectorELNS0_4arch9wavefront6targetE1EEEvT1_.has_indirect_call, 0
	.section	.AMDGPU.csdata,"",@progbits
; Kernel info:
; codeLenInByte = 0
; TotalNumSgprs: 6
; NumVgprs: 0
; NumAgprs: 0
; TotalNumVgprs: 0
; ScratchSize: 0
; MemoryBound: 0
; FloatMode: 240
; IeeeMode: 1
; LDSByteSize: 0 bytes/workgroup (compile time only)
; SGPRBlocks: 0
; VGPRBlocks: 0
; NumSGPRsForWavesPerEU: 6
; NumVGPRsForWavesPerEU: 1
; AccumOffset: 4
; Occupancy: 8
; WaveLimiterHint : 0
; COMPUTE_PGM_RSRC2:SCRATCH_EN: 0
; COMPUTE_PGM_RSRC2:USER_SGPR: 2
; COMPUTE_PGM_RSRC2:TRAP_HANDLER: 0
; COMPUTE_PGM_RSRC2:TGID_X_EN: 1
; COMPUTE_PGM_RSRC2:TGID_Y_EN: 0
; COMPUTE_PGM_RSRC2:TGID_Z_EN: 0
; COMPUTE_PGM_RSRC2:TIDIG_COMP_CNT: 0
; COMPUTE_PGM_RSRC3_GFX90A:ACCUM_OFFSET: 0
; COMPUTE_PGM_RSRC3_GFX90A:TG_SPLIT: 0
	.section	.text._ZN7rocprim17ROCPRIM_400000_NS6detail17trampoline_kernelINS0_14default_configENS1_25transform_config_selectorIsLb0EEEZNS1_14transform_implILb0ES3_S5_PsN6thrust23THRUST_200600_302600_NS10device_ptrIsEENS0_8identityIsEEEE10hipError_tT2_T3_mT4_P12ihipStream_tbEUlT_E_NS1_11comp_targetILNS1_3genE9ELNS1_11target_archE1100ELNS1_3gpuE3ELNS1_3repE0EEENS1_30default_config_static_selectorELNS0_4arch9wavefront6targetE1EEEvT1_,"axG",@progbits,_ZN7rocprim17ROCPRIM_400000_NS6detail17trampoline_kernelINS0_14default_configENS1_25transform_config_selectorIsLb0EEEZNS1_14transform_implILb0ES3_S5_PsN6thrust23THRUST_200600_302600_NS10device_ptrIsEENS0_8identityIsEEEE10hipError_tT2_T3_mT4_P12ihipStream_tbEUlT_E_NS1_11comp_targetILNS1_3genE9ELNS1_11target_archE1100ELNS1_3gpuE3ELNS1_3repE0EEENS1_30default_config_static_selectorELNS0_4arch9wavefront6targetE1EEEvT1_,comdat
	.protected	_ZN7rocprim17ROCPRIM_400000_NS6detail17trampoline_kernelINS0_14default_configENS1_25transform_config_selectorIsLb0EEEZNS1_14transform_implILb0ES3_S5_PsN6thrust23THRUST_200600_302600_NS10device_ptrIsEENS0_8identityIsEEEE10hipError_tT2_T3_mT4_P12ihipStream_tbEUlT_E_NS1_11comp_targetILNS1_3genE9ELNS1_11target_archE1100ELNS1_3gpuE3ELNS1_3repE0EEENS1_30default_config_static_selectorELNS0_4arch9wavefront6targetE1EEEvT1_ ; -- Begin function _ZN7rocprim17ROCPRIM_400000_NS6detail17trampoline_kernelINS0_14default_configENS1_25transform_config_selectorIsLb0EEEZNS1_14transform_implILb0ES3_S5_PsN6thrust23THRUST_200600_302600_NS10device_ptrIsEENS0_8identityIsEEEE10hipError_tT2_T3_mT4_P12ihipStream_tbEUlT_E_NS1_11comp_targetILNS1_3genE9ELNS1_11target_archE1100ELNS1_3gpuE3ELNS1_3repE0EEENS1_30default_config_static_selectorELNS0_4arch9wavefront6targetE1EEEvT1_
	.globl	_ZN7rocprim17ROCPRIM_400000_NS6detail17trampoline_kernelINS0_14default_configENS1_25transform_config_selectorIsLb0EEEZNS1_14transform_implILb0ES3_S5_PsN6thrust23THRUST_200600_302600_NS10device_ptrIsEENS0_8identityIsEEEE10hipError_tT2_T3_mT4_P12ihipStream_tbEUlT_E_NS1_11comp_targetILNS1_3genE9ELNS1_11target_archE1100ELNS1_3gpuE3ELNS1_3repE0EEENS1_30default_config_static_selectorELNS0_4arch9wavefront6targetE1EEEvT1_
	.p2align	8
	.type	_ZN7rocprim17ROCPRIM_400000_NS6detail17trampoline_kernelINS0_14default_configENS1_25transform_config_selectorIsLb0EEEZNS1_14transform_implILb0ES3_S5_PsN6thrust23THRUST_200600_302600_NS10device_ptrIsEENS0_8identityIsEEEE10hipError_tT2_T3_mT4_P12ihipStream_tbEUlT_E_NS1_11comp_targetILNS1_3genE9ELNS1_11target_archE1100ELNS1_3gpuE3ELNS1_3repE0EEENS1_30default_config_static_selectorELNS0_4arch9wavefront6targetE1EEEvT1_,@function
_ZN7rocprim17ROCPRIM_400000_NS6detail17trampoline_kernelINS0_14default_configENS1_25transform_config_selectorIsLb0EEEZNS1_14transform_implILb0ES3_S5_PsN6thrust23THRUST_200600_302600_NS10device_ptrIsEENS0_8identityIsEEEE10hipError_tT2_T3_mT4_P12ihipStream_tbEUlT_E_NS1_11comp_targetILNS1_3genE9ELNS1_11target_archE1100ELNS1_3gpuE3ELNS1_3repE0EEENS1_30default_config_static_selectorELNS0_4arch9wavefront6targetE1EEEvT1_: ; @_ZN7rocprim17ROCPRIM_400000_NS6detail17trampoline_kernelINS0_14default_configENS1_25transform_config_selectorIsLb0EEEZNS1_14transform_implILb0ES3_S5_PsN6thrust23THRUST_200600_302600_NS10device_ptrIsEENS0_8identityIsEEEE10hipError_tT2_T3_mT4_P12ihipStream_tbEUlT_E_NS1_11comp_targetILNS1_3genE9ELNS1_11target_archE1100ELNS1_3gpuE3ELNS1_3repE0EEENS1_30default_config_static_selectorELNS0_4arch9wavefront6targetE1EEEvT1_
; %bb.0:
	.section	.rodata,"a",@progbits
	.p2align	6, 0x0
	.amdhsa_kernel _ZN7rocprim17ROCPRIM_400000_NS6detail17trampoline_kernelINS0_14default_configENS1_25transform_config_selectorIsLb0EEEZNS1_14transform_implILb0ES3_S5_PsN6thrust23THRUST_200600_302600_NS10device_ptrIsEENS0_8identityIsEEEE10hipError_tT2_T3_mT4_P12ihipStream_tbEUlT_E_NS1_11comp_targetILNS1_3genE9ELNS1_11target_archE1100ELNS1_3gpuE3ELNS1_3repE0EEENS1_30default_config_static_selectorELNS0_4arch9wavefront6targetE1EEEvT1_
		.amdhsa_group_segment_fixed_size 0
		.amdhsa_private_segment_fixed_size 0
		.amdhsa_kernarg_size 40
		.amdhsa_user_sgpr_count 2
		.amdhsa_user_sgpr_dispatch_ptr 0
		.amdhsa_user_sgpr_queue_ptr 0
		.amdhsa_user_sgpr_kernarg_segment_ptr 1
		.amdhsa_user_sgpr_dispatch_id 0
		.amdhsa_user_sgpr_kernarg_preload_length 0
		.amdhsa_user_sgpr_kernarg_preload_offset 0
		.amdhsa_user_sgpr_private_segment_size 0
		.amdhsa_uses_dynamic_stack 0
		.amdhsa_enable_private_segment 0
		.amdhsa_system_sgpr_workgroup_id_x 1
		.amdhsa_system_sgpr_workgroup_id_y 0
		.amdhsa_system_sgpr_workgroup_id_z 0
		.amdhsa_system_sgpr_workgroup_info 0
		.amdhsa_system_vgpr_workitem_id 0
		.amdhsa_next_free_vgpr 1
		.amdhsa_next_free_sgpr 0
		.amdhsa_accum_offset 4
		.amdhsa_reserve_vcc 0
		.amdhsa_float_round_mode_32 0
		.amdhsa_float_round_mode_16_64 0
		.amdhsa_float_denorm_mode_32 3
		.amdhsa_float_denorm_mode_16_64 3
		.amdhsa_dx10_clamp 1
		.amdhsa_ieee_mode 1
		.amdhsa_fp16_overflow 0
		.amdhsa_tg_split 0
		.amdhsa_exception_fp_ieee_invalid_op 0
		.amdhsa_exception_fp_denorm_src 0
		.amdhsa_exception_fp_ieee_div_zero 0
		.amdhsa_exception_fp_ieee_overflow 0
		.amdhsa_exception_fp_ieee_underflow 0
		.amdhsa_exception_fp_ieee_inexact 0
		.amdhsa_exception_int_div_zero 0
	.end_amdhsa_kernel
	.section	.text._ZN7rocprim17ROCPRIM_400000_NS6detail17trampoline_kernelINS0_14default_configENS1_25transform_config_selectorIsLb0EEEZNS1_14transform_implILb0ES3_S5_PsN6thrust23THRUST_200600_302600_NS10device_ptrIsEENS0_8identityIsEEEE10hipError_tT2_T3_mT4_P12ihipStream_tbEUlT_E_NS1_11comp_targetILNS1_3genE9ELNS1_11target_archE1100ELNS1_3gpuE3ELNS1_3repE0EEENS1_30default_config_static_selectorELNS0_4arch9wavefront6targetE1EEEvT1_,"axG",@progbits,_ZN7rocprim17ROCPRIM_400000_NS6detail17trampoline_kernelINS0_14default_configENS1_25transform_config_selectorIsLb0EEEZNS1_14transform_implILb0ES3_S5_PsN6thrust23THRUST_200600_302600_NS10device_ptrIsEENS0_8identityIsEEEE10hipError_tT2_T3_mT4_P12ihipStream_tbEUlT_E_NS1_11comp_targetILNS1_3genE9ELNS1_11target_archE1100ELNS1_3gpuE3ELNS1_3repE0EEENS1_30default_config_static_selectorELNS0_4arch9wavefront6targetE1EEEvT1_,comdat
.Lfunc_end2354:
	.size	_ZN7rocprim17ROCPRIM_400000_NS6detail17trampoline_kernelINS0_14default_configENS1_25transform_config_selectorIsLb0EEEZNS1_14transform_implILb0ES3_S5_PsN6thrust23THRUST_200600_302600_NS10device_ptrIsEENS0_8identityIsEEEE10hipError_tT2_T3_mT4_P12ihipStream_tbEUlT_E_NS1_11comp_targetILNS1_3genE9ELNS1_11target_archE1100ELNS1_3gpuE3ELNS1_3repE0EEENS1_30default_config_static_selectorELNS0_4arch9wavefront6targetE1EEEvT1_, .Lfunc_end2354-_ZN7rocprim17ROCPRIM_400000_NS6detail17trampoline_kernelINS0_14default_configENS1_25transform_config_selectorIsLb0EEEZNS1_14transform_implILb0ES3_S5_PsN6thrust23THRUST_200600_302600_NS10device_ptrIsEENS0_8identityIsEEEE10hipError_tT2_T3_mT4_P12ihipStream_tbEUlT_E_NS1_11comp_targetILNS1_3genE9ELNS1_11target_archE1100ELNS1_3gpuE3ELNS1_3repE0EEENS1_30default_config_static_selectorELNS0_4arch9wavefront6targetE1EEEvT1_
                                        ; -- End function
	.set _ZN7rocprim17ROCPRIM_400000_NS6detail17trampoline_kernelINS0_14default_configENS1_25transform_config_selectorIsLb0EEEZNS1_14transform_implILb0ES3_S5_PsN6thrust23THRUST_200600_302600_NS10device_ptrIsEENS0_8identityIsEEEE10hipError_tT2_T3_mT4_P12ihipStream_tbEUlT_E_NS1_11comp_targetILNS1_3genE9ELNS1_11target_archE1100ELNS1_3gpuE3ELNS1_3repE0EEENS1_30default_config_static_selectorELNS0_4arch9wavefront6targetE1EEEvT1_.num_vgpr, 0
	.set _ZN7rocprim17ROCPRIM_400000_NS6detail17trampoline_kernelINS0_14default_configENS1_25transform_config_selectorIsLb0EEEZNS1_14transform_implILb0ES3_S5_PsN6thrust23THRUST_200600_302600_NS10device_ptrIsEENS0_8identityIsEEEE10hipError_tT2_T3_mT4_P12ihipStream_tbEUlT_E_NS1_11comp_targetILNS1_3genE9ELNS1_11target_archE1100ELNS1_3gpuE3ELNS1_3repE0EEENS1_30default_config_static_selectorELNS0_4arch9wavefront6targetE1EEEvT1_.num_agpr, 0
	.set _ZN7rocprim17ROCPRIM_400000_NS6detail17trampoline_kernelINS0_14default_configENS1_25transform_config_selectorIsLb0EEEZNS1_14transform_implILb0ES3_S5_PsN6thrust23THRUST_200600_302600_NS10device_ptrIsEENS0_8identityIsEEEE10hipError_tT2_T3_mT4_P12ihipStream_tbEUlT_E_NS1_11comp_targetILNS1_3genE9ELNS1_11target_archE1100ELNS1_3gpuE3ELNS1_3repE0EEENS1_30default_config_static_selectorELNS0_4arch9wavefront6targetE1EEEvT1_.numbered_sgpr, 0
	.set _ZN7rocprim17ROCPRIM_400000_NS6detail17trampoline_kernelINS0_14default_configENS1_25transform_config_selectorIsLb0EEEZNS1_14transform_implILb0ES3_S5_PsN6thrust23THRUST_200600_302600_NS10device_ptrIsEENS0_8identityIsEEEE10hipError_tT2_T3_mT4_P12ihipStream_tbEUlT_E_NS1_11comp_targetILNS1_3genE9ELNS1_11target_archE1100ELNS1_3gpuE3ELNS1_3repE0EEENS1_30default_config_static_selectorELNS0_4arch9wavefront6targetE1EEEvT1_.num_named_barrier, 0
	.set _ZN7rocprim17ROCPRIM_400000_NS6detail17trampoline_kernelINS0_14default_configENS1_25transform_config_selectorIsLb0EEEZNS1_14transform_implILb0ES3_S5_PsN6thrust23THRUST_200600_302600_NS10device_ptrIsEENS0_8identityIsEEEE10hipError_tT2_T3_mT4_P12ihipStream_tbEUlT_E_NS1_11comp_targetILNS1_3genE9ELNS1_11target_archE1100ELNS1_3gpuE3ELNS1_3repE0EEENS1_30default_config_static_selectorELNS0_4arch9wavefront6targetE1EEEvT1_.private_seg_size, 0
	.set _ZN7rocprim17ROCPRIM_400000_NS6detail17trampoline_kernelINS0_14default_configENS1_25transform_config_selectorIsLb0EEEZNS1_14transform_implILb0ES3_S5_PsN6thrust23THRUST_200600_302600_NS10device_ptrIsEENS0_8identityIsEEEE10hipError_tT2_T3_mT4_P12ihipStream_tbEUlT_E_NS1_11comp_targetILNS1_3genE9ELNS1_11target_archE1100ELNS1_3gpuE3ELNS1_3repE0EEENS1_30default_config_static_selectorELNS0_4arch9wavefront6targetE1EEEvT1_.uses_vcc, 0
	.set _ZN7rocprim17ROCPRIM_400000_NS6detail17trampoline_kernelINS0_14default_configENS1_25transform_config_selectorIsLb0EEEZNS1_14transform_implILb0ES3_S5_PsN6thrust23THRUST_200600_302600_NS10device_ptrIsEENS0_8identityIsEEEE10hipError_tT2_T3_mT4_P12ihipStream_tbEUlT_E_NS1_11comp_targetILNS1_3genE9ELNS1_11target_archE1100ELNS1_3gpuE3ELNS1_3repE0EEENS1_30default_config_static_selectorELNS0_4arch9wavefront6targetE1EEEvT1_.uses_flat_scratch, 0
	.set _ZN7rocprim17ROCPRIM_400000_NS6detail17trampoline_kernelINS0_14default_configENS1_25transform_config_selectorIsLb0EEEZNS1_14transform_implILb0ES3_S5_PsN6thrust23THRUST_200600_302600_NS10device_ptrIsEENS0_8identityIsEEEE10hipError_tT2_T3_mT4_P12ihipStream_tbEUlT_E_NS1_11comp_targetILNS1_3genE9ELNS1_11target_archE1100ELNS1_3gpuE3ELNS1_3repE0EEENS1_30default_config_static_selectorELNS0_4arch9wavefront6targetE1EEEvT1_.has_dyn_sized_stack, 0
	.set _ZN7rocprim17ROCPRIM_400000_NS6detail17trampoline_kernelINS0_14default_configENS1_25transform_config_selectorIsLb0EEEZNS1_14transform_implILb0ES3_S5_PsN6thrust23THRUST_200600_302600_NS10device_ptrIsEENS0_8identityIsEEEE10hipError_tT2_T3_mT4_P12ihipStream_tbEUlT_E_NS1_11comp_targetILNS1_3genE9ELNS1_11target_archE1100ELNS1_3gpuE3ELNS1_3repE0EEENS1_30default_config_static_selectorELNS0_4arch9wavefront6targetE1EEEvT1_.has_recursion, 0
	.set _ZN7rocprim17ROCPRIM_400000_NS6detail17trampoline_kernelINS0_14default_configENS1_25transform_config_selectorIsLb0EEEZNS1_14transform_implILb0ES3_S5_PsN6thrust23THRUST_200600_302600_NS10device_ptrIsEENS0_8identityIsEEEE10hipError_tT2_T3_mT4_P12ihipStream_tbEUlT_E_NS1_11comp_targetILNS1_3genE9ELNS1_11target_archE1100ELNS1_3gpuE3ELNS1_3repE0EEENS1_30default_config_static_selectorELNS0_4arch9wavefront6targetE1EEEvT1_.has_indirect_call, 0
	.section	.AMDGPU.csdata,"",@progbits
; Kernel info:
; codeLenInByte = 0
; TotalNumSgprs: 6
; NumVgprs: 0
; NumAgprs: 0
; TotalNumVgprs: 0
; ScratchSize: 0
; MemoryBound: 0
; FloatMode: 240
; IeeeMode: 1
; LDSByteSize: 0 bytes/workgroup (compile time only)
; SGPRBlocks: 0
; VGPRBlocks: 0
; NumSGPRsForWavesPerEU: 6
; NumVGPRsForWavesPerEU: 1
; AccumOffset: 4
; Occupancy: 8
; WaveLimiterHint : 0
; COMPUTE_PGM_RSRC2:SCRATCH_EN: 0
; COMPUTE_PGM_RSRC2:USER_SGPR: 2
; COMPUTE_PGM_RSRC2:TRAP_HANDLER: 0
; COMPUTE_PGM_RSRC2:TGID_X_EN: 1
; COMPUTE_PGM_RSRC2:TGID_Y_EN: 0
; COMPUTE_PGM_RSRC2:TGID_Z_EN: 0
; COMPUTE_PGM_RSRC2:TIDIG_COMP_CNT: 0
; COMPUTE_PGM_RSRC3_GFX90A:ACCUM_OFFSET: 0
; COMPUTE_PGM_RSRC3_GFX90A:TG_SPLIT: 0
	.section	.text._ZN7rocprim17ROCPRIM_400000_NS6detail17trampoline_kernelINS0_14default_configENS1_25transform_config_selectorIsLb0EEEZNS1_14transform_implILb0ES3_S5_PsN6thrust23THRUST_200600_302600_NS10device_ptrIsEENS0_8identityIsEEEE10hipError_tT2_T3_mT4_P12ihipStream_tbEUlT_E_NS1_11comp_targetILNS1_3genE8ELNS1_11target_archE1030ELNS1_3gpuE2ELNS1_3repE0EEENS1_30default_config_static_selectorELNS0_4arch9wavefront6targetE1EEEvT1_,"axG",@progbits,_ZN7rocprim17ROCPRIM_400000_NS6detail17trampoline_kernelINS0_14default_configENS1_25transform_config_selectorIsLb0EEEZNS1_14transform_implILb0ES3_S5_PsN6thrust23THRUST_200600_302600_NS10device_ptrIsEENS0_8identityIsEEEE10hipError_tT2_T3_mT4_P12ihipStream_tbEUlT_E_NS1_11comp_targetILNS1_3genE8ELNS1_11target_archE1030ELNS1_3gpuE2ELNS1_3repE0EEENS1_30default_config_static_selectorELNS0_4arch9wavefront6targetE1EEEvT1_,comdat
	.protected	_ZN7rocprim17ROCPRIM_400000_NS6detail17trampoline_kernelINS0_14default_configENS1_25transform_config_selectorIsLb0EEEZNS1_14transform_implILb0ES3_S5_PsN6thrust23THRUST_200600_302600_NS10device_ptrIsEENS0_8identityIsEEEE10hipError_tT2_T3_mT4_P12ihipStream_tbEUlT_E_NS1_11comp_targetILNS1_3genE8ELNS1_11target_archE1030ELNS1_3gpuE2ELNS1_3repE0EEENS1_30default_config_static_selectorELNS0_4arch9wavefront6targetE1EEEvT1_ ; -- Begin function _ZN7rocprim17ROCPRIM_400000_NS6detail17trampoline_kernelINS0_14default_configENS1_25transform_config_selectorIsLb0EEEZNS1_14transform_implILb0ES3_S5_PsN6thrust23THRUST_200600_302600_NS10device_ptrIsEENS0_8identityIsEEEE10hipError_tT2_T3_mT4_P12ihipStream_tbEUlT_E_NS1_11comp_targetILNS1_3genE8ELNS1_11target_archE1030ELNS1_3gpuE2ELNS1_3repE0EEENS1_30default_config_static_selectorELNS0_4arch9wavefront6targetE1EEEvT1_
	.globl	_ZN7rocprim17ROCPRIM_400000_NS6detail17trampoline_kernelINS0_14default_configENS1_25transform_config_selectorIsLb0EEEZNS1_14transform_implILb0ES3_S5_PsN6thrust23THRUST_200600_302600_NS10device_ptrIsEENS0_8identityIsEEEE10hipError_tT2_T3_mT4_P12ihipStream_tbEUlT_E_NS1_11comp_targetILNS1_3genE8ELNS1_11target_archE1030ELNS1_3gpuE2ELNS1_3repE0EEENS1_30default_config_static_selectorELNS0_4arch9wavefront6targetE1EEEvT1_
	.p2align	8
	.type	_ZN7rocprim17ROCPRIM_400000_NS6detail17trampoline_kernelINS0_14default_configENS1_25transform_config_selectorIsLb0EEEZNS1_14transform_implILb0ES3_S5_PsN6thrust23THRUST_200600_302600_NS10device_ptrIsEENS0_8identityIsEEEE10hipError_tT2_T3_mT4_P12ihipStream_tbEUlT_E_NS1_11comp_targetILNS1_3genE8ELNS1_11target_archE1030ELNS1_3gpuE2ELNS1_3repE0EEENS1_30default_config_static_selectorELNS0_4arch9wavefront6targetE1EEEvT1_,@function
_ZN7rocprim17ROCPRIM_400000_NS6detail17trampoline_kernelINS0_14default_configENS1_25transform_config_selectorIsLb0EEEZNS1_14transform_implILb0ES3_S5_PsN6thrust23THRUST_200600_302600_NS10device_ptrIsEENS0_8identityIsEEEE10hipError_tT2_T3_mT4_P12ihipStream_tbEUlT_E_NS1_11comp_targetILNS1_3genE8ELNS1_11target_archE1030ELNS1_3gpuE2ELNS1_3repE0EEENS1_30default_config_static_selectorELNS0_4arch9wavefront6targetE1EEEvT1_: ; @_ZN7rocprim17ROCPRIM_400000_NS6detail17trampoline_kernelINS0_14default_configENS1_25transform_config_selectorIsLb0EEEZNS1_14transform_implILb0ES3_S5_PsN6thrust23THRUST_200600_302600_NS10device_ptrIsEENS0_8identityIsEEEE10hipError_tT2_T3_mT4_P12ihipStream_tbEUlT_E_NS1_11comp_targetILNS1_3genE8ELNS1_11target_archE1030ELNS1_3gpuE2ELNS1_3repE0EEENS1_30default_config_static_selectorELNS0_4arch9wavefront6targetE1EEEvT1_
; %bb.0:
	.section	.rodata,"a",@progbits
	.p2align	6, 0x0
	.amdhsa_kernel _ZN7rocprim17ROCPRIM_400000_NS6detail17trampoline_kernelINS0_14default_configENS1_25transform_config_selectorIsLb0EEEZNS1_14transform_implILb0ES3_S5_PsN6thrust23THRUST_200600_302600_NS10device_ptrIsEENS0_8identityIsEEEE10hipError_tT2_T3_mT4_P12ihipStream_tbEUlT_E_NS1_11comp_targetILNS1_3genE8ELNS1_11target_archE1030ELNS1_3gpuE2ELNS1_3repE0EEENS1_30default_config_static_selectorELNS0_4arch9wavefront6targetE1EEEvT1_
		.amdhsa_group_segment_fixed_size 0
		.amdhsa_private_segment_fixed_size 0
		.amdhsa_kernarg_size 40
		.amdhsa_user_sgpr_count 2
		.amdhsa_user_sgpr_dispatch_ptr 0
		.amdhsa_user_sgpr_queue_ptr 0
		.amdhsa_user_sgpr_kernarg_segment_ptr 1
		.amdhsa_user_sgpr_dispatch_id 0
		.amdhsa_user_sgpr_kernarg_preload_length 0
		.amdhsa_user_sgpr_kernarg_preload_offset 0
		.amdhsa_user_sgpr_private_segment_size 0
		.amdhsa_uses_dynamic_stack 0
		.amdhsa_enable_private_segment 0
		.amdhsa_system_sgpr_workgroup_id_x 1
		.amdhsa_system_sgpr_workgroup_id_y 0
		.amdhsa_system_sgpr_workgroup_id_z 0
		.amdhsa_system_sgpr_workgroup_info 0
		.amdhsa_system_vgpr_workitem_id 0
		.amdhsa_next_free_vgpr 1
		.amdhsa_next_free_sgpr 0
		.amdhsa_accum_offset 4
		.amdhsa_reserve_vcc 0
		.amdhsa_float_round_mode_32 0
		.amdhsa_float_round_mode_16_64 0
		.amdhsa_float_denorm_mode_32 3
		.amdhsa_float_denorm_mode_16_64 3
		.amdhsa_dx10_clamp 1
		.amdhsa_ieee_mode 1
		.amdhsa_fp16_overflow 0
		.amdhsa_tg_split 0
		.amdhsa_exception_fp_ieee_invalid_op 0
		.amdhsa_exception_fp_denorm_src 0
		.amdhsa_exception_fp_ieee_div_zero 0
		.amdhsa_exception_fp_ieee_overflow 0
		.amdhsa_exception_fp_ieee_underflow 0
		.amdhsa_exception_fp_ieee_inexact 0
		.amdhsa_exception_int_div_zero 0
	.end_amdhsa_kernel
	.section	.text._ZN7rocprim17ROCPRIM_400000_NS6detail17trampoline_kernelINS0_14default_configENS1_25transform_config_selectorIsLb0EEEZNS1_14transform_implILb0ES3_S5_PsN6thrust23THRUST_200600_302600_NS10device_ptrIsEENS0_8identityIsEEEE10hipError_tT2_T3_mT4_P12ihipStream_tbEUlT_E_NS1_11comp_targetILNS1_3genE8ELNS1_11target_archE1030ELNS1_3gpuE2ELNS1_3repE0EEENS1_30default_config_static_selectorELNS0_4arch9wavefront6targetE1EEEvT1_,"axG",@progbits,_ZN7rocprim17ROCPRIM_400000_NS6detail17trampoline_kernelINS0_14default_configENS1_25transform_config_selectorIsLb0EEEZNS1_14transform_implILb0ES3_S5_PsN6thrust23THRUST_200600_302600_NS10device_ptrIsEENS0_8identityIsEEEE10hipError_tT2_T3_mT4_P12ihipStream_tbEUlT_E_NS1_11comp_targetILNS1_3genE8ELNS1_11target_archE1030ELNS1_3gpuE2ELNS1_3repE0EEENS1_30default_config_static_selectorELNS0_4arch9wavefront6targetE1EEEvT1_,comdat
.Lfunc_end2355:
	.size	_ZN7rocprim17ROCPRIM_400000_NS6detail17trampoline_kernelINS0_14default_configENS1_25transform_config_selectorIsLb0EEEZNS1_14transform_implILb0ES3_S5_PsN6thrust23THRUST_200600_302600_NS10device_ptrIsEENS0_8identityIsEEEE10hipError_tT2_T3_mT4_P12ihipStream_tbEUlT_E_NS1_11comp_targetILNS1_3genE8ELNS1_11target_archE1030ELNS1_3gpuE2ELNS1_3repE0EEENS1_30default_config_static_selectorELNS0_4arch9wavefront6targetE1EEEvT1_, .Lfunc_end2355-_ZN7rocprim17ROCPRIM_400000_NS6detail17trampoline_kernelINS0_14default_configENS1_25transform_config_selectorIsLb0EEEZNS1_14transform_implILb0ES3_S5_PsN6thrust23THRUST_200600_302600_NS10device_ptrIsEENS0_8identityIsEEEE10hipError_tT2_T3_mT4_P12ihipStream_tbEUlT_E_NS1_11comp_targetILNS1_3genE8ELNS1_11target_archE1030ELNS1_3gpuE2ELNS1_3repE0EEENS1_30default_config_static_selectorELNS0_4arch9wavefront6targetE1EEEvT1_
                                        ; -- End function
	.set _ZN7rocprim17ROCPRIM_400000_NS6detail17trampoline_kernelINS0_14default_configENS1_25transform_config_selectorIsLb0EEEZNS1_14transform_implILb0ES3_S5_PsN6thrust23THRUST_200600_302600_NS10device_ptrIsEENS0_8identityIsEEEE10hipError_tT2_T3_mT4_P12ihipStream_tbEUlT_E_NS1_11comp_targetILNS1_3genE8ELNS1_11target_archE1030ELNS1_3gpuE2ELNS1_3repE0EEENS1_30default_config_static_selectorELNS0_4arch9wavefront6targetE1EEEvT1_.num_vgpr, 0
	.set _ZN7rocprim17ROCPRIM_400000_NS6detail17trampoline_kernelINS0_14default_configENS1_25transform_config_selectorIsLb0EEEZNS1_14transform_implILb0ES3_S5_PsN6thrust23THRUST_200600_302600_NS10device_ptrIsEENS0_8identityIsEEEE10hipError_tT2_T3_mT4_P12ihipStream_tbEUlT_E_NS1_11comp_targetILNS1_3genE8ELNS1_11target_archE1030ELNS1_3gpuE2ELNS1_3repE0EEENS1_30default_config_static_selectorELNS0_4arch9wavefront6targetE1EEEvT1_.num_agpr, 0
	.set _ZN7rocprim17ROCPRIM_400000_NS6detail17trampoline_kernelINS0_14default_configENS1_25transform_config_selectorIsLb0EEEZNS1_14transform_implILb0ES3_S5_PsN6thrust23THRUST_200600_302600_NS10device_ptrIsEENS0_8identityIsEEEE10hipError_tT2_T3_mT4_P12ihipStream_tbEUlT_E_NS1_11comp_targetILNS1_3genE8ELNS1_11target_archE1030ELNS1_3gpuE2ELNS1_3repE0EEENS1_30default_config_static_selectorELNS0_4arch9wavefront6targetE1EEEvT1_.numbered_sgpr, 0
	.set _ZN7rocprim17ROCPRIM_400000_NS6detail17trampoline_kernelINS0_14default_configENS1_25transform_config_selectorIsLb0EEEZNS1_14transform_implILb0ES3_S5_PsN6thrust23THRUST_200600_302600_NS10device_ptrIsEENS0_8identityIsEEEE10hipError_tT2_T3_mT4_P12ihipStream_tbEUlT_E_NS1_11comp_targetILNS1_3genE8ELNS1_11target_archE1030ELNS1_3gpuE2ELNS1_3repE0EEENS1_30default_config_static_selectorELNS0_4arch9wavefront6targetE1EEEvT1_.num_named_barrier, 0
	.set _ZN7rocprim17ROCPRIM_400000_NS6detail17trampoline_kernelINS0_14default_configENS1_25transform_config_selectorIsLb0EEEZNS1_14transform_implILb0ES3_S5_PsN6thrust23THRUST_200600_302600_NS10device_ptrIsEENS0_8identityIsEEEE10hipError_tT2_T3_mT4_P12ihipStream_tbEUlT_E_NS1_11comp_targetILNS1_3genE8ELNS1_11target_archE1030ELNS1_3gpuE2ELNS1_3repE0EEENS1_30default_config_static_selectorELNS0_4arch9wavefront6targetE1EEEvT1_.private_seg_size, 0
	.set _ZN7rocprim17ROCPRIM_400000_NS6detail17trampoline_kernelINS0_14default_configENS1_25transform_config_selectorIsLb0EEEZNS1_14transform_implILb0ES3_S5_PsN6thrust23THRUST_200600_302600_NS10device_ptrIsEENS0_8identityIsEEEE10hipError_tT2_T3_mT4_P12ihipStream_tbEUlT_E_NS1_11comp_targetILNS1_3genE8ELNS1_11target_archE1030ELNS1_3gpuE2ELNS1_3repE0EEENS1_30default_config_static_selectorELNS0_4arch9wavefront6targetE1EEEvT1_.uses_vcc, 0
	.set _ZN7rocprim17ROCPRIM_400000_NS6detail17trampoline_kernelINS0_14default_configENS1_25transform_config_selectorIsLb0EEEZNS1_14transform_implILb0ES3_S5_PsN6thrust23THRUST_200600_302600_NS10device_ptrIsEENS0_8identityIsEEEE10hipError_tT2_T3_mT4_P12ihipStream_tbEUlT_E_NS1_11comp_targetILNS1_3genE8ELNS1_11target_archE1030ELNS1_3gpuE2ELNS1_3repE0EEENS1_30default_config_static_selectorELNS0_4arch9wavefront6targetE1EEEvT1_.uses_flat_scratch, 0
	.set _ZN7rocprim17ROCPRIM_400000_NS6detail17trampoline_kernelINS0_14default_configENS1_25transform_config_selectorIsLb0EEEZNS1_14transform_implILb0ES3_S5_PsN6thrust23THRUST_200600_302600_NS10device_ptrIsEENS0_8identityIsEEEE10hipError_tT2_T3_mT4_P12ihipStream_tbEUlT_E_NS1_11comp_targetILNS1_3genE8ELNS1_11target_archE1030ELNS1_3gpuE2ELNS1_3repE0EEENS1_30default_config_static_selectorELNS0_4arch9wavefront6targetE1EEEvT1_.has_dyn_sized_stack, 0
	.set _ZN7rocprim17ROCPRIM_400000_NS6detail17trampoline_kernelINS0_14default_configENS1_25transform_config_selectorIsLb0EEEZNS1_14transform_implILb0ES3_S5_PsN6thrust23THRUST_200600_302600_NS10device_ptrIsEENS0_8identityIsEEEE10hipError_tT2_T3_mT4_P12ihipStream_tbEUlT_E_NS1_11comp_targetILNS1_3genE8ELNS1_11target_archE1030ELNS1_3gpuE2ELNS1_3repE0EEENS1_30default_config_static_selectorELNS0_4arch9wavefront6targetE1EEEvT1_.has_recursion, 0
	.set _ZN7rocprim17ROCPRIM_400000_NS6detail17trampoline_kernelINS0_14default_configENS1_25transform_config_selectorIsLb0EEEZNS1_14transform_implILb0ES3_S5_PsN6thrust23THRUST_200600_302600_NS10device_ptrIsEENS0_8identityIsEEEE10hipError_tT2_T3_mT4_P12ihipStream_tbEUlT_E_NS1_11comp_targetILNS1_3genE8ELNS1_11target_archE1030ELNS1_3gpuE2ELNS1_3repE0EEENS1_30default_config_static_selectorELNS0_4arch9wavefront6targetE1EEEvT1_.has_indirect_call, 0
	.section	.AMDGPU.csdata,"",@progbits
; Kernel info:
; codeLenInByte = 0
; TotalNumSgprs: 6
; NumVgprs: 0
; NumAgprs: 0
; TotalNumVgprs: 0
; ScratchSize: 0
; MemoryBound: 0
; FloatMode: 240
; IeeeMode: 1
; LDSByteSize: 0 bytes/workgroup (compile time only)
; SGPRBlocks: 0
; VGPRBlocks: 0
; NumSGPRsForWavesPerEU: 6
; NumVGPRsForWavesPerEU: 1
; AccumOffset: 4
; Occupancy: 8
; WaveLimiterHint : 0
; COMPUTE_PGM_RSRC2:SCRATCH_EN: 0
; COMPUTE_PGM_RSRC2:USER_SGPR: 2
; COMPUTE_PGM_RSRC2:TRAP_HANDLER: 0
; COMPUTE_PGM_RSRC2:TGID_X_EN: 1
; COMPUTE_PGM_RSRC2:TGID_Y_EN: 0
; COMPUTE_PGM_RSRC2:TGID_Z_EN: 0
; COMPUTE_PGM_RSRC2:TIDIG_COMP_CNT: 0
; COMPUTE_PGM_RSRC3_GFX90A:ACCUM_OFFSET: 0
; COMPUTE_PGM_RSRC3_GFX90A:TG_SPLIT: 0
	.section	.text._ZN7rocprim17ROCPRIM_400000_NS6detail17trampoline_kernelINS0_14default_configENS1_38merge_sort_block_merge_config_selectorIisEEZZNS1_27merge_sort_block_merge_implIS3_N6thrust23THRUST_200600_302600_NS10device_ptrIiEENS9_IsEEjNS1_19radix_merge_compareILb0ELb1EiNS0_19identity_decomposerEEEEE10hipError_tT0_T1_T2_jT3_P12ihipStream_tbPNSt15iterator_traitsISG_E10value_typeEPNSM_ISH_E10value_typeEPSI_NS1_7vsmem_tEENKUlT_SG_SH_SI_E_clIPiSA_PsSB_EESF_SV_SG_SH_SI_EUlSV_E_NS1_11comp_targetILNS1_3genE0ELNS1_11target_archE4294967295ELNS1_3gpuE0ELNS1_3repE0EEENS1_48merge_mergepath_partition_config_static_selectorELNS0_4arch9wavefront6targetE1EEEvSH_,"axG",@progbits,_ZN7rocprim17ROCPRIM_400000_NS6detail17trampoline_kernelINS0_14default_configENS1_38merge_sort_block_merge_config_selectorIisEEZZNS1_27merge_sort_block_merge_implIS3_N6thrust23THRUST_200600_302600_NS10device_ptrIiEENS9_IsEEjNS1_19radix_merge_compareILb0ELb1EiNS0_19identity_decomposerEEEEE10hipError_tT0_T1_T2_jT3_P12ihipStream_tbPNSt15iterator_traitsISG_E10value_typeEPNSM_ISH_E10value_typeEPSI_NS1_7vsmem_tEENKUlT_SG_SH_SI_E_clIPiSA_PsSB_EESF_SV_SG_SH_SI_EUlSV_E_NS1_11comp_targetILNS1_3genE0ELNS1_11target_archE4294967295ELNS1_3gpuE0ELNS1_3repE0EEENS1_48merge_mergepath_partition_config_static_selectorELNS0_4arch9wavefront6targetE1EEEvSH_,comdat
	.protected	_ZN7rocprim17ROCPRIM_400000_NS6detail17trampoline_kernelINS0_14default_configENS1_38merge_sort_block_merge_config_selectorIisEEZZNS1_27merge_sort_block_merge_implIS3_N6thrust23THRUST_200600_302600_NS10device_ptrIiEENS9_IsEEjNS1_19radix_merge_compareILb0ELb1EiNS0_19identity_decomposerEEEEE10hipError_tT0_T1_T2_jT3_P12ihipStream_tbPNSt15iterator_traitsISG_E10value_typeEPNSM_ISH_E10value_typeEPSI_NS1_7vsmem_tEENKUlT_SG_SH_SI_E_clIPiSA_PsSB_EESF_SV_SG_SH_SI_EUlSV_E_NS1_11comp_targetILNS1_3genE0ELNS1_11target_archE4294967295ELNS1_3gpuE0ELNS1_3repE0EEENS1_48merge_mergepath_partition_config_static_selectorELNS0_4arch9wavefront6targetE1EEEvSH_ ; -- Begin function _ZN7rocprim17ROCPRIM_400000_NS6detail17trampoline_kernelINS0_14default_configENS1_38merge_sort_block_merge_config_selectorIisEEZZNS1_27merge_sort_block_merge_implIS3_N6thrust23THRUST_200600_302600_NS10device_ptrIiEENS9_IsEEjNS1_19radix_merge_compareILb0ELb1EiNS0_19identity_decomposerEEEEE10hipError_tT0_T1_T2_jT3_P12ihipStream_tbPNSt15iterator_traitsISG_E10value_typeEPNSM_ISH_E10value_typeEPSI_NS1_7vsmem_tEENKUlT_SG_SH_SI_E_clIPiSA_PsSB_EESF_SV_SG_SH_SI_EUlSV_E_NS1_11comp_targetILNS1_3genE0ELNS1_11target_archE4294967295ELNS1_3gpuE0ELNS1_3repE0EEENS1_48merge_mergepath_partition_config_static_selectorELNS0_4arch9wavefront6targetE1EEEvSH_
	.globl	_ZN7rocprim17ROCPRIM_400000_NS6detail17trampoline_kernelINS0_14default_configENS1_38merge_sort_block_merge_config_selectorIisEEZZNS1_27merge_sort_block_merge_implIS3_N6thrust23THRUST_200600_302600_NS10device_ptrIiEENS9_IsEEjNS1_19radix_merge_compareILb0ELb1EiNS0_19identity_decomposerEEEEE10hipError_tT0_T1_T2_jT3_P12ihipStream_tbPNSt15iterator_traitsISG_E10value_typeEPNSM_ISH_E10value_typeEPSI_NS1_7vsmem_tEENKUlT_SG_SH_SI_E_clIPiSA_PsSB_EESF_SV_SG_SH_SI_EUlSV_E_NS1_11comp_targetILNS1_3genE0ELNS1_11target_archE4294967295ELNS1_3gpuE0ELNS1_3repE0EEENS1_48merge_mergepath_partition_config_static_selectorELNS0_4arch9wavefront6targetE1EEEvSH_
	.p2align	8
	.type	_ZN7rocprim17ROCPRIM_400000_NS6detail17trampoline_kernelINS0_14default_configENS1_38merge_sort_block_merge_config_selectorIisEEZZNS1_27merge_sort_block_merge_implIS3_N6thrust23THRUST_200600_302600_NS10device_ptrIiEENS9_IsEEjNS1_19radix_merge_compareILb0ELb1EiNS0_19identity_decomposerEEEEE10hipError_tT0_T1_T2_jT3_P12ihipStream_tbPNSt15iterator_traitsISG_E10value_typeEPNSM_ISH_E10value_typeEPSI_NS1_7vsmem_tEENKUlT_SG_SH_SI_E_clIPiSA_PsSB_EESF_SV_SG_SH_SI_EUlSV_E_NS1_11comp_targetILNS1_3genE0ELNS1_11target_archE4294967295ELNS1_3gpuE0ELNS1_3repE0EEENS1_48merge_mergepath_partition_config_static_selectorELNS0_4arch9wavefront6targetE1EEEvSH_,@function
_ZN7rocprim17ROCPRIM_400000_NS6detail17trampoline_kernelINS0_14default_configENS1_38merge_sort_block_merge_config_selectorIisEEZZNS1_27merge_sort_block_merge_implIS3_N6thrust23THRUST_200600_302600_NS10device_ptrIiEENS9_IsEEjNS1_19radix_merge_compareILb0ELb1EiNS0_19identity_decomposerEEEEE10hipError_tT0_T1_T2_jT3_P12ihipStream_tbPNSt15iterator_traitsISG_E10value_typeEPNSM_ISH_E10value_typeEPSI_NS1_7vsmem_tEENKUlT_SG_SH_SI_E_clIPiSA_PsSB_EESF_SV_SG_SH_SI_EUlSV_E_NS1_11comp_targetILNS1_3genE0ELNS1_11target_archE4294967295ELNS1_3gpuE0ELNS1_3repE0EEENS1_48merge_mergepath_partition_config_static_selectorELNS0_4arch9wavefront6targetE1EEEvSH_: ; @_ZN7rocprim17ROCPRIM_400000_NS6detail17trampoline_kernelINS0_14default_configENS1_38merge_sort_block_merge_config_selectorIisEEZZNS1_27merge_sort_block_merge_implIS3_N6thrust23THRUST_200600_302600_NS10device_ptrIiEENS9_IsEEjNS1_19radix_merge_compareILb0ELb1EiNS0_19identity_decomposerEEEEE10hipError_tT0_T1_T2_jT3_P12ihipStream_tbPNSt15iterator_traitsISG_E10value_typeEPNSM_ISH_E10value_typeEPSI_NS1_7vsmem_tEENKUlT_SG_SH_SI_E_clIPiSA_PsSB_EESF_SV_SG_SH_SI_EUlSV_E_NS1_11comp_targetILNS1_3genE0ELNS1_11target_archE4294967295ELNS1_3gpuE0ELNS1_3repE0EEENS1_48merge_mergepath_partition_config_static_selectorELNS0_4arch9wavefront6targetE1EEEvSH_
; %bb.0:
	s_load_dword s3, s[0:1], 0x0
	v_lshl_or_b32 v0, s2, 7, v0
	s_waitcnt lgkmcnt(0)
	v_cmp_gt_u32_e32 vcc, s3, v0
	s_and_saveexec_b64 s[2:3], vcc
	s_cbranch_execz .LBB2356_6
; %bb.1:
	s_load_dwordx2 s[4:5], s[0:1], 0x4
	s_load_dwordx2 s[2:3], s[0:1], 0x20
	s_waitcnt lgkmcnt(0)
	s_lshr_b32 s6, s4, 9
	s_and_b32 s6, s6, 0x7ffffe
	s_add_i32 s7, s6, -1
	s_sub_i32 s6, 0, s6
	v_and_b32_e32 v1, s6, v0
	v_lshlrev_b32_e32 v1, 10, v1
	v_min_u32_e32 v2, s5, v1
	v_add_u32_e32 v1, s4, v1
	v_min_u32_e32 v4, s5, v1
	v_add_u32_e32 v1, s4, v4
	v_and_b32_e32 v3, s7, v0
	v_min_u32_e32 v1, s5, v1
	v_sub_u32_e32 v5, v1, v2
	v_lshlrev_b32_e32 v3, 10, v3
	v_min_u32_e32 v10, v5, v3
	v_sub_u32_e32 v3, v4, v2
	v_sub_u32_e32 v1, v1, v4
	v_sub_u32_e64 v1, v10, v1 clamp
	v_min_u32_e32 v11, v10, v3
	v_cmp_lt_u32_e32 vcc, v1, v11
	s_and_saveexec_b64 s[4:5], vcc
	s_cbranch_execz .LBB2356_5
; %bb.2:
	s_load_dwordx2 s[8:9], s[0:1], 0x10
	s_load_dword s6, s[0:1], 0x18
	v_mov_b32_e32 v5, 0
	v_mov_b32_e32 v3, v5
	s_mov_b64 s[0:1], 0
	s_waitcnt lgkmcnt(0)
	v_lshl_add_u64 v[6:7], v[2:3], 2, s[8:9]
	v_lshl_add_u64 v[8:9], v[4:5], 2, s[8:9]
.LBB2356_3:                             ; =>This Inner Loop Header: Depth=1
	v_add_u32_e32 v3, v11, v1
	v_lshrrev_b32_e32 v4, 1, v3
	v_mov_b32_e32 v13, v5
	v_xad_u32 v12, v4, -1, v10
	v_lshl_add_u64 v[14:15], v[4:5], 2, v[6:7]
	v_lshl_add_u64 v[12:13], v[12:13], 2, v[8:9]
	global_load_dword v3, v[14:15], off
	global_load_dword v16, v[12:13], off
	v_add_u32_e32 v12, 1, v4
	s_waitcnt vmcnt(1)
	v_and_b32_e32 v3, s6, v3
	s_waitcnt vmcnt(0)
	v_and_b32_e32 v13, s6, v16
	v_cmp_gt_i32_e32 vcc, v3, v13
	s_nop 1
	v_cndmask_b32_e32 v11, v11, v4, vcc
	v_cndmask_b32_e32 v1, v12, v1, vcc
	v_cmp_ge_u32_e32 vcc, v1, v11
	s_or_b64 s[0:1], vcc, s[0:1]
	s_andn2_b64 exec, exec, s[0:1]
	s_cbranch_execnz .LBB2356_3
; %bb.4:
	s_or_b64 exec, exec, s[0:1]
.LBB2356_5:
	s_or_b64 exec, exec, s[4:5]
	v_add_u32_e32 v2, v1, v2
	v_mov_b32_e32 v1, 0
	v_lshl_add_u64 v[0:1], v[0:1], 2, s[2:3]
	global_store_dword v[0:1], v2, off
.LBB2356_6:
	s_endpgm
	.section	.rodata,"a",@progbits
	.p2align	6, 0x0
	.amdhsa_kernel _ZN7rocprim17ROCPRIM_400000_NS6detail17trampoline_kernelINS0_14default_configENS1_38merge_sort_block_merge_config_selectorIisEEZZNS1_27merge_sort_block_merge_implIS3_N6thrust23THRUST_200600_302600_NS10device_ptrIiEENS9_IsEEjNS1_19radix_merge_compareILb0ELb1EiNS0_19identity_decomposerEEEEE10hipError_tT0_T1_T2_jT3_P12ihipStream_tbPNSt15iterator_traitsISG_E10value_typeEPNSM_ISH_E10value_typeEPSI_NS1_7vsmem_tEENKUlT_SG_SH_SI_E_clIPiSA_PsSB_EESF_SV_SG_SH_SI_EUlSV_E_NS1_11comp_targetILNS1_3genE0ELNS1_11target_archE4294967295ELNS1_3gpuE0ELNS1_3repE0EEENS1_48merge_mergepath_partition_config_static_selectorELNS0_4arch9wavefront6targetE1EEEvSH_
		.amdhsa_group_segment_fixed_size 0
		.amdhsa_private_segment_fixed_size 0
		.amdhsa_kernarg_size 40
		.amdhsa_user_sgpr_count 2
		.amdhsa_user_sgpr_dispatch_ptr 0
		.amdhsa_user_sgpr_queue_ptr 0
		.amdhsa_user_sgpr_kernarg_segment_ptr 1
		.amdhsa_user_sgpr_dispatch_id 0
		.amdhsa_user_sgpr_kernarg_preload_length 0
		.amdhsa_user_sgpr_kernarg_preload_offset 0
		.amdhsa_user_sgpr_private_segment_size 0
		.amdhsa_uses_dynamic_stack 0
		.amdhsa_enable_private_segment 0
		.amdhsa_system_sgpr_workgroup_id_x 1
		.amdhsa_system_sgpr_workgroup_id_y 0
		.amdhsa_system_sgpr_workgroup_id_z 0
		.amdhsa_system_sgpr_workgroup_info 0
		.amdhsa_system_vgpr_workitem_id 0
		.amdhsa_next_free_vgpr 17
		.amdhsa_next_free_sgpr 10
		.amdhsa_accum_offset 20
		.amdhsa_reserve_vcc 1
		.amdhsa_float_round_mode_32 0
		.amdhsa_float_round_mode_16_64 0
		.amdhsa_float_denorm_mode_32 3
		.amdhsa_float_denorm_mode_16_64 3
		.amdhsa_dx10_clamp 1
		.amdhsa_ieee_mode 1
		.amdhsa_fp16_overflow 0
		.amdhsa_tg_split 0
		.amdhsa_exception_fp_ieee_invalid_op 0
		.amdhsa_exception_fp_denorm_src 0
		.amdhsa_exception_fp_ieee_div_zero 0
		.amdhsa_exception_fp_ieee_overflow 0
		.amdhsa_exception_fp_ieee_underflow 0
		.amdhsa_exception_fp_ieee_inexact 0
		.amdhsa_exception_int_div_zero 0
	.end_amdhsa_kernel
	.section	.text._ZN7rocprim17ROCPRIM_400000_NS6detail17trampoline_kernelINS0_14default_configENS1_38merge_sort_block_merge_config_selectorIisEEZZNS1_27merge_sort_block_merge_implIS3_N6thrust23THRUST_200600_302600_NS10device_ptrIiEENS9_IsEEjNS1_19radix_merge_compareILb0ELb1EiNS0_19identity_decomposerEEEEE10hipError_tT0_T1_T2_jT3_P12ihipStream_tbPNSt15iterator_traitsISG_E10value_typeEPNSM_ISH_E10value_typeEPSI_NS1_7vsmem_tEENKUlT_SG_SH_SI_E_clIPiSA_PsSB_EESF_SV_SG_SH_SI_EUlSV_E_NS1_11comp_targetILNS1_3genE0ELNS1_11target_archE4294967295ELNS1_3gpuE0ELNS1_3repE0EEENS1_48merge_mergepath_partition_config_static_selectorELNS0_4arch9wavefront6targetE1EEEvSH_,"axG",@progbits,_ZN7rocprim17ROCPRIM_400000_NS6detail17trampoline_kernelINS0_14default_configENS1_38merge_sort_block_merge_config_selectorIisEEZZNS1_27merge_sort_block_merge_implIS3_N6thrust23THRUST_200600_302600_NS10device_ptrIiEENS9_IsEEjNS1_19radix_merge_compareILb0ELb1EiNS0_19identity_decomposerEEEEE10hipError_tT0_T1_T2_jT3_P12ihipStream_tbPNSt15iterator_traitsISG_E10value_typeEPNSM_ISH_E10value_typeEPSI_NS1_7vsmem_tEENKUlT_SG_SH_SI_E_clIPiSA_PsSB_EESF_SV_SG_SH_SI_EUlSV_E_NS1_11comp_targetILNS1_3genE0ELNS1_11target_archE4294967295ELNS1_3gpuE0ELNS1_3repE0EEENS1_48merge_mergepath_partition_config_static_selectorELNS0_4arch9wavefront6targetE1EEEvSH_,comdat
.Lfunc_end2356:
	.size	_ZN7rocprim17ROCPRIM_400000_NS6detail17trampoline_kernelINS0_14default_configENS1_38merge_sort_block_merge_config_selectorIisEEZZNS1_27merge_sort_block_merge_implIS3_N6thrust23THRUST_200600_302600_NS10device_ptrIiEENS9_IsEEjNS1_19radix_merge_compareILb0ELb1EiNS0_19identity_decomposerEEEEE10hipError_tT0_T1_T2_jT3_P12ihipStream_tbPNSt15iterator_traitsISG_E10value_typeEPNSM_ISH_E10value_typeEPSI_NS1_7vsmem_tEENKUlT_SG_SH_SI_E_clIPiSA_PsSB_EESF_SV_SG_SH_SI_EUlSV_E_NS1_11comp_targetILNS1_3genE0ELNS1_11target_archE4294967295ELNS1_3gpuE0ELNS1_3repE0EEENS1_48merge_mergepath_partition_config_static_selectorELNS0_4arch9wavefront6targetE1EEEvSH_, .Lfunc_end2356-_ZN7rocprim17ROCPRIM_400000_NS6detail17trampoline_kernelINS0_14default_configENS1_38merge_sort_block_merge_config_selectorIisEEZZNS1_27merge_sort_block_merge_implIS3_N6thrust23THRUST_200600_302600_NS10device_ptrIiEENS9_IsEEjNS1_19radix_merge_compareILb0ELb1EiNS0_19identity_decomposerEEEEE10hipError_tT0_T1_T2_jT3_P12ihipStream_tbPNSt15iterator_traitsISG_E10value_typeEPNSM_ISH_E10value_typeEPSI_NS1_7vsmem_tEENKUlT_SG_SH_SI_E_clIPiSA_PsSB_EESF_SV_SG_SH_SI_EUlSV_E_NS1_11comp_targetILNS1_3genE0ELNS1_11target_archE4294967295ELNS1_3gpuE0ELNS1_3repE0EEENS1_48merge_mergepath_partition_config_static_selectorELNS0_4arch9wavefront6targetE1EEEvSH_
                                        ; -- End function
	.set _ZN7rocprim17ROCPRIM_400000_NS6detail17trampoline_kernelINS0_14default_configENS1_38merge_sort_block_merge_config_selectorIisEEZZNS1_27merge_sort_block_merge_implIS3_N6thrust23THRUST_200600_302600_NS10device_ptrIiEENS9_IsEEjNS1_19radix_merge_compareILb0ELb1EiNS0_19identity_decomposerEEEEE10hipError_tT0_T1_T2_jT3_P12ihipStream_tbPNSt15iterator_traitsISG_E10value_typeEPNSM_ISH_E10value_typeEPSI_NS1_7vsmem_tEENKUlT_SG_SH_SI_E_clIPiSA_PsSB_EESF_SV_SG_SH_SI_EUlSV_E_NS1_11comp_targetILNS1_3genE0ELNS1_11target_archE4294967295ELNS1_3gpuE0ELNS1_3repE0EEENS1_48merge_mergepath_partition_config_static_selectorELNS0_4arch9wavefront6targetE1EEEvSH_.num_vgpr, 17
	.set _ZN7rocprim17ROCPRIM_400000_NS6detail17trampoline_kernelINS0_14default_configENS1_38merge_sort_block_merge_config_selectorIisEEZZNS1_27merge_sort_block_merge_implIS3_N6thrust23THRUST_200600_302600_NS10device_ptrIiEENS9_IsEEjNS1_19radix_merge_compareILb0ELb1EiNS0_19identity_decomposerEEEEE10hipError_tT0_T1_T2_jT3_P12ihipStream_tbPNSt15iterator_traitsISG_E10value_typeEPNSM_ISH_E10value_typeEPSI_NS1_7vsmem_tEENKUlT_SG_SH_SI_E_clIPiSA_PsSB_EESF_SV_SG_SH_SI_EUlSV_E_NS1_11comp_targetILNS1_3genE0ELNS1_11target_archE4294967295ELNS1_3gpuE0ELNS1_3repE0EEENS1_48merge_mergepath_partition_config_static_selectorELNS0_4arch9wavefront6targetE1EEEvSH_.num_agpr, 0
	.set _ZN7rocprim17ROCPRIM_400000_NS6detail17trampoline_kernelINS0_14default_configENS1_38merge_sort_block_merge_config_selectorIisEEZZNS1_27merge_sort_block_merge_implIS3_N6thrust23THRUST_200600_302600_NS10device_ptrIiEENS9_IsEEjNS1_19radix_merge_compareILb0ELb1EiNS0_19identity_decomposerEEEEE10hipError_tT0_T1_T2_jT3_P12ihipStream_tbPNSt15iterator_traitsISG_E10value_typeEPNSM_ISH_E10value_typeEPSI_NS1_7vsmem_tEENKUlT_SG_SH_SI_E_clIPiSA_PsSB_EESF_SV_SG_SH_SI_EUlSV_E_NS1_11comp_targetILNS1_3genE0ELNS1_11target_archE4294967295ELNS1_3gpuE0ELNS1_3repE0EEENS1_48merge_mergepath_partition_config_static_selectorELNS0_4arch9wavefront6targetE1EEEvSH_.numbered_sgpr, 10
	.set _ZN7rocprim17ROCPRIM_400000_NS6detail17trampoline_kernelINS0_14default_configENS1_38merge_sort_block_merge_config_selectorIisEEZZNS1_27merge_sort_block_merge_implIS3_N6thrust23THRUST_200600_302600_NS10device_ptrIiEENS9_IsEEjNS1_19radix_merge_compareILb0ELb1EiNS0_19identity_decomposerEEEEE10hipError_tT0_T1_T2_jT3_P12ihipStream_tbPNSt15iterator_traitsISG_E10value_typeEPNSM_ISH_E10value_typeEPSI_NS1_7vsmem_tEENKUlT_SG_SH_SI_E_clIPiSA_PsSB_EESF_SV_SG_SH_SI_EUlSV_E_NS1_11comp_targetILNS1_3genE0ELNS1_11target_archE4294967295ELNS1_3gpuE0ELNS1_3repE0EEENS1_48merge_mergepath_partition_config_static_selectorELNS0_4arch9wavefront6targetE1EEEvSH_.num_named_barrier, 0
	.set _ZN7rocprim17ROCPRIM_400000_NS6detail17trampoline_kernelINS0_14default_configENS1_38merge_sort_block_merge_config_selectorIisEEZZNS1_27merge_sort_block_merge_implIS3_N6thrust23THRUST_200600_302600_NS10device_ptrIiEENS9_IsEEjNS1_19radix_merge_compareILb0ELb1EiNS0_19identity_decomposerEEEEE10hipError_tT0_T1_T2_jT3_P12ihipStream_tbPNSt15iterator_traitsISG_E10value_typeEPNSM_ISH_E10value_typeEPSI_NS1_7vsmem_tEENKUlT_SG_SH_SI_E_clIPiSA_PsSB_EESF_SV_SG_SH_SI_EUlSV_E_NS1_11comp_targetILNS1_3genE0ELNS1_11target_archE4294967295ELNS1_3gpuE0ELNS1_3repE0EEENS1_48merge_mergepath_partition_config_static_selectorELNS0_4arch9wavefront6targetE1EEEvSH_.private_seg_size, 0
	.set _ZN7rocprim17ROCPRIM_400000_NS6detail17trampoline_kernelINS0_14default_configENS1_38merge_sort_block_merge_config_selectorIisEEZZNS1_27merge_sort_block_merge_implIS3_N6thrust23THRUST_200600_302600_NS10device_ptrIiEENS9_IsEEjNS1_19radix_merge_compareILb0ELb1EiNS0_19identity_decomposerEEEEE10hipError_tT0_T1_T2_jT3_P12ihipStream_tbPNSt15iterator_traitsISG_E10value_typeEPNSM_ISH_E10value_typeEPSI_NS1_7vsmem_tEENKUlT_SG_SH_SI_E_clIPiSA_PsSB_EESF_SV_SG_SH_SI_EUlSV_E_NS1_11comp_targetILNS1_3genE0ELNS1_11target_archE4294967295ELNS1_3gpuE0ELNS1_3repE0EEENS1_48merge_mergepath_partition_config_static_selectorELNS0_4arch9wavefront6targetE1EEEvSH_.uses_vcc, 1
	.set _ZN7rocprim17ROCPRIM_400000_NS6detail17trampoline_kernelINS0_14default_configENS1_38merge_sort_block_merge_config_selectorIisEEZZNS1_27merge_sort_block_merge_implIS3_N6thrust23THRUST_200600_302600_NS10device_ptrIiEENS9_IsEEjNS1_19radix_merge_compareILb0ELb1EiNS0_19identity_decomposerEEEEE10hipError_tT0_T1_T2_jT3_P12ihipStream_tbPNSt15iterator_traitsISG_E10value_typeEPNSM_ISH_E10value_typeEPSI_NS1_7vsmem_tEENKUlT_SG_SH_SI_E_clIPiSA_PsSB_EESF_SV_SG_SH_SI_EUlSV_E_NS1_11comp_targetILNS1_3genE0ELNS1_11target_archE4294967295ELNS1_3gpuE0ELNS1_3repE0EEENS1_48merge_mergepath_partition_config_static_selectorELNS0_4arch9wavefront6targetE1EEEvSH_.uses_flat_scratch, 0
	.set _ZN7rocprim17ROCPRIM_400000_NS6detail17trampoline_kernelINS0_14default_configENS1_38merge_sort_block_merge_config_selectorIisEEZZNS1_27merge_sort_block_merge_implIS3_N6thrust23THRUST_200600_302600_NS10device_ptrIiEENS9_IsEEjNS1_19radix_merge_compareILb0ELb1EiNS0_19identity_decomposerEEEEE10hipError_tT0_T1_T2_jT3_P12ihipStream_tbPNSt15iterator_traitsISG_E10value_typeEPNSM_ISH_E10value_typeEPSI_NS1_7vsmem_tEENKUlT_SG_SH_SI_E_clIPiSA_PsSB_EESF_SV_SG_SH_SI_EUlSV_E_NS1_11comp_targetILNS1_3genE0ELNS1_11target_archE4294967295ELNS1_3gpuE0ELNS1_3repE0EEENS1_48merge_mergepath_partition_config_static_selectorELNS0_4arch9wavefront6targetE1EEEvSH_.has_dyn_sized_stack, 0
	.set _ZN7rocprim17ROCPRIM_400000_NS6detail17trampoline_kernelINS0_14default_configENS1_38merge_sort_block_merge_config_selectorIisEEZZNS1_27merge_sort_block_merge_implIS3_N6thrust23THRUST_200600_302600_NS10device_ptrIiEENS9_IsEEjNS1_19radix_merge_compareILb0ELb1EiNS0_19identity_decomposerEEEEE10hipError_tT0_T1_T2_jT3_P12ihipStream_tbPNSt15iterator_traitsISG_E10value_typeEPNSM_ISH_E10value_typeEPSI_NS1_7vsmem_tEENKUlT_SG_SH_SI_E_clIPiSA_PsSB_EESF_SV_SG_SH_SI_EUlSV_E_NS1_11comp_targetILNS1_3genE0ELNS1_11target_archE4294967295ELNS1_3gpuE0ELNS1_3repE0EEENS1_48merge_mergepath_partition_config_static_selectorELNS0_4arch9wavefront6targetE1EEEvSH_.has_recursion, 0
	.set _ZN7rocprim17ROCPRIM_400000_NS6detail17trampoline_kernelINS0_14default_configENS1_38merge_sort_block_merge_config_selectorIisEEZZNS1_27merge_sort_block_merge_implIS3_N6thrust23THRUST_200600_302600_NS10device_ptrIiEENS9_IsEEjNS1_19radix_merge_compareILb0ELb1EiNS0_19identity_decomposerEEEEE10hipError_tT0_T1_T2_jT3_P12ihipStream_tbPNSt15iterator_traitsISG_E10value_typeEPNSM_ISH_E10value_typeEPSI_NS1_7vsmem_tEENKUlT_SG_SH_SI_E_clIPiSA_PsSB_EESF_SV_SG_SH_SI_EUlSV_E_NS1_11comp_targetILNS1_3genE0ELNS1_11target_archE4294967295ELNS1_3gpuE0ELNS1_3repE0EEENS1_48merge_mergepath_partition_config_static_selectorELNS0_4arch9wavefront6targetE1EEEvSH_.has_indirect_call, 0
	.section	.AMDGPU.csdata,"",@progbits
; Kernel info:
; codeLenInByte = 336
; TotalNumSgprs: 16
; NumVgprs: 17
; NumAgprs: 0
; TotalNumVgprs: 17
; ScratchSize: 0
; MemoryBound: 0
; FloatMode: 240
; IeeeMode: 1
; LDSByteSize: 0 bytes/workgroup (compile time only)
; SGPRBlocks: 1
; VGPRBlocks: 2
; NumSGPRsForWavesPerEU: 16
; NumVGPRsForWavesPerEU: 17
; AccumOffset: 20
; Occupancy: 8
; WaveLimiterHint : 0
; COMPUTE_PGM_RSRC2:SCRATCH_EN: 0
; COMPUTE_PGM_RSRC2:USER_SGPR: 2
; COMPUTE_PGM_RSRC2:TRAP_HANDLER: 0
; COMPUTE_PGM_RSRC2:TGID_X_EN: 1
; COMPUTE_PGM_RSRC2:TGID_Y_EN: 0
; COMPUTE_PGM_RSRC2:TGID_Z_EN: 0
; COMPUTE_PGM_RSRC2:TIDIG_COMP_CNT: 0
; COMPUTE_PGM_RSRC3_GFX90A:ACCUM_OFFSET: 4
; COMPUTE_PGM_RSRC3_GFX90A:TG_SPLIT: 0
	.section	.text._ZN7rocprim17ROCPRIM_400000_NS6detail17trampoline_kernelINS0_14default_configENS1_38merge_sort_block_merge_config_selectorIisEEZZNS1_27merge_sort_block_merge_implIS3_N6thrust23THRUST_200600_302600_NS10device_ptrIiEENS9_IsEEjNS1_19radix_merge_compareILb0ELb1EiNS0_19identity_decomposerEEEEE10hipError_tT0_T1_T2_jT3_P12ihipStream_tbPNSt15iterator_traitsISG_E10value_typeEPNSM_ISH_E10value_typeEPSI_NS1_7vsmem_tEENKUlT_SG_SH_SI_E_clIPiSA_PsSB_EESF_SV_SG_SH_SI_EUlSV_E_NS1_11comp_targetILNS1_3genE10ELNS1_11target_archE1201ELNS1_3gpuE5ELNS1_3repE0EEENS1_48merge_mergepath_partition_config_static_selectorELNS0_4arch9wavefront6targetE1EEEvSH_,"axG",@progbits,_ZN7rocprim17ROCPRIM_400000_NS6detail17trampoline_kernelINS0_14default_configENS1_38merge_sort_block_merge_config_selectorIisEEZZNS1_27merge_sort_block_merge_implIS3_N6thrust23THRUST_200600_302600_NS10device_ptrIiEENS9_IsEEjNS1_19radix_merge_compareILb0ELb1EiNS0_19identity_decomposerEEEEE10hipError_tT0_T1_T2_jT3_P12ihipStream_tbPNSt15iterator_traitsISG_E10value_typeEPNSM_ISH_E10value_typeEPSI_NS1_7vsmem_tEENKUlT_SG_SH_SI_E_clIPiSA_PsSB_EESF_SV_SG_SH_SI_EUlSV_E_NS1_11comp_targetILNS1_3genE10ELNS1_11target_archE1201ELNS1_3gpuE5ELNS1_3repE0EEENS1_48merge_mergepath_partition_config_static_selectorELNS0_4arch9wavefront6targetE1EEEvSH_,comdat
	.protected	_ZN7rocprim17ROCPRIM_400000_NS6detail17trampoline_kernelINS0_14default_configENS1_38merge_sort_block_merge_config_selectorIisEEZZNS1_27merge_sort_block_merge_implIS3_N6thrust23THRUST_200600_302600_NS10device_ptrIiEENS9_IsEEjNS1_19radix_merge_compareILb0ELb1EiNS0_19identity_decomposerEEEEE10hipError_tT0_T1_T2_jT3_P12ihipStream_tbPNSt15iterator_traitsISG_E10value_typeEPNSM_ISH_E10value_typeEPSI_NS1_7vsmem_tEENKUlT_SG_SH_SI_E_clIPiSA_PsSB_EESF_SV_SG_SH_SI_EUlSV_E_NS1_11comp_targetILNS1_3genE10ELNS1_11target_archE1201ELNS1_3gpuE5ELNS1_3repE0EEENS1_48merge_mergepath_partition_config_static_selectorELNS0_4arch9wavefront6targetE1EEEvSH_ ; -- Begin function _ZN7rocprim17ROCPRIM_400000_NS6detail17trampoline_kernelINS0_14default_configENS1_38merge_sort_block_merge_config_selectorIisEEZZNS1_27merge_sort_block_merge_implIS3_N6thrust23THRUST_200600_302600_NS10device_ptrIiEENS9_IsEEjNS1_19radix_merge_compareILb0ELb1EiNS0_19identity_decomposerEEEEE10hipError_tT0_T1_T2_jT3_P12ihipStream_tbPNSt15iterator_traitsISG_E10value_typeEPNSM_ISH_E10value_typeEPSI_NS1_7vsmem_tEENKUlT_SG_SH_SI_E_clIPiSA_PsSB_EESF_SV_SG_SH_SI_EUlSV_E_NS1_11comp_targetILNS1_3genE10ELNS1_11target_archE1201ELNS1_3gpuE5ELNS1_3repE0EEENS1_48merge_mergepath_partition_config_static_selectorELNS0_4arch9wavefront6targetE1EEEvSH_
	.globl	_ZN7rocprim17ROCPRIM_400000_NS6detail17trampoline_kernelINS0_14default_configENS1_38merge_sort_block_merge_config_selectorIisEEZZNS1_27merge_sort_block_merge_implIS3_N6thrust23THRUST_200600_302600_NS10device_ptrIiEENS9_IsEEjNS1_19radix_merge_compareILb0ELb1EiNS0_19identity_decomposerEEEEE10hipError_tT0_T1_T2_jT3_P12ihipStream_tbPNSt15iterator_traitsISG_E10value_typeEPNSM_ISH_E10value_typeEPSI_NS1_7vsmem_tEENKUlT_SG_SH_SI_E_clIPiSA_PsSB_EESF_SV_SG_SH_SI_EUlSV_E_NS1_11comp_targetILNS1_3genE10ELNS1_11target_archE1201ELNS1_3gpuE5ELNS1_3repE0EEENS1_48merge_mergepath_partition_config_static_selectorELNS0_4arch9wavefront6targetE1EEEvSH_
	.p2align	8
	.type	_ZN7rocprim17ROCPRIM_400000_NS6detail17trampoline_kernelINS0_14default_configENS1_38merge_sort_block_merge_config_selectorIisEEZZNS1_27merge_sort_block_merge_implIS3_N6thrust23THRUST_200600_302600_NS10device_ptrIiEENS9_IsEEjNS1_19radix_merge_compareILb0ELb1EiNS0_19identity_decomposerEEEEE10hipError_tT0_T1_T2_jT3_P12ihipStream_tbPNSt15iterator_traitsISG_E10value_typeEPNSM_ISH_E10value_typeEPSI_NS1_7vsmem_tEENKUlT_SG_SH_SI_E_clIPiSA_PsSB_EESF_SV_SG_SH_SI_EUlSV_E_NS1_11comp_targetILNS1_3genE10ELNS1_11target_archE1201ELNS1_3gpuE5ELNS1_3repE0EEENS1_48merge_mergepath_partition_config_static_selectorELNS0_4arch9wavefront6targetE1EEEvSH_,@function
_ZN7rocprim17ROCPRIM_400000_NS6detail17trampoline_kernelINS0_14default_configENS1_38merge_sort_block_merge_config_selectorIisEEZZNS1_27merge_sort_block_merge_implIS3_N6thrust23THRUST_200600_302600_NS10device_ptrIiEENS9_IsEEjNS1_19radix_merge_compareILb0ELb1EiNS0_19identity_decomposerEEEEE10hipError_tT0_T1_T2_jT3_P12ihipStream_tbPNSt15iterator_traitsISG_E10value_typeEPNSM_ISH_E10value_typeEPSI_NS1_7vsmem_tEENKUlT_SG_SH_SI_E_clIPiSA_PsSB_EESF_SV_SG_SH_SI_EUlSV_E_NS1_11comp_targetILNS1_3genE10ELNS1_11target_archE1201ELNS1_3gpuE5ELNS1_3repE0EEENS1_48merge_mergepath_partition_config_static_selectorELNS0_4arch9wavefront6targetE1EEEvSH_: ; @_ZN7rocprim17ROCPRIM_400000_NS6detail17trampoline_kernelINS0_14default_configENS1_38merge_sort_block_merge_config_selectorIisEEZZNS1_27merge_sort_block_merge_implIS3_N6thrust23THRUST_200600_302600_NS10device_ptrIiEENS9_IsEEjNS1_19radix_merge_compareILb0ELb1EiNS0_19identity_decomposerEEEEE10hipError_tT0_T1_T2_jT3_P12ihipStream_tbPNSt15iterator_traitsISG_E10value_typeEPNSM_ISH_E10value_typeEPSI_NS1_7vsmem_tEENKUlT_SG_SH_SI_E_clIPiSA_PsSB_EESF_SV_SG_SH_SI_EUlSV_E_NS1_11comp_targetILNS1_3genE10ELNS1_11target_archE1201ELNS1_3gpuE5ELNS1_3repE0EEENS1_48merge_mergepath_partition_config_static_selectorELNS0_4arch9wavefront6targetE1EEEvSH_
; %bb.0:
	.section	.rodata,"a",@progbits
	.p2align	6, 0x0
	.amdhsa_kernel _ZN7rocprim17ROCPRIM_400000_NS6detail17trampoline_kernelINS0_14default_configENS1_38merge_sort_block_merge_config_selectorIisEEZZNS1_27merge_sort_block_merge_implIS3_N6thrust23THRUST_200600_302600_NS10device_ptrIiEENS9_IsEEjNS1_19radix_merge_compareILb0ELb1EiNS0_19identity_decomposerEEEEE10hipError_tT0_T1_T2_jT3_P12ihipStream_tbPNSt15iterator_traitsISG_E10value_typeEPNSM_ISH_E10value_typeEPSI_NS1_7vsmem_tEENKUlT_SG_SH_SI_E_clIPiSA_PsSB_EESF_SV_SG_SH_SI_EUlSV_E_NS1_11comp_targetILNS1_3genE10ELNS1_11target_archE1201ELNS1_3gpuE5ELNS1_3repE0EEENS1_48merge_mergepath_partition_config_static_selectorELNS0_4arch9wavefront6targetE1EEEvSH_
		.amdhsa_group_segment_fixed_size 0
		.amdhsa_private_segment_fixed_size 0
		.amdhsa_kernarg_size 40
		.amdhsa_user_sgpr_count 2
		.amdhsa_user_sgpr_dispatch_ptr 0
		.amdhsa_user_sgpr_queue_ptr 0
		.amdhsa_user_sgpr_kernarg_segment_ptr 1
		.amdhsa_user_sgpr_dispatch_id 0
		.amdhsa_user_sgpr_kernarg_preload_length 0
		.amdhsa_user_sgpr_kernarg_preload_offset 0
		.amdhsa_user_sgpr_private_segment_size 0
		.amdhsa_uses_dynamic_stack 0
		.amdhsa_enable_private_segment 0
		.amdhsa_system_sgpr_workgroup_id_x 1
		.amdhsa_system_sgpr_workgroup_id_y 0
		.amdhsa_system_sgpr_workgroup_id_z 0
		.amdhsa_system_sgpr_workgroup_info 0
		.amdhsa_system_vgpr_workitem_id 0
		.amdhsa_next_free_vgpr 1
		.amdhsa_next_free_sgpr 0
		.amdhsa_accum_offset 4
		.amdhsa_reserve_vcc 0
		.amdhsa_float_round_mode_32 0
		.amdhsa_float_round_mode_16_64 0
		.amdhsa_float_denorm_mode_32 3
		.amdhsa_float_denorm_mode_16_64 3
		.amdhsa_dx10_clamp 1
		.amdhsa_ieee_mode 1
		.amdhsa_fp16_overflow 0
		.amdhsa_tg_split 0
		.amdhsa_exception_fp_ieee_invalid_op 0
		.amdhsa_exception_fp_denorm_src 0
		.amdhsa_exception_fp_ieee_div_zero 0
		.amdhsa_exception_fp_ieee_overflow 0
		.amdhsa_exception_fp_ieee_underflow 0
		.amdhsa_exception_fp_ieee_inexact 0
		.amdhsa_exception_int_div_zero 0
	.end_amdhsa_kernel
	.section	.text._ZN7rocprim17ROCPRIM_400000_NS6detail17trampoline_kernelINS0_14default_configENS1_38merge_sort_block_merge_config_selectorIisEEZZNS1_27merge_sort_block_merge_implIS3_N6thrust23THRUST_200600_302600_NS10device_ptrIiEENS9_IsEEjNS1_19radix_merge_compareILb0ELb1EiNS0_19identity_decomposerEEEEE10hipError_tT0_T1_T2_jT3_P12ihipStream_tbPNSt15iterator_traitsISG_E10value_typeEPNSM_ISH_E10value_typeEPSI_NS1_7vsmem_tEENKUlT_SG_SH_SI_E_clIPiSA_PsSB_EESF_SV_SG_SH_SI_EUlSV_E_NS1_11comp_targetILNS1_3genE10ELNS1_11target_archE1201ELNS1_3gpuE5ELNS1_3repE0EEENS1_48merge_mergepath_partition_config_static_selectorELNS0_4arch9wavefront6targetE1EEEvSH_,"axG",@progbits,_ZN7rocprim17ROCPRIM_400000_NS6detail17trampoline_kernelINS0_14default_configENS1_38merge_sort_block_merge_config_selectorIisEEZZNS1_27merge_sort_block_merge_implIS3_N6thrust23THRUST_200600_302600_NS10device_ptrIiEENS9_IsEEjNS1_19radix_merge_compareILb0ELb1EiNS0_19identity_decomposerEEEEE10hipError_tT0_T1_T2_jT3_P12ihipStream_tbPNSt15iterator_traitsISG_E10value_typeEPNSM_ISH_E10value_typeEPSI_NS1_7vsmem_tEENKUlT_SG_SH_SI_E_clIPiSA_PsSB_EESF_SV_SG_SH_SI_EUlSV_E_NS1_11comp_targetILNS1_3genE10ELNS1_11target_archE1201ELNS1_3gpuE5ELNS1_3repE0EEENS1_48merge_mergepath_partition_config_static_selectorELNS0_4arch9wavefront6targetE1EEEvSH_,comdat
.Lfunc_end2357:
	.size	_ZN7rocprim17ROCPRIM_400000_NS6detail17trampoline_kernelINS0_14default_configENS1_38merge_sort_block_merge_config_selectorIisEEZZNS1_27merge_sort_block_merge_implIS3_N6thrust23THRUST_200600_302600_NS10device_ptrIiEENS9_IsEEjNS1_19radix_merge_compareILb0ELb1EiNS0_19identity_decomposerEEEEE10hipError_tT0_T1_T2_jT3_P12ihipStream_tbPNSt15iterator_traitsISG_E10value_typeEPNSM_ISH_E10value_typeEPSI_NS1_7vsmem_tEENKUlT_SG_SH_SI_E_clIPiSA_PsSB_EESF_SV_SG_SH_SI_EUlSV_E_NS1_11comp_targetILNS1_3genE10ELNS1_11target_archE1201ELNS1_3gpuE5ELNS1_3repE0EEENS1_48merge_mergepath_partition_config_static_selectorELNS0_4arch9wavefront6targetE1EEEvSH_, .Lfunc_end2357-_ZN7rocprim17ROCPRIM_400000_NS6detail17trampoline_kernelINS0_14default_configENS1_38merge_sort_block_merge_config_selectorIisEEZZNS1_27merge_sort_block_merge_implIS3_N6thrust23THRUST_200600_302600_NS10device_ptrIiEENS9_IsEEjNS1_19radix_merge_compareILb0ELb1EiNS0_19identity_decomposerEEEEE10hipError_tT0_T1_T2_jT3_P12ihipStream_tbPNSt15iterator_traitsISG_E10value_typeEPNSM_ISH_E10value_typeEPSI_NS1_7vsmem_tEENKUlT_SG_SH_SI_E_clIPiSA_PsSB_EESF_SV_SG_SH_SI_EUlSV_E_NS1_11comp_targetILNS1_3genE10ELNS1_11target_archE1201ELNS1_3gpuE5ELNS1_3repE0EEENS1_48merge_mergepath_partition_config_static_selectorELNS0_4arch9wavefront6targetE1EEEvSH_
                                        ; -- End function
	.set _ZN7rocprim17ROCPRIM_400000_NS6detail17trampoline_kernelINS0_14default_configENS1_38merge_sort_block_merge_config_selectorIisEEZZNS1_27merge_sort_block_merge_implIS3_N6thrust23THRUST_200600_302600_NS10device_ptrIiEENS9_IsEEjNS1_19radix_merge_compareILb0ELb1EiNS0_19identity_decomposerEEEEE10hipError_tT0_T1_T2_jT3_P12ihipStream_tbPNSt15iterator_traitsISG_E10value_typeEPNSM_ISH_E10value_typeEPSI_NS1_7vsmem_tEENKUlT_SG_SH_SI_E_clIPiSA_PsSB_EESF_SV_SG_SH_SI_EUlSV_E_NS1_11comp_targetILNS1_3genE10ELNS1_11target_archE1201ELNS1_3gpuE5ELNS1_3repE0EEENS1_48merge_mergepath_partition_config_static_selectorELNS0_4arch9wavefront6targetE1EEEvSH_.num_vgpr, 0
	.set _ZN7rocprim17ROCPRIM_400000_NS6detail17trampoline_kernelINS0_14default_configENS1_38merge_sort_block_merge_config_selectorIisEEZZNS1_27merge_sort_block_merge_implIS3_N6thrust23THRUST_200600_302600_NS10device_ptrIiEENS9_IsEEjNS1_19radix_merge_compareILb0ELb1EiNS0_19identity_decomposerEEEEE10hipError_tT0_T1_T2_jT3_P12ihipStream_tbPNSt15iterator_traitsISG_E10value_typeEPNSM_ISH_E10value_typeEPSI_NS1_7vsmem_tEENKUlT_SG_SH_SI_E_clIPiSA_PsSB_EESF_SV_SG_SH_SI_EUlSV_E_NS1_11comp_targetILNS1_3genE10ELNS1_11target_archE1201ELNS1_3gpuE5ELNS1_3repE0EEENS1_48merge_mergepath_partition_config_static_selectorELNS0_4arch9wavefront6targetE1EEEvSH_.num_agpr, 0
	.set _ZN7rocprim17ROCPRIM_400000_NS6detail17trampoline_kernelINS0_14default_configENS1_38merge_sort_block_merge_config_selectorIisEEZZNS1_27merge_sort_block_merge_implIS3_N6thrust23THRUST_200600_302600_NS10device_ptrIiEENS9_IsEEjNS1_19radix_merge_compareILb0ELb1EiNS0_19identity_decomposerEEEEE10hipError_tT0_T1_T2_jT3_P12ihipStream_tbPNSt15iterator_traitsISG_E10value_typeEPNSM_ISH_E10value_typeEPSI_NS1_7vsmem_tEENKUlT_SG_SH_SI_E_clIPiSA_PsSB_EESF_SV_SG_SH_SI_EUlSV_E_NS1_11comp_targetILNS1_3genE10ELNS1_11target_archE1201ELNS1_3gpuE5ELNS1_3repE0EEENS1_48merge_mergepath_partition_config_static_selectorELNS0_4arch9wavefront6targetE1EEEvSH_.numbered_sgpr, 0
	.set _ZN7rocprim17ROCPRIM_400000_NS6detail17trampoline_kernelINS0_14default_configENS1_38merge_sort_block_merge_config_selectorIisEEZZNS1_27merge_sort_block_merge_implIS3_N6thrust23THRUST_200600_302600_NS10device_ptrIiEENS9_IsEEjNS1_19radix_merge_compareILb0ELb1EiNS0_19identity_decomposerEEEEE10hipError_tT0_T1_T2_jT3_P12ihipStream_tbPNSt15iterator_traitsISG_E10value_typeEPNSM_ISH_E10value_typeEPSI_NS1_7vsmem_tEENKUlT_SG_SH_SI_E_clIPiSA_PsSB_EESF_SV_SG_SH_SI_EUlSV_E_NS1_11comp_targetILNS1_3genE10ELNS1_11target_archE1201ELNS1_3gpuE5ELNS1_3repE0EEENS1_48merge_mergepath_partition_config_static_selectorELNS0_4arch9wavefront6targetE1EEEvSH_.num_named_barrier, 0
	.set _ZN7rocprim17ROCPRIM_400000_NS6detail17trampoline_kernelINS0_14default_configENS1_38merge_sort_block_merge_config_selectorIisEEZZNS1_27merge_sort_block_merge_implIS3_N6thrust23THRUST_200600_302600_NS10device_ptrIiEENS9_IsEEjNS1_19radix_merge_compareILb0ELb1EiNS0_19identity_decomposerEEEEE10hipError_tT0_T1_T2_jT3_P12ihipStream_tbPNSt15iterator_traitsISG_E10value_typeEPNSM_ISH_E10value_typeEPSI_NS1_7vsmem_tEENKUlT_SG_SH_SI_E_clIPiSA_PsSB_EESF_SV_SG_SH_SI_EUlSV_E_NS1_11comp_targetILNS1_3genE10ELNS1_11target_archE1201ELNS1_3gpuE5ELNS1_3repE0EEENS1_48merge_mergepath_partition_config_static_selectorELNS0_4arch9wavefront6targetE1EEEvSH_.private_seg_size, 0
	.set _ZN7rocprim17ROCPRIM_400000_NS6detail17trampoline_kernelINS0_14default_configENS1_38merge_sort_block_merge_config_selectorIisEEZZNS1_27merge_sort_block_merge_implIS3_N6thrust23THRUST_200600_302600_NS10device_ptrIiEENS9_IsEEjNS1_19radix_merge_compareILb0ELb1EiNS0_19identity_decomposerEEEEE10hipError_tT0_T1_T2_jT3_P12ihipStream_tbPNSt15iterator_traitsISG_E10value_typeEPNSM_ISH_E10value_typeEPSI_NS1_7vsmem_tEENKUlT_SG_SH_SI_E_clIPiSA_PsSB_EESF_SV_SG_SH_SI_EUlSV_E_NS1_11comp_targetILNS1_3genE10ELNS1_11target_archE1201ELNS1_3gpuE5ELNS1_3repE0EEENS1_48merge_mergepath_partition_config_static_selectorELNS0_4arch9wavefront6targetE1EEEvSH_.uses_vcc, 0
	.set _ZN7rocprim17ROCPRIM_400000_NS6detail17trampoline_kernelINS0_14default_configENS1_38merge_sort_block_merge_config_selectorIisEEZZNS1_27merge_sort_block_merge_implIS3_N6thrust23THRUST_200600_302600_NS10device_ptrIiEENS9_IsEEjNS1_19radix_merge_compareILb0ELb1EiNS0_19identity_decomposerEEEEE10hipError_tT0_T1_T2_jT3_P12ihipStream_tbPNSt15iterator_traitsISG_E10value_typeEPNSM_ISH_E10value_typeEPSI_NS1_7vsmem_tEENKUlT_SG_SH_SI_E_clIPiSA_PsSB_EESF_SV_SG_SH_SI_EUlSV_E_NS1_11comp_targetILNS1_3genE10ELNS1_11target_archE1201ELNS1_3gpuE5ELNS1_3repE0EEENS1_48merge_mergepath_partition_config_static_selectorELNS0_4arch9wavefront6targetE1EEEvSH_.uses_flat_scratch, 0
	.set _ZN7rocprim17ROCPRIM_400000_NS6detail17trampoline_kernelINS0_14default_configENS1_38merge_sort_block_merge_config_selectorIisEEZZNS1_27merge_sort_block_merge_implIS3_N6thrust23THRUST_200600_302600_NS10device_ptrIiEENS9_IsEEjNS1_19radix_merge_compareILb0ELb1EiNS0_19identity_decomposerEEEEE10hipError_tT0_T1_T2_jT3_P12ihipStream_tbPNSt15iterator_traitsISG_E10value_typeEPNSM_ISH_E10value_typeEPSI_NS1_7vsmem_tEENKUlT_SG_SH_SI_E_clIPiSA_PsSB_EESF_SV_SG_SH_SI_EUlSV_E_NS1_11comp_targetILNS1_3genE10ELNS1_11target_archE1201ELNS1_3gpuE5ELNS1_3repE0EEENS1_48merge_mergepath_partition_config_static_selectorELNS0_4arch9wavefront6targetE1EEEvSH_.has_dyn_sized_stack, 0
	.set _ZN7rocprim17ROCPRIM_400000_NS6detail17trampoline_kernelINS0_14default_configENS1_38merge_sort_block_merge_config_selectorIisEEZZNS1_27merge_sort_block_merge_implIS3_N6thrust23THRUST_200600_302600_NS10device_ptrIiEENS9_IsEEjNS1_19radix_merge_compareILb0ELb1EiNS0_19identity_decomposerEEEEE10hipError_tT0_T1_T2_jT3_P12ihipStream_tbPNSt15iterator_traitsISG_E10value_typeEPNSM_ISH_E10value_typeEPSI_NS1_7vsmem_tEENKUlT_SG_SH_SI_E_clIPiSA_PsSB_EESF_SV_SG_SH_SI_EUlSV_E_NS1_11comp_targetILNS1_3genE10ELNS1_11target_archE1201ELNS1_3gpuE5ELNS1_3repE0EEENS1_48merge_mergepath_partition_config_static_selectorELNS0_4arch9wavefront6targetE1EEEvSH_.has_recursion, 0
	.set _ZN7rocprim17ROCPRIM_400000_NS6detail17trampoline_kernelINS0_14default_configENS1_38merge_sort_block_merge_config_selectorIisEEZZNS1_27merge_sort_block_merge_implIS3_N6thrust23THRUST_200600_302600_NS10device_ptrIiEENS9_IsEEjNS1_19radix_merge_compareILb0ELb1EiNS0_19identity_decomposerEEEEE10hipError_tT0_T1_T2_jT3_P12ihipStream_tbPNSt15iterator_traitsISG_E10value_typeEPNSM_ISH_E10value_typeEPSI_NS1_7vsmem_tEENKUlT_SG_SH_SI_E_clIPiSA_PsSB_EESF_SV_SG_SH_SI_EUlSV_E_NS1_11comp_targetILNS1_3genE10ELNS1_11target_archE1201ELNS1_3gpuE5ELNS1_3repE0EEENS1_48merge_mergepath_partition_config_static_selectorELNS0_4arch9wavefront6targetE1EEEvSH_.has_indirect_call, 0
	.section	.AMDGPU.csdata,"",@progbits
; Kernel info:
; codeLenInByte = 0
; TotalNumSgprs: 6
; NumVgprs: 0
; NumAgprs: 0
; TotalNumVgprs: 0
; ScratchSize: 0
; MemoryBound: 0
; FloatMode: 240
; IeeeMode: 1
; LDSByteSize: 0 bytes/workgroup (compile time only)
; SGPRBlocks: 0
; VGPRBlocks: 0
; NumSGPRsForWavesPerEU: 6
; NumVGPRsForWavesPerEU: 1
; AccumOffset: 4
; Occupancy: 8
; WaveLimiterHint : 0
; COMPUTE_PGM_RSRC2:SCRATCH_EN: 0
; COMPUTE_PGM_RSRC2:USER_SGPR: 2
; COMPUTE_PGM_RSRC2:TRAP_HANDLER: 0
; COMPUTE_PGM_RSRC2:TGID_X_EN: 1
; COMPUTE_PGM_RSRC2:TGID_Y_EN: 0
; COMPUTE_PGM_RSRC2:TGID_Z_EN: 0
; COMPUTE_PGM_RSRC2:TIDIG_COMP_CNT: 0
; COMPUTE_PGM_RSRC3_GFX90A:ACCUM_OFFSET: 0
; COMPUTE_PGM_RSRC3_GFX90A:TG_SPLIT: 0
	.section	.text._ZN7rocprim17ROCPRIM_400000_NS6detail17trampoline_kernelINS0_14default_configENS1_38merge_sort_block_merge_config_selectorIisEEZZNS1_27merge_sort_block_merge_implIS3_N6thrust23THRUST_200600_302600_NS10device_ptrIiEENS9_IsEEjNS1_19radix_merge_compareILb0ELb1EiNS0_19identity_decomposerEEEEE10hipError_tT0_T1_T2_jT3_P12ihipStream_tbPNSt15iterator_traitsISG_E10value_typeEPNSM_ISH_E10value_typeEPSI_NS1_7vsmem_tEENKUlT_SG_SH_SI_E_clIPiSA_PsSB_EESF_SV_SG_SH_SI_EUlSV_E_NS1_11comp_targetILNS1_3genE5ELNS1_11target_archE942ELNS1_3gpuE9ELNS1_3repE0EEENS1_48merge_mergepath_partition_config_static_selectorELNS0_4arch9wavefront6targetE1EEEvSH_,"axG",@progbits,_ZN7rocprim17ROCPRIM_400000_NS6detail17trampoline_kernelINS0_14default_configENS1_38merge_sort_block_merge_config_selectorIisEEZZNS1_27merge_sort_block_merge_implIS3_N6thrust23THRUST_200600_302600_NS10device_ptrIiEENS9_IsEEjNS1_19radix_merge_compareILb0ELb1EiNS0_19identity_decomposerEEEEE10hipError_tT0_T1_T2_jT3_P12ihipStream_tbPNSt15iterator_traitsISG_E10value_typeEPNSM_ISH_E10value_typeEPSI_NS1_7vsmem_tEENKUlT_SG_SH_SI_E_clIPiSA_PsSB_EESF_SV_SG_SH_SI_EUlSV_E_NS1_11comp_targetILNS1_3genE5ELNS1_11target_archE942ELNS1_3gpuE9ELNS1_3repE0EEENS1_48merge_mergepath_partition_config_static_selectorELNS0_4arch9wavefront6targetE1EEEvSH_,comdat
	.protected	_ZN7rocprim17ROCPRIM_400000_NS6detail17trampoline_kernelINS0_14default_configENS1_38merge_sort_block_merge_config_selectorIisEEZZNS1_27merge_sort_block_merge_implIS3_N6thrust23THRUST_200600_302600_NS10device_ptrIiEENS9_IsEEjNS1_19radix_merge_compareILb0ELb1EiNS0_19identity_decomposerEEEEE10hipError_tT0_T1_T2_jT3_P12ihipStream_tbPNSt15iterator_traitsISG_E10value_typeEPNSM_ISH_E10value_typeEPSI_NS1_7vsmem_tEENKUlT_SG_SH_SI_E_clIPiSA_PsSB_EESF_SV_SG_SH_SI_EUlSV_E_NS1_11comp_targetILNS1_3genE5ELNS1_11target_archE942ELNS1_3gpuE9ELNS1_3repE0EEENS1_48merge_mergepath_partition_config_static_selectorELNS0_4arch9wavefront6targetE1EEEvSH_ ; -- Begin function _ZN7rocprim17ROCPRIM_400000_NS6detail17trampoline_kernelINS0_14default_configENS1_38merge_sort_block_merge_config_selectorIisEEZZNS1_27merge_sort_block_merge_implIS3_N6thrust23THRUST_200600_302600_NS10device_ptrIiEENS9_IsEEjNS1_19radix_merge_compareILb0ELb1EiNS0_19identity_decomposerEEEEE10hipError_tT0_T1_T2_jT3_P12ihipStream_tbPNSt15iterator_traitsISG_E10value_typeEPNSM_ISH_E10value_typeEPSI_NS1_7vsmem_tEENKUlT_SG_SH_SI_E_clIPiSA_PsSB_EESF_SV_SG_SH_SI_EUlSV_E_NS1_11comp_targetILNS1_3genE5ELNS1_11target_archE942ELNS1_3gpuE9ELNS1_3repE0EEENS1_48merge_mergepath_partition_config_static_selectorELNS0_4arch9wavefront6targetE1EEEvSH_
	.globl	_ZN7rocprim17ROCPRIM_400000_NS6detail17trampoline_kernelINS0_14default_configENS1_38merge_sort_block_merge_config_selectorIisEEZZNS1_27merge_sort_block_merge_implIS3_N6thrust23THRUST_200600_302600_NS10device_ptrIiEENS9_IsEEjNS1_19radix_merge_compareILb0ELb1EiNS0_19identity_decomposerEEEEE10hipError_tT0_T1_T2_jT3_P12ihipStream_tbPNSt15iterator_traitsISG_E10value_typeEPNSM_ISH_E10value_typeEPSI_NS1_7vsmem_tEENKUlT_SG_SH_SI_E_clIPiSA_PsSB_EESF_SV_SG_SH_SI_EUlSV_E_NS1_11comp_targetILNS1_3genE5ELNS1_11target_archE942ELNS1_3gpuE9ELNS1_3repE0EEENS1_48merge_mergepath_partition_config_static_selectorELNS0_4arch9wavefront6targetE1EEEvSH_
	.p2align	8
	.type	_ZN7rocprim17ROCPRIM_400000_NS6detail17trampoline_kernelINS0_14default_configENS1_38merge_sort_block_merge_config_selectorIisEEZZNS1_27merge_sort_block_merge_implIS3_N6thrust23THRUST_200600_302600_NS10device_ptrIiEENS9_IsEEjNS1_19radix_merge_compareILb0ELb1EiNS0_19identity_decomposerEEEEE10hipError_tT0_T1_T2_jT3_P12ihipStream_tbPNSt15iterator_traitsISG_E10value_typeEPNSM_ISH_E10value_typeEPSI_NS1_7vsmem_tEENKUlT_SG_SH_SI_E_clIPiSA_PsSB_EESF_SV_SG_SH_SI_EUlSV_E_NS1_11comp_targetILNS1_3genE5ELNS1_11target_archE942ELNS1_3gpuE9ELNS1_3repE0EEENS1_48merge_mergepath_partition_config_static_selectorELNS0_4arch9wavefront6targetE1EEEvSH_,@function
_ZN7rocprim17ROCPRIM_400000_NS6detail17trampoline_kernelINS0_14default_configENS1_38merge_sort_block_merge_config_selectorIisEEZZNS1_27merge_sort_block_merge_implIS3_N6thrust23THRUST_200600_302600_NS10device_ptrIiEENS9_IsEEjNS1_19radix_merge_compareILb0ELb1EiNS0_19identity_decomposerEEEEE10hipError_tT0_T1_T2_jT3_P12ihipStream_tbPNSt15iterator_traitsISG_E10value_typeEPNSM_ISH_E10value_typeEPSI_NS1_7vsmem_tEENKUlT_SG_SH_SI_E_clIPiSA_PsSB_EESF_SV_SG_SH_SI_EUlSV_E_NS1_11comp_targetILNS1_3genE5ELNS1_11target_archE942ELNS1_3gpuE9ELNS1_3repE0EEENS1_48merge_mergepath_partition_config_static_selectorELNS0_4arch9wavefront6targetE1EEEvSH_: ; @_ZN7rocprim17ROCPRIM_400000_NS6detail17trampoline_kernelINS0_14default_configENS1_38merge_sort_block_merge_config_selectorIisEEZZNS1_27merge_sort_block_merge_implIS3_N6thrust23THRUST_200600_302600_NS10device_ptrIiEENS9_IsEEjNS1_19radix_merge_compareILb0ELb1EiNS0_19identity_decomposerEEEEE10hipError_tT0_T1_T2_jT3_P12ihipStream_tbPNSt15iterator_traitsISG_E10value_typeEPNSM_ISH_E10value_typeEPSI_NS1_7vsmem_tEENKUlT_SG_SH_SI_E_clIPiSA_PsSB_EESF_SV_SG_SH_SI_EUlSV_E_NS1_11comp_targetILNS1_3genE5ELNS1_11target_archE942ELNS1_3gpuE9ELNS1_3repE0EEENS1_48merge_mergepath_partition_config_static_selectorELNS0_4arch9wavefront6targetE1EEEvSH_
; %bb.0:
	.section	.rodata,"a",@progbits
	.p2align	6, 0x0
	.amdhsa_kernel _ZN7rocprim17ROCPRIM_400000_NS6detail17trampoline_kernelINS0_14default_configENS1_38merge_sort_block_merge_config_selectorIisEEZZNS1_27merge_sort_block_merge_implIS3_N6thrust23THRUST_200600_302600_NS10device_ptrIiEENS9_IsEEjNS1_19radix_merge_compareILb0ELb1EiNS0_19identity_decomposerEEEEE10hipError_tT0_T1_T2_jT3_P12ihipStream_tbPNSt15iterator_traitsISG_E10value_typeEPNSM_ISH_E10value_typeEPSI_NS1_7vsmem_tEENKUlT_SG_SH_SI_E_clIPiSA_PsSB_EESF_SV_SG_SH_SI_EUlSV_E_NS1_11comp_targetILNS1_3genE5ELNS1_11target_archE942ELNS1_3gpuE9ELNS1_3repE0EEENS1_48merge_mergepath_partition_config_static_selectorELNS0_4arch9wavefront6targetE1EEEvSH_
		.amdhsa_group_segment_fixed_size 0
		.amdhsa_private_segment_fixed_size 0
		.amdhsa_kernarg_size 40
		.amdhsa_user_sgpr_count 2
		.amdhsa_user_sgpr_dispatch_ptr 0
		.amdhsa_user_sgpr_queue_ptr 0
		.amdhsa_user_sgpr_kernarg_segment_ptr 1
		.amdhsa_user_sgpr_dispatch_id 0
		.amdhsa_user_sgpr_kernarg_preload_length 0
		.amdhsa_user_sgpr_kernarg_preload_offset 0
		.amdhsa_user_sgpr_private_segment_size 0
		.amdhsa_uses_dynamic_stack 0
		.amdhsa_enable_private_segment 0
		.amdhsa_system_sgpr_workgroup_id_x 1
		.amdhsa_system_sgpr_workgroup_id_y 0
		.amdhsa_system_sgpr_workgroup_id_z 0
		.amdhsa_system_sgpr_workgroup_info 0
		.amdhsa_system_vgpr_workitem_id 0
		.amdhsa_next_free_vgpr 1
		.amdhsa_next_free_sgpr 0
		.amdhsa_accum_offset 4
		.amdhsa_reserve_vcc 0
		.amdhsa_float_round_mode_32 0
		.amdhsa_float_round_mode_16_64 0
		.amdhsa_float_denorm_mode_32 3
		.amdhsa_float_denorm_mode_16_64 3
		.amdhsa_dx10_clamp 1
		.amdhsa_ieee_mode 1
		.amdhsa_fp16_overflow 0
		.amdhsa_tg_split 0
		.amdhsa_exception_fp_ieee_invalid_op 0
		.amdhsa_exception_fp_denorm_src 0
		.amdhsa_exception_fp_ieee_div_zero 0
		.amdhsa_exception_fp_ieee_overflow 0
		.amdhsa_exception_fp_ieee_underflow 0
		.amdhsa_exception_fp_ieee_inexact 0
		.amdhsa_exception_int_div_zero 0
	.end_amdhsa_kernel
	.section	.text._ZN7rocprim17ROCPRIM_400000_NS6detail17trampoline_kernelINS0_14default_configENS1_38merge_sort_block_merge_config_selectorIisEEZZNS1_27merge_sort_block_merge_implIS3_N6thrust23THRUST_200600_302600_NS10device_ptrIiEENS9_IsEEjNS1_19radix_merge_compareILb0ELb1EiNS0_19identity_decomposerEEEEE10hipError_tT0_T1_T2_jT3_P12ihipStream_tbPNSt15iterator_traitsISG_E10value_typeEPNSM_ISH_E10value_typeEPSI_NS1_7vsmem_tEENKUlT_SG_SH_SI_E_clIPiSA_PsSB_EESF_SV_SG_SH_SI_EUlSV_E_NS1_11comp_targetILNS1_3genE5ELNS1_11target_archE942ELNS1_3gpuE9ELNS1_3repE0EEENS1_48merge_mergepath_partition_config_static_selectorELNS0_4arch9wavefront6targetE1EEEvSH_,"axG",@progbits,_ZN7rocprim17ROCPRIM_400000_NS6detail17trampoline_kernelINS0_14default_configENS1_38merge_sort_block_merge_config_selectorIisEEZZNS1_27merge_sort_block_merge_implIS3_N6thrust23THRUST_200600_302600_NS10device_ptrIiEENS9_IsEEjNS1_19radix_merge_compareILb0ELb1EiNS0_19identity_decomposerEEEEE10hipError_tT0_T1_T2_jT3_P12ihipStream_tbPNSt15iterator_traitsISG_E10value_typeEPNSM_ISH_E10value_typeEPSI_NS1_7vsmem_tEENKUlT_SG_SH_SI_E_clIPiSA_PsSB_EESF_SV_SG_SH_SI_EUlSV_E_NS1_11comp_targetILNS1_3genE5ELNS1_11target_archE942ELNS1_3gpuE9ELNS1_3repE0EEENS1_48merge_mergepath_partition_config_static_selectorELNS0_4arch9wavefront6targetE1EEEvSH_,comdat
.Lfunc_end2358:
	.size	_ZN7rocprim17ROCPRIM_400000_NS6detail17trampoline_kernelINS0_14default_configENS1_38merge_sort_block_merge_config_selectorIisEEZZNS1_27merge_sort_block_merge_implIS3_N6thrust23THRUST_200600_302600_NS10device_ptrIiEENS9_IsEEjNS1_19radix_merge_compareILb0ELb1EiNS0_19identity_decomposerEEEEE10hipError_tT0_T1_T2_jT3_P12ihipStream_tbPNSt15iterator_traitsISG_E10value_typeEPNSM_ISH_E10value_typeEPSI_NS1_7vsmem_tEENKUlT_SG_SH_SI_E_clIPiSA_PsSB_EESF_SV_SG_SH_SI_EUlSV_E_NS1_11comp_targetILNS1_3genE5ELNS1_11target_archE942ELNS1_3gpuE9ELNS1_3repE0EEENS1_48merge_mergepath_partition_config_static_selectorELNS0_4arch9wavefront6targetE1EEEvSH_, .Lfunc_end2358-_ZN7rocprim17ROCPRIM_400000_NS6detail17trampoline_kernelINS0_14default_configENS1_38merge_sort_block_merge_config_selectorIisEEZZNS1_27merge_sort_block_merge_implIS3_N6thrust23THRUST_200600_302600_NS10device_ptrIiEENS9_IsEEjNS1_19radix_merge_compareILb0ELb1EiNS0_19identity_decomposerEEEEE10hipError_tT0_T1_T2_jT3_P12ihipStream_tbPNSt15iterator_traitsISG_E10value_typeEPNSM_ISH_E10value_typeEPSI_NS1_7vsmem_tEENKUlT_SG_SH_SI_E_clIPiSA_PsSB_EESF_SV_SG_SH_SI_EUlSV_E_NS1_11comp_targetILNS1_3genE5ELNS1_11target_archE942ELNS1_3gpuE9ELNS1_3repE0EEENS1_48merge_mergepath_partition_config_static_selectorELNS0_4arch9wavefront6targetE1EEEvSH_
                                        ; -- End function
	.set _ZN7rocprim17ROCPRIM_400000_NS6detail17trampoline_kernelINS0_14default_configENS1_38merge_sort_block_merge_config_selectorIisEEZZNS1_27merge_sort_block_merge_implIS3_N6thrust23THRUST_200600_302600_NS10device_ptrIiEENS9_IsEEjNS1_19radix_merge_compareILb0ELb1EiNS0_19identity_decomposerEEEEE10hipError_tT0_T1_T2_jT3_P12ihipStream_tbPNSt15iterator_traitsISG_E10value_typeEPNSM_ISH_E10value_typeEPSI_NS1_7vsmem_tEENKUlT_SG_SH_SI_E_clIPiSA_PsSB_EESF_SV_SG_SH_SI_EUlSV_E_NS1_11comp_targetILNS1_3genE5ELNS1_11target_archE942ELNS1_3gpuE9ELNS1_3repE0EEENS1_48merge_mergepath_partition_config_static_selectorELNS0_4arch9wavefront6targetE1EEEvSH_.num_vgpr, 0
	.set _ZN7rocprim17ROCPRIM_400000_NS6detail17trampoline_kernelINS0_14default_configENS1_38merge_sort_block_merge_config_selectorIisEEZZNS1_27merge_sort_block_merge_implIS3_N6thrust23THRUST_200600_302600_NS10device_ptrIiEENS9_IsEEjNS1_19radix_merge_compareILb0ELb1EiNS0_19identity_decomposerEEEEE10hipError_tT0_T1_T2_jT3_P12ihipStream_tbPNSt15iterator_traitsISG_E10value_typeEPNSM_ISH_E10value_typeEPSI_NS1_7vsmem_tEENKUlT_SG_SH_SI_E_clIPiSA_PsSB_EESF_SV_SG_SH_SI_EUlSV_E_NS1_11comp_targetILNS1_3genE5ELNS1_11target_archE942ELNS1_3gpuE9ELNS1_3repE0EEENS1_48merge_mergepath_partition_config_static_selectorELNS0_4arch9wavefront6targetE1EEEvSH_.num_agpr, 0
	.set _ZN7rocprim17ROCPRIM_400000_NS6detail17trampoline_kernelINS0_14default_configENS1_38merge_sort_block_merge_config_selectorIisEEZZNS1_27merge_sort_block_merge_implIS3_N6thrust23THRUST_200600_302600_NS10device_ptrIiEENS9_IsEEjNS1_19radix_merge_compareILb0ELb1EiNS0_19identity_decomposerEEEEE10hipError_tT0_T1_T2_jT3_P12ihipStream_tbPNSt15iterator_traitsISG_E10value_typeEPNSM_ISH_E10value_typeEPSI_NS1_7vsmem_tEENKUlT_SG_SH_SI_E_clIPiSA_PsSB_EESF_SV_SG_SH_SI_EUlSV_E_NS1_11comp_targetILNS1_3genE5ELNS1_11target_archE942ELNS1_3gpuE9ELNS1_3repE0EEENS1_48merge_mergepath_partition_config_static_selectorELNS0_4arch9wavefront6targetE1EEEvSH_.numbered_sgpr, 0
	.set _ZN7rocprim17ROCPRIM_400000_NS6detail17trampoline_kernelINS0_14default_configENS1_38merge_sort_block_merge_config_selectorIisEEZZNS1_27merge_sort_block_merge_implIS3_N6thrust23THRUST_200600_302600_NS10device_ptrIiEENS9_IsEEjNS1_19radix_merge_compareILb0ELb1EiNS0_19identity_decomposerEEEEE10hipError_tT0_T1_T2_jT3_P12ihipStream_tbPNSt15iterator_traitsISG_E10value_typeEPNSM_ISH_E10value_typeEPSI_NS1_7vsmem_tEENKUlT_SG_SH_SI_E_clIPiSA_PsSB_EESF_SV_SG_SH_SI_EUlSV_E_NS1_11comp_targetILNS1_3genE5ELNS1_11target_archE942ELNS1_3gpuE9ELNS1_3repE0EEENS1_48merge_mergepath_partition_config_static_selectorELNS0_4arch9wavefront6targetE1EEEvSH_.num_named_barrier, 0
	.set _ZN7rocprim17ROCPRIM_400000_NS6detail17trampoline_kernelINS0_14default_configENS1_38merge_sort_block_merge_config_selectorIisEEZZNS1_27merge_sort_block_merge_implIS3_N6thrust23THRUST_200600_302600_NS10device_ptrIiEENS9_IsEEjNS1_19radix_merge_compareILb0ELb1EiNS0_19identity_decomposerEEEEE10hipError_tT0_T1_T2_jT3_P12ihipStream_tbPNSt15iterator_traitsISG_E10value_typeEPNSM_ISH_E10value_typeEPSI_NS1_7vsmem_tEENKUlT_SG_SH_SI_E_clIPiSA_PsSB_EESF_SV_SG_SH_SI_EUlSV_E_NS1_11comp_targetILNS1_3genE5ELNS1_11target_archE942ELNS1_3gpuE9ELNS1_3repE0EEENS1_48merge_mergepath_partition_config_static_selectorELNS0_4arch9wavefront6targetE1EEEvSH_.private_seg_size, 0
	.set _ZN7rocprim17ROCPRIM_400000_NS6detail17trampoline_kernelINS0_14default_configENS1_38merge_sort_block_merge_config_selectorIisEEZZNS1_27merge_sort_block_merge_implIS3_N6thrust23THRUST_200600_302600_NS10device_ptrIiEENS9_IsEEjNS1_19radix_merge_compareILb0ELb1EiNS0_19identity_decomposerEEEEE10hipError_tT0_T1_T2_jT3_P12ihipStream_tbPNSt15iterator_traitsISG_E10value_typeEPNSM_ISH_E10value_typeEPSI_NS1_7vsmem_tEENKUlT_SG_SH_SI_E_clIPiSA_PsSB_EESF_SV_SG_SH_SI_EUlSV_E_NS1_11comp_targetILNS1_3genE5ELNS1_11target_archE942ELNS1_3gpuE9ELNS1_3repE0EEENS1_48merge_mergepath_partition_config_static_selectorELNS0_4arch9wavefront6targetE1EEEvSH_.uses_vcc, 0
	.set _ZN7rocprim17ROCPRIM_400000_NS6detail17trampoline_kernelINS0_14default_configENS1_38merge_sort_block_merge_config_selectorIisEEZZNS1_27merge_sort_block_merge_implIS3_N6thrust23THRUST_200600_302600_NS10device_ptrIiEENS9_IsEEjNS1_19radix_merge_compareILb0ELb1EiNS0_19identity_decomposerEEEEE10hipError_tT0_T1_T2_jT3_P12ihipStream_tbPNSt15iterator_traitsISG_E10value_typeEPNSM_ISH_E10value_typeEPSI_NS1_7vsmem_tEENKUlT_SG_SH_SI_E_clIPiSA_PsSB_EESF_SV_SG_SH_SI_EUlSV_E_NS1_11comp_targetILNS1_3genE5ELNS1_11target_archE942ELNS1_3gpuE9ELNS1_3repE0EEENS1_48merge_mergepath_partition_config_static_selectorELNS0_4arch9wavefront6targetE1EEEvSH_.uses_flat_scratch, 0
	.set _ZN7rocprim17ROCPRIM_400000_NS6detail17trampoline_kernelINS0_14default_configENS1_38merge_sort_block_merge_config_selectorIisEEZZNS1_27merge_sort_block_merge_implIS3_N6thrust23THRUST_200600_302600_NS10device_ptrIiEENS9_IsEEjNS1_19radix_merge_compareILb0ELb1EiNS0_19identity_decomposerEEEEE10hipError_tT0_T1_T2_jT3_P12ihipStream_tbPNSt15iterator_traitsISG_E10value_typeEPNSM_ISH_E10value_typeEPSI_NS1_7vsmem_tEENKUlT_SG_SH_SI_E_clIPiSA_PsSB_EESF_SV_SG_SH_SI_EUlSV_E_NS1_11comp_targetILNS1_3genE5ELNS1_11target_archE942ELNS1_3gpuE9ELNS1_3repE0EEENS1_48merge_mergepath_partition_config_static_selectorELNS0_4arch9wavefront6targetE1EEEvSH_.has_dyn_sized_stack, 0
	.set _ZN7rocprim17ROCPRIM_400000_NS6detail17trampoline_kernelINS0_14default_configENS1_38merge_sort_block_merge_config_selectorIisEEZZNS1_27merge_sort_block_merge_implIS3_N6thrust23THRUST_200600_302600_NS10device_ptrIiEENS9_IsEEjNS1_19radix_merge_compareILb0ELb1EiNS0_19identity_decomposerEEEEE10hipError_tT0_T1_T2_jT3_P12ihipStream_tbPNSt15iterator_traitsISG_E10value_typeEPNSM_ISH_E10value_typeEPSI_NS1_7vsmem_tEENKUlT_SG_SH_SI_E_clIPiSA_PsSB_EESF_SV_SG_SH_SI_EUlSV_E_NS1_11comp_targetILNS1_3genE5ELNS1_11target_archE942ELNS1_3gpuE9ELNS1_3repE0EEENS1_48merge_mergepath_partition_config_static_selectorELNS0_4arch9wavefront6targetE1EEEvSH_.has_recursion, 0
	.set _ZN7rocprim17ROCPRIM_400000_NS6detail17trampoline_kernelINS0_14default_configENS1_38merge_sort_block_merge_config_selectorIisEEZZNS1_27merge_sort_block_merge_implIS3_N6thrust23THRUST_200600_302600_NS10device_ptrIiEENS9_IsEEjNS1_19radix_merge_compareILb0ELb1EiNS0_19identity_decomposerEEEEE10hipError_tT0_T1_T2_jT3_P12ihipStream_tbPNSt15iterator_traitsISG_E10value_typeEPNSM_ISH_E10value_typeEPSI_NS1_7vsmem_tEENKUlT_SG_SH_SI_E_clIPiSA_PsSB_EESF_SV_SG_SH_SI_EUlSV_E_NS1_11comp_targetILNS1_3genE5ELNS1_11target_archE942ELNS1_3gpuE9ELNS1_3repE0EEENS1_48merge_mergepath_partition_config_static_selectorELNS0_4arch9wavefront6targetE1EEEvSH_.has_indirect_call, 0
	.section	.AMDGPU.csdata,"",@progbits
; Kernel info:
; codeLenInByte = 0
; TotalNumSgprs: 6
; NumVgprs: 0
; NumAgprs: 0
; TotalNumVgprs: 0
; ScratchSize: 0
; MemoryBound: 0
; FloatMode: 240
; IeeeMode: 1
; LDSByteSize: 0 bytes/workgroup (compile time only)
; SGPRBlocks: 0
; VGPRBlocks: 0
; NumSGPRsForWavesPerEU: 6
; NumVGPRsForWavesPerEU: 1
; AccumOffset: 4
; Occupancy: 8
; WaveLimiterHint : 0
; COMPUTE_PGM_RSRC2:SCRATCH_EN: 0
; COMPUTE_PGM_RSRC2:USER_SGPR: 2
; COMPUTE_PGM_RSRC2:TRAP_HANDLER: 0
; COMPUTE_PGM_RSRC2:TGID_X_EN: 1
; COMPUTE_PGM_RSRC2:TGID_Y_EN: 0
; COMPUTE_PGM_RSRC2:TGID_Z_EN: 0
; COMPUTE_PGM_RSRC2:TIDIG_COMP_CNT: 0
; COMPUTE_PGM_RSRC3_GFX90A:ACCUM_OFFSET: 0
; COMPUTE_PGM_RSRC3_GFX90A:TG_SPLIT: 0
	.section	.text._ZN7rocprim17ROCPRIM_400000_NS6detail17trampoline_kernelINS0_14default_configENS1_38merge_sort_block_merge_config_selectorIisEEZZNS1_27merge_sort_block_merge_implIS3_N6thrust23THRUST_200600_302600_NS10device_ptrIiEENS9_IsEEjNS1_19radix_merge_compareILb0ELb1EiNS0_19identity_decomposerEEEEE10hipError_tT0_T1_T2_jT3_P12ihipStream_tbPNSt15iterator_traitsISG_E10value_typeEPNSM_ISH_E10value_typeEPSI_NS1_7vsmem_tEENKUlT_SG_SH_SI_E_clIPiSA_PsSB_EESF_SV_SG_SH_SI_EUlSV_E_NS1_11comp_targetILNS1_3genE4ELNS1_11target_archE910ELNS1_3gpuE8ELNS1_3repE0EEENS1_48merge_mergepath_partition_config_static_selectorELNS0_4arch9wavefront6targetE1EEEvSH_,"axG",@progbits,_ZN7rocprim17ROCPRIM_400000_NS6detail17trampoline_kernelINS0_14default_configENS1_38merge_sort_block_merge_config_selectorIisEEZZNS1_27merge_sort_block_merge_implIS3_N6thrust23THRUST_200600_302600_NS10device_ptrIiEENS9_IsEEjNS1_19radix_merge_compareILb0ELb1EiNS0_19identity_decomposerEEEEE10hipError_tT0_T1_T2_jT3_P12ihipStream_tbPNSt15iterator_traitsISG_E10value_typeEPNSM_ISH_E10value_typeEPSI_NS1_7vsmem_tEENKUlT_SG_SH_SI_E_clIPiSA_PsSB_EESF_SV_SG_SH_SI_EUlSV_E_NS1_11comp_targetILNS1_3genE4ELNS1_11target_archE910ELNS1_3gpuE8ELNS1_3repE0EEENS1_48merge_mergepath_partition_config_static_selectorELNS0_4arch9wavefront6targetE1EEEvSH_,comdat
	.protected	_ZN7rocprim17ROCPRIM_400000_NS6detail17trampoline_kernelINS0_14default_configENS1_38merge_sort_block_merge_config_selectorIisEEZZNS1_27merge_sort_block_merge_implIS3_N6thrust23THRUST_200600_302600_NS10device_ptrIiEENS9_IsEEjNS1_19radix_merge_compareILb0ELb1EiNS0_19identity_decomposerEEEEE10hipError_tT0_T1_T2_jT3_P12ihipStream_tbPNSt15iterator_traitsISG_E10value_typeEPNSM_ISH_E10value_typeEPSI_NS1_7vsmem_tEENKUlT_SG_SH_SI_E_clIPiSA_PsSB_EESF_SV_SG_SH_SI_EUlSV_E_NS1_11comp_targetILNS1_3genE4ELNS1_11target_archE910ELNS1_3gpuE8ELNS1_3repE0EEENS1_48merge_mergepath_partition_config_static_selectorELNS0_4arch9wavefront6targetE1EEEvSH_ ; -- Begin function _ZN7rocprim17ROCPRIM_400000_NS6detail17trampoline_kernelINS0_14default_configENS1_38merge_sort_block_merge_config_selectorIisEEZZNS1_27merge_sort_block_merge_implIS3_N6thrust23THRUST_200600_302600_NS10device_ptrIiEENS9_IsEEjNS1_19radix_merge_compareILb0ELb1EiNS0_19identity_decomposerEEEEE10hipError_tT0_T1_T2_jT3_P12ihipStream_tbPNSt15iterator_traitsISG_E10value_typeEPNSM_ISH_E10value_typeEPSI_NS1_7vsmem_tEENKUlT_SG_SH_SI_E_clIPiSA_PsSB_EESF_SV_SG_SH_SI_EUlSV_E_NS1_11comp_targetILNS1_3genE4ELNS1_11target_archE910ELNS1_3gpuE8ELNS1_3repE0EEENS1_48merge_mergepath_partition_config_static_selectorELNS0_4arch9wavefront6targetE1EEEvSH_
	.globl	_ZN7rocprim17ROCPRIM_400000_NS6detail17trampoline_kernelINS0_14default_configENS1_38merge_sort_block_merge_config_selectorIisEEZZNS1_27merge_sort_block_merge_implIS3_N6thrust23THRUST_200600_302600_NS10device_ptrIiEENS9_IsEEjNS1_19radix_merge_compareILb0ELb1EiNS0_19identity_decomposerEEEEE10hipError_tT0_T1_T2_jT3_P12ihipStream_tbPNSt15iterator_traitsISG_E10value_typeEPNSM_ISH_E10value_typeEPSI_NS1_7vsmem_tEENKUlT_SG_SH_SI_E_clIPiSA_PsSB_EESF_SV_SG_SH_SI_EUlSV_E_NS1_11comp_targetILNS1_3genE4ELNS1_11target_archE910ELNS1_3gpuE8ELNS1_3repE0EEENS1_48merge_mergepath_partition_config_static_selectorELNS0_4arch9wavefront6targetE1EEEvSH_
	.p2align	8
	.type	_ZN7rocprim17ROCPRIM_400000_NS6detail17trampoline_kernelINS0_14default_configENS1_38merge_sort_block_merge_config_selectorIisEEZZNS1_27merge_sort_block_merge_implIS3_N6thrust23THRUST_200600_302600_NS10device_ptrIiEENS9_IsEEjNS1_19radix_merge_compareILb0ELb1EiNS0_19identity_decomposerEEEEE10hipError_tT0_T1_T2_jT3_P12ihipStream_tbPNSt15iterator_traitsISG_E10value_typeEPNSM_ISH_E10value_typeEPSI_NS1_7vsmem_tEENKUlT_SG_SH_SI_E_clIPiSA_PsSB_EESF_SV_SG_SH_SI_EUlSV_E_NS1_11comp_targetILNS1_3genE4ELNS1_11target_archE910ELNS1_3gpuE8ELNS1_3repE0EEENS1_48merge_mergepath_partition_config_static_selectorELNS0_4arch9wavefront6targetE1EEEvSH_,@function
_ZN7rocprim17ROCPRIM_400000_NS6detail17trampoline_kernelINS0_14default_configENS1_38merge_sort_block_merge_config_selectorIisEEZZNS1_27merge_sort_block_merge_implIS3_N6thrust23THRUST_200600_302600_NS10device_ptrIiEENS9_IsEEjNS1_19radix_merge_compareILb0ELb1EiNS0_19identity_decomposerEEEEE10hipError_tT0_T1_T2_jT3_P12ihipStream_tbPNSt15iterator_traitsISG_E10value_typeEPNSM_ISH_E10value_typeEPSI_NS1_7vsmem_tEENKUlT_SG_SH_SI_E_clIPiSA_PsSB_EESF_SV_SG_SH_SI_EUlSV_E_NS1_11comp_targetILNS1_3genE4ELNS1_11target_archE910ELNS1_3gpuE8ELNS1_3repE0EEENS1_48merge_mergepath_partition_config_static_selectorELNS0_4arch9wavefront6targetE1EEEvSH_: ; @_ZN7rocprim17ROCPRIM_400000_NS6detail17trampoline_kernelINS0_14default_configENS1_38merge_sort_block_merge_config_selectorIisEEZZNS1_27merge_sort_block_merge_implIS3_N6thrust23THRUST_200600_302600_NS10device_ptrIiEENS9_IsEEjNS1_19radix_merge_compareILb0ELb1EiNS0_19identity_decomposerEEEEE10hipError_tT0_T1_T2_jT3_P12ihipStream_tbPNSt15iterator_traitsISG_E10value_typeEPNSM_ISH_E10value_typeEPSI_NS1_7vsmem_tEENKUlT_SG_SH_SI_E_clIPiSA_PsSB_EESF_SV_SG_SH_SI_EUlSV_E_NS1_11comp_targetILNS1_3genE4ELNS1_11target_archE910ELNS1_3gpuE8ELNS1_3repE0EEENS1_48merge_mergepath_partition_config_static_selectorELNS0_4arch9wavefront6targetE1EEEvSH_
; %bb.0:
	.section	.rodata,"a",@progbits
	.p2align	6, 0x0
	.amdhsa_kernel _ZN7rocprim17ROCPRIM_400000_NS6detail17trampoline_kernelINS0_14default_configENS1_38merge_sort_block_merge_config_selectorIisEEZZNS1_27merge_sort_block_merge_implIS3_N6thrust23THRUST_200600_302600_NS10device_ptrIiEENS9_IsEEjNS1_19radix_merge_compareILb0ELb1EiNS0_19identity_decomposerEEEEE10hipError_tT0_T1_T2_jT3_P12ihipStream_tbPNSt15iterator_traitsISG_E10value_typeEPNSM_ISH_E10value_typeEPSI_NS1_7vsmem_tEENKUlT_SG_SH_SI_E_clIPiSA_PsSB_EESF_SV_SG_SH_SI_EUlSV_E_NS1_11comp_targetILNS1_3genE4ELNS1_11target_archE910ELNS1_3gpuE8ELNS1_3repE0EEENS1_48merge_mergepath_partition_config_static_selectorELNS0_4arch9wavefront6targetE1EEEvSH_
		.amdhsa_group_segment_fixed_size 0
		.amdhsa_private_segment_fixed_size 0
		.amdhsa_kernarg_size 40
		.amdhsa_user_sgpr_count 2
		.amdhsa_user_sgpr_dispatch_ptr 0
		.amdhsa_user_sgpr_queue_ptr 0
		.amdhsa_user_sgpr_kernarg_segment_ptr 1
		.amdhsa_user_sgpr_dispatch_id 0
		.amdhsa_user_sgpr_kernarg_preload_length 0
		.amdhsa_user_sgpr_kernarg_preload_offset 0
		.amdhsa_user_sgpr_private_segment_size 0
		.amdhsa_uses_dynamic_stack 0
		.amdhsa_enable_private_segment 0
		.amdhsa_system_sgpr_workgroup_id_x 1
		.amdhsa_system_sgpr_workgroup_id_y 0
		.amdhsa_system_sgpr_workgroup_id_z 0
		.amdhsa_system_sgpr_workgroup_info 0
		.amdhsa_system_vgpr_workitem_id 0
		.amdhsa_next_free_vgpr 1
		.amdhsa_next_free_sgpr 0
		.amdhsa_accum_offset 4
		.amdhsa_reserve_vcc 0
		.amdhsa_float_round_mode_32 0
		.amdhsa_float_round_mode_16_64 0
		.amdhsa_float_denorm_mode_32 3
		.amdhsa_float_denorm_mode_16_64 3
		.amdhsa_dx10_clamp 1
		.amdhsa_ieee_mode 1
		.amdhsa_fp16_overflow 0
		.amdhsa_tg_split 0
		.amdhsa_exception_fp_ieee_invalid_op 0
		.amdhsa_exception_fp_denorm_src 0
		.amdhsa_exception_fp_ieee_div_zero 0
		.amdhsa_exception_fp_ieee_overflow 0
		.amdhsa_exception_fp_ieee_underflow 0
		.amdhsa_exception_fp_ieee_inexact 0
		.amdhsa_exception_int_div_zero 0
	.end_amdhsa_kernel
	.section	.text._ZN7rocprim17ROCPRIM_400000_NS6detail17trampoline_kernelINS0_14default_configENS1_38merge_sort_block_merge_config_selectorIisEEZZNS1_27merge_sort_block_merge_implIS3_N6thrust23THRUST_200600_302600_NS10device_ptrIiEENS9_IsEEjNS1_19radix_merge_compareILb0ELb1EiNS0_19identity_decomposerEEEEE10hipError_tT0_T1_T2_jT3_P12ihipStream_tbPNSt15iterator_traitsISG_E10value_typeEPNSM_ISH_E10value_typeEPSI_NS1_7vsmem_tEENKUlT_SG_SH_SI_E_clIPiSA_PsSB_EESF_SV_SG_SH_SI_EUlSV_E_NS1_11comp_targetILNS1_3genE4ELNS1_11target_archE910ELNS1_3gpuE8ELNS1_3repE0EEENS1_48merge_mergepath_partition_config_static_selectorELNS0_4arch9wavefront6targetE1EEEvSH_,"axG",@progbits,_ZN7rocprim17ROCPRIM_400000_NS6detail17trampoline_kernelINS0_14default_configENS1_38merge_sort_block_merge_config_selectorIisEEZZNS1_27merge_sort_block_merge_implIS3_N6thrust23THRUST_200600_302600_NS10device_ptrIiEENS9_IsEEjNS1_19radix_merge_compareILb0ELb1EiNS0_19identity_decomposerEEEEE10hipError_tT0_T1_T2_jT3_P12ihipStream_tbPNSt15iterator_traitsISG_E10value_typeEPNSM_ISH_E10value_typeEPSI_NS1_7vsmem_tEENKUlT_SG_SH_SI_E_clIPiSA_PsSB_EESF_SV_SG_SH_SI_EUlSV_E_NS1_11comp_targetILNS1_3genE4ELNS1_11target_archE910ELNS1_3gpuE8ELNS1_3repE0EEENS1_48merge_mergepath_partition_config_static_selectorELNS0_4arch9wavefront6targetE1EEEvSH_,comdat
.Lfunc_end2359:
	.size	_ZN7rocprim17ROCPRIM_400000_NS6detail17trampoline_kernelINS0_14default_configENS1_38merge_sort_block_merge_config_selectorIisEEZZNS1_27merge_sort_block_merge_implIS3_N6thrust23THRUST_200600_302600_NS10device_ptrIiEENS9_IsEEjNS1_19radix_merge_compareILb0ELb1EiNS0_19identity_decomposerEEEEE10hipError_tT0_T1_T2_jT3_P12ihipStream_tbPNSt15iterator_traitsISG_E10value_typeEPNSM_ISH_E10value_typeEPSI_NS1_7vsmem_tEENKUlT_SG_SH_SI_E_clIPiSA_PsSB_EESF_SV_SG_SH_SI_EUlSV_E_NS1_11comp_targetILNS1_3genE4ELNS1_11target_archE910ELNS1_3gpuE8ELNS1_3repE0EEENS1_48merge_mergepath_partition_config_static_selectorELNS0_4arch9wavefront6targetE1EEEvSH_, .Lfunc_end2359-_ZN7rocprim17ROCPRIM_400000_NS6detail17trampoline_kernelINS0_14default_configENS1_38merge_sort_block_merge_config_selectorIisEEZZNS1_27merge_sort_block_merge_implIS3_N6thrust23THRUST_200600_302600_NS10device_ptrIiEENS9_IsEEjNS1_19radix_merge_compareILb0ELb1EiNS0_19identity_decomposerEEEEE10hipError_tT0_T1_T2_jT3_P12ihipStream_tbPNSt15iterator_traitsISG_E10value_typeEPNSM_ISH_E10value_typeEPSI_NS1_7vsmem_tEENKUlT_SG_SH_SI_E_clIPiSA_PsSB_EESF_SV_SG_SH_SI_EUlSV_E_NS1_11comp_targetILNS1_3genE4ELNS1_11target_archE910ELNS1_3gpuE8ELNS1_3repE0EEENS1_48merge_mergepath_partition_config_static_selectorELNS0_4arch9wavefront6targetE1EEEvSH_
                                        ; -- End function
	.set _ZN7rocprim17ROCPRIM_400000_NS6detail17trampoline_kernelINS0_14default_configENS1_38merge_sort_block_merge_config_selectorIisEEZZNS1_27merge_sort_block_merge_implIS3_N6thrust23THRUST_200600_302600_NS10device_ptrIiEENS9_IsEEjNS1_19radix_merge_compareILb0ELb1EiNS0_19identity_decomposerEEEEE10hipError_tT0_T1_T2_jT3_P12ihipStream_tbPNSt15iterator_traitsISG_E10value_typeEPNSM_ISH_E10value_typeEPSI_NS1_7vsmem_tEENKUlT_SG_SH_SI_E_clIPiSA_PsSB_EESF_SV_SG_SH_SI_EUlSV_E_NS1_11comp_targetILNS1_3genE4ELNS1_11target_archE910ELNS1_3gpuE8ELNS1_3repE0EEENS1_48merge_mergepath_partition_config_static_selectorELNS0_4arch9wavefront6targetE1EEEvSH_.num_vgpr, 0
	.set _ZN7rocprim17ROCPRIM_400000_NS6detail17trampoline_kernelINS0_14default_configENS1_38merge_sort_block_merge_config_selectorIisEEZZNS1_27merge_sort_block_merge_implIS3_N6thrust23THRUST_200600_302600_NS10device_ptrIiEENS9_IsEEjNS1_19radix_merge_compareILb0ELb1EiNS0_19identity_decomposerEEEEE10hipError_tT0_T1_T2_jT3_P12ihipStream_tbPNSt15iterator_traitsISG_E10value_typeEPNSM_ISH_E10value_typeEPSI_NS1_7vsmem_tEENKUlT_SG_SH_SI_E_clIPiSA_PsSB_EESF_SV_SG_SH_SI_EUlSV_E_NS1_11comp_targetILNS1_3genE4ELNS1_11target_archE910ELNS1_3gpuE8ELNS1_3repE0EEENS1_48merge_mergepath_partition_config_static_selectorELNS0_4arch9wavefront6targetE1EEEvSH_.num_agpr, 0
	.set _ZN7rocprim17ROCPRIM_400000_NS6detail17trampoline_kernelINS0_14default_configENS1_38merge_sort_block_merge_config_selectorIisEEZZNS1_27merge_sort_block_merge_implIS3_N6thrust23THRUST_200600_302600_NS10device_ptrIiEENS9_IsEEjNS1_19radix_merge_compareILb0ELb1EiNS0_19identity_decomposerEEEEE10hipError_tT0_T1_T2_jT3_P12ihipStream_tbPNSt15iterator_traitsISG_E10value_typeEPNSM_ISH_E10value_typeEPSI_NS1_7vsmem_tEENKUlT_SG_SH_SI_E_clIPiSA_PsSB_EESF_SV_SG_SH_SI_EUlSV_E_NS1_11comp_targetILNS1_3genE4ELNS1_11target_archE910ELNS1_3gpuE8ELNS1_3repE0EEENS1_48merge_mergepath_partition_config_static_selectorELNS0_4arch9wavefront6targetE1EEEvSH_.numbered_sgpr, 0
	.set _ZN7rocprim17ROCPRIM_400000_NS6detail17trampoline_kernelINS0_14default_configENS1_38merge_sort_block_merge_config_selectorIisEEZZNS1_27merge_sort_block_merge_implIS3_N6thrust23THRUST_200600_302600_NS10device_ptrIiEENS9_IsEEjNS1_19radix_merge_compareILb0ELb1EiNS0_19identity_decomposerEEEEE10hipError_tT0_T1_T2_jT3_P12ihipStream_tbPNSt15iterator_traitsISG_E10value_typeEPNSM_ISH_E10value_typeEPSI_NS1_7vsmem_tEENKUlT_SG_SH_SI_E_clIPiSA_PsSB_EESF_SV_SG_SH_SI_EUlSV_E_NS1_11comp_targetILNS1_3genE4ELNS1_11target_archE910ELNS1_3gpuE8ELNS1_3repE0EEENS1_48merge_mergepath_partition_config_static_selectorELNS0_4arch9wavefront6targetE1EEEvSH_.num_named_barrier, 0
	.set _ZN7rocprim17ROCPRIM_400000_NS6detail17trampoline_kernelINS0_14default_configENS1_38merge_sort_block_merge_config_selectorIisEEZZNS1_27merge_sort_block_merge_implIS3_N6thrust23THRUST_200600_302600_NS10device_ptrIiEENS9_IsEEjNS1_19radix_merge_compareILb0ELb1EiNS0_19identity_decomposerEEEEE10hipError_tT0_T1_T2_jT3_P12ihipStream_tbPNSt15iterator_traitsISG_E10value_typeEPNSM_ISH_E10value_typeEPSI_NS1_7vsmem_tEENKUlT_SG_SH_SI_E_clIPiSA_PsSB_EESF_SV_SG_SH_SI_EUlSV_E_NS1_11comp_targetILNS1_3genE4ELNS1_11target_archE910ELNS1_3gpuE8ELNS1_3repE0EEENS1_48merge_mergepath_partition_config_static_selectorELNS0_4arch9wavefront6targetE1EEEvSH_.private_seg_size, 0
	.set _ZN7rocprim17ROCPRIM_400000_NS6detail17trampoline_kernelINS0_14default_configENS1_38merge_sort_block_merge_config_selectorIisEEZZNS1_27merge_sort_block_merge_implIS3_N6thrust23THRUST_200600_302600_NS10device_ptrIiEENS9_IsEEjNS1_19radix_merge_compareILb0ELb1EiNS0_19identity_decomposerEEEEE10hipError_tT0_T1_T2_jT3_P12ihipStream_tbPNSt15iterator_traitsISG_E10value_typeEPNSM_ISH_E10value_typeEPSI_NS1_7vsmem_tEENKUlT_SG_SH_SI_E_clIPiSA_PsSB_EESF_SV_SG_SH_SI_EUlSV_E_NS1_11comp_targetILNS1_3genE4ELNS1_11target_archE910ELNS1_3gpuE8ELNS1_3repE0EEENS1_48merge_mergepath_partition_config_static_selectorELNS0_4arch9wavefront6targetE1EEEvSH_.uses_vcc, 0
	.set _ZN7rocprim17ROCPRIM_400000_NS6detail17trampoline_kernelINS0_14default_configENS1_38merge_sort_block_merge_config_selectorIisEEZZNS1_27merge_sort_block_merge_implIS3_N6thrust23THRUST_200600_302600_NS10device_ptrIiEENS9_IsEEjNS1_19radix_merge_compareILb0ELb1EiNS0_19identity_decomposerEEEEE10hipError_tT0_T1_T2_jT3_P12ihipStream_tbPNSt15iterator_traitsISG_E10value_typeEPNSM_ISH_E10value_typeEPSI_NS1_7vsmem_tEENKUlT_SG_SH_SI_E_clIPiSA_PsSB_EESF_SV_SG_SH_SI_EUlSV_E_NS1_11comp_targetILNS1_3genE4ELNS1_11target_archE910ELNS1_3gpuE8ELNS1_3repE0EEENS1_48merge_mergepath_partition_config_static_selectorELNS0_4arch9wavefront6targetE1EEEvSH_.uses_flat_scratch, 0
	.set _ZN7rocprim17ROCPRIM_400000_NS6detail17trampoline_kernelINS0_14default_configENS1_38merge_sort_block_merge_config_selectorIisEEZZNS1_27merge_sort_block_merge_implIS3_N6thrust23THRUST_200600_302600_NS10device_ptrIiEENS9_IsEEjNS1_19radix_merge_compareILb0ELb1EiNS0_19identity_decomposerEEEEE10hipError_tT0_T1_T2_jT3_P12ihipStream_tbPNSt15iterator_traitsISG_E10value_typeEPNSM_ISH_E10value_typeEPSI_NS1_7vsmem_tEENKUlT_SG_SH_SI_E_clIPiSA_PsSB_EESF_SV_SG_SH_SI_EUlSV_E_NS1_11comp_targetILNS1_3genE4ELNS1_11target_archE910ELNS1_3gpuE8ELNS1_3repE0EEENS1_48merge_mergepath_partition_config_static_selectorELNS0_4arch9wavefront6targetE1EEEvSH_.has_dyn_sized_stack, 0
	.set _ZN7rocprim17ROCPRIM_400000_NS6detail17trampoline_kernelINS0_14default_configENS1_38merge_sort_block_merge_config_selectorIisEEZZNS1_27merge_sort_block_merge_implIS3_N6thrust23THRUST_200600_302600_NS10device_ptrIiEENS9_IsEEjNS1_19radix_merge_compareILb0ELb1EiNS0_19identity_decomposerEEEEE10hipError_tT0_T1_T2_jT3_P12ihipStream_tbPNSt15iterator_traitsISG_E10value_typeEPNSM_ISH_E10value_typeEPSI_NS1_7vsmem_tEENKUlT_SG_SH_SI_E_clIPiSA_PsSB_EESF_SV_SG_SH_SI_EUlSV_E_NS1_11comp_targetILNS1_3genE4ELNS1_11target_archE910ELNS1_3gpuE8ELNS1_3repE0EEENS1_48merge_mergepath_partition_config_static_selectorELNS0_4arch9wavefront6targetE1EEEvSH_.has_recursion, 0
	.set _ZN7rocprim17ROCPRIM_400000_NS6detail17trampoline_kernelINS0_14default_configENS1_38merge_sort_block_merge_config_selectorIisEEZZNS1_27merge_sort_block_merge_implIS3_N6thrust23THRUST_200600_302600_NS10device_ptrIiEENS9_IsEEjNS1_19radix_merge_compareILb0ELb1EiNS0_19identity_decomposerEEEEE10hipError_tT0_T1_T2_jT3_P12ihipStream_tbPNSt15iterator_traitsISG_E10value_typeEPNSM_ISH_E10value_typeEPSI_NS1_7vsmem_tEENKUlT_SG_SH_SI_E_clIPiSA_PsSB_EESF_SV_SG_SH_SI_EUlSV_E_NS1_11comp_targetILNS1_3genE4ELNS1_11target_archE910ELNS1_3gpuE8ELNS1_3repE0EEENS1_48merge_mergepath_partition_config_static_selectorELNS0_4arch9wavefront6targetE1EEEvSH_.has_indirect_call, 0
	.section	.AMDGPU.csdata,"",@progbits
; Kernel info:
; codeLenInByte = 0
; TotalNumSgprs: 6
; NumVgprs: 0
; NumAgprs: 0
; TotalNumVgprs: 0
; ScratchSize: 0
; MemoryBound: 0
; FloatMode: 240
; IeeeMode: 1
; LDSByteSize: 0 bytes/workgroup (compile time only)
; SGPRBlocks: 0
; VGPRBlocks: 0
; NumSGPRsForWavesPerEU: 6
; NumVGPRsForWavesPerEU: 1
; AccumOffset: 4
; Occupancy: 8
; WaveLimiterHint : 0
; COMPUTE_PGM_RSRC2:SCRATCH_EN: 0
; COMPUTE_PGM_RSRC2:USER_SGPR: 2
; COMPUTE_PGM_RSRC2:TRAP_HANDLER: 0
; COMPUTE_PGM_RSRC2:TGID_X_EN: 1
; COMPUTE_PGM_RSRC2:TGID_Y_EN: 0
; COMPUTE_PGM_RSRC2:TGID_Z_EN: 0
; COMPUTE_PGM_RSRC2:TIDIG_COMP_CNT: 0
; COMPUTE_PGM_RSRC3_GFX90A:ACCUM_OFFSET: 0
; COMPUTE_PGM_RSRC3_GFX90A:TG_SPLIT: 0
	.section	.text._ZN7rocprim17ROCPRIM_400000_NS6detail17trampoline_kernelINS0_14default_configENS1_38merge_sort_block_merge_config_selectorIisEEZZNS1_27merge_sort_block_merge_implIS3_N6thrust23THRUST_200600_302600_NS10device_ptrIiEENS9_IsEEjNS1_19radix_merge_compareILb0ELb1EiNS0_19identity_decomposerEEEEE10hipError_tT0_T1_T2_jT3_P12ihipStream_tbPNSt15iterator_traitsISG_E10value_typeEPNSM_ISH_E10value_typeEPSI_NS1_7vsmem_tEENKUlT_SG_SH_SI_E_clIPiSA_PsSB_EESF_SV_SG_SH_SI_EUlSV_E_NS1_11comp_targetILNS1_3genE3ELNS1_11target_archE908ELNS1_3gpuE7ELNS1_3repE0EEENS1_48merge_mergepath_partition_config_static_selectorELNS0_4arch9wavefront6targetE1EEEvSH_,"axG",@progbits,_ZN7rocprim17ROCPRIM_400000_NS6detail17trampoline_kernelINS0_14default_configENS1_38merge_sort_block_merge_config_selectorIisEEZZNS1_27merge_sort_block_merge_implIS3_N6thrust23THRUST_200600_302600_NS10device_ptrIiEENS9_IsEEjNS1_19radix_merge_compareILb0ELb1EiNS0_19identity_decomposerEEEEE10hipError_tT0_T1_T2_jT3_P12ihipStream_tbPNSt15iterator_traitsISG_E10value_typeEPNSM_ISH_E10value_typeEPSI_NS1_7vsmem_tEENKUlT_SG_SH_SI_E_clIPiSA_PsSB_EESF_SV_SG_SH_SI_EUlSV_E_NS1_11comp_targetILNS1_3genE3ELNS1_11target_archE908ELNS1_3gpuE7ELNS1_3repE0EEENS1_48merge_mergepath_partition_config_static_selectorELNS0_4arch9wavefront6targetE1EEEvSH_,comdat
	.protected	_ZN7rocprim17ROCPRIM_400000_NS6detail17trampoline_kernelINS0_14default_configENS1_38merge_sort_block_merge_config_selectorIisEEZZNS1_27merge_sort_block_merge_implIS3_N6thrust23THRUST_200600_302600_NS10device_ptrIiEENS9_IsEEjNS1_19radix_merge_compareILb0ELb1EiNS0_19identity_decomposerEEEEE10hipError_tT0_T1_T2_jT3_P12ihipStream_tbPNSt15iterator_traitsISG_E10value_typeEPNSM_ISH_E10value_typeEPSI_NS1_7vsmem_tEENKUlT_SG_SH_SI_E_clIPiSA_PsSB_EESF_SV_SG_SH_SI_EUlSV_E_NS1_11comp_targetILNS1_3genE3ELNS1_11target_archE908ELNS1_3gpuE7ELNS1_3repE0EEENS1_48merge_mergepath_partition_config_static_selectorELNS0_4arch9wavefront6targetE1EEEvSH_ ; -- Begin function _ZN7rocprim17ROCPRIM_400000_NS6detail17trampoline_kernelINS0_14default_configENS1_38merge_sort_block_merge_config_selectorIisEEZZNS1_27merge_sort_block_merge_implIS3_N6thrust23THRUST_200600_302600_NS10device_ptrIiEENS9_IsEEjNS1_19radix_merge_compareILb0ELb1EiNS0_19identity_decomposerEEEEE10hipError_tT0_T1_T2_jT3_P12ihipStream_tbPNSt15iterator_traitsISG_E10value_typeEPNSM_ISH_E10value_typeEPSI_NS1_7vsmem_tEENKUlT_SG_SH_SI_E_clIPiSA_PsSB_EESF_SV_SG_SH_SI_EUlSV_E_NS1_11comp_targetILNS1_3genE3ELNS1_11target_archE908ELNS1_3gpuE7ELNS1_3repE0EEENS1_48merge_mergepath_partition_config_static_selectorELNS0_4arch9wavefront6targetE1EEEvSH_
	.globl	_ZN7rocprim17ROCPRIM_400000_NS6detail17trampoline_kernelINS0_14default_configENS1_38merge_sort_block_merge_config_selectorIisEEZZNS1_27merge_sort_block_merge_implIS3_N6thrust23THRUST_200600_302600_NS10device_ptrIiEENS9_IsEEjNS1_19radix_merge_compareILb0ELb1EiNS0_19identity_decomposerEEEEE10hipError_tT0_T1_T2_jT3_P12ihipStream_tbPNSt15iterator_traitsISG_E10value_typeEPNSM_ISH_E10value_typeEPSI_NS1_7vsmem_tEENKUlT_SG_SH_SI_E_clIPiSA_PsSB_EESF_SV_SG_SH_SI_EUlSV_E_NS1_11comp_targetILNS1_3genE3ELNS1_11target_archE908ELNS1_3gpuE7ELNS1_3repE0EEENS1_48merge_mergepath_partition_config_static_selectorELNS0_4arch9wavefront6targetE1EEEvSH_
	.p2align	8
	.type	_ZN7rocprim17ROCPRIM_400000_NS6detail17trampoline_kernelINS0_14default_configENS1_38merge_sort_block_merge_config_selectorIisEEZZNS1_27merge_sort_block_merge_implIS3_N6thrust23THRUST_200600_302600_NS10device_ptrIiEENS9_IsEEjNS1_19radix_merge_compareILb0ELb1EiNS0_19identity_decomposerEEEEE10hipError_tT0_T1_T2_jT3_P12ihipStream_tbPNSt15iterator_traitsISG_E10value_typeEPNSM_ISH_E10value_typeEPSI_NS1_7vsmem_tEENKUlT_SG_SH_SI_E_clIPiSA_PsSB_EESF_SV_SG_SH_SI_EUlSV_E_NS1_11comp_targetILNS1_3genE3ELNS1_11target_archE908ELNS1_3gpuE7ELNS1_3repE0EEENS1_48merge_mergepath_partition_config_static_selectorELNS0_4arch9wavefront6targetE1EEEvSH_,@function
_ZN7rocprim17ROCPRIM_400000_NS6detail17trampoline_kernelINS0_14default_configENS1_38merge_sort_block_merge_config_selectorIisEEZZNS1_27merge_sort_block_merge_implIS3_N6thrust23THRUST_200600_302600_NS10device_ptrIiEENS9_IsEEjNS1_19radix_merge_compareILb0ELb1EiNS0_19identity_decomposerEEEEE10hipError_tT0_T1_T2_jT3_P12ihipStream_tbPNSt15iterator_traitsISG_E10value_typeEPNSM_ISH_E10value_typeEPSI_NS1_7vsmem_tEENKUlT_SG_SH_SI_E_clIPiSA_PsSB_EESF_SV_SG_SH_SI_EUlSV_E_NS1_11comp_targetILNS1_3genE3ELNS1_11target_archE908ELNS1_3gpuE7ELNS1_3repE0EEENS1_48merge_mergepath_partition_config_static_selectorELNS0_4arch9wavefront6targetE1EEEvSH_: ; @_ZN7rocprim17ROCPRIM_400000_NS6detail17trampoline_kernelINS0_14default_configENS1_38merge_sort_block_merge_config_selectorIisEEZZNS1_27merge_sort_block_merge_implIS3_N6thrust23THRUST_200600_302600_NS10device_ptrIiEENS9_IsEEjNS1_19radix_merge_compareILb0ELb1EiNS0_19identity_decomposerEEEEE10hipError_tT0_T1_T2_jT3_P12ihipStream_tbPNSt15iterator_traitsISG_E10value_typeEPNSM_ISH_E10value_typeEPSI_NS1_7vsmem_tEENKUlT_SG_SH_SI_E_clIPiSA_PsSB_EESF_SV_SG_SH_SI_EUlSV_E_NS1_11comp_targetILNS1_3genE3ELNS1_11target_archE908ELNS1_3gpuE7ELNS1_3repE0EEENS1_48merge_mergepath_partition_config_static_selectorELNS0_4arch9wavefront6targetE1EEEvSH_
; %bb.0:
	.section	.rodata,"a",@progbits
	.p2align	6, 0x0
	.amdhsa_kernel _ZN7rocprim17ROCPRIM_400000_NS6detail17trampoline_kernelINS0_14default_configENS1_38merge_sort_block_merge_config_selectorIisEEZZNS1_27merge_sort_block_merge_implIS3_N6thrust23THRUST_200600_302600_NS10device_ptrIiEENS9_IsEEjNS1_19radix_merge_compareILb0ELb1EiNS0_19identity_decomposerEEEEE10hipError_tT0_T1_T2_jT3_P12ihipStream_tbPNSt15iterator_traitsISG_E10value_typeEPNSM_ISH_E10value_typeEPSI_NS1_7vsmem_tEENKUlT_SG_SH_SI_E_clIPiSA_PsSB_EESF_SV_SG_SH_SI_EUlSV_E_NS1_11comp_targetILNS1_3genE3ELNS1_11target_archE908ELNS1_3gpuE7ELNS1_3repE0EEENS1_48merge_mergepath_partition_config_static_selectorELNS0_4arch9wavefront6targetE1EEEvSH_
		.amdhsa_group_segment_fixed_size 0
		.amdhsa_private_segment_fixed_size 0
		.amdhsa_kernarg_size 40
		.amdhsa_user_sgpr_count 2
		.amdhsa_user_sgpr_dispatch_ptr 0
		.amdhsa_user_sgpr_queue_ptr 0
		.amdhsa_user_sgpr_kernarg_segment_ptr 1
		.amdhsa_user_sgpr_dispatch_id 0
		.amdhsa_user_sgpr_kernarg_preload_length 0
		.amdhsa_user_sgpr_kernarg_preload_offset 0
		.amdhsa_user_sgpr_private_segment_size 0
		.amdhsa_uses_dynamic_stack 0
		.amdhsa_enable_private_segment 0
		.amdhsa_system_sgpr_workgroup_id_x 1
		.amdhsa_system_sgpr_workgroup_id_y 0
		.amdhsa_system_sgpr_workgroup_id_z 0
		.amdhsa_system_sgpr_workgroup_info 0
		.amdhsa_system_vgpr_workitem_id 0
		.amdhsa_next_free_vgpr 1
		.amdhsa_next_free_sgpr 0
		.amdhsa_accum_offset 4
		.amdhsa_reserve_vcc 0
		.amdhsa_float_round_mode_32 0
		.amdhsa_float_round_mode_16_64 0
		.amdhsa_float_denorm_mode_32 3
		.amdhsa_float_denorm_mode_16_64 3
		.amdhsa_dx10_clamp 1
		.amdhsa_ieee_mode 1
		.amdhsa_fp16_overflow 0
		.amdhsa_tg_split 0
		.amdhsa_exception_fp_ieee_invalid_op 0
		.amdhsa_exception_fp_denorm_src 0
		.amdhsa_exception_fp_ieee_div_zero 0
		.amdhsa_exception_fp_ieee_overflow 0
		.amdhsa_exception_fp_ieee_underflow 0
		.amdhsa_exception_fp_ieee_inexact 0
		.amdhsa_exception_int_div_zero 0
	.end_amdhsa_kernel
	.section	.text._ZN7rocprim17ROCPRIM_400000_NS6detail17trampoline_kernelINS0_14default_configENS1_38merge_sort_block_merge_config_selectorIisEEZZNS1_27merge_sort_block_merge_implIS3_N6thrust23THRUST_200600_302600_NS10device_ptrIiEENS9_IsEEjNS1_19radix_merge_compareILb0ELb1EiNS0_19identity_decomposerEEEEE10hipError_tT0_T1_T2_jT3_P12ihipStream_tbPNSt15iterator_traitsISG_E10value_typeEPNSM_ISH_E10value_typeEPSI_NS1_7vsmem_tEENKUlT_SG_SH_SI_E_clIPiSA_PsSB_EESF_SV_SG_SH_SI_EUlSV_E_NS1_11comp_targetILNS1_3genE3ELNS1_11target_archE908ELNS1_3gpuE7ELNS1_3repE0EEENS1_48merge_mergepath_partition_config_static_selectorELNS0_4arch9wavefront6targetE1EEEvSH_,"axG",@progbits,_ZN7rocprim17ROCPRIM_400000_NS6detail17trampoline_kernelINS0_14default_configENS1_38merge_sort_block_merge_config_selectorIisEEZZNS1_27merge_sort_block_merge_implIS3_N6thrust23THRUST_200600_302600_NS10device_ptrIiEENS9_IsEEjNS1_19radix_merge_compareILb0ELb1EiNS0_19identity_decomposerEEEEE10hipError_tT0_T1_T2_jT3_P12ihipStream_tbPNSt15iterator_traitsISG_E10value_typeEPNSM_ISH_E10value_typeEPSI_NS1_7vsmem_tEENKUlT_SG_SH_SI_E_clIPiSA_PsSB_EESF_SV_SG_SH_SI_EUlSV_E_NS1_11comp_targetILNS1_3genE3ELNS1_11target_archE908ELNS1_3gpuE7ELNS1_3repE0EEENS1_48merge_mergepath_partition_config_static_selectorELNS0_4arch9wavefront6targetE1EEEvSH_,comdat
.Lfunc_end2360:
	.size	_ZN7rocprim17ROCPRIM_400000_NS6detail17trampoline_kernelINS0_14default_configENS1_38merge_sort_block_merge_config_selectorIisEEZZNS1_27merge_sort_block_merge_implIS3_N6thrust23THRUST_200600_302600_NS10device_ptrIiEENS9_IsEEjNS1_19radix_merge_compareILb0ELb1EiNS0_19identity_decomposerEEEEE10hipError_tT0_T1_T2_jT3_P12ihipStream_tbPNSt15iterator_traitsISG_E10value_typeEPNSM_ISH_E10value_typeEPSI_NS1_7vsmem_tEENKUlT_SG_SH_SI_E_clIPiSA_PsSB_EESF_SV_SG_SH_SI_EUlSV_E_NS1_11comp_targetILNS1_3genE3ELNS1_11target_archE908ELNS1_3gpuE7ELNS1_3repE0EEENS1_48merge_mergepath_partition_config_static_selectorELNS0_4arch9wavefront6targetE1EEEvSH_, .Lfunc_end2360-_ZN7rocprim17ROCPRIM_400000_NS6detail17trampoline_kernelINS0_14default_configENS1_38merge_sort_block_merge_config_selectorIisEEZZNS1_27merge_sort_block_merge_implIS3_N6thrust23THRUST_200600_302600_NS10device_ptrIiEENS9_IsEEjNS1_19radix_merge_compareILb0ELb1EiNS0_19identity_decomposerEEEEE10hipError_tT0_T1_T2_jT3_P12ihipStream_tbPNSt15iterator_traitsISG_E10value_typeEPNSM_ISH_E10value_typeEPSI_NS1_7vsmem_tEENKUlT_SG_SH_SI_E_clIPiSA_PsSB_EESF_SV_SG_SH_SI_EUlSV_E_NS1_11comp_targetILNS1_3genE3ELNS1_11target_archE908ELNS1_3gpuE7ELNS1_3repE0EEENS1_48merge_mergepath_partition_config_static_selectorELNS0_4arch9wavefront6targetE1EEEvSH_
                                        ; -- End function
	.set _ZN7rocprim17ROCPRIM_400000_NS6detail17trampoline_kernelINS0_14default_configENS1_38merge_sort_block_merge_config_selectorIisEEZZNS1_27merge_sort_block_merge_implIS3_N6thrust23THRUST_200600_302600_NS10device_ptrIiEENS9_IsEEjNS1_19radix_merge_compareILb0ELb1EiNS0_19identity_decomposerEEEEE10hipError_tT0_T1_T2_jT3_P12ihipStream_tbPNSt15iterator_traitsISG_E10value_typeEPNSM_ISH_E10value_typeEPSI_NS1_7vsmem_tEENKUlT_SG_SH_SI_E_clIPiSA_PsSB_EESF_SV_SG_SH_SI_EUlSV_E_NS1_11comp_targetILNS1_3genE3ELNS1_11target_archE908ELNS1_3gpuE7ELNS1_3repE0EEENS1_48merge_mergepath_partition_config_static_selectorELNS0_4arch9wavefront6targetE1EEEvSH_.num_vgpr, 0
	.set _ZN7rocprim17ROCPRIM_400000_NS6detail17trampoline_kernelINS0_14default_configENS1_38merge_sort_block_merge_config_selectorIisEEZZNS1_27merge_sort_block_merge_implIS3_N6thrust23THRUST_200600_302600_NS10device_ptrIiEENS9_IsEEjNS1_19radix_merge_compareILb0ELb1EiNS0_19identity_decomposerEEEEE10hipError_tT0_T1_T2_jT3_P12ihipStream_tbPNSt15iterator_traitsISG_E10value_typeEPNSM_ISH_E10value_typeEPSI_NS1_7vsmem_tEENKUlT_SG_SH_SI_E_clIPiSA_PsSB_EESF_SV_SG_SH_SI_EUlSV_E_NS1_11comp_targetILNS1_3genE3ELNS1_11target_archE908ELNS1_3gpuE7ELNS1_3repE0EEENS1_48merge_mergepath_partition_config_static_selectorELNS0_4arch9wavefront6targetE1EEEvSH_.num_agpr, 0
	.set _ZN7rocprim17ROCPRIM_400000_NS6detail17trampoline_kernelINS0_14default_configENS1_38merge_sort_block_merge_config_selectorIisEEZZNS1_27merge_sort_block_merge_implIS3_N6thrust23THRUST_200600_302600_NS10device_ptrIiEENS9_IsEEjNS1_19radix_merge_compareILb0ELb1EiNS0_19identity_decomposerEEEEE10hipError_tT0_T1_T2_jT3_P12ihipStream_tbPNSt15iterator_traitsISG_E10value_typeEPNSM_ISH_E10value_typeEPSI_NS1_7vsmem_tEENKUlT_SG_SH_SI_E_clIPiSA_PsSB_EESF_SV_SG_SH_SI_EUlSV_E_NS1_11comp_targetILNS1_3genE3ELNS1_11target_archE908ELNS1_3gpuE7ELNS1_3repE0EEENS1_48merge_mergepath_partition_config_static_selectorELNS0_4arch9wavefront6targetE1EEEvSH_.numbered_sgpr, 0
	.set _ZN7rocprim17ROCPRIM_400000_NS6detail17trampoline_kernelINS0_14default_configENS1_38merge_sort_block_merge_config_selectorIisEEZZNS1_27merge_sort_block_merge_implIS3_N6thrust23THRUST_200600_302600_NS10device_ptrIiEENS9_IsEEjNS1_19radix_merge_compareILb0ELb1EiNS0_19identity_decomposerEEEEE10hipError_tT0_T1_T2_jT3_P12ihipStream_tbPNSt15iterator_traitsISG_E10value_typeEPNSM_ISH_E10value_typeEPSI_NS1_7vsmem_tEENKUlT_SG_SH_SI_E_clIPiSA_PsSB_EESF_SV_SG_SH_SI_EUlSV_E_NS1_11comp_targetILNS1_3genE3ELNS1_11target_archE908ELNS1_3gpuE7ELNS1_3repE0EEENS1_48merge_mergepath_partition_config_static_selectorELNS0_4arch9wavefront6targetE1EEEvSH_.num_named_barrier, 0
	.set _ZN7rocprim17ROCPRIM_400000_NS6detail17trampoline_kernelINS0_14default_configENS1_38merge_sort_block_merge_config_selectorIisEEZZNS1_27merge_sort_block_merge_implIS3_N6thrust23THRUST_200600_302600_NS10device_ptrIiEENS9_IsEEjNS1_19radix_merge_compareILb0ELb1EiNS0_19identity_decomposerEEEEE10hipError_tT0_T1_T2_jT3_P12ihipStream_tbPNSt15iterator_traitsISG_E10value_typeEPNSM_ISH_E10value_typeEPSI_NS1_7vsmem_tEENKUlT_SG_SH_SI_E_clIPiSA_PsSB_EESF_SV_SG_SH_SI_EUlSV_E_NS1_11comp_targetILNS1_3genE3ELNS1_11target_archE908ELNS1_3gpuE7ELNS1_3repE0EEENS1_48merge_mergepath_partition_config_static_selectorELNS0_4arch9wavefront6targetE1EEEvSH_.private_seg_size, 0
	.set _ZN7rocprim17ROCPRIM_400000_NS6detail17trampoline_kernelINS0_14default_configENS1_38merge_sort_block_merge_config_selectorIisEEZZNS1_27merge_sort_block_merge_implIS3_N6thrust23THRUST_200600_302600_NS10device_ptrIiEENS9_IsEEjNS1_19radix_merge_compareILb0ELb1EiNS0_19identity_decomposerEEEEE10hipError_tT0_T1_T2_jT3_P12ihipStream_tbPNSt15iterator_traitsISG_E10value_typeEPNSM_ISH_E10value_typeEPSI_NS1_7vsmem_tEENKUlT_SG_SH_SI_E_clIPiSA_PsSB_EESF_SV_SG_SH_SI_EUlSV_E_NS1_11comp_targetILNS1_3genE3ELNS1_11target_archE908ELNS1_3gpuE7ELNS1_3repE0EEENS1_48merge_mergepath_partition_config_static_selectorELNS0_4arch9wavefront6targetE1EEEvSH_.uses_vcc, 0
	.set _ZN7rocprim17ROCPRIM_400000_NS6detail17trampoline_kernelINS0_14default_configENS1_38merge_sort_block_merge_config_selectorIisEEZZNS1_27merge_sort_block_merge_implIS3_N6thrust23THRUST_200600_302600_NS10device_ptrIiEENS9_IsEEjNS1_19radix_merge_compareILb0ELb1EiNS0_19identity_decomposerEEEEE10hipError_tT0_T1_T2_jT3_P12ihipStream_tbPNSt15iterator_traitsISG_E10value_typeEPNSM_ISH_E10value_typeEPSI_NS1_7vsmem_tEENKUlT_SG_SH_SI_E_clIPiSA_PsSB_EESF_SV_SG_SH_SI_EUlSV_E_NS1_11comp_targetILNS1_3genE3ELNS1_11target_archE908ELNS1_3gpuE7ELNS1_3repE0EEENS1_48merge_mergepath_partition_config_static_selectorELNS0_4arch9wavefront6targetE1EEEvSH_.uses_flat_scratch, 0
	.set _ZN7rocprim17ROCPRIM_400000_NS6detail17trampoline_kernelINS0_14default_configENS1_38merge_sort_block_merge_config_selectorIisEEZZNS1_27merge_sort_block_merge_implIS3_N6thrust23THRUST_200600_302600_NS10device_ptrIiEENS9_IsEEjNS1_19radix_merge_compareILb0ELb1EiNS0_19identity_decomposerEEEEE10hipError_tT0_T1_T2_jT3_P12ihipStream_tbPNSt15iterator_traitsISG_E10value_typeEPNSM_ISH_E10value_typeEPSI_NS1_7vsmem_tEENKUlT_SG_SH_SI_E_clIPiSA_PsSB_EESF_SV_SG_SH_SI_EUlSV_E_NS1_11comp_targetILNS1_3genE3ELNS1_11target_archE908ELNS1_3gpuE7ELNS1_3repE0EEENS1_48merge_mergepath_partition_config_static_selectorELNS0_4arch9wavefront6targetE1EEEvSH_.has_dyn_sized_stack, 0
	.set _ZN7rocprim17ROCPRIM_400000_NS6detail17trampoline_kernelINS0_14default_configENS1_38merge_sort_block_merge_config_selectorIisEEZZNS1_27merge_sort_block_merge_implIS3_N6thrust23THRUST_200600_302600_NS10device_ptrIiEENS9_IsEEjNS1_19radix_merge_compareILb0ELb1EiNS0_19identity_decomposerEEEEE10hipError_tT0_T1_T2_jT3_P12ihipStream_tbPNSt15iterator_traitsISG_E10value_typeEPNSM_ISH_E10value_typeEPSI_NS1_7vsmem_tEENKUlT_SG_SH_SI_E_clIPiSA_PsSB_EESF_SV_SG_SH_SI_EUlSV_E_NS1_11comp_targetILNS1_3genE3ELNS1_11target_archE908ELNS1_3gpuE7ELNS1_3repE0EEENS1_48merge_mergepath_partition_config_static_selectorELNS0_4arch9wavefront6targetE1EEEvSH_.has_recursion, 0
	.set _ZN7rocprim17ROCPRIM_400000_NS6detail17trampoline_kernelINS0_14default_configENS1_38merge_sort_block_merge_config_selectorIisEEZZNS1_27merge_sort_block_merge_implIS3_N6thrust23THRUST_200600_302600_NS10device_ptrIiEENS9_IsEEjNS1_19radix_merge_compareILb0ELb1EiNS0_19identity_decomposerEEEEE10hipError_tT0_T1_T2_jT3_P12ihipStream_tbPNSt15iterator_traitsISG_E10value_typeEPNSM_ISH_E10value_typeEPSI_NS1_7vsmem_tEENKUlT_SG_SH_SI_E_clIPiSA_PsSB_EESF_SV_SG_SH_SI_EUlSV_E_NS1_11comp_targetILNS1_3genE3ELNS1_11target_archE908ELNS1_3gpuE7ELNS1_3repE0EEENS1_48merge_mergepath_partition_config_static_selectorELNS0_4arch9wavefront6targetE1EEEvSH_.has_indirect_call, 0
	.section	.AMDGPU.csdata,"",@progbits
; Kernel info:
; codeLenInByte = 0
; TotalNumSgprs: 6
; NumVgprs: 0
; NumAgprs: 0
; TotalNumVgprs: 0
; ScratchSize: 0
; MemoryBound: 0
; FloatMode: 240
; IeeeMode: 1
; LDSByteSize: 0 bytes/workgroup (compile time only)
; SGPRBlocks: 0
; VGPRBlocks: 0
; NumSGPRsForWavesPerEU: 6
; NumVGPRsForWavesPerEU: 1
; AccumOffset: 4
; Occupancy: 8
; WaveLimiterHint : 0
; COMPUTE_PGM_RSRC2:SCRATCH_EN: 0
; COMPUTE_PGM_RSRC2:USER_SGPR: 2
; COMPUTE_PGM_RSRC2:TRAP_HANDLER: 0
; COMPUTE_PGM_RSRC2:TGID_X_EN: 1
; COMPUTE_PGM_RSRC2:TGID_Y_EN: 0
; COMPUTE_PGM_RSRC2:TGID_Z_EN: 0
; COMPUTE_PGM_RSRC2:TIDIG_COMP_CNT: 0
; COMPUTE_PGM_RSRC3_GFX90A:ACCUM_OFFSET: 0
; COMPUTE_PGM_RSRC3_GFX90A:TG_SPLIT: 0
	.section	.text._ZN7rocprim17ROCPRIM_400000_NS6detail17trampoline_kernelINS0_14default_configENS1_38merge_sort_block_merge_config_selectorIisEEZZNS1_27merge_sort_block_merge_implIS3_N6thrust23THRUST_200600_302600_NS10device_ptrIiEENS9_IsEEjNS1_19radix_merge_compareILb0ELb1EiNS0_19identity_decomposerEEEEE10hipError_tT0_T1_T2_jT3_P12ihipStream_tbPNSt15iterator_traitsISG_E10value_typeEPNSM_ISH_E10value_typeEPSI_NS1_7vsmem_tEENKUlT_SG_SH_SI_E_clIPiSA_PsSB_EESF_SV_SG_SH_SI_EUlSV_E_NS1_11comp_targetILNS1_3genE2ELNS1_11target_archE906ELNS1_3gpuE6ELNS1_3repE0EEENS1_48merge_mergepath_partition_config_static_selectorELNS0_4arch9wavefront6targetE1EEEvSH_,"axG",@progbits,_ZN7rocprim17ROCPRIM_400000_NS6detail17trampoline_kernelINS0_14default_configENS1_38merge_sort_block_merge_config_selectorIisEEZZNS1_27merge_sort_block_merge_implIS3_N6thrust23THRUST_200600_302600_NS10device_ptrIiEENS9_IsEEjNS1_19radix_merge_compareILb0ELb1EiNS0_19identity_decomposerEEEEE10hipError_tT0_T1_T2_jT3_P12ihipStream_tbPNSt15iterator_traitsISG_E10value_typeEPNSM_ISH_E10value_typeEPSI_NS1_7vsmem_tEENKUlT_SG_SH_SI_E_clIPiSA_PsSB_EESF_SV_SG_SH_SI_EUlSV_E_NS1_11comp_targetILNS1_3genE2ELNS1_11target_archE906ELNS1_3gpuE6ELNS1_3repE0EEENS1_48merge_mergepath_partition_config_static_selectorELNS0_4arch9wavefront6targetE1EEEvSH_,comdat
	.protected	_ZN7rocprim17ROCPRIM_400000_NS6detail17trampoline_kernelINS0_14default_configENS1_38merge_sort_block_merge_config_selectorIisEEZZNS1_27merge_sort_block_merge_implIS3_N6thrust23THRUST_200600_302600_NS10device_ptrIiEENS9_IsEEjNS1_19radix_merge_compareILb0ELb1EiNS0_19identity_decomposerEEEEE10hipError_tT0_T1_T2_jT3_P12ihipStream_tbPNSt15iterator_traitsISG_E10value_typeEPNSM_ISH_E10value_typeEPSI_NS1_7vsmem_tEENKUlT_SG_SH_SI_E_clIPiSA_PsSB_EESF_SV_SG_SH_SI_EUlSV_E_NS1_11comp_targetILNS1_3genE2ELNS1_11target_archE906ELNS1_3gpuE6ELNS1_3repE0EEENS1_48merge_mergepath_partition_config_static_selectorELNS0_4arch9wavefront6targetE1EEEvSH_ ; -- Begin function _ZN7rocprim17ROCPRIM_400000_NS6detail17trampoline_kernelINS0_14default_configENS1_38merge_sort_block_merge_config_selectorIisEEZZNS1_27merge_sort_block_merge_implIS3_N6thrust23THRUST_200600_302600_NS10device_ptrIiEENS9_IsEEjNS1_19radix_merge_compareILb0ELb1EiNS0_19identity_decomposerEEEEE10hipError_tT0_T1_T2_jT3_P12ihipStream_tbPNSt15iterator_traitsISG_E10value_typeEPNSM_ISH_E10value_typeEPSI_NS1_7vsmem_tEENKUlT_SG_SH_SI_E_clIPiSA_PsSB_EESF_SV_SG_SH_SI_EUlSV_E_NS1_11comp_targetILNS1_3genE2ELNS1_11target_archE906ELNS1_3gpuE6ELNS1_3repE0EEENS1_48merge_mergepath_partition_config_static_selectorELNS0_4arch9wavefront6targetE1EEEvSH_
	.globl	_ZN7rocprim17ROCPRIM_400000_NS6detail17trampoline_kernelINS0_14default_configENS1_38merge_sort_block_merge_config_selectorIisEEZZNS1_27merge_sort_block_merge_implIS3_N6thrust23THRUST_200600_302600_NS10device_ptrIiEENS9_IsEEjNS1_19radix_merge_compareILb0ELb1EiNS0_19identity_decomposerEEEEE10hipError_tT0_T1_T2_jT3_P12ihipStream_tbPNSt15iterator_traitsISG_E10value_typeEPNSM_ISH_E10value_typeEPSI_NS1_7vsmem_tEENKUlT_SG_SH_SI_E_clIPiSA_PsSB_EESF_SV_SG_SH_SI_EUlSV_E_NS1_11comp_targetILNS1_3genE2ELNS1_11target_archE906ELNS1_3gpuE6ELNS1_3repE0EEENS1_48merge_mergepath_partition_config_static_selectorELNS0_4arch9wavefront6targetE1EEEvSH_
	.p2align	8
	.type	_ZN7rocprim17ROCPRIM_400000_NS6detail17trampoline_kernelINS0_14default_configENS1_38merge_sort_block_merge_config_selectorIisEEZZNS1_27merge_sort_block_merge_implIS3_N6thrust23THRUST_200600_302600_NS10device_ptrIiEENS9_IsEEjNS1_19radix_merge_compareILb0ELb1EiNS0_19identity_decomposerEEEEE10hipError_tT0_T1_T2_jT3_P12ihipStream_tbPNSt15iterator_traitsISG_E10value_typeEPNSM_ISH_E10value_typeEPSI_NS1_7vsmem_tEENKUlT_SG_SH_SI_E_clIPiSA_PsSB_EESF_SV_SG_SH_SI_EUlSV_E_NS1_11comp_targetILNS1_3genE2ELNS1_11target_archE906ELNS1_3gpuE6ELNS1_3repE0EEENS1_48merge_mergepath_partition_config_static_selectorELNS0_4arch9wavefront6targetE1EEEvSH_,@function
_ZN7rocprim17ROCPRIM_400000_NS6detail17trampoline_kernelINS0_14default_configENS1_38merge_sort_block_merge_config_selectorIisEEZZNS1_27merge_sort_block_merge_implIS3_N6thrust23THRUST_200600_302600_NS10device_ptrIiEENS9_IsEEjNS1_19radix_merge_compareILb0ELb1EiNS0_19identity_decomposerEEEEE10hipError_tT0_T1_T2_jT3_P12ihipStream_tbPNSt15iterator_traitsISG_E10value_typeEPNSM_ISH_E10value_typeEPSI_NS1_7vsmem_tEENKUlT_SG_SH_SI_E_clIPiSA_PsSB_EESF_SV_SG_SH_SI_EUlSV_E_NS1_11comp_targetILNS1_3genE2ELNS1_11target_archE906ELNS1_3gpuE6ELNS1_3repE0EEENS1_48merge_mergepath_partition_config_static_selectorELNS0_4arch9wavefront6targetE1EEEvSH_: ; @_ZN7rocprim17ROCPRIM_400000_NS6detail17trampoline_kernelINS0_14default_configENS1_38merge_sort_block_merge_config_selectorIisEEZZNS1_27merge_sort_block_merge_implIS3_N6thrust23THRUST_200600_302600_NS10device_ptrIiEENS9_IsEEjNS1_19radix_merge_compareILb0ELb1EiNS0_19identity_decomposerEEEEE10hipError_tT0_T1_T2_jT3_P12ihipStream_tbPNSt15iterator_traitsISG_E10value_typeEPNSM_ISH_E10value_typeEPSI_NS1_7vsmem_tEENKUlT_SG_SH_SI_E_clIPiSA_PsSB_EESF_SV_SG_SH_SI_EUlSV_E_NS1_11comp_targetILNS1_3genE2ELNS1_11target_archE906ELNS1_3gpuE6ELNS1_3repE0EEENS1_48merge_mergepath_partition_config_static_selectorELNS0_4arch9wavefront6targetE1EEEvSH_
; %bb.0:
	.section	.rodata,"a",@progbits
	.p2align	6, 0x0
	.amdhsa_kernel _ZN7rocprim17ROCPRIM_400000_NS6detail17trampoline_kernelINS0_14default_configENS1_38merge_sort_block_merge_config_selectorIisEEZZNS1_27merge_sort_block_merge_implIS3_N6thrust23THRUST_200600_302600_NS10device_ptrIiEENS9_IsEEjNS1_19radix_merge_compareILb0ELb1EiNS0_19identity_decomposerEEEEE10hipError_tT0_T1_T2_jT3_P12ihipStream_tbPNSt15iterator_traitsISG_E10value_typeEPNSM_ISH_E10value_typeEPSI_NS1_7vsmem_tEENKUlT_SG_SH_SI_E_clIPiSA_PsSB_EESF_SV_SG_SH_SI_EUlSV_E_NS1_11comp_targetILNS1_3genE2ELNS1_11target_archE906ELNS1_3gpuE6ELNS1_3repE0EEENS1_48merge_mergepath_partition_config_static_selectorELNS0_4arch9wavefront6targetE1EEEvSH_
		.amdhsa_group_segment_fixed_size 0
		.amdhsa_private_segment_fixed_size 0
		.amdhsa_kernarg_size 40
		.amdhsa_user_sgpr_count 2
		.amdhsa_user_sgpr_dispatch_ptr 0
		.amdhsa_user_sgpr_queue_ptr 0
		.amdhsa_user_sgpr_kernarg_segment_ptr 1
		.amdhsa_user_sgpr_dispatch_id 0
		.amdhsa_user_sgpr_kernarg_preload_length 0
		.amdhsa_user_sgpr_kernarg_preload_offset 0
		.amdhsa_user_sgpr_private_segment_size 0
		.amdhsa_uses_dynamic_stack 0
		.amdhsa_enable_private_segment 0
		.amdhsa_system_sgpr_workgroup_id_x 1
		.amdhsa_system_sgpr_workgroup_id_y 0
		.amdhsa_system_sgpr_workgroup_id_z 0
		.amdhsa_system_sgpr_workgroup_info 0
		.amdhsa_system_vgpr_workitem_id 0
		.amdhsa_next_free_vgpr 1
		.amdhsa_next_free_sgpr 0
		.amdhsa_accum_offset 4
		.amdhsa_reserve_vcc 0
		.amdhsa_float_round_mode_32 0
		.amdhsa_float_round_mode_16_64 0
		.amdhsa_float_denorm_mode_32 3
		.amdhsa_float_denorm_mode_16_64 3
		.amdhsa_dx10_clamp 1
		.amdhsa_ieee_mode 1
		.amdhsa_fp16_overflow 0
		.amdhsa_tg_split 0
		.amdhsa_exception_fp_ieee_invalid_op 0
		.amdhsa_exception_fp_denorm_src 0
		.amdhsa_exception_fp_ieee_div_zero 0
		.amdhsa_exception_fp_ieee_overflow 0
		.amdhsa_exception_fp_ieee_underflow 0
		.amdhsa_exception_fp_ieee_inexact 0
		.amdhsa_exception_int_div_zero 0
	.end_amdhsa_kernel
	.section	.text._ZN7rocprim17ROCPRIM_400000_NS6detail17trampoline_kernelINS0_14default_configENS1_38merge_sort_block_merge_config_selectorIisEEZZNS1_27merge_sort_block_merge_implIS3_N6thrust23THRUST_200600_302600_NS10device_ptrIiEENS9_IsEEjNS1_19radix_merge_compareILb0ELb1EiNS0_19identity_decomposerEEEEE10hipError_tT0_T1_T2_jT3_P12ihipStream_tbPNSt15iterator_traitsISG_E10value_typeEPNSM_ISH_E10value_typeEPSI_NS1_7vsmem_tEENKUlT_SG_SH_SI_E_clIPiSA_PsSB_EESF_SV_SG_SH_SI_EUlSV_E_NS1_11comp_targetILNS1_3genE2ELNS1_11target_archE906ELNS1_3gpuE6ELNS1_3repE0EEENS1_48merge_mergepath_partition_config_static_selectorELNS0_4arch9wavefront6targetE1EEEvSH_,"axG",@progbits,_ZN7rocprim17ROCPRIM_400000_NS6detail17trampoline_kernelINS0_14default_configENS1_38merge_sort_block_merge_config_selectorIisEEZZNS1_27merge_sort_block_merge_implIS3_N6thrust23THRUST_200600_302600_NS10device_ptrIiEENS9_IsEEjNS1_19radix_merge_compareILb0ELb1EiNS0_19identity_decomposerEEEEE10hipError_tT0_T1_T2_jT3_P12ihipStream_tbPNSt15iterator_traitsISG_E10value_typeEPNSM_ISH_E10value_typeEPSI_NS1_7vsmem_tEENKUlT_SG_SH_SI_E_clIPiSA_PsSB_EESF_SV_SG_SH_SI_EUlSV_E_NS1_11comp_targetILNS1_3genE2ELNS1_11target_archE906ELNS1_3gpuE6ELNS1_3repE0EEENS1_48merge_mergepath_partition_config_static_selectorELNS0_4arch9wavefront6targetE1EEEvSH_,comdat
.Lfunc_end2361:
	.size	_ZN7rocprim17ROCPRIM_400000_NS6detail17trampoline_kernelINS0_14default_configENS1_38merge_sort_block_merge_config_selectorIisEEZZNS1_27merge_sort_block_merge_implIS3_N6thrust23THRUST_200600_302600_NS10device_ptrIiEENS9_IsEEjNS1_19radix_merge_compareILb0ELb1EiNS0_19identity_decomposerEEEEE10hipError_tT0_T1_T2_jT3_P12ihipStream_tbPNSt15iterator_traitsISG_E10value_typeEPNSM_ISH_E10value_typeEPSI_NS1_7vsmem_tEENKUlT_SG_SH_SI_E_clIPiSA_PsSB_EESF_SV_SG_SH_SI_EUlSV_E_NS1_11comp_targetILNS1_3genE2ELNS1_11target_archE906ELNS1_3gpuE6ELNS1_3repE0EEENS1_48merge_mergepath_partition_config_static_selectorELNS0_4arch9wavefront6targetE1EEEvSH_, .Lfunc_end2361-_ZN7rocprim17ROCPRIM_400000_NS6detail17trampoline_kernelINS0_14default_configENS1_38merge_sort_block_merge_config_selectorIisEEZZNS1_27merge_sort_block_merge_implIS3_N6thrust23THRUST_200600_302600_NS10device_ptrIiEENS9_IsEEjNS1_19radix_merge_compareILb0ELb1EiNS0_19identity_decomposerEEEEE10hipError_tT0_T1_T2_jT3_P12ihipStream_tbPNSt15iterator_traitsISG_E10value_typeEPNSM_ISH_E10value_typeEPSI_NS1_7vsmem_tEENKUlT_SG_SH_SI_E_clIPiSA_PsSB_EESF_SV_SG_SH_SI_EUlSV_E_NS1_11comp_targetILNS1_3genE2ELNS1_11target_archE906ELNS1_3gpuE6ELNS1_3repE0EEENS1_48merge_mergepath_partition_config_static_selectorELNS0_4arch9wavefront6targetE1EEEvSH_
                                        ; -- End function
	.set _ZN7rocprim17ROCPRIM_400000_NS6detail17trampoline_kernelINS0_14default_configENS1_38merge_sort_block_merge_config_selectorIisEEZZNS1_27merge_sort_block_merge_implIS3_N6thrust23THRUST_200600_302600_NS10device_ptrIiEENS9_IsEEjNS1_19radix_merge_compareILb0ELb1EiNS0_19identity_decomposerEEEEE10hipError_tT0_T1_T2_jT3_P12ihipStream_tbPNSt15iterator_traitsISG_E10value_typeEPNSM_ISH_E10value_typeEPSI_NS1_7vsmem_tEENKUlT_SG_SH_SI_E_clIPiSA_PsSB_EESF_SV_SG_SH_SI_EUlSV_E_NS1_11comp_targetILNS1_3genE2ELNS1_11target_archE906ELNS1_3gpuE6ELNS1_3repE0EEENS1_48merge_mergepath_partition_config_static_selectorELNS0_4arch9wavefront6targetE1EEEvSH_.num_vgpr, 0
	.set _ZN7rocprim17ROCPRIM_400000_NS6detail17trampoline_kernelINS0_14default_configENS1_38merge_sort_block_merge_config_selectorIisEEZZNS1_27merge_sort_block_merge_implIS3_N6thrust23THRUST_200600_302600_NS10device_ptrIiEENS9_IsEEjNS1_19radix_merge_compareILb0ELb1EiNS0_19identity_decomposerEEEEE10hipError_tT0_T1_T2_jT3_P12ihipStream_tbPNSt15iterator_traitsISG_E10value_typeEPNSM_ISH_E10value_typeEPSI_NS1_7vsmem_tEENKUlT_SG_SH_SI_E_clIPiSA_PsSB_EESF_SV_SG_SH_SI_EUlSV_E_NS1_11comp_targetILNS1_3genE2ELNS1_11target_archE906ELNS1_3gpuE6ELNS1_3repE0EEENS1_48merge_mergepath_partition_config_static_selectorELNS0_4arch9wavefront6targetE1EEEvSH_.num_agpr, 0
	.set _ZN7rocprim17ROCPRIM_400000_NS6detail17trampoline_kernelINS0_14default_configENS1_38merge_sort_block_merge_config_selectorIisEEZZNS1_27merge_sort_block_merge_implIS3_N6thrust23THRUST_200600_302600_NS10device_ptrIiEENS9_IsEEjNS1_19radix_merge_compareILb0ELb1EiNS0_19identity_decomposerEEEEE10hipError_tT0_T1_T2_jT3_P12ihipStream_tbPNSt15iterator_traitsISG_E10value_typeEPNSM_ISH_E10value_typeEPSI_NS1_7vsmem_tEENKUlT_SG_SH_SI_E_clIPiSA_PsSB_EESF_SV_SG_SH_SI_EUlSV_E_NS1_11comp_targetILNS1_3genE2ELNS1_11target_archE906ELNS1_3gpuE6ELNS1_3repE0EEENS1_48merge_mergepath_partition_config_static_selectorELNS0_4arch9wavefront6targetE1EEEvSH_.numbered_sgpr, 0
	.set _ZN7rocprim17ROCPRIM_400000_NS6detail17trampoline_kernelINS0_14default_configENS1_38merge_sort_block_merge_config_selectorIisEEZZNS1_27merge_sort_block_merge_implIS3_N6thrust23THRUST_200600_302600_NS10device_ptrIiEENS9_IsEEjNS1_19radix_merge_compareILb0ELb1EiNS0_19identity_decomposerEEEEE10hipError_tT0_T1_T2_jT3_P12ihipStream_tbPNSt15iterator_traitsISG_E10value_typeEPNSM_ISH_E10value_typeEPSI_NS1_7vsmem_tEENKUlT_SG_SH_SI_E_clIPiSA_PsSB_EESF_SV_SG_SH_SI_EUlSV_E_NS1_11comp_targetILNS1_3genE2ELNS1_11target_archE906ELNS1_3gpuE6ELNS1_3repE0EEENS1_48merge_mergepath_partition_config_static_selectorELNS0_4arch9wavefront6targetE1EEEvSH_.num_named_barrier, 0
	.set _ZN7rocprim17ROCPRIM_400000_NS6detail17trampoline_kernelINS0_14default_configENS1_38merge_sort_block_merge_config_selectorIisEEZZNS1_27merge_sort_block_merge_implIS3_N6thrust23THRUST_200600_302600_NS10device_ptrIiEENS9_IsEEjNS1_19radix_merge_compareILb0ELb1EiNS0_19identity_decomposerEEEEE10hipError_tT0_T1_T2_jT3_P12ihipStream_tbPNSt15iterator_traitsISG_E10value_typeEPNSM_ISH_E10value_typeEPSI_NS1_7vsmem_tEENKUlT_SG_SH_SI_E_clIPiSA_PsSB_EESF_SV_SG_SH_SI_EUlSV_E_NS1_11comp_targetILNS1_3genE2ELNS1_11target_archE906ELNS1_3gpuE6ELNS1_3repE0EEENS1_48merge_mergepath_partition_config_static_selectorELNS0_4arch9wavefront6targetE1EEEvSH_.private_seg_size, 0
	.set _ZN7rocprim17ROCPRIM_400000_NS6detail17trampoline_kernelINS0_14default_configENS1_38merge_sort_block_merge_config_selectorIisEEZZNS1_27merge_sort_block_merge_implIS3_N6thrust23THRUST_200600_302600_NS10device_ptrIiEENS9_IsEEjNS1_19radix_merge_compareILb0ELb1EiNS0_19identity_decomposerEEEEE10hipError_tT0_T1_T2_jT3_P12ihipStream_tbPNSt15iterator_traitsISG_E10value_typeEPNSM_ISH_E10value_typeEPSI_NS1_7vsmem_tEENKUlT_SG_SH_SI_E_clIPiSA_PsSB_EESF_SV_SG_SH_SI_EUlSV_E_NS1_11comp_targetILNS1_3genE2ELNS1_11target_archE906ELNS1_3gpuE6ELNS1_3repE0EEENS1_48merge_mergepath_partition_config_static_selectorELNS0_4arch9wavefront6targetE1EEEvSH_.uses_vcc, 0
	.set _ZN7rocprim17ROCPRIM_400000_NS6detail17trampoline_kernelINS0_14default_configENS1_38merge_sort_block_merge_config_selectorIisEEZZNS1_27merge_sort_block_merge_implIS3_N6thrust23THRUST_200600_302600_NS10device_ptrIiEENS9_IsEEjNS1_19radix_merge_compareILb0ELb1EiNS0_19identity_decomposerEEEEE10hipError_tT0_T1_T2_jT3_P12ihipStream_tbPNSt15iterator_traitsISG_E10value_typeEPNSM_ISH_E10value_typeEPSI_NS1_7vsmem_tEENKUlT_SG_SH_SI_E_clIPiSA_PsSB_EESF_SV_SG_SH_SI_EUlSV_E_NS1_11comp_targetILNS1_3genE2ELNS1_11target_archE906ELNS1_3gpuE6ELNS1_3repE0EEENS1_48merge_mergepath_partition_config_static_selectorELNS0_4arch9wavefront6targetE1EEEvSH_.uses_flat_scratch, 0
	.set _ZN7rocprim17ROCPRIM_400000_NS6detail17trampoline_kernelINS0_14default_configENS1_38merge_sort_block_merge_config_selectorIisEEZZNS1_27merge_sort_block_merge_implIS3_N6thrust23THRUST_200600_302600_NS10device_ptrIiEENS9_IsEEjNS1_19radix_merge_compareILb0ELb1EiNS0_19identity_decomposerEEEEE10hipError_tT0_T1_T2_jT3_P12ihipStream_tbPNSt15iterator_traitsISG_E10value_typeEPNSM_ISH_E10value_typeEPSI_NS1_7vsmem_tEENKUlT_SG_SH_SI_E_clIPiSA_PsSB_EESF_SV_SG_SH_SI_EUlSV_E_NS1_11comp_targetILNS1_3genE2ELNS1_11target_archE906ELNS1_3gpuE6ELNS1_3repE0EEENS1_48merge_mergepath_partition_config_static_selectorELNS0_4arch9wavefront6targetE1EEEvSH_.has_dyn_sized_stack, 0
	.set _ZN7rocprim17ROCPRIM_400000_NS6detail17trampoline_kernelINS0_14default_configENS1_38merge_sort_block_merge_config_selectorIisEEZZNS1_27merge_sort_block_merge_implIS3_N6thrust23THRUST_200600_302600_NS10device_ptrIiEENS9_IsEEjNS1_19radix_merge_compareILb0ELb1EiNS0_19identity_decomposerEEEEE10hipError_tT0_T1_T2_jT3_P12ihipStream_tbPNSt15iterator_traitsISG_E10value_typeEPNSM_ISH_E10value_typeEPSI_NS1_7vsmem_tEENKUlT_SG_SH_SI_E_clIPiSA_PsSB_EESF_SV_SG_SH_SI_EUlSV_E_NS1_11comp_targetILNS1_3genE2ELNS1_11target_archE906ELNS1_3gpuE6ELNS1_3repE0EEENS1_48merge_mergepath_partition_config_static_selectorELNS0_4arch9wavefront6targetE1EEEvSH_.has_recursion, 0
	.set _ZN7rocprim17ROCPRIM_400000_NS6detail17trampoline_kernelINS0_14default_configENS1_38merge_sort_block_merge_config_selectorIisEEZZNS1_27merge_sort_block_merge_implIS3_N6thrust23THRUST_200600_302600_NS10device_ptrIiEENS9_IsEEjNS1_19radix_merge_compareILb0ELb1EiNS0_19identity_decomposerEEEEE10hipError_tT0_T1_T2_jT3_P12ihipStream_tbPNSt15iterator_traitsISG_E10value_typeEPNSM_ISH_E10value_typeEPSI_NS1_7vsmem_tEENKUlT_SG_SH_SI_E_clIPiSA_PsSB_EESF_SV_SG_SH_SI_EUlSV_E_NS1_11comp_targetILNS1_3genE2ELNS1_11target_archE906ELNS1_3gpuE6ELNS1_3repE0EEENS1_48merge_mergepath_partition_config_static_selectorELNS0_4arch9wavefront6targetE1EEEvSH_.has_indirect_call, 0
	.section	.AMDGPU.csdata,"",@progbits
; Kernel info:
; codeLenInByte = 0
; TotalNumSgprs: 6
; NumVgprs: 0
; NumAgprs: 0
; TotalNumVgprs: 0
; ScratchSize: 0
; MemoryBound: 0
; FloatMode: 240
; IeeeMode: 1
; LDSByteSize: 0 bytes/workgroup (compile time only)
; SGPRBlocks: 0
; VGPRBlocks: 0
; NumSGPRsForWavesPerEU: 6
; NumVGPRsForWavesPerEU: 1
; AccumOffset: 4
; Occupancy: 8
; WaveLimiterHint : 0
; COMPUTE_PGM_RSRC2:SCRATCH_EN: 0
; COMPUTE_PGM_RSRC2:USER_SGPR: 2
; COMPUTE_PGM_RSRC2:TRAP_HANDLER: 0
; COMPUTE_PGM_RSRC2:TGID_X_EN: 1
; COMPUTE_PGM_RSRC2:TGID_Y_EN: 0
; COMPUTE_PGM_RSRC2:TGID_Z_EN: 0
; COMPUTE_PGM_RSRC2:TIDIG_COMP_CNT: 0
; COMPUTE_PGM_RSRC3_GFX90A:ACCUM_OFFSET: 0
; COMPUTE_PGM_RSRC3_GFX90A:TG_SPLIT: 0
	.section	.text._ZN7rocprim17ROCPRIM_400000_NS6detail17trampoline_kernelINS0_14default_configENS1_38merge_sort_block_merge_config_selectorIisEEZZNS1_27merge_sort_block_merge_implIS3_N6thrust23THRUST_200600_302600_NS10device_ptrIiEENS9_IsEEjNS1_19radix_merge_compareILb0ELb1EiNS0_19identity_decomposerEEEEE10hipError_tT0_T1_T2_jT3_P12ihipStream_tbPNSt15iterator_traitsISG_E10value_typeEPNSM_ISH_E10value_typeEPSI_NS1_7vsmem_tEENKUlT_SG_SH_SI_E_clIPiSA_PsSB_EESF_SV_SG_SH_SI_EUlSV_E_NS1_11comp_targetILNS1_3genE9ELNS1_11target_archE1100ELNS1_3gpuE3ELNS1_3repE0EEENS1_48merge_mergepath_partition_config_static_selectorELNS0_4arch9wavefront6targetE1EEEvSH_,"axG",@progbits,_ZN7rocprim17ROCPRIM_400000_NS6detail17trampoline_kernelINS0_14default_configENS1_38merge_sort_block_merge_config_selectorIisEEZZNS1_27merge_sort_block_merge_implIS3_N6thrust23THRUST_200600_302600_NS10device_ptrIiEENS9_IsEEjNS1_19radix_merge_compareILb0ELb1EiNS0_19identity_decomposerEEEEE10hipError_tT0_T1_T2_jT3_P12ihipStream_tbPNSt15iterator_traitsISG_E10value_typeEPNSM_ISH_E10value_typeEPSI_NS1_7vsmem_tEENKUlT_SG_SH_SI_E_clIPiSA_PsSB_EESF_SV_SG_SH_SI_EUlSV_E_NS1_11comp_targetILNS1_3genE9ELNS1_11target_archE1100ELNS1_3gpuE3ELNS1_3repE0EEENS1_48merge_mergepath_partition_config_static_selectorELNS0_4arch9wavefront6targetE1EEEvSH_,comdat
	.protected	_ZN7rocprim17ROCPRIM_400000_NS6detail17trampoline_kernelINS0_14default_configENS1_38merge_sort_block_merge_config_selectorIisEEZZNS1_27merge_sort_block_merge_implIS3_N6thrust23THRUST_200600_302600_NS10device_ptrIiEENS9_IsEEjNS1_19radix_merge_compareILb0ELb1EiNS0_19identity_decomposerEEEEE10hipError_tT0_T1_T2_jT3_P12ihipStream_tbPNSt15iterator_traitsISG_E10value_typeEPNSM_ISH_E10value_typeEPSI_NS1_7vsmem_tEENKUlT_SG_SH_SI_E_clIPiSA_PsSB_EESF_SV_SG_SH_SI_EUlSV_E_NS1_11comp_targetILNS1_3genE9ELNS1_11target_archE1100ELNS1_3gpuE3ELNS1_3repE0EEENS1_48merge_mergepath_partition_config_static_selectorELNS0_4arch9wavefront6targetE1EEEvSH_ ; -- Begin function _ZN7rocprim17ROCPRIM_400000_NS6detail17trampoline_kernelINS0_14default_configENS1_38merge_sort_block_merge_config_selectorIisEEZZNS1_27merge_sort_block_merge_implIS3_N6thrust23THRUST_200600_302600_NS10device_ptrIiEENS9_IsEEjNS1_19radix_merge_compareILb0ELb1EiNS0_19identity_decomposerEEEEE10hipError_tT0_T1_T2_jT3_P12ihipStream_tbPNSt15iterator_traitsISG_E10value_typeEPNSM_ISH_E10value_typeEPSI_NS1_7vsmem_tEENKUlT_SG_SH_SI_E_clIPiSA_PsSB_EESF_SV_SG_SH_SI_EUlSV_E_NS1_11comp_targetILNS1_3genE9ELNS1_11target_archE1100ELNS1_3gpuE3ELNS1_3repE0EEENS1_48merge_mergepath_partition_config_static_selectorELNS0_4arch9wavefront6targetE1EEEvSH_
	.globl	_ZN7rocprim17ROCPRIM_400000_NS6detail17trampoline_kernelINS0_14default_configENS1_38merge_sort_block_merge_config_selectorIisEEZZNS1_27merge_sort_block_merge_implIS3_N6thrust23THRUST_200600_302600_NS10device_ptrIiEENS9_IsEEjNS1_19radix_merge_compareILb0ELb1EiNS0_19identity_decomposerEEEEE10hipError_tT0_T1_T2_jT3_P12ihipStream_tbPNSt15iterator_traitsISG_E10value_typeEPNSM_ISH_E10value_typeEPSI_NS1_7vsmem_tEENKUlT_SG_SH_SI_E_clIPiSA_PsSB_EESF_SV_SG_SH_SI_EUlSV_E_NS1_11comp_targetILNS1_3genE9ELNS1_11target_archE1100ELNS1_3gpuE3ELNS1_3repE0EEENS1_48merge_mergepath_partition_config_static_selectorELNS0_4arch9wavefront6targetE1EEEvSH_
	.p2align	8
	.type	_ZN7rocprim17ROCPRIM_400000_NS6detail17trampoline_kernelINS0_14default_configENS1_38merge_sort_block_merge_config_selectorIisEEZZNS1_27merge_sort_block_merge_implIS3_N6thrust23THRUST_200600_302600_NS10device_ptrIiEENS9_IsEEjNS1_19radix_merge_compareILb0ELb1EiNS0_19identity_decomposerEEEEE10hipError_tT0_T1_T2_jT3_P12ihipStream_tbPNSt15iterator_traitsISG_E10value_typeEPNSM_ISH_E10value_typeEPSI_NS1_7vsmem_tEENKUlT_SG_SH_SI_E_clIPiSA_PsSB_EESF_SV_SG_SH_SI_EUlSV_E_NS1_11comp_targetILNS1_3genE9ELNS1_11target_archE1100ELNS1_3gpuE3ELNS1_3repE0EEENS1_48merge_mergepath_partition_config_static_selectorELNS0_4arch9wavefront6targetE1EEEvSH_,@function
_ZN7rocprim17ROCPRIM_400000_NS6detail17trampoline_kernelINS0_14default_configENS1_38merge_sort_block_merge_config_selectorIisEEZZNS1_27merge_sort_block_merge_implIS3_N6thrust23THRUST_200600_302600_NS10device_ptrIiEENS9_IsEEjNS1_19radix_merge_compareILb0ELb1EiNS0_19identity_decomposerEEEEE10hipError_tT0_T1_T2_jT3_P12ihipStream_tbPNSt15iterator_traitsISG_E10value_typeEPNSM_ISH_E10value_typeEPSI_NS1_7vsmem_tEENKUlT_SG_SH_SI_E_clIPiSA_PsSB_EESF_SV_SG_SH_SI_EUlSV_E_NS1_11comp_targetILNS1_3genE9ELNS1_11target_archE1100ELNS1_3gpuE3ELNS1_3repE0EEENS1_48merge_mergepath_partition_config_static_selectorELNS0_4arch9wavefront6targetE1EEEvSH_: ; @_ZN7rocprim17ROCPRIM_400000_NS6detail17trampoline_kernelINS0_14default_configENS1_38merge_sort_block_merge_config_selectorIisEEZZNS1_27merge_sort_block_merge_implIS3_N6thrust23THRUST_200600_302600_NS10device_ptrIiEENS9_IsEEjNS1_19radix_merge_compareILb0ELb1EiNS0_19identity_decomposerEEEEE10hipError_tT0_T1_T2_jT3_P12ihipStream_tbPNSt15iterator_traitsISG_E10value_typeEPNSM_ISH_E10value_typeEPSI_NS1_7vsmem_tEENKUlT_SG_SH_SI_E_clIPiSA_PsSB_EESF_SV_SG_SH_SI_EUlSV_E_NS1_11comp_targetILNS1_3genE9ELNS1_11target_archE1100ELNS1_3gpuE3ELNS1_3repE0EEENS1_48merge_mergepath_partition_config_static_selectorELNS0_4arch9wavefront6targetE1EEEvSH_
; %bb.0:
	.section	.rodata,"a",@progbits
	.p2align	6, 0x0
	.amdhsa_kernel _ZN7rocprim17ROCPRIM_400000_NS6detail17trampoline_kernelINS0_14default_configENS1_38merge_sort_block_merge_config_selectorIisEEZZNS1_27merge_sort_block_merge_implIS3_N6thrust23THRUST_200600_302600_NS10device_ptrIiEENS9_IsEEjNS1_19radix_merge_compareILb0ELb1EiNS0_19identity_decomposerEEEEE10hipError_tT0_T1_T2_jT3_P12ihipStream_tbPNSt15iterator_traitsISG_E10value_typeEPNSM_ISH_E10value_typeEPSI_NS1_7vsmem_tEENKUlT_SG_SH_SI_E_clIPiSA_PsSB_EESF_SV_SG_SH_SI_EUlSV_E_NS1_11comp_targetILNS1_3genE9ELNS1_11target_archE1100ELNS1_3gpuE3ELNS1_3repE0EEENS1_48merge_mergepath_partition_config_static_selectorELNS0_4arch9wavefront6targetE1EEEvSH_
		.amdhsa_group_segment_fixed_size 0
		.amdhsa_private_segment_fixed_size 0
		.amdhsa_kernarg_size 40
		.amdhsa_user_sgpr_count 2
		.amdhsa_user_sgpr_dispatch_ptr 0
		.amdhsa_user_sgpr_queue_ptr 0
		.amdhsa_user_sgpr_kernarg_segment_ptr 1
		.amdhsa_user_sgpr_dispatch_id 0
		.amdhsa_user_sgpr_kernarg_preload_length 0
		.amdhsa_user_sgpr_kernarg_preload_offset 0
		.amdhsa_user_sgpr_private_segment_size 0
		.amdhsa_uses_dynamic_stack 0
		.amdhsa_enable_private_segment 0
		.amdhsa_system_sgpr_workgroup_id_x 1
		.amdhsa_system_sgpr_workgroup_id_y 0
		.amdhsa_system_sgpr_workgroup_id_z 0
		.amdhsa_system_sgpr_workgroup_info 0
		.amdhsa_system_vgpr_workitem_id 0
		.amdhsa_next_free_vgpr 1
		.amdhsa_next_free_sgpr 0
		.amdhsa_accum_offset 4
		.amdhsa_reserve_vcc 0
		.amdhsa_float_round_mode_32 0
		.amdhsa_float_round_mode_16_64 0
		.amdhsa_float_denorm_mode_32 3
		.amdhsa_float_denorm_mode_16_64 3
		.amdhsa_dx10_clamp 1
		.amdhsa_ieee_mode 1
		.amdhsa_fp16_overflow 0
		.amdhsa_tg_split 0
		.amdhsa_exception_fp_ieee_invalid_op 0
		.amdhsa_exception_fp_denorm_src 0
		.amdhsa_exception_fp_ieee_div_zero 0
		.amdhsa_exception_fp_ieee_overflow 0
		.amdhsa_exception_fp_ieee_underflow 0
		.amdhsa_exception_fp_ieee_inexact 0
		.amdhsa_exception_int_div_zero 0
	.end_amdhsa_kernel
	.section	.text._ZN7rocprim17ROCPRIM_400000_NS6detail17trampoline_kernelINS0_14default_configENS1_38merge_sort_block_merge_config_selectorIisEEZZNS1_27merge_sort_block_merge_implIS3_N6thrust23THRUST_200600_302600_NS10device_ptrIiEENS9_IsEEjNS1_19radix_merge_compareILb0ELb1EiNS0_19identity_decomposerEEEEE10hipError_tT0_T1_T2_jT3_P12ihipStream_tbPNSt15iterator_traitsISG_E10value_typeEPNSM_ISH_E10value_typeEPSI_NS1_7vsmem_tEENKUlT_SG_SH_SI_E_clIPiSA_PsSB_EESF_SV_SG_SH_SI_EUlSV_E_NS1_11comp_targetILNS1_3genE9ELNS1_11target_archE1100ELNS1_3gpuE3ELNS1_3repE0EEENS1_48merge_mergepath_partition_config_static_selectorELNS0_4arch9wavefront6targetE1EEEvSH_,"axG",@progbits,_ZN7rocprim17ROCPRIM_400000_NS6detail17trampoline_kernelINS0_14default_configENS1_38merge_sort_block_merge_config_selectorIisEEZZNS1_27merge_sort_block_merge_implIS3_N6thrust23THRUST_200600_302600_NS10device_ptrIiEENS9_IsEEjNS1_19radix_merge_compareILb0ELb1EiNS0_19identity_decomposerEEEEE10hipError_tT0_T1_T2_jT3_P12ihipStream_tbPNSt15iterator_traitsISG_E10value_typeEPNSM_ISH_E10value_typeEPSI_NS1_7vsmem_tEENKUlT_SG_SH_SI_E_clIPiSA_PsSB_EESF_SV_SG_SH_SI_EUlSV_E_NS1_11comp_targetILNS1_3genE9ELNS1_11target_archE1100ELNS1_3gpuE3ELNS1_3repE0EEENS1_48merge_mergepath_partition_config_static_selectorELNS0_4arch9wavefront6targetE1EEEvSH_,comdat
.Lfunc_end2362:
	.size	_ZN7rocprim17ROCPRIM_400000_NS6detail17trampoline_kernelINS0_14default_configENS1_38merge_sort_block_merge_config_selectorIisEEZZNS1_27merge_sort_block_merge_implIS3_N6thrust23THRUST_200600_302600_NS10device_ptrIiEENS9_IsEEjNS1_19radix_merge_compareILb0ELb1EiNS0_19identity_decomposerEEEEE10hipError_tT0_T1_T2_jT3_P12ihipStream_tbPNSt15iterator_traitsISG_E10value_typeEPNSM_ISH_E10value_typeEPSI_NS1_7vsmem_tEENKUlT_SG_SH_SI_E_clIPiSA_PsSB_EESF_SV_SG_SH_SI_EUlSV_E_NS1_11comp_targetILNS1_3genE9ELNS1_11target_archE1100ELNS1_3gpuE3ELNS1_3repE0EEENS1_48merge_mergepath_partition_config_static_selectorELNS0_4arch9wavefront6targetE1EEEvSH_, .Lfunc_end2362-_ZN7rocprim17ROCPRIM_400000_NS6detail17trampoline_kernelINS0_14default_configENS1_38merge_sort_block_merge_config_selectorIisEEZZNS1_27merge_sort_block_merge_implIS3_N6thrust23THRUST_200600_302600_NS10device_ptrIiEENS9_IsEEjNS1_19radix_merge_compareILb0ELb1EiNS0_19identity_decomposerEEEEE10hipError_tT0_T1_T2_jT3_P12ihipStream_tbPNSt15iterator_traitsISG_E10value_typeEPNSM_ISH_E10value_typeEPSI_NS1_7vsmem_tEENKUlT_SG_SH_SI_E_clIPiSA_PsSB_EESF_SV_SG_SH_SI_EUlSV_E_NS1_11comp_targetILNS1_3genE9ELNS1_11target_archE1100ELNS1_3gpuE3ELNS1_3repE0EEENS1_48merge_mergepath_partition_config_static_selectorELNS0_4arch9wavefront6targetE1EEEvSH_
                                        ; -- End function
	.set _ZN7rocprim17ROCPRIM_400000_NS6detail17trampoline_kernelINS0_14default_configENS1_38merge_sort_block_merge_config_selectorIisEEZZNS1_27merge_sort_block_merge_implIS3_N6thrust23THRUST_200600_302600_NS10device_ptrIiEENS9_IsEEjNS1_19radix_merge_compareILb0ELb1EiNS0_19identity_decomposerEEEEE10hipError_tT0_T1_T2_jT3_P12ihipStream_tbPNSt15iterator_traitsISG_E10value_typeEPNSM_ISH_E10value_typeEPSI_NS1_7vsmem_tEENKUlT_SG_SH_SI_E_clIPiSA_PsSB_EESF_SV_SG_SH_SI_EUlSV_E_NS1_11comp_targetILNS1_3genE9ELNS1_11target_archE1100ELNS1_3gpuE3ELNS1_3repE0EEENS1_48merge_mergepath_partition_config_static_selectorELNS0_4arch9wavefront6targetE1EEEvSH_.num_vgpr, 0
	.set _ZN7rocprim17ROCPRIM_400000_NS6detail17trampoline_kernelINS0_14default_configENS1_38merge_sort_block_merge_config_selectorIisEEZZNS1_27merge_sort_block_merge_implIS3_N6thrust23THRUST_200600_302600_NS10device_ptrIiEENS9_IsEEjNS1_19radix_merge_compareILb0ELb1EiNS0_19identity_decomposerEEEEE10hipError_tT0_T1_T2_jT3_P12ihipStream_tbPNSt15iterator_traitsISG_E10value_typeEPNSM_ISH_E10value_typeEPSI_NS1_7vsmem_tEENKUlT_SG_SH_SI_E_clIPiSA_PsSB_EESF_SV_SG_SH_SI_EUlSV_E_NS1_11comp_targetILNS1_3genE9ELNS1_11target_archE1100ELNS1_3gpuE3ELNS1_3repE0EEENS1_48merge_mergepath_partition_config_static_selectorELNS0_4arch9wavefront6targetE1EEEvSH_.num_agpr, 0
	.set _ZN7rocprim17ROCPRIM_400000_NS6detail17trampoline_kernelINS0_14default_configENS1_38merge_sort_block_merge_config_selectorIisEEZZNS1_27merge_sort_block_merge_implIS3_N6thrust23THRUST_200600_302600_NS10device_ptrIiEENS9_IsEEjNS1_19radix_merge_compareILb0ELb1EiNS0_19identity_decomposerEEEEE10hipError_tT0_T1_T2_jT3_P12ihipStream_tbPNSt15iterator_traitsISG_E10value_typeEPNSM_ISH_E10value_typeEPSI_NS1_7vsmem_tEENKUlT_SG_SH_SI_E_clIPiSA_PsSB_EESF_SV_SG_SH_SI_EUlSV_E_NS1_11comp_targetILNS1_3genE9ELNS1_11target_archE1100ELNS1_3gpuE3ELNS1_3repE0EEENS1_48merge_mergepath_partition_config_static_selectorELNS0_4arch9wavefront6targetE1EEEvSH_.numbered_sgpr, 0
	.set _ZN7rocprim17ROCPRIM_400000_NS6detail17trampoline_kernelINS0_14default_configENS1_38merge_sort_block_merge_config_selectorIisEEZZNS1_27merge_sort_block_merge_implIS3_N6thrust23THRUST_200600_302600_NS10device_ptrIiEENS9_IsEEjNS1_19radix_merge_compareILb0ELb1EiNS0_19identity_decomposerEEEEE10hipError_tT0_T1_T2_jT3_P12ihipStream_tbPNSt15iterator_traitsISG_E10value_typeEPNSM_ISH_E10value_typeEPSI_NS1_7vsmem_tEENKUlT_SG_SH_SI_E_clIPiSA_PsSB_EESF_SV_SG_SH_SI_EUlSV_E_NS1_11comp_targetILNS1_3genE9ELNS1_11target_archE1100ELNS1_3gpuE3ELNS1_3repE0EEENS1_48merge_mergepath_partition_config_static_selectorELNS0_4arch9wavefront6targetE1EEEvSH_.num_named_barrier, 0
	.set _ZN7rocprim17ROCPRIM_400000_NS6detail17trampoline_kernelINS0_14default_configENS1_38merge_sort_block_merge_config_selectorIisEEZZNS1_27merge_sort_block_merge_implIS3_N6thrust23THRUST_200600_302600_NS10device_ptrIiEENS9_IsEEjNS1_19radix_merge_compareILb0ELb1EiNS0_19identity_decomposerEEEEE10hipError_tT0_T1_T2_jT3_P12ihipStream_tbPNSt15iterator_traitsISG_E10value_typeEPNSM_ISH_E10value_typeEPSI_NS1_7vsmem_tEENKUlT_SG_SH_SI_E_clIPiSA_PsSB_EESF_SV_SG_SH_SI_EUlSV_E_NS1_11comp_targetILNS1_3genE9ELNS1_11target_archE1100ELNS1_3gpuE3ELNS1_3repE0EEENS1_48merge_mergepath_partition_config_static_selectorELNS0_4arch9wavefront6targetE1EEEvSH_.private_seg_size, 0
	.set _ZN7rocprim17ROCPRIM_400000_NS6detail17trampoline_kernelINS0_14default_configENS1_38merge_sort_block_merge_config_selectorIisEEZZNS1_27merge_sort_block_merge_implIS3_N6thrust23THRUST_200600_302600_NS10device_ptrIiEENS9_IsEEjNS1_19radix_merge_compareILb0ELb1EiNS0_19identity_decomposerEEEEE10hipError_tT0_T1_T2_jT3_P12ihipStream_tbPNSt15iterator_traitsISG_E10value_typeEPNSM_ISH_E10value_typeEPSI_NS1_7vsmem_tEENKUlT_SG_SH_SI_E_clIPiSA_PsSB_EESF_SV_SG_SH_SI_EUlSV_E_NS1_11comp_targetILNS1_3genE9ELNS1_11target_archE1100ELNS1_3gpuE3ELNS1_3repE0EEENS1_48merge_mergepath_partition_config_static_selectorELNS0_4arch9wavefront6targetE1EEEvSH_.uses_vcc, 0
	.set _ZN7rocprim17ROCPRIM_400000_NS6detail17trampoline_kernelINS0_14default_configENS1_38merge_sort_block_merge_config_selectorIisEEZZNS1_27merge_sort_block_merge_implIS3_N6thrust23THRUST_200600_302600_NS10device_ptrIiEENS9_IsEEjNS1_19radix_merge_compareILb0ELb1EiNS0_19identity_decomposerEEEEE10hipError_tT0_T1_T2_jT3_P12ihipStream_tbPNSt15iterator_traitsISG_E10value_typeEPNSM_ISH_E10value_typeEPSI_NS1_7vsmem_tEENKUlT_SG_SH_SI_E_clIPiSA_PsSB_EESF_SV_SG_SH_SI_EUlSV_E_NS1_11comp_targetILNS1_3genE9ELNS1_11target_archE1100ELNS1_3gpuE3ELNS1_3repE0EEENS1_48merge_mergepath_partition_config_static_selectorELNS0_4arch9wavefront6targetE1EEEvSH_.uses_flat_scratch, 0
	.set _ZN7rocprim17ROCPRIM_400000_NS6detail17trampoline_kernelINS0_14default_configENS1_38merge_sort_block_merge_config_selectorIisEEZZNS1_27merge_sort_block_merge_implIS3_N6thrust23THRUST_200600_302600_NS10device_ptrIiEENS9_IsEEjNS1_19radix_merge_compareILb0ELb1EiNS0_19identity_decomposerEEEEE10hipError_tT0_T1_T2_jT3_P12ihipStream_tbPNSt15iterator_traitsISG_E10value_typeEPNSM_ISH_E10value_typeEPSI_NS1_7vsmem_tEENKUlT_SG_SH_SI_E_clIPiSA_PsSB_EESF_SV_SG_SH_SI_EUlSV_E_NS1_11comp_targetILNS1_3genE9ELNS1_11target_archE1100ELNS1_3gpuE3ELNS1_3repE0EEENS1_48merge_mergepath_partition_config_static_selectorELNS0_4arch9wavefront6targetE1EEEvSH_.has_dyn_sized_stack, 0
	.set _ZN7rocprim17ROCPRIM_400000_NS6detail17trampoline_kernelINS0_14default_configENS1_38merge_sort_block_merge_config_selectorIisEEZZNS1_27merge_sort_block_merge_implIS3_N6thrust23THRUST_200600_302600_NS10device_ptrIiEENS9_IsEEjNS1_19radix_merge_compareILb0ELb1EiNS0_19identity_decomposerEEEEE10hipError_tT0_T1_T2_jT3_P12ihipStream_tbPNSt15iterator_traitsISG_E10value_typeEPNSM_ISH_E10value_typeEPSI_NS1_7vsmem_tEENKUlT_SG_SH_SI_E_clIPiSA_PsSB_EESF_SV_SG_SH_SI_EUlSV_E_NS1_11comp_targetILNS1_3genE9ELNS1_11target_archE1100ELNS1_3gpuE3ELNS1_3repE0EEENS1_48merge_mergepath_partition_config_static_selectorELNS0_4arch9wavefront6targetE1EEEvSH_.has_recursion, 0
	.set _ZN7rocprim17ROCPRIM_400000_NS6detail17trampoline_kernelINS0_14default_configENS1_38merge_sort_block_merge_config_selectorIisEEZZNS1_27merge_sort_block_merge_implIS3_N6thrust23THRUST_200600_302600_NS10device_ptrIiEENS9_IsEEjNS1_19radix_merge_compareILb0ELb1EiNS0_19identity_decomposerEEEEE10hipError_tT0_T1_T2_jT3_P12ihipStream_tbPNSt15iterator_traitsISG_E10value_typeEPNSM_ISH_E10value_typeEPSI_NS1_7vsmem_tEENKUlT_SG_SH_SI_E_clIPiSA_PsSB_EESF_SV_SG_SH_SI_EUlSV_E_NS1_11comp_targetILNS1_3genE9ELNS1_11target_archE1100ELNS1_3gpuE3ELNS1_3repE0EEENS1_48merge_mergepath_partition_config_static_selectorELNS0_4arch9wavefront6targetE1EEEvSH_.has_indirect_call, 0
	.section	.AMDGPU.csdata,"",@progbits
; Kernel info:
; codeLenInByte = 0
; TotalNumSgprs: 6
; NumVgprs: 0
; NumAgprs: 0
; TotalNumVgprs: 0
; ScratchSize: 0
; MemoryBound: 0
; FloatMode: 240
; IeeeMode: 1
; LDSByteSize: 0 bytes/workgroup (compile time only)
; SGPRBlocks: 0
; VGPRBlocks: 0
; NumSGPRsForWavesPerEU: 6
; NumVGPRsForWavesPerEU: 1
; AccumOffset: 4
; Occupancy: 8
; WaveLimiterHint : 0
; COMPUTE_PGM_RSRC2:SCRATCH_EN: 0
; COMPUTE_PGM_RSRC2:USER_SGPR: 2
; COMPUTE_PGM_RSRC2:TRAP_HANDLER: 0
; COMPUTE_PGM_RSRC2:TGID_X_EN: 1
; COMPUTE_PGM_RSRC2:TGID_Y_EN: 0
; COMPUTE_PGM_RSRC2:TGID_Z_EN: 0
; COMPUTE_PGM_RSRC2:TIDIG_COMP_CNT: 0
; COMPUTE_PGM_RSRC3_GFX90A:ACCUM_OFFSET: 0
; COMPUTE_PGM_RSRC3_GFX90A:TG_SPLIT: 0
	.section	.text._ZN7rocprim17ROCPRIM_400000_NS6detail17trampoline_kernelINS0_14default_configENS1_38merge_sort_block_merge_config_selectorIisEEZZNS1_27merge_sort_block_merge_implIS3_N6thrust23THRUST_200600_302600_NS10device_ptrIiEENS9_IsEEjNS1_19radix_merge_compareILb0ELb1EiNS0_19identity_decomposerEEEEE10hipError_tT0_T1_T2_jT3_P12ihipStream_tbPNSt15iterator_traitsISG_E10value_typeEPNSM_ISH_E10value_typeEPSI_NS1_7vsmem_tEENKUlT_SG_SH_SI_E_clIPiSA_PsSB_EESF_SV_SG_SH_SI_EUlSV_E_NS1_11comp_targetILNS1_3genE8ELNS1_11target_archE1030ELNS1_3gpuE2ELNS1_3repE0EEENS1_48merge_mergepath_partition_config_static_selectorELNS0_4arch9wavefront6targetE1EEEvSH_,"axG",@progbits,_ZN7rocprim17ROCPRIM_400000_NS6detail17trampoline_kernelINS0_14default_configENS1_38merge_sort_block_merge_config_selectorIisEEZZNS1_27merge_sort_block_merge_implIS3_N6thrust23THRUST_200600_302600_NS10device_ptrIiEENS9_IsEEjNS1_19radix_merge_compareILb0ELb1EiNS0_19identity_decomposerEEEEE10hipError_tT0_T1_T2_jT3_P12ihipStream_tbPNSt15iterator_traitsISG_E10value_typeEPNSM_ISH_E10value_typeEPSI_NS1_7vsmem_tEENKUlT_SG_SH_SI_E_clIPiSA_PsSB_EESF_SV_SG_SH_SI_EUlSV_E_NS1_11comp_targetILNS1_3genE8ELNS1_11target_archE1030ELNS1_3gpuE2ELNS1_3repE0EEENS1_48merge_mergepath_partition_config_static_selectorELNS0_4arch9wavefront6targetE1EEEvSH_,comdat
	.protected	_ZN7rocprim17ROCPRIM_400000_NS6detail17trampoline_kernelINS0_14default_configENS1_38merge_sort_block_merge_config_selectorIisEEZZNS1_27merge_sort_block_merge_implIS3_N6thrust23THRUST_200600_302600_NS10device_ptrIiEENS9_IsEEjNS1_19radix_merge_compareILb0ELb1EiNS0_19identity_decomposerEEEEE10hipError_tT0_T1_T2_jT3_P12ihipStream_tbPNSt15iterator_traitsISG_E10value_typeEPNSM_ISH_E10value_typeEPSI_NS1_7vsmem_tEENKUlT_SG_SH_SI_E_clIPiSA_PsSB_EESF_SV_SG_SH_SI_EUlSV_E_NS1_11comp_targetILNS1_3genE8ELNS1_11target_archE1030ELNS1_3gpuE2ELNS1_3repE0EEENS1_48merge_mergepath_partition_config_static_selectorELNS0_4arch9wavefront6targetE1EEEvSH_ ; -- Begin function _ZN7rocprim17ROCPRIM_400000_NS6detail17trampoline_kernelINS0_14default_configENS1_38merge_sort_block_merge_config_selectorIisEEZZNS1_27merge_sort_block_merge_implIS3_N6thrust23THRUST_200600_302600_NS10device_ptrIiEENS9_IsEEjNS1_19radix_merge_compareILb0ELb1EiNS0_19identity_decomposerEEEEE10hipError_tT0_T1_T2_jT3_P12ihipStream_tbPNSt15iterator_traitsISG_E10value_typeEPNSM_ISH_E10value_typeEPSI_NS1_7vsmem_tEENKUlT_SG_SH_SI_E_clIPiSA_PsSB_EESF_SV_SG_SH_SI_EUlSV_E_NS1_11comp_targetILNS1_3genE8ELNS1_11target_archE1030ELNS1_3gpuE2ELNS1_3repE0EEENS1_48merge_mergepath_partition_config_static_selectorELNS0_4arch9wavefront6targetE1EEEvSH_
	.globl	_ZN7rocprim17ROCPRIM_400000_NS6detail17trampoline_kernelINS0_14default_configENS1_38merge_sort_block_merge_config_selectorIisEEZZNS1_27merge_sort_block_merge_implIS3_N6thrust23THRUST_200600_302600_NS10device_ptrIiEENS9_IsEEjNS1_19radix_merge_compareILb0ELb1EiNS0_19identity_decomposerEEEEE10hipError_tT0_T1_T2_jT3_P12ihipStream_tbPNSt15iterator_traitsISG_E10value_typeEPNSM_ISH_E10value_typeEPSI_NS1_7vsmem_tEENKUlT_SG_SH_SI_E_clIPiSA_PsSB_EESF_SV_SG_SH_SI_EUlSV_E_NS1_11comp_targetILNS1_3genE8ELNS1_11target_archE1030ELNS1_3gpuE2ELNS1_3repE0EEENS1_48merge_mergepath_partition_config_static_selectorELNS0_4arch9wavefront6targetE1EEEvSH_
	.p2align	8
	.type	_ZN7rocprim17ROCPRIM_400000_NS6detail17trampoline_kernelINS0_14default_configENS1_38merge_sort_block_merge_config_selectorIisEEZZNS1_27merge_sort_block_merge_implIS3_N6thrust23THRUST_200600_302600_NS10device_ptrIiEENS9_IsEEjNS1_19radix_merge_compareILb0ELb1EiNS0_19identity_decomposerEEEEE10hipError_tT0_T1_T2_jT3_P12ihipStream_tbPNSt15iterator_traitsISG_E10value_typeEPNSM_ISH_E10value_typeEPSI_NS1_7vsmem_tEENKUlT_SG_SH_SI_E_clIPiSA_PsSB_EESF_SV_SG_SH_SI_EUlSV_E_NS1_11comp_targetILNS1_3genE8ELNS1_11target_archE1030ELNS1_3gpuE2ELNS1_3repE0EEENS1_48merge_mergepath_partition_config_static_selectorELNS0_4arch9wavefront6targetE1EEEvSH_,@function
_ZN7rocprim17ROCPRIM_400000_NS6detail17trampoline_kernelINS0_14default_configENS1_38merge_sort_block_merge_config_selectorIisEEZZNS1_27merge_sort_block_merge_implIS3_N6thrust23THRUST_200600_302600_NS10device_ptrIiEENS9_IsEEjNS1_19radix_merge_compareILb0ELb1EiNS0_19identity_decomposerEEEEE10hipError_tT0_T1_T2_jT3_P12ihipStream_tbPNSt15iterator_traitsISG_E10value_typeEPNSM_ISH_E10value_typeEPSI_NS1_7vsmem_tEENKUlT_SG_SH_SI_E_clIPiSA_PsSB_EESF_SV_SG_SH_SI_EUlSV_E_NS1_11comp_targetILNS1_3genE8ELNS1_11target_archE1030ELNS1_3gpuE2ELNS1_3repE0EEENS1_48merge_mergepath_partition_config_static_selectorELNS0_4arch9wavefront6targetE1EEEvSH_: ; @_ZN7rocprim17ROCPRIM_400000_NS6detail17trampoline_kernelINS0_14default_configENS1_38merge_sort_block_merge_config_selectorIisEEZZNS1_27merge_sort_block_merge_implIS3_N6thrust23THRUST_200600_302600_NS10device_ptrIiEENS9_IsEEjNS1_19radix_merge_compareILb0ELb1EiNS0_19identity_decomposerEEEEE10hipError_tT0_T1_T2_jT3_P12ihipStream_tbPNSt15iterator_traitsISG_E10value_typeEPNSM_ISH_E10value_typeEPSI_NS1_7vsmem_tEENKUlT_SG_SH_SI_E_clIPiSA_PsSB_EESF_SV_SG_SH_SI_EUlSV_E_NS1_11comp_targetILNS1_3genE8ELNS1_11target_archE1030ELNS1_3gpuE2ELNS1_3repE0EEENS1_48merge_mergepath_partition_config_static_selectorELNS0_4arch9wavefront6targetE1EEEvSH_
; %bb.0:
	.section	.rodata,"a",@progbits
	.p2align	6, 0x0
	.amdhsa_kernel _ZN7rocprim17ROCPRIM_400000_NS6detail17trampoline_kernelINS0_14default_configENS1_38merge_sort_block_merge_config_selectorIisEEZZNS1_27merge_sort_block_merge_implIS3_N6thrust23THRUST_200600_302600_NS10device_ptrIiEENS9_IsEEjNS1_19radix_merge_compareILb0ELb1EiNS0_19identity_decomposerEEEEE10hipError_tT0_T1_T2_jT3_P12ihipStream_tbPNSt15iterator_traitsISG_E10value_typeEPNSM_ISH_E10value_typeEPSI_NS1_7vsmem_tEENKUlT_SG_SH_SI_E_clIPiSA_PsSB_EESF_SV_SG_SH_SI_EUlSV_E_NS1_11comp_targetILNS1_3genE8ELNS1_11target_archE1030ELNS1_3gpuE2ELNS1_3repE0EEENS1_48merge_mergepath_partition_config_static_selectorELNS0_4arch9wavefront6targetE1EEEvSH_
		.amdhsa_group_segment_fixed_size 0
		.amdhsa_private_segment_fixed_size 0
		.amdhsa_kernarg_size 40
		.amdhsa_user_sgpr_count 2
		.amdhsa_user_sgpr_dispatch_ptr 0
		.amdhsa_user_sgpr_queue_ptr 0
		.amdhsa_user_sgpr_kernarg_segment_ptr 1
		.amdhsa_user_sgpr_dispatch_id 0
		.amdhsa_user_sgpr_kernarg_preload_length 0
		.amdhsa_user_sgpr_kernarg_preload_offset 0
		.amdhsa_user_sgpr_private_segment_size 0
		.amdhsa_uses_dynamic_stack 0
		.amdhsa_enable_private_segment 0
		.amdhsa_system_sgpr_workgroup_id_x 1
		.amdhsa_system_sgpr_workgroup_id_y 0
		.amdhsa_system_sgpr_workgroup_id_z 0
		.amdhsa_system_sgpr_workgroup_info 0
		.amdhsa_system_vgpr_workitem_id 0
		.amdhsa_next_free_vgpr 1
		.amdhsa_next_free_sgpr 0
		.amdhsa_accum_offset 4
		.amdhsa_reserve_vcc 0
		.amdhsa_float_round_mode_32 0
		.amdhsa_float_round_mode_16_64 0
		.amdhsa_float_denorm_mode_32 3
		.amdhsa_float_denorm_mode_16_64 3
		.amdhsa_dx10_clamp 1
		.amdhsa_ieee_mode 1
		.amdhsa_fp16_overflow 0
		.amdhsa_tg_split 0
		.amdhsa_exception_fp_ieee_invalid_op 0
		.amdhsa_exception_fp_denorm_src 0
		.amdhsa_exception_fp_ieee_div_zero 0
		.amdhsa_exception_fp_ieee_overflow 0
		.amdhsa_exception_fp_ieee_underflow 0
		.amdhsa_exception_fp_ieee_inexact 0
		.amdhsa_exception_int_div_zero 0
	.end_amdhsa_kernel
	.section	.text._ZN7rocprim17ROCPRIM_400000_NS6detail17trampoline_kernelINS0_14default_configENS1_38merge_sort_block_merge_config_selectorIisEEZZNS1_27merge_sort_block_merge_implIS3_N6thrust23THRUST_200600_302600_NS10device_ptrIiEENS9_IsEEjNS1_19radix_merge_compareILb0ELb1EiNS0_19identity_decomposerEEEEE10hipError_tT0_T1_T2_jT3_P12ihipStream_tbPNSt15iterator_traitsISG_E10value_typeEPNSM_ISH_E10value_typeEPSI_NS1_7vsmem_tEENKUlT_SG_SH_SI_E_clIPiSA_PsSB_EESF_SV_SG_SH_SI_EUlSV_E_NS1_11comp_targetILNS1_3genE8ELNS1_11target_archE1030ELNS1_3gpuE2ELNS1_3repE0EEENS1_48merge_mergepath_partition_config_static_selectorELNS0_4arch9wavefront6targetE1EEEvSH_,"axG",@progbits,_ZN7rocprim17ROCPRIM_400000_NS6detail17trampoline_kernelINS0_14default_configENS1_38merge_sort_block_merge_config_selectorIisEEZZNS1_27merge_sort_block_merge_implIS3_N6thrust23THRUST_200600_302600_NS10device_ptrIiEENS9_IsEEjNS1_19radix_merge_compareILb0ELb1EiNS0_19identity_decomposerEEEEE10hipError_tT0_T1_T2_jT3_P12ihipStream_tbPNSt15iterator_traitsISG_E10value_typeEPNSM_ISH_E10value_typeEPSI_NS1_7vsmem_tEENKUlT_SG_SH_SI_E_clIPiSA_PsSB_EESF_SV_SG_SH_SI_EUlSV_E_NS1_11comp_targetILNS1_3genE8ELNS1_11target_archE1030ELNS1_3gpuE2ELNS1_3repE0EEENS1_48merge_mergepath_partition_config_static_selectorELNS0_4arch9wavefront6targetE1EEEvSH_,comdat
.Lfunc_end2363:
	.size	_ZN7rocprim17ROCPRIM_400000_NS6detail17trampoline_kernelINS0_14default_configENS1_38merge_sort_block_merge_config_selectorIisEEZZNS1_27merge_sort_block_merge_implIS3_N6thrust23THRUST_200600_302600_NS10device_ptrIiEENS9_IsEEjNS1_19radix_merge_compareILb0ELb1EiNS0_19identity_decomposerEEEEE10hipError_tT0_T1_T2_jT3_P12ihipStream_tbPNSt15iterator_traitsISG_E10value_typeEPNSM_ISH_E10value_typeEPSI_NS1_7vsmem_tEENKUlT_SG_SH_SI_E_clIPiSA_PsSB_EESF_SV_SG_SH_SI_EUlSV_E_NS1_11comp_targetILNS1_3genE8ELNS1_11target_archE1030ELNS1_3gpuE2ELNS1_3repE0EEENS1_48merge_mergepath_partition_config_static_selectorELNS0_4arch9wavefront6targetE1EEEvSH_, .Lfunc_end2363-_ZN7rocprim17ROCPRIM_400000_NS6detail17trampoline_kernelINS0_14default_configENS1_38merge_sort_block_merge_config_selectorIisEEZZNS1_27merge_sort_block_merge_implIS3_N6thrust23THRUST_200600_302600_NS10device_ptrIiEENS9_IsEEjNS1_19radix_merge_compareILb0ELb1EiNS0_19identity_decomposerEEEEE10hipError_tT0_T1_T2_jT3_P12ihipStream_tbPNSt15iterator_traitsISG_E10value_typeEPNSM_ISH_E10value_typeEPSI_NS1_7vsmem_tEENKUlT_SG_SH_SI_E_clIPiSA_PsSB_EESF_SV_SG_SH_SI_EUlSV_E_NS1_11comp_targetILNS1_3genE8ELNS1_11target_archE1030ELNS1_3gpuE2ELNS1_3repE0EEENS1_48merge_mergepath_partition_config_static_selectorELNS0_4arch9wavefront6targetE1EEEvSH_
                                        ; -- End function
	.set _ZN7rocprim17ROCPRIM_400000_NS6detail17trampoline_kernelINS0_14default_configENS1_38merge_sort_block_merge_config_selectorIisEEZZNS1_27merge_sort_block_merge_implIS3_N6thrust23THRUST_200600_302600_NS10device_ptrIiEENS9_IsEEjNS1_19radix_merge_compareILb0ELb1EiNS0_19identity_decomposerEEEEE10hipError_tT0_T1_T2_jT3_P12ihipStream_tbPNSt15iterator_traitsISG_E10value_typeEPNSM_ISH_E10value_typeEPSI_NS1_7vsmem_tEENKUlT_SG_SH_SI_E_clIPiSA_PsSB_EESF_SV_SG_SH_SI_EUlSV_E_NS1_11comp_targetILNS1_3genE8ELNS1_11target_archE1030ELNS1_3gpuE2ELNS1_3repE0EEENS1_48merge_mergepath_partition_config_static_selectorELNS0_4arch9wavefront6targetE1EEEvSH_.num_vgpr, 0
	.set _ZN7rocprim17ROCPRIM_400000_NS6detail17trampoline_kernelINS0_14default_configENS1_38merge_sort_block_merge_config_selectorIisEEZZNS1_27merge_sort_block_merge_implIS3_N6thrust23THRUST_200600_302600_NS10device_ptrIiEENS9_IsEEjNS1_19radix_merge_compareILb0ELb1EiNS0_19identity_decomposerEEEEE10hipError_tT0_T1_T2_jT3_P12ihipStream_tbPNSt15iterator_traitsISG_E10value_typeEPNSM_ISH_E10value_typeEPSI_NS1_7vsmem_tEENKUlT_SG_SH_SI_E_clIPiSA_PsSB_EESF_SV_SG_SH_SI_EUlSV_E_NS1_11comp_targetILNS1_3genE8ELNS1_11target_archE1030ELNS1_3gpuE2ELNS1_3repE0EEENS1_48merge_mergepath_partition_config_static_selectorELNS0_4arch9wavefront6targetE1EEEvSH_.num_agpr, 0
	.set _ZN7rocprim17ROCPRIM_400000_NS6detail17trampoline_kernelINS0_14default_configENS1_38merge_sort_block_merge_config_selectorIisEEZZNS1_27merge_sort_block_merge_implIS3_N6thrust23THRUST_200600_302600_NS10device_ptrIiEENS9_IsEEjNS1_19radix_merge_compareILb0ELb1EiNS0_19identity_decomposerEEEEE10hipError_tT0_T1_T2_jT3_P12ihipStream_tbPNSt15iterator_traitsISG_E10value_typeEPNSM_ISH_E10value_typeEPSI_NS1_7vsmem_tEENKUlT_SG_SH_SI_E_clIPiSA_PsSB_EESF_SV_SG_SH_SI_EUlSV_E_NS1_11comp_targetILNS1_3genE8ELNS1_11target_archE1030ELNS1_3gpuE2ELNS1_3repE0EEENS1_48merge_mergepath_partition_config_static_selectorELNS0_4arch9wavefront6targetE1EEEvSH_.numbered_sgpr, 0
	.set _ZN7rocprim17ROCPRIM_400000_NS6detail17trampoline_kernelINS0_14default_configENS1_38merge_sort_block_merge_config_selectorIisEEZZNS1_27merge_sort_block_merge_implIS3_N6thrust23THRUST_200600_302600_NS10device_ptrIiEENS9_IsEEjNS1_19radix_merge_compareILb0ELb1EiNS0_19identity_decomposerEEEEE10hipError_tT0_T1_T2_jT3_P12ihipStream_tbPNSt15iterator_traitsISG_E10value_typeEPNSM_ISH_E10value_typeEPSI_NS1_7vsmem_tEENKUlT_SG_SH_SI_E_clIPiSA_PsSB_EESF_SV_SG_SH_SI_EUlSV_E_NS1_11comp_targetILNS1_3genE8ELNS1_11target_archE1030ELNS1_3gpuE2ELNS1_3repE0EEENS1_48merge_mergepath_partition_config_static_selectorELNS0_4arch9wavefront6targetE1EEEvSH_.num_named_barrier, 0
	.set _ZN7rocprim17ROCPRIM_400000_NS6detail17trampoline_kernelINS0_14default_configENS1_38merge_sort_block_merge_config_selectorIisEEZZNS1_27merge_sort_block_merge_implIS3_N6thrust23THRUST_200600_302600_NS10device_ptrIiEENS9_IsEEjNS1_19radix_merge_compareILb0ELb1EiNS0_19identity_decomposerEEEEE10hipError_tT0_T1_T2_jT3_P12ihipStream_tbPNSt15iterator_traitsISG_E10value_typeEPNSM_ISH_E10value_typeEPSI_NS1_7vsmem_tEENKUlT_SG_SH_SI_E_clIPiSA_PsSB_EESF_SV_SG_SH_SI_EUlSV_E_NS1_11comp_targetILNS1_3genE8ELNS1_11target_archE1030ELNS1_3gpuE2ELNS1_3repE0EEENS1_48merge_mergepath_partition_config_static_selectorELNS0_4arch9wavefront6targetE1EEEvSH_.private_seg_size, 0
	.set _ZN7rocprim17ROCPRIM_400000_NS6detail17trampoline_kernelINS0_14default_configENS1_38merge_sort_block_merge_config_selectorIisEEZZNS1_27merge_sort_block_merge_implIS3_N6thrust23THRUST_200600_302600_NS10device_ptrIiEENS9_IsEEjNS1_19radix_merge_compareILb0ELb1EiNS0_19identity_decomposerEEEEE10hipError_tT0_T1_T2_jT3_P12ihipStream_tbPNSt15iterator_traitsISG_E10value_typeEPNSM_ISH_E10value_typeEPSI_NS1_7vsmem_tEENKUlT_SG_SH_SI_E_clIPiSA_PsSB_EESF_SV_SG_SH_SI_EUlSV_E_NS1_11comp_targetILNS1_3genE8ELNS1_11target_archE1030ELNS1_3gpuE2ELNS1_3repE0EEENS1_48merge_mergepath_partition_config_static_selectorELNS0_4arch9wavefront6targetE1EEEvSH_.uses_vcc, 0
	.set _ZN7rocprim17ROCPRIM_400000_NS6detail17trampoline_kernelINS0_14default_configENS1_38merge_sort_block_merge_config_selectorIisEEZZNS1_27merge_sort_block_merge_implIS3_N6thrust23THRUST_200600_302600_NS10device_ptrIiEENS9_IsEEjNS1_19radix_merge_compareILb0ELb1EiNS0_19identity_decomposerEEEEE10hipError_tT0_T1_T2_jT3_P12ihipStream_tbPNSt15iterator_traitsISG_E10value_typeEPNSM_ISH_E10value_typeEPSI_NS1_7vsmem_tEENKUlT_SG_SH_SI_E_clIPiSA_PsSB_EESF_SV_SG_SH_SI_EUlSV_E_NS1_11comp_targetILNS1_3genE8ELNS1_11target_archE1030ELNS1_3gpuE2ELNS1_3repE0EEENS1_48merge_mergepath_partition_config_static_selectorELNS0_4arch9wavefront6targetE1EEEvSH_.uses_flat_scratch, 0
	.set _ZN7rocprim17ROCPRIM_400000_NS6detail17trampoline_kernelINS0_14default_configENS1_38merge_sort_block_merge_config_selectorIisEEZZNS1_27merge_sort_block_merge_implIS3_N6thrust23THRUST_200600_302600_NS10device_ptrIiEENS9_IsEEjNS1_19radix_merge_compareILb0ELb1EiNS0_19identity_decomposerEEEEE10hipError_tT0_T1_T2_jT3_P12ihipStream_tbPNSt15iterator_traitsISG_E10value_typeEPNSM_ISH_E10value_typeEPSI_NS1_7vsmem_tEENKUlT_SG_SH_SI_E_clIPiSA_PsSB_EESF_SV_SG_SH_SI_EUlSV_E_NS1_11comp_targetILNS1_3genE8ELNS1_11target_archE1030ELNS1_3gpuE2ELNS1_3repE0EEENS1_48merge_mergepath_partition_config_static_selectorELNS0_4arch9wavefront6targetE1EEEvSH_.has_dyn_sized_stack, 0
	.set _ZN7rocprim17ROCPRIM_400000_NS6detail17trampoline_kernelINS0_14default_configENS1_38merge_sort_block_merge_config_selectorIisEEZZNS1_27merge_sort_block_merge_implIS3_N6thrust23THRUST_200600_302600_NS10device_ptrIiEENS9_IsEEjNS1_19radix_merge_compareILb0ELb1EiNS0_19identity_decomposerEEEEE10hipError_tT0_T1_T2_jT3_P12ihipStream_tbPNSt15iterator_traitsISG_E10value_typeEPNSM_ISH_E10value_typeEPSI_NS1_7vsmem_tEENKUlT_SG_SH_SI_E_clIPiSA_PsSB_EESF_SV_SG_SH_SI_EUlSV_E_NS1_11comp_targetILNS1_3genE8ELNS1_11target_archE1030ELNS1_3gpuE2ELNS1_3repE0EEENS1_48merge_mergepath_partition_config_static_selectorELNS0_4arch9wavefront6targetE1EEEvSH_.has_recursion, 0
	.set _ZN7rocprim17ROCPRIM_400000_NS6detail17trampoline_kernelINS0_14default_configENS1_38merge_sort_block_merge_config_selectorIisEEZZNS1_27merge_sort_block_merge_implIS3_N6thrust23THRUST_200600_302600_NS10device_ptrIiEENS9_IsEEjNS1_19radix_merge_compareILb0ELb1EiNS0_19identity_decomposerEEEEE10hipError_tT0_T1_T2_jT3_P12ihipStream_tbPNSt15iterator_traitsISG_E10value_typeEPNSM_ISH_E10value_typeEPSI_NS1_7vsmem_tEENKUlT_SG_SH_SI_E_clIPiSA_PsSB_EESF_SV_SG_SH_SI_EUlSV_E_NS1_11comp_targetILNS1_3genE8ELNS1_11target_archE1030ELNS1_3gpuE2ELNS1_3repE0EEENS1_48merge_mergepath_partition_config_static_selectorELNS0_4arch9wavefront6targetE1EEEvSH_.has_indirect_call, 0
	.section	.AMDGPU.csdata,"",@progbits
; Kernel info:
; codeLenInByte = 0
; TotalNumSgprs: 6
; NumVgprs: 0
; NumAgprs: 0
; TotalNumVgprs: 0
; ScratchSize: 0
; MemoryBound: 0
; FloatMode: 240
; IeeeMode: 1
; LDSByteSize: 0 bytes/workgroup (compile time only)
; SGPRBlocks: 0
; VGPRBlocks: 0
; NumSGPRsForWavesPerEU: 6
; NumVGPRsForWavesPerEU: 1
; AccumOffset: 4
; Occupancy: 8
; WaveLimiterHint : 0
; COMPUTE_PGM_RSRC2:SCRATCH_EN: 0
; COMPUTE_PGM_RSRC2:USER_SGPR: 2
; COMPUTE_PGM_RSRC2:TRAP_HANDLER: 0
; COMPUTE_PGM_RSRC2:TGID_X_EN: 1
; COMPUTE_PGM_RSRC2:TGID_Y_EN: 0
; COMPUTE_PGM_RSRC2:TGID_Z_EN: 0
; COMPUTE_PGM_RSRC2:TIDIG_COMP_CNT: 0
; COMPUTE_PGM_RSRC3_GFX90A:ACCUM_OFFSET: 0
; COMPUTE_PGM_RSRC3_GFX90A:TG_SPLIT: 0
	.section	.text._ZN7rocprim17ROCPRIM_400000_NS6detail17trampoline_kernelINS0_14default_configENS1_38merge_sort_block_merge_config_selectorIisEEZZNS1_27merge_sort_block_merge_implIS3_N6thrust23THRUST_200600_302600_NS10device_ptrIiEENS9_IsEEjNS1_19radix_merge_compareILb0ELb1EiNS0_19identity_decomposerEEEEE10hipError_tT0_T1_T2_jT3_P12ihipStream_tbPNSt15iterator_traitsISG_E10value_typeEPNSM_ISH_E10value_typeEPSI_NS1_7vsmem_tEENKUlT_SG_SH_SI_E_clIPiSA_PsSB_EESF_SV_SG_SH_SI_EUlSV_E0_NS1_11comp_targetILNS1_3genE0ELNS1_11target_archE4294967295ELNS1_3gpuE0ELNS1_3repE0EEENS1_38merge_mergepath_config_static_selectorELNS0_4arch9wavefront6targetE1EEEvSH_,"axG",@progbits,_ZN7rocprim17ROCPRIM_400000_NS6detail17trampoline_kernelINS0_14default_configENS1_38merge_sort_block_merge_config_selectorIisEEZZNS1_27merge_sort_block_merge_implIS3_N6thrust23THRUST_200600_302600_NS10device_ptrIiEENS9_IsEEjNS1_19radix_merge_compareILb0ELb1EiNS0_19identity_decomposerEEEEE10hipError_tT0_T1_T2_jT3_P12ihipStream_tbPNSt15iterator_traitsISG_E10value_typeEPNSM_ISH_E10value_typeEPSI_NS1_7vsmem_tEENKUlT_SG_SH_SI_E_clIPiSA_PsSB_EESF_SV_SG_SH_SI_EUlSV_E0_NS1_11comp_targetILNS1_3genE0ELNS1_11target_archE4294967295ELNS1_3gpuE0ELNS1_3repE0EEENS1_38merge_mergepath_config_static_selectorELNS0_4arch9wavefront6targetE1EEEvSH_,comdat
	.protected	_ZN7rocprim17ROCPRIM_400000_NS6detail17trampoline_kernelINS0_14default_configENS1_38merge_sort_block_merge_config_selectorIisEEZZNS1_27merge_sort_block_merge_implIS3_N6thrust23THRUST_200600_302600_NS10device_ptrIiEENS9_IsEEjNS1_19radix_merge_compareILb0ELb1EiNS0_19identity_decomposerEEEEE10hipError_tT0_T1_T2_jT3_P12ihipStream_tbPNSt15iterator_traitsISG_E10value_typeEPNSM_ISH_E10value_typeEPSI_NS1_7vsmem_tEENKUlT_SG_SH_SI_E_clIPiSA_PsSB_EESF_SV_SG_SH_SI_EUlSV_E0_NS1_11comp_targetILNS1_3genE0ELNS1_11target_archE4294967295ELNS1_3gpuE0ELNS1_3repE0EEENS1_38merge_mergepath_config_static_selectorELNS0_4arch9wavefront6targetE1EEEvSH_ ; -- Begin function _ZN7rocprim17ROCPRIM_400000_NS6detail17trampoline_kernelINS0_14default_configENS1_38merge_sort_block_merge_config_selectorIisEEZZNS1_27merge_sort_block_merge_implIS3_N6thrust23THRUST_200600_302600_NS10device_ptrIiEENS9_IsEEjNS1_19radix_merge_compareILb0ELb1EiNS0_19identity_decomposerEEEEE10hipError_tT0_T1_T2_jT3_P12ihipStream_tbPNSt15iterator_traitsISG_E10value_typeEPNSM_ISH_E10value_typeEPSI_NS1_7vsmem_tEENKUlT_SG_SH_SI_E_clIPiSA_PsSB_EESF_SV_SG_SH_SI_EUlSV_E0_NS1_11comp_targetILNS1_3genE0ELNS1_11target_archE4294967295ELNS1_3gpuE0ELNS1_3repE0EEENS1_38merge_mergepath_config_static_selectorELNS0_4arch9wavefront6targetE1EEEvSH_
	.globl	_ZN7rocprim17ROCPRIM_400000_NS6detail17trampoline_kernelINS0_14default_configENS1_38merge_sort_block_merge_config_selectorIisEEZZNS1_27merge_sort_block_merge_implIS3_N6thrust23THRUST_200600_302600_NS10device_ptrIiEENS9_IsEEjNS1_19radix_merge_compareILb0ELb1EiNS0_19identity_decomposerEEEEE10hipError_tT0_T1_T2_jT3_P12ihipStream_tbPNSt15iterator_traitsISG_E10value_typeEPNSM_ISH_E10value_typeEPSI_NS1_7vsmem_tEENKUlT_SG_SH_SI_E_clIPiSA_PsSB_EESF_SV_SG_SH_SI_EUlSV_E0_NS1_11comp_targetILNS1_3genE0ELNS1_11target_archE4294967295ELNS1_3gpuE0ELNS1_3repE0EEENS1_38merge_mergepath_config_static_selectorELNS0_4arch9wavefront6targetE1EEEvSH_
	.p2align	8
	.type	_ZN7rocprim17ROCPRIM_400000_NS6detail17trampoline_kernelINS0_14default_configENS1_38merge_sort_block_merge_config_selectorIisEEZZNS1_27merge_sort_block_merge_implIS3_N6thrust23THRUST_200600_302600_NS10device_ptrIiEENS9_IsEEjNS1_19radix_merge_compareILb0ELb1EiNS0_19identity_decomposerEEEEE10hipError_tT0_T1_T2_jT3_P12ihipStream_tbPNSt15iterator_traitsISG_E10value_typeEPNSM_ISH_E10value_typeEPSI_NS1_7vsmem_tEENKUlT_SG_SH_SI_E_clIPiSA_PsSB_EESF_SV_SG_SH_SI_EUlSV_E0_NS1_11comp_targetILNS1_3genE0ELNS1_11target_archE4294967295ELNS1_3gpuE0ELNS1_3repE0EEENS1_38merge_mergepath_config_static_selectorELNS0_4arch9wavefront6targetE1EEEvSH_,@function
_ZN7rocprim17ROCPRIM_400000_NS6detail17trampoline_kernelINS0_14default_configENS1_38merge_sort_block_merge_config_selectorIisEEZZNS1_27merge_sort_block_merge_implIS3_N6thrust23THRUST_200600_302600_NS10device_ptrIiEENS9_IsEEjNS1_19radix_merge_compareILb0ELb1EiNS0_19identity_decomposerEEEEE10hipError_tT0_T1_T2_jT3_P12ihipStream_tbPNSt15iterator_traitsISG_E10value_typeEPNSM_ISH_E10value_typeEPSI_NS1_7vsmem_tEENKUlT_SG_SH_SI_E_clIPiSA_PsSB_EESF_SV_SG_SH_SI_EUlSV_E0_NS1_11comp_targetILNS1_3genE0ELNS1_11target_archE4294967295ELNS1_3gpuE0ELNS1_3repE0EEENS1_38merge_mergepath_config_static_selectorELNS0_4arch9wavefront6targetE1EEEvSH_: ; @_ZN7rocprim17ROCPRIM_400000_NS6detail17trampoline_kernelINS0_14default_configENS1_38merge_sort_block_merge_config_selectorIisEEZZNS1_27merge_sort_block_merge_implIS3_N6thrust23THRUST_200600_302600_NS10device_ptrIiEENS9_IsEEjNS1_19radix_merge_compareILb0ELb1EiNS0_19identity_decomposerEEEEE10hipError_tT0_T1_T2_jT3_P12ihipStream_tbPNSt15iterator_traitsISG_E10value_typeEPNSM_ISH_E10value_typeEPSI_NS1_7vsmem_tEENKUlT_SG_SH_SI_E_clIPiSA_PsSB_EESF_SV_SG_SH_SI_EUlSV_E0_NS1_11comp_targetILNS1_3genE0ELNS1_11target_archE4294967295ELNS1_3gpuE0ELNS1_3repE0EEENS1_38merge_mergepath_config_static_selectorELNS0_4arch9wavefront6targetE1EEEvSH_
; %bb.0:
	s_load_dwordx2 s[26:27], s[0:1], 0x40
	s_load_dwordx2 s[16:17], s[0:1], 0x30
	s_add_u32 s22, s0, 64
	s_addc_u32 s23, s1, 0
	s_waitcnt lgkmcnt(0)
	s_mul_i32 s4, s27, s4
	s_add_i32 s3, s4, s3
	s_mul_i32 s3, s3, s26
	s_add_i32 s24, s3, s2
	s_cmp_ge_u32 s24, s16
	s_cbranch_scc1 .LBB2364_46
; %bb.1:
	s_load_dwordx8 s[8:15], s[0:1], 0x10
	s_load_dwordx2 s[20:21], s[0:1], 0x8
	s_load_dwordx2 s[4:5], s[0:1], 0x38
	s_mov_b32 s25, 0
	v_mov_b32_e32 v7, 0
	s_waitcnt lgkmcnt(0)
	s_lshr_b32 s30, s14, 10
	s_cmp_lg_u32 s24, s30
	s_cselect_b64 s[18:19], -1, 0
	s_lshl_b64 s[0:1], s[24:25], 2
	s_add_u32 s4, s4, s0
	s_addc_u32 s5, s5, s1
	s_lshr_b32 s3, s15, 9
	s_and_b32 s3, s3, 0x7ffffe
	s_load_dwordx2 s[0:1], s[4:5], 0x0
	s_sub_i32 s3, 0, s3
	s_and_b32 s4, s24, s3
	s_lshl_b32 s5, s4, 10
	s_lshl_b32 s16, s24, 10
	;; [unrolled: 1-line block ×3, first 2 shown]
	s_sub_i32 s6, s16, s5
	s_add_i32 s7, s4, s15
	s_add_i32 s6, s7, s6
	s_waitcnt lgkmcnt(0)
	s_sub_i32 s4, s6, s0
	s_sub_i32 s6, s6, s1
	;; [unrolled: 1-line block ×3, first 2 shown]
	s_min_u32 s4, s14, s4
	s_addk_i32 s6, 0x400
	s_or_b32 s3, s24, s3
	s_min_u32 s7, s14, s5
	s_add_i32 s5, s5, s15
	s_cmp_eq_u32 s3, -1
	s_cselect_b32 s1, s7, s1
	s_cselect_b32 s3, s5, s6
	s_sub_i32 s15, s1, s0
	s_mov_b32 s1, s25
	s_min_u32 s27, s3, s14
	s_lshl_b64 s[6:7], s[0:1], 2
	s_add_u32 s6, s20, s6
	s_mov_b32 s5, s25
	s_addc_u32 s7, s21, s7
	s_lshl_b64 s[28:29], s[4:5], 2
	s_add_u32 s20, s20, s28
	s_addc_u32 s21, s21, s29
	s_cmp_lt_u32 s2, s26
	s_cselect_b32 s2, 12, 18
	global_load_dword v1, v7, s[22:23] offset:14
	s_add_u32 s2, s22, s2
	s_addc_u32 s3, s23, 0
	global_load_ushort v2, v7, s[2:3]
	s_cmp_eq_u32 s24, s30
	v_lshlrev_b32_e32 v6, 2, v0
	s_waitcnt vmcnt(1)
	v_lshrrev_b32_e32 v3, 16, v1
	v_and_b32_e32 v1, 0xffff, v1
	v_mul_lo_u32 v1, v1, v3
	s_waitcnt vmcnt(0)
	v_mul_lo_u32 v1, v1, v2
	v_add_u32_e32 v12, v1, v0
	v_add_u32_e32 v10, v12, v1
	s_cbranch_scc1 .LBB2364_3
; %bb.2:
	v_subrev_co_u32_e32 v4, vcc, s15, v0
	v_mov_b32_e32 v5, v7
	v_lshl_add_u64 v[2:3], s[6:7], 0, v[6:7]
	v_lshl_add_u64 v[4:5], v[4:5], 2, s[20:21]
	v_cndmask_b32_e32 v3, v5, v3, vcc
	v_cndmask_b32_e32 v2, v4, v2, vcc
	global_load_dword v2, v[2:3], off
	v_mov_b32_e32 v13, v7
	v_subrev_co_u32_e32 v8, vcc, s15, v12
	v_mov_b32_e32 v9, v7
	v_lshl_add_u64 v[4:5], v[12:13], 2, s[6:7]
	v_lshl_add_u64 v[8:9], v[8:9], 2, s[20:21]
	v_cndmask_b32_e32 v5, v9, v5, vcc
	v_cndmask_b32_e32 v4, v8, v4, vcc
	v_mov_b32_e32 v11, v7
	v_subrev_co_u32_e32 v8, vcc, s15, v10
	v_mov_b32_e32 v9, v7
	global_load_dword v3, v[4:5], off
	v_lshl_add_u64 v[4:5], v[10:11], 2, s[6:7]
	v_lshl_add_u64 v[8:9], v[8:9], 2, s[20:21]
	v_cndmask_b32_e32 v5, v9, v5, vcc
	v_cndmask_b32_e32 v4, v8, v4, vcc
	global_load_dword v4, v[4:5], off
	v_add_u32_e32 v8, v10, v1
	s_mov_b64 s[2:3], -1
	s_sub_i32 s24, s27, s4
	s_cbranch_execz .LBB2364_4
	s_branch .LBB2364_9
.LBB2364_3:
	s_mov_b64 s[2:3], 0
                                        ; implicit-def: $vgpr8
                                        ; implicit-def: $vgpr2_vgpr3_vgpr4_vgpr5
	s_sub_i32 s24, s27, s4
.LBB2364_4:
	s_add_i32 s22, s24, s15
	s_waitcnt vmcnt(2)
	v_mov_b32_e32 v2, 0
	v_cmp_gt_u32_e32 vcc, s22, v0
	s_waitcnt vmcnt(1)
	v_mov_b32_e32 v3, v2
	s_waitcnt vmcnt(0)
	v_mov_b32_e32 v4, v2
	v_mov_b32_e32 v5, v2
	s_and_saveexec_b64 s[2:3], vcc
	s_cbranch_execnz .LBB2364_47
; %bb.5:
	s_or_b64 exec, exec, s[2:3]
	v_cmp_gt_u32_e32 vcc, s22, v12
	s_and_saveexec_b64 s[2:3], vcc
	s_cbranch_execnz .LBB2364_48
.LBB2364_6:
	s_or_b64 exec, exec, s[2:3]
	v_cmp_gt_u32_e32 vcc, s22, v10
	s_and_saveexec_b64 s[2:3], vcc
	s_cbranch_execz .LBB2364_8
.LBB2364_7:
	v_mov_b32_e32 v11, 0
	v_subrev_co_u32_e32 v14, vcc, s15, v10
	v_mov_b32_e32 v15, v11
	v_lshl_add_u64 v[8:9], v[10:11], 2, s[6:7]
	v_lshl_add_u64 v[14:15], v[14:15], 2, s[20:21]
	v_cndmask_b32_e32 v9, v15, v9, vcc
	v_cndmask_b32_e32 v8, v14, v8, vcc
	global_load_dword v4, v[8:9], off
.LBB2364_8:
	s_or_b64 exec, exec, s[2:3]
	v_add_u32_e32 v8, v10, v1
	v_cmp_gt_u32_e64 s[2:3], s22, v8
.LBB2364_9:
	s_and_saveexec_b64 s[22:23], s[2:3]
	s_cbranch_execz .LBB2364_11
; %bb.10:
	v_mov_b32_e32 v9, 0
	v_lshl_add_u64 v[14:15], v[8:9], 2, s[6:7]
	v_subrev_co_u32_e32 v8, vcc, s15, v8
	v_lshl_add_u64 v[8:9], v[8:9], 2, s[20:21]
	s_nop 0
	v_cndmask_b32_e32 v9, v9, v15, vcc
	v_cndmask_b32_e32 v8, v8, v14, vcc
	global_load_dword v5, v[8:9], off
.LBB2364_11:
	s_or_b64 exec, exec, s[22:23]
	s_lshl_b64 s[0:1], s[0:1], 1
	s_add_u32 s0, s10, s0
	s_addc_u32 s1, s11, s1
	s_lshl_b64 s[2:3], s[4:5], 1
	s_add_u32 s2, s10, s2
	v_mov_b32_e32 v9, 0
	s_addc_u32 s3, s11, s3
	s_andn2_b64 vcc, exec, s[18:19]
	v_lshlrev_b32_e32 v8, 1, v0
	s_waitcnt vmcnt(0)
	ds_write2st64_b32 v6, v2, v3 offset1:4
	ds_write2st64_b32 v6, v4, v5 offset0:8 offset1:12
	s_cbranch_vccnz .LBB2364_13
; %bb.12:
	v_subrev_co_u32_e32 v16, vcc, s15, v0
	v_mov_b32_e32 v17, v9
	v_lshl_add_u64 v[14:15], s[0:1], 0, v[8:9]
	v_lshl_add_u64 v[16:17], v[16:17], 1, s[2:3]
	v_cndmask_b32_e32 v15, v17, v15, vcc
	v_cndmask_b32_e32 v14, v16, v14, vcc
	v_mov_b32_e32 v13, v9
	v_subrev_co_u32_e32 v16, vcc, s15, v12
	v_mov_b32_e32 v17, v9
	global_load_ushort v7, v[14:15], off
	v_lshl_add_u64 v[14:15], v[12:13], 1, s[0:1]
	v_lshl_add_u64 v[16:17], v[16:17], 1, s[2:3]
	v_cndmask_b32_e32 v15, v17, v15, vcc
	v_cndmask_b32_e32 v14, v16, v14, vcc
	v_mov_b32_e32 v11, v9
	v_subrev_co_u32_e32 v16, vcc, s15, v10
	v_mov_b32_e32 v17, v9
	global_load_ushort v13, v[14:15], off
	v_lshl_add_u64 v[14:15], v[10:11], 1, s[0:1]
	v_lshl_add_u64 v[16:17], v[16:17], 1, s[2:3]
	v_cndmask_b32_e32 v15, v17, v15, vcc
	v_cndmask_b32_e32 v14, v16, v14, vcc
	global_load_ushort v11, v[14:15], off
	v_add_u32_e32 v14, v10, v1
	v_mov_b32_e32 v15, v9
	v_lshl_add_u64 v[16:17], v[14:15], 1, s[0:1]
	v_subrev_co_u32_e32 v14, vcc, s15, v14
	v_lshl_add_u64 v[14:15], v[14:15], 1, s[2:3]
	s_nop 0
	v_cndmask_b32_e32 v15, v15, v17, vcc
	v_cndmask_b32_e32 v14, v14, v16, vcc
	global_load_ushort v9, v[14:15], off
	s_mov_b32 s4, 0x5040100
	s_add_i32 s20, s24, s15
	s_waitcnt vmcnt(2)
	v_perm_b32 v14, v13, v7, s4
	s_waitcnt vmcnt(0)
	v_perm_b32 v15, v9, v11, s4
	s_cbranch_execz .LBB2364_14
	s_branch .LBB2364_21
.LBB2364_13:
                                        ; implicit-def: $vgpr14_vgpr15
                                        ; implicit-def: $sgpr20
.LBB2364_14:
	s_add_i32 s20, s24, s15
	v_mov_b32_e32 v14, 0
	v_cmp_gt_u32_e32 vcc, s20, v0
	v_mov_b32_e32 v15, v14
	s_and_saveexec_b64 s[4:5], vcc
	s_cbranch_execnz .LBB2364_49
; %bb.15:
	s_or_b64 exec, exec, s[4:5]
	v_cmp_gt_u32_e32 vcc, s20, v12
	s_and_saveexec_b64 s[4:5], vcc
	s_cbranch_execnz .LBB2364_50
.LBB2364_16:
	s_or_b64 exec, exec, s[4:5]
	v_cmp_gt_u32_e32 vcc, s20, v10
	s_and_saveexec_b64 s[4:5], vcc
	s_cbranch_execz .LBB2364_18
.LBB2364_17:
	v_mov_b32_e32 v11, 0
	v_subrev_co_u32_e32 v16, vcc, s15, v10
	v_mov_b32_e32 v17, v11
	v_lshl_add_u64 v[12:13], v[10:11], 1, s[0:1]
	v_lshl_add_u64 v[16:17], v[16:17], 1, s[2:3]
	v_cndmask_b32_e32 v13, v17, v13, vcc
	v_cndmask_b32_e32 v12, v16, v12, vcc
	global_load_ushort v7, v[12:13], off
	s_mov_b32 s6, 0xffff
	s_waitcnt vmcnt(0)
	v_bfi_b32 v15, s6, v7, v15
.LBB2364_18:
	s_or_b64 exec, exec, s[4:5]
	v_add_u32_e32 v10, v10, v1
	v_cmp_gt_u32_e32 vcc, s20, v10
	s_and_saveexec_b64 s[4:5], vcc
	s_cbranch_execz .LBB2364_20
; %bb.19:
	v_mov_b32_e32 v11, 0
	v_lshl_add_u64 v[12:13], v[10:11], 1, s[0:1]
	v_subrev_co_u32_e32 v10, vcc, s15, v10
	v_lshl_add_u64 v[10:11], v[10:11], 1, s[2:3]
	s_nop 0
	v_cndmask_b32_e32 v11, v11, v13, vcc
	v_cndmask_b32_e32 v10, v10, v12, vcc
	global_load_ushort v1, v[10:11], off
	s_mov_b32 s0, 0x5040100
	s_waitcnt vmcnt(0)
	v_perm_b32 v15, v1, v15, s0
.LBB2364_20:
	s_or_b64 exec, exec, s[4:5]
.LBB2364_21:
	v_min_u32_e32 v7, s20, v6
	v_sub_u32_e64 v1, v7, s24 clamp
	v_min_u32_e32 v9, s15, v7
	v_cmp_lt_u32_e32 vcc, v1, v9
	s_waitcnt lgkmcnt(0)
	s_barrier
	s_and_saveexec_b64 s[0:1], vcc
	s_cbranch_execz .LBB2364_25
; %bb.22:
	v_lshlrev_b32_e32 v10, 2, v7
	v_lshl_add_u32 v10, s15, 2, v10
	s_mov_b64 s[2:3], 0
.LBB2364_23:                            ; =>This Inner Loop Header: Depth=1
	v_add_u32_e32 v11, v9, v1
	v_lshrrev_b32_e32 v11, 1, v11
	v_not_b32_e32 v12, v11
	v_lshlrev_b32_e32 v13, 2, v11
	v_lshl_add_u32 v12, v12, 2, v10
	ds_read_b32 v13, v13
	ds_read_b32 v12, v12
	v_add_u32_e32 v16, 1, v11
	s_waitcnt lgkmcnt(1)
	v_and_b32_e32 v13, s17, v13
	s_waitcnt lgkmcnt(0)
	v_and_b32_e32 v12, s17, v12
	v_cmp_gt_i32_e32 vcc, v13, v12
	s_nop 1
	v_cndmask_b32_e32 v9, v9, v11, vcc
	v_cndmask_b32_e32 v1, v16, v1, vcc
	v_cmp_ge_u32_e32 vcc, v1, v9
	s_or_b64 s[2:3], vcc, s[2:3]
	s_andn2_b64 exec, exec, s[2:3]
	s_cbranch_execnz .LBB2364_23
; %bb.24:
	s_or_b64 exec, exec, s[2:3]
.LBB2364_25:
	s_or_b64 exec, exec, s[0:1]
	v_sub_u32_e32 v7, v7, v1
	v_add_u32_e32 v11, s15, v7
	v_cmp_ge_u32_e32 vcc, s15, v1
	v_cmp_ge_u32_e64 s[0:1], s20, v11
	s_or_b64 s[0:1], vcc, s[0:1]
	v_mov_b32_e32 v12, 0
	v_mov_b32_e32 v10, 0
	;; [unrolled: 1-line block ×4, first 2 shown]
	s_and_saveexec_b64 s[10:11], s[0:1]
	s_cbranch_execz .LBB2364_31
; %bb.26:
	v_cmp_gt_u32_e32 vcc, s15, v1
                                        ; implicit-def: $vgpr2
	s_and_saveexec_b64 s[0:1], vcc
; %bb.27:
	v_lshlrev_b32_e32 v2, 2, v1
	ds_read_b32 v2, v2
; %bb.28:
	s_or_b64 exec, exec, s[0:1]
	v_cmp_le_u32_e64 s[0:1], s20, v11
	v_cmp_gt_u32_e64 s[2:3], s20, v11
                                        ; implicit-def: $vgpr3
	s_and_saveexec_b64 s[4:5], s[2:3]
; %bb.29:
	v_lshlrev_b32_e32 v3, 2, v11
	ds_read_b32 v3, v3
; %bb.30:
	s_or_b64 exec, exec, s[4:5]
	s_waitcnt lgkmcnt(0)
	v_and_b32_e32 v4, s17, v3
	v_and_b32_e32 v5, s17, v2
	v_cmp_le_i32_e64 s[2:3], v5, v4
	s_and_b64 s[2:3], vcc, s[2:3]
	s_or_b64 vcc, s[0:1], s[2:3]
	v_mov_b32_e32 v4, s20
	v_mov_b32_e32 v5, s15
	v_cndmask_b32_e32 v7, v11, v1, vcc
	v_cndmask_b32_e32 v9, v4, v5, vcc
	v_add_u32_e32 v10, 1, v7
	v_add_u32_e32 v9, -1, v9
	v_min_u32_e32 v9, v10, v9
	v_lshlrev_b32_e32 v9, 2, v9
	ds_read_b32 v9, v9
	v_cndmask_b32_e32 v11, v10, v11, vcc
	v_cndmask_b32_e32 v1, v1, v10, vcc
	v_cmp_gt_u32_e64 s[2:3], s15, v1
	v_cmp_le_u32_e64 s[0:1], s20, v11
	s_waitcnt lgkmcnt(0)
	v_cndmask_b32_e32 v12, v9, v3, vcc
	v_cndmask_b32_e32 v13, v2, v9, vcc
	v_and_b32_e32 v9, s17, v12
	v_and_b32_e32 v10, s17, v13
	v_cmp_le_i32_e64 s[4:5], v10, v9
	s_and_b64 s[2:3], s[2:3], s[4:5]
	s_or_b64 s[0:1], s[0:1], s[2:3]
	v_cndmask_b32_e64 v9, v11, v1, s[0:1]
	v_cndmask_b32_e64 v10, v4, v5, s[0:1]
	v_add_u32_e32 v16, 1, v9
	v_add_u32_e32 v10, -1, v10
	v_min_u32_e32 v10, v16, v10
	v_lshlrev_b32_e32 v10, 2, v10
	ds_read_b32 v10, v10
	v_cndmask_b32_e64 v11, v16, v11, s[0:1]
	v_cndmask_b32_e64 v1, v1, v16, s[0:1]
	v_cmp_gt_u32_e64 s[4:5], s15, v1
	v_cmp_le_u32_e64 s[2:3], s20, v11
	s_waitcnt lgkmcnt(0)
	v_cndmask_b32_e64 v17, v10, v12, s[0:1]
	v_cndmask_b32_e64 v18, v13, v10, s[0:1]
	v_and_b32_e32 v10, s17, v17
	v_and_b32_e32 v16, s17, v18
	v_cmp_le_i32_e64 s[6:7], v16, v10
	s_and_b64 s[4:5], s[4:5], s[6:7]
	s_or_b64 s[2:3], s[2:3], s[4:5]
	v_cndmask_b32_e64 v10, v11, v1, s[2:3]
	v_cndmask_b32_e64 v4, v4, v5, s[2:3]
	v_add_u32_e32 v5, 1, v10
	v_add_u32_e32 v4, -1, v4
	v_min_u32_e32 v4, v5, v4
	v_lshlrev_b32_e32 v4, 2, v4
	ds_read_b32 v16, v4
	v_cndmask_b32_e32 v2, v3, v2, vcc
	v_cndmask_b32_e64 v3, v12, v13, s[0:1]
	v_cndmask_b32_e64 v11, v5, v11, s[2:3]
	;; [unrolled: 1-line block ×3, first 2 shown]
	s_waitcnt lgkmcnt(0)
	v_cndmask_b32_e64 v13, v16, v17, s[2:3]
	v_cndmask_b32_e64 v16, v18, v16, s[2:3]
	v_and_b32_e32 v5, s17, v13
	v_and_b32_e32 v12, s17, v16
	v_cndmask_b32_e64 v4, v17, v18, s[2:3]
	v_cmp_gt_u32_e64 s[0:1], s15, v1
	v_cmp_le_i32_e64 s[2:3], v12, v5
	v_cmp_le_u32_e32 vcc, s20, v11
	s_and_b64 s[0:1], s[0:1], s[2:3]
	s_or_b64 vcc, vcc, s[0:1]
	v_cndmask_b32_e32 v12, v11, v1, vcc
	v_cndmask_b32_e32 v5, v13, v16, vcc
.LBB2364_31:
	s_or_b64 exec, exec, s[10:11]
	v_sub_u32_e32 v1, v6, v8
	s_barrier
	ds_write_b16 v1, v14
	ds_write_b16_d16_hi v1, v14 offset:512
	ds_write_b16 v1, v15 offset:1024
	ds_write_b16_d16_hi v1, v15 offset:1536
	v_lshlrev_b32_e32 v1, 1, v7
	v_lshlrev_b32_e32 v10, 1, v10
	;; [unrolled: 1-line block ×3, first 2 shown]
	s_waitcnt lgkmcnt(0)
	s_barrier
	v_lshlrev_b32_e32 v7, 1, v9
	ds_read_u16 v1, v1
	ds_read_u16 v9, v7
	;; [unrolled: 1-line block ×4, first 2 shown]
	s_mov_b32 s17, 0
	s_lshl_b64 s[0:1], s[16:17], 2
	v_lshrrev_b32_e32 v12, 3, v0
	v_lshlrev_b32_e32 v7, 2, v6
	s_add_u32 s0, s8, s0
	v_lshl_add_u32 v7, v12, 2, v7
	v_or_b32_e32 v16, 0x100, v0
	v_or_b32_e32 v15, 0x200, v0
	v_or_b32_e32 v14, 0x300, v0
	s_waitcnt lgkmcnt(0)
	s_barrier
	s_barrier
	s_addc_u32 s1, s9, s1
	ds_write2_b32 v7, v2, v3 offset1:1
	ds_write2_b32 v7, v4, v5 offset0:2 offset1:3
	v_lshrrev_b32_e32 v4, 5, v0
	v_lshrrev_b32_e32 v5, 5, v16
	;; [unrolled: 1-line block ×4, first 2 shown]
	v_mov_b32_e32 v7, 0
	v_lshl_add_u32 v17, v4, 2, v6
	v_lshl_add_u32 v18, v5, 2, v6
	;; [unrolled: 1-line block ×4, first 2 shown]
	v_lshl_add_u64 v[2:3], s[0:1], 0, v[6:7]
	s_and_b64 vcc, exec, s[18:19]
	v_and_b32_e32 v12, 30, v12
	v_lshlrev_b32_e32 v13, 1, v6
	v_and_b32_e32 v7, 14, v5
	v_and_b32_e32 v6, 30, v21
	;; [unrolled: 1-line block ×3, first 2 shown]
	s_waitcnt lgkmcnt(0)
	s_cbranch_vccz .LBB2364_33
; %bb.32:
	s_barrier
	ds_read_b32 v21, v17
	ds_read_b32 v22, v18 offset:1024
	ds_read_b32 v23, v19 offset:2048
	;; [unrolled: 1-line block ×3, first 2 shown]
	s_mov_b32 s2, 0x5040100
	s_lshl_b64 s[0:1], s[16:17], 1
	s_waitcnt lgkmcnt(3)
	global_store_dword v[2:3], v21, off
	s_waitcnt lgkmcnt(2)
	global_store_dword v[2:3], v22, off offset:1024
	s_waitcnt lgkmcnt(1)
	global_store_dword v[2:3], v23, off offset:2048
	;; [unrolled: 2-line block ×3, first 2 shown]
	v_lshl_add_u32 v21, v12, 1, v13
	v_perm_b32 v22, v11, v10, s2
	v_perm_b32 v23, v9, v1, s2
	s_barrier
	ds_write2_b32 v21, v23, v22 offset1:1
	v_and_b32_e32 v21, 6, v4
	v_lshl_add_u32 v21, v21, 1, v8
	v_lshl_add_u32 v22, v7, 1, v8
	;; [unrolled: 1-line block ×3, first 2 shown]
	s_waitcnt lgkmcnt(0)
	s_barrier
	ds_read_u16 v24, v21
	ds_read_u16 v22, v22 offset:512
	ds_read_u16 v23, v23 offset:1024
	v_lshl_add_u32 v21, v5, 1, v8
	ds_read_u16 v21, v21 offset:1536
	s_add_u32 s0, s12, s0
	s_addc_u32 s1, s13, s1
	s_waitcnt lgkmcnt(3)
	global_store_short v8, v24, s[0:1]
	s_waitcnt lgkmcnt(2)
	global_store_short v8, v22, s[0:1] offset:512
	s_waitcnt lgkmcnt(1)
	global_store_short v8, v23, s[0:1] offset:1024
	s_mov_b64 s[4:5], -1
	s_cbranch_execz .LBB2364_34
	s_branch .LBB2364_44
.LBB2364_33:
	s_mov_b64 s[4:5], 0
                                        ; implicit-def: $vgpr21
.LBB2364_34:
	s_barrier
	s_waitcnt lgkmcnt(0)
	ds_read_b32 v21, v18 offset:1024
	ds_read_b32 v19, v19 offset:2048
	;; [unrolled: 1-line block ×3, first 2 shown]
	s_sub_i32 s6, s14, s16
	v_cmp_gt_u32_e32 vcc, s6, v0
	s_and_saveexec_b64 s[0:1], vcc
	s_cbranch_execnz .LBB2364_51
; %bb.35:
	s_or_b64 exec, exec, s[0:1]
	v_cmp_gt_u32_e64 s[0:1], s6, v16
	s_and_saveexec_b64 s[2:3], s[0:1]
	s_cbranch_execnz .LBB2364_52
.LBB2364_36:
	s_or_b64 exec, exec, s[2:3]
	v_cmp_gt_u32_e64 s[2:3], s6, v15
	s_and_saveexec_b64 s[4:5], s[2:3]
	s_cbranch_execnz .LBB2364_53
.LBB2364_37:
	s_or_b64 exec, exec, s[4:5]
	v_cmp_gt_u32_e64 s[4:5], s6, v14
	s_and_saveexec_b64 s[6:7], s[4:5]
	s_cbranch_execz .LBB2364_39
.LBB2364_38:
	s_waitcnt lgkmcnt(0)
	global_store_dword v[2:3], v18, off offset:3072
.LBB2364_39:
	s_or_b64 exec, exec, s[6:7]
	s_mov_b32 s8, 0x5040100
	v_lshl_add_u32 v0, v12, 1, v13
	v_perm_b32 v2, v11, v10, s8
	v_perm_b32 v1, v9, v1, s8
	s_waitcnt lgkmcnt(0)
	s_barrier
	ds_write2_b32 v0, v1, v2 offset1:1
	v_lshl_add_u32 v0, v7, 1, v8
	s_waitcnt lgkmcnt(0)
	s_barrier
	v_lshl_add_u32 v1, v6, 1, v8
	v_lshl_add_u32 v5, v5, 1, v8
	ds_read_u16 v3, v0 offset:512
	ds_read_u16 v2, v1 offset:1024
	;; [unrolled: 1-line block ×3, first 2 shown]
	s_lshl_b64 s[6:7], s[16:17], 1
	s_add_u32 s6, s12, s6
	s_addc_u32 s7, s13, s7
	v_mov_b32_e32 v9, 0
	v_lshl_add_u64 v[0:1], s[6:7], 0, v[8:9]
	s_and_saveexec_b64 s[6:7], vcc
	s_cbranch_execnz .LBB2364_54
; %bb.40:
	s_or_b64 exec, exec, s[6:7]
	s_and_saveexec_b64 s[6:7], s[0:1]
	s_cbranch_execnz .LBB2364_55
.LBB2364_41:
	s_or_b64 exec, exec, s[6:7]
	s_and_saveexec_b64 s[0:1], s[2:3]
	s_cbranch_execz .LBB2364_43
.LBB2364_42:
	s_waitcnt lgkmcnt(1)
	global_store_short v[0:1], v2, off offset:1024
.LBB2364_43:
	s_or_b64 exec, exec, s[0:1]
.LBB2364_44:
	s_and_saveexec_b64 s[0:1], s[4:5]
	s_cbranch_execz .LBB2364_46
; %bb.45:
	s_lshl_b64 s[0:1], s[16:17], 1
	s_add_u32 s0, s12, s0
	s_addc_u32 s1, s13, s1
	s_waitcnt lgkmcnt(0)
	global_store_short v8, v21, s[0:1] offset:1536
.LBB2364_46:
	s_endpgm
.LBB2364_47:
	v_mov_b32_e32 v7, v2
	v_subrev_co_u32_e32 v8, vcc, s15, v0
	v_mov_b32_e32 v9, v2
	v_lshl_add_u64 v[4:5], s[6:7], 0, v[6:7]
	v_lshl_add_u64 v[8:9], v[8:9], 2, s[20:21]
	v_cndmask_b32_e32 v5, v9, v5, vcc
	v_cndmask_b32_e32 v4, v8, v4, vcc
	global_load_dword v14, v[4:5], off
	v_mov_b32_e32 v15, v2
	v_mov_b32_e32 v16, v2
	;; [unrolled: 1-line block ×3, first 2 shown]
	s_waitcnt vmcnt(0)
	v_mov_b64_e32 v[2:3], v[14:15]
	v_mov_b64_e32 v[4:5], v[16:17]
	s_or_b64 exec, exec, s[2:3]
	v_cmp_gt_u32_e32 vcc, s22, v12
	s_and_saveexec_b64 s[2:3], vcc
	s_cbranch_execz .LBB2364_6
.LBB2364_48:
	v_mov_b32_e32 v13, 0
	v_subrev_co_u32_e32 v14, vcc, s15, v12
	v_mov_b32_e32 v15, v13
	v_lshl_add_u64 v[8:9], v[12:13], 2, s[6:7]
	v_lshl_add_u64 v[14:15], v[14:15], 2, s[20:21]
	v_cndmask_b32_e32 v9, v15, v9, vcc
	v_cndmask_b32_e32 v8, v14, v8, vcc
	global_load_dword v3, v[8:9], off
	s_or_b64 exec, exec, s[2:3]
	v_cmp_gt_u32_e32 vcc, s22, v10
	s_and_saveexec_b64 s[2:3], vcc
	s_cbranch_execnz .LBB2364_7
	s_branch .LBB2364_8
.LBB2364_49:
	v_mov_b32_e32 v9, v14
	v_subrev_co_u32_e32 v18, vcc, s15, v0
	v_mov_b32_e32 v19, v14
	v_lshl_add_u64 v[16:17], s[0:1], 0, v[8:9]
	v_lshl_add_u64 v[18:19], v[18:19], 1, s[2:3]
	v_cndmask_b32_e32 v17, v19, v17, vcc
	v_cndmask_b32_e32 v16, v18, v16, vcc
	global_load_ushort v7, v[16:17], off
	v_mov_b32_e32 v17, v14
	s_waitcnt vmcnt(0)
	v_and_b32_e32 v16, 0xffff, v7
	v_mov_b64_e32 v[14:15], v[16:17]
	s_or_b64 exec, exec, s[4:5]
	v_cmp_gt_u32_e32 vcc, s20, v12
	s_and_saveexec_b64 s[4:5], vcc
	s_cbranch_execz .LBB2364_16
.LBB2364_50:
	v_mov_b32_e32 v13, 0
	v_lshl_add_u64 v[16:17], v[12:13], 1, s[0:1]
	v_subrev_co_u32_e32 v12, vcc, s15, v12
	v_lshl_add_u64 v[12:13], v[12:13], 1, s[2:3]
	s_nop 0
	v_cndmask_b32_e32 v13, v13, v17, vcc
	v_cndmask_b32_e32 v12, v12, v16, vcc
	global_load_ushort v7, v[12:13], off
	s_mov_b32 s6, 0x5040100
	s_waitcnt vmcnt(0)
	v_perm_b32 v14, v7, v14, s6
	s_or_b64 exec, exec, s[4:5]
	v_cmp_gt_u32_e32 vcc, s20, v10
	s_and_saveexec_b64 s[4:5], vcc
	s_cbranch_execnz .LBB2364_17
	s_branch .LBB2364_18
.LBB2364_51:
	ds_read_b32 v0, v17
	s_waitcnt lgkmcnt(0)
	global_store_dword v[2:3], v0, off
	s_or_b64 exec, exec, s[0:1]
	v_cmp_gt_u32_e64 s[0:1], s6, v16
	s_and_saveexec_b64 s[2:3], s[0:1]
	s_cbranch_execz .LBB2364_36
.LBB2364_52:
	s_waitcnt lgkmcnt(2)
	global_store_dword v[2:3], v21, off offset:1024
	s_or_b64 exec, exec, s[2:3]
	v_cmp_gt_u32_e64 s[2:3], s6, v15
	s_and_saveexec_b64 s[4:5], s[2:3]
	s_cbranch_execz .LBB2364_37
.LBB2364_53:
	s_waitcnt lgkmcnt(1)
	global_store_dword v[2:3], v19, off offset:2048
	s_or_b64 exec, exec, s[4:5]
	v_cmp_gt_u32_e64 s[4:5], s6, v14
	s_and_saveexec_b64 s[6:7], s[4:5]
	s_cbranch_execnz .LBB2364_38
	s_branch .LBB2364_39
.LBB2364_54:
	v_and_b32_e32 v4, 6, v4
	v_lshl_add_u32 v4, v4, 1, v8
	ds_read_u16 v4, v4
	s_waitcnt lgkmcnt(0)
	global_store_short v[0:1], v4, off
	s_or_b64 exec, exec, s[6:7]
	s_and_saveexec_b64 s[6:7], s[0:1]
	s_cbranch_execz .LBB2364_41
.LBB2364_55:
	s_waitcnt lgkmcnt(2)
	global_store_short v[0:1], v3, off offset:512
	s_or_b64 exec, exec, s[6:7]
	s_and_saveexec_b64 s[0:1], s[2:3]
	s_cbranch_execnz .LBB2364_42
	s_branch .LBB2364_43
	.section	.rodata,"a",@progbits
	.p2align	6, 0x0
	.amdhsa_kernel _ZN7rocprim17ROCPRIM_400000_NS6detail17trampoline_kernelINS0_14default_configENS1_38merge_sort_block_merge_config_selectorIisEEZZNS1_27merge_sort_block_merge_implIS3_N6thrust23THRUST_200600_302600_NS10device_ptrIiEENS9_IsEEjNS1_19radix_merge_compareILb0ELb1EiNS0_19identity_decomposerEEEEE10hipError_tT0_T1_T2_jT3_P12ihipStream_tbPNSt15iterator_traitsISG_E10value_typeEPNSM_ISH_E10value_typeEPSI_NS1_7vsmem_tEENKUlT_SG_SH_SI_E_clIPiSA_PsSB_EESF_SV_SG_SH_SI_EUlSV_E0_NS1_11comp_targetILNS1_3genE0ELNS1_11target_archE4294967295ELNS1_3gpuE0ELNS1_3repE0EEENS1_38merge_mergepath_config_static_selectorELNS0_4arch9wavefront6targetE1EEEvSH_
		.amdhsa_group_segment_fixed_size 4224
		.amdhsa_private_segment_fixed_size 0
		.amdhsa_kernarg_size 320
		.amdhsa_user_sgpr_count 2
		.amdhsa_user_sgpr_dispatch_ptr 0
		.amdhsa_user_sgpr_queue_ptr 0
		.amdhsa_user_sgpr_kernarg_segment_ptr 1
		.amdhsa_user_sgpr_dispatch_id 0
		.amdhsa_user_sgpr_kernarg_preload_length 0
		.amdhsa_user_sgpr_kernarg_preload_offset 0
		.amdhsa_user_sgpr_private_segment_size 0
		.amdhsa_uses_dynamic_stack 0
		.amdhsa_enable_private_segment 0
		.amdhsa_system_sgpr_workgroup_id_x 1
		.amdhsa_system_sgpr_workgroup_id_y 1
		.amdhsa_system_sgpr_workgroup_id_z 1
		.amdhsa_system_sgpr_workgroup_info 0
		.amdhsa_system_vgpr_workitem_id 0
		.amdhsa_next_free_vgpr 25
		.amdhsa_next_free_sgpr 31
		.amdhsa_accum_offset 28
		.amdhsa_reserve_vcc 1
		.amdhsa_float_round_mode_32 0
		.amdhsa_float_round_mode_16_64 0
		.amdhsa_float_denorm_mode_32 3
		.amdhsa_float_denorm_mode_16_64 3
		.amdhsa_dx10_clamp 1
		.amdhsa_ieee_mode 1
		.amdhsa_fp16_overflow 0
		.amdhsa_tg_split 0
		.amdhsa_exception_fp_ieee_invalid_op 0
		.amdhsa_exception_fp_denorm_src 0
		.amdhsa_exception_fp_ieee_div_zero 0
		.amdhsa_exception_fp_ieee_overflow 0
		.amdhsa_exception_fp_ieee_underflow 0
		.amdhsa_exception_fp_ieee_inexact 0
		.amdhsa_exception_int_div_zero 0
	.end_amdhsa_kernel
	.section	.text._ZN7rocprim17ROCPRIM_400000_NS6detail17trampoline_kernelINS0_14default_configENS1_38merge_sort_block_merge_config_selectorIisEEZZNS1_27merge_sort_block_merge_implIS3_N6thrust23THRUST_200600_302600_NS10device_ptrIiEENS9_IsEEjNS1_19radix_merge_compareILb0ELb1EiNS0_19identity_decomposerEEEEE10hipError_tT0_T1_T2_jT3_P12ihipStream_tbPNSt15iterator_traitsISG_E10value_typeEPNSM_ISH_E10value_typeEPSI_NS1_7vsmem_tEENKUlT_SG_SH_SI_E_clIPiSA_PsSB_EESF_SV_SG_SH_SI_EUlSV_E0_NS1_11comp_targetILNS1_3genE0ELNS1_11target_archE4294967295ELNS1_3gpuE0ELNS1_3repE0EEENS1_38merge_mergepath_config_static_selectorELNS0_4arch9wavefront6targetE1EEEvSH_,"axG",@progbits,_ZN7rocprim17ROCPRIM_400000_NS6detail17trampoline_kernelINS0_14default_configENS1_38merge_sort_block_merge_config_selectorIisEEZZNS1_27merge_sort_block_merge_implIS3_N6thrust23THRUST_200600_302600_NS10device_ptrIiEENS9_IsEEjNS1_19radix_merge_compareILb0ELb1EiNS0_19identity_decomposerEEEEE10hipError_tT0_T1_T2_jT3_P12ihipStream_tbPNSt15iterator_traitsISG_E10value_typeEPNSM_ISH_E10value_typeEPSI_NS1_7vsmem_tEENKUlT_SG_SH_SI_E_clIPiSA_PsSB_EESF_SV_SG_SH_SI_EUlSV_E0_NS1_11comp_targetILNS1_3genE0ELNS1_11target_archE4294967295ELNS1_3gpuE0ELNS1_3repE0EEENS1_38merge_mergepath_config_static_selectorELNS0_4arch9wavefront6targetE1EEEvSH_,comdat
.Lfunc_end2364:
	.size	_ZN7rocprim17ROCPRIM_400000_NS6detail17trampoline_kernelINS0_14default_configENS1_38merge_sort_block_merge_config_selectorIisEEZZNS1_27merge_sort_block_merge_implIS3_N6thrust23THRUST_200600_302600_NS10device_ptrIiEENS9_IsEEjNS1_19radix_merge_compareILb0ELb1EiNS0_19identity_decomposerEEEEE10hipError_tT0_T1_T2_jT3_P12ihipStream_tbPNSt15iterator_traitsISG_E10value_typeEPNSM_ISH_E10value_typeEPSI_NS1_7vsmem_tEENKUlT_SG_SH_SI_E_clIPiSA_PsSB_EESF_SV_SG_SH_SI_EUlSV_E0_NS1_11comp_targetILNS1_3genE0ELNS1_11target_archE4294967295ELNS1_3gpuE0ELNS1_3repE0EEENS1_38merge_mergepath_config_static_selectorELNS0_4arch9wavefront6targetE1EEEvSH_, .Lfunc_end2364-_ZN7rocprim17ROCPRIM_400000_NS6detail17trampoline_kernelINS0_14default_configENS1_38merge_sort_block_merge_config_selectorIisEEZZNS1_27merge_sort_block_merge_implIS3_N6thrust23THRUST_200600_302600_NS10device_ptrIiEENS9_IsEEjNS1_19radix_merge_compareILb0ELb1EiNS0_19identity_decomposerEEEEE10hipError_tT0_T1_T2_jT3_P12ihipStream_tbPNSt15iterator_traitsISG_E10value_typeEPNSM_ISH_E10value_typeEPSI_NS1_7vsmem_tEENKUlT_SG_SH_SI_E_clIPiSA_PsSB_EESF_SV_SG_SH_SI_EUlSV_E0_NS1_11comp_targetILNS1_3genE0ELNS1_11target_archE4294967295ELNS1_3gpuE0ELNS1_3repE0EEENS1_38merge_mergepath_config_static_selectorELNS0_4arch9wavefront6targetE1EEEvSH_
                                        ; -- End function
	.set _ZN7rocprim17ROCPRIM_400000_NS6detail17trampoline_kernelINS0_14default_configENS1_38merge_sort_block_merge_config_selectorIisEEZZNS1_27merge_sort_block_merge_implIS3_N6thrust23THRUST_200600_302600_NS10device_ptrIiEENS9_IsEEjNS1_19radix_merge_compareILb0ELb1EiNS0_19identity_decomposerEEEEE10hipError_tT0_T1_T2_jT3_P12ihipStream_tbPNSt15iterator_traitsISG_E10value_typeEPNSM_ISH_E10value_typeEPSI_NS1_7vsmem_tEENKUlT_SG_SH_SI_E_clIPiSA_PsSB_EESF_SV_SG_SH_SI_EUlSV_E0_NS1_11comp_targetILNS1_3genE0ELNS1_11target_archE4294967295ELNS1_3gpuE0ELNS1_3repE0EEENS1_38merge_mergepath_config_static_selectorELNS0_4arch9wavefront6targetE1EEEvSH_.num_vgpr, 25
	.set _ZN7rocprim17ROCPRIM_400000_NS6detail17trampoline_kernelINS0_14default_configENS1_38merge_sort_block_merge_config_selectorIisEEZZNS1_27merge_sort_block_merge_implIS3_N6thrust23THRUST_200600_302600_NS10device_ptrIiEENS9_IsEEjNS1_19radix_merge_compareILb0ELb1EiNS0_19identity_decomposerEEEEE10hipError_tT0_T1_T2_jT3_P12ihipStream_tbPNSt15iterator_traitsISG_E10value_typeEPNSM_ISH_E10value_typeEPSI_NS1_7vsmem_tEENKUlT_SG_SH_SI_E_clIPiSA_PsSB_EESF_SV_SG_SH_SI_EUlSV_E0_NS1_11comp_targetILNS1_3genE0ELNS1_11target_archE4294967295ELNS1_3gpuE0ELNS1_3repE0EEENS1_38merge_mergepath_config_static_selectorELNS0_4arch9wavefront6targetE1EEEvSH_.num_agpr, 0
	.set _ZN7rocprim17ROCPRIM_400000_NS6detail17trampoline_kernelINS0_14default_configENS1_38merge_sort_block_merge_config_selectorIisEEZZNS1_27merge_sort_block_merge_implIS3_N6thrust23THRUST_200600_302600_NS10device_ptrIiEENS9_IsEEjNS1_19radix_merge_compareILb0ELb1EiNS0_19identity_decomposerEEEEE10hipError_tT0_T1_T2_jT3_P12ihipStream_tbPNSt15iterator_traitsISG_E10value_typeEPNSM_ISH_E10value_typeEPSI_NS1_7vsmem_tEENKUlT_SG_SH_SI_E_clIPiSA_PsSB_EESF_SV_SG_SH_SI_EUlSV_E0_NS1_11comp_targetILNS1_3genE0ELNS1_11target_archE4294967295ELNS1_3gpuE0ELNS1_3repE0EEENS1_38merge_mergepath_config_static_selectorELNS0_4arch9wavefront6targetE1EEEvSH_.numbered_sgpr, 31
	.set _ZN7rocprim17ROCPRIM_400000_NS6detail17trampoline_kernelINS0_14default_configENS1_38merge_sort_block_merge_config_selectorIisEEZZNS1_27merge_sort_block_merge_implIS3_N6thrust23THRUST_200600_302600_NS10device_ptrIiEENS9_IsEEjNS1_19radix_merge_compareILb0ELb1EiNS0_19identity_decomposerEEEEE10hipError_tT0_T1_T2_jT3_P12ihipStream_tbPNSt15iterator_traitsISG_E10value_typeEPNSM_ISH_E10value_typeEPSI_NS1_7vsmem_tEENKUlT_SG_SH_SI_E_clIPiSA_PsSB_EESF_SV_SG_SH_SI_EUlSV_E0_NS1_11comp_targetILNS1_3genE0ELNS1_11target_archE4294967295ELNS1_3gpuE0ELNS1_3repE0EEENS1_38merge_mergepath_config_static_selectorELNS0_4arch9wavefront6targetE1EEEvSH_.num_named_barrier, 0
	.set _ZN7rocprim17ROCPRIM_400000_NS6detail17trampoline_kernelINS0_14default_configENS1_38merge_sort_block_merge_config_selectorIisEEZZNS1_27merge_sort_block_merge_implIS3_N6thrust23THRUST_200600_302600_NS10device_ptrIiEENS9_IsEEjNS1_19radix_merge_compareILb0ELb1EiNS0_19identity_decomposerEEEEE10hipError_tT0_T1_T2_jT3_P12ihipStream_tbPNSt15iterator_traitsISG_E10value_typeEPNSM_ISH_E10value_typeEPSI_NS1_7vsmem_tEENKUlT_SG_SH_SI_E_clIPiSA_PsSB_EESF_SV_SG_SH_SI_EUlSV_E0_NS1_11comp_targetILNS1_3genE0ELNS1_11target_archE4294967295ELNS1_3gpuE0ELNS1_3repE0EEENS1_38merge_mergepath_config_static_selectorELNS0_4arch9wavefront6targetE1EEEvSH_.private_seg_size, 0
	.set _ZN7rocprim17ROCPRIM_400000_NS6detail17trampoline_kernelINS0_14default_configENS1_38merge_sort_block_merge_config_selectorIisEEZZNS1_27merge_sort_block_merge_implIS3_N6thrust23THRUST_200600_302600_NS10device_ptrIiEENS9_IsEEjNS1_19radix_merge_compareILb0ELb1EiNS0_19identity_decomposerEEEEE10hipError_tT0_T1_T2_jT3_P12ihipStream_tbPNSt15iterator_traitsISG_E10value_typeEPNSM_ISH_E10value_typeEPSI_NS1_7vsmem_tEENKUlT_SG_SH_SI_E_clIPiSA_PsSB_EESF_SV_SG_SH_SI_EUlSV_E0_NS1_11comp_targetILNS1_3genE0ELNS1_11target_archE4294967295ELNS1_3gpuE0ELNS1_3repE0EEENS1_38merge_mergepath_config_static_selectorELNS0_4arch9wavefront6targetE1EEEvSH_.uses_vcc, 1
	.set _ZN7rocprim17ROCPRIM_400000_NS6detail17trampoline_kernelINS0_14default_configENS1_38merge_sort_block_merge_config_selectorIisEEZZNS1_27merge_sort_block_merge_implIS3_N6thrust23THRUST_200600_302600_NS10device_ptrIiEENS9_IsEEjNS1_19radix_merge_compareILb0ELb1EiNS0_19identity_decomposerEEEEE10hipError_tT0_T1_T2_jT3_P12ihipStream_tbPNSt15iterator_traitsISG_E10value_typeEPNSM_ISH_E10value_typeEPSI_NS1_7vsmem_tEENKUlT_SG_SH_SI_E_clIPiSA_PsSB_EESF_SV_SG_SH_SI_EUlSV_E0_NS1_11comp_targetILNS1_3genE0ELNS1_11target_archE4294967295ELNS1_3gpuE0ELNS1_3repE0EEENS1_38merge_mergepath_config_static_selectorELNS0_4arch9wavefront6targetE1EEEvSH_.uses_flat_scratch, 0
	.set _ZN7rocprim17ROCPRIM_400000_NS6detail17trampoline_kernelINS0_14default_configENS1_38merge_sort_block_merge_config_selectorIisEEZZNS1_27merge_sort_block_merge_implIS3_N6thrust23THRUST_200600_302600_NS10device_ptrIiEENS9_IsEEjNS1_19radix_merge_compareILb0ELb1EiNS0_19identity_decomposerEEEEE10hipError_tT0_T1_T2_jT3_P12ihipStream_tbPNSt15iterator_traitsISG_E10value_typeEPNSM_ISH_E10value_typeEPSI_NS1_7vsmem_tEENKUlT_SG_SH_SI_E_clIPiSA_PsSB_EESF_SV_SG_SH_SI_EUlSV_E0_NS1_11comp_targetILNS1_3genE0ELNS1_11target_archE4294967295ELNS1_3gpuE0ELNS1_3repE0EEENS1_38merge_mergepath_config_static_selectorELNS0_4arch9wavefront6targetE1EEEvSH_.has_dyn_sized_stack, 0
	.set _ZN7rocprim17ROCPRIM_400000_NS6detail17trampoline_kernelINS0_14default_configENS1_38merge_sort_block_merge_config_selectorIisEEZZNS1_27merge_sort_block_merge_implIS3_N6thrust23THRUST_200600_302600_NS10device_ptrIiEENS9_IsEEjNS1_19radix_merge_compareILb0ELb1EiNS0_19identity_decomposerEEEEE10hipError_tT0_T1_T2_jT3_P12ihipStream_tbPNSt15iterator_traitsISG_E10value_typeEPNSM_ISH_E10value_typeEPSI_NS1_7vsmem_tEENKUlT_SG_SH_SI_E_clIPiSA_PsSB_EESF_SV_SG_SH_SI_EUlSV_E0_NS1_11comp_targetILNS1_3genE0ELNS1_11target_archE4294967295ELNS1_3gpuE0ELNS1_3repE0EEENS1_38merge_mergepath_config_static_selectorELNS0_4arch9wavefront6targetE1EEEvSH_.has_recursion, 0
	.set _ZN7rocprim17ROCPRIM_400000_NS6detail17trampoline_kernelINS0_14default_configENS1_38merge_sort_block_merge_config_selectorIisEEZZNS1_27merge_sort_block_merge_implIS3_N6thrust23THRUST_200600_302600_NS10device_ptrIiEENS9_IsEEjNS1_19radix_merge_compareILb0ELb1EiNS0_19identity_decomposerEEEEE10hipError_tT0_T1_T2_jT3_P12ihipStream_tbPNSt15iterator_traitsISG_E10value_typeEPNSM_ISH_E10value_typeEPSI_NS1_7vsmem_tEENKUlT_SG_SH_SI_E_clIPiSA_PsSB_EESF_SV_SG_SH_SI_EUlSV_E0_NS1_11comp_targetILNS1_3genE0ELNS1_11target_archE4294967295ELNS1_3gpuE0ELNS1_3repE0EEENS1_38merge_mergepath_config_static_selectorELNS0_4arch9wavefront6targetE1EEEvSH_.has_indirect_call, 0
	.section	.AMDGPU.csdata,"",@progbits
; Kernel info:
; codeLenInByte = 3192
; TotalNumSgprs: 37
; NumVgprs: 25
; NumAgprs: 0
; TotalNumVgprs: 25
; ScratchSize: 0
; MemoryBound: 0
; FloatMode: 240
; IeeeMode: 1
; LDSByteSize: 4224 bytes/workgroup (compile time only)
; SGPRBlocks: 4
; VGPRBlocks: 3
; NumSGPRsForWavesPerEU: 37
; NumVGPRsForWavesPerEU: 25
; AccumOffset: 28
; Occupancy: 8
; WaveLimiterHint : 1
; COMPUTE_PGM_RSRC2:SCRATCH_EN: 0
; COMPUTE_PGM_RSRC2:USER_SGPR: 2
; COMPUTE_PGM_RSRC2:TRAP_HANDLER: 0
; COMPUTE_PGM_RSRC2:TGID_X_EN: 1
; COMPUTE_PGM_RSRC2:TGID_Y_EN: 1
; COMPUTE_PGM_RSRC2:TGID_Z_EN: 1
; COMPUTE_PGM_RSRC2:TIDIG_COMP_CNT: 0
; COMPUTE_PGM_RSRC3_GFX90A:ACCUM_OFFSET: 6
; COMPUTE_PGM_RSRC3_GFX90A:TG_SPLIT: 0
	.section	.text._ZN7rocprim17ROCPRIM_400000_NS6detail17trampoline_kernelINS0_14default_configENS1_38merge_sort_block_merge_config_selectorIisEEZZNS1_27merge_sort_block_merge_implIS3_N6thrust23THRUST_200600_302600_NS10device_ptrIiEENS9_IsEEjNS1_19radix_merge_compareILb0ELb1EiNS0_19identity_decomposerEEEEE10hipError_tT0_T1_T2_jT3_P12ihipStream_tbPNSt15iterator_traitsISG_E10value_typeEPNSM_ISH_E10value_typeEPSI_NS1_7vsmem_tEENKUlT_SG_SH_SI_E_clIPiSA_PsSB_EESF_SV_SG_SH_SI_EUlSV_E0_NS1_11comp_targetILNS1_3genE10ELNS1_11target_archE1201ELNS1_3gpuE5ELNS1_3repE0EEENS1_38merge_mergepath_config_static_selectorELNS0_4arch9wavefront6targetE1EEEvSH_,"axG",@progbits,_ZN7rocprim17ROCPRIM_400000_NS6detail17trampoline_kernelINS0_14default_configENS1_38merge_sort_block_merge_config_selectorIisEEZZNS1_27merge_sort_block_merge_implIS3_N6thrust23THRUST_200600_302600_NS10device_ptrIiEENS9_IsEEjNS1_19radix_merge_compareILb0ELb1EiNS0_19identity_decomposerEEEEE10hipError_tT0_T1_T2_jT3_P12ihipStream_tbPNSt15iterator_traitsISG_E10value_typeEPNSM_ISH_E10value_typeEPSI_NS1_7vsmem_tEENKUlT_SG_SH_SI_E_clIPiSA_PsSB_EESF_SV_SG_SH_SI_EUlSV_E0_NS1_11comp_targetILNS1_3genE10ELNS1_11target_archE1201ELNS1_3gpuE5ELNS1_3repE0EEENS1_38merge_mergepath_config_static_selectorELNS0_4arch9wavefront6targetE1EEEvSH_,comdat
	.protected	_ZN7rocprim17ROCPRIM_400000_NS6detail17trampoline_kernelINS0_14default_configENS1_38merge_sort_block_merge_config_selectorIisEEZZNS1_27merge_sort_block_merge_implIS3_N6thrust23THRUST_200600_302600_NS10device_ptrIiEENS9_IsEEjNS1_19radix_merge_compareILb0ELb1EiNS0_19identity_decomposerEEEEE10hipError_tT0_T1_T2_jT3_P12ihipStream_tbPNSt15iterator_traitsISG_E10value_typeEPNSM_ISH_E10value_typeEPSI_NS1_7vsmem_tEENKUlT_SG_SH_SI_E_clIPiSA_PsSB_EESF_SV_SG_SH_SI_EUlSV_E0_NS1_11comp_targetILNS1_3genE10ELNS1_11target_archE1201ELNS1_3gpuE5ELNS1_3repE0EEENS1_38merge_mergepath_config_static_selectorELNS0_4arch9wavefront6targetE1EEEvSH_ ; -- Begin function _ZN7rocprim17ROCPRIM_400000_NS6detail17trampoline_kernelINS0_14default_configENS1_38merge_sort_block_merge_config_selectorIisEEZZNS1_27merge_sort_block_merge_implIS3_N6thrust23THRUST_200600_302600_NS10device_ptrIiEENS9_IsEEjNS1_19radix_merge_compareILb0ELb1EiNS0_19identity_decomposerEEEEE10hipError_tT0_T1_T2_jT3_P12ihipStream_tbPNSt15iterator_traitsISG_E10value_typeEPNSM_ISH_E10value_typeEPSI_NS1_7vsmem_tEENKUlT_SG_SH_SI_E_clIPiSA_PsSB_EESF_SV_SG_SH_SI_EUlSV_E0_NS1_11comp_targetILNS1_3genE10ELNS1_11target_archE1201ELNS1_3gpuE5ELNS1_3repE0EEENS1_38merge_mergepath_config_static_selectorELNS0_4arch9wavefront6targetE1EEEvSH_
	.globl	_ZN7rocprim17ROCPRIM_400000_NS6detail17trampoline_kernelINS0_14default_configENS1_38merge_sort_block_merge_config_selectorIisEEZZNS1_27merge_sort_block_merge_implIS3_N6thrust23THRUST_200600_302600_NS10device_ptrIiEENS9_IsEEjNS1_19radix_merge_compareILb0ELb1EiNS0_19identity_decomposerEEEEE10hipError_tT0_T1_T2_jT3_P12ihipStream_tbPNSt15iterator_traitsISG_E10value_typeEPNSM_ISH_E10value_typeEPSI_NS1_7vsmem_tEENKUlT_SG_SH_SI_E_clIPiSA_PsSB_EESF_SV_SG_SH_SI_EUlSV_E0_NS1_11comp_targetILNS1_3genE10ELNS1_11target_archE1201ELNS1_3gpuE5ELNS1_3repE0EEENS1_38merge_mergepath_config_static_selectorELNS0_4arch9wavefront6targetE1EEEvSH_
	.p2align	8
	.type	_ZN7rocprim17ROCPRIM_400000_NS6detail17trampoline_kernelINS0_14default_configENS1_38merge_sort_block_merge_config_selectorIisEEZZNS1_27merge_sort_block_merge_implIS3_N6thrust23THRUST_200600_302600_NS10device_ptrIiEENS9_IsEEjNS1_19radix_merge_compareILb0ELb1EiNS0_19identity_decomposerEEEEE10hipError_tT0_T1_T2_jT3_P12ihipStream_tbPNSt15iterator_traitsISG_E10value_typeEPNSM_ISH_E10value_typeEPSI_NS1_7vsmem_tEENKUlT_SG_SH_SI_E_clIPiSA_PsSB_EESF_SV_SG_SH_SI_EUlSV_E0_NS1_11comp_targetILNS1_3genE10ELNS1_11target_archE1201ELNS1_3gpuE5ELNS1_3repE0EEENS1_38merge_mergepath_config_static_selectorELNS0_4arch9wavefront6targetE1EEEvSH_,@function
_ZN7rocprim17ROCPRIM_400000_NS6detail17trampoline_kernelINS0_14default_configENS1_38merge_sort_block_merge_config_selectorIisEEZZNS1_27merge_sort_block_merge_implIS3_N6thrust23THRUST_200600_302600_NS10device_ptrIiEENS9_IsEEjNS1_19radix_merge_compareILb0ELb1EiNS0_19identity_decomposerEEEEE10hipError_tT0_T1_T2_jT3_P12ihipStream_tbPNSt15iterator_traitsISG_E10value_typeEPNSM_ISH_E10value_typeEPSI_NS1_7vsmem_tEENKUlT_SG_SH_SI_E_clIPiSA_PsSB_EESF_SV_SG_SH_SI_EUlSV_E0_NS1_11comp_targetILNS1_3genE10ELNS1_11target_archE1201ELNS1_3gpuE5ELNS1_3repE0EEENS1_38merge_mergepath_config_static_selectorELNS0_4arch9wavefront6targetE1EEEvSH_: ; @_ZN7rocprim17ROCPRIM_400000_NS6detail17trampoline_kernelINS0_14default_configENS1_38merge_sort_block_merge_config_selectorIisEEZZNS1_27merge_sort_block_merge_implIS3_N6thrust23THRUST_200600_302600_NS10device_ptrIiEENS9_IsEEjNS1_19radix_merge_compareILb0ELb1EiNS0_19identity_decomposerEEEEE10hipError_tT0_T1_T2_jT3_P12ihipStream_tbPNSt15iterator_traitsISG_E10value_typeEPNSM_ISH_E10value_typeEPSI_NS1_7vsmem_tEENKUlT_SG_SH_SI_E_clIPiSA_PsSB_EESF_SV_SG_SH_SI_EUlSV_E0_NS1_11comp_targetILNS1_3genE10ELNS1_11target_archE1201ELNS1_3gpuE5ELNS1_3repE0EEENS1_38merge_mergepath_config_static_selectorELNS0_4arch9wavefront6targetE1EEEvSH_
; %bb.0:
	.section	.rodata,"a",@progbits
	.p2align	6, 0x0
	.amdhsa_kernel _ZN7rocprim17ROCPRIM_400000_NS6detail17trampoline_kernelINS0_14default_configENS1_38merge_sort_block_merge_config_selectorIisEEZZNS1_27merge_sort_block_merge_implIS3_N6thrust23THRUST_200600_302600_NS10device_ptrIiEENS9_IsEEjNS1_19radix_merge_compareILb0ELb1EiNS0_19identity_decomposerEEEEE10hipError_tT0_T1_T2_jT3_P12ihipStream_tbPNSt15iterator_traitsISG_E10value_typeEPNSM_ISH_E10value_typeEPSI_NS1_7vsmem_tEENKUlT_SG_SH_SI_E_clIPiSA_PsSB_EESF_SV_SG_SH_SI_EUlSV_E0_NS1_11comp_targetILNS1_3genE10ELNS1_11target_archE1201ELNS1_3gpuE5ELNS1_3repE0EEENS1_38merge_mergepath_config_static_selectorELNS0_4arch9wavefront6targetE1EEEvSH_
		.amdhsa_group_segment_fixed_size 0
		.amdhsa_private_segment_fixed_size 0
		.amdhsa_kernarg_size 64
		.amdhsa_user_sgpr_count 2
		.amdhsa_user_sgpr_dispatch_ptr 0
		.amdhsa_user_sgpr_queue_ptr 0
		.amdhsa_user_sgpr_kernarg_segment_ptr 1
		.amdhsa_user_sgpr_dispatch_id 0
		.amdhsa_user_sgpr_kernarg_preload_length 0
		.amdhsa_user_sgpr_kernarg_preload_offset 0
		.amdhsa_user_sgpr_private_segment_size 0
		.amdhsa_uses_dynamic_stack 0
		.amdhsa_enable_private_segment 0
		.amdhsa_system_sgpr_workgroup_id_x 1
		.amdhsa_system_sgpr_workgroup_id_y 0
		.amdhsa_system_sgpr_workgroup_id_z 0
		.amdhsa_system_sgpr_workgroup_info 0
		.amdhsa_system_vgpr_workitem_id 0
		.amdhsa_next_free_vgpr 1
		.amdhsa_next_free_sgpr 0
		.amdhsa_accum_offset 4
		.amdhsa_reserve_vcc 0
		.amdhsa_float_round_mode_32 0
		.amdhsa_float_round_mode_16_64 0
		.amdhsa_float_denorm_mode_32 3
		.amdhsa_float_denorm_mode_16_64 3
		.amdhsa_dx10_clamp 1
		.amdhsa_ieee_mode 1
		.amdhsa_fp16_overflow 0
		.amdhsa_tg_split 0
		.amdhsa_exception_fp_ieee_invalid_op 0
		.amdhsa_exception_fp_denorm_src 0
		.amdhsa_exception_fp_ieee_div_zero 0
		.amdhsa_exception_fp_ieee_overflow 0
		.amdhsa_exception_fp_ieee_underflow 0
		.amdhsa_exception_fp_ieee_inexact 0
		.amdhsa_exception_int_div_zero 0
	.end_amdhsa_kernel
	.section	.text._ZN7rocprim17ROCPRIM_400000_NS6detail17trampoline_kernelINS0_14default_configENS1_38merge_sort_block_merge_config_selectorIisEEZZNS1_27merge_sort_block_merge_implIS3_N6thrust23THRUST_200600_302600_NS10device_ptrIiEENS9_IsEEjNS1_19radix_merge_compareILb0ELb1EiNS0_19identity_decomposerEEEEE10hipError_tT0_T1_T2_jT3_P12ihipStream_tbPNSt15iterator_traitsISG_E10value_typeEPNSM_ISH_E10value_typeEPSI_NS1_7vsmem_tEENKUlT_SG_SH_SI_E_clIPiSA_PsSB_EESF_SV_SG_SH_SI_EUlSV_E0_NS1_11comp_targetILNS1_3genE10ELNS1_11target_archE1201ELNS1_3gpuE5ELNS1_3repE0EEENS1_38merge_mergepath_config_static_selectorELNS0_4arch9wavefront6targetE1EEEvSH_,"axG",@progbits,_ZN7rocprim17ROCPRIM_400000_NS6detail17trampoline_kernelINS0_14default_configENS1_38merge_sort_block_merge_config_selectorIisEEZZNS1_27merge_sort_block_merge_implIS3_N6thrust23THRUST_200600_302600_NS10device_ptrIiEENS9_IsEEjNS1_19radix_merge_compareILb0ELb1EiNS0_19identity_decomposerEEEEE10hipError_tT0_T1_T2_jT3_P12ihipStream_tbPNSt15iterator_traitsISG_E10value_typeEPNSM_ISH_E10value_typeEPSI_NS1_7vsmem_tEENKUlT_SG_SH_SI_E_clIPiSA_PsSB_EESF_SV_SG_SH_SI_EUlSV_E0_NS1_11comp_targetILNS1_3genE10ELNS1_11target_archE1201ELNS1_3gpuE5ELNS1_3repE0EEENS1_38merge_mergepath_config_static_selectorELNS0_4arch9wavefront6targetE1EEEvSH_,comdat
.Lfunc_end2365:
	.size	_ZN7rocprim17ROCPRIM_400000_NS6detail17trampoline_kernelINS0_14default_configENS1_38merge_sort_block_merge_config_selectorIisEEZZNS1_27merge_sort_block_merge_implIS3_N6thrust23THRUST_200600_302600_NS10device_ptrIiEENS9_IsEEjNS1_19radix_merge_compareILb0ELb1EiNS0_19identity_decomposerEEEEE10hipError_tT0_T1_T2_jT3_P12ihipStream_tbPNSt15iterator_traitsISG_E10value_typeEPNSM_ISH_E10value_typeEPSI_NS1_7vsmem_tEENKUlT_SG_SH_SI_E_clIPiSA_PsSB_EESF_SV_SG_SH_SI_EUlSV_E0_NS1_11comp_targetILNS1_3genE10ELNS1_11target_archE1201ELNS1_3gpuE5ELNS1_3repE0EEENS1_38merge_mergepath_config_static_selectorELNS0_4arch9wavefront6targetE1EEEvSH_, .Lfunc_end2365-_ZN7rocprim17ROCPRIM_400000_NS6detail17trampoline_kernelINS0_14default_configENS1_38merge_sort_block_merge_config_selectorIisEEZZNS1_27merge_sort_block_merge_implIS3_N6thrust23THRUST_200600_302600_NS10device_ptrIiEENS9_IsEEjNS1_19radix_merge_compareILb0ELb1EiNS0_19identity_decomposerEEEEE10hipError_tT0_T1_T2_jT3_P12ihipStream_tbPNSt15iterator_traitsISG_E10value_typeEPNSM_ISH_E10value_typeEPSI_NS1_7vsmem_tEENKUlT_SG_SH_SI_E_clIPiSA_PsSB_EESF_SV_SG_SH_SI_EUlSV_E0_NS1_11comp_targetILNS1_3genE10ELNS1_11target_archE1201ELNS1_3gpuE5ELNS1_3repE0EEENS1_38merge_mergepath_config_static_selectorELNS0_4arch9wavefront6targetE1EEEvSH_
                                        ; -- End function
	.set _ZN7rocprim17ROCPRIM_400000_NS6detail17trampoline_kernelINS0_14default_configENS1_38merge_sort_block_merge_config_selectorIisEEZZNS1_27merge_sort_block_merge_implIS3_N6thrust23THRUST_200600_302600_NS10device_ptrIiEENS9_IsEEjNS1_19radix_merge_compareILb0ELb1EiNS0_19identity_decomposerEEEEE10hipError_tT0_T1_T2_jT3_P12ihipStream_tbPNSt15iterator_traitsISG_E10value_typeEPNSM_ISH_E10value_typeEPSI_NS1_7vsmem_tEENKUlT_SG_SH_SI_E_clIPiSA_PsSB_EESF_SV_SG_SH_SI_EUlSV_E0_NS1_11comp_targetILNS1_3genE10ELNS1_11target_archE1201ELNS1_3gpuE5ELNS1_3repE0EEENS1_38merge_mergepath_config_static_selectorELNS0_4arch9wavefront6targetE1EEEvSH_.num_vgpr, 0
	.set _ZN7rocprim17ROCPRIM_400000_NS6detail17trampoline_kernelINS0_14default_configENS1_38merge_sort_block_merge_config_selectorIisEEZZNS1_27merge_sort_block_merge_implIS3_N6thrust23THRUST_200600_302600_NS10device_ptrIiEENS9_IsEEjNS1_19radix_merge_compareILb0ELb1EiNS0_19identity_decomposerEEEEE10hipError_tT0_T1_T2_jT3_P12ihipStream_tbPNSt15iterator_traitsISG_E10value_typeEPNSM_ISH_E10value_typeEPSI_NS1_7vsmem_tEENKUlT_SG_SH_SI_E_clIPiSA_PsSB_EESF_SV_SG_SH_SI_EUlSV_E0_NS1_11comp_targetILNS1_3genE10ELNS1_11target_archE1201ELNS1_3gpuE5ELNS1_3repE0EEENS1_38merge_mergepath_config_static_selectorELNS0_4arch9wavefront6targetE1EEEvSH_.num_agpr, 0
	.set _ZN7rocprim17ROCPRIM_400000_NS6detail17trampoline_kernelINS0_14default_configENS1_38merge_sort_block_merge_config_selectorIisEEZZNS1_27merge_sort_block_merge_implIS3_N6thrust23THRUST_200600_302600_NS10device_ptrIiEENS9_IsEEjNS1_19radix_merge_compareILb0ELb1EiNS0_19identity_decomposerEEEEE10hipError_tT0_T1_T2_jT3_P12ihipStream_tbPNSt15iterator_traitsISG_E10value_typeEPNSM_ISH_E10value_typeEPSI_NS1_7vsmem_tEENKUlT_SG_SH_SI_E_clIPiSA_PsSB_EESF_SV_SG_SH_SI_EUlSV_E0_NS1_11comp_targetILNS1_3genE10ELNS1_11target_archE1201ELNS1_3gpuE5ELNS1_3repE0EEENS1_38merge_mergepath_config_static_selectorELNS0_4arch9wavefront6targetE1EEEvSH_.numbered_sgpr, 0
	.set _ZN7rocprim17ROCPRIM_400000_NS6detail17trampoline_kernelINS0_14default_configENS1_38merge_sort_block_merge_config_selectorIisEEZZNS1_27merge_sort_block_merge_implIS3_N6thrust23THRUST_200600_302600_NS10device_ptrIiEENS9_IsEEjNS1_19radix_merge_compareILb0ELb1EiNS0_19identity_decomposerEEEEE10hipError_tT0_T1_T2_jT3_P12ihipStream_tbPNSt15iterator_traitsISG_E10value_typeEPNSM_ISH_E10value_typeEPSI_NS1_7vsmem_tEENKUlT_SG_SH_SI_E_clIPiSA_PsSB_EESF_SV_SG_SH_SI_EUlSV_E0_NS1_11comp_targetILNS1_3genE10ELNS1_11target_archE1201ELNS1_3gpuE5ELNS1_3repE0EEENS1_38merge_mergepath_config_static_selectorELNS0_4arch9wavefront6targetE1EEEvSH_.num_named_barrier, 0
	.set _ZN7rocprim17ROCPRIM_400000_NS6detail17trampoline_kernelINS0_14default_configENS1_38merge_sort_block_merge_config_selectorIisEEZZNS1_27merge_sort_block_merge_implIS3_N6thrust23THRUST_200600_302600_NS10device_ptrIiEENS9_IsEEjNS1_19radix_merge_compareILb0ELb1EiNS0_19identity_decomposerEEEEE10hipError_tT0_T1_T2_jT3_P12ihipStream_tbPNSt15iterator_traitsISG_E10value_typeEPNSM_ISH_E10value_typeEPSI_NS1_7vsmem_tEENKUlT_SG_SH_SI_E_clIPiSA_PsSB_EESF_SV_SG_SH_SI_EUlSV_E0_NS1_11comp_targetILNS1_3genE10ELNS1_11target_archE1201ELNS1_3gpuE5ELNS1_3repE0EEENS1_38merge_mergepath_config_static_selectorELNS0_4arch9wavefront6targetE1EEEvSH_.private_seg_size, 0
	.set _ZN7rocprim17ROCPRIM_400000_NS6detail17trampoline_kernelINS0_14default_configENS1_38merge_sort_block_merge_config_selectorIisEEZZNS1_27merge_sort_block_merge_implIS3_N6thrust23THRUST_200600_302600_NS10device_ptrIiEENS9_IsEEjNS1_19radix_merge_compareILb0ELb1EiNS0_19identity_decomposerEEEEE10hipError_tT0_T1_T2_jT3_P12ihipStream_tbPNSt15iterator_traitsISG_E10value_typeEPNSM_ISH_E10value_typeEPSI_NS1_7vsmem_tEENKUlT_SG_SH_SI_E_clIPiSA_PsSB_EESF_SV_SG_SH_SI_EUlSV_E0_NS1_11comp_targetILNS1_3genE10ELNS1_11target_archE1201ELNS1_3gpuE5ELNS1_3repE0EEENS1_38merge_mergepath_config_static_selectorELNS0_4arch9wavefront6targetE1EEEvSH_.uses_vcc, 0
	.set _ZN7rocprim17ROCPRIM_400000_NS6detail17trampoline_kernelINS0_14default_configENS1_38merge_sort_block_merge_config_selectorIisEEZZNS1_27merge_sort_block_merge_implIS3_N6thrust23THRUST_200600_302600_NS10device_ptrIiEENS9_IsEEjNS1_19radix_merge_compareILb0ELb1EiNS0_19identity_decomposerEEEEE10hipError_tT0_T1_T2_jT3_P12ihipStream_tbPNSt15iterator_traitsISG_E10value_typeEPNSM_ISH_E10value_typeEPSI_NS1_7vsmem_tEENKUlT_SG_SH_SI_E_clIPiSA_PsSB_EESF_SV_SG_SH_SI_EUlSV_E0_NS1_11comp_targetILNS1_3genE10ELNS1_11target_archE1201ELNS1_3gpuE5ELNS1_3repE0EEENS1_38merge_mergepath_config_static_selectorELNS0_4arch9wavefront6targetE1EEEvSH_.uses_flat_scratch, 0
	.set _ZN7rocprim17ROCPRIM_400000_NS6detail17trampoline_kernelINS0_14default_configENS1_38merge_sort_block_merge_config_selectorIisEEZZNS1_27merge_sort_block_merge_implIS3_N6thrust23THRUST_200600_302600_NS10device_ptrIiEENS9_IsEEjNS1_19radix_merge_compareILb0ELb1EiNS0_19identity_decomposerEEEEE10hipError_tT0_T1_T2_jT3_P12ihipStream_tbPNSt15iterator_traitsISG_E10value_typeEPNSM_ISH_E10value_typeEPSI_NS1_7vsmem_tEENKUlT_SG_SH_SI_E_clIPiSA_PsSB_EESF_SV_SG_SH_SI_EUlSV_E0_NS1_11comp_targetILNS1_3genE10ELNS1_11target_archE1201ELNS1_3gpuE5ELNS1_3repE0EEENS1_38merge_mergepath_config_static_selectorELNS0_4arch9wavefront6targetE1EEEvSH_.has_dyn_sized_stack, 0
	.set _ZN7rocprim17ROCPRIM_400000_NS6detail17trampoline_kernelINS0_14default_configENS1_38merge_sort_block_merge_config_selectorIisEEZZNS1_27merge_sort_block_merge_implIS3_N6thrust23THRUST_200600_302600_NS10device_ptrIiEENS9_IsEEjNS1_19radix_merge_compareILb0ELb1EiNS0_19identity_decomposerEEEEE10hipError_tT0_T1_T2_jT3_P12ihipStream_tbPNSt15iterator_traitsISG_E10value_typeEPNSM_ISH_E10value_typeEPSI_NS1_7vsmem_tEENKUlT_SG_SH_SI_E_clIPiSA_PsSB_EESF_SV_SG_SH_SI_EUlSV_E0_NS1_11comp_targetILNS1_3genE10ELNS1_11target_archE1201ELNS1_3gpuE5ELNS1_3repE0EEENS1_38merge_mergepath_config_static_selectorELNS0_4arch9wavefront6targetE1EEEvSH_.has_recursion, 0
	.set _ZN7rocprim17ROCPRIM_400000_NS6detail17trampoline_kernelINS0_14default_configENS1_38merge_sort_block_merge_config_selectorIisEEZZNS1_27merge_sort_block_merge_implIS3_N6thrust23THRUST_200600_302600_NS10device_ptrIiEENS9_IsEEjNS1_19radix_merge_compareILb0ELb1EiNS0_19identity_decomposerEEEEE10hipError_tT0_T1_T2_jT3_P12ihipStream_tbPNSt15iterator_traitsISG_E10value_typeEPNSM_ISH_E10value_typeEPSI_NS1_7vsmem_tEENKUlT_SG_SH_SI_E_clIPiSA_PsSB_EESF_SV_SG_SH_SI_EUlSV_E0_NS1_11comp_targetILNS1_3genE10ELNS1_11target_archE1201ELNS1_3gpuE5ELNS1_3repE0EEENS1_38merge_mergepath_config_static_selectorELNS0_4arch9wavefront6targetE1EEEvSH_.has_indirect_call, 0
	.section	.AMDGPU.csdata,"",@progbits
; Kernel info:
; codeLenInByte = 0
; TotalNumSgprs: 6
; NumVgprs: 0
; NumAgprs: 0
; TotalNumVgprs: 0
; ScratchSize: 0
; MemoryBound: 0
; FloatMode: 240
; IeeeMode: 1
; LDSByteSize: 0 bytes/workgroup (compile time only)
; SGPRBlocks: 0
; VGPRBlocks: 0
; NumSGPRsForWavesPerEU: 6
; NumVGPRsForWavesPerEU: 1
; AccumOffset: 4
; Occupancy: 8
; WaveLimiterHint : 0
; COMPUTE_PGM_RSRC2:SCRATCH_EN: 0
; COMPUTE_PGM_RSRC2:USER_SGPR: 2
; COMPUTE_PGM_RSRC2:TRAP_HANDLER: 0
; COMPUTE_PGM_RSRC2:TGID_X_EN: 1
; COMPUTE_PGM_RSRC2:TGID_Y_EN: 0
; COMPUTE_PGM_RSRC2:TGID_Z_EN: 0
; COMPUTE_PGM_RSRC2:TIDIG_COMP_CNT: 0
; COMPUTE_PGM_RSRC3_GFX90A:ACCUM_OFFSET: 0
; COMPUTE_PGM_RSRC3_GFX90A:TG_SPLIT: 0
	.section	.text._ZN7rocprim17ROCPRIM_400000_NS6detail17trampoline_kernelINS0_14default_configENS1_38merge_sort_block_merge_config_selectorIisEEZZNS1_27merge_sort_block_merge_implIS3_N6thrust23THRUST_200600_302600_NS10device_ptrIiEENS9_IsEEjNS1_19radix_merge_compareILb0ELb1EiNS0_19identity_decomposerEEEEE10hipError_tT0_T1_T2_jT3_P12ihipStream_tbPNSt15iterator_traitsISG_E10value_typeEPNSM_ISH_E10value_typeEPSI_NS1_7vsmem_tEENKUlT_SG_SH_SI_E_clIPiSA_PsSB_EESF_SV_SG_SH_SI_EUlSV_E0_NS1_11comp_targetILNS1_3genE5ELNS1_11target_archE942ELNS1_3gpuE9ELNS1_3repE0EEENS1_38merge_mergepath_config_static_selectorELNS0_4arch9wavefront6targetE1EEEvSH_,"axG",@progbits,_ZN7rocprim17ROCPRIM_400000_NS6detail17trampoline_kernelINS0_14default_configENS1_38merge_sort_block_merge_config_selectorIisEEZZNS1_27merge_sort_block_merge_implIS3_N6thrust23THRUST_200600_302600_NS10device_ptrIiEENS9_IsEEjNS1_19radix_merge_compareILb0ELb1EiNS0_19identity_decomposerEEEEE10hipError_tT0_T1_T2_jT3_P12ihipStream_tbPNSt15iterator_traitsISG_E10value_typeEPNSM_ISH_E10value_typeEPSI_NS1_7vsmem_tEENKUlT_SG_SH_SI_E_clIPiSA_PsSB_EESF_SV_SG_SH_SI_EUlSV_E0_NS1_11comp_targetILNS1_3genE5ELNS1_11target_archE942ELNS1_3gpuE9ELNS1_3repE0EEENS1_38merge_mergepath_config_static_selectorELNS0_4arch9wavefront6targetE1EEEvSH_,comdat
	.protected	_ZN7rocprim17ROCPRIM_400000_NS6detail17trampoline_kernelINS0_14default_configENS1_38merge_sort_block_merge_config_selectorIisEEZZNS1_27merge_sort_block_merge_implIS3_N6thrust23THRUST_200600_302600_NS10device_ptrIiEENS9_IsEEjNS1_19radix_merge_compareILb0ELb1EiNS0_19identity_decomposerEEEEE10hipError_tT0_T1_T2_jT3_P12ihipStream_tbPNSt15iterator_traitsISG_E10value_typeEPNSM_ISH_E10value_typeEPSI_NS1_7vsmem_tEENKUlT_SG_SH_SI_E_clIPiSA_PsSB_EESF_SV_SG_SH_SI_EUlSV_E0_NS1_11comp_targetILNS1_3genE5ELNS1_11target_archE942ELNS1_3gpuE9ELNS1_3repE0EEENS1_38merge_mergepath_config_static_selectorELNS0_4arch9wavefront6targetE1EEEvSH_ ; -- Begin function _ZN7rocprim17ROCPRIM_400000_NS6detail17trampoline_kernelINS0_14default_configENS1_38merge_sort_block_merge_config_selectorIisEEZZNS1_27merge_sort_block_merge_implIS3_N6thrust23THRUST_200600_302600_NS10device_ptrIiEENS9_IsEEjNS1_19radix_merge_compareILb0ELb1EiNS0_19identity_decomposerEEEEE10hipError_tT0_T1_T2_jT3_P12ihipStream_tbPNSt15iterator_traitsISG_E10value_typeEPNSM_ISH_E10value_typeEPSI_NS1_7vsmem_tEENKUlT_SG_SH_SI_E_clIPiSA_PsSB_EESF_SV_SG_SH_SI_EUlSV_E0_NS1_11comp_targetILNS1_3genE5ELNS1_11target_archE942ELNS1_3gpuE9ELNS1_3repE0EEENS1_38merge_mergepath_config_static_selectorELNS0_4arch9wavefront6targetE1EEEvSH_
	.globl	_ZN7rocprim17ROCPRIM_400000_NS6detail17trampoline_kernelINS0_14default_configENS1_38merge_sort_block_merge_config_selectorIisEEZZNS1_27merge_sort_block_merge_implIS3_N6thrust23THRUST_200600_302600_NS10device_ptrIiEENS9_IsEEjNS1_19radix_merge_compareILb0ELb1EiNS0_19identity_decomposerEEEEE10hipError_tT0_T1_T2_jT3_P12ihipStream_tbPNSt15iterator_traitsISG_E10value_typeEPNSM_ISH_E10value_typeEPSI_NS1_7vsmem_tEENKUlT_SG_SH_SI_E_clIPiSA_PsSB_EESF_SV_SG_SH_SI_EUlSV_E0_NS1_11comp_targetILNS1_3genE5ELNS1_11target_archE942ELNS1_3gpuE9ELNS1_3repE0EEENS1_38merge_mergepath_config_static_selectorELNS0_4arch9wavefront6targetE1EEEvSH_
	.p2align	8
	.type	_ZN7rocprim17ROCPRIM_400000_NS6detail17trampoline_kernelINS0_14default_configENS1_38merge_sort_block_merge_config_selectorIisEEZZNS1_27merge_sort_block_merge_implIS3_N6thrust23THRUST_200600_302600_NS10device_ptrIiEENS9_IsEEjNS1_19radix_merge_compareILb0ELb1EiNS0_19identity_decomposerEEEEE10hipError_tT0_T1_T2_jT3_P12ihipStream_tbPNSt15iterator_traitsISG_E10value_typeEPNSM_ISH_E10value_typeEPSI_NS1_7vsmem_tEENKUlT_SG_SH_SI_E_clIPiSA_PsSB_EESF_SV_SG_SH_SI_EUlSV_E0_NS1_11comp_targetILNS1_3genE5ELNS1_11target_archE942ELNS1_3gpuE9ELNS1_3repE0EEENS1_38merge_mergepath_config_static_selectorELNS0_4arch9wavefront6targetE1EEEvSH_,@function
_ZN7rocprim17ROCPRIM_400000_NS6detail17trampoline_kernelINS0_14default_configENS1_38merge_sort_block_merge_config_selectorIisEEZZNS1_27merge_sort_block_merge_implIS3_N6thrust23THRUST_200600_302600_NS10device_ptrIiEENS9_IsEEjNS1_19radix_merge_compareILb0ELb1EiNS0_19identity_decomposerEEEEE10hipError_tT0_T1_T2_jT3_P12ihipStream_tbPNSt15iterator_traitsISG_E10value_typeEPNSM_ISH_E10value_typeEPSI_NS1_7vsmem_tEENKUlT_SG_SH_SI_E_clIPiSA_PsSB_EESF_SV_SG_SH_SI_EUlSV_E0_NS1_11comp_targetILNS1_3genE5ELNS1_11target_archE942ELNS1_3gpuE9ELNS1_3repE0EEENS1_38merge_mergepath_config_static_selectorELNS0_4arch9wavefront6targetE1EEEvSH_: ; @_ZN7rocprim17ROCPRIM_400000_NS6detail17trampoline_kernelINS0_14default_configENS1_38merge_sort_block_merge_config_selectorIisEEZZNS1_27merge_sort_block_merge_implIS3_N6thrust23THRUST_200600_302600_NS10device_ptrIiEENS9_IsEEjNS1_19radix_merge_compareILb0ELb1EiNS0_19identity_decomposerEEEEE10hipError_tT0_T1_T2_jT3_P12ihipStream_tbPNSt15iterator_traitsISG_E10value_typeEPNSM_ISH_E10value_typeEPSI_NS1_7vsmem_tEENKUlT_SG_SH_SI_E_clIPiSA_PsSB_EESF_SV_SG_SH_SI_EUlSV_E0_NS1_11comp_targetILNS1_3genE5ELNS1_11target_archE942ELNS1_3gpuE9ELNS1_3repE0EEENS1_38merge_mergepath_config_static_selectorELNS0_4arch9wavefront6targetE1EEEvSH_
; %bb.0:
	.section	.rodata,"a",@progbits
	.p2align	6, 0x0
	.amdhsa_kernel _ZN7rocprim17ROCPRIM_400000_NS6detail17trampoline_kernelINS0_14default_configENS1_38merge_sort_block_merge_config_selectorIisEEZZNS1_27merge_sort_block_merge_implIS3_N6thrust23THRUST_200600_302600_NS10device_ptrIiEENS9_IsEEjNS1_19radix_merge_compareILb0ELb1EiNS0_19identity_decomposerEEEEE10hipError_tT0_T1_T2_jT3_P12ihipStream_tbPNSt15iterator_traitsISG_E10value_typeEPNSM_ISH_E10value_typeEPSI_NS1_7vsmem_tEENKUlT_SG_SH_SI_E_clIPiSA_PsSB_EESF_SV_SG_SH_SI_EUlSV_E0_NS1_11comp_targetILNS1_3genE5ELNS1_11target_archE942ELNS1_3gpuE9ELNS1_3repE0EEENS1_38merge_mergepath_config_static_selectorELNS0_4arch9wavefront6targetE1EEEvSH_
		.amdhsa_group_segment_fixed_size 0
		.amdhsa_private_segment_fixed_size 0
		.amdhsa_kernarg_size 64
		.amdhsa_user_sgpr_count 2
		.amdhsa_user_sgpr_dispatch_ptr 0
		.amdhsa_user_sgpr_queue_ptr 0
		.amdhsa_user_sgpr_kernarg_segment_ptr 1
		.amdhsa_user_sgpr_dispatch_id 0
		.amdhsa_user_sgpr_kernarg_preload_length 0
		.amdhsa_user_sgpr_kernarg_preload_offset 0
		.amdhsa_user_sgpr_private_segment_size 0
		.amdhsa_uses_dynamic_stack 0
		.amdhsa_enable_private_segment 0
		.amdhsa_system_sgpr_workgroup_id_x 1
		.amdhsa_system_sgpr_workgroup_id_y 0
		.amdhsa_system_sgpr_workgroup_id_z 0
		.amdhsa_system_sgpr_workgroup_info 0
		.amdhsa_system_vgpr_workitem_id 0
		.amdhsa_next_free_vgpr 1
		.amdhsa_next_free_sgpr 0
		.amdhsa_accum_offset 4
		.amdhsa_reserve_vcc 0
		.amdhsa_float_round_mode_32 0
		.amdhsa_float_round_mode_16_64 0
		.amdhsa_float_denorm_mode_32 3
		.amdhsa_float_denorm_mode_16_64 3
		.amdhsa_dx10_clamp 1
		.amdhsa_ieee_mode 1
		.amdhsa_fp16_overflow 0
		.amdhsa_tg_split 0
		.amdhsa_exception_fp_ieee_invalid_op 0
		.amdhsa_exception_fp_denorm_src 0
		.amdhsa_exception_fp_ieee_div_zero 0
		.amdhsa_exception_fp_ieee_overflow 0
		.amdhsa_exception_fp_ieee_underflow 0
		.amdhsa_exception_fp_ieee_inexact 0
		.amdhsa_exception_int_div_zero 0
	.end_amdhsa_kernel
	.section	.text._ZN7rocprim17ROCPRIM_400000_NS6detail17trampoline_kernelINS0_14default_configENS1_38merge_sort_block_merge_config_selectorIisEEZZNS1_27merge_sort_block_merge_implIS3_N6thrust23THRUST_200600_302600_NS10device_ptrIiEENS9_IsEEjNS1_19radix_merge_compareILb0ELb1EiNS0_19identity_decomposerEEEEE10hipError_tT0_T1_T2_jT3_P12ihipStream_tbPNSt15iterator_traitsISG_E10value_typeEPNSM_ISH_E10value_typeEPSI_NS1_7vsmem_tEENKUlT_SG_SH_SI_E_clIPiSA_PsSB_EESF_SV_SG_SH_SI_EUlSV_E0_NS1_11comp_targetILNS1_3genE5ELNS1_11target_archE942ELNS1_3gpuE9ELNS1_3repE0EEENS1_38merge_mergepath_config_static_selectorELNS0_4arch9wavefront6targetE1EEEvSH_,"axG",@progbits,_ZN7rocprim17ROCPRIM_400000_NS6detail17trampoline_kernelINS0_14default_configENS1_38merge_sort_block_merge_config_selectorIisEEZZNS1_27merge_sort_block_merge_implIS3_N6thrust23THRUST_200600_302600_NS10device_ptrIiEENS9_IsEEjNS1_19radix_merge_compareILb0ELb1EiNS0_19identity_decomposerEEEEE10hipError_tT0_T1_T2_jT3_P12ihipStream_tbPNSt15iterator_traitsISG_E10value_typeEPNSM_ISH_E10value_typeEPSI_NS1_7vsmem_tEENKUlT_SG_SH_SI_E_clIPiSA_PsSB_EESF_SV_SG_SH_SI_EUlSV_E0_NS1_11comp_targetILNS1_3genE5ELNS1_11target_archE942ELNS1_3gpuE9ELNS1_3repE0EEENS1_38merge_mergepath_config_static_selectorELNS0_4arch9wavefront6targetE1EEEvSH_,comdat
.Lfunc_end2366:
	.size	_ZN7rocprim17ROCPRIM_400000_NS6detail17trampoline_kernelINS0_14default_configENS1_38merge_sort_block_merge_config_selectorIisEEZZNS1_27merge_sort_block_merge_implIS3_N6thrust23THRUST_200600_302600_NS10device_ptrIiEENS9_IsEEjNS1_19radix_merge_compareILb0ELb1EiNS0_19identity_decomposerEEEEE10hipError_tT0_T1_T2_jT3_P12ihipStream_tbPNSt15iterator_traitsISG_E10value_typeEPNSM_ISH_E10value_typeEPSI_NS1_7vsmem_tEENKUlT_SG_SH_SI_E_clIPiSA_PsSB_EESF_SV_SG_SH_SI_EUlSV_E0_NS1_11comp_targetILNS1_3genE5ELNS1_11target_archE942ELNS1_3gpuE9ELNS1_3repE0EEENS1_38merge_mergepath_config_static_selectorELNS0_4arch9wavefront6targetE1EEEvSH_, .Lfunc_end2366-_ZN7rocprim17ROCPRIM_400000_NS6detail17trampoline_kernelINS0_14default_configENS1_38merge_sort_block_merge_config_selectorIisEEZZNS1_27merge_sort_block_merge_implIS3_N6thrust23THRUST_200600_302600_NS10device_ptrIiEENS9_IsEEjNS1_19radix_merge_compareILb0ELb1EiNS0_19identity_decomposerEEEEE10hipError_tT0_T1_T2_jT3_P12ihipStream_tbPNSt15iterator_traitsISG_E10value_typeEPNSM_ISH_E10value_typeEPSI_NS1_7vsmem_tEENKUlT_SG_SH_SI_E_clIPiSA_PsSB_EESF_SV_SG_SH_SI_EUlSV_E0_NS1_11comp_targetILNS1_3genE5ELNS1_11target_archE942ELNS1_3gpuE9ELNS1_3repE0EEENS1_38merge_mergepath_config_static_selectorELNS0_4arch9wavefront6targetE1EEEvSH_
                                        ; -- End function
	.set _ZN7rocprim17ROCPRIM_400000_NS6detail17trampoline_kernelINS0_14default_configENS1_38merge_sort_block_merge_config_selectorIisEEZZNS1_27merge_sort_block_merge_implIS3_N6thrust23THRUST_200600_302600_NS10device_ptrIiEENS9_IsEEjNS1_19radix_merge_compareILb0ELb1EiNS0_19identity_decomposerEEEEE10hipError_tT0_T1_T2_jT3_P12ihipStream_tbPNSt15iterator_traitsISG_E10value_typeEPNSM_ISH_E10value_typeEPSI_NS1_7vsmem_tEENKUlT_SG_SH_SI_E_clIPiSA_PsSB_EESF_SV_SG_SH_SI_EUlSV_E0_NS1_11comp_targetILNS1_3genE5ELNS1_11target_archE942ELNS1_3gpuE9ELNS1_3repE0EEENS1_38merge_mergepath_config_static_selectorELNS0_4arch9wavefront6targetE1EEEvSH_.num_vgpr, 0
	.set _ZN7rocprim17ROCPRIM_400000_NS6detail17trampoline_kernelINS0_14default_configENS1_38merge_sort_block_merge_config_selectorIisEEZZNS1_27merge_sort_block_merge_implIS3_N6thrust23THRUST_200600_302600_NS10device_ptrIiEENS9_IsEEjNS1_19radix_merge_compareILb0ELb1EiNS0_19identity_decomposerEEEEE10hipError_tT0_T1_T2_jT3_P12ihipStream_tbPNSt15iterator_traitsISG_E10value_typeEPNSM_ISH_E10value_typeEPSI_NS1_7vsmem_tEENKUlT_SG_SH_SI_E_clIPiSA_PsSB_EESF_SV_SG_SH_SI_EUlSV_E0_NS1_11comp_targetILNS1_3genE5ELNS1_11target_archE942ELNS1_3gpuE9ELNS1_3repE0EEENS1_38merge_mergepath_config_static_selectorELNS0_4arch9wavefront6targetE1EEEvSH_.num_agpr, 0
	.set _ZN7rocprim17ROCPRIM_400000_NS6detail17trampoline_kernelINS0_14default_configENS1_38merge_sort_block_merge_config_selectorIisEEZZNS1_27merge_sort_block_merge_implIS3_N6thrust23THRUST_200600_302600_NS10device_ptrIiEENS9_IsEEjNS1_19radix_merge_compareILb0ELb1EiNS0_19identity_decomposerEEEEE10hipError_tT0_T1_T2_jT3_P12ihipStream_tbPNSt15iterator_traitsISG_E10value_typeEPNSM_ISH_E10value_typeEPSI_NS1_7vsmem_tEENKUlT_SG_SH_SI_E_clIPiSA_PsSB_EESF_SV_SG_SH_SI_EUlSV_E0_NS1_11comp_targetILNS1_3genE5ELNS1_11target_archE942ELNS1_3gpuE9ELNS1_3repE0EEENS1_38merge_mergepath_config_static_selectorELNS0_4arch9wavefront6targetE1EEEvSH_.numbered_sgpr, 0
	.set _ZN7rocprim17ROCPRIM_400000_NS6detail17trampoline_kernelINS0_14default_configENS1_38merge_sort_block_merge_config_selectorIisEEZZNS1_27merge_sort_block_merge_implIS3_N6thrust23THRUST_200600_302600_NS10device_ptrIiEENS9_IsEEjNS1_19radix_merge_compareILb0ELb1EiNS0_19identity_decomposerEEEEE10hipError_tT0_T1_T2_jT3_P12ihipStream_tbPNSt15iterator_traitsISG_E10value_typeEPNSM_ISH_E10value_typeEPSI_NS1_7vsmem_tEENKUlT_SG_SH_SI_E_clIPiSA_PsSB_EESF_SV_SG_SH_SI_EUlSV_E0_NS1_11comp_targetILNS1_3genE5ELNS1_11target_archE942ELNS1_3gpuE9ELNS1_3repE0EEENS1_38merge_mergepath_config_static_selectorELNS0_4arch9wavefront6targetE1EEEvSH_.num_named_barrier, 0
	.set _ZN7rocprim17ROCPRIM_400000_NS6detail17trampoline_kernelINS0_14default_configENS1_38merge_sort_block_merge_config_selectorIisEEZZNS1_27merge_sort_block_merge_implIS3_N6thrust23THRUST_200600_302600_NS10device_ptrIiEENS9_IsEEjNS1_19radix_merge_compareILb0ELb1EiNS0_19identity_decomposerEEEEE10hipError_tT0_T1_T2_jT3_P12ihipStream_tbPNSt15iterator_traitsISG_E10value_typeEPNSM_ISH_E10value_typeEPSI_NS1_7vsmem_tEENKUlT_SG_SH_SI_E_clIPiSA_PsSB_EESF_SV_SG_SH_SI_EUlSV_E0_NS1_11comp_targetILNS1_3genE5ELNS1_11target_archE942ELNS1_3gpuE9ELNS1_3repE0EEENS1_38merge_mergepath_config_static_selectorELNS0_4arch9wavefront6targetE1EEEvSH_.private_seg_size, 0
	.set _ZN7rocprim17ROCPRIM_400000_NS6detail17trampoline_kernelINS0_14default_configENS1_38merge_sort_block_merge_config_selectorIisEEZZNS1_27merge_sort_block_merge_implIS3_N6thrust23THRUST_200600_302600_NS10device_ptrIiEENS9_IsEEjNS1_19radix_merge_compareILb0ELb1EiNS0_19identity_decomposerEEEEE10hipError_tT0_T1_T2_jT3_P12ihipStream_tbPNSt15iterator_traitsISG_E10value_typeEPNSM_ISH_E10value_typeEPSI_NS1_7vsmem_tEENKUlT_SG_SH_SI_E_clIPiSA_PsSB_EESF_SV_SG_SH_SI_EUlSV_E0_NS1_11comp_targetILNS1_3genE5ELNS1_11target_archE942ELNS1_3gpuE9ELNS1_3repE0EEENS1_38merge_mergepath_config_static_selectorELNS0_4arch9wavefront6targetE1EEEvSH_.uses_vcc, 0
	.set _ZN7rocprim17ROCPRIM_400000_NS6detail17trampoline_kernelINS0_14default_configENS1_38merge_sort_block_merge_config_selectorIisEEZZNS1_27merge_sort_block_merge_implIS3_N6thrust23THRUST_200600_302600_NS10device_ptrIiEENS9_IsEEjNS1_19radix_merge_compareILb0ELb1EiNS0_19identity_decomposerEEEEE10hipError_tT0_T1_T2_jT3_P12ihipStream_tbPNSt15iterator_traitsISG_E10value_typeEPNSM_ISH_E10value_typeEPSI_NS1_7vsmem_tEENKUlT_SG_SH_SI_E_clIPiSA_PsSB_EESF_SV_SG_SH_SI_EUlSV_E0_NS1_11comp_targetILNS1_3genE5ELNS1_11target_archE942ELNS1_3gpuE9ELNS1_3repE0EEENS1_38merge_mergepath_config_static_selectorELNS0_4arch9wavefront6targetE1EEEvSH_.uses_flat_scratch, 0
	.set _ZN7rocprim17ROCPRIM_400000_NS6detail17trampoline_kernelINS0_14default_configENS1_38merge_sort_block_merge_config_selectorIisEEZZNS1_27merge_sort_block_merge_implIS3_N6thrust23THRUST_200600_302600_NS10device_ptrIiEENS9_IsEEjNS1_19radix_merge_compareILb0ELb1EiNS0_19identity_decomposerEEEEE10hipError_tT0_T1_T2_jT3_P12ihipStream_tbPNSt15iterator_traitsISG_E10value_typeEPNSM_ISH_E10value_typeEPSI_NS1_7vsmem_tEENKUlT_SG_SH_SI_E_clIPiSA_PsSB_EESF_SV_SG_SH_SI_EUlSV_E0_NS1_11comp_targetILNS1_3genE5ELNS1_11target_archE942ELNS1_3gpuE9ELNS1_3repE0EEENS1_38merge_mergepath_config_static_selectorELNS0_4arch9wavefront6targetE1EEEvSH_.has_dyn_sized_stack, 0
	.set _ZN7rocprim17ROCPRIM_400000_NS6detail17trampoline_kernelINS0_14default_configENS1_38merge_sort_block_merge_config_selectorIisEEZZNS1_27merge_sort_block_merge_implIS3_N6thrust23THRUST_200600_302600_NS10device_ptrIiEENS9_IsEEjNS1_19radix_merge_compareILb0ELb1EiNS0_19identity_decomposerEEEEE10hipError_tT0_T1_T2_jT3_P12ihipStream_tbPNSt15iterator_traitsISG_E10value_typeEPNSM_ISH_E10value_typeEPSI_NS1_7vsmem_tEENKUlT_SG_SH_SI_E_clIPiSA_PsSB_EESF_SV_SG_SH_SI_EUlSV_E0_NS1_11comp_targetILNS1_3genE5ELNS1_11target_archE942ELNS1_3gpuE9ELNS1_3repE0EEENS1_38merge_mergepath_config_static_selectorELNS0_4arch9wavefront6targetE1EEEvSH_.has_recursion, 0
	.set _ZN7rocprim17ROCPRIM_400000_NS6detail17trampoline_kernelINS0_14default_configENS1_38merge_sort_block_merge_config_selectorIisEEZZNS1_27merge_sort_block_merge_implIS3_N6thrust23THRUST_200600_302600_NS10device_ptrIiEENS9_IsEEjNS1_19radix_merge_compareILb0ELb1EiNS0_19identity_decomposerEEEEE10hipError_tT0_T1_T2_jT3_P12ihipStream_tbPNSt15iterator_traitsISG_E10value_typeEPNSM_ISH_E10value_typeEPSI_NS1_7vsmem_tEENKUlT_SG_SH_SI_E_clIPiSA_PsSB_EESF_SV_SG_SH_SI_EUlSV_E0_NS1_11comp_targetILNS1_3genE5ELNS1_11target_archE942ELNS1_3gpuE9ELNS1_3repE0EEENS1_38merge_mergepath_config_static_selectorELNS0_4arch9wavefront6targetE1EEEvSH_.has_indirect_call, 0
	.section	.AMDGPU.csdata,"",@progbits
; Kernel info:
; codeLenInByte = 0
; TotalNumSgprs: 6
; NumVgprs: 0
; NumAgprs: 0
; TotalNumVgprs: 0
; ScratchSize: 0
; MemoryBound: 0
; FloatMode: 240
; IeeeMode: 1
; LDSByteSize: 0 bytes/workgroup (compile time only)
; SGPRBlocks: 0
; VGPRBlocks: 0
; NumSGPRsForWavesPerEU: 6
; NumVGPRsForWavesPerEU: 1
; AccumOffset: 4
; Occupancy: 8
; WaveLimiterHint : 0
; COMPUTE_PGM_RSRC2:SCRATCH_EN: 0
; COMPUTE_PGM_RSRC2:USER_SGPR: 2
; COMPUTE_PGM_RSRC2:TRAP_HANDLER: 0
; COMPUTE_PGM_RSRC2:TGID_X_EN: 1
; COMPUTE_PGM_RSRC2:TGID_Y_EN: 0
; COMPUTE_PGM_RSRC2:TGID_Z_EN: 0
; COMPUTE_PGM_RSRC2:TIDIG_COMP_CNT: 0
; COMPUTE_PGM_RSRC3_GFX90A:ACCUM_OFFSET: 0
; COMPUTE_PGM_RSRC3_GFX90A:TG_SPLIT: 0
	.section	.text._ZN7rocprim17ROCPRIM_400000_NS6detail17trampoline_kernelINS0_14default_configENS1_38merge_sort_block_merge_config_selectorIisEEZZNS1_27merge_sort_block_merge_implIS3_N6thrust23THRUST_200600_302600_NS10device_ptrIiEENS9_IsEEjNS1_19radix_merge_compareILb0ELb1EiNS0_19identity_decomposerEEEEE10hipError_tT0_T1_T2_jT3_P12ihipStream_tbPNSt15iterator_traitsISG_E10value_typeEPNSM_ISH_E10value_typeEPSI_NS1_7vsmem_tEENKUlT_SG_SH_SI_E_clIPiSA_PsSB_EESF_SV_SG_SH_SI_EUlSV_E0_NS1_11comp_targetILNS1_3genE4ELNS1_11target_archE910ELNS1_3gpuE8ELNS1_3repE0EEENS1_38merge_mergepath_config_static_selectorELNS0_4arch9wavefront6targetE1EEEvSH_,"axG",@progbits,_ZN7rocprim17ROCPRIM_400000_NS6detail17trampoline_kernelINS0_14default_configENS1_38merge_sort_block_merge_config_selectorIisEEZZNS1_27merge_sort_block_merge_implIS3_N6thrust23THRUST_200600_302600_NS10device_ptrIiEENS9_IsEEjNS1_19radix_merge_compareILb0ELb1EiNS0_19identity_decomposerEEEEE10hipError_tT0_T1_T2_jT3_P12ihipStream_tbPNSt15iterator_traitsISG_E10value_typeEPNSM_ISH_E10value_typeEPSI_NS1_7vsmem_tEENKUlT_SG_SH_SI_E_clIPiSA_PsSB_EESF_SV_SG_SH_SI_EUlSV_E0_NS1_11comp_targetILNS1_3genE4ELNS1_11target_archE910ELNS1_3gpuE8ELNS1_3repE0EEENS1_38merge_mergepath_config_static_selectorELNS0_4arch9wavefront6targetE1EEEvSH_,comdat
	.protected	_ZN7rocprim17ROCPRIM_400000_NS6detail17trampoline_kernelINS0_14default_configENS1_38merge_sort_block_merge_config_selectorIisEEZZNS1_27merge_sort_block_merge_implIS3_N6thrust23THRUST_200600_302600_NS10device_ptrIiEENS9_IsEEjNS1_19radix_merge_compareILb0ELb1EiNS0_19identity_decomposerEEEEE10hipError_tT0_T1_T2_jT3_P12ihipStream_tbPNSt15iterator_traitsISG_E10value_typeEPNSM_ISH_E10value_typeEPSI_NS1_7vsmem_tEENKUlT_SG_SH_SI_E_clIPiSA_PsSB_EESF_SV_SG_SH_SI_EUlSV_E0_NS1_11comp_targetILNS1_3genE4ELNS1_11target_archE910ELNS1_3gpuE8ELNS1_3repE0EEENS1_38merge_mergepath_config_static_selectorELNS0_4arch9wavefront6targetE1EEEvSH_ ; -- Begin function _ZN7rocprim17ROCPRIM_400000_NS6detail17trampoline_kernelINS0_14default_configENS1_38merge_sort_block_merge_config_selectorIisEEZZNS1_27merge_sort_block_merge_implIS3_N6thrust23THRUST_200600_302600_NS10device_ptrIiEENS9_IsEEjNS1_19radix_merge_compareILb0ELb1EiNS0_19identity_decomposerEEEEE10hipError_tT0_T1_T2_jT3_P12ihipStream_tbPNSt15iterator_traitsISG_E10value_typeEPNSM_ISH_E10value_typeEPSI_NS1_7vsmem_tEENKUlT_SG_SH_SI_E_clIPiSA_PsSB_EESF_SV_SG_SH_SI_EUlSV_E0_NS1_11comp_targetILNS1_3genE4ELNS1_11target_archE910ELNS1_3gpuE8ELNS1_3repE0EEENS1_38merge_mergepath_config_static_selectorELNS0_4arch9wavefront6targetE1EEEvSH_
	.globl	_ZN7rocprim17ROCPRIM_400000_NS6detail17trampoline_kernelINS0_14default_configENS1_38merge_sort_block_merge_config_selectorIisEEZZNS1_27merge_sort_block_merge_implIS3_N6thrust23THRUST_200600_302600_NS10device_ptrIiEENS9_IsEEjNS1_19radix_merge_compareILb0ELb1EiNS0_19identity_decomposerEEEEE10hipError_tT0_T1_T2_jT3_P12ihipStream_tbPNSt15iterator_traitsISG_E10value_typeEPNSM_ISH_E10value_typeEPSI_NS1_7vsmem_tEENKUlT_SG_SH_SI_E_clIPiSA_PsSB_EESF_SV_SG_SH_SI_EUlSV_E0_NS1_11comp_targetILNS1_3genE4ELNS1_11target_archE910ELNS1_3gpuE8ELNS1_3repE0EEENS1_38merge_mergepath_config_static_selectorELNS0_4arch9wavefront6targetE1EEEvSH_
	.p2align	8
	.type	_ZN7rocprim17ROCPRIM_400000_NS6detail17trampoline_kernelINS0_14default_configENS1_38merge_sort_block_merge_config_selectorIisEEZZNS1_27merge_sort_block_merge_implIS3_N6thrust23THRUST_200600_302600_NS10device_ptrIiEENS9_IsEEjNS1_19radix_merge_compareILb0ELb1EiNS0_19identity_decomposerEEEEE10hipError_tT0_T1_T2_jT3_P12ihipStream_tbPNSt15iterator_traitsISG_E10value_typeEPNSM_ISH_E10value_typeEPSI_NS1_7vsmem_tEENKUlT_SG_SH_SI_E_clIPiSA_PsSB_EESF_SV_SG_SH_SI_EUlSV_E0_NS1_11comp_targetILNS1_3genE4ELNS1_11target_archE910ELNS1_3gpuE8ELNS1_3repE0EEENS1_38merge_mergepath_config_static_selectorELNS0_4arch9wavefront6targetE1EEEvSH_,@function
_ZN7rocprim17ROCPRIM_400000_NS6detail17trampoline_kernelINS0_14default_configENS1_38merge_sort_block_merge_config_selectorIisEEZZNS1_27merge_sort_block_merge_implIS3_N6thrust23THRUST_200600_302600_NS10device_ptrIiEENS9_IsEEjNS1_19radix_merge_compareILb0ELb1EiNS0_19identity_decomposerEEEEE10hipError_tT0_T1_T2_jT3_P12ihipStream_tbPNSt15iterator_traitsISG_E10value_typeEPNSM_ISH_E10value_typeEPSI_NS1_7vsmem_tEENKUlT_SG_SH_SI_E_clIPiSA_PsSB_EESF_SV_SG_SH_SI_EUlSV_E0_NS1_11comp_targetILNS1_3genE4ELNS1_11target_archE910ELNS1_3gpuE8ELNS1_3repE0EEENS1_38merge_mergepath_config_static_selectorELNS0_4arch9wavefront6targetE1EEEvSH_: ; @_ZN7rocprim17ROCPRIM_400000_NS6detail17trampoline_kernelINS0_14default_configENS1_38merge_sort_block_merge_config_selectorIisEEZZNS1_27merge_sort_block_merge_implIS3_N6thrust23THRUST_200600_302600_NS10device_ptrIiEENS9_IsEEjNS1_19radix_merge_compareILb0ELb1EiNS0_19identity_decomposerEEEEE10hipError_tT0_T1_T2_jT3_P12ihipStream_tbPNSt15iterator_traitsISG_E10value_typeEPNSM_ISH_E10value_typeEPSI_NS1_7vsmem_tEENKUlT_SG_SH_SI_E_clIPiSA_PsSB_EESF_SV_SG_SH_SI_EUlSV_E0_NS1_11comp_targetILNS1_3genE4ELNS1_11target_archE910ELNS1_3gpuE8ELNS1_3repE0EEENS1_38merge_mergepath_config_static_selectorELNS0_4arch9wavefront6targetE1EEEvSH_
; %bb.0:
	.section	.rodata,"a",@progbits
	.p2align	6, 0x0
	.amdhsa_kernel _ZN7rocprim17ROCPRIM_400000_NS6detail17trampoline_kernelINS0_14default_configENS1_38merge_sort_block_merge_config_selectorIisEEZZNS1_27merge_sort_block_merge_implIS3_N6thrust23THRUST_200600_302600_NS10device_ptrIiEENS9_IsEEjNS1_19radix_merge_compareILb0ELb1EiNS0_19identity_decomposerEEEEE10hipError_tT0_T1_T2_jT3_P12ihipStream_tbPNSt15iterator_traitsISG_E10value_typeEPNSM_ISH_E10value_typeEPSI_NS1_7vsmem_tEENKUlT_SG_SH_SI_E_clIPiSA_PsSB_EESF_SV_SG_SH_SI_EUlSV_E0_NS1_11comp_targetILNS1_3genE4ELNS1_11target_archE910ELNS1_3gpuE8ELNS1_3repE0EEENS1_38merge_mergepath_config_static_selectorELNS0_4arch9wavefront6targetE1EEEvSH_
		.amdhsa_group_segment_fixed_size 0
		.amdhsa_private_segment_fixed_size 0
		.amdhsa_kernarg_size 64
		.amdhsa_user_sgpr_count 2
		.amdhsa_user_sgpr_dispatch_ptr 0
		.amdhsa_user_sgpr_queue_ptr 0
		.amdhsa_user_sgpr_kernarg_segment_ptr 1
		.amdhsa_user_sgpr_dispatch_id 0
		.amdhsa_user_sgpr_kernarg_preload_length 0
		.amdhsa_user_sgpr_kernarg_preload_offset 0
		.amdhsa_user_sgpr_private_segment_size 0
		.amdhsa_uses_dynamic_stack 0
		.amdhsa_enable_private_segment 0
		.amdhsa_system_sgpr_workgroup_id_x 1
		.amdhsa_system_sgpr_workgroup_id_y 0
		.amdhsa_system_sgpr_workgroup_id_z 0
		.amdhsa_system_sgpr_workgroup_info 0
		.amdhsa_system_vgpr_workitem_id 0
		.amdhsa_next_free_vgpr 1
		.amdhsa_next_free_sgpr 0
		.amdhsa_accum_offset 4
		.amdhsa_reserve_vcc 0
		.amdhsa_float_round_mode_32 0
		.amdhsa_float_round_mode_16_64 0
		.amdhsa_float_denorm_mode_32 3
		.amdhsa_float_denorm_mode_16_64 3
		.amdhsa_dx10_clamp 1
		.amdhsa_ieee_mode 1
		.amdhsa_fp16_overflow 0
		.amdhsa_tg_split 0
		.amdhsa_exception_fp_ieee_invalid_op 0
		.amdhsa_exception_fp_denorm_src 0
		.amdhsa_exception_fp_ieee_div_zero 0
		.amdhsa_exception_fp_ieee_overflow 0
		.amdhsa_exception_fp_ieee_underflow 0
		.amdhsa_exception_fp_ieee_inexact 0
		.amdhsa_exception_int_div_zero 0
	.end_amdhsa_kernel
	.section	.text._ZN7rocprim17ROCPRIM_400000_NS6detail17trampoline_kernelINS0_14default_configENS1_38merge_sort_block_merge_config_selectorIisEEZZNS1_27merge_sort_block_merge_implIS3_N6thrust23THRUST_200600_302600_NS10device_ptrIiEENS9_IsEEjNS1_19radix_merge_compareILb0ELb1EiNS0_19identity_decomposerEEEEE10hipError_tT0_T1_T2_jT3_P12ihipStream_tbPNSt15iterator_traitsISG_E10value_typeEPNSM_ISH_E10value_typeEPSI_NS1_7vsmem_tEENKUlT_SG_SH_SI_E_clIPiSA_PsSB_EESF_SV_SG_SH_SI_EUlSV_E0_NS1_11comp_targetILNS1_3genE4ELNS1_11target_archE910ELNS1_3gpuE8ELNS1_3repE0EEENS1_38merge_mergepath_config_static_selectorELNS0_4arch9wavefront6targetE1EEEvSH_,"axG",@progbits,_ZN7rocprim17ROCPRIM_400000_NS6detail17trampoline_kernelINS0_14default_configENS1_38merge_sort_block_merge_config_selectorIisEEZZNS1_27merge_sort_block_merge_implIS3_N6thrust23THRUST_200600_302600_NS10device_ptrIiEENS9_IsEEjNS1_19radix_merge_compareILb0ELb1EiNS0_19identity_decomposerEEEEE10hipError_tT0_T1_T2_jT3_P12ihipStream_tbPNSt15iterator_traitsISG_E10value_typeEPNSM_ISH_E10value_typeEPSI_NS1_7vsmem_tEENKUlT_SG_SH_SI_E_clIPiSA_PsSB_EESF_SV_SG_SH_SI_EUlSV_E0_NS1_11comp_targetILNS1_3genE4ELNS1_11target_archE910ELNS1_3gpuE8ELNS1_3repE0EEENS1_38merge_mergepath_config_static_selectorELNS0_4arch9wavefront6targetE1EEEvSH_,comdat
.Lfunc_end2367:
	.size	_ZN7rocprim17ROCPRIM_400000_NS6detail17trampoline_kernelINS0_14default_configENS1_38merge_sort_block_merge_config_selectorIisEEZZNS1_27merge_sort_block_merge_implIS3_N6thrust23THRUST_200600_302600_NS10device_ptrIiEENS9_IsEEjNS1_19radix_merge_compareILb0ELb1EiNS0_19identity_decomposerEEEEE10hipError_tT0_T1_T2_jT3_P12ihipStream_tbPNSt15iterator_traitsISG_E10value_typeEPNSM_ISH_E10value_typeEPSI_NS1_7vsmem_tEENKUlT_SG_SH_SI_E_clIPiSA_PsSB_EESF_SV_SG_SH_SI_EUlSV_E0_NS1_11comp_targetILNS1_3genE4ELNS1_11target_archE910ELNS1_3gpuE8ELNS1_3repE0EEENS1_38merge_mergepath_config_static_selectorELNS0_4arch9wavefront6targetE1EEEvSH_, .Lfunc_end2367-_ZN7rocprim17ROCPRIM_400000_NS6detail17trampoline_kernelINS0_14default_configENS1_38merge_sort_block_merge_config_selectorIisEEZZNS1_27merge_sort_block_merge_implIS3_N6thrust23THRUST_200600_302600_NS10device_ptrIiEENS9_IsEEjNS1_19radix_merge_compareILb0ELb1EiNS0_19identity_decomposerEEEEE10hipError_tT0_T1_T2_jT3_P12ihipStream_tbPNSt15iterator_traitsISG_E10value_typeEPNSM_ISH_E10value_typeEPSI_NS1_7vsmem_tEENKUlT_SG_SH_SI_E_clIPiSA_PsSB_EESF_SV_SG_SH_SI_EUlSV_E0_NS1_11comp_targetILNS1_3genE4ELNS1_11target_archE910ELNS1_3gpuE8ELNS1_3repE0EEENS1_38merge_mergepath_config_static_selectorELNS0_4arch9wavefront6targetE1EEEvSH_
                                        ; -- End function
	.set _ZN7rocprim17ROCPRIM_400000_NS6detail17trampoline_kernelINS0_14default_configENS1_38merge_sort_block_merge_config_selectorIisEEZZNS1_27merge_sort_block_merge_implIS3_N6thrust23THRUST_200600_302600_NS10device_ptrIiEENS9_IsEEjNS1_19radix_merge_compareILb0ELb1EiNS0_19identity_decomposerEEEEE10hipError_tT0_T1_T2_jT3_P12ihipStream_tbPNSt15iterator_traitsISG_E10value_typeEPNSM_ISH_E10value_typeEPSI_NS1_7vsmem_tEENKUlT_SG_SH_SI_E_clIPiSA_PsSB_EESF_SV_SG_SH_SI_EUlSV_E0_NS1_11comp_targetILNS1_3genE4ELNS1_11target_archE910ELNS1_3gpuE8ELNS1_3repE0EEENS1_38merge_mergepath_config_static_selectorELNS0_4arch9wavefront6targetE1EEEvSH_.num_vgpr, 0
	.set _ZN7rocprim17ROCPRIM_400000_NS6detail17trampoline_kernelINS0_14default_configENS1_38merge_sort_block_merge_config_selectorIisEEZZNS1_27merge_sort_block_merge_implIS3_N6thrust23THRUST_200600_302600_NS10device_ptrIiEENS9_IsEEjNS1_19radix_merge_compareILb0ELb1EiNS0_19identity_decomposerEEEEE10hipError_tT0_T1_T2_jT3_P12ihipStream_tbPNSt15iterator_traitsISG_E10value_typeEPNSM_ISH_E10value_typeEPSI_NS1_7vsmem_tEENKUlT_SG_SH_SI_E_clIPiSA_PsSB_EESF_SV_SG_SH_SI_EUlSV_E0_NS1_11comp_targetILNS1_3genE4ELNS1_11target_archE910ELNS1_3gpuE8ELNS1_3repE0EEENS1_38merge_mergepath_config_static_selectorELNS0_4arch9wavefront6targetE1EEEvSH_.num_agpr, 0
	.set _ZN7rocprim17ROCPRIM_400000_NS6detail17trampoline_kernelINS0_14default_configENS1_38merge_sort_block_merge_config_selectorIisEEZZNS1_27merge_sort_block_merge_implIS3_N6thrust23THRUST_200600_302600_NS10device_ptrIiEENS9_IsEEjNS1_19radix_merge_compareILb0ELb1EiNS0_19identity_decomposerEEEEE10hipError_tT0_T1_T2_jT3_P12ihipStream_tbPNSt15iterator_traitsISG_E10value_typeEPNSM_ISH_E10value_typeEPSI_NS1_7vsmem_tEENKUlT_SG_SH_SI_E_clIPiSA_PsSB_EESF_SV_SG_SH_SI_EUlSV_E0_NS1_11comp_targetILNS1_3genE4ELNS1_11target_archE910ELNS1_3gpuE8ELNS1_3repE0EEENS1_38merge_mergepath_config_static_selectorELNS0_4arch9wavefront6targetE1EEEvSH_.numbered_sgpr, 0
	.set _ZN7rocprim17ROCPRIM_400000_NS6detail17trampoline_kernelINS0_14default_configENS1_38merge_sort_block_merge_config_selectorIisEEZZNS1_27merge_sort_block_merge_implIS3_N6thrust23THRUST_200600_302600_NS10device_ptrIiEENS9_IsEEjNS1_19radix_merge_compareILb0ELb1EiNS0_19identity_decomposerEEEEE10hipError_tT0_T1_T2_jT3_P12ihipStream_tbPNSt15iterator_traitsISG_E10value_typeEPNSM_ISH_E10value_typeEPSI_NS1_7vsmem_tEENKUlT_SG_SH_SI_E_clIPiSA_PsSB_EESF_SV_SG_SH_SI_EUlSV_E0_NS1_11comp_targetILNS1_3genE4ELNS1_11target_archE910ELNS1_3gpuE8ELNS1_3repE0EEENS1_38merge_mergepath_config_static_selectorELNS0_4arch9wavefront6targetE1EEEvSH_.num_named_barrier, 0
	.set _ZN7rocprim17ROCPRIM_400000_NS6detail17trampoline_kernelINS0_14default_configENS1_38merge_sort_block_merge_config_selectorIisEEZZNS1_27merge_sort_block_merge_implIS3_N6thrust23THRUST_200600_302600_NS10device_ptrIiEENS9_IsEEjNS1_19radix_merge_compareILb0ELb1EiNS0_19identity_decomposerEEEEE10hipError_tT0_T1_T2_jT3_P12ihipStream_tbPNSt15iterator_traitsISG_E10value_typeEPNSM_ISH_E10value_typeEPSI_NS1_7vsmem_tEENKUlT_SG_SH_SI_E_clIPiSA_PsSB_EESF_SV_SG_SH_SI_EUlSV_E0_NS1_11comp_targetILNS1_3genE4ELNS1_11target_archE910ELNS1_3gpuE8ELNS1_3repE0EEENS1_38merge_mergepath_config_static_selectorELNS0_4arch9wavefront6targetE1EEEvSH_.private_seg_size, 0
	.set _ZN7rocprim17ROCPRIM_400000_NS6detail17trampoline_kernelINS0_14default_configENS1_38merge_sort_block_merge_config_selectorIisEEZZNS1_27merge_sort_block_merge_implIS3_N6thrust23THRUST_200600_302600_NS10device_ptrIiEENS9_IsEEjNS1_19radix_merge_compareILb0ELb1EiNS0_19identity_decomposerEEEEE10hipError_tT0_T1_T2_jT3_P12ihipStream_tbPNSt15iterator_traitsISG_E10value_typeEPNSM_ISH_E10value_typeEPSI_NS1_7vsmem_tEENKUlT_SG_SH_SI_E_clIPiSA_PsSB_EESF_SV_SG_SH_SI_EUlSV_E0_NS1_11comp_targetILNS1_3genE4ELNS1_11target_archE910ELNS1_3gpuE8ELNS1_3repE0EEENS1_38merge_mergepath_config_static_selectorELNS0_4arch9wavefront6targetE1EEEvSH_.uses_vcc, 0
	.set _ZN7rocprim17ROCPRIM_400000_NS6detail17trampoline_kernelINS0_14default_configENS1_38merge_sort_block_merge_config_selectorIisEEZZNS1_27merge_sort_block_merge_implIS3_N6thrust23THRUST_200600_302600_NS10device_ptrIiEENS9_IsEEjNS1_19radix_merge_compareILb0ELb1EiNS0_19identity_decomposerEEEEE10hipError_tT0_T1_T2_jT3_P12ihipStream_tbPNSt15iterator_traitsISG_E10value_typeEPNSM_ISH_E10value_typeEPSI_NS1_7vsmem_tEENKUlT_SG_SH_SI_E_clIPiSA_PsSB_EESF_SV_SG_SH_SI_EUlSV_E0_NS1_11comp_targetILNS1_3genE4ELNS1_11target_archE910ELNS1_3gpuE8ELNS1_3repE0EEENS1_38merge_mergepath_config_static_selectorELNS0_4arch9wavefront6targetE1EEEvSH_.uses_flat_scratch, 0
	.set _ZN7rocprim17ROCPRIM_400000_NS6detail17trampoline_kernelINS0_14default_configENS1_38merge_sort_block_merge_config_selectorIisEEZZNS1_27merge_sort_block_merge_implIS3_N6thrust23THRUST_200600_302600_NS10device_ptrIiEENS9_IsEEjNS1_19radix_merge_compareILb0ELb1EiNS0_19identity_decomposerEEEEE10hipError_tT0_T1_T2_jT3_P12ihipStream_tbPNSt15iterator_traitsISG_E10value_typeEPNSM_ISH_E10value_typeEPSI_NS1_7vsmem_tEENKUlT_SG_SH_SI_E_clIPiSA_PsSB_EESF_SV_SG_SH_SI_EUlSV_E0_NS1_11comp_targetILNS1_3genE4ELNS1_11target_archE910ELNS1_3gpuE8ELNS1_3repE0EEENS1_38merge_mergepath_config_static_selectorELNS0_4arch9wavefront6targetE1EEEvSH_.has_dyn_sized_stack, 0
	.set _ZN7rocprim17ROCPRIM_400000_NS6detail17trampoline_kernelINS0_14default_configENS1_38merge_sort_block_merge_config_selectorIisEEZZNS1_27merge_sort_block_merge_implIS3_N6thrust23THRUST_200600_302600_NS10device_ptrIiEENS9_IsEEjNS1_19radix_merge_compareILb0ELb1EiNS0_19identity_decomposerEEEEE10hipError_tT0_T1_T2_jT3_P12ihipStream_tbPNSt15iterator_traitsISG_E10value_typeEPNSM_ISH_E10value_typeEPSI_NS1_7vsmem_tEENKUlT_SG_SH_SI_E_clIPiSA_PsSB_EESF_SV_SG_SH_SI_EUlSV_E0_NS1_11comp_targetILNS1_3genE4ELNS1_11target_archE910ELNS1_3gpuE8ELNS1_3repE0EEENS1_38merge_mergepath_config_static_selectorELNS0_4arch9wavefront6targetE1EEEvSH_.has_recursion, 0
	.set _ZN7rocprim17ROCPRIM_400000_NS6detail17trampoline_kernelINS0_14default_configENS1_38merge_sort_block_merge_config_selectorIisEEZZNS1_27merge_sort_block_merge_implIS3_N6thrust23THRUST_200600_302600_NS10device_ptrIiEENS9_IsEEjNS1_19radix_merge_compareILb0ELb1EiNS0_19identity_decomposerEEEEE10hipError_tT0_T1_T2_jT3_P12ihipStream_tbPNSt15iterator_traitsISG_E10value_typeEPNSM_ISH_E10value_typeEPSI_NS1_7vsmem_tEENKUlT_SG_SH_SI_E_clIPiSA_PsSB_EESF_SV_SG_SH_SI_EUlSV_E0_NS1_11comp_targetILNS1_3genE4ELNS1_11target_archE910ELNS1_3gpuE8ELNS1_3repE0EEENS1_38merge_mergepath_config_static_selectorELNS0_4arch9wavefront6targetE1EEEvSH_.has_indirect_call, 0
	.section	.AMDGPU.csdata,"",@progbits
; Kernel info:
; codeLenInByte = 0
; TotalNumSgprs: 6
; NumVgprs: 0
; NumAgprs: 0
; TotalNumVgprs: 0
; ScratchSize: 0
; MemoryBound: 0
; FloatMode: 240
; IeeeMode: 1
; LDSByteSize: 0 bytes/workgroup (compile time only)
; SGPRBlocks: 0
; VGPRBlocks: 0
; NumSGPRsForWavesPerEU: 6
; NumVGPRsForWavesPerEU: 1
; AccumOffset: 4
; Occupancy: 8
; WaveLimiterHint : 0
; COMPUTE_PGM_RSRC2:SCRATCH_EN: 0
; COMPUTE_PGM_RSRC2:USER_SGPR: 2
; COMPUTE_PGM_RSRC2:TRAP_HANDLER: 0
; COMPUTE_PGM_RSRC2:TGID_X_EN: 1
; COMPUTE_PGM_RSRC2:TGID_Y_EN: 0
; COMPUTE_PGM_RSRC2:TGID_Z_EN: 0
; COMPUTE_PGM_RSRC2:TIDIG_COMP_CNT: 0
; COMPUTE_PGM_RSRC3_GFX90A:ACCUM_OFFSET: 0
; COMPUTE_PGM_RSRC3_GFX90A:TG_SPLIT: 0
	.section	.text._ZN7rocprim17ROCPRIM_400000_NS6detail17trampoline_kernelINS0_14default_configENS1_38merge_sort_block_merge_config_selectorIisEEZZNS1_27merge_sort_block_merge_implIS3_N6thrust23THRUST_200600_302600_NS10device_ptrIiEENS9_IsEEjNS1_19radix_merge_compareILb0ELb1EiNS0_19identity_decomposerEEEEE10hipError_tT0_T1_T2_jT3_P12ihipStream_tbPNSt15iterator_traitsISG_E10value_typeEPNSM_ISH_E10value_typeEPSI_NS1_7vsmem_tEENKUlT_SG_SH_SI_E_clIPiSA_PsSB_EESF_SV_SG_SH_SI_EUlSV_E0_NS1_11comp_targetILNS1_3genE3ELNS1_11target_archE908ELNS1_3gpuE7ELNS1_3repE0EEENS1_38merge_mergepath_config_static_selectorELNS0_4arch9wavefront6targetE1EEEvSH_,"axG",@progbits,_ZN7rocprim17ROCPRIM_400000_NS6detail17trampoline_kernelINS0_14default_configENS1_38merge_sort_block_merge_config_selectorIisEEZZNS1_27merge_sort_block_merge_implIS3_N6thrust23THRUST_200600_302600_NS10device_ptrIiEENS9_IsEEjNS1_19radix_merge_compareILb0ELb1EiNS0_19identity_decomposerEEEEE10hipError_tT0_T1_T2_jT3_P12ihipStream_tbPNSt15iterator_traitsISG_E10value_typeEPNSM_ISH_E10value_typeEPSI_NS1_7vsmem_tEENKUlT_SG_SH_SI_E_clIPiSA_PsSB_EESF_SV_SG_SH_SI_EUlSV_E0_NS1_11comp_targetILNS1_3genE3ELNS1_11target_archE908ELNS1_3gpuE7ELNS1_3repE0EEENS1_38merge_mergepath_config_static_selectorELNS0_4arch9wavefront6targetE1EEEvSH_,comdat
	.protected	_ZN7rocprim17ROCPRIM_400000_NS6detail17trampoline_kernelINS0_14default_configENS1_38merge_sort_block_merge_config_selectorIisEEZZNS1_27merge_sort_block_merge_implIS3_N6thrust23THRUST_200600_302600_NS10device_ptrIiEENS9_IsEEjNS1_19radix_merge_compareILb0ELb1EiNS0_19identity_decomposerEEEEE10hipError_tT0_T1_T2_jT3_P12ihipStream_tbPNSt15iterator_traitsISG_E10value_typeEPNSM_ISH_E10value_typeEPSI_NS1_7vsmem_tEENKUlT_SG_SH_SI_E_clIPiSA_PsSB_EESF_SV_SG_SH_SI_EUlSV_E0_NS1_11comp_targetILNS1_3genE3ELNS1_11target_archE908ELNS1_3gpuE7ELNS1_3repE0EEENS1_38merge_mergepath_config_static_selectorELNS0_4arch9wavefront6targetE1EEEvSH_ ; -- Begin function _ZN7rocprim17ROCPRIM_400000_NS6detail17trampoline_kernelINS0_14default_configENS1_38merge_sort_block_merge_config_selectorIisEEZZNS1_27merge_sort_block_merge_implIS3_N6thrust23THRUST_200600_302600_NS10device_ptrIiEENS9_IsEEjNS1_19radix_merge_compareILb0ELb1EiNS0_19identity_decomposerEEEEE10hipError_tT0_T1_T2_jT3_P12ihipStream_tbPNSt15iterator_traitsISG_E10value_typeEPNSM_ISH_E10value_typeEPSI_NS1_7vsmem_tEENKUlT_SG_SH_SI_E_clIPiSA_PsSB_EESF_SV_SG_SH_SI_EUlSV_E0_NS1_11comp_targetILNS1_3genE3ELNS1_11target_archE908ELNS1_3gpuE7ELNS1_3repE0EEENS1_38merge_mergepath_config_static_selectorELNS0_4arch9wavefront6targetE1EEEvSH_
	.globl	_ZN7rocprim17ROCPRIM_400000_NS6detail17trampoline_kernelINS0_14default_configENS1_38merge_sort_block_merge_config_selectorIisEEZZNS1_27merge_sort_block_merge_implIS3_N6thrust23THRUST_200600_302600_NS10device_ptrIiEENS9_IsEEjNS1_19radix_merge_compareILb0ELb1EiNS0_19identity_decomposerEEEEE10hipError_tT0_T1_T2_jT3_P12ihipStream_tbPNSt15iterator_traitsISG_E10value_typeEPNSM_ISH_E10value_typeEPSI_NS1_7vsmem_tEENKUlT_SG_SH_SI_E_clIPiSA_PsSB_EESF_SV_SG_SH_SI_EUlSV_E0_NS1_11comp_targetILNS1_3genE3ELNS1_11target_archE908ELNS1_3gpuE7ELNS1_3repE0EEENS1_38merge_mergepath_config_static_selectorELNS0_4arch9wavefront6targetE1EEEvSH_
	.p2align	8
	.type	_ZN7rocprim17ROCPRIM_400000_NS6detail17trampoline_kernelINS0_14default_configENS1_38merge_sort_block_merge_config_selectorIisEEZZNS1_27merge_sort_block_merge_implIS3_N6thrust23THRUST_200600_302600_NS10device_ptrIiEENS9_IsEEjNS1_19radix_merge_compareILb0ELb1EiNS0_19identity_decomposerEEEEE10hipError_tT0_T1_T2_jT3_P12ihipStream_tbPNSt15iterator_traitsISG_E10value_typeEPNSM_ISH_E10value_typeEPSI_NS1_7vsmem_tEENKUlT_SG_SH_SI_E_clIPiSA_PsSB_EESF_SV_SG_SH_SI_EUlSV_E0_NS1_11comp_targetILNS1_3genE3ELNS1_11target_archE908ELNS1_3gpuE7ELNS1_3repE0EEENS1_38merge_mergepath_config_static_selectorELNS0_4arch9wavefront6targetE1EEEvSH_,@function
_ZN7rocprim17ROCPRIM_400000_NS6detail17trampoline_kernelINS0_14default_configENS1_38merge_sort_block_merge_config_selectorIisEEZZNS1_27merge_sort_block_merge_implIS3_N6thrust23THRUST_200600_302600_NS10device_ptrIiEENS9_IsEEjNS1_19radix_merge_compareILb0ELb1EiNS0_19identity_decomposerEEEEE10hipError_tT0_T1_T2_jT3_P12ihipStream_tbPNSt15iterator_traitsISG_E10value_typeEPNSM_ISH_E10value_typeEPSI_NS1_7vsmem_tEENKUlT_SG_SH_SI_E_clIPiSA_PsSB_EESF_SV_SG_SH_SI_EUlSV_E0_NS1_11comp_targetILNS1_3genE3ELNS1_11target_archE908ELNS1_3gpuE7ELNS1_3repE0EEENS1_38merge_mergepath_config_static_selectorELNS0_4arch9wavefront6targetE1EEEvSH_: ; @_ZN7rocprim17ROCPRIM_400000_NS6detail17trampoline_kernelINS0_14default_configENS1_38merge_sort_block_merge_config_selectorIisEEZZNS1_27merge_sort_block_merge_implIS3_N6thrust23THRUST_200600_302600_NS10device_ptrIiEENS9_IsEEjNS1_19radix_merge_compareILb0ELb1EiNS0_19identity_decomposerEEEEE10hipError_tT0_T1_T2_jT3_P12ihipStream_tbPNSt15iterator_traitsISG_E10value_typeEPNSM_ISH_E10value_typeEPSI_NS1_7vsmem_tEENKUlT_SG_SH_SI_E_clIPiSA_PsSB_EESF_SV_SG_SH_SI_EUlSV_E0_NS1_11comp_targetILNS1_3genE3ELNS1_11target_archE908ELNS1_3gpuE7ELNS1_3repE0EEENS1_38merge_mergepath_config_static_selectorELNS0_4arch9wavefront6targetE1EEEvSH_
; %bb.0:
	.section	.rodata,"a",@progbits
	.p2align	6, 0x0
	.amdhsa_kernel _ZN7rocprim17ROCPRIM_400000_NS6detail17trampoline_kernelINS0_14default_configENS1_38merge_sort_block_merge_config_selectorIisEEZZNS1_27merge_sort_block_merge_implIS3_N6thrust23THRUST_200600_302600_NS10device_ptrIiEENS9_IsEEjNS1_19radix_merge_compareILb0ELb1EiNS0_19identity_decomposerEEEEE10hipError_tT0_T1_T2_jT3_P12ihipStream_tbPNSt15iterator_traitsISG_E10value_typeEPNSM_ISH_E10value_typeEPSI_NS1_7vsmem_tEENKUlT_SG_SH_SI_E_clIPiSA_PsSB_EESF_SV_SG_SH_SI_EUlSV_E0_NS1_11comp_targetILNS1_3genE3ELNS1_11target_archE908ELNS1_3gpuE7ELNS1_3repE0EEENS1_38merge_mergepath_config_static_selectorELNS0_4arch9wavefront6targetE1EEEvSH_
		.amdhsa_group_segment_fixed_size 0
		.amdhsa_private_segment_fixed_size 0
		.amdhsa_kernarg_size 64
		.amdhsa_user_sgpr_count 2
		.amdhsa_user_sgpr_dispatch_ptr 0
		.amdhsa_user_sgpr_queue_ptr 0
		.amdhsa_user_sgpr_kernarg_segment_ptr 1
		.amdhsa_user_sgpr_dispatch_id 0
		.amdhsa_user_sgpr_kernarg_preload_length 0
		.amdhsa_user_sgpr_kernarg_preload_offset 0
		.amdhsa_user_sgpr_private_segment_size 0
		.amdhsa_uses_dynamic_stack 0
		.amdhsa_enable_private_segment 0
		.amdhsa_system_sgpr_workgroup_id_x 1
		.amdhsa_system_sgpr_workgroup_id_y 0
		.amdhsa_system_sgpr_workgroup_id_z 0
		.amdhsa_system_sgpr_workgroup_info 0
		.amdhsa_system_vgpr_workitem_id 0
		.amdhsa_next_free_vgpr 1
		.amdhsa_next_free_sgpr 0
		.amdhsa_accum_offset 4
		.amdhsa_reserve_vcc 0
		.amdhsa_float_round_mode_32 0
		.amdhsa_float_round_mode_16_64 0
		.amdhsa_float_denorm_mode_32 3
		.amdhsa_float_denorm_mode_16_64 3
		.amdhsa_dx10_clamp 1
		.amdhsa_ieee_mode 1
		.amdhsa_fp16_overflow 0
		.amdhsa_tg_split 0
		.amdhsa_exception_fp_ieee_invalid_op 0
		.amdhsa_exception_fp_denorm_src 0
		.amdhsa_exception_fp_ieee_div_zero 0
		.amdhsa_exception_fp_ieee_overflow 0
		.amdhsa_exception_fp_ieee_underflow 0
		.amdhsa_exception_fp_ieee_inexact 0
		.amdhsa_exception_int_div_zero 0
	.end_amdhsa_kernel
	.section	.text._ZN7rocprim17ROCPRIM_400000_NS6detail17trampoline_kernelINS0_14default_configENS1_38merge_sort_block_merge_config_selectorIisEEZZNS1_27merge_sort_block_merge_implIS3_N6thrust23THRUST_200600_302600_NS10device_ptrIiEENS9_IsEEjNS1_19radix_merge_compareILb0ELb1EiNS0_19identity_decomposerEEEEE10hipError_tT0_T1_T2_jT3_P12ihipStream_tbPNSt15iterator_traitsISG_E10value_typeEPNSM_ISH_E10value_typeEPSI_NS1_7vsmem_tEENKUlT_SG_SH_SI_E_clIPiSA_PsSB_EESF_SV_SG_SH_SI_EUlSV_E0_NS1_11comp_targetILNS1_3genE3ELNS1_11target_archE908ELNS1_3gpuE7ELNS1_3repE0EEENS1_38merge_mergepath_config_static_selectorELNS0_4arch9wavefront6targetE1EEEvSH_,"axG",@progbits,_ZN7rocprim17ROCPRIM_400000_NS6detail17trampoline_kernelINS0_14default_configENS1_38merge_sort_block_merge_config_selectorIisEEZZNS1_27merge_sort_block_merge_implIS3_N6thrust23THRUST_200600_302600_NS10device_ptrIiEENS9_IsEEjNS1_19radix_merge_compareILb0ELb1EiNS0_19identity_decomposerEEEEE10hipError_tT0_T1_T2_jT3_P12ihipStream_tbPNSt15iterator_traitsISG_E10value_typeEPNSM_ISH_E10value_typeEPSI_NS1_7vsmem_tEENKUlT_SG_SH_SI_E_clIPiSA_PsSB_EESF_SV_SG_SH_SI_EUlSV_E0_NS1_11comp_targetILNS1_3genE3ELNS1_11target_archE908ELNS1_3gpuE7ELNS1_3repE0EEENS1_38merge_mergepath_config_static_selectorELNS0_4arch9wavefront6targetE1EEEvSH_,comdat
.Lfunc_end2368:
	.size	_ZN7rocprim17ROCPRIM_400000_NS6detail17trampoline_kernelINS0_14default_configENS1_38merge_sort_block_merge_config_selectorIisEEZZNS1_27merge_sort_block_merge_implIS3_N6thrust23THRUST_200600_302600_NS10device_ptrIiEENS9_IsEEjNS1_19radix_merge_compareILb0ELb1EiNS0_19identity_decomposerEEEEE10hipError_tT0_T1_T2_jT3_P12ihipStream_tbPNSt15iterator_traitsISG_E10value_typeEPNSM_ISH_E10value_typeEPSI_NS1_7vsmem_tEENKUlT_SG_SH_SI_E_clIPiSA_PsSB_EESF_SV_SG_SH_SI_EUlSV_E0_NS1_11comp_targetILNS1_3genE3ELNS1_11target_archE908ELNS1_3gpuE7ELNS1_3repE0EEENS1_38merge_mergepath_config_static_selectorELNS0_4arch9wavefront6targetE1EEEvSH_, .Lfunc_end2368-_ZN7rocprim17ROCPRIM_400000_NS6detail17trampoline_kernelINS0_14default_configENS1_38merge_sort_block_merge_config_selectorIisEEZZNS1_27merge_sort_block_merge_implIS3_N6thrust23THRUST_200600_302600_NS10device_ptrIiEENS9_IsEEjNS1_19radix_merge_compareILb0ELb1EiNS0_19identity_decomposerEEEEE10hipError_tT0_T1_T2_jT3_P12ihipStream_tbPNSt15iterator_traitsISG_E10value_typeEPNSM_ISH_E10value_typeEPSI_NS1_7vsmem_tEENKUlT_SG_SH_SI_E_clIPiSA_PsSB_EESF_SV_SG_SH_SI_EUlSV_E0_NS1_11comp_targetILNS1_3genE3ELNS1_11target_archE908ELNS1_3gpuE7ELNS1_3repE0EEENS1_38merge_mergepath_config_static_selectorELNS0_4arch9wavefront6targetE1EEEvSH_
                                        ; -- End function
	.set _ZN7rocprim17ROCPRIM_400000_NS6detail17trampoline_kernelINS0_14default_configENS1_38merge_sort_block_merge_config_selectorIisEEZZNS1_27merge_sort_block_merge_implIS3_N6thrust23THRUST_200600_302600_NS10device_ptrIiEENS9_IsEEjNS1_19radix_merge_compareILb0ELb1EiNS0_19identity_decomposerEEEEE10hipError_tT0_T1_T2_jT3_P12ihipStream_tbPNSt15iterator_traitsISG_E10value_typeEPNSM_ISH_E10value_typeEPSI_NS1_7vsmem_tEENKUlT_SG_SH_SI_E_clIPiSA_PsSB_EESF_SV_SG_SH_SI_EUlSV_E0_NS1_11comp_targetILNS1_3genE3ELNS1_11target_archE908ELNS1_3gpuE7ELNS1_3repE0EEENS1_38merge_mergepath_config_static_selectorELNS0_4arch9wavefront6targetE1EEEvSH_.num_vgpr, 0
	.set _ZN7rocprim17ROCPRIM_400000_NS6detail17trampoline_kernelINS0_14default_configENS1_38merge_sort_block_merge_config_selectorIisEEZZNS1_27merge_sort_block_merge_implIS3_N6thrust23THRUST_200600_302600_NS10device_ptrIiEENS9_IsEEjNS1_19radix_merge_compareILb0ELb1EiNS0_19identity_decomposerEEEEE10hipError_tT0_T1_T2_jT3_P12ihipStream_tbPNSt15iterator_traitsISG_E10value_typeEPNSM_ISH_E10value_typeEPSI_NS1_7vsmem_tEENKUlT_SG_SH_SI_E_clIPiSA_PsSB_EESF_SV_SG_SH_SI_EUlSV_E0_NS1_11comp_targetILNS1_3genE3ELNS1_11target_archE908ELNS1_3gpuE7ELNS1_3repE0EEENS1_38merge_mergepath_config_static_selectorELNS0_4arch9wavefront6targetE1EEEvSH_.num_agpr, 0
	.set _ZN7rocprim17ROCPRIM_400000_NS6detail17trampoline_kernelINS0_14default_configENS1_38merge_sort_block_merge_config_selectorIisEEZZNS1_27merge_sort_block_merge_implIS3_N6thrust23THRUST_200600_302600_NS10device_ptrIiEENS9_IsEEjNS1_19radix_merge_compareILb0ELb1EiNS0_19identity_decomposerEEEEE10hipError_tT0_T1_T2_jT3_P12ihipStream_tbPNSt15iterator_traitsISG_E10value_typeEPNSM_ISH_E10value_typeEPSI_NS1_7vsmem_tEENKUlT_SG_SH_SI_E_clIPiSA_PsSB_EESF_SV_SG_SH_SI_EUlSV_E0_NS1_11comp_targetILNS1_3genE3ELNS1_11target_archE908ELNS1_3gpuE7ELNS1_3repE0EEENS1_38merge_mergepath_config_static_selectorELNS0_4arch9wavefront6targetE1EEEvSH_.numbered_sgpr, 0
	.set _ZN7rocprim17ROCPRIM_400000_NS6detail17trampoline_kernelINS0_14default_configENS1_38merge_sort_block_merge_config_selectorIisEEZZNS1_27merge_sort_block_merge_implIS3_N6thrust23THRUST_200600_302600_NS10device_ptrIiEENS9_IsEEjNS1_19radix_merge_compareILb0ELb1EiNS0_19identity_decomposerEEEEE10hipError_tT0_T1_T2_jT3_P12ihipStream_tbPNSt15iterator_traitsISG_E10value_typeEPNSM_ISH_E10value_typeEPSI_NS1_7vsmem_tEENKUlT_SG_SH_SI_E_clIPiSA_PsSB_EESF_SV_SG_SH_SI_EUlSV_E0_NS1_11comp_targetILNS1_3genE3ELNS1_11target_archE908ELNS1_3gpuE7ELNS1_3repE0EEENS1_38merge_mergepath_config_static_selectorELNS0_4arch9wavefront6targetE1EEEvSH_.num_named_barrier, 0
	.set _ZN7rocprim17ROCPRIM_400000_NS6detail17trampoline_kernelINS0_14default_configENS1_38merge_sort_block_merge_config_selectorIisEEZZNS1_27merge_sort_block_merge_implIS3_N6thrust23THRUST_200600_302600_NS10device_ptrIiEENS9_IsEEjNS1_19radix_merge_compareILb0ELb1EiNS0_19identity_decomposerEEEEE10hipError_tT0_T1_T2_jT3_P12ihipStream_tbPNSt15iterator_traitsISG_E10value_typeEPNSM_ISH_E10value_typeEPSI_NS1_7vsmem_tEENKUlT_SG_SH_SI_E_clIPiSA_PsSB_EESF_SV_SG_SH_SI_EUlSV_E0_NS1_11comp_targetILNS1_3genE3ELNS1_11target_archE908ELNS1_3gpuE7ELNS1_3repE0EEENS1_38merge_mergepath_config_static_selectorELNS0_4arch9wavefront6targetE1EEEvSH_.private_seg_size, 0
	.set _ZN7rocprim17ROCPRIM_400000_NS6detail17trampoline_kernelINS0_14default_configENS1_38merge_sort_block_merge_config_selectorIisEEZZNS1_27merge_sort_block_merge_implIS3_N6thrust23THRUST_200600_302600_NS10device_ptrIiEENS9_IsEEjNS1_19radix_merge_compareILb0ELb1EiNS0_19identity_decomposerEEEEE10hipError_tT0_T1_T2_jT3_P12ihipStream_tbPNSt15iterator_traitsISG_E10value_typeEPNSM_ISH_E10value_typeEPSI_NS1_7vsmem_tEENKUlT_SG_SH_SI_E_clIPiSA_PsSB_EESF_SV_SG_SH_SI_EUlSV_E0_NS1_11comp_targetILNS1_3genE3ELNS1_11target_archE908ELNS1_3gpuE7ELNS1_3repE0EEENS1_38merge_mergepath_config_static_selectorELNS0_4arch9wavefront6targetE1EEEvSH_.uses_vcc, 0
	.set _ZN7rocprim17ROCPRIM_400000_NS6detail17trampoline_kernelINS0_14default_configENS1_38merge_sort_block_merge_config_selectorIisEEZZNS1_27merge_sort_block_merge_implIS3_N6thrust23THRUST_200600_302600_NS10device_ptrIiEENS9_IsEEjNS1_19radix_merge_compareILb0ELb1EiNS0_19identity_decomposerEEEEE10hipError_tT0_T1_T2_jT3_P12ihipStream_tbPNSt15iterator_traitsISG_E10value_typeEPNSM_ISH_E10value_typeEPSI_NS1_7vsmem_tEENKUlT_SG_SH_SI_E_clIPiSA_PsSB_EESF_SV_SG_SH_SI_EUlSV_E0_NS1_11comp_targetILNS1_3genE3ELNS1_11target_archE908ELNS1_3gpuE7ELNS1_3repE0EEENS1_38merge_mergepath_config_static_selectorELNS0_4arch9wavefront6targetE1EEEvSH_.uses_flat_scratch, 0
	.set _ZN7rocprim17ROCPRIM_400000_NS6detail17trampoline_kernelINS0_14default_configENS1_38merge_sort_block_merge_config_selectorIisEEZZNS1_27merge_sort_block_merge_implIS3_N6thrust23THRUST_200600_302600_NS10device_ptrIiEENS9_IsEEjNS1_19radix_merge_compareILb0ELb1EiNS0_19identity_decomposerEEEEE10hipError_tT0_T1_T2_jT3_P12ihipStream_tbPNSt15iterator_traitsISG_E10value_typeEPNSM_ISH_E10value_typeEPSI_NS1_7vsmem_tEENKUlT_SG_SH_SI_E_clIPiSA_PsSB_EESF_SV_SG_SH_SI_EUlSV_E0_NS1_11comp_targetILNS1_3genE3ELNS1_11target_archE908ELNS1_3gpuE7ELNS1_3repE0EEENS1_38merge_mergepath_config_static_selectorELNS0_4arch9wavefront6targetE1EEEvSH_.has_dyn_sized_stack, 0
	.set _ZN7rocprim17ROCPRIM_400000_NS6detail17trampoline_kernelINS0_14default_configENS1_38merge_sort_block_merge_config_selectorIisEEZZNS1_27merge_sort_block_merge_implIS3_N6thrust23THRUST_200600_302600_NS10device_ptrIiEENS9_IsEEjNS1_19radix_merge_compareILb0ELb1EiNS0_19identity_decomposerEEEEE10hipError_tT0_T1_T2_jT3_P12ihipStream_tbPNSt15iterator_traitsISG_E10value_typeEPNSM_ISH_E10value_typeEPSI_NS1_7vsmem_tEENKUlT_SG_SH_SI_E_clIPiSA_PsSB_EESF_SV_SG_SH_SI_EUlSV_E0_NS1_11comp_targetILNS1_3genE3ELNS1_11target_archE908ELNS1_3gpuE7ELNS1_3repE0EEENS1_38merge_mergepath_config_static_selectorELNS0_4arch9wavefront6targetE1EEEvSH_.has_recursion, 0
	.set _ZN7rocprim17ROCPRIM_400000_NS6detail17trampoline_kernelINS0_14default_configENS1_38merge_sort_block_merge_config_selectorIisEEZZNS1_27merge_sort_block_merge_implIS3_N6thrust23THRUST_200600_302600_NS10device_ptrIiEENS9_IsEEjNS1_19radix_merge_compareILb0ELb1EiNS0_19identity_decomposerEEEEE10hipError_tT0_T1_T2_jT3_P12ihipStream_tbPNSt15iterator_traitsISG_E10value_typeEPNSM_ISH_E10value_typeEPSI_NS1_7vsmem_tEENKUlT_SG_SH_SI_E_clIPiSA_PsSB_EESF_SV_SG_SH_SI_EUlSV_E0_NS1_11comp_targetILNS1_3genE3ELNS1_11target_archE908ELNS1_3gpuE7ELNS1_3repE0EEENS1_38merge_mergepath_config_static_selectorELNS0_4arch9wavefront6targetE1EEEvSH_.has_indirect_call, 0
	.section	.AMDGPU.csdata,"",@progbits
; Kernel info:
; codeLenInByte = 0
; TotalNumSgprs: 6
; NumVgprs: 0
; NumAgprs: 0
; TotalNumVgprs: 0
; ScratchSize: 0
; MemoryBound: 0
; FloatMode: 240
; IeeeMode: 1
; LDSByteSize: 0 bytes/workgroup (compile time only)
; SGPRBlocks: 0
; VGPRBlocks: 0
; NumSGPRsForWavesPerEU: 6
; NumVGPRsForWavesPerEU: 1
; AccumOffset: 4
; Occupancy: 8
; WaveLimiterHint : 0
; COMPUTE_PGM_RSRC2:SCRATCH_EN: 0
; COMPUTE_PGM_RSRC2:USER_SGPR: 2
; COMPUTE_PGM_RSRC2:TRAP_HANDLER: 0
; COMPUTE_PGM_RSRC2:TGID_X_EN: 1
; COMPUTE_PGM_RSRC2:TGID_Y_EN: 0
; COMPUTE_PGM_RSRC2:TGID_Z_EN: 0
; COMPUTE_PGM_RSRC2:TIDIG_COMP_CNT: 0
; COMPUTE_PGM_RSRC3_GFX90A:ACCUM_OFFSET: 0
; COMPUTE_PGM_RSRC3_GFX90A:TG_SPLIT: 0
	.section	.text._ZN7rocprim17ROCPRIM_400000_NS6detail17trampoline_kernelINS0_14default_configENS1_38merge_sort_block_merge_config_selectorIisEEZZNS1_27merge_sort_block_merge_implIS3_N6thrust23THRUST_200600_302600_NS10device_ptrIiEENS9_IsEEjNS1_19radix_merge_compareILb0ELb1EiNS0_19identity_decomposerEEEEE10hipError_tT0_T1_T2_jT3_P12ihipStream_tbPNSt15iterator_traitsISG_E10value_typeEPNSM_ISH_E10value_typeEPSI_NS1_7vsmem_tEENKUlT_SG_SH_SI_E_clIPiSA_PsSB_EESF_SV_SG_SH_SI_EUlSV_E0_NS1_11comp_targetILNS1_3genE2ELNS1_11target_archE906ELNS1_3gpuE6ELNS1_3repE0EEENS1_38merge_mergepath_config_static_selectorELNS0_4arch9wavefront6targetE1EEEvSH_,"axG",@progbits,_ZN7rocprim17ROCPRIM_400000_NS6detail17trampoline_kernelINS0_14default_configENS1_38merge_sort_block_merge_config_selectorIisEEZZNS1_27merge_sort_block_merge_implIS3_N6thrust23THRUST_200600_302600_NS10device_ptrIiEENS9_IsEEjNS1_19radix_merge_compareILb0ELb1EiNS0_19identity_decomposerEEEEE10hipError_tT0_T1_T2_jT3_P12ihipStream_tbPNSt15iterator_traitsISG_E10value_typeEPNSM_ISH_E10value_typeEPSI_NS1_7vsmem_tEENKUlT_SG_SH_SI_E_clIPiSA_PsSB_EESF_SV_SG_SH_SI_EUlSV_E0_NS1_11comp_targetILNS1_3genE2ELNS1_11target_archE906ELNS1_3gpuE6ELNS1_3repE0EEENS1_38merge_mergepath_config_static_selectorELNS0_4arch9wavefront6targetE1EEEvSH_,comdat
	.protected	_ZN7rocprim17ROCPRIM_400000_NS6detail17trampoline_kernelINS0_14default_configENS1_38merge_sort_block_merge_config_selectorIisEEZZNS1_27merge_sort_block_merge_implIS3_N6thrust23THRUST_200600_302600_NS10device_ptrIiEENS9_IsEEjNS1_19radix_merge_compareILb0ELb1EiNS0_19identity_decomposerEEEEE10hipError_tT0_T1_T2_jT3_P12ihipStream_tbPNSt15iterator_traitsISG_E10value_typeEPNSM_ISH_E10value_typeEPSI_NS1_7vsmem_tEENKUlT_SG_SH_SI_E_clIPiSA_PsSB_EESF_SV_SG_SH_SI_EUlSV_E0_NS1_11comp_targetILNS1_3genE2ELNS1_11target_archE906ELNS1_3gpuE6ELNS1_3repE0EEENS1_38merge_mergepath_config_static_selectorELNS0_4arch9wavefront6targetE1EEEvSH_ ; -- Begin function _ZN7rocprim17ROCPRIM_400000_NS6detail17trampoline_kernelINS0_14default_configENS1_38merge_sort_block_merge_config_selectorIisEEZZNS1_27merge_sort_block_merge_implIS3_N6thrust23THRUST_200600_302600_NS10device_ptrIiEENS9_IsEEjNS1_19radix_merge_compareILb0ELb1EiNS0_19identity_decomposerEEEEE10hipError_tT0_T1_T2_jT3_P12ihipStream_tbPNSt15iterator_traitsISG_E10value_typeEPNSM_ISH_E10value_typeEPSI_NS1_7vsmem_tEENKUlT_SG_SH_SI_E_clIPiSA_PsSB_EESF_SV_SG_SH_SI_EUlSV_E0_NS1_11comp_targetILNS1_3genE2ELNS1_11target_archE906ELNS1_3gpuE6ELNS1_3repE0EEENS1_38merge_mergepath_config_static_selectorELNS0_4arch9wavefront6targetE1EEEvSH_
	.globl	_ZN7rocprim17ROCPRIM_400000_NS6detail17trampoline_kernelINS0_14default_configENS1_38merge_sort_block_merge_config_selectorIisEEZZNS1_27merge_sort_block_merge_implIS3_N6thrust23THRUST_200600_302600_NS10device_ptrIiEENS9_IsEEjNS1_19radix_merge_compareILb0ELb1EiNS0_19identity_decomposerEEEEE10hipError_tT0_T1_T2_jT3_P12ihipStream_tbPNSt15iterator_traitsISG_E10value_typeEPNSM_ISH_E10value_typeEPSI_NS1_7vsmem_tEENKUlT_SG_SH_SI_E_clIPiSA_PsSB_EESF_SV_SG_SH_SI_EUlSV_E0_NS1_11comp_targetILNS1_3genE2ELNS1_11target_archE906ELNS1_3gpuE6ELNS1_3repE0EEENS1_38merge_mergepath_config_static_selectorELNS0_4arch9wavefront6targetE1EEEvSH_
	.p2align	8
	.type	_ZN7rocprim17ROCPRIM_400000_NS6detail17trampoline_kernelINS0_14default_configENS1_38merge_sort_block_merge_config_selectorIisEEZZNS1_27merge_sort_block_merge_implIS3_N6thrust23THRUST_200600_302600_NS10device_ptrIiEENS9_IsEEjNS1_19radix_merge_compareILb0ELb1EiNS0_19identity_decomposerEEEEE10hipError_tT0_T1_T2_jT3_P12ihipStream_tbPNSt15iterator_traitsISG_E10value_typeEPNSM_ISH_E10value_typeEPSI_NS1_7vsmem_tEENKUlT_SG_SH_SI_E_clIPiSA_PsSB_EESF_SV_SG_SH_SI_EUlSV_E0_NS1_11comp_targetILNS1_3genE2ELNS1_11target_archE906ELNS1_3gpuE6ELNS1_3repE0EEENS1_38merge_mergepath_config_static_selectorELNS0_4arch9wavefront6targetE1EEEvSH_,@function
_ZN7rocprim17ROCPRIM_400000_NS6detail17trampoline_kernelINS0_14default_configENS1_38merge_sort_block_merge_config_selectorIisEEZZNS1_27merge_sort_block_merge_implIS3_N6thrust23THRUST_200600_302600_NS10device_ptrIiEENS9_IsEEjNS1_19radix_merge_compareILb0ELb1EiNS0_19identity_decomposerEEEEE10hipError_tT0_T1_T2_jT3_P12ihipStream_tbPNSt15iterator_traitsISG_E10value_typeEPNSM_ISH_E10value_typeEPSI_NS1_7vsmem_tEENKUlT_SG_SH_SI_E_clIPiSA_PsSB_EESF_SV_SG_SH_SI_EUlSV_E0_NS1_11comp_targetILNS1_3genE2ELNS1_11target_archE906ELNS1_3gpuE6ELNS1_3repE0EEENS1_38merge_mergepath_config_static_selectorELNS0_4arch9wavefront6targetE1EEEvSH_: ; @_ZN7rocprim17ROCPRIM_400000_NS6detail17trampoline_kernelINS0_14default_configENS1_38merge_sort_block_merge_config_selectorIisEEZZNS1_27merge_sort_block_merge_implIS3_N6thrust23THRUST_200600_302600_NS10device_ptrIiEENS9_IsEEjNS1_19radix_merge_compareILb0ELb1EiNS0_19identity_decomposerEEEEE10hipError_tT0_T1_T2_jT3_P12ihipStream_tbPNSt15iterator_traitsISG_E10value_typeEPNSM_ISH_E10value_typeEPSI_NS1_7vsmem_tEENKUlT_SG_SH_SI_E_clIPiSA_PsSB_EESF_SV_SG_SH_SI_EUlSV_E0_NS1_11comp_targetILNS1_3genE2ELNS1_11target_archE906ELNS1_3gpuE6ELNS1_3repE0EEENS1_38merge_mergepath_config_static_selectorELNS0_4arch9wavefront6targetE1EEEvSH_
; %bb.0:
	.section	.rodata,"a",@progbits
	.p2align	6, 0x0
	.amdhsa_kernel _ZN7rocprim17ROCPRIM_400000_NS6detail17trampoline_kernelINS0_14default_configENS1_38merge_sort_block_merge_config_selectorIisEEZZNS1_27merge_sort_block_merge_implIS3_N6thrust23THRUST_200600_302600_NS10device_ptrIiEENS9_IsEEjNS1_19radix_merge_compareILb0ELb1EiNS0_19identity_decomposerEEEEE10hipError_tT0_T1_T2_jT3_P12ihipStream_tbPNSt15iterator_traitsISG_E10value_typeEPNSM_ISH_E10value_typeEPSI_NS1_7vsmem_tEENKUlT_SG_SH_SI_E_clIPiSA_PsSB_EESF_SV_SG_SH_SI_EUlSV_E0_NS1_11comp_targetILNS1_3genE2ELNS1_11target_archE906ELNS1_3gpuE6ELNS1_3repE0EEENS1_38merge_mergepath_config_static_selectorELNS0_4arch9wavefront6targetE1EEEvSH_
		.amdhsa_group_segment_fixed_size 0
		.amdhsa_private_segment_fixed_size 0
		.amdhsa_kernarg_size 64
		.amdhsa_user_sgpr_count 2
		.amdhsa_user_sgpr_dispatch_ptr 0
		.amdhsa_user_sgpr_queue_ptr 0
		.amdhsa_user_sgpr_kernarg_segment_ptr 1
		.amdhsa_user_sgpr_dispatch_id 0
		.amdhsa_user_sgpr_kernarg_preload_length 0
		.amdhsa_user_sgpr_kernarg_preload_offset 0
		.amdhsa_user_sgpr_private_segment_size 0
		.amdhsa_uses_dynamic_stack 0
		.amdhsa_enable_private_segment 0
		.amdhsa_system_sgpr_workgroup_id_x 1
		.amdhsa_system_sgpr_workgroup_id_y 0
		.amdhsa_system_sgpr_workgroup_id_z 0
		.amdhsa_system_sgpr_workgroup_info 0
		.amdhsa_system_vgpr_workitem_id 0
		.amdhsa_next_free_vgpr 1
		.amdhsa_next_free_sgpr 0
		.amdhsa_accum_offset 4
		.amdhsa_reserve_vcc 0
		.amdhsa_float_round_mode_32 0
		.amdhsa_float_round_mode_16_64 0
		.amdhsa_float_denorm_mode_32 3
		.amdhsa_float_denorm_mode_16_64 3
		.amdhsa_dx10_clamp 1
		.amdhsa_ieee_mode 1
		.amdhsa_fp16_overflow 0
		.amdhsa_tg_split 0
		.amdhsa_exception_fp_ieee_invalid_op 0
		.amdhsa_exception_fp_denorm_src 0
		.amdhsa_exception_fp_ieee_div_zero 0
		.amdhsa_exception_fp_ieee_overflow 0
		.amdhsa_exception_fp_ieee_underflow 0
		.amdhsa_exception_fp_ieee_inexact 0
		.amdhsa_exception_int_div_zero 0
	.end_amdhsa_kernel
	.section	.text._ZN7rocprim17ROCPRIM_400000_NS6detail17trampoline_kernelINS0_14default_configENS1_38merge_sort_block_merge_config_selectorIisEEZZNS1_27merge_sort_block_merge_implIS3_N6thrust23THRUST_200600_302600_NS10device_ptrIiEENS9_IsEEjNS1_19radix_merge_compareILb0ELb1EiNS0_19identity_decomposerEEEEE10hipError_tT0_T1_T2_jT3_P12ihipStream_tbPNSt15iterator_traitsISG_E10value_typeEPNSM_ISH_E10value_typeEPSI_NS1_7vsmem_tEENKUlT_SG_SH_SI_E_clIPiSA_PsSB_EESF_SV_SG_SH_SI_EUlSV_E0_NS1_11comp_targetILNS1_3genE2ELNS1_11target_archE906ELNS1_3gpuE6ELNS1_3repE0EEENS1_38merge_mergepath_config_static_selectorELNS0_4arch9wavefront6targetE1EEEvSH_,"axG",@progbits,_ZN7rocprim17ROCPRIM_400000_NS6detail17trampoline_kernelINS0_14default_configENS1_38merge_sort_block_merge_config_selectorIisEEZZNS1_27merge_sort_block_merge_implIS3_N6thrust23THRUST_200600_302600_NS10device_ptrIiEENS9_IsEEjNS1_19radix_merge_compareILb0ELb1EiNS0_19identity_decomposerEEEEE10hipError_tT0_T1_T2_jT3_P12ihipStream_tbPNSt15iterator_traitsISG_E10value_typeEPNSM_ISH_E10value_typeEPSI_NS1_7vsmem_tEENKUlT_SG_SH_SI_E_clIPiSA_PsSB_EESF_SV_SG_SH_SI_EUlSV_E0_NS1_11comp_targetILNS1_3genE2ELNS1_11target_archE906ELNS1_3gpuE6ELNS1_3repE0EEENS1_38merge_mergepath_config_static_selectorELNS0_4arch9wavefront6targetE1EEEvSH_,comdat
.Lfunc_end2369:
	.size	_ZN7rocprim17ROCPRIM_400000_NS6detail17trampoline_kernelINS0_14default_configENS1_38merge_sort_block_merge_config_selectorIisEEZZNS1_27merge_sort_block_merge_implIS3_N6thrust23THRUST_200600_302600_NS10device_ptrIiEENS9_IsEEjNS1_19radix_merge_compareILb0ELb1EiNS0_19identity_decomposerEEEEE10hipError_tT0_T1_T2_jT3_P12ihipStream_tbPNSt15iterator_traitsISG_E10value_typeEPNSM_ISH_E10value_typeEPSI_NS1_7vsmem_tEENKUlT_SG_SH_SI_E_clIPiSA_PsSB_EESF_SV_SG_SH_SI_EUlSV_E0_NS1_11comp_targetILNS1_3genE2ELNS1_11target_archE906ELNS1_3gpuE6ELNS1_3repE0EEENS1_38merge_mergepath_config_static_selectorELNS0_4arch9wavefront6targetE1EEEvSH_, .Lfunc_end2369-_ZN7rocprim17ROCPRIM_400000_NS6detail17trampoline_kernelINS0_14default_configENS1_38merge_sort_block_merge_config_selectorIisEEZZNS1_27merge_sort_block_merge_implIS3_N6thrust23THRUST_200600_302600_NS10device_ptrIiEENS9_IsEEjNS1_19radix_merge_compareILb0ELb1EiNS0_19identity_decomposerEEEEE10hipError_tT0_T1_T2_jT3_P12ihipStream_tbPNSt15iterator_traitsISG_E10value_typeEPNSM_ISH_E10value_typeEPSI_NS1_7vsmem_tEENKUlT_SG_SH_SI_E_clIPiSA_PsSB_EESF_SV_SG_SH_SI_EUlSV_E0_NS1_11comp_targetILNS1_3genE2ELNS1_11target_archE906ELNS1_3gpuE6ELNS1_3repE0EEENS1_38merge_mergepath_config_static_selectorELNS0_4arch9wavefront6targetE1EEEvSH_
                                        ; -- End function
	.set _ZN7rocprim17ROCPRIM_400000_NS6detail17trampoline_kernelINS0_14default_configENS1_38merge_sort_block_merge_config_selectorIisEEZZNS1_27merge_sort_block_merge_implIS3_N6thrust23THRUST_200600_302600_NS10device_ptrIiEENS9_IsEEjNS1_19radix_merge_compareILb0ELb1EiNS0_19identity_decomposerEEEEE10hipError_tT0_T1_T2_jT3_P12ihipStream_tbPNSt15iterator_traitsISG_E10value_typeEPNSM_ISH_E10value_typeEPSI_NS1_7vsmem_tEENKUlT_SG_SH_SI_E_clIPiSA_PsSB_EESF_SV_SG_SH_SI_EUlSV_E0_NS1_11comp_targetILNS1_3genE2ELNS1_11target_archE906ELNS1_3gpuE6ELNS1_3repE0EEENS1_38merge_mergepath_config_static_selectorELNS0_4arch9wavefront6targetE1EEEvSH_.num_vgpr, 0
	.set _ZN7rocprim17ROCPRIM_400000_NS6detail17trampoline_kernelINS0_14default_configENS1_38merge_sort_block_merge_config_selectorIisEEZZNS1_27merge_sort_block_merge_implIS3_N6thrust23THRUST_200600_302600_NS10device_ptrIiEENS9_IsEEjNS1_19radix_merge_compareILb0ELb1EiNS0_19identity_decomposerEEEEE10hipError_tT0_T1_T2_jT3_P12ihipStream_tbPNSt15iterator_traitsISG_E10value_typeEPNSM_ISH_E10value_typeEPSI_NS1_7vsmem_tEENKUlT_SG_SH_SI_E_clIPiSA_PsSB_EESF_SV_SG_SH_SI_EUlSV_E0_NS1_11comp_targetILNS1_3genE2ELNS1_11target_archE906ELNS1_3gpuE6ELNS1_3repE0EEENS1_38merge_mergepath_config_static_selectorELNS0_4arch9wavefront6targetE1EEEvSH_.num_agpr, 0
	.set _ZN7rocprim17ROCPRIM_400000_NS6detail17trampoline_kernelINS0_14default_configENS1_38merge_sort_block_merge_config_selectorIisEEZZNS1_27merge_sort_block_merge_implIS3_N6thrust23THRUST_200600_302600_NS10device_ptrIiEENS9_IsEEjNS1_19radix_merge_compareILb0ELb1EiNS0_19identity_decomposerEEEEE10hipError_tT0_T1_T2_jT3_P12ihipStream_tbPNSt15iterator_traitsISG_E10value_typeEPNSM_ISH_E10value_typeEPSI_NS1_7vsmem_tEENKUlT_SG_SH_SI_E_clIPiSA_PsSB_EESF_SV_SG_SH_SI_EUlSV_E0_NS1_11comp_targetILNS1_3genE2ELNS1_11target_archE906ELNS1_3gpuE6ELNS1_3repE0EEENS1_38merge_mergepath_config_static_selectorELNS0_4arch9wavefront6targetE1EEEvSH_.numbered_sgpr, 0
	.set _ZN7rocprim17ROCPRIM_400000_NS6detail17trampoline_kernelINS0_14default_configENS1_38merge_sort_block_merge_config_selectorIisEEZZNS1_27merge_sort_block_merge_implIS3_N6thrust23THRUST_200600_302600_NS10device_ptrIiEENS9_IsEEjNS1_19radix_merge_compareILb0ELb1EiNS0_19identity_decomposerEEEEE10hipError_tT0_T1_T2_jT3_P12ihipStream_tbPNSt15iterator_traitsISG_E10value_typeEPNSM_ISH_E10value_typeEPSI_NS1_7vsmem_tEENKUlT_SG_SH_SI_E_clIPiSA_PsSB_EESF_SV_SG_SH_SI_EUlSV_E0_NS1_11comp_targetILNS1_3genE2ELNS1_11target_archE906ELNS1_3gpuE6ELNS1_3repE0EEENS1_38merge_mergepath_config_static_selectorELNS0_4arch9wavefront6targetE1EEEvSH_.num_named_barrier, 0
	.set _ZN7rocprim17ROCPRIM_400000_NS6detail17trampoline_kernelINS0_14default_configENS1_38merge_sort_block_merge_config_selectorIisEEZZNS1_27merge_sort_block_merge_implIS3_N6thrust23THRUST_200600_302600_NS10device_ptrIiEENS9_IsEEjNS1_19radix_merge_compareILb0ELb1EiNS0_19identity_decomposerEEEEE10hipError_tT0_T1_T2_jT3_P12ihipStream_tbPNSt15iterator_traitsISG_E10value_typeEPNSM_ISH_E10value_typeEPSI_NS1_7vsmem_tEENKUlT_SG_SH_SI_E_clIPiSA_PsSB_EESF_SV_SG_SH_SI_EUlSV_E0_NS1_11comp_targetILNS1_3genE2ELNS1_11target_archE906ELNS1_3gpuE6ELNS1_3repE0EEENS1_38merge_mergepath_config_static_selectorELNS0_4arch9wavefront6targetE1EEEvSH_.private_seg_size, 0
	.set _ZN7rocprim17ROCPRIM_400000_NS6detail17trampoline_kernelINS0_14default_configENS1_38merge_sort_block_merge_config_selectorIisEEZZNS1_27merge_sort_block_merge_implIS3_N6thrust23THRUST_200600_302600_NS10device_ptrIiEENS9_IsEEjNS1_19radix_merge_compareILb0ELb1EiNS0_19identity_decomposerEEEEE10hipError_tT0_T1_T2_jT3_P12ihipStream_tbPNSt15iterator_traitsISG_E10value_typeEPNSM_ISH_E10value_typeEPSI_NS1_7vsmem_tEENKUlT_SG_SH_SI_E_clIPiSA_PsSB_EESF_SV_SG_SH_SI_EUlSV_E0_NS1_11comp_targetILNS1_3genE2ELNS1_11target_archE906ELNS1_3gpuE6ELNS1_3repE0EEENS1_38merge_mergepath_config_static_selectorELNS0_4arch9wavefront6targetE1EEEvSH_.uses_vcc, 0
	.set _ZN7rocprim17ROCPRIM_400000_NS6detail17trampoline_kernelINS0_14default_configENS1_38merge_sort_block_merge_config_selectorIisEEZZNS1_27merge_sort_block_merge_implIS3_N6thrust23THRUST_200600_302600_NS10device_ptrIiEENS9_IsEEjNS1_19radix_merge_compareILb0ELb1EiNS0_19identity_decomposerEEEEE10hipError_tT0_T1_T2_jT3_P12ihipStream_tbPNSt15iterator_traitsISG_E10value_typeEPNSM_ISH_E10value_typeEPSI_NS1_7vsmem_tEENKUlT_SG_SH_SI_E_clIPiSA_PsSB_EESF_SV_SG_SH_SI_EUlSV_E0_NS1_11comp_targetILNS1_3genE2ELNS1_11target_archE906ELNS1_3gpuE6ELNS1_3repE0EEENS1_38merge_mergepath_config_static_selectorELNS0_4arch9wavefront6targetE1EEEvSH_.uses_flat_scratch, 0
	.set _ZN7rocprim17ROCPRIM_400000_NS6detail17trampoline_kernelINS0_14default_configENS1_38merge_sort_block_merge_config_selectorIisEEZZNS1_27merge_sort_block_merge_implIS3_N6thrust23THRUST_200600_302600_NS10device_ptrIiEENS9_IsEEjNS1_19radix_merge_compareILb0ELb1EiNS0_19identity_decomposerEEEEE10hipError_tT0_T1_T2_jT3_P12ihipStream_tbPNSt15iterator_traitsISG_E10value_typeEPNSM_ISH_E10value_typeEPSI_NS1_7vsmem_tEENKUlT_SG_SH_SI_E_clIPiSA_PsSB_EESF_SV_SG_SH_SI_EUlSV_E0_NS1_11comp_targetILNS1_3genE2ELNS1_11target_archE906ELNS1_3gpuE6ELNS1_3repE0EEENS1_38merge_mergepath_config_static_selectorELNS0_4arch9wavefront6targetE1EEEvSH_.has_dyn_sized_stack, 0
	.set _ZN7rocprim17ROCPRIM_400000_NS6detail17trampoline_kernelINS0_14default_configENS1_38merge_sort_block_merge_config_selectorIisEEZZNS1_27merge_sort_block_merge_implIS3_N6thrust23THRUST_200600_302600_NS10device_ptrIiEENS9_IsEEjNS1_19radix_merge_compareILb0ELb1EiNS0_19identity_decomposerEEEEE10hipError_tT0_T1_T2_jT3_P12ihipStream_tbPNSt15iterator_traitsISG_E10value_typeEPNSM_ISH_E10value_typeEPSI_NS1_7vsmem_tEENKUlT_SG_SH_SI_E_clIPiSA_PsSB_EESF_SV_SG_SH_SI_EUlSV_E0_NS1_11comp_targetILNS1_3genE2ELNS1_11target_archE906ELNS1_3gpuE6ELNS1_3repE0EEENS1_38merge_mergepath_config_static_selectorELNS0_4arch9wavefront6targetE1EEEvSH_.has_recursion, 0
	.set _ZN7rocprim17ROCPRIM_400000_NS6detail17trampoline_kernelINS0_14default_configENS1_38merge_sort_block_merge_config_selectorIisEEZZNS1_27merge_sort_block_merge_implIS3_N6thrust23THRUST_200600_302600_NS10device_ptrIiEENS9_IsEEjNS1_19radix_merge_compareILb0ELb1EiNS0_19identity_decomposerEEEEE10hipError_tT0_T1_T2_jT3_P12ihipStream_tbPNSt15iterator_traitsISG_E10value_typeEPNSM_ISH_E10value_typeEPSI_NS1_7vsmem_tEENKUlT_SG_SH_SI_E_clIPiSA_PsSB_EESF_SV_SG_SH_SI_EUlSV_E0_NS1_11comp_targetILNS1_3genE2ELNS1_11target_archE906ELNS1_3gpuE6ELNS1_3repE0EEENS1_38merge_mergepath_config_static_selectorELNS0_4arch9wavefront6targetE1EEEvSH_.has_indirect_call, 0
	.section	.AMDGPU.csdata,"",@progbits
; Kernel info:
; codeLenInByte = 0
; TotalNumSgprs: 6
; NumVgprs: 0
; NumAgprs: 0
; TotalNumVgprs: 0
; ScratchSize: 0
; MemoryBound: 0
; FloatMode: 240
; IeeeMode: 1
; LDSByteSize: 0 bytes/workgroup (compile time only)
; SGPRBlocks: 0
; VGPRBlocks: 0
; NumSGPRsForWavesPerEU: 6
; NumVGPRsForWavesPerEU: 1
; AccumOffset: 4
; Occupancy: 8
; WaveLimiterHint : 0
; COMPUTE_PGM_RSRC2:SCRATCH_EN: 0
; COMPUTE_PGM_RSRC2:USER_SGPR: 2
; COMPUTE_PGM_RSRC2:TRAP_HANDLER: 0
; COMPUTE_PGM_RSRC2:TGID_X_EN: 1
; COMPUTE_PGM_RSRC2:TGID_Y_EN: 0
; COMPUTE_PGM_RSRC2:TGID_Z_EN: 0
; COMPUTE_PGM_RSRC2:TIDIG_COMP_CNT: 0
; COMPUTE_PGM_RSRC3_GFX90A:ACCUM_OFFSET: 0
; COMPUTE_PGM_RSRC3_GFX90A:TG_SPLIT: 0
	.section	.text._ZN7rocprim17ROCPRIM_400000_NS6detail17trampoline_kernelINS0_14default_configENS1_38merge_sort_block_merge_config_selectorIisEEZZNS1_27merge_sort_block_merge_implIS3_N6thrust23THRUST_200600_302600_NS10device_ptrIiEENS9_IsEEjNS1_19radix_merge_compareILb0ELb1EiNS0_19identity_decomposerEEEEE10hipError_tT0_T1_T2_jT3_P12ihipStream_tbPNSt15iterator_traitsISG_E10value_typeEPNSM_ISH_E10value_typeEPSI_NS1_7vsmem_tEENKUlT_SG_SH_SI_E_clIPiSA_PsSB_EESF_SV_SG_SH_SI_EUlSV_E0_NS1_11comp_targetILNS1_3genE9ELNS1_11target_archE1100ELNS1_3gpuE3ELNS1_3repE0EEENS1_38merge_mergepath_config_static_selectorELNS0_4arch9wavefront6targetE1EEEvSH_,"axG",@progbits,_ZN7rocprim17ROCPRIM_400000_NS6detail17trampoline_kernelINS0_14default_configENS1_38merge_sort_block_merge_config_selectorIisEEZZNS1_27merge_sort_block_merge_implIS3_N6thrust23THRUST_200600_302600_NS10device_ptrIiEENS9_IsEEjNS1_19radix_merge_compareILb0ELb1EiNS0_19identity_decomposerEEEEE10hipError_tT0_T1_T2_jT3_P12ihipStream_tbPNSt15iterator_traitsISG_E10value_typeEPNSM_ISH_E10value_typeEPSI_NS1_7vsmem_tEENKUlT_SG_SH_SI_E_clIPiSA_PsSB_EESF_SV_SG_SH_SI_EUlSV_E0_NS1_11comp_targetILNS1_3genE9ELNS1_11target_archE1100ELNS1_3gpuE3ELNS1_3repE0EEENS1_38merge_mergepath_config_static_selectorELNS0_4arch9wavefront6targetE1EEEvSH_,comdat
	.protected	_ZN7rocprim17ROCPRIM_400000_NS6detail17trampoline_kernelINS0_14default_configENS1_38merge_sort_block_merge_config_selectorIisEEZZNS1_27merge_sort_block_merge_implIS3_N6thrust23THRUST_200600_302600_NS10device_ptrIiEENS9_IsEEjNS1_19radix_merge_compareILb0ELb1EiNS0_19identity_decomposerEEEEE10hipError_tT0_T1_T2_jT3_P12ihipStream_tbPNSt15iterator_traitsISG_E10value_typeEPNSM_ISH_E10value_typeEPSI_NS1_7vsmem_tEENKUlT_SG_SH_SI_E_clIPiSA_PsSB_EESF_SV_SG_SH_SI_EUlSV_E0_NS1_11comp_targetILNS1_3genE9ELNS1_11target_archE1100ELNS1_3gpuE3ELNS1_3repE0EEENS1_38merge_mergepath_config_static_selectorELNS0_4arch9wavefront6targetE1EEEvSH_ ; -- Begin function _ZN7rocprim17ROCPRIM_400000_NS6detail17trampoline_kernelINS0_14default_configENS1_38merge_sort_block_merge_config_selectorIisEEZZNS1_27merge_sort_block_merge_implIS3_N6thrust23THRUST_200600_302600_NS10device_ptrIiEENS9_IsEEjNS1_19radix_merge_compareILb0ELb1EiNS0_19identity_decomposerEEEEE10hipError_tT0_T1_T2_jT3_P12ihipStream_tbPNSt15iterator_traitsISG_E10value_typeEPNSM_ISH_E10value_typeEPSI_NS1_7vsmem_tEENKUlT_SG_SH_SI_E_clIPiSA_PsSB_EESF_SV_SG_SH_SI_EUlSV_E0_NS1_11comp_targetILNS1_3genE9ELNS1_11target_archE1100ELNS1_3gpuE3ELNS1_3repE0EEENS1_38merge_mergepath_config_static_selectorELNS0_4arch9wavefront6targetE1EEEvSH_
	.globl	_ZN7rocprim17ROCPRIM_400000_NS6detail17trampoline_kernelINS0_14default_configENS1_38merge_sort_block_merge_config_selectorIisEEZZNS1_27merge_sort_block_merge_implIS3_N6thrust23THRUST_200600_302600_NS10device_ptrIiEENS9_IsEEjNS1_19radix_merge_compareILb0ELb1EiNS0_19identity_decomposerEEEEE10hipError_tT0_T1_T2_jT3_P12ihipStream_tbPNSt15iterator_traitsISG_E10value_typeEPNSM_ISH_E10value_typeEPSI_NS1_7vsmem_tEENKUlT_SG_SH_SI_E_clIPiSA_PsSB_EESF_SV_SG_SH_SI_EUlSV_E0_NS1_11comp_targetILNS1_3genE9ELNS1_11target_archE1100ELNS1_3gpuE3ELNS1_3repE0EEENS1_38merge_mergepath_config_static_selectorELNS0_4arch9wavefront6targetE1EEEvSH_
	.p2align	8
	.type	_ZN7rocprim17ROCPRIM_400000_NS6detail17trampoline_kernelINS0_14default_configENS1_38merge_sort_block_merge_config_selectorIisEEZZNS1_27merge_sort_block_merge_implIS3_N6thrust23THRUST_200600_302600_NS10device_ptrIiEENS9_IsEEjNS1_19radix_merge_compareILb0ELb1EiNS0_19identity_decomposerEEEEE10hipError_tT0_T1_T2_jT3_P12ihipStream_tbPNSt15iterator_traitsISG_E10value_typeEPNSM_ISH_E10value_typeEPSI_NS1_7vsmem_tEENKUlT_SG_SH_SI_E_clIPiSA_PsSB_EESF_SV_SG_SH_SI_EUlSV_E0_NS1_11comp_targetILNS1_3genE9ELNS1_11target_archE1100ELNS1_3gpuE3ELNS1_3repE0EEENS1_38merge_mergepath_config_static_selectorELNS0_4arch9wavefront6targetE1EEEvSH_,@function
_ZN7rocprim17ROCPRIM_400000_NS6detail17trampoline_kernelINS0_14default_configENS1_38merge_sort_block_merge_config_selectorIisEEZZNS1_27merge_sort_block_merge_implIS3_N6thrust23THRUST_200600_302600_NS10device_ptrIiEENS9_IsEEjNS1_19radix_merge_compareILb0ELb1EiNS0_19identity_decomposerEEEEE10hipError_tT0_T1_T2_jT3_P12ihipStream_tbPNSt15iterator_traitsISG_E10value_typeEPNSM_ISH_E10value_typeEPSI_NS1_7vsmem_tEENKUlT_SG_SH_SI_E_clIPiSA_PsSB_EESF_SV_SG_SH_SI_EUlSV_E0_NS1_11comp_targetILNS1_3genE9ELNS1_11target_archE1100ELNS1_3gpuE3ELNS1_3repE0EEENS1_38merge_mergepath_config_static_selectorELNS0_4arch9wavefront6targetE1EEEvSH_: ; @_ZN7rocprim17ROCPRIM_400000_NS6detail17trampoline_kernelINS0_14default_configENS1_38merge_sort_block_merge_config_selectorIisEEZZNS1_27merge_sort_block_merge_implIS3_N6thrust23THRUST_200600_302600_NS10device_ptrIiEENS9_IsEEjNS1_19radix_merge_compareILb0ELb1EiNS0_19identity_decomposerEEEEE10hipError_tT0_T1_T2_jT3_P12ihipStream_tbPNSt15iterator_traitsISG_E10value_typeEPNSM_ISH_E10value_typeEPSI_NS1_7vsmem_tEENKUlT_SG_SH_SI_E_clIPiSA_PsSB_EESF_SV_SG_SH_SI_EUlSV_E0_NS1_11comp_targetILNS1_3genE9ELNS1_11target_archE1100ELNS1_3gpuE3ELNS1_3repE0EEENS1_38merge_mergepath_config_static_selectorELNS0_4arch9wavefront6targetE1EEEvSH_
; %bb.0:
	.section	.rodata,"a",@progbits
	.p2align	6, 0x0
	.amdhsa_kernel _ZN7rocprim17ROCPRIM_400000_NS6detail17trampoline_kernelINS0_14default_configENS1_38merge_sort_block_merge_config_selectorIisEEZZNS1_27merge_sort_block_merge_implIS3_N6thrust23THRUST_200600_302600_NS10device_ptrIiEENS9_IsEEjNS1_19radix_merge_compareILb0ELb1EiNS0_19identity_decomposerEEEEE10hipError_tT0_T1_T2_jT3_P12ihipStream_tbPNSt15iterator_traitsISG_E10value_typeEPNSM_ISH_E10value_typeEPSI_NS1_7vsmem_tEENKUlT_SG_SH_SI_E_clIPiSA_PsSB_EESF_SV_SG_SH_SI_EUlSV_E0_NS1_11comp_targetILNS1_3genE9ELNS1_11target_archE1100ELNS1_3gpuE3ELNS1_3repE0EEENS1_38merge_mergepath_config_static_selectorELNS0_4arch9wavefront6targetE1EEEvSH_
		.amdhsa_group_segment_fixed_size 0
		.amdhsa_private_segment_fixed_size 0
		.amdhsa_kernarg_size 64
		.amdhsa_user_sgpr_count 2
		.amdhsa_user_sgpr_dispatch_ptr 0
		.amdhsa_user_sgpr_queue_ptr 0
		.amdhsa_user_sgpr_kernarg_segment_ptr 1
		.amdhsa_user_sgpr_dispatch_id 0
		.amdhsa_user_sgpr_kernarg_preload_length 0
		.amdhsa_user_sgpr_kernarg_preload_offset 0
		.amdhsa_user_sgpr_private_segment_size 0
		.amdhsa_uses_dynamic_stack 0
		.amdhsa_enable_private_segment 0
		.amdhsa_system_sgpr_workgroup_id_x 1
		.amdhsa_system_sgpr_workgroup_id_y 0
		.amdhsa_system_sgpr_workgroup_id_z 0
		.amdhsa_system_sgpr_workgroup_info 0
		.amdhsa_system_vgpr_workitem_id 0
		.amdhsa_next_free_vgpr 1
		.amdhsa_next_free_sgpr 0
		.amdhsa_accum_offset 4
		.amdhsa_reserve_vcc 0
		.amdhsa_float_round_mode_32 0
		.amdhsa_float_round_mode_16_64 0
		.amdhsa_float_denorm_mode_32 3
		.amdhsa_float_denorm_mode_16_64 3
		.amdhsa_dx10_clamp 1
		.amdhsa_ieee_mode 1
		.amdhsa_fp16_overflow 0
		.amdhsa_tg_split 0
		.amdhsa_exception_fp_ieee_invalid_op 0
		.amdhsa_exception_fp_denorm_src 0
		.amdhsa_exception_fp_ieee_div_zero 0
		.amdhsa_exception_fp_ieee_overflow 0
		.amdhsa_exception_fp_ieee_underflow 0
		.amdhsa_exception_fp_ieee_inexact 0
		.amdhsa_exception_int_div_zero 0
	.end_amdhsa_kernel
	.section	.text._ZN7rocprim17ROCPRIM_400000_NS6detail17trampoline_kernelINS0_14default_configENS1_38merge_sort_block_merge_config_selectorIisEEZZNS1_27merge_sort_block_merge_implIS3_N6thrust23THRUST_200600_302600_NS10device_ptrIiEENS9_IsEEjNS1_19radix_merge_compareILb0ELb1EiNS0_19identity_decomposerEEEEE10hipError_tT0_T1_T2_jT3_P12ihipStream_tbPNSt15iterator_traitsISG_E10value_typeEPNSM_ISH_E10value_typeEPSI_NS1_7vsmem_tEENKUlT_SG_SH_SI_E_clIPiSA_PsSB_EESF_SV_SG_SH_SI_EUlSV_E0_NS1_11comp_targetILNS1_3genE9ELNS1_11target_archE1100ELNS1_3gpuE3ELNS1_3repE0EEENS1_38merge_mergepath_config_static_selectorELNS0_4arch9wavefront6targetE1EEEvSH_,"axG",@progbits,_ZN7rocprim17ROCPRIM_400000_NS6detail17trampoline_kernelINS0_14default_configENS1_38merge_sort_block_merge_config_selectorIisEEZZNS1_27merge_sort_block_merge_implIS3_N6thrust23THRUST_200600_302600_NS10device_ptrIiEENS9_IsEEjNS1_19radix_merge_compareILb0ELb1EiNS0_19identity_decomposerEEEEE10hipError_tT0_T1_T2_jT3_P12ihipStream_tbPNSt15iterator_traitsISG_E10value_typeEPNSM_ISH_E10value_typeEPSI_NS1_7vsmem_tEENKUlT_SG_SH_SI_E_clIPiSA_PsSB_EESF_SV_SG_SH_SI_EUlSV_E0_NS1_11comp_targetILNS1_3genE9ELNS1_11target_archE1100ELNS1_3gpuE3ELNS1_3repE0EEENS1_38merge_mergepath_config_static_selectorELNS0_4arch9wavefront6targetE1EEEvSH_,comdat
.Lfunc_end2370:
	.size	_ZN7rocprim17ROCPRIM_400000_NS6detail17trampoline_kernelINS0_14default_configENS1_38merge_sort_block_merge_config_selectorIisEEZZNS1_27merge_sort_block_merge_implIS3_N6thrust23THRUST_200600_302600_NS10device_ptrIiEENS9_IsEEjNS1_19radix_merge_compareILb0ELb1EiNS0_19identity_decomposerEEEEE10hipError_tT0_T1_T2_jT3_P12ihipStream_tbPNSt15iterator_traitsISG_E10value_typeEPNSM_ISH_E10value_typeEPSI_NS1_7vsmem_tEENKUlT_SG_SH_SI_E_clIPiSA_PsSB_EESF_SV_SG_SH_SI_EUlSV_E0_NS1_11comp_targetILNS1_3genE9ELNS1_11target_archE1100ELNS1_3gpuE3ELNS1_3repE0EEENS1_38merge_mergepath_config_static_selectorELNS0_4arch9wavefront6targetE1EEEvSH_, .Lfunc_end2370-_ZN7rocprim17ROCPRIM_400000_NS6detail17trampoline_kernelINS0_14default_configENS1_38merge_sort_block_merge_config_selectorIisEEZZNS1_27merge_sort_block_merge_implIS3_N6thrust23THRUST_200600_302600_NS10device_ptrIiEENS9_IsEEjNS1_19radix_merge_compareILb0ELb1EiNS0_19identity_decomposerEEEEE10hipError_tT0_T1_T2_jT3_P12ihipStream_tbPNSt15iterator_traitsISG_E10value_typeEPNSM_ISH_E10value_typeEPSI_NS1_7vsmem_tEENKUlT_SG_SH_SI_E_clIPiSA_PsSB_EESF_SV_SG_SH_SI_EUlSV_E0_NS1_11comp_targetILNS1_3genE9ELNS1_11target_archE1100ELNS1_3gpuE3ELNS1_3repE0EEENS1_38merge_mergepath_config_static_selectorELNS0_4arch9wavefront6targetE1EEEvSH_
                                        ; -- End function
	.set _ZN7rocprim17ROCPRIM_400000_NS6detail17trampoline_kernelINS0_14default_configENS1_38merge_sort_block_merge_config_selectorIisEEZZNS1_27merge_sort_block_merge_implIS3_N6thrust23THRUST_200600_302600_NS10device_ptrIiEENS9_IsEEjNS1_19radix_merge_compareILb0ELb1EiNS0_19identity_decomposerEEEEE10hipError_tT0_T1_T2_jT3_P12ihipStream_tbPNSt15iterator_traitsISG_E10value_typeEPNSM_ISH_E10value_typeEPSI_NS1_7vsmem_tEENKUlT_SG_SH_SI_E_clIPiSA_PsSB_EESF_SV_SG_SH_SI_EUlSV_E0_NS1_11comp_targetILNS1_3genE9ELNS1_11target_archE1100ELNS1_3gpuE3ELNS1_3repE0EEENS1_38merge_mergepath_config_static_selectorELNS0_4arch9wavefront6targetE1EEEvSH_.num_vgpr, 0
	.set _ZN7rocprim17ROCPRIM_400000_NS6detail17trampoline_kernelINS0_14default_configENS1_38merge_sort_block_merge_config_selectorIisEEZZNS1_27merge_sort_block_merge_implIS3_N6thrust23THRUST_200600_302600_NS10device_ptrIiEENS9_IsEEjNS1_19radix_merge_compareILb0ELb1EiNS0_19identity_decomposerEEEEE10hipError_tT0_T1_T2_jT3_P12ihipStream_tbPNSt15iterator_traitsISG_E10value_typeEPNSM_ISH_E10value_typeEPSI_NS1_7vsmem_tEENKUlT_SG_SH_SI_E_clIPiSA_PsSB_EESF_SV_SG_SH_SI_EUlSV_E0_NS1_11comp_targetILNS1_3genE9ELNS1_11target_archE1100ELNS1_3gpuE3ELNS1_3repE0EEENS1_38merge_mergepath_config_static_selectorELNS0_4arch9wavefront6targetE1EEEvSH_.num_agpr, 0
	.set _ZN7rocprim17ROCPRIM_400000_NS6detail17trampoline_kernelINS0_14default_configENS1_38merge_sort_block_merge_config_selectorIisEEZZNS1_27merge_sort_block_merge_implIS3_N6thrust23THRUST_200600_302600_NS10device_ptrIiEENS9_IsEEjNS1_19radix_merge_compareILb0ELb1EiNS0_19identity_decomposerEEEEE10hipError_tT0_T1_T2_jT3_P12ihipStream_tbPNSt15iterator_traitsISG_E10value_typeEPNSM_ISH_E10value_typeEPSI_NS1_7vsmem_tEENKUlT_SG_SH_SI_E_clIPiSA_PsSB_EESF_SV_SG_SH_SI_EUlSV_E0_NS1_11comp_targetILNS1_3genE9ELNS1_11target_archE1100ELNS1_3gpuE3ELNS1_3repE0EEENS1_38merge_mergepath_config_static_selectorELNS0_4arch9wavefront6targetE1EEEvSH_.numbered_sgpr, 0
	.set _ZN7rocprim17ROCPRIM_400000_NS6detail17trampoline_kernelINS0_14default_configENS1_38merge_sort_block_merge_config_selectorIisEEZZNS1_27merge_sort_block_merge_implIS3_N6thrust23THRUST_200600_302600_NS10device_ptrIiEENS9_IsEEjNS1_19radix_merge_compareILb0ELb1EiNS0_19identity_decomposerEEEEE10hipError_tT0_T1_T2_jT3_P12ihipStream_tbPNSt15iterator_traitsISG_E10value_typeEPNSM_ISH_E10value_typeEPSI_NS1_7vsmem_tEENKUlT_SG_SH_SI_E_clIPiSA_PsSB_EESF_SV_SG_SH_SI_EUlSV_E0_NS1_11comp_targetILNS1_3genE9ELNS1_11target_archE1100ELNS1_3gpuE3ELNS1_3repE0EEENS1_38merge_mergepath_config_static_selectorELNS0_4arch9wavefront6targetE1EEEvSH_.num_named_barrier, 0
	.set _ZN7rocprim17ROCPRIM_400000_NS6detail17trampoline_kernelINS0_14default_configENS1_38merge_sort_block_merge_config_selectorIisEEZZNS1_27merge_sort_block_merge_implIS3_N6thrust23THRUST_200600_302600_NS10device_ptrIiEENS9_IsEEjNS1_19radix_merge_compareILb0ELb1EiNS0_19identity_decomposerEEEEE10hipError_tT0_T1_T2_jT3_P12ihipStream_tbPNSt15iterator_traitsISG_E10value_typeEPNSM_ISH_E10value_typeEPSI_NS1_7vsmem_tEENKUlT_SG_SH_SI_E_clIPiSA_PsSB_EESF_SV_SG_SH_SI_EUlSV_E0_NS1_11comp_targetILNS1_3genE9ELNS1_11target_archE1100ELNS1_3gpuE3ELNS1_3repE0EEENS1_38merge_mergepath_config_static_selectorELNS0_4arch9wavefront6targetE1EEEvSH_.private_seg_size, 0
	.set _ZN7rocprim17ROCPRIM_400000_NS6detail17trampoline_kernelINS0_14default_configENS1_38merge_sort_block_merge_config_selectorIisEEZZNS1_27merge_sort_block_merge_implIS3_N6thrust23THRUST_200600_302600_NS10device_ptrIiEENS9_IsEEjNS1_19radix_merge_compareILb0ELb1EiNS0_19identity_decomposerEEEEE10hipError_tT0_T1_T2_jT3_P12ihipStream_tbPNSt15iterator_traitsISG_E10value_typeEPNSM_ISH_E10value_typeEPSI_NS1_7vsmem_tEENKUlT_SG_SH_SI_E_clIPiSA_PsSB_EESF_SV_SG_SH_SI_EUlSV_E0_NS1_11comp_targetILNS1_3genE9ELNS1_11target_archE1100ELNS1_3gpuE3ELNS1_3repE0EEENS1_38merge_mergepath_config_static_selectorELNS0_4arch9wavefront6targetE1EEEvSH_.uses_vcc, 0
	.set _ZN7rocprim17ROCPRIM_400000_NS6detail17trampoline_kernelINS0_14default_configENS1_38merge_sort_block_merge_config_selectorIisEEZZNS1_27merge_sort_block_merge_implIS3_N6thrust23THRUST_200600_302600_NS10device_ptrIiEENS9_IsEEjNS1_19radix_merge_compareILb0ELb1EiNS0_19identity_decomposerEEEEE10hipError_tT0_T1_T2_jT3_P12ihipStream_tbPNSt15iterator_traitsISG_E10value_typeEPNSM_ISH_E10value_typeEPSI_NS1_7vsmem_tEENKUlT_SG_SH_SI_E_clIPiSA_PsSB_EESF_SV_SG_SH_SI_EUlSV_E0_NS1_11comp_targetILNS1_3genE9ELNS1_11target_archE1100ELNS1_3gpuE3ELNS1_3repE0EEENS1_38merge_mergepath_config_static_selectorELNS0_4arch9wavefront6targetE1EEEvSH_.uses_flat_scratch, 0
	.set _ZN7rocprim17ROCPRIM_400000_NS6detail17trampoline_kernelINS0_14default_configENS1_38merge_sort_block_merge_config_selectorIisEEZZNS1_27merge_sort_block_merge_implIS3_N6thrust23THRUST_200600_302600_NS10device_ptrIiEENS9_IsEEjNS1_19radix_merge_compareILb0ELb1EiNS0_19identity_decomposerEEEEE10hipError_tT0_T1_T2_jT3_P12ihipStream_tbPNSt15iterator_traitsISG_E10value_typeEPNSM_ISH_E10value_typeEPSI_NS1_7vsmem_tEENKUlT_SG_SH_SI_E_clIPiSA_PsSB_EESF_SV_SG_SH_SI_EUlSV_E0_NS1_11comp_targetILNS1_3genE9ELNS1_11target_archE1100ELNS1_3gpuE3ELNS1_3repE0EEENS1_38merge_mergepath_config_static_selectorELNS0_4arch9wavefront6targetE1EEEvSH_.has_dyn_sized_stack, 0
	.set _ZN7rocprim17ROCPRIM_400000_NS6detail17trampoline_kernelINS0_14default_configENS1_38merge_sort_block_merge_config_selectorIisEEZZNS1_27merge_sort_block_merge_implIS3_N6thrust23THRUST_200600_302600_NS10device_ptrIiEENS9_IsEEjNS1_19radix_merge_compareILb0ELb1EiNS0_19identity_decomposerEEEEE10hipError_tT0_T1_T2_jT3_P12ihipStream_tbPNSt15iterator_traitsISG_E10value_typeEPNSM_ISH_E10value_typeEPSI_NS1_7vsmem_tEENKUlT_SG_SH_SI_E_clIPiSA_PsSB_EESF_SV_SG_SH_SI_EUlSV_E0_NS1_11comp_targetILNS1_3genE9ELNS1_11target_archE1100ELNS1_3gpuE3ELNS1_3repE0EEENS1_38merge_mergepath_config_static_selectorELNS0_4arch9wavefront6targetE1EEEvSH_.has_recursion, 0
	.set _ZN7rocprim17ROCPRIM_400000_NS6detail17trampoline_kernelINS0_14default_configENS1_38merge_sort_block_merge_config_selectorIisEEZZNS1_27merge_sort_block_merge_implIS3_N6thrust23THRUST_200600_302600_NS10device_ptrIiEENS9_IsEEjNS1_19radix_merge_compareILb0ELb1EiNS0_19identity_decomposerEEEEE10hipError_tT0_T1_T2_jT3_P12ihipStream_tbPNSt15iterator_traitsISG_E10value_typeEPNSM_ISH_E10value_typeEPSI_NS1_7vsmem_tEENKUlT_SG_SH_SI_E_clIPiSA_PsSB_EESF_SV_SG_SH_SI_EUlSV_E0_NS1_11comp_targetILNS1_3genE9ELNS1_11target_archE1100ELNS1_3gpuE3ELNS1_3repE0EEENS1_38merge_mergepath_config_static_selectorELNS0_4arch9wavefront6targetE1EEEvSH_.has_indirect_call, 0
	.section	.AMDGPU.csdata,"",@progbits
; Kernel info:
; codeLenInByte = 0
; TotalNumSgprs: 6
; NumVgprs: 0
; NumAgprs: 0
; TotalNumVgprs: 0
; ScratchSize: 0
; MemoryBound: 0
; FloatMode: 240
; IeeeMode: 1
; LDSByteSize: 0 bytes/workgroup (compile time only)
; SGPRBlocks: 0
; VGPRBlocks: 0
; NumSGPRsForWavesPerEU: 6
; NumVGPRsForWavesPerEU: 1
; AccumOffset: 4
; Occupancy: 8
; WaveLimiterHint : 0
; COMPUTE_PGM_RSRC2:SCRATCH_EN: 0
; COMPUTE_PGM_RSRC2:USER_SGPR: 2
; COMPUTE_PGM_RSRC2:TRAP_HANDLER: 0
; COMPUTE_PGM_RSRC2:TGID_X_EN: 1
; COMPUTE_PGM_RSRC2:TGID_Y_EN: 0
; COMPUTE_PGM_RSRC2:TGID_Z_EN: 0
; COMPUTE_PGM_RSRC2:TIDIG_COMP_CNT: 0
; COMPUTE_PGM_RSRC3_GFX90A:ACCUM_OFFSET: 0
; COMPUTE_PGM_RSRC3_GFX90A:TG_SPLIT: 0
	.section	.text._ZN7rocprim17ROCPRIM_400000_NS6detail17trampoline_kernelINS0_14default_configENS1_38merge_sort_block_merge_config_selectorIisEEZZNS1_27merge_sort_block_merge_implIS3_N6thrust23THRUST_200600_302600_NS10device_ptrIiEENS9_IsEEjNS1_19radix_merge_compareILb0ELb1EiNS0_19identity_decomposerEEEEE10hipError_tT0_T1_T2_jT3_P12ihipStream_tbPNSt15iterator_traitsISG_E10value_typeEPNSM_ISH_E10value_typeEPSI_NS1_7vsmem_tEENKUlT_SG_SH_SI_E_clIPiSA_PsSB_EESF_SV_SG_SH_SI_EUlSV_E0_NS1_11comp_targetILNS1_3genE8ELNS1_11target_archE1030ELNS1_3gpuE2ELNS1_3repE0EEENS1_38merge_mergepath_config_static_selectorELNS0_4arch9wavefront6targetE1EEEvSH_,"axG",@progbits,_ZN7rocprim17ROCPRIM_400000_NS6detail17trampoline_kernelINS0_14default_configENS1_38merge_sort_block_merge_config_selectorIisEEZZNS1_27merge_sort_block_merge_implIS3_N6thrust23THRUST_200600_302600_NS10device_ptrIiEENS9_IsEEjNS1_19radix_merge_compareILb0ELb1EiNS0_19identity_decomposerEEEEE10hipError_tT0_T1_T2_jT3_P12ihipStream_tbPNSt15iterator_traitsISG_E10value_typeEPNSM_ISH_E10value_typeEPSI_NS1_7vsmem_tEENKUlT_SG_SH_SI_E_clIPiSA_PsSB_EESF_SV_SG_SH_SI_EUlSV_E0_NS1_11comp_targetILNS1_3genE8ELNS1_11target_archE1030ELNS1_3gpuE2ELNS1_3repE0EEENS1_38merge_mergepath_config_static_selectorELNS0_4arch9wavefront6targetE1EEEvSH_,comdat
	.protected	_ZN7rocprim17ROCPRIM_400000_NS6detail17trampoline_kernelINS0_14default_configENS1_38merge_sort_block_merge_config_selectorIisEEZZNS1_27merge_sort_block_merge_implIS3_N6thrust23THRUST_200600_302600_NS10device_ptrIiEENS9_IsEEjNS1_19radix_merge_compareILb0ELb1EiNS0_19identity_decomposerEEEEE10hipError_tT0_T1_T2_jT3_P12ihipStream_tbPNSt15iterator_traitsISG_E10value_typeEPNSM_ISH_E10value_typeEPSI_NS1_7vsmem_tEENKUlT_SG_SH_SI_E_clIPiSA_PsSB_EESF_SV_SG_SH_SI_EUlSV_E0_NS1_11comp_targetILNS1_3genE8ELNS1_11target_archE1030ELNS1_3gpuE2ELNS1_3repE0EEENS1_38merge_mergepath_config_static_selectorELNS0_4arch9wavefront6targetE1EEEvSH_ ; -- Begin function _ZN7rocprim17ROCPRIM_400000_NS6detail17trampoline_kernelINS0_14default_configENS1_38merge_sort_block_merge_config_selectorIisEEZZNS1_27merge_sort_block_merge_implIS3_N6thrust23THRUST_200600_302600_NS10device_ptrIiEENS9_IsEEjNS1_19radix_merge_compareILb0ELb1EiNS0_19identity_decomposerEEEEE10hipError_tT0_T1_T2_jT3_P12ihipStream_tbPNSt15iterator_traitsISG_E10value_typeEPNSM_ISH_E10value_typeEPSI_NS1_7vsmem_tEENKUlT_SG_SH_SI_E_clIPiSA_PsSB_EESF_SV_SG_SH_SI_EUlSV_E0_NS1_11comp_targetILNS1_3genE8ELNS1_11target_archE1030ELNS1_3gpuE2ELNS1_3repE0EEENS1_38merge_mergepath_config_static_selectorELNS0_4arch9wavefront6targetE1EEEvSH_
	.globl	_ZN7rocprim17ROCPRIM_400000_NS6detail17trampoline_kernelINS0_14default_configENS1_38merge_sort_block_merge_config_selectorIisEEZZNS1_27merge_sort_block_merge_implIS3_N6thrust23THRUST_200600_302600_NS10device_ptrIiEENS9_IsEEjNS1_19radix_merge_compareILb0ELb1EiNS0_19identity_decomposerEEEEE10hipError_tT0_T1_T2_jT3_P12ihipStream_tbPNSt15iterator_traitsISG_E10value_typeEPNSM_ISH_E10value_typeEPSI_NS1_7vsmem_tEENKUlT_SG_SH_SI_E_clIPiSA_PsSB_EESF_SV_SG_SH_SI_EUlSV_E0_NS1_11comp_targetILNS1_3genE8ELNS1_11target_archE1030ELNS1_3gpuE2ELNS1_3repE0EEENS1_38merge_mergepath_config_static_selectorELNS0_4arch9wavefront6targetE1EEEvSH_
	.p2align	8
	.type	_ZN7rocprim17ROCPRIM_400000_NS6detail17trampoline_kernelINS0_14default_configENS1_38merge_sort_block_merge_config_selectorIisEEZZNS1_27merge_sort_block_merge_implIS3_N6thrust23THRUST_200600_302600_NS10device_ptrIiEENS9_IsEEjNS1_19radix_merge_compareILb0ELb1EiNS0_19identity_decomposerEEEEE10hipError_tT0_T1_T2_jT3_P12ihipStream_tbPNSt15iterator_traitsISG_E10value_typeEPNSM_ISH_E10value_typeEPSI_NS1_7vsmem_tEENKUlT_SG_SH_SI_E_clIPiSA_PsSB_EESF_SV_SG_SH_SI_EUlSV_E0_NS1_11comp_targetILNS1_3genE8ELNS1_11target_archE1030ELNS1_3gpuE2ELNS1_3repE0EEENS1_38merge_mergepath_config_static_selectorELNS0_4arch9wavefront6targetE1EEEvSH_,@function
_ZN7rocprim17ROCPRIM_400000_NS6detail17trampoline_kernelINS0_14default_configENS1_38merge_sort_block_merge_config_selectorIisEEZZNS1_27merge_sort_block_merge_implIS3_N6thrust23THRUST_200600_302600_NS10device_ptrIiEENS9_IsEEjNS1_19radix_merge_compareILb0ELb1EiNS0_19identity_decomposerEEEEE10hipError_tT0_T1_T2_jT3_P12ihipStream_tbPNSt15iterator_traitsISG_E10value_typeEPNSM_ISH_E10value_typeEPSI_NS1_7vsmem_tEENKUlT_SG_SH_SI_E_clIPiSA_PsSB_EESF_SV_SG_SH_SI_EUlSV_E0_NS1_11comp_targetILNS1_3genE8ELNS1_11target_archE1030ELNS1_3gpuE2ELNS1_3repE0EEENS1_38merge_mergepath_config_static_selectorELNS0_4arch9wavefront6targetE1EEEvSH_: ; @_ZN7rocprim17ROCPRIM_400000_NS6detail17trampoline_kernelINS0_14default_configENS1_38merge_sort_block_merge_config_selectorIisEEZZNS1_27merge_sort_block_merge_implIS3_N6thrust23THRUST_200600_302600_NS10device_ptrIiEENS9_IsEEjNS1_19radix_merge_compareILb0ELb1EiNS0_19identity_decomposerEEEEE10hipError_tT0_T1_T2_jT3_P12ihipStream_tbPNSt15iterator_traitsISG_E10value_typeEPNSM_ISH_E10value_typeEPSI_NS1_7vsmem_tEENKUlT_SG_SH_SI_E_clIPiSA_PsSB_EESF_SV_SG_SH_SI_EUlSV_E0_NS1_11comp_targetILNS1_3genE8ELNS1_11target_archE1030ELNS1_3gpuE2ELNS1_3repE0EEENS1_38merge_mergepath_config_static_selectorELNS0_4arch9wavefront6targetE1EEEvSH_
; %bb.0:
	.section	.rodata,"a",@progbits
	.p2align	6, 0x0
	.amdhsa_kernel _ZN7rocprim17ROCPRIM_400000_NS6detail17trampoline_kernelINS0_14default_configENS1_38merge_sort_block_merge_config_selectorIisEEZZNS1_27merge_sort_block_merge_implIS3_N6thrust23THRUST_200600_302600_NS10device_ptrIiEENS9_IsEEjNS1_19radix_merge_compareILb0ELb1EiNS0_19identity_decomposerEEEEE10hipError_tT0_T1_T2_jT3_P12ihipStream_tbPNSt15iterator_traitsISG_E10value_typeEPNSM_ISH_E10value_typeEPSI_NS1_7vsmem_tEENKUlT_SG_SH_SI_E_clIPiSA_PsSB_EESF_SV_SG_SH_SI_EUlSV_E0_NS1_11comp_targetILNS1_3genE8ELNS1_11target_archE1030ELNS1_3gpuE2ELNS1_3repE0EEENS1_38merge_mergepath_config_static_selectorELNS0_4arch9wavefront6targetE1EEEvSH_
		.amdhsa_group_segment_fixed_size 0
		.amdhsa_private_segment_fixed_size 0
		.amdhsa_kernarg_size 64
		.amdhsa_user_sgpr_count 2
		.amdhsa_user_sgpr_dispatch_ptr 0
		.amdhsa_user_sgpr_queue_ptr 0
		.amdhsa_user_sgpr_kernarg_segment_ptr 1
		.amdhsa_user_sgpr_dispatch_id 0
		.amdhsa_user_sgpr_kernarg_preload_length 0
		.amdhsa_user_sgpr_kernarg_preload_offset 0
		.amdhsa_user_sgpr_private_segment_size 0
		.amdhsa_uses_dynamic_stack 0
		.amdhsa_enable_private_segment 0
		.amdhsa_system_sgpr_workgroup_id_x 1
		.amdhsa_system_sgpr_workgroup_id_y 0
		.amdhsa_system_sgpr_workgroup_id_z 0
		.amdhsa_system_sgpr_workgroup_info 0
		.amdhsa_system_vgpr_workitem_id 0
		.amdhsa_next_free_vgpr 1
		.amdhsa_next_free_sgpr 0
		.amdhsa_accum_offset 4
		.amdhsa_reserve_vcc 0
		.amdhsa_float_round_mode_32 0
		.amdhsa_float_round_mode_16_64 0
		.amdhsa_float_denorm_mode_32 3
		.amdhsa_float_denorm_mode_16_64 3
		.amdhsa_dx10_clamp 1
		.amdhsa_ieee_mode 1
		.amdhsa_fp16_overflow 0
		.amdhsa_tg_split 0
		.amdhsa_exception_fp_ieee_invalid_op 0
		.amdhsa_exception_fp_denorm_src 0
		.amdhsa_exception_fp_ieee_div_zero 0
		.amdhsa_exception_fp_ieee_overflow 0
		.amdhsa_exception_fp_ieee_underflow 0
		.amdhsa_exception_fp_ieee_inexact 0
		.amdhsa_exception_int_div_zero 0
	.end_amdhsa_kernel
	.section	.text._ZN7rocprim17ROCPRIM_400000_NS6detail17trampoline_kernelINS0_14default_configENS1_38merge_sort_block_merge_config_selectorIisEEZZNS1_27merge_sort_block_merge_implIS3_N6thrust23THRUST_200600_302600_NS10device_ptrIiEENS9_IsEEjNS1_19radix_merge_compareILb0ELb1EiNS0_19identity_decomposerEEEEE10hipError_tT0_T1_T2_jT3_P12ihipStream_tbPNSt15iterator_traitsISG_E10value_typeEPNSM_ISH_E10value_typeEPSI_NS1_7vsmem_tEENKUlT_SG_SH_SI_E_clIPiSA_PsSB_EESF_SV_SG_SH_SI_EUlSV_E0_NS1_11comp_targetILNS1_3genE8ELNS1_11target_archE1030ELNS1_3gpuE2ELNS1_3repE0EEENS1_38merge_mergepath_config_static_selectorELNS0_4arch9wavefront6targetE1EEEvSH_,"axG",@progbits,_ZN7rocprim17ROCPRIM_400000_NS6detail17trampoline_kernelINS0_14default_configENS1_38merge_sort_block_merge_config_selectorIisEEZZNS1_27merge_sort_block_merge_implIS3_N6thrust23THRUST_200600_302600_NS10device_ptrIiEENS9_IsEEjNS1_19radix_merge_compareILb0ELb1EiNS0_19identity_decomposerEEEEE10hipError_tT0_T1_T2_jT3_P12ihipStream_tbPNSt15iterator_traitsISG_E10value_typeEPNSM_ISH_E10value_typeEPSI_NS1_7vsmem_tEENKUlT_SG_SH_SI_E_clIPiSA_PsSB_EESF_SV_SG_SH_SI_EUlSV_E0_NS1_11comp_targetILNS1_3genE8ELNS1_11target_archE1030ELNS1_3gpuE2ELNS1_3repE0EEENS1_38merge_mergepath_config_static_selectorELNS0_4arch9wavefront6targetE1EEEvSH_,comdat
.Lfunc_end2371:
	.size	_ZN7rocprim17ROCPRIM_400000_NS6detail17trampoline_kernelINS0_14default_configENS1_38merge_sort_block_merge_config_selectorIisEEZZNS1_27merge_sort_block_merge_implIS3_N6thrust23THRUST_200600_302600_NS10device_ptrIiEENS9_IsEEjNS1_19radix_merge_compareILb0ELb1EiNS0_19identity_decomposerEEEEE10hipError_tT0_T1_T2_jT3_P12ihipStream_tbPNSt15iterator_traitsISG_E10value_typeEPNSM_ISH_E10value_typeEPSI_NS1_7vsmem_tEENKUlT_SG_SH_SI_E_clIPiSA_PsSB_EESF_SV_SG_SH_SI_EUlSV_E0_NS1_11comp_targetILNS1_3genE8ELNS1_11target_archE1030ELNS1_3gpuE2ELNS1_3repE0EEENS1_38merge_mergepath_config_static_selectorELNS0_4arch9wavefront6targetE1EEEvSH_, .Lfunc_end2371-_ZN7rocprim17ROCPRIM_400000_NS6detail17trampoline_kernelINS0_14default_configENS1_38merge_sort_block_merge_config_selectorIisEEZZNS1_27merge_sort_block_merge_implIS3_N6thrust23THRUST_200600_302600_NS10device_ptrIiEENS9_IsEEjNS1_19radix_merge_compareILb0ELb1EiNS0_19identity_decomposerEEEEE10hipError_tT0_T1_T2_jT3_P12ihipStream_tbPNSt15iterator_traitsISG_E10value_typeEPNSM_ISH_E10value_typeEPSI_NS1_7vsmem_tEENKUlT_SG_SH_SI_E_clIPiSA_PsSB_EESF_SV_SG_SH_SI_EUlSV_E0_NS1_11comp_targetILNS1_3genE8ELNS1_11target_archE1030ELNS1_3gpuE2ELNS1_3repE0EEENS1_38merge_mergepath_config_static_selectorELNS0_4arch9wavefront6targetE1EEEvSH_
                                        ; -- End function
	.set _ZN7rocprim17ROCPRIM_400000_NS6detail17trampoline_kernelINS0_14default_configENS1_38merge_sort_block_merge_config_selectorIisEEZZNS1_27merge_sort_block_merge_implIS3_N6thrust23THRUST_200600_302600_NS10device_ptrIiEENS9_IsEEjNS1_19radix_merge_compareILb0ELb1EiNS0_19identity_decomposerEEEEE10hipError_tT0_T1_T2_jT3_P12ihipStream_tbPNSt15iterator_traitsISG_E10value_typeEPNSM_ISH_E10value_typeEPSI_NS1_7vsmem_tEENKUlT_SG_SH_SI_E_clIPiSA_PsSB_EESF_SV_SG_SH_SI_EUlSV_E0_NS1_11comp_targetILNS1_3genE8ELNS1_11target_archE1030ELNS1_3gpuE2ELNS1_3repE0EEENS1_38merge_mergepath_config_static_selectorELNS0_4arch9wavefront6targetE1EEEvSH_.num_vgpr, 0
	.set _ZN7rocprim17ROCPRIM_400000_NS6detail17trampoline_kernelINS0_14default_configENS1_38merge_sort_block_merge_config_selectorIisEEZZNS1_27merge_sort_block_merge_implIS3_N6thrust23THRUST_200600_302600_NS10device_ptrIiEENS9_IsEEjNS1_19radix_merge_compareILb0ELb1EiNS0_19identity_decomposerEEEEE10hipError_tT0_T1_T2_jT3_P12ihipStream_tbPNSt15iterator_traitsISG_E10value_typeEPNSM_ISH_E10value_typeEPSI_NS1_7vsmem_tEENKUlT_SG_SH_SI_E_clIPiSA_PsSB_EESF_SV_SG_SH_SI_EUlSV_E0_NS1_11comp_targetILNS1_3genE8ELNS1_11target_archE1030ELNS1_3gpuE2ELNS1_3repE0EEENS1_38merge_mergepath_config_static_selectorELNS0_4arch9wavefront6targetE1EEEvSH_.num_agpr, 0
	.set _ZN7rocprim17ROCPRIM_400000_NS6detail17trampoline_kernelINS0_14default_configENS1_38merge_sort_block_merge_config_selectorIisEEZZNS1_27merge_sort_block_merge_implIS3_N6thrust23THRUST_200600_302600_NS10device_ptrIiEENS9_IsEEjNS1_19radix_merge_compareILb0ELb1EiNS0_19identity_decomposerEEEEE10hipError_tT0_T1_T2_jT3_P12ihipStream_tbPNSt15iterator_traitsISG_E10value_typeEPNSM_ISH_E10value_typeEPSI_NS1_7vsmem_tEENKUlT_SG_SH_SI_E_clIPiSA_PsSB_EESF_SV_SG_SH_SI_EUlSV_E0_NS1_11comp_targetILNS1_3genE8ELNS1_11target_archE1030ELNS1_3gpuE2ELNS1_3repE0EEENS1_38merge_mergepath_config_static_selectorELNS0_4arch9wavefront6targetE1EEEvSH_.numbered_sgpr, 0
	.set _ZN7rocprim17ROCPRIM_400000_NS6detail17trampoline_kernelINS0_14default_configENS1_38merge_sort_block_merge_config_selectorIisEEZZNS1_27merge_sort_block_merge_implIS3_N6thrust23THRUST_200600_302600_NS10device_ptrIiEENS9_IsEEjNS1_19radix_merge_compareILb0ELb1EiNS0_19identity_decomposerEEEEE10hipError_tT0_T1_T2_jT3_P12ihipStream_tbPNSt15iterator_traitsISG_E10value_typeEPNSM_ISH_E10value_typeEPSI_NS1_7vsmem_tEENKUlT_SG_SH_SI_E_clIPiSA_PsSB_EESF_SV_SG_SH_SI_EUlSV_E0_NS1_11comp_targetILNS1_3genE8ELNS1_11target_archE1030ELNS1_3gpuE2ELNS1_3repE0EEENS1_38merge_mergepath_config_static_selectorELNS0_4arch9wavefront6targetE1EEEvSH_.num_named_barrier, 0
	.set _ZN7rocprim17ROCPRIM_400000_NS6detail17trampoline_kernelINS0_14default_configENS1_38merge_sort_block_merge_config_selectorIisEEZZNS1_27merge_sort_block_merge_implIS3_N6thrust23THRUST_200600_302600_NS10device_ptrIiEENS9_IsEEjNS1_19radix_merge_compareILb0ELb1EiNS0_19identity_decomposerEEEEE10hipError_tT0_T1_T2_jT3_P12ihipStream_tbPNSt15iterator_traitsISG_E10value_typeEPNSM_ISH_E10value_typeEPSI_NS1_7vsmem_tEENKUlT_SG_SH_SI_E_clIPiSA_PsSB_EESF_SV_SG_SH_SI_EUlSV_E0_NS1_11comp_targetILNS1_3genE8ELNS1_11target_archE1030ELNS1_3gpuE2ELNS1_3repE0EEENS1_38merge_mergepath_config_static_selectorELNS0_4arch9wavefront6targetE1EEEvSH_.private_seg_size, 0
	.set _ZN7rocprim17ROCPRIM_400000_NS6detail17trampoline_kernelINS0_14default_configENS1_38merge_sort_block_merge_config_selectorIisEEZZNS1_27merge_sort_block_merge_implIS3_N6thrust23THRUST_200600_302600_NS10device_ptrIiEENS9_IsEEjNS1_19radix_merge_compareILb0ELb1EiNS0_19identity_decomposerEEEEE10hipError_tT0_T1_T2_jT3_P12ihipStream_tbPNSt15iterator_traitsISG_E10value_typeEPNSM_ISH_E10value_typeEPSI_NS1_7vsmem_tEENKUlT_SG_SH_SI_E_clIPiSA_PsSB_EESF_SV_SG_SH_SI_EUlSV_E0_NS1_11comp_targetILNS1_3genE8ELNS1_11target_archE1030ELNS1_3gpuE2ELNS1_3repE0EEENS1_38merge_mergepath_config_static_selectorELNS0_4arch9wavefront6targetE1EEEvSH_.uses_vcc, 0
	.set _ZN7rocprim17ROCPRIM_400000_NS6detail17trampoline_kernelINS0_14default_configENS1_38merge_sort_block_merge_config_selectorIisEEZZNS1_27merge_sort_block_merge_implIS3_N6thrust23THRUST_200600_302600_NS10device_ptrIiEENS9_IsEEjNS1_19radix_merge_compareILb0ELb1EiNS0_19identity_decomposerEEEEE10hipError_tT0_T1_T2_jT3_P12ihipStream_tbPNSt15iterator_traitsISG_E10value_typeEPNSM_ISH_E10value_typeEPSI_NS1_7vsmem_tEENKUlT_SG_SH_SI_E_clIPiSA_PsSB_EESF_SV_SG_SH_SI_EUlSV_E0_NS1_11comp_targetILNS1_3genE8ELNS1_11target_archE1030ELNS1_3gpuE2ELNS1_3repE0EEENS1_38merge_mergepath_config_static_selectorELNS0_4arch9wavefront6targetE1EEEvSH_.uses_flat_scratch, 0
	.set _ZN7rocprim17ROCPRIM_400000_NS6detail17trampoline_kernelINS0_14default_configENS1_38merge_sort_block_merge_config_selectorIisEEZZNS1_27merge_sort_block_merge_implIS3_N6thrust23THRUST_200600_302600_NS10device_ptrIiEENS9_IsEEjNS1_19radix_merge_compareILb0ELb1EiNS0_19identity_decomposerEEEEE10hipError_tT0_T1_T2_jT3_P12ihipStream_tbPNSt15iterator_traitsISG_E10value_typeEPNSM_ISH_E10value_typeEPSI_NS1_7vsmem_tEENKUlT_SG_SH_SI_E_clIPiSA_PsSB_EESF_SV_SG_SH_SI_EUlSV_E0_NS1_11comp_targetILNS1_3genE8ELNS1_11target_archE1030ELNS1_3gpuE2ELNS1_3repE0EEENS1_38merge_mergepath_config_static_selectorELNS0_4arch9wavefront6targetE1EEEvSH_.has_dyn_sized_stack, 0
	.set _ZN7rocprim17ROCPRIM_400000_NS6detail17trampoline_kernelINS0_14default_configENS1_38merge_sort_block_merge_config_selectorIisEEZZNS1_27merge_sort_block_merge_implIS3_N6thrust23THRUST_200600_302600_NS10device_ptrIiEENS9_IsEEjNS1_19radix_merge_compareILb0ELb1EiNS0_19identity_decomposerEEEEE10hipError_tT0_T1_T2_jT3_P12ihipStream_tbPNSt15iterator_traitsISG_E10value_typeEPNSM_ISH_E10value_typeEPSI_NS1_7vsmem_tEENKUlT_SG_SH_SI_E_clIPiSA_PsSB_EESF_SV_SG_SH_SI_EUlSV_E0_NS1_11comp_targetILNS1_3genE8ELNS1_11target_archE1030ELNS1_3gpuE2ELNS1_3repE0EEENS1_38merge_mergepath_config_static_selectorELNS0_4arch9wavefront6targetE1EEEvSH_.has_recursion, 0
	.set _ZN7rocprim17ROCPRIM_400000_NS6detail17trampoline_kernelINS0_14default_configENS1_38merge_sort_block_merge_config_selectorIisEEZZNS1_27merge_sort_block_merge_implIS3_N6thrust23THRUST_200600_302600_NS10device_ptrIiEENS9_IsEEjNS1_19radix_merge_compareILb0ELb1EiNS0_19identity_decomposerEEEEE10hipError_tT0_T1_T2_jT3_P12ihipStream_tbPNSt15iterator_traitsISG_E10value_typeEPNSM_ISH_E10value_typeEPSI_NS1_7vsmem_tEENKUlT_SG_SH_SI_E_clIPiSA_PsSB_EESF_SV_SG_SH_SI_EUlSV_E0_NS1_11comp_targetILNS1_3genE8ELNS1_11target_archE1030ELNS1_3gpuE2ELNS1_3repE0EEENS1_38merge_mergepath_config_static_selectorELNS0_4arch9wavefront6targetE1EEEvSH_.has_indirect_call, 0
	.section	.AMDGPU.csdata,"",@progbits
; Kernel info:
; codeLenInByte = 0
; TotalNumSgprs: 6
; NumVgprs: 0
; NumAgprs: 0
; TotalNumVgprs: 0
; ScratchSize: 0
; MemoryBound: 0
; FloatMode: 240
; IeeeMode: 1
; LDSByteSize: 0 bytes/workgroup (compile time only)
; SGPRBlocks: 0
; VGPRBlocks: 0
; NumSGPRsForWavesPerEU: 6
; NumVGPRsForWavesPerEU: 1
; AccumOffset: 4
; Occupancy: 8
; WaveLimiterHint : 0
; COMPUTE_PGM_RSRC2:SCRATCH_EN: 0
; COMPUTE_PGM_RSRC2:USER_SGPR: 2
; COMPUTE_PGM_RSRC2:TRAP_HANDLER: 0
; COMPUTE_PGM_RSRC2:TGID_X_EN: 1
; COMPUTE_PGM_RSRC2:TGID_Y_EN: 0
; COMPUTE_PGM_RSRC2:TGID_Z_EN: 0
; COMPUTE_PGM_RSRC2:TIDIG_COMP_CNT: 0
; COMPUTE_PGM_RSRC3_GFX90A:ACCUM_OFFSET: 0
; COMPUTE_PGM_RSRC3_GFX90A:TG_SPLIT: 0
	.section	.text._ZN7rocprim17ROCPRIM_400000_NS6detail17trampoline_kernelINS0_14default_configENS1_38merge_sort_block_merge_config_selectorIisEEZZNS1_27merge_sort_block_merge_implIS3_N6thrust23THRUST_200600_302600_NS10device_ptrIiEENS9_IsEEjNS1_19radix_merge_compareILb0ELb1EiNS0_19identity_decomposerEEEEE10hipError_tT0_T1_T2_jT3_P12ihipStream_tbPNSt15iterator_traitsISG_E10value_typeEPNSM_ISH_E10value_typeEPSI_NS1_7vsmem_tEENKUlT_SG_SH_SI_E_clIPiSA_PsSB_EESF_SV_SG_SH_SI_EUlSV_E1_NS1_11comp_targetILNS1_3genE0ELNS1_11target_archE4294967295ELNS1_3gpuE0ELNS1_3repE0EEENS1_36merge_oddeven_config_static_selectorELNS0_4arch9wavefront6targetE1EEEvSH_,"axG",@progbits,_ZN7rocprim17ROCPRIM_400000_NS6detail17trampoline_kernelINS0_14default_configENS1_38merge_sort_block_merge_config_selectorIisEEZZNS1_27merge_sort_block_merge_implIS3_N6thrust23THRUST_200600_302600_NS10device_ptrIiEENS9_IsEEjNS1_19radix_merge_compareILb0ELb1EiNS0_19identity_decomposerEEEEE10hipError_tT0_T1_T2_jT3_P12ihipStream_tbPNSt15iterator_traitsISG_E10value_typeEPNSM_ISH_E10value_typeEPSI_NS1_7vsmem_tEENKUlT_SG_SH_SI_E_clIPiSA_PsSB_EESF_SV_SG_SH_SI_EUlSV_E1_NS1_11comp_targetILNS1_3genE0ELNS1_11target_archE4294967295ELNS1_3gpuE0ELNS1_3repE0EEENS1_36merge_oddeven_config_static_selectorELNS0_4arch9wavefront6targetE1EEEvSH_,comdat
	.protected	_ZN7rocprim17ROCPRIM_400000_NS6detail17trampoline_kernelINS0_14default_configENS1_38merge_sort_block_merge_config_selectorIisEEZZNS1_27merge_sort_block_merge_implIS3_N6thrust23THRUST_200600_302600_NS10device_ptrIiEENS9_IsEEjNS1_19radix_merge_compareILb0ELb1EiNS0_19identity_decomposerEEEEE10hipError_tT0_T1_T2_jT3_P12ihipStream_tbPNSt15iterator_traitsISG_E10value_typeEPNSM_ISH_E10value_typeEPSI_NS1_7vsmem_tEENKUlT_SG_SH_SI_E_clIPiSA_PsSB_EESF_SV_SG_SH_SI_EUlSV_E1_NS1_11comp_targetILNS1_3genE0ELNS1_11target_archE4294967295ELNS1_3gpuE0ELNS1_3repE0EEENS1_36merge_oddeven_config_static_selectorELNS0_4arch9wavefront6targetE1EEEvSH_ ; -- Begin function _ZN7rocprim17ROCPRIM_400000_NS6detail17trampoline_kernelINS0_14default_configENS1_38merge_sort_block_merge_config_selectorIisEEZZNS1_27merge_sort_block_merge_implIS3_N6thrust23THRUST_200600_302600_NS10device_ptrIiEENS9_IsEEjNS1_19radix_merge_compareILb0ELb1EiNS0_19identity_decomposerEEEEE10hipError_tT0_T1_T2_jT3_P12ihipStream_tbPNSt15iterator_traitsISG_E10value_typeEPNSM_ISH_E10value_typeEPSI_NS1_7vsmem_tEENKUlT_SG_SH_SI_E_clIPiSA_PsSB_EESF_SV_SG_SH_SI_EUlSV_E1_NS1_11comp_targetILNS1_3genE0ELNS1_11target_archE4294967295ELNS1_3gpuE0ELNS1_3repE0EEENS1_36merge_oddeven_config_static_selectorELNS0_4arch9wavefront6targetE1EEEvSH_
	.globl	_ZN7rocprim17ROCPRIM_400000_NS6detail17trampoline_kernelINS0_14default_configENS1_38merge_sort_block_merge_config_selectorIisEEZZNS1_27merge_sort_block_merge_implIS3_N6thrust23THRUST_200600_302600_NS10device_ptrIiEENS9_IsEEjNS1_19radix_merge_compareILb0ELb1EiNS0_19identity_decomposerEEEEE10hipError_tT0_T1_T2_jT3_P12ihipStream_tbPNSt15iterator_traitsISG_E10value_typeEPNSM_ISH_E10value_typeEPSI_NS1_7vsmem_tEENKUlT_SG_SH_SI_E_clIPiSA_PsSB_EESF_SV_SG_SH_SI_EUlSV_E1_NS1_11comp_targetILNS1_3genE0ELNS1_11target_archE4294967295ELNS1_3gpuE0ELNS1_3repE0EEENS1_36merge_oddeven_config_static_selectorELNS0_4arch9wavefront6targetE1EEEvSH_
	.p2align	8
	.type	_ZN7rocprim17ROCPRIM_400000_NS6detail17trampoline_kernelINS0_14default_configENS1_38merge_sort_block_merge_config_selectorIisEEZZNS1_27merge_sort_block_merge_implIS3_N6thrust23THRUST_200600_302600_NS10device_ptrIiEENS9_IsEEjNS1_19radix_merge_compareILb0ELb1EiNS0_19identity_decomposerEEEEE10hipError_tT0_T1_T2_jT3_P12ihipStream_tbPNSt15iterator_traitsISG_E10value_typeEPNSM_ISH_E10value_typeEPSI_NS1_7vsmem_tEENKUlT_SG_SH_SI_E_clIPiSA_PsSB_EESF_SV_SG_SH_SI_EUlSV_E1_NS1_11comp_targetILNS1_3genE0ELNS1_11target_archE4294967295ELNS1_3gpuE0ELNS1_3repE0EEENS1_36merge_oddeven_config_static_selectorELNS0_4arch9wavefront6targetE1EEEvSH_,@function
_ZN7rocprim17ROCPRIM_400000_NS6detail17trampoline_kernelINS0_14default_configENS1_38merge_sort_block_merge_config_selectorIisEEZZNS1_27merge_sort_block_merge_implIS3_N6thrust23THRUST_200600_302600_NS10device_ptrIiEENS9_IsEEjNS1_19radix_merge_compareILb0ELb1EiNS0_19identity_decomposerEEEEE10hipError_tT0_T1_T2_jT3_P12ihipStream_tbPNSt15iterator_traitsISG_E10value_typeEPNSM_ISH_E10value_typeEPSI_NS1_7vsmem_tEENKUlT_SG_SH_SI_E_clIPiSA_PsSB_EESF_SV_SG_SH_SI_EUlSV_E1_NS1_11comp_targetILNS1_3genE0ELNS1_11target_archE4294967295ELNS1_3gpuE0ELNS1_3repE0EEENS1_36merge_oddeven_config_static_selectorELNS0_4arch9wavefront6targetE1EEEvSH_: ; @_ZN7rocprim17ROCPRIM_400000_NS6detail17trampoline_kernelINS0_14default_configENS1_38merge_sort_block_merge_config_selectorIisEEZZNS1_27merge_sort_block_merge_implIS3_N6thrust23THRUST_200600_302600_NS10device_ptrIiEENS9_IsEEjNS1_19radix_merge_compareILb0ELb1EiNS0_19identity_decomposerEEEEE10hipError_tT0_T1_T2_jT3_P12ihipStream_tbPNSt15iterator_traitsISG_E10value_typeEPNSM_ISH_E10value_typeEPSI_NS1_7vsmem_tEENKUlT_SG_SH_SI_E_clIPiSA_PsSB_EESF_SV_SG_SH_SI_EUlSV_E1_NS1_11comp_targetILNS1_3genE0ELNS1_11target_archE4294967295ELNS1_3gpuE0ELNS1_3repE0EEENS1_36merge_oddeven_config_static_selectorELNS0_4arch9wavefront6targetE1EEEvSH_
; %bb.0:
	s_load_dword s20, s[0:1], 0x20
	s_waitcnt lgkmcnt(0)
	s_lshr_b32 s3, s20, 8
	s_cmp_eq_u32 s2, s3
	s_cselect_b64 s[16:17], -1, 0
	s_cmp_lg_u32 s2, s3
	s_cselect_b64 s[4:5], -1, 0
	s_lshl_b32 s18, s2, 8
	s_sub_i32 s3, s20, s18
	v_cmp_gt_u32_e64 s[6:7], s3, v0
	s_or_b64 s[4:5], s[4:5], s[6:7]
	s_and_saveexec_b64 s[8:9], s[4:5]
	s_cbranch_execz .LBB2372_24
; %bb.1:
	s_load_dwordx8 s[8:15], s[0:1], 0x0
	s_mov_b32 s19, 0
	s_lshl_b64 s[4:5], s[18:19], 2
	v_lshlrev_b32_e32 v4, 1, v0
	v_lshlrev_b32_e32 v1, 2, v0
	s_waitcnt lgkmcnt(0)
	s_add_u32 s4, s8, s4
	s_addc_u32 s5, s9, s5
	s_lshl_b64 s[22:23], s[18:19], 1
	s_add_u32 s12, s12, s22
	s_addc_u32 s13, s13, s23
	global_load_ushort v2, v4, s[12:13]
	global_load_dword v3, v1, s[4:5]
	s_load_dword s19, s[0:1], 0x24
	v_add_u32_e32 v0, s18, v0
	s_waitcnt lgkmcnt(0)
	s_lshr_b32 s3, s19, 8
	s_sub_i32 s4, 0, s3
	s_and_b32 s2, s2, s4
	s_and_b32 s3, s2, s3
	s_lshl_b32 s21, s2, 8
	s_sub_i32 s12, 0, s19
	s_cmp_eq_u32 s3, 0
	s_cselect_b64 s[4:5], -1, 0
	s_and_b64 s[2:3], s[4:5], exec
	s_cselect_b32 s12, s19, s12
	s_add_i32 s12, s12, s21
	s_mov_b64 s[2:3], -1
	s_cmp_gt_u32 s20, s12
	s_cbranch_scc1 .LBB2372_9
; %bb.2:
	s_and_b64 vcc, exec, s[16:17]
	s_cbranch_vccz .LBB2372_6
; %bb.3:
	v_cmp_gt_u32_e32 vcc, s20, v0
	s_and_saveexec_b64 s[2:3], vcc
	s_cbranch_execz .LBB2372_5
; %bb.4:
	v_mov_b32_e32 v1, 0
	v_lshl_add_u64 v[4:5], v[0:1], 2, s[10:11]
	v_lshl_add_u64 v[6:7], v[0:1], 1, s[14:15]
	s_waitcnt vmcnt(0)
	global_store_dword v[4:5], v3, off
	global_store_short v[6:7], v2, off
.LBB2372_5:
	s_or_b64 exec, exec, s[2:3]
	s_mov_b64 s[2:3], 0
.LBB2372_6:
	s_andn2_b64 vcc, exec, s[2:3]
	s_cbranch_vccnz .LBB2372_8
; %bb.7:
	v_mov_b32_e32 v1, 0
	v_lshl_add_u64 v[4:5], v[0:1], 2, s[10:11]
	v_lshl_add_u64 v[6:7], v[0:1], 1, s[14:15]
	s_waitcnt vmcnt(0)
	global_store_dword v[4:5], v3, off
	global_store_short v[6:7], v2, off
.LBB2372_8:
	s_mov_b64 s[2:3], 0
.LBB2372_9:
	s_andn2_b64 vcc, exec, s[2:3]
	s_cbranch_vccnz .LBB2372_24
; %bb.10:
	s_load_dword s13, s[0:1], 0x28
	s_min_u32 s18, s12, s20
	s_add_i32 s0, s18, s19
	s_min_u32 s19, s0, s20
	s_min_u32 s0, s21, s18
	s_add_i32 s21, s21, s18
	v_subrev_u32_e32 v0, s21, v0
	v_add_u32_e32 v4, s0, v0
	s_waitcnt vmcnt(0) lgkmcnt(0)
	v_and_b32_e32 v5, s13, v3
	s_mov_b64 s[0:1], -1
	s_and_b64 vcc, exec, s[16:17]
	s_cbranch_vccz .LBB2372_18
; %bb.11:
	s_and_saveexec_b64 s[0:1], s[6:7]
	s_cbranch_execz .LBB2372_17
; %bb.12:
	s_cmp_ge_u32 s12, s19
	v_mov_b32_e32 v6, s18
	s_cbranch_scc1 .LBB2372_16
; %bb.13:
	s_mov_b64 s[2:3], 0
	v_mov_b32_e32 v7, s19
	v_mov_b32_e32 v6, s18
	;; [unrolled: 1-line block ×3, first 2 shown]
.LBB2372_14:                            ; =>This Inner Loop Header: Depth=1
	v_add_u32_e32 v0, v6, v7
	v_lshrrev_b32_e32 v0, 1, v0
	v_lshl_add_u64 v[8:9], v[0:1], 2, s[8:9]
	global_load_dword v8, v[8:9], off
	v_add_u32_e32 v9, 1, v0
	s_waitcnt vmcnt(0)
	v_and_b32_e32 v8, s13, v8
	v_cmp_gt_i32_e32 vcc, v5, v8
	s_nop 1
	v_cndmask_b32_e64 v10, 0, 1, vcc
	v_cmp_le_i32_e32 vcc, v8, v5
	s_nop 1
	v_cndmask_b32_e64 v8, 0, 1, vcc
	v_cndmask_b32_e64 v8, v8, v10, s[4:5]
	v_and_b32_e32 v8, 1, v8
	v_cmp_eq_u32_e32 vcc, 1, v8
	s_nop 1
	v_cndmask_b32_e32 v7, v0, v7, vcc
	v_cndmask_b32_e32 v6, v6, v9, vcc
	v_cmp_ge_u32_e32 vcc, v6, v7
	s_or_b64 s[2:3], vcc, s[2:3]
	s_andn2_b64 exec, exec, s[2:3]
	s_cbranch_execnz .LBB2372_14
; %bb.15:
	s_or_b64 exec, exec, s[2:3]
.LBB2372_16:
	v_add_u32_e32 v0, v6, v4
	v_mov_b32_e32 v1, 0
	v_lshl_add_u64 v[6:7], v[0:1], 2, s[10:11]
	v_lshl_add_u64 v[0:1], v[0:1], 1, s[14:15]
	global_store_dword v[6:7], v3, off
	global_store_short v[0:1], v2, off
.LBB2372_17:
	s_or_b64 exec, exec, s[0:1]
	s_mov_b64 s[0:1], 0
.LBB2372_18:
	s_andn2_b64 vcc, exec, s[0:1]
	s_cbranch_vccnz .LBB2372_24
; %bb.19:
	s_cmp_ge_u32 s12, s19
	v_mov_b32_e32 v6, s18
	s_cbranch_scc1 .LBB2372_23
; %bb.20:
	s_mov_b64 s[0:1], 0
	v_mov_b32_e32 v7, s19
	v_mov_b32_e32 v6, s18
	;; [unrolled: 1-line block ×3, first 2 shown]
.LBB2372_21:                            ; =>This Inner Loop Header: Depth=1
	v_add_u32_e32 v0, v6, v7
	v_lshrrev_b32_e32 v0, 1, v0
	v_lshl_add_u64 v[8:9], v[0:1], 2, s[8:9]
	global_load_dword v8, v[8:9], off
	v_add_u32_e32 v9, 1, v0
	s_waitcnt vmcnt(0)
	v_and_b32_e32 v8, s13, v8
	v_cmp_gt_i32_e32 vcc, v5, v8
	s_nop 1
	v_cndmask_b32_e64 v10, 0, 1, vcc
	v_cmp_le_i32_e32 vcc, v8, v5
	s_nop 1
	v_cndmask_b32_e64 v8, 0, 1, vcc
	v_cndmask_b32_e64 v8, v8, v10, s[4:5]
	v_and_b32_e32 v8, 1, v8
	v_cmp_eq_u32_e32 vcc, 1, v8
	s_nop 1
	v_cndmask_b32_e32 v7, v0, v7, vcc
	v_cndmask_b32_e32 v6, v6, v9, vcc
	v_cmp_ge_u32_e32 vcc, v6, v7
	s_or_b64 s[0:1], vcc, s[0:1]
	s_andn2_b64 exec, exec, s[0:1]
	s_cbranch_execnz .LBB2372_21
; %bb.22:
	s_or_b64 exec, exec, s[0:1]
.LBB2372_23:
	v_add_u32_e32 v0, v6, v4
	v_mov_b32_e32 v1, 0
	v_lshl_add_u64 v[4:5], v[0:1], 2, s[10:11]
	v_lshl_add_u64 v[0:1], v[0:1], 1, s[14:15]
	global_store_dword v[4:5], v3, off
	global_store_short v[0:1], v2, off
.LBB2372_24:
	s_endpgm
	.section	.rodata,"a",@progbits
	.p2align	6, 0x0
	.amdhsa_kernel _ZN7rocprim17ROCPRIM_400000_NS6detail17trampoline_kernelINS0_14default_configENS1_38merge_sort_block_merge_config_selectorIisEEZZNS1_27merge_sort_block_merge_implIS3_N6thrust23THRUST_200600_302600_NS10device_ptrIiEENS9_IsEEjNS1_19radix_merge_compareILb0ELb1EiNS0_19identity_decomposerEEEEE10hipError_tT0_T1_T2_jT3_P12ihipStream_tbPNSt15iterator_traitsISG_E10value_typeEPNSM_ISH_E10value_typeEPSI_NS1_7vsmem_tEENKUlT_SG_SH_SI_E_clIPiSA_PsSB_EESF_SV_SG_SH_SI_EUlSV_E1_NS1_11comp_targetILNS1_3genE0ELNS1_11target_archE4294967295ELNS1_3gpuE0ELNS1_3repE0EEENS1_36merge_oddeven_config_static_selectorELNS0_4arch9wavefront6targetE1EEEvSH_
		.amdhsa_group_segment_fixed_size 0
		.amdhsa_private_segment_fixed_size 0
		.amdhsa_kernarg_size 48
		.amdhsa_user_sgpr_count 2
		.amdhsa_user_sgpr_dispatch_ptr 0
		.amdhsa_user_sgpr_queue_ptr 0
		.amdhsa_user_sgpr_kernarg_segment_ptr 1
		.amdhsa_user_sgpr_dispatch_id 0
		.amdhsa_user_sgpr_kernarg_preload_length 0
		.amdhsa_user_sgpr_kernarg_preload_offset 0
		.amdhsa_user_sgpr_private_segment_size 0
		.amdhsa_uses_dynamic_stack 0
		.amdhsa_enable_private_segment 0
		.amdhsa_system_sgpr_workgroup_id_x 1
		.amdhsa_system_sgpr_workgroup_id_y 0
		.amdhsa_system_sgpr_workgroup_id_z 0
		.amdhsa_system_sgpr_workgroup_info 0
		.amdhsa_system_vgpr_workitem_id 0
		.amdhsa_next_free_vgpr 11
		.amdhsa_next_free_sgpr 24
		.amdhsa_accum_offset 12
		.amdhsa_reserve_vcc 1
		.amdhsa_float_round_mode_32 0
		.amdhsa_float_round_mode_16_64 0
		.amdhsa_float_denorm_mode_32 3
		.amdhsa_float_denorm_mode_16_64 3
		.amdhsa_dx10_clamp 1
		.amdhsa_ieee_mode 1
		.amdhsa_fp16_overflow 0
		.amdhsa_tg_split 0
		.amdhsa_exception_fp_ieee_invalid_op 0
		.amdhsa_exception_fp_denorm_src 0
		.amdhsa_exception_fp_ieee_div_zero 0
		.amdhsa_exception_fp_ieee_overflow 0
		.amdhsa_exception_fp_ieee_underflow 0
		.amdhsa_exception_fp_ieee_inexact 0
		.amdhsa_exception_int_div_zero 0
	.end_amdhsa_kernel
	.section	.text._ZN7rocprim17ROCPRIM_400000_NS6detail17trampoline_kernelINS0_14default_configENS1_38merge_sort_block_merge_config_selectorIisEEZZNS1_27merge_sort_block_merge_implIS3_N6thrust23THRUST_200600_302600_NS10device_ptrIiEENS9_IsEEjNS1_19radix_merge_compareILb0ELb1EiNS0_19identity_decomposerEEEEE10hipError_tT0_T1_T2_jT3_P12ihipStream_tbPNSt15iterator_traitsISG_E10value_typeEPNSM_ISH_E10value_typeEPSI_NS1_7vsmem_tEENKUlT_SG_SH_SI_E_clIPiSA_PsSB_EESF_SV_SG_SH_SI_EUlSV_E1_NS1_11comp_targetILNS1_3genE0ELNS1_11target_archE4294967295ELNS1_3gpuE0ELNS1_3repE0EEENS1_36merge_oddeven_config_static_selectorELNS0_4arch9wavefront6targetE1EEEvSH_,"axG",@progbits,_ZN7rocprim17ROCPRIM_400000_NS6detail17trampoline_kernelINS0_14default_configENS1_38merge_sort_block_merge_config_selectorIisEEZZNS1_27merge_sort_block_merge_implIS3_N6thrust23THRUST_200600_302600_NS10device_ptrIiEENS9_IsEEjNS1_19radix_merge_compareILb0ELb1EiNS0_19identity_decomposerEEEEE10hipError_tT0_T1_T2_jT3_P12ihipStream_tbPNSt15iterator_traitsISG_E10value_typeEPNSM_ISH_E10value_typeEPSI_NS1_7vsmem_tEENKUlT_SG_SH_SI_E_clIPiSA_PsSB_EESF_SV_SG_SH_SI_EUlSV_E1_NS1_11comp_targetILNS1_3genE0ELNS1_11target_archE4294967295ELNS1_3gpuE0ELNS1_3repE0EEENS1_36merge_oddeven_config_static_selectorELNS0_4arch9wavefront6targetE1EEEvSH_,comdat
.Lfunc_end2372:
	.size	_ZN7rocprim17ROCPRIM_400000_NS6detail17trampoline_kernelINS0_14default_configENS1_38merge_sort_block_merge_config_selectorIisEEZZNS1_27merge_sort_block_merge_implIS3_N6thrust23THRUST_200600_302600_NS10device_ptrIiEENS9_IsEEjNS1_19radix_merge_compareILb0ELb1EiNS0_19identity_decomposerEEEEE10hipError_tT0_T1_T2_jT3_P12ihipStream_tbPNSt15iterator_traitsISG_E10value_typeEPNSM_ISH_E10value_typeEPSI_NS1_7vsmem_tEENKUlT_SG_SH_SI_E_clIPiSA_PsSB_EESF_SV_SG_SH_SI_EUlSV_E1_NS1_11comp_targetILNS1_3genE0ELNS1_11target_archE4294967295ELNS1_3gpuE0ELNS1_3repE0EEENS1_36merge_oddeven_config_static_selectorELNS0_4arch9wavefront6targetE1EEEvSH_, .Lfunc_end2372-_ZN7rocprim17ROCPRIM_400000_NS6detail17trampoline_kernelINS0_14default_configENS1_38merge_sort_block_merge_config_selectorIisEEZZNS1_27merge_sort_block_merge_implIS3_N6thrust23THRUST_200600_302600_NS10device_ptrIiEENS9_IsEEjNS1_19radix_merge_compareILb0ELb1EiNS0_19identity_decomposerEEEEE10hipError_tT0_T1_T2_jT3_P12ihipStream_tbPNSt15iterator_traitsISG_E10value_typeEPNSM_ISH_E10value_typeEPSI_NS1_7vsmem_tEENKUlT_SG_SH_SI_E_clIPiSA_PsSB_EESF_SV_SG_SH_SI_EUlSV_E1_NS1_11comp_targetILNS1_3genE0ELNS1_11target_archE4294967295ELNS1_3gpuE0ELNS1_3repE0EEENS1_36merge_oddeven_config_static_selectorELNS0_4arch9wavefront6targetE1EEEvSH_
                                        ; -- End function
	.set _ZN7rocprim17ROCPRIM_400000_NS6detail17trampoline_kernelINS0_14default_configENS1_38merge_sort_block_merge_config_selectorIisEEZZNS1_27merge_sort_block_merge_implIS3_N6thrust23THRUST_200600_302600_NS10device_ptrIiEENS9_IsEEjNS1_19radix_merge_compareILb0ELb1EiNS0_19identity_decomposerEEEEE10hipError_tT0_T1_T2_jT3_P12ihipStream_tbPNSt15iterator_traitsISG_E10value_typeEPNSM_ISH_E10value_typeEPSI_NS1_7vsmem_tEENKUlT_SG_SH_SI_E_clIPiSA_PsSB_EESF_SV_SG_SH_SI_EUlSV_E1_NS1_11comp_targetILNS1_3genE0ELNS1_11target_archE4294967295ELNS1_3gpuE0ELNS1_3repE0EEENS1_36merge_oddeven_config_static_selectorELNS0_4arch9wavefront6targetE1EEEvSH_.num_vgpr, 11
	.set _ZN7rocprim17ROCPRIM_400000_NS6detail17trampoline_kernelINS0_14default_configENS1_38merge_sort_block_merge_config_selectorIisEEZZNS1_27merge_sort_block_merge_implIS3_N6thrust23THRUST_200600_302600_NS10device_ptrIiEENS9_IsEEjNS1_19radix_merge_compareILb0ELb1EiNS0_19identity_decomposerEEEEE10hipError_tT0_T1_T2_jT3_P12ihipStream_tbPNSt15iterator_traitsISG_E10value_typeEPNSM_ISH_E10value_typeEPSI_NS1_7vsmem_tEENKUlT_SG_SH_SI_E_clIPiSA_PsSB_EESF_SV_SG_SH_SI_EUlSV_E1_NS1_11comp_targetILNS1_3genE0ELNS1_11target_archE4294967295ELNS1_3gpuE0ELNS1_3repE0EEENS1_36merge_oddeven_config_static_selectorELNS0_4arch9wavefront6targetE1EEEvSH_.num_agpr, 0
	.set _ZN7rocprim17ROCPRIM_400000_NS6detail17trampoline_kernelINS0_14default_configENS1_38merge_sort_block_merge_config_selectorIisEEZZNS1_27merge_sort_block_merge_implIS3_N6thrust23THRUST_200600_302600_NS10device_ptrIiEENS9_IsEEjNS1_19radix_merge_compareILb0ELb1EiNS0_19identity_decomposerEEEEE10hipError_tT0_T1_T2_jT3_P12ihipStream_tbPNSt15iterator_traitsISG_E10value_typeEPNSM_ISH_E10value_typeEPSI_NS1_7vsmem_tEENKUlT_SG_SH_SI_E_clIPiSA_PsSB_EESF_SV_SG_SH_SI_EUlSV_E1_NS1_11comp_targetILNS1_3genE0ELNS1_11target_archE4294967295ELNS1_3gpuE0ELNS1_3repE0EEENS1_36merge_oddeven_config_static_selectorELNS0_4arch9wavefront6targetE1EEEvSH_.numbered_sgpr, 24
	.set _ZN7rocprim17ROCPRIM_400000_NS6detail17trampoline_kernelINS0_14default_configENS1_38merge_sort_block_merge_config_selectorIisEEZZNS1_27merge_sort_block_merge_implIS3_N6thrust23THRUST_200600_302600_NS10device_ptrIiEENS9_IsEEjNS1_19radix_merge_compareILb0ELb1EiNS0_19identity_decomposerEEEEE10hipError_tT0_T1_T2_jT3_P12ihipStream_tbPNSt15iterator_traitsISG_E10value_typeEPNSM_ISH_E10value_typeEPSI_NS1_7vsmem_tEENKUlT_SG_SH_SI_E_clIPiSA_PsSB_EESF_SV_SG_SH_SI_EUlSV_E1_NS1_11comp_targetILNS1_3genE0ELNS1_11target_archE4294967295ELNS1_3gpuE0ELNS1_3repE0EEENS1_36merge_oddeven_config_static_selectorELNS0_4arch9wavefront6targetE1EEEvSH_.num_named_barrier, 0
	.set _ZN7rocprim17ROCPRIM_400000_NS6detail17trampoline_kernelINS0_14default_configENS1_38merge_sort_block_merge_config_selectorIisEEZZNS1_27merge_sort_block_merge_implIS3_N6thrust23THRUST_200600_302600_NS10device_ptrIiEENS9_IsEEjNS1_19radix_merge_compareILb0ELb1EiNS0_19identity_decomposerEEEEE10hipError_tT0_T1_T2_jT3_P12ihipStream_tbPNSt15iterator_traitsISG_E10value_typeEPNSM_ISH_E10value_typeEPSI_NS1_7vsmem_tEENKUlT_SG_SH_SI_E_clIPiSA_PsSB_EESF_SV_SG_SH_SI_EUlSV_E1_NS1_11comp_targetILNS1_3genE0ELNS1_11target_archE4294967295ELNS1_3gpuE0ELNS1_3repE0EEENS1_36merge_oddeven_config_static_selectorELNS0_4arch9wavefront6targetE1EEEvSH_.private_seg_size, 0
	.set _ZN7rocprim17ROCPRIM_400000_NS6detail17trampoline_kernelINS0_14default_configENS1_38merge_sort_block_merge_config_selectorIisEEZZNS1_27merge_sort_block_merge_implIS3_N6thrust23THRUST_200600_302600_NS10device_ptrIiEENS9_IsEEjNS1_19radix_merge_compareILb0ELb1EiNS0_19identity_decomposerEEEEE10hipError_tT0_T1_T2_jT3_P12ihipStream_tbPNSt15iterator_traitsISG_E10value_typeEPNSM_ISH_E10value_typeEPSI_NS1_7vsmem_tEENKUlT_SG_SH_SI_E_clIPiSA_PsSB_EESF_SV_SG_SH_SI_EUlSV_E1_NS1_11comp_targetILNS1_3genE0ELNS1_11target_archE4294967295ELNS1_3gpuE0ELNS1_3repE0EEENS1_36merge_oddeven_config_static_selectorELNS0_4arch9wavefront6targetE1EEEvSH_.uses_vcc, 1
	.set _ZN7rocprim17ROCPRIM_400000_NS6detail17trampoline_kernelINS0_14default_configENS1_38merge_sort_block_merge_config_selectorIisEEZZNS1_27merge_sort_block_merge_implIS3_N6thrust23THRUST_200600_302600_NS10device_ptrIiEENS9_IsEEjNS1_19radix_merge_compareILb0ELb1EiNS0_19identity_decomposerEEEEE10hipError_tT0_T1_T2_jT3_P12ihipStream_tbPNSt15iterator_traitsISG_E10value_typeEPNSM_ISH_E10value_typeEPSI_NS1_7vsmem_tEENKUlT_SG_SH_SI_E_clIPiSA_PsSB_EESF_SV_SG_SH_SI_EUlSV_E1_NS1_11comp_targetILNS1_3genE0ELNS1_11target_archE4294967295ELNS1_3gpuE0ELNS1_3repE0EEENS1_36merge_oddeven_config_static_selectorELNS0_4arch9wavefront6targetE1EEEvSH_.uses_flat_scratch, 0
	.set _ZN7rocprim17ROCPRIM_400000_NS6detail17trampoline_kernelINS0_14default_configENS1_38merge_sort_block_merge_config_selectorIisEEZZNS1_27merge_sort_block_merge_implIS3_N6thrust23THRUST_200600_302600_NS10device_ptrIiEENS9_IsEEjNS1_19radix_merge_compareILb0ELb1EiNS0_19identity_decomposerEEEEE10hipError_tT0_T1_T2_jT3_P12ihipStream_tbPNSt15iterator_traitsISG_E10value_typeEPNSM_ISH_E10value_typeEPSI_NS1_7vsmem_tEENKUlT_SG_SH_SI_E_clIPiSA_PsSB_EESF_SV_SG_SH_SI_EUlSV_E1_NS1_11comp_targetILNS1_3genE0ELNS1_11target_archE4294967295ELNS1_3gpuE0ELNS1_3repE0EEENS1_36merge_oddeven_config_static_selectorELNS0_4arch9wavefront6targetE1EEEvSH_.has_dyn_sized_stack, 0
	.set _ZN7rocprim17ROCPRIM_400000_NS6detail17trampoline_kernelINS0_14default_configENS1_38merge_sort_block_merge_config_selectorIisEEZZNS1_27merge_sort_block_merge_implIS3_N6thrust23THRUST_200600_302600_NS10device_ptrIiEENS9_IsEEjNS1_19radix_merge_compareILb0ELb1EiNS0_19identity_decomposerEEEEE10hipError_tT0_T1_T2_jT3_P12ihipStream_tbPNSt15iterator_traitsISG_E10value_typeEPNSM_ISH_E10value_typeEPSI_NS1_7vsmem_tEENKUlT_SG_SH_SI_E_clIPiSA_PsSB_EESF_SV_SG_SH_SI_EUlSV_E1_NS1_11comp_targetILNS1_3genE0ELNS1_11target_archE4294967295ELNS1_3gpuE0ELNS1_3repE0EEENS1_36merge_oddeven_config_static_selectorELNS0_4arch9wavefront6targetE1EEEvSH_.has_recursion, 0
	.set _ZN7rocprim17ROCPRIM_400000_NS6detail17trampoline_kernelINS0_14default_configENS1_38merge_sort_block_merge_config_selectorIisEEZZNS1_27merge_sort_block_merge_implIS3_N6thrust23THRUST_200600_302600_NS10device_ptrIiEENS9_IsEEjNS1_19radix_merge_compareILb0ELb1EiNS0_19identity_decomposerEEEEE10hipError_tT0_T1_T2_jT3_P12ihipStream_tbPNSt15iterator_traitsISG_E10value_typeEPNSM_ISH_E10value_typeEPSI_NS1_7vsmem_tEENKUlT_SG_SH_SI_E_clIPiSA_PsSB_EESF_SV_SG_SH_SI_EUlSV_E1_NS1_11comp_targetILNS1_3genE0ELNS1_11target_archE4294967295ELNS1_3gpuE0ELNS1_3repE0EEENS1_36merge_oddeven_config_static_selectorELNS0_4arch9wavefront6targetE1EEEvSH_.has_indirect_call, 0
	.section	.AMDGPU.csdata,"",@progbits
; Kernel info:
; codeLenInByte = 776
; TotalNumSgprs: 30
; NumVgprs: 11
; NumAgprs: 0
; TotalNumVgprs: 11
; ScratchSize: 0
; MemoryBound: 0
; FloatMode: 240
; IeeeMode: 1
; LDSByteSize: 0 bytes/workgroup (compile time only)
; SGPRBlocks: 3
; VGPRBlocks: 1
; NumSGPRsForWavesPerEU: 30
; NumVGPRsForWavesPerEU: 11
; AccumOffset: 12
; Occupancy: 8
; WaveLimiterHint : 0
; COMPUTE_PGM_RSRC2:SCRATCH_EN: 0
; COMPUTE_PGM_RSRC2:USER_SGPR: 2
; COMPUTE_PGM_RSRC2:TRAP_HANDLER: 0
; COMPUTE_PGM_RSRC2:TGID_X_EN: 1
; COMPUTE_PGM_RSRC2:TGID_Y_EN: 0
; COMPUTE_PGM_RSRC2:TGID_Z_EN: 0
; COMPUTE_PGM_RSRC2:TIDIG_COMP_CNT: 0
; COMPUTE_PGM_RSRC3_GFX90A:ACCUM_OFFSET: 2
; COMPUTE_PGM_RSRC3_GFX90A:TG_SPLIT: 0
	.section	.text._ZN7rocprim17ROCPRIM_400000_NS6detail17trampoline_kernelINS0_14default_configENS1_38merge_sort_block_merge_config_selectorIisEEZZNS1_27merge_sort_block_merge_implIS3_N6thrust23THRUST_200600_302600_NS10device_ptrIiEENS9_IsEEjNS1_19radix_merge_compareILb0ELb1EiNS0_19identity_decomposerEEEEE10hipError_tT0_T1_T2_jT3_P12ihipStream_tbPNSt15iterator_traitsISG_E10value_typeEPNSM_ISH_E10value_typeEPSI_NS1_7vsmem_tEENKUlT_SG_SH_SI_E_clIPiSA_PsSB_EESF_SV_SG_SH_SI_EUlSV_E1_NS1_11comp_targetILNS1_3genE10ELNS1_11target_archE1201ELNS1_3gpuE5ELNS1_3repE0EEENS1_36merge_oddeven_config_static_selectorELNS0_4arch9wavefront6targetE1EEEvSH_,"axG",@progbits,_ZN7rocprim17ROCPRIM_400000_NS6detail17trampoline_kernelINS0_14default_configENS1_38merge_sort_block_merge_config_selectorIisEEZZNS1_27merge_sort_block_merge_implIS3_N6thrust23THRUST_200600_302600_NS10device_ptrIiEENS9_IsEEjNS1_19radix_merge_compareILb0ELb1EiNS0_19identity_decomposerEEEEE10hipError_tT0_T1_T2_jT3_P12ihipStream_tbPNSt15iterator_traitsISG_E10value_typeEPNSM_ISH_E10value_typeEPSI_NS1_7vsmem_tEENKUlT_SG_SH_SI_E_clIPiSA_PsSB_EESF_SV_SG_SH_SI_EUlSV_E1_NS1_11comp_targetILNS1_3genE10ELNS1_11target_archE1201ELNS1_3gpuE5ELNS1_3repE0EEENS1_36merge_oddeven_config_static_selectorELNS0_4arch9wavefront6targetE1EEEvSH_,comdat
	.protected	_ZN7rocprim17ROCPRIM_400000_NS6detail17trampoline_kernelINS0_14default_configENS1_38merge_sort_block_merge_config_selectorIisEEZZNS1_27merge_sort_block_merge_implIS3_N6thrust23THRUST_200600_302600_NS10device_ptrIiEENS9_IsEEjNS1_19radix_merge_compareILb0ELb1EiNS0_19identity_decomposerEEEEE10hipError_tT0_T1_T2_jT3_P12ihipStream_tbPNSt15iterator_traitsISG_E10value_typeEPNSM_ISH_E10value_typeEPSI_NS1_7vsmem_tEENKUlT_SG_SH_SI_E_clIPiSA_PsSB_EESF_SV_SG_SH_SI_EUlSV_E1_NS1_11comp_targetILNS1_3genE10ELNS1_11target_archE1201ELNS1_3gpuE5ELNS1_3repE0EEENS1_36merge_oddeven_config_static_selectorELNS0_4arch9wavefront6targetE1EEEvSH_ ; -- Begin function _ZN7rocprim17ROCPRIM_400000_NS6detail17trampoline_kernelINS0_14default_configENS1_38merge_sort_block_merge_config_selectorIisEEZZNS1_27merge_sort_block_merge_implIS3_N6thrust23THRUST_200600_302600_NS10device_ptrIiEENS9_IsEEjNS1_19radix_merge_compareILb0ELb1EiNS0_19identity_decomposerEEEEE10hipError_tT0_T1_T2_jT3_P12ihipStream_tbPNSt15iterator_traitsISG_E10value_typeEPNSM_ISH_E10value_typeEPSI_NS1_7vsmem_tEENKUlT_SG_SH_SI_E_clIPiSA_PsSB_EESF_SV_SG_SH_SI_EUlSV_E1_NS1_11comp_targetILNS1_3genE10ELNS1_11target_archE1201ELNS1_3gpuE5ELNS1_3repE0EEENS1_36merge_oddeven_config_static_selectorELNS0_4arch9wavefront6targetE1EEEvSH_
	.globl	_ZN7rocprim17ROCPRIM_400000_NS6detail17trampoline_kernelINS0_14default_configENS1_38merge_sort_block_merge_config_selectorIisEEZZNS1_27merge_sort_block_merge_implIS3_N6thrust23THRUST_200600_302600_NS10device_ptrIiEENS9_IsEEjNS1_19radix_merge_compareILb0ELb1EiNS0_19identity_decomposerEEEEE10hipError_tT0_T1_T2_jT3_P12ihipStream_tbPNSt15iterator_traitsISG_E10value_typeEPNSM_ISH_E10value_typeEPSI_NS1_7vsmem_tEENKUlT_SG_SH_SI_E_clIPiSA_PsSB_EESF_SV_SG_SH_SI_EUlSV_E1_NS1_11comp_targetILNS1_3genE10ELNS1_11target_archE1201ELNS1_3gpuE5ELNS1_3repE0EEENS1_36merge_oddeven_config_static_selectorELNS0_4arch9wavefront6targetE1EEEvSH_
	.p2align	8
	.type	_ZN7rocprim17ROCPRIM_400000_NS6detail17trampoline_kernelINS0_14default_configENS1_38merge_sort_block_merge_config_selectorIisEEZZNS1_27merge_sort_block_merge_implIS3_N6thrust23THRUST_200600_302600_NS10device_ptrIiEENS9_IsEEjNS1_19radix_merge_compareILb0ELb1EiNS0_19identity_decomposerEEEEE10hipError_tT0_T1_T2_jT3_P12ihipStream_tbPNSt15iterator_traitsISG_E10value_typeEPNSM_ISH_E10value_typeEPSI_NS1_7vsmem_tEENKUlT_SG_SH_SI_E_clIPiSA_PsSB_EESF_SV_SG_SH_SI_EUlSV_E1_NS1_11comp_targetILNS1_3genE10ELNS1_11target_archE1201ELNS1_3gpuE5ELNS1_3repE0EEENS1_36merge_oddeven_config_static_selectorELNS0_4arch9wavefront6targetE1EEEvSH_,@function
_ZN7rocprim17ROCPRIM_400000_NS6detail17trampoline_kernelINS0_14default_configENS1_38merge_sort_block_merge_config_selectorIisEEZZNS1_27merge_sort_block_merge_implIS3_N6thrust23THRUST_200600_302600_NS10device_ptrIiEENS9_IsEEjNS1_19radix_merge_compareILb0ELb1EiNS0_19identity_decomposerEEEEE10hipError_tT0_T1_T2_jT3_P12ihipStream_tbPNSt15iterator_traitsISG_E10value_typeEPNSM_ISH_E10value_typeEPSI_NS1_7vsmem_tEENKUlT_SG_SH_SI_E_clIPiSA_PsSB_EESF_SV_SG_SH_SI_EUlSV_E1_NS1_11comp_targetILNS1_3genE10ELNS1_11target_archE1201ELNS1_3gpuE5ELNS1_3repE0EEENS1_36merge_oddeven_config_static_selectorELNS0_4arch9wavefront6targetE1EEEvSH_: ; @_ZN7rocprim17ROCPRIM_400000_NS6detail17trampoline_kernelINS0_14default_configENS1_38merge_sort_block_merge_config_selectorIisEEZZNS1_27merge_sort_block_merge_implIS3_N6thrust23THRUST_200600_302600_NS10device_ptrIiEENS9_IsEEjNS1_19radix_merge_compareILb0ELb1EiNS0_19identity_decomposerEEEEE10hipError_tT0_T1_T2_jT3_P12ihipStream_tbPNSt15iterator_traitsISG_E10value_typeEPNSM_ISH_E10value_typeEPSI_NS1_7vsmem_tEENKUlT_SG_SH_SI_E_clIPiSA_PsSB_EESF_SV_SG_SH_SI_EUlSV_E1_NS1_11comp_targetILNS1_3genE10ELNS1_11target_archE1201ELNS1_3gpuE5ELNS1_3repE0EEENS1_36merge_oddeven_config_static_selectorELNS0_4arch9wavefront6targetE1EEEvSH_
; %bb.0:
	.section	.rodata,"a",@progbits
	.p2align	6, 0x0
	.amdhsa_kernel _ZN7rocprim17ROCPRIM_400000_NS6detail17trampoline_kernelINS0_14default_configENS1_38merge_sort_block_merge_config_selectorIisEEZZNS1_27merge_sort_block_merge_implIS3_N6thrust23THRUST_200600_302600_NS10device_ptrIiEENS9_IsEEjNS1_19radix_merge_compareILb0ELb1EiNS0_19identity_decomposerEEEEE10hipError_tT0_T1_T2_jT3_P12ihipStream_tbPNSt15iterator_traitsISG_E10value_typeEPNSM_ISH_E10value_typeEPSI_NS1_7vsmem_tEENKUlT_SG_SH_SI_E_clIPiSA_PsSB_EESF_SV_SG_SH_SI_EUlSV_E1_NS1_11comp_targetILNS1_3genE10ELNS1_11target_archE1201ELNS1_3gpuE5ELNS1_3repE0EEENS1_36merge_oddeven_config_static_selectorELNS0_4arch9wavefront6targetE1EEEvSH_
		.amdhsa_group_segment_fixed_size 0
		.amdhsa_private_segment_fixed_size 0
		.amdhsa_kernarg_size 48
		.amdhsa_user_sgpr_count 2
		.amdhsa_user_sgpr_dispatch_ptr 0
		.amdhsa_user_sgpr_queue_ptr 0
		.amdhsa_user_sgpr_kernarg_segment_ptr 1
		.amdhsa_user_sgpr_dispatch_id 0
		.amdhsa_user_sgpr_kernarg_preload_length 0
		.amdhsa_user_sgpr_kernarg_preload_offset 0
		.amdhsa_user_sgpr_private_segment_size 0
		.amdhsa_uses_dynamic_stack 0
		.amdhsa_enable_private_segment 0
		.amdhsa_system_sgpr_workgroup_id_x 1
		.amdhsa_system_sgpr_workgroup_id_y 0
		.amdhsa_system_sgpr_workgroup_id_z 0
		.amdhsa_system_sgpr_workgroup_info 0
		.amdhsa_system_vgpr_workitem_id 0
		.amdhsa_next_free_vgpr 1
		.amdhsa_next_free_sgpr 0
		.amdhsa_accum_offset 4
		.amdhsa_reserve_vcc 0
		.amdhsa_float_round_mode_32 0
		.amdhsa_float_round_mode_16_64 0
		.amdhsa_float_denorm_mode_32 3
		.amdhsa_float_denorm_mode_16_64 3
		.amdhsa_dx10_clamp 1
		.amdhsa_ieee_mode 1
		.amdhsa_fp16_overflow 0
		.amdhsa_tg_split 0
		.amdhsa_exception_fp_ieee_invalid_op 0
		.amdhsa_exception_fp_denorm_src 0
		.amdhsa_exception_fp_ieee_div_zero 0
		.amdhsa_exception_fp_ieee_overflow 0
		.amdhsa_exception_fp_ieee_underflow 0
		.amdhsa_exception_fp_ieee_inexact 0
		.amdhsa_exception_int_div_zero 0
	.end_amdhsa_kernel
	.section	.text._ZN7rocprim17ROCPRIM_400000_NS6detail17trampoline_kernelINS0_14default_configENS1_38merge_sort_block_merge_config_selectorIisEEZZNS1_27merge_sort_block_merge_implIS3_N6thrust23THRUST_200600_302600_NS10device_ptrIiEENS9_IsEEjNS1_19radix_merge_compareILb0ELb1EiNS0_19identity_decomposerEEEEE10hipError_tT0_T1_T2_jT3_P12ihipStream_tbPNSt15iterator_traitsISG_E10value_typeEPNSM_ISH_E10value_typeEPSI_NS1_7vsmem_tEENKUlT_SG_SH_SI_E_clIPiSA_PsSB_EESF_SV_SG_SH_SI_EUlSV_E1_NS1_11comp_targetILNS1_3genE10ELNS1_11target_archE1201ELNS1_3gpuE5ELNS1_3repE0EEENS1_36merge_oddeven_config_static_selectorELNS0_4arch9wavefront6targetE1EEEvSH_,"axG",@progbits,_ZN7rocprim17ROCPRIM_400000_NS6detail17trampoline_kernelINS0_14default_configENS1_38merge_sort_block_merge_config_selectorIisEEZZNS1_27merge_sort_block_merge_implIS3_N6thrust23THRUST_200600_302600_NS10device_ptrIiEENS9_IsEEjNS1_19radix_merge_compareILb0ELb1EiNS0_19identity_decomposerEEEEE10hipError_tT0_T1_T2_jT3_P12ihipStream_tbPNSt15iterator_traitsISG_E10value_typeEPNSM_ISH_E10value_typeEPSI_NS1_7vsmem_tEENKUlT_SG_SH_SI_E_clIPiSA_PsSB_EESF_SV_SG_SH_SI_EUlSV_E1_NS1_11comp_targetILNS1_3genE10ELNS1_11target_archE1201ELNS1_3gpuE5ELNS1_3repE0EEENS1_36merge_oddeven_config_static_selectorELNS0_4arch9wavefront6targetE1EEEvSH_,comdat
.Lfunc_end2373:
	.size	_ZN7rocprim17ROCPRIM_400000_NS6detail17trampoline_kernelINS0_14default_configENS1_38merge_sort_block_merge_config_selectorIisEEZZNS1_27merge_sort_block_merge_implIS3_N6thrust23THRUST_200600_302600_NS10device_ptrIiEENS9_IsEEjNS1_19radix_merge_compareILb0ELb1EiNS0_19identity_decomposerEEEEE10hipError_tT0_T1_T2_jT3_P12ihipStream_tbPNSt15iterator_traitsISG_E10value_typeEPNSM_ISH_E10value_typeEPSI_NS1_7vsmem_tEENKUlT_SG_SH_SI_E_clIPiSA_PsSB_EESF_SV_SG_SH_SI_EUlSV_E1_NS1_11comp_targetILNS1_3genE10ELNS1_11target_archE1201ELNS1_3gpuE5ELNS1_3repE0EEENS1_36merge_oddeven_config_static_selectorELNS0_4arch9wavefront6targetE1EEEvSH_, .Lfunc_end2373-_ZN7rocprim17ROCPRIM_400000_NS6detail17trampoline_kernelINS0_14default_configENS1_38merge_sort_block_merge_config_selectorIisEEZZNS1_27merge_sort_block_merge_implIS3_N6thrust23THRUST_200600_302600_NS10device_ptrIiEENS9_IsEEjNS1_19radix_merge_compareILb0ELb1EiNS0_19identity_decomposerEEEEE10hipError_tT0_T1_T2_jT3_P12ihipStream_tbPNSt15iterator_traitsISG_E10value_typeEPNSM_ISH_E10value_typeEPSI_NS1_7vsmem_tEENKUlT_SG_SH_SI_E_clIPiSA_PsSB_EESF_SV_SG_SH_SI_EUlSV_E1_NS1_11comp_targetILNS1_3genE10ELNS1_11target_archE1201ELNS1_3gpuE5ELNS1_3repE0EEENS1_36merge_oddeven_config_static_selectorELNS0_4arch9wavefront6targetE1EEEvSH_
                                        ; -- End function
	.set _ZN7rocprim17ROCPRIM_400000_NS6detail17trampoline_kernelINS0_14default_configENS1_38merge_sort_block_merge_config_selectorIisEEZZNS1_27merge_sort_block_merge_implIS3_N6thrust23THRUST_200600_302600_NS10device_ptrIiEENS9_IsEEjNS1_19radix_merge_compareILb0ELb1EiNS0_19identity_decomposerEEEEE10hipError_tT0_T1_T2_jT3_P12ihipStream_tbPNSt15iterator_traitsISG_E10value_typeEPNSM_ISH_E10value_typeEPSI_NS1_7vsmem_tEENKUlT_SG_SH_SI_E_clIPiSA_PsSB_EESF_SV_SG_SH_SI_EUlSV_E1_NS1_11comp_targetILNS1_3genE10ELNS1_11target_archE1201ELNS1_3gpuE5ELNS1_3repE0EEENS1_36merge_oddeven_config_static_selectorELNS0_4arch9wavefront6targetE1EEEvSH_.num_vgpr, 0
	.set _ZN7rocprim17ROCPRIM_400000_NS6detail17trampoline_kernelINS0_14default_configENS1_38merge_sort_block_merge_config_selectorIisEEZZNS1_27merge_sort_block_merge_implIS3_N6thrust23THRUST_200600_302600_NS10device_ptrIiEENS9_IsEEjNS1_19radix_merge_compareILb0ELb1EiNS0_19identity_decomposerEEEEE10hipError_tT0_T1_T2_jT3_P12ihipStream_tbPNSt15iterator_traitsISG_E10value_typeEPNSM_ISH_E10value_typeEPSI_NS1_7vsmem_tEENKUlT_SG_SH_SI_E_clIPiSA_PsSB_EESF_SV_SG_SH_SI_EUlSV_E1_NS1_11comp_targetILNS1_3genE10ELNS1_11target_archE1201ELNS1_3gpuE5ELNS1_3repE0EEENS1_36merge_oddeven_config_static_selectorELNS0_4arch9wavefront6targetE1EEEvSH_.num_agpr, 0
	.set _ZN7rocprim17ROCPRIM_400000_NS6detail17trampoline_kernelINS0_14default_configENS1_38merge_sort_block_merge_config_selectorIisEEZZNS1_27merge_sort_block_merge_implIS3_N6thrust23THRUST_200600_302600_NS10device_ptrIiEENS9_IsEEjNS1_19radix_merge_compareILb0ELb1EiNS0_19identity_decomposerEEEEE10hipError_tT0_T1_T2_jT3_P12ihipStream_tbPNSt15iterator_traitsISG_E10value_typeEPNSM_ISH_E10value_typeEPSI_NS1_7vsmem_tEENKUlT_SG_SH_SI_E_clIPiSA_PsSB_EESF_SV_SG_SH_SI_EUlSV_E1_NS1_11comp_targetILNS1_3genE10ELNS1_11target_archE1201ELNS1_3gpuE5ELNS1_3repE0EEENS1_36merge_oddeven_config_static_selectorELNS0_4arch9wavefront6targetE1EEEvSH_.numbered_sgpr, 0
	.set _ZN7rocprim17ROCPRIM_400000_NS6detail17trampoline_kernelINS0_14default_configENS1_38merge_sort_block_merge_config_selectorIisEEZZNS1_27merge_sort_block_merge_implIS3_N6thrust23THRUST_200600_302600_NS10device_ptrIiEENS9_IsEEjNS1_19radix_merge_compareILb0ELb1EiNS0_19identity_decomposerEEEEE10hipError_tT0_T1_T2_jT3_P12ihipStream_tbPNSt15iterator_traitsISG_E10value_typeEPNSM_ISH_E10value_typeEPSI_NS1_7vsmem_tEENKUlT_SG_SH_SI_E_clIPiSA_PsSB_EESF_SV_SG_SH_SI_EUlSV_E1_NS1_11comp_targetILNS1_3genE10ELNS1_11target_archE1201ELNS1_3gpuE5ELNS1_3repE0EEENS1_36merge_oddeven_config_static_selectorELNS0_4arch9wavefront6targetE1EEEvSH_.num_named_barrier, 0
	.set _ZN7rocprim17ROCPRIM_400000_NS6detail17trampoline_kernelINS0_14default_configENS1_38merge_sort_block_merge_config_selectorIisEEZZNS1_27merge_sort_block_merge_implIS3_N6thrust23THRUST_200600_302600_NS10device_ptrIiEENS9_IsEEjNS1_19radix_merge_compareILb0ELb1EiNS0_19identity_decomposerEEEEE10hipError_tT0_T1_T2_jT3_P12ihipStream_tbPNSt15iterator_traitsISG_E10value_typeEPNSM_ISH_E10value_typeEPSI_NS1_7vsmem_tEENKUlT_SG_SH_SI_E_clIPiSA_PsSB_EESF_SV_SG_SH_SI_EUlSV_E1_NS1_11comp_targetILNS1_3genE10ELNS1_11target_archE1201ELNS1_3gpuE5ELNS1_3repE0EEENS1_36merge_oddeven_config_static_selectorELNS0_4arch9wavefront6targetE1EEEvSH_.private_seg_size, 0
	.set _ZN7rocprim17ROCPRIM_400000_NS6detail17trampoline_kernelINS0_14default_configENS1_38merge_sort_block_merge_config_selectorIisEEZZNS1_27merge_sort_block_merge_implIS3_N6thrust23THRUST_200600_302600_NS10device_ptrIiEENS9_IsEEjNS1_19radix_merge_compareILb0ELb1EiNS0_19identity_decomposerEEEEE10hipError_tT0_T1_T2_jT3_P12ihipStream_tbPNSt15iterator_traitsISG_E10value_typeEPNSM_ISH_E10value_typeEPSI_NS1_7vsmem_tEENKUlT_SG_SH_SI_E_clIPiSA_PsSB_EESF_SV_SG_SH_SI_EUlSV_E1_NS1_11comp_targetILNS1_3genE10ELNS1_11target_archE1201ELNS1_3gpuE5ELNS1_3repE0EEENS1_36merge_oddeven_config_static_selectorELNS0_4arch9wavefront6targetE1EEEvSH_.uses_vcc, 0
	.set _ZN7rocprim17ROCPRIM_400000_NS6detail17trampoline_kernelINS0_14default_configENS1_38merge_sort_block_merge_config_selectorIisEEZZNS1_27merge_sort_block_merge_implIS3_N6thrust23THRUST_200600_302600_NS10device_ptrIiEENS9_IsEEjNS1_19radix_merge_compareILb0ELb1EiNS0_19identity_decomposerEEEEE10hipError_tT0_T1_T2_jT3_P12ihipStream_tbPNSt15iterator_traitsISG_E10value_typeEPNSM_ISH_E10value_typeEPSI_NS1_7vsmem_tEENKUlT_SG_SH_SI_E_clIPiSA_PsSB_EESF_SV_SG_SH_SI_EUlSV_E1_NS1_11comp_targetILNS1_3genE10ELNS1_11target_archE1201ELNS1_3gpuE5ELNS1_3repE0EEENS1_36merge_oddeven_config_static_selectorELNS0_4arch9wavefront6targetE1EEEvSH_.uses_flat_scratch, 0
	.set _ZN7rocprim17ROCPRIM_400000_NS6detail17trampoline_kernelINS0_14default_configENS1_38merge_sort_block_merge_config_selectorIisEEZZNS1_27merge_sort_block_merge_implIS3_N6thrust23THRUST_200600_302600_NS10device_ptrIiEENS9_IsEEjNS1_19radix_merge_compareILb0ELb1EiNS0_19identity_decomposerEEEEE10hipError_tT0_T1_T2_jT3_P12ihipStream_tbPNSt15iterator_traitsISG_E10value_typeEPNSM_ISH_E10value_typeEPSI_NS1_7vsmem_tEENKUlT_SG_SH_SI_E_clIPiSA_PsSB_EESF_SV_SG_SH_SI_EUlSV_E1_NS1_11comp_targetILNS1_3genE10ELNS1_11target_archE1201ELNS1_3gpuE5ELNS1_3repE0EEENS1_36merge_oddeven_config_static_selectorELNS0_4arch9wavefront6targetE1EEEvSH_.has_dyn_sized_stack, 0
	.set _ZN7rocprim17ROCPRIM_400000_NS6detail17trampoline_kernelINS0_14default_configENS1_38merge_sort_block_merge_config_selectorIisEEZZNS1_27merge_sort_block_merge_implIS3_N6thrust23THRUST_200600_302600_NS10device_ptrIiEENS9_IsEEjNS1_19radix_merge_compareILb0ELb1EiNS0_19identity_decomposerEEEEE10hipError_tT0_T1_T2_jT3_P12ihipStream_tbPNSt15iterator_traitsISG_E10value_typeEPNSM_ISH_E10value_typeEPSI_NS1_7vsmem_tEENKUlT_SG_SH_SI_E_clIPiSA_PsSB_EESF_SV_SG_SH_SI_EUlSV_E1_NS1_11comp_targetILNS1_3genE10ELNS1_11target_archE1201ELNS1_3gpuE5ELNS1_3repE0EEENS1_36merge_oddeven_config_static_selectorELNS0_4arch9wavefront6targetE1EEEvSH_.has_recursion, 0
	.set _ZN7rocprim17ROCPRIM_400000_NS6detail17trampoline_kernelINS0_14default_configENS1_38merge_sort_block_merge_config_selectorIisEEZZNS1_27merge_sort_block_merge_implIS3_N6thrust23THRUST_200600_302600_NS10device_ptrIiEENS9_IsEEjNS1_19radix_merge_compareILb0ELb1EiNS0_19identity_decomposerEEEEE10hipError_tT0_T1_T2_jT3_P12ihipStream_tbPNSt15iterator_traitsISG_E10value_typeEPNSM_ISH_E10value_typeEPSI_NS1_7vsmem_tEENKUlT_SG_SH_SI_E_clIPiSA_PsSB_EESF_SV_SG_SH_SI_EUlSV_E1_NS1_11comp_targetILNS1_3genE10ELNS1_11target_archE1201ELNS1_3gpuE5ELNS1_3repE0EEENS1_36merge_oddeven_config_static_selectorELNS0_4arch9wavefront6targetE1EEEvSH_.has_indirect_call, 0
	.section	.AMDGPU.csdata,"",@progbits
; Kernel info:
; codeLenInByte = 0
; TotalNumSgprs: 6
; NumVgprs: 0
; NumAgprs: 0
; TotalNumVgprs: 0
; ScratchSize: 0
; MemoryBound: 0
; FloatMode: 240
; IeeeMode: 1
; LDSByteSize: 0 bytes/workgroup (compile time only)
; SGPRBlocks: 0
; VGPRBlocks: 0
; NumSGPRsForWavesPerEU: 6
; NumVGPRsForWavesPerEU: 1
; AccumOffset: 4
; Occupancy: 8
; WaveLimiterHint : 0
; COMPUTE_PGM_RSRC2:SCRATCH_EN: 0
; COMPUTE_PGM_RSRC2:USER_SGPR: 2
; COMPUTE_PGM_RSRC2:TRAP_HANDLER: 0
; COMPUTE_PGM_RSRC2:TGID_X_EN: 1
; COMPUTE_PGM_RSRC2:TGID_Y_EN: 0
; COMPUTE_PGM_RSRC2:TGID_Z_EN: 0
; COMPUTE_PGM_RSRC2:TIDIG_COMP_CNT: 0
; COMPUTE_PGM_RSRC3_GFX90A:ACCUM_OFFSET: 0
; COMPUTE_PGM_RSRC3_GFX90A:TG_SPLIT: 0
	.section	.text._ZN7rocprim17ROCPRIM_400000_NS6detail17trampoline_kernelINS0_14default_configENS1_38merge_sort_block_merge_config_selectorIisEEZZNS1_27merge_sort_block_merge_implIS3_N6thrust23THRUST_200600_302600_NS10device_ptrIiEENS9_IsEEjNS1_19radix_merge_compareILb0ELb1EiNS0_19identity_decomposerEEEEE10hipError_tT0_T1_T2_jT3_P12ihipStream_tbPNSt15iterator_traitsISG_E10value_typeEPNSM_ISH_E10value_typeEPSI_NS1_7vsmem_tEENKUlT_SG_SH_SI_E_clIPiSA_PsSB_EESF_SV_SG_SH_SI_EUlSV_E1_NS1_11comp_targetILNS1_3genE5ELNS1_11target_archE942ELNS1_3gpuE9ELNS1_3repE0EEENS1_36merge_oddeven_config_static_selectorELNS0_4arch9wavefront6targetE1EEEvSH_,"axG",@progbits,_ZN7rocprim17ROCPRIM_400000_NS6detail17trampoline_kernelINS0_14default_configENS1_38merge_sort_block_merge_config_selectorIisEEZZNS1_27merge_sort_block_merge_implIS3_N6thrust23THRUST_200600_302600_NS10device_ptrIiEENS9_IsEEjNS1_19radix_merge_compareILb0ELb1EiNS0_19identity_decomposerEEEEE10hipError_tT0_T1_T2_jT3_P12ihipStream_tbPNSt15iterator_traitsISG_E10value_typeEPNSM_ISH_E10value_typeEPSI_NS1_7vsmem_tEENKUlT_SG_SH_SI_E_clIPiSA_PsSB_EESF_SV_SG_SH_SI_EUlSV_E1_NS1_11comp_targetILNS1_3genE5ELNS1_11target_archE942ELNS1_3gpuE9ELNS1_3repE0EEENS1_36merge_oddeven_config_static_selectorELNS0_4arch9wavefront6targetE1EEEvSH_,comdat
	.protected	_ZN7rocprim17ROCPRIM_400000_NS6detail17trampoline_kernelINS0_14default_configENS1_38merge_sort_block_merge_config_selectorIisEEZZNS1_27merge_sort_block_merge_implIS3_N6thrust23THRUST_200600_302600_NS10device_ptrIiEENS9_IsEEjNS1_19radix_merge_compareILb0ELb1EiNS0_19identity_decomposerEEEEE10hipError_tT0_T1_T2_jT3_P12ihipStream_tbPNSt15iterator_traitsISG_E10value_typeEPNSM_ISH_E10value_typeEPSI_NS1_7vsmem_tEENKUlT_SG_SH_SI_E_clIPiSA_PsSB_EESF_SV_SG_SH_SI_EUlSV_E1_NS1_11comp_targetILNS1_3genE5ELNS1_11target_archE942ELNS1_3gpuE9ELNS1_3repE0EEENS1_36merge_oddeven_config_static_selectorELNS0_4arch9wavefront6targetE1EEEvSH_ ; -- Begin function _ZN7rocprim17ROCPRIM_400000_NS6detail17trampoline_kernelINS0_14default_configENS1_38merge_sort_block_merge_config_selectorIisEEZZNS1_27merge_sort_block_merge_implIS3_N6thrust23THRUST_200600_302600_NS10device_ptrIiEENS9_IsEEjNS1_19radix_merge_compareILb0ELb1EiNS0_19identity_decomposerEEEEE10hipError_tT0_T1_T2_jT3_P12ihipStream_tbPNSt15iterator_traitsISG_E10value_typeEPNSM_ISH_E10value_typeEPSI_NS1_7vsmem_tEENKUlT_SG_SH_SI_E_clIPiSA_PsSB_EESF_SV_SG_SH_SI_EUlSV_E1_NS1_11comp_targetILNS1_3genE5ELNS1_11target_archE942ELNS1_3gpuE9ELNS1_3repE0EEENS1_36merge_oddeven_config_static_selectorELNS0_4arch9wavefront6targetE1EEEvSH_
	.globl	_ZN7rocprim17ROCPRIM_400000_NS6detail17trampoline_kernelINS0_14default_configENS1_38merge_sort_block_merge_config_selectorIisEEZZNS1_27merge_sort_block_merge_implIS3_N6thrust23THRUST_200600_302600_NS10device_ptrIiEENS9_IsEEjNS1_19radix_merge_compareILb0ELb1EiNS0_19identity_decomposerEEEEE10hipError_tT0_T1_T2_jT3_P12ihipStream_tbPNSt15iterator_traitsISG_E10value_typeEPNSM_ISH_E10value_typeEPSI_NS1_7vsmem_tEENKUlT_SG_SH_SI_E_clIPiSA_PsSB_EESF_SV_SG_SH_SI_EUlSV_E1_NS1_11comp_targetILNS1_3genE5ELNS1_11target_archE942ELNS1_3gpuE9ELNS1_3repE0EEENS1_36merge_oddeven_config_static_selectorELNS0_4arch9wavefront6targetE1EEEvSH_
	.p2align	8
	.type	_ZN7rocprim17ROCPRIM_400000_NS6detail17trampoline_kernelINS0_14default_configENS1_38merge_sort_block_merge_config_selectorIisEEZZNS1_27merge_sort_block_merge_implIS3_N6thrust23THRUST_200600_302600_NS10device_ptrIiEENS9_IsEEjNS1_19radix_merge_compareILb0ELb1EiNS0_19identity_decomposerEEEEE10hipError_tT0_T1_T2_jT3_P12ihipStream_tbPNSt15iterator_traitsISG_E10value_typeEPNSM_ISH_E10value_typeEPSI_NS1_7vsmem_tEENKUlT_SG_SH_SI_E_clIPiSA_PsSB_EESF_SV_SG_SH_SI_EUlSV_E1_NS1_11comp_targetILNS1_3genE5ELNS1_11target_archE942ELNS1_3gpuE9ELNS1_3repE0EEENS1_36merge_oddeven_config_static_selectorELNS0_4arch9wavefront6targetE1EEEvSH_,@function
_ZN7rocprim17ROCPRIM_400000_NS6detail17trampoline_kernelINS0_14default_configENS1_38merge_sort_block_merge_config_selectorIisEEZZNS1_27merge_sort_block_merge_implIS3_N6thrust23THRUST_200600_302600_NS10device_ptrIiEENS9_IsEEjNS1_19radix_merge_compareILb0ELb1EiNS0_19identity_decomposerEEEEE10hipError_tT0_T1_T2_jT3_P12ihipStream_tbPNSt15iterator_traitsISG_E10value_typeEPNSM_ISH_E10value_typeEPSI_NS1_7vsmem_tEENKUlT_SG_SH_SI_E_clIPiSA_PsSB_EESF_SV_SG_SH_SI_EUlSV_E1_NS1_11comp_targetILNS1_3genE5ELNS1_11target_archE942ELNS1_3gpuE9ELNS1_3repE0EEENS1_36merge_oddeven_config_static_selectorELNS0_4arch9wavefront6targetE1EEEvSH_: ; @_ZN7rocprim17ROCPRIM_400000_NS6detail17trampoline_kernelINS0_14default_configENS1_38merge_sort_block_merge_config_selectorIisEEZZNS1_27merge_sort_block_merge_implIS3_N6thrust23THRUST_200600_302600_NS10device_ptrIiEENS9_IsEEjNS1_19radix_merge_compareILb0ELb1EiNS0_19identity_decomposerEEEEE10hipError_tT0_T1_T2_jT3_P12ihipStream_tbPNSt15iterator_traitsISG_E10value_typeEPNSM_ISH_E10value_typeEPSI_NS1_7vsmem_tEENKUlT_SG_SH_SI_E_clIPiSA_PsSB_EESF_SV_SG_SH_SI_EUlSV_E1_NS1_11comp_targetILNS1_3genE5ELNS1_11target_archE942ELNS1_3gpuE9ELNS1_3repE0EEENS1_36merge_oddeven_config_static_selectorELNS0_4arch9wavefront6targetE1EEEvSH_
; %bb.0:
	.section	.rodata,"a",@progbits
	.p2align	6, 0x0
	.amdhsa_kernel _ZN7rocprim17ROCPRIM_400000_NS6detail17trampoline_kernelINS0_14default_configENS1_38merge_sort_block_merge_config_selectorIisEEZZNS1_27merge_sort_block_merge_implIS3_N6thrust23THRUST_200600_302600_NS10device_ptrIiEENS9_IsEEjNS1_19radix_merge_compareILb0ELb1EiNS0_19identity_decomposerEEEEE10hipError_tT0_T1_T2_jT3_P12ihipStream_tbPNSt15iterator_traitsISG_E10value_typeEPNSM_ISH_E10value_typeEPSI_NS1_7vsmem_tEENKUlT_SG_SH_SI_E_clIPiSA_PsSB_EESF_SV_SG_SH_SI_EUlSV_E1_NS1_11comp_targetILNS1_3genE5ELNS1_11target_archE942ELNS1_3gpuE9ELNS1_3repE0EEENS1_36merge_oddeven_config_static_selectorELNS0_4arch9wavefront6targetE1EEEvSH_
		.amdhsa_group_segment_fixed_size 0
		.amdhsa_private_segment_fixed_size 0
		.amdhsa_kernarg_size 48
		.amdhsa_user_sgpr_count 2
		.amdhsa_user_sgpr_dispatch_ptr 0
		.amdhsa_user_sgpr_queue_ptr 0
		.amdhsa_user_sgpr_kernarg_segment_ptr 1
		.amdhsa_user_sgpr_dispatch_id 0
		.amdhsa_user_sgpr_kernarg_preload_length 0
		.amdhsa_user_sgpr_kernarg_preload_offset 0
		.amdhsa_user_sgpr_private_segment_size 0
		.amdhsa_uses_dynamic_stack 0
		.amdhsa_enable_private_segment 0
		.amdhsa_system_sgpr_workgroup_id_x 1
		.amdhsa_system_sgpr_workgroup_id_y 0
		.amdhsa_system_sgpr_workgroup_id_z 0
		.amdhsa_system_sgpr_workgroup_info 0
		.amdhsa_system_vgpr_workitem_id 0
		.amdhsa_next_free_vgpr 1
		.amdhsa_next_free_sgpr 0
		.amdhsa_accum_offset 4
		.amdhsa_reserve_vcc 0
		.amdhsa_float_round_mode_32 0
		.amdhsa_float_round_mode_16_64 0
		.amdhsa_float_denorm_mode_32 3
		.amdhsa_float_denorm_mode_16_64 3
		.amdhsa_dx10_clamp 1
		.amdhsa_ieee_mode 1
		.amdhsa_fp16_overflow 0
		.amdhsa_tg_split 0
		.amdhsa_exception_fp_ieee_invalid_op 0
		.amdhsa_exception_fp_denorm_src 0
		.amdhsa_exception_fp_ieee_div_zero 0
		.amdhsa_exception_fp_ieee_overflow 0
		.amdhsa_exception_fp_ieee_underflow 0
		.amdhsa_exception_fp_ieee_inexact 0
		.amdhsa_exception_int_div_zero 0
	.end_amdhsa_kernel
	.section	.text._ZN7rocprim17ROCPRIM_400000_NS6detail17trampoline_kernelINS0_14default_configENS1_38merge_sort_block_merge_config_selectorIisEEZZNS1_27merge_sort_block_merge_implIS3_N6thrust23THRUST_200600_302600_NS10device_ptrIiEENS9_IsEEjNS1_19radix_merge_compareILb0ELb1EiNS0_19identity_decomposerEEEEE10hipError_tT0_T1_T2_jT3_P12ihipStream_tbPNSt15iterator_traitsISG_E10value_typeEPNSM_ISH_E10value_typeEPSI_NS1_7vsmem_tEENKUlT_SG_SH_SI_E_clIPiSA_PsSB_EESF_SV_SG_SH_SI_EUlSV_E1_NS1_11comp_targetILNS1_3genE5ELNS1_11target_archE942ELNS1_3gpuE9ELNS1_3repE0EEENS1_36merge_oddeven_config_static_selectorELNS0_4arch9wavefront6targetE1EEEvSH_,"axG",@progbits,_ZN7rocprim17ROCPRIM_400000_NS6detail17trampoline_kernelINS0_14default_configENS1_38merge_sort_block_merge_config_selectorIisEEZZNS1_27merge_sort_block_merge_implIS3_N6thrust23THRUST_200600_302600_NS10device_ptrIiEENS9_IsEEjNS1_19radix_merge_compareILb0ELb1EiNS0_19identity_decomposerEEEEE10hipError_tT0_T1_T2_jT3_P12ihipStream_tbPNSt15iterator_traitsISG_E10value_typeEPNSM_ISH_E10value_typeEPSI_NS1_7vsmem_tEENKUlT_SG_SH_SI_E_clIPiSA_PsSB_EESF_SV_SG_SH_SI_EUlSV_E1_NS1_11comp_targetILNS1_3genE5ELNS1_11target_archE942ELNS1_3gpuE9ELNS1_3repE0EEENS1_36merge_oddeven_config_static_selectorELNS0_4arch9wavefront6targetE1EEEvSH_,comdat
.Lfunc_end2374:
	.size	_ZN7rocprim17ROCPRIM_400000_NS6detail17trampoline_kernelINS0_14default_configENS1_38merge_sort_block_merge_config_selectorIisEEZZNS1_27merge_sort_block_merge_implIS3_N6thrust23THRUST_200600_302600_NS10device_ptrIiEENS9_IsEEjNS1_19radix_merge_compareILb0ELb1EiNS0_19identity_decomposerEEEEE10hipError_tT0_T1_T2_jT3_P12ihipStream_tbPNSt15iterator_traitsISG_E10value_typeEPNSM_ISH_E10value_typeEPSI_NS1_7vsmem_tEENKUlT_SG_SH_SI_E_clIPiSA_PsSB_EESF_SV_SG_SH_SI_EUlSV_E1_NS1_11comp_targetILNS1_3genE5ELNS1_11target_archE942ELNS1_3gpuE9ELNS1_3repE0EEENS1_36merge_oddeven_config_static_selectorELNS0_4arch9wavefront6targetE1EEEvSH_, .Lfunc_end2374-_ZN7rocprim17ROCPRIM_400000_NS6detail17trampoline_kernelINS0_14default_configENS1_38merge_sort_block_merge_config_selectorIisEEZZNS1_27merge_sort_block_merge_implIS3_N6thrust23THRUST_200600_302600_NS10device_ptrIiEENS9_IsEEjNS1_19radix_merge_compareILb0ELb1EiNS0_19identity_decomposerEEEEE10hipError_tT0_T1_T2_jT3_P12ihipStream_tbPNSt15iterator_traitsISG_E10value_typeEPNSM_ISH_E10value_typeEPSI_NS1_7vsmem_tEENKUlT_SG_SH_SI_E_clIPiSA_PsSB_EESF_SV_SG_SH_SI_EUlSV_E1_NS1_11comp_targetILNS1_3genE5ELNS1_11target_archE942ELNS1_3gpuE9ELNS1_3repE0EEENS1_36merge_oddeven_config_static_selectorELNS0_4arch9wavefront6targetE1EEEvSH_
                                        ; -- End function
	.set _ZN7rocprim17ROCPRIM_400000_NS6detail17trampoline_kernelINS0_14default_configENS1_38merge_sort_block_merge_config_selectorIisEEZZNS1_27merge_sort_block_merge_implIS3_N6thrust23THRUST_200600_302600_NS10device_ptrIiEENS9_IsEEjNS1_19radix_merge_compareILb0ELb1EiNS0_19identity_decomposerEEEEE10hipError_tT0_T1_T2_jT3_P12ihipStream_tbPNSt15iterator_traitsISG_E10value_typeEPNSM_ISH_E10value_typeEPSI_NS1_7vsmem_tEENKUlT_SG_SH_SI_E_clIPiSA_PsSB_EESF_SV_SG_SH_SI_EUlSV_E1_NS1_11comp_targetILNS1_3genE5ELNS1_11target_archE942ELNS1_3gpuE9ELNS1_3repE0EEENS1_36merge_oddeven_config_static_selectorELNS0_4arch9wavefront6targetE1EEEvSH_.num_vgpr, 0
	.set _ZN7rocprim17ROCPRIM_400000_NS6detail17trampoline_kernelINS0_14default_configENS1_38merge_sort_block_merge_config_selectorIisEEZZNS1_27merge_sort_block_merge_implIS3_N6thrust23THRUST_200600_302600_NS10device_ptrIiEENS9_IsEEjNS1_19radix_merge_compareILb0ELb1EiNS0_19identity_decomposerEEEEE10hipError_tT0_T1_T2_jT3_P12ihipStream_tbPNSt15iterator_traitsISG_E10value_typeEPNSM_ISH_E10value_typeEPSI_NS1_7vsmem_tEENKUlT_SG_SH_SI_E_clIPiSA_PsSB_EESF_SV_SG_SH_SI_EUlSV_E1_NS1_11comp_targetILNS1_3genE5ELNS1_11target_archE942ELNS1_3gpuE9ELNS1_3repE0EEENS1_36merge_oddeven_config_static_selectorELNS0_4arch9wavefront6targetE1EEEvSH_.num_agpr, 0
	.set _ZN7rocprim17ROCPRIM_400000_NS6detail17trampoline_kernelINS0_14default_configENS1_38merge_sort_block_merge_config_selectorIisEEZZNS1_27merge_sort_block_merge_implIS3_N6thrust23THRUST_200600_302600_NS10device_ptrIiEENS9_IsEEjNS1_19radix_merge_compareILb0ELb1EiNS0_19identity_decomposerEEEEE10hipError_tT0_T1_T2_jT3_P12ihipStream_tbPNSt15iterator_traitsISG_E10value_typeEPNSM_ISH_E10value_typeEPSI_NS1_7vsmem_tEENKUlT_SG_SH_SI_E_clIPiSA_PsSB_EESF_SV_SG_SH_SI_EUlSV_E1_NS1_11comp_targetILNS1_3genE5ELNS1_11target_archE942ELNS1_3gpuE9ELNS1_3repE0EEENS1_36merge_oddeven_config_static_selectorELNS0_4arch9wavefront6targetE1EEEvSH_.numbered_sgpr, 0
	.set _ZN7rocprim17ROCPRIM_400000_NS6detail17trampoline_kernelINS0_14default_configENS1_38merge_sort_block_merge_config_selectorIisEEZZNS1_27merge_sort_block_merge_implIS3_N6thrust23THRUST_200600_302600_NS10device_ptrIiEENS9_IsEEjNS1_19radix_merge_compareILb0ELb1EiNS0_19identity_decomposerEEEEE10hipError_tT0_T1_T2_jT3_P12ihipStream_tbPNSt15iterator_traitsISG_E10value_typeEPNSM_ISH_E10value_typeEPSI_NS1_7vsmem_tEENKUlT_SG_SH_SI_E_clIPiSA_PsSB_EESF_SV_SG_SH_SI_EUlSV_E1_NS1_11comp_targetILNS1_3genE5ELNS1_11target_archE942ELNS1_3gpuE9ELNS1_3repE0EEENS1_36merge_oddeven_config_static_selectorELNS0_4arch9wavefront6targetE1EEEvSH_.num_named_barrier, 0
	.set _ZN7rocprim17ROCPRIM_400000_NS6detail17trampoline_kernelINS0_14default_configENS1_38merge_sort_block_merge_config_selectorIisEEZZNS1_27merge_sort_block_merge_implIS3_N6thrust23THRUST_200600_302600_NS10device_ptrIiEENS9_IsEEjNS1_19radix_merge_compareILb0ELb1EiNS0_19identity_decomposerEEEEE10hipError_tT0_T1_T2_jT3_P12ihipStream_tbPNSt15iterator_traitsISG_E10value_typeEPNSM_ISH_E10value_typeEPSI_NS1_7vsmem_tEENKUlT_SG_SH_SI_E_clIPiSA_PsSB_EESF_SV_SG_SH_SI_EUlSV_E1_NS1_11comp_targetILNS1_3genE5ELNS1_11target_archE942ELNS1_3gpuE9ELNS1_3repE0EEENS1_36merge_oddeven_config_static_selectorELNS0_4arch9wavefront6targetE1EEEvSH_.private_seg_size, 0
	.set _ZN7rocprim17ROCPRIM_400000_NS6detail17trampoline_kernelINS0_14default_configENS1_38merge_sort_block_merge_config_selectorIisEEZZNS1_27merge_sort_block_merge_implIS3_N6thrust23THRUST_200600_302600_NS10device_ptrIiEENS9_IsEEjNS1_19radix_merge_compareILb0ELb1EiNS0_19identity_decomposerEEEEE10hipError_tT0_T1_T2_jT3_P12ihipStream_tbPNSt15iterator_traitsISG_E10value_typeEPNSM_ISH_E10value_typeEPSI_NS1_7vsmem_tEENKUlT_SG_SH_SI_E_clIPiSA_PsSB_EESF_SV_SG_SH_SI_EUlSV_E1_NS1_11comp_targetILNS1_3genE5ELNS1_11target_archE942ELNS1_3gpuE9ELNS1_3repE0EEENS1_36merge_oddeven_config_static_selectorELNS0_4arch9wavefront6targetE1EEEvSH_.uses_vcc, 0
	.set _ZN7rocprim17ROCPRIM_400000_NS6detail17trampoline_kernelINS0_14default_configENS1_38merge_sort_block_merge_config_selectorIisEEZZNS1_27merge_sort_block_merge_implIS3_N6thrust23THRUST_200600_302600_NS10device_ptrIiEENS9_IsEEjNS1_19radix_merge_compareILb0ELb1EiNS0_19identity_decomposerEEEEE10hipError_tT0_T1_T2_jT3_P12ihipStream_tbPNSt15iterator_traitsISG_E10value_typeEPNSM_ISH_E10value_typeEPSI_NS1_7vsmem_tEENKUlT_SG_SH_SI_E_clIPiSA_PsSB_EESF_SV_SG_SH_SI_EUlSV_E1_NS1_11comp_targetILNS1_3genE5ELNS1_11target_archE942ELNS1_3gpuE9ELNS1_3repE0EEENS1_36merge_oddeven_config_static_selectorELNS0_4arch9wavefront6targetE1EEEvSH_.uses_flat_scratch, 0
	.set _ZN7rocprim17ROCPRIM_400000_NS6detail17trampoline_kernelINS0_14default_configENS1_38merge_sort_block_merge_config_selectorIisEEZZNS1_27merge_sort_block_merge_implIS3_N6thrust23THRUST_200600_302600_NS10device_ptrIiEENS9_IsEEjNS1_19radix_merge_compareILb0ELb1EiNS0_19identity_decomposerEEEEE10hipError_tT0_T1_T2_jT3_P12ihipStream_tbPNSt15iterator_traitsISG_E10value_typeEPNSM_ISH_E10value_typeEPSI_NS1_7vsmem_tEENKUlT_SG_SH_SI_E_clIPiSA_PsSB_EESF_SV_SG_SH_SI_EUlSV_E1_NS1_11comp_targetILNS1_3genE5ELNS1_11target_archE942ELNS1_3gpuE9ELNS1_3repE0EEENS1_36merge_oddeven_config_static_selectorELNS0_4arch9wavefront6targetE1EEEvSH_.has_dyn_sized_stack, 0
	.set _ZN7rocprim17ROCPRIM_400000_NS6detail17trampoline_kernelINS0_14default_configENS1_38merge_sort_block_merge_config_selectorIisEEZZNS1_27merge_sort_block_merge_implIS3_N6thrust23THRUST_200600_302600_NS10device_ptrIiEENS9_IsEEjNS1_19radix_merge_compareILb0ELb1EiNS0_19identity_decomposerEEEEE10hipError_tT0_T1_T2_jT3_P12ihipStream_tbPNSt15iterator_traitsISG_E10value_typeEPNSM_ISH_E10value_typeEPSI_NS1_7vsmem_tEENKUlT_SG_SH_SI_E_clIPiSA_PsSB_EESF_SV_SG_SH_SI_EUlSV_E1_NS1_11comp_targetILNS1_3genE5ELNS1_11target_archE942ELNS1_3gpuE9ELNS1_3repE0EEENS1_36merge_oddeven_config_static_selectorELNS0_4arch9wavefront6targetE1EEEvSH_.has_recursion, 0
	.set _ZN7rocprim17ROCPRIM_400000_NS6detail17trampoline_kernelINS0_14default_configENS1_38merge_sort_block_merge_config_selectorIisEEZZNS1_27merge_sort_block_merge_implIS3_N6thrust23THRUST_200600_302600_NS10device_ptrIiEENS9_IsEEjNS1_19radix_merge_compareILb0ELb1EiNS0_19identity_decomposerEEEEE10hipError_tT0_T1_T2_jT3_P12ihipStream_tbPNSt15iterator_traitsISG_E10value_typeEPNSM_ISH_E10value_typeEPSI_NS1_7vsmem_tEENKUlT_SG_SH_SI_E_clIPiSA_PsSB_EESF_SV_SG_SH_SI_EUlSV_E1_NS1_11comp_targetILNS1_3genE5ELNS1_11target_archE942ELNS1_3gpuE9ELNS1_3repE0EEENS1_36merge_oddeven_config_static_selectorELNS0_4arch9wavefront6targetE1EEEvSH_.has_indirect_call, 0
	.section	.AMDGPU.csdata,"",@progbits
; Kernel info:
; codeLenInByte = 0
; TotalNumSgprs: 6
; NumVgprs: 0
; NumAgprs: 0
; TotalNumVgprs: 0
; ScratchSize: 0
; MemoryBound: 0
; FloatMode: 240
; IeeeMode: 1
; LDSByteSize: 0 bytes/workgroup (compile time only)
; SGPRBlocks: 0
; VGPRBlocks: 0
; NumSGPRsForWavesPerEU: 6
; NumVGPRsForWavesPerEU: 1
; AccumOffset: 4
; Occupancy: 8
; WaveLimiterHint : 0
; COMPUTE_PGM_RSRC2:SCRATCH_EN: 0
; COMPUTE_PGM_RSRC2:USER_SGPR: 2
; COMPUTE_PGM_RSRC2:TRAP_HANDLER: 0
; COMPUTE_PGM_RSRC2:TGID_X_EN: 1
; COMPUTE_PGM_RSRC2:TGID_Y_EN: 0
; COMPUTE_PGM_RSRC2:TGID_Z_EN: 0
; COMPUTE_PGM_RSRC2:TIDIG_COMP_CNT: 0
; COMPUTE_PGM_RSRC3_GFX90A:ACCUM_OFFSET: 0
; COMPUTE_PGM_RSRC3_GFX90A:TG_SPLIT: 0
	.section	.text._ZN7rocprim17ROCPRIM_400000_NS6detail17trampoline_kernelINS0_14default_configENS1_38merge_sort_block_merge_config_selectorIisEEZZNS1_27merge_sort_block_merge_implIS3_N6thrust23THRUST_200600_302600_NS10device_ptrIiEENS9_IsEEjNS1_19radix_merge_compareILb0ELb1EiNS0_19identity_decomposerEEEEE10hipError_tT0_T1_T2_jT3_P12ihipStream_tbPNSt15iterator_traitsISG_E10value_typeEPNSM_ISH_E10value_typeEPSI_NS1_7vsmem_tEENKUlT_SG_SH_SI_E_clIPiSA_PsSB_EESF_SV_SG_SH_SI_EUlSV_E1_NS1_11comp_targetILNS1_3genE4ELNS1_11target_archE910ELNS1_3gpuE8ELNS1_3repE0EEENS1_36merge_oddeven_config_static_selectorELNS0_4arch9wavefront6targetE1EEEvSH_,"axG",@progbits,_ZN7rocprim17ROCPRIM_400000_NS6detail17trampoline_kernelINS0_14default_configENS1_38merge_sort_block_merge_config_selectorIisEEZZNS1_27merge_sort_block_merge_implIS3_N6thrust23THRUST_200600_302600_NS10device_ptrIiEENS9_IsEEjNS1_19radix_merge_compareILb0ELb1EiNS0_19identity_decomposerEEEEE10hipError_tT0_T1_T2_jT3_P12ihipStream_tbPNSt15iterator_traitsISG_E10value_typeEPNSM_ISH_E10value_typeEPSI_NS1_7vsmem_tEENKUlT_SG_SH_SI_E_clIPiSA_PsSB_EESF_SV_SG_SH_SI_EUlSV_E1_NS1_11comp_targetILNS1_3genE4ELNS1_11target_archE910ELNS1_3gpuE8ELNS1_3repE0EEENS1_36merge_oddeven_config_static_selectorELNS0_4arch9wavefront6targetE1EEEvSH_,comdat
	.protected	_ZN7rocprim17ROCPRIM_400000_NS6detail17trampoline_kernelINS0_14default_configENS1_38merge_sort_block_merge_config_selectorIisEEZZNS1_27merge_sort_block_merge_implIS3_N6thrust23THRUST_200600_302600_NS10device_ptrIiEENS9_IsEEjNS1_19radix_merge_compareILb0ELb1EiNS0_19identity_decomposerEEEEE10hipError_tT0_T1_T2_jT3_P12ihipStream_tbPNSt15iterator_traitsISG_E10value_typeEPNSM_ISH_E10value_typeEPSI_NS1_7vsmem_tEENKUlT_SG_SH_SI_E_clIPiSA_PsSB_EESF_SV_SG_SH_SI_EUlSV_E1_NS1_11comp_targetILNS1_3genE4ELNS1_11target_archE910ELNS1_3gpuE8ELNS1_3repE0EEENS1_36merge_oddeven_config_static_selectorELNS0_4arch9wavefront6targetE1EEEvSH_ ; -- Begin function _ZN7rocprim17ROCPRIM_400000_NS6detail17trampoline_kernelINS0_14default_configENS1_38merge_sort_block_merge_config_selectorIisEEZZNS1_27merge_sort_block_merge_implIS3_N6thrust23THRUST_200600_302600_NS10device_ptrIiEENS9_IsEEjNS1_19radix_merge_compareILb0ELb1EiNS0_19identity_decomposerEEEEE10hipError_tT0_T1_T2_jT3_P12ihipStream_tbPNSt15iterator_traitsISG_E10value_typeEPNSM_ISH_E10value_typeEPSI_NS1_7vsmem_tEENKUlT_SG_SH_SI_E_clIPiSA_PsSB_EESF_SV_SG_SH_SI_EUlSV_E1_NS1_11comp_targetILNS1_3genE4ELNS1_11target_archE910ELNS1_3gpuE8ELNS1_3repE0EEENS1_36merge_oddeven_config_static_selectorELNS0_4arch9wavefront6targetE1EEEvSH_
	.globl	_ZN7rocprim17ROCPRIM_400000_NS6detail17trampoline_kernelINS0_14default_configENS1_38merge_sort_block_merge_config_selectorIisEEZZNS1_27merge_sort_block_merge_implIS3_N6thrust23THRUST_200600_302600_NS10device_ptrIiEENS9_IsEEjNS1_19radix_merge_compareILb0ELb1EiNS0_19identity_decomposerEEEEE10hipError_tT0_T1_T2_jT3_P12ihipStream_tbPNSt15iterator_traitsISG_E10value_typeEPNSM_ISH_E10value_typeEPSI_NS1_7vsmem_tEENKUlT_SG_SH_SI_E_clIPiSA_PsSB_EESF_SV_SG_SH_SI_EUlSV_E1_NS1_11comp_targetILNS1_3genE4ELNS1_11target_archE910ELNS1_3gpuE8ELNS1_3repE0EEENS1_36merge_oddeven_config_static_selectorELNS0_4arch9wavefront6targetE1EEEvSH_
	.p2align	8
	.type	_ZN7rocprim17ROCPRIM_400000_NS6detail17trampoline_kernelINS0_14default_configENS1_38merge_sort_block_merge_config_selectorIisEEZZNS1_27merge_sort_block_merge_implIS3_N6thrust23THRUST_200600_302600_NS10device_ptrIiEENS9_IsEEjNS1_19radix_merge_compareILb0ELb1EiNS0_19identity_decomposerEEEEE10hipError_tT0_T1_T2_jT3_P12ihipStream_tbPNSt15iterator_traitsISG_E10value_typeEPNSM_ISH_E10value_typeEPSI_NS1_7vsmem_tEENKUlT_SG_SH_SI_E_clIPiSA_PsSB_EESF_SV_SG_SH_SI_EUlSV_E1_NS1_11comp_targetILNS1_3genE4ELNS1_11target_archE910ELNS1_3gpuE8ELNS1_3repE0EEENS1_36merge_oddeven_config_static_selectorELNS0_4arch9wavefront6targetE1EEEvSH_,@function
_ZN7rocprim17ROCPRIM_400000_NS6detail17trampoline_kernelINS0_14default_configENS1_38merge_sort_block_merge_config_selectorIisEEZZNS1_27merge_sort_block_merge_implIS3_N6thrust23THRUST_200600_302600_NS10device_ptrIiEENS9_IsEEjNS1_19radix_merge_compareILb0ELb1EiNS0_19identity_decomposerEEEEE10hipError_tT0_T1_T2_jT3_P12ihipStream_tbPNSt15iterator_traitsISG_E10value_typeEPNSM_ISH_E10value_typeEPSI_NS1_7vsmem_tEENKUlT_SG_SH_SI_E_clIPiSA_PsSB_EESF_SV_SG_SH_SI_EUlSV_E1_NS1_11comp_targetILNS1_3genE4ELNS1_11target_archE910ELNS1_3gpuE8ELNS1_3repE0EEENS1_36merge_oddeven_config_static_selectorELNS0_4arch9wavefront6targetE1EEEvSH_: ; @_ZN7rocprim17ROCPRIM_400000_NS6detail17trampoline_kernelINS0_14default_configENS1_38merge_sort_block_merge_config_selectorIisEEZZNS1_27merge_sort_block_merge_implIS3_N6thrust23THRUST_200600_302600_NS10device_ptrIiEENS9_IsEEjNS1_19radix_merge_compareILb0ELb1EiNS0_19identity_decomposerEEEEE10hipError_tT0_T1_T2_jT3_P12ihipStream_tbPNSt15iterator_traitsISG_E10value_typeEPNSM_ISH_E10value_typeEPSI_NS1_7vsmem_tEENKUlT_SG_SH_SI_E_clIPiSA_PsSB_EESF_SV_SG_SH_SI_EUlSV_E1_NS1_11comp_targetILNS1_3genE4ELNS1_11target_archE910ELNS1_3gpuE8ELNS1_3repE0EEENS1_36merge_oddeven_config_static_selectorELNS0_4arch9wavefront6targetE1EEEvSH_
; %bb.0:
	.section	.rodata,"a",@progbits
	.p2align	6, 0x0
	.amdhsa_kernel _ZN7rocprim17ROCPRIM_400000_NS6detail17trampoline_kernelINS0_14default_configENS1_38merge_sort_block_merge_config_selectorIisEEZZNS1_27merge_sort_block_merge_implIS3_N6thrust23THRUST_200600_302600_NS10device_ptrIiEENS9_IsEEjNS1_19radix_merge_compareILb0ELb1EiNS0_19identity_decomposerEEEEE10hipError_tT0_T1_T2_jT3_P12ihipStream_tbPNSt15iterator_traitsISG_E10value_typeEPNSM_ISH_E10value_typeEPSI_NS1_7vsmem_tEENKUlT_SG_SH_SI_E_clIPiSA_PsSB_EESF_SV_SG_SH_SI_EUlSV_E1_NS1_11comp_targetILNS1_3genE4ELNS1_11target_archE910ELNS1_3gpuE8ELNS1_3repE0EEENS1_36merge_oddeven_config_static_selectorELNS0_4arch9wavefront6targetE1EEEvSH_
		.amdhsa_group_segment_fixed_size 0
		.amdhsa_private_segment_fixed_size 0
		.amdhsa_kernarg_size 48
		.amdhsa_user_sgpr_count 2
		.amdhsa_user_sgpr_dispatch_ptr 0
		.amdhsa_user_sgpr_queue_ptr 0
		.amdhsa_user_sgpr_kernarg_segment_ptr 1
		.amdhsa_user_sgpr_dispatch_id 0
		.amdhsa_user_sgpr_kernarg_preload_length 0
		.amdhsa_user_sgpr_kernarg_preload_offset 0
		.amdhsa_user_sgpr_private_segment_size 0
		.amdhsa_uses_dynamic_stack 0
		.amdhsa_enable_private_segment 0
		.amdhsa_system_sgpr_workgroup_id_x 1
		.amdhsa_system_sgpr_workgroup_id_y 0
		.amdhsa_system_sgpr_workgroup_id_z 0
		.amdhsa_system_sgpr_workgroup_info 0
		.amdhsa_system_vgpr_workitem_id 0
		.amdhsa_next_free_vgpr 1
		.amdhsa_next_free_sgpr 0
		.amdhsa_accum_offset 4
		.amdhsa_reserve_vcc 0
		.amdhsa_float_round_mode_32 0
		.amdhsa_float_round_mode_16_64 0
		.amdhsa_float_denorm_mode_32 3
		.amdhsa_float_denorm_mode_16_64 3
		.amdhsa_dx10_clamp 1
		.amdhsa_ieee_mode 1
		.amdhsa_fp16_overflow 0
		.amdhsa_tg_split 0
		.amdhsa_exception_fp_ieee_invalid_op 0
		.amdhsa_exception_fp_denorm_src 0
		.amdhsa_exception_fp_ieee_div_zero 0
		.amdhsa_exception_fp_ieee_overflow 0
		.amdhsa_exception_fp_ieee_underflow 0
		.amdhsa_exception_fp_ieee_inexact 0
		.amdhsa_exception_int_div_zero 0
	.end_amdhsa_kernel
	.section	.text._ZN7rocprim17ROCPRIM_400000_NS6detail17trampoline_kernelINS0_14default_configENS1_38merge_sort_block_merge_config_selectorIisEEZZNS1_27merge_sort_block_merge_implIS3_N6thrust23THRUST_200600_302600_NS10device_ptrIiEENS9_IsEEjNS1_19radix_merge_compareILb0ELb1EiNS0_19identity_decomposerEEEEE10hipError_tT0_T1_T2_jT3_P12ihipStream_tbPNSt15iterator_traitsISG_E10value_typeEPNSM_ISH_E10value_typeEPSI_NS1_7vsmem_tEENKUlT_SG_SH_SI_E_clIPiSA_PsSB_EESF_SV_SG_SH_SI_EUlSV_E1_NS1_11comp_targetILNS1_3genE4ELNS1_11target_archE910ELNS1_3gpuE8ELNS1_3repE0EEENS1_36merge_oddeven_config_static_selectorELNS0_4arch9wavefront6targetE1EEEvSH_,"axG",@progbits,_ZN7rocprim17ROCPRIM_400000_NS6detail17trampoline_kernelINS0_14default_configENS1_38merge_sort_block_merge_config_selectorIisEEZZNS1_27merge_sort_block_merge_implIS3_N6thrust23THRUST_200600_302600_NS10device_ptrIiEENS9_IsEEjNS1_19radix_merge_compareILb0ELb1EiNS0_19identity_decomposerEEEEE10hipError_tT0_T1_T2_jT3_P12ihipStream_tbPNSt15iterator_traitsISG_E10value_typeEPNSM_ISH_E10value_typeEPSI_NS1_7vsmem_tEENKUlT_SG_SH_SI_E_clIPiSA_PsSB_EESF_SV_SG_SH_SI_EUlSV_E1_NS1_11comp_targetILNS1_3genE4ELNS1_11target_archE910ELNS1_3gpuE8ELNS1_3repE0EEENS1_36merge_oddeven_config_static_selectorELNS0_4arch9wavefront6targetE1EEEvSH_,comdat
.Lfunc_end2375:
	.size	_ZN7rocprim17ROCPRIM_400000_NS6detail17trampoline_kernelINS0_14default_configENS1_38merge_sort_block_merge_config_selectorIisEEZZNS1_27merge_sort_block_merge_implIS3_N6thrust23THRUST_200600_302600_NS10device_ptrIiEENS9_IsEEjNS1_19radix_merge_compareILb0ELb1EiNS0_19identity_decomposerEEEEE10hipError_tT0_T1_T2_jT3_P12ihipStream_tbPNSt15iterator_traitsISG_E10value_typeEPNSM_ISH_E10value_typeEPSI_NS1_7vsmem_tEENKUlT_SG_SH_SI_E_clIPiSA_PsSB_EESF_SV_SG_SH_SI_EUlSV_E1_NS1_11comp_targetILNS1_3genE4ELNS1_11target_archE910ELNS1_3gpuE8ELNS1_3repE0EEENS1_36merge_oddeven_config_static_selectorELNS0_4arch9wavefront6targetE1EEEvSH_, .Lfunc_end2375-_ZN7rocprim17ROCPRIM_400000_NS6detail17trampoline_kernelINS0_14default_configENS1_38merge_sort_block_merge_config_selectorIisEEZZNS1_27merge_sort_block_merge_implIS3_N6thrust23THRUST_200600_302600_NS10device_ptrIiEENS9_IsEEjNS1_19radix_merge_compareILb0ELb1EiNS0_19identity_decomposerEEEEE10hipError_tT0_T1_T2_jT3_P12ihipStream_tbPNSt15iterator_traitsISG_E10value_typeEPNSM_ISH_E10value_typeEPSI_NS1_7vsmem_tEENKUlT_SG_SH_SI_E_clIPiSA_PsSB_EESF_SV_SG_SH_SI_EUlSV_E1_NS1_11comp_targetILNS1_3genE4ELNS1_11target_archE910ELNS1_3gpuE8ELNS1_3repE0EEENS1_36merge_oddeven_config_static_selectorELNS0_4arch9wavefront6targetE1EEEvSH_
                                        ; -- End function
	.set _ZN7rocprim17ROCPRIM_400000_NS6detail17trampoline_kernelINS0_14default_configENS1_38merge_sort_block_merge_config_selectorIisEEZZNS1_27merge_sort_block_merge_implIS3_N6thrust23THRUST_200600_302600_NS10device_ptrIiEENS9_IsEEjNS1_19radix_merge_compareILb0ELb1EiNS0_19identity_decomposerEEEEE10hipError_tT0_T1_T2_jT3_P12ihipStream_tbPNSt15iterator_traitsISG_E10value_typeEPNSM_ISH_E10value_typeEPSI_NS1_7vsmem_tEENKUlT_SG_SH_SI_E_clIPiSA_PsSB_EESF_SV_SG_SH_SI_EUlSV_E1_NS1_11comp_targetILNS1_3genE4ELNS1_11target_archE910ELNS1_3gpuE8ELNS1_3repE0EEENS1_36merge_oddeven_config_static_selectorELNS0_4arch9wavefront6targetE1EEEvSH_.num_vgpr, 0
	.set _ZN7rocprim17ROCPRIM_400000_NS6detail17trampoline_kernelINS0_14default_configENS1_38merge_sort_block_merge_config_selectorIisEEZZNS1_27merge_sort_block_merge_implIS3_N6thrust23THRUST_200600_302600_NS10device_ptrIiEENS9_IsEEjNS1_19radix_merge_compareILb0ELb1EiNS0_19identity_decomposerEEEEE10hipError_tT0_T1_T2_jT3_P12ihipStream_tbPNSt15iterator_traitsISG_E10value_typeEPNSM_ISH_E10value_typeEPSI_NS1_7vsmem_tEENKUlT_SG_SH_SI_E_clIPiSA_PsSB_EESF_SV_SG_SH_SI_EUlSV_E1_NS1_11comp_targetILNS1_3genE4ELNS1_11target_archE910ELNS1_3gpuE8ELNS1_3repE0EEENS1_36merge_oddeven_config_static_selectorELNS0_4arch9wavefront6targetE1EEEvSH_.num_agpr, 0
	.set _ZN7rocprim17ROCPRIM_400000_NS6detail17trampoline_kernelINS0_14default_configENS1_38merge_sort_block_merge_config_selectorIisEEZZNS1_27merge_sort_block_merge_implIS3_N6thrust23THRUST_200600_302600_NS10device_ptrIiEENS9_IsEEjNS1_19radix_merge_compareILb0ELb1EiNS0_19identity_decomposerEEEEE10hipError_tT0_T1_T2_jT3_P12ihipStream_tbPNSt15iterator_traitsISG_E10value_typeEPNSM_ISH_E10value_typeEPSI_NS1_7vsmem_tEENKUlT_SG_SH_SI_E_clIPiSA_PsSB_EESF_SV_SG_SH_SI_EUlSV_E1_NS1_11comp_targetILNS1_3genE4ELNS1_11target_archE910ELNS1_3gpuE8ELNS1_3repE0EEENS1_36merge_oddeven_config_static_selectorELNS0_4arch9wavefront6targetE1EEEvSH_.numbered_sgpr, 0
	.set _ZN7rocprim17ROCPRIM_400000_NS6detail17trampoline_kernelINS0_14default_configENS1_38merge_sort_block_merge_config_selectorIisEEZZNS1_27merge_sort_block_merge_implIS3_N6thrust23THRUST_200600_302600_NS10device_ptrIiEENS9_IsEEjNS1_19radix_merge_compareILb0ELb1EiNS0_19identity_decomposerEEEEE10hipError_tT0_T1_T2_jT3_P12ihipStream_tbPNSt15iterator_traitsISG_E10value_typeEPNSM_ISH_E10value_typeEPSI_NS1_7vsmem_tEENKUlT_SG_SH_SI_E_clIPiSA_PsSB_EESF_SV_SG_SH_SI_EUlSV_E1_NS1_11comp_targetILNS1_3genE4ELNS1_11target_archE910ELNS1_3gpuE8ELNS1_3repE0EEENS1_36merge_oddeven_config_static_selectorELNS0_4arch9wavefront6targetE1EEEvSH_.num_named_barrier, 0
	.set _ZN7rocprim17ROCPRIM_400000_NS6detail17trampoline_kernelINS0_14default_configENS1_38merge_sort_block_merge_config_selectorIisEEZZNS1_27merge_sort_block_merge_implIS3_N6thrust23THRUST_200600_302600_NS10device_ptrIiEENS9_IsEEjNS1_19radix_merge_compareILb0ELb1EiNS0_19identity_decomposerEEEEE10hipError_tT0_T1_T2_jT3_P12ihipStream_tbPNSt15iterator_traitsISG_E10value_typeEPNSM_ISH_E10value_typeEPSI_NS1_7vsmem_tEENKUlT_SG_SH_SI_E_clIPiSA_PsSB_EESF_SV_SG_SH_SI_EUlSV_E1_NS1_11comp_targetILNS1_3genE4ELNS1_11target_archE910ELNS1_3gpuE8ELNS1_3repE0EEENS1_36merge_oddeven_config_static_selectorELNS0_4arch9wavefront6targetE1EEEvSH_.private_seg_size, 0
	.set _ZN7rocprim17ROCPRIM_400000_NS6detail17trampoline_kernelINS0_14default_configENS1_38merge_sort_block_merge_config_selectorIisEEZZNS1_27merge_sort_block_merge_implIS3_N6thrust23THRUST_200600_302600_NS10device_ptrIiEENS9_IsEEjNS1_19radix_merge_compareILb0ELb1EiNS0_19identity_decomposerEEEEE10hipError_tT0_T1_T2_jT3_P12ihipStream_tbPNSt15iterator_traitsISG_E10value_typeEPNSM_ISH_E10value_typeEPSI_NS1_7vsmem_tEENKUlT_SG_SH_SI_E_clIPiSA_PsSB_EESF_SV_SG_SH_SI_EUlSV_E1_NS1_11comp_targetILNS1_3genE4ELNS1_11target_archE910ELNS1_3gpuE8ELNS1_3repE0EEENS1_36merge_oddeven_config_static_selectorELNS0_4arch9wavefront6targetE1EEEvSH_.uses_vcc, 0
	.set _ZN7rocprim17ROCPRIM_400000_NS6detail17trampoline_kernelINS0_14default_configENS1_38merge_sort_block_merge_config_selectorIisEEZZNS1_27merge_sort_block_merge_implIS3_N6thrust23THRUST_200600_302600_NS10device_ptrIiEENS9_IsEEjNS1_19radix_merge_compareILb0ELb1EiNS0_19identity_decomposerEEEEE10hipError_tT0_T1_T2_jT3_P12ihipStream_tbPNSt15iterator_traitsISG_E10value_typeEPNSM_ISH_E10value_typeEPSI_NS1_7vsmem_tEENKUlT_SG_SH_SI_E_clIPiSA_PsSB_EESF_SV_SG_SH_SI_EUlSV_E1_NS1_11comp_targetILNS1_3genE4ELNS1_11target_archE910ELNS1_3gpuE8ELNS1_3repE0EEENS1_36merge_oddeven_config_static_selectorELNS0_4arch9wavefront6targetE1EEEvSH_.uses_flat_scratch, 0
	.set _ZN7rocprim17ROCPRIM_400000_NS6detail17trampoline_kernelINS0_14default_configENS1_38merge_sort_block_merge_config_selectorIisEEZZNS1_27merge_sort_block_merge_implIS3_N6thrust23THRUST_200600_302600_NS10device_ptrIiEENS9_IsEEjNS1_19radix_merge_compareILb0ELb1EiNS0_19identity_decomposerEEEEE10hipError_tT0_T1_T2_jT3_P12ihipStream_tbPNSt15iterator_traitsISG_E10value_typeEPNSM_ISH_E10value_typeEPSI_NS1_7vsmem_tEENKUlT_SG_SH_SI_E_clIPiSA_PsSB_EESF_SV_SG_SH_SI_EUlSV_E1_NS1_11comp_targetILNS1_3genE4ELNS1_11target_archE910ELNS1_3gpuE8ELNS1_3repE0EEENS1_36merge_oddeven_config_static_selectorELNS0_4arch9wavefront6targetE1EEEvSH_.has_dyn_sized_stack, 0
	.set _ZN7rocprim17ROCPRIM_400000_NS6detail17trampoline_kernelINS0_14default_configENS1_38merge_sort_block_merge_config_selectorIisEEZZNS1_27merge_sort_block_merge_implIS3_N6thrust23THRUST_200600_302600_NS10device_ptrIiEENS9_IsEEjNS1_19radix_merge_compareILb0ELb1EiNS0_19identity_decomposerEEEEE10hipError_tT0_T1_T2_jT3_P12ihipStream_tbPNSt15iterator_traitsISG_E10value_typeEPNSM_ISH_E10value_typeEPSI_NS1_7vsmem_tEENKUlT_SG_SH_SI_E_clIPiSA_PsSB_EESF_SV_SG_SH_SI_EUlSV_E1_NS1_11comp_targetILNS1_3genE4ELNS1_11target_archE910ELNS1_3gpuE8ELNS1_3repE0EEENS1_36merge_oddeven_config_static_selectorELNS0_4arch9wavefront6targetE1EEEvSH_.has_recursion, 0
	.set _ZN7rocprim17ROCPRIM_400000_NS6detail17trampoline_kernelINS0_14default_configENS1_38merge_sort_block_merge_config_selectorIisEEZZNS1_27merge_sort_block_merge_implIS3_N6thrust23THRUST_200600_302600_NS10device_ptrIiEENS9_IsEEjNS1_19radix_merge_compareILb0ELb1EiNS0_19identity_decomposerEEEEE10hipError_tT0_T1_T2_jT3_P12ihipStream_tbPNSt15iterator_traitsISG_E10value_typeEPNSM_ISH_E10value_typeEPSI_NS1_7vsmem_tEENKUlT_SG_SH_SI_E_clIPiSA_PsSB_EESF_SV_SG_SH_SI_EUlSV_E1_NS1_11comp_targetILNS1_3genE4ELNS1_11target_archE910ELNS1_3gpuE8ELNS1_3repE0EEENS1_36merge_oddeven_config_static_selectorELNS0_4arch9wavefront6targetE1EEEvSH_.has_indirect_call, 0
	.section	.AMDGPU.csdata,"",@progbits
; Kernel info:
; codeLenInByte = 0
; TotalNumSgprs: 6
; NumVgprs: 0
; NumAgprs: 0
; TotalNumVgprs: 0
; ScratchSize: 0
; MemoryBound: 0
; FloatMode: 240
; IeeeMode: 1
; LDSByteSize: 0 bytes/workgroup (compile time only)
; SGPRBlocks: 0
; VGPRBlocks: 0
; NumSGPRsForWavesPerEU: 6
; NumVGPRsForWavesPerEU: 1
; AccumOffset: 4
; Occupancy: 8
; WaveLimiterHint : 0
; COMPUTE_PGM_RSRC2:SCRATCH_EN: 0
; COMPUTE_PGM_RSRC2:USER_SGPR: 2
; COMPUTE_PGM_RSRC2:TRAP_HANDLER: 0
; COMPUTE_PGM_RSRC2:TGID_X_EN: 1
; COMPUTE_PGM_RSRC2:TGID_Y_EN: 0
; COMPUTE_PGM_RSRC2:TGID_Z_EN: 0
; COMPUTE_PGM_RSRC2:TIDIG_COMP_CNT: 0
; COMPUTE_PGM_RSRC3_GFX90A:ACCUM_OFFSET: 0
; COMPUTE_PGM_RSRC3_GFX90A:TG_SPLIT: 0
	.section	.text._ZN7rocprim17ROCPRIM_400000_NS6detail17trampoline_kernelINS0_14default_configENS1_38merge_sort_block_merge_config_selectorIisEEZZNS1_27merge_sort_block_merge_implIS3_N6thrust23THRUST_200600_302600_NS10device_ptrIiEENS9_IsEEjNS1_19radix_merge_compareILb0ELb1EiNS0_19identity_decomposerEEEEE10hipError_tT0_T1_T2_jT3_P12ihipStream_tbPNSt15iterator_traitsISG_E10value_typeEPNSM_ISH_E10value_typeEPSI_NS1_7vsmem_tEENKUlT_SG_SH_SI_E_clIPiSA_PsSB_EESF_SV_SG_SH_SI_EUlSV_E1_NS1_11comp_targetILNS1_3genE3ELNS1_11target_archE908ELNS1_3gpuE7ELNS1_3repE0EEENS1_36merge_oddeven_config_static_selectorELNS0_4arch9wavefront6targetE1EEEvSH_,"axG",@progbits,_ZN7rocprim17ROCPRIM_400000_NS6detail17trampoline_kernelINS0_14default_configENS1_38merge_sort_block_merge_config_selectorIisEEZZNS1_27merge_sort_block_merge_implIS3_N6thrust23THRUST_200600_302600_NS10device_ptrIiEENS9_IsEEjNS1_19radix_merge_compareILb0ELb1EiNS0_19identity_decomposerEEEEE10hipError_tT0_T1_T2_jT3_P12ihipStream_tbPNSt15iterator_traitsISG_E10value_typeEPNSM_ISH_E10value_typeEPSI_NS1_7vsmem_tEENKUlT_SG_SH_SI_E_clIPiSA_PsSB_EESF_SV_SG_SH_SI_EUlSV_E1_NS1_11comp_targetILNS1_3genE3ELNS1_11target_archE908ELNS1_3gpuE7ELNS1_3repE0EEENS1_36merge_oddeven_config_static_selectorELNS0_4arch9wavefront6targetE1EEEvSH_,comdat
	.protected	_ZN7rocprim17ROCPRIM_400000_NS6detail17trampoline_kernelINS0_14default_configENS1_38merge_sort_block_merge_config_selectorIisEEZZNS1_27merge_sort_block_merge_implIS3_N6thrust23THRUST_200600_302600_NS10device_ptrIiEENS9_IsEEjNS1_19radix_merge_compareILb0ELb1EiNS0_19identity_decomposerEEEEE10hipError_tT0_T1_T2_jT3_P12ihipStream_tbPNSt15iterator_traitsISG_E10value_typeEPNSM_ISH_E10value_typeEPSI_NS1_7vsmem_tEENKUlT_SG_SH_SI_E_clIPiSA_PsSB_EESF_SV_SG_SH_SI_EUlSV_E1_NS1_11comp_targetILNS1_3genE3ELNS1_11target_archE908ELNS1_3gpuE7ELNS1_3repE0EEENS1_36merge_oddeven_config_static_selectorELNS0_4arch9wavefront6targetE1EEEvSH_ ; -- Begin function _ZN7rocprim17ROCPRIM_400000_NS6detail17trampoline_kernelINS0_14default_configENS1_38merge_sort_block_merge_config_selectorIisEEZZNS1_27merge_sort_block_merge_implIS3_N6thrust23THRUST_200600_302600_NS10device_ptrIiEENS9_IsEEjNS1_19radix_merge_compareILb0ELb1EiNS0_19identity_decomposerEEEEE10hipError_tT0_T1_T2_jT3_P12ihipStream_tbPNSt15iterator_traitsISG_E10value_typeEPNSM_ISH_E10value_typeEPSI_NS1_7vsmem_tEENKUlT_SG_SH_SI_E_clIPiSA_PsSB_EESF_SV_SG_SH_SI_EUlSV_E1_NS1_11comp_targetILNS1_3genE3ELNS1_11target_archE908ELNS1_3gpuE7ELNS1_3repE0EEENS1_36merge_oddeven_config_static_selectorELNS0_4arch9wavefront6targetE1EEEvSH_
	.globl	_ZN7rocprim17ROCPRIM_400000_NS6detail17trampoline_kernelINS0_14default_configENS1_38merge_sort_block_merge_config_selectorIisEEZZNS1_27merge_sort_block_merge_implIS3_N6thrust23THRUST_200600_302600_NS10device_ptrIiEENS9_IsEEjNS1_19radix_merge_compareILb0ELb1EiNS0_19identity_decomposerEEEEE10hipError_tT0_T1_T2_jT3_P12ihipStream_tbPNSt15iterator_traitsISG_E10value_typeEPNSM_ISH_E10value_typeEPSI_NS1_7vsmem_tEENKUlT_SG_SH_SI_E_clIPiSA_PsSB_EESF_SV_SG_SH_SI_EUlSV_E1_NS1_11comp_targetILNS1_3genE3ELNS1_11target_archE908ELNS1_3gpuE7ELNS1_3repE0EEENS1_36merge_oddeven_config_static_selectorELNS0_4arch9wavefront6targetE1EEEvSH_
	.p2align	8
	.type	_ZN7rocprim17ROCPRIM_400000_NS6detail17trampoline_kernelINS0_14default_configENS1_38merge_sort_block_merge_config_selectorIisEEZZNS1_27merge_sort_block_merge_implIS3_N6thrust23THRUST_200600_302600_NS10device_ptrIiEENS9_IsEEjNS1_19radix_merge_compareILb0ELb1EiNS0_19identity_decomposerEEEEE10hipError_tT0_T1_T2_jT3_P12ihipStream_tbPNSt15iterator_traitsISG_E10value_typeEPNSM_ISH_E10value_typeEPSI_NS1_7vsmem_tEENKUlT_SG_SH_SI_E_clIPiSA_PsSB_EESF_SV_SG_SH_SI_EUlSV_E1_NS1_11comp_targetILNS1_3genE3ELNS1_11target_archE908ELNS1_3gpuE7ELNS1_3repE0EEENS1_36merge_oddeven_config_static_selectorELNS0_4arch9wavefront6targetE1EEEvSH_,@function
_ZN7rocprim17ROCPRIM_400000_NS6detail17trampoline_kernelINS0_14default_configENS1_38merge_sort_block_merge_config_selectorIisEEZZNS1_27merge_sort_block_merge_implIS3_N6thrust23THRUST_200600_302600_NS10device_ptrIiEENS9_IsEEjNS1_19radix_merge_compareILb0ELb1EiNS0_19identity_decomposerEEEEE10hipError_tT0_T1_T2_jT3_P12ihipStream_tbPNSt15iterator_traitsISG_E10value_typeEPNSM_ISH_E10value_typeEPSI_NS1_7vsmem_tEENKUlT_SG_SH_SI_E_clIPiSA_PsSB_EESF_SV_SG_SH_SI_EUlSV_E1_NS1_11comp_targetILNS1_3genE3ELNS1_11target_archE908ELNS1_3gpuE7ELNS1_3repE0EEENS1_36merge_oddeven_config_static_selectorELNS0_4arch9wavefront6targetE1EEEvSH_: ; @_ZN7rocprim17ROCPRIM_400000_NS6detail17trampoline_kernelINS0_14default_configENS1_38merge_sort_block_merge_config_selectorIisEEZZNS1_27merge_sort_block_merge_implIS3_N6thrust23THRUST_200600_302600_NS10device_ptrIiEENS9_IsEEjNS1_19radix_merge_compareILb0ELb1EiNS0_19identity_decomposerEEEEE10hipError_tT0_T1_T2_jT3_P12ihipStream_tbPNSt15iterator_traitsISG_E10value_typeEPNSM_ISH_E10value_typeEPSI_NS1_7vsmem_tEENKUlT_SG_SH_SI_E_clIPiSA_PsSB_EESF_SV_SG_SH_SI_EUlSV_E1_NS1_11comp_targetILNS1_3genE3ELNS1_11target_archE908ELNS1_3gpuE7ELNS1_3repE0EEENS1_36merge_oddeven_config_static_selectorELNS0_4arch9wavefront6targetE1EEEvSH_
; %bb.0:
	.section	.rodata,"a",@progbits
	.p2align	6, 0x0
	.amdhsa_kernel _ZN7rocprim17ROCPRIM_400000_NS6detail17trampoline_kernelINS0_14default_configENS1_38merge_sort_block_merge_config_selectorIisEEZZNS1_27merge_sort_block_merge_implIS3_N6thrust23THRUST_200600_302600_NS10device_ptrIiEENS9_IsEEjNS1_19radix_merge_compareILb0ELb1EiNS0_19identity_decomposerEEEEE10hipError_tT0_T1_T2_jT3_P12ihipStream_tbPNSt15iterator_traitsISG_E10value_typeEPNSM_ISH_E10value_typeEPSI_NS1_7vsmem_tEENKUlT_SG_SH_SI_E_clIPiSA_PsSB_EESF_SV_SG_SH_SI_EUlSV_E1_NS1_11comp_targetILNS1_3genE3ELNS1_11target_archE908ELNS1_3gpuE7ELNS1_3repE0EEENS1_36merge_oddeven_config_static_selectorELNS0_4arch9wavefront6targetE1EEEvSH_
		.amdhsa_group_segment_fixed_size 0
		.amdhsa_private_segment_fixed_size 0
		.amdhsa_kernarg_size 48
		.amdhsa_user_sgpr_count 2
		.amdhsa_user_sgpr_dispatch_ptr 0
		.amdhsa_user_sgpr_queue_ptr 0
		.amdhsa_user_sgpr_kernarg_segment_ptr 1
		.amdhsa_user_sgpr_dispatch_id 0
		.amdhsa_user_sgpr_kernarg_preload_length 0
		.amdhsa_user_sgpr_kernarg_preload_offset 0
		.amdhsa_user_sgpr_private_segment_size 0
		.amdhsa_uses_dynamic_stack 0
		.amdhsa_enable_private_segment 0
		.amdhsa_system_sgpr_workgroup_id_x 1
		.amdhsa_system_sgpr_workgroup_id_y 0
		.amdhsa_system_sgpr_workgroup_id_z 0
		.amdhsa_system_sgpr_workgroup_info 0
		.amdhsa_system_vgpr_workitem_id 0
		.amdhsa_next_free_vgpr 1
		.amdhsa_next_free_sgpr 0
		.amdhsa_accum_offset 4
		.amdhsa_reserve_vcc 0
		.amdhsa_float_round_mode_32 0
		.amdhsa_float_round_mode_16_64 0
		.amdhsa_float_denorm_mode_32 3
		.amdhsa_float_denorm_mode_16_64 3
		.amdhsa_dx10_clamp 1
		.amdhsa_ieee_mode 1
		.amdhsa_fp16_overflow 0
		.amdhsa_tg_split 0
		.amdhsa_exception_fp_ieee_invalid_op 0
		.amdhsa_exception_fp_denorm_src 0
		.amdhsa_exception_fp_ieee_div_zero 0
		.amdhsa_exception_fp_ieee_overflow 0
		.amdhsa_exception_fp_ieee_underflow 0
		.amdhsa_exception_fp_ieee_inexact 0
		.amdhsa_exception_int_div_zero 0
	.end_amdhsa_kernel
	.section	.text._ZN7rocprim17ROCPRIM_400000_NS6detail17trampoline_kernelINS0_14default_configENS1_38merge_sort_block_merge_config_selectorIisEEZZNS1_27merge_sort_block_merge_implIS3_N6thrust23THRUST_200600_302600_NS10device_ptrIiEENS9_IsEEjNS1_19radix_merge_compareILb0ELb1EiNS0_19identity_decomposerEEEEE10hipError_tT0_T1_T2_jT3_P12ihipStream_tbPNSt15iterator_traitsISG_E10value_typeEPNSM_ISH_E10value_typeEPSI_NS1_7vsmem_tEENKUlT_SG_SH_SI_E_clIPiSA_PsSB_EESF_SV_SG_SH_SI_EUlSV_E1_NS1_11comp_targetILNS1_3genE3ELNS1_11target_archE908ELNS1_3gpuE7ELNS1_3repE0EEENS1_36merge_oddeven_config_static_selectorELNS0_4arch9wavefront6targetE1EEEvSH_,"axG",@progbits,_ZN7rocprim17ROCPRIM_400000_NS6detail17trampoline_kernelINS0_14default_configENS1_38merge_sort_block_merge_config_selectorIisEEZZNS1_27merge_sort_block_merge_implIS3_N6thrust23THRUST_200600_302600_NS10device_ptrIiEENS9_IsEEjNS1_19radix_merge_compareILb0ELb1EiNS0_19identity_decomposerEEEEE10hipError_tT0_T1_T2_jT3_P12ihipStream_tbPNSt15iterator_traitsISG_E10value_typeEPNSM_ISH_E10value_typeEPSI_NS1_7vsmem_tEENKUlT_SG_SH_SI_E_clIPiSA_PsSB_EESF_SV_SG_SH_SI_EUlSV_E1_NS1_11comp_targetILNS1_3genE3ELNS1_11target_archE908ELNS1_3gpuE7ELNS1_3repE0EEENS1_36merge_oddeven_config_static_selectorELNS0_4arch9wavefront6targetE1EEEvSH_,comdat
.Lfunc_end2376:
	.size	_ZN7rocprim17ROCPRIM_400000_NS6detail17trampoline_kernelINS0_14default_configENS1_38merge_sort_block_merge_config_selectorIisEEZZNS1_27merge_sort_block_merge_implIS3_N6thrust23THRUST_200600_302600_NS10device_ptrIiEENS9_IsEEjNS1_19radix_merge_compareILb0ELb1EiNS0_19identity_decomposerEEEEE10hipError_tT0_T1_T2_jT3_P12ihipStream_tbPNSt15iterator_traitsISG_E10value_typeEPNSM_ISH_E10value_typeEPSI_NS1_7vsmem_tEENKUlT_SG_SH_SI_E_clIPiSA_PsSB_EESF_SV_SG_SH_SI_EUlSV_E1_NS1_11comp_targetILNS1_3genE3ELNS1_11target_archE908ELNS1_3gpuE7ELNS1_3repE0EEENS1_36merge_oddeven_config_static_selectorELNS0_4arch9wavefront6targetE1EEEvSH_, .Lfunc_end2376-_ZN7rocprim17ROCPRIM_400000_NS6detail17trampoline_kernelINS0_14default_configENS1_38merge_sort_block_merge_config_selectorIisEEZZNS1_27merge_sort_block_merge_implIS3_N6thrust23THRUST_200600_302600_NS10device_ptrIiEENS9_IsEEjNS1_19radix_merge_compareILb0ELb1EiNS0_19identity_decomposerEEEEE10hipError_tT0_T1_T2_jT3_P12ihipStream_tbPNSt15iterator_traitsISG_E10value_typeEPNSM_ISH_E10value_typeEPSI_NS1_7vsmem_tEENKUlT_SG_SH_SI_E_clIPiSA_PsSB_EESF_SV_SG_SH_SI_EUlSV_E1_NS1_11comp_targetILNS1_3genE3ELNS1_11target_archE908ELNS1_3gpuE7ELNS1_3repE0EEENS1_36merge_oddeven_config_static_selectorELNS0_4arch9wavefront6targetE1EEEvSH_
                                        ; -- End function
	.set _ZN7rocprim17ROCPRIM_400000_NS6detail17trampoline_kernelINS0_14default_configENS1_38merge_sort_block_merge_config_selectorIisEEZZNS1_27merge_sort_block_merge_implIS3_N6thrust23THRUST_200600_302600_NS10device_ptrIiEENS9_IsEEjNS1_19radix_merge_compareILb0ELb1EiNS0_19identity_decomposerEEEEE10hipError_tT0_T1_T2_jT3_P12ihipStream_tbPNSt15iterator_traitsISG_E10value_typeEPNSM_ISH_E10value_typeEPSI_NS1_7vsmem_tEENKUlT_SG_SH_SI_E_clIPiSA_PsSB_EESF_SV_SG_SH_SI_EUlSV_E1_NS1_11comp_targetILNS1_3genE3ELNS1_11target_archE908ELNS1_3gpuE7ELNS1_3repE0EEENS1_36merge_oddeven_config_static_selectorELNS0_4arch9wavefront6targetE1EEEvSH_.num_vgpr, 0
	.set _ZN7rocprim17ROCPRIM_400000_NS6detail17trampoline_kernelINS0_14default_configENS1_38merge_sort_block_merge_config_selectorIisEEZZNS1_27merge_sort_block_merge_implIS3_N6thrust23THRUST_200600_302600_NS10device_ptrIiEENS9_IsEEjNS1_19radix_merge_compareILb0ELb1EiNS0_19identity_decomposerEEEEE10hipError_tT0_T1_T2_jT3_P12ihipStream_tbPNSt15iterator_traitsISG_E10value_typeEPNSM_ISH_E10value_typeEPSI_NS1_7vsmem_tEENKUlT_SG_SH_SI_E_clIPiSA_PsSB_EESF_SV_SG_SH_SI_EUlSV_E1_NS1_11comp_targetILNS1_3genE3ELNS1_11target_archE908ELNS1_3gpuE7ELNS1_3repE0EEENS1_36merge_oddeven_config_static_selectorELNS0_4arch9wavefront6targetE1EEEvSH_.num_agpr, 0
	.set _ZN7rocprim17ROCPRIM_400000_NS6detail17trampoline_kernelINS0_14default_configENS1_38merge_sort_block_merge_config_selectorIisEEZZNS1_27merge_sort_block_merge_implIS3_N6thrust23THRUST_200600_302600_NS10device_ptrIiEENS9_IsEEjNS1_19radix_merge_compareILb0ELb1EiNS0_19identity_decomposerEEEEE10hipError_tT0_T1_T2_jT3_P12ihipStream_tbPNSt15iterator_traitsISG_E10value_typeEPNSM_ISH_E10value_typeEPSI_NS1_7vsmem_tEENKUlT_SG_SH_SI_E_clIPiSA_PsSB_EESF_SV_SG_SH_SI_EUlSV_E1_NS1_11comp_targetILNS1_3genE3ELNS1_11target_archE908ELNS1_3gpuE7ELNS1_3repE0EEENS1_36merge_oddeven_config_static_selectorELNS0_4arch9wavefront6targetE1EEEvSH_.numbered_sgpr, 0
	.set _ZN7rocprim17ROCPRIM_400000_NS6detail17trampoline_kernelINS0_14default_configENS1_38merge_sort_block_merge_config_selectorIisEEZZNS1_27merge_sort_block_merge_implIS3_N6thrust23THRUST_200600_302600_NS10device_ptrIiEENS9_IsEEjNS1_19radix_merge_compareILb0ELb1EiNS0_19identity_decomposerEEEEE10hipError_tT0_T1_T2_jT3_P12ihipStream_tbPNSt15iterator_traitsISG_E10value_typeEPNSM_ISH_E10value_typeEPSI_NS1_7vsmem_tEENKUlT_SG_SH_SI_E_clIPiSA_PsSB_EESF_SV_SG_SH_SI_EUlSV_E1_NS1_11comp_targetILNS1_3genE3ELNS1_11target_archE908ELNS1_3gpuE7ELNS1_3repE0EEENS1_36merge_oddeven_config_static_selectorELNS0_4arch9wavefront6targetE1EEEvSH_.num_named_barrier, 0
	.set _ZN7rocprim17ROCPRIM_400000_NS6detail17trampoline_kernelINS0_14default_configENS1_38merge_sort_block_merge_config_selectorIisEEZZNS1_27merge_sort_block_merge_implIS3_N6thrust23THRUST_200600_302600_NS10device_ptrIiEENS9_IsEEjNS1_19radix_merge_compareILb0ELb1EiNS0_19identity_decomposerEEEEE10hipError_tT0_T1_T2_jT3_P12ihipStream_tbPNSt15iterator_traitsISG_E10value_typeEPNSM_ISH_E10value_typeEPSI_NS1_7vsmem_tEENKUlT_SG_SH_SI_E_clIPiSA_PsSB_EESF_SV_SG_SH_SI_EUlSV_E1_NS1_11comp_targetILNS1_3genE3ELNS1_11target_archE908ELNS1_3gpuE7ELNS1_3repE0EEENS1_36merge_oddeven_config_static_selectorELNS0_4arch9wavefront6targetE1EEEvSH_.private_seg_size, 0
	.set _ZN7rocprim17ROCPRIM_400000_NS6detail17trampoline_kernelINS0_14default_configENS1_38merge_sort_block_merge_config_selectorIisEEZZNS1_27merge_sort_block_merge_implIS3_N6thrust23THRUST_200600_302600_NS10device_ptrIiEENS9_IsEEjNS1_19radix_merge_compareILb0ELb1EiNS0_19identity_decomposerEEEEE10hipError_tT0_T1_T2_jT3_P12ihipStream_tbPNSt15iterator_traitsISG_E10value_typeEPNSM_ISH_E10value_typeEPSI_NS1_7vsmem_tEENKUlT_SG_SH_SI_E_clIPiSA_PsSB_EESF_SV_SG_SH_SI_EUlSV_E1_NS1_11comp_targetILNS1_3genE3ELNS1_11target_archE908ELNS1_3gpuE7ELNS1_3repE0EEENS1_36merge_oddeven_config_static_selectorELNS0_4arch9wavefront6targetE1EEEvSH_.uses_vcc, 0
	.set _ZN7rocprim17ROCPRIM_400000_NS6detail17trampoline_kernelINS0_14default_configENS1_38merge_sort_block_merge_config_selectorIisEEZZNS1_27merge_sort_block_merge_implIS3_N6thrust23THRUST_200600_302600_NS10device_ptrIiEENS9_IsEEjNS1_19radix_merge_compareILb0ELb1EiNS0_19identity_decomposerEEEEE10hipError_tT0_T1_T2_jT3_P12ihipStream_tbPNSt15iterator_traitsISG_E10value_typeEPNSM_ISH_E10value_typeEPSI_NS1_7vsmem_tEENKUlT_SG_SH_SI_E_clIPiSA_PsSB_EESF_SV_SG_SH_SI_EUlSV_E1_NS1_11comp_targetILNS1_3genE3ELNS1_11target_archE908ELNS1_3gpuE7ELNS1_3repE0EEENS1_36merge_oddeven_config_static_selectorELNS0_4arch9wavefront6targetE1EEEvSH_.uses_flat_scratch, 0
	.set _ZN7rocprim17ROCPRIM_400000_NS6detail17trampoline_kernelINS0_14default_configENS1_38merge_sort_block_merge_config_selectorIisEEZZNS1_27merge_sort_block_merge_implIS3_N6thrust23THRUST_200600_302600_NS10device_ptrIiEENS9_IsEEjNS1_19radix_merge_compareILb0ELb1EiNS0_19identity_decomposerEEEEE10hipError_tT0_T1_T2_jT3_P12ihipStream_tbPNSt15iterator_traitsISG_E10value_typeEPNSM_ISH_E10value_typeEPSI_NS1_7vsmem_tEENKUlT_SG_SH_SI_E_clIPiSA_PsSB_EESF_SV_SG_SH_SI_EUlSV_E1_NS1_11comp_targetILNS1_3genE3ELNS1_11target_archE908ELNS1_3gpuE7ELNS1_3repE0EEENS1_36merge_oddeven_config_static_selectorELNS0_4arch9wavefront6targetE1EEEvSH_.has_dyn_sized_stack, 0
	.set _ZN7rocprim17ROCPRIM_400000_NS6detail17trampoline_kernelINS0_14default_configENS1_38merge_sort_block_merge_config_selectorIisEEZZNS1_27merge_sort_block_merge_implIS3_N6thrust23THRUST_200600_302600_NS10device_ptrIiEENS9_IsEEjNS1_19radix_merge_compareILb0ELb1EiNS0_19identity_decomposerEEEEE10hipError_tT0_T1_T2_jT3_P12ihipStream_tbPNSt15iterator_traitsISG_E10value_typeEPNSM_ISH_E10value_typeEPSI_NS1_7vsmem_tEENKUlT_SG_SH_SI_E_clIPiSA_PsSB_EESF_SV_SG_SH_SI_EUlSV_E1_NS1_11comp_targetILNS1_3genE3ELNS1_11target_archE908ELNS1_3gpuE7ELNS1_3repE0EEENS1_36merge_oddeven_config_static_selectorELNS0_4arch9wavefront6targetE1EEEvSH_.has_recursion, 0
	.set _ZN7rocprim17ROCPRIM_400000_NS6detail17trampoline_kernelINS0_14default_configENS1_38merge_sort_block_merge_config_selectorIisEEZZNS1_27merge_sort_block_merge_implIS3_N6thrust23THRUST_200600_302600_NS10device_ptrIiEENS9_IsEEjNS1_19radix_merge_compareILb0ELb1EiNS0_19identity_decomposerEEEEE10hipError_tT0_T1_T2_jT3_P12ihipStream_tbPNSt15iterator_traitsISG_E10value_typeEPNSM_ISH_E10value_typeEPSI_NS1_7vsmem_tEENKUlT_SG_SH_SI_E_clIPiSA_PsSB_EESF_SV_SG_SH_SI_EUlSV_E1_NS1_11comp_targetILNS1_3genE3ELNS1_11target_archE908ELNS1_3gpuE7ELNS1_3repE0EEENS1_36merge_oddeven_config_static_selectorELNS0_4arch9wavefront6targetE1EEEvSH_.has_indirect_call, 0
	.section	.AMDGPU.csdata,"",@progbits
; Kernel info:
; codeLenInByte = 0
; TotalNumSgprs: 6
; NumVgprs: 0
; NumAgprs: 0
; TotalNumVgprs: 0
; ScratchSize: 0
; MemoryBound: 0
; FloatMode: 240
; IeeeMode: 1
; LDSByteSize: 0 bytes/workgroup (compile time only)
; SGPRBlocks: 0
; VGPRBlocks: 0
; NumSGPRsForWavesPerEU: 6
; NumVGPRsForWavesPerEU: 1
; AccumOffset: 4
; Occupancy: 8
; WaveLimiterHint : 0
; COMPUTE_PGM_RSRC2:SCRATCH_EN: 0
; COMPUTE_PGM_RSRC2:USER_SGPR: 2
; COMPUTE_PGM_RSRC2:TRAP_HANDLER: 0
; COMPUTE_PGM_RSRC2:TGID_X_EN: 1
; COMPUTE_PGM_RSRC2:TGID_Y_EN: 0
; COMPUTE_PGM_RSRC2:TGID_Z_EN: 0
; COMPUTE_PGM_RSRC2:TIDIG_COMP_CNT: 0
; COMPUTE_PGM_RSRC3_GFX90A:ACCUM_OFFSET: 0
; COMPUTE_PGM_RSRC3_GFX90A:TG_SPLIT: 0
	.section	.text._ZN7rocprim17ROCPRIM_400000_NS6detail17trampoline_kernelINS0_14default_configENS1_38merge_sort_block_merge_config_selectorIisEEZZNS1_27merge_sort_block_merge_implIS3_N6thrust23THRUST_200600_302600_NS10device_ptrIiEENS9_IsEEjNS1_19radix_merge_compareILb0ELb1EiNS0_19identity_decomposerEEEEE10hipError_tT0_T1_T2_jT3_P12ihipStream_tbPNSt15iterator_traitsISG_E10value_typeEPNSM_ISH_E10value_typeEPSI_NS1_7vsmem_tEENKUlT_SG_SH_SI_E_clIPiSA_PsSB_EESF_SV_SG_SH_SI_EUlSV_E1_NS1_11comp_targetILNS1_3genE2ELNS1_11target_archE906ELNS1_3gpuE6ELNS1_3repE0EEENS1_36merge_oddeven_config_static_selectorELNS0_4arch9wavefront6targetE1EEEvSH_,"axG",@progbits,_ZN7rocprim17ROCPRIM_400000_NS6detail17trampoline_kernelINS0_14default_configENS1_38merge_sort_block_merge_config_selectorIisEEZZNS1_27merge_sort_block_merge_implIS3_N6thrust23THRUST_200600_302600_NS10device_ptrIiEENS9_IsEEjNS1_19radix_merge_compareILb0ELb1EiNS0_19identity_decomposerEEEEE10hipError_tT0_T1_T2_jT3_P12ihipStream_tbPNSt15iterator_traitsISG_E10value_typeEPNSM_ISH_E10value_typeEPSI_NS1_7vsmem_tEENKUlT_SG_SH_SI_E_clIPiSA_PsSB_EESF_SV_SG_SH_SI_EUlSV_E1_NS1_11comp_targetILNS1_3genE2ELNS1_11target_archE906ELNS1_3gpuE6ELNS1_3repE0EEENS1_36merge_oddeven_config_static_selectorELNS0_4arch9wavefront6targetE1EEEvSH_,comdat
	.protected	_ZN7rocprim17ROCPRIM_400000_NS6detail17trampoline_kernelINS0_14default_configENS1_38merge_sort_block_merge_config_selectorIisEEZZNS1_27merge_sort_block_merge_implIS3_N6thrust23THRUST_200600_302600_NS10device_ptrIiEENS9_IsEEjNS1_19radix_merge_compareILb0ELb1EiNS0_19identity_decomposerEEEEE10hipError_tT0_T1_T2_jT3_P12ihipStream_tbPNSt15iterator_traitsISG_E10value_typeEPNSM_ISH_E10value_typeEPSI_NS1_7vsmem_tEENKUlT_SG_SH_SI_E_clIPiSA_PsSB_EESF_SV_SG_SH_SI_EUlSV_E1_NS1_11comp_targetILNS1_3genE2ELNS1_11target_archE906ELNS1_3gpuE6ELNS1_3repE0EEENS1_36merge_oddeven_config_static_selectorELNS0_4arch9wavefront6targetE1EEEvSH_ ; -- Begin function _ZN7rocprim17ROCPRIM_400000_NS6detail17trampoline_kernelINS0_14default_configENS1_38merge_sort_block_merge_config_selectorIisEEZZNS1_27merge_sort_block_merge_implIS3_N6thrust23THRUST_200600_302600_NS10device_ptrIiEENS9_IsEEjNS1_19radix_merge_compareILb0ELb1EiNS0_19identity_decomposerEEEEE10hipError_tT0_T1_T2_jT3_P12ihipStream_tbPNSt15iterator_traitsISG_E10value_typeEPNSM_ISH_E10value_typeEPSI_NS1_7vsmem_tEENKUlT_SG_SH_SI_E_clIPiSA_PsSB_EESF_SV_SG_SH_SI_EUlSV_E1_NS1_11comp_targetILNS1_3genE2ELNS1_11target_archE906ELNS1_3gpuE6ELNS1_3repE0EEENS1_36merge_oddeven_config_static_selectorELNS0_4arch9wavefront6targetE1EEEvSH_
	.globl	_ZN7rocprim17ROCPRIM_400000_NS6detail17trampoline_kernelINS0_14default_configENS1_38merge_sort_block_merge_config_selectorIisEEZZNS1_27merge_sort_block_merge_implIS3_N6thrust23THRUST_200600_302600_NS10device_ptrIiEENS9_IsEEjNS1_19radix_merge_compareILb0ELb1EiNS0_19identity_decomposerEEEEE10hipError_tT0_T1_T2_jT3_P12ihipStream_tbPNSt15iterator_traitsISG_E10value_typeEPNSM_ISH_E10value_typeEPSI_NS1_7vsmem_tEENKUlT_SG_SH_SI_E_clIPiSA_PsSB_EESF_SV_SG_SH_SI_EUlSV_E1_NS1_11comp_targetILNS1_3genE2ELNS1_11target_archE906ELNS1_3gpuE6ELNS1_3repE0EEENS1_36merge_oddeven_config_static_selectorELNS0_4arch9wavefront6targetE1EEEvSH_
	.p2align	8
	.type	_ZN7rocprim17ROCPRIM_400000_NS6detail17trampoline_kernelINS0_14default_configENS1_38merge_sort_block_merge_config_selectorIisEEZZNS1_27merge_sort_block_merge_implIS3_N6thrust23THRUST_200600_302600_NS10device_ptrIiEENS9_IsEEjNS1_19radix_merge_compareILb0ELb1EiNS0_19identity_decomposerEEEEE10hipError_tT0_T1_T2_jT3_P12ihipStream_tbPNSt15iterator_traitsISG_E10value_typeEPNSM_ISH_E10value_typeEPSI_NS1_7vsmem_tEENKUlT_SG_SH_SI_E_clIPiSA_PsSB_EESF_SV_SG_SH_SI_EUlSV_E1_NS1_11comp_targetILNS1_3genE2ELNS1_11target_archE906ELNS1_3gpuE6ELNS1_3repE0EEENS1_36merge_oddeven_config_static_selectorELNS0_4arch9wavefront6targetE1EEEvSH_,@function
_ZN7rocprim17ROCPRIM_400000_NS6detail17trampoline_kernelINS0_14default_configENS1_38merge_sort_block_merge_config_selectorIisEEZZNS1_27merge_sort_block_merge_implIS3_N6thrust23THRUST_200600_302600_NS10device_ptrIiEENS9_IsEEjNS1_19radix_merge_compareILb0ELb1EiNS0_19identity_decomposerEEEEE10hipError_tT0_T1_T2_jT3_P12ihipStream_tbPNSt15iterator_traitsISG_E10value_typeEPNSM_ISH_E10value_typeEPSI_NS1_7vsmem_tEENKUlT_SG_SH_SI_E_clIPiSA_PsSB_EESF_SV_SG_SH_SI_EUlSV_E1_NS1_11comp_targetILNS1_3genE2ELNS1_11target_archE906ELNS1_3gpuE6ELNS1_3repE0EEENS1_36merge_oddeven_config_static_selectorELNS0_4arch9wavefront6targetE1EEEvSH_: ; @_ZN7rocprim17ROCPRIM_400000_NS6detail17trampoline_kernelINS0_14default_configENS1_38merge_sort_block_merge_config_selectorIisEEZZNS1_27merge_sort_block_merge_implIS3_N6thrust23THRUST_200600_302600_NS10device_ptrIiEENS9_IsEEjNS1_19radix_merge_compareILb0ELb1EiNS0_19identity_decomposerEEEEE10hipError_tT0_T1_T2_jT3_P12ihipStream_tbPNSt15iterator_traitsISG_E10value_typeEPNSM_ISH_E10value_typeEPSI_NS1_7vsmem_tEENKUlT_SG_SH_SI_E_clIPiSA_PsSB_EESF_SV_SG_SH_SI_EUlSV_E1_NS1_11comp_targetILNS1_3genE2ELNS1_11target_archE906ELNS1_3gpuE6ELNS1_3repE0EEENS1_36merge_oddeven_config_static_selectorELNS0_4arch9wavefront6targetE1EEEvSH_
; %bb.0:
	.section	.rodata,"a",@progbits
	.p2align	6, 0x0
	.amdhsa_kernel _ZN7rocprim17ROCPRIM_400000_NS6detail17trampoline_kernelINS0_14default_configENS1_38merge_sort_block_merge_config_selectorIisEEZZNS1_27merge_sort_block_merge_implIS3_N6thrust23THRUST_200600_302600_NS10device_ptrIiEENS9_IsEEjNS1_19radix_merge_compareILb0ELb1EiNS0_19identity_decomposerEEEEE10hipError_tT0_T1_T2_jT3_P12ihipStream_tbPNSt15iterator_traitsISG_E10value_typeEPNSM_ISH_E10value_typeEPSI_NS1_7vsmem_tEENKUlT_SG_SH_SI_E_clIPiSA_PsSB_EESF_SV_SG_SH_SI_EUlSV_E1_NS1_11comp_targetILNS1_3genE2ELNS1_11target_archE906ELNS1_3gpuE6ELNS1_3repE0EEENS1_36merge_oddeven_config_static_selectorELNS0_4arch9wavefront6targetE1EEEvSH_
		.amdhsa_group_segment_fixed_size 0
		.amdhsa_private_segment_fixed_size 0
		.amdhsa_kernarg_size 48
		.amdhsa_user_sgpr_count 2
		.amdhsa_user_sgpr_dispatch_ptr 0
		.amdhsa_user_sgpr_queue_ptr 0
		.amdhsa_user_sgpr_kernarg_segment_ptr 1
		.amdhsa_user_sgpr_dispatch_id 0
		.amdhsa_user_sgpr_kernarg_preload_length 0
		.amdhsa_user_sgpr_kernarg_preload_offset 0
		.amdhsa_user_sgpr_private_segment_size 0
		.amdhsa_uses_dynamic_stack 0
		.amdhsa_enable_private_segment 0
		.amdhsa_system_sgpr_workgroup_id_x 1
		.amdhsa_system_sgpr_workgroup_id_y 0
		.amdhsa_system_sgpr_workgroup_id_z 0
		.amdhsa_system_sgpr_workgroup_info 0
		.amdhsa_system_vgpr_workitem_id 0
		.amdhsa_next_free_vgpr 1
		.amdhsa_next_free_sgpr 0
		.amdhsa_accum_offset 4
		.amdhsa_reserve_vcc 0
		.amdhsa_float_round_mode_32 0
		.amdhsa_float_round_mode_16_64 0
		.amdhsa_float_denorm_mode_32 3
		.amdhsa_float_denorm_mode_16_64 3
		.amdhsa_dx10_clamp 1
		.amdhsa_ieee_mode 1
		.amdhsa_fp16_overflow 0
		.amdhsa_tg_split 0
		.amdhsa_exception_fp_ieee_invalid_op 0
		.amdhsa_exception_fp_denorm_src 0
		.amdhsa_exception_fp_ieee_div_zero 0
		.amdhsa_exception_fp_ieee_overflow 0
		.amdhsa_exception_fp_ieee_underflow 0
		.amdhsa_exception_fp_ieee_inexact 0
		.amdhsa_exception_int_div_zero 0
	.end_amdhsa_kernel
	.section	.text._ZN7rocprim17ROCPRIM_400000_NS6detail17trampoline_kernelINS0_14default_configENS1_38merge_sort_block_merge_config_selectorIisEEZZNS1_27merge_sort_block_merge_implIS3_N6thrust23THRUST_200600_302600_NS10device_ptrIiEENS9_IsEEjNS1_19radix_merge_compareILb0ELb1EiNS0_19identity_decomposerEEEEE10hipError_tT0_T1_T2_jT3_P12ihipStream_tbPNSt15iterator_traitsISG_E10value_typeEPNSM_ISH_E10value_typeEPSI_NS1_7vsmem_tEENKUlT_SG_SH_SI_E_clIPiSA_PsSB_EESF_SV_SG_SH_SI_EUlSV_E1_NS1_11comp_targetILNS1_3genE2ELNS1_11target_archE906ELNS1_3gpuE6ELNS1_3repE0EEENS1_36merge_oddeven_config_static_selectorELNS0_4arch9wavefront6targetE1EEEvSH_,"axG",@progbits,_ZN7rocprim17ROCPRIM_400000_NS6detail17trampoline_kernelINS0_14default_configENS1_38merge_sort_block_merge_config_selectorIisEEZZNS1_27merge_sort_block_merge_implIS3_N6thrust23THRUST_200600_302600_NS10device_ptrIiEENS9_IsEEjNS1_19radix_merge_compareILb0ELb1EiNS0_19identity_decomposerEEEEE10hipError_tT0_T1_T2_jT3_P12ihipStream_tbPNSt15iterator_traitsISG_E10value_typeEPNSM_ISH_E10value_typeEPSI_NS1_7vsmem_tEENKUlT_SG_SH_SI_E_clIPiSA_PsSB_EESF_SV_SG_SH_SI_EUlSV_E1_NS1_11comp_targetILNS1_3genE2ELNS1_11target_archE906ELNS1_3gpuE6ELNS1_3repE0EEENS1_36merge_oddeven_config_static_selectorELNS0_4arch9wavefront6targetE1EEEvSH_,comdat
.Lfunc_end2377:
	.size	_ZN7rocprim17ROCPRIM_400000_NS6detail17trampoline_kernelINS0_14default_configENS1_38merge_sort_block_merge_config_selectorIisEEZZNS1_27merge_sort_block_merge_implIS3_N6thrust23THRUST_200600_302600_NS10device_ptrIiEENS9_IsEEjNS1_19radix_merge_compareILb0ELb1EiNS0_19identity_decomposerEEEEE10hipError_tT0_T1_T2_jT3_P12ihipStream_tbPNSt15iterator_traitsISG_E10value_typeEPNSM_ISH_E10value_typeEPSI_NS1_7vsmem_tEENKUlT_SG_SH_SI_E_clIPiSA_PsSB_EESF_SV_SG_SH_SI_EUlSV_E1_NS1_11comp_targetILNS1_3genE2ELNS1_11target_archE906ELNS1_3gpuE6ELNS1_3repE0EEENS1_36merge_oddeven_config_static_selectorELNS0_4arch9wavefront6targetE1EEEvSH_, .Lfunc_end2377-_ZN7rocprim17ROCPRIM_400000_NS6detail17trampoline_kernelINS0_14default_configENS1_38merge_sort_block_merge_config_selectorIisEEZZNS1_27merge_sort_block_merge_implIS3_N6thrust23THRUST_200600_302600_NS10device_ptrIiEENS9_IsEEjNS1_19radix_merge_compareILb0ELb1EiNS0_19identity_decomposerEEEEE10hipError_tT0_T1_T2_jT3_P12ihipStream_tbPNSt15iterator_traitsISG_E10value_typeEPNSM_ISH_E10value_typeEPSI_NS1_7vsmem_tEENKUlT_SG_SH_SI_E_clIPiSA_PsSB_EESF_SV_SG_SH_SI_EUlSV_E1_NS1_11comp_targetILNS1_3genE2ELNS1_11target_archE906ELNS1_3gpuE6ELNS1_3repE0EEENS1_36merge_oddeven_config_static_selectorELNS0_4arch9wavefront6targetE1EEEvSH_
                                        ; -- End function
	.set _ZN7rocprim17ROCPRIM_400000_NS6detail17trampoline_kernelINS0_14default_configENS1_38merge_sort_block_merge_config_selectorIisEEZZNS1_27merge_sort_block_merge_implIS3_N6thrust23THRUST_200600_302600_NS10device_ptrIiEENS9_IsEEjNS1_19radix_merge_compareILb0ELb1EiNS0_19identity_decomposerEEEEE10hipError_tT0_T1_T2_jT3_P12ihipStream_tbPNSt15iterator_traitsISG_E10value_typeEPNSM_ISH_E10value_typeEPSI_NS1_7vsmem_tEENKUlT_SG_SH_SI_E_clIPiSA_PsSB_EESF_SV_SG_SH_SI_EUlSV_E1_NS1_11comp_targetILNS1_3genE2ELNS1_11target_archE906ELNS1_3gpuE6ELNS1_3repE0EEENS1_36merge_oddeven_config_static_selectorELNS0_4arch9wavefront6targetE1EEEvSH_.num_vgpr, 0
	.set _ZN7rocprim17ROCPRIM_400000_NS6detail17trampoline_kernelINS0_14default_configENS1_38merge_sort_block_merge_config_selectorIisEEZZNS1_27merge_sort_block_merge_implIS3_N6thrust23THRUST_200600_302600_NS10device_ptrIiEENS9_IsEEjNS1_19radix_merge_compareILb0ELb1EiNS0_19identity_decomposerEEEEE10hipError_tT0_T1_T2_jT3_P12ihipStream_tbPNSt15iterator_traitsISG_E10value_typeEPNSM_ISH_E10value_typeEPSI_NS1_7vsmem_tEENKUlT_SG_SH_SI_E_clIPiSA_PsSB_EESF_SV_SG_SH_SI_EUlSV_E1_NS1_11comp_targetILNS1_3genE2ELNS1_11target_archE906ELNS1_3gpuE6ELNS1_3repE0EEENS1_36merge_oddeven_config_static_selectorELNS0_4arch9wavefront6targetE1EEEvSH_.num_agpr, 0
	.set _ZN7rocprim17ROCPRIM_400000_NS6detail17trampoline_kernelINS0_14default_configENS1_38merge_sort_block_merge_config_selectorIisEEZZNS1_27merge_sort_block_merge_implIS3_N6thrust23THRUST_200600_302600_NS10device_ptrIiEENS9_IsEEjNS1_19radix_merge_compareILb0ELb1EiNS0_19identity_decomposerEEEEE10hipError_tT0_T1_T2_jT3_P12ihipStream_tbPNSt15iterator_traitsISG_E10value_typeEPNSM_ISH_E10value_typeEPSI_NS1_7vsmem_tEENKUlT_SG_SH_SI_E_clIPiSA_PsSB_EESF_SV_SG_SH_SI_EUlSV_E1_NS1_11comp_targetILNS1_3genE2ELNS1_11target_archE906ELNS1_3gpuE6ELNS1_3repE0EEENS1_36merge_oddeven_config_static_selectorELNS0_4arch9wavefront6targetE1EEEvSH_.numbered_sgpr, 0
	.set _ZN7rocprim17ROCPRIM_400000_NS6detail17trampoline_kernelINS0_14default_configENS1_38merge_sort_block_merge_config_selectorIisEEZZNS1_27merge_sort_block_merge_implIS3_N6thrust23THRUST_200600_302600_NS10device_ptrIiEENS9_IsEEjNS1_19radix_merge_compareILb0ELb1EiNS0_19identity_decomposerEEEEE10hipError_tT0_T1_T2_jT3_P12ihipStream_tbPNSt15iterator_traitsISG_E10value_typeEPNSM_ISH_E10value_typeEPSI_NS1_7vsmem_tEENKUlT_SG_SH_SI_E_clIPiSA_PsSB_EESF_SV_SG_SH_SI_EUlSV_E1_NS1_11comp_targetILNS1_3genE2ELNS1_11target_archE906ELNS1_3gpuE6ELNS1_3repE0EEENS1_36merge_oddeven_config_static_selectorELNS0_4arch9wavefront6targetE1EEEvSH_.num_named_barrier, 0
	.set _ZN7rocprim17ROCPRIM_400000_NS6detail17trampoline_kernelINS0_14default_configENS1_38merge_sort_block_merge_config_selectorIisEEZZNS1_27merge_sort_block_merge_implIS3_N6thrust23THRUST_200600_302600_NS10device_ptrIiEENS9_IsEEjNS1_19radix_merge_compareILb0ELb1EiNS0_19identity_decomposerEEEEE10hipError_tT0_T1_T2_jT3_P12ihipStream_tbPNSt15iterator_traitsISG_E10value_typeEPNSM_ISH_E10value_typeEPSI_NS1_7vsmem_tEENKUlT_SG_SH_SI_E_clIPiSA_PsSB_EESF_SV_SG_SH_SI_EUlSV_E1_NS1_11comp_targetILNS1_3genE2ELNS1_11target_archE906ELNS1_3gpuE6ELNS1_3repE0EEENS1_36merge_oddeven_config_static_selectorELNS0_4arch9wavefront6targetE1EEEvSH_.private_seg_size, 0
	.set _ZN7rocprim17ROCPRIM_400000_NS6detail17trampoline_kernelINS0_14default_configENS1_38merge_sort_block_merge_config_selectorIisEEZZNS1_27merge_sort_block_merge_implIS3_N6thrust23THRUST_200600_302600_NS10device_ptrIiEENS9_IsEEjNS1_19radix_merge_compareILb0ELb1EiNS0_19identity_decomposerEEEEE10hipError_tT0_T1_T2_jT3_P12ihipStream_tbPNSt15iterator_traitsISG_E10value_typeEPNSM_ISH_E10value_typeEPSI_NS1_7vsmem_tEENKUlT_SG_SH_SI_E_clIPiSA_PsSB_EESF_SV_SG_SH_SI_EUlSV_E1_NS1_11comp_targetILNS1_3genE2ELNS1_11target_archE906ELNS1_3gpuE6ELNS1_3repE0EEENS1_36merge_oddeven_config_static_selectorELNS0_4arch9wavefront6targetE1EEEvSH_.uses_vcc, 0
	.set _ZN7rocprim17ROCPRIM_400000_NS6detail17trampoline_kernelINS0_14default_configENS1_38merge_sort_block_merge_config_selectorIisEEZZNS1_27merge_sort_block_merge_implIS3_N6thrust23THRUST_200600_302600_NS10device_ptrIiEENS9_IsEEjNS1_19radix_merge_compareILb0ELb1EiNS0_19identity_decomposerEEEEE10hipError_tT0_T1_T2_jT3_P12ihipStream_tbPNSt15iterator_traitsISG_E10value_typeEPNSM_ISH_E10value_typeEPSI_NS1_7vsmem_tEENKUlT_SG_SH_SI_E_clIPiSA_PsSB_EESF_SV_SG_SH_SI_EUlSV_E1_NS1_11comp_targetILNS1_3genE2ELNS1_11target_archE906ELNS1_3gpuE6ELNS1_3repE0EEENS1_36merge_oddeven_config_static_selectorELNS0_4arch9wavefront6targetE1EEEvSH_.uses_flat_scratch, 0
	.set _ZN7rocprim17ROCPRIM_400000_NS6detail17trampoline_kernelINS0_14default_configENS1_38merge_sort_block_merge_config_selectorIisEEZZNS1_27merge_sort_block_merge_implIS3_N6thrust23THRUST_200600_302600_NS10device_ptrIiEENS9_IsEEjNS1_19radix_merge_compareILb0ELb1EiNS0_19identity_decomposerEEEEE10hipError_tT0_T1_T2_jT3_P12ihipStream_tbPNSt15iterator_traitsISG_E10value_typeEPNSM_ISH_E10value_typeEPSI_NS1_7vsmem_tEENKUlT_SG_SH_SI_E_clIPiSA_PsSB_EESF_SV_SG_SH_SI_EUlSV_E1_NS1_11comp_targetILNS1_3genE2ELNS1_11target_archE906ELNS1_3gpuE6ELNS1_3repE0EEENS1_36merge_oddeven_config_static_selectorELNS0_4arch9wavefront6targetE1EEEvSH_.has_dyn_sized_stack, 0
	.set _ZN7rocprim17ROCPRIM_400000_NS6detail17trampoline_kernelINS0_14default_configENS1_38merge_sort_block_merge_config_selectorIisEEZZNS1_27merge_sort_block_merge_implIS3_N6thrust23THRUST_200600_302600_NS10device_ptrIiEENS9_IsEEjNS1_19radix_merge_compareILb0ELb1EiNS0_19identity_decomposerEEEEE10hipError_tT0_T1_T2_jT3_P12ihipStream_tbPNSt15iterator_traitsISG_E10value_typeEPNSM_ISH_E10value_typeEPSI_NS1_7vsmem_tEENKUlT_SG_SH_SI_E_clIPiSA_PsSB_EESF_SV_SG_SH_SI_EUlSV_E1_NS1_11comp_targetILNS1_3genE2ELNS1_11target_archE906ELNS1_3gpuE6ELNS1_3repE0EEENS1_36merge_oddeven_config_static_selectorELNS0_4arch9wavefront6targetE1EEEvSH_.has_recursion, 0
	.set _ZN7rocprim17ROCPRIM_400000_NS6detail17trampoline_kernelINS0_14default_configENS1_38merge_sort_block_merge_config_selectorIisEEZZNS1_27merge_sort_block_merge_implIS3_N6thrust23THRUST_200600_302600_NS10device_ptrIiEENS9_IsEEjNS1_19radix_merge_compareILb0ELb1EiNS0_19identity_decomposerEEEEE10hipError_tT0_T1_T2_jT3_P12ihipStream_tbPNSt15iterator_traitsISG_E10value_typeEPNSM_ISH_E10value_typeEPSI_NS1_7vsmem_tEENKUlT_SG_SH_SI_E_clIPiSA_PsSB_EESF_SV_SG_SH_SI_EUlSV_E1_NS1_11comp_targetILNS1_3genE2ELNS1_11target_archE906ELNS1_3gpuE6ELNS1_3repE0EEENS1_36merge_oddeven_config_static_selectorELNS0_4arch9wavefront6targetE1EEEvSH_.has_indirect_call, 0
	.section	.AMDGPU.csdata,"",@progbits
; Kernel info:
; codeLenInByte = 0
; TotalNumSgprs: 6
; NumVgprs: 0
; NumAgprs: 0
; TotalNumVgprs: 0
; ScratchSize: 0
; MemoryBound: 0
; FloatMode: 240
; IeeeMode: 1
; LDSByteSize: 0 bytes/workgroup (compile time only)
; SGPRBlocks: 0
; VGPRBlocks: 0
; NumSGPRsForWavesPerEU: 6
; NumVGPRsForWavesPerEU: 1
; AccumOffset: 4
; Occupancy: 8
; WaveLimiterHint : 0
; COMPUTE_PGM_RSRC2:SCRATCH_EN: 0
; COMPUTE_PGM_RSRC2:USER_SGPR: 2
; COMPUTE_PGM_RSRC2:TRAP_HANDLER: 0
; COMPUTE_PGM_RSRC2:TGID_X_EN: 1
; COMPUTE_PGM_RSRC2:TGID_Y_EN: 0
; COMPUTE_PGM_RSRC2:TGID_Z_EN: 0
; COMPUTE_PGM_RSRC2:TIDIG_COMP_CNT: 0
; COMPUTE_PGM_RSRC3_GFX90A:ACCUM_OFFSET: 0
; COMPUTE_PGM_RSRC3_GFX90A:TG_SPLIT: 0
	.section	.text._ZN7rocprim17ROCPRIM_400000_NS6detail17trampoline_kernelINS0_14default_configENS1_38merge_sort_block_merge_config_selectorIisEEZZNS1_27merge_sort_block_merge_implIS3_N6thrust23THRUST_200600_302600_NS10device_ptrIiEENS9_IsEEjNS1_19radix_merge_compareILb0ELb1EiNS0_19identity_decomposerEEEEE10hipError_tT0_T1_T2_jT3_P12ihipStream_tbPNSt15iterator_traitsISG_E10value_typeEPNSM_ISH_E10value_typeEPSI_NS1_7vsmem_tEENKUlT_SG_SH_SI_E_clIPiSA_PsSB_EESF_SV_SG_SH_SI_EUlSV_E1_NS1_11comp_targetILNS1_3genE9ELNS1_11target_archE1100ELNS1_3gpuE3ELNS1_3repE0EEENS1_36merge_oddeven_config_static_selectorELNS0_4arch9wavefront6targetE1EEEvSH_,"axG",@progbits,_ZN7rocprim17ROCPRIM_400000_NS6detail17trampoline_kernelINS0_14default_configENS1_38merge_sort_block_merge_config_selectorIisEEZZNS1_27merge_sort_block_merge_implIS3_N6thrust23THRUST_200600_302600_NS10device_ptrIiEENS9_IsEEjNS1_19radix_merge_compareILb0ELb1EiNS0_19identity_decomposerEEEEE10hipError_tT0_T1_T2_jT3_P12ihipStream_tbPNSt15iterator_traitsISG_E10value_typeEPNSM_ISH_E10value_typeEPSI_NS1_7vsmem_tEENKUlT_SG_SH_SI_E_clIPiSA_PsSB_EESF_SV_SG_SH_SI_EUlSV_E1_NS1_11comp_targetILNS1_3genE9ELNS1_11target_archE1100ELNS1_3gpuE3ELNS1_3repE0EEENS1_36merge_oddeven_config_static_selectorELNS0_4arch9wavefront6targetE1EEEvSH_,comdat
	.protected	_ZN7rocprim17ROCPRIM_400000_NS6detail17trampoline_kernelINS0_14default_configENS1_38merge_sort_block_merge_config_selectorIisEEZZNS1_27merge_sort_block_merge_implIS3_N6thrust23THRUST_200600_302600_NS10device_ptrIiEENS9_IsEEjNS1_19radix_merge_compareILb0ELb1EiNS0_19identity_decomposerEEEEE10hipError_tT0_T1_T2_jT3_P12ihipStream_tbPNSt15iterator_traitsISG_E10value_typeEPNSM_ISH_E10value_typeEPSI_NS1_7vsmem_tEENKUlT_SG_SH_SI_E_clIPiSA_PsSB_EESF_SV_SG_SH_SI_EUlSV_E1_NS1_11comp_targetILNS1_3genE9ELNS1_11target_archE1100ELNS1_3gpuE3ELNS1_3repE0EEENS1_36merge_oddeven_config_static_selectorELNS0_4arch9wavefront6targetE1EEEvSH_ ; -- Begin function _ZN7rocprim17ROCPRIM_400000_NS6detail17trampoline_kernelINS0_14default_configENS1_38merge_sort_block_merge_config_selectorIisEEZZNS1_27merge_sort_block_merge_implIS3_N6thrust23THRUST_200600_302600_NS10device_ptrIiEENS9_IsEEjNS1_19radix_merge_compareILb0ELb1EiNS0_19identity_decomposerEEEEE10hipError_tT0_T1_T2_jT3_P12ihipStream_tbPNSt15iterator_traitsISG_E10value_typeEPNSM_ISH_E10value_typeEPSI_NS1_7vsmem_tEENKUlT_SG_SH_SI_E_clIPiSA_PsSB_EESF_SV_SG_SH_SI_EUlSV_E1_NS1_11comp_targetILNS1_3genE9ELNS1_11target_archE1100ELNS1_3gpuE3ELNS1_3repE0EEENS1_36merge_oddeven_config_static_selectorELNS0_4arch9wavefront6targetE1EEEvSH_
	.globl	_ZN7rocprim17ROCPRIM_400000_NS6detail17trampoline_kernelINS0_14default_configENS1_38merge_sort_block_merge_config_selectorIisEEZZNS1_27merge_sort_block_merge_implIS3_N6thrust23THRUST_200600_302600_NS10device_ptrIiEENS9_IsEEjNS1_19radix_merge_compareILb0ELb1EiNS0_19identity_decomposerEEEEE10hipError_tT0_T1_T2_jT3_P12ihipStream_tbPNSt15iterator_traitsISG_E10value_typeEPNSM_ISH_E10value_typeEPSI_NS1_7vsmem_tEENKUlT_SG_SH_SI_E_clIPiSA_PsSB_EESF_SV_SG_SH_SI_EUlSV_E1_NS1_11comp_targetILNS1_3genE9ELNS1_11target_archE1100ELNS1_3gpuE3ELNS1_3repE0EEENS1_36merge_oddeven_config_static_selectorELNS0_4arch9wavefront6targetE1EEEvSH_
	.p2align	8
	.type	_ZN7rocprim17ROCPRIM_400000_NS6detail17trampoline_kernelINS0_14default_configENS1_38merge_sort_block_merge_config_selectorIisEEZZNS1_27merge_sort_block_merge_implIS3_N6thrust23THRUST_200600_302600_NS10device_ptrIiEENS9_IsEEjNS1_19radix_merge_compareILb0ELb1EiNS0_19identity_decomposerEEEEE10hipError_tT0_T1_T2_jT3_P12ihipStream_tbPNSt15iterator_traitsISG_E10value_typeEPNSM_ISH_E10value_typeEPSI_NS1_7vsmem_tEENKUlT_SG_SH_SI_E_clIPiSA_PsSB_EESF_SV_SG_SH_SI_EUlSV_E1_NS1_11comp_targetILNS1_3genE9ELNS1_11target_archE1100ELNS1_3gpuE3ELNS1_3repE0EEENS1_36merge_oddeven_config_static_selectorELNS0_4arch9wavefront6targetE1EEEvSH_,@function
_ZN7rocprim17ROCPRIM_400000_NS6detail17trampoline_kernelINS0_14default_configENS1_38merge_sort_block_merge_config_selectorIisEEZZNS1_27merge_sort_block_merge_implIS3_N6thrust23THRUST_200600_302600_NS10device_ptrIiEENS9_IsEEjNS1_19radix_merge_compareILb0ELb1EiNS0_19identity_decomposerEEEEE10hipError_tT0_T1_T2_jT3_P12ihipStream_tbPNSt15iterator_traitsISG_E10value_typeEPNSM_ISH_E10value_typeEPSI_NS1_7vsmem_tEENKUlT_SG_SH_SI_E_clIPiSA_PsSB_EESF_SV_SG_SH_SI_EUlSV_E1_NS1_11comp_targetILNS1_3genE9ELNS1_11target_archE1100ELNS1_3gpuE3ELNS1_3repE0EEENS1_36merge_oddeven_config_static_selectorELNS0_4arch9wavefront6targetE1EEEvSH_: ; @_ZN7rocprim17ROCPRIM_400000_NS6detail17trampoline_kernelINS0_14default_configENS1_38merge_sort_block_merge_config_selectorIisEEZZNS1_27merge_sort_block_merge_implIS3_N6thrust23THRUST_200600_302600_NS10device_ptrIiEENS9_IsEEjNS1_19radix_merge_compareILb0ELb1EiNS0_19identity_decomposerEEEEE10hipError_tT0_T1_T2_jT3_P12ihipStream_tbPNSt15iterator_traitsISG_E10value_typeEPNSM_ISH_E10value_typeEPSI_NS1_7vsmem_tEENKUlT_SG_SH_SI_E_clIPiSA_PsSB_EESF_SV_SG_SH_SI_EUlSV_E1_NS1_11comp_targetILNS1_3genE9ELNS1_11target_archE1100ELNS1_3gpuE3ELNS1_3repE0EEENS1_36merge_oddeven_config_static_selectorELNS0_4arch9wavefront6targetE1EEEvSH_
; %bb.0:
	.section	.rodata,"a",@progbits
	.p2align	6, 0x0
	.amdhsa_kernel _ZN7rocprim17ROCPRIM_400000_NS6detail17trampoline_kernelINS0_14default_configENS1_38merge_sort_block_merge_config_selectorIisEEZZNS1_27merge_sort_block_merge_implIS3_N6thrust23THRUST_200600_302600_NS10device_ptrIiEENS9_IsEEjNS1_19radix_merge_compareILb0ELb1EiNS0_19identity_decomposerEEEEE10hipError_tT0_T1_T2_jT3_P12ihipStream_tbPNSt15iterator_traitsISG_E10value_typeEPNSM_ISH_E10value_typeEPSI_NS1_7vsmem_tEENKUlT_SG_SH_SI_E_clIPiSA_PsSB_EESF_SV_SG_SH_SI_EUlSV_E1_NS1_11comp_targetILNS1_3genE9ELNS1_11target_archE1100ELNS1_3gpuE3ELNS1_3repE0EEENS1_36merge_oddeven_config_static_selectorELNS0_4arch9wavefront6targetE1EEEvSH_
		.amdhsa_group_segment_fixed_size 0
		.amdhsa_private_segment_fixed_size 0
		.amdhsa_kernarg_size 48
		.amdhsa_user_sgpr_count 2
		.amdhsa_user_sgpr_dispatch_ptr 0
		.amdhsa_user_sgpr_queue_ptr 0
		.amdhsa_user_sgpr_kernarg_segment_ptr 1
		.amdhsa_user_sgpr_dispatch_id 0
		.amdhsa_user_sgpr_kernarg_preload_length 0
		.amdhsa_user_sgpr_kernarg_preload_offset 0
		.amdhsa_user_sgpr_private_segment_size 0
		.amdhsa_uses_dynamic_stack 0
		.amdhsa_enable_private_segment 0
		.amdhsa_system_sgpr_workgroup_id_x 1
		.amdhsa_system_sgpr_workgroup_id_y 0
		.amdhsa_system_sgpr_workgroup_id_z 0
		.amdhsa_system_sgpr_workgroup_info 0
		.amdhsa_system_vgpr_workitem_id 0
		.amdhsa_next_free_vgpr 1
		.amdhsa_next_free_sgpr 0
		.amdhsa_accum_offset 4
		.amdhsa_reserve_vcc 0
		.amdhsa_float_round_mode_32 0
		.amdhsa_float_round_mode_16_64 0
		.amdhsa_float_denorm_mode_32 3
		.amdhsa_float_denorm_mode_16_64 3
		.amdhsa_dx10_clamp 1
		.amdhsa_ieee_mode 1
		.amdhsa_fp16_overflow 0
		.amdhsa_tg_split 0
		.amdhsa_exception_fp_ieee_invalid_op 0
		.amdhsa_exception_fp_denorm_src 0
		.amdhsa_exception_fp_ieee_div_zero 0
		.amdhsa_exception_fp_ieee_overflow 0
		.amdhsa_exception_fp_ieee_underflow 0
		.amdhsa_exception_fp_ieee_inexact 0
		.amdhsa_exception_int_div_zero 0
	.end_amdhsa_kernel
	.section	.text._ZN7rocprim17ROCPRIM_400000_NS6detail17trampoline_kernelINS0_14default_configENS1_38merge_sort_block_merge_config_selectorIisEEZZNS1_27merge_sort_block_merge_implIS3_N6thrust23THRUST_200600_302600_NS10device_ptrIiEENS9_IsEEjNS1_19radix_merge_compareILb0ELb1EiNS0_19identity_decomposerEEEEE10hipError_tT0_T1_T2_jT3_P12ihipStream_tbPNSt15iterator_traitsISG_E10value_typeEPNSM_ISH_E10value_typeEPSI_NS1_7vsmem_tEENKUlT_SG_SH_SI_E_clIPiSA_PsSB_EESF_SV_SG_SH_SI_EUlSV_E1_NS1_11comp_targetILNS1_3genE9ELNS1_11target_archE1100ELNS1_3gpuE3ELNS1_3repE0EEENS1_36merge_oddeven_config_static_selectorELNS0_4arch9wavefront6targetE1EEEvSH_,"axG",@progbits,_ZN7rocprim17ROCPRIM_400000_NS6detail17trampoline_kernelINS0_14default_configENS1_38merge_sort_block_merge_config_selectorIisEEZZNS1_27merge_sort_block_merge_implIS3_N6thrust23THRUST_200600_302600_NS10device_ptrIiEENS9_IsEEjNS1_19radix_merge_compareILb0ELb1EiNS0_19identity_decomposerEEEEE10hipError_tT0_T1_T2_jT3_P12ihipStream_tbPNSt15iterator_traitsISG_E10value_typeEPNSM_ISH_E10value_typeEPSI_NS1_7vsmem_tEENKUlT_SG_SH_SI_E_clIPiSA_PsSB_EESF_SV_SG_SH_SI_EUlSV_E1_NS1_11comp_targetILNS1_3genE9ELNS1_11target_archE1100ELNS1_3gpuE3ELNS1_3repE0EEENS1_36merge_oddeven_config_static_selectorELNS0_4arch9wavefront6targetE1EEEvSH_,comdat
.Lfunc_end2378:
	.size	_ZN7rocprim17ROCPRIM_400000_NS6detail17trampoline_kernelINS0_14default_configENS1_38merge_sort_block_merge_config_selectorIisEEZZNS1_27merge_sort_block_merge_implIS3_N6thrust23THRUST_200600_302600_NS10device_ptrIiEENS9_IsEEjNS1_19radix_merge_compareILb0ELb1EiNS0_19identity_decomposerEEEEE10hipError_tT0_T1_T2_jT3_P12ihipStream_tbPNSt15iterator_traitsISG_E10value_typeEPNSM_ISH_E10value_typeEPSI_NS1_7vsmem_tEENKUlT_SG_SH_SI_E_clIPiSA_PsSB_EESF_SV_SG_SH_SI_EUlSV_E1_NS1_11comp_targetILNS1_3genE9ELNS1_11target_archE1100ELNS1_3gpuE3ELNS1_3repE0EEENS1_36merge_oddeven_config_static_selectorELNS0_4arch9wavefront6targetE1EEEvSH_, .Lfunc_end2378-_ZN7rocprim17ROCPRIM_400000_NS6detail17trampoline_kernelINS0_14default_configENS1_38merge_sort_block_merge_config_selectorIisEEZZNS1_27merge_sort_block_merge_implIS3_N6thrust23THRUST_200600_302600_NS10device_ptrIiEENS9_IsEEjNS1_19radix_merge_compareILb0ELb1EiNS0_19identity_decomposerEEEEE10hipError_tT0_T1_T2_jT3_P12ihipStream_tbPNSt15iterator_traitsISG_E10value_typeEPNSM_ISH_E10value_typeEPSI_NS1_7vsmem_tEENKUlT_SG_SH_SI_E_clIPiSA_PsSB_EESF_SV_SG_SH_SI_EUlSV_E1_NS1_11comp_targetILNS1_3genE9ELNS1_11target_archE1100ELNS1_3gpuE3ELNS1_3repE0EEENS1_36merge_oddeven_config_static_selectorELNS0_4arch9wavefront6targetE1EEEvSH_
                                        ; -- End function
	.set _ZN7rocprim17ROCPRIM_400000_NS6detail17trampoline_kernelINS0_14default_configENS1_38merge_sort_block_merge_config_selectorIisEEZZNS1_27merge_sort_block_merge_implIS3_N6thrust23THRUST_200600_302600_NS10device_ptrIiEENS9_IsEEjNS1_19radix_merge_compareILb0ELb1EiNS0_19identity_decomposerEEEEE10hipError_tT0_T1_T2_jT3_P12ihipStream_tbPNSt15iterator_traitsISG_E10value_typeEPNSM_ISH_E10value_typeEPSI_NS1_7vsmem_tEENKUlT_SG_SH_SI_E_clIPiSA_PsSB_EESF_SV_SG_SH_SI_EUlSV_E1_NS1_11comp_targetILNS1_3genE9ELNS1_11target_archE1100ELNS1_3gpuE3ELNS1_3repE0EEENS1_36merge_oddeven_config_static_selectorELNS0_4arch9wavefront6targetE1EEEvSH_.num_vgpr, 0
	.set _ZN7rocprim17ROCPRIM_400000_NS6detail17trampoline_kernelINS0_14default_configENS1_38merge_sort_block_merge_config_selectorIisEEZZNS1_27merge_sort_block_merge_implIS3_N6thrust23THRUST_200600_302600_NS10device_ptrIiEENS9_IsEEjNS1_19radix_merge_compareILb0ELb1EiNS0_19identity_decomposerEEEEE10hipError_tT0_T1_T2_jT3_P12ihipStream_tbPNSt15iterator_traitsISG_E10value_typeEPNSM_ISH_E10value_typeEPSI_NS1_7vsmem_tEENKUlT_SG_SH_SI_E_clIPiSA_PsSB_EESF_SV_SG_SH_SI_EUlSV_E1_NS1_11comp_targetILNS1_3genE9ELNS1_11target_archE1100ELNS1_3gpuE3ELNS1_3repE0EEENS1_36merge_oddeven_config_static_selectorELNS0_4arch9wavefront6targetE1EEEvSH_.num_agpr, 0
	.set _ZN7rocprim17ROCPRIM_400000_NS6detail17trampoline_kernelINS0_14default_configENS1_38merge_sort_block_merge_config_selectorIisEEZZNS1_27merge_sort_block_merge_implIS3_N6thrust23THRUST_200600_302600_NS10device_ptrIiEENS9_IsEEjNS1_19radix_merge_compareILb0ELb1EiNS0_19identity_decomposerEEEEE10hipError_tT0_T1_T2_jT3_P12ihipStream_tbPNSt15iterator_traitsISG_E10value_typeEPNSM_ISH_E10value_typeEPSI_NS1_7vsmem_tEENKUlT_SG_SH_SI_E_clIPiSA_PsSB_EESF_SV_SG_SH_SI_EUlSV_E1_NS1_11comp_targetILNS1_3genE9ELNS1_11target_archE1100ELNS1_3gpuE3ELNS1_3repE0EEENS1_36merge_oddeven_config_static_selectorELNS0_4arch9wavefront6targetE1EEEvSH_.numbered_sgpr, 0
	.set _ZN7rocprim17ROCPRIM_400000_NS6detail17trampoline_kernelINS0_14default_configENS1_38merge_sort_block_merge_config_selectorIisEEZZNS1_27merge_sort_block_merge_implIS3_N6thrust23THRUST_200600_302600_NS10device_ptrIiEENS9_IsEEjNS1_19radix_merge_compareILb0ELb1EiNS0_19identity_decomposerEEEEE10hipError_tT0_T1_T2_jT3_P12ihipStream_tbPNSt15iterator_traitsISG_E10value_typeEPNSM_ISH_E10value_typeEPSI_NS1_7vsmem_tEENKUlT_SG_SH_SI_E_clIPiSA_PsSB_EESF_SV_SG_SH_SI_EUlSV_E1_NS1_11comp_targetILNS1_3genE9ELNS1_11target_archE1100ELNS1_3gpuE3ELNS1_3repE0EEENS1_36merge_oddeven_config_static_selectorELNS0_4arch9wavefront6targetE1EEEvSH_.num_named_barrier, 0
	.set _ZN7rocprim17ROCPRIM_400000_NS6detail17trampoline_kernelINS0_14default_configENS1_38merge_sort_block_merge_config_selectorIisEEZZNS1_27merge_sort_block_merge_implIS3_N6thrust23THRUST_200600_302600_NS10device_ptrIiEENS9_IsEEjNS1_19radix_merge_compareILb0ELb1EiNS0_19identity_decomposerEEEEE10hipError_tT0_T1_T2_jT3_P12ihipStream_tbPNSt15iterator_traitsISG_E10value_typeEPNSM_ISH_E10value_typeEPSI_NS1_7vsmem_tEENKUlT_SG_SH_SI_E_clIPiSA_PsSB_EESF_SV_SG_SH_SI_EUlSV_E1_NS1_11comp_targetILNS1_3genE9ELNS1_11target_archE1100ELNS1_3gpuE3ELNS1_3repE0EEENS1_36merge_oddeven_config_static_selectorELNS0_4arch9wavefront6targetE1EEEvSH_.private_seg_size, 0
	.set _ZN7rocprim17ROCPRIM_400000_NS6detail17trampoline_kernelINS0_14default_configENS1_38merge_sort_block_merge_config_selectorIisEEZZNS1_27merge_sort_block_merge_implIS3_N6thrust23THRUST_200600_302600_NS10device_ptrIiEENS9_IsEEjNS1_19radix_merge_compareILb0ELb1EiNS0_19identity_decomposerEEEEE10hipError_tT0_T1_T2_jT3_P12ihipStream_tbPNSt15iterator_traitsISG_E10value_typeEPNSM_ISH_E10value_typeEPSI_NS1_7vsmem_tEENKUlT_SG_SH_SI_E_clIPiSA_PsSB_EESF_SV_SG_SH_SI_EUlSV_E1_NS1_11comp_targetILNS1_3genE9ELNS1_11target_archE1100ELNS1_3gpuE3ELNS1_3repE0EEENS1_36merge_oddeven_config_static_selectorELNS0_4arch9wavefront6targetE1EEEvSH_.uses_vcc, 0
	.set _ZN7rocprim17ROCPRIM_400000_NS6detail17trampoline_kernelINS0_14default_configENS1_38merge_sort_block_merge_config_selectorIisEEZZNS1_27merge_sort_block_merge_implIS3_N6thrust23THRUST_200600_302600_NS10device_ptrIiEENS9_IsEEjNS1_19radix_merge_compareILb0ELb1EiNS0_19identity_decomposerEEEEE10hipError_tT0_T1_T2_jT3_P12ihipStream_tbPNSt15iterator_traitsISG_E10value_typeEPNSM_ISH_E10value_typeEPSI_NS1_7vsmem_tEENKUlT_SG_SH_SI_E_clIPiSA_PsSB_EESF_SV_SG_SH_SI_EUlSV_E1_NS1_11comp_targetILNS1_3genE9ELNS1_11target_archE1100ELNS1_3gpuE3ELNS1_3repE0EEENS1_36merge_oddeven_config_static_selectorELNS0_4arch9wavefront6targetE1EEEvSH_.uses_flat_scratch, 0
	.set _ZN7rocprim17ROCPRIM_400000_NS6detail17trampoline_kernelINS0_14default_configENS1_38merge_sort_block_merge_config_selectorIisEEZZNS1_27merge_sort_block_merge_implIS3_N6thrust23THRUST_200600_302600_NS10device_ptrIiEENS9_IsEEjNS1_19radix_merge_compareILb0ELb1EiNS0_19identity_decomposerEEEEE10hipError_tT0_T1_T2_jT3_P12ihipStream_tbPNSt15iterator_traitsISG_E10value_typeEPNSM_ISH_E10value_typeEPSI_NS1_7vsmem_tEENKUlT_SG_SH_SI_E_clIPiSA_PsSB_EESF_SV_SG_SH_SI_EUlSV_E1_NS1_11comp_targetILNS1_3genE9ELNS1_11target_archE1100ELNS1_3gpuE3ELNS1_3repE0EEENS1_36merge_oddeven_config_static_selectorELNS0_4arch9wavefront6targetE1EEEvSH_.has_dyn_sized_stack, 0
	.set _ZN7rocprim17ROCPRIM_400000_NS6detail17trampoline_kernelINS0_14default_configENS1_38merge_sort_block_merge_config_selectorIisEEZZNS1_27merge_sort_block_merge_implIS3_N6thrust23THRUST_200600_302600_NS10device_ptrIiEENS9_IsEEjNS1_19radix_merge_compareILb0ELb1EiNS0_19identity_decomposerEEEEE10hipError_tT0_T1_T2_jT3_P12ihipStream_tbPNSt15iterator_traitsISG_E10value_typeEPNSM_ISH_E10value_typeEPSI_NS1_7vsmem_tEENKUlT_SG_SH_SI_E_clIPiSA_PsSB_EESF_SV_SG_SH_SI_EUlSV_E1_NS1_11comp_targetILNS1_3genE9ELNS1_11target_archE1100ELNS1_3gpuE3ELNS1_3repE0EEENS1_36merge_oddeven_config_static_selectorELNS0_4arch9wavefront6targetE1EEEvSH_.has_recursion, 0
	.set _ZN7rocprim17ROCPRIM_400000_NS6detail17trampoline_kernelINS0_14default_configENS1_38merge_sort_block_merge_config_selectorIisEEZZNS1_27merge_sort_block_merge_implIS3_N6thrust23THRUST_200600_302600_NS10device_ptrIiEENS9_IsEEjNS1_19radix_merge_compareILb0ELb1EiNS0_19identity_decomposerEEEEE10hipError_tT0_T1_T2_jT3_P12ihipStream_tbPNSt15iterator_traitsISG_E10value_typeEPNSM_ISH_E10value_typeEPSI_NS1_7vsmem_tEENKUlT_SG_SH_SI_E_clIPiSA_PsSB_EESF_SV_SG_SH_SI_EUlSV_E1_NS1_11comp_targetILNS1_3genE9ELNS1_11target_archE1100ELNS1_3gpuE3ELNS1_3repE0EEENS1_36merge_oddeven_config_static_selectorELNS0_4arch9wavefront6targetE1EEEvSH_.has_indirect_call, 0
	.section	.AMDGPU.csdata,"",@progbits
; Kernel info:
; codeLenInByte = 0
; TotalNumSgprs: 6
; NumVgprs: 0
; NumAgprs: 0
; TotalNumVgprs: 0
; ScratchSize: 0
; MemoryBound: 0
; FloatMode: 240
; IeeeMode: 1
; LDSByteSize: 0 bytes/workgroup (compile time only)
; SGPRBlocks: 0
; VGPRBlocks: 0
; NumSGPRsForWavesPerEU: 6
; NumVGPRsForWavesPerEU: 1
; AccumOffset: 4
; Occupancy: 8
; WaveLimiterHint : 0
; COMPUTE_PGM_RSRC2:SCRATCH_EN: 0
; COMPUTE_PGM_RSRC2:USER_SGPR: 2
; COMPUTE_PGM_RSRC2:TRAP_HANDLER: 0
; COMPUTE_PGM_RSRC2:TGID_X_EN: 1
; COMPUTE_PGM_RSRC2:TGID_Y_EN: 0
; COMPUTE_PGM_RSRC2:TGID_Z_EN: 0
; COMPUTE_PGM_RSRC2:TIDIG_COMP_CNT: 0
; COMPUTE_PGM_RSRC3_GFX90A:ACCUM_OFFSET: 0
; COMPUTE_PGM_RSRC3_GFX90A:TG_SPLIT: 0
	.section	.text._ZN7rocprim17ROCPRIM_400000_NS6detail17trampoline_kernelINS0_14default_configENS1_38merge_sort_block_merge_config_selectorIisEEZZNS1_27merge_sort_block_merge_implIS3_N6thrust23THRUST_200600_302600_NS10device_ptrIiEENS9_IsEEjNS1_19radix_merge_compareILb0ELb1EiNS0_19identity_decomposerEEEEE10hipError_tT0_T1_T2_jT3_P12ihipStream_tbPNSt15iterator_traitsISG_E10value_typeEPNSM_ISH_E10value_typeEPSI_NS1_7vsmem_tEENKUlT_SG_SH_SI_E_clIPiSA_PsSB_EESF_SV_SG_SH_SI_EUlSV_E1_NS1_11comp_targetILNS1_3genE8ELNS1_11target_archE1030ELNS1_3gpuE2ELNS1_3repE0EEENS1_36merge_oddeven_config_static_selectorELNS0_4arch9wavefront6targetE1EEEvSH_,"axG",@progbits,_ZN7rocprim17ROCPRIM_400000_NS6detail17trampoline_kernelINS0_14default_configENS1_38merge_sort_block_merge_config_selectorIisEEZZNS1_27merge_sort_block_merge_implIS3_N6thrust23THRUST_200600_302600_NS10device_ptrIiEENS9_IsEEjNS1_19radix_merge_compareILb0ELb1EiNS0_19identity_decomposerEEEEE10hipError_tT0_T1_T2_jT3_P12ihipStream_tbPNSt15iterator_traitsISG_E10value_typeEPNSM_ISH_E10value_typeEPSI_NS1_7vsmem_tEENKUlT_SG_SH_SI_E_clIPiSA_PsSB_EESF_SV_SG_SH_SI_EUlSV_E1_NS1_11comp_targetILNS1_3genE8ELNS1_11target_archE1030ELNS1_3gpuE2ELNS1_3repE0EEENS1_36merge_oddeven_config_static_selectorELNS0_4arch9wavefront6targetE1EEEvSH_,comdat
	.protected	_ZN7rocprim17ROCPRIM_400000_NS6detail17trampoline_kernelINS0_14default_configENS1_38merge_sort_block_merge_config_selectorIisEEZZNS1_27merge_sort_block_merge_implIS3_N6thrust23THRUST_200600_302600_NS10device_ptrIiEENS9_IsEEjNS1_19radix_merge_compareILb0ELb1EiNS0_19identity_decomposerEEEEE10hipError_tT0_T1_T2_jT3_P12ihipStream_tbPNSt15iterator_traitsISG_E10value_typeEPNSM_ISH_E10value_typeEPSI_NS1_7vsmem_tEENKUlT_SG_SH_SI_E_clIPiSA_PsSB_EESF_SV_SG_SH_SI_EUlSV_E1_NS1_11comp_targetILNS1_3genE8ELNS1_11target_archE1030ELNS1_3gpuE2ELNS1_3repE0EEENS1_36merge_oddeven_config_static_selectorELNS0_4arch9wavefront6targetE1EEEvSH_ ; -- Begin function _ZN7rocprim17ROCPRIM_400000_NS6detail17trampoline_kernelINS0_14default_configENS1_38merge_sort_block_merge_config_selectorIisEEZZNS1_27merge_sort_block_merge_implIS3_N6thrust23THRUST_200600_302600_NS10device_ptrIiEENS9_IsEEjNS1_19radix_merge_compareILb0ELb1EiNS0_19identity_decomposerEEEEE10hipError_tT0_T1_T2_jT3_P12ihipStream_tbPNSt15iterator_traitsISG_E10value_typeEPNSM_ISH_E10value_typeEPSI_NS1_7vsmem_tEENKUlT_SG_SH_SI_E_clIPiSA_PsSB_EESF_SV_SG_SH_SI_EUlSV_E1_NS1_11comp_targetILNS1_3genE8ELNS1_11target_archE1030ELNS1_3gpuE2ELNS1_3repE0EEENS1_36merge_oddeven_config_static_selectorELNS0_4arch9wavefront6targetE1EEEvSH_
	.globl	_ZN7rocprim17ROCPRIM_400000_NS6detail17trampoline_kernelINS0_14default_configENS1_38merge_sort_block_merge_config_selectorIisEEZZNS1_27merge_sort_block_merge_implIS3_N6thrust23THRUST_200600_302600_NS10device_ptrIiEENS9_IsEEjNS1_19radix_merge_compareILb0ELb1EiNS0_19identity_decomposerEEEEE10hipError_tT0_T1_T2_jT3_P12ihipStream_tbPNSt15iterator_traitsISG_E10value_typeEPNSM_ISH_E10value_typeEPSI_NS1_7vsmem_tEENKUlT_SG_SH_SI_E_clIPiSA_PsSB_EESF_SV_SG_SH_SI_EUlSV_E1_NS1_11comp_targetILNS1_3genE8ELNS1_11target_archE1030ELNS1_3gpuE2ELNS1_3repE0EEENS1_36merge_oddeven_config_static_selectorELNS0_4arch9wavefront6targetE1EEEvSH_
	.p2align	8
	.type	_ZN7rocprim17ROCPRIM_400000_NS6detail17trampoline_kernelINS0_14default_configENS1_38merge_sort_block_merge_config_selectorIisEEZZNS1_27merge_sort_block_merge_implIS3_N6thrust23THRUST_200600_302600_NS10device_ptrIiEENS9_IsEEjNS1_19radix_merge_compareILb0ELb1EiNS0_19identity_decomposerEEEEE10hipError_tT0_T1_T2_jT3_P12ihipStream_tbPNSt15iterator_traitsISG_E10value_typeEPNSM_ISH_E10value_typeEPSI_NS1_7vsmem_tEENKUlT_SG_SH_SI_E_clIPiSA_PsSB_EESF_SV_SG_SH_SI_EUlSV_E1_NS1_11comp_targetILNS1_3genE8ELNS1_11target_archE1030ELNS1_3gpuE2ELNS1_3repE0EEENS1_36merge_oddeven_config_static_selectorELNS0_4arch9wavefront6targetE1EEEvSH_,@function
_ZN7rocprim17ROCPRIM_400000_NS6detail17trampoline_kernelINS0_14default_configENS1_38merge_sort_block_merge_config_selectorIisEEZZNS1_27merge_sort_block_merge_implIS3_N6thrust23THRUST_200600_302600_NS10device_ptrIiEENS9_IsEEjNS1_19radix_merge_compareILb0ELb1EiNS0_19identity_decomposerEEEEE10hipError_tT0_T1_T2_jT3_P12ihipStream_tbPNSt15iterator_traitsISG_E10value_typeEPNSM_ISH_E10value_typeEPSI_NS1_7vsmem_tEENKUlT_SG_SH_SI_E_clIPiSA_PsSB_EESF_SV_SG_SH_SI_EUlSV_E1_NS1_11comp_targetILNS1_3genE8ELNS1_11target_archE1030ELNS1_3gpuE2ELNS1_3repE0EEENS1_36merge_oddeven_config_static_selectorELNS0_4arch9wavefront6targetE1EEEvSH_: ; @_ZN7rocprim17ROCPRIM_400000_NS6detail17trampoline_kernelINS0_14default_configENS1_38merge_sort_block_merge_config_selectorIisEEZZNS1_27merge_sort_block_merge_implIS3_N6thrust23THRUST_200600_302600_NS10device_ptrIiEENS9_IsEEjNS1_19radix_merge_compareILb0ELb1EiNS0_19identity_decomposerEEEEE10hipError_tT0_T1_T2_jT3_P12ihipStream_tbPNSt15iterator_traitsISG_E10value_typeEPNSM_ISH_E10value_typeEPSI_NS1_7vsmem_tEENKUlT_SG_SH_SI_E_clIPiSA_PsSB_EESF_SV_SG_SH_SI_EUlSV_E1_NS1_11comp_targetILNS1_3genE8ELNS1_11target_archE1030ELNS1_3gpuE2ELNS1_3repE0EEENS1_36merge_oddeven_config_static_selectorELNS0_4arch9wavefront6targetE1EEEvSH_
; %bb.0:
	.section	.rodata,"a",@progbits
	.p2align	6, 0x0
	.amdhsa_kernel _ZN7rocprim17ROCPRIM_400000_NS6detail17trampoline_kernelINS0_14default_configENS1_38merge_sort_block_merge_config_selectorIisEEZZNS1_27merge_sort_block_merge_implIS3_N6thrust23THRUST_200600_302600_NS10device_ptrIiEENS9_IsEEjNS1_19radix_merge_compareILb0ELb1EiNS0_19identity_decomposerEEEEE10hipError_tT0_T1_T2_jT3_P12ihipStream_tbPNSt15iterator_traitsISG_E10value_typeEPNSM_ISH_E10value_typeEPSI_NS1_7vsmem_tEENKUlT_SG_SH_SI_E_clIPiSA_PsSB_EESF_SV_SG_SH_SI_EUlSV_E1_NS1_11comp_targetILNS1_3genE8ELNS1_11target_archE1030ELNS1_3gpuE2ELNS1_3repE0EEENS1_36merge_oddeven_config_static_selectorELNS0_4arch9wavefront6targetE1EEEvSH_
		.amdhsa_group_segment_fixed_size 0
		.amdhsa_private_segment_fixed_size 0
		.amdhsa_kernarg_size 48
		.amdhsa_user_sgpr_count 2
		.amdhsa_user_sgpr_dispatch_ptr 0
		.amdhsa_user_sgpr_queue_ptr 0
		.amdhsa_user_sgpr_kernarg_segment_ptr 1
		.amdhsa_user_sgpr_dispatch_id 0
		.amdhsa_user_sgpr_kernarg_preload_length 0
		.amdhsa_user_sgpr_kernarg_preload_offset 0
		.amdhsa_user_sgpr_private_segment_size 0
		.amdhsa_uses_dynamic_stack 0
		.amdhsa_enable_private_segment 0
		.amdhsa_system_sgpr_workgroup_id_x 1
		.amdhsa_system_sgpr_workgroup_id_y 0
		.amdhsa_system_sgpr_workgroup_id_z 0
		.amdhsa_system_sgpr_workgroup_info 0
		.amdhsa_system_vgpr_workitem_id 0
		.amdhsa_next_free_vgpr 1
		.amdhsa_next_free_sgpr 0
		.amdhsa_accum_offset 4
		.amdhsa_reserve_vcc 0
		.amdhsa_float_round_mode_32 0
		.amdhsa_float_round_mode_16_64 0
		.amdhsa_float_denorm_mode_32 3
		.amdhsa_float_denorm_mode_16_64 3
		.amdhsa_dx10_clamp 1
		.amdhsa_ieee_mode 1
		.amdhsa_fp16_overflow 0
		.amdhsa_tg_split 0
		.amdhsa_exception_fp_ieee_invalid_op 0
		.amdhsa_exception_fp_denorm_src 0
		.amdhsa_exception_fp_ieee_div_zero 0
		.amdhsa_exception_fp_ieee_overflow 0
		.amdhsa_exception_fp_ieee_underflow 0
		.amdhsa_exception_fp_ieee_inexact 0
		.amdhsa_exception_int_div_zero 0
	.end_amdhsa_kernel
	.section	.text._ZN7rocprim17ROCPRIM_400000_NS6detail17trampoline_kernelINS0_14default_configENS1_38merge_sort_block_merge_config_selectorIisEEZZNS1_27merge_sort_block_merge_implIS3_N6thrust23THRUST_200600_302600_NS10device_ptrIiEENS9_IsEEjNS1_19radix_merge_compareILb0ELb1EiNS0_19identity_decomposerEEEEE10hipError_tT0_T1_T2_jT3_P12ihipStream_tbPNSt15iterator_traitsISG_E10value_typeEPNSM_ISH_E10value_typeEPSI_NS1_7vsmem_tEENKUlT_SG_SH_SI_E_clIPiSA_PsSB_EESF_SV_SG_SH_SI_EUlSV_E1_NS1_11comp_targetILNS1_3genE8ELNS1_11target_archE1030ELNS1_3gpuE2ELNS1_3repE0EEENS1_36merge_oddeven_config_static_selectorELNS0_4arch9wavefront6targetE1EEEvSH_,"axG",@progbits,_ZN7rocprim17ROCPRIM_400000_NS6detail17trampoline_kernelINS0_14default_configENS1_38merge_sort_block_merge_config_selectorIisEEZZNS1_27merge_sort_block_merge_implIS3_N6thrust23THRUST_200600_302600_NS10device_ptrIiEENS9_IsEEjNS1_19radix_merge_compareILb0ELb1EiNS0_19identity_decomposerEEEEE10hipError_tT0_T1_T2_jT3_P12ihipStream_tbPNSt15iterator_traitsISG_E10value_typeEPNSM_ISH_E10value_typeEPSI_NS1_7vsmem_tEENKUlT_SG_SH_SI_E_clIPiSA_PsSB_EESF_SV_SG_SH_SI_EUlSV_E1_NS1_11comp_targetILNS1_3genE8ELNS1_11target_archE1030ELNS1_3gpuE2ELNS1_3repE0EEENS1_36merge_oddeven_config_static_selectorELNS0_4arch9wavefront6targetE1EEEvSH_,comdat
.Lfunc_end2379:
	.size	_ZN7rocprim17ROCPRIM_400000_NS6detail17trampoline_kernelINS0_14default_configENS1_38merge_sort_block_merge_config_selectorIisEEZZNS1_27merge_sort_block_merge_implIS3_N6thrust23THRUST_200600_302600_NS10device_ptrIiEENS9_IsEEjNS1_19radix_merge_compareILb0ELb1EiNS0_19identity_decomposerEEEEE10hipError_tT0_T1_T2_jT3_P12ihipStream_tbPNSt15iterator_traitsISG_E10value_typeEPNSM_ISH_E10value_typeEPSI_NS1_7vsmem_tEENKUlT_SG_SH_SI_E_clIPiSA_PsSB_EESF_SV_SG_SH_SI_EUlSV_E1_NS1_11comp_targetILNS1_3genE8ELNS1_11target_archE1030ELNS1_3gpuE2ELNS1_3repE0EEENS1_36merge_oddeven_config_static_selectorELNS0_4arch9wavefront6targetE1EEEvSH_, .Lfunc_end2379-_ZN7rocprim17ROCPRIM_400000_NS6detail17trampoline_kernelINS0_14default_configENS1_38merge_sort_block_merge_config_selectorIisEEZZNS1_27merge_sort_block_merge_implIS3_N6thrust23THRUST_200600_302600_NS10device_ptrIiEENS9_IsEEjNS1_19radix_merge_compareILb0ELb1EiNS0_19identity_decomposerEEEEE10hipError_tT0_T1_T2_jT3_P12ihipStream_tbPNSt15iterator_traitsISG_E10value_typeEPNSM_ISH_E10value_typeEPSI_NS1_7vsmem_tEENKUlT_SG_SH_SI_E_clIPiSA_PsSB_EESF_SV_SG_SH_SI_EUlSV_E1_NS1_11comp_targetILNS1_3genE8ELNS1_11target_archE1030ELNS1_3gpuE2ELNS1_3repE0EEENS1_36merge_oddeven_config_static_selectorELNS0_4arch9wavefront6targetE1EEEvSH_
                                        ; -- End function
	.set _ZN7rocprim17ROCPRIM_400000_NS6detail17trampoline_kernelINS0_14default_configENS1_38merge_sort_block_merge_config_selectorIisEEZZNS1_27merge_sort_block_merge_implIS3_N6thrust23THRUST_200600_302600_NS10device_ptrIiEENS9_IsEEjNS1_19radix_merge_compareILb0ELb1EiNS0_19identity_decomposerEEEEE10hipError_tT0_T1_T2_jT3_P12ihipStream_tbPNSt15iterator_traitsISG_E10value_typeEPNSM_ISH_E10value_typeEPSI_NS1_7vsmem_tEENKUlT_SG_SH_SI_E_clIPiSA_PsSB_EESF_SV_SG_SH_SI_EUlSV_E1_NS1_11comp_targetILNS1_3genE8ELNS1_11target_archE1030ELNS1_3gpuE2ELNS1_3repE0EEENS1_36merge_oddeven_config_static_selectorELNS0_4arch9wavefront6targetE1EEEvSH_.num_vgpr, 0
	.set _ZN7rocprim17ROCPRIM_400000_NS6detail17trampoline_kernelINS0_14default_configENS1_38merge_sort_block_merge_config_selectorIisEEZZNS1_27merge_sort_block_merge_implIS3_N6thrust23THRUST_200600_302600_NS10device_ptrIiEENS9_IsEEjNS1_19radix_merge_compareILb0ELb1EiNS0_19identity_decomposerEEEEE10hipError_tT0_T1_T2_jT3_P12ihipStream_tbPNSt15iterator_traitsISG_E10value_typeEPNSM_ISH_E10value_typeEPSI_NS1_7vsmem_tEENKUlT_SG_SH_SI_E_clIPiSA_PsSB_EESF_SV_SG_SH_SI_EUlSV_E1_NS1_11comp_targetILNS1_3genE8ELNS1_11target_archE1030ELNS1_3gpuE2ELNS1_3repE0EEENS1_36merge_oddeven_config_static_selectorELNS0_4arch9wavefront6targetE1EEEvSH_.num_agpr, 0
	.set _ZN7rocprim17ROCPRIM_400000_NS6detail17trampoline_kernelINS0_14default_configENS1_38merge_sort_block_merge_config_selectorIisEEZZNS1_27merge_sort_block_merge_implIS3_N6thrust23THRUST_200600_302600_NS10device_ptrIiEENS9_IsEEjNS1_19radix_merge_compareILb0ELb1EiNS0_19identity_decomposerEEEEE10hipError_tT0_T1_T2_jT3_P12ihipStream_tbPNSt15iterator_traitsISG_E10value_typeEPNSM_ISH_E10value_typeEPSI_NS1_7vsmem_tEENKUlT_SG_SH_SI_E_clIPiSA_PsSB_EESF_SV_SG_SH_SI_EUlSV_E1_NS1_11comp_targetILNS1_3genE8ELNS1_11target_archE1030ELNS1_3gpuE2ELNS1_3repE0EEENS1_36merge_oddeven_config_static_selectorELNS0_4arch9wavefront6targetE1EEEvSH_.numbered_sgpr, 0
	.set _ZN7rocprim17ROCPRIM_400000_NS6detail17trampoline_kernelINS0_14default_configENS1_38merge_sort_block_merge_config_selectorIisEEZZNS1_27merge_sort_block_merge_implIS3_N6thrust23THRUST_200600_302600_NS10device_ptrIiEENS9_IsEEjNS1_19radix_merge_compareILb0ELb1EiNS0_19identity_decomposerEEEEE10hipError_tT0_T1_T2_jT3_P12ihipStream_tbPNSt15iterator_traitsISG_E10value_typeEPNSM_ISH_E10value_typeEPSI_NS1_7vsmem_tEENKUlT_SG_SH_SI_E_clIPiSA_PsSB_EESF_SV_SG_SH_SI_EUlSV_E1_NS1_11comp_targetILNS1_3genE8ELNS1_11target_archE1030ELNS1_3gpuE2ELNS1_3repE0EEENS1_36merge_oddeven_config_static_selectorELNS0_4arch9wavefront6targetE1EEEvSH_.num_named_barrier, 0
	.set _ZN7rocprim17ROCPRIM_400000_NS6detail17trampoline_kernelINS0_14default_configENS1_38merge_sort_block_merge_config_selectorIisEEZZNS1_27merge_sort_block_merge_implIS3_N6thrust23THRUST_200600_302600_NS10device_ptrIiEENS9_IsEEjNS1_19radix_merge_compareILb0ELb1EiNS0_19identity_decomposerEEEEE10hipError_tT0_T1_T2_jT3_P12ihipStream_tbPNSt15iterator_traitsISG_E10value_typeEPNSM_ISH_E10value_typeEPSI_NS1_7vsmem_tEENKUlT_SG_SH_SI_E_clIPiSA_PsSB_EESF_SV_SG_SH_SI_EUlSV_E1_NS1_11comp_targetILNS1_3genE8ELNS1_11target_archE1030ELNS1_3gpuE2ELNS1_3repE0EEENS1_36merge_oddeven_config_static_selectorELNS0_4arch9wavefront6targetE1EEEvSH_.private_seg_size, 0
	.set _ZN7rocprim17ROCPRIM_400000_NS6detail17trampoline_kernelINS0_14default_configENS1_38merge_sort_block_merge_config_selectorIisEEZZNS1_27merge_sort_block_merge_implIS3_N6thrust23THRUST_200600_302600_NS10device_ptrIiEENS9_IsEEjNS1_19radix_merge_compareILb0ELb1EiNS0_19identity_decomposerEEEEE10hipError_tT0_T1_T2_jT3_P12ihipStream_tbPNSt15iterator_traitsISG_E10value_typeEPNSM_ISH_E10value_typeEPSI_NS1_7vsmem_tEENKUlT_SG_SH_SI_E_clIPiSA_PsSB_EESF_SV_SG_SH_SI_EUlSV_E1_NS1_11comp_targetILNS1_3genE8ELNS1_11target_archE1030ELNS1_3gpuE2ELNS1_3repE0EEENS1_36merge_oddeven_config_static_selectorELNS0_4arch9wavefront6targetE1EEEvSH_.uses_vcc, 0
	.set _ZN7rocprim17ROCPRIM_400000_NS6detail17trampoline_kernelINS0_14default_configENS1_38merge_sort_block_merge_config_selectorIisEEZZNS1_27merge_sort_block_merge_implIS3_N6thrust23THRUST_200600_302600_NS10device_ptrIiEENS9_IsEEjNS1_19radix_merge_compareILb0ELb1EiNS0_19identity_decomposerEEEEE10hipError_tT0_T1_T2_jT3_P12ihipStream_tbPNSt15iterator_traitsISG_E10value_typeEPNSM_ISH_E10value_typeEPSI_NS1_7vsmem_tEENKUlT_SG_SH_SI_E_clIPiSA_PsSB_EESF_SV_SG_SH_SI_EUlSV_E1_NS1_11comp_targetILNS1_3genE8ELNS1_11target_archE1030ELNS1_3gpuE2ELNS1_3repE0EEENS1_36merge_oddeven_config_static_selectorELNS0_4arch9wavefront6targetE1EEEvSH_.uses_flat_scratch, 0
	.set _ZN7rocprim17ROCPRIM_400000_NS6detail17trampoline_kernelINS0_14default_configENS1_38merge_sort_block_merge_config_selectorIisEEZZNS1_27merge_sort_block_merge_implIS3_N6thrust23THRUST_200600_302600_NS10device_ptrIiEENS9_IsEEjNS1_19radix_merge_compareILb0ELb1EiNS0_19identity_decomposerEEEEE10hipError_tT0_T1_T2_jT3_P12ihipStream_tbPNSt15iterator_traitsISG_E10value_typeEPNSM_ISH_E10value_typeEPSI_NS1_7vsmem_tEENKUlT_SG_SH_SI_E_clIPiSA_PsSB_EESF_SV_SG_SH_SI_EUlSV_E1_NS1_11comp_targetILNS1_3genE8ELNS1_11target_archE1030ELNS1_3gpuE2ELNS1_3repE0EEENS1_36merge_oddeven_config_static_selectorELNS0_4arch9wavefront6targetE1EEEvSH_.has_dyn_sized_stack, 0
	.set _ZN7rocprim17ROCPRIM_400000_NS6detail17trampoline_kernelINS0_14default_configENS1_38merge_sort_block_merge_config_selectorIisEEZZNS1_27merge_sort_block_merge_implIS3_N6thrust23THRUST_200600_302600_NS10device_ptrIiEENS9_IsEEjNS1_19radix_merge_compareILb0ELb1EiNS0_19identity_decomposerEEEEE10hipError_tT0_T1_T2_jT3_P12ihipStream_tbPNSt15iterator_traitsISG_E10value_typeEPNSM_ISH_E10value_typeEPSI_NS1_7vsmem_tEENKUlT_SG_SH_SI_E_clIPiSA_PsSB_EESF_SV_SG_SH_SI_EUlSV_E1_NS1_11comp_targetILNS1_3genE8ELNS1_11target_archE1030ELNS1_3gpuE2ELNS1_3repE0EEENS1_36merge_oddeven_config_static_selectorELNS0_4arch9wavefront6targetE1EEEvSH_.has_recursion, 0
	.set _ZN7rocprim17ROCPRIM_400000_NS6detail17trampoline_kernelINS0_14default_configENS1_38merge_sort_block_merge_config_selectorIisEEZZNS1_27merge_sort_block_merge_implIS3_N6thrust23THRUST_200600_302600_NS10device_ptrIiEENS9_IsEEjNS1_19radix_merge_compareILb0ELb1EiNS0_19identity_decomposerEEEEE10hipError_tT0_T1_T2_jT3_P12ihipStream_tbPNSt15iterator_traitsISG_E10value_typeEPNSM_ISH_E10value_typeEPSI_NS1_7vsmem_tEENKUlT_SG_SH_SI_E_clIPiSA_PsSB_EESF_SV_SG_SH_SI_EUlSV_E1_NS1_11comp_targetILNS1_3genE8ELNS1_11target_archE1030ELNS1_3gpuE2ELNS1_3repE0EEENS1_36merge_oddeven_config_static_selectorELNS0_4arch9wavefront6targetE1EEEvSH_.has_indirect_call, 0
	.section	.AMDGPU.csdata,"",@progbits
; Kernel info:
; codeLenInByte = 0
; TotalNumSgprs: 6
; NumVgprs: 0
; NumAgprs: 0
; TotalNumVgprs: 0
; ScratchSize: 0
; MemoryBound: 0
; FloatMode: 240
; IeeeMode: 1
; LDSByteSize: 0 bytes/workgroup (compile time only)
; SGPRBlocks: 0
; VGPRBlocks: 0
; NumSGPRsForWavesPerEU: 6
; NumVGPRsForWavesPerEU: 1
; AccumOffset: 4
; Occupancy: 8
; WaveLimiterHint : 0
; COMPUTE_PGM_RSRC2:SCRATCH_EN: 0
; COMPUTE_PGM_RSRC2:USER_SGPR: 2
; COMPUTE_PGM_RSRC2:TRAP_HANDLER: 0
; COMPUTE_PGM_RSRC2:TGID_X_EN: 1
; COMPUTE_PGM_RSRC2:TGID_Y_EN: 0
; COMPUTE_PGM_RSRC2:TGID_Z_EN: 0
; COMPUTE_PGM_RSRC2:TIDIG_COMP_CNT: 0
; COMPUTE_PGM_RSRC3_GFX90A:ACCUM_OFFSET: 0
; COMPUTE_PGM_RSRC3_GFX90A:TG_SPLIT: 0
	.section	.text._ZN7rocprim17ROCPRIM_400000_NS6detail17trampoline_kernelINS0_14default_configENS1_38merge_sort_block_merge_config_selectorIisEEZZNS1_27merge_sort_block_merge_implIS3_N6thrust23THRUST_200600_302600_NS10device_ptrIiEENS9_IsEEjNS1_19radix_merge_compareILb0ELb1EiNS0_19identity_decomposerEEEEE10hipError_tT0_T1_T2_jT3_P12ihipStream_tbPNSt15iterator_traitsISG_E10value_typeEPNSM_ISH_E10value_typeEPSI_NS1_7vsmem_tEENKUlT_SG_SH_SI_E_clISA_PiSB_PsEESF_SV_SG_SH_SI_EUlSV_E_NS1_11comp_targetILNS1_3genE0ELNS1_11target_archE4294967295ELNS1_3gpuE0ELNS1_3repE0EEENS1_48merge_mergepath_partition_config_static_selectorELNS0_4arch9wavefront6targetE1EEEvSH_,"axG",@progbits,_ZN7rocprim17ROCPRIM_400000_NS6detail17trampoline_kernelINS0_14default_configENS1_38merge_sort_block_merge_config_selectorIisEEZZNS1_27merge_sort_block_merge_implIS3_N6thrust23THRUST_200600_302600_NS10device_ptrIiEENS9_IsEEjNS1_19radix_merge_compareILb0ELb1EiNS0_19identity_decomposerEEEEE10hipError_tT0_T1_T2_jT3_P12ihipStream_tbPNSt15iterator_traitsISG_E10value_typeEPNSM_ISH_E10value_typeEPSI_NS1_7vsmem_tEENKUlT_SG_SH_SI_E_clISA_PiSB_PsEESF_SV_SG_SH_SI_EUlSV_E_NS1_11comp_targetILNS1_3genE0ELNS1_11target_archE4294967295ELNS1_3gpuE0ELNS1_3repE0EEENS1_48merge_mergepath_partition_config_static_selectorELNS0_4arch9wavefront6targetE1EEEvSH_,comdat
	.protected	_ZN7rocprim17ROCPRIM_400000_NS6detail17trampoline_kernelINS0_14default_configENS1_38merge_sort_block_merge_config_selectorIisEEZZNS1_27merge_sort_block_merge_implIS3_N6thrust23THRUST_200600_302600_NS10device_ptrIiEENS9_IsEEjNS1_19radix_merge_compareILb0ELb1EiNS0_19identity_decomposerEEEEE10hipError_tT0_T1_T2_jT3_P12ihipStream_tbPNSt15iterator_traitsISG_E10value_typeEPNSM_ISH_E10value_typeEPSI_NS1_7vsmem_tEENKUlT_SG_SH_SI_E_clISA_PiSB_PsEESF_SV_SG_SH_SI_EUlSV_E_NS1_11comp_targetILNS1_3genE0ELNS1_11target_archE4294967295ELNS1_3gpuE0ELNS1_3repE0EEENS1_48merge_mergepath_partition_config_static_selectorELNS0_4arch9wavefront6targetE1EEEvSH_ ; -- Begin function _ZN7rocprim17ROCPRIM_400000_NS6detail17trampoline_kernelINS0_14default_configENS1_38merge_sort_block_merge_config_selectorIisEEZZNS1_27merge_sort_block_merge_implIS3_N6thrust23THRUST_200600_302600_NS10device_ptrIiEENS9_IsEEjNS1_19radix_merge_compareILb0ELb1EiNS0_19identity_decomposerEEEEE10hipError_tT0_T1_T2_jT3_P12ihipStream_tbPNSt15iterator_traitsISG_E10value_typeEPNSM_ISH_E10value_typeEPSI_NS1_7vsmem_tEENKUlT_SG_SH_SI_E_clISA_PiSB_PsEESF_SV_SG_SH_SI_EUlSV_E_NS1_11comp_targetILNS1_3genE0ELNS1_11target_archE4294967295ELNS1_3gpuE0ELNS1_3repE0EEENS1_48merge_mergepath_partition_config_static_selectorELNS0_4arch9wavefront6targetE1EEEvSH_
	.globl	_ZN7rocprim17ROCPRIM_400000_NS6detail17trampoline_kernelINS0_14default_configENS1_38merge_sort_block_merge_config_selectorIisEEZZNS1_27merge_sort_block_merge_implIS3_N6thrust23THRUST_200600_302600_NS10device_ptrIiEENS9_IsEEjNS1_19radix_merge_compareILb0ELb1EiNS0_19identity_decomposerEEEEE10hipError_tT0_T1_T2_jT3_P12ihipStream_tbPNSt15iterator_traitsISG_E10value_typeEPNSM_ISH_E10value_typeEPSI_NS1_7vsmem_tEENKUlT_SG_SH_SI_E_clISA_PiSB_PsEESF_SV_SG_SH_SI_EUlSV_E_NS1_11comp_targetILNS1_3genE0ELNS1_11target_archE4294967295ELNS1_3gpuE0ELNS1_3repE0EEENS1_48merge_mergepath_partition_config_static_selectorELNS0_4arch9wavefront6targetE1EEEvSH_
	.p2align	8
	.type	_ZN7rocprim17ROCPRIM_400000_NS6detail17trampoline_kernelINS0_14default_configENS1_38merge_sort_block_merge_config_selectorIisEEZZNS1_27merge_sort_block_merge_implIS3_N6thrust23THRUST_200600_302600_NS10device_ptrIiEENS9_IsEEjNS1_19radix_merge_compareILb0ELb1EiNS0_19identity_decomposerEEEEE10hipError_tT0_T1_T2_jT3_P12ihipStream_tbPNSt15iterator_traitsISG_E10value_typeEPNSM_ISH_E10value_typeEPSI_NS1_7vsmem_tEENKUlT_SG_SH_SI_E_clISA_PiSB_PsEESF_SV_SG_SH_SI_EUlSV_E_NS1_11comp_targetILNS1_3genE0ELNS1_11target_archE4294967295ELNS1_3gpuE0ELNS1_3repE0EEENS1_48merge_mergepath_partition_config_static_selectorELNS0_4arch9wavefront6targetE1EEEvSH_,@function
_ZN7rocprim17ROCPRIM_400000_NS6detail17trampoline_kernelINS0_14default_configENS1_38merge_sort_block_merge_config_selectorIisEEZZNS1_27merge_sort_block_merge_implIS3_N6thrust23THRUST_200600_302600_NS10device_ptrIiEENS9_IsEEjNS1_19radix_merge_compareILb0ELb1EiNS0_19identity_decomposerEEEEE10hipError_tT0_T1_T2_jT3_P12ihipStream_tbPNSt15iterator_traitsISG_E10value_typeEPNSM_ISH_E10value_typeEPSI_NS1_7vsmem_tEENKUlT_SG_SH_SI_E_clISA_PiSB_PsEESF_SV_SG_SH_SI_EUlSV_E_NS1_11comp_targetILNS1_3genE0ELNS1_11target_archE4294967295ELNS1_3gpuE0ELNS1_3repE0EEENS1_48merge_mergepath_partition_config_static_selectorELNS0_4arch9wavefront6targetE1EEEvSH_: ; @_ZN7rocprim17ROCPRIM_400000_NS6detail17trampoline_kernelINS0_14default_configENS1_38merge_sort_block_merge_config_selectorIisEEZZNS1_27merge_sort_block_merge_implIS3_N6thrust23THRUST_200600_302600_NS10device_ptrIiEENS9_IsEEjNS1_19radix_merge_compareILb0ELb1EiNS0_19identity_decomposerEEEEE10hipError_tT0_T1_T2_jT3_P12ihipStream_tbPNSt15iterator_traitsISG_E10value_typeEPNSM_ISH_E10value_typeEPSI_NS1_7vsmem_tEENKUlT_SG_SH_SI_E_clISA_PiSB_PsEESF_SV_SG_SH_SI_EUlSV_E_NS1_11comp_targetILNS1_3genE0ELNS1_11target_archE4294967295ELNS1_3gpuE0ELNS1_3repE0EEENS1_48merge_mergepath_partition_config_static_selectorELNS0_4arch9wavefront6targetE1EEEvSH_
; %bb.0:
	s_load_dword s3, s[0:1], 0x0
	v_lshl_or_b32 v0, s2, 7, v0
	s_waitcnt lgkmcnt(0)
	v_cmp_gt_u32_e32 vcc, s3, v0
	s_and_saveexec_b64 s[2:3], vcc
	s_cbranch_execz .LBB2380_6
; %bb.1:
	s_load_dwordx2 s[4:5], s[0:1], 0x4
	s_load_dwordx2 s[2:3], s[0:1], 0x20
	s_waitcnt lgkmcnt(0)
	s_lshr_b32 s6, s4, 9
	s_and_b32 s6, s6, 0x7ffffe
	s_add_i32 s7, s6, -1
	s_sub_i32 s6, 0, s6
	v_and_b32_e32 v1, s6, v0
	v_lshlrev_b32_e32 v1, 10, v1
	v_min_u32_e32 v2, s5, v1
	v_add_u32_e32 v1, s4, v1
	v_min_u32_e32 v4, s5, v1
	v_add_u32_e32 v1, s4, v4
	v_and_b32_e32 v3, s7, v0
	v_min_u32_e32 v1, s5, v1
	v_sub_u32_e32 v5, v1, v2
	v_lshlrev_b32_e32 v3, 10, v3
	v_min_u32_e32 v10, v5, v3
	v_sub_u32_e32 v3, v4, v2
	v_sub_u32_e32 v1, v1, v4
	v_sub_u32_e64 v1, v10, v1 clamp
	v_min_u32_e32 v11, v10, v3
	v_cmp_lt_u32_e32 vcc, v1, v11
	s_and_saveexec_b64 s[4:5], vcc
	s_cbranch_execz .LBB2380_5
; %bb.2:
	s_load_dwordx2 s[8:9], s[0:1], 0x10
	s_load_dword s6, s[0:1], 0x18
	v_mov_b32_e32 v5, 0
	v_mov_b32_e32 v3, v5
	s_mov_b64 s[0:1], 0
	s_waitcnt lgkmcnt(0)
	v_lshl_add_u64 v[6:7], v[2:3], 2, s[8:9]
	v_lshl_add_u64 v[8:9], v[4:5], 2, s[8:9]
.LBB2380_3:                             ; =>This Inner Loop Header: Depth=1
	v_add_u32_e32 v3, v11, v1
	v_lshrrev_b32_e32 v4, 1, v3
	v_mov_b32_e32 v13, v5
	v_xad_u32 v12, v4, -1, v10
	v_lshl_add_u64 v[14:15], v[4:5], 2, v[6:7]
	v_lshl_add_u64 v[12:13], v[12:13], 2, v[8:9]
	flat_load_dword v3, v[14:15]
	flat_load_dword v16, v[12:13]
	v_add_u32_e32 v12, 1, v4
	s_waitcnt vmcnt(0) lgkmcnt(0)
	v_and_b32_e32 v3, s6, v3
	v_and_b32_e32 v13, s6, v16
	v_cmp_gt_i32_e32 vcc, v3, v13
	s_nop 1
	v_cndmask_b32_e32 v11, v11, v4, vcc
	v_cndmask_b32_e32 v1, v12, v1, vcc
	v_cmp_ge_u32_e32 vcc, v1, v11
	s_or_b64 s[0:1], vcc, s[0:1]
	s_andn2_b64 exec, exec, s[0:1]
	s_cbranch_execnz .LBB2380_3
; %bb.4:
	s_or_b64 exec, exec, s[0:1]
.LBB2380_5:
	s_or_b64 exec, exec, s[4:5]
	v_add_u32_e32 v2, v1, v2
	v_mov_b32_e32 v1, 0
	v_lshl_add_u64 v[0:1], v[0:1], 2, s[2:3]
	global_store_dword v[0:1], v2, off
.LBB2380_6:
	s_endpgm
	.section	.rodata,"a",@progbits
	.p2align	6, 0x0
	.amdhsa_kernel _ZN7rocprim17ROCPRIM_400000_NS6detail17trampoline_kernelINS0_14default_configENS1_38merge_sort_block_merge_config_selectorIisEEZZNS1_27merge_sort_block_merge_implIS3_N6thrust23THRUST_200600_302600_NS10device_ptrIiEENS9_IsEEjNS1_19radix_merge_compareILb0ELb1EiNS0_19identity_decomposerEEEEE10hipError_tT0_T1_T2_jT3_P12ihipStream_tbPNSt15iterator_traitsISG_E10value_typeEPNSM_ISH_E10value_typeEPSI_NS1_7vsmem_tEENKUlT_SG_SH_SI_E_clISA_PiSB_PsEESF_SV_SG_SH_SI_EUlSV_E_NS1_11comp_targetILNS1_3genE0ELNS1_11target_archE4294967295ELNS1_3gpuE0ELNS1_3repE0EEENS1_48merge_mergepath_partition_config_static_selectorELNS0_4arch9wavefront6targetE1EEEvSH_
		.amdhsa_group_segment_fixed_size 0
		.amdhsa_private_segment_fixed_size 0
		.amdhsa_kernarg_size 40
		.amdhsa_user_sgpr_count 2
		.amdhsa_user_sgpr_dispatch_ptr 0
		.amdhsa_user_sgpr_queue_ptr 0
		.amdhsa_user_sgpr_kernarg_segment_ptr 1
		.amdhsa_user_sgpr_dispatch_id 0
		.amdhsa_user_sgpr_kernarg_preload_length 0
		.amdhsa_user_sgpr_kernarg_preload_offset 0
		.amdhsa_user_sgpr_private_segment_size 0
		.amdhsa_uses_dynamic_stack 0
		.amdhsa_enable_private_segment 0
		.amdhsa_system_sgpr_workgroup_id_x 1
		.amdhsa_system_sgpr_workgroup_id_y 0
		.amdhsa_system_sgpr_workgroup_id_z 0
		.amdhsa_system_sgpr_workgroup_info 0
		.amdhsa_system_vgpr_workitem_id 0
		.amdhsa_next_free_vgpr 17
		.amdhsa_next_free_sgpr 10
		.amdhsa_accum_offset 20
		.amdhsa_reserve_vcc 1
		.amdhsa_float_round_mode_32 0
		.amdhsa_float_round_mode_16_64 0
		.amdhsa_float_denorm_mode_32 3
		.amdhsa_float_denorm_mode_16_64 3
		.amdhsa_dx10_clamp 1
		.amdhsa_ieee_mode 1
		.amdhsa_fp16_overflow 0
		.amdhsa_tg_split 0
		.amdhsa_exception_fp_ieee_invalid_op 0
		.amdhsa_exception_fp_denorm_src 0
		.amdhsa_exception_fp_ieee_div_zero 0
		.amdhsa_exception_fp_ieee_overflow 0
		.amdhsa_exception_fp_ieee_underflow 0
		.amdhsa_exception_fp_ieee_inexact 0
		.amdhsa_exception_int_div_zero 0
	.end_amdhsa_kernel
	.section	.text._ZN7rocprim17ROCPRIM_400000_NS6detail17trampoline_kernelINS0_14default_configENS1_38merge_sort_block_merge_config_selectorIisEEZZNS1_27merge_sort_block_merge_implIS3_N6thrust23THRUST_200600_302600_NS10device_ptrIiEENS9_IsEEjNS1_19radix_merge_compareILb0ELb1EiNS0_19identity_decomposerEEEEE10hipError_tT0_T1_T2_jT3_P12ihipStream_tbPNSt15iterator_traitsISG_E10value_typeEPNSM_ISH_E10value_typeEPSI_NS1_7vsmem_tEENKUlT_SG_SH_SI_E_clISA_PiSB_PsEESF_SV_SG_SH_SI_EUlSV_E_NS1_11comp_targetILNS1_3genE0ELNS1_11target_archE4294967295ELNS1_3gpuE0ELNS1_3repE0EEENS1_48merge_mergepath_partition_config_static_selectorELNS0_4arch9wavefront6targetE1EEEvSH_,"axG",@progbits,_ZN7rocprim17ROCPRIM_400000_NS6detail17trampoline_kernelINS0_14default_configENS1_38merge_sort_block_merge_config_selectorIisEEZZNS1_27merge_sort_block_merge_implIS3_N6thrust23THRUST_200600_302600_NS10device_ptrIiEENS9_IsEEjNS1_19radix_merge_compareILb0ELb1EiNS0_19identity_decomposerEEEEE10hipError_tT0_T1_T2_jT3_P12ihipStream_tbPNSt15iterator_traitsISG_E10value_typeEPNSM_ISH_E10value_typeEPSI_NS1_7vsmem_tEENKUlT_SG_SH_SI_E_clISA_PiSB_PsEESF_SV_SG_SH_SI_EUlSV_E_NS1_11comp_targetILNS1_3genE0ELNS1_11target_archE4294967295ELNS1_3gpuE0ELNS1_3repE0EEENS1_48merge_mergepath_partition_config_static_selectorELNS0_4arch9wavefront6targetE1EEEvSH_,comdat
.Lfunc_end2380:
	.size	_ZN7rocprim17ROCPRIM_400000_NS6detail17trampoline_kernelINS0_14default_configENS1_38merge_sort_block_merge_config_selectorIisEEZZNS1_27merge_sort_block_merge_implIS3_N6thrust23THRUST_200600_302600_NS10device_ptrIiEENS9_IsEEjNS1_19radix_merge_compareILb0ELb1EiNS0_19identity_decomposerEEEEE10hipError_tT0_T1_T2_jT3_P12ihipStream_tbPNSt15iterator_traitsISG_E10value_typeEPNSM_ISH_E10value_typeEPSI_NS1_7vsmem_tEENKUlT_SG_SH_SI_E_clISA_PiSB_PsEESF_SV_SG_SH_SI_EUlSV_E_NS1_11comp_targetILNS1_3genE0ELNS1_11target_archE4294967295ELNS1_3gpuE0ELNS1_3repE0EEENS1_48merge_mergepath_partition_config_static_selectorELNS0_4arch9wavefront6targetE1EEEvSH_, .Lfunc_end2380-_ZN7rocprim17ROCPRIM_400000_NS6detail17trampoline_kernelINS0_14default_configENS1_38merge_sort_block_merge_config_selectorIisEEZZNS1_27merge_sort_block_merge_implIS3_N6thrust23THRUST_200600_302600_NS10device_ptrIiEENS9_IsEEjNS1_19radix_merge_compareILb0ELb1EiNS0_19identity_decomposerEEEEE10hipError_tT0_T1_T2_jT3_P12ihipStream_tbPNSt15iterator_traitsISG_E10value_typeEPNSM_ISH_E10value_typeEPSI_NS1_7vsmem_tEENKUlT_SG_SH_SI_E_clISA_PiSB_PsEESF_SV_SG_SH_SI_EUlSV_E_NS1_11comp_targetILNS1_3genE0ELNS1_11target_archE4294967295ELNS1_3gpuE0ELNS1_3repE0EEENS1_48merge_mergepath_partition_config_static_selectorELNS0_4arch9wavefront6targetE1EEEvSH_
                                        ; -- End function
	.set _ZN7rocprim17ROCPRIM_400000_NS6detail17trampoline_kernelINS0_14default_configENS1_38merge_sort_block_merge_config_selectorIisEEZZNS1_27merge_sort_block_merge_implIS3_N6thrust23THRUST_200600_302600_NS10device_ptrIiEENS9_IsEEjNS1_19radix_merge_compareILb0ELb1EiNS0_19identity_decomposerEEEEE10hipError_tT0_T1_T2_jT3_P12ihipStream_tbPNSt15iterator_traitsISG_E10value_typeEPNSM_ISH_E10value_typeEPSI_NS1_7vsmem_tEENKUlT_SG_SH_SI_E_clISA_PiSB_PsEESF_SV_SG_SH_SI_EUlSV_E_NS1_11comp_targetILNS1_3genE0ELNS1_11target_archE4294967295ELNS1_3gpuE0ELNS1_3repE0EEENS1_48merge_mergepath_partition_config_static_selectorELNS0_4arch9wavefront6targetE1EEEvSH_.num_vgpr, 17
	.set _ZN7rocprim17ROCPRIM_400000_NS6detail17trampoline_kernelINS0_14default_configENS1_38merge_sort_block_merge_config_selectorIisEEZZNS1_27merge_sort_block_merge_implIS3_N6thrust23THRUST_200600_302600_NS10device_ptrIiEENS9_IsEEjNS1_19radix_merge_compareILb0ELb1EiNS0_19identity_decomposerEEEEE10hipError_tT0_T1_T2_jT3_P12ihipStream_tbPNSt15iterator_traitsISG_E10value_typeEPNSM_ISH_E10value_typeEPSI_NS1_7vsmem_tEENKUlT_SG_SH_SI_E_clISA_PiSB_PsEESF_SV_SG_SH_SI_EUlSV_E_NS1_11comp_targetILNS1_3genE0ELNS1_11target_archE4294967295ELNS1_3gpuE0ELNS1_3repE0EEENS1_48merge_mergepath_partition_config_static_selectorELNS0_4arch9wavefront6targetE1EEEvSH_.num_agpr, 0
	.set _ZN7rocprim17ROCPRIM_400000_NS6detail17trampoline_kernelINS0_14default_configENS1_38merge_sort_block_merge_config_selectorIisEEZZNS1_27merge_sort_block_merge_implIS3_N6thrust23THRUST_200600_302600_NS10device_ptrIiEENS9_IsEEjNS1_19radix_merge_compareILb0ELb1EiNS0_19identity_decomposerEEEEE10hipError_tT0_T1_T2_jT3_P12ihipStream_tbPNSt15iterator_traitsISG_E10value_typeEPNSM_ISH_E10value_typeEPSI_NS1_7vsmem_tEENKUlT_SG_SH_SI_E_clISA_PiSB_PsEESF_SV_SG_SH_SI_EUlSV_E_NS1_11comp_targetILNS1_3genE0ELNS1_11target_archE4294967295ELNS1_3gpuE0ELNS1_3repE0EEENS1_48merge_mergepath_partition_config_static_selectorELNS0_4arch9wavefront6targetE1EEEvSH_.numbered_sgpr, 10
	.set _ZN7rocprim17ROCPRIM_400000_NS6detail17trampoline_kernelINS0_14default_configENS1_38merge_sort_block_merge_config_selectorIisEEZZNS1_27merge_sort_block_merge_implIS3_N6thrust23THRUST_200600_302600_NS10device_ptrIiEENS9_IsEEjNS1_19radix_merge_compareILb0ELb1EiNS0_19identity_decomposerEEEEE10hipError_tT0_T1_T2_jT3_P12ihipStream_tbPNSt15iterator_traitsISG_E10value_typeEPNSM_ISH_E10value_typeEPSI_NS1_7vsmem_tEENKUlT_SG_SH_SI_E_clISA_PiSB_PsEESF_SV_SG_SH_SI_EUlSV_E_NS1_11comp_targetILNS1_3genE0ELNS1_11target_archE4294967295ELNS1_3gpuE0ELNS1_3repE0EEENS1_48merge_mergepath_partition_config_static_selectorELNS0_4arch9wavefront6targetE1EEEvSH_.num_named_barrier, 0
	.set _ZN7rocprim17ROCPRIM_400000_NS6detail17trampoline_kernelINS0_14default_configENS1_38merge_sort_block_merge_config_selectorIisEEZZNS1_27merge_sort_block_merge_implIS3_N6thrust23THRUST_200600_302600_NS10device_ptrIiEENS9_IsEEjNS1_19radix_merge_compareILb0ELb1EiNS0_19identity_decomposerEEEEE10hipError_tT0_T1_T2_jT3_P12ihipStream_tbPNSt15iterator_traitsISG_E10value_typeEPNSM_ISH_E10value_typeEPSI_NS1_7vsmem_tEENKUlT_SG_SH_SI_E_clISA_PiSB_PsEESF_SV_SG_SH_SI_EUlSV_E_NS1_11comp_targetILNS1_3genE0ELNS1_11target_archE4294967295ELNS1_3gpuE0ELNS1_3repE0EEENS1_48merge_mergepath_partition_config_static_selectorELNS0_4arch9wavefront6targetE1EEEvSH_.private_seg_size, 0
	.set _ZN7rocprim17ROCPRIM_400000_NS6detail17trampoline_kernelINS0_14default_configENS1_38merge_sort_block_merge_config_selectorIisEEZZNS1_27merge_sort_block_merge_implIS3_N6thrust23THRUST_200600_302600_NS10device_ptrIiEENS9_IsEEjNS1_19radix_merge_compareILb0ELb1EiNS0_19identity_decomposerEEEEE10hipError_tT0_T1_T2_jT3_P12ihipStream_tbPNSt15iterator_traitsISG_E10value_typeEPNSM_ISH_E10value_typeEPSI_NS1_7vsmem_tEENKUlT_SG_SH_SI_E_clISA_PiSB_PsEESF_SV_SG_SH_SI_EUlSV_E_NS1_11comp_targetILNS1_3genE0ELNS1_11target_archE4294967295ELNS1_3gpuE0ELNS1_3repE0EEENS1_48merge_mergepath_partition_config_static_selectorELNS0_4arch9wavefront6targetE1EEEvSH_.uses_vcc, 1
	.set _ZN7rocprim17ROCPRIM_400000_NS6detail17trampoline_kernelINS0_14default_configENS1_38merge_sort_block_merge_config_selectorIisEEZZNS1_27merge_sort_block_merge_implIS3_N6thrust23THRUST_200600_302600_NS10device_ptrIiEENS9_IsEEjNS1_19radix_merge_compareILb0ELb1EiNS0_19identity_decomposerEEEEE10hipError_tT0_T1_T2_jT3_P12ihipStream_tbPNSt15iterator_traitsISG_E10value_typeEPNSM_ISH_E10value_typeEPSI_NS1_7vsmem_tEENKUlT_SG_SH_SI_E_clISA_PiSB_PsEESF_SV_SG_SH_SI_EUlSV_E_NS1_11comp_targetILNS1_3genE0ELNS1_11target_archE4294967295ELNS1_3gpuE0ELNS1_3repE0EEENS1_48merge_mergepath_partition_config_static_selectorELNS0_4arch9wavefront6targetE1EEEvSH_.uses_flat_scratch, 0
	.set _ZN7rocprim17ROCPRIM_400000_NS6detail17trampoline_kernelINS0_14default_configENS1_38merge_sort_block_merge_config_selectorIisEEZZNS1_27merge_sort_block_merge_implIS3_N6thrust23THRUST_200600_302600_NS10device_ptrIiEENS9_IsEEjNS1_19radix_merge_compareILb0ELb1EiNS0_19identity_decomposerEEEEE10hipError_tT0_T1_T2_jT3_P12ihipStream_tbPNSt15iterator_traitsISG_E10value_typeEPNSM_ISH_E10value_typeEPSI_NS1_7vsmem_tEENKUlT_SG_SH_SI_E_clISA_PiSB_PsEESF_SV_SG_SH_SI_EUlSV_E_NS1_11comp_targetILNS1_3genE0ELNS1_11target_archE4294967295ELNS1_3gpuE0ELNS1_3repE0EEENS1_48merge_mergepath_partition_config_static_selectorELNS0_4arch9wavefront6targetE1EEEvSH_.has_dyn_sized_stack, 0
	.set _ZN7rocprim17ROCPRIM_400000_NS6detail17trampoline_kernelINS0_14default_configENS1_38merge_sort_block_merge_config_selectorIisEEZZNS1_27merge_sort_block_merge_implIS3_N6thrust23THRUST_200600_302600_NS10device_ptrIiEENS9_IsEEjNS1_19radix_merge_compareILb0ELb1EiNS0_19identity_decomposerEEEEE10hipError_tT0_T1_T2_jT3_P12ihipStream_tbPNSt15iterator_traitsISG_E10value_typeEPNSM_ISH_E10value_typeEPSI_NS1_7vsmem_tEENKUlT_SG_SH_SI_E_clISA_PiSB_PsEESF_SV_SG_SH_SI_EUlSV_E_NS1_11comp_targetILNS1_3genE0ELNS1_11target_archE4294967295ELNS1_3gpuE0ELNS1_3repE0EEENS1_48merge_mergepath_partition_config_static_selectorELNS0_4arch9wavefront6targetE1EEEvSH_.has_recursion, 0
	.set _ZN7rocprim17ROCPRIM_400000_NS6detail17trampoline_kernelINS0_14default_configENS1_38merge_sort_block_merge_config_selectorIisEEZZNS1_27merge_sort_block_merge_implIS3_N6thrust23THRUST_200600_302600_NS10device_ptrIiEENS9_IsEEjNS1_19radix_merge_compareILb0ELb1EiNS0_19identity_decomposerEEEEE10hipError_tT0_T1_T2_jT3_P12ihipStream_tbPNSt15iterator_traitsISG_E10value_typeEPNSM_ISH_E10value_typeEPSI_NS1_7vsmem_tEENKUlT_SG_SH_SI_E_clISA_PiSB_PsEESF_SV_SG_SH_SI_EUlSV_E_NS1_11comp_targetILNS1_3genE0ELNS1_11target_archE4294967295ELNS1_3gpuE0ELNS1_3repE0EEENS1_48merge_mergepath_partition_config_static_selectorELNS0_4arch9wavefront6targetE1EEEvSH_.has_indirect_call, 0
	.section	.AMDGPU.csdata,"",@progbits
; Kernel info:
; codeLenInByte = 332
; TotalNumSgprs: 16
; NumVgprs: 17
; NumAgprs: 0
; TotalNumVgprs: 17
; ScratchSize: 0
; MemoryBound: 0
; FloatMode: 240
; IeeeMode: 1
; LDSByteSize: 0 bytes/workgroup (compile time only)
; SGPRBlocks: 1
; VGPRBlocks: 2
; NumSGPRsForWavesPerEU: 16
; NumVGPRsForWavesPerEU: 17
; AccumOffset: 20
; Occupancy: 8
; WaveLimiterHint : 0
; COMPUTE_PGM_RSRC2:SCRATCH_EN: 0
; COMPUTE_PGM_RSRC2:USER_SGPR: 2
; COMPUTE_PGM_RSRC2:TRAP_HANDLER: 0
; COMPUTE_PGM_RSRC2:TGID_X_EN: 1
; COMPUTE_PGM_RSRC2:TGID_Y_EN: 0
; COMPUTE_PGM_RSRC2:TGID_Z_EN: 0
; COMPUTE_PGM_RSRC2:TIDIG_COMP_CNT: 0
; COMPUTE_PGM_RSRC3_GFX90A:ACCUM_OFFSET: 4
; COMPUTE_PGM_RSRC3_GFX90A:TG_SPLIT: 0
	.section	.text._ZN7rocprim17ROCPRIM_400000_NS6detail17trampoline_kernelINS0_14default_configENS1_38merge_sort_block_merge_config_selectorIisEEZZNS1_27merge_sort_block_merge_implIS3_N6thrust23THRUST_200600_302600_NS10device_ptrIiEENS9_IsEEjNS1_19radix_merge_compareILb0ELb1EiNS0_19identity_decomposerEEEEE10hipError_tT0_T1_T2_jT3_P12ihipStream_tbPNSt15iterator_traitsISG_E10value_typeEPNSM_ISH_E10value_typeEPSI_NS1_7vsmem_tEENKUlT_SG_SH_SI_E_clISA_PiSB_PsEESF_SV_SG_SH_SI_EUlSV_E_NS1_11comp_targetILNS1_3genE10ELNS1_11target_archE1201ELNS1_3gpuE5ELNS1_3repE0EEENS1_48merge_mergepath_partition_config_static_selectorELNS0_4arch9wavefront6targetE1EEEvSH_,"axG",@progbits,_ZN7rocprim17ROCPRIM_400000_NS6detail17trampoline_kernelINS0_14default_configENS1_38merge_sort_block_merge_config_selectorIisEEZZNS1_27merge_sort_block_merge_implIS3_N6thrust23THRUST_200600_302600_NS10device_ptrIiEENS9_IsEEjNS1_19radix_merge_compareILb0ELb1EiNS0_19identity_decomposerEEEEE10hipError_tT0_T1_T2_jT3_P12ihipStream_tbPNSt15iterator_traitsISG_E10value_typeEPNSM_ISH_E10value_typeEPSI_NS1_7vsmem_tEENKUlT_SG_SH_SI_E_clISA_PiSB_PsEESF_SV_SG_SH_SI_EUlSV_E_NS1_11comp_targetILNS1_3genE10ELNS1_11target_archE1201ELNS1_3gpuE5ELNS1_3repE0EEENS1_48merge_mergepath_partition_config_static_selectorELNS0_4arch9wavefront6targetE1EEEvSH_,comdat
	.protected	_ZN7rocprim17ROCPRIM_400000_NS6detail17trampoline_kernelINS0_14default_configENS1_38merge_sort_block_merge_config_selectorIisEEZZNS1_27merge_sort_block_merge_implIS3_N6thrust23THRUST_200600_302600_NS10device_ptrIiEENS9_IsEEjNS1_19radix_merge_compareILb0ELb1EiNS0_19identity_decomposerEEEEE10hipError_tT0_T1_T2_jT3_P12ihipStream_tbPNSt15iterator_traitsISG_E10value_typeEPNSM_ISH_E10value_typeEPSI_NS1_7vsmem_tEENKUlT_SG_SH_SI_E_clISA_PiSB_PsEESF_SV_SG_SH_SI_EUlSV_E_NS1_11comp_targetILNS1_3genE10ELNS1_11target_archE1201ELNS1_3gpuE5ELNS1_3repE0EEENS1_48merge_mergepath_partition_config_static_selectorELNS0_4arch9wavefront6targetE1EEEvSH_ ; -- Begin function _ZN7rocprim17ROCPRIM_400000_NS6detail17trampoline_kernelINS0_14default_configENS1_38merge_sort_block_merge_config_selectorIisEEZZNS1_27merge_sort_block_merge_implIS3_N6thrust23THRUST_200600_302600_NS10device_ptrIiEENS9_IsEEjNS1_19radix_merge_compareILb0ELb1EiNS0_19identity_decomposerEEEEE10hipError_tT0_T1_T2_jT3_P12ihipStream_tbPNSt15iterator_traitsISG_E10value_typeEPNSM_ISH_E10value_typeEPSI_NS1_7vsmem_tEENKUlT_SG_SH_SI_E_clISA_PiSB_PsEESF_SV_SG_SH_SI_EUlSV_E_NS1_11comp_targetILNS1_3genE10ELNS1_11target_archE1201ELNS1_3gpuE5ELNS1_3repE0EEENS1_48merge_mergepath_partition_config_static_selectorELNS0_4arch9wavefront6targetE1EEEvSH_
	.globl	_ZN7rocprim17ROCPRIM_400000_NS6detail17trampoline_kernelINS0_14default_configENS1_38merge_sort_block_merge_config_selectorIisEEZZNS1_27merge_sort_block_merge_implIS3_N6thrust23THRUST_200600_302600_NS10device_ptrIiEENS9_IsEEjNS1_19radix_merge_compareILb0ELb1EiNS0_19identity_decomposerEEEEE10hipError_tT0_T1_T2_jT3_P12ihipStream_tbPNSt15iterator_traitsISG_E10value_typeEPNSM_ISH_E10value_typeEPSI_NS1_7vsmem_tEENKUlT_SG_SH_SI_E_clISA_PiSB_PsEESF_SV_SG_SH_SI_EUlSV_E_NS1_11comp_targetILNS1_3genE10ELNS1_11target_archE1201ELNS1_3gpuE5ELNS1_3repE0EEENS1_48merge_mergepath_partition_config_static_selectorELNS0_4arch9wavefront6targetE1EEEvSH_
	.p2align	8
	.type	_ZN7rocprim17ROCPRIM_400000_NS6detail17trampoline_kernelINS0_14default_configENS1_38merge_sort_block_merge_config_selectorIisEEZZNS1_27merge_sort_block_merge_implIS3_N6thrust23THRUST_200600_302600_NS10device_ptrIiEENS9_IsEEjNS1_19radix_merge_compareILb0ELb1EiNS0_19identity_decomposerEEEEE10hipError_tT0_T1_T2_jT3_P12ihipStream_tbPNSt15iterator_traitsISG_E10value_typeEPNSM_ISH_E10value_typeEPSI_NS1_7vsmem_tEENKUlT_SG_SH_SI_E_clISA_PiSB_PsEESF_SV_SG_SH_SI_EUlSV_E_NS1_11comp_targetILNS1_3genE10ELNS1_11target_archE1201ELNS1_3gpuE5ELNS1_3repE0EEENS1_48merge_mergepath_partition_config_static_selectorELNS0_4arch9wavefront6targetE1EEEvSH_,@function
_ZN7rocprim17ROCPRIM_400000_NS6detail17trampoline_kernelINS0_14default_configENS1_38merge_sort_block_merge_config_selectorIisEEZZNS1_27merge_sort_block_merge_implIS3_N6thrust23THRUST_200600_302600_NS10device_ptrIiEENS9_IsEEjNS1_19radix_merge_compareILb0ELb1EiNS0_19identity_decomposerEEEEE10hipError_tT0_T1_T2_jT3_P12ihipStream_tbPNSt15iterator_traitsISG_E10value_typeEPNSM_ISH_E10value_typeEPSI_NS1_7vsmem_tEENKUlT_SG_SH_SI_E_clISA_PiSB_PsEESF_SV_SG_SH_SI_EUlSV_E_NS1_11comp_targetILNS1_3genE10ELNS1_11target_archE1201ELNS1_3gpuE5ELNS1_3repE0EEENS1_48merge_mergepath_partition_config_static_selectorELNS0_4arch9wavefront6targetE1EEEvSH_: ; @_ZN7rocprim17ROCPRIM_400000_NS6detail17trampoline_kernelINS0_14default_configENS1_38merge_sort_block_merge_config_selectorIisEEZZNS1_27merge_sort_block_merge_implIS3_N6thrust23THRUST_200600_302600_NS10device_ptrIiEENS9_IsEEjNS1_19radix_merge_compareILb0ELb1EiNS0_19identity_decomposerEEEEE10hipError_tT0_T1_T2_jT3_P12ihipStream_tbPNSt15iterator_traitsISG_E10value_typeEPNSM_ISH_E10value_typeEPSI_NS1_7vsmem_tEENKUlT_SG_SH_SI_E_clISA_PiSB_PsEESF_SV_SG_SH_SI_EUlSV_E_NS1_11comp_targetILNS1_3genE10ELNS1_11target_archE1201ELNS1_3gpuE5ELNS1_3repE0EEENS1_48merge_mergepath_partition_config_static_selectorELNS0_4arch9wavefront6targetE1EEEvSH_
; %bb.0:
	.section	.rodata,"a",@progbits
	.p2align	6, 0x0
	.amdhsa_kernel _ZN7rocprim17ROCPRIM_400000_NS6detail17trampoline_kernelINS0_14default_configENS1_38merge_sort_block_merge_config_selectorIisEEZZNS1_27merge_sort_block_merge_implIS3_N6thrust23THRUST_200600_302600_NS10device_ptrIiEENS9_IsEEjNS1_19radix_merge_compareILb0ELb1EiNS0_19identity_decomposerEEEEE10hipError_tT0_T1_T2_jT3_P12ihipStream_tbPNSt15iterator_traitsISG_E10value_typeEPNSM_ISH_E10value_typeEPSI_NS1_7vsmem_tEENKUlT_SG_SH_SI_E_clISA_PiSB_PsEESF_SV_SG_SH_SI_EUlSV_E_NS1_11comp_targetILNS1_3genE10ELNS1_11target_archE1201ELNS1_3gpuE5ELNS1_3repE0EEENS1_48merge_mergepath_partition_config_static_selectorELNS0_4arch9wavefront6targetE1EEEvSH_
		.amdhsa_group_segment_fixed_size 0
		.amdhsa_private_segment_fixed_size 0
		.amdhsa_kernarg_size 40
		.amdhsa_user_sgpr_count 2
		.amdhsa_user_sgpr_dispatch_ptr 0
		.amdhsa_user_sgpr_queue_ptr 0
		.amdhsa_user_sgpr_kernarg_segment_ptr 1
		.amdhsa_user_sgpr_dispatch_id 0
		.amdhsa_user_sgpr_kernarg_preload_length 0
		.amdhsa_user_sgpr_kernarg_preload_offset 0
		.amdhsa_user_sgpr_private_segment_size 0
		.amdhsa_uses_dynamic_stack 0
		.amdhsa_enable_private_segment 0
		.amdhsa_system_sgpr_workgroup_id_x 1
		.amdhsa_system_sgpr_workgroup_id_y 0
		.amdhsa_system_sgpr_workgroup_id_z 0
		.amdhsa_system_sgpr_workgroup_info 0
		.amdhsa_system_vgpr_workitem_id 0
		.amdhsa_next_free_vgpr 1
		.amdhsa_next_free_sgpr 0
		.amdhsa_accum_offset 4
		.amdhsa_reserve_vcc 0
		.amdhsa_float_round_mode_32 0
		.amdhsa_float_round_mode_16_64 0
		.amdhsa_float_denorm_mode_32 3
		.amdhsa_float_denorm_mode_16_64 3
		.amdhsa_dx10_clamp 1
		.amdhsa_ieee_mode 1
		.amdhsa_fp16_overflow 0
		.amdhsa_tg_split 0
		.amdhsa_exception_fp_ieee_invalid_op 0
		.amdhsa_exception_fp_denorm_src 0
		.amdhsa_exception_fp_ieee_div_zero 0
		.amdhsa_exception_fp_ieee_overflow 0
		.amdhsa_exception_fp_ieee_underflow 0
		.amdhsa_exception_fp_ieee_inexact 0
		.amdhsa_exception_int_div_zero 0
	.end_amdhsa_kernel
	.section	.text._ZN7rocprim17ROCPRIM_400000_NS6detail17trampoline_kernelINS0_14default_configENS1_38merge_sort_block_merge_config_selectorIisEEZZNS1_27merge_sort_block_merge_implIS3_N6thrust23THRUST_200600_302600_NS10device_ptrIiEENS9_IsEEjNS1_19radix_merge_compareILb0ELb1EiNS0_19identity_decomposerEEEEE10hipError_tT0_T1_T2_jT3_P12ihipStream_tbPNSt15iterator_traitsISG_E10value_typeEPNSM_ISH_E10value_typeEPSI_NS1_7vsmem_tEENKUlT_SG_SH_SI_E_clISA_PiSB_PsEESF_SV_SG_SH_SI_EUlSV_E_NS1_11comp_targetILNS1_3genE10ELNS1_11target_archE1201ELNS1_3gpuE5ELNS1_3repE0EEENS1_48merge_mergepath_partition_config_static_selectorELNS0_4arch9wavefront6targetE1EEEvSH_,"axG",@progbits,_ZN7rocprim17ROCPRIM_400000_NS6detail17trampoline_kernelINS0_14default_configENS1_38merge_sort_block_merge_config_selectorIisEEZZNS1_27merge_sort_block_merge_implIS3_N6thrust23THRUST_200600_302600_NS10device_ptrIiEENS9_IsEEjNS1_19radix_merge_compareILb0ELb1EiNS0_19identity_decomposerEEEEE10hipError_tT0_T1_T2_jT3_P12ihipStream_tbPNSt15iterator_traitsISG_E10value_typeEPNSM_ISH_E10value_typeEPSI_NS1_7vsmem_tEENKUlT_SG_SH_SI_E_clISA_PiSB_PsEESF_SV_SG_SH_SI_EUlSV_E_NS1_11comp_targetILNS1_3genE10ELNS1_11target_archE1201ELNS1_3gpuE5ELNS1_3repE0EEENS1_48merge_mergepath_partition_config_static_selectorELNS0_4arch9wavefront6targetE1EEEvSH_,comdat
.Lfunc_end2381:
	.size	_ZN7rocprim17ROCPRIM_400000_NS6detail17trampoline_kernelINS0_14default_configENS1_38merge_sort_block_merge_config_selectorIisEEZZNS1_27merge_sort_block_merge_implIS3_N6thrust23THRUST_200600_302600_NS10device_ptrIiEENS9_IsEEjNS1_19radix_merge_compareILb0ELb1EiNS0_19identity_decomposerEEEEE10hipError_tT0_T1_T2_jT3_P12ihipStream_tbPNSt15iterator_traitsISG_E10value_typeEPNSM_ISH_E10value_typeEPSI_NS1_7vsmem_tEENKUlT_SG_SH_SI_E_clISA_PiSB_PsEESF_SV_SG_SH_SI_EUlSV_E_NS1_11comp_targetILNS1_3genE10ELNS1_11target_archE1201ELNS1_3gpuE5ELNS1_3repE0EEENS1_48merge_mergepath_partition_config_static_selectorELNS0_4arch9wavefront6targetE1EEEvSH_, .Lfunc_end2381-_ZN7rocprim17ROCPRIM_400000_NS6detail17trampoline_kernelINS0_14default_configENS1_38merge_sort_block_merge_config_selectorIisEEZZNS1_27merge_sort_block_merge_implIS3_N6thrust23THRUST_200600_302600_NS10device_ptrIiEENS9_IsEEjNS1_19radix_merge_compareILb0ELb1EiNS0_19identity_decomposerEEEEE10hipError_tT0_T1_T2_jT3_P12ihipStream_tbPNSt15iterator_traitsISG_E10value_typeEPNSM_ISH_E10value_typeEPSI_NS1_7vsmem_tEENKUlT_SG_SH_SI_E_clISA_PiSB_PsEESF_SV_SG_SH_SI_EUlSV_E_NS1_11comp_targetILNS1_3genE10ELNS1_11target_archE1201ELNS1_3gpuE5ELNS1_3repE0EEENS1_48merge_mergepath_partition_config_static_selectorELNS0_4arch9wavefront6targetE1EEEvSH_
                                        ; -- End function
	.set _ZN7rocprim17ROCPRIM_400000_NS6detail17trampoline_kernelINS0_14default_configENS1_38merge_sort_block_merge_config_selectorIisEEZZNS1_27merge_sort_block_merge_implIS3_N6thrust23THRUST_200600_302600_NS10device_ptrIiEENS9_IsEEjNS1_19radix_merge_compareILb0ELb1EiNS0_19identity_decomposerEEEEE10hipError_tT0_T1_T2_jT3_P12ihipStream_tbPNSt15iterator_traitsISG_E10value_typeEPNSM_ISH_E10value_typeEPSI_NS1_7vsmem_tEENKUlT_SG_SH_SI_E_clISA_PiSB_PsEESF_SV_SG_SH_SI_EUlSV_E_NS1_11comp_targetILNS1_3genE10ELNS1_11target_archE1201ELNS1_3gpuE5ELNS1_3repE0EEENS1_48merge_mergepath_partition_config_static_selectorELNS0_4arch9wavefront6targetE1EEEvSH_.num_vgpr, 0
	.set _ZN7rocprim17ROCPRIM_400000_NS6detail17trampoline_kernelINS0_14default_configENS1_38merge_sort_block_merge_config_selectorIisEEZZNS1_27merge_sort_block_merge_implIS3_N6thrust23THRUST_200600_302600_NS10device_ptrIiEENS9_IsEEjNS1_19radix_merge_compareILb0ELb1EiNS0_19identity_decomposerEEEEE10hipError_tT0_T1_T2_jT3_P12ihipStream_tbPNSt15iterator_traitsISG_E10value_typeEPNSM_ISH_E10value_typeEPSI_NS1_7vsmem_tEENKUlT_SG_SH_SI_E_clISA_PiSB_PsEESF_SV_SG_SH_SI_EUlSV_E_NS1_11comp_targetILNS1_3genE10ELNS1_11target_archE1201ELNS1_3gpuE5ELNS1_3repE0EEENS1_48merge_mergepath_partition_config_static_selectorELNS0_4arch9wavefront6targetE1EEEvSH_.num_agpr, 0
	.set _ZN7rocprim17ROCPRIM_400000_NS6detail17trampoline_kernelINS0_14default_configENS1_38merge_sort_block_merge_config_selectorIisEEZZNS1_27merge_sort_block_merge_implIS3_N6thrust23THRUST_200600_302600_NS10device_ptrIiEENS9_IsEEjNS1_19radix_merge_compareILb0ELb1EiNS0_19identity_decomposerEEEEE10hipError_tT0_T1_T2_jT3_P12ihipStream_tbPNSt15iterator_traitsISG_E10value_typeEPNSM_ISH_E10value_typeEPSI_NS1_7vsmem_tEENKUlT_SG_SH_SI_E_clISA_PiSB_PsEESF_SV_SG_SH_SI_EUlSV_E_NS1_11comp_targetILNS1_3genE10ELNS1_11target_archE1201ELNS1_3gpuE5ELNS1_3repE0EEENS1_48merge_mergepath_partition_config_static_selectorELNS0_4arch9wavefront6targetE1EEEvSH_.numbered_sgpr, 0
	.set _ZN7rocprim17ROCPRIM_400000_NS6detail17trampoline_kernelINS0_14default_configENS1_38merge_sort_block_merge_config_selectorIisEEZZNS1_27merge_sort_block_merge_implIS3_N6thrust23THRUST_200600_302600_NS10device_ptrIiEENS9_IsEEjNS1_19radix_merge_compareILb0ELb1EiNS0_19identity_decomposerEEEEE10hipError_tT0_T1_T2_jT3_P12ihipStream_tbPNSt15iterator_traitsISG_E10value_typeEPNSM_ISH_E10value_typeEPSI_NS1_7vsmem_tEENKUlT_SG_SH_SI_E_clISA_PiSB_PsEESF_SV_SG_SH_SI_EUlSV_E_NS1_11comp_targetILNS1_3genE10ELNS1_11target_archE1201ELNS1_3gpuE5ELNS1_3repE0EEENS1_48merge_mergepath_partition_config_static_selectorELNS0_4arch9wavefront6targetE1EEEvSH_.num_named_barrier, 0
	.set _ZN7rocprim17ROCPRIM_400000_NS6detail17trampoline_kernelINS0_14default_configENS1_38merge_sort_block_merge_config_selectorIisEEZZNS1_27merge_sort_block_merge_implIS3_N6thrust23THRUST_200600_302600_NS10device_ptrIiEENS9_IsEEjNS1_19radix_merge_compareILb0ELb1EiNS0_19identity_decomposerEEEEE10hipError_tT0_T1_T2_jT3_P12ihipStream_tbPNSt15iterator_traitsISG_E10value_typeEPNSM_ISH_E10value_typeEPSI_NS1_7vsmem_tEENKUlT_SG_SH_SI_E_clISA_PiSB_PsEESF_SV_SG_SH_SI_EUlSV_E_NS1_11comp_targetILNS1_3genE10ELNS1_11target_archE1201ELNS1_3gpuE5ELNS1_3repE0EEENS1_48merge_mergepath_partition_config_static_selectorELNS0_4arch9wavefront6targetE1EEEvSH_.private_seg_size, 0
	.set _ZN7rocprim17ROCPRIM_400000_NS6detail17trampoline_kernelINS0_14default_configENS1_38merge_sort_block_merge_config_selectorIisEEZZNS1_27merge_sort_block_merge_implIS3_N6thrust23THRUST_200600_302600_NS10device_ptrIiEENS9_IsEEjNS1_19radix_merge_compareILb0ELb1EiNS0_19identity_decomposerEEEEE10hipError_tT0_T1_T2_jT3_P12ihipStream_tbPNSt15iterator_traitsISG_E10value_typeEPNSM_ISH_E10value_typeEPSI_NS1_7vsmem_tEENKUlT_SG_SH_SI_E_clISA_PiSB_PsEESF_SV_SG_SH_SI_EUlSV_E_NS1_11comp_targetILNS1_3genE10ELNS1_11target_archE1201ELNS1_3gpuE5ELNS1_3repE0EEENS1_48merge_mergepath_partition_config_static_selectorELNS0_4arch9wavefront6targetE1EEEvSH_.uses_vcc, 0
	.set _ZN7rocprim17ROCPRIM_400000_NS6detail17trampoline_kernelINS0_14default_configENS1_38merge_sort_block_merge_config_selectorIisEEZZNS1_27merge_sort_block_merge_implIS3_N6thrust23THRUST_200600_302600_NS10device_ptrIiEENS9_IsEEjNS1_19radix_merge_compareILb0ELb1EiNS0_19identity_decomposerEEEEE10hipError_tT0_T1_T2_jT3_P12ihipStream_tbPNSt15iterator_traitsISG_E10value_typeEPNSM_ISH_E10value_typeEPSI_NS1_7vsmem_tEENKUlT_SG_SH_SI_E_clISA_PiSB_PsEESF_SV_SG_SH_SI_EUlSV_E_NS1_11comp_targetILNS1_3genE10ELNS1_11target_archE1201ELNS1_3gpuE5ELNS1_3repE0EEENS1_48merge_mergepath_partition_config_static_selectorELNS0_4arch9wavefront6targetE1EEEvSH_.uses_flat_scratch, 0
	.set _ZN7rocprim17ROCPRIM_400000_NS6detail17trampoline_kernelINS0_14default_configENS1_38merge_sort_block_merge_config_selectorIisEEZZNS1_27merge_sort_block_merge_implIS3_N6thrust23THRUST_200600_302600_NS10device_ptrIiEENS9_IsEEjNS1_19radix_merge_compareILb0ELb1EiNS0_19identity_decomposerEEEEE10hipError_tT0_T1_T2_jT3_P12ihipStream_tbPNSt15iterator_traitsISG_E10value_typeEPNSM_ISH_E10value_typeEPSI_NS1_7vsmem_tEENKUlT_SG_SH_SI_E_clISA_PiSB_PsEESF_SV_SG_SH_SI_EUlSV_E_NS1_11comp_targetILNS1_3genE10ELNS1_11target_archE1201ELNS1_3gpuE5ELNS1_3repE0EEENS1_48merge_mergepath_partition_config_static_selectorELNS0_4arch9wavefront6targetE1EEEvSH_.has_dyn_sized_stack, 0
	.set _ZN7rocprim17ROCPRIM_400000_NS6detail17trampoline_kernelINS0_14default_configENS1_38merge_sort_block_merge_config_selectorIisEEZZNS1_27merge_sort_block_merge_implIS3_N6thrust23THRUST_200600_302600_NS10device_ptrIiEENS9_IsEEjNS1_19radix_merge_compareILb0ELb1EiNS0_19identity_decomposerEEEEE10hipError_tT0_T1_T2_jT3_P12ihipStream_tbPNSt15iterator_traitsISG_E10value_typeEPNSM_ISH_E10value_typeEPSI_NS1_7vsmem_tEENKUlT_SG_SH_SI_E_clISA_PiSB_PsEESF_SV_SG_SH_SI_EUlSV_E_NS1_11comp_targetILNS1_3genE10ELNS1_11target_archE1201ELNS1_3gpuE5ELNS1_3repE0EEENS1_48merge_mergepath_partition_config_static_selectorELNS0_4arch9wavefront6targetE1EEEvSH_.has_recursion, 0
	.set _ZN7rocprim17ROCPRIM_400000_NS6detail17trampoline_kernelINS0_14default_configENS1_38merge_sort_block_merge_config_selectorIisEEZZNS1_27merge_sort_block_merge_implIS3_N6thrust23THRUST_200600_302600_NS10device_ptrIiEENS9_IsEEjNS1_19radix_merge_compareILb0ELb1EiNS0_19identity_decomposerEEEEE10hipError_tT0_T1_T2_jT3_P12ihipStream_tbPNSt15iterator_traitsISG_E10value_typeEPNSM_ISH_E10value_typeEPSI_NS1_7vsmem_tEENKUlT_SG_SH_SI_E_clISA_PiSB_PsEESF_SV_SG_SH_SI_EUlSV_E_NS1_11comp_targetILNS1_3genE10ELNS1_11target_archE1201ELNS1_3gpuE5ELNS1_3repE0EEENS1_48merge_mergepath_partition_config_static_selectorELNS0_4arch9wavefront6targetE1EEEvSH_.has_indirect_call, 0
	.section	.AMDGPU.csdata,"",@progbits
; Kernel info:
; codeLenInByte = 0
; TotalNumSgprs: 6
; NumVgprs: 0
; NumAgprs: 0
; TotalNumVgprs: 0
; ScratchSize: 0
; MemoryBound: 0
; FloatMode: 240
; IeeeMode: 1
; LDSByteSize: 0 bytes/workgroup (compile time only)
; SGPRBlocks: 0
; VGPRBlocks: 0
; NumSGPRsForWavesPerEU: 6
; NumVGPRsForWavesPerEU: 1
; AccumOffset: 4
; Occupancy: 8
; WaveLimiterHint : 0
; COMPUTE_PGM_RSRC2:SCRATCH_EN: 0
; COMPUTE_PGM_RSRC2:USER_SGPR: 2
; COMPUTE_PGM_RSRC2:TRAP_HANDLER: 0
; COMPUTE_PGM_RSRC2:TGID_X_EN: 1
; COMPUTE_PGM_RSRC2:TGID_Y_EN: 0
; COMPUTE_PGM_RSRC2:TGID_Z_EN: 0
; COMPUTE_PGM_RSRC2:TIDIG_COMP_CNT: 0
; COMPUTE_PGM_RSRC3_GFX90A:ACCUM_OFFSET: 0
; COMPUTE_PGM_RSRC3_GFX90A:TG_SPLIT: 0
	.section	.text._ZN7rocprim17ROCPRIM_400000_NS6detail17trampoline_kernelINS0_14default_configENS1_38merge_sort_block_merge_config_selectorIisEEZZNS1_27merge_sort_block_merge_implIS3_N6thrust23THRUST_200600_302600_NS10device_ptrIiEENS9_IsEEjNS1_19radix_merge_compareILb0ELb1EiNS0_19identity_decomposerEEEEE10hipError_tT0_T1_T2_jT3_P12ihipStream_tbPNSt15iterator_traitsISG_E10value_typeEPNSM_ISH_E10value_typeEPSI_NS1_7vsmem_tEENKUlT_SG_SH_SI_E_clISA_PiSB_PsEESF_SV_SG_SH_SI_EUlSV_E_NS1_11comp_targetILNS1_3genE5ELNS1_11target_archE942ELNS1_3gpuE9ELNS1_3repE0EEENS1_48merge_mergepath_partition_config_static_selectorELNS0_4arch9wavefront6targetE1EEEvSH_,"axG",@progbits,_ZN7rocprim17ROCPRIM_400000_NS6detail17trampoline_kernelINS0_14default_configENS1_38merge_sort_block_merge_config_selectorIisEEZZNS1_27merge_sort_block_merge_implIS3_N6thrust23THRUST_200600_302600_NS10device_ptrIiEENS9_IsEEjNS1_19radix_merge_compareILb0ELb1EiNS0_19identity_decomposerEEEEE10hipError_tT0_T1_T2_jT3_P12ihipStream_tbPNSt15iterator_traitsISG_E10value_typeEPNSM_ISH_E10value_typeEPSI_NS1_7vsmem_tEENKUlT_SG_SH_SI_E_clISA_PiSB_PsEESF_SV_SG_SH_SI_EUlSV_E_NS1_11comp_targetILNS1_3genE5ELNS1_11target_archE942ELNS1_3gpuE9ELNS1_3repE0EEENS1_48merge_mergepath_partition_config_static_selectorELNS0_4arch9wavefront6targetE1EEEvSH_,comdat
	.protected	_ZN7rocprim17ROCPRIM_400000_NS6detail17trampoline_kernelINS0_14default_configENS1_38merge_sort_block_merge_config_selectorIisEEZZNS1_27merge_sort_block_merge_implIS3_N6thrust23THRUST_200600_302600_NS10device_ptrIiEENS9_IsEEjNS1_19radix_merge_compareILb0ELb1EiNS0_19identity_decomposerEEEEE10hipError_tT0_T1_T2_jT3_P12ihipStream_tbPNSt15iterator_traitsISG_E10value_typeEPNSM_ISH_E10value_typeEPSI_NS1_7vsmem_tEENKUlT_SG_SH_SI_E_clISA_PiSB_PsEESF_SV_SG_SH_SI_EUlSV_E_NS1_11comp_targetILNS1_3genE5ELNS1_11target_archE942ELNS1_3gpuE9ELNS1_3repE0EEENS1_48merge_mergepath_partition_config_static_selectorELNS0_4arch9wavefront6targetE1EEEvSH_ ; -- Begin function _ZN7rocprim17ROCPRIM_400000_NS6detail17trampoline_kernelINS0_14default_configENS1_38merge_sort_block_merge_config_selectorIisEEZZNS1_27merge_sort_block_merge_implIS3_N6thrust23THRUST_200600_302600_NS10device_ptrIiEENS9_IsEEjNS1_19radix_merge_compareILb0ELb1EiNS0_19identity_decomposerEEEEE10hipError_tT0_T1_T2_jT3_P12ihipStream_tbPNSt15iterator_traitsISG_E10value_typeEPNSM_ISH_E10value_typeEPSI_NS1_7vsmem_tEENKUlT_SG_SH_SI_E_clISA_PiSB_PsEESF_SV_SG_SH_SI_EUlSV_E_NS1_11comp_targetILNS1_3genE5ELNS1_11target_archE942ELNS1_3gpuE9ELNS1_3repE0EEENS1_48merge_mergepath_partition_config_static_selectorELNS0_4arch9wavefront6targetE1EEEvSH_
	.globl	_ZN7rocprim17ROCPRIM_400000_NS6detail17trampoline_kernelINS0_14default_configENS1_38merge_sort_block_merge_config_selectorIisEEZZNS1_27merge_sort_block_merge_implIS3_N6thrust23THRUST_200600_302600_NS10device_ptrIiEENS9_IsEEjNS1_19radix_merge_compareILb0ELb1EiNS0_19identity_decomposerEEEEE10hipError_tT0_T1_T2_jT3_P12ihipStream_tbPNSt15iterator_traitsISG_E10value_typeEPNSM_ISH_E10value_typeEPSI_NS1_7vsmem_tEENKUlT_SG_SH_SI_E_clISA_PiSB_PsEESF_SV_SG_SH_SI_EUlSV_E_NS1_11comp_targetILNS1_3genE5ELNS1_11target_archE942ELNS1_3gpuE9ELNS1_3repE0EEENS1_48merge_mergepath_partition_config_static_selectorELNS0_4arch9wavefront6targetE1EEEvSH_
	.p2align	8
	.type	_ZN7rocprim17ROCPRIM_400000_NS6detail17trampoline_kernelINS0_14default_configENS1_38merge_sort_block_merge_config_selectorIisEEZZNS1_27merge_sort_block_merge_implIS3_N6thrust23THRUST_200600_302600_NS10device_ptrIiEENS9_IsEEjNS1_19radix_merge_compareILb0ELb1EiNS0_19identity_decomposerEEEEE10hipError_tT0_T1_T2_jT3_P12ihipStream_tbPNSt15iterator_traitsISG_E10value_typeEPNSM_ISH_E10value_typeEPSI_NS1_7vsmem_tEENKUlT_SG_SH_SI_E_clISA_PiSB_PsEESF_SV_SG_SH_SI_EUlSV_E_NS1_11comp_targetILNS1_3genE5ELNS1_11target_archE942ELNS1_3gpuE9ELNS1_3repE0EEENS1_48merge_mergepath_partition_config_static_selectorELNS0_4arch9wavefront6targetE1EEEvSH_,@function
_ZN7rocprim17ROCPRIM_400000_NS6detail17trampoline_kernelINS0_14default_configENS1_38merge_sort_block_merge_config_selectorIisEEZZNS1_27merge_sort_block_merge_implIS3_N6thrust23THRUST_200600_302600_NS10device_ptrIiEENS9_IsEEjNS1_19radix_merge_compareILb0ELb1EiNS0_19identity_decomposerEEEEE10hipError_tT0_T1_T2_jT3_P12ihipStream_tbPNSt15iterator_traitsISG_E10value_typeEPNSM_ISH_E10value_typeEPSI_NS1_7vsmem_tEENKUlT_SG_SH_SI_E_clISA_PiSB_PsEESF_SV_SG_SH_SI_EUlSV_E_NS1_11comp_targetILNS1_3genE5ELNS1_11target_archE942ELNS1_3gpuE9ELNS1_3repE0EEENS1_48merge_mergepath_partition_config_static_selectorELNS0_4arch9wavefront6targetE1EEEvSH_: ; @_ZN7rocprim17ROCPRIM_400000_NS6detail17trampoline_kernelINS0_14default_configENS1_38merge_sort_block_merge_config_selectorIisEEZZNS1_27merge_sort_block_merge_implIS3_N6thrust23THRUST_200600_302600_NS10device_ptrIiEENS9_IsEEjNS1_19radix_merge_compareILb0ELb1EiNS0_19identity_decomposerEEEEE10hipError_tT0_T1_T2_jT3_P12ihipStream_tbPNSt15iterator_traitsISG_E10value_typeEPNSM_ISH_E10value_typeEPSI_NS1_7vsmem_tEENKUlT_SG_SH_SI_E_clISA_PiSB_PsEESF_SV_SG_SH_SI_EUlSV_E_NS1_11comp_targetILNS1_3genE5ELNS1_11target_archE942ELNS1_3gpuE9ELNS1_3repE0EEENS1_48merge_mergepath_partition_config_static_selectorELNS0_4arch9wavefront6targetE1EEEvSH_
; %bb.0:
	.section	.rodata,"a",@progbits
	.p2align	6, 0x0
	.amdhsa_kernel _ZN7rocprim17ROCPRIM_400000_NS6detail17trampoline_kernelINS0_14default_configENS1_38merge_sort_block_merge_config_selectorIisEEZZNS1_27merge_sort_block_merge_implIS3_N6thrust23THRUST_200600_302600_NS10device_ptrIiEENS9_IsEEjNS1_19radix_merge_compareILb0ELb1EiNS0_19identity_decomposerEEEEE10hipError_tT0_T1_T2_jT3_P12ihipStream_tbPNSt15iterator_traitsISG_E10value_typeEPNSM_ISH_E10value_typeEPSI_NS1_7vsmem_tEENKUlT_SG_SH_SI_E_clISA_PiSB_PsEESF_SV_SG_SH_SI_EUlSV_E_NS1_11comp_targetILNS1_3genE5ELNS1_11target_archE942ELNS1_3gpuE9ELNS1_3repE0EEENS1_48merge_mergepath_partition_config_static_selectorELNS0_4arch9wavefront6targetE1EEEvSH_
		.amdhsa_group_segment_fixed_size 0
		.amdhsa_private_segment_fixed_size 0
		.amdhsa_kernarg_size 40
		.amdhsa_user_sgpr_count 2
		.amdhsa_user_sgpr_dispatch_ptr 0
		.amdhsa_user_sgpr_queue_ptr 0
		.amdhsa_user_sgpr_kernarg_segment_ptr 1
		.amdhsa_user_sgpr_dispatch_id 0
		.amdhsa_user_sgpr_kernarg_preload_length 0
		.amdhsa_user_sgpr_kernarg_preload_offset 0
		.amdhsa_user_sgpr_private_segment_size 0
		.amdhsa_uses_dynamic_stack 0
		.amdhsa_enable_private_segment 0
		.amdhsa_system_sgpr_workgroup_id_x 1
		.amdhsa_system_sgpr_workgroup_id_y 0
		.amdhsa_system_sgpr_workgroup_id_z 0
		.amdhsa_system_sgpr_workgroup_info 0
		.amdhsa_system_vgpr_workitem_id 0
		.amdhsa_next_free_vgpr 1
		.amdhsa_next_free_sgpr 0
		.amdhsa_accum_offset 4
		.amdhsa_reserve_vcc 0
		.amdhsa_float_round_mode_32 0
		.amdhsa_float_round_mode_16_64 0
		.amdhsa_float_denorm_mode_32 3
		.amdhsa_float_denorm_mode_16_64 3
		.amdhsa_dx10_clamp 1
		.amdhsa_ieee_mode 1
		.amdhsa_fp16_overflow 0
		.amdhsa_tg_split 0
		.amdhsa_exception_fp_ieee_invalid_op 0
		.amdhsa_exception_fp_denorm_src 0
		.amdhsa_exception_fp_ieee_div_zero 0
		.amdhsa_exception_fp_ieee_overflow 0
		.amdhsa_exception_fp_ieee_underflow 0
		.amdhsa_exception_fp_ieee_inexact 0
		.amdhsa_exception_int_div_zero 0
	.end_amdhsa_kernel
	.section	.text._ZN7rocprim17ROCPRIM_400000_NS6detail17trampoline_kernelINS0_14default_configENS1_38merge_sort_block_merge_config_selectorIisEEZZNS1_27merge_sort_block_merge_implIS3_N6thrust23THRUST_200600_302600_NS10device_ptrIiEENS9_IsEEjNS1_19radix_merge_compareILb0ELb1EiNS0_19identity_decomposerEEEEE10hipError_tT0_T1_T2_jT3_P12ihipStream_tbPNSt15iterator_traitsISG_E10value_typeEPNSM_ISH_E10value_typeEPSI_NS1_7vsmem_tEENKUlT_SG_SH_SI_E_clISA_PiSB_PsEESF_SV_SG_SH_SI_EUlSV_E_NS1_11comp_targetILNS1_3genE5ELNS1_11target_archE942ELNS1_3gpuE9ELNS1_3repE0EEENS1_48merge_mergepath_partition_config_static_selectorELNS0_4arch9wavefront6targetE1EEEvSH_,"axG",@progbits,_ZN7rocprim17ROCPRIM_400000_NS6detail17trampoline_kernelINS0_14default_configENS1_38merge_sort_block_merge_config_selectorIisEEZZNS1_27merge_sort_block_merge_implIS3_N6thrust23THRUST_200600_302600_NS10device_ptrIiEENS9_IsEEjNS1_19radix_merge_compareILb0ELb1EiNS0_19identity_decomposerEEEEE10hipError_tT0_T1_T2_jT3_P12ihipStream_tbPNSt15iterator_traitsISG_E10value_typeEPNSM_ISH_E10value_typeEPSI_NS1_7vsmem_tEENKUlT_SG_SH_SI_E_clISA_PiSB_PsEESF_SV_SG_SH_SI_EUlSV_E_NS1_11comp_targetILNS1_3genE5ELNS1_11target_archE942ELNS1_3gpuE9ELNS1_3repE0EEENS1_48merge_mergepath_partition_config_static_selectorELNS0_4arch9wavefront6targetE1EEEvSH_,comdat
.Lfunc_end2382:
	.size	_ZN7rocprim17ROCPRIM_400000_NS6detail17trampoline_kernelINS0_14default_configENS1_38merge_sort_block_merge_config_selectorIisEEZZNS1_27merge_sort_block_merge_implIS3_N6thrust23THRUST_200600_302600_NS10device_ptrIiEENS9_IsEEjNS1_19radix_merge_compareILb0ELb1EiNS0_19identity_decomposerEEEEE10hipError_tT0_T1_T2_jT3_P12ihipStream_tbPNSt15iterator_traitsISG_E10value_typeEPNSM_ISH_E10value_typeEPSI_NS1_7vsmem_tEENKUlT_SG_SH_SI_E_clISA_PiSB_PsEESF_SV_SG_SH_SI_EUlSV_E_NS1_11comp_targetILNS1_3genE5ELNS1_11target_archE942ELNS1_3gpuE9ELNS1_3repE0EEENS1_48merge_mergepath_partition_config_static_selectorELNS0_4arch9wavefront6targetE1EEEvSH_, .Lfunc_end2382-_ZN7rocprim17ROCPRIM_400000_NS6detail17trampoline_kernelINS0_14default_configENS1_38merge_sort_block_merge_config_selectorIisEEZZNS1_27merge_sort_block_merge_implIS3_N6thrust23THRUST_200600_302600_NS10device_ptrIiEENS9_IsEEjNS1_19radix_merge_compareILb0ELb1EiNS0_19identity_decomposerEEEEE10hipError_tT0_T1_T2_jT3_P12ihipStream_tbPNSt15iterator_traitsISG_E10value_typeEPNSM_ISH_E10value_typeEPSI_NS1_7vsmem_tEENKUlT_SG_SH_SI_E_clISA_PiSB_PsEESF_SV_SG_SH_SI_EUlSV_E_NS1_11comp_targetILNS1_3genE5ELNS1_11target_archE942ELNS1_3gpuE9ELNS1_3repE0EEENS1_48merge_mergepath_partition_config_static_selectorELNS0_4arch9wavefront6targetE1EEEvSH_
                                        ; -- End function
	.set _ZN7rocprim17ROCPRIM_400000_NS6detail17trampoline_kernelINS0_14default_configENS1_38merge_sort_block_merge_config_selectorIisEEZZNS1_27merge_sort_block_merge_implIS3_N6thrust23THRUST_200600_302600_NS10device_ptrIiEENS9_IsEEjNS1_19radix_merge_compareILb0ELb1EiNS0_19identity_decomposerEEEEE10hipError_tT0_T1_T2_jT3_P12ihipStream_tbPNSt15iterator_traitsISG_E10value_typeEPNSM_ISH_E10value_typeEPSI_NS1_7vsmem_tEENKUlT_SG_SH_SI_E_clISA_PiSB_PsEESF_SV_SG_SH_SI_EUlSV_E_NS1_11comp_targetILNS1_3genE5ELNS1_11target_archE942ELNS1_3gpuE9ELNS1_3repE0EEENS1_48merge_mergepath_partition_config_static_selectorELNS0_4arch9wavefront6targetE1EEEvSH_.num_vgpr, 0
	.set _ZN7rocprim17ROCPRIM_400000_NS6detail17trampoline_kernelINS0_14default_configENS1_38merge_sort_block_merge_config_selectorIisEEZZNS1_27merge_sort_block_merge_implIS3_N6thrust23THRUST_200600_302600_NS10device_ptrIiEENS9_IsEEjNS1_19radix_merge_compareILb0ELb1EiNS0_19identity_decomposerEEEEE10hipError_tT0_T1_T2_jT3_P12ihipStream_tbPNSt15iterator_traitsISG_E10value_typeEPNSM_ISH_E10value_typeEPSI_NS1_7vsmem_tEENKUlT_SG_SH_SI_E_clISA_PiSB_PsEESF_SV_SG_SH_SI_EUlSV_E_NS1_11comp_targetILNS1_3genE5ELNS1_11target_archE942ELNS1_3gpuE9ELNS1_3repE0EEENS1_48merge_mergepath_partition_config_static_selectorELNS0_4arch9wavefront6targetE1EEEvSH_.num_agpr, 0
	.set _ZN7rocprim17ROCPRIM_400000_NS6detail17trampoline_kernelINS0_14default_configENS1_38merge_sort_block_merge_config_selectorIisEEZZNS1_27merge_sort_block_merge_implIS3_N6thrust23THRUST_200600_302600_NS10device_ptrIiEENS9_IsEEjNS1_19radix_merge_compareILb0ELb1EiNS0_19identity_decomposerEEEEE10hipError_tT0_T1_T2_jT3_P12ihipStream_tbPNSt15iterator_traitsISG_E10value_typeEPNSM_ISH_E10value_typeEPSI_NS1_7vsmem_tEENKUlT_SG_SH_SI_E_clISA_PiSB_PsEESF_SV_SG_SH_SI_EUlSV_E_NS1_11comp_targetILNS1_3genE5ELNS1_11target_archE942ELNS1_3gpuE9ELNS1_3repE0EEENS1_48merge_mergepath_partition_config_static_selectorELNS0_4arch9wavefront6targetE1EEEvSH_.numbered_sgpr, 0
	.set _ZN7rocprim17ROCPRIM_400000_NS6detail17trampoline_kernelINS0_14default_configENS1_38merge_sort_block_merge_config_selectorIisEEZZNS1_27merge_sort_block_merge_implIS3_N6thrust23THRUST_200600_302600_NS10device_ptrIiEENS9_IsEEjNS1_19radix_merge_compareILb0ELb1EiNS0_19identity_decomposerEEEEE10hipError_tT0_T1_T2_jT3_P12ihipStream_tbPNSt15iterator_traitsISG_E10value_typeEPNSM_ISH_E10value_typeEPSI_NS1_7vsmem_tEENKUlT_SG_SH_SI_E_clISA_PiSB_PsEESF_SV_SG_SH_SI_EUlSV_E_NS1_11comp_targetILNS1_3genE5ELNS1_11target_archE942ELNS1_3gpuE9ELNS1_3repE0EEENS1_48merge_mergepath_partition_config_static_selectorELNS0_4arch9wavefront6targetE1EEEvSH_.num_named_barrier, 0
	.set _ZN7rocprim17ROCPRIM_400000_NS6detail17trampoline_kernelINS0_14default_configENS1_38merge_sort_block_merge_config_selectorIisEEZZNS1_27merge_sort_block_merge_implIS3_N6thrust23THRUST_200600_302600_NS10device_ptrIiEENS9_IsEEjNS1_19radix_merge_compareILb0ELb1EiNS0_19identity_decomposerEEEEE10hipError_tT0_T1_T2_jT3_P12ihipStream_tbPNSt15iterator_traitsISG_E10value_typeEPNSM_ISH_E10value_typeEPSI_NS1_7vsmem_tEENKUlT_SG_SH_SI_E_clISA_PiSB_PsEESF_SV_SG_SH_SI_EUlSV_E_NS1_11comp_targetILNS1_3genE5ELNS1_11target_archE942ELNS1_3gpuE9ELNS1_3repE0EEENS1_48merge_mergepath_partition_config_static_selectorELNS0_4arch9wavefront6targetE1EEEvSH_.private_seg_size, 0
	.set _ZN7rocprim17ROCPRIM_400000_NS6detail17trampoline_kernelINS0_14default_configENS1_38merge_sort_block_merge_config_selectorIisEEZZNS1_27merge_sort_block_merge_implIS3_N6thrust23THRUST_200600_302600_NS10device_ptrIiEENS9_IsEEjNS1_19radix_merge_compareILb0ELb1EiNS0_19identity_decomposerEEEEE10hipError_tT0_T1_T2_jT3_P12ihipStream_tbPNSt15iterator_traitsISG_E10value_typeEPNSM_ISH_E10value_typeEPSI_NS1_7vsmem_tEENKUlT_SG_SH_SI_E_clISA_PiSB_PsEESF_SV_SG_SH_SI_EUlSV_E_NS1_11comp_targetILNS1_3genE5ELNS1_11target_archE942ELNS1_3gpuE9ELNS1_3repE0EEENS1_48merge_mergepath_partition_config_static_selectorELNS0_4arch9wavefront6targetE1EEEvSH_.uses_vcc, 0
	.set _ZN7rocprim17ROCPRIM_400000_NS6detail17trampoline_kernelINS0_14default_configENS1_38merge_sort_block_merge_config_selectorIisEEZZNS1_27merge_sort_block_merge_implIS3_N6thrust23THRUST_200600_302600_NS10device_ptrIiEENS9_IsEEjNS1_19radix_merge_compareILb0ELb1EiNS0_19identity_decomposerEEEEE10hipError_tT0_T1_T2_jT3_P12ihipStream_tbPNSt15iterator_traitsISG_E10value_typeEPNSM_ISH_E10value_typeEPSI_NS1_7vsmem_tEENKUlT_SG_SH_SI_E_clISA_PiSB_PsEESF_SV_SG_SH_SI_EUlSV_E_NS1_11comp_targetILNS1_3genE5ELNS1_11target_archE942ELNS1_3gpuE9ELNS1_3repE0EEENS1_48merge_mergepath_partition_config_static_selectorELNS0_4arch9wavefront6targetE1EEEvSH_.uses_flat_scratch, 0
	.set _ZN7rocprim17ROCPRIM_400000_NS6detail17trampoline_kernelINS0_14default_configENS1_38merge_sort_block_merge_config_selectorIisEEZZNS1_27merge_sort_block_merge_implIS3_N6thrust23THRUST_200600_302600_NS10device_ptrIiEENS9_IsEEjNS1_19radix_merge_compareILb0ELb1EiNS0_19identity_decomposerEEEEE10hipError_tT0_T1_T2_jT3_P12ihipStream_tbPNSt15iterator_traitsISG_E10value_typeEPNSM_ISH_E10value_typeEPSI_NS1_7vsmem_tEENKUlT_SG_SH_SI_E_clISA_PiSB_PsEESF_SV_SG_SH_SI_EUlSV_E_NS1_11comp_targetILNS1_3genE5ELNS1_11target_archE942ELNS1_3gpuE9ELNS1_3repE0EEENS1_48merge_mergepath_partition_config_static_selectorELNS0_4arch9wavefront6targetE1EEEvSH_.has_dyn_sized_stack, 0
	.set _ZN7rocprim17ROCPRIM_400000_NS6detail17trampoline_kernelINS0_14default_configENS1_38merge_sort_block_merge_config_selectorIisEEZZNS1_27merge_sort_block_merge_implIS3_N6thrust23THRUST_200600_302600_NS10device_ptrIiEENS9_IsEEjNS1_19radix_merge_compareILb0ELb1EiNS0_19identity_decomposerEEEEE10hipError_tT0_T1_T2_jT3_P12ihipStream_tbPNSt15iterator_traitsISG_E10value_typeEPNSM_ISH_E10value_typeEPSI_NS1_7vsmem_tEENKUlT_SG_SH_SI_E_clISA_PiSB_PsEESF_SV_SG_SH_SI_EUlSV_E_NS1_11comp_targetILNS1_3genE5ELNS1_11target_archE942ELNS1_3gpuE9ELNS1_3repE0EEENS1_48merge_mergepath_partition_config_static_selectorELNS0_4arch9wavefront6targetE1EEEvSH_.has_recursion, 0
	.set _ZN7rocprim17ROCPRIM_400000_NS6detail17trampoline_kernelINS0_14default_configENS1_38merge_sort_block_merge_config_selectorIisEEZZNS1_27merge_sort_block_merge_implIS3_N6thrust23THRUST_200600_302600_NS10device_ptrIiEENS9_IsEEjNS1_19radix_merge_compareILb0ELb1EiNS0_19identity_decomposerEEEEE10hipError_tT0_T1_T2_jT3_P12ihipStream_tbPNSt15iterator_traitsISG_E10value_typeEPNSM_ISH_E10value_typeEPSI_NS1_7vsmem_tEENKUlT_SG_SH_SI_E_clISA_PiSB_PsEESF_SV_SG_SH_SI_EUlSV_E_NS1_11comp_targetILNS1_3genE5ELNS1_11target_archE942ELNS1_3gpuE9ELNS1_3repE0EEENS1_48merge_mergepath_partition_config_static_selectorELNS0_4arch9wavefront6targetE1EEEvSH_.has_indirect_call, 0
	.section	.AMDGPU.csdata,"",@progbits
; Kernel info:
; codeLenInByte = 0
; TotalNumSgprs: 6
; NumVgprs: 0
; NumAgprs: 0
; TotalNumVgprs: 0
; ScratchSize: 0
; MemoryBound: 0
; FloatMode: 240
; IeeeMode: 1
; LDSByteSize: 0 bytes/workgroup (compile time only)
; SGPRBlocks: 0
; VGPRBlocks: 0
; NumSGPRsForWavesPerEU: 6
; NumVGPRsForWavesPerEU: 1
; AccumOffset: 4
; Occupancy: 8
; WaveLimiterHint : 0
; COMPUTE_PGM_RSRC2:SCRATCH_EN: 0
; COMPUTE_PGM_RSRC2:USER_SGPR: 2
; COMPUTE_PGM_RSRC2:TRAP_HANDLER: 0
; COMPUTE_PGM_RSRC2:TGID_X_EN: 1
; COMPUTE_PGM_RSRC2:TGID_Y_EN: 0
; COMPUTE_PGM_RSRC2:TGID_Z_EN: 0
; COMPUTE_PGM_RSRC2:TIDIG_COMP_CNT: 0
; COMPUTE_PGM_RSRC3_GFX90A:ACCUM_OFFSET: 0
; COMPUTE_PGM_RSRC3_GFX90A:TG_SPLIT: 0
	.section	.text._ZN7rocprim17ROCPRIM_400000_NS6detail17trampoline_kernelINS0_14default_configENS1_38merge_sort_block_merge_config_selectorIisEEZZNS1_27merge_sort_block_merge_implIS3_N6thrust23THRUST_200600_302600_NS10device_ptrIiEENS9_IsEEjNS1_19radix_merge_compareILb0ELb1EiNS0_19identity_decomposerEEEEE10hipError_tT0_T1_T2_jT3_P12ihipStream_tbPNSt15iterator_traitsISG_E10value_typeEPNSM_ISH_E10value_typeEPSI_NS1_7vsmem_tEENKUlT_SG_SH_SI_E_clISA_PiSB_PsEESF_SV_SG_SH_SI_EUlSV_E_NS1_11comp_targetILNS1_3genE4ELNS1_11target_archE910ELNS1_3gpuE8ELNS1_3repE0EEENS1_48merge_mergepath_partition_config_static_selectorELNS0_4arch9wavefront6targetE1EEEvSH_,"axG",@progbits,_ZN7rocprim17ROCPRIM_400000_NS6detail17trampoline_kernelINS0_14default_configENS1_38merge_sort_block_merge_config_selectorIisEEZZNS1_27merge_sort_block_merge_implIS3_N6thrust23THRUST_200600_302600_NS10device_ptrIiEENS9_IsEEjNS1_19radix_merge_compareILb0ELb1EiNS0_19identity_decomposerEEEEE10hipError_tT0_T1_T2_jT3_P12ihipStream_tbPNSt15iterator_traitsISG_E10value_typeEPNSM_ISH_E10value_typeEPSI_NS1_7vsmem_tEENKUlT_SG_SH_SI_E_clISA_PiSB_PsEESF_SV_SG_SH_SI_EUlSV_E_NS1_11comp_targetILNS1_3genE4ELNS1_11target_archE910ELNS1_3gpuE8ELNS1_3repE0EEENS1_48merge_mergepath_partition_config_static_selectorELNS0_4arch9wavefront6targetE1EEEvSH_,comdat
	.protected	_ZN7rocprim17ROCPRIM_400000_NS6detail17trampoline_kernelINS0_14default_configENS1_38merge_sort_block_merge_config_selectorIisEEZZNS1_27merge_sort_block_merge_implIS3_N6thrust23THRUST_200600_302600_NS10device_ptrIiEENS9_IsEEjNS1_19radix_merge_compareILb0ELb1EiNS0_19identity_decomposerEEEEE10hipError_tT0_T1_T2_jT3_P12ihipStream_tbPNSt15iterator_traitsISG_E10value_typeEPNSM_ISH_E10value_typeEPSI_NS1_7vsmem_tEENKUlT_SG_SH_SI_E_clISA_PiSB_PsEESF_SV_SG_SH_SI_EUlSV_E_NS1_11comp_targetILNS1_3genE4ELNS1_11target_archE910ELNS1_3gpuE8ELNS1_3repE0EEENS1_48merge_mergepath_partition_config_static_selectorELNS0_4arch9wavefront6targetE1EEEvSH_ ; -- Begin function _ZN7rocprim17ROCPRIM_400000_NS6detail17trampoline_kernelINS0_14default_configENS1_38merge_sort_block_merge_config_selectorIisEEZZNS1_27merge_sort_block_merge_implIS3_N6thrust23THRUST_200600_302600_NS10device_ptrIiEENS9_IsEEjNS1_19radix_merge_compareILb0ELb1EiNS0_19identity_decomposerEEEEE10hipError_tT0_T1_T2_jT3_P12ihipStream_tbPNSt15iterator_traitsISG_E10value_typeEPNSM_ISH_E10value_typeEPSI_NS1_7vsmem_tEENKUlT_SG_SH_SI_E_clISA_PiSB_PsEESF_SV_SG_SH_SI_EUlSV_E_NS1_11comp_targetILNS1_3genE4ELNS1_11target_archE910ELNS1_3gpuE8ELNS1_3repE0EEENS1_48merge_mergepath_partition_config_static_selectorELNS0_4arch9wavefront6targetE1EEEvSH_
	.globl	_ZN7rocprim17ROCPRIM_400000_NS6detail17trampoline_kernelINS0_14default_configENS1_38merge_sort_block_merge_config_selectorIisEEZZNS1_27merge_sort_block_merge_implIS3_N6thrust23THRUST_200600_302600_NS10device_ptrIiEENS9_IsEEjNS1_19radix_merge_compareILb0ELb1EiNS0_19identity_decomposerEEEEE10hipError_tT0_T1_T2_jT3_P12ihipStream_tbPNSt15iterator_traitsISG_E10value_typeEPNSM_ISH_E10value_typeEPSI_NS1_7vsmem_tEENKUlT_SG_SH_SI_E_clISA_PiSB_PsEESF_SV_SG_SH_SI_EUlSV_E_NS1_11comp_targetILNS1_3genE4ELNS1_11target_archE910ELNS1_3gpuE8ELNS1_3repE0EEENS1_48merge_mergepath_partition_config_static_selectorELNS0_4arch9wavefront6targetE1EEEvSH_
	.p2align	8
	.type	_ZN7rocprim17ROCPRIM_400000_NS6detail17trampoline_kernelINS0_14default_configENS1_38merge_sort_block_merge_config_selectorIisEEZZNS1_27merge_sort_block_merge_implIS3_N6thrust23THRUST_200600_302600_NS10device_ptrIiEENS9_IsEEjNS1_19radix_merge_compareILb0ELb1EiNS0_19identity_decomposerEEEEE10hipError_tT0_T1_T2_jT3_P12ihipStream_tbPNSt15iterator_traitsISG_E10value_typeEPNSM_ISH_E10value_typeEPSI_NS1_7vsmem_tEENKUlT_SG_SH_SI_E_clISA_PiSB_PsEESF_SV_SG_SH_SI_EUlSV_E_NS1_11comp_targetILNS1_3genE4ELNS1_11target_archE910ELNS1_3gpuE8ELNS1_3repE0EEENS1_48merge_mergepath_partition_config_static_selectorELNS0_4arch9wavefront6targetE1EEEvSH_,@function
_ZN7rocprim17ROCPRIM_400000_NS6detail17trampoline_kernelINS0_14default_configENS1_38merge_sort_block_merge_config_selectorIisEEZZNS1_27merge_sort_block_merge_implIS3_N6thrust23THRUST_200600_302600_NS10device_ptrIiEENS9_IsEEjNS1_19radix_merge_compareILb0ELb1EiNS0_19identity_decomposerEEEEE10hipError_tT0_T1_T2_jT3_P12ihipStream_tbPNSt15iterator_traitsISG_E10value_typeEPNSM_ISH_E10value_typeEPSI_NS1_7vsmem_tEENKUlT_SG_SH_SI_E_clISA_PiSB_PsEESF_SV_SG_SH_SI_EUlSV_E_NS1_11comp_targetILNS1_3genE4ELNS1_11target_archE910ELNS1_3gpuE8ELNS1_3repE0EEENS1_48merge_mergepath_partition_config_static_selectorELNS0_4arch9wavefront6targetE1EEEvSH_: ; @_ZN7rocprim17ROCPRIM_400000_NS6detail17trampoline_kernelINS0_14default_configENS1_38merge_sort_block_merge_config_selectorIisEEZZNS1_27merge_sort_block_merge_implIS3_N6thrust23THRUST_200600_302600_NS10device_ptrIiEENS9_IsEEjNS1_19radix_merge_compareILb0ELb1EiNS0_19identity_decomposerEEEEE10hipError_tT0_T1_T2_jT3_P12ihipStream_tbPNSt15iterator_traitsISG_E10value_typeEPNSM_ISH_E10value_typeEPSI_NS1_7vsmem_tEENKUlT_SG_SH_SI_E_clISA_PiSB_PsEESF_SV_SG_SH_SI_EUlSV_E_NS1_11comp_targetILNS1_3genE4ELNS1_11target_archE910ELNS1_3gpuE8ELNS1_3repE0EEENS1_48merge_mergepath_partition_config_static_selectorELNS0_4arch9wavefront6targetE1EEEvSH_
; %bb.0:
	.section	.rodata,"a",@progbits
	.p2align	6, 0x0
	.amdhsa_kernel _ZN7rocprim17ROCPRIM_400000_NS6detail17trampoline_kernelINS0_14default_configENS1_38merge_sort_block_merge_config_selectorIisEEZZNS1_27merge_sort_block_merge_implIS3_N6thrust23THRUST_200600_302600_NS10device_ptrIiEENS9_IsEEjNS1_19radix_merge_compareILb0ELb1EiNS0_19identity_decomposerEEEEE10hipError_tT0_T1_T2_jT3_P12ihipStream_tbPNSt15iterator_traitsISG_E10value_typeEPNSM_ISH_E10value_typeEPSI_NS1_7vsmem_tEENKUlT_SG_SH_SI_E_clISA_PiSB_PsEESF_SV_SG_SH_SI_EUlSV_E_NS1_11comp_targetILNS1_3genE4ELNS1_11target_archE910ELNS1_3gpuE8ELNS1_3repE0EEENS1_48merge_mergepath_partition_config_static_selectorELNS0_4arch9wavefront6targetE1EEEvSH_
		.amdhsa_group_segment_fixed_size 0
		.amdhsa_private_segment_fixed_size 0
		.amdhsa_kernarg_size 40
		.amdhsa_user_sgpr_count 2
		.amdhsa_user_sgpr_dispatch_ptr 0
		.amdhsa_user_sgpr_queue_ptr 0
		.amdhsa_user_sgpr_kernarg_segment_ptr 1
		.amdhsa_user_sgpr_dispatch_id 0
		.amdhsa_user_sgpr_kernarg_preload_length 0
		.amdhsa_user_sgpr_kernarg_preload_offset 0
		.amdhsa_user_sgpr_private_segment_size 0
		.amdhsa_uses_dynamic_stack 0
		.amdhsa_enable_private_segment 0
		.amdhsa_system_sgpr_workgroup_id_x 1
		.amdhsa_system_sgpr_workgroup_id_y 0
		.amdhsa_system_sgpr_workgroup_id_z 0
		.amdhsa_system_sgpr_workgroup_info 0
		.amdhsa_system_vgpr_workitem_id 0
		.amdhsa_next_free_vgpr 1
		.amdhsa_next_free_sgpr 0
		.amdhsa_accum_offset 4
		.amdhsa_reserve_vcc 0
		.amdhsa_float_round_mode_32 0
		.amdhsa_float_round_mode_16_64 0
		.amdhsa_float_denorm_mode_32 3
		.amdhsa_float_denorm_mode_16_64 3
		.amdhsa_dx10_clamp 1
		.amdhsa_ieee_mode 1
		.amdhsa_fp16_overflow 0
		.amdhsa_tg_split 0
		.amdhsa_exception_fp_ieee_invalid_op 0
		.amdhsa_exception_fp_denorm_src 0
		.amdhsa_exception_fp_ieee_div_zero 0
		.amdhsa_exception_fp_ieee_overflow 0
		.amdhsa_exception_fp_ieee_underflow 0
		.amdhsa_exception_fp_ieee_inexact 0
		.amdhsa_exception_int_div_zero 0
	.end_amdhsa_kernel
	.section	.text._ZN7rocprim17ROCPRIM_400000_NS6detail17trampoline_kernelINS0_14default_configENS1_38merge_sort_block_merge_config_selectorIisEEZZNS1_27merge_sort_block_merge_implIS3_N6thrust23THRUST_200600_302600_NS10device_ptrIiEENS9_IsEEjNS1_19radix_merge_compareILb0ELb1EiNS0_19identity_decomposerEEEEE10hipError_tT0_T1_T2_jT3_P12ihipStream_tbPNSt15iterator_traitsISG_E10value_typeEPNSM_ISH_E10value_typeEPSI_NS1_7vsmem_tEENKUlT_SG_SH_SI_E_clISA_PiSB_PsEESF_SV_SG_SH_SI_EUlSV_E_NS1_11comp_targetILNS1_3genE4ELNS1_11target_archE910ELNS1_3gpuE8ELNS1_3repE0EEENS1_48merge_mergepath_partition_config_static_selectorELNS0_4arch9wavefront6targetE1EEEvSH_,"axG",@progbits,_ZN7rocprim17ROCPRIM_400000_NS6detail17trampoline_kernelINS0_14default_configENS1_38merge_sort_block_merge_config_selectorIisEEZZNS1_27merge_sort_block_merge_implIS3_N6thrust23THRUST_200600_302600_NS10device_ptrIiEENS9_IsEEjNS1_19radix_merge_compareILb0ELb1EiNS0_19identity_decomposerEEEEE10hipError_tT0_T1_T2_jT3_P12ihipStream_tbPNSt15iterator_traitsISG_E10value_typeEPNSM_ISH_E10value_typeEPSI_NS1_7vsmem_tEENKUlT_SG_SH_SI_E_clISA_PiSB_PsEESF_SV_SG_SH_SI_EUlSV_E_NS1_11comp_targetILNS1_3genE4ELNS1_11target_archE910ELNS1_3gpuE8ELNS1_3repE0EEENS1_48merge_mergepath_partition_config_static_selectorELNS0_4arch9wavefront6targetE1EEEvSH_,comdat
.Lfunc_end2383:
	.size	_ZN7rocprim17ROCPRIM_400000_NS6detail17trampoline_kernelINS0_14default_configENS1_38merge_sort_block_merge_config_selectorIisEEZZNS1_27merge_sort_block_merge_implIS3_N6thrust23THRUST_200600_302600_NS10device_ptrIiEENS9_IsEEjNS1_19radix_merge_compareILb0ELb1EiNS0_19identity_decomposerEEEEE10hipError_tT0_T1_T2_jT3_P12ihipStream_tbPNSt15iterator_traitsISG_E10value_typeEPNSM_ISH_E10value_typeEPSI_NS1_7vsmem_tEENKUlT_SG_SH_SI_E_clISA_PiSB_PsEESF_SV_SG_SH_SI_EUlSV_E_NS1_11comp_targetILNS1_3genE4ELNS1_11target_archE910ELNS1_3gpuE8ELNS1_3repE0EEENS1_48merge_mergepath_partition_config_static_selectorELNS0_4arch9wavefront6targetE1EEEvSH_, .Lfunc_end2383-_ZN7rocprim17ROCPRIM_400000_NS6detail17trampoline_kernelINS0_14default_configENS1_38merge_sort_block_merge_config_selectorIisEEZZNS1_27merge_sort_block_merge_implIS3_N6thrust23THRUST_200600_302600_NS10device_ptrIiEENS9_IsEEjNS1_19radix_merge_compareILb0ELb1EiNS0_19identity_decomposerEEEEE10hipError_tT0_T1_T2_jT3_P12ihipStream_tbPNSt15iterator_traitsISG_E10value_typeEPNSM_ISH_E10value_typeEPSI_NS1_7vsmem_tEENKUlT_SG_SH_SI_E_clISA_PiSB_PsEESF_SV_SG_SH_SI_EUlSV_E_NS1_11comp_targetILNS1_3genE4ELNS1_11target_archE910ELNS1_3gpuE8ELNS1_3repE0EEENS1_48merge_mergepath_partition_config_static_selectorELNS0_4arch9wavefront6targetE1EEEvSH_
                                        ; -- End function
	.set _ZN7rocprim17ROCPRIM_400000_NS6detail17trampoline_kernelINS0_14default_configENS1_38merge_sort_block_merge_config_selectorIisEEZZNS1_27merge_sort_block_merge_implIS3_N6thrust23THRUST_200600_302600_NS10device_ptrIiEENS9_IsEEjNS1_19radix_merge_compareILb0ELb1EiNS0_19identity_decomposerEEEEE10hipError_tT0_T1_T2_jT3_P12ihipStream_tbPNSt15iterator_traitsISG_E10value_typeEPNSM_ISH_E10value_typeEPSI_NS1_7vsmem_tEENKUlT_SG_SH_SI_E_clISA_PiSB_PsEESF_SV_SG_SH_SI_EUlSV_E_NS1_11comp_targetILNS1_3genE4ELNS1_11target_archE910ELNS1_3gpuE8ELNS1_3repE0EEENS1_48merge_mergepath_partition_config_static_selectorELNS0_4arch9wavefront6targetE1EEEvSH_.num_vgpr, 0
	.set _ZN7rocprim17ROCPRIM_400000_NS6detail17trampoline_kernelINS0_14default_configENS1_38merge_sort_block_merge_config_selectorIisEEZZNS1_27merge_sort_block_merge_implIS3_N6thrust23THRUST_200600_302600_NS10device_ptrIiEENS9_IsEEjNS1_19radix_merge_compareILb0ELb1EiNS0_19identity_decomposerEEEEE10hipError_tT0_T1_T2_jT3_P12ihipStream_tbPNSt15iterator_traitsISG_E10value_typeEPNSM_ISH_E10value_typeEPSI_NS1_7vsmem_tEENKUlT_SG_SH_SI_E_clISA_PiSB_PsEESF_SV_SG_SH_SI_EUlSV_E_NS1_11comp_targetILNS1_3genE4ELNS1_11target_archE910ELNS1_3gpuE8ELNS1_3repE0EEENS1_48merge_mergepath_partition_config_static_selectorELNS0_4arch9wavefront6targetE1EEEvSH_.num_agpr, 0
	.set _ZN7rocprim17ROCPRIM_400000_NS6detail17trampoline_kernelINS0_14default_configENS1_38merge_sort_block_merge_config_selectorIisEEZZNS1_27merge_sort_block_merge_implIS3_N6thrust23THRUST_200600_302600_NS10device_ptrIiEENS9_IsEEjNS1_19radix_merge_compareILb0ELb1EiNS0_19identity_decomposerEEEEE10hipError_tT0_T1_T2_jT3_P12ihipStream_tbPNSt15iterator_traitsISG_E10value_typeEPNSM_ISH_E10value_typeEPSI_NS1_7vsmem_tEENKUlT_SG_SH_SI_E_clISA_PiSB_PsEESF_SV_SG_SH_SI_EUlSV_E_NS1_11comp_targetILNS1_3genE4ELNS1_11target_archE910ELNS1_3gpuE8ELNS1_3repE0EEENS1_48merge_mergepath_partition_config_static_selectorELNS0_4arch9wavefront6targetE1EEEvSH_.numbered_sgpr, 0
	.set _ZN7rocprim17ROCPRIM_400000_NS6detail17trampoline_kernelINS0_14default_configENS1_38merge_sort_block_merge_config_selectorIisEEZZNS1_27merge_sort_block_merge_implIS3_N6thrust23THRUST_200600_302600_NS10device_ptrIiEENS9_IsEEjNS1_19radix_merge_compareILb0ELb1EiNS0_19identity_decomposerEEEEE10hipError_tT0_T1_T2_jT3_P12ihipStream_tbPNSt15iterator_traitsISG_E10value_typeEPNSM_ISH_E10value_typeEPSI_NS1_7vsmem_tEENKUlT_SG_SH_SI_E_clISA_PiSB_PsEESF_SV_SG_SH_SI_EUlSV_E_NS1_11comp_targetILNS1_3genE4ELNS1_11target_archE910ELNS1_3gpuE8ELNS1_3repE0EEENS1_48merge_mergepath_partition_config_static_selectorELNS0_4arch9wavefront6targetE1EEEvSH_.num_named_barrier, 0
	.set _ZN7rocprim17ROCPRIM_400000_NS6detail17trampoline_kernelINS0_14default_configENS1_38merge_sort_block_merge_config_selectorIisEEZZNS1_27merge_sort_block_merge_implIS3_N6thrust23THRUST_200600_302600_NS10device_ptrIiEENS9_IsEEjNS1_19radix_merge_compareILb0ELb1EiNS0_19identity_decomposerEEEEE10hipError_tT0_T1_T2_jT3_P12ihipStream_tbPNSt15iterator_traitsISG_E10value_typeEPNSM_ISH_E10value_typeEPSI_NS1_7vsmem_tEENKUlT_SG_SH_SI_E_clISA_PiSB_PsEESF_SV_SG_SH_SI_EUlSV_E_NS1_11comp_targetILNS1_3genE4ELNS1_11target_archE910ELNS1_3gpuE8ELNS1_3repE0EEENS1_48merge_mergepath_partition_config_static_selectorELNS0_4arch9wavefront6targetE1EEEvSH_.private_seg_size, 0
	.set _ZN7rocprim17ROCPRIM_400000_NS6detail17trampoline_kernelINS0_14default_configENS1_38merge_sort_block_merge_config_selectorIisEEZZNS1_27merge_sort_block_merge_implIS3_N6thrust23THRUST_200600_302600_NS10device_ptrIiEENS9_IsEEjNS1_19radix_merge_compareILb0ELb1EiNS0_19identity_decomposerEEEEE10hipError_tT0_T1_T2_jT3_P12ihipStream_tbPNSt15iterator_traitsISG_E10value_typeEPNSM_ISH_E10value_typeEPSI_NS1_7vsmem_tEENKUlT_SG_SH_SI_E_clISA_PiSB_PsEESF_SV_SG_SH_SI_EUlSV_E_NS1_11comp_targetILNS1_3genE4ELNS1_11target_archE910ELNS1_3gpuE8ELNS1_3repE0EEENS1_48merge_mergepath_partition_config_static_selectorELNS0_4arch9wavefront6targetE1EEEvSH_.uses_vcc, 0
	.set _ZN7rocprim17ROCPRIM_400000_NS6detail17trampoline_kernelINS0_14default_configENS1_38merge_sort_block_merge_config_selectorIisEEZZNS1_27merge_sort_block_merge_implIS3_N6thrust23THRUST_200600_302600_NS10device_ptrIiEENS9_IsEEjNS1_19radix_merge_compareILb0ELb1EiNS0_19identity_decomposerEEEEE10hipError_tT0_T1_T2_jT3_P12ihipStream_tbPNSt15iterator_traitsISG_E10value_typeEPNSM_ISH_E10value_typeEPSI_NS1_7vsmem_tEENKUlT_SG_SH_SI_E_clISA_PiSB_PsEESF_SV_SG_SH_SI_EUlSV_E_NS1_11comp_targetILNS1_3genE4ELNS1_11target_archE910ELNS1_3gpuE8ELNS1_3repE0EEENS1_48merge_mergepath_partition_config_static_selectorELNS0_4arch9wavefront6targetE1EEEvSH_.uses_flat_scratch, 0
	.set _ZN7rocprim17ROCPRIM_400000_NS6detail17trampoline_kernelINS0_14default_configENS1_38merge_sort_block_merge_config_selectorIisEEZZNS1_27merge_sort_block_merge_implIS3_N6thrust23THRUST_200600_302600_NS10device_ptrIiEENS9_IsEEjNS1_19radix_merge_compareILb0ELb1EiNS0_19identity_decomposerEEEEE10hipError_tT0_T1_T2_jT3_P12ihipStream_tbPNSt15iterator_traitsISG_E10value_typeEPNSM_ISH_E10value_typeEPSI_NS1_7vsmem_tEENKUlT_SG_SH_SI_E_clISA_PiSB_PsEESF_SV_SG_SH_SI_EUlSV_E_NS1_11comp_targetILNS1_3genE4ELNS1_11target_archE910ELNS1_3gpuE8ELNS1_3repE0EEENS1_48merge_mergepath_partition_config_static_selectorELNS0_4arch9wavefront6targetE1EEEvSH_.has_dyn_sized_stack, 0
	.set _ZN7rocprim17ROCPRIM_400000_NS6detail17trampoline_kernelINS0_14default_configENS1_38merge_sort_block_merge_config_selectorIisEEZZNS1_27merge_sort_block_merge_implIS3_N6thrust23THRUST_200600_302600_NS10device_ptrIiEENS9_IsEEjNS1_19radix_merge_compareILb0ELb1EiNS0_19identity_decomposerEEEEE10hipError_tT0_T1_T2_jT3_P12ihipStream_tbPNSt15iterator_traitsISG_E10value_typeEPNSM_ISH_E10value_typeEPSI_NS1_7vsmem_tEENKUlT_SG_SH_SI_E_clISA_PiSB_PsEESF_SV_SG_SH_SI_EUlSV_E_NS1_11comp_targetILNS1_3genE4ELNS1_11target_archE910ELNS1_3gpuE8ELNS1_3repE0EEENS1_48merge_mergepath_partition_config_static_selectorELNS0_4arch9wavefront6targetE1EEEvSH_.has_recursion, 0
	.set _ZN7rocprim17ROCPRIM_400000_NS6detail17trampoline_kernelINS0_14default_configENS1_38merge_sort_block_merge_config_selectorIisEEZZNS1_27merge_sort_block_merge_implIS3_N6thrust23THRUST_200600_302600_NS10device_ptrIiEENS9_IsEEjNS1_19radix_merge_compareILb0ELb1EiNS0_19identity_decomposerEEEEE10hipError_tT0_T1_T2_jT3_P12ihipStream_tbPNSt15iterator_traitsISG_E10value_typeEPNSM_ISH_E10value_typeEPSI_NS1_7vsmem_tEENKUlT_SG_SH_SI_E_clISA_PiSB_PsEESF_SV_SG_SH_SI_EUlSV_E_NS1_11comp_targetILNS1_3genE4ELNS1_11target_archE910ELNS1_3gpuE8ELNS1_3repE0EEENS1_48merge_mergepath_partition_config_static_selectorELNS0_4arch9wavefront6targetE1EEEvSH_.has_indirect_call, 0
	.section	.AMDGPU.csdata,"",@progbits
; Kernel info:
; codeLenInByte = 0
; TotalNumSgprs: 6
; NumVgprs: 0
; NumAgprs: 0
; TotalNumVgprs: 0
; ScratchSize: 0
; MemoryBound: 0
; FloatMode: 240
; IeeeMode: 1
; LDSByteSize: 0 bytes/workgroup (compile time only)
; SGPRBlocks: 0
; VGPRBlocks: 0
; NumSGPRsForWavesPerEU: 6
; NumVGPRsForWavesPerEU: 1
; AccumOffset: 4
; Occupancy: 8
; WaveLimiterHint : 0
; COMPUTE_PGM_RSRC2:SCRATCH_EN: 0
; COMPUTE_PGM_RSRC2:USER_SGPR: 2
; COMPUTE_PGM_RSRC2:TRAP_HANDLER: 0
; COMPUTE_PGM_RSRC2:TGID_X_EN: 1
; COMPUTE_PGM_RSRC2:TGID_Y_EN: 0
; COMPUTE_PGM_RSRC2:TGID_Z_EN: 0
; COMPUTE_PGM_RSRC2:TIDIG_COMP_CNT: 0
; COMPUTE_PGM_RSRC3_GFX90A:ACCUM_OFFSET: 0
; COMPUTE_PGM_RSRC3_GFX90A:TG_SPLIT: 0
	.section	.text._ZN7rocprim17ROCPRIM_400000_NS6detail17trampoline_kernelINS0_14default_configENS1_38merge_sort_block_merge_config_selectorIisEEZZNS1_27merge_sort_block_merge_implIS3_N6thrust23THRUST_200600_302600_NS10device_ptrIiEENS9_IsEEjNS1_19radix_merge_compareILb0ELb1EiNS0_19identity_decomposerEEEEE10hipError_tT0_T1_T2_jT3_P12ihipStream_tbPNSt15iterator_traitsISG_E10value_typeEPNSM_ISH_E10value_typeEPSI_NS1_7vsmem_tEENKUlT_SG_SH_SI_E_clISA_PiSB_PsEESF_SV_SG_SH_SI_EUlSV_E_NS1_11comp_targetILNS1_3genE3ELNS1_11target_archE908ELNS1_3gpuE7ELNS1_3repE0EEENS1_48merge_mergepath_partition_config_static_selectorELNS0_4arch9wavefront6targetE1EEEvSH_,"axG",@progbits,_ZN7rocprim17ROCPRIM_400000_NS6detail17trampoline_kernelINS0_14default_configENS1_38merge_sort_block_merge_config_selectorIisEEZZNS1_27merge_sort_block_merge_implIS3_N6thrust23THRUST_200600_302600_NS10device_ptrIiEENS9_IsEEjNS1_19radix_merge_compareILb0ELb1EiNS0_19identity_decomposerEEEEE10hipError_tT0_T1_T2_jT3_P12ihipStream_tbPNSt15iterator_traitsISG_E10value_typeEPNSM_ISH_E10value_typeEPSI_NS1_7vsmem_tEENKUlT_SG_SH_SI_E_clISA_PiSB_PsEESF_SV_SG_SH_SI_EUlSV_E_NS1_11comp_targetILNS1_3genE3ELNS1_11target_archE908ELNS1_3gpuE7ELNS1_3repE0EEENS1_48merge_mergepath_partition_config_static_selectorELNS0_4arch9wavefront6targetE1EEEvSH_,comdat
	.protected	_ZN7rocprim17ROCPRIM_400000_NS6detail17trampoline_kernelINS0_14default_configENS1_38merge_sort_block_merge_config_selectorIisEEZZNS1_27merge_sort_block_merge_implIS3_N6thrust23THRUST_200600_302600_NS10device_ptrIiEENS9_IsEEjNS1_19radix_merge_compareILb0ELb1EiNS0_19identity_decomposerEEEEE10hipError_tT0_T1_T2_jT3_P12ihipStream_tbPNSt15iterator_traitsISG_E10value_typeEPNSM_ISH_E10value_typeEPSI_NS1_7vsmem_tEENKUlT_SG_SH_SI_E_clISA_PiSB_PsEESF_SV_SG_SH_SI_EUlSV_E_NS1_11comp_targetILNS1_3genE3ELNS1_11target_archE908ELNS1_3gpuE7ELNS1_3repE0EEENS1_48merge_mergepath_partition_config_static_selectorELNS0_4arch9wavefront6targetE1EEEvSH_ ; -- Begin function _ZN7rocprim17ROCPRIM_400000_NS6detail17trampoline_kernelINS0_14default_configENS1_38merge_sort_block_merge_config_selectorIisEEZZNS1_27merge_sort_block_merge_implIS3_N6thrust23THRUST_200600_302600_NS10device_ptrIiEENS9_IsEEjNS1_19radix_merge_compareILb0ELb1EiNS0_19identity_decomposerEEEEE10hipError_tT0_T1_T2_jT3_P12ihipStream_tbPNSt15iterator_traitsISG_E10value_typeEPNSM_ISH_E10value_typeEPSI_NS1_7vsmem_tEENKUlT_SG_SH_SI_E_clISA_PiSB_PsEESF_SV_SG_SH_SI_EUlSV_E_NS1_11comp_targetILNS1_3genE3ELNS1_11target_archE908ELNS1_3gpuE7ELNS1_3repE0EEENS1_48merge_mergepath_partition_config_static_selectorELNS0_4arch9wavefront6targetE1EEEvSH_
	.globl	_ZN7rocprim17ROCPRIM_400000_NS6detail17trampoline_kernelINS0_14default_configENS1_38merge_sort_block_merge_config_selectorIisEEZZNS1_27merge_sort_block_merge_implIS3_N6thrust23THRUST_200600_302600_NS10device_ptrIiEENS9_IsEEjNS1_19radix_merge_compareILb0ELb1EiNS0_19identity_decomposerEEEEE10hipError_tT0_T1_T2_jT3_P12ihipStream_tbPNSt15iterator_traitsISG_E10value_typeEPNSM_ISH_E10value_typeEPSI_NS1_7vsmem_tEENKUlT_SG_SH_SI_E_clISA_PiSB_PsEESF_SV_SG_SH_SI_EUlSV_E_NS1_11comp_targetILNS1_3genE3ELNS1_11target_archE908ELNS1_3gpuE7ELNS1_3repE0EEENS1_48merge_mergepath_partition_config_static_selectorELNS0_4arch9wavefront6targetE1EEEvSH_
	.p2align	8
	.type	_ZN7rocprim17ROCPRIM_400000_NS6detail17trampoline_kernelINS0_14default_configENS1_38merge_sort_block_merge_config_selectorIisEEZZNS1_27merge_sort_block_merge_implIS3_N6thrust23THRUST_200600_302600_NS10device_ptrIiEENS9_IsEEjNS1_19radix_merge_compareILb0ELb1EiNS0_19identity_decomposerEEEEE10hipError_tT0_T1_T2_jT3_P12ihipStream_tbPNSt15iterator_traitsISG_E10value_typeEPNSM_ISH_E10value_typeEPSI_NS1_7vsmem_tEENKUlT_SG_SH_SI_E_clISA_PiSB_PsEESF_SV_SG_SH_SI_EUlSV_E_NS1_11comp_targetILNS1_3genE3ELNS1_11target_archE908ELNS1_3gpuE7ELNS1_3repE0EEENS1_48merge_mergepath_partition_config_static_selectorELNS0_4arch9wavefront6targetE1EEEvSH_,@function
_ZN7rocprim17ROCPRIM_400000_NS6detail17trampoline_kernelINS0_14default_configENS1_38merge_sort_block_merge_config_selectorIisEEZZNS1_27merge_sort_block_merge_implIS3_N6thrust23THRUST_200600_302600_NS10device_ptrIiEENS9_IsEEjNS1_19radix_merge_compareILb0ELb1EiNS0_19identity_decomposerEEEEE10hipError_tT0_T1_T2_jT3_P12ihipStream_tbPNSt15iterator_traitsISG_E10value_typeEPNSM_ISH_E10value_typeEPSI_NS1_7vsmem_tEENKUlT_SG_SH_SI_E_clISA_PiSB_PsEESF_SV_SG_SH_SI_EUlSV_E_NS1_11comp_targetILNS1_3genE3ELNS1_11target_archE908ELNS1_3gpuE7ELNS1_3repE0EEENS1_48merge_mergepath_partition_config_static_selectorELNS0_4arch9wavefront6targetE1EEEvSH_: ; @_ZN7rocprim17ROCPRIM_400000_NS6detail17trampoline_kernelINS0_14default_configENS1_38merge_sort_block_merge_config_selectorIisEEZZNS1_27merge_sort_block_merge_implIS3_N6thrust23THRUST_200600_302600_NS10device_ptrIiEENS9_IsEEjNS1_19radix_merge_compareILb0ELb1EiNS0_19identity_decomposerEEEEE10hipError_tT0_T1_T2_jT3_P12ihipStream_tbPNSt15iterator_traitsISG_E10value_typeEPNSM_ISH_E10value_typeEPSI_NS1_7vsmem_tEENKUlT_SG_SH_SI_E_clISA_PiSB_PsEESF_SV_SG_SH_SI_EUlSV_E_NS1_11comp_targetILNS1_3genE3ELNS1_11target_archE908ELNS1_3gpuE7ELNS1_3repE0EEENS1_48merge_mergepath_partition_config_static_selectorELNS0_4arch9wavefront6targetE1EEEvSH_
; %bb.0:
	.section	.rodata,"a",@progbits
	.p2align	6, 0x0
	.amdhsa_kernel _ZN7rocprim17ROCPRIM_400000_NS6detail17trampoline_kernelINS0_14default_configENS1_38merge_sort_block_merge_config_selectorIisEEZZNS1_27merge_sort_block_merge_implIS3_N6thrust23THRUST_200600_302600_NS10device_ptrIiEENS9_IsEEjNS1_19radix_merge_compareILb0ELb1EiNS0_19identity_decomposerEEEEE10hipError_tT0_T1_T2_jT3_P12ihipStream_tbPNSt15iterator_traitsISG_E10value_typeEPNSM_ISH_E10value_typeEPSI_NS1_7vsmem_tEENKUlT_SG_SH_SI_E_clISA_PiSB_PsEESF_SV_SG_SH_SI_EUlSV_E_NS1_11comp_targetILNS1_3genE3ELNS1_11target_archE908ELNS1_3gpuE7ELNS1_3repE0EEENS1_48merge_mergepath_partition_config_static_selectorELNS0_4arch9wavefront6targetE1EEEvSH_
		.amdhsa_group_segment_fixed_size 0
		.amdhsa_private_segment_fixed_size 0
		.amdhsa_kernarg_size 40
		.amdhsa_user_sgpr_count 2
		.amdhsa_user_sgpr_dispatch_ptr 0
		.amdhsa_user_sgpr_queue_ptr 0
		.amdhsa_user_sgpr_kernarg_segment_ptr 1
		.amdhsa_user_sgpr_dispatch_id 0
		.amdhsa_user_sgpr_kernarg_preload_length 0
		.amdhsa_user_sgpr_kernarg_preload_offset 0
		.amdhsa_user_sgpr_private_segment_size 0
		.amdhsa_uses_dynamic_stack 0
		.amdhsa_enable_private_segment 0
		.amdhsa_system_sgpr_workgroup_id_x 1
		.amdhsa_system_sgpr_workgroup_id_y 0
		.amdhsa_system_sgpr_workgroup_id_z 0
		.amdhsa_system_sgpr_workgroup_info 0
		.amdhsa_system_vgpr_workitem_id 0
		.amdhsa_next_free_vgpr 1
		.amdhsa_next_free_sgpr 0
		.amdhsa_accum_offset 4
		.amdhsa_reserve_vcc 0
		.amdhsa_float_round_mode_32 0
		.amdhsa_float_round_mode_16_64 0
		.amdhsa_float_denorm_mode_32 3
		.amdhsa_float_denorm_mode_16_64 3
		.amdhsa_dx10_clamp 1
		.amdhsa_ieee_mode 1
		.amdhsa_fp16_overflow 0
		.amdhsa_tg_split 0
		.amdhsa_exception_fp_ieee_invalid_op 0
		.amdhsa_exception_fp_denorm_src 0
		.amdhsa_exception_fp_ieee_div_zero 0
		.amdhsa_exception_fp_ieee_overflow 0
		.amdhsa_exception_fp_ieee_underflow 0
		.amdhsa_exception_fp_ieee_inexact 0
		.amdhsa_exception_int_div_zero 0
	.end_amdhsa_kernel
	.section	.text._ZN7rocprim17ROCPRIM_400000_NS6detail17trampoline_kernelINS0_14default_configENS1_38merge_sort_block_merge_config_selectorIisEEZZNS1_27merge_sort_block_merge_implIS3_N6thrust23THRUST_200600_302600_NS10device_ptrIiEENS9_IsEEjNS1_19radix_merge_compareILb0ELb1EiNS0_19identity_decomposerEEEEE10hipError_tT0_T1_T2_jT3_P12ihipStream_tbPNSt15iterator_traitsISG_E10value_typeEPNSM_ISH_E10value_typeEPSI_NS1_7vsmem_tEENKUlT_SG_SH_SI_E_clISA_PiSB_PsEESF_SV_SG_SH_SI_EUlSV_E_NS1_11comp_targetILNS1_3genE3ELNS1_11target_archE908ELNS1_3gpuE7ELNS1_3repE0EEENS1_48merge_mergepath_partition_config_static_selectorELNS0_4arch9wavefront6targetE1EEEvSH_,"axG",@progbits,_ZN7rocprim17ROCPRIM_400000_NS6detail17trampoline_kernelINS0_14default_configENS1_38merge_sort_block_merge_config_selectorIisEEZZNS1_27merge_sort_block_merge_implIS3_N6thrust23THRUST_200600_302600_NS10device_ptrIiEENS9_IsEEjNS1_19radix_merge_compareILb0ELb1EiNS0_19identity_decomposerEEEEE10hipError_tT0_T1_T2_jT3_P12ihipStream_tbPNSt15iterator_traitsISG_E10value_typeEPNSM_ISH_E10value_typeEPSI_NS1_7vsmem_tEENKUlT_SG_SH_SI_E_clISA_PiSB_PsEESF_SV_SG_SH_SI_EUlSV_E_NS1_11comp_targetILNS1_3genE3ELNS1_11target_archE908ELNS1_3gpuE7ELNS1_3repE0EEENS1_48merge_mergepath_partition_config_static_selectorELNS0_4arch9wavefront6targetE1EEEvSH_,comdat
.Lfunc_end2384:
	.size	_ZN7rocprim17ROCPRIM_400000_NS6detail17trampoline_kernelINS0_14default_configENS1_38merge_sort_block_merge_config_selectorIisEEZZNS1_27merge_sort_block_merge_implIS3_N6thrust23THRUST_200600_302600_NS10device_ptrIiEENS9_IsEEjNS1_19radix_merge_compareILb0ELb1EiNS0_19identity_decomposerEEEEE10hipError_tT0_T1_T2_jT3_P12ihipStream_tbPNSt15iterator_traitsISG_E10value_typeEPNSM_ISH_E10value_typeEPSI_NS1_7vsmem_tEENKUlT_SG_SH_SI_E_clISA_PiSB_PsEESF_SV_SG_SH_SI_EUlSV_E_NS1_11comp_targetILNS1_3genE3ELNS1_11target_archE908ELNS1_3gpuE7ELNS1_3repE0EEENS1_48merge_mergepath_partition_config_static_selectorELNS0_4arch9wavefront6targetE1EEEvSH_, .Lfunc_end2384-_ZN7rocprim17ROCPRIM_400000_NS6detail17trampoline_kernelINS0_14default_configENS1_38merge_sort_block_merge_config_selectorIisEEZZNS1_27merge_sort_block_merge_implIS3_N6thrust23THRUST_200600_302600_NS10device_ptrIiEENS9_IsEEjNS1_19radix_merge_compareILb0ELb1EiNS0_19identity_decomposerEEEEE10hipError_tT0_T1_T2_jT3_P12ihipStream_tbPNSt15iterator_traitsISG_E10value_typeEPNSM_ISH_E10value_typeEPSI_NS1_7vsmem_tEENKUlT_SG_SH_SI_E_clISA_PiSB_PsEESF_SV_SG_SH_SI_EUlSV_E_NS1_11comp_targetILNS1_3genE3ELNS1_11target_archE908ELNS1_3gpuE7ELNS1_3repE0EEENS1_48merge_mergepath_partition_config_static_selectorELNS0_4arch9wavefront6targetE1EEEvSH_
                                        ; -- End function
	.set _ZN7rocprim17ROCPRIM_400000_NS6detail17trampoline_kernelINS0_14default_configENS1_38merge_sort_block_merge_config_selectorIisEEZZNS1_27merge_sort_block_merge_implIS3_N6thrust23THRUST_200600_302600_NS10device_ptrIiEENS9_IsEEjNS1_19radix_merge_compareILb0ELb1EiNS0_19identity_decomposerEEEEE10hipError_tT0_T1_T2_jT3_P12ihipStream_tbPNSt15iterator_traitsISG_E10value_typeEPNSM_ISH_E10value_typeEPSI_NS1_7vsmem_tEENKUlT_SG_SH_SI_E_clISA_PiSB_PsEESF_SV_SG_SH_SI_EUlSV_E_NS1_11comp_targetILNS1_3genE3ELNS1_11target_archE908ELNS1_3gpuE7ELNS1_3repE0EEENS1_48merge_mergepath_partition_config_static_selectorELNS0_4arch9wavefront6targetE1EEEvSH_.num_vgpr, 0
	.set _ZN7rocprim17ROCPRIM_400000_NS6detail17trampoline_kernelINS0_14default_configENS1_38merge_sort_block_merge_config_selectorIisEEZZNS1_27merge_sort_block_merge_implIS3_N6thrust23THRUST_200600_302600_NS10device_ptrIiEENS9_IsEEjNS1_19radix_merge_compareILb0ELb1EiNS0_19identity_decomposerEEEEE10hipError_tT0_T1_T2_jT3_P12ihipStream_tbPNSt15iterator_traitsISG_E10value_typeEPNSM_ISH_E10value_typeEPSI_NS1_7vsmem_tEENKUlT_SG_SH_SI_E_clISA_PiSB_PsEESF_SV_SG_SH_SI_EUlSV_E_NS1_11comp_targetILNS1_3genE3ELNS1_11target_archE908ELNS1_3gpuE7ELNS1_3repE0EEENS1_48merge_mergepath_partition_config_static_selectorELNS0_4arch9wavefront6targetE1EEEvSH_.num_agpr, 0
	.set _ZN7rocprim17ROCPRIM_400000_NS6detail17trampoline_kernelINS0_14default_configENS1_38merge_sort_block_merge_config_selectorIisEEZZNS1_27merge_sort_block_merge_implIS3_N6thrust23THRUST_200600_302600_NS10device_ptrIiEENS9_IsEEjNS1_19radix_merge_compareILb0ELb1EiNS0_19identity_decomposerEEEEE10hipError_tT0_T1_T2_jT3_P12ihipStream_tbPNSt15iterator_traitsISG_E10value_typeEPNSM_ISH_E10value_typeEPSI_NS1_7vsmem_tEENKUlT_SG_SH_SI_E_clISA_PiSB_PsEESF_SV_SG_SH_SI_EUlSV_E_NS1_11comp_targetILNS1_3genE3ELNS1_11target_archE908ELNS1_3gpuE7ELNS1_3repE0EEENS1_48merge_mergepath_partition_config_static_selectorELNS0_4arch9wavefront6targetE1EEEvSH_.numbered_sgpr, 0
	.set _ZN7rocprim17ROCPRIM_400000_NS6detail17trampoline_kernelINS0_14default_configENS1_38merge_sort_block_merge_config_selectorIisEEZZNS1_27merge_sort_block_merge_implIS3_N6thrust23THRUST_200600_302600_NS10device_ptrIiEENS9_IsEEjNS1_19radix_merge_compareILb0ELb1EiNS0_19identity_decomposerEEEEE10hipError_tT0_T1_T2_jT3_P12ihipStream_tbPNSt15iterator_traitsISG_E10value_typeEPNSM_ISH_E10value_typeEPSI_NS1_7vsmem_tEENKUlT_SG_SH_SI_E_clISA_PiSB_PsEESF_SV_SG_SH_SI_EUlSV_E_NS1_11comp_targetILNS1_3genE3ELNS1_11target_archE908ELNS1_3gpuE7ELNS1_3repE0EEENS1_48merge_mergepath_partition_config_static_selectorELNS0_4arch9wavefront6targetE1EEEvSH_.num_named_barrier, 0
	.set _ZN7rocprim17ROCPRIM_400000_NS6detail17trampoline_kernelINS0_14default_configENS1_38merge_sort_block_merge_config_selectorIisEEZZNS1_27merge_sort_block_merge_implIS3_N6thrust23THRUST_200600_302600_NS10device_ptrIiEENS9_IsEEjNS1_19radix_merge_compareILb0ELb1EiNS0_19identity_decomposerEEEEE10hipError_tT0_T1_T2_jT3_P12ihipStream_tbPNSt15iterator_traitsISG_E10value_typeEPNSM_ISH_E10value_typeEPSI_NS1_7vsmem_tEENKUlT_SG_SH_SI_E_clISA_PiSB_PsEESF_SV_SG_SH_SI_EUlSV_E_NS1_11comp_targetILNS1_3genE3ELNS1_11target_archE908ELNS1_3gpuE7ELNS1_3repE0EEENS1_48merge_mergepath_partition_config_static_selectorELNS0_4arch9wavefront6targetE1EEEvSH_.private_seg_size, 0
	.set _ZN7rocprim17ROCPRIM_400000_NS6detail17trampoline_kernelINS0_14default_configENS1_38merge_sort_block_merge_config_selectorIisEEZZNS1_27merge_sort_block_merge_implIS3_N6thrust23THRUST_200600_302600_NS10device_ptrIiEENS9_IsEEjNS1_19radix_merge_compareILb0ELb1EiNS0_19identity_decomposerEEEEE10hipError_tT0_T1_T2_jT3_P12ihipStream_tbPNSt15iterator_traitsISG_E10value_typeEPNSM_ISH_E10value_typeEPSI_NS1_7vsmem_tEENKUlT_SG_SH_SI_E_clISA_PiSB_PsEESF_SV_SG_SH_SI_EUlSV_E_NS1_11comp_targetILNS1_3genE3ELNS1_11target_archE908ELNS1_3gpuE7ELNS1_3repE0EEENS1_48merge_mergepath_partition_config_static_selectorELNS0_4arch9wavefront6targetE1EEEvSH_.uses_vcc, 0
	.set _ZN7rocprim17ROCPRIM_400000_NS6detail17trampoline_kernelINS0_14default_configENS1_38merge_sort_block_merge_config_selectorIisEEZZNS1_27merge_sort_block_merge_implIS3_N6thrust23THRUST_200600_302600_NS10device_ptrIiEENS9_IsEEjNS1_19radix_merge_compareILb0ELb1EiNS0_19identity_decomposerEEEEE10hipError_tT0_T1_T2_jT3_P12ihipStream_tbPNSt15iterator_traitsISG_E10value_typeEPNSM_ISH_E10value_typeEPSI_NS1_7vsmem_tEENKUlT_SG_SH_SI_E_clISA_PiSB_PsEESF_SV_SG_SH_SI_EUlSV_E_NS1_11comp_targetILNS1_3genE3ELNS1_11target_archE908ELNS1_3gpuE7ELNS1_3repE0EEENS1_48merge_mergepath_partition_config_static_selectorELNS0_4arch9wavefront6targetE1EEEvSH_.uses_flat_scratch, 0
	.set _ZN7rocprim17ROCPRIM_400000_NS6detail17trampoline_kernelINS0_14default_configENS1_38merge_sort_block_merge_config_selectorIisEEZZNS1_27merge_sort_block_merge_implIS3_N6thrust23THRUST_200600_302600_NS10device_ptrIiEENS9_IsEEjNS1_19radix_merge_compareILb0ELb1EiNS0_19identity_decomposerEEEEE10hipError_tT0_T1_T2_jT3_P12ihipStream_tbPNSt15iterator_traitsISG_E10value_typeEPNSM_ISH_E10value_typeEPSI_NS1_7vsmem_tEENKUlT_SG_SH_SI_E_clISA_PiSB_PsEESF_SV_SG_SH_SI_EUlSV_E_NS1_11comp_targetILNS1_3genE3ELNS1_11target_archE908ELNS1_3gpuE7ELNS1_3repE0EEENS1_48merge_mergepath_partition_config_static_selectorELNS0_4arch9wavefront6targetE1EEEvSH_.has_dyn_sized_stack, 0
	.set _ZN7rocprim17ROCPRIM_400000_NS6detail17trampoline_kernelINS0_14default_configENS1_38merge_sort_block_merge_config_selectorIisEEZZNS1_27merge_sort_block_merge_implIS3_N6thrust23THRUST_200600_302600_NS10device_ptrIiEENS9_IsEEjNS1_19radix_merge_compareILb0ELb1EiNS0_19identity_decomposerEEEEE10hipError_tT0_T1_T2_jT3_P12ihipStream_tbPNSt15iterator_traitsISG_E10value_typeEPNSM_ISH_E10value_typeEPSI_NS1_7vsmem_tEENKUlT_SG_SH_SI_E_clISA_PiSB_PsEESF_SV_SG_SH_SI_EUlSV_E_NS1_11comp_targetILNS1_3genE3ELNS1_11target_archE908ELNS1_3gpuE7ELNS1_3repE0EEENS1_48merge_mergepath_partition_config_static_selectorELNS0_4arch9wavefront6targetE1EEEvSH_.has_recursion, 0
	.set _ZN7rocprim17ROCPRIM_400000_NS6detail17trampoline_kernelINS0_14default_configENS1_38merge_sort_block_merge_config_selectorIisEEZZNS1_27merge_sort_block_merge_implIS3_N6thrust23THRUST_200600_302600_NS10device_ptrIiEENS9_IsEEjNS1_19radix_merge_compareILb0ELb1EiNS0_19identity_decomposerEEEEE10hipError_tT0_T1_T2_jT3_P12ihipStream_tbPNSt15iterator_traitsISG_E10value_typeEPNSM_ISH_E10value_typeEPSI_NS1_7vsmem_tEENKUlT_SG_SH_SI_E_clISA_PiSB_PsEESF_SV_SG_SH_SI_EUlSV_E_NS1_11comp_targetILNS1_3genE3ELNS1_11target_archE908ELNS1_3gpuE7ELNS1_3repE0EEENS1_48merge_mergepath_partition_config_static_selectorELNS0_4arch9wavefront6targetE1EEEvSH_.has_indirect_call, 0
	.section	.AMDGPU.csdata,"",@progbits
; Kernel info:
; codeLenInByte = 0
; TotalNumSgprs: 6
; NumVgprs: 0
; NumAgprs: 0
; TotalNumVgprs: 0
; ScratchSize: 0
; MemoryBound: 0
; FloatMode: 240
; IeeeMode: 1
; LDSByteSize: 0 bytes/workgroup (compile time only)
; SGPRBlocks: 0
; VGPRBlocks: 0
; NumSGPRsForWavesPerEU: 6
; NumVGPRsForWavesPerEU: 1
; AccumOffset: 4
; Occupancy: 8
; WaveLimiterHint : 0
; COMPUTE_PGM_RSRC2:SCRATCH_EN: 0
; COMPUTE_PGM_RSRC2:USER_SGPR: 2
; COMPUTE_PGM_RSRC2:TRAP_HANDLER: 0
; COMPUTE_PGM_RSRC2:TGID_X_EN: 1
; COMPUTE_PGM_RSRC2:TGID_Y_EN: 0
; COMPUTE_PGM_RSRC2:TGID_Z_EN: 0
; COMPUTE_PGM_RSRC2:TIDIG_COMP_CNT: 0
; COMPUTE_PGM_RSRC3_GFX90A:ACCUM_OFFSET: 0
; COMPUTE_PGM_RSRC3_GFX90A:TG_SPLIT: 0
	.section	.text._ZN7rocprim17ROCPRIM_400000_NS6detail17trampoline_kernelINS0_14default_configENS1_38merge_sort_block_merge_config_selectorIisEEZZNS1_27merge_sort_block_merge_implIS3_N6thrust23THRUST_200600_302600_NS10device_ptrIiEENS9_IsEEjNS1_19radix_merge_compareILb0ELb1EiNS0_19identity_decomposerEEEEE10hipError_tT0_T1_T2_jT3_P12ihipStream_tbPNSt15iterator_traitsISG_E10value_typeEPNSM_ISH_E10value_typeEPSI_NS1_7vsmem_tEENKUlT_SG_SH_SI_E_clISA_PiSB_PsEESF_SV_SG_SH_SI_EUlSV_E_NS1_11comp_targetILNS1_3genE2ELNS1_11target_archE906ELNS1_3gpuE6ELNS1_3repE0EEENS1_48merge_mergepath_partition_config_static_selectorELNS0_4arch9wavefront6targetE1EEEvSH_,"axG",@progbits,_ZN7rocprim17ROCPRIM_400000_NS6detail17trampoline_kernelINS0_14default_configENS1_38merge_sort_block_merge_config_selectorIisEEZZNS1_27merge_sort_block_merge_implIS3_N6thrust23THRUST_200600_302600_NS10device_ptrIiEENS9_IsEEjNS1_19radix_merge_compareILb0ELb1EiNS0_19identity_decomposerEEEEE10hipError_tT0_T1_T2_jT3_P12ihipStream_tbPNSt15iterator_traitsISG_E10value_typeEPNSM_ISH_E10value_typeEPSI_NS1_7vsmem_tEENKUlT_SG_SH_SI_E_clISA_PiSB_PsEESF_SV_SG_SH_SI_EUlSV_E_NS1_11comp_targetILNS1_3genE2ELNS1_11target_archE906ELNS1_3gpuE6ELNS1_3repE0EEENS1_48merge_mergepath_partition_config_static_selectorELNS0_4arch9wavefront6targetE1EEEvSH_,comdat
	.protected	_ZN7rocprim17ROCPRIM_400000_NS6detail17trampoline_kernelINS0_14default_configENS1_38merge_sort_block_merge_config_selectorIisEEZZNS1_27merge_sort_block_merge_implIS3_N6thrust23THRUST_200600_302600_NS10device_ptrIiEENS9_IsEEjNS1_19radix_merge_compareILb0ELb1EiNS0_19identity_decomposerEEEEE10hipError_tT0_T1_T2_jT3_P12ihipStream_tbPNSt15iterator_traitsISG_E10value_typeEPNSM_ISH_E10value_typeEPSI_NS1_7vsmem_tEENKUlT_SG_SH_SI_E_clISA_PiSB_PsEESF_SV_SG_SH_SI_EUlSV_E_NS1_11comp_targetILNS1_3genE2ELNS1_11target_archE906ELNS1_3gpuE6ELNS1_3repE0EEENS1_48merge_mergepath_partition_config_static_selectorELNS0_4arch9wavefront6targetE1EEEvSH_ ; -- Begin function _ZN7rocprim17ROCPRIM_400000_NS6detail17trampoline_kernelINS0_14default_configENS1_38merge_sort_block_merge_config_selectorIisEEZZNS1_27merge_sort_block_merge_implIS3_N6thrust23THRUST_200600_302600_NS10device_ptrIiEENS9_IsEEjNS1_19radix_merge_compareILb0ELb1EiNS0_19identity_decomposerEEEEE10hipError_tT0_T1_T2_jT3_P12ihipStream_tbPNSt15iterator_traitsISG_E10value_typeEPNSM_ISH_E10value_typeEPSI_NS1_7vsmem_tEENKUlT_SG_SH_SI_E_clISA_PiSB_PsEESF_SV_SG_SH_SI_EUlSV_E_NS1_11comp_targetILNS1_3genE2ELNS1_11target_archE906ELNS1_3gpuE6ELNS1_3repE0EEENS1_48merge_mergepath_partition_config_static_selectorELNS0_4arch9wavefront6targetE1EEEvSH_
	.globl	_ZN7rocprim17ROCPRIM_400000_NS6detail17trampoline_kernelINS0_14default_configENS1_38merge_sort_block_merge_config_selectorIisEEZZNS1_27merge_sort_block_merge_implIS3_N6thrust23THRUST_200600_302600_NS10device_ptrIiEENS9_IsEEjNS1_19radix_merge_compareILb0ELb1EiNS0_19identity_decomposerEEEEE10hipError_tT0_T1_T2_jT3_P12ihipStream_tbPNSt15iterator_traitsISG_E10value_typeEPNSM_ISH_E10value_typeEPSI_NS1_7vsmem_tEENKUlT_SG_SH_SI_E_clISA_PiSB_PsEESF_SV_SG_SH_SI_EUlSV_E_NS1_11comp_targetILNS1_3genE2ELNS1_11target_archE906ELNS1_3gpuE6ELNS1_3repE0EEENS1_48merge_mergepath_partition_config_static_selectorELNS0_4arch9wavefront6targetE1EEEvSH_
	.p2align	8
	.type	_ZN7rocprim17ROCPRIM_400000_NS6detail17trampoline_kernelINS0_14default_configENS1_38merge_sort_block_merge_config_selectorIisEEZZNS1_27merge_sort_block_merge_implIS3_N6thrust23THRUST_200600_302600_NS10device_ptrIiEENS9_IsEEjNS1_19radix_merge_compareILb0ELb1EiNS0_19identity_decomposerEEEEE10hipError_tT0_T1_T2_jT3_P12ihipStream_tbPNSt15iterator_traitsISG_E10value_typeEPNSM_ISH_E10value_typeEPSI_NS1_7vsmem_tEENKUlT_SG_SH_SI_E_clISA_PiSB_PsEESF_SV_SG_SH_SI_EUlSV_E_NS1_11comp_targetILNS1_3genE2ELNS1_11target_archE906ELNS1_3gpuE6ELNS1_3repE0EEENS1_48merge_mergepath_partition_config_static_selectorELNS0_4arch9wavefront6targetE1EEEvSH_,@function
_ZN7rocprim17ROCPRIM_400000_NS6detail17trampoline_kernelINS0_14default_configENS1_38merge_sort_block_merge_config_selectorIisEEZZNS1_27merge_sort_block_merge_implIS3_N6thrust23THRUST_200600_302600_NS10device_ptrIiEENS9_IsEEjNS1_19radix_merge_compareILb0ELb1EiNS0_19identity_decomposerEEEEE10hipError_tT0_T1_T2_jT3_P12ihipStream_tbPNSt15iterator_traitsISG_E10value_typeEPNSM_ISH_E10value_typeEPSI_NS1_7vsmem_tEENKUlT_SG_SH_SI_E_clISA_PiSB_PsEESF_SV_SG_SH_SI_EUlSV_E_NS1_11comp_targetILNS1_3genE2ELNS1_11target_archE906ELNS1_3gpuE6ELNS1_3repE0EEENS1_48merge_mergepath_partition_config_static_selectorELNS0_4arch9wavefront6targetE1EEEvSH_: ; @_ZN7rocprim17ROCPRIM_400000_NS6detail17trampoline_kernelINS0_14default_configENS1_38merge_sort_block_merge_config_selectorIisEEZZNS1_27merge_sort_block_merge_implIS3_N6thrust23THRUST_200600_302600_NS10device_ptrIiEENS9_IsEEjNS1_19radix_merge_compareILb0ELb1EiNS0_19identity_decomposerEEEEE10hipError_tT0_T1_T2_jT3_P12ihipStream_tbPNSt15iterator_traitsISG_E10value_typeEPNSM_ISH_E10value_typeEPSI_NS1_7vsmem_tEENKUlT_SG_SH_SI_E_clISA_PiSB_PsEESF_SV_SG_SH_SI_EUlSV_E_NS1_11comp_targetILNS1_3genE2ELNS1_11target_archE906ELNS1_3gpuE6ELNS1_3repE0EEENS1_48merge_mergepath_partition_config_static_selectorELNS0_4arch9wavefront6targetE1EEEvSH_
; %bb.0:
	.section	.rodata,"a",@progbits
	.p2align	6, 0x0
	.amdhsa_kernel _ZN7rocprim17ROCPRIM_400000_NS6detail17trampoline_kernelINS0_14default_configENS1_38merge_sort_block_merge_config_selectorIisEEZZNS1_27merge_sort_block_merge_implIS3_N6thrust23THRUST_200600_302600_NS10device_ptrIiEENS9_IsEEjNS1_19radix_merge_compareILb0ELb1EiNS0_19identity_decomposerEEEEE10hipError_tT0_T1_T2_jT3_P12ihipStream_tbPNSt15iterator_traitsISG_E10value_typeEPNSM_ISH_E10value_typeEPSI_NS1_7vsmem_tEENKUlT_SG_SH_SI_E_clISA_PiSB_PsEESF_SV_SG_SH_SI_EUlSV_E_NS1_11comp_targetILNS1_3genE2ELNS1_11target_archE906ELNS1_3gpuE6ELNS1_3repE0EEENS1_48merge_mergepath_partition_config_static_selectorELNS0_4arch9wavefront6targetE1EEEvSH_
		.amdhsa_group_segment_fixed_size 0
		.amdhsa_private_segment_fixed_size 0
		.amdhsa_kernarg_size 40
		.amdhsa_user_sgpr_count 2
		.amdhsa_user_sgpr_dispatch_ptr 0
		.amdhsa_user_sgpr_queue_ptr 0
		.amdhsa_user_sgpr_kernarg_segment_ptr 1
		.amdhsa_user_sgpr_dispatch_id 0
		.amdhsa_user_sgpr_kernarg_preload_length 0
		.amdhsa_user_sgpr_kernarg_preload_offset 0
		.amdhsa_user_sgpr_private_segment_size 0
		.amdhsa_uses_dynamic_stack 0
		.amdhsa_enable_private_segment 0
		.amdhsa_system_sgpr_workgroup_id_x 1
		.amdhsa_system_sgpr_workgroup_id_y 0
		.amdhsa_system_sgpr_workgroup_id_z 0
		.amdhsa_system_sgpr_workgroup_info 0
		.amdhsa_system_vgpr_workitem_id 0
		.amdhsa_next_free_vgpr 1
		.amdhsa_next_free_sgpr 0
		.amdhsa_accum_offset 4
		.amdhsa_reserve_vcc 0
		.amdhsa_float_round_mode_32 0
		.amdhsa_float_round_mode_16_64 0
		.amdhsa_float_denorm_mode_32 3
		.amdhsa_float_denorm_mode_16_64 3
		.amdhsa_dx10_clamp 1
		.amdhsa_ieee_mode 1
		.amdhsa_fp16_overflow 0
		.amdhsa_tg_split 0
		.amdhsa_exception_fp_ieee_invalid_op 0
		.amdhsa_exception_fp_denorm_src 0
		.amdhsa_exception_fp_ieee_div_zero 0
		.amdhsa_exception_fp_ieee_overflow 0
		.amdhsa_exception_fp_ieee_underflow 0
		.amdhsa_exception_fp_ieee_inexact 0
		.amdhsa_exception_int_div_zero 0
	.end_amdhsa_kernel
	.section	.text._ZN7rocprim17ROCPRIM_400000_NS6detail17trampoline_kernelINS0_14default_configENS1_38merge_sort_block_merge_config_selectorIisEEZZNS1_27merge_sort_block_merge_implIS3_N6thrust23THRUST_200600_302600_NS10device_ptrIiEENS9_IsEEjNS1_19radix_merge_compareILb0ELb1EiNS0_19identity_decomposerEEEEE10hipError_tT0_T1_T2_jT3_P12ihipStream_tbPNSt15iterator_traitsISG_E10value_typeEPNSM_ISH_E10value_typeEPSI_NS1_7vsmem_tEENKUlT_SG_SH_SI_E_clISA_PiSB_PsEESF_SV_SG_SH_SI_EUlSV_E_NS1_11comp_targetILNS1_3genE2ELNS1_11target_archE906ELNS1_3gpuE6ELNS1_3repE0EEENS1_48merge_mergepath_partition_config_static_selectorELNS0_4arch9wavefront6targetE1EEEvSH_,"axG",@progbits,_ZN7rocprim17ROCPRIM_400000_NS6detail17trampoline_kernelINS0_14default_configENS1_38merge_sort_block_merge_config_selectorIisEEZZNS1_27merge_sort_block_merge_implIS3_N6thrust23THRUST_200600_302600_NS10device_ptrIiEENS9_IsEEjNS1_19radix_merge_compareILb0ELb1EiNS0_19identity_decomposerEEEEE10hipError_tT0_T1_T2_jT3_P12ihipStream_tbPNSt15iterator_traitsISG_E10value_typeEPNSM_ISH_E10value_typeEPSI_NS1_7vsmem_tEENKUlT_SG_SH_SI_E_clISA_PiSB_PsEESF_SV_SG_SH_SI_EUlSV_E_NS1_11comp_targetILNS1_3genE2ELNS1_11target_archE906ELNS1_3gpuE6ELNS1_3repE0EEENS1_48merge_mergepath_partition_config_static_selectorELNS0_4arch9wavefront6targetE1EEEvSH_,comdat
.Lfunc_end2385:
	.size	_ZN7rocprim17ROCPRIM_400000_NS6detail17trampoline_kernelINS0_14default_configENS1_38merge_sort_block_merge_config_selectorIisEEZZNS1_27merge_sort_block_merge_implIS3_N6thrust23THRUST_200600_302600_NS10device_ptrIiEENS9_IsEEjNS1_19radix_merge_compareILb0ELb1EiNS0_19identity_decomposerEEEEE10hipError_tT0_T1_T2_jT3_P12ihipStream_tbPNSt15iterator_traitsISG_E10value_typeEPNSM_ISH_E10value_typeEPSI_NS1_7vsmem_tEENKUlT_SG_SH_SI_E_clISA_PiSB_PsEESF_SV_SG_SH_SI_EUlSV_E_NS1_11comp_targetILNS1_3genE2ELNS1_11target_archE906ELNS1_3gpuE6ELNS1_3repE0EEENS1_48merge_mergepath_partition_config_static_selectorELNS0_4arch9wavefront6targetE1EEEvSH_, .Lfunc_end2385-_ZN7rocprim17ROCPRIM_400000_NS6detail17trampoline_kernelINS0_14default_configENS1_38merge_sort_block_merge_config_selectorIisEEZZNS1_27merge_sort_block_merge_implIS3_N6thrust23THRUST_200600_302600_NS10device_ptrIiEENS9_IsEEjNS1_19radix_merge_compareILb0ELb1EiNS0_19identity_decomposerEEEEE10hipError_tT0_T1_T2_jT3_P12ihipStream_tbPNSt15iterator_traitsISG_E10value_typeEPNSM_ISH_E10value_typeEPSI_NS1_7vsmem_tEENKUlT_SG_SH_SI_E_clISA_PiSB_PsEESF_SV_SG_SH_SI_EUlSV_E_NS1_11comp_targetILNS1_3genE2ELNS1_11target_archE906ELNS1_3gpuE6ELNS1_3repE0EEENS1_48merge_mergepath_partition_config_static_selectorELNS0_4arch9wavefront6targetE1EEEvSH_
                                        ; -- End function
	.set _ZN7rocprim17ROCPRIM_400000_NS6detail17trampoline_kernelINS0_14default_configENS1_38merge_sort_block_merge_config_selectorIisEEZZNS1_27merge_sort_block_merge_implIS3_N6thrust23THRUST_200600_302600_NS10device_ptrIiEENS9_IsEEjNS1_19radix_merge_compareILb0ELb1EiNS0_19identity_decomposerEEEEE10hipError_tT0_T1_T2_jT3_P12ihipStream_tbPNSt15iterator_traitsISG_E10value_typeEPNSM_ISH_E10value_typeEPSI_NS1_7vsmem_tEENKUlT_SG_SH_SI_E_clISA_PiSB_PsEESF_SV_SG_SH_SI_EUlSV_E_NS1_11comp_targetILNS1_3genE2ELNS1_11target_archE906ELNS1_3gpuE6ELNS1_3repE0EEENS1_48merge_mergepath_partition_config_static_selectorELNS0_4arch9wavefront6targetE1EEEvSH_.num_vgpr, 0
	.set _ZN7rocprim17ROCPRIM_400000_NS6detail17trampoline_kernelINS0_14default_configENS1_38merge_sort_block_merge_config_selectorIisEEZZNS1_27merge_sort_block_merge_implIS3_N6thrust23THRUST_200600_302600_NS10device_ptrIiEENS9_IsEEjNS1_19radix_merge_compareILb0ELb1EiNS0_19identity_decomposerEEEEE10hipError_tT0_T1_T2_jT3_P12ihipStream_tbPNSt15iterator_traitsISG_E10value_typeEPNSM_ISH_E10value_typeEPSI_NS1_7vsmem_tEENKUlT_SG_SH_SI_E_clISA_PiSB_PsEESF_SV_SG_SH_SI_EUlSV_E_NS1_11comp_targetILNS1_3genE2ELNS1_11target_archE906ELNS1_3gpuE6ELNS1_3repE0EEENS1_48merge_mergepath_partition_config_static_selectorELNS0_4arch9wavefront6targetE1EEEvSH_.num_agpr, 0
	.set _ZN7rocprim17ROCPRIM_400000_NS6detail17trampoline_kernelINS0_14default_configENS1_38merge_sort_block_merge_config_selectorIisEEZZNS1_27merge_sort_block_merge_implIS3_N6thrust23THRUST_200600_302600_NS10device_ptrIiEENS9_IsEEjNS1_19radix_merge_compareILb0ELb1EiNS0_19identity_decomposerEEEEE10hipError_tT0_T1_T2_jT3_P12ihipStream_tbPNSt15iterator_traitsISG_E10value_typeEPNSM_ISH_E10value_typeEPSI_NS1_7vsmem_tEENKUlT_SG_SH_SI_E_clISA_PiSB_PsEESF_SV_SG_SH_SI_EUlSV_E_NS1_11comp_targetILNS1_3genE2ELNS1_11target_archE906ELNS1_3gpuE6ELNS1_3repE0EEENS1_48merge_mergepath_partition_config_static_selectorELNS0_4arch9wavefront6targetE1EEEvSH_.numbered_sgpr, 0
	.set _ZN7rocprim17ROCPRIM_400000_NS6detail17trampoline_kernelINS0_14default_configENS1_38merge_sort_block_merge_config_selectorIisEEZZNS1_27merge_sort_block_merge_implIS3_N6thrust23THRUST_200600_302600_NS10device_ptrIiEENS9_IsEEjNS1_19radix_merge_compareILb0ELb1EiNS0_19identity_decomposerEEEEE10hipError_tT0_T1_T2_jT3_P12ihipStream_tbPNSt15iterator_traitsISG_E10value_typeEPNSM_ISH_E10value_typeEPSI_NS1_7vsmem_tEENKUlT_SG_SH_SI_E_clISA_PiSB_PsEESF_SV_SG_SH_SI_EUlSV_E_NS1_11comp_targetILNS1_3genE2ELNS1_11target_archE906ELNS1_3gpuE6ELNS1_3repE0EEENS1_48merge_mergepath_partition_config_static_selectorELNS0_4arch9wavefront6targetE1EEEvSH_.num_named_barrier, 0
	.set _ZN7rocprim17ROCPRIM_400000_NS6detail17trampoline_kernelINS0_14default_configENS1_38merge_sort_block_merge_config_selectorIisEEZZNS1_27merge_sort_block_merge_implIS3_N6thrust23THRUST_200600_302600_NS10device_ptrIiEENS9_IsEEjNS1_19radix_merge_compareILb0ELb1EiNS0_19identity_decomposerEEEEE10hipError_tT0_T1_T2_jT3_P12ihipStream_tbPNSt15iterator_traitsISG_E10value_typeEPNSM_ISH_E10value_typeEPSI_NS1_7vsmem_tEENKUlT_SG_SH_SI_E_clISA_PiSB_PsEESF_SV_SG_SH_SI_EUlSV_E_NS1_11comp_targetILNS1_3genE2ELNS1_11target_archE906ELNS1_3gpuE6ELNS1_3repE0EEENS1_48merge_mergepath_partition_config_static_selectorELNS0_4arch9wavefront6targetE1EEEvSH_.private_seg_size, 0
	.set _ZN7rocprim17ROCPRIM_400000_NS6detail17trampoline_kernelINS0_14default_configENS1_38merge_sort_block_merge_config_selectorIisEEZZNS1_27merge_sort_block_merge_implIS3_N6thrust23THRUST_200600_302600_NS10device_ptrIiEENS9_IsEEjNS1_19radix_merge_compareILb0ELb1EiNS0_19identity_decomposerEEEEE10hipError_tT0_T1_T2_jT3_P12ihipStream_tbPNSt15iterator_traitsISG_E10value_typeEPNSM_ISH_E10value_typeEPSI_NS1_7vsmem_tEENKUlT_SG_SH_SI_E_clISA_PiSB_PsEESF_SV_SG_SH_SI_EUlSV_E_NS1_11comp_targetILNS1_3genE2ELNS1_11target_archE906ELNS1_3gpuE6ELNS1_3repE0EEENS1_48merge_mergepath_partition_config_static_selectorELNS0_4arch9wavefront6targetE1EEEvSH_.uses_vcc, 0
	.set _ZN7rocprim17ROCPRIM_400000_NS6detail17trampoline_kernelINS0_14default_configENS1_38merge_sort_block_merge_config_selectorIisEEZZNS1_27merge_sort_block_merge_implIS3_N6thrust23THRUST_200600_302600_NS10device_ptrIiEENS9_IsEEjNS1_19radix_merge_compareILb0ELb1EiNS0_19identity_decomposerEEEEE10hipError_tT0_T1_T2_jT3_P12ihipStream_tbPNSt15iterator_traitsISG_E10value_typeEPNSM_ISH_E10value_typeEPSI_NS1_7vsmem_tEENKUlT_SG_SH_SI_E_clISA_PiSB_PsEESF_SV_SG_SH_SI_EUlSV_E_NS1_11comp_targetILNS1_3genE2ELNS1_11target_archE906ELNS1_3gpuE6ELNS1_3repE0EEENS1_48merge_mergepath_partition_config_static_selectorELNS0_4arch9wavefront6targetE1EEEvSH_.uses_flat_scratch, 0
	.set _ZN7rocprim17ROCPRIM_400000_NS6detail17trampoline_kernelINS0_14default_configENS1_38merge_sort_block_merge_config_selectorIisEEZZNS1_27merge_sort_block_merge_implIS3_N6thrust23THRUST_200600_302600_NS10device_ptrIiEENS9_IsEEjNS1_19radix_merge_compareILb0ELb1EiNS0_19identity_decomposerEEEEE10hipError_tT0_T1_T2_jT3_P12ihipStream_tbPNSt15iterator_traitsISG_E10value_typeEPNSM_ISH_E10value_typeEPSI_NS1_7vsmem_tEENKUlT_SG_SH_SI_E_clISA_PiSB_PsEESF_SV_SG_SH_SI_EUlSV_E_NS1_11comp_targetILNS1_3genE2ELNS1_11target_archE906ELNS1_3gpuE6ELNS1_3repE0EEENS1_48merge_mergepath_partition_config_static_selectorELNS0_4arch9wavefront6targetE1EEEvSH_.has_dyn_sized_stack, 0
	.set _ZN7rocprim17ROCPRIM_400000_NS6detail17trampoline_kernelINS0_14default_configENS1_38merge_sort_block_merge_config_selectorIisEEZZNS1_27merge_sort_block_merge_implIS3_N6thrust23THRUST_200600_302600_NS10device_ptrIiEENS9_IsEEjNS1_19radix_merge_compareILb0ELb1EiNS0_19identity_decomposerEEEEE10hipError_tT0_T1_T2_jT3_P12ihipStream_tbPNSt15iterator_traitsISG_E10value_typeEPNSM_ISH_E10value_typeEPSI_NS1_7vsmem_tEENKUlT_SG_SH_SI_E_clISA_PiSB_PsEESF_SV_SG_SH_SI_EUlSV_E_NS1_11comp_targetILNS1_3genE2ELNS1_11target_archE906ELNS1_3gpuE6ELNS1_3repE0EEENS1_48merge_mergepath_partition_config_static_selectorELNS0_4arch9wavefront6targetE1EEEvSH_.has_recursion, 0
	.set _ZN7rocprim17ROCPRIM_400000_NS6detail17trampoline_kernelINS0_14default_configENS1_38merge_sort_block_merge_config_selectorIisEEZZNS1_27merge_sort_block_merge_implIS3_N6thrust23THRUST_200600_302600_NS10device_ptrIiEENS9_IsEEjNS1_19radix_merge_compareILb0ELb1EiNS0_19identity_decomposerEEEEE10hipError_tT0_T1_T2_jT3_P12ihipStream_tbPNSt15iterator_traitsISG_E10value_typeEPNSM_ISH_E10value_typeEPSI_NS1_7vsmem_tEENKUlT_SG_SH_SI_E_clISA_PiSB_PsEESF_SV_SG_SH_SI_EUlSV_E_NS1_11comp_targetILNS1_3genE2ELNS1_11target_archE906ELNS1_3gpuE6ELNS1_3repE0EEENS1_48merge_mergepath_partition_config_static_selectorELNS0_4arch9wavefront6targetE1EEEvSH_.has_indirect_call, 0
	.section	.AMDGPU.csdata,"",@progbits
; Kernel info:
; codeLenInByte = 0
; TotalNumSgprs: 6
; NumVgprs: 0
; NumAgprs: 0
; TotalNumVgprs: 0
; ScratchSize: 0
; MemoryBound: 0
; FloatMode: 240
; IeeeMode: 1
; LDSByteSize: 0 bytes/workgroup (compile time only)
; SGPRBlocks: 0
; VGPRBlocks: 0
; NumSGPRsForWavesPerEU: 6
; NumVGPRsForWavesPerEU: 1
; AccumOffset: 4
; Occupancy: 8
; WaveLimiterHint : 0
; COMPUTE_PGM_RSRC2:SCRATCH_EN: 0
; COMPUTE_PGM_RSRC2:USER_SGPR: 2
; COMPUTE_PGM_RSRC2:TRAP_HANDLER: 0
; COMPUTE_PGM_RSRC2:TGID_X_EN: 1
; COMPUTE_PGM_RSRC2:TGID_Y_EN: 0
; COMPUTE_PGM_RSRC2:TGID_Z_EN: 0
; COMPUTE_PGM_RSRC2:TIDIG_COMP_CNT: 0
; COMPUTE_PGM_RSRC3_GFX90A:ACCUM_OFFSET: 0
; COMPUTE_PGM_RSRC3_GFX90A:TG_SPLIT: 0
	.section	.text._ZN7rocprim17ROCPRIM_400000_NS6detail17trampoline_kernelINS0_14default_configENS1_38merge_sort_block_merge_config_selectorIisEEZZNS1_27merge_sort_block_merge_implIS3_N6thrust23THRUST_200600_302600_NS10device_ptrIiEENS9_IsEEjNS1_19radix_merge_compareILb0ELb1EiNS0_19identity_decomposerEEEEE10hipError_tT0_T1_T2_jT3_P12ihipStream_tbPNSt15iterator_traitsISG_E10value_typeEPNSM_ISH_E10value_typeEPSI_NS1_7vsmem_tEENKUlT_SG_SH_SI_E_clISA_PiSB_PsEESF_SV_SG_SH_SI_EUlSV_E_NS1_11comp_targetILNS1_3genE9ELNS1_11target_archE1100ELNS1_3gpuE3ELNS1_3repE0EEENS1_48merge_mergepath_partition_config_static_selectorELNS0_4arch9wavefront6targetE1EEEvSH_,"axG",@progbits,_ZN7rocprim17ROCPRIM_400000_NS6detail17trampoline_kernelINS0_14default_configENS1_38merge_sort_block_merge_config_selectorIisEEZZNS1_27merge_sort_block_merge_implIS3_N6thrust23THRUST_200600_302600_NS10device_ptrIiEENS9_IsEEjNS1_19radix_merge_compareILb0ELb1EiNS0_19identity_decomposerEEEEE10hipError_tT0_T1_T2_jT3_P12ihipStream_tbPNSt15iterator_traitsISG_E10value_typeEPNSM_ISH_E10value_typeEPSI_NS1_7vsmem_tEENKUlT_SG_SH_SI_E_clISA_PiSB_PsEESF_SV_SG_SH_SI_EUlSV_E_NS1_11comp_targetILNS1_3genE9ELNS1_11target_archE1100ELNS1_3gpuE3ELNS1_3repE0EEENS1_48merge_mergepath_partition_config_static_selectorELNS0_4arch9wavefront6targetE1EEEvSH_,comdat
	.protected	_ZN7rocprim17ROCPRIM_400000_NS6detail17trampoline_kernelINS0_14default_configENS1_38merge_sort_block_merge_config_selectorIisEEZZNS1_27merge_sort_block_merge_implIS3_N6thrust23THRUST_200600_302600_NS10device_ptrIiEENS9_IsEEjNS1_19radix_merge_compareILb0ELb1EiNS0_19identity_decomposerEEEEE10hipError_tT0_T1_T2_jT3_P12ihipStream_tbPNSt15iterator_traitsISG_E10value_typeEPNSM_ISH_E10value_typeEPSI_NS1_7vsmem_tEENKUlT_SG_SH_SI_E_clISA_PiSB_PsEESF_SV_SG_SH_SI_EUlSV_E_NS1_11comp_targetILNS1_3genE9ELNS1_11target_archE1100ELNS1_3gpuE3ELNS1_3repE0EEENS1_48merge_mergepath_partition_config_static_selectorELNS0_4arch9wavefront6targetE1EEEvSH_ ; -- Begin function _ZN7rocprim17ROCPRIM_400000_NS6detail17trampoline_kernelINS0_14default_configENS1_38merge_sort_block_merge_config_selectorIisEEZZNS1_27merge_sort_block_merge_implIS3_N6thrust23THRUST_200600_302600_NS10device_ptrIiEENS9_IsEEjNS1_19radix_merge_compareILb0ELb1EiNS0_19identity_decomposerEEEEE10hipError_tT0_T1_T2_jT3_P12ihipStream_tbPNSt15iterator_traitsISG_E10value_typeEPNSM_ISH_E10value_typeEPSI_NS1_7vsmem_tEENKUlT_SG_SH_SI_E_clISA_PiSB_PsEESF_SV_SG_SH_SI_EUlSV_E_NS1_11comp_targetILNS1_3genE9ELNS1_11target_archE1100ELNS1_3gpuE3ELNS1_3repE0EEENS1_48merge_mergepath_partition_config_static_selectorELNS0_4arch9wavefront6targetE1EEEvSH_
	.globl	_ZN7rocprim17ROCPRIM_400000_NS6detail17trampoline_kernelINS0_14default_configENS1_38merge_sort_block_merge_config_selectorIisEEZZNS1_27merge_sort_block_merge_implIS3_N6thrust23THRUST_200600_302600_NS10device_ptrIiEENS9_IsEEjNS1_19radix_merge_compareILb0ELb1EiNS0_19identity_decomposerEEEEE10hipError_tT0_T1_T2_jT3_P12ihipStream_tbPNSt15iterator_traitsISG_E10value_typeEPNSM_ISH_E10value_typeEPSI_NS1_7vsmem_tEENKUlT_SG_SH_SI_E_clISA_PiSB_PsEESF_SV_SG_SH_SI_EUlSV_E_NS1_11comp_targetILNS1_3genE9ELNS1_11target_archE1100ELNS1_3gpuE3ELNS1_3repE0EEENS1_48merge_mergepath_partition_config_static_selectorELNS0_4arch9wavefront6targetE1EEEvSH_
	.p2align	8
	.type	_ZN7rocprim17ROCPRIM_400000_NS6detail17trampoline_kernelINS0_14default_configENS1_38merge_sort_block_merge_config_selectorIisEEZZNS1_27merge_sort_block_merge_implIS3_N6thrust23THRUST_200600_302600_NS10device_ptrIiEENS9_IsEEjNS1_19radix_merge_compareILb0ELb1EiNS0_19identity_decomposerEEEEE10hipError_tT0_T1_T2_jT3_P12ihipStream_tbPNSt15iterator_traitsISG_E10value_typeEPNSM_ISH_E10value_typeEPSI_NS1_7vsmem_tEENKUlT_SG_SH_SI_E_clISA_PiSB_PsEESF_SV_SG_SH_SI_EUlSV_E_NS1_11comp_targetILNS1_3genE9ELNS1_11target_archE1100ELNS1_3gpuE3ELNS1_3repE0EEENS1_48merge_mergepath_partition_config_static_selectorELNS0_4arch9wavefront6targetE1EEEvSH_,@function
_ZN7rocprim17ROCPRIM_400000_NS6detail17trampoline_kernelINS0_14default_configENS1_38merge_sort_block_merge_config_selectorIisEEZZNS1_27merge_sort_block_merge_implIS3_N6thrust23THRUST_200600_302600_NS10device_ptrIiEENS9_IsEEjNS1_19radix_merge_compareILb0ELb1EiNS0_19identity_decomposerEEEEE10hipError_tT0_T1_T2_jT3_P12ihipStream_tbPNSt15iterator_traitsISG_E10value_typeEPNSM_ISH_E10value_typeEPSI_NS1_7vsmem_tEENKUlT_SG_SH_SI_E_clISA_PiSB_PsEESF_SV_SG_SH_SI_EUlSV_E_NS1_11comp_targetILNS1_3genE9ELNS1_11target_archE1100ELNS1_3gpuE3ELNS1_3repE0EEENS1_48merge_mergepath_partition_config_static_selectorELNS0_4arch9wavefront6targetE1EEEvSH_: ; @_ZN7rocprim17ROCPRIM_400000_NS6detail17trampoline_kernelINS0_14default_configENS1_38merge_sort_block_merge_config_selectorIisEEZZNS1_27merge_sort_block_merge_implIS3_N6thrust23THRUST_200600_302600_NS10device_ptrIiEENS9_IsEEjNS1_19radix_merge_compareILb0ELb1EiNS0_19identity_decomposerEEEEE10hipError_tT0_T1_T2_jT3_P12ihipStream_tbPNSt15iterator_traitsISG_E10value_typeEPNSM_ISH_E10value_typeEPSI_NS1_7vsmem_tEENKUlT_SG_SH_SI_E_clISA_PiSB_PsEESF_SV_SG_SH_SI_EUlSV_E_NS1_11comp_targetILNS1_3genE9ELNS1_11target_archE1100ELNS1_3gpuE3ELNS1_3repE0EEENS1_48merge_mergepath_partition_config_static_selectorELNS0_4arch9wavefront6targetE1EEEvSH_
; %bb.0:
	.section	.rodata,"a",@progbits
	.p2align	6, 0x0
	.amdhsa_kernel _ZN7rocprim17ROCPRIM_400000_NS6detail17trampoline_kernelINS0_14default_configENS1_38merge_sort_block_merge_config_selectorIisEEZZNS1_27merge_sort_block_merge_implIS3_N6thrust23THRUST_200600_302600_NS10device_ptrIiEENS9_IsEEjNS1_19radix_merge_compareILb0ELb1EiNS0_19identity_decomposerEEEEE10hipError_tT0_T1_T2_jT3_P12ihipStream_tbPNSt15iterator_traitsISG_E10value_typeEPNSM_ISH_E10value_typeEPSI_NS1_7vsmem_tEENKUlT_SG_SH_SI_E_clISA_PiSB_PsEESF_SV_SG_SH_SI_EUlSV_E_NS1_11comp_targetILNS1_3genE9ELNS1_11target_archE1100ELNS1_3gpuE3ELNS1_3repE0EEENS1_48merge_mergepath_partition_config_static_selectorELNS0_4arch9wavefront6targetE1EEEvSH_
		.amdhsa_group_segment_fixed_size 0
		.amdhsa_private_segment_fixed_size 0
		.amdhsa_kernarg_size 40
		.amdhsa_user_sgpr_count 2
		.amdhsa_user_sgpr_dispatch_ptr 0
		.amdhsa_user_sgpr_queue_ptr 0
		.amdhsa_user_sgpr_kernarg_segment_ptr 1
		.amdhsa_user_sgpr_dispatch_id 0
		.amdhsa_user_sgpr_kernarg_preload_length 0
		.amdhsa_user_sgpr_kernarg_preload_offset 0
		.amdhsa_user_sgpr_private_segment_size 0
		.amdhsa_uses_dynamic_stack 0
		.amdhsa_enable_private_segment 0
		.amdhsa_system_sgpr_workgroup_id_x 1
		.amdhsa_system_sgpr_workgroup_id_y 0
		.amdhsa_system_sgpr_workgroup_id_z 0
		.amdhsa_system_sgpr_workgroup_info 0
		.amdhsa_system_vgpr_workitem_id 0
		.amdhsa_next_free_vgpr 1
		.amdhsa_next_free_sgpr 0
		.amdhsa_accum_offset 4
		.amdhsa_reserve_vcc 0
		.amdhsa_float_round_mode_32 0
		.amdhsa_float_round_mode_16_64 0
		.amdhsa_float_denorm_mode_32 3
		.amdhsa_float_denorm_mode_16_64 3
		.amdhsa_dx10_clamp 1
		.amdhsa_ieee_mode 1
		.amdhsa_fp16_overflow 0
		.amdhsa_tg_split 0
		.amdhsa_exception_fp_ieee_invalid_op 0
		.amdhsa_exception_fp_denorm_src 0
		.amdhsa_exception_fp_ieee_div_zero 0
		.amdhsa_exception_fp_ieee_overflow 0
		.amdhsa_exception_fp_ieee_underflow 0
		.amdhsa_exception_fp_ieee_inexact 0
		.amdhsa_exception_int_div_zero 0
	.end_amdhsa_kernel
	.section	.text._ZN7rocprim17ROCPRIM_400000_NS6detail17trampoline_kernelINS0_14default_configENS1_38merge_sort_block_merge_config_selectorIisEEZZNS1_27merge_sort_block_merge_implIS3_N6thrust23THRUST_200600_302600_NS10device_ptrIiEENS9_IsEEjNS1_19radix_merge_compareILb0ELb1EiNS0_19identity_decomposerEEEEE10hipError_tT0_T1_T2_jT3_P12ihipStream_tbPNSt15iterator_traitsISG_E10value_typeEPNSM_ISH_E10value_typeEPSI_NS1_7vsmem_tEENKUlT_SG_SH_SI_E_clISA_PiSB_PsEESF_SV_SG_SH_SI_EUlSV_E_NS1_11comp_targetILNS1_3genE9ELNS1_11target_archE1100ELNS1_3gpuE3ELNS1_3repE0EEENS1_48merge_mergepath_partition_config_static_selectorELNS0_4arch9wavefront6targetE1EEEvSH_,"axG",@progbits,_ZN7rocprim17ROCPRIM_400000_NS6detail17trampoline_kernelINS0_14default_configENS1_38merge_sort_block_merge_config_selectorIisEEZZNS1_27merge_sort_block_merge_implIS3_N6thrust23THRUST_200600_302600_NS10device_ptrIiEENS9_IsEEjNS1_19radix_merge_compareILb0ELb1EiNS0_19identity_decomposerEEEEE10hipError_tT0_T1_T2_jT3_P12ihipStream_tbPNSt15iterator_traitsISG_E10value_typeEPNSM_ISH_E10value_typeEPSI_NS1_7vsmem_tEENKUlT_SG_SH_SI_E_clISA_PiSB_PsEESF_SV_SG_SH_SI_EUlSV_E_NS1_11comp_targetILNS1_3genE9ELNS1_11target_archE1100ELNS1_3gpuE3ELNS1_3repE0EEENS1_48merge_mergepath_partition_config_static_selectorELNS0_4arch9wavefront6targetE1EEEvSH_,comdat
.Lfunc_end2386:
	.size	_ZN7rocprim17ROCPRIM_400000_NS6detail17trampoline_kernelINS0_14default_configENS1_38merge_sort_block_merge_config_selectorIisEEZZNS1_27merge_sort_block_merge_implIS3_N6thrust23THRUST_200600_302600_NS10device_ptrIiEENS9_IsEEjNS1_19radix_merge_compareILb0ELb1EiNS0_19identity_decomposerEEEEE10hipError_tT0_T1_T2_jT3_P12ihipStream_tbPNSt15iterator_traitsISG_E10value_typeEPNSM_ISH_E10value_typeEPSI_NS1_7vsmem_tEENKUlT_SG_SH_SI_E_clISA_PiSB_PsEESF_SV_SG_SH_SI_EUlSV_E_NS1_11comp_targetILNS1_3genE9ELNS1_11target_archE1100ELNS1_3gpuE3ELNS1_3repE0EEENS1_48merge_mergepath_partition_config_static_selectorELNS0_4arch9wavefront6targetE1EEEvSH_, .Lfunc_end2386-_ZN7rocprim17ROCPRIM_400000_NS6detail17trampoline_kernelINS0_14default_configENS1_38merge_sort_block_merge_config_selectorIisEEZZNS1_27merge_sort_block_merge_implIS3_N6thrust23THRUST_200600_302600_NS10device_ptrIiEENS9_IsEEjNS1_19radix_merge_compareILb0ELb1EiNS0_19identity_decomposerEEEEE10hipError_tT0_T1_T2_jT3_P12ihipStream_tbPNSt15iterator_traitsISG_E10value_typeEPNSM_ISH_E10value_typeEPSI_NS1_7vsmem_tEENKUlT_SG_SH_SI_E_clISA_PiSB_PsEESF_SV_SG_SH_SI_EUlSV_E_NS1_11comp_targetILNS1_3genE9ELNS1_11target_archE1100ELNS1_3gpuE3ELNS1_3repE0EEENS1_48merge_mergepath_partition_config_static_selectorELNS0_4arch9wavefront6targetE1EEEvSH_
                                        ; -- End function
	.set _ZN7rocprim17ROCPRIM_400000_NS6detail17trampoline_kernelINS0_14default_configENS1_38merge_sort_block_merge_config_selectorIisEEZZNS1_27merge_sort_block_merge_implIS3_N6thrust23THRUST_200600_302600_NS10device_ptrIiEENS9_IsEEjNS1_19radix_merge_compareILb0ELb1EiNS0_19identity_decomposerEEEEE10hipError_tT0_T1_T2_jT3_P12ihipStream_tbPNSt15iterator_traitsISG_E10value_typeEPNSM_ISH_E10value_typeEPSI_NS1_7vsmem_tEENKUlT_SG_SH_SI_E_clISA_PiSB_PsEESF_SV_SG_SH_SI_EUlSV_E_NS1_11comp_targetILNS1_3genE9ELNS1_11target_archE1100ELNS1_3gpuE3ELNS1_3repE0EEENS1_48merge_mergepath_partition_config_static_selectorELNS0_4arch9wavefront6targetE1EEEvSH_.num_vgpr, 0
	.set _ZN7rocprim17ROCPRIM_400000_NS6detail17trampoline_kernelINS0_14default_configENS1_38merge_sort_block_merge_config_selectorIisEEZZNS1_27merge_sort_block_merge_implIS3_N6thrust23THRUST_200600_302600_NS10device_ptrIiEENS9_IsEEjNS1_19radix_merge_compareILb0ELb1EiNS0_19identity_decomposerEEEEE10hipError_tT0_T1_T2_jT3_P12ihipStream_tbPNSt15iterator_traitsISG_E10value_typeEPNSM_ISH_E10value_typeEPSI_NS1_7vsmem_tEENKUlT_SG_SH_SI_E_clISA_PiSB_PsEESF_SV_SG_SH_SI_EUlSV_E_NS1_11comp_targetILNS1_3genE9ELNS1_11target_archE1100ELNS1_3gpuE3ELNS1_3repE0EEENS1_48merge_mergepath_partition_config_static_selectorELNS0_4arch9wavefront6targetE1EEEvSH_.num_agpr, 0
	.set _ZN7rocprim17ROCPRIM_400000_NS6detail17trampoline_kernelINS0_14default_configENS1_38merge_sort_block_merge_config_selectorIisEEZZNS1_27merge_sort_block_merge_implIS3_N6thrust23THRUST_200600_302600_NS10device_ptrIiEENS9_IsEEjNS1_19radix_merge_compareILb0ELb1EiNS0_19identity_decomposerEEEEE10hipError_tT0_T1_T2_jT3_P12ihipStream_tbPNSt15iterator_traitsISG_E10value_typeEPNSM_ISH_E10value_typeEPSI_NS1_7vsmem_tEENKUlT_SG_SH_SI_E_clISA_PiSB_PsEESF_SV_SG_SH_SI_EUlSV_E_NS1_11comp_targetILNS1_3genE9ELNS1_11target_archE1100ELNS1_3gpuE3ELNS1_3repE0EEENS1_48merge_mergepath_partition_config_static_selectorELNS0_4arch9wavefront6targetE1EEEvSH_.numbered_sgpr, 0
	.set _ZN7rocprim17ROCPRIM_400000_NS6detail17trampoline_kernelINS0_14default_configENS1_38merge_sort_block_merge_config_selectorIisEEZZNS1_27merge_sort_block_merge_implIS3_N6thrust23THRUST_200600_302600_NS10device_ptrIiEENS9_IsEEjNS1_19radix_merge_compareILb0ELb1EiNS0_19identity_decomposerEEEEE10hipError_tT0_T1_T2_jT3_P12ihipStream_tbPNSt15iterator_traitsISG_E10value_typeEPNSM_ISH_E10value_typeEPSI_NS1_7vsmem_tEENKUlT_SG_SH_SI_E_clISA_PiSB_PsEESF_SV_SG_SH_SI_EUlSV_E_NS1_11comp_targetILNS1_3genE9ELNS1_11target_archE1100ELNS1_3gpuE3ELNS1_3repE0EEENS1_48merge_mergepath_partition_config_static_selectorELNS0_4arch9wavefront6targetE1EEEvSH_.num_named_barrier, 0
	.set _ZN7rocprim17ROCPRIM_400000_NS6detail17trampoline_kernelINS0_14default_configENS1_38merge_sort_block_merge_config_selectorIisEEZZNS1_27merge_sort_block_merge_implIS3_N6thrust23THRUST_200600_302600_NS10device_ptrIiEENS9_IsEEjNS1_19radix_merge_compareILb0ELb1EiNS0_19identity_decomposerEEEEE10hipError_tT0_T1_T2_jT3_P12ihipStream_tbPNSt15iterator_traitsISG_E10value_typeEPNSM_ISH_E10value_typeEPSI_NS1_7vsmem_tEENKUlT_SG_SH_SI_E_clISA_PiSB_PsEESF_SV_SG_SH_SI_EUlSV_E_NS1_11comp_targetILNS1_3genE9ELNS1_11target_archE1100ELNS1_3gpuE3ELNS1_3repE0EEENS1_48merge_mergepath_partition_config_static_selectorELNS0_4arch9wavefront6targetE1EEEvSH_.private_seg_size, 0
	.set _ZN7rocprim17ROCPRIM_400000_NS6detail17trampoline_kernelINS0_14default_configENS1_38merge_sort_block_merge_config_selectorIisEEZZNS1_27merge_sort_block_merge_implIS3_N6thrust23THRUST_200600_302600_NS10device_ptrIiEENS9_IsEEjNS1_19radix_merge_compareILb0ELb1EiNS0_19identity_decomposerEEEEE10hipError_tT0_T1_T2_jT3_P12ihipStream_tbPNSt15iterator_traitsISG_E10value_typeEPNSM_ISH_E10value_typeEPSI_NS1_7vsmem_tEENKUlT_SG_SH_SI_E_clISA_PiSB_PsEESF_SV_SG_SH_SI_EUlSV_E_NS1_11comp_targetILNS1_3genE9ELNS1_11target_archE1100ELNS1_3gpuE3ELNS1_3repE0EEENS1_48merge_mergepath_partition_config_static_selectorELNS0_4arch9wavefront6targetE1EEEvSH_.uses_vcc, 0
	.set _ZN7rocprim17ROCPRIM_400000_NS6detail17trampoline_kernelINS0_14default_configENS1_38merge_sort_block_merge_config_selectorIisEEZZNS1_27merge_sort_block_merge_implIS3_N6thrust23THRUST_200600_302600_NS10device_ptrIiEENS9_IsEEjNS1_19radix_merge_compareILb0ELb1EiNS0_19identity_decomposerEEEEE10hipError_tT0_T1_T2_jT3_P12ihipStream_tbPNSt15iterator_traitsISG_E10value_typeEPNSM_ISH_E10value_typeEPSI_NS1_7vsmem_tEENKUlT_SG_SH_SI_E_clISA_PiSB_PsEESF_SV_SG_SH_SI_EUlSV_E_NS1_11comp_targetILNS1_3genE9ELNS1_11target_archE1100ELNS1_3gpuE3ELNS1_3repE0EEENS1_48merge_mergepath_partition_config_static_selectorELNS0_4arch9wavefront6targetE1EEEvSH_.uses_flat_scratch, 0
	.set _ZN7rocprim17ROCPRIM_400000_NS6detail17trampoline_kernelINS0_14default_configENS1_38merge_sort_block_merge_config_selectorIisEEZZNS1_27merge_sort_block_merge_implIS3_N6thrust23THRUST_200600_302600_NS10device_ptrIiEENS9_IsEEjNS1_19radix_merge_compareILb0ELb1EiNS0_19identity_decomposerEEEEE10hipError_tT0_T1_T2_jT3_P12ihipStream_tbPNSt15iterator_traitsISG_E10value_typeEPNSM_ISH_E10value_typeEPSI_NS1_7vsmem_tEENKUlT_SG_SH_SI_E_clISA_PiSB_PsEESF_SV_SG_SH_SI_EUlSV_E_NS1_11comp_targetILNS1_3genE9ELNS1_11target_archE1100ELNS1_3gpuE3ELNS1_3repE0EEENS1_48merge_mergepath_partition_config_static_selectorELNS0_4arch9wavefront6targetE1EEEvSH_.has_dyn_sized_stack, 0
	.set _ZN7rocprim17ROCPRIM_400000_NS6detail17trampoline_kernelINS0_14default_configENS1_38merge_sort_block_merge_config_selectorIisEEZZNS1_27merge_sort_block_merge_implIS3_N6thrust23THRUST_200600_302600_NS10device_ptrIiEENS9_IsEEjNS1_19radix_merge_compareILb0ELb1EiNS0_19identity_decomposerEEEEE10hipError_tT0_T1_T2_jT3_P12ihipStream_tbPNSt15iterator_traitsISG_E10value_typeEPNSM_ISH_E10value_typeEPSI_NS1_7vsmem_tEENKUlT_SG_SH_SI_E_clISA_PiSB_PsEESF_SV_SG_SH_SI_EUlSV_E_NS1_11comp_targetILNS1_3genE9ELNS1_11target_archE1100ELNS1_3gpuE3ELNS1_3repE0EEENS1_48merge_mergepath_partition_config_static_selectorELNS0_4arch9wavefront6targetE1EEEvSH_.has_recursion, 0
	.set _ZN7rocprim17ROCPRIM_400000_NS6detail17trampoline_kernelINS0_14default_configENS1_38merge_sort_block_merge_config_selectorIisEEZZNS1_27merge_sort_block_merge_implIS3_N6thrust23THRUST_200600_302600_NS10device_ptrIiEENS9_IsEEjNS1_19radix_merge_compareILb0ELb1EiNS0_19identity_decomposerEEEEE10hipError_tT0_T1_T2_jT3_P12ihipStream_tbPNSt15iterator_traitsISG_E10value_typeEPNSM_ISH_E10value_typeEPSI_NS1_7vsmem_tEENKUlT_SG_SH_SI_E_clISA_PiSB_PsEESF_SV_SG_SH_SI_EUlSV_E_NS1_11comp_targetILNS1_3genE9ELNS1_11target_archE1100ELNS1_3gpuE3ELNS1_3repE0EEENS1_48merge_mergepath_partition_config_static_selectorELNS0_4arch9wavefront6targetE1EEEvSH_.has_indirect_call, 0
	.section	.AMDGPU.csdata,"",@progbits
; Kernel info:
; codeLenInByte = 0
; TotalNumSgprs: 6
; NumVgprs: 0
; NumAgprs: 0
; TotalNumVgprs: 0
; ScratchSize: 0
; MemoryBound: 0
; FloatMode: 240
; IeeeMode: 1
; LDSByteSize: 0 bytes/workgroup (compile time only)
; SGPRBlocks: 0
; VGPRBlocks: 0
; NumSGPRsForWavesPerEU: 6
; NumVGPRsForWavesPerEU: 1
; AccumOffset: 4
; Occupancy: 8
; WaveLimiterHint : 0
; COMPUTE_PGM_RSRC2:SCRATCH_EN: 0
; COMPUTE_PGM_RSRC2:USER_SGPR: 2
; COMPUTE_PGM_RSRC2:TRAP_HANDLER: 0
; COMPUTE_PGM_RSRC2:TGID_X_EN: 1
; COMPUTE_PGM_RSRC2:TGID_Y_EN: 0
; COMPUTE_PGM_RSRC2:TGID_Z_EN: 0
; COMPUTE_PGM_RSRC2:TIDIG_COMP_CNT: 0
; COMPUTE_PGM_RSRC3_GFX90A:ACCUM_OFFSET: 0
; COMPUTE_PGM_RSRC3_GFX90A:TG_SPLIT: 0
	.section	.text._ZN7rocprim17ROCPRIM_400000_NS6detail17trampoline_kernelINS0_14default_configENS1_38merge_sort_block_merge_config_selectorIisEEZZNS1_27merge_sort_block_merge_implIS3_N6thrust23THRUST_200600_302600_NS10device_ptrIiEENS9_IsEEjNS1_19radix_merge_compareILb0ELb1EiNS0_19identity_decomposerEEEEE10hipError_tT0_T1_T2_jT3_P12ihipStream_tbPNSt15iterator_traitsISG_E10value_typeEPNSM_ISH_E10value_typeEPSI_NS1_7vsmem_tEENKUlT_SG_SH_SI_E_clISA_PiSB_PsEESF_SV_SG_SH_SI_EUlSV_E_NS1_11comp_targetILNS1_3genE8ELNS1_11target_archE1030ELNS1_3gpuE2ELNS1_3repE0EEENS1_48merge_mergepath_partition_config_static_selectorELNS0_4arch9wavefront6targetE1EEEvSH_,"axG",@progbits,_ZN7rocprim17ROCPRIM_400000_NS6detail17trampoline_kernelINS0_14default_configENS1_38merge_sort_block_merge_config_selectorIisEEZZNS1_27merge_sort_block_merge_implIS3_N6thrust23THRUST_200600_302600_NS10device_ptrIiEENS9_IsEEjNS1_19radix_merge_compareILb0ELb1EiNS0_19identity_decomposerEEEEE10hipError_tT0_T1_T2_jT3_P12ihipStream_tbPNSt15iterator_traitsISG_E10value_typeEPNSM_ISH_E10value_typeEPSI_NS1_7vsmem_tEENKUlT_SG_SH_SI_E_clISA_PiSB_PsEESF_SV_SG_SH_SI_EUlSV_E_NS1_11comp_targetILNS1_3genE8ELNS1_11target_archE1030ELNS1_3gpuE2ELNS1_3repE0EEENS1_48merge_mergepath_partition_config_static_selectorELNS0_4arch9wavefront6targetE1EEEvSH_,comdat
	.protected	_ZN7rocprim17ROCPRIM_400000_NS6detail17trampoline_kernelINS0_14default_configENS1_38merge_sort_block_merge_config_selectorIisEEZZNS1_27merge_sort_block_merge_implIS3_N6thrust23THRUST_200600_302600_NS10device_ptrIiEENS9_IsEEjNS1_19radix_merge_compareILb0ELb1EiNS0_19identity_decomposerEEEEE10hipError_tT0_T1_T2_jT3_P12ihipStream_tbPNSt15iterator_traitsISG_E10value_typeEPNSM_ISH_E10value_typeEPSI_NS1_7vsmem_tEENKUlT_SG_SH_SI_E_clISA_PiSB_PsEESF_SV_SG_SH_SI_EUlSV_E_NS1_11comp_targetILNS1_3genE8ELNS1_11target_archE1030ELNS1_3gpuE2ELNS1_3repE0EEENS1_48merge_mergepath_partition_config_static_selectorELNS0_4arch9wavefront6targetE1EEEvSH_ ; -- Begin function _ZN7rocprim17ROCPRIM_400000_NS6detail17trampoline_kernelINS0_14default_configENS1_38merge_sort_block_merge_config_selectorIisEEZZNS1_27merge_sort_block_merge_implIS3_N6thrust23THRUST_200600_302600_NS10device_ptrIiEENS9_IsEEjNS1_19radix_merge_compareILb0ELb1EiNS0_19identity_decomposerEEEEE10hipError_tT0_T1_T2_jT3_P12ihipStream_tbPNSt15iterator_traitsISG_E10value_typeEPNSM_ISH_E10value_typeEPSI_NS1_7vsmem_tEENKUlT_SG_SH_SI_E_clISA_PiSB_PsEESF_SV_SG_SH_SI_EUlSV_E_NS1_11comp_targetILNS1_3genE8ELNS1_11target_archE1030ELNS1_3gpuE2ELNS1_3repE0EEENS1_48merge_mergepath_partition_config_static_selectorELNS0_4arch9wavefront6targetE1EEEvSH_
	.globl	_ZN7rocprim17ROCPRIM_400000_NS6detail17trampoline_kernelINS0_14default_configENS1_38merge_sort_block_merge_config_selectorIisEEZZNS1_27merge_sort_block_merge_implIS3_N6thrust23THRUST_200600_302600_NS10device_ptrIiEENS9_IsEEjNS1_19radix_merge_compareILb0ELb1EiNS0_19identity_decomposerEEEEE10hipError_tT0_T1_T2_jT3_P12ihipStream_tbPNSt15iterator_traitsISG_E10value_typeEPNSM_ISH_E10value_typeEPSI_NS1_7vsmem_tEENKUlT_SG_SH_SI_E_clISA_PiSB_PsEESF_SV_SG_SH_SI_EUlSV_E_NS1_11comp_targetILNS1_3genE8ELNS1_11target_archE1030ELNS1_3gpuE2ELNS1_3repE0EEENS1_48merge_mergepath_partition_config_static_selectorELNS0_4arch9wavefront6targetE1EEEvSH_
	.p2align	8
	.type	_ZN7rocprim17ROCPRIM_400000_NS6detail17trampoline_kernelINS0_14default_configENS1_38merge_sort_block_merge_config_selectorIisEEZZNS1_27merge_sort_block_merge_implIS3_N6thrust23THRUST_200600_302600_NS10device_ptrIiEENS9_IsEEjNS1_19radix_merge_compareILb0ELb1EiNS0_19identity_decomposerEEEEE10hipError_tT0_T1_T2_jT3_P12ihipStream_tbPNSt15iterator_traitsISG_E10value_typeEPNSM_ISH_E10value_typeEPSI_NS1_7vsmem_tEENKUlT_SG_SH_SI_E_clISA_PiSB_PsEESF_SV_SG_SH_SI_EUlSV_E_NS1_11comp_targetILNS1_3genE8ELNS1_11target_archE1030ELNS1_3gpuE2ELNS1_3repE0EEENS1_48merge_mergepath_partition_config_static_selectorELNS0_4arch9wavefront6targetE1EEEvSH_,@function
_ZN7rocprim17ROCPRIM_400000_NS6detail17trampoline_kernelINS0_14default_configENS1_38merge_sort_block_merge_config_selectorIisEEZZNS1_27merge_sort_block_merge_implIS3_N6thrust23THRUST_200600_302600_NS10device_ptrIiEENS9_IsEEjNS1_19radix_merge_compareILb0ELb1EiNS0_19identity_decomposerEEEEE10hipError_tT0_T1_T2_jT3_P12ihipStream_tbPNSt15iterator_traitsISG_E10value_typeEPNSM_ISH_E10value_typeEPSI_NS1_7vsmem_tEENKUlT_SG_SH_SI_E_clISA_PiSB_PsEESF_SV_SG_SH_SI_EUlSV_E_NS1_11comp_targetILNS1_3genE8ELNS1_11target_archE1030ELNS1_3gpuE2ELNS1_3repE0EEENS1_48merge_mergepath_partition_config_static_selectorELNS0_4arch9wavefront6targetE1EEEvSH_: ; @_ZN7rocprim17ROCPRIM_400000_NS6detail17trampoline_kernelINS0_14default_configENS1_38merge_sort_block_merge_config_selectorIisEEZZNS1_27merge_sort_block_merge_implIS3_N6thrust23THRUST_200600_302600_NS10device_ptrIiEENS9_IsEEjNS1_19radix_merge_compareILb0ELb1EiNS0_19identity_decomposerEEEEE10hipError_tT0_T1_T2_jT3_P12ihipStream_tbPNSt15iterator_traitsISG_E10value_typeEPNSM_ISH_E10value_typeEPSI_NS1_7vsmem_tEENKUlT_SG_SH_SI_E_clISA_PiSB_PsEESF_SV_SG_SH_SI_EUlSV_E_NS1_11comp_targetILNS1_3genE8ELNS1_11target_archE1030ELNS1_3gpuE2ELNS1_3repE0EEENS1_48merge_mergepath_partition_config_static_selectorELNS0_4arch9wavefront6targetE1EEEvSH_
; %bb.0:
	.section	.rodata,"a",@progbits
	.p2align	6, 0x0
	.amdhsa_kernel _ZN7rocprim17ROCPRIM_400000_NS6detail17trampoline_kernelINS0_14default_configENS1_38merge_sort_block_merge_config_selectorIisEEZZNS1_27merge_sort_block_merge_implIS3_N6thrust23THRUST_200600_302600_NS10device_ptrIiEENS9_IsEEjNS1_19radix_merge_compareILb0ELb1EiNS0_19identity_decomposerEEEEE10hipError_tT0_T1_T2_jT3_P12ihipStream_tbPNSt15iterator_traitsISG_E10value_typeEPNSM_ISH_E10value_typeEPSI_NS1_7vsmem_tEENKUlT_SG_SH_SI_E_clISA_PiSB_PsEESF_SV_SG_SH_SI_EUlSV_E_NS1_11comp_targetILNS1_3genE8ELNS1_11target_archE1030ELNS1_3gpuE2ELNS1_3repE0EEENS1_48merge_mergepath_partition_config_static_selectorELNS0_4arch9wavefront6targetE1EEEvSH_
		.amdhsa_group_segment_fixed_size 0
		.amdhsa_private_segment_fixed_size 0
		.amdhsa_kernarg_size 40
		.amdhsa_user_sgpr_count 2
		.amdhsa_user_sgpr_dispatch_ptr 0
		.amdhsa_user_sgpr_queue_ptr 0
		.amdhsa_user_sgpr_kernarg_segment_ptr 1
		.amdhsa_user_sgpr_dispatch_id 0
		.amdhsa_user_sgpr_kernarg_preload_length 0
		.amdhsa_user_sgpr_kernarg_preload_offset 0
		.amdhsa_user_sgpr_private_segment_size 0
		.amdhsa_uses_dynamic_stack 0
		.amdhsa_enable_private_segment 0
		.amdhsa_system_sgpr_workgroup_id_x 1
		.amdhsa_system_sgpr_workgroup_id_y 0
		.amdhsa_system_sgpr_workgroup_id_z 0
		.amdhsa_system_sgpr_workgroup_info 0
		.amdhsa_system_vgpr_workitem_id 0
		.amdhsa_next_free_vgpr 1
		.amdhsa_next_free_sgpr 0
		.amdhsa_accum_offset 4
		.amdhsa_reserve_vcc 0
		.amdhsa_float_round_mode_32 0
		.amdhsa_float_round_mode_16_64 0
		.amdhsa_float_denorm_mode_32 3
		.amdhsa_float_denorm_mode_16_64 3
		.amdhsa_dx10_clamp 1
		.amdhsa_ieee_mode 1
		.amdhsa_fp16_overflow 0
		.amdhsa_tg_split 0
		.amdhsa_exception_fp_ieee_invalid_op 0
		.amdhsa_exception_fp_denorm_src 0
		.amdhsa_exception_fp_ieee_div_zero 0
		.amdhsa_exception_fp_ieee_overflow 0
		.amdhsa_exception_fp_ieee_underflow 0
		.amdhsa_exception_fp_ieee_inexact 0
		.amdhsa_exception_int_div_zero 0
	.end_amdhsa_kernel
	.section	.text._ZN7rocprim17ROCPRIM_400000_NS6detail17trampoline_kernelINS0_14default_configENS1_38merge_sort_block_merge_config_selectorIisEEZZNS1_27merge_sort_block_merge_implIS3_N6thrust23THRUST_200600_302600_NS10device_ptrIiEENS9_IsEEjNS1_19radix_merge_compareILb0ELb1EiNS0_19identity_decomposerEEEEE10hipError_tT0_T1_T2_jT3_P12ihipStream_tbPNSt15iterator_traitsISG_E10value_typeEPNSM_ISH_E10value_typeEPSI_NS1_7vsmem_tEENKUlT_SG_SH_SI_E_clISA_PiSB_PsEESF_SV_SG_SH_SI_EUlSV_E_NS1_11comp_targetILNS1_3genE8ELNS1_11target_archE1030ELNS1_3gpuE2ELNS1_3repE0EEENS1_48merge_mergepath_partition_config_static_selectorELNS0_4arch9wavefront6targetE1EEEvSH_,"axG",@progbits,_ZN7rocprim17ROCPRIM_400000_NS6detail17trampoline_kernelINS0_14default_configENS1_38merge_sort_block_merge_config_selectorIisEEZZNS1_27merge_sort_block_merge_implIS3_N6thrust23THRUST_200600_302600_NS10device_ptrIiEENS9_IsEEjNS1_19radix_merge_compareILb0ELb1EiNS0_19identity_decomposerEEEEE10hipError_tT0_T1_T2_jT3_P12ihipStream_tbPNSt15iterator_traitsISG_E10value_typeEPNSM_ISH_E10value_typeEPSI_NS1_7vsmem_tEENKUlT_SG_SH_SI_E_clISA_PiSB_PsEESF_SV_SG_SH_SI_EUlSV_E_NS1_11comp_targetILNS1_3genE8ELNS1_11target_archE1030ELNS1_3gpuE2ELNS1_3repE0EEENS1_48merge_mergepath_partition_config_static_selectorELNS0_4arch9wavefront6targetE1EEEvSH_,comdat
.Lfunc_end2387:
	.size	_ZN7rocprim17ROCPRIM_400000_NS6detail17trampoline_kernelINS0_14default_configENS1_38merge_sort_block_merge_config_selectorIisEEZZNS1_27merge_sort_block_merge_implIS3_N6thrust23THRUST_200600_302600_NS10device_ptrIiEENS9_IsEEjNS1_19radix_merge_compareILb0ELb1EiNS0_19identity_decomposerEEEEE10hipError_tT0_T1_T2_jT3_P12ihipStream_tbPNSt15iterator_traitsISG_E10value_typeEPNSM_ISH_E10value_typeEPSI_NS1_7vsmem_tEENKUlT_SG_SH_SI_E_clISA_PiSB_PsEESF_SV_SG_SH_SI_EUlSV_E_NS1_11comp_targetILNS1_3genE8ELNS1_11target_archE1030ELNS1_3gpuE2ELNS1_3repE0EEENS1_48merge_mergepath_partition_config_static_selectorELNS0_4arch9wavefront6targetE1EEEvSH_, .Lfunc_end2387-_ZN7rocprim17ROCPRIM_400000_NS6detail17trampoline_kernelINS0_14default_configENS1_38merge_sort_block_merge_config_selectorIisEEZZNS1_27merge_sort_block_merge_implIS3_N6thrust23THRUST_200600_302600_NS10device_ptrIiEENS9_IsEEjNS1_19radix_merge_compareILb0ELb1EiNS0_19identity_decomposerEEEEE10hipError_tT0_T1_T2_jT3_P12ihipStream_tbPNSt15iterator_traitsISG_E10value_typeEPNSM_ISH_E10value_typeEPSI_NS1_7vsmem_tEENKUlT_SG_SH_SI_E_clISA_PiSB_PsEESF_SV_SG_SH_SI_EUlSV_E_NS1_11comp_targetILNS1_3genE8ELNS1_11target_archE1030ELNS1_3gpuE2ELNS1_3repE0EEENS1_48merge_mergepath_partition_config_static_selectorELNS0_4arch9wavefront6targetE1EEEvSH_
                                        ; -- End function
	.set _ZN7rocprim17ROCPRIM_400000_NS6detail17trampoline_kernelINS0_14default_configENS1_38merge_sort_block_merge_config_selectorIisEEZZNS1_27merge_sort_block_merge_implIS3_N6thrust23THRUST_200600_302600_NS10device_ptrIiEENS9_IsEEjNS1_19radix_merge_compareILb0ELb1EiNS0_19identity_decomposerEEEEE10hipError_tT0_T1_T2_jT3_P12ihipStream_tbPNSt15iterator_traitsISG_E10value_typeEPNSM_ISH_E10value_typeEPSI_NS1_7vsmem_tEENKUlT_SG_SH_SI_E_clISA_PiSB_PsEESF_SV_SG_SH_SI_EUlSV_E_NS1_11comp_targetILNS1_3genE8ELNS1_11target_archE1030ELNS1_3gpuE2ELNS1_3repE0EEENS1_48merge_mergepath_partition_config_static_selectorELNS0_4arch9wavefront6targetE1EEEvSH_.num_vgpr, 0
	.set _ZN7rocprim17ROCPRIM_400000_NS6detail17trampoline_kernelINS0_14default_configENS1_38merge_sort_block_merge_config_selectorIisEEZZNS1_27merge_sort_block_merge_implIS3_N6thrust23THRUST_200600_302600_NS10device_ptrIiEENS9_IsEEjNS1_19radix_merge_compareILb0ELb1EiNS0_19identity_decomposerEEEEE10hipError_tT0_T1_T2_jT3_P12ihipStream_tbPNSt15iterator_traitsISG_E10value_typeEPNSM_ISH_E10value_typeEPSI_NS1_7vsmem_tEENKUlT_SG_SH_SI_E_clISA_PiSB_PsEESF_SV_SG_SH_SI_EUlSV_E_NS1_11comp_targetILNS1_3genE8ELNS1_11target_archE1030ELNS1_3gpuE2ELNS1_3repE0EEENS1_48merge_mergepath_partition_config_static_selectorELNS0_4arch9wavefront6targetE1EEEvSH_.num_agpr, 0
	.set _ZN7rocprim17ROCPRIM_400000_NS6detail17trampoline_kernelINS0_14default_configENS1_38merge_sort_block_merge_config_selectorIisEEZZNS1_27merge_sort_block_merge_implIS3_N6thrust23THRUST_200600_302600_NS10device_ptrIiEENS9_IsEEjNS1_19radix_merge_compareILb0ELb1EiNS0_19identity_decomposerEEEEE10hipError_tT0_T1_T2_jT3_P12ihipStream_tbPNSt15iterator_traitsISG_E10value_typeEPNSM_ISH_E10value_typeEPSI_NS1_7vsmem_tEENKUlT_SG_SH_SI_E_clISA_PiSB_PsEESF_SV_SG_SH_SI_EUlSV_E_NS1_11comp_targetILNS1_3genE8ELNS1_11target_archE1030ELNS1_3gpuE2ELNS1_3repE0EEENS1_48merge_mergepath_partition_config_static_selectorELNS0_4arch9wavefront6targetE1EEEvSH_.numbered_sgpr, 0
	.set _ZN7rocprim17ROCPRIM_400000_NS6detail17trampoline_kernelINS0_14default_configENS1_38merge_sort_block_merge_config_selectorIisEEZZNS1_27merge_sort_block_merge_implIS3_N6thrust23THRUST_200600_302600_NS10device_ptrIiEENS9_IsEEjNS1_19radix_merge_compareILb0ELb1EiNS0_19identity_decomposerEEEEE10hipError_tT0_T1_T2_jT3_P12ihipStream_tbPNSt15iterator_traitsISG_E10value_typeEPNSM_ISH_E10value_typeEPSI_NS1_7vsmem_tEENKUlT_SG_SH_SI_E_clISA_PiSB_PsEESF_SV_SG_SH_SI_EUlSV_E_NS1_11comp_targetILNS1_3genE8ELNS1_11target_archE1030ELNS1_3gpuE2ELNS1_3repE0EEENS1_48merge_mergepath_partition_config_static_selectorELNS0_4arch9wavefront6targetE1EEEvSH_.num_named_barrier, 0
	.set _ZN7rocprim17ROCPRIM_400000_NS6detail17trampoline_kernelINS0_14default_configENS1_38merge_sort_block_merge_config_selectorIisEEZZNS1_27merge_sort_block_merge_implIS3_N6thrust23THRUST_200600_302600_NS10device_ptrIiEENS9_IsEEjNS1_19radix_merge_compareILb0ELb1EiNS0_19identity_decomposerEEEEE10hipError_tT0_T1_T2_jT3_P12ihipStream_tbPNSt15iterator_traitsISG_E10value_typeEPNSM_ISH_E10value_typeEPSI_NS1_7vsmem_tEENKUlT_SG_SH_SI_E_clISA_PiSB_PsEESF_SV_SG_SH_SI_EUlSV_E_NS1_11comp_targetILNS1_3genE8ELNS1_11target_archE1030ELNS1_3gpuE2ELNS1_3repE0EEENS1_48merge_mergepath_partition_config_static_selectorELNS0_4arch9wavefront6targetE1EEEvSH_.private_seg_size, 0
	.set _ZN7rocprim17ROCPRIM_400000_NS6detail17trampoline_kernelINS0_14default_configENS1_38merge_sort_block_merge_config_selectorIisEEZZNS1_27merge_sort_block_merge_implIS3_N6thrust23THRUST_200600_302600_NS10device_ptrIiEENS9_IsEEjNS1_19radix_merge_compareILb0ELb1EiNS0_19identity_decomposerEEEEE10hipError_tT0_T1_T2_jT3_P12ihipStream_tbPNSt15iterator_traitsISG_E10value_typeEPNSM_ISH_E10value_typeEPSI_NS1_7vsmem_tEENKUlT_SG_SH_SI_E_clISA_PiSB_PsEESF_SV_SG_SH_SI_EUlSV_E_NS1_11comp_targetILNS1_3genE8ELNS1_11target_archE1030ELNS1_3gpuE2ELNS1_3repE0EEENS1_48merge_mergepath_partition_config_static_selectorELNS0_4arch9wavefront6targetE1EEEvSH_.uses_vcc, 0
	.set _ZN7rocprim17ROCPRIM_400000_NS6detail17trampoline_kernelINS0_14default_configENS1_38merge_sort_block_merge_config_selectorIisEEZZNS1_27merge_sort_block_merge_implIS3_N6thrust23THRUST_200600_302600_NS10device_ptrIiEENS9_IsEEjNS1_19radix_merge_compareILb0ELb1EiNS0_19identity_decomposerEEEEE10hipError_tT0_T1_T2_jT3_P12ihipStream_tbPNSt15iterator_traitsISG_E10value_typeEPNSM_ISH_E10value_typeEPSI_NS1_7vsmem_tEENKUlT_SG_SH_SI_E_clISA_PiSB_PsEESF_SV_SG_SH_SI_EUlSV_E_NS1_11comp_targetILNS1_3genE8ELNS1_11target_archE1030ELNS1_3gpuE2ELNS1_3repE0EEENS1_48merge_mergepath_partition_config_static_selectorELNS0_4arch9wavefront6targetE1EEEvSH_.uses_flat_scratch, 0
	.set _ZN7rocprim17ROCPRIM_400000_NS6detail17trampoline_kernelINS0_14default_configENS1_38merge_sort_block_merge_config_selectorIisEEZZNS1_27merge_sort_block_merge_implIS3_N6thrust23THRUST_200600_302600_NS10device_ptrIiEENS9_IsEEjNS1_19radix_merge_compareILb0ELb1EiNS0_19identity_decomposerEEEEE10hipError_tT0_T1_T2_jT3_P12ihipStream_tbPNSt15iterator_traitsISG_E10value_typeEPNSM_ISH_E10value_typeEPSI_NS1_7vsmem_tEENKUlT_SG_SH_SI_E_clISA_PiSB_PsEESF_SV_SG_SH_SI_EUlSV_E_NS1_11comp_targetILNS1_3genE8ELNS1_11target_archE1030ELNS1_3gpuE2ELNS1_3repE0EEENS1_48merge_mergepath_partition_config_static_selectorELNS0_4arch9wavefront6targetE1EEEvSH_.has_dyn_sized_stack, 0
	.set _ZN7rocprim17ROCPRIM_400000_NS6detail17trampoline_kernelINS0_14default_configENS1_38merge_sort_block_merge_config_selectorIisEEZZNS1_27merge_sort_block_merge_implIS3_N6thrust23THRUST_200600_302600_NS10device_ptrIiEENS9_IsEEjNS1_19radix_merge_compareILb0ELb1EiNS0_19identity_decomposerEEEEE10hipError_tT0_T1_T2_jT3_P12ihipStream_tbPNSt15iterator_traitsISG_E10value_typeEPNSM_ISH_E10value_typeEPSI_NS1_7vsmem_tEENKUlT_SG_SH_SI_E_clISA_PiSB_PsEESF_SV_SG_SH_SI_EUlSV_E_NS1_11comp_targetILNS1_3genE8ELNS1_11target_archE1030ELNS1_3gpuE2ELNS1_3repE0EEENS1_48merge_mergepath_partition_config_static_selectorELNS0_4arch9wavefront6targetE1EEEvSH_.has_recursion, 0
	.set _ZN7rocprim17ROCPRIM_400000_NS6detail17trampoline_kernelINS0_14default_configENS1_38merge_sort_block_merge_config_selectorIisEEZZNS1_27merge_sort_block_merge_implIS3_N6thrust23THRUST_200600_302600_NS10device_ptrIiEENS9_IsEEjNS1_19radix_merge_compareILb0ELb1EiNS0_19identity_decomposerEEEEE10hipError_tT0_T1_T2_jT3_P12ihipStream_tbPNSt15iterator_traitsISG_E10value_typeEPNSM_ISH_E10value_typeEPSI_NS1_7vsmem_tEENKUlT_SG_SH_SI_E_clISA_PiSB_PsEESF_SV_SG_SH_SI_EUlSV_E_NS1_11comp_targetILNS1_3genE8ELNS1_11target_archE1030ELNS1_3gpuE2ELNS1_3repE0EEENS1_48merge_mergepath_partition_config_static_selectorELNS0_4arch9wavefront6targetE1EEEvSH_.has_indirect_call, 0
	.section	.AMDGPU.csdata,"",@progbits
; Kernel info:
; codeLenInByte = 0
; TotalNumSgprs: 6
; NumVgprs: 0
; NumAgprs: 0
; TotalNumVgprs: 0
; ScratchSize: 0
; MemoryBound: 0
; FloatMode: 240
; IeeeMode: 1
; LDSByteSize: 0 bytes/workgroup (compile time only)
; SGPRBlocks: 0
; VGPRBlocks: 0
; NumSGPRsForWavesPerEU: 6
; NumVGPRsForWavesPerEU: 1
; AccumOffset: 4
; Occupancy: 8
; WaveLimiterHint : 0
; COMPUTE_PGM_RSRC2:SCRATCH_EN: 0
; COMPUTE_PGM_RSRC2:USER_SGPR: 2
; COMPUTE_PGM_RSRC2:TRAP_HANDLER: 0
; COMPUTE_PGM_RSRC2:TGID_X_EN: 1
; COMPUTE_PGM_RSRC2:TGID_Y_EN: 0
; COMPUTE_PGM_RSRC2:TGID_Z_EN: 0
; COMPUTE_PGM_RSRC2:TIDIG_COMP_CNT: 0
; COMPUTE_PGM_RSRC3_GFX90A:ACCUM_OFFSET: 0
; COMPUTE_PGM_RSRC3_GFX90A:TG_SPLIT: 0
	.section	.text._ZN7rocprim17ROCPRIM_400000_NS6detail17trampoline_kernelINS0_14default_configENS1_38merge_sort_block_merge_config_selectorIisEEZZNS1_27merge_sort_block_merge_implIS3_N6thrust23THRUST_200600_302600_NS10device_ptrIiEENS9_IsEEjNS1_19radix_merge_compareILb0ELb1EiNS0_19identity_decomposerEEEEE10hipError_tT0_T1_T2_jT3_P12ihipStream_tbPNSt15iterator_traitsISG_E10value_typeEPNSM_ISH_E10value_typeEPSI_NS1_7vsmem_tEENKUlT_SG_SH_SI_E_clISA_PiSB_PsEESF_SV_SG_SH_SI_EUlSV_E0_NS1_11comp_targetILNS1_3genE0ELNS1_11target_archE4294967295ELNS1_3gpuE0ELNS1_3repE0EEENS1_38merge_mergepath_config_static_selectorELNS0_4arch9wavefront6targetE1EEEvSH_,"axG",@progbits,_ZN7rocprim17ROCPRIM_400000_NS6detail17trampoline_kernelINS0_14default_configENS1_38merge_sort_block_merge_config_selectorIisEEZZNS1_27merge_sort_block_merge_implIS3_N6thrust23THRUST_200600_302600_NS10device_ptrIiEENS9_IsEEjNS1_19radix_merge_compareILb0ELb1EiNS0_19identity_decomposerEEEEE10hipError_tT0_T1_T2_jT3_P12ihipStream_tbPNSt15iterator_traitsISG_E10value_typeEPNSM_ISH_E10value_typeEPSI_NS1_7vsmem_tEENKUlT_SG_SH_SI_E_clISA_PiSB_PsEESF_SV_SG_SH_SI_EUlSV_E0_NS1_11comp_targetILNS1_3genE0ELNS1_11target_archE4294967295ELNS1_3gpuE0ELNS1_3repE0EEENS1_38merge_mergepath_config_static_selectorELNS0_4arch9wavefront6targetE1EEEvSH_,comdat
	.protected	_ZN7rocprim17ROCPRIM_400000_NS6detail17trampoline_kernelINS0_14default_configENS1_38merge_sort_block_merge_config_selectorIisEEZZNS1_27merge_sort_block_merge_implIS3_N6thrust23THRUST_200600_302600_NS10device_ptrIiEENS9_IsEEjNS1_19radix_merge_compareILb0ELb1EiNS0_19identity_decomposerEEEEE10hipError_tT0_T1_T2_jT3_P12ihipStream_tbPNSt15iterator_traitsISG_E10value_typeEPNSM_ISH_E10value_typeEPSI_NS1_7vsmem_tEENKUlT_SG_SH_SI_E_clISA_PiSB_PsEESF_SV_SG_SH_SI_EUlSV_E0_NS1_11comp_targetILNS1_3genE0ELNS1_11target_archE4294967295ELNS1_3gpuE0ELNS1_3repE0EEENS1_38merge_mergepath_config_static_selectorELNS0_4arch9wavefront6targetE1EEEvSH_ ; -- Begin function _ZN7rocprim17ROCPRIM_400000_NS6detail17trampoline_kernelINS0_14default_configENS1_38merge_sort_block_merge_config_selectorIisEEZZNS1_27merge_sort_block_merge_implIS3_N6thrust23THRUST_200600_302600_NS10device_ptrIiEENS9_IsEEjNS1_19radix_merge_compareILb0ELb1EiNS0_19identity_decomposerEEEEE10hipError_tT0_T1_T2_jT3_P12ihipStream_tbPNSt15iterator_traitsISG_E10value_typeEPNSM_ISH_E10value_typeEPSI_NS1_7vsmem_tEENKUlT_SG_SH_SI_E_clISA_PiSB_PsEESF_SV_SG_SH_SI_EUlSV_E0_NS1_11comp_targetILNS1_3genE0ELNS1_11target_archE4294967295ELNS1_3gpuE0ELNS1_3repE0EEENS1_38merge_mergepath_config_static_selectorELNS0_4arch9wavefront6targetE1EEEvSH_
	.globl	_ZN7rocprim17ROCPRIM_400000_NS6detail17trampoline_kernelINS0_14default_configENS1_38merge_sort_block_merge_config_selectorIisEEZZNS1_27merge_sort_block_merge_implIS3_N6thrust23THRUST_200600_302600_NS10device_ptrIiEENS9_IsEEjNS1_19radix_merge_compareILb0ELb1EiNS0_19identity_decomposerEEEEE10hipError_tT0_T1_T2_jT3_P12ihipStream_tbPNSt15iterator_traitsISG_E10value_typeEPNSM_ISH_E10value_typeEPSI_NS1_7vsmem_tEENKUlT_SG_SH_SI_E_clISA_PiSB_PsEESF_SV_SG_SH_SI_EUlSV_E0_NS1_11comp_targetILNS1_3genE0ELNS1_11target_archE4294967295ELNS1_3gpuE0ELNS1_3repE0EEENS1_38merge_mergepath_config_static_selectorELNS0_4arch9wavefront6targetE1EEEvSH_
	.p2align	8
	.type	_ZN7rocprim17ROCPRIM_400000_NS6detail17trampoline_kernelINS0_14default_configENS1_38merge_sort_block_merge_config_selectorIisEEZZNS1_27merge_sort_block_merge_implIS3_N6thrust23THRUST_200600_302600_NS10device_ptrIiEENS9_IsEEjNS1_19radix_merge_compareILb0ELb1EiNS0_19identity_decomposerEEEEE10hipError_tT0_T1_T2_jT3_P12ihipStream_tbPNSt15iterator_traitsISG_E10value_typeEPNSM_ISH_E10value_typeEPSI_NS1_7vsmem_tEENKUlT_SG_SH_SI_E_clISA_PiSB_PsEESF_SV_SG_SH_SI_EUlSV_E0_NS1_11comp_targetILNS1_3genE0ELNS1_11target_archE4294967295ELNS1_3gpuE0ELNS1_3repE0EEENS1_38merge_mergepath_config_static_selectorELNS0_4arch9wavefront6targetE1EEEvSH_,@function
_ZN7rocprim17ROCPRIM_400000_NS6detail17trampoline_kernelINS0_14default_configENS1_38merge_sort_block_merge_config_selectorIisEEZZNS1_27merge_sort_block_merge_implIS3_N6thrust23THRUST_200600_302600_NS10device_ptrIiEENS9_IsEEjNS1_19radix_merge_compareILb0ELb1EiNS0_19identity_decomposerEEEEE10hipError_tT0_T1_T2_jT3_P12ihipStream_tbPNSt15iterator_traitsISG_E10value_typeEPNSM_ISH_E10value_typeEPSI_NS1_7vsmem_tEENKUlT_SG_SH_SI_E_clISA_PiSB_PsEESF_SV_SG_SH_SI_EUlSV_E0_NS1_11comp_targetILNS1_3genE0ELNS1_11target_archE4294967295ELNS1_3gpuE0ELNS1_3repE0EEENS1_38merge_mergepath_config_static_selectorELNS0_4arch9wavefront6targetE1EEEvSH_: ; @_ZN7rocprim17ROCPRIM_400000_NS6detail17trampoline_kernelINS0_14default_configENS1_38merge_sort_block_merge_config_selectorIisEEZZNS1_27merge_sort_block_merge_implIS3_N6thrust23THRUST_200600_302600_NS10device_ptrIiEENS9_IsEEjNS1_19radix_merge_compareILb0ELb1EiNS0_19identity_decomposerEEEEE10hipError_tT0_T1_T2_jT3_P12ihipStream_tbPNSt15iterator_traitsISG_E10value_typeEPNSM_ISH_E10value_typeEPSI_NS1_7vsmem_tEENKUlT_SG_SH_SI_E_clISA_PiSB_PsEESF_SV_SG_SH_SI_EUlSV_E0_NS1_11comp_targetILNS1_3genE0ELNS1_11target_archE4294967295ELNS1_3gpuE0ELNS1_3repE0EEENS1_38merge_mergepath_config_static_selectorELNS0_4arch9wavefront6targetE1EEEvSH_
; %bb.0:
	s_load_dwordx2 s[26:27], s[0:1], 0x40
	s_load_dwordx2 s[16:17], s[0:1], 0x30
	s_add_u32 s22, s0, 64
	s_addc_u32 s23, s1, 0
	s_waitcnt lgkmcnt(0)
	s_mul_i32 s4, s27, s4
	s_add_i32 s3, s4, s3
	s_mul_i32 s3, s3, s26
	s_add_i32 s24, s3, s2
	s_cmp_ge_u32 s24, s16
	s_cbranch_scc1 .LBB2388_46
; %bb.1:
	s_load_dwordx8 s[8:15], s[0:1], 0x10
	s_load_dwordx2 s[20:21], s[0:1], 0x8
	s_load_dwordx2 s[4:5], s[0:1], 0x38
	s_mov_b32 s25, 0
	v_mov_b32_e32 v5, 0
	s_waitcnt lgkmcnt(0)
	s_lshr_b32 s30, s14, 10
	s_cmp_lg_u32 s24, s30
	s_cselect_b64 s[18:19], -1, 0
	s_lshl_b64 s[0:1], s[24:25], 2
	s_add_u32 s4, s4, s0
	s_addc_u32 s5, s5, s1
	s_lshr_b32 s3, s15, 9
	s_and_b32 s3, s3, 0x7ffffe
	s_load_dwordx2 s[0:1], s[4:5], 0x0
	s_sub_i32 s3, 0, s3
	s_and_b32 s4, s24, s3
	s_lshl_b32 s5, s4, 10
	s_lshl_b32 s16, s24, 10
	;; [unrolled: 1-line block ×3, first 2 shown]
	s_sub_i32 s6, s16, s5
	s_add_i32 s7, s4, s15
	s_add_i32 s6, s7, s6
	s_waitcnt lgkmcnt(0)
	s_sub_i32 s4, s6, s0
	s_sub_i32 s6, s6, s1
	;; [unrolled: 1-line block ×3, first 2 shown]
	s_min_u32 s4, s14, s4
	s_addk_i32 s6, 0x400
	s_or_b32 s3, s24, s3
	s_min_u32 s7, s14, s5
	s_add_i32 s5, s5, s15
	s_cmp_eq_u32 s3, -1
	s_cselect_b32 s1, s7, s1
	s_cselect_b32 s3, s5, s6
	s_sub_i32 s15, s1, s0
	s_mov_b32 s1, s25
	s_min_u32 s27, s3, s14
	s_lshl_b64 s[6:7], s[0:1], 2
	s_add_u32 s6, s20, s6
	s_mov_b32 s5, s25
	s_addc_u32 s7, s21, s7
	s_lshl_b64 s[28:29], s[4:5], 2
	s_add_u32 s20, s20, s28
	s_addc_u32 s21, s21, s29
	s_cmp_lt_u32 s2, s26
	s_cselect_b32 s2, 12, 18
	global_load_dword v1, v5, s[22:23] offset:14
	s_add_u32 s2, s22, s2
	s_addc_u32 s3, s23, 0
	global_load_ushort v2, v5, s[2:3]
	s_cmp_eq_u32 s24, s30
	v_lshlrev_b32_e32 v6, 2, v0
	s_waitcnt vmcnt(1)
	v_lshrrev_b32_e32 v3, 16, v1
	v_and_b32_e32 v1, 0xffff, v1
	v_mul_lo_u32 v1, v1, v3
	s_waitcnt vmcnt(0)
	v_mul_lo_u32 v1, v1, v2
	v_add_u32_e32 v12, v1, v0
	v_add_u32_e32 v10, v12, v1
	s_cbranch_scc1 .LBB2388_3
; %bb.2:
	v_mov_b32_e32 v7, v5
	v_subrev_co_u32_e32 v4, vcc, s15, v0
	v_lshl_add_u64 v[2:3], s[6:7], 0, v[6:7]
	v_lshl_add_u64 v[8:9], v[4:5], 2, s[20:21]
	v_cndmask_b32_e32 v3, v9, v3, vcc
	v_cndmask_b32_e32 v2, v8, v2, vcc
	v_mov_b32_e32 v13, v5
	v_subrev_co_u32_e32 v4, vcc, s15, v12
	v_lshl_add_u64 v[8:9], v[12:13], 2, s[6:7]
	v_lshl_add_u64 v[14:15], v[4:5], 2, s[20:21]
	v_cndmask_b32_e32 v9, v15, v9, vcc
	v_cndmask_b32_e32 v8, v14, v8, vcc
	v_mov_b32_e32 v11, v5
	v_subrev_co_u32_e32 v4, vcc, s15, v10
	global_load_dword v2, v[2:3], off
	v_lshl_add_u64 v[14:15], v[4:5], 2, s[20:21]
	global_load_dword v3, v[8:9], off
	v_lshl_add_u64 v[8:9], v[10:11], 2, s[6:7]
	v_cndmask_b32_e32 v9, v15, v9, vcc
	v_cndmask_b32_e32 v8, v14, v8, vcc
	global_load_dword v4, v[8:9], off
	v_add_u32_e32 v8, v10, v1
	s_mov_b64 s[2:3], -1
	s_sub_i32 s24, s27, s4
	s_cbranch_execz .LBB2388_4
	s_branch .LBB2388_9
.LBB2388_3:
	s_mov_b64 s[2:3], 0
                                        ; implicit-def: $vgpr8
                                        ; implicit-def: $vgpr2_vgpr3_vgpr4_vgpr5
	s_sub_i32 s24, s27, s4
.LBB2388_4:
	s_add_i32 s22, s24, s15
	s_waitcnt vmcnt(2)
	v_mov_b32_e32 v2, 0
	v_cmp_gt_u32_e32 vcc, s22, v0
	s_waitcnt vmcnt(1)
	v_mov_b32_e32 v3, v2
	s_waitcnt vmcnt(0)
	v_mov_b32_e32 v4, v2
	v_mov_b32_e32 v5, v2
	s_and_saveexec_b64 s[2:3], vcc
	s_cbranch_execnz .LBB2388_47
; %bb.5:
	s_or_b64 exec, exec, s[2:3]
	v_cmp_gt_u32_e32 vcc, s22, v12
	s_and_saveexec_b64 s[2:3], vcc
	s_cbranch_execnz .LBB2388_48
.LBB2388_6:
	s_or_b64 exec, exec, s[2:3]
	v_cmp_gt_u32_e32 vcc, s22, v10
	s_and_saveexec_b64 s[2:3], vcc
	s_cbranch_execz .LBB2388_8
.LBB2388_7:
	v_mov_b32_e32 v11, 0
	v_subrev_co_u32_e32 v14, vcc, s15, v10
	v_mov_b32_e32 v15, v11
	v_lshl_add_u64 v[8:9], v[10:11], 2, s[6:7]
	v_lshl_add_u64 v[14:15], v[14:15], 2, s[20:21]
	v_cndmask_b32_e32 v9, v15, v9, vcc
	v_cndmask_b32_e32 v8, v14, v8, vcc
	global_load_dword v4, v[8:9], off
.LBB2388_8:
	s_or_b64 exec, exec, s[2:3]
	v_add_u32_e32 v8, v10, v1
	v_cmp_gt_u32_e64 s[2:3], s22, v8
.LBB2388_9:
	s_and_saveexec_b64 s[22:23], s[2:3]
	s_cbranch_execz .LBB2388_11
; %bb.10:
	v_mov_b32_e32 v15, 0
	v_mov_b32_e32 v9, v15
	v_subrev_co_u32_e32 v14, vcc, s15, v8
	v_lshl_add_u64 v[16:17], v[8:9], 2, s[6:7]
	v_lshl_add_u64 v[8:9], v[14:15], 2, s[20:21]
	v_cndmask_b32_e32 v9, v9, v17, vcc
	v_cndmask_b32_e32 v8, v8, v16, vcc
	global_load_dword v5, v[8:9], off
.LBB2388_11:
	s_or_b64 exec, exec, s[22:23]
	s_lshl_b64 s[0:1], s[0:1], 1
	s_add_u32 s0, s10, s0
	s_addc_u32 s1, s11, s1
	s_lshl_b64 s[2:3], s[4:5], 1
	s_add_u32 s2, s10, s2
	v_mov_b32_e32 v15, 0
	s_addc_u32 s3, s11, s3
	s_andn2_b64 vcc, exec, s[18:19]
	v_lshlrev_b32_e32 v8, 1, v0
	s_waitcnt vmcnt(0)
	ds_write2st64_b32 v6, v2, v3 offset1:4
	ds_write2st64_b32 v6, v4, v5 offset0:8 offset1:12
	s_cbranch_vccnz .LBB2388_13
; %bb.12:
	v_mov_b32_e32 v9, v15
	v_subrev_co_u32_e32 v14, vcc, s15, v0
	v_lshl_add_u64 v[16:17], s[0:1], 0, v[8:9]
	v_lshl_add_u64 v[18:19], v[14:15], 1, s[2:3]
	v_cndmask_b32_e32 v17, v19, v17, vcc
	v_cndmask_b32_e32 v16, v18, v16, vcc
	v_mov_b32_e32 v13, v15
	v_subrev_co_u32_e32 v14, vcc, s15, v12
	global_load_ushort v7, v[16:17], off
	v_lshl_add_u64 v[16:17], v[12:13], 1, s[0:1]
	v_lshl_add_u64 v[18:19], v[14:15], 1, s[2:3]
	v_cndmask_b32_e32 v17, v19, v17, vcc
	v_cndmask_b32_e32 v16, v18, v16, vcc
	v_mov_b32_e32 v11, v15
	v_subrev_co_u32_e32 v14, vcc, s15, v10
	global_load_ushort v9, v[16:17], off
	v_lshl_add_u64 v[16:17], v[10:11], 1, s[0:1]
	v_lshl_add_u64 v[14:15], v[14:15], 1, s[2:3]
	v_cndmask_b32_e32 v15, v15, v17, vcc
	v_cndmask_b32_e32 v14, v14, v16, vcc
	global_load_ushort v11, v[14:15], off
	s_mov_b32 s10, 0x5040100
	s_add_i32 s11, s24, s15
	v_add_u32_e32 v16, v10, v1
	s_mov_b64 s[4:5], -1
	s_waitcnt vmcnt(1)
	v_perm_b32 v14, v9, v7, s10
	v_mov_b32_e32 v7, s11
	s_waitcnt vmcnt(0)
	v_and_b32_e32 v15, 0xffff, v11
	s_cbranch_execz .LBB2388_14
	s_branch .LBB2388_19
.LBB2388_13:
	s_mov_b64 s[4:5], 0
                                        ; implicit-def: $vgpr16
                                        ; implicit-def: $vgpr14_vgpr15
                                        ; implicit-def: $vgpr7
.LBB2388_14:
	s_add_i32 s6, s24, s15
	v_mov_b32_e32 v14, 0
	v_cmp_gt_u32_e32 vcc, s6, v0
	v_mov_b32_e32 v15, v14
	s_and_saveexec_b64 s[4:5], vcc
	s_cbranch_execnz .LBB2388_49
; %bb.15:
	s_or_b64 exec, exec, s[4:5]
	v_cmp_gt_u32_e32 vcc, s6, v12
	s_and_saveexec_b64 s[4:5], vcc
	s_cbranch_execnz .LBB2388_50
.LBB2388_16:
	s_or_b64 exec, exec, s[4:5]
	v_cmp_gt_u32_e32 vcc, s6, v10
	s_and_saveexec_b64 s[4:5], vcc
	s_cbranch_execz .LBB2388_18
.LBB2388_17:
	v_mov_b32_e32 v11, 0
	v_subrev_co_u32_e32 v16, vcc, s15, v10
	v_mov_b32_e32 v17, v11
	v_lshl_add_u64 v[12:13], v[10:11], 1, s[0:1]
	v_lshl_add_u64 v[16:17], v[16:17], 1, s[2:3]
	v_cndmask_b32_e32 v13, v17, v13, vcc
	v_cndmask_b32_e32 v12, v16, v12, vcc
	global_load_ushort v7, v[12:13], off
	s_mov_b32 s7, 0xffff
	s_waitcnt vmcnt(0)
	v_bfi_b32 v15, s7, v7, v15
.LBB2388_18:
	s_or_b64 exec, exec, s[4:5]
	v_add_u32_e32 v16, v10, v1
	v_cmp_gt_u32_e64 s[4:5], s6, v16
	v_mov_b32_e32 v7, s6
.LBB2388_19:
	s_and_saveexec_b64 s[6:7], s[4:5]
	s_cbranch_execz .LBB2388_21
; %bb.20:
	v_mov_b32_e32 v11, 0
	v_mov_b32_e32 v17, v11
	v_subrev_co_u32_e32 v10, vcc, s15, v16
	v_lshl_add_u64 v[12:13], v[16:17], 1, s[0:1]
	v_lshl_add_u64 v[10:11], v[10:11], 1, s[2:3]
	v_cndmask_b32_e32 v11, v11, v13, vcc
	v_cndmask_b32_e32 v10, v10, v12, vcc
	global_load_ushort v1, v[10:11], off
	s_mov_b32 s0, 0x5040100
	s_waitcnt vmcnt(0)
	v_perm_b32 v15, v1, v15, s0
.LBB2388_21:
	s_or_b64 exec, exec, s[6:7]
	v_min_u32_e32 v9, v7, v6
	v_sub_u32_e64 v1, v9, s24 clamp
	v_min_u32_e32 v10, s15, v9
	v_cmp_lt_u32_e32 vcc, v1, v10
	s_waitcnt lgkmcnt(0)
	s_barrier
	s_and_saveexec_b64 s[0:1], vcc
	s_cbranch_execz .LBB2388_25
; %bb.22:
	v_lshlrev_b32_e32 v11, 2, v9
	v_lshl_add_u32 v11, s15, 2, v11
	s_mov_b64 s[2:3], 0
.LBB2388_23:                            ; =>This Inner Loop Header: Depth=1
	v_add_u32_e32 v12, v10, v1
	v_lshrrev_b32_e32 v12, 1, v12
	v_not_b32_e32 v13, v12
	v_lshlrev_b32_e32 v16, 2, v12
	v_lshl_add_u32 v13, v13, 2, v11
	ds_read_b32 v16, v16
	ds_read_b32 v13, v13
	v_add_u32_e32 v17, 1, v12
	s_waitcnt lgkmcnt(1)
	v_and_b32_e32 v16, s17, v16
	s_waitcnt lgkmcnt(0)
	v_and_b32_e32 v13, s17, v13
	v_cmp_gt_i32_e32 vcc, v16, v13
	s_nop 1
	v_cndmask_b32_e32 v10, v10, v12, vcc
	v_cndmask_b32_e32 v1, v17, v1, vcc
	v_cmp_ge_u32_e32 vcc, v1, v10
	s_or_b64 s[2:3], vcc, s[2:3]
	s_andn2_b64 exec, exec, s[2:3]
	s_cbranch_execnz .LBB2388_23
; %bb.24:
	s_or_b64 exec, exec, s[2:3]
.LBB2388_25:
	s_or_b64 exec, exec, s[0:1]
	v_sub_u32_e32 v9, v9, v1
	v_add_u32_e32 v12, s15, v9
	v_cmp_ge_u32_e32 vcc, s15, v1
	v_cmp_le_u32_e64 s[0:1], v12, v7
	s_or_b64 s[0:1], vcc, s[0:1]
	v_mov_b32_e32 v13, 0
	v_mov_b32_e32 v11, 0
	;; [unrolled: 1-line block ×4, first 2 shown]
	s_and_saveexec_b64 s[10:11], s[0:1]
	s_cbranch_execz .LBB2388_31
; %bb.26:
	v_cmp_gt_u32_e32 vcc, s15, v1
                                        ; implicit-def: $vgpr2
	s_and_saveexec_b64 s[0:1], vcc
; %bb.27:
	v_lshlrev_b32_e32 v2, 2, v1
	ds_read_b32 v2, v2
; %bb.28:
	s_or_b64 exec, exec, s[0:1]
	v_cmp_ge_u32_e64 s[0:1], v12, v7
	v_cmp_lt_u32_e64 s[2:3], v12, v7
                                        ; implicit-def: $vgpr3
	s_and_saveexec_b64 s[4:5], s[2:3]
; %bb.29:
	v_lshlrev_b32_e32 v3, 2, v12
	ds_read_b32 v3, v3
; %bb.30:
	s_or_b64 exec, exec, s[4:5]
	s_waitcnt lgkmcnt(0)
	v_and_b32_e32 v4, s17, v3
	v_and_b32_e32 v5, s17, v2
	v_cmp_le_i32_e64 s[2:3], v5, v4
	s_and_b64 s[2:3], vcc, s[2:3]
	s_or_b64 vcc, s[0:1], s[2:3]
	v_mov_b32_e32 v4, s15
	v_cndmask_b32_e32 v9, v12, v1, vcc
	v_cndmask_b32_e32 v5, v7, v4, vcc
	v_add_u32_e32 v10, 1, v9
	v_add_u32_e32 v5, -1, v5
	v_min_u32_e32 v5, v10, v5
	v_lshlrev_b32_e32 v5, 2, v5
	ds_read_b32 v5, v5
	v_cndmask_b32_e32 v11, v10, v12, vcc
	v_cndmask_b32_e32 v1, v1, v10, vcc
	v_cmp_gt_u32_e64 s[2:3], s15, v1
	v_cmp_ge_u32_e64 s[0:1], v11, v7
	s_waitcnt lgkmcnt(0)
	v_cndmask_b32_e32 v13, v5, v3, vcc
	v_cndmask_b32_e32 v5, v2, v5, vcc
	v_and_b32_e32 v10, s17, v13
	v_and_b32_e32 v12, s17, v5
	v_cmp_le_i32_e64 s[4:5], v12, v10
	s_and_b64 s[2:3], s[2:3], s[4:5]
	s_or_b64 s[0:1], s[0:1], s[2:3]
	v_cndmask_b32_e64 v10, v11, v1, s[0:1]
	v_cndmask_b32_e64 v12, v7, v4, s[0:1]
	v_add_u32_e32 v16, 1, v10
	v_add_u32_e32 v12, -1, v12
	v_min_u32_e32 v12, v16, v12
	v_lshlrev_b32_e32 v12, 2, v12
	ds_read_b32 v12, v12
	v_cndmask_b32_e64 v18, v16, v11, s[0:1]
	v_cndmask_b32_e64 v1, v1, v16, s[0:1]
	v_cmp_gt_u32_e64 s[4:5], s15, v1
	v_cmp_ge_u32_e64 s[2:3], v18, v7
	s_waitcnt lgkmcnt(0)
	v_cndmask_b32_e64 v17, v12, v13, s[0:1]
	v_cndmask_b32_e64 v12, v5, v12, s[0:1]
	v_and_b32_e32 v11, s17, v17
	v_and_b32_e32 v16, s17, v12
	v_cmp_le_i32_e64 s[6:7], v16, v11
	s_and_b64 s[4:5], s[4:5], s[6:7]
	s_or_b64 s[2:3], s[2:3], s[4:5]
	v_cndmask_b32_e64 v11, v18, v1, s[2:3]
	v_cndmask_b32_e64 v4, v7, v4, s[2:3]
	v_add_u32_e32 v16, 1, v11
	v_add_u32_e32 v4, -1, v4
	v_min_u32_e32 v4, v16, v4
	v_lshlrev_b32_e32 v4, 2, v4
	ds_read_b32 v19, v4
	v_cndmask_b32_e32 v2, v3, v2, vcc
	v_cndmask_b32_e64 v3, v13, v5, s[0:1]
	v_cndmask_b32_e64 v4, v17, v12, s[2:3]
	;; [unrolled: 1-line block ×3, first 2 shown]
	s_waitcnt lgkmcnt(0)
	v_cndmask_b32_e64 v5, v19, v17, s[2:3]
	v_cndmask_b32_e64 v12, v12, v19, s[2:3]
	;; [unrolled: 1-line block ×3, first 2 shown]
	v_cmp_ge_u32_e32 vcc, v13, v7
	v_and_b32_e32 v7, s17, v5
	v_and_b32_e32 v16, s17, v12
	v_cmp_gt_u32_e64 s[0:1], s15, v1
	v_cmp_le_i32_e64 s[2:3], v16, v7
	s_and_b64 s[0:1], s[0:1], s[2:3]
	s_or_b64 vcc, vcc, s[0:1]
	v_cndmask_b32_e32 v13, v13, v1, vcc
	v_cndmask_b32_e32 v5, v5, v12, vcc
.LBB2388_31:
	s_or_b64 exec, exec, s[10:11]
	v_sub_u32_e32 v1, v6, v8
	s_barrier
	ds_write_b16 v1, v14
	ds_write_b16_d16_hi v1, v14 offset:512
	ds_write_b16 v1, v15 offset:1024
	ds_write_b16_d16_hi v1, v15 offset:1536
	v_lshlrev_b32_e32 v1, 1, v9
	v_lshlrev_b32_e32 v7, 1, v10
	;; [unrolled: 1-line block ×4, first 2 shown]
	s_waitcnt lgkmcnt(0)
	s_barrier
	ds_read_u16 v1, v1
	ds_read_u16 v9, v7
	;; [unrolled: 1-line block ×4, first 2 shown]
	s_mov_b32 s17, 0
	s_lshl_b64 s[0:1], s[16:17], 2
	v_lshrrev_b32_e32 v12, 3, v0
	v_lshlrev_b32_e32 v7, 2, v6
	s_add_u32 s0, s8, s0
	v_lshl_add_u32 v7, v12, 2, v7
	v_or_b32_e32 v16, 0x100, v0
	v_or_b32_e32 v15, 0x200, v0
	;; [unrolled: 1-line block ×3, first 2 shown]
	s_waitcnt lgkmcnt(0)
	s_barrier
	s_barrier
	s_addc_u32 s1, s9, s1
	ds_write2_b32 v7, v2, v3 offset1:1
	ds_write2_b32 v7, v4, v5 offset0:2 offset1:3
	v_lshrrev_b32_e32 v4, 5, v0
	v_lshrrev_b32_e32 v5, 5, v16
	;; [unrolled: 1-line block ×4, first 2 shown]
	v_mov_b32_e32 v7, 0
	v_lshl_add_u32 v17, v4, 2, v6
	v_lshl_add_u32 v18, v5, 2, v6
	;; [unrolled: 1-line block ×4, first 2 shown]
	v_lshl_add_u64 v[2:3], s[0:1], 0, v[6:7]
	s_and_b64 vcc, exec, s[18:19]
	v_and_b32_e32 v12, 30, v12
	v_lshlrev_b32_e32 v13, 1, v6
	v_and_b32_e32 v7, 14, v5
	v_and_b32_e32 v6, 30, v21
	;; [unrolled: 1-line block ×3, first 2 shown]
	s_waitcnt lgkmcnt(0)
	s_cbranch_vccz .LBB2388_33
; %bb.32:
	s_barrier
	ds_read_b32 v21, v17
	ds_read_b32 v22, v18 offset:1024
	ds_read_b32 v23, v19 offset:2048
	;; [unrolled: 1-line block ×3, first 2 shown]
	s_mov_b32 s2, 0x5040100
	s_lshl_b64 s[0:1], s[16:17], 1
	s_waitcnt lgkmcnt(3)
	global_store_dword v[2:3], v21, off
	s_waitcnt lgkmcnt(2)
	global_store_dword v[2:3], v22, off offset:1024
	s_waitcnt lgkmcnt(1)
	global_store_dword v[2:3], v23, off offset:2048
	;; [unrolled: 2-line block ×3, first 2 shown]
	v_lshl_add_u32 v21, v12, 1, v13
	v_perm_b32 v22, v11, v10, s2
	v_perm_b32 v23, v9, v1, s2
	s_barrier
	ds_write2_b32 v21, v23, v22 offset1:1
	v_and_b32_e32 v21, 6, v4
	v_lshl_add_u32 v21, v21, 1, v8
	v_lshl_add_u32 v22, v7, 1, v8
	;; [unrolled: 1-line block ×3, first 2 shown]
	s_waitcnt lgkmcnt(0)
	s_barrier
	ds_read_u16 v24, v21
	ds_read_u16 v22, v22 offset:512
	ds_read_u16 v23, v23 offset:1024
	v_lshl_add_u32 v21, v5, 1, v8
	ds_read_u16 v21, v21 offset:1536
	s_add_u32 s0, s12, s0
	s_addc_u32 s1, s13, s1
	s_waitcnt lgkmcnt(3)
	global_store_short v8, v24, s[0:1]
	s_waitcnt lgkmcnt(2)
	global_store_short v8, v22, s[0:1] offset:512
	s_waitcnt lgkmcnt(1)
	global_store_short v8, v23, s[0:1] offset:1024
	s_mov_b64 s[4:5], -1
	s_cbranch_execz .LBB2388_34
	s_branch .LBB2388_44
.LBB2388_33:
	s_mov_b64 s[4:5], 0
                                        ; implicit-def: $vgpr21
.LBB2388_34:
	s_barrier
	s_waitcnt lgkmcnt(0)
	ds_read_b32 v21, v18 offset:1024
	ds_read_b32 v19, v19 offset:2048
	;; [unrolled: 1-line block ×3, first 2 shown]
	s_sub_i32 s6, s14, s16
	v_cmp_gt_u32_e32 vcc, s6, v0
	s_and_saveexec_b64 s[0:1], vcc
	s_cbranch_execnz .LBB2388_51
; %bb.35:
	s_or_b64 exec, exec, s[0:1]
	v_cmp_gt_u32_e64 s[0:1], s6, v16
	s_and_saveexec_b64 s[2:3], s[0:1]
	s_cbranch_execnz .LBB2388_52
.LBB2388_36:
	s_or_b64 exec, exec, s[2:3]
	v_cmp_gt_u32_e64 s[2:3], s6, v15
	s_and_saveexec_b64 s[4:5], s[2:3]
	s_cbranch_execnz .LBB2388_53
.LBB2388_37:
	s_or_b64 exec, exec, s[4:5]
	v_cmp_gt_u32_e64 s[4:5], s6, v14
	s_and_saveexec_b64 s[6:7], s[4:5]
	s_cbranch_execz .LBB2388_39
.LBB2388_38:
	s_waitcnt lgkmcnt(0)
	global_store_dword v[2:3], v18, off offset:3072
.LBB2388_39:
	s_or_b64 exec, exec, s[6:7]
	s_mov_b32 s8, 0x5040100
	v_lshl_add_u32 v0, v12, 1, v13
	v_perm_b32 v2, v11, v10, s8
	v_perm_b32 v1, v9, v1, s8
	s_waitcnt lgkmcnt(0)
	s_barrier
	ds_write2_b32 v0, v1, v2 offset1:1
	v_lshl_add_u32 v0, v7, 1, v8
	s_waitcnt lgkmcnt(0)
	s_barrier
	v_lshl_add_u32 v1, v6, 1, v8
	v_lshl_add_u32 v5, v5, 1, v8
	ds_read_u16 v3, v0 offset:512
	ds_read_u16 v2, v1 offset:1024
	;; [unrolled: 1-line block ×3, first 2 shown]
	s_lshl_b64 s[6:7], s[16:17], 1
	s_add_u32 s6, s12, s6
	s_addc_u32 s7, s13, s7
	v_mov_b32_e32 v9, 0
	v_lshl_add_u64 v[0:1], s[6:7], 0, v[8:9]
	s_and_saveexec_b64 s[6:7], vcc
	s_cbranch_execnz .LBB2388_54
; %bb.40:
	s_or_b64 exec, exec, s[6:7]
	s_and_saveexec_b64 s[6:7], s[0:1]
	s_cbranch_execnz .LBB2388_55
.LBB2388_41:
	s_or_b64 exec, exec, s[6:7]
	s_and_saveexec_b64 s[0:1], s[2:3]
	s_cbranch_execz .LBB2388_43
.LBB2388_42:
	s_waitcnt lgkmcnt(1)
	global_store_short v[0:1], v2, off offset:1024
.LBB2388_43:
	s_or_b64 exec, exec, s[0:1]
.LBB2388_44:
	s_and_saveexec_b64 s[0:1], s[4:5]
	s_cbranch_execz .LBB2388_46
; %bb.45:
	s_lshl_b64 s[0:1], s[16:17], 1
	s_add_u32 s0, s12, s0
	s_addc_u32 s1, s13, s1
	s_waitcnt lgkmcnt(0)
	global_store_short v8, v21, s[0:1] offset:1536
.LBB2388_46:
	s_endpgm
.LBB2388_47:
	v_mov_b32_e32 v7, v2
	v_subrev_co_u32_e32 v8, vcc, s15, v0
	v_mov_b32_e32 v9, v2
	v_lshl_add_u64 v[4:5], s[6:7], 0, v[6:7]
	v_lshl_add_u64 v[8:9], v[8:9], 2, s[20:21]
	v_cndmask_b32_e32 v5, v9, v5, vcc
	v_cndmask_b32_e32 v4, v8, v4, vcc
	global_load_dword v14, v[4:5], off
	v_mov_b32_e32 v15, v2
	v_mov_b32_e32 v16, v2
	v_mov_b32_e32 v17, v2
	s_waitcnt vmcnt(0)
	v_mov_b64_e32 v[2:3], v[14:15]
	v_mov_b64_e32 v[4:5], v[16:17]
	s_or_b64 exec, exec, s[2:3]
	v_cmp_gt_u32_e32 vcc, s22, v12
	s_and_saveexec_b64 s[2:3], vcc
	s_cbranch_execz .LBB2388_6
.LBB2388_48:
	v_mov_b32_e32 v13, 0
	v_subrev_co_u32_e32 v14, vcc, s15, v12
	v_mov_b32_e32 v15, v13
	v_lshl_add_u64 v[8:9], v[12:13], 2, s[6:7]
	v_lshl_add_u64 v[14:15], v[14:15], 2, s[20:21]
	v_cndmask_b32_e32 v9, v15, v9, vcc
	v_cndmask_b32_e32 v8, v14, v8, vcc
	global_load_dword v3, v[8:9], off
	s_or_b64 exec, exec, s[2:3]
	v_cmp_gt_u32_e32 vcc, s22, v10
	s_and_saveexec_b64 s[2:3], vcc
	s_cbranch_execnz .LBB2388_7
	s_branch .LBB2388_8
.LBB2388_49:
	v_mov_b32_e32 v9, v14
	v_subrev_co_u32_e32 v18, vcc, s15, v0
	v_mov_b32_e32 v19, v14
	v_lshl_add_u64 v[16:17], s[0:1], 0, v[8:9]
	v_lshl_add_u64 v[18:19], v[18:19], 1, s[2:3]
	v_cndmask_b32_e32 v17, v19, v17, vcc
	v_cndmask_b32_e32 v16, v18, v16, vcc
	global_load_ushort v7, v[16:17], off
	v_mov_b32_e32 v17, v14
	s_waitcnt vmcnt(0)
	v_and_b32_e32 v16, 0xffff, v7
	v_mov_b64_e32 v[14:15], v[16:17]
	s_or_b64 exec, exec, s[4:5]
	v_cmp_gt_u32_e32 vcc, s6, v12
	s_and_saveexec_b64 s[4:5], vcc
	s_cbranch_execz .LBB2388_16
.LBB2388_50:
	v_mov_b32_e32 v13, 0
	v_lshl_add_u64 v[16:17], v[12:13], 1, s[0:1]
	v_subrev_co_u32_e32 v12, vcc, s15, v12
	v_lshl_add_u64 v[12:13], v[12:13], 1, s[2:3]
	s_nop 0
	v_cndmask_b32_e32 v13, v13, v17, vcc
	v_cndmask_b32_e32 v12, v12, v16, vcc
	global_load_ushort v7, v[12:13], off
	s_mov_b32 s7, 0x5040100
	s_waitcnt vmcnt(0)
	v_perm_b32 v14, v7, v14, s7
	s_or_b64 exec, exec, s[4:5]
	v_cmp_gt_u32_e32 vcc, s6, v10
	s_and_saveexec_b64 s[4:5], vcc
	s_cbranch_execnz .LBB2388_17
	s_branch .LBB2388_18
.LBB2388_51:
	ds_read_b32 v0, v17
	s_waitcnt lgkmcnt(0)
	global_store_dword v[2:3], v0, off
	s_or_b64 exec, exec, s[0:1]
	v_cmp_gt_u32_e64 s[0:1], s6, v16
	s_and_saveexec_b64 s[2:3], s[0:1]
	s_cbranch_execz .LBB2388_36
.LBB2388_52:
	s_waitcnt lgkmcnt(2)
	global_store_dword v[2:3], v21, off offset:1024
	s_or_b64 exec, exec, s[2:3]
	v_cmp_gt_u32_e64 s[2:3], s6, v15
	s_and_saveexec_b64 s[4:5], s[2:3]
	s_cbranch_execz .LBB2388_37
.LBB2388_53:
	s_waitcnt lgkmcnt(1)
	global_store_dword v[2:3], v19, off offset:2048
	s_or_b64 exec, exec, s[4:5]
	v_cmp_gt_u32_e64 s[4:5], s6, v14
	s_and_saveexec_b64 s[6:7], s[4:5]
	s_cbranch_execnz .LBB2388_38
	s_branch .LBB2388_39
.LBB2388_54:
	v_and_b32_e32 v4, 6, v4
	v_lshl_add_u32 v4, v4, 1, v8
	ds_read_u16 v4, v4
	s_waitcnt lgkmcnt(0)
	global_store_short v[0:1], v4, off
	s_or_b64 exec, exec, s[6:7]
	s_and_saveexec_b64 s[6:7], s[0:1]
	s_cbranch_execz .LBB2388_41
.LBB2388_55:
	s_waitcnt lgkmcnt(2)
	global_store_short v[0:1], v3, off offset:512
	s_or_b64 exec, exec, s[6:7]
	s_and_saveexec_b64 s[0:1], s[2:3]
	s_cbranch_execnz .LBB2388_42
	s_branch .LBB2388_43
	.section	.rodata,"a",@progbits
	.p2align	6, 0x0
	.amdhsa_kernel _ZN7rocprim17ROCPRIM_400000_NS6detail17trampoline_kernelINS0_14default_configENS1_38merge_sort_block_merge_config_selectorIisEEZZNS1_27merge_sort_block_merge_implIS3_N6thrust23THRUST_200600_302600_NS10device_ptrIiEENS9_IsEEjNS1_19radix_merge_compareILb0ELb1EiNS0_19identity_decomposerEEEEE10hipError_tT0_T1_T2_jT3_P12ihipStream_tbPNSt15iterator_traitsISG_E10value_typeEPNSM_ISH_E10value_typeEPSI_NS1_7vsmem_tEENKUlT_SG_SH_SI_E_clISA_PiSB_PsEESF_SV_SG_SH_SI_EUlSV_E0_NS1_11comp_targetILNS1_3genE0ELNS1_11target_archE4294967295ELNS1_3gpuE0ELNS1_3repE0EEENS1_38merge_mergepath_config_static_selectorELNS0_4arch9wavefront6targetE1EEEvSH_
		.amdhsa_group_segment_fixed_size 4224
		.amdhsa_private_segment_fixed_size 0
		.amdhsa_kernarg_size 320
		.amdhsa_user_sgpr_count 2
		.amdhsa_user_sgpr_dispatch_ptr 0
		.amdhsa_user_sgpr_queue_ptr 0
		.amdhsa_user_sgpr_kernarg_segment_ptr 1
		.amdhsa_user_sgpr_dispatch_id 0
		.amdhsa_user_sgpr_kernarg_preload_length 0
		.amdhsa_user_sgpr_kernarg_preload_offset 0
		.amdhsa_user_sgpr_private_segment_size 0
		.amdhsa_uses_dynamic_stack 0
		.amdhsa_enable_private_segment 0
		.amdhsa_system_sgpr_workgroup_id_x 1
		.amdhsa_system_sgpr_workgroup_id_y 1
		.amdhsa_system_sgpr_workgroup_id_z 1
		.amdhsa_system_sgpr_workgroup_info 0
		.amdhsa_system_vgpr_workitem_id 0
		.amdhsa_next_free_vgpr 25
		.amdhsa_next_free_sgpr 31
		.amdhsa_accum_offset 28
		.amdhsa_reserve_vcc 1
		.amdhsa_float_round_mode_32 0
		.amdhsa_float_round_mode_16_64 0
		.amdhsa_float_denorm_mode_32 3
		.amdhsa_float_denorm_mode_16_64 3
		.amdhsa_dx10_clamp 1
		.amdhsa_ieee_mode 1
		.amdhsa_fp16_overflow 0
		.amdhsa_tg_split 0
		.amdhsa_exception_fp_ieee_invalid_op 0
		.amdhsa_exception_fp_denorm_src 0
		.amdhsa_exception_fp_ieee_div_zero 0
		.amdhsa_exception_fp_ieee_overflow 0
		.amdhsa_exception_fp_ieee_underflow 0
		.amdhsa_exception_fp_ieee_inexact 0
		.amdhsa_exception_int_div_zero 0
	.end_amdhsa_kernel
	.section	.text._ZN7rocprim17ROCPRIM_400000_NS6detail17trampoline_kernelINS0_14default_configENS1_38merge_sort_block_merge_config_selectorIisEEZZNS1_27merge_sort_block_merge_implIS3_N6thrust23THRUST_200600_302600_NS10device_ptrIiEENS9_IsEEjNS1_19radix_merge_compareILb0ELb1EiNS0_19identity_decomposerEEEEE10hipError_tT0_T1_T2_jT3_P12ihipStream_tbPNSt15iterator_traitsISG_E10value_typeEPNSM_ISH_E10value_typeEPSI_NS1_7vsmem_tEENKUlT_SG_SH_SI_E_clISA_PiSB_PsEESF_SV_SG_SH_SI_EUlSV_E0_NS1_11comp_targetILNS1_3genE0ELNS1_11target_archE4294967295ELNS1_3gpuE0ELNS1_3repE0EEENS1_38merge_mergepath_config_static_selectorELNS0_4arch9wavefront6targetE1EEEvSH_,"axG",@progbits,_ZN7rocprim17ROCPRIM_400000_NS6detail17trampoline_kernelINS0_14default_configENS1_38merge_sort_block_merge_config_selectorIisEEZZNS1_27merge_sort_block_merge_implIS3_N6thrust23THRUST_200600_302600_NS10device_ptrIiEENS9_IsEEjNS1_19radix_merge_compareILb0ELb1EiNS0_19identity_decomposerEEEEE10hipError_tT0_T1_T2_jT3_P12ihipStream_tbPNSt15iterator_traitsISG_E10value_typeEPNSM_ISH_E10value_typeEPSI_NS1_7vsmem_tEENKUlT_SG_SH_SI_E_clISA_PiSB_PsEESF_SV_SG_SH_SI_EUlSV_E0_NS1_11comp_targetILNS1_3genE0ELNS1_11target_archE4294967295ELNS1_3gpuE0ELNS1_3repE0EEENS1_38merge_mergepath_config_static_selectorELNS0_4arch9wavefront6targetE1EEEvSH_,comdat
.Lfunc_end2388:
	.size	_ZN7rocprim17ROCPRIM_400000_NS6detail17trampoline_kernelINS0_14default_configENS1_38merge_sort_block_merge_config_selectorIisEEZZNS1_27merge_sort_block_merge_implIS3_N6thrust23THRUST_200600_302600_NS10device_ptrIiEENS9_IsEEjNS1_19radix_merge_compareILb0ELb1EiNS0_19identity_decomposerEEEEE10hipError_tT0_T1_T2_jT3_P12ihipStream_tbPNSt15iterator_traitsISG_E10value_typeEPNSM_ISH_E10value_typeEPSI_NS1_7vsmem_tEENKUlT_SG_SH_SI_E_clISA_PiSB_PsEESF_SV_SG_SH_SI_EUlSV_E0_NS1_11comp_targetILNS1_3genE0ELNS1_11target_archE4294967295ELNS1_3gpuE0ELNS1_3repE0EEENS1_38merge_mergepath_config_static_selectorELNS0_4arch9wavefront6targetE1EEEvSH_, .Lfunc_end2388-_ZN7rocprim17ROCPRIM_400000_NS6detail17trampoline_kernelINS0_14default_configENS1_38merge_sort_block_merge_config_selectorIisEEZZNS1_27merge_sort_block_merge_implIS3_N6thrust23THRUST_200600_302600_NS10device_ptrIiEENS9_IsEEjNS1_19radix_merge_compareILb0ELb1EiNS0_19identity_decomposerEEEEE10hipError_tT0_T1_T2_jT3_P12ihipStream_tbPNSt15iterator_traitsISG_E10value_typeEPNSM_ISH_E10value_typeEPSI_NS1_7vsmem_tEENKUlT_SG_SH_SI_E_clISA_PiSB_PsEESF_SV_SG_SH_SI_EUlSV_E0_NS1_11comp_targetILNS1_3genE0ELNS1_11target_archE4294967295ELNS1_3gpuE0ELNS1_3repE0EEENS1_38merge_mergepath_config_static_selectorELNS0_4arch9wavefront6targetE1EEEvSH_
                                        ; -- End function
	.set _ZN7rocprim17ROCPRIM_400000_NS6detail17trampoline_kernelINS0_14default_configENS1_38merge_sort_block_merge_config_selectorIisEEZZNS1_27merge_sort_block_merge_implIS3_N6thrust23THRUST_200600_302600_NS10device_ptrIiEENS9_IsEEjNS1_19radix_merge_compareILb0ELb1EiNS0_19identity_decomposerEEEEE10hipError_tT0_T1_T2_jT3_P12ihipStream_tbPNSt15iterator_traitsISG_E10value_typeEPNSM_ISH_E10value_typeEPSI_NS1_7vsmem_tEENKUlT_SG_SH_SI_E_clISA_PiSB_PsEESF_SV_SG_SH_SI_EUlSV_E0_NS1_11comp_targetILNS1_3genE0ELNS1_11target_archE4294967295ELNS1_3gpuE0ELNS1_3repE0EEENS1_38merge_mergepath_config_static_selectorELNS0_4arch9wavefront6targetE1EEEvSH_.num_vgpr, 25
	.set _ZN7rocprim17ROCPRIM_400000_NS6detail17trampoline_kernelINS0_14default_configENS1_38merge_sort_block_merge_config_selectorIisEEZZNS1_27merge_sort_block_merge_implIS3_N6thrust23THRUST_200600_302600_NS10device_ptrIiEENS9_IsEEjNS1_19radix_merge_compareILb0ELb1EiNS0_19identity_decomposerEEEEE10hipError_tT0_T1_T2_jT3_P12ihipStream_tbPNSt15iterator_traitsISG_E10value_typeEPNSM_ISH_E10value_typeEPSI_NS1_7vsmem_tEENKUlT_SG_SH_SI_E_clISA_PiSB_PsEESF_SV_SG_SH_SI_EUlSV_E0_NS1_11comp_targetILNS1_3genE0ELNS1_11target_archE4294967295ELNS1_3gpuE0ELNS1_3repE0EEENS1_38merge_mergepath_config_static_selectorELNS0_4arch9wavefront6targetE1EEEvSH_.num_agpr, 0
	.set _ZN7rocprim17ROCPRIM_400000_NS6detail17trampoline_kernelINS0_14default_configENS1_38merge_sort_block_merge_config_selectorIisEEZZNS1_27merge_sort_block_merge_implIS3_N6thrust23THRUST_200600_302600_NS10device_ptrIiEENS9_IsEEjNS1_19radix_merge_compareILb0ELb1EiNS0_19identity_decomposerEEEEE10hipError_tT0_T1_T2_jT3_P12ihipStream_tbPNSt15iterator_traitsISG_E10value_typeEPNSM_ISH_E10value_typeEPSI_NS1_7vsmem_tEENKUlT_SG_SH_SI_E_clISA_PiSB_PsEESF_SV_SG_SH_SI_EUlSV_E0_NS1_11comp_targetILNS1_3genE0ELNS1_11target_archE4294967295ELNS1_3gpuE0ELNS1_3repE0EEENS1_38merge_mergepath_config_static_selectorELNS0_4arch9wavefront6targetE1EEEvSH_.numbered_sgpr, 31
	.set _ZN7rocprim17ROCPRIM_400000_NS6detail17trampoline_kernelINS0_14default_configENS1_38merge_sort_block_merge_config_selectorIisEEZZNS1_27merge_sort_block_merge_implIS3_N6thrust23THRUST_200600_302600_NS10device_ptrIiEENS9_IsEEjNS1_19radix_merge_compareILb0ELb1EiNS0_19identity_decomposerEEEEE10hipError_tT0_T1_T2_jT3_P12ihipStream_tbPNSt15iterator_traitsISG_E10value_typeEPNSM_ISH_E10value_typeEPSI_NS1_7vsmem_tEENKUlT_SG_SH_SI_E_clISA_PiSB_PsEESF_SV_SG_SH_SI_EUlSV_E0_NS1_11comp_targetILNS1_3genE0ELNS1_11target_archE4294967295ELNS1_3gpuE0ELNS1_3repE0EEENS1_38merge_mergepath_config_static_selectorELNS0_4arch9wavefront6targetE1EEEvSH_.num_named_barrier, 0
	.set _ZN7rocprim17ROCPRIM_400000_NS6detail17trampoline_kernelINS0_14default_configENS1_38merge_sort_block_merge_config_selectorIisEEZZNS1_27merge_sort_block_merge_implIS3_N6thrust23THRUST_200600_302600_NS10device_ptrIiEENS9_IsEEjNS1_19radix_merge_compareILb0ELb1EiNS0_19identity_decomposerEEEEE10hipError_tT0_T1_T2_jT3_P12ihipStream_tbPNSt15iterator_traitsISG_E10value_typeEPNSM_ISH_E10value_typeEPSI_NS1_7vsmem_tEENKUlT_SG_SH_SI_E_clISA_PiSB_PsEESF_SV_SG_SH_SI_EUlSV_E0_NS1_11comp_targetILNS1_3genE0ELNS1_11target_archE4294967295ELNS1_3gpuE0ELNS1_3repE0EEENS1_38merge_mergepath_config_static_selectorELNS0_4arch9wavefront6targetE1EEEvSH_.private_seg_size, 0
	.set _ZN7rocprim17ROCPRIM_400000_NS6detail17trampoline_kernelINS0_14default_configENS1_38merge_sort_block_merge_config_selectorIisEEZZNS1_27merge_sort_block_merge_implIS3_N6thrust23THRUST_200600_302600_NS10device_ptrIiEENS9_IsEEjNS1_19radix_merge_compareILb0ELb1EiNS0_19identity_decomposerEEEEE10hipError_tT0_T1_T2_jT3_P12ihipStream_tbPNSt15iterator_traitsISG_E10value_typeEPNSM_ISH_E10value_typeEPSI_NS1_7vsmem_tEENKUlT_SG_SH_SI_E_clISA_PiSB_PsEESF_SV_SG_SH_SI_EUlSV_E0_NS1_11comp_targetILNS1_3genE0ELNS1_11target_archE4294967295ELNS1_3gpuE0ELNS1_3repE0EEENS1_38merge_mergepath_config_static_selectorELNS0_4arch9wavefront6targetE1EEEvSH_.uses_vcc, 1
	.set _ZN7rocprim17ROCPRIM_400000_NS6detail17trampoline_kernelINS0_14default_configENS1_38merge_sort_block_merge_config_selectorIisEEZZNS1_27merge_sort_block_merge_implIS3_N6thrust23THRUST_200600_302600_NS10device_ptrIiEENS9_IsEEjNS1_19radix_merge_compareILb0ELb1EiNS0_19identity_decomposerEEEEE10hipError_tT0_T1_T2_jT3_P12ihipStream_tbPNSt15iterator_traitsISG_E10value_typeEPNSM_ISH_E10value_typeEPSI_NS1_7vsmem_tEENKUlT_SG_SH_SI_E_clISA_PiSB_PsEESF_SV_SG_SH_SI_EUlSV_E0_NS1_11comp_targetILNS1_3genE0ELNS1_11target_archE4294967295ELNS1_3gpuE0ELNS1_3repE0EEENS1_38merge_mergepath_config_static_selectorELNS0_4arch9wavefront6targetE1EEEvSH_.uses_flat_scratch, 0
	.set _ZN7rocprim17ROCPRIM_400000_NS6detail17trampoline_kernelINS0_14default_configENS1_38merge_sort_block_merge_config_selectorIisEEZZNS1_27merge_sort_block_merge_implIS3_N6thrust23THRUST_200600_302600_NS10device_ptrIiEENS9_IsEEjNS1_19radix_merge_compareILb0ELb1EiNS0_19identity_decomposerEEEEE10hipError_tT0_T1_T2_jT3_P12ihipStream_tbPNSt15iterator_traitsISG_E10value_typeEPNSM_ISH_E10value_typeEPSI_NS1_7vsmem_tEENKUlT_SG_SH_SI_E_clISA_PiSB_PsEESF_SV_SG_SH_SI_EUlSV_E0_NS1_11comp_targetILNS1_3genE0ELNS1_11target_archE4294967295ELNS1_3gpuE0ELNS1_3repE0EEENS1_38merge_mergepath_config_static_selectorELNS0_4arch9wavefront6targetE1EEEvSH_.has_dyn_sized_stack, 0
	.set _ZN7rocprim17ROCPRIM_400000_NS6detail17trampoline_kernelINS0_14default_configENS1_38merge_sort_block_merge_config_selectorIisEEZZNS1_27merge_sort_block_merge_implIS3_N6thrust23THRUST_200600_302600_NS10device_ptrIiEENS9_IsEEjNS1_19radix_merge_compareILb0ELb1EiNS0_19identity_decomposerEEEEE10hipError_tT0_T1_T2_jT3_P12ihipStream_tbPNSt15iterator_traitsISG_E10value_typeEPNSM_ISH_E10value_typeEPSI_NS1_7vsmem_tEENKUlT_SG_SH_SI_E_clISA_PiSB_PsEESF_SV_SG_SH_SI_EUlSV_E0_NS1_11comp_targetILNS1_3genE0ELNS1_11target_archE4294967295ELNS1_3gpuE0ELNS1_3repE0EEENS1_38merge_mergepath_config_static_selectorELNS0_4arch9wavefront6targetE1EEEvSH_.has_recursion, 0
	.set _ZN7rocprim17ROCPRIM_400000_NS6detail17trampoline_kernelINS0_14default_configENS1_38merge_sort_block_merge_config_selectorIisEEZZNS1_27merge_sort_block_merge_implIS3_N6thrust23THRUST_200600_302600_NS10device_ptrIiEENS9_IsEEjNS1_19radix_merge_compareILb0ELb1EiNS0_19identity_decomposerEEEEE10hipError_tT0_T1_T2_jT3_P12ihipStream_tbPNSt15iterator_traitsISG_E10value_typeEPNSM_ISH_E10value_typeEPSI_NS1_7vsmem_tEENKUlT_SG_SH_SI_E_clISA_PiSB_PsEESF_SV_SG_SH_SI_EUlSV_E0_NS1_11comp_targetILNS1_3genE0ELNS1_11target_archE4294967295ELNS1_3gpuE0ELNS1_3repE0EEENS1_38merge_mergepath_config_static_selectorELNS0_4arch9wavefront6targetE1EEEvSH_.has_indirect_call, 0
	.section	.AMDGPU.csdata,"",@progbits
; Kernel info:
; codeLenInByte = 3148
; TotalNumSgprs: 37
; NumVgprs: 25
; NumAgprs: 0
; TotalNumVgprs: 25
; ScratchSize: 0
; MemoryBound: 0
; FloatMode: 240
; IeeeMode: 1
; LDSByteSize: 4224 bytes/workgroup (compile time only)
; SGPRBlocks: 4
; VGPRBlocks: 3
; NumSGPRsForWavesPerEU: 37
; NumVGPRsForWavesPerEU: 25
; AccumOffset: 28
; Occupancy: 8
; WaveLimiterHint : 1
; COMPUTE_PGM_RSRC2:SCRATCH_EN: 0
; COMPUTE_PGM_RSRC2:USER_SGPR: 2
; COMPUTE_PGM_RSRC2:TRAP_HANDLER: 0
; COMPUTE_PGM_RSRC2:TGID_X_EN: 1
; COMPUTE_PGM_RSRC2:TGID_Y_EN: 1
; COMPUTE_PGM_RSRC2:TGID_Z_EN: 1
; COMPUTE_PGM_RSRC2:TIDIG_COMP_CNT: 0
; COMPUTE_PGM_RSRC3_GFX90A:ACCUM_OFFSET: 6
; COMPUTE_PGM_RSRC3_GFX90A:TG_SPLIT: 0
	.section	.text._ZN7rocprim17ROCPRIM_400000_NS6detail17trampoline_kernelINS0_14default_configENS1_38merge_sort_block_merge_config_selectorIisEEZZNS1_27merge_sort_block_merge_implIS3_N6thrust23THRUST_200600_302600_NS10device_ptrIiEENS9_IsEEjNS1_19radix_merge_compareILb0ELb1EiNS0_19identity_decomposerEEEEE10hipError_tT0_T1_T2_jT3_P12ihipStream_tbPNSt15iterator_traitsISG_E10value_typeEPNSM_ISH_E10value_typeEPSI_NS1_7vsmem_tEENKUlT_SG_SH_SI_E_clISA_PiSB_PsEESF_SV_SG_SH_SI_EUlSV_E0_NS1_11comp_targetILNS1_3genE10ELNS1_11target_archE1201ELNS1_3gpuE5ELNS1_3repE0EEENS1_38merge_mergepath_config_static_selectorELNS0_4arch9wavefront6targetE1EEEvSH_,"axG",@progbits,_ZN7rocprim17ROCPRIM_400000_NS6detail17trampoline_kernelINS0_14default_configENS1_38merge_sort_block_merge_config_selectorIisEEZZNS1_27merge_sort_block_merge_implIS3_N6thrust23THRUST_200600_302600_NS10device_ptrIiEENS9_IsEEjNS1_19radix_merge_compareILb0ELb1EiNS0_19identity_decomposerEEEEE10hipError_tT0_T1_T2_jT3_P12ihipStream_tbPNSt15iterator_traitsISG_E10value_typeEPNSM_ISH_E10value_typeEPSI_NS1_7vsmem_tEENKUlT_SG_SH_SI_E_clISA_PiSB_PsEESF_SV_SG_SH_SI_EUlSV_E0_NS1_11comp_targetILNS1_3genE10ELNS1_11target_archE1201ELNS1_3gpuE5ELNS1_3repE0EEENS1_38merge_mergepath_config_static_selectorELNS0_4arch9wavefront6targetE1EEEvSH_,comdat
	.protected	_ZN7rocprim17ROCPRIM_400000_NS6detail17trampoline_kernelINS0_14default_configENS1_38merge_sort_block_merge_config_selectorIisEEZZNS1_27merge_sort_block_merge_implIS3_N6thrust23THRUST_200600_302600_NS10device_ptrIiEENS9_IsEEjNS1_19radix_merge_compareILb0ELb1EiNS0_19identity_decomposerEEEEE10hipError_tT0_T1_T2_jT3_P12ihipStream_tbPNSt15iterator_traitsISG_E10value_typeEPNSM_ISH_E10value_typeEPSI_NS1_7vsmem_tEENKUlT_SG_SH_SI_E_clISA_PiSB_PsEESF_SV_SG_SH_SI_EUlSV_E0_NS1_11comp_targetILNS1_3genE10ELNS1_11target_archE1201ELNS1_3gpuE5ELNS1_3repE0EEENS1_38merge_mergepath_config_static_selectorELNS0_4arch9wavefront6targetE1EEEvSH_ ; -- Begin function _ZN7rocprim17ROCPRIM_400000_NS6detail17trampoline_kernelINS0_14default_configENS1_38merge_sort_block_merge_config_selectorIisEEZZNS1_27merge_sort_block_merge_implIS3_N6thrust23THRUST_200600_302600_NS10device_ptrIiEENS9_IsEEjNS1_19radix_merge_compareILb0ELb1EiNS0_19identity_decomposerEEEEE10hipError_tT0_T1_T2_jT3_P12ihipStream_tbPNSt15iterator_traitsISG_E10value_typeEPNSM_ISH_E10value_typeEPSI_NS1_7vsmem_tEENKUlT_SG_SH_SI_E_clISA_PiSB_PsEESF_SV_SG_SH_SI_EUlSV_E0_NS1_11comp_targetILNS1_3genE10ELNS1_11target_archE1201ELNS1_3gpuE5ELNS1_3repE0EEENS1_38merge_mergepath_config_static_selectorELNS0_4arch9wavefront6targetE1EEEvSH_
	.globl	_ZN7rocprim17ROCPRIM_400000_NS6detail17trampoline_kernelINS0_14default_configENS1_38merge_sort_block_merge_config_selectorIisEEZZNS1_27merge_sort_block_merge_implIS3_N6thrust23THRUST_200600_302600_NS10device_ptrIiEENS9_IsEEjNS1_19radix_merge_compareILb0ELb1EiNS0_19identity_decomposerEEEEE10hipError_tT0_T1_T2_jT3_P12ihipStream_tbPNSt15iterator_traitsISG_E10value_typeEPNSM_ISH_E10value_typeEPSI_NS1_7vsmem_tEENKUlT_SG_SH_SI_E_clISA_PiSB_PsEESF_SV_SG_SH_SI_EUlSV_E0_NS1_11comp_targetILNS1_3genE10ELNS1_11target_archE1201ELNS1_3gpuE5ELNS1_3repE0EEENS1_38merge_mergepath_config_static_selectorELNS0_4arch9wavefront6targetE1EEEvSH_
	.p2align	8
	.type	_ZN7rocprim17ROCPRIM_400000_NS6detail17trampoline_kernelINS0_14default_configENS1_38merge_sort_block_merge_config_selectorIisEEZZNS1_27merge_sort_block_merge_implIS3_N6thrust23THRUST_200600_302600_NS10device_ptrIiEENS9_IsEEjNS1_19radix_merge_compareILb0ELb1EiNS0_19identity_decomposerEEEEE10hipError_tT0_T1_T2_jT3_P12ihipStream_tbPNSt15iterator_traitsISG_E10value_typeEPNSM_ISH_E10value_typeEPSI_NS1_7vsmem_tEENKUlT_SG_SH_SI_E_clISA_PiSB_PsEESF_SV_SG_SH_SI_EUlSV_E0_NS1_11comp_targetILNS1_3genE10ELNS1_11target_archE1201ELNS1_3gpuE5ELNS1_3repE0EEENS1_38merge_mergepath_config_static_selectorELNS0_4arch9wavefront6targetE1EEEvSH_,@function
_ZN7rocprim17ROCPRIM_400000_NS6detail17trampoline_kernelINS0_14default_configENS1_38merge_sort_block_merge_config_selectorIisEEZZNS1_27merge_sort_block_merge_implIS3_N6thrust23THRUST_200600_302600_NS10device_ptrIiEENS9_IsEEjNS1_19radix_merge_compareILb0ELb1EiNS0_19identity_decomposerEEEEE10hipError_tT0_T1_T2_jT3_P12ihipStream_tbPNSt15iterator_traitsISG_E10value_typeEPNSM_ISH_E10value_typeEPSI_NS1_7vsmem_tEENKUlT_SG_SH_SI_E_clISA_PiSB_PsEESF_SV_SG_SH_SI_EUlSV_E0_NS1_11comp_targetILNS1_3genE10ELNS1_11target_archE1201ELNS1_3gpuE5ELNS1_3repE0EEENS1_38merge_mergepath_config_static_selectorELNS0_4arch9wavefront6targetE1EEEvSH_: ; @_ZN7rocprim17ROCPRIM_400000_NS6detail17trampoline_kernelINS0_14default_configENS1_38merge_sort_block_merge_config_selectorIisEEZZNS1_27merge_sort_block_merge_implIS3_N6thrust23THRUST_200600_302600_NS10device_ptrIiEENS9_IsEEjNS1_19radix_merge_compareILb0ELb1EiNS0_19identity_decomposerEEEEE10hipError_tT0_T1_T2_jT3_P12ihipStream_tbPNSt15iterator_traitsISG_E10value_typeEPNSM_ISH_E10value_typeEPSI_NS1_7vsmem_tEENKUlT_SG_SH_SI_E_clISA_PiSB_PsEESF_SV_SG_SH_SI_EUlSV_E0_NS1_11comp_targetILNS1_3genE10ELNS1_11target_archE1201ELNS1_3gpuE5ELNS1_3repE0EEENS1_38merge_mergepath_config_static_selectorELNS0_4arch9wavefront6targetE1EEEvSH_
; %bb.0:
	.section	.rodata,"a",@progbits
	.p2align	6, 0x0
	.amdhsa_kernel _ZN7rocprim17ROCPRIM_400000_NS6detail17trampoline_kernelINS0_14default_configENS1_38merge_sort_block_merge_config_selectorIisEEZZNS1_27merge_sort_block_merge_implIS3_N6thrust23THRUST_200600_302600_NS10device_ptrIiEENS9_IsEEjNS1_19radix_merge_compareILb0ELb1EiNS0_19identity_decomposerEEEEE10hipError_tT0_T1_T2_jT3_P12ihipStream_tbPNSt15iterator_traitsISG_E10value_typeEPNSM_ISH_E10value_typeEPSI_NS1_7vsmem_tEENKUlT_SG_SH_SI_E_clISA_PiSB_PsEESF_SV_SG_SH_SI_EUlSV_E0_NS1_11comp_targetILNS1_3genE10ELNS1_11target_archE1201ELNS1_3gpuE5ELNS1_3repE0EEENS1_38merge_mergepath_config_static_selectorELNS0_4arch9wavefront6targetE1EEEvSH_
		.amdhsa_group_segment_fixed_size 0
		.amdhsa_private_segment_fixed_size 0
		.amdhsa_kernarg_size 64
		.amdhsa_user_sgpr_count 2
		.amdhsa_user_sgpr_dispatch_ptr 0
		.amdhsa_user_sgpr_queue_ptr 0
		.amdhsa_user_sgpr_kernarg_segment_ptr 1
		.amdhsa_user_sgpr_dispatch_id 0
		.amdhsa_user_sgpr_kernarg_preload_length 0
		.amdhsa_user_sgpr_kernarg_preload_offset 0
		.amdhsa_user_sgpr_private_segment_size 0
		.amdhsa_uses_dynamic_stack 0
		.amdhsa_enable_private_segment 0
		.amdhsa_system_sgpr_workgroup_id_x 1
		.amdhsa_system_sgpr_workgroup_id_y 0
		.amdhsa_system_sgpr_workgroup_id_z 0
		.amdhsa_system_sgpr_workgroup_info 0
		.amdhsa_system_vgpr_workitem_id 0
		.amdhsa_next_free_vgpr 1
		.amdhsa_next_free_sgpr 0
		.amdhsa_accum_offset 4
		.amdhsa_reserve_vcc 0
		.amdhsa_float_round_mode_32 0
		.amdhsa_float_round_mode_16_64 0
		.amdhsa_float_denorm_mode_32 3
		.amdhsa_float_denorm_mode_16_64 3
		.amdhsa_dx10_clamp 1
		.amdhsa_ieee_mode 1
		.amdhsa_fp16_overflow 0
		.amdhsa_tg_split 0
		.amdhsa_exception_fp_ieee_invalid_op 0
		.amdhsa_exception_fp_denorm_src 0
		.amdhsa_exception_fp_ieee_div_zero 0
		.amdhsa_exception_fp_ieee_overflow 0
		.amdhsa_exception_fp_ieee_underflow 0
		.amdhsa_exception_fp_ieee_inexact 0
		.amdhsa_exception_int_div_zero 0
	.end_amdhsa_kernel
	.section	.text._ZN7rocprim17ROCPRIM_400000_NS6detail17trampoline_kernelINS0_14default_configENS1_38merge_sort_block_merge_config_selectorIisEEZZNS1_27merge_sort_block_merge_implIS3_N6thrust23THRUST_200600_302600_NS10device_ptrIiEENS9_IsEEjNS1_19radix_merge_compareILb0ELb1EiNS0_19identity_decomposerEEEEE10hipError_tT0_T1_T2_jT3_P12ihipStream_tbPNSt15iterator_traitsISG_E10value_typeEPNSM_ISH_E10value_typeEPSI_NS1_7vsmem_tEENKUlT_SG_SH_SI_E_clISA_PiSB_PsEESF_SV_SG_SH_SI_EUlSV_E0_NS1_11comp_targetILNS1_3genE10ELNS1_11target_archE1201ELNS1_3gpuE5ELNS1_3repE0EEENS1_38merge_mergepath_config_static_selectorELNS0_4arch9wavefront6targetE1EEEvSH_,"axG",@progbits,_ZN7rocprim17ROCPRIM_400000_NS6detail17trampoline_kernelINS0_14default_configENS1_38merge_sort_block_merge_config_selectorIisEEZZNS1_27merge_sort_block_merge_implIS3_N6thrust23THRUST_200600_302600_NS10device_ptrIiEENS9_IsEEjNS1_19radix_merge_compareILb0ELb1EiNS0_19identity_decomposerEEEEE10hipError_tT0_T1_T2_jT3_P12ihipStream_tbPNSt15iterator_traitsISG_E10value_typeEPNSM_ISH_E10value_typeEPSI_NS1_7vsmem_tEENKUlT_SG_SH_SI_E_clISA_PiSB_PsEESF_SV_SG_SH_SI_EUlSV_E0_NS1_11comp_targetILNS1_3genE10ELNS1_11target_archE1201ELNS1_3gpuE5ELNS1_3repE0EEENS1_38merge_mergepath_config_static_selectorELNS0_4arch9wavefront6targetE1EEEvSH_,comdat
.Lfunc_end2389:
	.size	_ZN7rocprim17ROCPRIM_400000_NS6detail17trampoline_kernelINS0_14default_configENS1_38merge_sort_block_merge_config_selectorIisEEZZNS1_27merge_sort_block_merge_implIS3_N6thrust23THRUST_200600_302600_NS10device_ptrIiEENS9_IsEEjNS1_19radix_merge_compareILb0ELb1EiNS0_19identity_decomposerEEEEE10hipError_tT0_T1_T2_jT3_P12ihipStream_tbPNSt15iterator_traitsISG_E10value_typeEPNSM_ISH_E10value_typeEPSI_NS1_7vsmem_tEENKUlT_SG_SH_SI_E_clISA_PiSB_PsEESF_SV_SG_SH_SI_EUlSV_E0_NS1_11comp_targetILNS1_3genE10ELNS1_11target_archE1201ELNS1_3gpuE5ELNS1_3repE0EEENS1_38merge_mergepath_config_static_selectorELNS0_4arch9wavefront6targetE1EEEvSH_, .Lfunc_end2389-_ZN7rocprim17ROCPRIM_400000_NS6detail17trampoline_kernelINS0_14default_configENS1_38merge_sort_block_merge_config_selectorIisEEZZNS1_27merge_sort_block_merge_implIS3_N6thrust23THRUST_200600_302600_NS10device_ptrIiEENS9_IsEEjNS1_19radix_merge_compareILb0ELb1EiNS0_19identity_decomposerEEEEE10hipError_tT0_T1_T2_jT3_P12ihipStream_tbPNSt15iterator_traitsISG_E10value_typeEPNSM_ISH_E10value_typeEPSI_NS1_7vsmem_tEENKUlT_SG_SH_SI_E_clISA_PiSB_PsEESF_SV_SG_SH_SI_EUlSV_E0_NS1_11comp_targetILNS1_3genE10ELNS1_11target_archE1201ELNS1_3gpuE5ELNS1_3repE0EEENS1_38merge_mergepath_config_static_selectorELNS0_4arch9wavefront6targetE1EEEvSH_
                                        ; -- End function
	.set _ZN7rocprim17ROCPRIM_400000_NS6detail17trampoline_kernelINS0_14default_configENS1_38merge_sort_block_merge_config_selectorIisEEZZNS1_27merge_sort_block_merge_implIS3_N6thrust23THRUST_200600_302600_NS10device_ptrIiEENS9_IsEEjNS1_19radix_merge_compareILb0ELb1EiNS0_19identity_decomposerEEEEE10hipError_tT0_T1_T2_jT3_P12ihipStream_tbPNSt15iterator_traitsISG_E10value_typeEPNSM_ISH_E10value_typeEPSI_NS1_7vsmem_tEENKUlT_SG_SH_SI_E_clISA_PiSB_PsEESF_SV_SG_SH_SI_EUlSV_E0_NS1_11comp_targetILNS1_3genE10ELNS1_11target_archE1201ELNS1_3gpuE5ELNS1_3repE0EEENS1_38merge_mergepath_config_static_selectorELNS0_4arch9wavefront6targetE1EEEvSH_.num_vgpr, 0
	.set _ZN7rocprim17ROCPRIM_400000_NS6detail17trampoline_kernelINS0_14default_configENS1_38merge_sort_block_merge_config_selectorIisEEZZNS1_27merge_sort_block_merge_implIS3_N6thrust23THRUST_200600_302600_NS10device_ptrIiEENS9_IsEEjNS1_19radix_merge_compareILb0ELb1EiNS0_19identity_decomposerEEEEE10hipError_tT0_T1_T2_jT3_P12ihipStream_tbPNSt15iterator_traitsISG_E10value_typeEPNSM_ISH_E10value_typeEPSI_NS1_7vsmem_tEENKUlT_SG_SH_SI_E_clISA_PiSB_PsEESF_SV_SG_SH_SI_EUlSV_E0_NS1_11comp_targetILNS1_3genE10ELNS1_11target_archE1201ELNS1_3gpuE5ELNS1_3repE0EEENS1_38merge_mergepath_config_static_selectorELNS0_4arch9wavefront6targetE1EEEvSH_.num_agpr, 0
	.set _ZN7rocprim17ROCPRIM_400000_NS6detail17trampoline_kernelINS0_14default_configENS1_38merge_sort_block_merge_config_selectorIisEEZZNS1_27merge_sort_block_merge_implIS3_N6thrust23THRUST_200600_302600_NS10device_ptrIiEENS9_IsEEjNS1_19radix_merge_compareILb0ELb1EiNS0_19identity_decomposerEEEEE10hipError_tT0_T1_T2_jT3_P12ihipStream_tbPNSt15iterator_traitsISG_E10value_typeEPNSM_ISH_E10value_typeEPSI_NS1_7vsmem_tEENKUlT_SG_SH_SI_E_clISA_PiSB_PsEESF_SV_SG_SH_SI_EUlSV_E0_NS1_11comp_targetILNS1_3genE10ELNS1_11target_archE1201ELNS1_3gpuE5ELNS1_3repE0EEENS1_38merge_mergepath_config_static_selectorELNS0_4arch9wavefront6targetE1EEEvSH_.numbered_sgpr, 0
	.set _ZN7rocprim17ROCPRIM_400000_NS6detail17trampoline_kernelINS0_14default_configENS1_38merge_sort_block_merge_config_selectorIisEEZZNS1_27merge_sort_block_merge_implIS3_N6thrust23THRUST_200600_302600_NS10device_ptrIiEENS9_IsEEjNS1_19radix_merge_compareILb0ELb1EiNS0_19identity_decomposerEEEEE10hipError_tT0_T1_T2_jT3_P12ihipStream_tbPNSt15iterator_traitsISG_E10value_typeEPNSM_ISH_E10value_typeEPSI_NS1_7vsmem_tEENKUlT_SG_SH_SI_E_clISA_PiSB_PsEESF_SV_SG_SH_SI_EUlSV_E0_NS1_11comp_targetILNS1_3genE10ELNS1_11target_archE1201ELNS1_3gpuE5ELNS1_3repE0EEENS1_38merge_mergepath_config_static_selectorELNS0_4arch9wavefront6targetE1EEEvSH_.num_named_barrier, 0
	.set _ZN7rocprim17ROCPRIM_400000_NS6detail17trampoline_kernelINS0_14default_configENS1_38merge_sort_block_merge_config_selectorIisEEZZNS1_27merge_sort_block_merge_implIS3_N6thrust23THRUST_200600_302600_NS10device_ptrIiEENS9_IsEEjNS1_19radix_merge_compareILb0ELb1EiNS0_19identity_decomposerEEEEE10hipError_tT0_T1_T2_jT3_P12ihipStream_tbPNSt15iterator_traitsISG_E10value_typeEPNSM_ISH_E10value_typeEPSI_NS1_7vsmem_tEENKUlT_SG_SH_SI_E_clISA_PiSB_PsEESF_SV_SG_SH_SI_EUlSV_E0_NS1_11comp_targetILNS1_3genE10ELNS1_11target_archE1201ELNS1_3gpuE5ELNS1_3repE0EEENS1_38merge_mergepath_config_static_selectorELNS0_4arch9wavefront6targetE1EEEvSH_.private_seg_size, 0
	.set _ZN7rocprim17ROCPRIM_400000_NS6detail17trampoline_kernelINS0_14default_configENS1_38merge_sort_block_merge_config_selectorIisEEZZNS1_27merge_sort_block_merge_implIS3_N6thrust23THRUST_200600_302600_NS10device_ptrIiEENS9_IsEEjNS1_19radix_merge_compareILb0ELb1EiNS0_19identity_decomposerEEEEE10hipError_tT0_T1_T2_jT3_P12ihipStream_tbPNSt15iterator_traitsISG_E10value_typeEPNSM_ISH_E10value_typeEPSI_NS1_7vsmem_tEENKUlT_SG_SH_SI_E_clISA_PiSB_PsEESF_SV_SG_SH_SI_EUlSV_E0_NS1_11comp_targetILNS1_3genE10ELNS1_11target_archE1201ELNS1_3gpuE5ELNS1_3repE0EEENS1_38merge_mergepath_config_static_selectorELNS0_4arch9wavefront6targetE1EEEvSH_.uses_vcc, 0
	.set _ZN7rocprim17ROCPRIM_400000_NS6detail17trampoline_kernelINS0_14default_configENS1_38merge_sort_block_merge_config_selectorIisEEZZNS1_27merge_sort_block_merge_implIS3_N6thrust23THRUST_200600_302600_NS10device_ptrIiEENS9_IsEEjNS1_19radix_merge_compareILb0ELb1EiNS0_19identity_decomposerEEEEE10hipError_tT0_T1_T2_jT3_P12ihipStream_tbPNSt15iterator_traitsISG_E10value_typeEPNSM_ISH_E10value_typeEPSI_NS1_7vsmem_tEENKUlT_SG_SH_SI_E_clISA_PiSB_PsEESF_SV_SG_SH_SI_EUlSV_E0_NS1_11comp_targetILNS1_3genE10ELNS1_11target_archE1201ELNS1_3gpuE5ELNS1_3repE0EEENS1_38merge_mergepath_config_static_selectorELNS0_4arch9wavefront6targetE1EEEvSH_.uses_flat_scratch, 0
	.set _ZN7rocprim17ROCPRIM_400000_NS6detail17trampoline_kernelINS0_14default_configENS1_38merge_sort_block_merge_config_selectorIisEEZZNS1_27merge_sort_block_merge_implIS3_N6thrust23THRUST_200600_302600_NS10device_ptrIiEENS9_IsEEjNS1_19radix_merge_compareILb0ELb1EiNS0_19identity_decomposerEEEEE10hipError_tT0_T1_T2_jT3_P12ihipStream_tbPNSt15iterator_traitsISG_E10value_typeEPNSM_ISH_E10value_typeEPSI_NS1_7vsmem_tEENKUlT_SG_SH_SI_E_clISA_PiSB_PsEESF_SV_SG_SH_SI_EUlSV_E0_NS1_11comp_targetILNS1_3genE10ELNS1_11target_archE1201ELNS1_3gpuE5ELNS1_3repE0EEENS1_38merge_mergepath_config_static_selectorELNS0_4arch9wavefront6targetE1EEEvSH_.has_dyn_sized_stack, 0
	.set _ZN7rocprim17ROCPRIM_400000_NS6detail17trampoline_kernelINS0_14default_configENS1_38merge_sort_block_merge_config_selectorIisEEZZNS1_27merge_sort_block_merge_implIS3_N6thrust23THRUST_200600_302600_NS10device_ptrIiEENS9_IsEEjNS1_19radix_merge_compareILb0ELb1EiNS0_19identity_decomposerEEEEE10hipError_tT0_T1_T2_jT3_P12ihipStream_tbPNSt15iterator_traitsISG_E10value_typeEPNSM_ISH_E10value_typeEPSI_NS1_7vsmem_tEENKUlT_SG_SH_SI_E_clISA_PiSB_PsEESF_SV_SG_SH_SI_EUlSV_E0_NS1_11comp_targetILNS1_3genE10ELNS1_11target_archE1201ELNS1_3gpuE5ELNS1_3repE0EEENS1_38merge_mergepath_config_static_selectorELNS0_4arch9wavefront6targetE1EEEvSH_.has_recursion, 0
	.set _ZN7rocprim17ROCPRIM_400000_NS6detail17trampoline_kernelINS0_14default_configENS1_38merge_sort_block_merge_config_selectorIisEEZZNS1_27merge_sort_block_merge_implIS3_N6thrust23THRUST_200600_302600_NS10device_ptrIiEENS9_IsEEjNS1_19radix_merge_compareILb0ELb1EiNS0_19identity_decomposerEEEEE10hipError_tT0_T1_T2_jT3_P12ihipStream_tbPNSt15iterator_traitsISG_E10value_typeEPNSM_ISH_E10value_typeEPSI_NS1_7vsmem_tEENKUlT_SG_SH_SI_E_clISA_PiSB_PsEESF_SV_SG_SH_SI_EUlSV_E0_NS1_11comp_targetILNS1_3genE10ELNS1_11target_archE1201ELNS1_3gpuE5ELNS1_3repE0EEENS1_38merge_mergepath_config_static_selectorELNS0_4arch9wavefront6targetE1EEEvSH_.has_indirect_call, 0
	.section	.AMDGPU.csdata,"",@progbits
; Kernel info:
; codeLenInByte = 0
; TotalNumSgprs: 6
; NumVgprs: 0
; NumAgprs: 0
; TotalNumVgprs: 0
; ScratchSize: 0
; MemoryBound: 0
; FloatMode: 240
; IeeeMode: 1
; LDSByteSize: 0 bytes/workgroup (compile time only)
; SGPRBlocks: 0
; VGPRBlocks: 0
; NumSGPRsForWavesPerEU: 6
; NumVGPRsForWavesPerEU: 1
; AccumOffset: 4
; Occupancy: 8
; WaveLimiterHint : 0
; COMPUTE_PGM_RSRC2:SCRATCH_EN: 0
; COMPUTE_PGM_RSRC2:USER_SGPR: 2
; COMPUTE_PGM_RSRC2:TRAP_HANDLER: 0
; COMPUTE_PGM_RSRC2:TGID_X_EN: 1
; COMPUTE_PGM_RSRC2:TGID_Y_EN: 0
; COMPUTE_PGM_RSRC2:TGID_Z_EN: 0
; COMPUTE_PGM_RSRC2:TIDIG_COMP_CNT: 0
; COMPUTE_PGM_RSRC3_GFX90A:ACCUM_OFFSET: 0
; COMPUTE_PGM_RSRC3_GFX90A:TG_SPLIT: 0
	.section	.text._ZN7rocprim17ROCPRIM_400000_NS6detail17trampoline_kernelINS0_14default_configENS1_38merge_sort_block_merge_config_selectorIisEEZZNS1_27merge_sort_block_merge_implIS3_N6thrust23THRUST_200600_302600_NS10device_ptrIiEENS9_IsEEjNS1_19radix_merge_compareILb0ELb1EiNS0_19identity_decomposerEEEEE10hipError_tT0_T1_T2_jT3_P12ihipStream_tbPNSt15iterator_traitsISG_E10value_typeEPNSM_ISH_E10value_typeEPSI_NS1_7vsmem_tEENKUlT_SG_SH_SI_E_clISA_PiSB_PsEESF_SV_SG_SH_SI_EUlSV_E0_NS1_11comp_targetILNS1_3genE5ELNS1_11target_archE942ELNS1_3gpuE9ELNS1_3repE0EEENS1_38merge_mergepath_config_static_selectorELNS0_4arch9wavefront6targetE1EEEvSH_,"axG",@progbits,_ZN7rocprim17ROCPRIM_400000_NS6detail17trampoline_kernelINS0_14default_configENS1_38merge_sort_block_merge_config_selectorIisEEZZNS1_27merge_sort_block_merge_implIS3_N6thrust23THRUST_200600_302600_NS10device_ptrIiEENS9_IsEEjNS1_19radix_merge_compareILb0ELb1EiNS0_19identity_decomposerEEEEE10hipError_tT0_T1_T2_jT3_P12ihipStream_tbPNSt15iterator_traitsISG_E10value_typeEPNSM_ISH_E10value_typeEPSI_NS1_7vsmem_tEENKUlT_SG_SH_SI_E_clISA_PiSB_PsEESF_SV_SG_SH_SI_EUlSV_E0_NS1_11comp_targetILNS1_3genE5ELNS1_11target_archE942ELNS1_3gpuE9ELNS1_3repE0EEENS1_38merge_mergepath_config_static_selectorELNS0_4arch9wavefront6targetE1EEEvSH_,comdat
	.protected	_ZN7rocprim17ROCPRIM_400000_NS6detail17trampoline_kernelINS0_14default_configENS1_38merge_sort_block_merge_config_selectorIisEEZZNS1_27merge_sort_block_merge_implIS3_N6thrust23THRUST_200600_302600_NS10device_ptrIiEENS9_IsEEjNS1_19radix_merge_compareILb0ELb1EiNS0_19identity_decomposerEEEEE10hipError_tT0_T1_T2_jT3_P12ihipStream_tbPNSt15iterator_traitsISG_E10value_typeEPNSM_ISH_E10value_typeEPSI_NS1_7vsmem_tEENKUlT_SG_SH_SI_E_clISA_PiSB_PsEESF_SV_SG_SH_SI_EUlSV_E0_NS1_11comp_targetILNS1_3genE5ELNS1_11target_archE942ELNS1_3gpuE9ELNS1_3repE0EEENS1_38merge_mergepath_config_static_selectorELNS0_4arch9wavefront6targetE1EEEvSH_ ; -- Begin function _ZN7rocprim17ROCPRIM_400000_NS6detail17trampoline_kernelINS0_14default_configENS1_38merge_sort_block_merge_config_selectorIisEEZZNS1_27merge_sort_block_merge_implIS3_N6thrust23THRUST_200600_302600_NS10device_ptrIiEENS9_IsEEjNS1_19radix_merge_compareILb0ELb1EiNS0_19identity_decomposerEEEEE10hipError_tT0_T1_T2_jT3_P12ihipStream_tbPNSt15iterator_traitsISG_E10value_typeEPNSM_ISH_E10value_typeEPSI_NS1_7vsmem_tEENKUlT_SG_SH_SI_E_clISA_PiSB_PsEESF_SV_SG_SH_SI_EUlSV_E0_NS1_11comp_targetILNS1_3genE5ELNS1_11target_archE942ELNS1_3gpuE9ELNS1_3repE0EEENS1_38merge_mergepath_config_static_selectorELNS0_4arch9wavefront6targetE1EEEvSH_
	.globl	_ZN7rocprim17ROCPRIM_400000_NS6detail17trampoline_kernelINS0_14default_configENS1_38merge_sort_block_merge_config_selectorIisEEZZNS1_27merge_sort_block_merge_implIS3_N6thrust23THRUST_200600_302600_NS10device_ptrIiEENS9_IsEEjNS1_19radix_merge_compareILb0ELb1EiNS0_19identity_decomposerEEEEE10hipError_tT0_T1_T2_jT3_P12ihipStream_tbPNSt15iterator_traitsISG_E10value_typeEPNSM_ISH_E10value_typeEPSI_NS1_7vsmem_tEENKUlT_SG_SH_SI_E_clISA_PiSB_PsEESF_SV_SG_SH_SI_EUlSV_E0_NS1_11comp_targetILNS1_3genE5ELNS1_11target_archE942ELNS1_3gpuE9ELNS1_3repE0EEENS1_38merge_mergepath_config_static_selectorELNS0_4arch9wavefront6targetE1EEEvSH_
	.p2align	8
	.type	_ZN7rocprim17ROCPRIM_400000_NS6detail17trampoline_kernelINS0_14default_configENS1_38merge_sort_block_merge_config_selectorIisEEZZNS1_27merge_sort_block_merge_implIS3_N6thrust23THRUST_200600_302600_NS10device_ptrIiEENS9_IsEEjNS1_19radix_merge_compareILb0ELb1EiNS0_19identity_decomposerEEEEE10hipError_tT0_T1_T2_jT3_P12ihipStream_tbPNSt15iterator_traitsISG_E10value_typeEPNSM_ISH_E10value_typeEPSI_NS1_7vsmem_tEENKUlT_SG_SH_SI_E_clISA_PiSB_PsEESF_SV_SG_SH_SI_EUlSV_E0_NS1_11comp_targetILNS1_3genE5ELNS1_11target_archE942ELNS1_3gpuE9ELNS1_3repE0EEENS1_38merge_mergepath_config_static_selectorELNS0_4arch9wavefront6targetE1EEEvSH_,@function
_ZN7rocprim17ROCPRIM_400000_NS6detail17trampoline_kernelINS0_14default_configENS1_38merge_sort_block_merge_config_selectorIisEEZZNS1_27merge_sort_block_merge_implIS3_N6thrust23THRUST_200600_302600_NS10device_ptrIiEENS9_IsEEjNS1_19radix_merge_compareILb0ELb1EiNS0_19identity_decomposerEEEEE10hipError_tT0_T1_T2_jT3_P12ihipStream_tbPNSt15iterator_traitsISG_E10value_typeEPNSM_ISH_E10value_typeEPSI_NS1_7vsmem_tEENKUlT_SG_SH_SI_E_clISA_PiSB_PsEESF_SV_SG_SH_SI_EUlSV_E0_NS1_11comp_targetILNS1_3genE5ELNS1_11target_archE942ELNS1_3gpuE9ELNS1_3repE0EEENS1_38merge_mergepath_config_static_selectorELNS0_4arch9wavefront6targetE1EEEvSH_: ; @_ZN7rocprim17ROCPRIM_400000_NS6detail17trampoline_kernelINS0_14default_configENS1_38merge_sort_block_merge_config_selectorIisEEZZNS1_27merge_sort_block_merge_implIS3_N6thrust23THRUST_200600_302600_NS10device_ptrIiEENS9_IsEEjNS1_19radix_merge_compareILb0ELb1EiNS0_19identity_decomposerEEEEE10hipError_tT0_T1_T2_jT3_P12ihipStream_tbPNSt15iterator_traitsISG_E10value_typeEPNSM_ISH_E10value_typeEPSI_NS1_7vsmem_tEENKUlT_SG_SH_SI_E_clISA_PiSB_PsEESF_SV_SG_SH_SI_EUlSV_E0_NS1_11comp_targetILNS1_3genE5ELNS1_11target_archE942ELNS1_3gpuE9ELNS1_3repE0EEENS1_38merge_mergepath_config_static_selectorELNS0_4arch9wavefront6targetE1EEEvSH_
; %bb.0:
	.section	.rodata,"a",@progbits
	.p2align	6, 0x0
	.amdhsa_kernel _ZN7rocprim17ROCPRIM_400000_NS6detail17trampoline_kernelINS0_14default_configENS1_38merge_sort_block_merge_config_selectorIisEEZZNS1_27merge_sort_block_merge_implIS3_N6thrust23THRUST_200600_302600_NS10device_ptrIiEENS9_IsEEjNS1_19radix_merge_compareILb0ELb1EiNS0_19identity_decomposerEEEEE10hipError_tT0_T1_T2_jT3_P12ihipStream_tbPNSt15iterator_traitsISG_E10value_typeEPNSM_ISH_E10value_typeEPSI_NS1_7vsmem_tEENKUlT_SG_SH_SI_E_clISA_PiSB_PsEESF_SV_SG_SH_SI_EUlSV_E0_NS1_11comp_targetILNS1_3genE5ELNS1_11target_archE942ELNS1_3gpuE9ELNS1_3repE0EEENS1_38merge_mergepath_config_static_selectorELNS0_4arch9wavefront6targetE1EEEvSH_
		.amdhsa_group_segment_fixed_size 0
		.amdhsa_private_segment_fixed_size 0
		.amdhsa_kernarg_size 64
		.amdhsa_user_sgpr_count 2
		.amdhsa_user_sgpr_dispatch_ptr 0
		.amdhsa_user_sgpr_queue_ptr 0
		.amdhsa_user_sgpr_kernarg_segment_ptr 1
		.amdhsa_user_sgpr_dispatch_id 0
		.amdhsa_user_sgpr_kernarg_preload_length 0
		.amdhsa_user_sgpr_kernarg_preload_offset 0
		.amdhsa_user_sgpr_private_segment_size 0
		.amdhsa_uses_dynamic_stack 0
		.amdhsa_enable_private_segment 0
		.amdhsa_system_sgpr_workgroup_id_x 1
		.amdhsa_system_sgpr_workgroup_id_y 0
		.amdhsa_system_sgpr_workgroup_id_z 0
		.amdhsa_system_sgpr_workgroup_info 0
		.amdhsa_system_vgpr_workitem_id 0
		.amdhsa_next_free_vgpr 1
		.amdhsa_next_free_sgpr 0
		.amdhsa_accum_offset 4
		.amdhsa_reserve_vcc 0
		.amdhsa_float_round_mode_32 0
		.amdhsa_float_round_mode_16_64 0
		.amdhsa_float_denorm_mode_32 3
		.amdhsa_float_denorm_mode_16_64 3
		.amdhsa_dx10_clamp 1
		.amdhsa_ieee_mode 1
		.amdhsa_fp16_overflow 0
		.amdhsa_tg_split 0
		.amdhsa_exception_fp_ieee_invalid_op 0
		.amdhsa_exception_fp_denorm_src 0
		.amdhsa_exception_fp_ieee_div_zero 0
		.amdhsa_exception_fp_ieee_overflow 0
		.amdhsa_exception_fp_ieee_underflow 0
		.amdhsa_exception_fp_ieee_inexact 0
		.amdhsa_exception_int_div_zero 0
	.end_amdhsa_kernel
	.section	.text._ZN7rocprim17ROCPRIM_400000_NS6detail17trampoline_kernelINS0_14default_configENS1_38merge_sort_block_merge_config_selectorIisEEZZNS1_27merge_sort_block_merge_implIS3_N6thrust23THRUST_200600_302600_NS10device_ptrIiEENS9_IsEEjNS1_19radix_merge_compareILb0ELb1EiNS0_19identity_decomposerEEEEE10hipError_tT0_T1_T2_jT3_P12ihipStream_tbPNSt15iterator_traitsISG_E10value_typeEPNSM_ISH_E10value_typeEPSI_NS1_7vsmem_tEENKUlT_SG_SH_SI_E_clISA_PiSB_PsEESF_SV_SG_SH_SI_EUlSV_E0_NS1_11comp_targetILNS1_3genE5ELNS1_11target_archE942ELNS1_3gpuE9ELNS1_3repE0EEENS1_38merge_mergepath_config_static_selectorELNS0_4arch9wavefront6targetE1EEEvSH_,"axG",@progbits,_ZN7rocprim17ROCPRIM_400000_NS6detail17trampoline_kernelINS0_14default_configENS1_38merge_sort_block_merge_config_selectorIisEEZZNS1_27merge_sort_block_merge_implIS3_N6thrust23THRUST_200600_302600_NS10device_ptrIiEENS9_IsEEjNS1_19radix_merge_compareILb0ELb1EiNS0_19identity_decomposerEEEEE10hipError_tT0_T1_T2_jT3_P12ihipStream_tbPNSt15iterator_traitsISG_E10value_typeEPNSM_ISH_E10value_typeEPSI_NS1_7vsmem_tEENKUlT_SG_SH_SI_E_clISA_PiSB_PsEESF_SV_SG_SH_SI_EUlSV_E0_NS1_11comp_targetILNS1_3genE5ELNS1_11target_archE942ELNS1_3gpuE9ELNS1_3repE0EEENS1_38merge_mergepath_config_static_selectorELNS0_4arch9wavefront6targetE1EEEvSH_,comdat
.Lfunc_end2390:
	.size	_ZN7rocprim17ROCPRIM_400000_NS6detail17trampoline_kernelINS0_14default_configENS1_38merge_sort_block_merge_config_selectorIisEEZZNS1_27merge_sort_block_merge_implIS3_N6thrust23THRUST_200600_302600_NS10device_ptrIiEENS9_IsEEjNS1_19radix_merge_compareILb0ELb1EiNS0_19identity_decomposerEEEEE10hipError_tT0_T1_T2_jT3_P12ihipStream_tbPNSt15iterator_traitsISG_E10value_typeEPNSM_ISH_E10value_typeEPSI_NS1_7vsmem_tEENKUlT_SG_SH_SI_E_clISA_PiSB_PsEESF_SV_SG_SH_SI_EUlSV_E0_NS1_11comp_targetILNS1_3genE5ELNS1_11target_archE942ELNS1_3gpuE9ELNS1_3repE0EEENS1_38merge_mergepath_config_static_selectorELNS0_4arch9wavefront6targetE1EEEvSH_, .Lfunc_end2390-_ZN7rocprim17ROCPRIM_400000_NS6detail17trampoline_kernelINS0_14default_configENS1_38merge_sort_block_merge_config_selectorIisEEZZNS1_27merge_sort_block_merge_implIS3_N6thrust23THRUST_200600_302600_NS10device_ptrIiEENS9_IsEEjNS1_19radix_merge_compareILb0ELb1EiNS0_19identity_decomposerEEEEE10hipError_tT0_T1_T2_jT3_P12ihipStream_tbPNSt15iterator_traitsISG_E10value_typeEPNSM_ISH_E10value_typeEPSI_NS1_7vsmem_tEENKUlT_SG_SH_SI_E_clISA_PiSB_PsEESF_SV_SG_SH_SI_EUlSV_E0_NS1_11comp_targetILNS1_3genE5ELNS1_11target_archE942ELNS1_3gpuE9ELNS1_3repE0EEENS1_38merge_mergepath_config_static_selectorELNS0_4arch9wavefront6targetE1EEEvSH_
                                        ; -- End function
	.set _ZN7rocprim17ROCPRIM_400000_NS6detail17trampoline_kernelINS0_14default_configENS1_38merge_sort_block_merge_config_selectorIisEEZZNS1_27merge_sort_block_merge_implIS3_N6thrust23THRUST_200600_302600_NS10device_ptrIiEENS9_IsEEjNS1_19radix_merge_compareILb0ELb1EiNS0_19identity_decomposerEEEEE10hipError_tT0_T1_T2_jT3_P12ihipStream_tbPNSt15iterator_traitsISG_E10value_typeEPNSM_ISH_E10value_typeEPSI_NS1_7vsmem_tEENKUlT_SG_SH_SI_E_clISA_PiSB_PsEESF_SV_SG_SH_SI_EUlSV_E0_NS1_11comp_targetILNS1_3genE5ELNS1_11target_archE942ELNS1_3gpuE9ELNS1_3repE0EEENS1_38merge_mergepath_config_static_selectorELNS0_4arch9wavefront6targetE1EEEvSH_.num_vgpr, 0
	.set _ZN7rocprim17ROCPRIM_400000_NS6detail17trampoline_kernelINS0_14default_configENS1_38merge_sort_block_merge_config_selectorIisEEZZNS1_27merge_sort_block_merge_implIS3_N6thrust23THRUST_200600_302600_NS10device_ptrIiEENS9_IsEEjNS1_19radix_merge_compareILb0ELb1EiNS0_19identity_decomposerEEEEE10hipError_tT0_T1_T2_jT3_P12ihipStream_tbPNSt15iterator_traitsISG_E10value_typeEPNSM_ISH_E10value_typeEPSI_NS1_7vsmem_tEENKUlT_SG_SH_SI_E_clISA_PiSB_PsEESF_SV_SG_SH_SI_EUlSV_E0_NS1_11comp_targetILNS1_3genE5ELNS1_11target_archE942ELNS1_3gpuE9ELNS1_3repE0EEENS1_38merge_mergepath_config_static_selectorELNS0_4arch9wavefront6targetE1EEEvSH_.num_agpr, 0
	.set _ZN7rocprim17ROCPRIM_400000_NS6detail17trampoline_kernelINS0_14default_configENS1_38merge_sort_block_merge_config_selectorIisEEZZNS1_27merge_sort_block_merge_implIS3_N6thrust23THRUST_200600_302600_NS10device_ptrIiEENS9_IsEEjNS1_19radix_merge_compareILb0ELb1EiNS0_19identity_decomposerEEEEE10hipError_tT0_T1_T2_jT3_P12ihipStream_tbPNSt15iterator_traitsISG_E10value_typeEPNSM_ISH_E10value_typeEPSI_NS1_7vsmem_tEENKUlT_SG_SH_SI_E_clISA_PiSB_PsEESF_SV_SG_SH_SI_EUlSV_E0_NS1_11comp_targetILNS1_3genE5ELNS1_11target_archE942ELNS1_3gpuE9ELNS1_3repE0EEENS1_38merge_mergepath_config_static_selectorELNS0_4arch9wavefront6targetE1EEEvSH_.numbered_sgpr, 0
	.set _ZN7rocprim17ROCPRIM_400000_NS6detail17trampoline_kernelINS0_14default_configENS1_38merge_sort_block_merge_config_selectorIisEEZZNS1_27merge_sort_block_merge_implIS3_N6thrust23THRUST_200600_302600_NS10device_ptrIiEENS9_IsEEjNS1_19radix_merge_compareILb0ELb1EiNS0_19identity_decomposerEEEEE10hipError_tT0_T1_T2_jT3_P12ihipStream_tbPNSt15iterator_traitsISG_E10value_typeEPNSM_ISH_E10value_typeEPSI_NS1_7vsmem_tEENKUlT_SG_SH_SI_E_clISA_PiSB_PsEESF_SV_SG_SH_SI_EUlSV_E0_NS1_11comp_targetILNS1_3genE5ELNS1_11target_archE942ELNS1_3gpuE9ELNS1_3repE0EEENS1_38merge_mergepath_config_static_selectorELNS0_4arch9wavefront6targetE1EEEvSH_.num_named_barrier, 0
	.set _ZN7rocprim17ROCPRIM_400000_NS6detail17trampoline_kernelINS0_14default_configENS1_38merge_sort_block_merge_config_selectorIisEEZZNS1_27merge_sort_block_merge_implIS3_N6thrust23THRUST_200600_302600_NS10device_ptrIiEENS9_IsEEjNS1_19radix_merge_compareILb0ELb1EiNS0_19identity_decomposerEEEEE10hipError_tT0_T1_T2_jT3_P12ihipStream_tbPNSt15iterator_traitsISG_E10value_typeEPNSM_ISH_E10value_typeEPSI_NS1_7vsmem_tEENKUlT_SG_SH_SI_E_clISA_PiSB_PsEESF_SV_SG_SH_SI_EUlSV_E0_NS1_11comp_targetILNS1_3genE5ELNS1_11target_archE942ELNS1_3gpuE9ELNS1_3repE0EEENS1_38merge_mergepath_config_static_selectorELNS0_4arch9wavefront6targetE1EEEvSH_.private_seg_size, 0
	.set _ZN7rocprim17ROCPRIM_400000_NS6detail17trampoline_kernelINS0_14default_configENS1_38merge_sort_block_merge_config_selectorIisEEZZNS1_27merge_sort_block_merge_implIS3_N6thrust23THRUST_200600_302600_NS10device_ptrIiEENS9_IsEEjNS1_19radix_merge_compareILb0ELb1EiNS0_19identity_decomposerEEEEE10hipError_tT0_T1_T2_jT3_P12ihipStream_tbPNSt15iterator_traitsISG_E10value_typeEPNSM_ISH_E10value_typeEPSI_NS1_7vsmem_tEENKUlT_SG_SH_SI_E_clISA_PiSB_PsEESF_SV_SG_SH_SI_EUlSV_E0_NS1_11comp_targetILNS1_3genE5ELNS1_11target_archE942ELNS1_3gpuE9ELNS1_3repE0EEENS1_38merge_mergepath_config_static_selectorELNS0_4arch9wavefront6targetE1EEEvSH_.uses_vcc, 0
	.set _ZN7rocprim17ROCPRIM_400000_NS6detail17trampoline_kernelINS0_14default_configENS1_38merge_sort_block_merge_config_selectorIisEEZZNS1_27merge_sort_block_merge_implIS3_N6thrust23THRUST_200600_302600_NS10device_ptrIiEENS9_IsEEjNS1_19radix_merge_compareILb0ELb1EiNS0_19identity_decomposerEEEEE10hipError_tT0_T1_T2_jT3_P12ihipStream_tbPNSt15iterator_traitsISG_E10value_typeEPNSM_ISH_E10value_typeEPSI_NS1_7vsmem_tEENKUlT_SG_SH_SI_E_clISA_PiSB_PsEESF_SV_SG_SH_SI_EUlSV_E0_NS1_11comp_targetILNS1_3genE5ELNS1_11target_archE942ELNS1_3gpuE9ELNS1_3repE0EEENS1_38merge_mergepath_config_static_selectorELNS0_4arch9wavefront6targetE1EEEvSH_.uses_flat_scratch, 0
	.set _ZN7rocprim17ROCPRIM_400000_NS6detail17trampoline_kernelINS0_14default_configENS1_38merge_sort_block_merge_config_selectorIisEEZZNS1_27merge_sort_block_merge_implIS3_N6thrust23THRUST_200600_302600_NS10device_ptrIiEENS9_IsEEjNS1_19radix_merge_compareILb0ELb1EiNS0_19identity_decomposerEEEEE10hipError_tT0_T1_T2_jT3_P12ihipStream_tbPNSt15iterator_traitsISG_E10value_typeEPNSM_ISH_E10value_typeEPSI_NS1_7vsmem_tEENKUlT_SG_SH_SI_E_clISA_PiSB_PsEESF_SV_SG_SH_SI_EUlSV_E0_NS1_11comp_targetILNS1_3genE5ELNS1_11target_archE942ELNS1_3gpuE9ELNS1_3repE0EEENS1_38merge_mergepath_config_static_selectorELNS0_4arch9wavefront6targetE1EEEvSH_.has_dyn_sized_stack, 0
	.set _ZN7rocprim17ROCPRIM_400000_NS6detail17trampoline_kernelINS0_14default_configENS1_38merge_sort_block_merge_config_selectorIisEEZZNS1_27merge_sort_block_merge_implIS3_N6thrust23THRUST_200600_302600_NS10device_ptrIiEENS9_IsEEjNS1_19radix_merge_compareILb0ELb1EiNS0_19identity_decomposerEEEEE10hipError_tT0_T1_T2_jT3_P12ihipStream_tbPNSt15iterator_traitsISG_E10value_typeEPNSM_ISH_E10value_typeEPSI_NS1_7vsmem_tEENKUlT_SG_SH_SI_E_clISA_PiSB_PsEESF_SV_SG_SH_SI_EUlSV_E0_NS1_11comp_targetILNS1_3genE5ELNS1_11target_archE942ELNS1_3gpuE9ELNS1_3repE0EEENS1_38merge_mergepath_config_static_selectorELNS0_4arch9wavefront6targetE1EEEvSH_.has_recursion, 0
	.set _ZN7rocprim17ROCPRIM_400000_NS6detail17trampoline_kernelINS0_14default_configENS1_38merge_sort_block_merge_config_selectorIisEEZZNS1_27merge_sort_block_merge_implIS3_N6thrust23THRUST_200600_302600_NS10device_ptrIiEENS9_IsEEjNS1_19radix_merge_compareILb0ELb1EiNS0_19identity_decomposerEEEEE10hipError_tT0_T1_T2_jT3_P12ihipStream_tbPNSt15iterator_traitsISG_E10value_typeEPNSM_ISH_E10value_typeEPSI_NS1_7vsmem_tEENKUlT_SG_SH_SI_E_clISA_PiSB_PsEESF_SV_SG_SH_SI_EUlSV_E0_NS1_11comp_targetILNS1_3genE5ELNS1_11target_archE942ELNS1_3gpuE9ELNS1_3repE0EEENS1_38merge_mergepath_config_static_selectorELNS0_4arch9wavefront6targetE1EEEvSH_.has_indirect_call, 0
	.section	.AMDGPU.csdata,"",@progbits
; Kernel info:
; codeLenInByte = 0
; TotalNumSgprs: 6
; NumVgprs: 0
; NumAgprs: 0
; TotalNumVgprs: 0
; ScratchSize: 0
; MemoryBound: 0
; FloatMode: 240
; IeeeMode: 1
; LDSByteSize: 0 bytes/workgroup (compile time only)
; SGPRBlocks: 0
; VGPRBlocks: 0
; NumSGPRsForWavesPerEU: 6
; NumVGPRsForWavesPerEU: 1
; AccumOffset: 4
; Occupancy: 8
; WaveLimiterHint : 0
; COMPUTE_PGM_RSRC2:SCRATCH_EN: 0
; COMPUTE_PGM_RSRC2:USER_SGPR: 2
; COMPUTE_PGM_RSRC2:TRAP_HANDLER: 0
; COMPUTE_PGM_RSRC2:TGID_X_EN: 1
; COMPUTE_PGM_RSRC2:TGID_Y_EN: 0
; COMPUTE_PGM_RSRC2:TGID_Z_EN: 0
; COMPUTE_PGM_RSRC2:TIDIG_COMP_CNT: 0
; COMPUTE_PGM_RSRC3_GFX90A:ACCUM_OFFSET: 0
; COMPUTE_PGM_RSRC3_GFX90A:TG_SPLIT: 0
	.section	.text._ZN7rocprim17ROCPRIM_400000_NS6detail17trampoline_kernelINS0_14default_configENS1_38merge_sort_block_merge_config_selectorIisEEZZNS1_27merge_sort_block_merge_implIS3_N6thrust23THRUST_200600_302600_NS10device_ptrIiEENS9_IsEEjNS1_19radix_merge_compareILb0ELb1EiNS0_19identity_decomposerEEEEE10hipError_tT0_T1_T2_jT3_P12ihipStream_tbPNSt15iterator_traitsISG_E10value_typeEPNSM_ISH_E10value_typeEPSI_NS1_7vsmem_tEENKUlT_SG_SH_SI_E_clISA_PiSB_PsEESF_SV_SG_SH_SI_EUlSV_E0_NS1_11comp_targetILNS1_3genE4ELNS1_11target_archE910ELNS1_3gpuE8ELNS1_3repE0EEENS1_38merge_mergepath_config_static_selectorELNS0_4arch9wavefront6targetE1EEEvSH_,"axG",@progbits,_ZN7rocprim17ROCPRIM_400000_NS6detail17trampoline_kernelINS0_14default_configENS1_38merge_sort_block_merge_config_selectorIisEEZZNS1_27merge_sort_block_merge_implIS3_N6thrust23THRUST_200600_302600_NS10device_ptrIiEENS9_IsEEjNS1_19radix_merge_compareILb0ELb1EiNS0_19identity_decomposerEEEEE10hipError_tT0_T1_T2_jT3_P12ihipStream_tbPNSt15iterator_traitsISG_E10value_typeEPNSM_ISH_E10value_typeEPSI_NS1_7vsmem_tEENKUlT_SG_SH_SI_E_clISA_PiSB_PsEESF_SV_SG_SH_SI_EUlSV_E0_NS1_11comp_targetILNS1_3genE4ELNS1_11target_archE910ELNS1_3gpuE8ELNS1_3repE0EEENS1_38merge_mergepath_config_static_selectorELNS0_4arch9wavefront6targetE1EEEvSH_,comdat
	.protected	_ZN7rocprim17ROCPRIM_400000_NS6detail17trampoline_kernelINS0_14default_configENS1_38merge_sort_block_merge_config_selectorIisEEZZNS1_27merge_sort_block_merge_implIS3_N6thrust23THRUST_200600_302600_NS10device_ptrIiEENS9_IsEEjNS1_19radix_merge_compareILb0ELb1EiNS0_19identity_decomposerEEEEE10hipError_tT0_T1_T2_jT3_P12ihipStream_tbPNSt15iterator_traitsISG_E10value_typeEPNSM_ISH_E10value_typeEPSI_NS1_7vsmem_tEENKUlT_SG_SH_SI_E_clISA_PiSB_PsEESF_SV_SG_SH_SI_EUlSV_E0_NS1_11comp_targetILNS1_3genE4ELNS1_11target_archE910ELNS1_3gpuE8ELNS1_3repE0EEENS1_38merge_mergepath_config_static_selectorELNS0_4arch9wavefront6targetE1EEEvSH_ ; -- Begin function _ZN7rocprim17ROCPRIM_400000_NS6detail17trampoline_kernelINS0_14default_configENS1_38merge_sort_block_merge_config_selectorIisEEZZNS1_27merge_sort_block_merge_implIS3_N6thrust23THRUST_200600_302600_NS10device_ptrIiEENS9_IsEEjNS1_19radix_merge_compareILb0ELb1EiNS0_19identity_decomposerEEEEE10hipError_tT0_T1_T2_jT3_P12ihipStream_tbPNSt15iterator_traitsISG_E10value_typeEPNSM_ISH_E10value_typeEPSI_NS1_7vsmem_tEENKUlT_SG_SH_SI_E_clISA_PiSB_PsEESF_SV_SG_SH_SI_EUlSV_E0_NS1_11comp_targetILNS1_3genE4ELNS1_11target_archE910ELNS1_3gpuE8ELNS1_3repE0EEENS1_38merge_mergepath_config_static_selectorELNS0_4arch9wavefront6targetE1EEEvSH_
	.globl	_ZN7rocprim17ROCPRIM_400000_NS6detail17trampoline_kernelINS0_14default_configENS1_38merge_sort_block_merge_config_selectorIisEEZZNS1_27merge_sort_block_merge_implIS3_N6thrust23THRUST_200600_302600_NS10device_ptrIiEENS9_IsEEjNS1_19radix_merge_compareILb0ELb1EiNS0_19identity_decomposerEEEEE10hipError_tT0_T1_T2_jT3_P12ihipStream_tbPNSt15iterator_traitsISG_E10value_typeEPNSM_ISH_E10value_typeEPSI_NS1_7vsmem_tEENKUlT_SG_SH_SI_E_clISA_PiSB_PsEESF_SV_SG_SH_SI_EUlSV_E0_NS1_11comp_targetILNS1_3genE4ELNS1_11target_archE910ELNS1_3gpuE8ELNS1_3repE0EEENS1_38merge_mergepath_config_static_selectorELNS0_4arch9wavefront6targetE1EEEvSH_
	.p2align	8
	.type	_ZN7rocprim17ROCPRIM_400000_NS6detail17trampoline_kernelINS0_14default_configENS1_38merge_sort_block_merge_config_selectorIisEEZZNS1_27merge_sort_block_merge_implIS3_N6thrust23THRUST_200600_302600_NS10device_ptrIiEENS9_IsEEjNS1_19radix_merge_compareILb0ELb1EiNS0_19identity_decomposerEEEEE10hipError_tT0_T1_T2_jT3_P12ihipStream_tbPNSt15iterator_traitsISG_E10value_typeEPNSM_ISH_E10value_typeEPSI_NS1_7vsmem_tEENKUlT_SG_SH_SI_E_clISA_PiSB_PsEESF_SV_SG_SH_SI_EUlSV_E0_NS1_11comp_targetILNS1_3genE4ELNS1_11target_archE910ELNS1_3gpuE8ELNS1_3repE0EEENS1_38merge_mergepath_config_static_selectorELNS0_4arch9wavefront6targetE1EEEvSH_,@function
_ZN7rocprim17ROCPRIM_400000_NS6detail17trampoline_kernelINS0_14default_configENS1_38merge_sort_block_merge_config_selectorIisEEZZNS1_27merge_sort_block_merge_implIS3_N6thrust23THRUST_200600_302600_NS10device_ptrIiEENS9_IsEEjNS1_19radix_merge_compareILb0ELb1EiNS0_19identity_decomposerEEEEE10hipError_tT0_T1_T2_jT3_P12ihipStream_tbPNSt15iterator_traitsISG_E10value_typeEPNSM_ISH_E10value_typeEPSI_NS1_7vsmem_tEENKUlT_SG_SH_SI_E_clISA_PiSB_PsEESF_SV_SG_SH_SI_EUlSV_E0_NS1_11comp_targetILNS1_3genE4ELNS1_11target_archE910ELNS1_3gpuE8ELNS1_3repE0EEENS1_38merge_mergepath_config_static_selectorELNS0_4arch9wavefront6targetE1EEEvSH_: ; @_ZN7rocprim17ROCPRIM_400000_NS6detail17trampoline_kernelINS0_14default_configENS1_38merge_sort_block_merge_config_selectorIisEEZZNS1_27merge_sort_block_merge_implIS3_N6thrust23THRUST_200600_302600_NS10device_ptrIiEENS9_IsEEjNS1_19radix_merge_compareILb0ELb1EiNS0_19identity_decomposerEEEEE10hipError_tT0_T1_T2_jT3_P12ihipStream_tbPNSt15iterator_traitsISG_E10value_typeEPNSM_ISH_E10value_typeEPSI_NS1_7vsmem_tEENKUlT_SG_SH_SI_E_clISA_PiSB_PsEESF_SV_SG_SH_SI_EUlSV_E0_NS1_11comp_targetILNS1_3genE4ELNS1_11target_archE910ELNS1_3gpuE8ELNS1_3repE0EEENS1_38merge_mergepath_config_static_selectorELNS0_4arch9wavefront6targetE1EEEvSH_
; %bb.0:
	.section	.rodata,"a",@progbits
	.p2align	6, 0x0
	.amdhsa_kernel _ZN7rocprim17ROCPRIM_400000_NS6detail17trampoline_kernelINS0_14default_configENS1_38merge_sort_block_merge_config_selectorIisEEZZNS1_27merge_sort_block_merge_implIS3_N6thrust23THRUST_200600_302600_NS10device_ptrIiEENS9_IsEEjNS1_19radix_merge_compareILb0ELb1EiNS0_19identity_decomposerEEEEE10hipError_tT0_T1_T2_jT3_P12ihipStream_tbPNSt15iterator_traitsISG_E10value_typeEPNSM_ISH_E10value_typeEPSI_NS1_7vsmem_tEENKUlT_SG_SH_SI_E_clISA_PiSB_PsEESF_SV_SG_SH_SI_EUlSV_E0_NS1_11comp_targetILNS1_3genE4ELNS1_11target_archE910ELNS1_3gpuE8ELNS1_3repE0EEENS1_38merge_mergepath_config_static_selectorELNS0_4arch9wavefront6targetE1EEEvSH_
		.amdhsa_group_segment_fixed_size 0
		.amdhsa_private_segment_fixed_size 0
		.amdhsa_kernarg_size 64
		.amdhsa_user_sgpr_count 2
		.amdhsa_user_sgpr_dispatch_ptr 0
		.amdhsa_user_sgpr_queue_ptr 0
		.amdhsa_user_sgpr_kernarg_segment_ptr 1
		.amdhsa_user_sgpr_dispatch_id 0
		.amdhsa_user_sgpr_kernarg_preload_length 0
		.amdhsa_user_sgpr_kernarg_preload_offset 0
		.amdhsa_user_sgpr_private_segment_size 0
		.amdhsa_uses_dynamic_stack 0
		.amdhsa_enable_private_segment 0
		.amdhsa_system_sgpr_workgroup_id_x 1
		.amdhsa_system_sgpr_workgroup_id_y 0
		.amdhsa_system_sgpr_workgroup_id_z 0
		.amdhsa_system_sgpr_workgroup_info 0
		.amdhsa_system_vgpr_workitem_id 0
		.amdhsa_next_free_vgpr 1
		.amdhsa_next_free_sgpr 0
		.amdhsa_accum_offset 4
		.amdhsa_reserve_vcc 0
		.amdhsa_float_round_mode_32 0
		.amdhsa_float_round_mode_16_64 0
		.amdhsa_float_denorm_mode_32 3
		.amdhsa_float_denorm_mode_16_64 3
		.amdhsa_dx10_clamp 1
		.amdhsa_ieee_mode 1
		.amdhsa_fp16_overflow 0
		.amdhsa_tg_split 0
		.amdhsa_exception_fp_ieee_invalid_op 0
		.amdhsa_exception_fp_denorm_src 0
		.amdhsa_exception_fp_ieee_div_zero 0
		.amdhsa_exception_fp_ieee_overflow 0
		.amdhsa_exception_fp_ieee_underflow 0
		.amdhsa_exception_fp_ieee_inexact 0
		.amdhsa_exception_int_div_zero 0
	.end_amdhsa_kernel
	.section	.text._ZN7rocprim17ROCPRIM_400000_NS6detail17trampoline_kernelINS0_14default_configENS1_38merge_sort_block_merge_config_selectorIisEEZZNS1_27merge_sort_block_merge_implIS3_N6thrust23THRUST_200600_302600_NS10device_ptrIiEENS9_IsEEjNS1_19radix_merge_compareILb0ELb1EiNS0_19identity_decomposerEEEEE10hipError_tT0_T1_T2_jT3_P12ihipStream_tbPNSt15iterator_traitsISG_E10value_typeEPNSM_ISH_E10value_typeEPSI_NS1_7vsmem_tEENKUlT_SG_SH_SI_E_clISA_PiSB_PsEESF_SV_SG_SH_SI_EUlSV_E0_NS1_11comp_targetILNS1_3genE4ELNS1_11target_archE910ELNS1_3gpuE8ELNS1_3repE0EEENS1_38merge_mergepath_config_static_selectorELNS0_4arch9wavefront6targetE1EEEvSH_,"axG",@progbits,_ZN7rocprim17ROCPRIM_400000_NS6detail17trampoline_kernelINS0_14default_configENS1_38merge_sort_block_merge_config_selectorIisEEZZNS1_27merge_sort_block_merge_implIS3_N6thrust23THRUST_200600_302600_NS10device_ptrIiEENS9_IsEEjNS1_19radix_merge_compareILb0ELb1EiNS0_19identity_decomposerEEEEE10hipError_tT0_T1_T2_jT3_P12ihipStream_tbPNSt15iterator_traitsISG_E10value_typeEPNSM_ISH_E10value_typeEPSI_NS1_7vsmem_tEENKUlT_SG_SH_SI_E_clISA_PiSB_PsEESF_SV_SG_SH_SI_EUlSV_E0_NS1_11comp_targetILNS1_3genE4ELNS1_11target_archE910ELNS1_3gpuE8ELNS1_3repE0EEENS1_38merge_mergepath_config_static_selectorELNS0_4arch9wavefront6targetE1EEEvSH_,comdat
.Lfunc_end2391:
	.size	_ZN7rocprim17ROCPRIM_400000_NS6detail17trampoline_kernelINS0_14default_configENS1_38merge_sort_block_merge_config_selectorIisEEZZNS1_27merge_sort_block_merge_implIS3_N6thrust23THRUST_200600_302600_NS10device_ptrIiEENS9_IsEEjNS1_19radix_merge_compareILb0ELb1EiNS0_19identity_decomposerEEEEE10hipError_tT0_T1_T2_jT3_P12ihipStream_tbPNSt15iterator_traitsISG_E10value_typeEPNSM_ISH_E10value_typeEPSI_NS1_7vsmem_tEENKUlT_SG_SH_SI_E_clISA_PiSB_PsEESF_SV_SG_SH_SI_EUlSV_E0_NS1_11comp_targetILNS1_3genE4ELNS1_11target_archE910ELNS1_3gpuE8ELNS1_3repE0EEENS1_38merge_mergepath_config_static_selectorELNS0_4arch9wavefront6targetE1EEEvSH_, .Lfunc_end2391-_ZN7rocprim17ROCPRIM_400000_NS6detail17trampoline_kernelINS0_14default_configENS1_38merge_sort_block_merge_config_selectorIisEEZZNS1_27merge_sort_block_merge_implIS3_N6thrust23THRUST_200600_302600_NS10device_ptrIiEENS9_IsEEjNS1_19radix_merge_compareILb0ELb1EiNS0_19identity_decomposerEEEEE10hipError_tT0_T1_T2_jT3_P12ihipStream_tbPNSt15iterator_traitsISG_E10value_typeEPNSM_ISH_E10value_typeEPSI_NS1_7vsmem_tEENKUlT_SG_SH_SI_E_clISA_PiSB_PsEESF_SV_SG_SH_SI_EUlSV_E0_NS1_11comp_targetILNS1_3genE4ELNS1_11target_archE910ELNS1_3gpuE8ELNS1_3repE0EEENS1_38merge_mergepath_config_static_selectorELNS0_4arch9wavefront6targetE1EEEvSH_
                                        ; -- End function
	.set _ZN7rocprim17ROCPRIM_400000_NS6detail17trampoline_kernelINS0_14default_configENS1_38merge_sort_block_merge_config_selectorIisEEZZNS1_27merge_sort_block_merge_implIS3_N6thrust23THRUST_200600_302600_NS10device_ptrIiEENS9_IsEEjNS1_19radix_merge_compareILb0ELb1EiNS0_19identity_decomposerEEEEE10hipError_tT0_T1_T2_jT3_P12ihipStream_tbPNSt15iterator_traitsISG_E10value_typeEPNSM_ISH_E10value_typeEPSI_NS1_7vsmem_tEENKUlT_SG_SH_SI_E_clISA_PiSB_PsEESF_SV_SG_SH_SI_EUlSV_E0_NS1_11comp_targetILNS1_3genE4ELNS1_11target_archE910ELNS1_3gpuE8ELNS1_3repE0EEENS1_38merge_mergepath_config_static_selectorELNS0_4arch9wavefront6targetE1EEEvSH_.num_vgpr, 0
	.set _ZN7rocprim17ROCPRIM_400000_NS6detail17trampoline_kernelINS0_14default_configENS1_38merge_sort_block_merge_config_selectorIisEEZZNS1_27merge_sort_block_merge_implIS3_N6thrust23THRUST_200600_302600_NS10device_ptrIiEENS9_IsEEjNS1_19radix_merge_compareILb0ELb1EiNS0_19identity_decomposerEEEEE10hipError_tT0_T1_T2_jT3_P12ihipStream_tbPNSt15iterator_traitsISG_E10value_typeEPNSM_ISH_E10value_typeEPSI_NS1_7vsmem_tEENKUlT_SG_SH_SI_E_clISA_PiSB_PsEESF_SV_SG_SH_SI_EUlSV_E0_NS1_11comp_targetILNS1_3genE4ELNS1_11target_archE910ELNS1_3gpuE8ELNS1_3repE0EEENS1_38merge_mergepath_config_static_selectorELNS0_4arch9wavefront6targetE1EEEvSH_.num_agpr, 0
	.set _ZN7rocprim17ROCPRIM_400000_NS6detail17trampoline_kernelINS0_14default_configENS1_38merge_sort_block_merge_config_selectorIisEEZZNS1_27merge_sort_block_merge_implIS3_N6thrust23THRUST_200600_302600_NS10device_ptrIiEENS9_IsEEjNS1_19radix_merge_compareILb0ELb1EiNS0_19identity_decomposerEEEEE10hipError_tT0_T1_T2_jT3_P12ihipStream_tbPNSt15iterator_traitsISG_E10value_typeEPNSM_ISH_E10value_typeEPSI_NS1_7vsmem_tEENKUlT_SG_SH_SI_E_clISA_PiSB_PsEESF_SV_SG_SH_SI_EUlSV_E0_NS1_11comp_targetILNS1_3genE4ELNS1_11target_archE910ELNS1_3gpuE8ELNS1_3repE0EEENS1_38merge_mergepath_config_static_selectorELNS0_4arch9wavefront6targetE1EEEvSH_.numbered_sgpr, 0
	.set _ZN7rocprim17ROCPRIM_400000_NS6detail17trampoline_kernelINS0_14default_configENS1_38merge_sort_block_merge_config_selectorIisEEZZNS1_27merge_sort_block_merge_implIS3_N6thrust23THRUST_200600_302600_NS10device_ptrIiEENS9_IsEEjNS1_19radix_merge_compareILb0ELb1EiNS0_19identity_decomposerEEEEE10hipError_tT0_T1_T2_jT3_P12ihipStream_tbPNSt15iterator_traitsISG_E10value_typeEPNSM_ISH_E10value_typeEPSI_NS1_7vsmem_tEENKUlT_SG_SH_SI_E_clISA_PiSB_PsEESF_SV_SG_SH_SI_EUlSV_E0_NS1_11comp_targetILNS1_3genE4ELNS1_11target_archE910ELNS1_3gpuE8ELNS1_3repE0EEENS1_38merge_mergepath_config_static_selectorELNS0_4arch9wavefront6targetE1EEEvSH_.num_named_barrier, 0
	.set _ZN7rocprim17ROCPRIM_400000_NS6detail17trampoline_kernelINS0_14default_configENS1_38merge_sort_block_merge_config_selectorIisEEZZNS1_27merge_sort_block_merge_implIS3_N6thrust23THRUST_200600_302600_NS10device_ptrIiEENS9_IsEEjNS1_19radix_merge_compareILb0ELb1EiNS0_19identity_decomposerEEEEE10hipError_tT0_T1_T2_jT3_P12ihipStream_tbPNSt15iterator_traitsISG_E10value_typeEPNSM_ISH_E10value_typeEPSI_NS1_7vsmem_tEENKUlT_SG_SH_SI_E_clISA_PiSB_PsEESF_SV_SG_SH_SI_EUlSV_E0_NS1_11comp_targetILNS1_3genE4ELNS1_11target_archE910ELNS1_3gpuE8ELNS1_3repE0EEENS1_38merge_mergepath_config_static_selectorELNS0_4arch9wavefront6targetE1EEEvSH_.private_seg_size, 0
	.set _ZN7rocprim17ROCPRIM_400000_NS6detail17trampoline_kernelINS0_14default_configENS1_38merge_sort_block_merge_config_selectorIisEEZZNS1_27merge_sort_block_merge_implIS3_N6thrust23THRUST_200600_302600_NS10device_ptrIiEENS9_IsEEjNS1_19radix_merge_compareILb0ELb1EiNS0_19identity_decomposerEEEEE10hipError_tT0_T1_T2_jT3_P12ihipStream_tbPNSt15iterator_traitsISG_E10value_typeEPNSM_ISH_E10value_typeEPSI_NS1_7vsmem_tEENKUlT_SG_SH_SI_E_clISA_PiSB_PsEESF_SV_SG_SH_SI_EUlSV_E0_NS1_11comp_targetILNS1_3genE4ELNS1_11target_archE910ELNS1_3gpuE8ELNS1_3repE0EEENS1_38merge_mergepath_config_static_selectorELNS0_4arch9wavefront6targetE1EEEvSH_.uses_vcc, 0
	.set _ZN7rocprim17ROCPRIM_400000_NS6detail17trampoline_kernelINS0_14default_configENS1_38merge_sort_block_merge_config_selectorIisEEZZNS1_27merge_sort_block_merge_implIS3_N6thrust23THRUST_200600_302600_NS10device_ptrIiEENS9_IsEEjNS1_19radix_merge_compareILb0ELb1EiNS0_19identity_decomposerEEEEE10hipError_tT0_T1_T2_jT3_P12ihipStream_tbPNSt15iterator_traitsISG_E10value_typeEPNSM_ISH_E10value_typeEPSI_NS1_7vsmem_tEENKUlT_SG_SH_SI_E_clISA_PiSB_PsEESF_SV_SG_SH_SI_EUlSV_E0_NS1_11comp_targetILNS1_3genE4ELNS1_11target_archE910ELNS1_3gpuE8ELNS1_3repE0EEENS1_38merge_mergepath_config_static_selectorELNS0_4arch9wavefront6targetE1EEEvSH_.uses_flat_scratch, 0
	.set _ZN7rocprim17ROCPRIM_400000_NS6detail17trampoline_kernelINS0_14default_configENS1_38merge_sort_block_merge_config_selectorIisEEZZNS1_27merge_sort_block_merge_implIS3_N6thrust23THRUST_200600_302600_NS10device_ptrIiEENS9_IsEEjNS1_19radix_merge_compareILb0ELb1EiNS0_19identity_decomposerEEEEE10hipError_tT0_T1_T2_jT3_P12ihipStream_tbPNSt15iterator_traitsISG_E10value_typeEPNSM_ISH_E10value_typeEPSI_NS1_7vsmem_tEENKUlT_SG_SH_SI_E_clISA_PiSB_PsEESF_SV_SG_SH_SI_EUlSV_E0_NS1_11comp_targetILNS1_3genE4ELNS1_11target_archE910ELNS1_3gpuE8ELNS1_3repE0EEENS1_38merge_mergepath_config_static_selectorELNS0_4arch9wavefront6targetE1EEEvSH_.has_dyn_sized_stack, 0
	.set _ZN7rocprim17ROCPRIM_400000_NS6detail17trampoline_kernelINS0_14default_configENS1_38merge_sort_block_merge_config_selectorIisEEZZNS1_27merge_sort_block_merge_implIS3_N6thrust23THRUST_200600_302600_NS10device_ptrIiEENS9_IsEEjNS1_19radix_merge_compareILb0ELb1EiNS0_19identity_decomposerEEEEE10hipError_tT0_T1_T2_jT3_P12ihipStream_tbPNSt15iterator_traitsISG_E10value_typeEPNSM_ISH_E10value_typeEPSI_NS1_7vsmem_tEENKUlT_SG_SH_SI_E_clISA_PiSB_PsEESF_SV_SG_SH_SI_EUlSV_E0_NS1_11comp_targetILNS1_3genE4ELNS1_11target_archE910ELNS1_3gpuE8ELNS1_3repE0EEENS1_38merge_mergepath_config_static_selectorELNS0_4arch9wavefront6targetE1EEEvSH_.has_recursion, 0
	.set _ZN7rocprim17ROCPRIM_400000_NS6detail17trampoline_kernelINS0_14default_configENS1_38merge_sort_block_merge_config_selectorIisEEZZNS1_27merge_sort_block_merge_implIS3_N6thrust23THRUST_200600_302600_NS10device_ptrIiEENS9_IsEEjNS1_19radix_merge_compareILb0ELb1EiNS0_19identity_decomposerEEEEE10hipError_tT0_T1_T2_jT3_P12ihipStream_tbPNSt15iterator_traitsISG_E10value_typeEPNSM_ISH_E10value_typeEPSI_NS1_7vsmem_tEENKUlT_SG_SH_SI_E_clISA_PiSB_PsEESF_SV_SG_SH_SI_EUlSV_E0_NS1_11comp_targetILNS1_3genE4ELNS1_11target_archE910ELNS1_3gpuE8ELNS1_3repE0EEENS1_38merge_mergepath_config_static_selectorELNS0_4arch9wavefront6targetE1EEEvSH_.has_indirect_call, 0
	.section	.AMDGPU.csdata,"",@progbits
; Kernel info:
; codeLenInByte = 0
; TotalNumSgprs: 6
; NumVgprs: 0
; NumAgprs: 0
; TotalNumVgprs: 0
; ScratchSize: 0
; MemoryBound: 0
; FloatMode: 240
; IeeeMode: 1
; LDSByteSize: 0 bytes/workgroup (compile time only)
; SGPRBlocks: 0
; VGPRBlocks: 0
; NumSGPRsForWavesPerEU: 6
; NumVGPRsForWavesPerEU: 1
; AccumOffset: 4
; Occupancy: 8
; WaveLimiterHint : 0
; COMPUTE_PGM_RSRC2:SCRATCH_EN: 0
; COMPUTE_PGM_RSRC2:USER_SGPR: 2
; COMPUTE_PGM_RSRC2:TRAP_HANDLER: 0
; COMPUTE_PGM_RSRC2:TGID_X_EN: 1
; COMPUTE_PGM_RSRC2:TGID_Y_EN: 0
; COMPUTE_PGM_RSRC2:TGID_Z_EN: 0
; COMPUTE_PGM_RSRC2:TIDIG_COMP_CNT: 0
; COMPUTE_PGM_RSRC3_GFX90A:ACCUM_OFFSET: 0
; COMPUTE_PGM_RSRC3_GFX90A:TG_SPLIT: 0
	.section	.text._ZN7rocprim17ROCPRIM_400000_NS6detail17trampoline_kernelINS0_14default_configENS1_38merge_sort_block_merge_config_selectorIisEEZZNS1_27merge_sort_block_merge_implIS3_N6thrust23THRUST_200600_302600_NS10device_ptrIiEENS9_IsEEjNS1_19radix_merge_compareILb0ELb1EiNS0_19identity_decomposerEEEEE10hipError_tT0_T1_T2_jT3_P12ihipStream_tbPNSt15iterator_traitsISG_E10value_typeEPNSM_ISH_E10value_typeEPSI_NS1_7vsmem_tEENKUlT_SG_SH_SI_E_clISA_PiSB_PsEESF_SV_SG_SH_SI_EUlSV_E0_NS1_11comp_targetILNS1_3genE3ELNS1_11target_archE908ELNS1_3gpuE7ELNS1_3repE0EEENS1_38merge_mergepath_config_static_selectorELNS0_4arch9wavefront6targetE1EEEvSH_,"axG",@progbits,_ZN7rocprim17ROCPRIM_400000_NS6detail17trampoline_kernelINS0_14default_configENS1_38merge_sort_block_merge_config_selectorIisEEZZNS1_27merge_sort_block_merge_implIS3_N6thrust23THRUST_200600_302600_NS10device_ptrIiEENS9_IsEEjNS1_19radix_merge_compareILb0ELb1EiNS0_19identity_decomposerEEEEE10hipError_tT0_T1_T2_jT3_P12ihipStream_tbPNSt15iterator_traitsISG_E10value_typeEPNSM_ISH_E10value_typeEPSI_NS1_7vsmem_tEENKUlT_SG_SH_SI_E_clISA_PiSB_PsEESF_SV_SG_SH_SI_EUlSV_E0_NS1_11comp_targetILNS1_3genE3ELNS1_11target_archE908ELNS1_3gpuE7ELNS1_3repE0EEENS1_38merge_mergepath_config_static_selectorELNS0_4arch9wavefront6targetE1EEEvSH_,comdat
	.protected	_ZN7rocprim17ROCPRIM_400000_NS6detail17trampoline_kernelINS0_14default_configENS1_38merge_sort_block_merge_config_selectorIisEEZZNS1_27merge_sort_block_merge_implIS3_N6thrust23THRUST_200600_302600_NS10device_ptrIiEENS9_IsEEjNS1_19radix_merge_compareILb0ELb1EiNS0_19identity_decomposerEEEEE10hipError_tT0_T1_T2_jT3_P12ihipStream_tbPNSt15iterator_traitsISG_E10value_typeEPNSM_ISH_E10value_typeEPSI_NS1_7vsmem_tEENKUlT_SG_SH_SI_E_clISA_PiSB_PsEESF_SV_SG_SH_SI_EUlSV_E0_NS1_11comp_targetILNS1_3genE3ELNS1_11target_archE908ELNS1_3gpuE7ELNS1_3repE0EEENS1_38merge_mergepath_config_static_selectorELNS0_4arch9wavefront6targetE1EEEvSH_ ; -- Begin function _ZN7rocprim17ROCPRIM_400000_NS6detail17trampoline_kernelINS0_14default_configENS1_38merge_sort_block_merge_config_selectorIisEEZZNS1_27merge_sort_block_merge_implIS3_N6thrust23THRUST_200600_302600_NS10device_ptrIiEENS9_IsEEjNS1_19radix_merge_compareILb0ELb1EiNS0_19identity_decomposerEEEEE10hipError_tT0_T1_T2_jT3_P12ihipStream_tbPNSt15iterator_traitsISG_E10value_typeEPNSM_ISH_E10value_typeEPSI_NS1_7vsmem_tEENKUlT_SG_SH_SI_E_clISA_PiSB_PsEESF_SV_SG_SH_SI_EUlSV_E0_NS1_11comp_targetILNS1_3genE3ELNS1_11target_archE908ELNS1_3gpuE7ELNS1_3repE0EEENS1_38merge_mergepath_config_static_selectorELNS0_4arch9wavefront6targetE1EEEvSH_
	.globl	_ZN7rocprim17ROCPRIM_400000_NS6detail17trampoline_kernelINS0_14default_configENS1_38merge_sort_block_merge_config_selectorIisEEZZNS1_27merge_sort_block_merge_implIS3_N6thrust23THRUST_200600_302600_NS10device_ptrIiEENS9_IsEEjNS1_19radix_merge_compareILb0ELb1EiNS0_19identity_decomposerEEEEE10hipError_tT0_T1_T2_jT3_P12ihipStream_tbPNSt15iterator_traitsISG_E10value_typeEPNSM_ISH_E10value_typeEPSI_NS1_7vsmem_tEENKUlT_SG_SH_SI_E_clISA_PiSB_PsEESF_SV_SG_SH_SI_EUlSV_E0_NS1_11comp_targetILNS1_3genE3ELNS1_11target_archE908ELNS1_3gpuE7ELNS1_3repE0EEENS1_38merge_mergepath_config_static_selectorELNS0_4arch9wavefront6targetE1EEEvSH_
	.p2align	8
	.type	_ZN7rocprim17ROCPRIM_400000_NS6detail17trampoline_kernelINS0_14default_configENS1_38merge_sort_block_merge_config_selectorIisEEZZNS1_27merge_sort_block_merge_implIS3_N6thrust23THRUST_200600_302600_NS10device_ptrIiEENS9_IsEEjNS1_19radix_merge_compareILb0ELb1EiNS0_19identity_decomposerEEEEE10hipError_tT0_T1_T2_jT3_P12ihipStream_tbPNSt15iterator_traitsISG_E10value_typeEPNSM_ISH_E10value_typeEPSI_NS1_7vsmem_tEENKUlT_SG_SH_SI_E_clISA_PiSB_PsEESF_SV_SG_SH_SI_EUlSV_E0_NS1_11comp_targetILNS1_3genE3ELNS1_11target_archE908ELNS1_3gpuE7ELNS1_3repE0EEENS1_38merge_mergepath_config_static_selectorELNS0_4arch9wavefront6targetE1EEEvSH_,@function
_ZN7rocprim17ROCPRIM_400000_NS6detail17trampoline_kernelINS0_14default_configENS1_38merge_sort_block_merge_config_selectorIisEEZZNS1_27merge_sort_block_merge_implIS3_N6thrust23THRUST_200600_302600_NS10device_ptrIiEENS9_IsEEjNS1_19radix_merge_compareILb0ELb1EiNS0_19identity_decomposerEEEEE10hipError_tT0_T1_T2_jT3_P12ihipStream_tbPNSt15iterator_traitsISG_E10value_typeEPNSM_ISH_E10value_typeEPSI_NS1_7vsmem_tEENKUlT_SG_SH_SI_E_clISA_PiSB_PsEESF_SV_SG_SH_SI_EUlSV_E0_NS1_11comp_targetILNS1_3genE3ELNS1_11target_archE908ELNS1_3gpuE7ELNS1_3repE0EEENS1_38merge_mergepath_config_static_selectorELNS0_4arch9wavefront6targetE1EEEvSH_: ; @_ZN7rocprim17ROCPRIM_400000_NS6detail17trampoline_kernelINS0_14default_configENS1_38merge_sort_block_merge_config_selectorIisEEZZNS1_27merge_sort_block_merge_implIS3_N6thrust23THRUST_200600_302600_NS10device_ptrIiEENS9_IsEEjNS1_19radix_merge_compareILb0ELb1EiNS0_19identity_decomposerEEEEE10hipError_tT0_T1_T2_jT3_P12ihipStream_tbPNSt15iterator_traitsISG_E10value_typeEPNSM_ISH_E10value_typeEPSI_NS1_7vsmem_tEENKUlT_SG_SH_SI_E_clISA_PiSB_PsEESF_SV_SG_SH_SI_EUlSV_E0_NS1_11comp_targetILNS1_3genE3ELNS1_11target_archE908ELNS1_3gpuE7ELNS1_3repE0EEENS1_38merge_mergepath_config_static_selectorELNS0_4arch9wavefront6targetE1EEEvSH_
; %bb.0:
	.section	.rodata,"a",@progbits
	.p2align	6, 0x0
	.amdhsa_kernel _ZN7rocprim17ROCPRIM_400000_NS6detail17trampoline_kernelINS0_14default_configENS1_38merge_sort_block_merge_config_selectorIisEEZZNS1_27merge_sort_block_merge_implIS3_N6thrust23THRUST_200600_302600_NS10device_ptrIiEENS9_IsEEjNS1_19radix_merge_compareILb0ELb1EiNS0_19identity_decomposerEEEEE10hipError_tT0_T1_T2_jT3_P12ihipStream_tbPNSt15iterator_traitsISG_E10value_typeEPNSM_ISH_E10value_typeEPSI_NS1_7vsmem_tEENKUlT_SG_SH_SI_E_clISA_PiSB_PsEESF_SV_SG_SH_SI_EUlSV_E0_NS1_11comp_targetILNS1_3genE3ELNS1_11target_archE908ELNS1_3gpuE7ELNS1_3repE0EEENS1_38merge_mergepath_config_static_selectorELNS0_4arch9wavefront6targetE1EEEvSH_
		.amdhsa_group_segment_fixed_size 0
		.amdhsa_private_segment_fixed_size 0
		.amdhsa_kernarg_size 64
		.amdhsa_user_sgpr_count 2
		.amdhsa_user_sgpr_dispatch_ptr 0
		.amdhsa_user_sgpr_queue_ptr 0
		.amdhsa_user_sgpr_kernarg_segment_ptr 1
		.amdhsa_user_sgpr_dispatch_id 0
		.amdhsa_user_sgpr_kernarg_preload_length 0
		.amdhsa_user_sgpr_kernarg_preload_offset 0
		.amdhsa_user_sgpr_private_segment_size 0
		.amdhsa_uses_dynamic_stack 0
		.amdhsa_enable_private_segment 0
		.amdhsa_system_sgpr_workgroup_id_x 1
		.amdhsa_system_sgpr_workgroup_id_y 0
		.amdhsa_system_sgpr_workgroup_id_z 0
		.amdhsa_system_sgpr_workgroup_info 0
		.amdhsa_system_vgpr_workitem_id 0
		.amdhsa_next_free_vgpr 1
		.amdhsa_next_free_sgpr 0
		.amdhsa_accum_offset 4
		.amdhsa_reserve_vcc 0
		.amdhsa_float_round_mode_32 0
		.amdhsa_float_round_mode_16_64 0
		.amdhsa_float_denorm_mode_32 3
		.amdhsa_float_denorm_mode_16_64 3
		.amdhsa_dx10_clamp 1
		.amdhsa_ieee_mode 1
		.amdhsa_fp16_overflow 0
		.amdhsa_tg_split 0
		.amdhsa_exception_fp_ieee_invalid_op 0
		.amdhsa_exception_fp_denorm_src 0
		.amdhsa_exception_fp_ieee_div_zero 0
		.amdhsa_exception_fp_ieee_overflow 0
		.amdhsa_exception_fp_ieee_underflow 0
		.amdhsa_exception_fp_ieee_inexact 0
		.amdhsa_exception_int_div_zero 0
	.end_amdhsa_kernel
	.section	.text._ZN7rocprim17ROCPRIM_400000_NS6detail17trampoline_kernelINS0_14default_configENS1_38merge_sort_block_merge_config_selectorIisEEZZNS1_27merge_sort_block_merge_implIS3_N6thrust23THRUST_200600_302600_NS10device_ptrIiEENS9_IsEEjNS1_19radix_merge_compareILb0ELb1EiNS0_19identity_decomposerEEEEE10hipError_tT0_T1_T2_jT3_P12ihipStream_tbPNSt15iterator_traitsISG_E10value_typeEPNSM_ISH_E10value_typeEPSI_NS1_7vsmem_tEENKUlT_SG_SH_SI_E_clISA_PiSB_PsEESF_SV_SG_SH_SI_EUlSV_E0_NS1_11comp_targetILNS1_3genE3ELNS1_11target_archE908ELNS1_3gpuE7ELNS1_3repE0EEENS1_38merge_mergepath_config_static_selectorELNS0_4arch9wavefront6targetE1EEEvSH_,"axG",@progbits,_ZN7rocprim17ROCPRIM_400000_NS6detail17trampoline_kernelINS0_14default_configENS1_38merge_sort_block_merge_config_selectorIisEEZZNS1_27merge_sort_block_merge_implIS3_N6thrust23THRUST_200600_302600_NS10device_ptrIiEENS9_IsEEjNS1_19radix_merge_compareILb0ELb1EiNS0_19identity_decomposerEEEEE10hipError_tT0_T1_T2_jT3_P12ihipStream_tbPNSt15iterator_traitsISG_E10value_typeEPNSM_ISH_E10value_typeEPSI_NS1_7vsmem_tEENKUlT_SG_SH_SI_E_clISA_PiSB_PsEESF_SV_SG_SH_SI_EUlSV_E0_NS1_11comp_targetILNS1_3genE3ELNS1_11target_archE908ELNS1_3gpuE7ELNS1_3repE0EEENS1_38merge_mergepath_config_static_selectorELNS0_4arch9wavefront6targetE1EEEvSH_,comdat
.Lfunc_end2392:
	.size	_ZN7rocprim17ROCPRIM_400000_NS6detail17trampoline_kernelINS0_14default_configENS1_38merge_sort_block_merge_config_selectorIisEEZZNS1_27merge_sort_block_merge_implIS3_N6thrust23THRUST_200600_302600_NS10device_ptrIiEENS9_IsEEjNS1_19radix_merge_compareILb0ELb1EiNS0_19identity_decomposerEEEEE10hipError_tT0_T1_T2_jT3_P12ihipStream_tbPNSt15iterator_traitsISG_E10value_typeEPNSM_ISH_E10value_typeEPSI_NS1_7vsmem_tEENKUlT_SG_SH_SI_E_clISA_PiSB_PsEESF_SV_SG_SH_SI_EUlSV_E0_NS1_11comp_targetILNS1_3genE3ELNS1_11target_archE908ELNS1_3gpuE7ELNS1_3repE0EEENS1_38merge_mergepath_config_static_selectorELNS0_4arch9wavefront6targetE1EEEvSH_, .Lfunc_end2392-_ZN7rocprim17ROCPRIM_400000_NS6detail17trampoline_kernelINS0_14default_configENS1_38merge_sort_block_merge_config_selectorIisEEZZNS1_27merge_sort_block_merge_implIS3_N6thrust23THRUST_200600_302600_NS10device_ptrIiEENS9_IsEEjNS1_19radix_merge_compareILb0ELb1EiNS0_19identity_decomposerEEEEE10hipError_tT0_T1_T2_jT3_P12ihipStream_tbPNSt15iterator_traitsISG_E10value_typeEPNSM_ISH_E10value_typeEPSI_NS1_7vsmem_tEENKUlT_SG_SH_SI_E_clISA_PiSB_PsEESF_SV_SG_SH_SI_EUlSV_E0_NS1_11comp_targetILNS1_3genE3ELNS1_11target_archE908ELNS1_3gpuE7ELNS1_3repE0EEENS1_38merge_mergepath_config_static_selectorELNS0_4arch9wavefront6targetE1EEEvSH_
                                        ; -- End function
	.set _ZN7rocprim17ROCPRIM_400000_NS6detail17trampoline_kernelINS0_14default_configENS1_38merge_sort_block_merge_config_selectorIisEEZZNS1_27merge_sort_block_merge_implIS3_N6thrust23THRUST_200600_302600_NS10device_ptrIiEENS9_IsEEjNS1_19radix_merge_compareILb0ELb1EiNS0_19identity_decomposerEEEEE10hipError_tT0_T1_T2_jT3_P12ihipStream_tbPNSt15iterator_traitsISG_E10value_typeEPNSM_ISH_E10value_typeEPSI_NS1_7vsmem_tEENKUlT_SG_SH_SI_E_clISA_PiSB_PsEESF_SV_SG_SH_SI_EUlSV_E0_NS1_11comp_targetILNS1_3genE3ELNS1_11target_archE908ELNS1_3gpuE7ELNS1_3repE0EEENS1_38merge_mergepath_config_static_selectorELNS0_4arch9wavefront6targetE1EEEvSH_.num_vgpr, 0
	.set _ZN7rocprim17ROCPRIM_400000_NS6detail17trampoline_kernelINS0_14default_configENS1_38merge_sort_block_merge_config_selectorIisEEZZNS1_27merge_sort_block_merge_implIS3_N6thrust23THRUST_200600_302600_NS10device_ptrIiEENS9_IsEEjNS1_19radix_merge_compareILb0ELb1EiNS0_19identity_decomposerEEEEE10hipError_tT0_T1_T2_jT3_P12ihipStream_tbPNSt15iterator_traitsISG_E10value_typeEPNSM_ISH_E10value_typeEPSI_NS1_7vsmem_tEENKUlT_SG_SH_SI_E_clISA_PiSB_PsEESF_SV_SG_SH_SI_EUlSV_E0_NS1_11comp_targetILNS1_3genE3ELNS1_11target_archE908ELNS1_3gpuE7ELNS1_3repE0EEENS1_38merge_mergepath_config_static_selectorELNS0_4arch9wavefront6targetE1EEEvSH_.num_agpr, 0
	.set _ZN7rocprim17ROCPRIM_400000_NS6detail17trampoline_kernelINS0_14default_configENS1_38merge_sort_block_merge_config_selectorIisEEZZNS1_27merge_sort_block_merge_implIS3_N6thrust23THRUST_200600_302600_NS10device_ptrIiEENS9_IsEEjNS1_19radix_merge_compareILb0ELb1EiNS0_19identity_decomposerEEEEE10hipError_tT0_T1_T2_jT3_P12ihipStream_tbPNSt15iterator_traitsISG_E10value_typeEPNSM_ISH_E10value_typeEPSI_NS1_7vsmem_tEENKUlT_SG_SH_SI_E_clISA_PiSB_PsEESF_SV_SG_SH_SI_EUlSV_E0_NS1_11comp_targetILNS1_3genE3ELNS1_11target_archE908ELNS1_3gpuE7ELNS1_3repE0EEENS1_38merge_mergepath_config_static_selectorELNS0_4arch9wavefront6targetE1EEEvSH_.numbered_sgpr, 0
	.set _ZN7rocprim17ROCPRIM_400000_NS6detail17trampoline_kernelINS0_14default_configENS1_38merge_sort_block_merge_config_selectorIisEEZZNS1_27merge_sort_block_merge_implIS3_N6thrust23THRUST_200600_302600_NS10device_ptrIiEENS9_IsEEjNS1_19radix_merge_compareILb0ELb1EiNS0_19identity_decomposerEEEEE10hipError_tT0_T1_T2_jT3_P12ihipStream_tbPNSt15iterator_traitsISG_E10value_typeEPNSM_ISH_E10value_typeEPSI_NS1_7vsmem_tEENKUlT_SG_SH_SI_E_clISA_PiSB_PsEESF_SV_SG_SH_SI_EUlSV_E0_NS1_11comp_targetILNS1_3genE3ELNS1_11target_archE908ELNS1_3gpuE7ELNS1_3repE0EEENS1_38merge_mergepath_config_static_selectorELNS0_4arch9wavefront6targetE1EEEvSH_.num_named_barrier, 0
	.set _ZN7rocprim17ROCPRIM_400000_NS6detail17trampoline_kernelINS0_14default_configENS1_38merge_sort_block_merge_config_selectorIisEEZZNS1_27merge_sort_block_merge_implIS3_N6thrust23THRUST_200600_302600_NS10device_ptrIiEENS9_IsEEjNS1_19radix_merge_compareILb0ELb1EiNS0_19identity_decomposerEEEEE10hipError_tT0_T1_T2_jT3_P12ihipStream_tbPNSt15iterator_traitsISG_E10value_typeEPNSM_ISH_E10value_typeEPSI_NS1_7vsmem_tEENKUlT_SG_SH_SI_E_clISA_PiSB_PsEESF_SV_SG_SH_SI_EUlSV_E0_NS1_11comp_targetILNS1_3genE3ELNS1_11target_archE908ELNS1_3gpuE7ELNS1_3repE0EEENS1_38merge_mergepath_config_static_selectorELNS0_4arch9wavefront6targetE1EEEvSH_.private_seg_size, 0
	.set _ZN7rocprim17ROCPRIM_400000_NS6detail17trampoline_kernelINS0_14default_configENS1_38merge_sort_block_merge_config_selectorIisEEZZNS1_27merge_sort_block_merge_implIS3_N6thrust23THRUST_200600_302600_NS10device_ptrIiEENS9_IsEEjNS1_19radix_merge_compareILb0ELb1EiNS0_19identity_decomposerEEEEE10hipError_tT0_T1_T2_jT3_P12ihipStream_tbPNSt15iterator_traitsISG_E10value_typeEPNSM_ISH_E10value_typeEPSI_NS1_7vsmem_tEENKUlT_SG_SH_SI_E_clISA_PiSB_PsEESF_SV_SG_SH_SI_EUlSV_E0_NS1_11comp_targetILNS1_3genE3ELNS1_11target_archE908ELNS1_3gpuE7ELNS1_3repE0EEENS1_38merge_mergepath_config_static_selectorELNS0_4arch9wavefront6targetE1EEEvSH_.uses_vcc, 0
	.set _ZN7rocprim17ROCPRIM_400000_NS6detail17trampoline_kernelINS0_14default_configENS1_38merge_sort_block_merge_config_selectorIisEEZZNS1_27merge_sort_block_merge_implIS3_N6thrust23THRUST_200600_302600_NS10device_ptrIiEENS9_IsEEjNS1_19radix_merge_compareILb0ELb1EiNS0_19identity_decomposerEEEEE10hipError_tT0_T1_T2_jT3_P12ihipStream_tbPNSt15iterator_traitsISG_E10value_typeEPNSM_ISH_E10value_typeEPSI_NS1_7vsmem_tEENKUlT_SG_SH_SI_E_clISA_PiSB_PsEESF_SV_SG_SH_SI_EUlSV_E0_NS1_11comp_targetILNS1_3genE3ELNS1_11target_archE908ELNS1_3gpuE7ELNS1_3repE0EEENS1_38merge_mergepath_config_static_selectorELNS0_4arch9wavefront6targetE1EEEvSH_.uses_flat_scratch, 0
	.set _ZN7rocprim17ROCPRIM_400000_NS6detail17trampoline_kernelINS0_14default_configENS1_38merge_sort_block_merge_config_selectorIisEEZZNS1_27merge_sort_block_merge_implIS3_N6thrust23THRUST_200600_302600_NS10device_ptrIiEENS9_IsEEjNS1_19radix_merge_compareILb0ELb1EiNS0_19identity_decomposerEEEEE10hipError_tT0_T1_T2_jT3_P12ihipStream_tbPNSt15iterator_traitsISG_E10value_typeEPNSM_ISH_E10value_typeEPSI_NS1_7vsmem_tEENKUlT_SG_SH_SI_E_clISA_PiSB_PsEESF_SV_SG_SH_SI_EUlSV_E0_NS1_11comp_targetILNS1_3genE3ELNS1_11target_archE908ELNS1_3gpuE7ELNS1_3repE0EEENS1_38merge_mergepath_config_static_selectorELNS0_4arch9wavefront6targetE1EEEvSH_.has_dyn_sized_stack, 0
	.set _ZN7rocprim17ROCPRIM_400000_NS6detail17trampoline_kernelINS0_14default_configENS1_38merge_sort_block_merge_config_selectorIisEEZZNS1_27merge_sort_block_merge_implIS3_N6thrust23THRUST_200600_302600_NS10device_ptrIiEENS9_IsEEjNS1_19radix_merge_compareILb0ELb1EiNS0_19identity_decomposerEEEEE10hipError_tT0_T1_T2_jT3_P12ihipStream_tbPNSt15iterator_traitsISG_E10value_typeEPNSM_ISH_E10value_typeEPSI_NS1_7vsmem_tEENKUlT_SG_SH_SI_E_clISA_PiSB_PsEESF_SV_SG_SH_SI_EUlSV_E0_NS1_11comp_targetILNS1_3genE3ELNS1_11target_archE908ELNS1_3gpuE7ELNS1_3repE0EEENS1_38merge_mergepath_config_static_selectorELNS0_4arch9wavefront6targetE1EEEvSH_.has_recursion, 0
	.set _ZN7rocprim17ROCPRIM_400000_NS6detail17trampoline_kernelINS0_14default_configENS1_38merge_sort_block_merge_config_selectorIisEEZZNS1_27merge_sort_block_merge_implIS3_N6thrust23THRUST_200600_302600_NS10device_ptrIiEENS9_IsEEjNS1_19radix_merge_compareILb0ELb1EiNS0_19identity_decomposerEEEEE10hipError_tT0_T1_T2_jT3_P12ihipStream_tbPNSt15iterator_traitsISG_E10value_typeEPNSM_ISH_E10value_typeEPSI_NS1_7vsmem_tEENKUlT_SG_SH_SI_E_clISA_PiSB_PsEESF_SV_SG_SH_SI_EUlSV_E0_NS1_11comp_targetILNS1_3genE3ELNS1_11target_archE908ELNS1_3gpuE7ELNS1_3repE0EEENS1_38merge_mergepath_config_static_selectorELNS0_4arch9wavefront6targetE1EEEvSH_.has_indirect_call, 0
	.section	.AMDGPU.csdata,"",@progbits
; Kernel info:
; codeLenInByte = 0
; TotalNumSgprs: 6
; NumVgprs: 0
; NumAgprs: 0
; TotalNumVgprs: 0
; ScratchSize: 0
; MemoryBound: 0
; FloatMode: 240
; IeeeMode: 1
; LDSByteSize: 0 bytes/workgroup (compile time only)
; SGPRBlocks: 0
; VGPRBlocks: 0
; NumSGPRsForWavesPerEU: 6
; NumVGPRsForWavesPerEU: 1
; AccumOffset: 4
; Occupancy: 8
; WaveLimiterHint : 0
; COMPUTE_PGM_RSRC2:SCRATCH_EN: 0
; COMPUTE_PGM_RSRC2:USER_SGPR: 2
; COMPUTE_PGM_RSRC2:TRAP_HANDLER: 0
; COMPUTE_PGM_RSRC2:TGID_X_EN: 1
; COMPUTE_PGM_RSRC2:TGID_Y_EN: 0
; COMPUTE_PGM_RSRC2:TGID_Z_EN: 0
; COMPUTE_PGM_RSRC2:TIDIG_COMP_CNT: 0
; COMPUTE_PGM_RSRC3_GFX90A:ACCUM_OFFSET: 0
; COMPUTE_PGM_RSRC3_GFX90A:TG_SPLIT: 0
	.section	.text._ZN7rocprim17ROCPRIM_400000_NS6detail17trampoline_kernelINS0_14default_configENS1_38merge_sort_block_merge_config_selectorIisEEZZNS1_27merge_sort_block_merge_implIS3_N6thrust23THRUST_200600_302600_NS10device_ptrIiEENS9_IsEEjNS1_19radix_merge_compareILb0ELb1EiNS0_19identity_decomposerEEEEE10hipError_tT0_T1_T2_jT3_P12ihipStream_tbPNSt15iterator_traitsISG_E10value_typeEPNSM_ISH_E10value_typeEPSI_NS1_7vsmem_tEENKUlT_SG_SH_SI_E_clISA_PiSB_PsEESF_SV_SG_SH_SI_EUlSV_E0_NS1_11comp_targetILNS1_3genE2ELNS1_11target_archE906ELNS1_3gpuE6ELNS1_3repE0EEENS1_38merge_mergepath_config_static_selectorELNS0_4arch9wavefront6targetE1EEEvSH_,"axG",@progbits,_ZN7rocprim17ROCPRIM_400000_NS6detail17trampoline_kernelINS0_14default_configENS1_38merge_sort_block_merge_config_selectorIisEEZZNS1_27merge_sort_block_merge_implIS3_N6thrust23THRUST_200600_302600_NS10device_ptrIiEENS9_IsEEjNS1_19radix_merge_compareILb0ELb1EiNS0_19identity_decomposerEEEEE10hipError_tT0_T1_T2_jT3_P12ihipStream_tbPNSt15iterator_traitsISG_E10value_typeEPNSM_ISH_E10value_typeEPSI_NS1_7vsmem_tEENKUlT_SG_SH_SI_E_clISA_PiSB_PsEESF_SV_SG_SH_SI_EUlSV_E0_NS1_11comp_targetILNS1_3genE2ELNS1_11target_archE906ELNS1_3gpuE6ELNS1_3repE0EEENS1_38merge_mergepath_config_static_selectorELNS0_4arch9wavefront6targetE1EEEvSH_,comdat
	.protected	_ZN7rocprim17ROCPRIM_400000_NS6detail17trampoline_kernelINS0_14default_configENS1_38merge_sort_block_merge_config_selectorIisEEZZNS1_27merge_sort_block_merge_implIS3_N6thrust23THRUST_200600_302600_NS10device_ptrIiEENS9_IsEEjNS1_19radix_merge_compareILb0ELb1EiNS0_19identity_decomposerEEEEE10hipError_tT0_T1_T2_jT3_P12ihipStream_tbPNSt15iterator_traitsISG_E10value_typeEPNSM_ISH_E10value_typeEPSI_NS1_7vsmem_tEENKUlT_SG_SH_SI_E_clISA_PiSB_PsEESF_SV_SG_SH_SI_EUlSV_E0_NS1_11comp_targetILNS1_3genE2ELNS1_11target_archE906ELNS1_3gpuE6ELNS1_3repE0EEENS1_38merge_mergepath_config_static_selectorELNS0_4arch9wavefront6targetE1EEEvSH_ ; -- Begin function _ZN7rocprim17ROCPRIM_400000_NS6detail17trampoline_kernelINS0_14default_configENS1_38merge_sort_block_merge_config_selectorIisEEZZNS1_27merge_sort_block_merge_implIS3_N6thrust23THRUST_200600_302600_NS10device_ptrIiEENS9_IsEEjNS1_19radix_merge_compareILb0ELb1EiNS0_19identity_decomposerEEEEE10hipError_tT0_T1_T2_jT3_P12ihipStream_tbPNSt15iterator_traitsISG_E10value_typeEPNSM_ISH_E10value_typeEPSI_NS1_7vsmem_tEENKUlT_SG_SH_SI_E_clISA_PiSB_PsEESF_SV_SG_SH_SI_EUlSV_E0_NS1_11comp_targetILNS1_3genE2ELNS1_11target_archE906ELNS1_3gpuE6ELNS1_3repE0EEENS1_38merge_mergepath_config_static_selectorELNS0_4arch9wavefront6targetE1EEEvSH_
	.globl	_ZN7rocprim17ROCPRIM_400000_NS6detail17trampoline_kernelINS0_14default_configENS1_38merge_sort_block_merge_config_selectorIisEEZZNS1_27merge_sort_block_merge_implIS3_N6thrust23THRUST_200600_302600_NS10device_ptrIiEENS9_IsEEjNS1_19radix_merge_compareILb0ELb1EiNS0_19identity_decomposerEEEEE10hipError_tT0_T1_T2_jT3_P12ihipStream_tbPNSt15iterator_traitsISG_E10value_typeEPNSM_ISH_E10value_typeEPSI_NS1_7vsmem_tEENKUlT_SG_SH_SI_E_clISA_PiSB_PsEESF_SV_SG_SH_SI_EUlSV_E0_NS1_11comp_targetILNS1_3genE2ELNS1_11target_archE906ELNS1_3gpuE6ELNS1_3repE0EEENS1_38merge_mergepath_config_static_selectorELNS0_4arch9wavefront6targetE1EEEvSH_
	.p2align	8
	.type	_ZN7rocprim17ROCPRIM_400000_NS6detail17trampoline_kernelINS0_14default_configENS1_38merge_sort_block_merge_config_selectorIisEEZZNS1_27merge_sort_block_merge_implIS3_N6thrust23THRUST_200600_302600_NS10device_ptrIiEENS9_IsEEjNS1_19radix_merge_compareILb0ELb1EiNS0_19identity_decomposerEEEEE10hipError_tT0_T1_T2_jT3_P12ihipStream_tbPNSt15iterator_traitsISG_E10value_typeEPNSM_ISH_E10value_typeEPSI_NS1_7vsmem_tEENKUlT_SG_SH_SI_E_clISA_PiSB_PsEESF_SV_SG_SH_SI_EUlSV_E0_NS1_11comp_targetILNS1_3genE2ELNS1_11target_archE906ELNS1_3gpuE6ELNS1_3repE0EEENS1_38merge_mergepath_config_static_selectorELNS0_4arch9wavefront6targetE1EEEvSH_,@function
_ZN7rocprim17ROCPRIM_400000_NS6detail17trampoline_kernelINS0_14default_configENS1_38merge_sort_block_merge_config_selectorIisEEZZNS1_27merge_sort_block_merge_implIS3_N6thrust23THRUST_200600_302600_NS10device_ptrIiEENS9_IsEEjNS1_19radix_merge_compareILb0ELb1EiNS0_19identity_decomposerEEEEE10hipError_tT0_T1_T2_jT3_P12ihipStream_tbPNSt15iterator_traitsISG_E10value_typeEPNSM_ISH_E10value_typeEPSI_NS1_7vsmem_tEENKUlT_SG_SH_SI_E_clISA_PiSB_PsEESF_SV_SG_SH_SI_EUlSV_E0_NS1_11comp_targetILNS1_3genE2ELNS1_11target_archE906ELNS1_3gpuE6ELNS1_3repE0EEENS1_38merge_mergepath_config_static_selectorELNS0_4arch9wavefront6targetE1EEEvSH_: ; @_ZN7rocprim17ROCPRIM_400000_NS6detail17trampoline_kernelINS0_14default_configENS1_38merge_sort_block_merge_config_selectorIisEEZZNS1_27merge_sort_block_merge_implIS3_N6thrust23THRUST_200600_302600_NS10device_ptrIiEENS9_IsEEjNS1_19radix_merge_compareILb0ELb1EiNS0_19identity_decomposerEEEEE10hipError_tT0_T1_T2_jT3_P12ihipStream_tbPNSt15iterator_traitsISG_E10value_typeEPNSM_ISH_E10value_typeEPSI_NS1_7vsmem_tEENKUlT_SG_SH_SI_E_clISA_PiSB_PsEESF_SV_SG_SH_SI_EUlSV_E0_NS1_11comp_targetILNS1_3genE2ELNS1_11target_archE906ELNS1_3gpuE6ELNS1_3repE0EEENS1_38merge_mergepath_config_static_selectorELNS0_4arch9wavefront6targetE1EEEvSH_
; %bb.0:
	.section	.rodata,"a",@progbits
	.p2align	6, 0x0
	.amdhsa_kernel _ZN7rocprim17ROCPRIM_400000_NS6detail17trampoline_kernelINS0_14default_configENS1_38merge_sort_block_merge_config_selectorIisEEZZNS1_27merge_sort_block_merge_implIS3_N6thrust23THRUST_200600_302600_NS10device_ptrIiEENS9_IsEEjNS1_19radix_merge_compareILb0ELb1EiNS0_19identity_decomposerEEEEE10hipError_tT0_T1_T2_jT3_P12ihipStream_tbPNSt15iterator_traitsISG_E10value_typeEPNSM_ISH_E10value_typeEPSI_NS1_7vsmem_tEENKUlT_SG_SH_SI_E_clISA_PiSB_PsEESF_SV_SG_SH_SI_EUlSV_E0_NS1_11comp_targetILNS1_3genE2ELNS1_11target_archE906ELNS1_3gpuE6ELNS1_3repE0EEENS1_38merge_mergepath_config_static_selectorELNS0_4arch9wavefront6targetE1EEEvSH_
		.amdhsa_group_segment_fixed_size 0
		.amdhsa_private_segment_fixed_size 0
		.amdhsa_kernarg_size 64
		.amdhsa_user_sgpr_count 2
		.amdhsa_user_sgpr_dispatch_ptr 0
		.amdhsa_user_sgpr_queue_ptr 0
		.amdhsa_user_sgpr_kernarg_segment_ptr 1
		.amdhsa_user_sgpr_dispatch_id 0
		.amdhsa_user_sgpr_kernarg_preload_length 0
		.amdhsa_user_sgpr_kernarg_preload_offset 0
		.amdhsa_user_sgpr_private_segment_size 0
		.amdhsa_uses_dynamic_stack 0
		.amdhsa_enable_private_segment 0
		.amdhsa_system_sgpr_workgroup_id_x 1
		.amdhsa_system_sgpr_workgroup_id_y 0
		.amdhsa_system_sgpr_workgroup_id_z 0
		.amdhsa_system_sgpr_workgroup_info 0
		.amdhsa_system_vgpr_workitem_id 0
		.amdhsa_next_free_vgpr 1
		.amdhsa_next_free_sgpr 0
		.amdhsa_accum_offset 4
		.amdhsa_reserve_vcc 0
		.amdhsa_float_round_mode_32 0
		.amdhsa_float_round_mode_16_64 0
		.amdhsa_float_denorm_mode_32 3
		.amdhsa_float_denorm_mode_16_64 3
		.amdhsa_dx10_clamp 1
		.amdhsa_ieee_mode 1
		.amdhsa_fp16_overflow 0
		.amdhsa_tg_split 0
		.amdhsa_exception_fp_ieee_invalid_op 0
		.amdhsa_exception_fp_denorm_src 0
		.amdhsa_exception_fp_ieee_div_zero 0
		.amdhsa_exception_fp_ieee_overflow 0
		.amdhsa_exception_fp_ieee_underflow 0
		.amdhsa_exception_fp_ieee_inexact 0
		.amdhsa_exception_int_div_zero 0
	.end_amdhsa_kernel
	.section	.text._ZN7rocprim17ROCPRIM_400000_NS6detail17trampoline_kernelINS0_14default_configENS1_38merge_sort_block_merge_config_selectorIisEEZZNS1_27merge_sort_block_merge_implIS3_N6thrust23THRUST_200600_302600_NS10device_ptrIiEENS9_IsEEjNS1_19radix_merge_compareILb0ELb1EiNS0_19identity_decomposerEEEEE10hipError_tT0_T1_T2_jT3_P12ihipStream_tbPNSt15iterator_traitsISG_E10value_typeEPNSM_ISH_E10value_typeEPSI_NS1_7vsmem_tEENKUlT_SG_SH_SI_E_clISA_PiSB_PsEESF_SV_SG_SH_SI_EUlSV_E0_NS1_11comp_targetILNS1_3genE2ELNS1_11target_archE906ELNS1_3gpuE6ELNS1_3repE0EEENS1_38merge_mergepath_config_static_selectorELNS0_4arch9wavefront6targetE1EEEvSH_,"axG",@progbits,_ZN7rocprim17ROCPRIM_400000_NS6detail17trampoline_kernelINS0_14default_configENS1_38merge_sort_block_merge_config_selectorIisEEZZNS1_27merge_sort_block_merge_implIS3_N6thrust23THRUST_200600_302600_NS10device_ptrIiEENS9_IsEEjNS1_19radix_merge_compareILb0ELb1EiNS0_19identity_decomposerEEEEE10hipError_tT0_T1_T2_jT3_P12ihipStream_tbPNSt15iterator_traitsISG_E10value_typeEPNSM_ISH_E10value_typeEPSI_NS1_7vsmem_tEENKUlT_SG_SH_SI_E_clISA_PiSB_PsEESF_SV_SG_SH_SI_EUlSV_E0_NS1_11comp_targetILNS1_3genE2ELNS1_11target_archE906ELNS1_3gpuE6ELNS1_3repE0EEENS1_38merge_mergepath_config_static_selectorELNS0_4arch9wavefront6targetE1EEEvSH_,comdat
.Lfunc_end2393:
	.size	_ZN7rocprim17ROCPRIM_400000_NS6detail17trampoline_kernelINS0_14default_configENS1_38merge_sort_block_merge_config_selectorIisEEZZNS1_27merge_sort_block_merge_implIS3_N6thrust23THRUST_200600_302600_NS10device_ptrIiEENS9_IsEEjNS1_19radix_merge_compareILb0ELb1EiNS0_19identity_decomposerEEEEE10hipError_tT0_T1_T2_jT3_P12ihipStream_tbPNSt15iterator_traitsISG_E10value_typeEPNSM_ISH_E10value_typeEPSI_NS1_7vsmem_tEENKUlT_SG_SH_SI_E_clISA_PiSB_PsEESF_SV_SG_SH_SI_EUlSV_E0_NS1_11comp_targetILNS1_3genE2ELNS1_11target_archE906ELNS1_3gpuE6ELNS1_3repE0EEENS1_38merge_mergepath_config_static_selectorELNS0_4arch9wavefront6targetE1EEEvSH_, .Lfunc_end2393-_ZN7rocprim17ROCPRIM_400000_NS6detail17trampoline_kernelINS0_14default_configENS1_38merge_sort_block_merge_config_selectorIisEEZZNS1_27merge_sort_block_merge_implIS3_N6thrust23THRUST_200600_302600_NS10device_ptrIiEENS9_IsEEjNS1_19radix_merge_compareILb0ELb1EiNS0_19identity_decomposerEEEEE10hipError_tT0_T1_T2_jT3_P12ihipStream_tbPNSt15iterator_traitsISG_E10value_typeEPNSM_ISH_E10value_typeEPSI_NS1_7vsmem_tEENKUlT_SG_SH_SI_E_clISA_PiSB_PsEESF_SV_SG_SH_SI_EUlSV_E0_NS1_11comp_targetILNS1_3genE2ELNS1_11target_archE906ELNS1_3gpuE6ELNS1_3repE0EEENS1_38merge_mergepath_config_static_selectorELNS0_4arch9wavefront6targetE1EEEvSH_
                                        ; -- End function
	.set _ZN7rocprim17ROCPRIM_400000_NS6detail17trampoline_kernelINS0_14default_configENS1_38merge_sort_block_merge_config_selectorIisEEZZNS1_27merge_sort_block_merge_implIS3_N6thrust23THRUST_200600_302600_NS10device_ptrIiEENS9_IsEEjNS1_19radix_merge_compareILb0ELb1EiNS0_19identity_decomposerEEEEE10hipError_tT0_T1_T2_jT3_P12ihipStream_tbPNSt15iterator_traitsISG_E10value_typeEPNSM_ISH_E10value_typeEPSI_NS1_7vsmem_tEENKUlT_SG_SH_SI_E_clISA_PiSB_PsEESF_SV_SG_SH_SI_EUlSV_E0_NS1_11comp_targetILNS1_3genE2ELNS1_11target_archE906ELNS1_3gpuE6ELNS1_3repE0EEENS1_38merge_mergepath_config_static_selectorELNS0_4arch9wavefront6targetE1EEEvSH_.num_vgpr, 0
	.set _ZN7rocprim17ROCPRIM_400000_NS6detail17trampoline_kernelINS0_14default_configENS1_38merge_sort_block_merge_config_selectorIisEEZZNS1_27merge_sort_block_merge_implIS3_N6thrust23THRUST_200600_302600_NS10device_ptrIiEENS9_IsEEjNS1_19radix_merge_compareILb0ELb1EiNS0_19identity_decomposerEEEEE10hipError_tT0_T1_T2_jT3_P12ihipStream_tbPNSt15iterator_traitsISG_E10value_typeEPNSM_ISH_E10value_typeEPSI_NS1_7vsmem_tEENKUlT_SG_SH_SI_E_clISA_PiSB_PsEESF_SV_SG_SH_SI_EUlSV_E0_NS1_11comp_targetILNS1_3genE2ELNS1_11target_archE906ELNS1_3gpuE6ELNS1_3repE0EEENS1_38merge_mergepath_config_static_selectorELNS0_4arch9wavefront6targetE1EEEvSH_.num_agpr, 0
	.set _ZN7rocprim17ROCPRIM_400000_NS6detail17trampoline_kernelINS0_14default_configENS1_38merge_sort_block_merge_config_selectorIisEEZZNS1_27merge_sort_block_merge_implIS3_N6thrust23THRUST_200600_302600_NS10device_ptrIiEENS9_IsEEjNS1_19radix_merge_compareILb0ELb1EiNS0_19identity_decomposerEEEEE10hipError_tT0_T1_T2_jT3_P12ihipStream_tbPNSt15iterator_traitsISG_E10value_typeEPNSM_ISH_E10value_typeEPSI_NS1_7vsmem_tEENKUlT_SG_SH_SI_E_clISA_PiSB_PsEESF_SV_SG_SH_SI_EUlSV_E0_NS1_11comp_targetILNS1_3genE2ELNS1_11target_archE906ELNS1_3gpuE6ELNS1_3repE0EEENS1_38merge_mergepath_config_static_selectorELNS0_4arch9wavefront6targetE1EEEvSH_.numbered_sgpr, 0
	.set _ZN7rocprim17ROCPRIM_400000_NS6detail17trampoline_kernelINS0_14default_configENS1_38merge_sort_block_merge_config_selectorIisEEZZNS1_27merge_sort_block_merge_implIS3_N6thrust23THRUST_200600_302600_NS10device_ptrIiEENS9_IsEEjNS1_19radix_merge_compareILb0ELb1EiNS0_19identity_decomposerEEEEE10hipError_tT0_T1_T2_jT3_P12ihipStream_tbPNSt15iterator_traitsISG_E10value_typeEPNSM_ISH_E10value_typeEPSI_NS1_7vsmem_tEENKUlT_SG_SH_SI_E_clISA_PiSB_PsEESF_SV_SG_SH_SI_EUlSV_E0_NS1_11comp_targetILNS1_3genE2ELNS1_11target_archE906ELNS1_3gpuE6ELNS1_3repE0EEENS1_38merge_mergepath_config_static_selectorELNS0_4arch9wavefront6targetE1EEEvSH_.num_named_barrier, 0
	.set _ZN7rocprim17ROCPRIM_400000_NS6detail17trampoline_kernelINS0_14default_configENS1_38merge_sort_block_merge_config_selectorIisEEZZNS1_27merge_sort_block_merge_implIS3_N6thrust23THRUST_200600_302600_NS10device_ptrIiEENS9_IsEEjNS1_19radix_merge_compareILb0ELb1EiNS0_19identity_decomposerEEEEE10hipError_tT0_T1_T2_jT3_P12ihipStream_tbPNSt15iterator_traitsISG_E10value_typeEPNSM_ISH_E10value_typeEPSI_NS1_7vsmem_tEENKUlT_SG_SH_SI_E_clISA_PiSB_PsEESF_SV_SG_SH_SI_EUlSV_E0_NS1_11comp_targetILNS1_3genE2ELNS1_11target_archE906ELNS1_3gpuE6ELNS1_3repE0EEENS1_38merge_mergepath_config_static_selectorELNS0_4arch9wavefront6targetE1EEEvSH_.private_seg_size, 0
	.set _ZN7rocprim17ROCPRIM_400000_NS6detail17trampoline_kernelINS0_14default_configENS1_38merge_sort_block_merge_config_selectorIisEEZZNS1_27merge_sort_block_merge_implIS3_N6thrust23THRUST_200600_302600_NS10device_ptrIiEENS9_IsEEjNS1_19radix_merge_compareILb0ELb1EiNS0_19identity_decomposerEEEEE10hipError_tT0_T1_T2_jT3_P12ihipStream_tbPNSt15iterator_traitsISG_E10value_typeEPNSM_ISH_E10value_typeEPSI_NS1_7vsmem_tEENKUlT_SG_SH_SI_E_clISA_PiSB_PsEESF_SV_SG_SH_SI_EUlSV_E0_NS1_11comp_targetILNS1_3genE2ELNS1_11target_archE906ELNS1_3gpuE6ELNS1_3repE0EEENS1_38merge_mergepath_config_static_selectorELNS0_4arch9wavefront6targetE1EEEvSH_.uses_vcc, 0
	.set _ZN7rocprim17ROCPRIM_400000_NS6detail17trampoline_kernelINS0_14default_configENS1_38merge_sort_block_merge_config_selectorIisEEZZNS1_27merge_sort_block_merge_implIS3_N6thrust23THRUST_200600_302600_NS10device_ptrIiEENS9_IsEEjNS1_19radix_merge_compareILb0ELb1EiNS0_19identity_decomposerEEEEE10hipError_tT0_T1_T2_jT3_P12ihipStream_tbPNSt15iterator_traitsISG_E10value_typeEPNSM_ISH_E10value_typeEPSI_NS1_7vsmem_tEENKUlT_SG_SH_SI_E_clISA_PiSB_PsEESF_SV_SG_SH_SI_EUlSV_E0_NS1_11comp_targetILNS1_3genE2ELNS1_11target_archE906ELNS1_3gpuE6ELNS1_3repE0EEENS1_38merge_mergepath_config_static_selectorELNS0_4arch9wavefront6targetE1EEEvSH_.uses_flat_scratch, 0
	.set _ZN7rocprim17ROCPRIM_400000_NS6detail17trampoline_kernelINS0_14default_configENS1_38merge_sort_block_merge_config_selectorIisEEZZNS1_27merge_sort_block_merge_implIS3_N6thrust23THRUST_200600_302600_NS10device_ptrIiEENS9_IsEEjNS1_19radix_merge_compareILb0ELb1EiNS0_19identity_decomposerEEEEE10hipError_tT0_T1_T2_jT3_P12ihipStream_tbPNSt15iterator_traitsISG_E10value_typeEPNSM_ISH_E10value_typeEPSI_NS1_7vsmem_tEENKUlT_SG_SH_SI_E_clISA_PiSB_PsEESF_SV_SG_SH_SI_EUlSV_E0_NS1_11comp_targetILNS1_3genE2ELNS1_11target_archE906ELNS1_3gpuE6ELNS1_3repE0EEENS1_38merge_mergepath_config_static_selectorELNS0_4arch9wavefront6targetE1EEEvSH_.has_dyn_sized_stack, 0
	.set _ZN7rocprim17ROCPRIM_400000_NS6detail17trampoline_kernelINS0_14default_configENS1_38merge_sort_block_merge_config_selectorIisEEZZNS1_27merge_sort_block_merge_implIS3_N6thrust23THRUST_200600_302600_NS10device_ptrIiEENS9_IsEEjNS1_19radix_merge_compareILb0ELb1EiNS0_19identity_decomposerEEEEE10hipError_tT0_T1_T2_jT3_P12ihipStream_tbPNSt15iterator_traitsISG_E10value_typeEPNSM_ISH_E10value_typeEPSI_NS1_7vsmem_tEENKUlT_SG_SH_SI_E_clISA_PiSB_PsEESF_SV_SG_SH_SI_EUlSV_E0_NS1_11comp_targetILNS1_3genE2ELNS1_11target_archE906ELNS1_3gpuE6ELNS1_3repE0EEENS1_38merge_mergepath_config_static_selectorELNS0_4arch9wavefront6targetE1EEEvSH_.has_recursion, 0
	.set _ZN7rocprim17ROCPRIM_400000_NS6detail17trampoline_kernelINS0_14default_configENS1_38merge_sort_block_merge_config_selectorIisEEZZNS1_27merge_sort_block_merge_implIS3_N6thrust23THRUST_200600_302600_NS10device_ptrIiEENS9_IsEEjNS1_19radix_merge_compareILb0ELb1EiNS0_19identity_decomposerEEEEE10hipError_tT0_T1_T2_jT3_P12ihipStream_tbPNSt15iterator_traitsISG_E10value_typeEPNSM_ISH_E10value_typeEPSI_NS1_7vsmem_tEENKUlT_SG_SH_SI_E_clISA_PiSB_PsEESF_SV_SG_SH_SI_EUlSV_E0_NS1_11comp_targetILNS1_3genE2ELNS1_11target_archE906ELNS1_3gpuE6ELNS1_3repE0EEENS1_38merge_mergepath_config_static_selectorELNS0_4arch9wavefront6targetE1EEEvSH_.has_indirect_call, 0
	.section	.AMDGPU.csdata,"",@progbits
; Kernel info:
; codeLenInByte = 0
; TotalNumSgprs: 6
; NumVgprs: 0
; NumAgprs: 0
; TotalNumVgprs: 0
; ScratchSize: 0
; MemoryBound: 0
; FloatMode: 240
; IeeeMode: 1
; LDSByteSize: 0 bytes/workgroup (compile time only)
; SGPRBlocks: 0
; VGPRBlocks: 0
; NumSGPRsForWavesPerEU: 6
; NumVGPRsForWavesPerEU: 1
; AccumOffset: 4
; Occupancy: 8
; WaveLimiterHint : 0
; COMPUTE_PGM_RSRC2:SCRATCH_EN: 0
; COMPUTE_PGM_RSRC2:USER_SGPR: 2
; COMPUTE_PGM_RSRC2:TRAP_HANDLER: 0
; COMPUTE_PGM_RSRC2:TGID_X_EN: 1
; COMPUTE_PGM_RSRC2:TGID_Y_EN: 0
; COMPUTE_PGM_RSRC2:TGID_Z_EN: 0
; COMPUTE_PGM_RSRC2:TIDIG_COMP_CNT: 0
; COMPUTE_PGM_RSRC3_GFX90A:ACCUM_OFFSET: 0
; COMPUTE_PGM_RSRC3_GFX90A:TG_SPLIT: 0
	.section	.text._ZN7rocprim17ROCPRIM_400000_NS6detail17trampoline_kernelINS0_14default_configENS1_38merge_sort_block_merge_config_selectorIisEEZZNS1_27merge_sort_block_merge_implIS3_N6thrust23THRUST_200600_302600_NS10device_ptrIiEENS9_IsEEjNS1_19radix_merge_compareILb0ELb1EiNS0_19identity_decomposerEEEEE10hipError_tT0_T1_T2_jT3_P12ihipStream_tbPNSt15iterator_traitsISG_E10value_typeEPNSM_ISH_E10value_typeEPSI_NS1_7vsmem_tEENKUlT_SG_SH_SI_E_clISA_PiSB_PsEESF_SV_SG_SH_SI_EUlSV_E0_NS1_11comp_targetILNS1_3genE9ELNS1_11target_archE1100ELNS1_3gpuE3ELNS1_3repE0EEENS1_38merge_mergepath_config_static_selectorELNS0_4arch9wavefront6targetE1EEEvSH_,"axG",@progbits,_ZN7rocprim17ROCPRIM_400000_NS6detail17trampoline_kernelINS0_14default_configENS1_38merge_sort_block_merge_config_selectorIisEEZZNS1_27merge_sort_block_merge_implIS3_N6thrust23THRUST_200600_302600_NS10device_ptrIiEENS9_IsEEjNS1_19radix_merge_compareILb0ELb1EiNS0_19identity_decomposerEEEEE10hipError_tT0_T1_T2_jT3_P12ihipStream_tbPNSt15iterator_traitsISG_E10value_typeEPNSM_ISH_E10value_typeEPSI_NS1_7vsmem_tEENKUlT_SG_SH_SI_E_clISA_PiSB_PsEESF_SV_SG_SH_SI_EUlSV_E0_NS1_11comp_targetILNS1_3genE9ELNS1_11target_archE1100ELNS1_3gpuE3ELNS1_3repE0EEENS1_38merge_mergepath_config_static_selectorELNS0_4arch9wavefront6targetE1EEEvSH_,comdat
	.protected	_ZN7rocprim17ROCPRIM_400000_NS6detail17trampoline_kernelINS0_14default_configENS1_38merge_sort_block_merge_config_selectorIisEEZZNS1_27merge_sort_block_merge_implIS3_N6thrust23THRUST_200600_302600_NS10device_ptrIiEENS9_IsEEjNS1_19radix_merge_compareILb0ELb1EiNS0_19identity_decomposerEEEEE10hipError_tT0_T1_T2_jT3_P12ihipStream_tbPNSt15iterator_traitsISG_E10value_typeEPNSM_ISH_E10value_typeEPSI_NS1_7vsmem_tEENKUlT_SG_SH_SI_E_clISA_PiSB_PsEESF_SV_SG_SH_SI_EUlSV_E0_NS1_11comp_targetILNS1_3genE9ELNS1_11target_archE1100ELNS1_3gpuE3ELNS1_3repE0EEENS1_38merge_mergepath_config_static_selectorELNS0_4arch9wavefront6targetE1EEEvSH_ ; -- Begin function _ZN7rocprim17ROCPRIM_400000_NS6detail17trampoline_kernelINS0_14default_configENS1_38merge_sort_block_merge_config_selectorIisEEZZNS1_27merge_sort_block_merge_implIS3_N6thrust23THRUST_200600_302600_NS10device_ptrIiEENS9_IsEEjNS1_19radix_merge_compareILb0ELb1EiNS0_19identity_decomposerEEEEE10hipError_tT0_T1_T2_jT3_P12ihipStream_tbPNSt15iterator_traitsISG_E10value_typeEPNSM_ISH_E10value_typeEPSI_NS1_7vsmem_tEENKUlT_SG_SH_SI_E_clISA_PiSB_PsEESF_SV_SG_SH_SI_EUlSV_E0_NS1_11comp_targetILNS1_3genE9ELNS1_11target_archE1100ELNS1_3gpuE3ELNS1_3repE0EEENS1_38merge_mergepath_config_static_selectorELNS0_4arch9wavefront6targetE1EEEvSH_
	.globl	_ZN7rocprim17ROCPRIM_400000_NS6detail17trampoline_kernelINS0_14default_configENS1_38merge_sort_block_merge_config_selectorIisEEZZNS1_27merge_sort_block_merge_implIS3_N6thrust23THRUST_200600_302600_NS10device_ptrIiEENS9_IsEEjNS1_19radix_merge_compareILb0ELb1EiNS0_19identity_decomposerEEEEE10hipError_tT0_T1_T2_jT3_P12ihipStream_tbPNSt15iterator_traitsISG_E10value_typeEPNSM_ISH_E10value_typeEPSI_NS1_7vsmem_tEENKUlT_SG_SH_SI_E_clISA_PiSB_PsEESF_SV_SG_SH_SI_EUlSV_E0_NS1_11comp_targetILNS1_3genE9ELNS1_11target_archE1100ELNS1_3gpuE3ELNS1_3repE0EEENS1_38merge_mergepath_config_static_selectorELNS0_4arch9wavefront6targetE1EEEvSH_
	.p2align	8
	.type	_ZN7rocprim17ROCPRIM_400000_NS6detail17trampoline_kernelINS0_14default_configENS1_38merge_sort_block_merge_config_selectorIisEEZZNS1_27merge_sort_block_merge_implIS3_N6thrust23THRUST_200600_302600_NS10device_ptrIiEENS9_IsEEjNS1_19radix_merge_compareILb0ELb1EiNS0_19identity_decomposerEEEEE10hipError_tT0_T1_T2_jT3_P12ihipStream_tbPNSt15iterator_traitsISG_E10value_typeEPNSM_ISH_E10value_typeEPSI_NS1_7vsmem_tEENKUlT_SG_SH_SI_E_clISA_PiSB_PsEESF_SV_SG_SH_SI_EUlSV_E0_NS1_11comp_targetILNS1_3genE9ELNS1_11target_archE1100ELNS1_3gpuE3ELNS1_3repE0EEENS1_38merge_mergepath_config_static_selectorELNS0_4arch9wavefront6targetE1EEEvSH_,@function
_ZN7rocprim17ROCPRIM_400000_NS6detail17trampoline_kernelINS0_14default_configENS1_38merge_sort_block_merge_config_selectorIisEEZZNS1_27merge_sort_block_merge_implIS3_N6thrust23THRUST_200600_302600_NS10device_ptrIiEENS9_IsEEjNS1_19radix_merge_compareILb0ELb1EiNS0_19identity_decomposerEEEEE10hipError_tT0_T1_T2_jT3_P12ihipStream_tbPNSt15iterator_traitsISG_E10value_typeEPNSM_ISH_E10value_typeEPSI_NS1_7vsmem_tEENKUlT_SG_SH_SI_E_clISA_PiSB_PsEESF_SV_SG_SH_SI_EUlSV_E0_NS1_11comp_targetILNS1_3genE9ELNS1_11target_archE1100ELNS1_3gpuE3ELNS1_3repE0EEENS1_38merge_mergepath_config_static_selectorELNS0_4arch9wavefront6targetE1EEEvSH_: ; @_ZN7rocprim17ROCPRIM_400000_NS6detail17trampoline_kernelINS0_14default_configENS1_38merge_sort_block_merge_config_selectorIisEEZZNS1_27merge_sort_block_merge_implIS3_N6thrust23THRUST_200600_302600_NS10device_ptrIiEENS9_IsEEjNS1_19radix_merge_compareILb0ELb1EiNS0_19identity_decomposerEEEEE10hipError_tT0_T1_T2_jT3_P12ihipStream_tbPNSt15iterator_traitsISG_E10value_typeEPNSM_ISH_E10value_typeEPSI_NS1_7vsmem_tEENKUlT_SG_SH_SI_E_clISA_PiSB_PsEESF_SV_SG_SH_SI_EUlSV_E0_NS1_11comp_targetILNS1_3genE9ELNS1_11target_archE1100ELNS1_3gpuE3ELNS1_3repE0EEENS1_38merge_mergepath_config_static_selectorELNS0_4arch9wavefront6targetE1EEEvSH_
; %bb.0:
	.section	.rodata,"a",@progbits
	.p2align	6, 0x0
	.amdhsa_kernel _ZN7rocprim17ROCPRIM_400000_NS6detail17trampoline_kernelINS0_14default_configENS1_38merge_sort_block_merge_config_selectorIisEEZZNS1_27merge_sort_block_merge_implIS3_N6thrust23THRUST_200600_302600_NS10device_ptrIiEENS9_IsEEjNS1_19radix_merge_compareILb0ELb1EiNS0_19identity_decomposerEEEEE10hipError_tT0_T1_T2_jT3_P12ihipStream_tbPNSt15iterator_traitsISG_E10value_typeEPNSM_ISH_E10value_typeEPSI_NS1_7vsmem_tEENKUlT_SG_SH_SI_E_clISA_PiSB_PsEESF_SV_SG_SH_SI_EUlSV_E0_NS1_11comp_targetILNS1_3genE9ELNS1_11target_archE1100ELNS1_3gpuE3ELNS1_3repE0EEENS1_38merge_mergepath_config_static_selectorELNS0_4arch9wavefront6targetE1EEEvSH_
		.amdhsa_group_segment_fixed_size 0
		.amdhsa_private_segment_fixed_size 0
		.amdhsa_kernarg_size 64
		.amdhsa_user_sgpr_count 2
		.amdhsa_user_sgpr_dispatch_ptr 0
		.amdhsa_user_sgpr_queue_ptr 0
		.amdhsa_user_sgpr_kernarg_segment_ptr 1
		.amdhsa_user_sgpr_dispatch_id 0
		.amdhsa_user_sgpr_kernarg_preload_length 0
		.amdhsa_user_sgpr_kernarg_preload_offset 0
		.amdhsa_user_sgpr_private_segment_size 0
		.amdhsa_uses_dynamic_stack 0
		.amdhsa_enable_private_segment 0
		.amdhsa_system_sgpr_workgroup_id_x 1
		.amdhsa_system_sgpr_workgroup_id_y 0
		.amdhsa_system_sgpr_workgroup_id_z 0
		.amdhsa_system_sgpr_workgroup_info 0
		.amdhsa_system_vgpr_workitem_id 0
		.amdhsa_next_free_vgpr 1
		.amdhsa_next_free_sgpr 0
		.amdhsa_accum_offset 4
		.amdhsa_reserve_vcc 0
		.amdhsa_float_round_mode_32 0
		.amdhsa_float_round_mode_16_64 0
		.amdhsa_float_denorm_mode_32 3
		.amdhsa_float_denorm_mode_16_64 3
		.amdhsa_dx10_clamp 1
		.amdhsa_ieee_mode 1
		.amdhsa_fp16_overflow 0
		.amdhsa_tg_split 0
		.amdhsa_exception_fp_ieee_invalid_op 0
		.amdhsa_exception_fp_denorm_src 0
		.amdhsa_exception_fp_ieee_div_zero 0
		.amdhsa_exception_fp_ieee_overflow 0
		.amdhsa_exception_fp_ieee_underflow 0
		.amdhsa_exception_fp_ieee_inexact 0
		.amdhsa_exception_int_div_zero 0
	.end_amdhsa_kernel
	.section	.text._ZN7rocprim17ROCPRIM_400000_NS6detail17trampoline_kernelINS0_14default_configENS1_38merge_sort_block_merge_config_selectorIisEEZZNS1_27merge_sort_block_merge_implIS3_N6thrust23THRUST_200600_302600_NS10device_ptrIiEENS9_IsEEjNS1_19radix_merge_compareILb0ELb1EiNS0_19identity_decomposerEEEEE10hipError_tT0_T1_T2_jT3_P12ihipStream_tbPNSt15iterator_traitsISG_E10value_typeEPNSM_ISH_E10value_typeEPSI_NS1_7vsmem_tEENKUlT_SG_SH_SI_E_clISA_PiSB_PsEESF_SV_SG_SH_SI_EUlSV_E0_NS1_11comp_targetILNS1_3genE9ELNS1_11target_archE1100ELNS1_3gpuE3ELNS1_3repE0EEENS1_38merge_mergepath_config_static_selectorELNS0_4arch9wavefront6targetE1EEEvSH_,"axG",@progbits,_ZN7rocprim17ROCPRIM_400000_NS6detail17trampoline_kernelINS0_14default_configENS1_38merge_sort_block_merge_config_selectorIisEEZZNS1_27merge_sort_block_merge_implIS3_N6thrust23THRUST_200600_302600_NS10device_ptrIiEENS9_IsEEjNS1_19radix_merge_compareILb0ELb1EiNS0_19identity_decomposerEEEEE10hipError_tT0_T1_T2_jT3_P12ihipStream_tbPNSt15iterator_traitsISG_E10value_typeEPNSM_ISH_E10value_typeEPSI_NS1_7vsmem_tEENKUlT_SG_SH_SI_E_clISA_PiSB_PsEESF_SV_SG_SH_SI_EUlSV_E0_NS1_11comp_targetILNS1_3genE9ELNS1_11target_archE1100ELNS1_3gpuE3ELNS1_3repE0EEENS1_38merge_mergepath_config_static_selectorELNS0_4arch9wavefront6targetE1EEEvSH_,comdat
.Lfunc_end2394:
	.size	_ZN7rocprim17ROCPRIM_400000_NS6detail17trampoline_kernelINS0_14default_configENS1_38merge_sort_block_merge_config_selectorIisEEZZNS1_27merge_sort_block_merge_implIS3_N6thrust23THRUST_200600_302600_NS10device_ptrIiEENS9_IsEEjNS1_19radix_merge_compareILb0ELb1EiNS0_19identity_decomposerEEEEE10hipError_tT0_T1_T2_jT3_P12ihipStream_tbPNSt15iterator_traitsISG_E10value_typeEPNSM_ISH_E10value_typeEPSI_NS1_7vsmem_tEENKUlT_SG_SH_SI_E_clISA_PiSB_PsEESF_SV_SG_SH_SI_EUlSV_E0_NS1_11comp_targetILNS1_3genE9ELNS1_11target_archE1100ELNS1_3gpuE3ELNS1_3repE0EEENS1_38merge_mergepath_config_static_selectorELNS0_4arch9wavefront6targetE1EEEvSH_, .Lfunc_end2394-_ZN7rocprim17ROCPRIM_400000_NS6detail17trampoline_kernelINS0_14default_configENS1_38merge_sort_block_merge_config_selectorIisEEZZNS1_27merge_sort_block_merge_implIS3_N6thrust23THRUST_200600_302600_NS10device_ptrIiEENS9_IsEEjNS1_19radix_merge_compareILb0ELb1EiNS0_19identity_decomposerEEEEE10hipError_tT0_T1_T2_jT3_P12ihipStream_tbPNSt15iterator_traitsISG_E10value_typeEPNSM_ISH_E10value_typeEPSI_NS1_7vsmem_tEENKUlT_SG_SH_SI_E_clISA_PiSB_PsEESF_SV_SG_SH_SI_EUlSV_E0_NS1_11comp_targetILNS1_3genE9ELNS1_11target_archE1100ELNS1_3gpuE3ELNS1_3repE0EEENS1_38merge_mergepath_config_static_selectorELNS0_4arch9wavefront6targetE1EEEvSH_
                                        ; -- End function
	.set _ZN7rocprim17ROCPRIM_400000_NS6detail17trampoline_kernelINS0_14default_configENS1_38merge_sort_block_merge_config_selectorIisEEZZNS1_27merge_sort_block_merge_implIS3_N6thrust23THRUST_200600_302600_NS10device_ptrIiEENS9_IsEEjNS1_19radix_merge_compareILb0ELb1EiNS0_19identity_decomposerEEEEE10hipError_tT0_T1_T2_jT3_P12ihipStream_tbPNSt15iterator_traitsISG_E10value_typeEPNSM_ISH_E10value_typeEPSI_NS1_7vsmem_tEENKUlT_SG_SH_SI_E_clISA_PiSB_PsEESF_SV_SG_SH_SI_EUlSV_E0_NS1_11comp_targetILNS1_3genE9ELNS1_11target_archE1100ELNS1_3gpuE3ELNS1_3repE0EEENS1_38merge_mergepath_config_static_selectorELNS0_4arch9wavefront6targetE1EEEvSH_.num_vgpr, 0
	.set _ZN7rocprim17ROCPRIM_400000_NS6detail17trampoline_kernelINS0_14default_configENS1_38merge_sort_block_merge_config_selectorIisEEZZNS1_27merge_sort_block_merge_implIS3_N6thrust23THRUST_200600_302600_NS10device_ptrIiEENS9_IsEEjNS1_19radix_merge_compareILb0ELb1EiNS0_19identity_decomposerEEEEE10hipError_tT0_T1_T2_jT3_P12ihipStream_tbPNSt15iterator_traitsISG_E10value_typeEPNSM_ISH_E10value_typeEPSI_NS1_7vsmem_tEENKUlT_SG_SH_SI_E_clISA_PiSB_PsEESF_SV_SG_SH_SI_EUlSV_E0_NS1_11comp_targetILNS1_3genE9ELNS1_11target_archE1100ELNS1_3gpuE3ELNS1_3repE0EEENS1_38merge_mergepath_config_static_selectorELNS0_4arch9wavefront6targetE1EEEvSH_.num_agpr, 0
	.set _ZN7rocprim17ROCPRIM_400000_NS6detail17trampoline_kernelINS0_14default_configENS1_38merge_sort_block_merge_config_selectorIisEEZZNS1_27merge_sort_block_merge_implIS3_N6thrust23THRUST_200600_302600_NS10device_ptrIiEENS9_IsEEjNS1_19radix_merge_compareILb0ELb1EiNS0_19identity_decomposerEEEEE10hipError_tT0_T1_T2_jT3_P12ihipStream_tbPNSt15iterator_traitsISG_E10value_typeEPNSM_ISH_E10value_typeEPSI_NS1_7vsmem_tEENKUlT_SG_SH_SI_E_clISA_PiSB_PsEESF_SV_SG_SH_SI_EUlSV_E0_NS1_11comp_targetILNS1_3genE9ELNS1_11target_archE1100ELNS1_3gpuE3ELNS1_3repE0EEENS1_38merge_mergepath_config_static_selectorELNS0_4arch9wavefront6targetE1EEEvSH_.numbered_sgpr, 0
	.set _ZN7rocprim17ROCPRIM_400000_NS6detail17trampoline_kernelINS0_14default_configENS1_38merge_sort_block_merge_config_selectorIisEEZZNS1_27merge_sort_block_merge_implIS3_N6thrust23THRUST_200600_302600_NS10device_ptrIiEENS9_IsEEjNS1_19radix_merge_compareILb0ELb1EiNS0_19identity_decomposerEEEEE10hipError_tT0_T1_T2_jT3_P12ihipStream_tbPNSt15iterator_traitsISG_E10value_typeEPNSM_ISH_E10value_typeEPSI_NS1_7vsmem_tEENKUlT_SG_SH_SI_E_clISA_PiSB_PsEESF_SV_SG_SH_SI_EUlSV_E0_NS1_11comp_targetILNS1_3genE9ELNS1_11target_archE1100ELNS1_3gpuE3ELNS1_3repE0EEENS1_38merge_mergepath_config_static_selectorELNS0_4arch9wavefront6targetE1EEEvSH_.num_named_barrier, 0
	.set _ZN7rocprim17ROCPRIM_400000_NS6detail17trampoline_kernelINS0_14default_configENS1_38merge_sort_block_merge_config_selectorIisEEZZNS1_27merge_sort_block_merge_implIS3_N6thrust23THRUST_200600_302600_NS10device_ptrIiEENS9_IsEEjNS1_19radix_merge_compareILb0ELb1EiNS0_19identity_decomposerEEEEE10hipError_tT0_T1_T2_jT3_P12ihipStream_tbPNSt15iterator_traitsISG_E10value_typeEPNSM_ISH_E10value_typeEPSI_NS1_7vsmem_tEENKUlT_SG_SH_SI_E_clISA_PiSB_PsEESF_SV_SG_SH_SI_EUlSV_E0_NS1_11comp_targetILNS1_3genE9ELNS1_11target_archE1100ELNS1_3gpuE3ELNS1_3repE0EEENS1_38merge_mergepath_config_static_selectorELNS0_4arch9wavefront6targetE1EEEvSH_.private_seg_size, 0
	.set _ZN7rocprim17ROCPRIM_400000_NS6detail17trampoline_kernelINS0_14default_configENS1_38merge_sort_block_merge_config_selectorIisEEZZNS1_27merge_sort_block_merge_implIS3_N6thrust23THRUST_200600_302600_NS10device_ptrIiEENS9_IsEEjNS1_19radix_merge_compareILb0ELb1EiNS0_19identity_decomposerEEEEE10hipError_tT0_T1_T2_jT3_P12ihipStream_tbPNSt15iterator_traitsISG_E10value_typeEPNSM_ISH_E10value_typeEPSI_NS1_7vsmem_tEENKUlT_SG_SH_SI_E_clISA_PiSB_PsEESF_SV_SG_SH_SI_EUlSV_E0_NS1_11comp_targetILNS1_3genE9ELNS1_11target_archE1100ELNS1_3gpuE3ELNS1_3repE0EEENS1_38merge_mergepath_config_static_selectorELNS0_4arch9wavefront6targetE1EEEvSH_.uses_vcc, 0
	.set _ZN7rocprim17ROCPRIM_400000_NS6detail17trampoline_kernelINS0_14default_configENS1_38merge_sort_block_merge_config_selectorIisEEZZNS1_27merge_sort_block_merge_implIS3_N6thrust23THRUST_200600_302600_NS10device_ptrIiEENS9_IsEEjNS1_19radix_merge_compareILb0ELb1EiNS0_19identity_decomposerEEEEE10hipError_tT0_T1_T2_jT3_P12ihipStream_tbPNSt15iterator_traitsISG_E10value_typeEPNSM_ISH_E10value_typeEPSI_NS1_7vsmem_tEENKUlT_SG_SH_SI_E_clISA_PiSB_PsEESF_SV_SG_SH_SI_EUlSV_E0_NS1_11comp_targetILNS1_3genE9ELNS1_11target_archE1100ELNS1_3gpuE3ELNS1_3repE0EEENS1_38merge_mergepath_config_static_selectorELNS0_4arch9wavefront6targetE1EEEvSH_.uses_flat_scratch, 0
	.set _ZN7rocprim17ROCPRIM_400000_NS6detail17trampoline_kernelINS0_14default_configENS1_38merge_sort_block_merge_config_selectorIisEEZZNS1_27merge_sort_block_merge_implIS3_N6thrust23THRUST_200600_302600_NS10device_ptrIiEENS9_IsEEjNS1_19radix_merge_compareILb0ELb1EiNS0_19identity_decomposerEEEEE10hipError_tT0_T1_T2_jT3_P12ihipStream_tbPNSt15iterator_traitsISG_E10value_typeEPNSM_ISH_E10value_typeEPSI_NS1_7vsmem_tEENKUlT_SG_SH_SI_E_clISA_PiSB_PsEESF_SV_SG_SH_SI_EUlSV_E0_NS1_11comp_targetILNS1_3genE9ELNS1_11target_archE1100ELNS1_3gpuE3ELNS1_3repE0EEENS1_38merge_mergepath_config_static_selectorELNS0_4arch9wavefront6targetE1EEEvSH_.has_dyn_sized_stack, 0
	.set _ZN7rocprim17ROCPRIM_400000_NS6detail17trampoline_kernelINS0_14default_configENS1_38merge_sort_block_merge_config_selectorIisEEZZNS1_27merge_sort_block_merge_implIS3_N6thrust23THRUST_200600_302600_NS10device_ptrIiEENS9_IsEEjNS1_19radix_merge_compareILb0ELb1EiNS0_19identity_decomposerEEEEE10hipError_tT0_T1_T2_jT3_P12ihipStream_tbPNSt15iterator_traitsISG_E10value_typeEPNSM_ISH_E10value_typeEPSI_NS1_7vsmem_tEENKUlT_SG_SH_SI_E_clISA_PiSB_PsEESF_SV_SG_SH_SI_EUlSV_E0_NS1_11comp_targetILNS1_3genE9ELNS1_11target_archE1100ELNS1_3gpuE3ELNS1_3repE0EEENS1_38merge_mergepath_config_static_selectorELNS0_4arch9wavefront6targetE1EEEvSH_.has_recursion, 0
	.set _ZN7rocprim17ROCPRIM_400000_NS6detail17trampoline_kernelINS0_14default_configENS1_38merge_sort_block_merge_config_selectorIisEEZZNS1_27merge_sort_block_merge_implIS3_N6thrust23THRUST_200600_302600_NS10device_ptrIiEENS9_IsEEjNS1_19radix_merge_compareILb0ELb1EiNS0_19identity_decomposerEEEEE10hipError_tT0_T1_T2_jT3_P12ihipStream_tbPNSt15iterator_traitsISG_E10value_typeEPNSM_ISH_E10value_typeEPSI_NS1_7vsmem_tEENKUlT_SG_SH_SI_E_clISA_PiSB_PsEESF_SV_SG_SH_SI_EUlSV_E0_NS1_11comp_targetILNS1_3genE9ELNS1_11target_archE1100ELNS1_3gpuE3ELNS1_3repE0EEENS1_38merge_mergepath_config_static_selectorELNS0_4arch9wavefront6targetE1EEEvSH_.has_indirect_call, 0
	.section	.AMDGPU.csdata,"",@progbits
; Kernel info:
; codeLenInByte = 0
; TotalNumSgprs: 6
; NumVgprs: 0
; NumAgprs: 0
; TotalNumVgprs: 0
; ScratchSize: 0
; MemoryBound: 0
; FloatMode: 240
; IeeeMode: 1
; LDSByteSize: 0 bytes/workgroup (compile time only)
; SGPRBlocks: 0
; VGPRBlocks: 0
; NumSGPRsForWavesPerEU: 6
; NumVGPRsForWavesPerEU: 1
; AccumOffset: 4
; Occupancy: 8
; WaveLimiterHint : 0
; COMPUTE_PGM_RSRC2:SCRATCH_EN: 0
; COMPUTE_PGM_RSRC2:USER_SGPR: 2
; COMPUTE_PGM_RSRC2:TRAP_HANDLER: 0
; COMPUTE_PGM_RSRC2:TGID_X_EN: 1
; COMPUTE_PGM_RSRC2:TGID_Y_EN: 0
; COMPUTE_PGM_RSRC2:TGID_Z_EN: 0
; COMPUTE_PGM_RSRC2:TIDIG_COMP_CNT: 0
; COMPUTE_PGM_RSRC3_GFX90A:ACCUM_OFFSET: 0
; COMPUTE_PGM_RSRC3_GFX90A:TG_SPLIT: 0
	.section	.text._ZN7rocprim17ROCPRIM_400000_NS6detail17trampoline_kernelINS0_14default_configENS1_38merge_sort_block_merge_config_selectorIisEEZZNS1_27merge_sort_block_merge_implIS3_N6thrust23THRUST_200600_302600_NS10device_ptrIiEENS9_IsEEjNS1_19radix_merge_compareILb0ELb1EiNS0_19identity_decomposerEEEEE10hipError_tT0_T1_T2_jT3_P12ihipStream_tbPNSt15iterator_traitsISG_E10value_typeEPNSM_ISH_E10value_typeEPSI_NS1_7vsmem_tEENKUlT_SG_SH_SI_E_clISA_PiSB_PsEESF_SV_SG_SH_SI_EUlSV_E0_NS1_11comp_targetILNS1_3genE8ELNS1_11target_archE1030ELNS1_3gpuE2ELNS1_3repE0EEENS1_38merge_mergepath_config_static_selectorELNS0_4arch9wavefront6targetE1EEEvSH_,"axG",@progbits,_ZN7rocprim17ROCPRIM_400000_NS6detail17trampoline_kernelINS0_14default_configENS1_38merge_sort_block_merge_config_selectorIisEEZZNS1_27merge_sort_block_merge_implIS3_N6thrust23THRUST_200600_302600_NS10device_ptrIiEENS9_IsEEjNS1_19radix_merge_compareILb0ELb1EiNS0_19identity_decomposerEEEEE10hipError_tT0_T1_T2_jT3_P12ihipStream_tbPNSt15iterator_traitsISG_E10value_typeEPNSM_ISH_E10value_typeEPSI_NS1_7vsmem_tEENKUlT_SG_SH_SI_E_clISA_PiSB_PsEESF_SV_SG_SH_SI_EUlSV_E0_NS1_11comp_targetILNS1_3genE8ELNS1_11target_archE1030ELNS1_3gpuE2ELNS1_3repE0EEENS1_38merge_mergepath_config_static_selectorELNS0_4arch9wavefront6targetE1EEEvSH_,comdat
	.protected	_ZN7rocprim17ROCPRIM_400000_NS6detail17trampoline_kernelINS0_14default_configENS1_38merge_sort_block_merge_config_selectorIisEEZZNS1_27merge_sort_block_merge_implIS3_N6thrust23THRUST_200600_302600_NS10device_ptrIiEENS9_IsEEjNS1_19radix_merge_compareILb0ELb1EiNS0_19identity_decomposerEEEEE10hipError_tT0_T1_T2_jT3_P12ihipStream_tbPNSt15iterator_traitsISG_E10value_typeEPNSM_ISH_E10value_typeEPSI_NS1_7vsmem_tEENKUlT_SG_SH_SI_E_clISA_PiSB_PsEESF_SV_SG_SH_SI_EUlSV_E0_NS1_11comp_targetILNS1_3genE8ELNS1_11target_archE1030ELNS1_3gpuE2ELNS1_3repE0EEENS1_38merge_mergepath_config_static_selectorELNS0_4arch9wavefront6targetE1EEEvSH_ ; -- Begin function _ZN7rocprim17ROCPRIM_400000_NS6detail17trampoline_kernelINS0_14default_configENS1_38merge_sort_block_merge_config_selectorIisEEZZNS1_27merge_sort_block_merge_implIS3_N6thrust23THRUST_200600_302600_NS10device_ptrIiEENS9_IsEEjNS1_19radix_merge_compareILb0ELb1EiNS0_19identity_decomposerEEEEE10hipError_tT0_T1_T2_jT3_P12ihipStream_tbPNSt15iterator_traitsISG_E10value_typeEPNSM_ISH_E10value_typeEPSI_NS1_7vsmem_tEENKUlT_SG_SH_SI_E_clISA_PiSB_PsEESF_SV_SG_SH_SI_EUlSV_E0_NS1_11comp_targetILNS1_3genE8ELNS1_11target_archE1030ELNS1_3gpuE2ELNS1_3repE0EEENS1_38merge_mergepath_config_static_selectorELNS0_4arch9wavefront6targetE1EEEvSH_
	.globl	_ZN7rocprim17ROCPRIM_400000_NS6detail17trampoline_kernelINS0_14default_configENS1_38merge_sort_block_merge_config_selectorIisEEZZNS1_27merge_sort_block_merge_implIS3_N6thrust23THRUST_200600_302600_NS10device_ptrIiEENS9_IsEEjNS1_19radix_merge_compareILb0ELb1EiNS0_19identity_decomposerEEEEE10hipError_tT0_T1_T2_jT3_P12ihipStream_tbPNSt15iterator_traitsISG_E10value_typeEPNSM_ISH_E10value_typeEPSI_NS1_7vsmem_tEENKUlT_SG_SH_SI_E_clISA_PiSB_PsEESF_SV_SG_SH_SI_EUlSV_E0_NS1_11comp_targetILNS1_3genE8ELNS1_11target_archE1030ELNS1_3gpuE2ELNS1_3repE0EEENS1_38merge_mergepath_config_static_selectorELNS0_4arch9wavefront6targetE1EEEvSH_
	.p2align	8
	.type	_ZN7rocprim17ROCPRIM_400000_NS6detail17trampoline_kernelINS0_14default_configENS1_38merge_sort_block_merge_config_selectorIisEEZZNS1_27merge_sort_block_merge_implIS3_N6thrust23THRUST_200600_302600_NS10device_ptrIiEENS9_IsEEjNS1_19radix_merge_compareILb0ELb1EiNS0_19identity_decomposerEEEEE10hipError_tT0_T1_T2_jT3_P12ihipStream_tbPNSt15iterator_traitsISG_E10value_typeEPNSM_ISH_E10value_typeEPSI_NS1_7vsmem_tEENKUlT_SG_SH_SI_E_clISA_PiSB_PsEESF_SV_SG_SH_SI_EUlSV_E0_NS1_11comp_targetILNS1_3genE8ELNS1_11target_archE1030ELNS1_3gpuE2ELNS1_3repE0EEENS1_38merge_mergepath_config_static_selectorELNS0_4arch9wavefront6targetE1EEEvSH_,@function
_ZN7rocprim17ROCPRIM_400000_NS6detail17trampoline_kernelINS0_14default_configENS1_38merge_sort_block_merge_config_selectorIisEEZZNS1_27merge_sort_block_merge_implIS3_N6thrust23THRUST_200600_302600_NS10device_ptrIiEENS9_IsEEjNS1_19radix_merge_compareILb0ELb1EiNS0_19identity_decomposerEEEEE10hipError_tT0_T1_T2_jT3_P12ihipStream_tbPNSt15iterator_traitsISG_E10value_typeEPNSM_ISH_E10value_typeEPSI_NS1_7vsmem_tEENKUlT_SG_SH_SI_E_clISA_PiSB_PsEESF_SV_SG_SH_SI_EUlSV_E0_NS1_11comp_targetILNS1_3genE8ELNS1_11target_archE1030ELNS1_3gpuE2ELNS1_3repE0EEENS1_38merge_mergepath_config_static_selectorELNS0_4arch9wavefront6targetE1EEEvSH_: ; @_ZN7rocprim17ROCPRIM_400000_NS6detail17trampoline_kernelINS0_14default_configENS1_38merge_sort_block_merge_config_selectorIisEEZZNS1_27merge_sort_block_merge_implIS3_N6thrust23THRUST_200600_302600_NS10device_ptrIiEENS9_IsEEjNS1_19radix_merge_compareILb0ELb1EiNS0_19identity_decomposerEEEEE10hipError_tT0_T1_T2_jT3_P12ihipStream_tbPNSt15iterator_traitsISG_E10value_typeEPNSM_ISH_E10value_typeEPSI_NS1_7vsmem_tEENKUlT_SG_SH_SI_E_clISA_PiSB_PsEESF_SV_SG_SH_SI_EUlSV_E0_NS1_11comp_targetILNS1_3genE8ELNS1_11target_archE1030ELNS1_3gpuE2ELNS1_3repE0EEENS1_38merge_mergepath_config_static_selectorELNS0_4arch9wavefront6targetE1EEEvSH_
; %bb.0:
	.section	.rodata,"a",@progbits
	.p2align	6, 0x0
	.amdhsa_kernel _ZN7rocprim17ROCPRIM_400000_NS6detail17trampoline_kernelINS0_14default_configENS1_38merge_sort_block_merge_config_selectorIisEEZZNS1_27merge_sort_block_merge_implIS3_N6thrust23THRUST_200600_302600_NS10device_ptrIiEENS9_IsEEjNS1_19radix_merge_compareILb0ELb1EiNS0_19identity_decomposerEEEEE10hipError_tT0_T1_T2_jT3_P12ihipStream_tbPNSt15iterator_traitsISG_E10value_typeEPNSM_ISH_E10value_typeEPSI_NS1_7vsmem_tEENKUlT_SG_SH_SI_E_clISA_PiSB_PsEESF_SV_SG_SH_SI_EUlSV_E0_NS1_11comp_targetILNS1_3genE8ELNS1_11target_archE1030ELNS1_3gpuE2ELNS1_3repE0EEENS1_38merge_mergepath_config_static_selectorELNS0_4arch9wavefront6targetE1EEEvSH_
		.amdhsa_group_segment_fixed_size 0
		.amdhsa_private_segment_fixed_size 0
		.amdhsa_kernarg_size 64
		.amdhsa_user_sgpr_count 2
		.amdhsa_user_sgpr_dispatch_ptr 0
		.amdhsa_user_sgpr_queue_ptr 0
		.amdhsa_user_sgpr_kernarg_segment_ptr 1
		.amdhsa_user_sgpr_dispatch_id 0
		.amdhsa_user_sgpr_kernarg_preload_length 0
		.amdhsa_user_sgpr_kernarg_preload_offset 0
		.amdhsa_user_sgpr_private_segment_size 0
		.amdhsa_uses_dynamic_stack 0
		.amdhsa_enable_private_segment 0
		.amdhsa_system_sgpr_workgroup_id_x 1
		.amdhsa_system_sgpr_workgroup_id_y 0
		.amdhsa_system_sgpr_workgroup_id_z 0
		.amdhsa_system_sgpr_workgroup_info 0
		.amdhsa_system_vgpr_workitem_id 0
		.amdhsa_next_free_vgpr 1
		.amdhsa_next_free_sgpr 0
		.amdhsa_accum_offset 4
		.amdhsa_reserve_vcc 0
		.amdhsa_float_round_mode_32 0
		.amdhsa_float_round_mode_16_64 0
		.amdhsa_float_denorm_mode_32 3
		.amdhsa_float_denorm_mode_16_64 3
		.amdhsa_dx10_clamp 1
		.amdhsa_ieee_mode 1
		.amdhsa_fp16_overflow 0
		.amdhsa_tg_split 0
		.amdhsa_exception_fp_ieee_invalid_op 0
		.amdhsa_exception_fp_denorm_src 0
		.amdhsa_exception_fp_ieee_div_zero 0
		.amdhsa_exception_fp_ieee_overflow 0
		.amdhsa_exception_fp_ieee_underflow 0
		.amdhsa_exception_fp_ieee_inexact 0
		.amdhsa_exception_int_div_zero 0
	.end_amdhsa_kernel
	.section	.text._ZN7rocprim17ROCPRIM_400000_NS6detail17trampoline_kernelINS0_14default_configENS1_38merge_sort_block_merge_config_selectorIisEEZZNS1_27merge_sort_block_merge_implIS3_N6thrust23THRUST_200600_302600_NS10device_ptrIiEENS9_IsEEjNS1_19radix_merge_compareILb0ELb1EiNS0_19identity_decomposerEEEEE10hipError_tT0_T1_T2_jT3_P12ihipStream_tbPNSt15iterator_traitsISG_E10value_typeEPNSM_ISH_E10value_typeEPSI_NS1_7vsmem_tEENKUlT_SG_SH_SI_E_clISA_PiSB_PsEESF_SV_SG_SH_SI_EUlSV_E0_NS1_11comp_targetILNS1_3genE8ELNS1_11target_archE1030ELNS1_3gpuE2ELNS1_3repE0EEENS1_38merge_mergepath_config_static_selectorELNS0_4arch9wavefront6targetE1EEEvSH_,"axG",@progbits,_ZN7rocprim17ROCPRIM_400000_NS6detail17trampoline_kernelINS0_14default_configENS1_38merge_sort_block_merge_config_selectorIisEEZZNS1_27merge_sort_block_merge_implIS3_N6thrust23THRUST_200600_302600_NS10device_ptrIiEENS9_IsEEjNS1_19radix_merge_compareILb0ELb1EiNS0_19identity_decomposerEEEEE10hipError_tT0_T1_T2_jT3_P12ihipStream_tbPNSt15iterator_traitsISG_E10value_typeEPNSM_ISH_E10value_typeEPSI_NS1_7vsmem_tEENKUlT_SG_SH_SI_E_clISA_PiSB_PsEESF_SV_SG_SH_SI_EUlSV_E0_NS1_11comp_targetILNS1_3genE8ELNS1_11target_archE1030ELNS1_3gpuE2ELNS1_3repE0EEENS1_38merge_mergepath_config_static_selectorELNS0_4arch9wavefront6targetE1EEEvSH_,comdat
.Lfunc_end2395:
	.size	_ZN7rocprim17ROCPRIM_400000_NS6detail17trampoline_kernelINS0_14default_configENS1_38merge_sort_block_merge_config_selectorIisEEZZNS1_27merge_sort_block_merge_implIS3_N6thrust23THRUST_200600_302600_NS10device_ptrIiEENS9_IsEEjNS1_19radix_merge_compareILb0ELb1EiNS0_19identity_decomposerEEEEE10hipError_tT0_T1_T2_jT3_P12ihipStream_tbPNSt15iterator_traitsISG_E10value_typeEPNSM_ISH_E10value_typeEPSI_NS1_7vsmem_tEENKUlT_SG_SH_SI_E_clISA_PiSB_PsEESF_SV_SG_SH_SI_EUlSV_E0_NS1_11comp_targetILNS1_3genE8ELNS1_11target_archE1030ELNS1_3gpuE2ELNS1_3repE0EEENS1_38merge_mergepath_config_static_selectorELNS0_4arch9wavefront6targetE1EEEvSH_, .Lfunc_end2395-_ZN7rocprim17ROCPRIM_400000_NS6detail17trampoline_kernelINS0_14default_configENS1_38merge_sort_block_merge_config_selectorIisEEZZNS1_27merge_sort_block_merge_implIS3_N6thrust23THRUST_200600_302600_NS10device_ptrIiEENS9_IsEEjNS1_19radix_merge_compareILb0ELb1EiNS0_19identity_decomposerEEEEE10hipError_tT0_T1_T2_jT3_P12ihipStream_tbPNSt15iterator_traitsISG_E10value_typeEPNSM_ISH_E10value_typeEPSI_NS1_7vsmem_tEENKUlT_SG_SH_SI_E_clISA_PiSB_PsEESF_SV_SG_SH_SI_EUlSV_E0_NS1_11comp_targetILNS1_3genE8ELNS1_11target_archE1030ELNS1_3gpuE2ELNS1_3repE0EEENS1_38merge_mergepath_config_static_selectorELNS0_4arch9wavefront6targetE1EEEvSH_
                                        ; -- End function
	.set _ZN7rocprim17ROCPRIM_400000_NS6detail17trampoline_kernelINS0_14default_configENS1_38merge_sort_block_merge_config_selectorIisEEZZNS1_27merge_sort_block_merge_implIS3_N6thrust23THRUST_200600_302600_NS10device_ptrIiEENS9_IsEEjNS1_19radix_merge_compareILb0ELb1EiNS0_19identity_decomposerEEEEE10hipError_tT0_T1_T2_jT3_P12ihipStream_tbPNSt15iterator_traitsISG_E10value_typeEPNSM_ISH_E10value_typeEPSI_NS1_7vsmem_tEENKUlT_SG_SH_SI_E_clISA_PiSB_PsEESF_SV_SG_SH_SI_EUlSV_E0_NS1_11comp_targetILNS1_3genE8ELNS1_11target_archE1030ELNS1_3gpuE2ELNS1_3repE0EEENS1_38merge_mergepath_config_static_selectorELNS0_4arch9wavefront6targetE1EEEvSH_.num_vgpr, 0
	.set _ZN7rocprim17ROCPRIM_400000_NS6detail17trampoline_kernelINS0_14default_configENS1_38merge_sort_block_merge_config_selectorIisEEZZNS1_27merge_sort_block_merge_implIS3_N6thrust23THRUST_200600_302600_NS10device_ptrIiEENS9_IsEEjNS1_19radix_merge_compareILb0ELb1EiNS0_19identity_decomposerEEEEE10hipError_tT0_T1_T2_jT3_P12ihipStream_tbPNSt15iterator_traitsISG_E10value_typeEPNSM_ISH_E10value_typeEPSI_NS1_7vsmem_tEENKUlT_SG_SH_SI_E_clISA_PiSB_PsEESF_SV_SG_SH_SI_EUlSV_E0_NS1_11comp_targetILNS1_3genE8ELNS1_11target_archE1030ELNS1_3gpuE2ELNS1_3repE0EEENS1_38merge_mergepath_config_static_selectorELNS0_4arch9wavefront6targetE1EEEvSH_.num_agpr, 0
	.set _ZN7rocprim17ROCPRIM_400000_NS6detail17trampoline_kernelINS0_14default_configENS1_38merge_sort_block_merge_config_selectorIisEEZZNS1_27merge_sort_block_merge_implIS3_N6thrust23THRUST_200600_302600_NS10device_ptrIiEENS9_IsEEjNS1_19radix_merge_compareILb0ELb1EiNS0_19identity_decomposerEEEEE10hipError_tT0_T1_T2_jT3_P12ihipStream_tbPNSt15iterator_traitsISG_E10value_typeEPNSM_ISH_E10value_typeEPSI_NS1_7vsmem_tEENKUlT_SG_SH_SI_E_clISA_PiSB_PsEESF_SV_SG_SH_SI_EUlSV_E0_NS1_11comp_targetILNS1_3genE8ELNS1_11target_archE1030ELNS1_3gpuE2ELNS1_3repE0EEENS1_38merge_mergepath_config_static_selectorELNS0_4arch9wavefront6targetE1EEEvSH_.numbered_sgpr, 0
	.set _ZN7rocprim17ROCPRIM_400000_NS6detail17trampoline_kernelINS0_14default_configENS1_38merge_sort_block_merge_config_selectorIisEEZZNS1_27merge_sort_block_merge_implIS3_N6thrust23THRUST_200600_302600_NS10device_ptrIiEENS9_IsEEjNS1_19radix_merge_compareILb0ELb1EiNS0_19identity_decomposerEEEEE10hipError_tT0_T1_T2_jT3_P12ihipStream_tbPNSt15iterator_traitsISG_E10value_typeEPNSM_ISH_E10value_typeEPSI_NS1_7vsmem_tEENKUlT_SG_SH_SI_E_clISA_PiSB_PsEESF_SV_SG_SH_SI_EUlSV_E0_NS1_11comp_targetILNS1_3genE8ELNS1_11target_archE1030ELNS1_3gpuE2ELNS1_3repE0EEENS1_38merge_mergepath_config_static_selectorELNS0_4arch9wavefront6targetE1EEEvSH_.num_named_barrier, 0
	.set _ZN7rocprim17ROCPRIM_400000_NS6detail17trampoline_kernelINS0_14default_configENS1_38merge_sort_block_merge_config_selectorIisEEZZNS1_27merge_sort_block_merge_implIS3_N6thrust23THRUST_200600_302600_NS10device_ptrIiEENS9_IsEEjNS1_19radix_merge_compareILb0ELb1EiNS0_19identity_decomposerEEEEE10hipError_tT0_T1_T2_jT3_P12ihipStream_tbPNSt15iterator_traitsISG_E10value_typeEPNSM_ISH_E10value_typeEPSI_NS1_7vsmem_tEENKUlT_SG_SH_SI_E_clISA_PiSB_PsEESF_SV_SG_SH_SI_EUlSV_E0_NS1_11comp_targetILNS1_3genE8ELNS1_11target_archE1030ELNS1_3gpuE2ELNS1_3repE0EEENS1_38merge_mergepath_config_static_selectorELNS0_4arch9wavefront6targetE1EEEvSH_.private_seg_size, 0
	.set _ZN7rocprim17ROCPRIM_400000_NS6detail17trampoline_kernelINS0_14default_configENS1_38merge_sort_block_merge_config_selectorIisEEZZNS1_27merge_sort_block_merge_implIS3_N6thrust23THRUST_200600_302600_NS10device_ptrIiEENS9_IsEEjNS1_19radix_merge_compareILb0ELb1EiNS0_19identity_decomposerEEEEE10hipError_tT0_T1_T2_jT3_P12ihipStream_tbPNSt15iterator_traitsISG_E10value_typeEPNSM_ISH_E10value_typeEPSI_NS1_7vsmem_tEENKUlT_SG_SH_SI_E_clISA_PiSB_PsEESF_SV_SG_SH_SI_EUlSV_E0_NS1_11comp_targetILNS1_3genE8ELNS1_11target_archE1030ELNS1_3gpuE2ELNS1_3repE0EEENS1_38merge_mergepath_config_static_selectorELNS0_4arch9wavefront6targetE1EEEvSH_.uses_vcc, 0
	.set _ZN7rocprim17ROCPRIM_400000_NS6detail17trampoline_kernelINS0_14default_configENS1_38merge_sort_block_merge_config_selectorIisEEZZNS1_27merge_sort_block_merge_implIS3_N6thrust23THRUST_200600_302600_NS10device_ptrIiEENS9_IsEEjNS1_19radix_merge_compareILb0ELb1EiNS0_19identity_decomposerEEEEE10hipError_tT0_T1_T2_jT3_P12ihipStream_tbPNSt15iterator_traitsISG_E10value_typeEPNSM_ISH_E10value_typeEPSI_NS1_7vsmem_tEENKUlT_SG_SH_SI_E_clISA_PiSB_PsEESF_SV_SG_SH_SI_EUlSV_E0_NS1_11comp_targetILNS1_3genE8ELNS1_11target_archE1030ELNS1_3gpuE2ELNS1_3repE0EEENS1_38merge_mergepath_config_static_selectorELNS0_4arch9wavefront6targetE1EEEvSH_.uses_flat_scratch, 0
	.set _ZN7rocprim17ROCPRIM_400000_NS6detail17trampoline_kernelINS0_14default_configENS1_38merge_sort_block_merge_config_selectorIisEEZZNS1_27merge_sort_block_merge_implIS3_N6thrust23THRUST_200600_302600_NS10device_ptrIiEENS9_IsEEjNS1_19radix_merge_compareILb0ELb1EiNS0_19identity_decomposerEEEEE10hipError_tT0_T1_T2_jT3_P12ihipStream_tbPNSt15iterator_traitsISG_E10value_typeEPNSM_ISH_E10value_typeEPSI_NS1_7vsmem_tEENKUlT_SG_SH_SI_E_clISA_PiSB_PsEESF_SV_SG_SH_SI_EUlSV_E0_NS1_11comp_targetILNS1_3genE8ELNS1_11target_archE1030ELNS1_3gpuE2ELNS1_3repE0EEENS1_38merge_mergepath_config_static_selectorELNS0_4arch9wavefront6targetE1EEEvSH_.has_dyn_sized_stack, 0
	.set _ZN7rocprim17ROCPRIM_400000_NS6detail17trampoline_kernelINS0_14default_configENS1_38merge_sort_block_merge_config_selectorIisEEZZNS1_27merge_sort_block_merge_implIS3_N6thrust23THRUST_200600_302600_NS10device_ptrIiEENS9_IsEEjNS1_19radix_merge_compareILb0ELb1EiNS0_19identity_decomposerEEEEE10hipError_tT0_T1_T2_jT3_P12ihipStream_tbPNSt15iterator_traitsISG_E10value_typeEPNSM_ISH_E10value_typeEPSI_NS1_7vsmem_tEENKUlT_SG_SH_SI_E_clISA_PiSB_PsEESF_SV_SG_SH_SI_EUlSV_E0_NS1_11comp_targetILNS1_3genE8ELNS1_11target_archE1030ELNS1_3gpuE2ELNS1_3repE0EEENS1_38merge_mergepath_config_static_selectorELNS0_4arch9wavefront6targetE1EEEvSH_.has_recursion, 0
	.set _ZN7rocprim17ROCPRIM_400000_NS6detail17trampoline_kernelINS0_14default_configENS1_38merge_sort_block_merge_config_selectorIisEEZZNS1_27merge_sort_block_merge_implIS3_N6thrust23THRUST_200600_302600_NS10device_ptrIiEENS9_IsEEjNS1_19radix_merge_compareILb0ELb1EiNS0_19identity_decomposerEEEEE10hipError_tT0_T1_T2_jT3_P12ihipStream_tbPNSt15iterator_traitsISG_E10value_typeEPNSM_ISH_E10value_typeEPSI_NS1_7vsmem_tEENKUlT_SG_SH_SI_E_clISA_PiSB_PsEESF_SV_SG_SH_SI_EUlSV_E0_NS1_11comp_targetILNS1_3genE8ELNS1_11target_archE1030ELNS1_3gpuE2ELNS1_3repE0EEENS1_38merge_mergepath_config_static_selectorELNS0_4arch9wavefront6targetE1EEEvSH_.has_indirect_call, 0
	.section	.AMDGPU.csdata,"",@progbits
; Kernel info:
; codeLenInByte = 0
; TotalNumSgprs: 6
; NumVgprs: 0
; NumAgprs: 0
; TotalNumVgprs: 0
; ScratchSize: 0
; MemoryBound: 0
; FloatMode: 240
; IeeeMode: 1
; LDSByteSize: 0 bytes/workgroup (compile time only)
; SGPRBlocks: 0
; VGPRBlocks: 0
; NumSGPRsForWavesPerEU: 6
; NumVGPRsForWavesPerEU: 1
; AccumOffset: 4
; Occupancy: 8
; WaveLimiterHint : 0
; COMPUTE_PGM_RSRC2:SCRATCH_EN: 0
; COMPUTE_PGM_RSRC2:USER_SGPR: 2
; COMPUTE_PGM_RSRC2:TRAP_HANDLER: 0
; COMPUTE_PGM_RSRC2:TGID_X_EN: 1
; COMPUTE_PGM_RSRC2:TGID_Y_EN: 0
; COMPUTE_PGM_RSRC2:TGID_Z_EN: 0
; COMPUTE_PGM_RSRC2:TIDIG_COMP_CNT: 0
; COMPUTE_PGM_RSRC3_GFX90A:ACCUM_OFFSET: 0
; COMPUTE_PGM_RSRC3_GFX90A:TG_SPLIT: 0
	.section	.text._ZN7rocprim17ROCPRIM_400000_NS6detail17trampoline_kernelINS0_14default_configENS1_38merge_sort_block_merge_config_selectorIisEEZZNS1_27merge_sort_block_merge_implIS3_N6thrust23THRUST_200600_302600_NS10device_ptrIiEENS9_IsEEjNS1_19radix_merge_compareILb0ELb1EiNS0_19identity_decomposerEEEEE10hipError_tT0_T1_T2_jT3_P12ihipStream_tbPNSt15iterator_traitsISG_E10value_typeEPNSM_ISH_E10value_typeEPSI_NS1_7vsmem_tEENKUlT_SG_SH_SI_E_clISA_PiSB_PsEESF_SV_SG_SH_SI_EUlSV_E1_NS1_11comp_targetILNS1_3genE0ELNS1_11target_archE4294967295ELNS1_3gpuE0ELNS1_3repE0EEENS1_36merge_oddeven_config_static_selectorELNS0_4arch9wavefront6targetE1EEEvSH_,"axG",@progbits,_ZN7rocprim17ROCPRIM_400000_NS6detail17trampoline_kernelINS0_14default_configENS1_38merge_sort_block_merge_config_selectorIisEEZZNS1_27merge_sort_block_merge_implIS3_N6thrust23THRUST_200600_302600_NS10device_ptrIiEENS9_IsEEjNS1_19radix_merge_compareILb0ELb1EiNS0_19identity_decomposerEEEEE10hipError_tT0_T1_T2_jT3_P12ihipStream_tbPNSt15iterator_traitsISG_E10value_typeEPNSM_ISH_E10value_typeEPSI_NS1_7vsmem_tEENKUlT_SG_SH_SI_E_clISA_PiSB_PsEESF_SV_SG_SH_SI_EUlSV_E1_NS1_11comp_targetILNS1_3genE0ELNS1_11target_archE4294967295ELNS1_3gpuE0ELNS1_3repE0EEENS1_36merge_oddeven_config_static_selectorELNS0_4arch9wavefront6targetE1EEEvSH_,comdat
	.protected	_ZN7rocprim17ROCPRIM_400000_NS6detail17trampoline_kernelINS0_14default_configENS1_38merge_sort_block_merge_config_selectorIisEEZZNS1_27merge_sort_block_merge_implIS3_N6thrust23THRUST_200600_302600_NS10device_ptrIiEENS9_IsEEjNS1_19radix_merge_compareILb0ELb1EiNS0_19identity_decomposerEEEEE10hipError_tT0_T1_T2_jT3_P12ihipStream_tbPNSt15iterator_traitsISG_E10value_typeEPNSM_ISH_E10value_typeEPSI_NS1_7vsmem_tEENKUlT_SG_SH_SI_E_clISA_PiSB_PsEESF_SV_SG_SH_SI_EUlSV_E1_NS1_11comp_targetILNS1_3genE0ELNS1_11target_archE4294967295ELNS1_3gpuE0ELNS1_3repE0EEENS1_36merge_oddeven_config_static_selectorELNS0_4arch9wavefront6targetE1EEEvSH_ ; -- Begin function _ZN7rocprim17ROCPRIM_400000_NS6detail17trampoline_kernelINS0_14default_configENS1_38merge_sort_block_merge_config_selectorIisEEZZNS1_27merge_sort_block_merge_implIS3_N6thrust23THRUST_200600_302600_NS10device_ptrIiEENS9_IsEEjNS1_19radix_merge_compareILb0ELb1EiNS0_19identity_decomposerEEEEE10hipError_tT0_T1_T2_jT3_P12ihipStream_tbPNSt15iterator_traitsISG_E10value_typeEPNSM_ISH_E10value_typeEPSI_NS1_7vsmem_tEENKUlT_SG_SH_SI_E_clISA_PiSB_PsEESF_SV_SG_SH_SI_EUlSV_E1_NS1_11comp_targetILNS1_3genE0ELNS1_11target_archE4294967295ELNS1_3gpuE0ELNS1_3repE0EEENS1_36merge_oddeven_config_static_selectorELNS0_4arch9wavefront6targetE1EEEvSH_
	.globl	_ZN7rocprim17ROCPRIM_400000_NS6detail17trampoline_kernelINS0_14default_configENS1_38merge_sort_block_merge_config_selectorIisEEZZNS1_27merge_sort_block_merge_implIS3_N6thrust23THRUST_200600_302600_NS10device_ptrIiEENS9_IsEEjNS1_19radix_merge_compareILb0ELb1EiNS0_19identity_decomposerEEEEE10hipError_tT0_T1_T2_jT3_P12ihipStream_tbPNSt15iterator_traitsISG_E10value_typeEPNSM_ISH_E10value_typeEPSI_NS1_7vsmem_tEENKUlT_SG_SH_SI_E_clISA_PiSB_PsEESF_SV_SG_SH_SI_EUlSV_E1_NS1_11comp_targetILNS1_3genE0ELNS1_11target_archE4294967295ELNS1_3gpuE0ELNS1_3repE0EEENS1_36merge_oddeven_config_static_selectorELNS0_4arch9wavefront6targetE1EEEvSH_
	.p2align	8
	.type	_ZN7rocprim17ROCPRIM_400000_NS6detail17trampoline_kernelINS0_14default_configENS1_38merge_sort_block_merge_config_selectorIisEEZZNS1_27merge_sort_block_merge_implIS3_N6thrust23THRUST_200600_302600_NS10device_ptrIiEENS9_IsEEjNS1_19radix_merge_compareILb0ELb1EiNS0_19identity_decomposerEEEEE10hipError_tT0_T1_T2_jT3_P12ihipStream_tbPNSt15iterator_traitsISG_E10value_typeEPNSM_ISH_E10value_typeEPSI_NS1_7vsmem_tEENKUlT_SG_SH_SI_E_clISA_PiSB_PsEESF_SV_SG_SH_SI_EUlSV_E1_NS1_11comp_targetILNS1_3genE0ELNS1_11target_archE4294967295ELNS1_3gpuE0ELNS1_3repE0EEENS1_36merge_oddeven_config_static_selectorELNS0_4arch9wavefront6targetE1EEEvSH_,@function
_ZN7rocprim17ROCPRIM_400000_NS6detail17trampoline_kernelINS0_14default_configENS1_38merge_sort_block_merge_config_selectorIisEEZZNS1_27merge_sort_block_merge_implIS3_N6thrust23THRUST_200600_302600_NS10device_ptrIiEENS9_IsEEjNS1_19radix_merge_compareILb0ELb1EiNS0_19identity_decomposerEEEEE10hipError_tT0_T1_T2_jT3_P12ihipStream_tbPNSt15iterator_traitsISG_E10value_typeEPNSM_ISH_E10value_typeEPSI_NS1_7vsmem_tEENKUlT_SG_SH_SI_E_clISA_PiSB_PsEESF_SV_SG_SH_SI_EUlSV_E1_NS1_11comp_targetILNS1_3genE0ELNS1_11target_archE4294967295ELNS1_3gpuE0ELNS1_3repE0EEENS1_36merge_oddeven_config_static_selectorELNS0_4arch9wavefront6targetE1EEEvSH_: ; @_ZN7rocprim17ROCPRIM_400000_NS6detail17trampoline_kernelINS0_14default_configENS1_38merge_sort_block_merge_config_selectorIisEEZZNS1_27merge_sort_block_merge_implIS3_N6thrust23THRUST_200600_302600_NS10device_ptrIiEENS9_IsEEjNS1_19radix_merge_compareILb0ELb1EiNS0_19identity_decomposerEEEEE10hipError_tT0_T1_T2_jT3_P12ihipStream_tbPNSt15iterator_traitsISG_E10value_typeEPNSM_ISH_E10value_typeEPSI_NS1_7vsmem_tEENKUlT_SG_SH_SI_E_clISA_PiSB_PsEESF_SV_SG_SH_SI_EUlSV_E1_NS1_11comp_targetILNS1_3genE0ELNS1_11target_archE4294967295ELNS1_3gpuE0ELNS1_3repE0EEENS1_36merge_oddeven_config_static_selectorELNS0_4arch9wavefront6targetE1EEEvSH_
; %bb.0:
	s_load_dword s20, s[0:1], 0x20
	s_waitcnt lgkmcnt(0)
	s_lshr_b32 s3, s20, 8
	s_cmp_eq_u32 s2, s3
	s_cselect_b64 s[16:17], -1, 0
	s_cmp_lg_u32 s2, s3
	s_cselect_b64 s[4:5], -1, 0
	s_lshl_b32 s18, s2, 8
	s_sub_i32 s3, s20, s18
	v_cmp_gt_u32_e64 s[6:7], s3, v0
	s_or_b64 s[4:5], s[4:5], s[6:7]
	s_and_saveexec_b64 s[8:9], s[4:5]
	s_cbranch_execz .LBB2396_24
; %bb.1:
	s_load_dwordx8 s[8:15], s[0:1], 0x0
	s_mov_b32 s19, 0
	s_lshl_b64 s[4:5], s[18:19], 2
	v_lshlrev_b32_e32 v4, 1, v0
	v_lshlrev_b32_e32 v1, 2, v0
	s_waitcnt lgkmcnt(0)
	s_add_u32 s4, s8, s4
	s_addc_u32 s5, s9, s5
	s_lshl_b64 s[22:23], s[18:19], 1
	s_add_u32 s12, s12, s22
	s_addc_u32 s13, s13, s23
	global_load_ushort v2, v4, s[12:13]
	global_load_dword v3, v1, s[4:5]
	s_load_dword s19, s[0:1], 0x24
	v_add_u32_e32 v0, s18, v0
	s_waitcnt lgkmcnt(0)
	s_lshr_b32 s3, s19, 8
	s_sub_i32 s4, 0, s3
	s_and_b32 s2, s2, s4
	s_and_b32 s3, s2, s3
	s_lshl_b32 s21, s2, 8
	s_sub_i32 s12, 0, s19
	s_cmp_eq_u32 s3, 0
	s_cselect_b64 s[4:5], -1, 0
	s_and_b64 s[2:3], s[4:5], exec
	s_cselect_b32 s12, s19, s12
	s_add_i32 s12, s12, s21
	s_mov_b64 s[2:3], -1
	s_cmp_gt_u32 s20, s12
	s_cbranch_scc1 .LBB2396_9
; %bb.2:
	s_and_b64 vcc, exec, s[16:17]
	s_cbranch_vccz .LBB2396_6
; %bb.3:
	v_cmp_gt_u32_e32 vcc, s20, v0
	s_and_saveexec_b64 s[2:3], vcc
	s_cbranch_execz .LBB2396_5
; %bb.4:
	v_mov_b32_e32 v1, 0
	v_lshl_add_u64 v[4:5], v[0:1], 2, s[10:11]
	v_lshl_add_u64 v[6:7], v[0:1], 1, s[14:15]
	s_waitcnt vmcnt(0)
	global_store_dword v[4:5], v3, off
	global_store_short v[6:7], v2, off
.LBB2396_5:
	s_or_b64 exec, exec, s[2:3]
	s_mov_b64 s[2:3], 0
.LBB2396_6:
	s_andn2_b64 vcc, exec, s[2:3]
	s_cbranch_vccnz .LBB2396_8
; %bb.7:
	v_mov_b32_e32 v1, 0
	v_lshl_add_u64 v[4:5], v[0:1], 2, s[10:11]
	v_lshl_add_u64 v[6:7], v[0:1], 1, s[14:15]
	s_waitcnt vmcnt(0)
	global_store_dword v[4:5], v3, off
	global_store_short v[6:7], v2, off
.LBB2396_8:
	s_mov_b64 s[2:3], 0
.LBB2396_9:
	s_andn2_b64 vcc, exec, s[2:3]
	s_cbranch_vccnz .LBB2396_24
; %bb.10:
	s_load_dword s13, s[0:1], 0x28
	s_min_u32 s18, s12, s20
	s_add_i32 s0, s18, s19
	s_min_u32 s19, s0, s20
	s_min_u32 s0, s21, s18
	s_add_i32 s21, s21, s18
	v_subrev_u32_e32 v0, s21, v0
	v_add_u32_e32 v4, s0, v0
	s_waitcnt vmcnt(0) lgkmcnt(0)
	v_and_b32_e32 v5, s13, v3
	s_mov_b64 s[0:1], -1
	s_and_b64 vcc, exec, s[16:17]
	s_cbranch_vccz .LBB2396_18
; %bb.11:
	s_and_saveexec_b64 s[0:1], s[6:7]
	s_cbranch_execz .LBB2396_17
; %bb.12:
	s_cmp_ge_u32 s12, s19
	v_mov_b32_e32 v6, s18
	s_cbranch_scc1 .LBB2396_16
; %bb.13:
	s_mov_b64 s[2:3], 0
	v_mov_b32_e32 v7, s19
	v_mov_b32_e32 v6, s18
	;; [unrolled: 1-line block ×3, first 2 shown]
.LBB2396_14:                            ; =>This Inner Loop Header: Depth=1
	v_add_u32_e32 v0, v6, v7
	v_lshrrev_b32_e32 v0, 1, v0
	v_lshl_add_u64 v[8:9], v[0:1], 2, s[8:9]
	global_load_dword v8, v[8:9], off
	v_add_u32_e32 v9, 1, v0
	s_waitcnt vmcnt(0)
	v_and_b32_e32 v8, s13, v8
	v_cmp_gt_i32_e32 vcc, v5, v8
	s_nop 1
	v_cndmask_b32_e64 v10, 0, 1, vcc
	v_cmp_le_i32_e32 vcc, v8, v5
	s_nop 1
	v_cndmask_b32_e64 v8, 0, 1, vcc
	v_cndmask_b32_e64 v8, v8, v10, s[4:5]
	v_and_b32_e32 v8, 1, v8
	v_cmp_eq_u32_e32 vcc, 1, v8
	s_nop 1
	v_cndmask_b32_e32 v7, v0, v7, vcc
	v_cndmask_b32_e32 v6, v6, v9, vcc
	v_cmp_ge_u32_e32 vcc, v6, v7
	s_or_b64 s[2:3], vcc, s[2:3]
	s_andn2_b64 exec, exec, s[2:3]
	s_cbranch_execnz .LBB2396_14
; %bb.15:
	s_or_b64 exec, exec, s[2:3]
.LBB2396_16:
	v_add_u32_e32 v0, v6, v4
	v_mov_b32_e32 v1, 0
	v_lshl_add_u64 v[6:7], v[0:1], 2, s[10:11]
	v_lshl_add_u64 v[0:1], v[0:1], 1, s[14:15]
	global_store_dword v[6:7], v3, off
	global_store_short v[0:1], v2, off
.LBB2396_17:
	s_or_b64 exec, exec, s[0:1]
	s_mov_b64 s[0:1], 0
.LBB2396_18:
	s_andn2_b64 vcc, exec, s[0:1]
	s_cbranch_vccnz .LBB2396_24
; %bb.19:
	s_cmp_ge_u32 s12, s19
	v_mov_b32_e32 v6, s18
	s_cbranch_scc1 .LBB2396_23
; %bb.20:
	s_mov_b64 s[0:1], 0
	v_mov_b32_e32 v7, s19
	v_mov_b32_e32 v6, s18
	;; [unrolled: 1-line block ×3, first 2 shown]
.LBB2396_21:                            ; =>This Inner Loop Header: Depth=1
	v_add_u32_e32 v0, v6, v7
	v_lshrrev_b32_e32 v0, 1, v0
	v_lshl_add_u64 v[8:9], v[0:1], 2, s[8:9]
	global_load_dword v8, v[8:9], off
	v_add_u32_e32 v9, 1, v0
	s_waitcnt vmcnt(0)
	v_and_b32_e32 v8, s13, v8
	v_cmp_gt_i32_e32 vcc, v5, v8
	s_nop 1
	v_cndmask_b32_e64 v10, 0, 1, vcc
	v_cmp_le_i32_e32 vcc, v8, v5
	s_nop 1
	v_cndmask_b32_e64 v8, 0, 1, vcc
	v_cndmask_b32_e64 v8, v8, v10, s[4:5]
	v_and_b32_e32 v8, 1, v8
	v_cmp_eq_u32_e32 vcc, 1, v8
	s_nop 1
	v_cndmask_b32_e32 v7, v0, v7, vcc
	v_cndmask_b32_e32 v6, v6, v9, vcc
	v_cmp_ge_u32_e32 vcc, v6, v7
	s_or_b64 s[0:1], vcc, s[0:1]
	s_andn2_b64 exec, exec, s[0:1]
	s_cbranch_execnz .LBB2396_21
; %bb.22:
	s_or_b64 exec, exec, s[0:1]
.LBB2396_23:
	v_add_u32_e32 v0, v6, v4
	v_mov_b32_e32 v1, 0
	v_lshl_add_u64 v[4:5], v[0:1], 2, s[10:11]
	v_lshl_add_u64 v[0:1], v[0:1], 1, s[14:15]
	global_store_dword v[4:5], v3, off
	global_store_short v[0:1], v2, off
.LBB2396_24:
	s_endpgm
	.section	.rodata,"a",@progbits
	.p2align	6, 0x0
	.amdhsa_kernel _ZN7rocprim17ROCPRIM_400000_NS6detail17trampoline_kernelINS0_14default_configENS1_38merge_sort_block_merge_config_selectorIisEEZZNS1_27merge_sort_block_merge_implIS3_N6thrust23THRUST_200600_302600_NS10device_ptrIiEENS9_IsEEjNS1_19radix_merge_compareILb0ELb1EiNS0_19identity_decomposerEEEEE10hipError_tT0_T1_T2_jT3_P12ihipStream_tbPNSt15iterator_traitsISG_E10value_typeEPNSM_ISH_E10value_typeEPSI_NS1_7vsmem_tEENKUlT_SG_SH_SI_E_clISA_PiSB_PsEESF_SV_SG_SH_SI_EUlSV_E1_NS1_11comp_targetILNS1_3genE0ELNS1_11target_archE4294967295ELNS1_3gpuE0ELNS1_3repE0EEENS1_36merge_oddeven_config_static_selectorELNS0_4arch9wavefront6targetE1EEEvSH_
		.amdhsa_group_segment_fixed_size 0
		.amdhsa_private_segment_fixed_size 0
		.amdhsa_kernarg_size 48
		.amdhsa_user_sgpr_count 2
		.amdhsa_user_sgpr_dispatch_ptr 0
		.amdhsa_user_sgpr_queue_ptr 0
		.amdhsa_user_sgpr_kernarg_segment_ptr 1
		.amdhsa_user_sgpr_dispatch_id 0
		.amdhsa_user_sgpr_kernarg_preload_length 0
		.amdhsa_user_sgpr_kernarg_preload_offset 0
		.amdhsa_user_sgpr_private_segment_size 0
		.amdhsa_uses_dynamic_stack 0
		.amdhsa_enable_private_segment 0
		.amdhsa_system_sgpr_workgroup_id_x 1
		.amdhsa_system_sgpr_workgroup_id_y 0
		.amdhsa_system_sgpr_workgroup_id_z 0
		.amdhsa_system_sgpr_workgroup_info 0
		.amdhsa_system_vgpr_workitem_id 0
		.amdhsa_next_free_vgpr 11
		.amdhsa_next_free_sgpr 24
		.amdhsa_accum_offset 12
		.amdhsa_reserve_vcc 1
		.amdhsa_float_round_mode_32 0
		.amdhsa_float_round_mode_16_64 0
		.amdhsa_float_denorm_mode_32 3
		.amdhsa_float_denorm_mode_16_64 3
		.amdhsa_dx10_clamp 1
		.amdhsa_ieee_mode 1
		.amdhsa_fp16_overflow 0
		.amdhsa_tg_split 0
		.amdhsa_exception_fp_ieee_invalid_op 0
		.amdhsa_exception_fp_denorm_src 0
		.amdhsa_exception_fp_ieee_div_zero 0
		.amdhsa_exception_fp_ieee_overflow 0
		.amdhsa_exception_fp_ieee_underflow 0
		.amdhsa_exception_fp_ieee_inexact 0
		.amdhsa_exception_int_div_zero 0
	.end_amdhsa_kernel
	.section	.text._ZN7rocprim17ROCPRIM_400000_NS6detail17trampoline_kernelINS0_14default_configENS1_38merge_sort_block_merge_config_selectorIisEEZZNS1_27merge_sort_block_merge_implIS3_N6thrust23THRUST_200600_302600_NS10device_ptrIiEENS9_IsEEjNS1_19radix_merge_compareILb0ELb1EiNS0_19identity_decomposerEEEEE10hipError_tT0_T1_T2_jT3_P12ihipStream_tbPNSt15iterator_traitsISG_E10value_typeEPNSM_ISH_E10value_typeEPSI_NS1_7vsmem_tEENKUlT_SG_SH_SI_E_clISA_PiSB_PsEESF_SV_SG_SH_SI_EUlSV_E1_NS1_11comp_targetILNS1_3genE0ELNS1_11target_archE4294967295ELNS1_3gpuE0ELNS1_3repE0EEENS1_36merge_oddeven_config_static_selectorELNS0_4arch9wavefront6targetE1EEEvSH_,"axG",@progbits,_ZN7rocprim17ROCPRIM_400000_NS6detail17trampoline_kernelINS0_14default_configENS1_38merge_sort_block_merge_config_selectorIisEEZZNS1_27merge_sort_block_merge_implIS3_N6thrust23THRUST_200600_302600_NS10device_ptrIiEENS9_IsEEjNS1_19radix_merge_compareILb0ELb1EiNS0_19identity_decomposerEEEEE10hipError_tT0_T1_T2_jT3_P12ihipStream_tbPNSt15iterator_traitsISG_E10value_typeEPNSM_ISH_E10value_typeEPSI_NS1_7vsmem_tEENKUlT_SG_SH_SI_E_clISA_PiSB_PsEESF_SV_SG_SH_SI_EUlSV_E1_NS1_11comp_targetILNS1_3genE0ELNS1_11target_archE4294967295ELNS1_3gpuE0ELNS1_3repE0EEENS1_36merge_oddeven_config_static_selectorELNS0_4arch9wavefront6targetE1EEEvSH_,comdat
.Lfunc_end2396:
	.size	_ZN7rocprim17ROCPRIM_400000_NS6detail17trampoline_kernelINS0_14default_configENS1_38merge_sort_block_merge_config_selectorIisEEZZNS1_27merge_sort_block_merge_implIS3_N6thrust23THRUST_200600_302600_NS10device_ptrIiEENS9_IsEEjNS1_19radix_merge_compareILb0ELb1EiNS0_19identity_decomposerEEEEE10hipError_tT0_T1_T2_jT3_P12ihipStream_tbPNSt15iterator_traitsISG_E10value_typeEPNSM_ISH_E10value_typeEPSI_NS1_7vsmem_tEENKUlT_SG_SH_SI_E_clISA_PiSB_PsEESF_SV_SG_SH_SI_EUlSV_E1_NS1_11comp_targetILNS1_3genE0ELNS1_11target_archE4294967295ELNS1_3gpuE0ELNS1_3repE0EEENS1_36merge_oddeven_config_static_selectorELNS0_4arch9wavefront6targetE1EEEvSH_, .Lfunc_end2396-_ZN7rocprim17ROCPRIM_400000_NS6detail17trampoline_kernelINS0_14default_configENS1_38merge_sort_block_merge_config_selectorIisEEZZNS1_27merge_sort_block_merge_implIS3_N6thrust23THRUST_200600_302600_NS10device_ptrIiEENS9_IsEEjNS1_19radix_merge_compareILb0ELb1EiNS0_19identity_decomposerEEEEE10hipError_tT0_T1_T2_jT3_P12ihipStream_tbPNSt15iterator_traitsISG_E10value_typeEPNSM_ISH_E10value_typeEPSI_NS1_7vsmem_tEENKUlT_SG_SH_SI_E_clISA_PiSB_PsEESF_SV_SG_SH_SI_EUlSV_E1_NS1_11comp_targetILNS1_3genE0ELNS1_11target_archE4294967295ELNS1_3gpuE0ELNS1_3repE0EEENS1_36merge_oddeven_config_static_selectorELNS0_4arch9wavefront6targetE1EEEvSH_
                                        ; -- End function
	.set _ZN7rocprim17ROCPRIM_400000_NS6detail17trampoline_kernelINS0_14default_configENS1_38merge_sort_block_merge_config_selectorIisEEZZNS1_27merge_sort_block_merge_implIS3_N6thrust23THRUST_200600_302600_NS10device_ptrIiEENS9_IsEEjNS1_19radix_merge_compareILb0ELb1EiNS0_19identity_decomposerEEEEE10hipError_tT0_T1_T2_jT3_P12ihipStream_tbPNSt15iterator_traitsISG_E10value_typeEPNSM_ISH_E10value_typeEPSI_NS1_7vsmem_tEENKUlT_SG_SH_SI_E_clISA_PiSB_PsEESF_SV_SG_SH_SI_EUlSV_E1_NS1_11comp_targetILNS1_3genE0ELNS1_11target_archE4294967295ELNS1_3gpuE0ELNS1_3repE0EEENS1_36merge_oddeven_config_static_selectorELNS0_4arch9wavefront6targetE1EEEvSH_.num_vgpr, 11
	.set _ZN7rocprim17ROCPRIM_400000_NS6detail17trampoline_kernelINS0_14default_configENS1_38merge_sort_block_merge_config_selectorIisEEZZNS1_27merge_sort_block_merge_implIS3_N6thrust23THRUST_200600_302600_NS10device_ptrIiEENS9_IsEEjNS1_19radix_merge_compareILb0ELb1EiNS0_19identity_decomposerEEEEE10hipError_tT0_T1_T2_jT3_P12ihipStream_tbPNSt15iterator_traitsISG_E10value_typeEPNSM_ISH_E10value_typeEPSI_NS1_7vsmem_tEENKUlT_SG_SH_SI_E_clISA_PiSB_PsEESF_SV_SG_SH_SI_EUlSV_E1_NS1_11comp_targetILNS1_3genE0ELNS1_11target_archE4294967295ELNS1_3gpuE0ELNS1_3repE0EEENS1_36merge_oddeven_config_static_selectorELNS0_4arch9wavefront6targetE1EEEvSH_.num_agpr, 0
	.set _ZN7rocprim17ROCPRIM_400000_NS6detail17trampoline_kernelINS0_14default_configENS1_38merge_sort_block_merge_config_selectorIisEEZZNS1_27merge_sort_block_merge_implIS3_N6thrust23THRUST_200600_302600_NS10device_ptrIiEENS9_IsEEjNS1_19radix_merge_compareILb0ELb1EiNS0_19identity_decomposerEEEEE10hipError_tT0_T1_T2_jT3_P12ihipStream_tbPNSt15iterator_traitsISG_E10value_typeEPNSM_ISH_E10value_typeEPSI_NS1_7vsmem_tEENKUlT_SG_SH_SI_E_clISA_PiSB_PsEESF_SV_SG_SH_SI_EUlSV_E1_NS1_11comp_targetILNS1_3genE0ELNS1_11target_archE4294967295ELNS1_3gpuE0ELNS1_3repE0EEENS1_36merge_oddeven_config_static_selectorELNS0_4arch9wavefront6targetE1EEEvSH_.numbered_sgpr, 24
	.set _ZN7rocprim17ROCPRIM_400000_NS6detail17trampoline_kernelINS0_14default_configENS1_38merge_sort_block_merge_config_selectorIisEEZZNS1_27merge_sort_block_merge_implIS3_N6thrust23THRUST_200600_302600_NS10device_ptrIiEENS9_IsEEjNS1_19radix_merge_compareILb0ELb1EiNS0_19identity_decomposerEEEEE10hipError_tT0_T1_T2_jT3_P12ihipStream_tbPNSt15iterator_traitsISG_E10value_typeEPNSM_ISH_E10value_typeEPSI_NS1_7vsmem_tEENKUlT_SG_SH_SI_E_clISA_PiSB_PsEESF_SV_SG_SH_SI_EUlSV_E1_NS1_11comp_targetILNS1_3genE0ELNS1_11target_archE4294967295ELNS1_3gpuE0ELNS1_3repE0EEENS1_36merge_oddeven_config_static_selectorELNS0_4arch9wavefront6targetE1EEEvSH_.num_named_barrier, 0
	.set _ZN7rocprim17ROCPRIM_400000_NS6detail17trampoline_kernelINS0_14default_configENS1_38merge_sort_block_merge_config_selectorIisEEZZNS1_27merge_sort_block_merge_implIS3_N6thrust23THRUST_200600_302600_NS10device_ptrIiEENS9_IsEEjNS1_19radix_merge_compareILb0ELb1EiNS0_19identity_decomposerEEEEE10hipError_tT0_T1_T2_jT3_P12ihipStream_tbPNSt15iterator_traitsISG_E10value_typeEPNSM_ISH_E10value_typeEPSI_NS1_7vsmem_tEENKUlT_SG_SH_SI_E_clISA_PiSB_PsEESF_SV_SG_SH_SI_EUlSV_E1_NS1_11comp_targetILNS1_3genE0ELNS1_11target_archE4294967295ELNS1_3gpuE0ELNS1_3repE0EEENS1_36merge_oddeven_config_static_selectorELNS0_4arch9wavefront6targetE1EEEvSH_.private_seg_size, 0
	.set _ZN7rocprim17ROCPRIM_400000_NS6detail17trampoline_kernelINS0_14default_configENS1_38merge_sort_block_merge_config_selectorIisEEZZNS1_27merge_sort_block_merge_implIS3_N6thrust23THRUST_200600_302600_NS10device_ptrIiEENS9_IsEEjNS1_19radix_merge_compareILb0ELb1EiNS0_19identity_decomposerEEEEE10hipError_tT0_T1_T2_jT3_P12ihipStream_tbPNSt15iterator_traitsISG_E10value_typeEPNSM_ISH_E10value_typeEPSI_NS1_7vsmem_tEENKUlT_SG_SH_SI_E_clISA_PiSB_PsEESF_SV_SG_SH_SI_EUlSV_E1_NS1_11comp_targetILNS1_3genE0ELNS1_11target_archE4294967295ELNS1_3gpuE0ELNS1_3repE0EEENS1_36merge_oddeven_config_static_selectorELNS0_4arch9wavefront6targetE1EEEvSH_.uses_vcc, 1
	.set _ZN7rocprim17ROCPRIM_400000_NS6detail17trampoline_kernelINS0_14default_configENS1_38merge_sort_block_merge_config_selectorIisEEZZNS1_27merge_sort_block_merge_implIS3_N6thrust23THRUST_200600_302600_NS10device_ptrIiEENS9_IsEEjNS1_19radix_merge_compareILb0ELb1EiNS0_19identity_decomposerEEEEE10hipError_tT0_T1_T2_jT3_P12ihipStream_tbPNSt15iterator_traitsISG_E10value_typeEPNSM_ISH_E10value_typeEPSI_NS1_7vsmem_tEENKUlT_SG_SH_SI_E_clISA_PiSB_PsEESF_SV_SG_SH_SI_EUlSV_E1_NS1_11comp_targetILNS1_3genE0ELNS1_11target_archE4294967295ELNS1_3gpuE0ELNS1_3repE0EEENS1_36merge_oddeven_config_static_selectorELNS0_4arch9wavefront6targetE1EEEvSH_.uses_flat_scratch, 0
	.set _ZN7rocprim17ROCPRIM_400000_NS6detail17trampoline_kernelINS0_14default_configENS1_38merge_sort_block_merge_config_selectorIisEEZZNS1_27merge_sort_block_merge_implIS3_N6thrust23THRUST_200600_302600_NS10device_ptrIiEENS9_IsEEjNS1_19radix_merge_compareILb0ELb1EiNS0_19identity_decomposerEEEEE10hipError_tT0_T1_T2_jT3_P12ihipStream_tbPNSt15iterator_traitsISG_E10value_typeEPNSM_ISH_E10value_typeEPSI_NS1_7vsmem_tEENKUlT_SG_SH_SI_E_clISA_PiSB_PsEESF_SV_SG_SH_SI_EUlSV_E1_NS1_11comp_targetILNS1_3genE0ELNS1_11target_archE4294967295ELNS1_3gpuE0ELNS1_3repE0EEENS1_36merge_oddeven_config_static_selectorELNS0_4arch9wavefront6targetE1EEEvSH_.has_dyn_sized_stack, 0
	.set _ZN7rocprim17ROCPRIM_400000_NS6detail17trampoline_kernelINS0_14default_configENS1_38merge_sort_block_merge_config_selectorIisEEZZNS1_27merge_sort_block_merge_implIS3_N6thrust23THRUST_200600_302600_NS10device_ptrIiEENS9_IsEEjNS1_19radix_merge_compareILb0ELb1EiNS0_19identity_decomposerEEEEE10hipError_tT0_T1_T2_jT3_P12ihipStream_tbPNSt15iterator_traitsISG_E10value_typeEPNSM_ISH_E10value_typeEPSI_NS1_7vsmem_tEENKUlT_SG_SH_SI_E_clISA_PiSB_PsEESF_SV_SG_SH_SI_EUlSV_E1_NS1_11comp_targetILNS1_3genE0ELNS1_11target_archE4294967295ELNS1_3gpuE0ELNS1_3repE0EEENS1_36merge_oddeven_config_static_selectorELNS0_4arch9wavefront6targetE1EEEvSH_.has_recursion, 0
	.set _ZN7rocprim17ROCPRIM_400000_NS6detail17trampoline_kernelINS0_14default_configENS1_38merge_sort_block_merge_config_selectorIisEEZZNS1_27merge_sort_block_merge_implIS3_N6thrust23THRUST_200600_302600_NS10device_ptrIiEENS9_IsEEjNS1_19radix_merge_compareILb0ELb1EiNS0_19identity_decomposerEEEEE10hipError_tT0_T1_T2_jT3_P12ihipStream_tbPNSt15iterator_traitsISG_E10value_typeEPNSM_ISH_E10value_typeEPSI_NS1_7vsmem_tEENKUlT_SG_SH_SI_E_clISA_PiSB_PsEESF_SV_SG_SH_SI_EUlSV_E1_NS1_11comp_targetILNS1_3genE0ELNS1_11target_archE4294967295ELNS1_3gpuE0ELNS1_3repE0EEENS1_36merge_oddeven_config_static_selectorELNS0_4arch9wavefront6targetE1EEEvSH_.has_indirect_call, 0
	.section	.AMDGPU.csdata,"",@progbits
; Kernel info:
; codeLenInByte = 776
; TotalNumSgprs: 30
; NumVgprs: 11
; NumAgprs: 0
; TotalNumVgprs: 11
; ScratchSize: 0
; MemoryBound: 0
; FloatMode: 240
; IeeeMode: 1
; LDSByteSize: 0 bytes/workgroup (compile time only)
; SGPRBlocks: 3
; VGPRBlocks: 1
; NumSGPRsForWavesPerEU: 30
; NumVGPRsForWavesPerEU: 11
; AccumOffset: 12
; Occupancy: 8
; WaveLimiterHint : 0
; COMPUTE_PGM_RSRC2:SCRATCH_EN: 0
; COMPUTE_PGM_RSRC2:USER_SGPR: 2
; COMPUTE_PGM_RSRC2:TRAP_HANDLER: 0
; COMPUTE_PGM_RSRC2:TGID_X_EN: 1
; COMPUTE_PGM_RSRC2:TGID_Y_EN: 0
; COMPUTE_PGM_RSRC2:TGID_Z_EN: 0
; COMPUTE_PGM_RSRC2:TIDIG_COMP_CNT: 0
; COMPUTE_PGM_RSRC3_GFX90A:ACCUM_OFFSET: 2
; COMPUTE_PGM_RSRC3_GFX90A:TG_SPLIT: 0
	.section	.text._ZN7rocprim17ROCPRIM_400000_NS6detail17trampoline_kernelINS0_14default_configENS1_38merge_sort_block_merge_config_selectorIisEEZZNS1_27merge_sort_block_merge_implIS3_N6thrust23THRUST_200600_302600_NS10device_ptrIiEENS9_IsEEjNS1_19radix_merge_compareILb0ELb1EiNS0_19identity_decomposerEEEEE10hipError_tT0_T1_T2_jT3_P12ihipStream_tbPNSt15iterator_traitsISG_E10value_typeEPNSM_ISH_E10value_typeEPSI_NS1_7vsmem_tEENKUlT_SG_SH_SI_E_clISA_PiSB_PsEESF_SV_SG_SH_SI_EUlSV_E1_NS1_11comp_targetILNS1_3genE10ELNS1_11target_archE1201ELNS1_3gpuE5ELNS1_3repE0EEENS1_36merge_oddeven_config_static_selectorELNS0_4arch9wavefront6targetE1EEEvSH_,"axG",@progbits,_ZN7rocprim17ROCPRIM_400000_NS6detail17trampoline_kernelINS0_14default_configENS1_38merge_sort_block_merge_config_selectorIisEEZZNS1_27merge_sort_block_merge_implIS3_N6thrust23THRUST_200600_302600_NS10device_ptrIiEENS9_IsEEjNS1_19radix_merge_compareILb0ELb1EiNS0_19identity_decomposerEEEEE10hipError_tT0_T1_T2_jT3_P12ihipStream_tbPNSt15iterator_traitsISG_E10value_typeEPNSM_ISH_E10value_typeEPSI_NS1_7vsmem_tEENKUlT_SG_SH_SI_E_clISA_PiSB_PsEESF_SV_SG_SH_SI_EUlSV_E1_NS1_11comp_targetILNS1_3genE10ELNS1_11target_archE1201ELNS1_3gpuE5ELNS1_3repE0EEENS1_36merge_oddeven_config_static_selectorELNS0_4arch9wavefront6targetE1EEEvSH_,comdat
	.protected	_ZN7rocprim17ROCPRIM_400000_NS6detail17trampoline_kernelINS0_14default_configENS1_38merge_sort_block_merge_config_selectorIisEEZZNS1_27merge_sort_block_merge_implIS3_N6thrust23THRUST_200600_302600_NS10device_ptrIiEENS9_IsEEjNS1_19radix_merge_compareILb0ELb1EiNS0_19identity_decomposerEEEEE10hipError_tT0_T1_T2_jT3_P12ihipStream_tbPNSt15iterator_traitsISG_E10value_typeEPNSM_ISH_E10value_typeEPSI_NS1_7vsmem_tEENKUlT_SG_SH_SI_E_clISA_PiSB_PsEESF_SV_SG_SH_SI_EUlSV_E1_NS1_11comp_targetILNS1_3genE10ELNS1_11target_archE1201ELNS1_3gpuE5ELNS1_3repE0EEENS1_36merge_oddeven_config_static_selectorELNS0_4arch9wavefront6targetE1EEEvSH_ ; -- Begin function _ZN7rocprim17ROCPRIM_400000_NS6detail17trampoline_kernelINS0_14default_configENS1_38merge_sort_block_merge_config_selectorIisEEZZNS1_27merge_sort_block_merge_implIS3_N6thrust23THRUST_200600_302600_NS10device_ptrIiEENS9_IsEEjNS1_19radix_merge_compareILb0ELb1EiNS0_19identity_decomposerEEEEE10hipError_tT0_T1_T2_jT3_P12ihipStream_tbPNSt15iterator_traitsISG_E10value_typeEPNSM_ISH_E10value_typeEPSI_NS1_7vsmem_tEENKUlT_SG_SH_SI_E_clISA_PiSB_PsEESF_SV_SG_SH_SI_EUlSV_E1_NS1_11comp_targetILNS1_3genE10ELNS1_11target_archE1201ELNS1_3gpuE5ELNS1_3repE0EEENS1_36merge_oddeven_config_static_selectorELNS0_4arch9wavefront6targetE1EEEvSH_
	.globl	_ZN7rocprim17ROCPRIM_400000_NS6detail17trampoline_kernelINS0_14default_configENS1_38merge_sort_block_merge_config_selectorIisEEZZNS1_27merge_sort_block_merge_implIS3_N6thrust23THRUST_200600_302600_NS10device_ptrIiEENS9_IsEEjNS1_19radix_merge_compareILb0ELb1EiNS0_19identity_decomposerEEEEE10hipError_tT0_T1_T2_jT3_P12ihipStream_tbPNSt15iterator_traitsISG_E10value_typeEPNSM_ISH_E10value_typeEPSI_NS1_7vsmem_tEENKUlT_SG_SH_SI_E_clISA_PiSB_PsEESF_SV_SG_SH_SI_EUlSV_E1_NS1_11comp_targetILNS1_3genE10ELNS1_11target_archE1201ELNS1_3gpuE5ELNS1_3repE0EEENS1_36merge_oddeven_config_static_selectorELNS0_4arch9wavefront6targetE1EEEvSH_
	.p2align	8
	.type	_ZN7rocprim17ROCPRIM_400000_NS6detail17trampoline_kernelINS0_14default_configENS1_38merge_sort_block_merge_config_selectorIisEEZZNS1_27merge_sort_block_merge_implIS3_N6thrust23THRUST_200600_302600_NS10device_ptrIiEENS9_IsEEjNS1_19radix_merge_compareILb0ELb1EiNS0_19identity_decomposerEEEEE10hipError_tT0_T1_T2_jT3_P12ihipStream_tbPNSt15iterator_traitsISG_E10value_typeEPNSM_ISH_E10value_typeEPSI_NS1_7vsmem_tEENKUlT_SG_SH_SI_E_clISA_PiSB_PsEESF_SV_SG_SH_SI_EUlSV_E1_NS1_11comp_targetILNS1_3genE10ELNS1_11target_archE1201ELNS1_3gpuE5ELNS1_3repE0EEENS1_36merge_oddeven_config_static_selectorELNS0_4arch9wavefront6targetE1EEEvSH_,@function
_ZN7rocprim17ROCPRIM_400000_NS6detail17trampoline_kernelINS0_14default_configENS1_38merge_sort_block_merge_config_selectorIisEEZZNS1_27merge_sort_block_merge_implIS3_N6thrust23THRUST_200600_302600_NS10device_ptrIiEENS9_IsEEjNS1_19radix_merge_compareILb0ELb1EiNS0_19identity_decomposerEEEEE10hipError_tT0_T1_T2_jT3_P12ihipStream_tbPNSt15iterator_traitsISG_E10value_typeEPNSM_ISH_E10value_typeEPSI_NS1_7vsmem_tEENKUlT_SG_SH_SI_E_clISA_PiSB_PsEESF_SV_SG_SH_SI_EUlSV_E1_NS1_11comp_targetILNS1_3genE10ELNS1_11target_archE1201ELNS1_3gpuE5ELNS1_3repE0EEENS1_36merge_oddeven_config_static_selectorELNS0_4arch9wavefront6targetE1EEEvSH_: ; @_ZN7rocprim17ROCPRIM_400000_NS6detail17trampoline_kernelINS0_14default_configENS1_38merge_sort_block_merge_config_selectorIisEEZZNS1_27merge_sort_block_merge_implIS3_N6thrust23THRUST_200600_302600_NS10device_ptrIiEENS9_IsEEjNS1_19radix_merge_compareILb0ELb1EiNS0_19identity_decomposerEEEEE10hipError_tT0_T1_T2_jT3_P12ihipStream_tbPNSt15iterator_traitsISG_E10value_typeEPNSM_ISH_E10value_typeEPSI_NS1_7vsmem_tEENKUlT_SG_SH_SI_E_clISA_PiSB_PsEESF_SV_SG_SH_SI_EUlSV_E1_NS1_11comp_targetILNS1_3genE10ELNS1_11target_archE1201ELNS1_3gpuE5ELNS1_3repE0EEENS1_36merge_oddeven_config_static_selectorELNS0_4arch9wavefront6targetE1EEEvSH_
; %bb.0:
	.section	.rodata,"a",@progbits
	.p2align	6, 0x0
	.amdhsa_kernel _ZN7rocprim17ROCPRIM_400000_NS6detail17trampoline_kernelINS0_14default_configENS1_38merge_sort_block_merge_config_selectorIisEEZZNS1_27merge_sort_block_merge_implIS3_N6thrust23THRUST_200600_302600_NS10device_ptrIiEENS9_IsEEjNS1_19radix_merge_compareILb0ELb1EiNS0_19identity_decomposerEEEEE10hipError_tT0_T1_T2_jT3_P12ihipStream_tbPNSt15iterator_traitsISG_E10value_typeEPNSM_ISH_E10value_typeEPSI_NS1_7vsmem_tEENKUlT_SG_SH_SI_E_clISA_PiSB_PsEESF_SV_SG_SH_SI_EUlSV_E1_NS1_11comp_targetILNS1_3genE10ELNS1_11target_archE1201ELNS1_3gpuE5ELNS1_3repE0EEENS1_36merge_oddeven_config_static_selectorELNS0_4arch9wavefront6targetE1EEEvSH_
		.amdhsa_group_segment_fixed_size 0
		.amdhsa_private_segment_fixed_size 0
		.amdhsa_kernarg_size 48
		.amdhsa_user_sgpr_count 2
		.amdhsa_user_sgpr_dispatch_ptr 0
		.amdhsa_user_sgpr_queue_ptr 0
		.amdhsa_user_sgpr_kernarg_segment_ptr 1
		.amdhsa_user_sgpr_dispatch_id 0
		.amdhsa_user_sgpr_kernarg_preload_length 0
		.amdhsa_user_sgpr_kernarg_preload_offset 0
		.amdhsa_user_sgpr_private_segment_size 0
		.amdhsa_uses_dynamic_stack 0
		.amdhsa_enable_private_segment 0
		.amdhsa_system_sgpr_workgroup_id_x 1
		.amdhsa_system_sgpr_workgroup_id_y 0
		.amdhsa_system_sgpr_workgroup_id_z 0
		.amdhsa_system_sgpr_workgroup_info 0
		.amdhsa_system_vgpr_workitem_id 0
		.amdhsa_next_free_vgpr 1
		.amdhsa_next_free_sgpr 0
		.amdhsa_accum_offset 4
		.amdhsa_reserve_vcc 0
		.amdhsa_float_round_mode_32 0
		.amdhsa_float_round_mode_16_64 0
		.amdhsa_float_denorm_mode_32 3
		.amdhsa_float_denorm_mode_16_64 3
		.amdhsa_dx10_clamp 1
		.amdhsa_ieee_mode 1
		.amdhsa_fp16_overflow 0
		.amdhsa_tg_split 0
		.amdhsa_exception_fp_ieee_invalid_op 0
		.amdhsa_exception_fp_denorm_src 0
		.amdhsa_exception_fp_ieee_div_zero 0
		.amdhsa_exception_fp_ieee_overflow 0
		.amdhsa_exception_fp_ieee_underflow 0
		.amdhsa_exception_fp_ieee_inexact 0
		.amdhsa_exception_int_div_zero 0
	.end_amdhsa_kernel
	.section	.text._ZN7rocprim17ROCPRIM_400000_NS6detail17trampoline_kernelINS0_14default_configENS1_38merge_sort_block_merge_config_selectorIisEEZZNS1_27merge_sort_block_merge_implIS3_N6thrust23THRUST_200600_302600_NS10device_ptrIiEENS9_IsEEjNS1_19radix_merge_compareILb0ELb1EiNS0_19identity_decomposerEEEEE10hipError_tT0_T1_T2_jT3_P12ihipStream_tbPNSt15iterator_traitsISG_E10value_typeEPNSM_ISH_E10value_typeEPSI_NS1_7vsmem_tEENKUlT_SG_SH_SI_E_clISA_PiSB_PsEESF_SV_SG_SH_SI_EUlSV_E1_NS1_11comp_targetILNS1_3genE10ELNS1_11target_archE1201ELNS1_3gpuE5ELNS1_3repE0EEENS1_36merge_oddeven_config_static_selectorELNS0_4arch9wavefront6targetE1EEEvSH_,"axG",@progbits,_ZN7rocprim17ROCPRIM_400000_NS6detail17trampoline_kernelINS0_14default_configENS1_38merge_sort_block_merge_config_selectorIisEEZZNS1_27merge_sort_block_merge_implIS3_N6thrust23THRUST_200600_302600_NS10device_ptrIiEENS9_IsEEjNS1_19radix_merge_compareILb0ELb1EiNS0_19identity_decomposerEEEEE10hipError_tT0_T1_T2_jT3_P12ihipStream_tbPNSt15iterator_traitsISG_E10value_typeEPNSM_ISH_E10value_typeEPSI_NS1_7vsmem_tEENKUlT_SG_SH_SI_E_clISA_PiSB_PsEESF_SV_SG_SH_SI_EUlSV_E1_NS1_11comp_targetILNS1_3genE10ELNS1_11target_archE1201ELNS1_3gpuE5ELNS1_3repE0EEENS1_36merge_oddeven_config_static_selectorELNS0_4arch9wavefront6targetE1EEEvSH_,comdat
.Lfunc_end2397:
	.size	_ZN7rocprim17ROCPRIM_400000_NS6detail17trampoline_kernelINS0_14default_configENS1_38merge_sort_block_merge_config_selectorIisEEZZNS1_27merge_sort_block_merge_implIS3_N6thrust23THRUST_200600_302600_NS10device_ptrIiEENS9_IsEEjNS1_19radix_merge_compareILb0ELb1EiNS0_19identity_decomposerEEEEE10hipError_tT0_T1_T2_jT3_P12ihipStream_tbPNSt15iterator_traitsISG_E10value_typeEPNSM_ISH_E10value_typeEPSI_NS1_7vsmem_tEENKUlT_SG_SH_SI_E_clISA_PiSB_PsEESF_SV_SG_SH_SI_EUlSV_E1_NS1_11comp_targetILNS1_3genE10ELNS1_11target_archE1201ELNS1_3gpuE5ELNS1_3repE0EEENS1_36merge_oddeven_config_static_selectorELNS0_4arch9wavefront6targetE1EEEvSH_, .Lfunc_end2397-_ZN7rocprim17ROCPRIM_400000_NS6detail17trampoline_kernelINS0_14default_configENS1_38merge_sort_block_merge_config_selectorIisEEZZNS1_27merge_sort_block_merge_implIS3_N6thrust23THRUST_200600_302600_NS10device_ptrIiEENS9_IsEEjNS1_19radix_merge_compareILb0ELb1EiNS0_19identity_decomposerEEEEE10hipError_tT0_T1_T2_jT3_P12ihipStream_tbPNSt15iterator_traitsISG_E10value_typeEPNSM_ISH_E10value_typeEPSI_NS1_7vsmem_tEENKUlT_SG_SH_SI_E_clISA_PiSB_PsEESF_SV_SG_SH_SI_EUlSV_E1_NS1_11comp_targetILNS1_3genE10ELNS1_11target_archE1201ELNS1_3gpuE5ELNS1_3repE0EEENS1_36merge_oddeven_config_static_selectorELNS0_4arch9wavefront6targetE1EEEvSH_
                                        ; -- End function
	.set _ZN7rocprim17ROCPRIM_400000_NS6detail17trampoline_kernelINS0_14default_configENS1_38merge_sort_block_merge_config_selectorIisEEZZNS1_27merge_sort_block_merge_implIS3_N6thrust23THRUST_200600_302600_NS10device_ptrIiEENS9_IsEEjNS1_19radix_merge_compareILb0ELb1EiNS0_19identity_decomposerEEEEE10hipError_tT0_T1_T2_jT3_P12ihipStream_tbPNSt15iterator_traitsISG_E10value_typeEPNSM_ISH_E10value_typeEPSI_NS1_7vsmem_tEENKUlT_SG_SH_SI_E_clISA_PiSB_PsEESF_SV_SG_SH_SI_EUlSV_E1_NS1_11comp_targetILNS1_3genE10ELNS1_11target_archE1201ELNS1_3gpuE5ELNS1_3repE0EEENS1_36merge_oddeven_config_static_selectorELNS0_4arch9wavefront6targetE1EEEvSH_.num_vgpr, 0
	.set _ZN7rocprim17ROCPRIM_400000_NS6detail17trampoline_kernelINS0_14default_configENS1_38merge_sort_block_merge_config_selectorIisEEZZNS1_27merge_sort_block_merge_implIS3_N6thrust23THRUST_200600_302600_NS10device_ptrIiEENS9_IsEEjNS1_19radix_merge_compareILb0ELb1EiNS0_19identity_decomposerEEEEE10hipError_tT0_T1_T2_jT3_P12ihipStream_tbPNSt15iterator_traitsISG_E10value_typeEPNSM_ISH_E10value_typeEPSI_NS1_7vsmem_tEENKUlT_SG_SH_SI_E_clISA_PiSB_PsEESF_SV_SG_SH_SI_EUlSV_E1_NS1_11comp_targetILNS1_3genE10ELNS1_11target_archE1201ELNS1_3gpuE5ELNS1_3repE0EEENS1_36merge_oddeven_config_static_selectorELNS0_4arch9wavefront6targetE1EEEvSH_.num_agpr, 0
	.set _ZN7rocprim17ROCPRIM_400000_NS6detail17trampoline_kernelINS0_14default_configENS1_38merge_sort_block_merge_config_selectorIisEEZZNS1_27merge_sort_block_merge_implIS3_N6thrust23THRUST_200600_302600_NS10device_ptrIiEENS9_IsEEjNS1_19radix_merge_compareILb0ELb1EiNS0_19identity_decomposerEEEEE10hipError_tT0_T1_T2_jT3_P12ihipStream_tbPNSt15iterator_traitsISG_E10value_typeEPNSM_ISH_E10value_typeEPSI_NS1_7vsmem_tEENKUlT_SG_SH_SI_E_clISA_PiSB_PsEESF_SV_SG_SH_SI_EUlSV_E1_NS1_11comp_targetILNS1_3genE10ELNS1_11target_archE1201ELNS1_3gpuE5ELNS1_3repE0EEENS1_36merge_oddeven_config_static_selectorELNS0_4arch9wavefront6targetE1EEEvSH_.numbered_sgpr, 0
	.set _ZN7rocprim17ROCPRIM_400000_NS6detail17trampoline_kernelINS0_14default_configENS1_38merge_sort_block_merge_config_selectorIisEEZZNS1_27merge_sort_block_merge_implIS3_N6thrust23THRUST_200600_302600_NS10device_ptrIiEENS9_IsEEjNS1_19radix_merge_compareILb0ELb1EiNS0_19identity_decomposerEEEEE10hipError_tT0_T1_T2_jT3_P12ihipStream_tbPNSt15iterator_traitsISG_E10value_typeEPNSM_ISH_E10value_typeEPSI_NS1_7vsmem_tEENKUlT_SG_SH_SI_E_clISA_PiSB_PsEESF_SV_SG_SH_SI_EUlSV_E1_NS1_11comp_targetILNS1_3genE10ELNS1_11target_archE1201ELNS1_3gpuE5ELNS1_3repE0EEENS1_36merge_oddeven_config_static_selectorELNS0_4arch9wavefront6targetE1EEEvSH_.num_named_barrier, 0
	.set _ZN7rocprim17ROCPRIM_400000_NS6detail17trampoline_kernelINS0_14default_configENS1_38merge_sort_block_merge_config_selectorIisEEZZNS1_27merge_sort_block_merge_implIS3_N6thrust23THRUST_200600_302600_NS10device_ptrIiEENS9_IsEEjNS1_19radix_merge_compareILb0ELb1EiNS0_19identity_decomposerEEEEE10hipError_tT0_T1_T2_jT3_P12ihipStream_tbPNSt15iterator_traitsISG_E10value_typeEPNSM_ISH_E10value_typeEPSI_NS1_7vsmem_tEENKUlT_SG_SH_SI_E_clISA_PiSB_PsEESF_SV_SG_SH_SI_EUlSV_E1_NS1_11comp_targetILNS1_3genE10ELNS1_11target_archE1201ELNS1_3gpuE5ELNS1_3repE0EEENS1_36merge_oddeven_config_static_selectorELNS0_4arch9wavefront6targetE1EEEvSH_.private_seg_size, 0
	.set _ZN7rocprim17ROCPRIM_400000_NS6detail17trampoline_kernelINS0_14default_configENS1_38merge_sort_block_merge_config_selectorIisEEZZNS1_27merge_sort_block_merge_implIS3_N6thrust23THRUST_200600_302600_NS10device_ptrIiEENS9_IsEEjNS1_19radix_merge_compareILb0ELb1EiNS0_19identity_decomposerEEEEE10hipError_tT0_T1_T2_jT3_P12ihipStream_tbPNSt15iterator_traitsISG_E10value_typeEPNSM_ISH_E10value_typeEPSI_NS1_7vsmem_tEENKUlT_SG_SH_SI_E_clISA_PiSB_PsEESF_SV_SG_SH_SI_EUlSV_E1_NS1_11comp_targetILNS1_3genE10ELNS1_11target_archE1201ELNS1_3gpuE5ELNS1_3repE0EEENS1_36merge_oddeven_config_static_selectorELNS0_4arch9wavefront6targetE1EEEvSH_.uses_vcc, 0
	.set _ZN7rocprim17ROCPRIM_400000_NS6detail17trampoline_kernelINS0_14default_configENS1_38merge_sort_block_merge_config_selectorIisEEZZNS1_27merge_sort_block_merge_implIS3_N6thrust23THRUST_200600_302600_NS10device_ptrIiEENS9_IsEEjNS1_19radix_merge_compareILb0ELb1EiNS0_19identity_decomposerEEEEE10hipError_tT0_T1_T2_jT3_P12ihipStream_tbPNSt15iterator_traitsISG_E10value_typeEPNSM_ISH_E10value_typeEPSI_NS1_7vsmem_tEENKUlT_SG_SH_SI_E_clISA_PiSB_PsEESF_SV_SG_SH_SI_EUlSV_E1_NS1_11comp_targetILNS1_3genE10ELNS1_11target_archE1201ELNS1_3gpuE5ELNS1_3repE0EEENS1_36merge_oddeven_config_static_selectorELNS0_4arch9wavefront6targetE1EEEvSH_.uses_flat_scratch, 0
	.set _ZN7rocprim17ROCPRIM_400000_NS6detail17trampoline_kernelINS0_14default_configENS1_38merge_sort_block_merge_config_selectorIisEEZZNS1_27merge_sort_block_merge_implIS3_N6thrust23THRUST_200600_302600_NS10device_ptrIiEENS9_IsEEjNS1_19radix_merge_compareILb0ELb1EiNS0_19identity_decomposerEEEEE10hipError_tT0_T1_T2_jT3_P12ihipStream_tbPNSt15iterator_traitsISG_E10value_typeEPNSM_ISH_E10value_typeEPSI_NS1_7vsmem_tEENKUlT_SG_SH_SI_E_clISA_PiSB_PsEESF_SV_SG_SH_SI_EUlSV_E1_NS1_11comp_targetILNS1_3genE10ELNS1_11target_archE1201ELNS1_3gpuE5ELNS1_3repE0EEENS1_36merge_oddeven_config_static_selectorELNS0_4arch9wavefront6targetE1EEEvSH_.has_dyn_sized_stack, 0
	.set _ZN7rocprim17ROCPRIM_400000_NS6detail17trampoline_kernelINS0_14default_configENS1_38merge_sort_block_merge_config_selectorIisEEZZNS1_27merge_sort_block_merge_implIS3_N6thrust23THRUST_200600_302600_NS10device_ptrIiEENS9_IsEEjNS1_19radix_merge_compareILb0ELb1EiNS0_19identity_decomposerEEEEE10hipError_tT0_T1_T2_jT3_P12ihipStream_tbPNSt15iterator_traitsISG_E10value_typeEPNSM_ISH_E10value_typeEPSI_NS1_7vsmem_tEENKUlT_SG_SH_SI_E_clISA_PiSB_PsEESF_SV_SG_SH_SI_EUlSV_E1_NS1_11comp_targetILNS1_3genE10ELNS1_11target_archE1201ELNS1_3gpuE5ELNS1_3repE0EEENS1_36merge_oddeven_config_static_selectorELNS0_4arch9wavefront6targetE1EEEvSH_.has_recursion, 0
	.set _ZN7rocprim17ROCPRIM_400000_NS6detail17trampoline_kernelINS0_14default_configENS1_38merge_sort_block_merge_config_selectorIisEEZZNS1_27merge_sort_block_merge_implIS3_N6thrust23THRUST_200600_302600_NS10device_ptrIiEENS9_IsEEjNS1_19radix_merge_compareILb0ELb1EiNS0_19identity_decomposerEEEEE10hipError_tT0_T1_T2_jT3_P12ihipStream_tbPNSt15iterator_traitsISG_E10value_typeEPNSM_ISH_E10value_typeEPSI_NS1_7vsmem_tEENKUlT_SG_SH_SI_E_clISA_PiSB_PsEESF_SV_SG_SH_SI_EUlSV_E1_NS1_11comp_targetILNS1_3genE10ELNS1_11target_archE1201ELNS1_3gpuE5ELNS1_3repE0EEENS1_36merge_oddeven_config_static_selectorELNS0_4arch9wavefront6targetE1EEEvSH_.has_indirect_call, 0
	.section	.AMDGPU.csdata,"",@progbits
; Kernel info:
; codeLenInByte = 0
; TotalNumSgprs: 6
; NumVgprs: 0
; NumAgprs: 0
; TotalNumVgprs: 0
; ScratchSize: 0
; MemoryBound: 0
; FloatMode: 240
; IeeeMode: 1
; LDSByteSize: 0 bytes/workgroup (compile time only)
; SGPRBlocks: 0
; VGPRBlocks: 0
; NumSGPRsForWavesPerEU: 6
; NumVGPRsForWavesPerEU: 1
; AccumOffset: 4
; Occupancy: 8
; WaveLimiterHint : 0
; COMPUTE_PGM_RSRC2:SCRATCH_EN: 0
; COMPUTE_PGM_RSRC2:USER_SGPR: 2
; COMPUTE_PGM_RSRC2:TRAP_HANDLER: 0
; COMPUTE_PGM_RSRC2:TGID_X_EN: 1
; COMPUTE_PGM_RSRC2:TGID_Y_EN: 0
; COMPUTE_PGM_RSRC2:TGID_Z_EN: 0
; COMPUTE_PGM_RSRC2:TIDIG_COMP_CNT: 0
; COMPUTE_PGM_RSRC3_GFX90A:ACCUM_OFFSET: 0
; COMPUTE_PGM_RSRC3_GFX90A:TG_SPLIT: 0
	.section	.text._ZN7rocprim17ROCPRIM_400000_NS6detail17trampoline_kernelINS0_14default_configENS1_38merge_sort_block_merge_config_selectorIisEEZZNS1_27merge_sort_block_merge_implIS3_N6thrust23THRUST_200600_302600_NS10device_ptrIiEENS9_IsEEjNS1_19radix_merge_compareILb0ELb1EiNS0_19identity_decomposerEEEEE10hipError_tT0_T1_T2_jT3_P12ihipStream_tbPNSt15iterator_traitsISG_E10value_typeEPNSM_ISH_E10value_typeEPSI_NS1_7vsmem_tEENKUlT_SG_SH_SI_E_clISA_PiSB_PsEESF_SV_SG_SH_SI_EUlSV_E1_NS1_11comp_targetILNS1_3genE5ELNS1_11target_archE942ELNS1_3gpuE9ELNS1_3repE0EEENS1_36merge_oddeven_config_static_selectorELNS0_4arch9wavefront6targetE1EEEvSH_,"axG",@progbits,_ZN7rocprim17ROCPRIM_400000_NS6detail17trampoline_kernelINS0_14default_configENS1_38merge_sort_block_merge_config_selectorIisEEZZNS1_27merge_sort_block_merge_implIS3_N6thrust23THRUST_200600_302600_NS10device_ptrIiEENS9_IsEEjNS1_19radix_merge_compareILb0ELb1EiNS0_19identity_decomposerEEEEE10hipError_tT0_T1_T2_jT3_P12ihipStream_tbPNSt15iterator_traitsISG_E10value_typeEPNSM_ISH_E10value_typeEPSI_NS1_7vsmem_tEENKUlT_SG_SH_SI_E_clISA_PiSB_PsEESF_SV_SG_SH_SI_EUlSV_E1_NS1_11comp_targetILNS1_3genE5ELNS1_11target_archE942ELNS1_3gpuE9ELNS1_3repE0EEENS1_36merge_oddeven_config_static_selectorELNS0_4arch9wavefront6targetE1EEEvSH_,comdat
	.protected	_ZN7rocprim17ROCPRIM_400000_NS6detail17trampoline_kernelINS0_14default_configENS1_38merge_sort_block_merge_config_selectorIisEEZZNS1_27merge_sort_block_merge_implIS3_N6thrust23THRUST_200600_302600_NS10device_ptrIiEENS9_IsEEjNS1_19radix_merge_compareILb0ELb1EiNS0_19identity_decomposerEEEEE10hipError_tT0_T1_T2_jT3_P12ihipStream_tbPNSt15iterator_traitsISG_E10value_typeEPNSM_ISH_E10value_typeEPSI_NS1_7vsmem_tEENKUlT_SG_SH_SI_E_clISA_PiSB_PsEESF_SV_SG_SH_SI_EUlSV_E1_NS1_11comp_targetILNS1_3genE5ELNS1_11target_archE942ELNS1_3gpuE9ELNS1_3repE0EEENS1_36merge_oddeven_config_static_selectorELNS0_4arch9wavefront6targetE1EEEvSH_ ; -- Begin function _ZN7rocprim17ROCPRIM_400000_NS6detail17trampoline_kernelINS0_14default_configENS1_38merge_sort_block_merge_config_selectorIisEEZZNS1_27merge_sort_block_merge_implIS3_N6thrust23THRUST_200600_302600_NS10device_ptrIiEENS9_IsEEjNS1_19radix_merge_compareILb0ELb1EiNS0_19identity_decomposerEEEEE10hipError_tT0_T1_T2_jT3_P12ihipStream_tbPNSt15iterator_traitsISG_E10value_typeEPNSM_ISH_E10value_typeEPSI_NS1_7vsmem_tEENKUlT_SG_SH_SI_E_clISA_PiSB_PsEESF_SV_SG_SH_SI_EUlSV_E1_NS1_11comp_targetILNS1_3genE5ELNS1_11target_archE942ELNS1_3gpuE9ELNS1_3repE0EEENS1_36merge_oddeven_config_static_selectorELNS0_4arch9wavefront6targetE1EEEvSH_
	.globl	_ZN7rocprim17ROCPRIM_400000_NS6detail17trampoline_kernelINS0_14default_configENS1_38merge_sort_block_merge_config_selectorIisEEZZNS1_27merge_sort_block_merge_implIS3_N6thrust23THRUST_200600_302600_NS10device_ptrIiEENS9_IsEEjNS1_19radix_merge_compareILb0ELb1EiNS0_19identity_decomposerEEEEE10hipError_tT0_T1_T2_jT3_P12ihipStream_tbPNSt15iterator_traitsISG_E10value_typeEPNSM_ISH_E10value_typeEPSI_NS1_7vsmem_tEENKUlT_SG_SH_SI_E_clISA_PiSB_PsEESF_SV_SG_SH_SI_EUlSV_E1_NS1_11comp_targetILNS1_3genE5ELNS1_11target_archE942ELNS1_3gpuE9ELNS1_3repE0EEENS1_36merge_oddeven_config_static_selectorELNS0_4arch9wavefront6targetE1EEEvSH_
	.p2align	8
	.type	_ZN7rocprim17ROCPRIM_400000_NS6detail17trampoline_kernelINS0_14default_configENS1_38merge_sort_block_merge_config_selectorIisEEZZNS1_27merge_sort_block_merge_implIS3_N6thrust23THRUST_200600_302600_NS10device_ptrIiEENS9_IsEEjNS1_19radix_merge_compareILb0ELb1EiNS0_19identity_decomposerEEEEE10hipError_tT0_T1_T2_jT3_P12ihipStream_tbPNSt15iterator_traitsISG_E10value_typeEPNSM_ISH_E10value_typeEPSI_NS1_7vsmem_tEENKUlT_SG_SH_SI_E_clISA_PiSB_PsEESF_SV_SG_SH_SI_EUlSV_E1_NS1_11comp_targetILNS1_3genE5ELNS1_11target_archE942ELNS1_3gpuE9ELNS1_3repE0EEENS1_36merge_oddeven_config_static_selectorELNS0_4arch9wavefront6targetE1EEEvSH_,@function
_ZN7rocprim17ROCPRIM_400000_NS6detail17trampoline_kernelINS0_14default_configENS1_38merge_sort_block_merge_config_selectorIisEEZZNS1_27merge_sort_block_merge_implIS3_N6thrust23THRUST_200600_302600_NS10device_ptrIiEENS9_IsEEjNS1_19radix_merge_compareILb0ELb1EiNS0_19identity_decomposerEEEEE10hipError_tT0_T1_T2_jT3_P12ihipStream_tbPNSt15iterator_traitsISG_E10value_typeEPNSM_ISH_E10value_typeEPSI_NS1_7vsmem_tEENKUlT_SG_SH_SI_E_clISA_PiSB_PsEESF_SV_SG_SH_SI_EUlSV_E1_NS1_11comp_targetILNS1_3genE5ELNS1_11target_archE942ELNS1_3gpuE9ELNS1_3repE0EEENS1_36merge_oddeven_config_static_selectorELNS0_4arch9wavefront6targetE1EEEvSH_: ; @_ZN7rocprim17ROCPRIM_400000_NS6detail17trampoline_kernelINS0_14default_configENS1_38merge_sort_block_merge_config_selectorIisEEZZNS1_27merge_sort_block_merge_implIS3_N6thrust23THRUST_200600_302600_NS10device_ptrIiEENS9_IsEEjNS1_19radix_merge_compareILb0ELb1EiNS0_19identity_decomposerEEEEE10hipError_tT0_T1_T2_jT3_P12ihipStream_tbPNSt15iterator_traitsISG_E10value_typeEPNSM_ISH_E10value_typeEPSI_NS1_7vsmem_tEENKUlT_SG_SH_SI_E_clISA_PiSB_PsEESF_SV_SG_SH_SI_EUlSV_E1_NS1_11comp_targetILNS1_3genE5ELNS1_11target_archE942ELNS1_3gpuE9ELNS1_3repE0EEENS1_36merge_oddeven_config_static_selectorELNS0_4arch9wavefront6targetE1EEEvSH_
; %bb.0:
	.section	.rodata,"a",@progbits
	.p2align	6, 0x0
	.amdhsa_kernel _ZN7rocprim17ROCPRIM_400000_NS6detail17trampoline_kernelINS0_14default_configENS1_38merge_sort_block_merge_config_selectorIisEEZZNS1_27merge_sort_block_merge_implIS3_N6thrust23THRUST_200600_302600_NS10device_ptrIiEENS9_IsEEjNS1_19radix_merge_compareILb0ELb1EiNS0_19identity_decomposerEEEEE10hipError_tT0_T1_T2_jT3_P12ihipStream_tbPNSt15iterator_traitsISG_E10value_typeEPNSM_ISH_E10value_typeEPSI_NS1_7vsmem_tEENKUlT_SG_SH_SI_E_clISA_PiSB_PsEESF_SV_SG_SH_SI_EUlSV_E1_NS1_11comp_targetILNS1_3genE5ELNS1_11target_archE942ELNS1_3gpuE9ELNS1_3repE0EEENS1_36merge_oddeven_config_static_selectorELNS0_4arch9wavefront6targetE1EEEvSH_
		.amdhsa_group_segment_fixed_size 0
		.amdhsa_private_segment_fixed_size 0
		.amdhsa_kernarg_size 48
		.amdhsa_user_sgpr_count 2
		.amdhsa_user_sgpr_dispatch_ptr 0
		.amdhsa_user_sgpr_queue_ptr 0
		.amdhsa_user_sgpr_kernarg_segment_ptr 1
		.amdhsa_user_sgpr_dispatch_id 0
		.amdhsa_user_sgpr_kernarg_preload_length 0
		.amdhsa_user_sgpr_kernarg_preload_offset 0
		.amdhsa_user_sgpr_private_segment_size 0
		.amdhsa_uses_dynamic_stack 0
		.amdhsa_enable_private_segment 0
		.amdhsa_system_sgpr_workgroup_id_x 1
		.amdhsa_system_sgpr_workgroup_id_y 0
		.amdhsa_system_sgpr_workgroup_id_z 0
		.amdhsa_system_sgpr_workgroup_info 0
		.amdhsa_system_vgpr_workitem_id 0
		.amdhsa_next_free_vgpr 1
		.amdhsa_next_free_sgpr 0
		.amdhsa_accum_offset 4
		.amdhsa_reserve_vcc 0
		.amdhsa_float_round_mode_32 0
		.amdhsa_float_round_mode_16_64 0
		.amdhsa_float_denorm_mode_32 3
		.amdhsa_float_denorm_mode_16_64 3
		.amdhsa_dx10_clamp 1
		.amdhsa_ieee_mode 1
		.amdhsa_fp16_overflow 0
		.amdhsa_tg_split 0
		.amdhsa_exception_fp_ieee_invalid_op 0
		.amdhsa_exception_fp_denorm_src 0
		.amdhsa_exception_fp_ieee_div_zero 0
		.amdhsa_exception_fp_ieee_overflow 0
		.amdhsa_exception_fp_ieee_underflow 0
		.amdhsa_exception_fp_ieee_inexact 0
		.amdhsa_exception_int_div_zero 0
	.end_amdhsa_kernel
	.section	.text._ZN7rocprim17ROCPRIM_400000_NS6detail17trampoline_kernelINS0_14default_configENS1_38merge_sort_block_merge_config_selectorIisEEZZNS1_27merge_sort_block_merge_implIS3_N6thrust23THRUST_200600_302600_NS10device_ptrIiEENS9_IsEEjNS1_19radix_merge_compareILb0ELb1EiNS0_19identity_decomposerEEEEE10hipError_tT0_T1_T2_jT3_P12ihipStream_tbPNSt15iterator_traitsISG_E10value_typeEPNSM_ISH_E10value_typeEPSI_NS1_7vsmem_tEENKUlT_SG_SH_SI_E_clISA_PiSB_PsEESF_SV_SG_SH_SI_EUlSV_E1_NS1_11comp_targetILNS1_3genE5ELNS1_11target_archE942ELNS1_3gpuE9ELNS1_3repE0EEENS1_36merge_oddeven_config_static_selectorELNS0_4arch9wavefront6targetE1EEEvSH_,"axG",@progbits,_ZN7rocprim17ROCPRIM_400000_NS6detail17trampoline_kernelINS0_14default_configENS1_38merge_sort_block_merge_config_selectorIisEEZZNS1_27merge_sort_block_merge_implIS3_N6thrust23THRUST_200600_302600_NS10device_ptrIiEENS9_IsEEjNS1_19radix_merge_compareILb0ELb1EiNS0_19identity_decomposerEEEEE10hipError_tT0_T1_T2_jT3_P12ihipStream_tbPNSt15iterator_traitsISG_E10value_typeEPNSM_ISH_E10value_typeEPSI_NS1_7vsmem_tEENKUlT_SG_SH_SI_E_clISA_PiSB_PsEESF_SV_SG_SH_SI_EUlSV_E1_NS1_11comp_targetILNS1_3genE5ELNS1_11target_archE942ELNS1_3gpuE9ELNS1_3repE0EEENS1_36merge_oddeven_config_static_selectorELNS0_4arch9wavefront6targetE1EEEvSH_,comdat
.Lfunc_end2398:
	.size	_ZN7rocprim17ROCPRIM_400000_NS6detail17trampoline_kernelINS0_14default_configENS1_38merge_sort_block_merge_config_selectorIisEEZZNS1_27merge_sort_block_merge_implIS3_N6thrust23THRUST_200600_302600_NS10device_ptrIiEENS9_IsEEjNS1_19radix_merge_compareILb0ELb1EiNS0_19identity_decomposerEEEEE10hipError_tT0_T1_T2_jT3_P12ihipStream_tbPNSt15iterator_traitsISG_E10value_typeEPNSM_ISH_E10value_typeEPSI_NS1_7vsmem_tEENKUlT_SG_SH_SI_E_clISA_PiSB_PsEESF_SV_SG_SH_SI_EUlSV_E1_NS1_11comp_targetILNS1_3genE5ELNS1_11target_archE942ELNS1_3gpuE9ELNS1_3repE0EEENS1_36merge_oddeven_config_static_selectorELNS0_4arch9wavefront6targetE1EEEvSH_, .Lfunc_end2398-_ZN7rocprim17ROCPRIM_400000_NS6detail17trampoline_kernelINS0_14default_configENS1_38merge_sort_block_merge_config_selectorIisEEZZNS1_27merge_sort_block_merge_implIS3_N6thrust23THRUST_200600_302600_NS10device_ptrIiEENS9_IsEEjNS1_19radix_merge_compareILb0ELb1EiNS0_19identity_decomposerEEEEE10hipError_tT0_T1_T2_jT3_P12ihipStream_tbPNSt15iterator_traitsISG_E10value_typeEPNSM_ISH_E10value_typeEPSI_NS1_7vsmem_tEENKUlT_SG_SH_SI_E_clISA_PiSB_PsEESF_SV_SG_SH_SI_EUlSV_E1_NS1_11comp_targetILNS1_3genE5ELNS1_11target_archE942ELNS1_3gpuE9ELNS1_3repE0EEENS1_36merge_oddeven_config_static_selectorELNS0_4arch9wavefront6targetE1EEEvSH_
                                        ; -- End function
	.set _ZN7rocprim17ROCPRIM_400000_NS6detail17trampoline_kernelINS0_14default_configENS1_38merge_sort_block_merge_config_selectorIisEEZZNS1_27merge_sort_block_merge_implIS3_N6thrust23THRUST_200600_302600_NS10device_ptrIiEENS9_IsEEjNS1_19radix_merge_compareILb0ELb1EiNS0_19identity_decomposerEEEEE10hipError_tT0_T1_T2_jT3_P12ihipStream_tbPNSt15iterator_traitsISG_E10value_typeEPNSM_ISH_E10value_typeEPSI_NS1_7vsmem_tEENKUlT_SG_SH_SI_E_clISA_PiSB_PsEESF_SV_SG_SH_SI_EUlSV_E1_NS1_11comp_targetILNS1_3genE5ELNS1_11target_archE942ELNS1_3gpuE9ELNS1_3repE0EEENS1_36merge_oddeven_config_static_selectorELNS0_4arch9wavefront6targetE1EEEvSH_.num_vgpr, 0
	.set _ZN7rocprim17ROCPRIM_400000_NS6detail17trampoline_kernelINS0_14default_configENS1_38merge_sort_block_merge_config_selectorIisEEZZNS1_27merge_sort_block_merge_implIS3_N6thrust23THRUST_200600_302600_NS10device_ptrIiEENS9_IsEEjNS1_19radix_merge_compareILb0ELb1EiNS0_19identity_decomposerEEEEE10hipError_tT0_T1_T2_jT3_P12ihipStream_tbPNSt15iterator_traitsISG_E10value_typeEPNSM_ISH_E10value_typeEPSI_NS1_7vsmem_tEENKUlT_SG_SH_SI_E_clISA_PiSB_PsEESF_SV_SG_SH_SI_EUlSV_E1_NS1_11comp_targetILNS1_3genE5ELNS1_11target_archE942ELNS1_3gpuE9ELNS1_3repE0EEENS1_36merge_oddeven_config_static_selectorELNS0_4arch9wavefront6targetE1EEEvSH_.num_agpr, 0
	.set _ZN7rocprim17ROCPRIM_400000_NS6detail17trampoline_kernelINS0_14default_configENS1_38merge_sort_block_merge_config_selectorIisEEZZNS1_27merge_sort_block_merge_implIS3_N6thrust23THRUST_200600_302600_NS10device_ptrIiEENS9_IsEEjNS1_19radix_merge_compareILb0ELb1EiNS0_19identity_decomposerEEEEE10hipError_tT0_T1_T2_jT3_P12ihipStream_tbPNSt15iterator_traitsISG_E10value_typeEPNSM_ISH_E10value_typeEPSI_NS1_7vsmem_tEENKUlT_SG_SH_SI_E_clISA_PiSB_PsEESF_SV_SG_SH_SI_EUlSV_E1_NS1_11comp_targetILNS1_3genE5ELNS1_11target_archE942ELNS1_3gpuE9ELNS1_3repE0EEENS1_36merge_oddeven_config_static_selectorELNS0_4arch9wavefront6targetE1EEEvSH_.numbered_sgpr, 0
	.set _ZN7rocprim17ROCPRIM_400000_NS6detail17trampoline_kernelINS0_14default_configENS1_38merge_sort_block_merge_config_selectorIisEEZZNS1_27merge_sort_block_merge_implIS3_N6thrust23THRUST_200600_302600_NS10device_ptrIiEENS9_IsEEjNS1_19radix_merge_compareILb0ELb1EiNS0_19identity_decomposerEEEEE10hipError_tT0_T1_T2_jT3_P12ihipStream_tbPNSt15iterator_traitsISG_E10value_typeEPNSM_ISH_E10value_typeEPSI_NS1_7vsmem_tEENKUlT_SG_SH_SI_E_clISA_PiSB_PsEESF_SV_SG_SH_SI_EUlSV_E1_NS1_11comp_targetILNS1_3genE5ELNS1_11target_archE942ELNS1_3gpuE9ELNS1_3repE0EEENS1_36merge_oddeven_config_static_selectorELNS0_4arch9wavefront6targetE1EEEvSH_.num_named_barrier, 0
	.set _ZN7rocprim17ROCPRIM_400000_NS6detail17trampoline_kernelINS0_14default_configENS1_38merge_sort_block_merge_config_selectorIisEEZZNS1_27merge_sort_block_merge_implIS3_N6thrust23THRUST_200600_302600_NS10device_ptrIiEENS9_IsEEjNS1_19radix_merge_compareILb0ELb1EiNS0_19identity_decomposerEEEEE10hipError_tT0_T1_T2_jT3_P12ihipStream_tbPNSt15iterator_traitsISG_E10value_typeEPNSM_ISH_E10value_typeEPSI_NS1_7vsmem_tEENKUlT_SG_SH_SI_E_clISA_PiSB_PsEESF_SV_SG_SH_SI_EUlSV_E1_NS1_11comp_targetILNS1_3genE5ELNS1_11target_archE942ELNS1_3gpuE9ELNS1_3repE0EEENS1_36merge_oddeven_config_static_selectorELNS0_4arch9wavefront6targetE1EEEvSH_.private_seg_size, 0
	.set _ZN7rocprim17ROCPRIM_400000_NS6detail17trampoline_kernelINS0_14default_configENS1_38merge_sort_block_merge_config_selectorIisEEZZNS1_27merge_sort_block_merge_implIS3_N6thrust23THRUST_200600_302600_NS10device_ptrIiEENS9_IsEEjNS1_19radix_merge_compareILb0ELb1EiNS0_19identity_decomposerEEEEE10hipError_tT0_T1_T2_jT3_P12ihipStream_tbPNSt15iterator_traitsISG_E10value_typeEPNSM_ISH_E10value_typeEPSI_NS1_7vsmem_tEENKUlT_SG_SH_SI_E_clISA_PiSB_PsEESF_SV_SG_SH_SI_EUlSV_E1_NS1_11comp_targetILNS1_3genE5ELNS1_11target_archE942ELNS1_3gpuE9ELNS1_3repE0EEENS1_36merge_oddeven_config_static_selectorELNS0_4arch9wavefront6targetE1EEEvSH_.uses_vcc, 0
	.set _ZN7rocprim17ROCPRIM_400000_NS6detail17trampoline_kernelINS0_14default_configENS1_38merge_sort_block_merge_config_selectorIisEEZZNS1_27merge_sort_block_merge_implIS3_N6thrust23THRUST_200600_302600_NS10device_ptrIiEENS9_IsEEjNS1_19radix_merge_compareILb0ELb1EiNS0_19identity_decomposerEEEEE10hipError_tT0_T1_T2_jT3_P12ihipStream_tbPNSt15iterator_traitsISG_E10value_typeEPNSM_ISH_E10value_typeEPSI_NS1_7vsmem_tEENKUlT_SG_SH_SI_E_clISA_PiSB_PsEESF_SV_SG_SH_SI_EUlSV_E1_NS1_11comp_targetILNS1_3genE5ELNS1_11target_archE942ELNS1_3gpuE9ELNS1_3repE0EEENS1_36merge_oddeven_config_static_selectorELNS0_4arch9wavefront6targetE1EEEvSH_.uses_flat_scratch, 0
	.set _ZN7rocprim17ROCPRIM_400000_NS6detail17trampoline_kernelINS0_14default_configENS1_38merge_sort_block_merge_config_selectorIisEEZZNS1_27merge_sort_block_merge_implIS3_N6thrust23THRUST_200600_302600_NS10device_ptrIiEENS9_IsEEjNS1_19radix_merge_compareILb0ELb1EiNS0_19identity_decomposerEEEEE10hipError_tT0_T1_T2_jT3_P12ihipStream_tbPNSt15iterator_traitsISG_E10value_typeEPNSM_ISH_E10value_typeEPSI_NS1_7vsmem_tEENKUlT_SG_SH_SI_E_clISA_PiSB_PsEESF_SV_SG_SH_SI_EUlSV_E1_NS1_11comp_targetILNS1_3genE5ELNS1_11target_archE942ELNS1_3gpuE9ELNS1_3repE0EEENS1_36merge_oddeven_config_static_selectorELNS0_4arch9wavefront6targetE1EEEvSH_.has_dyn_sized_stack, 0
	.set _ZN7rocprim17ROCPRIM_400000_NS6detail17trampoline_kernelINS0_14default_configENS1_38merge_sort_block_merge_config_selectorIisEEZZNS1_27merge_sort_block_merge_implIS3_N6thrust23THRUST_200600_302600_NS10device_ptrIiEENS9_IsEEjNS1_19radix_merge_compareILb0ELb1EiNS0_19identity_decomposerEEEEE10hipError_tT0_T1_T2_jT3_P12ihipStream_tbPNSt15iterator_traitsISG_E10value_typeEPNSM_ISH_E10value_typeEPSI_NS1_7vsmem_tEENKUlT_SG_SH_SI_E_clISA_PiSB_PsEESF_SV_SG_SH_SI_EUlSV_E1_NS1_11comp_targetILNS1_3genE5ELNS1_11target_archE942ELNS1_3gpuE9ELNS1_3repE0EEENS1_36merge_oddeven_config_static_selectorELNS0_4arch9wavefront6targetE1EEEvSH_.has_recursion, 0
	.set _ZN7rocprim17ROCPRIM_400000_NS6detail17trampoline_kernelINS0_14default_configENS1_38merge_sort_block_merge_config_selectorIisEEZZNS1_27merge_sort_block_merge_implIS3_N6thrust23THRUST_200600_302600_NS10device_ptrIiEENS9_IsEEjNS1_19radix_merge_compareILb0ELb1EiNS0_19identity_decomposerEEEEE10hipError_tT0_T1_T2_jT3_P12ihipStream_tbPNSt15iterator_traitsISG_E10value_typeEPNSM_ISH_E10value_typeEPSI_NS1_7vsmem_tEENKUlT_SG_SH_SI_E_clISA_PiSB_PsEESF_SV_SG_SH_SI_EUlSV_E1_NS1_11comp_targetILNS1_3genE5ELNS1_11target_archE942ELNS1_3gpuE9ELNS1_3repE0EEENS1_36merge_oddeven_config_static_selectorELNS0_4arch9wavefront6targetE1EEEvSH_.has_indirect_call, 0
	.section	.AMDGPU.csdata,"",@progbits
; Kernel info:
; codeLenInByte = 0
; TotalNumSgprs: 6
; NumVgprs: 0
; NumAgprs: 0
; TotalNumVgprs: 0
; ScratchSize: 0
; MemoryBound: 0
; FloatMode: 240
; IeeeMode: 1
; LDSByteSize: 0 bytes/workgroup (compile time only)
; SGPRBlocks: 0
; VGPRBlocks: 0
; NumSGPRsForWavesPerEU: 6
; NumVGPRsForWavesPerEU: 1
; AccumOffset: 4
; Occupancy: 8
; WaveLimiterHint : 0
; COMPUTE_PGM_RSRC2:SCRATCH_EN: 0
; COMPUTE_PGM_RSRC2:USER_SGPR: 2
; COMPUTE_PGM_RSRC2:TRAP_HANDLER: 0
; COMPUTE_PGM_RSRC2:TGID_X_EN: 1
; COMPUTE_PGM_RSRC2:TGID_Y_EN: 0
; COMPUTE_PGM_RSRC2:TGID_Z_EN: 0
; COMPUTE_PGM_RSRC2:TIDIG_COMP_CNT: 0
; COMPUTE_PGM_RSRC3_GFX90A:ACCUM_OFFSET: 0
; COMPUTE_PGM_RSRC3_GFX90A:TG_SPLIT: 0
	.section	.text._ZN7rocprim17ROCPRIM_400000_NS6detail17trampoline_kernelINS0_14default_configENS1_38merge_sort_block_merge_config_selectorIisEEZZNS1_27merge_sort_block_merge_implIS3_N6thrust23THRUST_200600_302600_NS10device_ptrIiEENS9_IsEEjNS1_19radix_merge_compareILb0ELb1EiNS0_19identity_decomposerEEEEE10hipError_tT0_T1_T2_jT3_P12ihipStream_tbPNSt15iterator_traitsISG_E10value_typeEPNSM_ISH_E10value_typeEPSI_NS1_7vsmem_tEENKUlT_SG_SH_SI_E_clISA_PiSB_PsEESF_SV_SG_SH_SI_EUlSV_E1_NS1_11comp_targetILNS1_3genE4ELNS1_11target_archE910ELNS1_3gpuE8ELNS1_3repE0EEENS1_36merge_oddeven_config_static_selectorELNS0_4arch9wavefront6targetE1EEEvSH_,"axG",@progbits,_ZN7rocprim17ROCPRIM_400000_NS6detail17trampoline_kernelINS0_14default_configENS1_38merge_sort_block_merge_config_selectorIisEEZZNS1_27merge_sort_block_merge_implIS3_N6thrust23THRUST_200600_302600_NS10device_ptrIiEENS9_IsEEjNS1_19radix_merge_compareILb0ELb1EiNS0_19identity_decomposerEEEEE10hipError_tT0_T1_T2_jT3_P12ihipStream_tbPNSt15iterator_traitsISG_E10value_typeEPNSM_ISH_E10value_typeEPSI_NS1_7vsmem_tEENKUlT_SG_SH_SI_E_clISA_PiSB_PsEESF_SV_SG_SH_SI_EUlSV_E1_NS1_11comp_targetILNS1_3genE4ELNS1_11target_archE910ELNS1_3gpuE8ELNS1_3repE0EEENS1_36merge_oddeven_config_static_selectorELNS0_4arch9wavefront6targetE1EEEvSH_,comdat
	.protected	_ZN7rocprim17ROCPRIM_400000_NS6detail17trampoline_kernelINS0_14default_configENS1_38merge_sort_block_merge_config_selectorIisEEZZNS1_27merge_sort_block_merge_implIS3_N6thrust23THRUST_200600_302600_NS10device_ptrIiEENS9_IsEEjNS1_19radix_merge_compareILb0ELb1EiNS0_19identity_decomposerEEEEE10hipError_tT0_T1_T2_jT3_P12ihipStream_tbPNSt15iterator_traitsISG_E10value_typeEPNSM_ISH_E10value_typeEPSI_NS1_7vsmem_tEENKUlT_SG_SH_SI_E_clISA_PiSB_PsEESF_SV_SG_SH_SI_EUlSV_E1_NS1_11comp_targetILNS1_3genE4ELNS1_11target_archE910ELNS1_3gpuE8ELNS1_3repE0EEENS1_36merge_oddeven_config_static_selectorELNS0_4arch9wavefront6targetE1EEEvSH_ ; -- Begin function _ZN7rocprim17ROCPRIM_400000_NS6detail17trampoline_kernelINS0_14default_configENS1_38merge_sort_block_merge_config_selectorIisEEZZNS1_27merge_sort_block_merge_implIS3_N6thrust23THRUST_200600_302600_NS10device_ptrIiEENS9_IsEEjNS1_19radix_merge_compareILb0ELb1EiNS0_19identity_decomposerEEEEE10hipError_tT0_T1_T2_jT3_P12ihipStream_tbPNSt15iterator_traitsISG_E10value_typeEPNSM_ISH_E10value_typeEPSI_NS1_7vsmem_tEENKUlT_SG_SH_SI_E_clISA_PiSB_PsEESF_SV_SG_SH_SI_EUlSV_E1_NS1_11comp_targetILNS1_3genE4ELNS1_11target_archE910ELNS1_3gpuE8ELNS1_3repE0EEENS1_36merge_oddeven_config_static_selectorELNS0_4arch9wavefront6targetE1EEEvSH_
	.globl	_ZN7rocprim17ROCPRIM_400000_NS6detail17trampoline_kernelINS0_14default_configENS1_38merge_sort_block_merge_config_selectorIisEEZZNS1_27merge_sort_block_merge_implIS3_N6thrust23THRUST_200600_302600_NS10device_ptrIiEENS9_IsEEjNS1_19radix_merge_compareILb0ELb1EiNS0_19identity_decomposerEEEEE10hipError_tT0_T1_T2_jT3_P12ihipStream_tbPNSt15iterator_traitsISG_E10value_typeEPNSM_ISH_E10value_typeEPSI_NS1_7vsmem_tEENKUlT_SG_SH_SI_E_clISA_PiSB_PsEESF_SV_SG_SH_SI_EUlSV_E1_NS1_11comp_targetILNS1_3genE4ELNS1_11target_archE910ELNS1_3gpuE8ELNS1_3repE0EEENS1_36merge_oddeven_config_static_selectorELNS0_4arch9wavefront6targetE1EEEvSH_
	.p2align	8
	.type	_ZN7rocprim17ROCPRIM_400000_NS6detail17trampoline_kernelINS0_14default_configENS1_38merge_sort_block_merge_config_selectorIisEEZZNS1_27merge_sort_block_merge_implIS3_N6thrust23THRUST_200600_302600_NS10device_ptrIiEENS9_IsEEjNS1_19radix_merge_compareILb0ELb1EiNS0_19identity_decomposerEEEEE10hipError_tT0_T1_T2_jT3_P12ihipStream_tbPNSt15iterator_traitsISG_E10value_typeEPNSM_ISH_E10value_typeEPSI_NS1_7vsmem_tEENKUlT_SG_SH_SI_E_clISA_PiSB_PsEESF_SV_SG_SH_SI_EUlSV_E1_NS1_11comp_targetILNS1_3genE4ELNS1_11target_archE910ELNS1_3gpuE8ELNS1_3repE0EEENS1_36merge_oddeven_config_static_selectorELNS0_4arch9wavefront6targetE1EEEvSH_,@function
_ZN7rocprim17ROCPRIM_400000_NS6detail17trampoline_kernelINS0_14default_configENS1_38merge_sort_block_merge_config_selectorIisEEZZNS1_27merge_sort_block_merge_implIS3_N6thrust23THRUST_200600_302600_NS10device_ptrIiEENS9_IsEEjNS1_19radix_merge_compareILb0ELb1EiNS0_19identity_decomposerEEEEE10hipError_tT0_T1_T2_jT3_P12ihipStream_tbPNSt15iterator_traitsISG_E10value_typeEPNSM_ISH_E10value_typeEPSI_NS1_7vsmem_tEENKUlT_SG_SH_SI_E_clISA_PiSB_PsEESF_SV_SG_SH_SI_EUlSV_E1_NS1_11comp_targetILNS1_3genE4ELNS1_11target_archE910ELNS1_3gpuE8ELNS1_3repE0EEENS1_36merge_oddeven_config_static_selectorELNS0_4arch9wavefront6targetE1EEEvSH_: ; @_ZN7rocprim17ROCPRIM_400000_NS6detail17trampoline_kernelINS0_14default_configENS1_38merge_sort_block_merge_config_selectorIisEEZZNS1_27merge_sort_block_merge_implIS3_N6thrust23THRUST_200600_302600_NS10device_ptrIiEENS9_IsEEjNS1_19radix_merge_compareILb0ELb1EiNS0_19identity_decomposerEEEEE10hipError_tT0_T1_T2_jT3_P12ihipStream_tbPNSt15iterator_traitsISG_E10value_typeEPNSM_ISH_E10value_typeEPSI_NS1_7vsmem_tEENKUlT_SG_SH_SI_E_clISA_PiSB_PsEESF_SV_SG_SH_SI_EUlSV_E1_NS1_11comp_targetILNS1_3genE4ELNS1_11target_archE910ELNS1_3gpuE8ELNS1_3repE0EEENS1_36merge_oddeven_config_static_selectorELNS0_4arch9wavefront6targetE1EEEvSH_
; %bb.0:
	.section	.rodata,"a",@progbits
	.p2align	6, 0x0
	.amdhsa_kernel _ZN7rocprim17ROCPRIM_400000_NS6detail17trampoline_kernelINS0_14default_configENS1_38merge_sort_block_merge_config_selectorIisEEZZNS1_27merge_sort_block_merge_implIS3_N6thrust23THRUST_200600_302600_NS10device_ptrIiEENS9_IsEEjNS1_19radix_merge_compareILb0ELb1EiNS0_19identity_decomposerEEEEE10hipError_tT0_T1_T2_jT3_P12ihipStream_tbPNSt15iterator_traitsISG_E10value_typeEPNSM_ISH_E10value_typeEPSI_NS1_7vsmem_tEENKUlT_SG_SH_SI_E_clISA_PiSB_PsEESF_SV_SG_SH_SI_EUlSV_E1_NS1_11comp_targetILNS1_3genE4ELNS1_11target_archE910ELNS1_3gpuE8ELNS1_3repE0EEENS1_36merge_oddeven_config_static_selectorELNS0_4arch9wavefront6targetE1EEEvSH_
		.amdhsa_group_segment_fixed_size 0
		.amdhsa_private_segment_fixed_size 0
		.amdhsa_kernarg_size 48
		.amdhsa_user_sgpr_count 2
		.amdhsa_user_sgpr_dispatch_ptr 0
		.amdhsa_user_sgpr_queue_ptr 0
		.amdhsa_user_sgpr_kernarg_segment_ptr 1
		.amdhsa_user_sgpr_dispatch_id 0
		.amdhsa_user_sgpr_kernarg_preload_length 0
		.amdhsa_user_sgpr_kernarg_preload_offset 0
		.amdhsa_user_sgpr_private_segment_size 0
		.amdhsa_uses_dynamic_stack 0
		.amdhsa_enable_private_segment 0
		.amdhsa_system_sgpr_workgroup_id_x 1
		.amdhsa_system_sgpr_workgroup_id_y 0
		.amdhsa_system_sgpr_workgroup_id_z 0
		.amdhsa_system_sgpr_workgroup_info 0
		.amdhsa_system_vgpr_workitem_id 0
		.amdhsa_next_free_vgpr 1
		.amdhsa_next_free_sgpr 0
		.amdhsa_accum_offset 4
		.amdhsa_reserve_vcc 0
		.amdhsa_float_round_mode_32 0
		.amdhsa_float_round_mode_16_64 0
		.amdhsa_float_denorm_mode_32 3
		.amdhsa_float_denorm_mode_16_64 3
		.amdhsa_dx10_clamp 1
		.amdhsa_ieee_mode 1
		.amdhsa_fp16_overflow 0
		.amdhsa_tg_split 0
		.amdhsa_exception_fp_ieee_invalid_op 0
		.amdhsa_exception_fp_denorm_src 0
		.amdhsa_exception_fp_ieee_div_zero 0
		.amdhsa_exception_fp_ieee_overflow 0
		.amdhsa_exception_fp_ieee_underflow 0
		.amdhsa_exception_fp_ieee_inexact 0
		.amdhsa_exception_int_div_zero 0
	.end_amdhsa_kernel
	.section	.text._ZN7rocprim17ROCPRIM_400000_NS6detail17trampoline_kernelINS0_14default_configENS1_38merge_sort_block_merge_config_selectorIisEEZZNS1_27merge_sort_block_merge_implIS3_N6thrust23THRUST_200600_302600_NS10device_ptrIiEENS9_IsEEjNS1_19radix_merge_compareILb0ELb1EiNS0_19identity_decomposerEEEEE10hipError_tT0_T1_T2_jT3_P12ihipStream_tbPNSt15iterator_traitsISG_E10value_typeEPNSM_ISH_E10value_typeEPSI_NS1_7vsmem_tEENKUlT_SG_SH_SI_E_clISA_PiSB_PsEESF_SV_SG_SH_SI_EUlSV_E1_NS1_11comp_targetILNS1_3genE4ELNS1_11target_archE910ELNS1_3gpuE8ELNS1_3repE0EEENS1_36merge_oddeven_config_static_selectorELNS0_4arch9wavefront6targetE1EEEvSH_,"axG",@progbits,_ZN7rocprim17ROCPRIM_400000_NS6detail17trampoline_kernelINS0_14default_configENS1_38merge_sort_block_merge_config_selectorIisEEZZNS1_27merge_sort_block_merge_implIS3_N6thrust23THRUST_200600_302600_NS10device_ptrIiEENS9_IsEEjNS1_19radix_merge_compareILb0ELb1EiNS0_19identity_decomposerEEEEE10hipError_tT0_T1_T2_jT3_P12ihipStream_tbPNSt15iterator_traitsISG_E10value_typeEPNSM_ISH_E10value_typeEPSI_NS1_7vsmem_tEENKUlT_SG_SH_SI_E_clISA_PiSB_PsEESF_SV_SG_SH_SI_EUlSV_E1_NS1_11comp_targetILNS1_3genE4ELNS1_11target_archE910ELNS1_3gpuE8ELNS1_3repE0EEENS1_36merge_oddeven_config_static_selectorELNS0_4arch9wavefront6targetE1EEEvSH_,comdat
.Lfunc_end2399:
	.size	_ZN7rocprim17ROCPRIM_400000_NS6detail17trampoline_kernelINS0_14default_configENS1_38merge_sort_block_merge_config_selectorIisEEZZNS1_27merge_sort_block_merge_implIS3_N6thrust23THRUST_200600_302600_NS10device_ptrIiEENS9_IsEEjNS1_19radix_merge_compareILb0ELb1EiNS0_19identity_decomposerEEEEE10hipError_tT0_T1_T2_jT3_P12ihipStream_tbPNSt15iterator_traitsISG_E10value_typeEPNSM_ISH_E10value_typeEPSI_NS1_7vsmem_tEENKUlT_SG_SH_SI_E_clISA_PiSB_PsEESF_SV_SG_SH_SI_EUlSV_E1_NS1_11comp_targetILNS1_3genE4ELNS1_11target_archE910ELNS1_3gpuE8ELNS1_3repE0EEENS1_36merge_oddeven_config_static_selectorELNS0_4arch9wavefront6targetE1EEEvSH_, .Lfunc_end2399-_ZN7rocprim17ROCPRIM_400000_NS6detail17trampoline_kernelINS0_14default_configENS1_38merge_sort_block_merge_config_selectorIisEEZZNS1_27merge_sort_block_merge_implIS3_N6thrust23THRUST_200600_302600_NS10device_ptrIiEENS9_IsEEjNS1_19radix_merge_compareILb0ELb1EiNS0_19identity_decomposerEEEEE10hipError_tT0_T1_T2_jT3_P12ihipStream_tbPNSt15iterator_traitsISG_E10value_typeEPNSM_ISH_E10value_typeEPSI_NS1_7vsmem_tEENKUlT_SG_SH_SI_E_clISA_PiSB_PsEESF_SV_SG_SH_SI_EUlSV_E1_NS1_11comp_targetILNS1_3genE4ELNS1_11target_archE910ELNS1_3gpuE8ELNS1_3repE0EEENS1_36merge_oddeven_config_static_selectorELNS0_4arch9wavefront6targetE1EEEvSH_
                                        ; -- End function
	.set _ZN7rocprim17ROCPRIM_400000_NS6detail17trampoline_kernelINS0_14default_configENS1_38merge_sort_block_merge_config_selectorIisEEZZNS1_27merge_sort_block_merge_implIS3_N6thrust23THRUST_200600_302600_NS10device_ptrIiEENS9_IsEEjNS1_19radix_merge_compareILb0ELb1EiNS0_19identity_decomposerEEEEE10hipError_tT0_T1_T2_jT3_P12ihipStream_tbPNSt15iterator_traitsISG_E10value_typeEPNSM_ISH_E10value_typeEPSI_NS1_7vsmem_tEENKUlT_SG_SH_SI_E_clISA_PiSB_PsEESF_SV_SG_SH_SI_EUlSV_E1_NS1_11comp_targetILNS1_3genE4ELNS1_11target_archE910ELNS1_3gpuE8ELNS1_3repE0EEENS1_36merge_oddeven_config_static_selectorELNS0_4arch9wavefront6targetE1EEEvSH_.num_vgpr, 0
	.set _ZN7rocprim17ROCPRIM_400000_NS6detail17trampoline_kernelINS0_14default_configENS1_38merge_sort_block_merge_config_selectorIisEEZZNS1_27merge_sort_block_merge_implIS3_N6thrust23THRUST_200600_302600_NS10device_ptrIiEENS9_IsEEjNS1_19radix_merge_compareILb0ELb1EiNS0_19identity_decomposerEEEEE10hipError_tT0_T1_T2_jT3_P12ihipStream_tbPNSt15iterator_traitsISG_E10value_typeEPNSM_ISH_E10value_typeEPSI_NS1_7vsmem_tEENKUlT_SG_SH_SI_E_clISA_PiSB_PsEESF_SV_SG_SH_SI_EUlSV_E1_NS1_11comp_targetILNS1_3genE4ELNS1_11target_archE910ELNS1_3gpuE8ELNS1_3repE0EEENS1_36merge_oddeven_config_static_selectorELNS0_4arch9wavefront6targetE1EEEvSH_.num_agpr, 0
	.set _ZN7rocprim17ROCPRIM_400000_NS6detail17trampoline_kernelINS0_14default_configENS1_38merge_sort_block_merge_config_selectorIisEEZZNS1_27merge_sort_block_merge_implIS3_N6thrust23THRUST_200600_302600_NS10device_ptrIiEENS9_IsEEjNS1_19radix_merge_compareILb0ELb1EiNS0_19identity_decomposerEEEEE10hipError_tT0_T1_T2_jT3_P12ihipStream_tbPNSt15iterator_traitsISG_E10value_typeEPNSM_ISH_E10value_typeEPSI_NS1_7vsmem_tEENKUlT_SG_SH_SI_E_clISA_PiSB_PsEESF_SV_SG_SH_SI_EUlSV_E1_NS1_11comp_targetILNS1_3genE4ELNS1_11target_archE910ELNS1_3gpuE8ELNS1_3repE0EEENS1_36merge_oddeven_config_static_selectorELNS0_4arch9wavefront6targetE1EEEvSH_.numbered_sgpr, 0
	.set _ZN7rocprim17ROCPRIM_400000_NS6detail17trampoline_kernelINS0_14default_configENS1_38merge_sort_block_merge_config_selectorIisEEZZNS1_27merge_sort_block_merge_implIS3_N6thrust23THRUST_200600_302600_NS10device_ptrIiEENS9_IsEEjNS1_19radix_merge_compareILb0ELb1EiNS0_19identity_decomposerEEEEE10hipError_tT0_T1_T2_jT3_P12ihipStream_tbPNSt15iterator_traitsISG_E10value_typeEPNSM_ISH_E10value_typeEPSI_NS1_7vsmem_tEENKUlT_SG_SH_SI_E_clISA_PiSB_PsEESF_SV_SG_SH_SI_EUlSV_E1_NS1_11comp_targetILNS1_3genE4ELNS1_11target_archE910ELNS1_3gpuE8ELNS1_3repE0EEENS1_36merge_oddeven_config_static_selectorELNS0_4arch9wavefront6targetE1EEEvSH_.num_named_barrier, 0
	.set _ZN7rocprim17ROCPRIM_400000_NS6detail17trampoline_kernelINS0_14default_configENS1_38merge_sort_block_merge_config_selectorIisEEZZNS1_27merge_sort_block_merge_implIS3_N6thrust23THRUST_200600_302600_NS10device_ptrIiEENS9_IsEEjNS1_19radix_merge_compareILb0ELb1EiNS0_19identity_decomposerEEEEE10hipError_tT0_T1_T2_jT3_P12ihipStream_tbPNSt15iterator_traitsISG_E10value_typeEPNSM_ISH_E10value_typeEPSI_NS1_7vsmem_tEENKUlT_SG_SH_SI_E_clISA_PiSB_PsEESF_SV_SG_SH_SI_EUlSV_E1_NS1_11comp_targetILNS1_3genE4ELNS1_11target_archE910ELNS1_3gpuE8ELNS1_3repE0EEENS1_36merge_oddeven_config_static_selectorELNS0_4arch9wavefront6targetE1EEEvSH_.private_seg_size, 0
	.set _ZN7rocprim17ROCPRIM_400000_NS6detail17trampoline_kernelINS0_14default_configENS1_38merge_sort_block_merge_config_selectorIisEEZZNS1_27merge_sort_block_merge_implIS3_N6thrust23THRUST_200600_302600_NS10device_ptrIiEENS9_IsEEjNS1_19radix_merge_compareILb0ELb1EiNS0_19identity_decomposerEEEEE10hipError_tT0_T1_T2_jT3_P12ihipStream_tbPNSt15iterator_traitsISG_E10value_typeEPNSM_ISH_E10value_typeEPSI_NS1_7vsmem_tEENKUlT_SG_SH_SI_E_clISA_PiSB_PsEESF_SV_SG_SH_SI_EUlSV_E1_NS1_11comp_targetILNS1_3genE4ELNS1_11target_archE910ELNS1_3gpuE8ELNS1_3repE0EEENS1_36merge_oddeven_config_static_selectorELNS0_4arch9wavefront6targetE1EEEvSH_.uses_vcc, 0
	.set _ZN7rocprim17ROCPRIM_400000_NS6detail17trampoline_kernelINS0_14default_configENS1_38merge_sort_block_merge_config_selectorIisEEZZNS1_27merge_sort_block_merge_implIS3_N6thrust23THRUST_200600_302600_NS10device_ptrIiEENS9_IsEEjNS1_19radix_merge_compareILb0ELb1EiNS0_19identity_decomposerEEEEE10hipError_tT0_T1_T2_jT3_P12ihipStream_tbPNSt15iterator_traitsISG_E10value_typeEPNSM_ISH_E10value_typeEPSI_NS1_7vsmem_tEENKUlT_SG_SH_SI_E_clISA_PiSB_PsEESF_SV_SG_SH_SI_EUlSV_E1_NS1_11comp_targetILNS1_3genE4ELNS1_11target_archE910ELNS1_3gpuE8ELNS1_3repE0EEENS1_36merge_oddeven_config_static_selectorELNS0_4arch9wavefront6targetE1EEEvSH_.uses_flat_scratch, 0
	.set _ZN7rocprim17ROCPRIM_400000_NS6detail17trampoline_kernelINS0_14default_configENS1_38merge_sort_block_merge_config_selectorIisEEZZNS1_27merge_sort_block_merge_implIS3_N6thrust23THRUST_200600_302600_NS10device_ptrIiEENS9_IsEEjNS1_19radix_merge_compareILb0ELb1EiNS0_19identity_decomposerEEEEE10hipError_tT0_T1_T2_jT3_P12ihipStream_tbPNSt15iterator_traitsISG_E10value_typeEPNSM_ISH_E10value_typeEPSI_NS1_7vsmem_tEENKUlT_SG_SH_SI_E_clISA_PiSB_PsEESF_SV_SG_SH_SI_EUlSV_E1_NS1_11comp_targetILNS1_3genE4ELNS1_11target_archE910ELNS1_3gpuE8ELNS1_3repE0EEENS1_36merge_oddeven_config_static_selectorELNS0_4arch9wavefront6targetE1EEEvSH_.has_dyn_sized_stack, 0
	.set _ZN7rocprim17ROCPRIM_400000_NS6detail17trampoline_kernelINS0_14default_configENS1_38merge_sort_block_merge_config_selectorIisEEZZNS1_27merge_sort_block_merge_implIS3_N6thrust23THRUST_200600_302600_NS10device_ptrIiEENS9_IsEEjNS1_19radix_merge_compareILb0ELb1EiNS0_19identity_decomposerEEEEE10hipError_tT0_T1_T2_jT3_P12ihipStream_tbPNSt15iterator_traitsISG_E10value_typeEPNSM_ISH_E10value_typeEPSI_NS1_7vsmem_tEENKUlT_SG_SH_SI_E_clISA_PiSB_PsEESF_SV_SG_SH_SI_EUlSV_E1_NS1_11comp_targetILNS1_3genE4ELNS1_11target_archE910ELNS1_3gpuE8ELNS1_3repE0EEENS1_36merge_oddeven_config_static_selectorELNS0_4arch9wavefront6targetE1EEEvSH_.has_recursion, 0
	.set _ZN7rocprim17ROCPRIM_400000_NS6detail17trampoline_kernelINS0_14default_configENS1_38merge_sort_block_merge_config_selectorIisEEZZNS1_27merge_sort_block_merge_implIS3_N6thrust23THRUST_200600_302600_NS10device_ptrIiEENS9_IsEEjNS1_19radix_merge_compareILb0ELb1EiNS0_19identity_decomposerEEEEE10hipError_tT0_T1_T2_jT3_P12ihipStream_tbPNSt15iterator_traitsISG_E10value_typeEPNSM_ISH_E10value_typeEPSI_NS1_7vsmem_tEENKUlT_SG_SH_SI_E_clISA_PiSB_PsEESF_SV_SG_SH_SI_EUlSV_E1_NS1_11comp_targetILNS1_3genE4ELNS1_11target_archE910ELNS1_3gpuE8ELNS1_3repE0EEENS1_36merge_oddeven_config_static_selectorELNS0_4arch9wavefront6targetE1EEEvSH_.has_indirect_call, 0
	.section	.AMDGPU.csdata,"",@progbits
; Kernel info:
; codeLenInByte = 0
; TotalNumSgprs: 6
; NumVgprs: 0
; NumAgprs: 0
; TotalNumVgprs: 0
; ScratchSize: 0
; MemoryBound: 0
; FloatMode: 240
; IeeeMode: 1
; LDSByteSize: 0 bytes/workgroup (compile time only)
; SGPRBlocks: 0
; VGPRBlocks: 0
; NumSGPRsForWavesPerEU: 6
; NumVGPRsForWavesPerEU: 1
; AccumOffset: 4
; Occupancy: 8
; WaveLimiterHint : 0
; COMPUTE_PGM_RSRC2:SCRATCH_EN: 0
; COMPUTE_PGM_RSRC2:USER_SGPR: 2
; COMPUTE_PGM_RSRC2:TRAP_HANDLER: 0
; COMPUTE_PGM_RSRC2:TGID_X_EN: 1
; COMPUTE_PGM_RSRC2:TGID_Y_EN: 0
; COMPUTE_PGM_RSRC2:TGID_Z_EN: 0
; COMPUTE_PGM_RSRC2:TIDIG_COMP_CNT: 0
; COMPUTE_PGM_RSRC3_GFX90A:ACCUM_OFFSET: 0
; COMPUTE_PGM_RSRC3_GFX90A:TG_SPLIT: 0
	.section	.text._ZN7rocprim17ROCPRIM_400000_NS6detail17trampoline_kernelINS0_14default_configENS1_38merge_sort_block_merge_config_selectorIisEEZZNS1_27merge_sort_block_merge_implIS3_N6thrust23THRUST_200600_302600_NS10device_ptrIiEENS9_IsEEjNS1_19radix_merge_compareILb0ELb1EiNS0_19identity_decomposerEEEEE10hipError_tT0_T1_T2_jT3_P12ihipStream_tbPNSt15iterator_traitsISG_E10value_typeEPNSM_ISH_E10value_typeEPSI_NS1_7vsmem_tEENKUlT_SG_SH_SI_E_clISA_PiSB_PsEESF_SV_SG_SH_SI_EUlSV_E1_NS1_11comp_targetILNS1_3genE3ELNS1_11target_archE908ELNS1_3gpuE7ELNS1_3repE0EEENS1_36merge_oddeven_config_static_selectorELNS0_4arch9wavefront6targetE1EEEvSH_,"axG",@progbits,_ZN7rocprim17ROCPRIM_400000_NS6detail17trampoline_kernelINS0_14default_configENS1_38merge_sort_block_merge_config_selectorIisEEZZNS1_27merge_sort_block_merge_implIS3_N6thrust23THRUST_200600_302600_NS10device_ptrIiEENS9_IsEEjNS1_19radix_merge_compareILb0ELb1EiNS0_19identity_decomposerEEEEE10hipError_tT0_T1_T2_jT3_P12ihipStream_tbPNSt15iterator_traitsISG_E10value_typeEPNSM_ISH_E10value_typeEPSI_NS1_7vsmem_tEENKUlT_SG_SH_SI_E_clISA_PiSB_PsEESF_SV_SG_SH_SI_EUlSV_E1_NS1_11comp_targetILNS1_3genE3ELNS1_11target_archE908ELNS1_3gpuE7ELNS1_3repE0EEENS1_36merge_oddeven_config_static_selectorELNS0_4arch9wavefront6targetE1EEEvSH_,comdat
	.protected	_ZN7rocprim17ROCPRIM_400000_NS6detail17trampoline_kernelINS0_14default_configENS1_38merge_sort_block_merge_config_selectorIisEEZZNS1_27merge_sort_block_merge_implIS3_N6thrust23THRUST_200600_302600_NS10device_ptrIiEENS9_IsEEjNS1_19radix_merge_compareILb0ELb1EiNS0_19identity_decomposerEEEEE10hipError_tT0_T1_T2_jT3_P12ihipStream_tbPNSt15iterator_traitsISG_E10value_typeEPNSM_ISH_E10value_typeEPSI_NS1_7vsmem_tEENKUlT_SG_SH_SI_E_clISA_PiSB_PsEESF_SV_SG_SH_SI_EUlSV_E1_NS1_11comp_targetILNS1_3genE3ELNS1_11target_archE908ELNS1_3gpuE7ELNS1_3repE0EEENS1_36merge_oddeven_config_static_selectorELNS0_4arch9wavefront6targetE1EEEvSH_ ; -- Begin function _ZN7rocprim17ROCPRIM_400000_NS6detail17trampoline_kernelINS0_14default_configENS1_38merge_sort_block_merge_config_selectorIisEEZZNS1_27merge_sort_block_merge_implIS3_N6thrust23THRUST_200600_302600_NS10device_ptrIiEENS9_IsEEjNS1_19radix_merge_compareILb0ELb1EiNS0_19identity_decomposerEEEEE10hipError_tT0_T1_T2_jT3_P12ihipStream_tbPNSt15iterator_traitsISG_E10value_typeEPNSM_ISH_E10value_typeEPSI_NS1_7vsmem_tEENKUlT_SG_SH_SI_E_clISA_PiSB_PsEESF_SV_SG_SH_SI_EUlSV_E1_NS1_11comp_targetILNS1_3genE3ELNS1_11target_archE908ELNS1_3gpuE7ELNS1_3repE0EEENS1_36merge_oddeven_config_static_selectorELNS0_4arch9wavefront6targetE1EEEvSH_
	.globl	_ZN7rocprim17ROCPRIM_400000_NS6detail17trampoline_kernelINS0_14default_configENS1_38merge_sort_block_merge_config_selectorIisEEZZNS1_27merge_sort_block_merge_implIS3_N6thrust23THRUST_200600_302600_NS10device_ptrIiEENS9_IsEEjNS1_19radix_merge_compareILb0ELb1EiNS0_19identity_decomposerEEEEE10hipError_tT0_T1_T2_jT3_P12ihipStream_tbPNSt15iterator_traitsISG_E10value_typeEPNSM_ISH_E10value_typeEPSI_NS1_7vsmem_tEENKUlT_SG_SH_SI_E_clISA_PiSB_PsEESF_SV_SG_SH_SI_EUlSV_E1_NS1_11comp_targetILNS1_3genE3ELNS1_11target_archE908ELNS1_3gpuE7ELNS1_3repE0EEENS1_36merge_oddeven_config_static_selectorELNS0_4arch9wavefront6targetE1EEEvSH_
	.p2align	8
	.type	_ZN7rocprim17ROCPRIM_400000_NS6detail17trampoline_kernelINS0_14default_configENS1_38merge_sort_block_merge_config_selectorIisEEZZNS1_27merge_sort_block_merge_implIS3_N6thrust23THRUST_200600_302600_NS10device_ptrIiEENS9_IsEEjNS1_19radix_merge_compareILb0ELb1EiNS0_19identity_decomposerEEEEE10hipError_tT0_T1_T2_jT3_P12ihipStream_tbPNSt15iterator_traitsISG_E10value_typeEPNSM_ISH_E10value_typeEPSI_NS1_7vsmem_tEENKUlT_SG_SH_SI_E_clISA_PiSB_PsEESF_SV_SG_SH_SI_EUlSV_E1_NS1_11comp_targetILNS1_3genE3ELNS1_11target_archE908ELNS1_3gpuE7ELNS1_3repE0EEENS1_36merge_oddeven_config_static_selectorELNS0_4arch9wavefront6targetE1EEEvSH_,@function
_ZN7rocprim17ROCPRIM_400000_NS6detail17trampoline_kernelINS0_14default_configENS1_38merge_sort_block_merge_config_selectorIisEEZZNS1_27merge_sort_block_merge_implIS3_N6thrust23THRUST_200600_302600_NS10device_ptrIiEENS9_IsEEjNS1_19radix_merge_compareILb0ELb1EiNS0_19identity_decomposerEEEEE10hipError_tT0_T1_T2_jT3_P12ihipStream_tbPNSt15iterator_traitsISG_E10value_typeEPNSM_ISH_E10value_typeEPSI_NS1_7vsmem_tEENKUlT_SG_SH_SI_E_clISA_PiSB_PsEESF_SV_SG_SH_SI_EUlSV_E1_NS1_11comp_targetILNS1_3genE3ELNS1_11target_archE908ELNS1_3gpuE7ELNS1_3repE0EEENS1_36merge_oddeven_config_static_selectorELNS0_4arch9wavefront6targetE1EEEvSH_: ; @_ZN7rocprim17ROCPRIM_400000_NS6detail17trampoline_kernelINS0_14default_configENS1_38merge_sort_block_merge_config_selectorIisEEZZNS1_27merge_sort_block_merge_implIS3_N6thrust23THRUST_200600_302600_NS10device_ptrIiEENS9_IsEEjNS1_19radix_merge_compareILb0ELb1EiNS0_19identity_decomposerEEEEE10hipError_tT0_T1_T2_jT3_P12ihipStream_tbPNSt15iterator_traitsISG_E10value_typeEPNSM_ISH_E10value_typeEPSI_NS1_7vsmem_tEENKUlT_SG_SH_SI_E_clISA_PiSB_PsEESF_SV_SG_SH_SI_EUlSV_E1_NS1_11comp_targetILNS1_3genE3ELNS1_11target_archE908ELNS1_3gpuE7ELNS1_3repE0EEENS1_36merge_oddeven_config_static_selectorELNS0_4arch9wavefront6targetE1EEEvSH_
; %bb.0:
	.section	.rodata,"a",@progbits
	.p2align	6, 0x0
	.amdhsa_kernel _ZN7rocprim17ROCPRIM_400000_NS6detail17trampoline_kernelINS0_14default_configENS1_38merge_sort_block_merge_config_selectorIisEEZZNS1_27merge_sort_block_merge_implIS3_N6thrust23THRUST_200600_302600_NS10device_ptrIiEENS9_IsEEjNS1_19radix_merge_compareILb0ELb1EiNS0_19identity_decomposerEEEEE10hipError_tT0_T1_T2_jT3_P12ihipStream_tbPNSt15iterator_traitsISG_E10value_typeEPNSM_ISH_E10value_typeEPSI_NS1_7vsmem_tEENKUlT_SG_SH_SI_E_clISA_PiSB_PsEESF_SV_SG_SH_SI_EUlSV_E1_NS1_11comp_targetILNS1_3genE3ELNS1_11target_archE908ELNS1_3gpuE7ELNS1_3repE0EEENS1_36merge_oddeven_config_static_selectorELNS0_4arch9wavefront6targetE1EEEvSH_
		.amdhsa_group_segment_fixed_size 0
		.amdhsa_private_segment_fixed_size 0
		.amdhsa_kernarg_size 48
		.amdhsa_user_sgpr_count 2
		.amdhsa_user_sgpr_dispatch_ptr 0
		.amdhsa_user_sgpr_queue_ptr 0
		.amdhsa_user_sgpr_kernarg_segment_ptr 1
		.amdhsa_user_sgpr_dispatch_id 0
		.amdhsa_user_sgpr_kernarg_preload_length 0
		.amdhsa_user_sgpr_kernarg_preload_offset 0
		.amdhsa_user_sgpr_private_segment_size 0
		.amdhsa_uses_dynamic_stack 0
		.amdhsa_enable_private_segment 0
		.amdhsa_system_sgpr_workgroup_id_x 1
		.amdhsa_system_sgpr_workgroup_id_y 0
		.amdhsa_system_sgpr_workgroup_id_z 0
		.amdhsa_system_sgpr_workgroup_info 0
		.amdhsa_system_vgpr_workitem_id 0
		.amdhsa_next_free_vgpr 1
		.amdhsa_next_free_sgpr 0
		.amdhsa_accum_offset 4
		.amdhsa_reserve_vcc 0
		.amdhsa_float_round_mode_32 0
		.amdhsa_float_round_mode_16_64 0
		.amdhsa_float_denorm_mode_32 3
		.amdhsa_float_denorm_mode_16_64 3
		.amdhsa_dx10_clamp 1
		.amdhsa_ieee_mode 1
		.amdhsa_fp16_overflow 0
		.amdhsa_tg_split 0
		.amdhsa_exception_fp_ieee_invalid_op 0
		.amdhsa_exception_fp_denorm_src 0
		.amdhsa_exception_fp_ieee_div_zero 0
		.amdhsa_exception_fp_ieee_overflow 0
		.amdhsa_exception_fp_ieee_underflow 0
		.amdhsa_exception_fp_ieee_inexact 0
		.amdhsa_exception_int_div_zero 0
	.end_amdhsa_kernel
	.section	.text._ZN7rocprim17ROCPRIM_400000_NS6detail17trampoline_kernelINS0_14default_configENS1_38merge_sort_block_merge_config_selectorIisEEZZNS1_27merge_sort_block_merge_implIS3_N6thrust23THRUST_200600_302600_NS10device_ptrIiEENS9_IsEEjNS1_19radix_merge_compareILb0ELb1EiNS0_19identity_decomposerEEEEE10hipError_tT0_T1_T2_jT3_P12ihipStream_tbPNSt15iterator_traitsISG_E10value_typeEPNSM_ISH_E10value_typeEPSI_NS1_7vsmem_tEENKUlT_SG_SH_SI_E_clISA_PiSB_PsEESF_SV_SG_SH_SI_EUlSV_E1_NS1_11comp_targetILNS1_3genE3ELNS1_11target_archE908ELNS1_3gpuE7ELNS1_3repE0EEENS1_36merge_oddeven_config_static_selectorELNS0_4arch9wavefront6targetE1EEEvSH_,"axG",@progbits,_ZN7rocprim17ROCPRIM_400000_NS6detail17trampoline_kernelINS0_14default_configENS1_38merge_sort_block_merge_config_selectorIisEEZZNS1_27merge_sort_block_merge_implIS3_N6thrust23THRUST_200600_302600_NS10device_ptrIiEENS9_IsEEjNS1_19radix_merge_compareILb0ELb1EiNS0_19identity_decomposerEEEEE10hipError_tT0_T1_T2_jT3_P12ihipStream_tbPNSt15iterator_traitsISG_E10value_typeEPNSM_ISH_E10value_typeEPSI_NS1_7vsmem_tEENKUlT_SG_SH_SI_E_clISA_PiSB_PsEESF_SV_SG_SH_SI_EUlSV_E1_NS1_11comp_targetILNS1_3genE3ELNS1_11target_archE908ELNS1_3gpuE7ELNS1_3repE0EEENS1_36merge_oddeven_config_static_selectorELNS0_4arch9wavefront6targetE1EEEvSH_,comdat
.Lfunc_end2400:
	.size	_ZN7rocprim17ROCPRIM_400000_NS6detail17trampoline_kernelINS0_14default_configENS1_38merge_sort_block_merge_config_selectorIisEEZZNS1_27merge_sort_block_merge_implIS3_N6thrust23THRUST_200600_302600_NS10device_ptrIiEENS9_IsEEjNS1_19radix_merge_compareILb0ELb1EiNS0_19identity_decomposerEEEEE10hipError_tT0_T1_T2_jT3_P12ihipStream_tbPNSt15iterator_traitsISG_E10value_typeEPNSM_ISH_E10value_typeEPSI_NS1_7vsmem_tEENKUlT_SG_SH_SI_E_clISA_PiSB_PsEESF_SV_SG_SH_SI_EUlSV_E1_NS1_11comp_targetILNS1_3genE3ELNS1_11target_archE908ELNS1_3gpuE7ELNS1_3repE0EEENS1_36merge_oddeven_config_static_selectorELNS0_4arch9wavefront6targetE1EEEvSH_, .Lfunc_end2400-_ZN7rocprim17ROCPRIM_400000_NS6detail17trampoline_kernelINS0_14default_configENS1_38merge_sort_block_merge_config_selectorIisEEZZNS1_27merge_sort_block_merge_implIS3_N6thrust23THRUST_200600_302600_NS10device_ptrIiEENS9_IsEEjNS1_19radix_merge_compareILb0ELb1EiNS0_19identity_decomposerEEEEE10hipError_tT0_T1_T2_jT3_P12ihipStream_tbPNSt15iterator_traitsISG_E10value_typeEPNSM_ISH_E10value_typeEPSI_NS1_7vsmem_tEENKUlT_SG_SH_SI_E_clISA_PiSB_PsEESF_SV_SG_SH_SI_EUlSV_E1_NS1_11comp_targetILNS1_3genE3ELNS1_11target_archE908ELNS1_3gpuE7ELNS1_3repE0EEENS1_36merge_oddeven_config_static_selectorELNS0_4arch9wavefront6targetE1EEEvSH_
                                        ; -- End function
	.set _ZN7rocprim17ROCPRIM_400000_NS6detail17trampoline_kernelINS0_14default_configENS1_38merge_sort_block_merge_config_selectorIisEEZZNS1_27merge_sort_block_merge_implIS3_N6thrust23THRUST_200600_302600_NS10device_ptrIiEENS9_IsEEjNS1_19radix_merge_compareILb0ELb1EiNS0_19identity_decomposerEEEEE10hipError_tT0_T1_T2_jT3_P12ihipStream_tbPNSt15iterator_traitsISG_E10value_typeEPNSM_ISH_E10value_typeEPSI_NS1_7vsmem_tEENKUlT_SG_SH_SI_E_clISA_PiSB_PsEESF_SV_SG_SH_SI_EUlSV_E1_NS1_11comp_targetILNS1_3genE3ELNS1_11target_archE908ELNS1_3gpuE7ELNS1_3repE0EEENS1_36merge_oddeven_config_static_selectorELNS0_4arch9wavefront6targetE1EEEvSH_.num_vgpr, 0
	.set _ZN7rocprim17ROCPRIM_400000_NS6detail17trampoline_kernelINS0_14default_configENS1_38merge_sort_block_merge_config_selectorIisEEZZNS1_27merge_sort_block_merge_implIS3_N6thrust23THRUST_200600_302600_NS10device_ptrIiEENS9_IsEEjNS1_19radix_merge_compareILb0ELb1EiNS0_19identity_decomposerEEEEE10hipError_tT0_T1_T2_jT3_P12ihipStream_tbPNSt15iterator_traitsISG_E10value_typeEPNSM_ISH_E10value_typeEPSI_NS1_7vsmem_tEENKUlT_SG_SH_SI_E_clISA_PiSB_PsEESF_SV_SG_SH_SI_EUlSV_E1_NS1_11comp_targetILNS1_3genE3ELNS1_11target_archE908ELNS1_3gpuE7ELNS1_3repE0EEENS1_36merge_oddeven_config_static_selectorELNS0_4arch9wavefront6targetE1EEEvSH_.num_agpr, 0
	.set _ZN7rocprim17ROCPRIM_400000_NS6detail17trampoline_kernelINS0_14default_configENS1_38merge_sort_block_merge_config_selectorIisEEZZNS1_27merge_sort_block_merge_implIS3_N6thrust23THRUST_200600_302600_NS10device_ptrIiEENS9_IsEEjNS1_19radix_merge_compareILb0ELb1EiNS0_19identity_decomposerEEEEE10hipError_tT0_T1_T2_jT3_P12ihipStream_tbPNSt15iterator_traitsISG_E10value_typeEPNSM_ISH_E10value_typeEPSI_NS1_7vsmem_tEENKUlT_SG_SH_SI_E_clISA_PiSB_PsEESF_SV_SG_SH_SI_EUlSV_E1_NS1_11comp_targetILNS1_3genE3ELNS1_11target_archE908ELNS1_3gpuE7ELNS1_3repE0EEENS1_36merge_oddeven_config_static_selectorELNS0_4arch9wavefront6targetE1EEEvSH_.numbered_sgpr, 0
	.set _ZN7rocprim17ROCPRIM_400000_NS6detail17trampoline_kernelINS0_14default_configENS1_38merge_sort_block_merge_config_selectorIisEEZZNS1_27merge_sort_block_merge_implIS3_N6thrust23THRUST_200600_302600_NS10device_ptrIiEENS9_IsEEjNS1_19radix_merge_compareILb0ELb1EiNS0_19identity_decomposerEEEEE10hipError_tT0_T1_T2_jT3_P12ihipStream_tbPNSt15iterator_traitsISG_E10value_typeEPNSM_ISH_E10value_typeEPSI_NS1_7vsmem_tEENKUlT_SG_SH_SI_E_clISA_PiSB_PsEESF_SV_SG_SH_SI_EUlSV_E1_NS1_11comp_targetILNS1_3genE3ELNS1_11target_archE908ELNS1_3gpuE7ELNS1_3repE0EEENS1_36merge_oddeven_config_static_selectorELNS0_4arch9wavefront6targetE1EEEvSH_.num_named_barrier, 0
	.set _ZN7rocprim17ROCPRIM_400000_NS6detail17trampoline_kernelINS0_14default_configENS1_38merge_sort_block_merge_config_selectorIisEEZZNS1_27merge_sort_block_merge_implIS3_N6thrust23THRUST_200600_302600_NS10device_ptrIiEENS9_IsEEjNS1_19radix_merge_compareILb0ELb1EiNS0_19identity_decomposerEEEEE10hipError_tT0_T1_T2_jT3_P12ihipStream_tbPNSt15iterator_traitsISG_E10value_typeEPNSM_ISH_E10value_typeEPSI_NS1_7vsmem_tEENKUlT_SG_SH_SI_E_clISA_PiSB_PsEESF_SV_SG_SH_SI_EUlSV_E1_NS1_11comp_targetILNS1_3genE3ELNS1_11target_archE908ELNS1_3gpuE7ELNS1_3repE0EEENS1_36merge_oddeven_config_static_selectorELNS0_4arch9wavefront6targetE1EEEvSH_.private_seg_size, 0
	.set _ZN7rocprim17ROCPRIM_400000_NS6detail17trampoline_kernelINS0_14default_configENS1_38merge_sort_block_merge_config_selectorIisEEZZNS1_27merge_sort_block_merge_implIS3_N6thrust23THRUST_200600_302600_NS10device_ptrIiEENS9_IsEEjNS1_19radix_merge_compareILb0ELb1EiNS0_19identity_decomposerEEEEE10hipError_tT0_T1_T2_jT3_P12ihipStream_tbPNSt15iterator_traitsISG_E10value_typeEPNSM_ISH_E10value_typeEPSI_NS1_7vsmem_tEENKUlT_SG_SH_SI_E_clISA_PiSB_PsEESF_SV_SG_SH_SI_EUlSV_E1_NS1_11comp_targetILNS1_3genE3ELNS1_11target_archE908ELNS1_3gpuE7ELNS1_3repE0EEENS1_36merge_oddeven_config_static_selectorELNS0_4arch9wavefront6targetE1EEEvSH_.uses_vcc, 0
	.set _ZN7rocprim17ROCPRIM_400000_NS6detail17trampoline_kernelINS0_14default_configENS1_38merge_sort_block_merge_config_selectorIisEEZZNS1_27merge_sort_block_merge_implIS3_N6thrust23THRUST_200600_302600_NS10device_ptrIiEENS9_IsEEjNS1_19radix_merge_compareILb0ELb1EiNS0_19identity_decomposerEEEEE10hipError_tT0_T1_T2_jT3_P12ihipStream_tbPNSt15iterator_traitsISG_E10value_typeEPNSM_ISH_E10value_typeEPSI_NS1_7vsmem_tEENKUlT_SG_SH_SI_E_clISA_PiSB_PsEESF_SV_SG_SH_SI_EUlSV_E1_NS1_11comp_targetILNS1_3genE3ELNS1_11target_archE908ELNS1_3gpuE7ELNS1_3repE0EEENS1_36merge_oddeven_config_static_selectorELNS0_4arch9wavefront6targetE1EEEvSH_.uses_flat_scratch, 0
	.set _ZN7rocprim17ROCPRIM_400000_NS6detail17trampoline_kernelINS0_14default_configENS1_38merge_sort_block_merge_config_selectorIisEEZZNS1_27merge_sort_block_merge_implIS3_N6thrust23THRUST_200600_302600_NS10device_ptrIiEENS9_IsEEjNS1_19radix_merge_compareILb0ELb1EiNS0_19identity_decomposerEEEEE10hipError_tT0_T1_T2_jT3_P12ihipStream_tbPNSt15iterator_traitsISG_E10value_typeEPNSM_ISH_E10value_typeEPSI_NS1_7vsmem_tEENKUlT_SG_SH_SI_E_clISA_PiSB_PsEESF_SV_SG_SH_SI_EUlSV_E1_NS1_11comp_targetILNS1_3genE3ELNS1_11target_archE908ELNS1_3gpuE7ELNS1_3repE0EEENS1_36merge_oddeven_config_static_selectorELNS0_4arch9wavefront6targetE1EEEvSH_.has_dyn_sized_stack, 0
	.set _ZN7rocprim17ROCPRIM_400000_NS6detail17trampoline_kernelINS0_14default_configENS1_38merge_sort_block_merge_config_selectorIisEEZZNS1_27merge_sort_block_merge_implIS3_N6thrust23THRUST_200600_302600_NS10device_ptrIiEENS9_IsEEjNS1_19radix_merge_compareILb0ELb1EiNS0_19identity_decomposerEEEEE10hipError_tT0_T1_T2_jT3_P12ihipStream_tbPNSt15iterator_traitsISG_E10value_typeEPNSM_ISH_E10value_typeEPSI_NS1_7vsmem_tEENKUlT_SG_SH_SI_E_clISA_PiSB_PsEESF_SV_SG_SH_SI_EUlSV_E1_NS1_11comp_targetILNS1_3genE3ELNS1_11target_archE908ELNS1_3gpuE7ELNS1_3repE0EEENS1_36merge_oddeven_config_static_selectorELNS0_4arch9wavefront6targetE1EEEvSH_.has_recursion, 0
	.set _ZN7rocprim17ROCPRIM_400000_NS6detail17trampoline_kernelINS0_14default_configENS1_38merge_sort_block_merge_config_selectorIisEEZZNS1_27merge_sort_block_merge_implIS3_N6thrust23THRUST_200600_302600_NS10device_ptrIiEENS9_IsEEjNS1_19radix_merge_compareILb0ELb1EiNS0_19identity_decomposerEEEEE10hipError_tT0_T1_T2_jT3_P12ihipStream_tbPNSt15iterator_traitsISG_E10value_typeEPNSM_ISH_E10value_typeEPSI_NS1_7vsmem_tEENKUlT_SG_SH_SI_E_clISA_PiSB_PsEESF_SV_SG_SH_SI_EUlSV_E1_NS1_11comp_targetILNS1_3genE3ELNS1_11target_archE908ELNS1_3gpuE7ELNS1_3repE0EEENS1_36merge_oddeven_config_static_selectorELNS0_4arch9wavefront6targetE1EEEvSH_.has_indirect_call, 0
	.section	.AMDGPU.csdata,"",@progbits
; Kernel info:
; codeLenInByte = 0
; TotalNumSgprs: 6
; NumVgprs: 0
; NumAgprs: 0
; TotalNumVgprs: 0
; ScratchSize: 0
; MemoryBound: 0
; FloatMode: 240
; IeeeMode: 1
; LDSByteSize: 0 bytes/workgroup (compile time only)
; SGPRBlocks: 0
; VGPRBlocks: 0
; NumSGPRsForWavesPerEU: 6
; NumVGPRsForWavesPerEU: 1
; AccumOffset: 4
; Occupancy: 8
; WaveLimiterHint : 0
; COMPUTE_PGM_RSRC2:SCRATCH_EN: 0
; COMPUTE_PGM_RSRC2:USER_SGPR: 2
; COMPUTE_PGM_RSRC2:TRAP_HANDLER: 0
; COMPUTE_PGM_RSRC2:TGID_X_EN: 1
; COMPUTE_PGM_RSRC2:TGID_Y_EN: 0
; COMPUTE_PGM_RSRC2:TGID_Z_EN: 0
; COMPUTE_PGM_RSRC2:TIDIG_COMP_CNT: 0
; COMPUTE_PGM_RSRC3_GFX90A:ACCUM_OFFSET: 0
; COMPUTE_PGM_RSRC3_GFX90A:TG_SPLIT: 0
	.section	.text._ZN7rocprim17ROCPRIM_400000_NS6detail17trampoline_kernelINS0_14default_configENS1_38merge_sort_block_merge_config_selectorIisEEZZNS1_27merge_sort_block_merge_implIS3_N6thrust23THRUST_200600_302600_NS10device_ptrIiEENS9_IsEEjNS1_19radix_merge_compareILb0ELb1EiNS0_19identity_decomposerEEEEE10hipError_tT0_T1_T2_jT3_P12ihipStream_tbPNSt15iterator_traitsISG_E10value_typeEPNSM_ISH_E10value_typeEPSI_NS1_7vsmem_tEENKUlT_SG_SH_SI_E_clISA_PiSB_PsEESF_SV_SG_SH_SI_EUlSV_E1_NS1_11comp_targetILNS1_3genE2ELNS1_11target_archE906ELNS1_3gpuE6ELNS1_3repE0EEENS1_36merge_oddeven_config_static_selectorELNS0_4arch9wavefront6targetE1EEEvSH_,"axG",@progbits,_ZN7rocprim17ROCPRIM_400000_NS6detail17trampoline_kernelINS0_14default_configENS1_38merge_sort_block_merge_config_selectorIisEEZZNS1_27merge_sort_block_merge_implIS3_N6thrust23THRUST_200600_302600_NS10device_ptrIiEENS9_IsEEjNS1_19radix_merge_compareILb0ELb1EiNS0_19identity_decomposerEEEEE10hipError_tT0_T1_T2_jT3_P12ihipStream_tbPNSt15iterator_traitsISG_E10value_typeEPNSM_ISH_E10value_typeEPSI_NS1_7vsmem_tEENKUlT_SG_SH_SI_E_clISA_PiSB_PsEESF_SV_SG_SH_SI_EUlSV_E1_NS1_11comp_targetILNS1_3genE2ELNS1_11target_archE906ELNS1_3gpuE6ELNS1_3repE0EEENS1_36merge_oddeven_config_static_selectorELNS0_4arch9wavefront6targetE1EEEvSH_,comdat
	.protected	_ZN7rocprim17ROCPRIM_400000_NS6detail17trampoline_kernelINS0_14default_configENS1_38merge_sort_block_merge_config_selectorIisEEZZNS1_27merge_sort_block_merge_implIS3_N6thrust23THRUST_200600_302600_NS10device_ptrIiEENS9_IsEEjNS1_19radix_merge_compareILb0ELb1EiNS0_19identity_decomposerEEEEE10hipError_tT0_T1_T2_jT3_P12ihipStream_tbPNSt15iterator_traitsISG_E10value_typeEPNSM_ISH_E10value_typeEPSI_NS1_7vsmem_tEENKUlT_SG_SH_SI_E_clISA_PiSB_PsEESF_SV_SG_SH_SI_EUlSV_E1_NS1_11comp_targetILNS1_3genE2ELNS1_11target_archE906ELNS1_3gpuE6ELNS1_3repE0EEENS1_36merge_oddeven_config_static_selectorELNS0_4arch9wavefront6targetE1EEEvSH_ ; -- Begin function _ZN7rocprim17ROCPRIM_400000_NS6detail17trampoline_kernelINS0_14default_configENS1_38merge_sort_block_merge_config_selectorIisEEZZNS1_27merge_sort_block_merge_implIS3_N6thrust23THRUST_200600_302600_NS10device_ptrIiEENS9_IsEEjNS1_19radix_merge_compareILb0ELb1EiNS0_19identity_decomposerEEEEE10hipError_tT0_T1_T2_jT3_P12ihipStream_tbPNSt15iterator_traitsISG_E10value_typeEPNSM_ISH_E10value_typeEPSI_NS1_7vsmem_tEENKUlT_SG_SH_SI_E_clISA_PiSB_PsEESF_SV_SG_SH_SI_EUlSV_E1_NS1_11comp_targetILNS1_3genE2ELNS1_11target_archE906ELNS1_3gpuE6ELNS1_3repE0EEENS1_36merge_oddeven_config_static_selectorELNS0_4arch9wavefront6targetE1EEEvSH_
	.globl	_ZN7rocprim17ROCPRIM_400000_NS6detail17trampoline_kernelINS0_14default_configENS1_38merge_sort_block_merge_config_selectorIisEEZZNS1_27merge_sort_block_merge_implIS3_N6thrust23THRUST_200600_302600_NS10device_ptrIiEENS9_IsEEjNS1_19radix_merge_compareILb0ELb1EiNS0_19identity_decomposerEEEEE10hipError_tT0_T1_T2_jT3_P12ihipStream_tbPNSt15iterator_traitsISG_E10value_typeEPNSM_ISH_E10value_typeEPSI_NS1_7vsmem_tEENKUlT_SG_SH_SI_E_clISA_PiSB_PsEESF_SV_SG_SH_SI_EUlSV_E1_NS1_11comp_targetILNS1_3genE2ELNS1_11target_archE906ELNS1_3gpuE6ELNS1_3repE0EEENS1_36merge_oddeven_config_static_selectorELNS0_4arch9wavefront6targetE1EEEvSH_
	.p2align	8
	.type	_ZN7rocprim17ROCPRIM_400000_NS6detail17trampoline_kernelINS0_14default_configENS1_38merge_sort_block_merge_config_selectorIisEEZZNS1_27merge_sort_block_merge_implIS3_N6thrust23THRUST_200600_302600_NS10device_ptrIiEENS9_IsEEjNS1_19radix_merge_compareILb0ELb1EiNS0_19identity_decomposerEEEEE10hipError_tT0_T1_T2_jT3_P12ihipStream_tbPNSt15iterator_traitsISG_E10value_typeEPNSM_ISH_E10value_typeEPSI_NS1_7vsmem_tEENKUlT_SG_SH_SI_E_clISA_PiSB_PsEESF_SV_SG_SH_SI_EUlSV_E1_NS1_11comp_targetILNS1_3genE2ELNS1_11target_archE906ELNS1_3gpuE6ELNS1_3repE0EEENS1_36merge_oddeven_config_static_selectorELNS0_4arch9wavefront6targetE1EEEvSH_,@function
_ZN7rocprim17ROCPRIM_400000_NS6detail17trampoline_kernelINS0_14default_configENS1_38merge_sort_block_merge_config_selectorIisEEZZNS1_27merge_sort_block_merge_implIS3_N6thrust23THRUST_200600_302600_NS10device_ptrIiEENS9_IsEEjNS1_19radix_merge_compareILb0ELb1EiNS0_19identity_decomposerEEEEE10hipError_tT0_T1_T2_jT3_P12ihipStream_tbPNSt15iterator_traitsISG_E10value_typeEPNSM_ISH_E10value_typeEPSI_NS1_7vsmem_tEENKUlT_SG_SH_SI_E_clISA_PiSB_PsEESF_SV_SG_SH_SI_EUlSV_E1_NS1_11comp_targetILNS1_3genE2ELNS1_11target_archE906ELNS1_3gpuE6ELNS1_3repE0EEENS1_36merge_oddeven_config_static_selectorELNS0_4arch9wavefront6targetE1EEEvSH_: ; @_ZN7rocprim17ROCPRIM_400000_NS6detail17trampoline_kernelINS0_14default_configENS1_38merge_sort_block_merge_config_selectorIisEEZZNS1_27merge_sort_block_merge_implIS3_N6thrust23THRUST_200600_302600_NS10device_ptrIiEENS9_IsEEjNS1_19radix_merge_compareILb0ELb1EiNS0_19identity_decomposerEEEEE10hipError_tT0_T1_T2_jT3_P12ihipStream_tbPNSt15iterator_traitsISG_E10value_typeEPNSM_ISH_E10value_typeEPSI_NS1_7vsmem_tEENKUlT_SG_SH_SI_E_clISA_PiSB_PsEESF_SV_SG_SH_SI_EUlSV_E1_NS1_11comp_targetILNS1_3genE2ELNS1_11target_archE906ELNS1_3gpuE6ELNS1_3repE0EEENS1_36merge_oddeven_config_static_selectorELNS0_4arch9wavefront6targetE1EEEvSH_
; %bb.0:
	.section	.rodata,"a",@progbits
	.p2align	6, 0x0
	.amdhsa_kernel _ZN7rocprim17ROCPRIM_400000_NS6detail17trampoline_kernelINS0_14default_configENS1_38merge_sort_block_merge_config_selectorIisEEZZNS1_27merge_sort_block_merge_implIS3_N6thrust23THRUST_200600_302600_NS10device_ptrIiEENS9_IsEEjNS1_19radix_merge_compareILb0ELb1EiNS0_19identity_decomposerEEEEE10hipError_tT0_T1_T2_jT3_P12ihipStream_tbPNSt15iterator_traitsISG_E10value_typeEPNSM_ISH_E10value_typeEPSI_NS1_7vsmem_tEENKUlT_SG_SH_SI_E_clISA_PiSB_PsEESF_SV_SG_SH_SI_EUlSV_E1_NS1_11comp_targetILNS1_3genE2ELNS1_11target_archE906ELNS1_3gpuE6ELNS1_3repE0EEENS1_36merge_oddeven_config_static_selectorELNS0_4arch9wavefront6targetE1EEEvSH_
		.amdhsa_group_segment_fixed_size 0
		.amdhsa_private_segment_fixed_size 0
		.amdhsa_kernarg_size 48
		.amdhsa_user_sgpr_count 2
		.amdhsa_user_sgpr_dispatch_ptr 0
		.amdhsa_user_sgpr_queue_ptr 0
		.amdhsa_user_sgpr_kernarg_segment_ptr 1
		.amdhsa_user_sgpr_dispatch_id 0
		.amdhsa_user_sgpr_kernarg_preload_length 0
		.amdhsa_user_sgpr_kernarg_preload_offset 0
		.amdhsa_user_sgpr_private_segment_size 0
		.amdhsa_uses_dynamic_stack 0
		.amdhsa_enable_private_segment 0
		.amdhsa_system_sgpr_workgroup_id_x 1
		.amdhsa_system_sgpr_workgroup_id_y 0
		.amdhsa_system_sgpr_workgroup_id_z 0
		.amdhsa_system_sgpr_workgroup_info 0
		.amdhsa_system_vgpr_workitem_id 0
		.amdhsa_next_free_vgpr 1
		.amdhsa_next_free_sgpr 0
		.amdhsa_accum_offset 4
		.amdhsa_reserve_vcc 0
		.amdhsa_float_round_mode_32 0
		.amdhsa_float_round_mode_16_64 0
		.amdhsa_float_denorm_mode_32 3
		.amdhsa_float_denorm_mode_16_64 3
		.amdhsa_dx10_clamp 1
		.amdhsa_ieee_mode 1
		.amdhsa_fp16_overflow 0
		.amdhsa_tg_split 0
		.amdhsa_exception_fp_ieee_invalid_op 0
		.amdhsa_exception_fp_denorm_src 0
		.amdhsa_exception_fp_ieee_div_zero 0
		.amdhsa_exception_fp_ieee_overflow 0
		.amdhsa_exception_fp_ieee_underflow 0
		.amdhsa_exception_fp_ieee_inexact 0
		.amdhsa_exception_int_div_zero 0
	.end_amdhsa_kernel
	.section	.text._ZN7rocprim17ROCPRIM_400000_NS6detail17trampoline_kernelINS0_14default_configENS1_38merge_sort_block_merge_config_selectorIisEEZZNS1_27merge_sort_block_merge_implIS3_N6thrust23THRUST_200600_302600_NS10device_ptrIiEENS9_IsEEjNS1_19radix_merge_compareILb0ELb1EiNS0_19identity_decomposerEEEEE10hipError_tT0_T1_T2_jT3_P12ihipStream_tbPNSt15iterator_traitsISG_E10value_typeEPNSM_ISH_E10value_typeEPSI_NS1_7vsmem_tEENKUlT_SG_SH_SI_E_clISA_PiSB_PsEESF_SV_SG_SH_SI_EUlSV_E1_NS1_11comp_targetILNS1_3genE2ELNS1_11target_archE906ELNS1_3gpuE6ELNS1_3repE0EEENS1_36merge_oddeven_config_static_selectorELNS0_4arch9wavefront6targetE1EEEvSH_,"axG",@progbits,_ZN7rocprim17ROCPRIM_400000_NS6detail17trampoline_kernelINS0_14default_configENS1_38merge_sort_block_merge_config_selectorIisEEZZNS1_27merge_sort_block_merge_implIS3_N6thrust23THRUST_200600_302600_NS10device_ptrIiEENS9_IsEEjNS1_19radix_merge_compareILb0ELb1EiNS0_19identity_decomposerEEEEE10hipError_tT0_T1_T2_jT3_P12ihipStream_tbPNSt15iterator_traitsISG_E10value_typeEPNSM_ISH_E10value_typeEPSI_NS1_7vsmem_tEENKUlT_SG_SH_SI_E_clISA_PiSB_PsEESF_SV_SG_SH_SI_EUlSV_E1_NS1_11comp_targetILNS1_3genE2ELNS1_11target_archE906ELNS1_3gpuE6ELNS1_3repE0EEENS1_36merge_oddeven_config_static_selectorELNS0_4arch9wavefront6targetE1EEEvSH_,comdat
.Lfunc_end2401:
	.size	_ZN7rocprim17ROCPRIM_400000_NS6detail17trampoline_kernelINS0_14default_configENS1_38merge_sort_block_merge_config_selectorIisEEZZNS1_27merge_sort_block_merge_implIS3_N6thrust23THRUST_200600_302600_NS10device_ptrIiEENS9_IsEEjNS1_19radix_merge_compareILb0ELb1EiNS0_19identity_decomposerEEEEE10hipError_tT0_T1_T2_jT3_P12ihipStream_tbPNSt15iterator_traitsISG_E10value_typeEPNSM_ISH_E10value_typeEPSI_NS1_7vsmem_tEENKUlT_SG_SH_SI_E_clISA_PiSB_PsEESF_SV_SG_SH_SI_EUlSV_E1_NS1_11comp_targetILNS1_3genE2ELNS1_11target_archE906ELNS1_3gpuE6ELNS1_3repE0EEENS1_36merge_oddeven_config_static_selectorELNS0_4arch9wavefront6targetE1EEEvSH_, .Lfunc_end2401-_ZN7rocprim17ROCPRIM_400000_NS6detail17trampoline_kernelINS0_14default_configENS1_38merge_sort_block_merge_config_selectorIisEEZZNS1_27merge_sort_block_merge_implIS3_N6thrust23THRUST_200600_302600_NS10device_ptrIiEENS9_IsEEjNS1_19radix_merge_compareILb0ELb1EiNS0_19identity_decomposerEEEEE10hipError_tT0_T1_T2_jT3_P12ihipStream_tbPNSt15iterator_traitsISG_E10value_typeEPNSM_ISH_E10value_typeEPSI_NS1_7vsmem_tEENKUlT_SG_SH_SI_E_clISA_PiSB_PsEESF_SV_SG_SH_SI_EUlSV_E1_NS1_11comp_targetILNS1_3genE2ELNS1_11target_archE906ELNS1_3gpuE6ELNS1_3repE0EEENS1_36merge_oddeven_config_static_selectorELNS0_4arch9wavefront6targetE1EEEvSH_
                                        ; -- End function
	.set _ZN7rocprim17ROCPRIM_400000_NS6detail17trampoline_kernelINS0_14default_configENS1_38merge_sort_block_merge_config_selectorIisEEZZNS1_27merge_sort_block_merge_implIS3_N6thrust23THRUST_200600_302600_NS10device_ptrIiEENS9_IsEEjNS1_19radix_merge_compareILb0ELb1EiNS0_19identity_decomposerEEEEE10hipError_tT0_T1_T2_jT3_P12ihipStream_tbPNSt15iterator_traitsISG_E10value_typeEPNSM_ISH_E10value_typeEPSI_NS1_7vsmem_tEENKUlT_SG_SH_SI_E_clISA_PiSB_PsEESF_SV_SG_SH_SI_EUlSV_E1_NS1_11comp_targetILNS1_3genE2ELNS1_11target_archE906ELNS1_3gpuE6ELNS1_3repE0EEENS1_36merge_oddeven_config_static_selectorELNS0_4arch9wavefront6targetE1EEEvSH_.num_vgpr, 0
	.set _ZN7rocprim17ROCPRIM_400000_NS6detail17trampoline_kernelINS0_14default_configENS1_38merge_sort_block_merge_config_selectorIisEEZZNS1_27merge_sort_block_merge_implIS3_N6thrust23THRUST_200600_302600_NS10device_ptrIiEENS9_IsEEjNS1_19radix_merge_compareILb0ELb1EiNS0_19identity_decomposerEEEEE10hipError_tT0_T1_T2_jT3_P12ihipStream_tbPNSt15iterator_traitsISG_E10value_typeEPNSM_ISH_E10value_typeEPSI_NS1_7vsmem_tEENKUlT_SG_SH_SI_E_clISA_PiSB_PsEESF_SV_SG_SH_SI_EUlSV_E1_NS1_11comp_targetILNS1_3genE2ELNS1_11target_archE906ELNS1_3gpuE6ELNS1_3repE0EEENS1_36merge_oddeven_config_static_selectorELNS0_4arch9wavefront6targetE1EEEvSH_.num_agpr, 0
	.set _ZN7rocprim17ROCPRIM_400000_NS6detail17trampoline_kernelINS0_14default_configENS1_38merge_sort_block_merge_config_selectorIisEEZZNS1_27merge_sort_block_merge_implIS3_N6thrust23THRUST_200600_302600_NS10device_ptrIiEENS9_IsEEjNS1_19radix_merge_compareILb0ELb1EiNS0_19identity_decomposerEEEEE10hipError_tT0_T1_T2_jT3_P12ihipStream_tbPNSt15iterator_traitsISG_E10value_typeEPNSM_ISH_E10value_typeEPSI_NS1_7vsmem_tEENKUlT_SG_SH_SI_E_clISA_PiSB_PsEESF_SV_SG_SH_SI_EUlSV_E1_NS1_11comp_targetILNS1_3genE2ELNS1_11target_archE906ELNS1_3gpuE6ELNS1_3repE0EEENS1_36merge_oddeven_config_static_selectorELNS0_4arch9wavefront6targetE1EEEvSH_.numbered_sgpr, 0
	.set _ZN7rocprim17ROCPRIM_400000_NS6detail17trampoline_kernelINS0_14default_configENS1_38merge_sort_block_merge_config_selectorIisEEZZNS1_27merge_sort_block_merge_implIS3_N6thrust23THRUST_200600_302600_NS10device_ptrIiEENS9_IsEEjNS1_19radix_merge_compareILb0ELb1EiNS0_19identity_decomposerEEEEE10hipError_tT0_T1_T2_jT3_P12ihipStream_tbPNSt15iterator_traitsISG_E10value_typeEPNSM_ISH_E10value_typeEPSI_NS1_7vsmem_tEENKUlT_SG_SH_SI_E_clISA_PiSB_PsEESF_SV_SG_SH_SI_EUlSV_E1_NS1_11comp_targetILNS1_3genE2ELNS1_11target_archE906ELNS1_3gpuE6ELNS1_3repE0EEENS1_36merge_oddeven_config_static_selectorELNS0_4arch9wavefront6targetE1EEEvSH_.num_named_barrier, 0
	.set _ZN7rocprim17ROCPRIM_400000_NS6detail17trampoline_kernelINS0_14default_configENS1_38merge_sort_block_merge_config_selectorIisEEZZNS1_27merge_sort_block_merge_implIS3_N6thrust23THRUST_200600_302600_NS10device_ptrIiEENS9_IsEEjNS1_19radix_merge_compareILb0ELb1EiNS0_19identity_decomposerEEEEE10hipError_tT0_T1_T2_jT3_P12ihipStream_tbPNSt15iterator_traitsISG_E10value_typeEPNSM_ISH_E10value_typeEPSI_NS1_7vsmem_tEENKUlT_SG_SH_SI_E_clISA_PiSB_PsEESF_SV_SG_SH_SI_EUlSV_E1_NS1_11comp_targetILNS1_3genE2ELNS1_11target_archE906ELNS1_3gpuE6ELNS1_3repE0EEENS1_36merge_oddeven_config_static_selectorELNS0_4arch9wavefront6targetE1EEEvSH_.private_seg_size, 0
	.set _ZN7rocprim17ROCPRIM_400000_NS6detail17trampoline_kernelINS0_14default_configENS1_38merge_sort_block_merge_config_selectorIisEEZZNS1_27merge_sort_block_merge_implIS3_N6thrust23THRUST_200600_302600_NS10device_ptrIiEENS9_IsEEjNS1_19radix_merge_compareILb0ELb1EiNS0_19identity_decomposerEEEEE10hipError_tT0_T1_T2_jT3_P12ihipStream_tbPNSt15iterator_traitsISG_E10value_typeEPNSM_ISH_E10value_typeEPSI_NS1_7vsmem_tEENKUlT_SG_SH_SI_E_clISA_PiSB_PsEESF_SV_SG_SH_SI_EUlSV_E1_NS1_11comp_targetILNS1_3genE2ELNS1_11target_archE906ELNS1_3gpuE6ELNS1_3repE0EEENS1_36merge_oddeven_config_static_selectorELNS0_4arch9wavefront6targetE1EEEvSH_.uses_vcc, 0
	.set _ZN7rocprim17ROCPRIM_400000_NS6detail17trampoline_kernelINS0_14default_configENS1_38merge_sort_block_merge_config_selectorIisEEZZNS1_27merge_sort_block_merge_implIS3_N6thrust23THRUST_200600_302600_NS10device_ptrIiEENS9_IsEEjNS1_19radix_merge_compareILb0ELb1EiNS0_19identity_decomposerEEEEE10hipError_tT0_T1_T2_jT3_P12ihipStream_tbPNSt15iterator_traitsISG_E10value_typeEPNSM_ISH_E10value_typeEPSI_NS1_7vsmem_tEENKUlT_SG_SH_SI_E_clISA_PiSB_PsEESF_SV_SG_SH_SI_EUlSV_E1_NS1_11comp_targetILNS1_3genE2ELNS1_11target_archE906ELNS1_3gpuE6ELNS1_3repE0EEENS1_36merge_oddeven_config_static_selectorELNS0_4arch9wavefront6targetE1EEEvSH_.uses_flat_scratch, 0
	.set _ZN7rocprim17ROCPRIM_400000_NS6detail17trampoline_kernelINS0_14default_configENS1_38merge_sort_block_merge_config_selectorIisEEZZNS1_27merge_sort_block_merge_implIS3_N6thrust23THRUST_200600_302600_NS10device_ptrIiEENS9_IsEEjNS1_19radix_merge_compareILb0ELb1EiNS0_19identity_decomposerEEEEE10hipError_tT0_T1_T2_jT3_P12ihipStream_tbPNSt15iterator_traitsISG_E10value_typeEPNSM_ISH_E10value_typeEPSI_NS1_7vsmem_tEENKUlT_SG_SH_SI_E_clISA_PiSB_PsEESF_SV_SG_SH_SI_EUlSV_E1_NS1_11comp_targetILNS1_3genE2ELNS1_11target_archE906ELNS1_3gpuE6ELNS1_3repE0EEENS1_36merge_oddeven_config_static_selectorELNS0_4arch9wavefront6targetE1EEEvSH_.has_dyn_sized_stack, 0
	.set _ZN7rocprim17ROCPRIM_400000_NS6detail17trampoline_kernelINS0_14default_configENS1_38merge_sort_block_merge_config_selectorIisEEZZNS1_27merge_sort_block_merge_implIS3_N6thrust23THRUST_200600_302600_NS10device_ptrIiEENS9_IsEEjNS1_19radix_merge_compareILb0ELb1EiNS0_19identity_decomposerEEEEE10hipError_tT0_T1_T2_jT3_P12ihipStream_tbPNSt15iterator_traitsISG_E10value_typeEPNSM_ISH_E10value_typeEPSI_NS1_7vsmem_tEENKUlT_SG_SH_SI_E_clISA_PiSB_PsEESF_SV_SG_SH_SI_EUlSV_E1_NS1_11comp_targetILNS1_3genE2ELNS1_11target_archE906ELNS1_3gpuE6ELNS1_3repE0EEENS1_36merge_oddeven_config_static_selectorELNS0_4arch9wavefront6targetE1EEEvSH_.has_recursion, 0
	.set _ZN7rocprim17ROCPRIM_400000_NS6detail17trampoline_kernelINS0_14default_configENS1_38merge_sort_block_merge_config_selectorIisEEZZNS1_27merge_sort_block_merge_implIS3_N6thrust23THRUST_200600_302600_NS10device_ptrIiEENS9_IsEEjNS1_19radix_merge_compareILb0ELb1EiNS0_19identity_decomposerEEEEE10hipError_tT0_T1_T2_jT3_P12ihipStream_tbPNSt15iterator_traitsISG_E10value_typeEPNSM_ISH_E10value_typeEPSI_NS1_7vsmem_tEENKUlT_SG_SH_SI_E_clISA_PiSB_PsEESF_SV_SG_SH_SI_EUlSV_E1_NS1_11comp_targetILNS1_3genE2ELNS1_11target_archE906ELNS1_3gpuE6ELNS1_3repE0EEENS1_36merge_oddeven_config_static_selectorELNS0_4arch9wavefront6targetE1EEEvSH_.has_indirect_call, 0
	.section	.AMDGPU.csdata,"",@progbits
; Kernel info:
; codeLenInByte = 0
; TotalNumSgprs: 6
; NumVgprs: 0
; NumAgprs: 0
; TotalNumVgprs: 0
; ScratchSize: 0
; MemoryBound: 0
; FloatMode: 240
; IeeeMode: 1
; LDSByteSize: 0 bytes/workgroup (compile time only)
; SGPRBlocks: 0
; VGPRBlocks: 0
; NumSGPRsForWavesPerEU: 6
; NumVGPRsForWavesPerEU: 1
; AccumOffset: 4
; Occupancy: 8
; WaveLimiterHint : 0
; COMPUTE_PGM_RSRC2:SCRATCH_EN: 0
; COMPUTE_PGM_RSRC2:USER_SGPR: 2
; COMPUTE_PGM_RSRC2:TRAP_HANDLER: 0
; COMPUTE_PGM_RSRC2:TGID_X_EN: 1
; COMPUTE_PGM_RSRC2:TGID_Y_EN: 0
; COMPUTE_PGM_RSRC2:TGID_Z_EN: 0
; COMPUTE_PGM_RSRC2:TIDIG_COMP_CNT: 0
; COMPUTE_PGM_RSRC3_GFX90A:ACCUM_OFFSET: 0
; COMPUTE_PGM_RSRC3_GFX90A:TG_SPLIT: 0
	.section	.text._ZN7rocprim17ROCPRIM_400000_NS6detail17trampoline_kernelINS0_14default_configENS1_38merge_sort_block_merge_config_selectorIisEEZZNS1_27merge_sort_block_merge_implIS3_N6thrust23THRUST_200600_302600_NS10device_ptrIiEENS9_IsEEjNS1_19radix_merge_compareILb0ELb1EiNS0_19identity_decomposerEEEEE10hipError_tT0_T1_T2_jT3_P12ihipStream_tbPNSt15iterator_traitsISG_E10value_typeEPNSM_ISH_E10value_typeEPSI_NS1_7vsmem_tEENKUlT_SG_SH_SI_E_clISA_PiSB_PsEESF_SV_SG_SH_SI_EUlSV_E1_NS1_11comp_targetILNS1_3genE9ELNS1_11target_archE1100ELNS1_3gpuE3ELNS1_3repE0EEENS1_36merge_oddeven_config_static_selectorELNS0_4arch9wavefront6targetE1EEEvSH_,"axG",@progbits,_ZN7rocprim17ROCPRIM_400000_NS6detail17trampoline_kernelINS0_14default_configENS1_38merge_sort_block_merge_config_selectorIisEEZZNS1_27merge_sort_block_merge_implIS3_N6thrust23THRUST_200600_302600_NS10device_ptrIiEENS9_IsEEjNS1_19radix_merge_compareILb0ELb1EiNS0_19identity_decomposerEEEEE10hipError_tT0_T1_T2_jT3_P12ihipStream_tbPNSt15iterator_traitsISG_E10value_typeEPNSM_ISH_E10value_typeEPSI_NS1_7vsmem_tEENKUlT_SG_SH_SI_E_clISA_PiSB_PsEESF_SV_SG_SH_SI_EUlSV_E1_NS1_11comp_targetILNS1_3genE9ELNS1_11target_archE1100ELNS1_3gpuE3ELNS1_3repE0EEENS1_36merge_oddeven_config_static_selectorELNS0_4arch9wavefront6targetE1EEEvSH_,comdat
	.protected	_ZN7rocprim17ROCPRIM_400000_NS6detail17trampoline_kernelINS0_14default_configENS1_38merge_sort_block_merge_config_selectorIisEEZZNS1_27merge_sort_block_merge_implIS3_N6thrust23THRUST_200600_302600_NS10device_ptrIiEENS9_IsEEjNS1_19radix_merge_compareILb0ELb1EiNS0_19identity_decomposerEEEEE10hipError_tT0_T1_T2_jT3_P12ihipStream_tbPNSt15iterator_traitsISG_E10value_typeEPNSM_ISH_E10value_typeEPSI_NS1_7vsmem_tEENKUlT_SG_SH_SI_E_clISA_PiSB_PsEESF_SV_SG_SH_SI_EUlSV_E1_NS1_11comp_targetILNS1_3genE9ELNS1_11target_archE1100ELNS1_3gpuE3ELNS1_3repE0EEENS1_36merge_oddeven_config_static_selectorELNS0_4arch9wavefront6targetE1EEEvSH_ ; -- Begin function _ZN7rocprim17ROCPRIM_400000_NS6detail17trampoline_kernelINS0_14default_configENS1_38merge_sort_block_merge_config_selectorIisEEZZNS1_27merge_sort_block_merge_implIS3_N6thrust23THRUST_200600_302600_NS10device_ptrIiEENS9_IsEEjNS1_19radix_merge_compareILb0ELb1EiNS0_19identity_decomposerEEEEE10hipError_tT0_T1_T2_jT3_P12ihipStream_tbPNSt15iterator_traitsISG_E10value_typeEPNSM_ISH_E10value_typeEPSI_NS1_7vsmem_tEENKUlT_SG_SH_SI_E_clISA_PiSB_PsEESF_SV_SG_SH_SI_EUlSV_E1_NS1_11comp_targetILNS1_3genE9ELNS1_11target_archE1100ELNS1_3gpuE3ELNS1_3repE0EEENS1_36merge_oddeven_config_static_selectorELNS0_4arch9wavefront6targetE1EEEvSH_
	.globl	_ZN7rocprim17ROCPRIM_400000_NS6detail17trampoline_kernelINS0_14default_configENS1_38merge_sort_block_merge_config_selectorIisEEZZNS1_27merge_sort_block_merge_implIS3_N6thrust23THRUST_200600_302600_NS10device_ptrIiEENS9_IsEEjNS1_19radix_merge_compareILb0ELb1EiNS0_19identity_decomposerEEEEE10hipError_tT0_T1_T2_jT3_P12ihipStream_tbPNSt15iterator_traitsISG_E10value_typeEPNSM_ISH_E10value_typeEPSI_NS1_7vsmem_tEENKUlT_SG_SH_SI_E_clISA_PiSB_PsEESF_SV_SG_SH_SI_EUlSV_E1_NS1_11comp_targetILNS1_3genE9ELNS1_11target_archE1100ELNS1_3gpuE3ELNS1_3repE0EEENS1_36merge_oddeven_config_static_selectorELNS0_4arch9wavefront6targetE1EEEvSH_
	.p2align	8
	.type	_ZN7rocprim17ROCPRIM_400000_NS6detail17trampoline_kernelINS0_14default_configENS1_38merge_sort_block_merge_config_selectorIisEEZZNS1_27merge_sort_block_merge_implIS3_N6thrust23THRUST_200600_302600_NS10device_ptrIiEENS9_IsEEjNS1_19radix_merge_compareILb0ELb1EiNS0_19identity_decomposerEEEEE10hipError_tT0_T1_T2_jT3_P12ihipStream_tbPNSt15iterator_traitsISG_E10value_typeEPNSM_ISH_E10value_typeEPSI_NS1_7vsmem_tEENKUlT_SG_SH_SI_E_clISA_PiSB_PsEESF_SV_SG_SH_SI_EUlSV_E1_NS1_11comp_targetILNS1_3genE9ELNS1_11target_archE1100ELNS1_3gpuE3ELNS1_3repE0EEENS1_36merge_oddeven_config_static_selectorELNS0_4arch9wavefront6targetE1EEEvSH_,@function
_ZN7rocprim17ROCPRIM_400000_NS6detail17trampoline_kernelINS0_14default_configENS1_38merge_sort_block_merge_config_selectorIisEEZZNS1_27merge_sort_block_merge_implIS3_N6thrust23THRUST_200600_302600_NS10device_ptrIiEENS9_IsEEjNS1_19radix_merge_compareILb0ELb1EiNS0_19identity_decomposerEEEEE10hipError_tT0_T1_T2_jT3_P12ihipStream_tbPNSt15iterator_traitsISG_E10value_typeEPNSM_ISH_E10value_typeEPSI_NS1_7vsmem_tEENKUlT_SG_SH_SI_E_clISA_PiSB_PsEESF_SV_SG_SH_SI_EUlSV_E1_NS1_11comp_targetILNS1_3genE9ELNS1_11target_archE1100ELNS1_3gpuE3ELNS1_3repE0EEENS1_36merge_oddeven_config_static_selectorELNS0_4arch9wavefront6targetE1EEEvSH_: ; @_ZN7rocprim17ROCPRIM_400000_NS6detail17trampoline_kernelINS0_14default_configENS1_38merge_sort_block_merge_config_selectorIisEEZZNS1_27merge_sort_block_merge_implIS3_N6thrust23THRUST_200600_302600_NS10device_ptrIiEENS9_IsEEjNS1_19radix_merge_compareILb0ELb1EiNS0_19identity_decomposerEEEEE10hipError_tT0_T1_T2_jT3_P12ihipStream_tbPNSt15iterator_traitsISG_E10value_typeEPNSM_ISH_E10value_typeEPSI_NS1_7vsmem_tEENKUlT_SG_SH_SI_E_clISA_PiSB_PsEESF_SV_SG_SH_SI_EUlSV_E1_NS1_11comp_targetILNS1_3genE9ELNS1_11target_archE1100ELNS1_3gpuE3ELNS1_3repE0EEENS1_36merge_oddeven_config_static_selectorELNS0_4arch9wavefront6targetE1EEEvSH_
; %bb.0:
	.section	.rodata,"a",@progbits
	.p2align	6, 0x0
	.amdhsa_kernel _ZN7rocprim17ROCPRIM_400000_NS6detail17trampoline_kernelINS0_14default_configENS1_38merge_sort_block_merge_config_selectorIisEEZZNS1_27merge_sort_block_merge_implIS3_N6thrust23THRUST_200600_302600_NS10device_ptrIiEENS9_IsEEjNS1_19radix_merge_compareILb0ELb1EiNS0_19identity_decomposerEEEEE10hipError_tT0_T1_T2_jT3_P12ihipStream_tbPNSt15iterator_traitsISG_E10value_typeEPNSM_ISH_E10value_typeEPSI_NS1_7vsmem_tEENKUlT_SG_SH_SI_E_clISA_PiSB_PsEESF_SV_SG_SH_SI_EUlSV_E1_NS1_11comp_targetILNS1_3genE9ELNS1_11target_archE1100ELNS1_3gpuE3ELNS1_3repE0EEENS1_36merge_oddeven_config_static_selectorELNS0_4arch9wavefront6targetE1EEEvSH_
		.amdhsa_group_segment_fixed_size 0
		.amdhsa_private_segment_fixed_size 0
		.amdhsa_kernarg_size 48
		.amdhsa_user_sgpr_count 2
		.amdhsa_user_sgpr_dispatch_ptr 0
		.amdhsa_user_sgpr_queue_ptr 0
		.amdhsa_user_sgpr_kernarg_segment_ptr 1
		.amdhsa_user_sgpr_dispatch_id 0
		.amdhsa_user_sgpr_kernarg_preload_length 0
		.amdhsa_user_sgpr_kernarg_preload_offset 0
		.amdhsa_user_sgpr_private_segment_size 0
		.amdhsa_uses_dynamic_stack 0
		.amdhsa_enable_private_segment 0
		.amdhsa_system_sgpr_workgroup_id_x 1
		.amdhsa_system_sgpr_workgroup_id_y 0
		.amdhsa_system_sgpr_workgroup_id_z 0
		.amdhsa_system_sgpr_workgroup_info 0
		.amdhsa_system_vgpr_workitem_id 0
		.amdhsa_next_free_vgpr 1
		.amdhsa_next_free_sgpr 0
		.amdhsa_accum_offset 4
		.amdhsa_reserve_vcc 0
		.amdhsa_float_round_mode_32 0
		.amdhsa_float_round_mode_16_64 0
		.amdhsa_float_denorm_mode_32 3
		.amdhsa_float_denorm_mode_16_64 3
		.amdhsa_dx10_clamp 1
		.amdhsa_ieee_mode 1
		.amdhsa_fp16_overflow 0
		.amdhsa_tg_split 0
		.amdhsa_exception_fp_ieee_invalid_op 0
		.amdhsa_exception_fp_denorm_src 0
		.amdhsa_exception_fp_ieee_div_zero 0
		.amdhsa_exception_fp_ieee_overflow 0
		.amdhsa_exception_fp_ieee_underflow 0
		.amdhsa_exception_fp_ieee_inexact 0
		.amdhsa_exception_int_div_zero 0
	.end_amdhsa_kernel
	.section	.text._ZN7rocprim17ROCPRIM_400000_NS6detail17trampoline_kernelINS0_14default_configENS1_38merge_sort_block_merge_config_selectorIisEEZZNS1_27merge_sort_block_merge_implIS3_N6thrust23THRUST_200600_302600_NS10device_ptrIiEENS9_IsEEjNS1_19radix_merge_compareILb0ELb1EiNS0_19identity_decomposerEEEEE10hipError_tT0_T1_T2_jT3_P12ihipStream_tbPNSt15iterator_traitsISG_E10value_typeEPNSM_ISH_E10value_typeEPSI_NS1_7vsmem_tEENKUlT_SG_SH_SI_E_clISA_PiSB_PsEESF_SV_SG_SH_SI_EUlSV_E1_NS1_11comp_targetILNS1_3genE9ELNS1_11target_archE1100ELNS1_3gpuE3ELNS1_3repE0EEENS1_36merge_oddeven_config_static_selectorELNS0_4arch9wavefront6targetE1EEEvSH_,"axG",@progbits,_ZN7rocprim17ROCPRIM_400000_NS6detail17trampoline_kernelINS0_14default_configENS1_38merge_sort_block_merge_config_selectorIisEEZZNS1_27merge_sort_block_merge_implIS3_N6thrust23THRUST_200600_302600_NS10device_ptrIiEENS9_IsEEjNS1_19radix_merge_compareILb0ELb1EiNS0_19identity_decomposerEEEEE10hipError_tT0_T1_T2_jT3_P12ihipStream_tbPNSt15iterator_traitsISG_E10value_typeEPNSM_ISH_E10value_typeEPSI_NS1_7vsmem_tEENKUlT_SG_SH_SI_E_clISA_PiSB_PsEESF_SV_SG_SH_SI_EUlSV_E1_NS1_11comp_targetILNS1_3genE9ELNS1_11target_archE1100ELNS1_3gpuE3ELNS1_3repE0EEENS1_36merge_oddeven_config_static_selectorELNS0_4arch9wavefront6targetE1EEEvSH_,comdat
.Lfunc_end2402:
	.size	_ZN7rocprim17ROCPRIM_400000_NS6detail17trampoline_kernelINS0_14default_configENS1_38merge_sort_block_merge_config_selectorIisEEZZNS1_27merge_sort_block_merge_implIS3_N6thrust23THRUST_200600_302600_NS10device_ptrIiEENS9_IsEEjNS1_19radix_merge_compareILb0ELb1EiNS0_19identity_decomposerEEEEE10hipError_tT0_T1_T2_jT3_P12ihipStream_tbPNSt15iterator_traitsISG_E10value_typeEPNSM_ISH_E10value_typeEPSI_NS1_7vsmem_tEENKUlT_SG_SH_SI_E_clISA_PiSB_PsEESF_SV_SG_SH_SI_EUlSV_E1_NS1_11comp_targetILNS1_3genE9ELNS1_11target_archE1100ELNS1_3gpuE3ELNS1_3repE0EEENS1_36merge_oddeven_config_static_selectorELNS0_4arch9wavefront6targetE1EEEvSH_, .Lfunc_end2402-_ZN7rocprim17ROCPRIM_400000_NS6detail17trampoline_kernelINS0_14default_configENS1_38merge_sort_block_merge_config_selectorIisEEZZNS1_27merge_sort_block_merge_implIS3_N6thrust23THRUST_200600_302600_NS10device_ptrIiEENS9_IsEEjNS1_19radix_merge_compareILb0ELb1EiNS0_19identity_decomposerEEEEE10hipError_tT0_T1_T2_jT3_P12ihipStream_tbPNSt15iterator_traitsISG_E10value_typeEPNSM_ISH_E10value_typeEPSI_NS1_7vsmem_tEENKUlT_SG_SH_SI_E_clISA_PiSB_PsEESF_SV_SG_SH_SI_EUlSV_E1_NS1_11comp_targetILNS1_3genE9ELNS1_11target_archE1100ELNS1_3gpuE3ELNS1_3repE0EEENS1_36merge_oddeven_config_static_selectorELNS0_4arch9wavefront6targetE1EEEvSH_
                                        ; -- End function
	.set _ZN7rocprim17ROCPRIM_400000_NS6detail17trampoline_kernelINS0_14default_configENS1_38merge_sort_block_merge_config_selectorIisEEZZNS1_27merge_sort_block_merge_implIS3_N6thrust23THRUST_200600_302600_NS10device_ptrIiEENS9_IsEEjNS1_19radix_merge_compareILb0ELb1EiNS0_19identity_decomposerEEEEE10hipError_tT0_T1_T2_jT3_P12ihipStream_tbPNSt15iterator_traitsISG_E10value_typeEPNSM_ISH_E10value_typeEPSI_NS1_7vsmem_tEENKUlT_SG_SH_SI_E_clISA_PiSB_PsEESF_SV_SG_SH_SI_EUlSV_E1_NS1_11comp_targetILNS1_3genE9ELNS1_11target_archE1100ELNS1_3gpuE3ELNS1_3repE0EEENS1_36merge_oddeven_config_static_selectorELNS0_4arch9wavefront6targetE1EEEvSH_.num_vgpr, 0
	.set _ZN7rocprim17ROCPRIM_400000_NS6detail17trampoline_kernelINS0_14default_configENS1_38merge_sort_block_merge_config_selectorIisEEZZNS1_27merge_sort_block_merge_implIS3_N6thrust23THRUST_200600_302600_NS10device_ptrIiEENS9_IsEEjNS1_19radix_merge_compareILb0ELb1EiNS0_19identity_decomposerEEEEE10hipError_tT0_T1_T2_jT3_P12ihipStream_tbPNSt15iterator_traitsISG_E10value_typeEPNSM_ISH_E10value_typeEPSI_NS1_7vsmem_tEENKUlT_SG_SH_SI_E_clISA_PiSB_PsEESF_SV_SG_SH_SI_EUlSV_E1_NS1_11comp_targetILNS1_3genE9ELNS1_11target_archE1100ELNS1_3gpuE3ELNS1_3repE0EEENS1_36merge_oddeven_config_static_selectorELNS0_4arch9wavefront6targetE1EEEvSH_.num_agpr, 0
	.set _ZN7rocprim17ROCPRIM_400000_NS6detail17trampoline_kernelINS0_14default_configENS1_38merge_sort_block_merge_config_selectorIisEEZZNS1_27merge_sort_block_merge_implIS3_N6thrust23THRUST_200600_302600_NS10device_ptrIiEENS9_IsEEjNS1_19radix_merge_compareILb0ELb1EiNS0_19identity_decomposerEEEEE10hipError_tT0_T1_T2_jT3_P12ihipStream_tbPNSt15iterator_traitsISG_E10value_typeEPNSM_ISH_E10value_typeEPSI_NS1_7vsmem_tEENKUlT_SG_SH_SI_E_clISA_PiSB_PsEESF_SV_SG_SH_SI_EUlSV_E1_NS1_11comp_targetILNS1_3genE9ELNS1_11target_archE1100ELNS1_3gpuE3ELNS1_3repE0EEENS1_36merge_oddeven_config_static_selectorELNS0_4arch9wavefront6targetE1EEEvSH_.numbered_sgpr, 0
	.set _ZN7rocprim17ROCPRIM_400000_NS6detail17trampoline_kernelINS0_14default_configENS1_38merge_sort_block_merge_config_selectorIisEEZZNS1_27merge_sort_block_merge_implIS3_N6thrust23THRUST_200600_302600_NS10device_ptrIiEENS9_IsEEjNS1_19radix_merge_compareILb0ELb1EiNS0_19identity_decomposerEEEEE10hipError_tT0_T1_T2_jT3_P12ihipStream_tbPNSt15iterator_traitsISG_E10value_typeEPNSM_ISH_E10value_typeEPSI_NS1_7vsmem_tEENKUlT_SG_SH_SI_E_clISA_PiSB_PsEESF_SV_SG_SH_SI_EUlSV_E1_NS1_11comp_targetILNS1_3genE9ELNS1_11target_archE1100ELNS1_3gpuE3ELNS1_3repE0EEENS1_36merge_oddeven_config_static_selectorELNS0_4arch9wavefront6targetE1EEEvSH_.num_named_barrier, 0
	.set _ZN7rocprim17ROCPRIM_400000_NS6detail17trampoline_kernelINS0_14default_configENS1_38merge_sort_block_merge_config_selectorIisEEZZNS1_27merge_sort_block_merge_implIS3_N6thrust23THRUST_200600_302600_NS10device_ptrIiEENS9_IsEEjNS1_19radix_merge_compareILb0ELb1EiNS0_19identity_decomposerEEEEE10hipError_tT0_T1_T2_jT3_P12ihipStream_tbPNSt15iterator_traitsISG_E10value_typeEPNSM_ISH_E10value_typeEPSI_NS1_7vsmem_tEENKUlT_SG_SH_SI_E_clISA_PiSB_PsEESF_SV_SG_SH_SI_EUlSV_E1_NS1_11comp_targetILNS1_3genE9ELNS1_11target_archE1100ELNS1_3gpuE3ELNS1_3repE0EEENS1_36merge_oddeven_config_static_selectorELNS0_4arch9wavefront6targetE1EEEvSH_.private_seg_size, 0
	.set _ZN7rocprim17ROCPRIM_400000_NS6detail17trampoline_kernelINS0_14default_configENS1_38merge_sort_block_merge_config_selectorIisEEZZNS1_27merge_sort_block_merge_implIS3_N6thrust23THRUST_200600_302600_NS10device_ptrIiEENS9_IsEEjNS1_19radix_merge_compareILb0ELb1EiNS0_19identity_decomposerEEEEE10hipError_tT0_T1_T2_jT3_P12ihipStream_tbPNSt15iterator_traitsISG_E10value_typeEPNSM_ISH_E10value_typeEPSI_NS1_7vsmem_tEENKUlT_SG_SH_SI_E_clISA_PiSB_PsEESF_SV_SG_SH_SI_EUlSV_E1_NS1_11comp_targetILNS1_3genE9ELNS1_11target_archE1100ELNS1_3gpuE3ELNS1_3repE0EEENS1_36merge_oddeven_config_static_selectorELNS0_4arch9wavefront6targetE1EEEvSH_.uses_vcc, 0
	.set _ZN7rocprim17ROCPRIM_400000_NS6detail17trampoline_kernelINS0_14default_configENS1_38merge_sort_block_merge_config_selectorIisEEZZNS1_27merge_sort_block_merge_implIS3_N6thrust23THRUST_200600_302600_NS10device_ptrIiEENS9_IsEEjNS1_19radix_merge_compareILb0ELb1EiNS0_19identity_decomposerEEEEE10hipError_tT0_T1_T2_jT3_P12ihipStream_tbPNSt15iterator_traitsISG_E10value_typeEPNSM_ISH_E10value_typeEPSI_NS1_7vsmem_tEENKUlT_SG_SH_SI_E_clISA_PiSB_PsEESF_SV_SG_SH_SI_EUlSV_E1_NS1_11comp_targetILNS1_3genE9ELNS1_11target_archE1100ELNS1_3gpuE3ELNS1_3repE0EEENS1_36merge_oddeven_config_static_selectorELNS0_4arch9wavefront6targetE1EEEvSH_.uses_flat_scratch, 0
	.set _ZN7rocprim17ROCPRIM_400000_NS6detail17trampoline_kernelINS0_14default_configENS1_38merge_sort_block_merge_config_selectorIisEEZZNS1_27merge_sort_block_merge_implIS3_N6thrust23THRUST_200600_302600_NS10device_ptrIiEENS9_IsEEjNS1_19radix_merge_compareILb0ELb1EiNS0_19identity_decomposerEEEEE10hipError_tT0_T1_T2_jT3_P12ihipStream_tbPNSt15iterator_traitsISG_E10value_typeEPNSM_ISH_E10value_typeEPSI_NS1_7vsmem_tEENKUlT_SG_SH_SI_E_clISA_PiSB_PsEESF_SV_SG_SH_SI_EUlSV_E1_NS1_11comp_targetILNS1_3genE9ELNS1_11target_archE1100ELNS1_3gpuE3ELNS1_3repE0EEENS1_36merge_oddeven_config_static_selectorELNS0_4arch9wavefront6targetE1EEEvSH_.has_dyn_sized_stack, 0
	.set _ZN7rocprim17ROCPRIM_400000_NS6detail17trampoline_kernelINS0_14default_configENS1_38merge_sort_block_merge_config_selectorIisEEZZNS1_27merge_sort_block_merge_implIS3_N6thrust23THRUST_200600_302600_NS10device_ptrIiEENS9_IsEEjNS1_19radix_merge_compareILb0ELb1EiNS0_19identity_decomposerEEEEE10hipError_tT0_T1_T2_jT3_P12ihipStream_tbPNSt15iterator_traitsISG_E10value_typeEPNSM_ISH_E10value_typeEPSI_NS1_7vsmem_tEENKUlT_SG_SH_SI_E_clISA_PiSB_PsEESF_SV_SG_SH_SI_EUlSV_E1_NS1_11comp_targetILNS1_3genE9ELNS1_11target_archE1100ELNS1_3gpuE3ELNS1_3repE0EEENS1_36merge_oddeven_config_static_selectorELNS0_4arch9wavefront6targetE1EEEvSH_.has_recursion, 0
	.set _ZN7rocprim17ROCPRIM_400000_NS6detail17trampoline_kernelINS0_14default_configENS1_38merge_sort_block_merge_config_selectorIisEEZZNS1_27merge_sort_block_merge_implIS3_N6thrust23THRUST_200600_302600_NS10device_ptrIiEENS9_IsEEjNS1_19radix_merge_compareILb0ELb1EiNS0_19identity_decomposerEEEEE10hipError_tT0_T1_T2_jT3_P12ihipStream_tbPNSt15iterator_traitsISG_E10value_typeEPNSM_ISH_E10value_typeEPSI_NS1_7vsmem_tEENKUlT_SG_SH_SI_E_clISA_PiSB_PsEESF_SV_SG_SH_SI_EUlSV_E1_NS1_11comp_targetILNS1_3genE9ELNS1_11target_archE1100ELNS1_3gpuE3ELNS1_3repE0EEENS1_36merge_oddeven_config_static_selectorELNS0_4arch9wavefront6targetE1EEEvSH_.has_indirect_call, 0
	.section	.AMDGPU.csdata,"",@progbits
; Kernel info:
; codeLenInByte = 0
; TotalNumSgprs: 6
; NumVgprs: 0
; NumAgprs: 0
; TotalNumVgprs: 0
; ScratchSize: 0
; MemoryBound: 0
; FloatMode: 240
; IeeeMode: 1
; LDSByteSize: 0 bytes/workgroup (compile time only)
; SGPRBlocks: 0
; VGPRBlocks: 0
; NumSGPRsForWavesPerEU: 6
; NumVGPRsForWavesPerEU: 1
; AccumOffset: 4
; Occupancy: 8
; WaveLimiterHint : 0
; COMPUTE_PGM_RSRC2:SCRATCH_EN: 0
; COMPUTE_PGM_RSRC2:USER_SGPR: 2
; COMPUTE_PGM_RSRC2:TRAP_HANDLER: 0
; COMPUTE_PGM_RSRC2:TGID_X_EN: 1
; COMPUTE_PGM_RSRC2:TGID_Y_EN: 0
; COMPUTE_PGM_RSRC2:TGID_Z_EN: 0
; COMPUTE_PGM_RSRC2:TIDIG_COMP_CNT: 0
; COMPUTE_PGM_RSRC3_GFX90A:ACCUM_OFFSET: 0
; COMPUTE_PGM_RSRC3_GFX90A:TG_SPLIT: 0
	.section	.text._ZN7rocprim17ROCPRIM_400000_NS6detail17trampoline_kernelINS0_14default_configENS1_38merge_sort_block_merge_config_selectorIisEEZZNS1_27merge_sort_block_merge_implIS3_N6thrust23THRUST_200600_302600_NS10device_ptrIiEENS9_IsEEjNS1_19radix_merge_compareILb0ELb1EiNS0_19identity_decomposerEEEEE10hipError_tT0_T1_T2_jT3_P12ihipStream_tbPNSt15iterator_traitsISG_E10value_typeEPNSM_ISH_E10value_typeEPSI_NS1_7vsmem_tEENKUlT_SG_SH_SI_E_clISA_PiSB_PsEESF_SV_SG_SH_SI_EUlSV_E1_NS1_11comp_targetILNS1_3genE8ELNS1_11target_archE1030ELNS1_3gpuE2ELNS1_3repE0EEENS1_36merge_oddeven_config_static_selectorELNS0_4arch9wavefront6targetE1EEEvSH_,"axG",@progbits,_ZN7rocprim17ROCPRIM_400000_NS6detail17trampoline_kernelINS0_14default_configENS1_38merge_sort_block_merge_config_selectorIisEEZZNS1_27merge_sort_block_merge_implIS3_N6thrust23THRUST_200600_302600_NS10device_ptrIiEENS9_IsEEjNS1_19radix_merge_compareILb0ELb1EiNS0_19identity_decomposerEEEEE10hipError_tT0_T1_T2_jT3_P12ihipStream_tbPNSt15iterator_traitsISG_E10value_typeEPNSM_ISH_E10value_typeEPSI_NS1_7vsmem_tEENKUlT_SG_SH_SI_E_clISA_PiSB_PsEESF_SV_SG_SH_SI_EUlSV_E1_NS1_11comp_targetILNS1_3genE8ELNS1_11target_archE1030ELNS1_3gpuE2ELNS1_3repE0EEENS1_36merge_oddeven_config_static_selectorELNS0_4arch9wavefront6targetE1EEEvSH_,comdat
	.protected	_ZN7rocprim17ROCPRIM_400000_NS6detail17trampoline_kernelINS0_14default_configENS1_38merge_sort_block_merge_config_selectorIisEEZZNS1_27merge_sort_block_merge_implIS3_N6thrust23THRUST_200600_302600_NS10device_ptrIiEENS9_IsEEjNS1_19radix_merge_compareILb0ELb1EiNS0_19identity_decomposerEEEEE10hipError_tT0_T1_T2_jT3_P12ihipStream_tbPNSt15iterator_traitsISG_E10value_typeEPNSM_ISH_E10value_typeEPSI_NS1_7vsmem_tEENKUlT_SG_SH_SI_E_clISA_PiSB_PsEESF_SV_SG_SH_SI_EUlSV_E1_NS1_11comp_targetILNS1_3genE8ELNS1_11target_archE1030ELNS1_3gpuE2ELNS1_3repE0EEENS1_36merge_oddeven_config_static_selectorELNS0_4arch9wavefront6targetE1EEEvSH_ ; -- Begin function _ZN7rocprim17ROCPRIM_400000_NS6detail17trampoline_kernelINS0_14default_configENS1_38merge_sort_block_merge_config_selectorIisEEZZNS1_27merge_sort_block_merge_implIS3_N6thrust23THRUST_200600_302600_NS10device_ptrIiEENS9_IsEEjNS1_19radix_merge_compareILb0ELb1EiNS0_19identity_decomposerEEEEE10hipError_tT0_T1_T2_jT3_P12ihipStream_tbPNSt15iterator_traitsISG_E10value_typeEPNSM_ISH_E10value_typeEPSI_NS1_7vsmem_tEENKUlT_SG_SH_SI_E_clISA_PiSB_PsEESF_SV_SG_SH_SI_EUlSV_E1_NS1_11comp_targetILNS1_3genE8ELNS1_11target_archE1030ELNS1_3gpuE2ELNS1_3repE0EEENS1_36merge_oddeven_config_static_selectorELNS0_4arch9wavefront6targetE1EEEvSH_
	.globl	_ZN7rocprim17ROCPRIM_400000_NS6detail17trampoline_kernelINS0_14default_configENS1_38merge_sort_block_merge_config_selectorIisEEZZNS1_27merge_sort_block_merge_implIS3_N6thrust23THRUST_200600_302600_NS10device_ptrIiEENS9_IsEEjNS1_19radix_merge_compareILb0ELb1EiNS0_19identity_decomposerEEEEE10hipError_tT0_T1_T2_jT3_P12ihipStream_tbPNSt15iterator_traitsISG_E10value_typeEPNSM_ISH_E10value_typeEPSI_NS1_7vsmem_tEENKUlT_SG_SH_SI_E_clISA_PiSB_PsEESF_SV_SG_SH_SI_EUlSV_E1_NS1_11comp_targetILNS1_3genE8ELNS1_11target_archE1030ELNS1_3gpuE2ELNS1_3repE0EEENS1_36merge_oddeven_config_static_selectorELNS0_4arch9wavefront6targetE1EEEvSH_
	.p2align	8
	.type	_ZN7rocprim17ROCPRIM_400000_NS6detail17trampoline_kernelINS0_14default_configENS1_38merge_sort_block_merge_config_selectorIisEEZZNS1_27merge_sort_block_merge_implIS3_N6thrust23THRUST_200600_302600_NS10device_ptrIiEENS9_IsEEjNS1_19radix_merge_compareILb0ELb1EiNS0_19identity_decomposerEEEEE10hipError_tT0_T1_T2_jT3_P12ihipStream_tbPNSt15iterator_traitsISG_E10value_typeEPNSM_ISH_E10value_typeEPSI_NS1_7vsmem_tEENKUlT_SG_SH_SI_E_clISA_PiSB_PsEESF_SV_SG_SH_SI_EUlSV_E1_NS1_11comp_targetILNS1_3genE8ELNS1_11target_archE1030ELNS1_3gpuE2ELNS1_3repE0EEENS1_36merge_oddeven_config_static_selectorELNS0_4arch9wavefront6targetE1EEEvSH_,@function
_ZN7rocprim17ROCPRIM_400000_NS6detail17trampoline_kernelINS0_14default_configENS1_38merge_sort_block_merge_config_selectorIisEEZZNS1_27merge_sort_block_merge_implIS3_N6thrust23THRUST_200600_302600_NS10device_ptrIiEENS9_IsEEjNS1_19radix_merge_compareILb0ELb1EiNS0_19identity_decomposerEEEEE10hipError_tT0_T1_T2_jT3_P12ihipStream_tbPNSt15iterator_traitsISG_E10value_typeEPNSM_ISH_E10value_typeEPSI_NS1_7vsmem_tEENKUlT_SG_SH_SI_E_clISA_PiSB_PsEESF_SV_SG_SH_SI_EUlSV_E1_NS1_11comp_targetILNS1_3genE8ELNS1_11target_archE1030ELNS1_3gpuE2ELNS1_3repE0EEENS1_36merge_oddeven_config_static_selectorELNS0_4arch9wavefront6targetE1EEEvSH_: ; @_ZN7rocprim17ROCPRIM_400000_NS6detail17trampoline_kernelINS0_14default_configENS1_38merge_sort_block_merge_config_selectorIisEEZZNS1_27merge_sort_block_merge_implIS3_N6thrust23THRUST_200600_302600_NS10device_ptrIiEENS9_IsEEjNS1_19radix_merge_compareILb0ELb1EiNS0_19identity_decomposerEEEEE10hipError_tT0_T1_T2_jT3_P12ihipStream_tbPNSt15iterator_traitsISG_E10value_typeEPNSM_ISH_E10value_typeEPSI_NS1_7vsmem_tEENKUlT_SG_SH_SI_E_clISA_PiSB_PsEESF_SV_SG_SH_SI_EUlSV_E1_NS1_11comp_targetILNS1_3genE8ELNS1_11target_archE1030ELNS1_3gpuE2ELNS1_3repE0EEENS1_36merge_oddeven_config_static_selectorELNS0_4arch9wavefront6targetE1EEEvSH_
; %bb.0:
	.section	.rodata,"a",@progbits
	.p2align	6, 0x0
	.amdhsa_kernel _ZN7rocprim17ROCPRIM_400000_NS6detail17trampoline_kernelINS0_14default_configENS1_38merge_sort_block_merge_config_selectorIisEEZZNS1_27merge_sort_block_merge_implIS3_N6thrust23THRUST_200600_302600_NS10device_ptrIiEENS9_IsEEjNS1_19radix_merge_compareILb0ELb1EiNS0_19identity_decomposerEEEEE10hipError_tT0_T1_T2_jT3_P12ihipStream_tbPNSt15iterator_traitsISG_E10value_typeEPNSM_ISH_E10value_typeEPSI_NS1_7vsmem_tEENKUlT_SG_SH_SI_E_clISA_PiSB_PsEESF_SV_SG_SH_SI_EUlSV_E1_NS1_11comp_targetILNS1_3genE8ELNS1_11target_archE1030ELNS1_3gpuE2ELNS1_3repE0EEENS1_36merge_oddeven_config_static_selectorELNS0_4arch9wavefront6targetE1EEEvSH_
		.amdhsa_group_segment_fixed_size 0
		.amdhsa_private_segment_fixed_size 0
		.amdhsa_kernarg_size 48
		.amdhsa_user_sgpr_count 2
		.amdhsa_user_sgpr_dispatch_ptr 0
		.amdhsa_user_sgpr_queue_ptr 0
		.amdhsa_user_sgpr_kernarg_segment_ptr 1
		.amdhsa_user_sgpr_dispatch_id 0
		.amdhsa_user_sgpr_kernarg_preload_length 0
		.amdhsa_user_sgpr_kernarg_preload_offset 0
		.amdhsa_user_sgpr_private_segment_size 0
		.amdhsa_uses_dynamic_stack 0
		.amdhsa_enable_private_segment 0
		.amdhsa_system_sgpr_workgroup_id_x 1
		.amdhsa_system_sgpr_workgroup_id_y 0
		.amdhsa_system_sgpr_workgroup_id_z 0
		.amdhsa_system_sgpr_workgroup_info 0
		.amdhsa_system_vgpr_workitem_id 0
		.amdhsa_next_free_vgpr 1
		.amdhsa_next_free_sgpr 0
		.amdhsa_accum_offset 4
		.amdhsa_reserve_vcc 0
		.amdhsa_float_round_mode_32 0
		.amdhsa_float_round_mode_16_64 0
		.amdhsa_float_denorm_mode_32 3
		.amdhsa_float_denorm_mode_16_64 3
		.amdhsa_dx10_clamp 1
		.amdhsa_ieee_mode 1
		.amdhsa_fp16_overflow 0
		.amdhsa_tg_split 0
		.amdhsa_exception_fp_ieee_invalid_op 0
		.amdhsa_exception_fp_denorm_src 0
		.amdhsa_exception_fp_ieee_div_zero 0
		.amdhsa_exception_fp_ieee_overflow 0
		.amdhsa_exception_fp_ieee_underflow 0
		.amdhsa_exception_fp_ieee_inexact 0
		.amdhsa_exception_int_div_zero 0
	.end_amdhsa_kernel
	.section	.text._ZN7rocprim17ROCPRIM_400000_NS6detail17trampoline_kernelINS0_14default_configENS1_38merge_sort_block_merge_config_selectorIisEEZZNS1_27merge_sort_block_merge_implIS3_N6thrust23THRUST_200600_302600_NS10device_ptrIiEENS9_IsEEjNS1_19radix_merge_compareILb0ELb1EiNS0_19identity_decomposerEEEEE10hipError_tT0_T1_T2_jT3_P12ihipStream_tbPNSt15iterator_traitsISG_E10value_typeEPNSM_ISH_E10value_typeEPSI_NS1_7vsmem_tEENKUlT_SG_SH_SI_E_clISA_PiSB_PsEESF_SV_SG_SH_SI_EUlSV_E1_NS1_11comp_targetILNS1_3genE8ELNS1_11target_archE1030ELNS1_3gpuE2ELNS1_3repE0EEENS1_36merge_oddeven_config_static_selectorELNS0_4arch9wavefront6targetE1EEEvSH_,"axG",@progbits,_ZN7rocprim17ROCPRIM_400000_NS6detail17trampoline_kernelINS0_14default_configENS1_38merge_sort_block_merge_config_selectorIisEEZZNS1_27merge_sort_block_merge_implIS3_N6thrust23THRUST_200600_302600_NS10device_ptrIiEENS9_IsEEjNS1_19radix_merge_compareILb0ELb1EiNS0_19identity_decomposerEEEEE10hipError_tT0_T1_T2_jT3_P12ihipStream_tbPNSt15iterator_traitsISG_E10value_typeEPNSM_ISH_E10value_typeEPSI_NS1_7vsmem_tEENKUlT_SG_SH_SI_E_clISA_PiSB_PsEESF_SV_SG_SH_SI_EUlSV_E1_NS1_11comp_targetILNS1_3genE8ELNS1_11target_archE1030ELNS1_3gpuE2ELNS1_3repE0EEENS1_36merge_oddeven_config_static_selectorELNS0_4arch9wavefront6targetE1EEEvSH_,comdat
.Lfunc_end2403:
	.size	_ZN7rocprim17ROCPRIM_400000_NS6detail17trampoline_kernelINS0_14default_configENS1_38merge_sort_block_merge_config_selectorIisEEZZNS1_27merge_sort_block_merge_implIS3_N6thrust23THRUST_200600_302600_NS10device_ptrIiEENS9_IsEEjNS1_19radix_merge_compareILb0ELb1EiNS0_19identity_decomposerEEEEE10hipError_tT0_T1_T2_jT3_P12ihipStream_tbPNSt15iterator_traitsISG_E10value_typeEPNSM_ISH_E10value_typeEPSI_NS1_7vsmem_tEENKUlT_SG_SH_SI_E_clISA_PiSB_PsEESF_SV_SG_SH_SI_EUlSV_E1_NS1_11comp_targetILNS1_3genE8ELNS1_11target_archE1030ELNS1_3gpuE2ELNS1_3repE0EEENS1_36merge_oddeven_config_static_selectorELNS0_4arch9wavefront6targetE1EEEvSH_, .Lfunc_end2403-_ZN7rocprim17ROCPRIM_400000_NS6detail17trampoline_kernelINS0_14default_configENS1_38merge_sort_block_merge_config_selectorIisEEZZNS1_27merge_sort_block_merge_implIS3_N6thrust23THRUST_200600_302600_NS10device_ptrIiEENS9_IsEEjNS1_19radix_merge_compareILb0ELb1EiNS0_19identity_decomposerEEEEE10hipError_tT0_T1_T2_jT3_P12ihipStream_tbPNSt15iterator_traitsISG_E10value_typeEPNSM_ISH_E10value_typeEPSI_NS1_7vsmem_tEENKUlT_SG_SH_SI_E_clISA_PiSB_PsEESF_SV_SG_SH_SI_EUlSV_E1_NS1_11comp_targetILNS1_3genE8ELNS1_11target_archE1030ELNS1_3gpuE2ELNS1_3repE0EEENS1_36merge_oddeven_config_static_selectorELNS0_4arch9wavefront6targetE1EEEvSH_
                                        ; -- End function
	.set _ZN7rocprim17ROCPRIM_400000_NS6detail17trampoline_kernelINS0_14default_configENS1_38merge_sort_block_merge_config_selectorIisEEZZNS1_27merge_sort_block_merge_implIS3_N6thrust23THRUST_200600_302600_NS10device_ptrIiEENS9_IsEEjNS1_19radix_merge_compareILb0ELb1EiNS0_19identity_decomposerEEEEE10hipError_tT0_T1_T2_jT3_P12ihipStream_tbPNSt15iterator_traitsISG_E10value_typeEPNSM_ISH_E10value_typeEPSI_NS1_7vsmem_tEENKUlT_SG_SH_SI_E_clISA_PiSB_PsEESF_SV_SG_SH_SI_EUlSV_E1_NS1_11comp_targetILNS1_3genE8ELNS1_11target_archE1030ELNS1_3gpuE2ELNS1_3repE0EEENS1_36merge_oddeven_config_static_selectorELNS0_4arch9wavefront6targetE1EEEvSH_.num_vgpr, 0
	.set _ZN7rocprim17ROCPRIM_400000_NS6detail17trampoline_kernelINS0_14default_configENS1_38merge_sort_block_merge_config_selectorIisEEZZNS1_27merge_sort_block_merge_implIS3_N6thrust23THRUST_200600_302600_NS10device_ptrIiEENS9_IsEEjNS1_19radix_merge_compareILb0ELb1EiNS0_19identity_decomposerEEEEE10hipError_tT0_T1_T2_jT3_P12ihipStream_tbPNSt15iterator_traitsISG_E10value_typeEPNSM_ISH_E10value_typeEPSI_NS1_7vsmem_tEENKUlT_SG_SH_SI_E_clISA_PiSB_PsEESF_SV_SG_SH_SI_EUlSV_E1_NS1_11comp_targetILNS1_3genE8ELNS1_11target_archE1030ELNS1_3gpuE2ELNS1_3repE0EEENS1_36merge_oddeven_config_static_selectorELNS0_4arch9wavefront6targetE1EEEvSH_.num_agpr, 0
	.set _ZN7rocprim17ROCPRIM_400000_NS6detail17trampoline_kernelINS0_14default_configENS1_38merge_sort_block_merge_config_selectorIisEEZZNS1_27merge_sort_block_merge_implIS3_N6thrust23THRUST_200600_302600_NS10device_ptrIiEENS9_IsEEjNS1_19radix_merge_compareILb0ELb1EiNS0_19identity_decomposerEEEEE10hipError_tT0_T1_T2_jT3_P12ihipStream_tbPNSt15iterator_traitsISG_E10value_typeEPNSM_ISH_E10value_typeEPSI_NS1_7vsmem_tEENKUlT_SG_SH_SI_E_clISA_PiSB_PsEESF_SV_SG_SH_SI_EUlSV_E1_NS1_11comp_targetILNS1_3genE8ELNS1_11target_archE1030ELNS1_3gpuE2ELNS1_3repE0EEENS1_36merge_oddeven_config_static_selectorELNS0_4arch9wavefront6targetE1EEEvSH_.numbered_sgpr, 0
	.set _ZN7rocprim17ROCPRIM_400000_NS6detail17trampoline_kernelINS0_14default_configENS1_38merge_sort_block_merge_config_selectorIisEEZZNS1_27merge_sort_block_merge_implIS3_N6thrust23THRUST_200600_302600_NS10device_ptrIiEENS9_IsEEjNS1_19radix_merge_compareILb0ELb1EiNS0_19identity_decomposerEEEEE10hipError_tT0_T1_T2_jT3_P12ihipStream_tbPNSt15iterator_traitsISG_E10value_typeEPNSM_ISH_E10value_typeEPSI_NS1_7vsmem_tEENKUlT_SG_SH_SI_E_clISA_PiSB_PsEESF_SV_SG_SH_SI_EUlSV_E1_NS1_11comp_targetILNS1_3genE8ELNS1_11target_archE1030ELNS1_3gpuE2ELNS1_3repE0EEENS1_36merge_oddeven_config_static_selectorELNS0_4arch9wavefront6targetE1EEEvSH_.num_named_barrier, 0
	.set _ZN7rocprim17ROCPRIM_400000_NS6detail17trampoline_kernelINS0_14default_configENS1_38merge_sort_block_merge_config_selectorIisEEZZNS1_27merge_sort_block_merge_implIS3_N6thrust23THRUST_200600_302600_NS10device_ptrIiEENS9_IsEEjNS1_19radix_merge_compareILb0ELb1EiNS0_19identity_decomposerEEEEE10hipError_tT0_T1_T2_jT3_P12ihipStream_tbPNSt15iterator_traitsISG_E10value_typeEPNSM_ISH_E10value_typeEPSI_NS1_7vsmem_tEENKUlT_SG_SH_SI_E_clISA_PiSB_PsEESF_SV_SG_SH_SI_EUlSV_E1_NS1_11comp_targetILNS1_3genE8ELNS1_11target_archE1030ELNS1_3gpuE2ELNS1_3repE0EEENS1_36merge_oddeven_config_static_selectorELNS0_4arch9wavefront6targetE1EEEvSH_.private_seg_size, 0
	.set _ZN7rocprim17ROCPRIM_400000_NS6detail17trampoline_kernelINS0_14default_configENS1_38merge_sort_block_merge_config_selectorIisEEZZNS1_27merge_sort_block_merge_implIS3_N6thrust23THRUST_200600_302600_NS10device_ptrIiEENS9_IsEEjNS1_19radix_merge_compareILb0ELb1EiNS0_19identity_decomposerEEEEE10hipError_tT0_T1_T2_jT3_P12ihipStream_tbPNSt15iterator_traitsISG_E10value_typeEPNSM_ISH_E10value_typeEPSI_NS1_7vsmem_tEENKUlT_SG_SH_SI_E_clISA_PiSB_PsEESF_SV_SG_SH_SI_EUlSV_E1_NS1_11comp_targetILNS1_3genE8ELNS1_11target_archE1030ELNS1_3gpuE2ELNS1_3repE0EEENS1_36merge_oddeven_config_static_selectorELNS0_4arch9wavefront6targetE1EEEvSH_.uses_vcc, 0
	.set _ZN7rocprim17ROCPRIM_400000_NS6detail17trampoline_kernelINS0_14default_configENS1_38merge_sort_block_merge_config_selectorIisEEZZNS1_27merge_sort_block_merge_implIS3_N6thrust23THRUST_200600_302600_NS10device_ptrIiEENS9_IsEEjNS1_19radix_merge_compareILb0ELb1EiNS0_19identity_decomposerEEEEE10hipError_tT0_T1_T2_jT3_P12ihipStream_tbPNSt15iterator_traitsISG_E10value_typeEPNSM_ISH_E10value_typeEPSI_NS1_7vsmem_tEENKUlT_SG_SH_SI_E_clISA_PiSB_PsEESF_SV_SG_SH_SI_EUlSV_E1_NS1_11comp_targetILNS1_3genE8ELNS1_11target_archE1030ELNS1_3gpuE2ELNS1_3repE0EEENS1_36merge_oddeven_config_static_selectorELNS0_4arch9wavefront6targetE1EEEvSH_.uses_flat_scratch, 0
	.set _ZN7rocprim17ROCPRIM_400000_NS6detail17trampoline_kernelINS0_14default_configENS1_38merge_sort_block_merge_config_selectorIisEEZZNS1_27merge_sort_block_merge_implIS3_N6thrust23THRUST_200600_302600_NS10device_ptrIiEENS9_IsEEjNS1_19radix_merge_compareILb0ELb1EiNS0_19identity_decomposerEEEEE10hipError_tT0_T1_T2_jT3_P12ihipStream_tbPNSt15iterator_traitsISG_E10value_typeEPNSM_ISH_E10value_typeEPSI_NS1_7vsmem_tEENKUlT_SG_SH_SI_E_clISA_PiSB_PsEESF_SV_SG_SH_SI_EUlSV_E1_NS1_11comp_targetILNS1_3genE8ELNS1_11target_archE1030ELNS1_3gpuE2ELNS1_3repE0EEENS1_36merge_oddeven_config_static_selectorELNS0_4arch9wavefront6targetE1EEEvSH_.has_dyn_sized_stack, 0
	.set _ZN7rocprim17ROCPRIM_400000_NS6detail17trampoline_kernelINS0_14default_configENS1_38merge_sort_block_merge_config_selectorIisEEZZNS1_27merge_sort_block_merge_implIS3_N6thrust23THRUST_200600_302600_NS10device_ptrIiEENS9_IsEEjNS1_19radix_merge_compareILb0ELb1EiNS0_19identity_decomposerEEEEE10hipError_tT0_T1_T2_jT3_P12ihipStream_tbPNSt15iterator_traitsISG_E10value_typeEPNSM_ISH_E10value_typeEPSI_NS1_7vsmem_tEENKUlT_SG_SH_SI_E_clISA_PiSB_PsEESF_SV_SG_SH_SI_EUlSV_E1_NS1_11comp_targetILNS1_3genE8ELNS1_11target_archE1030ELNS1_3gpuE2ELNS1_3repE0EEENS1_36merge_oddeven_config_static_selectorELNS0_4arch9wavefront6targetE1EEEvSH_.has_recursion, 0
	.set _ZN7rocprim17ROCPRIM_400000_NS6detail17trampoline_kernelINS0_14default_configENS1_38merge_sort_block_merge_config_selectorIisEEZZNS1_27merge_sort_block_merge_implIS3_N6thrust23THRUST_200600_302600_NS10device_ptrIiEENS9_IsEEjNS1_19radix_merge_compareILb0ELb1EiNS0_19identity_decomposerEEEEE10hipError_tT0_T1_T2_jT3_P12ihipStream_tbPNSt15iterator_traitsISG_E10value_typeEPNSM_ISH_E10value_typeEPSI_NS1_7vsmem_tEENKUlT_SG_SH_SI_E_clISA_PiSB_PsEESF_SV_SG_SH_SI_EUlSV_E1_NS1_11comp_targetILNS1_3genE8ELNS1_11target_archE1030ELNS1_3gpuE2ELNS1_3repE0EEENS1_36merge_oddeven_config_static_selectorELNS0_4arch9wavefront6targetE1EEEvSH_.has_indirect_call, 0
	.section	.AMDGPU.csdata,"",@progbits
; Kernel info:
; codeLenInByte = 0
; TotalNumSgprs: 6
; NumVgprs: 0
; NumAgprs: 0
; TotalNumVgprs: 0
; ScratchSize: 0
; MemoryBound: 0
; FloatMode: 240
; IeeeMode: 1
; LDSByteSize: 0 bytes/workgroup (compile time only)
; SGPRBlocks: 0
; VGPRBlocks: 0
; NumSGPRsForWavesPerEU: 6
; NumVGPRsForWavesPerEU: 1
; AccumOffset: 4
; Occupancy: 8
; WaveLimiterHint : 0
; COMPUTE_PGM_RSRC2:SCRATCH_EN: 0
; COMPUTE_PGM_RSRC2:USER_SGPR: 2
; COMPUTE_PGM_RSRC2:TRAP_HANDLER: 0
; COMPUTE_PGM_RSRC2:TGID_X_EN: 1
; COMPUTE_PGM_RSRC2:TGID_Y_EN: 0
; COMPUTE_PGM_RSRC2:TGID_Z_EN: 0
; COMPUTE_PGM_RSRC2:TIDIG_COMP_CNT: 0
; COMPUTE_PGM_RSRC3_GFX90A:ACCUM_OFFSET: 0
; COMPUTE_PGM_RSRC3_GFX90A:TG_SPLIT: 0
	.section	.text._ZN7rocprim17ROCPRIM_400000_NS6detail17trampoline_kernelINS0_14default_configENS1_35radix_sort_onesweep_config_selectorIisEEZNS1_34radix_sort_onesweep_global_offsetsIS3_Lb0EN6thrust23THRUST_200600_302600_NS10device_ptrIiEENS9_IsEEjNS0_19identity_decomposerEEE10hipError_tT1_T2_PT3_SG_jT4_jjP12ihipStream_tbEUlT_E_NS1_11comp_targetILNS1_3genE0ELNS1_11target_archE4294967295ELNS1_3gpuE0ELNS1_3repE0EEENS1_52radix_sort_onesweep_histogram_config_static_selectorELNS0_4arch9wavefront6targetE1EEEvSE_,"axG",@progbits,_ZN7rocprim17ROCPRIM_400000_NS6detail17trampoline_kernelINS0_14default_configENS1_35radix_sort_onesweep_config_selectorIisEEZNS1_34radix_sort_onesweep_global_offsetsIS3_Lb0EN6thrust23THRUST_200600_302600_NS10device_ptrIiEENS9_IsEEjNS0_19identity_decomposerEEE10hipError_tT1_T2_PT3_SG_jT4_jjP12ihipStream_tbEUlT_E_NS1_11comp_targetILNS1_3genE0ELNS1_11target_archE4294967295ELNS1_3gpuE0ELNS1_3repE0EEENS1_52radix_sort_onesweep_histogram_config_static_selectorELNS0_4arch9wavefront6targetE1EEEvSE_,comdat
	.protected	_ZN7rocprim17ROCPRIM_400000_NS6detail17trampoline_kernelINS0_14default_configENS1_35radix_sort_onesweep_config_selectorIisEEZNS1_34radix_sort_onesweep_global_offsetsIS3_Lb0EN6thrust23THRUST_200600_302600_NS10device_ptrIiEENS9_IsEEjNS0_19identity_decomposerEEE10hipError_tT1_T2_PT3_SG_jT4_jjP12ihipStream_tbEUlT_E_NS1_11comp_targetILNS1_3genE0ELNS1_11target_archE4294967295ELNS1_3gpuE0ELNS1_3repE0EEENS1_52radix_sort_onesweep_histogram_config_static_selectorELNS0_4arch9wavefront6targetE1EEEvSE_ ; -- Begin function _ZN7rocprim17ROCPRIM_400000_NS6detail17trampoline_kernelINS0_14default_configENS1_35radix_sort_onesweep_config_selectorIisEEZNS1_34radix_sort_onesweep_global_offsetsIS3_Lb0EN6thrust23THRUST_200600_302600_NS10device_ptrIiEENS9_IsEEjNS0_19identity_decomposerEEE10hipError_tT1_T2_PT3_SG_jT4_jjP12ihipStream_tbEUlT_E_NS1_11comp_targetILNS1_3genE0ELNS1_11target_archE4294967295ELNS1_3gpuE0ELNS1_3repE0EEENS1_52radix_sort_onesweep_histogram_config_static_selectorELNS0_4arch9wavefront6targetE1EEEvSE_
	.globl	_ZN7rocprim17ROCPRIM_400000_NS6detail17trampoline_kernelINS0_14default_configENS1_35radix_sort_onesweep_config_selectorIisEEZNS1_34radix_sort_onesweep_global_offsetsIS3_Lb0EN6thrust23THRUST_200600_302600_NS10device_ptrIiEENS9_IsEEjNS0_19identity_decomposerEEE10hipError_tT1_T2_PT3_SG_jT4_jjP12ihipStream_tbEUlT_E_NS1_11comp_targetILNS1_3genE0ELNS1_11target_archE4294967295ELNS1_3gpuE0ELNS1_3repE0EEENS1_52radix_sort_onesweep_histogram_config_static_selectorELNS0_4arch9wavefront6targetE1EEEvSE_
	.p2align	8
	.type	_ZN7rocprim17ROCPRIM_400000_NS6detail17trampoline_kernelINS0_14default_configENS1_35radix_sort_onesweep_config_selectorIisEEZNS1_34radix_sort_onesweep_global_offsetsIS3_Lb0EN6thrust23THRUST_200600_302600_NS10device_ptrIiEENS9_IsEEjNS0_19identity_decomposerEEE10hipError_tT1_T2_PT3_SG_jT4_jjP12ihipStream_tbEUlT_E_NS1_11comp_targetILNS1_3genE0ELNS1_11target_archE4294967295ELNS1_3gpuE0ELNS1_3repE0EEENS1_52radix_sort_onesweep_histogram_config_static_selectorELNS0_4arch9wavefront6targetE1EEEvSE_,@function
_ZN7rocprim17ROCPRIM_400000_NS6detail17trampoline_kernelINS0_14default_configENS1_35radix_sort_onesweep_config_selectorIisEEZNS1_34radix_sort_onesweep_global_offsetsIS3_Lb0EN6thrust23THRUST_200600_302600_NS10device_ptrIiEENS9_IsEEjNS0_19identity_decomposerEEE10hipError_tT1_T2_PT3_SG_jT4_jjP12ihipStream_tbEUlT_E_NS1_11comp_targetILNS1_3genE0ELNS1_11target_archE4294967295ELNS1_3gpuE0ELNS1_3repE0EEENS1_52radix_sort_onesweep_histogram_config_static_selectorELNS0_4arch9wavefront6targetE1EEEvSE_: ; @_ZN7rocprim17ROCPRIM_400000_NS6detail17trampoline_kernelINS0_14default_configENS1_35radix_sort_onesweep_config_selectorIisEEZNS1_34radix_sort_onesweep_global_offsetsIS3_Lb0EN6thrust23THRUST_200600_302600_NS10device_ptrIiEENS9_IsEEjNS0_19identity_decomposerEEE10hipError_tT1_T2_PT3_SG_jT4_jjP12ihipStream_tbEUlT_E_NS1_11comp_targetILNS1_3genE0ELNS1_11target_archE4294967295ELNS1_3gpuE0ELNS1_3repE0EEENS1_52radix_sort_onesweep_histogram_config_static_selectorELNS0_4arch9wavefront6targetE1EEEvSE_
; %bb.0:
	.section	.rodata,"a",@progbits
	.p2align	6, 0x0
	.amdhsa_kernel _ZN7rocprim17ROCPRIM_400000_NS6detail17trampoline_kernelINS0_14default_configENS1_35radix_sort_onesweep_config_selectorIisEEZNS1_34radix_sort_onesweep_global_offsetsIS3_Lb0EN6thrust23THRUST_200600_302600_NS10device_ptrIiEENS9_IsEEjNS0_19identity_decomposerEEE10hipError_tT1_T2_PT3_SG_jT4_jjP12ihipStream_tbEUlT_E_NS1_11comp_targetILNS1_3genE0ELNS1_11target_archE4294967295ELNS1_3gpuE0ELNS1_3repE0EEENS1_52radix_sort_onesweep_histogram_config_static_selectorELNS0_4arch9wavefront6targetE1EEEvSE_
		.amdhsa_group_segment_fixed_size 0
		.amdhsa_private_segment_fixed_size 0
		.amdhsa_kernarg_size 40
		.amdhsa_user_sgpr_count 2
		.amdhsa_user_sgpr_dispatch_ptr 0
		.amdhsa_user_sgpr_queue_ptr 0
		.amdhsa_user_sgpr_kernarg_segment_ptr 1
		.amdhsa_user_sgpr_dispatch_id 0
		.amdhsa_user_sgpr_kernarg_preload_length 0
		.amdhsa_user_sgpr_kernarg_preload_offset 0
		.amdhsa_user_sgpr_private_segment_size 0
		.amdhsa_uses_dynamic_stack 0
		.amdhsa_enable_private_segment 0
		.amdhsa_system_sgpr_workgroup_id_x 1
		.amdhsa_system_sgpr_workgroup_id_y 0
		.amdhsa_system_sgpr_workgroup_id_z 0
		.amdhsa_system_sgpr_workgroup_info 0
		.amdhsa_system_vgpr_workitem_id 0
		.amdhsa_next_free_vgpr 1
		.amdhsa_next_free_sgpr 0
		.amdhsa_accum_offset 4
		.amdhsa_reserve_vcc 0
		.amdhsa_float_round_mode_32 0
		.amdhsa_float_round_mode_16_64 0
		.amdhsa_float_denorm_mode_32 3
		.amdhsa_float_denorm_mode_16_64 3
		.amdhsa_dx10_clamp 1
		.amdhsa_ieee_mode 1
		.amdhsa_fp16_overflow 0
		.amdhsa_tg_split 0
		.amdhsa_exception_fp_ieee_invalid_op 0
		.amdhsa_exception_fp_denorm_src 0
		.amdhsa_exception_fp_ieee_div_zero 0
		.amdhsa_exception_fp_ieee_overflow 0
		.amdhsa_exception_fp_ieee_underflow 0
		.amdhsa_exception_fp_ieee_inexact 0
		.amdhsa_exception_int_div_zero 0
	.end_amdhsa_kernel
	.section	.text._ZN7rocprim17ROCPRIM_400000_NS6detail17trampoline_kernelINS0_14default_configENS1_35radix_sort_onesweep_config_selectorIisEEZNS1_34radix_sort_onesweep_global_offsetsIS3_Lb0EN6thrust23THRUST_200600_302600_NS10device_ptrIiEENS9_IsEEjNS0_19identity_decomposerEEE10hipError_tT1_T2_PT3_SG_jT4_jjP12ihipStream_tbEUlT_E_NS1_11comp_targetILNS1_3genE0ELNS1_11target_archE4294967295ELNS1_3gpuE0ELNS1_3repE0EEENS1_52radix_sort_onesweep_histogram_config_static_selectorELNS0_4arch9wavefront6targetE1EEEvSE_,"axG",@progbits,_ZN7rocprim17ROCPRIM_400000_NS6detail17trampoline_kernelINS0_14default_configENS1_35radix_sort_onesweep_config_selectorIisEEZNS1_34radix_sort_onesweep_global_offsetsIS3_Lb0EN6thrust23THRUST_200600_302600_NS10device_ptrIiEENS9_IsEEjNS0_19identity_decomposerEEE10hipError_tT1_T2_PT3_SG_jT4_jjP12ihipStream_tbEUlT_E_NS1_11comp_targetILNS1_3genE0ELNS1_11target_archE4294967295ELNS1_3gpuE0ELNS1_3repE0EEENS1_52radix_sort_onesweep_histogram_config_static_selectorELNS0_4arch9wavefront6targetE1EEEvSE_,comdat
.Lfunc_end2404:
	.size	_ZN7rocprim17ROCPRIM_400000_NS6detail17trampoline_kernelINS0_14default_configENS1_35radix_sort_onesweep_config_selectorIisEEZNS1_34radix_sort_onesweep_global_offsetsIS3_Lb0EN6thrust23THRUST_200600_302600_NS10device_ptrIiEENS9_IsEEjNS0_19identity_decomposerEEE10hipError_tT1_T2_PT3_SG_jT4_jjP12ihipStream_tbEUlT_E_NS1_11comp_targetILNS1_3genE0ELNS1_11target_archE4294967295ELNS1_3gpuE0ELNS1_3repE0EEENS1_52radix_sort_onesweep_histogram_config_static_selectorELNS0_4arch9wavefront6targetE1EEEvSE_, .Lfunc_end2404-_ZN7rocprim17ROCPRIM_400000_NS6detail17trampoline_kernelINS0_14default_configENS1_35radix_sort_onesweep_config_selectorIisEEZNS1_34radix_sort_onesweep_global_offsetsIS3_Lb0EN6thrust23THRUST_200600_302600_NS10device_ptrIiEENS9_IsEEjNS0_19identity_decomposerEEE10hipError_tT1_T2_PT3_SG_jT4_jjP12ihipStream_tbEUlT_E_NS1_11comp_targetILNS1_3genE0ELNS1_11target_archE4294967295ELNS1_3gpuE0ELNS1_3repE0EEENS1_52radix_sort_onesweep_histogram_config_static_selectorELNS0_4arch9wavefront6targetE1EEEvSE_
                                        ; -- End function
	.set _ZN7rocprim17ROCPRIM_400000_NS6detail17trampoline_kernelINS0_14default_configENS1_35radix_sort_onesweep_config_selectorIisEEZNS1_34radix_sort_onesweep_global_offsetsIS3_Lb0EN6thrust23THRUST_200600_302600_NS10device_ptrIiEENS9_IsEEjNS0_19identity_decomposerEEE10hipError_tT1_T2_PT3_SG_jT4_jjP12ihipStream_tbEUlT_E_NS1_11comp_targetILNS1_3genE0ELNS1_11target_archE4294967295ELNS1_3gpuE0ELNS1_3repE0EEENS1_52radix_sort_onesweep_histogram_config_static_selectorELNS0_4arch9wavefront6targetE1EEEvSE_.num_vgpr, 0
	.set _ZN7rocprim17ROCPRIM_400000_NS6detail17trampoline_kernelINS0_14default_configENS1_35radix_sort_onesweep_config_selectorIisEEZNS1_34radix_sort_onesweep_global_offsetsIS3_Lb0EN6thrust23THRUST_200600_302600_NS10device_ptrIiEENS9_IsEEjNS0_19identity_decomposerEEE10hipError_tT1_T2_PT3_SG_jT4_jjP12ihipStream_tbEUlT_E_NS1_11comp_targetILNS1_3genE0ELNS1_11target_archE4294967295ELNS1_3gpuE0ELNS1_3repE0EEENS1_52radix_sort_onesweep_histogram_config_static_selectorELNS0_4arch9wavefront6targetE1EEEvSE_.num_agpr, 0
	.set _ZN7rocprim17ROCPRIM_400000_NS6detail17trampoline_kernelINS0_14default_configENS1_35radix_sort_onesweep_config_selectorIisEEZNS1_34radix_sort_onesweep_global_offsetsIS3_Lb0EN6thrust23THRUST_200600_302600_NS10device_ptrIiEENS9_IsEEjNS0_19identity_decomposerEEE10hipError_tT1_T2_PT3_SG_jT4_jjP12ihipStream_tbEUlT_E_NS1_11comp_targetILNS1_3genE0ELNS1_11target_archE4294967295ELNS1_3gpuE0ELNS1_3repE0EEENS1_52radix_sort_onesweep_histogram_config_static_selectorELNS0_4arch9wavefront6targetE1EEEvSE_.numbered_sgpr, 0
	.set _ZN7rocprim17ROCPRIM_400000_NS6detail17trampoline_kernelINS0_14default_configENS1_35radix_sort_onesweep_config_selectorIisEEZNS1_34radix_sort_onesweep_global_offsetsIS3_Lb0EN6thrust23THRUST_200600_302600_NS10device_ptrIiEENS9_IsEEjNS0_19identity_decomposerEEE10hipError_tT1_T2_PT3_SG_jT4_jjP12ihipStream_tbEUlT_E_NS1_11comp_targetILNS1_3genE0ELNS1_11target_archE4294967295ELNS1_3gpuE0ELNS1_3repE0EEENS1_52radix_sort_onesweep_histogram_config_static_selectorELNS0_4arch9wavefront6targetE1EEEvSE_.num_named_barrier, 0
	.set _ZN7rocprim17ROCPRIM_400000_NS6detail17trampoline_kernelINS0_14default_configENS1_35radix_sort_onesweep_config_selectorIisEEZNS1_34radix_sort_onesweep_global_offsetsIS3_Lb0EN6thrust23THRUST_200600_302600_NS10device_ptrIiEENS9_IsEEjNS0_19identity_decomposerEEE10hipError_tT1_T2_PT3_SG_jT4_jjP12ihipStream_tbEUlT_E_NS1_11comp_targetILNS1_3genE0ELNS1_11target_archE4294967295ELNS1_3gpuE0ELNS1_3repE0EEENS1_52radix_sort_onesweep_histogram_config_static_selectorELNS0_4arch9wavefront6targetE1EEEvSE_.private_seg_size, 0
	.set _ZN7rocprim17ROCPRIM_400000_NS6detail17trampoline_kernelINS0_14default_configENS1_35radix_sort_onesweep_config_selectorIisEEZNS1_34radix_sort_onesweep_global_offsetsIS3_Lb0EN6thrust23THRUST_200600_302600_NS10device_ptrIiEENS9_IsEEjNS0_19identity_decomposerEEE10hipError_tT1_T2_PT3_SG_jT4_jjP12ihipStream_tbEUlT_E_NS1_11comp_targetILNS1_3genE0ELNS1_11target_archE4294967295ELNS1_3gpuE0ELNS1_3repE0EEENS1_52radix_sort_onesweep_histogram_config_static_selectorELNS0_4arch9wavefront6targetE1EEEvSE_.uses_vcc, 0
	.set _ZN7rocprim17ROCPRIM_400000_NS6detail17trampoline_kernelINS0_14default_configENS1_35radix_sort_onesweep_config_selectorIisEEZNS1_34radix_sort_onesweep_global_offsetsIS3_Lb0EN6thrust23THRUST_200600_302600_NS10device_ptrIiEENS9_IsEEjNS0_19identity_decomposerEEE10hipError_tT1_T2_PT3_SG_jT4_jjP12ihipStream_tbEUlT_E_NS1_11comp_targetILNS1_3genE0ELNS1_11target_archE4294967295ELNS1_3gpuE0ELNS1_3repE0EEENS1_52radix_sort_onesweep_histogram_config_static_selectorELNS0_4arch9wavefront6targetE1EEEvSE_.uses_flat_scratch, 0
	.set _ZN7rocprim17ROCPRIM_400000_NS6detail17trampoline_kernelINS0_14default_configENS1_35radix_sort_onesweep_config_selectorIisEEZNS1_34radix_sort_onesweep_global_offsetsIS3_Lb0EN6thrust23THRUST_200600_302600_NS10device_ptrIiEENS9_IsEEjNS0_19identity_decomposerEEE10hipError_tT1_T2_PT3_SG_jT4_jjP12ihipStream_tbEUlT_E_NS1_11comp_targetILNS1_3genE0ELNS1_11target_archE4294967295ELNS1_3gpuE0ELNS1_3repE0EEENS1_52radix_sort_onesweep_histogram_config_static_selectorELNS0_4arch9wavefront6targetE1EEEvSE_.has_dyn_sized_stack, 0
	.set _ZN7rocprim17ROCPRIM_400000_NS6detail17trampoline_kernelINS0_14default_configENS1_35radix_sort_onesweep_config_selectorIisEEZNS1_34radix_sort_onesweep_global_offsetsIS3_Lb0EN6thrust23THRUST_200600_302600_NS10device_ptrIiEENS9_IsEEjNS0_19identity_decomposerEEE10hipError_tT1_T2_PT3_SG_jT4_jjP12ihipStream_tbEUlT_E_NS1_11comp_targetILNS1_3genE0ELNS1_11target_archE4294967295ELNS1_3gpuE0ELNS1_3repE0EEENS1_52radix_sort_onesweep_histogram_config_static_selectorELNS0_4arch9wavefront6targetE1EEEvSE_.has_recursion, 0
	.set _ZN7rocprim17ROCPRIM_400000_NS6detail17trampoline_kernelINS0_14default_configENS1_35radix_sort_onesweep_config_selectorIisEEZNS1_34radix_sort_onesweep_global_offsetsIS3_Lb0EN6thrust23THRUST_200600_302600_NS10device_ptrIiEENS9_IsEEjNS0_19identity_decomposerEEE10hipError_tT1_T2_PT3_SG_jT4_jjP12ihipStream_tbEUlT_E_NS1_11comp_targetILNS1_3genE0ELNS1_11target_archE4294967295ELNS1_3gpuE0ELNS1_3repE0EEENS1_52radix_sort_onesweep_histogram_config_static_selectorELNS0_4arch9wavefront6targetE1EEEvSE_.has_indirect_call, 0
	.section	.AMDGPU.csdata,"",@progbits
; Kernel info:
; codeLenInByte = 0
; TotalNumSgprs: 6
; NumVgprs: 0
; NumAgprs: 0
; TotalNumVgprs: 0
; ScratchSize: 0
; MemoryBound: 0
; FloatMode: 240
; IeeeMode: 1
; LDSByteSize: 0 bytes/workgroup (compile time only)
; SGPRBlocks: 0
; VGPRBlocks: 0
; NumSGPRsForWavesPerEU: 6
; NumVGPRsForWavesPerEU: 1
; AccumOffset: 4
; Occupancy: 8
; WaveLimiterHint : 0
; COMPUTE_PGM_RSRC2:SCRATCH_EN: 0
; COMPUTE_PGM_RSRC2:USER_SGPR: 2
; COMPUTE_PGM_RSRC2:TRAP_HANDLER: 0
; COMPUTE_PGM_RSRC2:TGID_X_EN: 1
; COMPUTE_PGM_RSRC2:TGID_Y_EN: 0
; COMPUTE_PGM_RSRC2:TGID_Z_EN: 0
; COMPUTE_PGM_RSRC2:TIDIG_COMP_CNT: 0
; COMPUTE_PGM_RSRC3_GFX90A:ACCUM_OFFSET: 0
; COMPUTE_PGM_RSRC3_GFX90A:TG_SPLIT: 0
	.section	.text._ZN7rocprim17ROCPRIM_400000_NS6detail17trampoline_kernelINS0_14default_configENS1_35radix_sort_onesweep_config_selectorIisEEZNS1_34radix_sort_onesweep_global_offsetsIS3_Lb0EN6thrust23THRUST_200600_302600_NS10device_ptrIiEENS9_IsEEjNS0_19identity_decomposerEEE10hipError_tT1_T2_PT3_SG_jT4_jjP12ihipStream_tbEUlT_E_NS1_11comp_targetILNS1_3genE6ELNS1_11target_archE950ELNS1_3gpuE13ELNS1_3repE0EEENS1_52radix_sort_onesweep_histogram_config_static_selectorELNS0_4arch9wavefront6targetE1EEEvSE_,"axG",@progbits,_ZN7rocprim17ROCPRIM_400000_NS6detail17trampoline_kernelINS0_14default_configENS1_35radix_sort_onesweep_config_selectorIisEEZNS1_34radix_sort_onesweep_global_offsetsIS3_Lb0EN6thrust23THRUST_200600_302600_NS10device_ptrIiEENS9_IsEEjNS0_19identity_decomposerEEE10hipError_tT1_T2_PT3_SG_jT4_jjP12ihipStream_tbEUlT_E_NS1_11comp_targetILNS1_3genE6ELNS1_11target_archE950ELNS1_3gpuE13ELNS1_3repE0EEENS1_52radix_sort_onesweep_histogram_config_static_selectorELNS0_4arch9wavefront6targetE1EEEvSE_,comdat
	.protected	_ZN7rocprim17ROCPRIM_400000_NS6detail17trampoline_kernelINS0_14default_configENS1_35radix_sort_onesweep_config_selectorIisEEZNS1_34radix_sort_onesweep_global_offsetsIS3_Lb0EN6thrust23THRUST_200600_302600_NS10device_ptrIiEENS9_IsEEjNS0_19identity_decomposerEEE10hipError_tT1_T2_PT3_SG_jT4_jjP12ihipStream_tbEUlT_E_NS1_11comp_targetILNS1_3genE6ELNS1_11target_archE950ELNS1_3gpuE13ELNS1_3repE0EEENS1_52radix_sort_onesweep_histogram_config_static_selectorELNS0_4arch9wavefront6targetE1EEEvSE_ ; -- Begin function _ZN7rocprim17ROCPRIM_400000_NS6detail17trampoline_kernelINS0_14default_configENS1_35radix_sort_onesweep_config_selectorIisEEZNS1_34radix_sort_onesweep_global_offsetsIS3_Lb0EN6thrust23THRUST_200600_302600_NS10device_ptrIiEENS9_IsEEjNS0_19identity_decomposerEEE10hipError_tT1_T2_PT3_SG_jT4_jjP12ihipStream_tbEUlT_E_NS1_11comp_targetILNS1_3genE6ELNS1_11target_archE950ELNS1_3gpuE13ELNS1_3repE0EEENS1_52radix_sort_onesweep_histogram_config_static_selectorELNS0_4arch9wavefront6targetE1EEEvSE_
	.globl	_ZN7rocprim17ROCPRIM_400000_NS6detail17trampoline_kernelINS0_14default_configENS1_35radix_sort_onesweep_config_selectorIisEEZNS1_34radix_sort_onesweep_global_offsetsIS3_Lb0EN6thrust23THRUST_200600_302600_NS10device_ptrIiEENS9_IsEEjNS0_19identity_decomposerEEE10hipError_tT1_T2_PT3_SG_jT4_jjP12ihipStream_tbEUlT_E_NS1_11comp_targetILNS1_3genE6ELNS1_11target_archE950ELNS1_3gpuE13ELNS1_3repE0EEENS1_52radix_sort_onesweep_histogram_config_static_selectorELNS0_4arch9wavefront6targetE1EEEvSE_
	.p2align	8
	.type	_ZN7rocprim17ROCPRIM_400000_NS6detail17trampoline_kernelINS0_14default_configENS1_35radix_sort_onesweep_config_selectorIisEEZNS1_34radix_sort_onesweep_global_offsetsIS3_Lb0EN6thrust23THRUST_200600_302600_NS10device_ptrIiEENS9_IsEEjNS0_19identity_decomposerEEE10hipError_tT1_T2_PT3_SG_jT4_jjP12ihipStream_tbEUlT_E_NS1_11comp_targetILNS1_3genE6ELNS1_11target_archE950ELNS1_3gpuE13ELNS1_3repE0EEENS1_52radix_sort_onesweep_histogram_config_static_selectorELNS0_4arch9wavefront6targetE1EEEvSE_,@function
_ZN7rocprim17ROCPRIM_400000_NS6detail17trampoline_kernelINS0_14default_configENS1_35radix_sort_onesweep_config_selectorIisEEZNS1_34radix_sort_onesweep_global_offsetsIS3_Lb0EN6thrust23THRUST_200600_302600_NS10device_ptrIiEENS9_IsEEjNS0_19identity_decomposerEEE10hipError_tT1_T2_PT3_SG_jT4_jjP12ihipStream_tbEUlT_E_NS1_11comp_targetILNS1_3genE6ELNS1_11target_archE950ELNS1_3gpuE13ELNS1_3repE0EEENS1_52radix_sort_onesweep_histogram_config_static_selectorELNS0_4arch9wavefront6targetE1EEEvSE_: ; @_ZN7rocprim17ROCPRIM_400000_NS6detail17trampoline_kernelINS0_14default_configENS1_35radix_sort_onesweep_config_selectorIisEEZNS1_34radix_sort_onesweep_global_offsetsIS3_Lb0EN6thrust23THRUST_200600_302600_NS10device_ptrIiEENS9_IsEEjNS0_19identity_decomposerEEE10hipError_tT1_T2_PT3_SG_jT4_jjP12ihipStream_tbEUlT_E_NS1_11comp_targetILNS1_3genE6ELNS1_11target_archE950ELNS1_3gpuE13ELNS1_3repE0EEENS1_52radix_sort_onesweep_histogram_config_static_selectorELNS0_4arch9wavefront6targetE1EEEvSE_
; %bb.0:
	s_load_dword s11, s[0:1], 0x14
	s_load_dwordx4 s[4:7], s[0:1], 0x0
	s_load_dwordx2 s[8:9], s[0:1], 0x1c
	s_lshl_b32 s10, s2, 13
	s_waitcnt lgkmcnt(0)
	s_cmp_ge_u32 s2, s11
	s_mov_b64 s[2:3], -1
	s_cbranch_scc0 .LBB2405_159
; %bb.1:
	s_load_dword s2, s[0:1], 0x10
	s_lshl_b32 s3, s11, 13
	s_mov_b32 s11, 0
	s_lshl_b64 s[0:1], s[10:11], 2
	v_mov_b32_e32 v2, 0
	s_waitcnt lgkmcnt(0)
	s_sub_i32 s11, s2, s3
	s_add_u32 s0, s4, s0
	v_cmp_gt_u32_e32 vcc, s11, v0
	s_addc_u32 s1, s5, s1
	v_mov_b32_e32 v3, v2
	v_mov_b32_e32 v4, v2
	;; [unrolled: 1-line block ×7, first 2 shown]
	s_and_saveexec_b64 s[2:3], vcc
	s_cbranch_execz .LBB2405_3
; %bb.2:
	v_lshlrev_b32_e32 v1, 2, v0
	global_load_dword v4, v1, s[0:1]
	v_mov_b32_e32 v5, v2
	v_mov_b32_e32 v6, v2
	;; [unrolled: 1-line block ×7, first 2 shown]
	s_waitcnt vmcnt(0)
	v_mov_b64_e32 v[2:3], v[4:5]
	v_mov_b64_e32 v[4:5], v[6:7]
	;; [unrolled: 1-line block ×4, first 2 shown]
.LBB2405_3:
	s_or_b64 exec, exec, s[2:3]
	v_or_b32_e32 v17, 0x400, v0
	v_cmp_gt_u32_e32 vcc, s11, v17
	s_and_saveexec_b64 s[2:3], vcc
	s_cbranch_execz .LBB2405_5
; %bb.4:
	v_lshlrev_b32_e32 v1, 2, v17
	global_load_dword v3, v1, s[0:1]
.LBB2405_5:
	s_or_b64 exec, exec, s[2:3]
	v_or_b32_e32 v16, 0x800, v0
	v_cmp_gt_u32_e32 vcc, s11, v16
	s_and_saveexec_b64 s[2:3], vcc
	s_cbranch_execz .LBB2405_7
; %bb.6:
	v_lshlrev_b32_e32 v1, 2, v16
	global_load_dword v4, v1, s[0:1]
.LBB2405_7:
	;; [unrolled: 9-line block ×7, first 2 shown]
	s_or_b64 exec, exec, s[2:3]
	s_cmp_le_u32 s9, s8
	s_cselect_b64 s[2:3], -1, 0
	s_and_b64 s[0:1], s[2:3], exec
	v_lshlrev_b32_e32 v1, 2, v0
	v_mov_b32_e32 v18, 0
	v_cmp_le_u32_e32 vcc, s11, v0
	s_cselect_b32 s18, 8, 10
	v_and_b32_e32 v10, 3, v0
	ds_write2st64_b32 v1, v18, v18 offset1:16
	ds_write2st64_b32 v1, v18, v18 offset0:32 offset1:48
	v_xor_b32_e32 v2, 0x80000000, v2
	s_nor_b64 s[12:13], s[2:3], vcc
	v_mov_b32_e32 v18, s18
	s_waitcnt lgkmcnt(0)
	s_barrier
	s_and_saveexec_b64 s[0:1], s[12:13]
	s_cbranch_execz .LBB2405_19
; %bb.18:
	s_sub_i32 s12, s9, s8
	s_min_u32 s12, s12, 8
	v_lshrrev_b32_e32 v18, s8, v2
	v_bfe_u32 v18, v18, 0, s12
	v_lshlrev_b32_e32 v19, 2, v10
	v_lshl_or_b32 v18, v18, 4, v19
	v_mov_b32_e32 v19, 1
	ds_add_u32 v18, v19
	v_mov_b32_e32 v18, 0
.LBB2405_19:
	s_or_b64 exec, exec, s[0:1]
	v_cmp_gt_i32_e64 s[0:1], 10, v18
	s_mov_b64 s[14:15], -1
	s_and_saveexec_b64 s[12:13], s[0:1]
; %bb.20:
	v_cmp_eq_u32_e64 s[0:1], 0, v18
	s_orn2_b64 s[14:15], s[0:1], exec
; %bb.21:
	s_or_b64 exec, exec, s[12:13]
	s_and_saveexec_b64 s[12:13], s[14:15]
	s_cbranch_execz .LBB2405_34
; %bb.22:
	s_add_i32 s14, s8, 8
	s_cmp_le_u32 s9, s14
	s_cselect_b64 s[0:1], -1, 0
	s_and_b64 s[16:17], s[0:1], exec
	s_cselect_b32 s15, 8, 10
	s_nor_b64 s[16:17], s[0:1], vcc
	v_mov_b32_e32 v18, s15
	s_and_saveexec_b64 s[0:1], s[16:17]
	s_cbranch_execz .LBB2405_24
; %bb.23:
	s_sub_i32 s15, s9, s14
	s_min_u32 s15, s15, 8
	v_lshrrev_b32_e32 v18, s14, v2
	v_bfe_u32 v18, v18, 0, s15
	v_lshlrev_b32_e32 v19, 2, v10
	v_lshl_or_b32 v18, v18, 4, v19
	v_mov_b32_e32 v19, 1
	ds_add_u32 v18, v19 offset:4096
	v_mov_b32_e32 v18, 0
.LBB2405_24:
	s_or_b64 exec, exec, s[0:1]
	v_cmp_gt_i32_e64 s[0:1], 10, v18
	s_mov_b64 s[14:15], -1
	s_and_saveexec_b64 s[16:17], s[0:1]
; %bb.25:
	v_cmp_eq_u32_e64 s[0:1], 0, v18
	s_orn2_b64 s[14:15], s[0:1], exec
; %bb.26:
	s_or_b64 exec, exec, s[16:17]
	s_and_b64 exec, exec, s[14:15]
	s_cbranch_execz .LBB2405_34
; %bb.27:
	s_add_i32 s14, s8, 16
	s_cmp_le_u32 s9, s14
	s_cselect_b64 s[0:1], -1, 0
	s_and_b64 s[16:17], s[0:1], exec
	s_cselect_b32 s15, 8, 10
	s_nor_b64 s[16:17], s[0:1], vcc
	v_mov_b32_e32 v18, s15
	s_and_saveexec_b64 s[0:1], s[16:17]
	s_cbranch_execz .LBB2405_29
; %bb.28:
	s_sub_i32 s15, s9, s14
	s_min_u32 s15, s15, 8
	v_lshrrev_b32_e32 v18, s14, v2
	v_bfe_u32 v18, v18, 0, s15
	v_lshlrev_b32_e32 v19, 2, v10
	v_lshl_or_b32 v18, v18, 4, v19
	v_mov_b32_e32 v19, 1
	ds_add_u32 v18, v19 offset:8192
	v_mov_b32_e32 v18, 0
.LBB2405_29:
	s_or_b64 exec, exec, s[0:1]
	v_cmp_gt_i32_e64 s[0:1], 10, v18
	s_mov_b64 s[14:15], -1
	s_and_saveexec_b64 s[16:17], s[0:1]
; %bb.30:
	v_cmp_eq_u32_e64 s[0:1], 0, v18
	s_orn2_b64 s[14:15], s[0:1], exec
; %bb.31:
	s_or_b64 exec, exec, s[16:17]
	s_and_b64 exec, exec, s[14:15]
	s_cbranch_execz .LBB2405_34
; %bb.32:
	s_add_i32 s0, s8, 24
	s_cmp_gt_u32 s9, s0
	s_cselect_b64 s[14:15], -1, 0
	s_xor_b64 s[16:17], vcc, -1
	s_and_b64 s[14:15], s[14:15], s[16:17]
	s_and_b64 exec, exec, s[14:15]
	s_cbranch_execz .LBB2405_34
; %bb.33:
	s_sub_i32 s1, s9, s0
	s_min_u32 s1, s1, 8
	v_lshrrev_b32_e32 v2, s0, v2
	v_bfe_u32 v2, v2, 0, s1
	v_lshlrev_b32_e32 v18, 2, v10
	v_lshl_or_b32 v2, v2, 4, v18
	v_mov_b32_e32 v18, 1
	ds_add_u32 v2, v18 offset:12288
.LBB2405_34:
	s_or_b64 exec, exec, s[12:13]
	v_cmp_le_u32_e32 vcc, s11, v17
	s_waitcnt vmcnt(0)
	v_xor_b32_e32 v2, 0x80000000, v3
	s_nor_b64 s[12:13], s[2:3], vcc
	v_mov_b32_e32 v3, s18
	s_and_saveexec_b64 s[0:1], s[12:13]
	s_cbranch_execz .LBB2405_36
; %bb.35:
	s_sub_i32 s12, s9, s8
	s_min_u32 s12, s12, 8
	v_lshrrev_b32_e32 v3, s8, v2
	v_bfe_u32 v3, v3, 0, s12
	v_lshlrev_b32_e32 v17, 2, v10
	v_lshl_or_b32 v3, v3, 4, v17
	v_mov_b32_e32 v17, 1
	ds_add_u32 v3, v17
	v_mov_b32_e32 v3, 0
.LBB2405_36:
	s_or_b64 exec, exec, s[0:1]
	v_cmp_gt_i32_e64 s[0:1], 10, v3
	s_mov_b64 s[14:15], -1
	s_and_saveexec_b64 s[12:13], s[0:1]
; %bb.37:
	v_cmp_eq_u32_e64 s[0:1], 0, v3
	s_orn2_b64 s[14:15], s[0:1], exec
; %bb.38:
	s_or_b64 exec, exec, s[12:13]
	s_and_saveexec_b64 s[12:13], s[14:15]
	s_cbranch_execz .LBB2405_51
; %bb.39:
	s_add_i32 s14, s8, 8
	s_cmp_le_u32 s9, s14
	s_cselect_b64 s[0:1], -1, 0
	s_and_b64 s[16:17], s[0:1], exec
	s_cselect_b32 s15, 8, 10
	s_nor_b64 s[16:17], s[0:1], vcc
	v_mov_b32_e32 v3, s15
	s_and_saveexec_b64 s[0:1], s[16:17]
	s_cbranch_execz .LBB2405_41
; %bb.40:
	s_sub_i32 s15, s9, s14
	s_min_u32 s15, s15, 8
	v_lshrrev_b32_e32 v3, s14, v2
	v_bfe_u32 v3, v3, 0, s15
	v_lshlrev_b32_e32 v17, 2, v10
	v_lshl_or_b32 v3, v3, 4, v17
	v_mov_b32_e32 v17, 1
	ds_add_u32 v3, v17 offset:4096
	v_mov_b32_e32 v3, 0
.LBB2405_41:
	s_or_b64 exec, exec, s[0:1]
	v_cmp_gt_i32_e64 s[0:1], 10, v3
	s_mov_b64 s[14:15], -1
	s_and_saveexec_b64 s[16:17], s[0:1]
; %bb.42:
	v_cmp_eq_u32_e64 s[0:1], 0, v3
	s_orn2_b64 s[14:15], s[0:1], exec
; %bb.43:
	s_or_b64 exec, exec, s[16:17]
	s_and_b64 exec, exec, s[14:15]
	s_cbranch_execz .LBB2405_51
; %bb.44:
	s_add_i32 s14, s8, 16
	s_cmp_le_u32 s9, s14
	s_cselect_b64 s[0:1], -1, 0
	s_and_b64 s[16:17], s[0:1], exec
	s_cselect_b32 s15, 8, 10
	s_nor_b64 s[16:17], s[0:1], vcc
	v_mov_b32_e32 v3, s15
	s_and_saveexec_b64 s[0:1], s[16:17]
	s_cbranch_execz .LBB2405_46
; %bb.45:
	s_sub_i32 s15, s9, s14
	s_min_u32 s15, s15, 8
	v_lshrrev_b32_e32 v3, s14, v2
	v_bfe_u32 v3, v3, 0, s15
	v_lshlrev_b32_e32 v17, 2, v10
	v_lshl_or_b32 v3, v3, 4, v17
	v_mov_b32_e32 v17, 1
	ds_add_u32 v3, v17 offset:8192
	v_mov_b32_e32 v3, 0
.LBB2405_46:
	s_or_b64 exec, exec, s[0:1]
	v_cmp_gt_i32_e64 s[0:1], 10, v3
	s_mov_b64 s[14:15], -1
	s_and_saveexec_b64 s[16:17], s[0:1]
; %bb.47:
	v_cmp_eq_u32_e64 s[0:1], 0, v3
	s_orn2_b64 s[14:15], s[0:1], exec
; %bb.48:
	s_or_b64 exec, exec, s[16:17]
	s_and_b64 exec, exec, s[14:15]
	s_cbranch_execz .LBB2405_51
; %bb.49:
	s_add_i32 s0, s8, 24
	s_cmp_gt_u32 s9, s0
	s_cselect_b64 s[14:15], -1, 0
	s_xor_b64 s[16:17], vcc, -1
	s_and_b64 s[14:15], s[14:15], s[16:17]
	s_and_b64 exec, exec, s[14:15]
	s_cbranch_execz .LBB2405_51
; %bb.50:
	s_sub_i32 s1, s9, s0
	s_min_u32 s1, s1, 8
	v_lshrrev_b32_e32 v2, s0, v2
	v_bfe_u32 v2, v2, 0, s1
	v_lshlrev_b32_e32 v3, 2, v10
	v_lshl_or_b32 v2, v2, 4, v3
	v_mov_b32_e32 v3, 1
	ds_add_u32 v2, v3 offset:12288
.LBB2405_51:
	s_or_b64 exec, exec, s[12:13]
	v_cmp_le_u32_e32 vcc, s11, v16
	v_xor_b32_e32 v2, 0x80000000, v4
	s_nor_b64 s[12:13], s[2:3], vcc
	v_mov_b32_e32 v3, s18
	s_and_saveexec_b64 s[0:1], s[12:13]
	s_cbranch_execz .LBB2405_53
; %bb.52:
	s_sub_i32 s12, s9, s8
	s_min_u32 s12, s12, 8
	v_lshrrev_b32_e32 v3, s8, v2
	v_bfe_u32 v3, v3, 0, s12
	v_lshlrev_b32_e32 v4, 2, v10
	v_lshl_or_b32 v3, v3, 4, v4
	v_mov_b32_e32 v4, 1
	ds_add_u32 v3, v4
	v_mov_b32_e32 v3, 0
.LBB2405_53:
	s_or_b64 exec, exec, s[0:1]
	v_cmp_gt_i32_e64 s[0:1], 10, v3
	s_mov_b64 s[14:15], -1
	s_and_saveexec_b64 s[12:13], s[0:1]
; %bb.54:
	v_cmp_eq_u32_e64 s[0:1], 0, v3
	s_orn2_b64 s[14:15], s[0:1], exec
; %bb.55:
	s_or_b64 exec, exec, s[12:13]
	s_and_saveexec_b64 s[12:13], s[14:15]
	s_cbranch_execz .LBB2405_68
; %bb.56:
	s_add_i32 s14, s8, 8
	s_cmp_le_u32 s9, s14
	s_cselect_b64 s[0:1], -1, 0
	s_and_b64 s[16:17], s[0:1], exec
	s_cselect_b32 s15, 8, 10
	s_nor_b64 s[16:17], s[0:1], vcc
	v_mov_b32_e32 v3, s15
	s_and_saveexec_b64 s[0:1], s[16:17]
	s_cbranch_execz .LBB2405_58
; %bb.57:
	s_sub_i32 s15, s9, s14
	s_min_u32 s15, s15, 8
	v_lshrrev_b32_e32 v3, s14, v2
	v_bfe_u32 v3, v3, 0, s15
	v_lshlrev_b32_e32 v4, 2, v10
	v_lshl_or_b32 v3, v3, 4, v4
	v_mov_b32_e32 v4, 1
	ds_add_u32 v3, v4 offset:4096
	v_mov_b32_e32 v3, 0
.LBB2405_58:
	s_or_b64 exec, exec, s[0:1]
	v_cmp_gt_i32_e64 s[0:1], 10, v3
	s_mov_b64 s[14:15], -1
	s_and_saveexec_b64 s[16:17], s[0:1]
; %bb.59:
	v_cmp_eq_u32_e64 s[0:1], 0, v3
	s_orn2_b64 s[14:15], s[0:1], exec
; %bb.60:
	s_or_b64 exec, exec, s[16:17]
	s_and_b64 exec, exec, s[14:15]
	s_cbranch_execz .LBB2405_68
; %bb.61:
	s_add_i32 s14, s8, 16
	s_cmp_le_u32 s9, s14
	s_cselect_b64 s[0:1], -1, 0
	s_and_b64 s[16:17], s[0:1], exec
	s_cselect_b32 s15, 8, 10
	s_nor_b64 s[16:17], s[0:1], vcc
	v_mov_b32_e32 v3, s15
	s_and_saveexec_b64 s[0:1], s[16:17]
	s_cbranch_execz .LBB2405_63
; %bb.62:
	s_sub_i32 s15, s9, s14
	s_min_u32 s15, s15, 8
	v_lshrrev_b32_e32 v3, s14, v2
	v_bfe_u32 v3, v3, 0, s15
	v_lshlrev_b32_e32 v4, 2, v10
	v_lshl_or_b32 v3, v3, 4, v4
	v_mov_b32_e32 v4, 1
	ds_add_u32 v3, v4 offset:8192
	v_mov_b32_e32 v3, 0
.LBB2405_63:
	s_or_b64 exec, exec, s[0:1]
	v_cmp_gt_i32_e64 s[0:1], 10, v3
	s_mov_b64 s[14:15], -1
	s_and_saveexec_b64 s[16:17], s[0:1]
; %bb.64:
	v_cmp_eq_u32_e64 s[0:1], 0, v3
	s_orn2_b64 s[14:15], s[0:1], exec
; %bb.65:
	s_or_b64 exec, exec, s[16:17]
	s_and_b64 exec, exec, s[14:15]
	s_cbranch_execz .LBB2405_68
; %bb.66:
	s_add_i32 s0, s8, 24
	s_cmp_gt_u32 s9, s0
	s_cselect_b64 s[14:15], -1, 0
	s_xor_b64 s[16:17], vcc, -1
	s_and_b64 s[14:15], s[14:15], s[16:17]
	s_and_b64 exec, exec, s[14:15]
	s_cbranch_execz .LBB2405_68
; %bb.67:
	s_sub_i32 s1, s9, s0
	s_min_u32 s1, s1, 8
	v_lshrrev_b32_e32 v2, s0, v2
	v_bfe_u32 v2, v2, 0, s1
	v_lshlrev_b32_e32 v3, 2, v10
	v_lshl_or_b32 v2, v2, 4, v3
	v_mov_b32_e32 v3, 1
	ds_add_u32 v2, v3 offset:12288
.LBB2405_68:
	s_or_b64 exec, exec, s[12:13]
	v_cmp_le_u32_e32 vcc, s11, v15
	v_xor_b32_e32 v2, 0x80000000, v5
	s_nor_b64 s[12:13], s[2:3], vcc
	v_mov_b32_e32 v3, s18
	s_and_saveexec_b64 s[0:1], s[12:13]
	s_cbranch_execz .LBB2405_70
; %bb.69:
	s_sub_i32 s12, s9, s8
	s_min_u32 s12, s12, 8
	v_lshrrev_b32_e32 v3, s8, v2
	v_bfe_u32 v3, v3, 0, s12
	v_lshlrev_b32_e32 v4, 2, v10
	v_lshl_or_b32 v3, v3, 4, v4
	v_mov_b32_e32 v4, 1
	ds_add_u32 v3, v4
	v_mov_b32_e32 v3, 0
.LBB2405_70:
	s_or_b64 exec, exec, s[0:1]
	v_cmp_gt_i32_e64 s[0:1], 10, v3
	s_mov_b64 s[14:15], -1
	s_and_saveexec_b64 s[12:13], s[0:1]
; %bb.71:
	v_cmp_eq_u32_e64 s[0:1], 0, v3
	s_orn2_b64 s[14:15], s[0:1], exec
; %bb.72:
	s_or_b64 exec, exec, s[12:13]
	s_and_saveexec_b64 s[12:13], s[14:15]
	s_cbranch_execz .LBB2405_85
; %bb.73:
	s_add_i32 s14, s8, 8
	s_cmp_le_u32 s9, s14
	s_cselect_b64 s[0:1], -1, 0
	s_and_b64 s[16:17], s[0:1], exec
	s_cselect_b32 s15, 8, 10
	s_nor_b64 s[16:17], s[0:1], vcc
	v_mov_b32_e32 v3, s15
	s_and_saveexec_b64 s[0:1], s[16:17]
	s_cbranch_execz .LBB2405_75
; %bb.74:
	s_sub_i32 s15, s9, s14
	s_min_u32 s15, s15, 8
	v_lshrrev_b32_e32 v3, s14, v2
	v_bfe_u32 v3, v3, 0, s15
	v_lshlrev_b32_e32 v4, 2, v10
	v_lshl_or_b32 v3, v3, 4, v4
	v_mov_b32_e32 v4, 1
	ds_add_u32 v3, v4 offset:4096
	v_mov_b32_e32 v3, 0
.LBB2405_75:
	s_or_b64 exec, exec, s[0:1]
	v_cmp_gt_i32_e64 s[0:1], 10, v3
	s_mov_b64 s[14:15], -1
	s_and_saveexec_b64 s[16:17], s[0:1]
; %bb.76:
	v_cmp_eq_u32_e64 s[0:1], 0, v3
	s_orn2_b64 s[14:15], s[0:1], exec
; %bb.77:
	s_or_b64 exec, exec, s[16:17]
	s_and_b64 exec, exec, s[14:15]
	s_cbranch_execz .LBB2405_85
; %bb.78:
	s_add_i32 s14, s8, 16
	s_cmp_le_u32 s9, s14
	s_cselect_b64 s[0:1], -1, 0
	s_and_b64 s[16:17], s[0:1], exec
	s_cselect_b32 s15, 8, 10
	s_nor_b64 s[16:17], s[0:1], vcc
	v_mov_b32_e32 v3, s15
	s_and_saveexec_b64 s[0:1], s[16:17]
	s_cbranch_execz .LBB2405_80
; %bb.79:
	s_sub_i32 s15, s9, s14
	s_min_u32 s15, s15, 8
	v_lshrrev_b32_e32 v3, s14, v2
	v_bfe_u32 v3, v3, 0, s15
	v_lshlrev_b32_e32 v4, 2, v10
	v_lshl_or_b32 v3, v3, 4, v4
	v_mov_b32_e32 v4, 1
	ds_add_u32 v3, v4 offset:8192
	v_mov_b32_e32 v3, 0
.LBB2405_80:
	s_or_b64 exec, exec, s[0:1]
	v_cmp_gt_i32_e64 s[0:1], 10, v3
	s_mov_b64 s[14:15], -1
	s_and_saveexec_b64 s[16:17], s[0:1]
; %bb.81:
	v_cmp_eq_u32_e64 s[0:1], 0, v3
	s_orn2_b64 s[14:15], s[0:1], exec
; %bb.82:
	s_or_b64 exec, exec, s[16:17]
	s_and_b64 exec, exec, s[14:15]
	s_cbranch_execz .LBB2405_85
; %bb.83:
	s_add_i32 s0, s8, 24
	s_cmp_gt_u32 s9, s0
	s_cselect_b64 s[14:15], -1, 0
	s_xor_b64 s[16:17], vcc, -1
	s_and_b64 s[14:15], s[14:15], s[16:17]
	s_and_b64 exec, exec, s[14:15]
	s_cbranch_execz .LBB2405_85
; %bb.84:
	s_sub_i32 s1, s9, s0
	s_min_u32 s1, s1, 8
	v_lshrrev_b32_e32 v2, s0, v2
	v_bfe_u32 v2, v2, 0, s1
	v_lshlrev_b32_e32 v3, 2, v10
	v_lshl_or_b32 v2, v2, 4, v3
	v_mov_b32_e32 v3, 1
	ds_add_u32 v2, v3 offset:12288
.LBB2405_85:
	s_or_b64 exec, exec, s[12:13]
	v_cmp_le_u32_e32 vcc, s11, v14
	v_xor_b32_e32 v2, 0x80000000, v6
	s_nor_b64 s[12:13], s[2:3], vcc
	v_mov_b32_e32 v3, s18
	s_and_saveexec_b64 s[0:1], s[12:13]
	s_cbranch_execz .LBB2405_87
; %bb.86:
	s_sub_i32 s12, s9, s8
	s_min_u32 s12, s12, 8
	v_lshrrev_b32_e32 v3, s8, v2
	v_bfe_u32 v3, v3, 0, s12
	v_lshlrev_b32_e32 v4, 2, v10
	v_lshl_or_b32 v3, v3, 4, v4
	v_mov_b32_e32 v4, 1
	ds_add_u32 v3, v4
	v_mov_b32_e32 v3, 0
.LBB2405_87:
	s_or_b64 exec, exec, s[0:1]
	v_cmp_gt_i32_e64 s[0:1], 10, v3
	s_mov_b64 s[14:15], -1
	s_and_saveexec_b64 s[12:13], s[0:1]
; %bb.88:
	v_cmp_eq_u32_e64 s[0:1], 0, v3
	s_orn2_b64 s[14:15], s[0:1], exec
; %bb.89:
	s_or_b64 exec, exec, s[12:13]
	s_and_saveexec_b64 s[12:13], s[14:15]
	s_cbranch_execz .LBB2405_102
; %bb.90:
	s_add_i32 s14, s8, 8
	s_cmp_le_u32 s9, s14
	s_cselect_b64 s[0:1], -1, 0
	s_and_b64 s[16:17], s[0:1], exec
	s_cselect_b32 s15, 8, 10
	s_nor_b64 s[16:17], s[0:1], vcc
	v_mov_b32_e32 v3, s15
	s_and_saveexec_b64 s[0:1], s[16:17]
	s_cbranch_execz .LBB2405_92
; %bb.91:
	s_sub_i32 s15, s9, s14
	s_min_u32 s15, s15, 8
	v_lshrrev_b32_e32 v3, s14, v2
	v_bfe_u32 v3, v3, 0, s15
	v_lshlrev_b32_e32 v4, 2, v10
	v_lshl_or_b32 v3, v3, 4, v4
	v_mov_b32_e32 v4, 1
	ds_add_u32 v3, v4 offset:4096
	v_mov_b32_e32 v3, 0
.LBB2405_92:
	s_or_b64 exec, exec, s[0:1]
	v_cmp_gt_i32_e64 s[0:1], 10, v3
	s_mov_b64 s[14:15], -1
	s_and_saveexec_b64 s[16:17], s[0:1]
; %bb.93:
	v_cmp_eq_u32_e64 s[0:1], 0, v3
	s_orn2_b64 s[14:15], s[0:1], exec
; %bb.94:
	s_or_b64 exec, exec, s[16:17]
	s_and_b64 exec, exec, s[14:15]
	s_cbranch_execz .LBB2405_102
; %bb.95:
	s_add_i32 s14, s8, 16
	s_cmp_le_u32 s9, s14
	s_cselect_b64 s[0:1], -1, 0
	s_and_b64 s[16:17], s[0:1], exec
	s_cselect_b32 s15, 8, 10
	s_nor_b64 s[16:17], s[0:1], vcc
	v_mov_b32_e32 v3, s15
	s_and_saveexec_b64 s[0:1], s[16:17]
	s_cbranch_execz .LBB2405_97
; %bb.96:
	s_sub_i32 s15, s9, s14
	s_min_u32 s15, s15, 8
	v_lshrrev_b32_e32 v3, s14, v2
	v_bfe_u32 v3, v3, 0, s15
	v_lshlrev_b32_e32 v4, 2, v10
	v_lshl_or_b32 v3, v3, 4, v4
	v_mov_b32_e32 v4, 1
	ds_add_u32 v3, v4 offset:8192
	v_mov_b32_e32 v3, 0
.LBB2405_97:
	s_or_b64 exec, exec, s[0:1]
	v_cmp_gt_i32_e64 s[0:1], 10, v3
	s_mov_b64 s[14:15], -1
	s_and_saveexec_b64 s[16:17], s[0:1]
; %bb.98:
	v_cmp_eq_u32_e64 s[0:1], 0, v3
	s_orn2_b64 s[14:15], s[0:1], exec
; %bb.99:
	s_or_b64 exec, exec, s[16:17]
	s_and_b64 exec, exec, s[14:15]
	s_cbranch_execz .LBB2405_102
; %bb.100:
	s_add_i32 s0, s8, 24
	s_cmp_gt_u32 s9, s0
	s_cselect_b64 s[14:15], -1, 0
	s_xor_b64 s[16:17], vcc, -1
	s_and_b64 s[14:15], s[14:15], s[16:17]
	s_and_b64 exec, exec, s[14:15]
	s_cbranch_execz .LBB2405_102
; %bb.101:
	s_sub_i32 s1, s9, s0
	s_min_u32 s1, s1, 8
	v_lshrrev_b32_e32 v2, s0, v2
	v_bfe_u32 v2, v2, 0, s1
	v_lshlrev_b32_e32 v3, 2, v10
	v_lshl_or_b32 v2, v2, 4, v3
	v_mov_b32_e32 v3, 1
	ds_add_u32 v2, v3 offset:12288
.LBB2405_102:
	s_or_b64 exec, exec, s[12:13]
	v_cmp_le_u32_e32 vcc, s11, v13
	v_xor_b32_e32 v2, 0x80000000, v7
	s_nor_b64 s[12:13], s[2:3], vcc
	v_mov_b32_e32 v3, s18
	s_and_saveexec_b64 s[0:1], s[12:13]
	s_cbranch_execz .LBB2405_104
; %bb.103:
	s_sub_i32 s12, s9, s8
	s_min_u32 s12, s12, 8
	v_lshrrev_b32_e32 v3, s8, v2
	v_bfe_u32 v3, v3, 0, s12
	v_lshlrev_b32_e32 v4, 2, v10
	v_lshl_or_b32 v3, v3, 4, v4
	v_mov_b32_e32 v4, 1
	ds_add_u32 v3, v4
	v_mov_b32_e32 v3, 0
.LBB2405_104:
	s_or_b64 exec, exec, s[0:1]
	v_cmp_gt_i32_e64 s[0:1], 10, v3
	s_mov_b64 s[14:15], -1
	s_and_saveexec_b64 s[12:13], s[0:1]
; %bb.105:
	v_cmp_eq_u32_e64 s[0:1], 0, v3
	s_orn2_b64 s[14:15], s[0:1], exec
; %bb.106:
	s_or_b64 exec, exec, s[12:13]
	s_and_saveexec_b64 s[12:13], s[14:15]
	s_cbranch_execz .LBB2405_119
; %bb.107:
	s_add_i32 s14, s8, 8
	s_cmp_le_u32 s9, s14
	s_cselect_b64 s[0:1], -1, 0
	s_and_b64 s[16:17], s[0:1], exec
	s_cselect_b32 s15, 8, 10
	s_nor_b64 s[16:17], s[0:1], vcc
	v_mov_b32_e32 v3, s15
	s_and_saveexec_b64 s[0:1], s[16:17]
	s_cbranch_execz .LBB2405_109
; %bb.108:
	s_sub_i32 s15, s9, s14
	s_min_u32 s15, s15, 8
	v_lshrrev_b32_e32 v3, s14, v2
	v_bfe_u32 v3, v3, 0, s15
	v_lshlrev_b32_e32 v4, 2, v10
	v_lshl_or_b32 v3, v3, 4, v4
	v_mov_b32_e32 v4, 1
	ds_add_u32 v3, v4 offset:4096
	v_mov_b32_e32 v3, 0
.LBB2405_109:
	s_or_b64 exec, exec, s[0:1]
	v_cmp_gt_i32_e64 s[0:1], 10, v3
	s_mov_b64 s[14:15], -1
	s_and_saveexec_b64 s[16:17], s[0:1]
; %bb.110:
	v_cmp_eq_u32_e64 s[0:1], 0, v3
	s_orn2_b64 s[14:15], s[0:1], exec
; %bb.111:
	s_or_b64 exec, exec, s[16:17]
	s_and_b64 exec, exec, s[14:15]
	s_cbranch_execz .LBB2405_119
; %bb.112:
	s_add_i32 s14, s8, 16
	s_cmp_le_u32 s9, s14
	s_cselect_b64 s[0:1], -1, 0
	s_and_b64 s[16:17], s[0:1], exec
	s_cselect_b32 s15, 8, 10
	s_nor_b64 s[16:17], s[0:1], vcc
	v_mov_b32_e32 v3, s15
	s_and_saveexec_b64 s[0:1], s[16:17]
	s_cbranch_execz .LBB2405_114
; %bb.113:
	s_sub_i32 s15, s9, s14
	s_min_u32 s15, s15, 8
	v_lshrrev_b32_e32 v3, s14, v2
	v_bfe_u32 v3, v3, 0, s15
	v_lshlrev_b32_e32 v4, 2, v10
	v_lshl_or_b32 v3, v3, 4, v4
	v_mov_b32_e32 v4, 1
	ds_add_u32 v3, v4 offset:8192
	v_mov_b32_e32 v3, 0
.LBB2405_114:
	s_or_b64 exec, exec, s[0:1]
	v_cmp_gt_i32_e64 s[0:1], 10, v3
	s_mov_b64 s[14:15], -1
	s_and_saveexec_b64 s[16:17], s[0:1]
; %bb.115:
	v_cmp_eq_u32_e64 s[0:1], 0, v3
	s_orn2_b64 s[14:15], s[0:1], exec
; %bb.116:
	s_or_b64 exec, exec, s[16:17]
	s_and_b64 exec, exec, s[14:15]
	s_cbranch_execz .LBB2405_119
; %bb.117:
	s_add_i32 s0, s8, 24
	s_cmp_gt_u32 s9, s0
	s_cselect_b64 s[14:15], -1, 0
	s_xor_b64 s[16:17], vcc, -1
	s_and_b64 s[14:15], s[14:15], s[16:17]
	s_and_b64 exec, exec, s[14:15]
	s_cbranch_execz .LBB2405_119
; %bb.118:
	s_sub_i32 s1, s9, s0
	s_min_u32 s1, s1, 8
	v_lshrrev_b32_e32 v2, s0, v2
	v_bfe_u32 v2, v2, 0, s1
	v_lshlrev_b32_e32 v3, 2, v10
	v_lshl_or_b32 v2, v2, 4, v3
	v_mov_b32_e32 v3, 1
	ds_add_u32 v2, v3 offset:12288
.LBB2405_119:
	s_or_b64 exec, exec, s[12:13]
	v_cmp_le_u32_e32 vcc, s11, v12
	v_xor_b32_e32 v2, 0x80000000, v8
	s_nor_b64 s[12:13], s[2:3], vcc
	v_mov_b32_e32 v3, s18
	s_and_saveexec_b64 s[0:1], s[12:13]
	s_cbranch_execz .LBB2405_121
; %bb.120:
	s_sub_i32 s12, s9, s8
	s_min_u32 s12, s12, 8
	v_lshrrev_b32_e32 v3, s8, v2
	v_bfe_u32 v3, v3, 0, s12
	v_lshlrev_b32_e32 v4, 2, v10
	v_lshl_or_b32 v3, v3, 4, v4
	v_mov_b32_e32 v4, 1
	ds_add_u32 v3, v4
	v_mov_b32_e32 v3, 0
.LBB2405_121:
	s_or_b64 exec, exec, s[0:1]
	v_cmp_gt_i32_e64 s[0:1], 10, v3
	s_mov_b64 s[14:15], -1
	s_and_saveexec_b64 s[12:13], s[0:1]
; %bb.122:
	v_cmp_eq_u32_e64 s[0:1], 0, v3
	s_orn2_b64 s[14:15], s[0:1], exec
; %bb.123:
	s_or_b64 exec, exec, s[12:13]
	s_and_saveexec_b64 s[12:13], s[14:15]
	s_cbranch_execz .LBB2405_136
; %bb.124:
	s_add_i32 s14, s8, 8
	s_cmp_le_u32 s9, s14
	s_cselect_b64 s[0:1], -1, 0
	s_and_b64 s[16:17], s[0:1], exec
	s_cselect_b32 s15, 8, 10
	s_nor_b64 s[16:17], s[0:1], vcc
	v_mov_b32_e32 v3, s15
	s_and_saveexec_b64 s[0:1], s[16:17]
	s_cbranch_execz .LBB2405_126
; %bb.125:
	s_sub_i32 s15, s9, s14
	s_min_u32 s15, s15, 8
	v_lshrrev_b32_e32 v3, s14, v2
	v_bfe_u32 v3, v3, 0, s15
	v_lshlrev_b32_e32 v4, 2, v10
	v_lshl_or_b32 v3, v3, 4, v4
	v_mov_b32_e32 v4, 1
	ds_add_u32 v3, v4 offset:4096
	v_mov_b32_e32 v3, 0
.LBB2405_126:
	s_or_b64 exec, exec, s[0:1]
	v_cmp_gt_i32_e64 s[0:1], 10, v3
	s_mov_b64 s[14:15], -1
	s_and_saveexec_b64 s[16:17], s[0:1]
; %bb.127:
	v_cmp_eq_u32_e64 s[0:1], 0, v3
	s_orn2_b64 s[14:15], s[0:1], exec
; %bb.128:
	s_or_b64 exec, exec, s[16:17]
	s_and_b64 exec, exec, s[14:15]
	s_cbranch_execz .LBB2405_136
; %bb.129:
	s_add_i32 s14, s8, 16
	s_cmp_le_u32 s9, s14
	s_cselect_b64 s[0:1], -1, 0
	s_and_b64 s[16:17], s[0:1], exec
	s_cselect_b32 s15, 8, 10
	s_nor_b64 s[16:17], s[0:1], vcc
	v_mov_b32_e32 v3, s15
	s_and_saveexec_b64 s[0:1], s[16:17]
	s_cbranch_execz .LBB2405_131
; %bb.130:
	s_sub_i32 s15, s9, s14
	s_min_u32 s15, s15, 8
	v_lshrrev_b32_e32 v3, s14, v2
	v_bfe_u32 v3, v3, 0, s15
	v_lshlrev_b32_e32 v4, 2, v10
	v_lshl_or_b32 v3, v3, 4, v4
	v_mov_b32_e32 v4, 1
	ds_add_u32 v3, v4 offset:8192
	v_mov_b32_e32 v3, 0
.LBB2405_131:
	s_or_b64 exec, exec, s[0:1]
	v_cmp_gt_i32_e64 s[0:1], 10, v3
	s_mov_b64 s[14:15], -1
	s_and_saveexec_b64 s[16:17], s[0:1]
; %bb.132:
	v_cmp_eq_u32_e64 s[0:1], 0, v3
	s_orn2_b64 s[14:15], s[0:1], exec
; %bb.133:
	s_or_b64 exec, exec, s[16:17]
	s_and_b64 exec, exec, s[14:15]
	s_cbranch_execz .LBB2405_136
; %bb.134:
	s_add_i32 s0, s8, 24
	s_cmp_gt_u32 s9, s0
	s_cselect_b64 s[14:15], -1, 0
	s_xor_b64 s[16:17], vcc, -1
	s_and_b64 s[14:15], s[14:15], s[16:17]
	s_and_b64 exec, exec, s[14:15]
	s_cbranch_execz .LBB2405_136
; %bb.135:
	s_sub_i32 s1, s9, s0
	s_min_u32 s1, s1, 8
	v_lshrrev_b32_e32 v2, s0, v2
	v_bfe_u32 v2, v2, 0, s1
	v_lshlrev_b32_e32 v3, 2, v10
	v_lshl_or_b32 v2, v2, 4, v3
	v_mov_b32_e32 v3, 1
	ds_add_u32 v2, v3 offset:12288
.LBB2405_136:
	s_or_b64 exec, exec, s[12:13]
	v_cmp_le_u32_e32 vcc, s11, v11
	v_xor_b32_e32 v2, 0x80000000, v9
	s_nor_b64 s[2:3], s[2:3], vcc
	v_mov_b32_e32 v3, s18
	s_and_saveexec_b64 s[0:1], s[2:3]
	s_cbranch_execz .LBB2405_138
; %bb.137:
	s_sub_i32 s2, s9, s8
	s_min_u32 s2, s2, 8
	v_lshrrev_b32_e32 v3, s8, v2
	v_bfe_u32 v3, v3, 0, s2
	v_lshlrev_b32_e32 v4, 2, v10
	v_lshl_or_b32 v3, v3, 4, v4
	v_mov_b32_e32 v4, 1
	ds_add_u32 v3, v4
	v_mov_b32_e32 v3, 0
.LBB2405_138:
	s_or_b64 exec, exec, s[0:1]
	v_cmp_gt_i32_e64 s[0:1], 10, v3
	s_mov_b64 s[12:13], -1
	s_and_saveexec_b64 s[2:3], s[0:1]
; %bb.139:
	v_cmp_eq_u32_e64 s[0:1], 0, v3
	s_orn2_b64 s[12:13], s[0:1], exec
; %bb.140:
	s_or_b64 exec, exec, s[2:3]
	s_and_saveexec_b64 s[2:3], s[12:13]
	s_cbranch_execz .LBB2405_153
; %bb.141:
	s_add_i32 s11, s8, 8
	s_cmp_le_u32 s9, s11
	s_cselect_b64 s[0:1], -1, 0
	s_and_b64 s[12:13], s[0:1], exec
	s_cselect_b32 s14, 8, 10
	s_nor_b64 s[12:13], s[0:1], vcc
	v_mov_b32_e32 v3, s14
	s_and_saveexec_b64 s[0:1], s[12:13]
	s_cbranch_execz .LBB2405_143
; %bb.142:
	s_sub_i32 s12, s9, s11
	s_min_u32 s12, s12, 8
	v_lshrrev_b32_e32 v3, s11, v2
	v_bfe_u32 v3, v3, 0, s12
	v_lshlrev_b32_e32 v4, 2, v10
	v_lshl_or_b32 v3, v3, 4, v4
	v_mov_b32_e32 v4, 1
	ds_add_u32 v3, v4 offset:4096
	v_mov_b32_e32 v3, 0
.LBB2405_143:
	s_or_b64 exec, exec, s[0:1]
	v_cmp_gt_i32_e64 s[0:1], 10, v3
	s_mov_b64 s[12:13], -1
	s_and_saveexec_b64 s[14:15], s[0:1]
; %bb.144:
	v_cmp_eq_u32_e64 s[0:1], 0, v3
	s_orn2_b64 s[12:13], s[0:1], exec
; %bb.145:
	s_or_b64 exec, exec, s[14:15]
	s_and_b64 exec, exec, s[12:13]
	s_cbranch_execz .LBB2405_153
; %bb.146:
	s_add_i32 s11, s8, 16
	s_cmp_le_u32 s9, s11
	s_cselect_b64 s[0:1], -1, 0
	s_and_b64 s[12:13], s[0:1], exec
	s_cselect_b32 s14, 8, 10
	s_nor_b64 s[12:13], s[0:1], vcc
	v_mov_b32_e32 v3, s14
	s_and_saveexec_b64 s[0:1], s[12:13]
	s_cbranch_execz .LBB2405_148
; %bb.147:
	s_sub_i32 s12, s9, s11
	s_min_u32 s12, s12, 8
	v_lshrrev_b32_e32 v3, s11, v2
	v_bfe_u32 v3, v3, 0, s12
	v_lshlrev_b32_e32 v4, 2, v10
	v_lshl_or_b32 v3, v3, 4, v4
	v_mov_b32_e32 v4, 1
	ds_add_u32 v3, v4 offset:8192
	v_mov_b32_e32 v3, 0
.LBB2405_148:
	s_or_b64 exec, exec, s[0:1]
	v_cmp_gt_i32_e64 s[0:1], 10, v3
	s_mov_b64 s[12:13], -1
	s_and_saveexec_b64 s[14:15], s[0:1]
; %bb.149:
	v_cmp_eq_u32_e64 s[0:1], 0, v3
	s_orn2_b64 s[12:13], s[0:1], exec
; %bb.150:
	s_or_b64 exec, exec, s[14:15]
	s_and_b64 exec, exec, s[12:13]
	s_cbranch_execz .LBB2405_153
; %bb.151:
	s_add_i32 s0, s8, 24
	s_cmp_gt_u32 s9, s0
	s_cselect_b64 s[12:13], -1, 0
	s_xor_b64 s[14:15], vcc, -1
	s_and_b64 s[12:13], s[12:13], s[14:15]
	s_and_b64 exec, exec, s[12:13]
	s_cbranch_execz .LBB2405_153
; %bb.152:
	s_sub_i32 s1, s9, s0
	s_min_u32 s1, s1, 8
	v_lshrrev_b32_e32 v2, s0, v2
	v_bfe_u32 v2, v2, 0, s1
	v_lshlrev_b32_e32 v3, 2, v10
	v_lshl_or_b32 v2, v2, 4, v3
	v_mov_b32_e32 v3, 1
	ds_add_u32 v2, v3 offset:12288
.LBB2405_153:
	s_or_b64 exec, exec, s[2:3]
	s_cmp_gt_u32 s9, s8
	s_waitcnt lgkmcnt(0)
	s_barrier
	s_cbranch_scc0 .LBB2405_158
; %bb.154:
	s_movk_i32 s0, 0x100
	v_cmp_gt_u32_e32 vcc, s0, v0
	v_mad_u32_u24 v1, v0, 12, v1
	v_mov_b32_e32 v3, 0
	v_mov_b32_e32 v2, v0
	s_mov_b32 s2, s8
	s_branch .LBB2405_156
.LBB2405_155:                           ;   in Loop: Header=BB2405_156 Depth=1
	s_or_b64 exec, exec, s[0:1]
	s_add_i32 s2, s2, 8
	v_add_u32_e32 v2, 0x100, v2
	s_cmp_lt_u32 s2, s9
	v_add_u32_e32 v1, 0x1000, v1
	s_cbranch_scc0 .LBB2405_158
.LBB2405_156:                           ; =>This Inner Loop Header: Depth=1
	s_and_saveexec_b64 s[0:1], vcc
	s_cbranch_execz .LBB2405_155
; %bb.157:                              ;   in Loop: Header=BB2405_156 Depth=1
	ds_read2_b32 v[4:5], v1 offset1:1
	ds_read2_b32 v[6:7], v1 offset0:2 offset1:3
	s_waitcnt lgkmcnt(1)
	v_add_u32_e32 v4, v5, v4
	s_waitcnt lgkmcnt(0)
	v_add3_u32 v6, v4, v6, v7
	v_lshl_add_u64 v[4:5], v[2:3], 2, s[6:7]
	global_atomic_add v[4:5], v6, off
	s_branch .LBB2405_155
.LBB2405_158:
	s_mov_b64 s[2:3], 0
.LBB2405_159:
	s_and_b64 vcc, exec, s[2:3]
	s_cbranch_vccz .LBB2405_219
; %bb.160:
	s_cmp_eq_u32 s8, 0
	s_cselect_b64 s[0:1], -1, 0
	s_cmp_eq_u32 s9, 32
	s_mov_b32 s11, 0
	s_cselect_b64 s[2:3], -1, 0
	s_and_b64 s[2:3], s[0:1], s[2:3]
	s_lshl_b64 s[0:1], s[10:11], 2
	s_add_u32 s0, s4, s0
	s_addc_u32 s1, s5, s1
	v_mov_b32_e32 v3, 0
	v_lshlrev_b32_e32 v2, 2, v0
	v_lshl_add_u64 v[4:5], s[0:1], 0, v[2:3]
	s_movk_i32 s4, 0x2000
	v_add_co_u32_e32 v14, vcc, s4, v4
	s_movk_i32 s4, 0x4000
	s_nop 0
	v_addc_co_u32_e32 v15, vcc, 0, v5, vcc
	v_add_co_u32_e32 v16, vcc, s4, v4
	s_movk_i32 s4, 0x5000
	s_nop 0
	v_addc_co_u32_e32 v17, vcc, 0, v5, vcc
	v_add_co_u32_e32 v18, vcc, s4, v4
	s_nop 1
	v_addc_co_u32_e32 v19, vcc, 0, v5, vcc
	v_add_co_u32_e32 v20, vcc, 0x6000, v4
	;; [unrolled: 3-line block ×3, first 2 shown]
	s_nop 1
	v_addc_co_u32_e32 v5, vcc, 0, v5, vcc
	global_load_dword v12, v2, s[0:1]
	global_load_dword v11, v[14:15], off offset:-4096
	global_load_dword v10, v[14:15], off
	global_load_dword v9, v[16:17], off offset:-4096
	global_load_dword v8, v[16:17], off
	global_load_dword v7, v[18:19], off
	;; [unrolled: 1-line block ×4, first 2 shown]
	s_mov_b64 s[0:1], -1
	s_and_b64 vcc, exec, s[2:3]
	s_cbranch_vccnz .LBB2405_216
; %bb.161:
	s_cmp_gt_u32 s9, s8
	s_cselect_b64 s[0:1], -1, 0
	s_and_b64 vcc, exec, s[0:1]
	ds_write2st64_b32 v2, v3, v3 offset1:16
	ds_write2st64_b32 v2, v3, v3 offset0:32 offset1:48
	s_waitcnt lgkmcnt(0)
	s_barrier
	s_cbranch_vccz .LBB2405_210
; %bb.162:
	s_sub_i32 s2, s9, s8
	s_waitcnt vmcnt(7)
	v_xor_b32_e32 v13, 0x80000000, v12
	s_min_u32 s2, s2, 8
	v_and_b32_e32 v3, 3, v0
	s_lshl_b32 s2, -1, s2
	v_lshrrev_b32_e32 v4, s8, v13
	v_bitop3_b32 v14, v4, s2, v4 bitop3:0x30
	v_lshlrev_b32_e32 v4, 2, v3
	v_lshl_or_b32 v14, v14, 4, v4
	v_mov_b32_e32 v15, 1
	s_not_b32 s13, s2
	ds_add_u32 v14, v15
	s_add_i32 s12, s8, 8
	s_waitcnt vmcnt(6)
	v_xor_b32_e32 v5, 0x80000000, v11
	s_cmp_le_u32 s9, s12
	s_cselect_b64 s[2:3], -1, 0
	v_lshrrev_b32_e32 v14, s8, v5
	s_and_b64 vcc, exec, s[2:3]
	v_and_b32_e32 v14, s13, v14
	s_cbranch_vccz .LBB2405_164
; %bb.163:
	v_lshlrev_b32_e32 v15, 4, v14
	s_mov_b64 s[4:5], -1
	s_cbranch_execz .LBB2405_165
	s_branch .LBB2405_172
.LBB2405_164:
	s_mov_b64 s[4:5], 0
                                        ; implicit-def: $vgpr15
.LBB2405_165:
	s_sub_i32 s10, s9, s12
	s_min_u32 s10, s10, 8
	s_lshl_b32 s10, -1, s10
	v_lshrrev_b32_e32 v15, s12, v13
	v_bitop3_b32 v15, v15, s10, v15 bitop3:0x30
	v_lshl_or_b32 v16, v15, 4, v4
	v_mov_b32_e32 v15, 1
	ds_add_u32 v16, v15 offset:4096
	s_not_b32 s15, s10
	s_add_i32 s14, s8, 16
	s_cmp_gt_u32 s9, s14
	s_cselect_b64 s[10:11], -1, 0
	s_cmp_le_u32 s9, s14
	s_cbranch_scc1 .LBB2405_168
; %bb.166:
	s_sub_i32 s16, s9, s14
	s_min_u32 s16, s16, 8
	v_lshrrev_b32_e32 v16, s14, v13
	v_bfe_u32 v16, v16, 0, s16
	v_lshl_or_b32 v16, v16, 4, v4
	ds_add_u32 v16, v15 offset:8192
	s_add_i32 s16, s8, 24
	s_cmp_le_u32 s9, s16
	s_cbranch_scc1 .LBB2405_168
; %bb.167:
	s_sub_i32 s17, s9, s16
	s_min_u32 s17, s17, 8
	v_lshrrev_b32_e32 v13, s16, v13
	v_bfe_u32 v13, v13, 0, s17
	v_lshl_or_b32 v13, v13, 4, v4
	v_mov_b32_e32 v16, 1
	ds_add_u32 v13, v16 offset:12288
.LBB2405_168:
	v_lshl_or_b32 v13, v14, 4, v4
	ds_add_u32 v13, v15
	v_lshrrev_b32_e32 v13, s12, v5
	v_and_b32_e32 v13, s15, v13
	v_lshl_or_b32 v13, v13, 4, v4
	ds_add_u32 v13, v15 offset:4096
	s_andn2_b64 vcc, exec, s[10:11]
	s_cbranch_vccnz .LBB2405_171
; %bb.169:
	s_sub_i32 s10, s9, s14
	s_min_u32 s10, s10, 8
	v_lshrrev_b32_e32 v13, s14, v5
	v_bfe_u32 v13, v13, 0, s10
	v_lshl_or_b32 v13, v13, 4, v4
	v_mov_b32_e32 v14, 1
	ds_add_u32 v13, v14 offset:8192
	s_add_i32 s10, s8, 24
	s_cmp_gt_u32 s9, s10
                                        ; implicit-def: $vgpr15
	s_cbranch_scc0 .LBB2405_172
; %bb.170:
	s_sub_i32 s4, s9, s10
	s_min_u32 s4, s4, 8
	v_lshrrev_b32_e32 v5, s10, v5
	v_bfe_u32 v5, v5, 0, s4
	v_mov_b32_e32 v13, 0x3000
	v_lshl_add_u32 v15, v5, 4, v13
	s_mov_b64 s[4:5], -1
	s_branch .LBB2405_172
.LBB2405_171:
                                        ; implicit-def: $vgpr15
.LBB2405_172:
	s_and_b64 vcc, exec, s[4:5]
	s_cbranch_vccz .LBB2405_174
; %bb.173:
	v_lshl_add_u32 v5, v3, 2, v15
	v_mov_b32_e32 v13, 1
	ds_add_u32 v5, v13
.LBB2405_174:
	s_waitcnt vmcnt(5)
	v_xor_b32_e32 v13, 0x80000000, v10
	v_lshrrev_b32_e32 v14, s8, v13
	v_and_b32_e32 v14, s13, v14
	v_lshl_or_b32 v14, v14, 4, v4
	v_mov_b32_e32 v15, 1
	ds_add_u32 v14, v15
	s_waitcnt vmcnt(4)
	v_xor_b32_e32 v5, 0x80000000, v9
	v_lshrrev_b32_e32 v14, s8, v5
	s_and_b64 vcc, exec, s[2:3]
	v_and_b32_e32 v14, s13, v14
	s_cbranch_vccz .LBB2405_176
; %bb.175:
	v_lshlrev_b32_e32 v15, 4, v14
	s_mov_b64 s[4:5], -1
	s_cbranch_execz .LBB2405_177
	s_branch .LBB2405_184
.LBB2405_176:
	s_mov_b64 s[4:5], 0
                                        ; implicit-def: $vgpr15
.LBB2405_177:
	s_sub_i32 s10, s9, s12
	s_min_u32 s10, s10, 8
	s_lshl_b32 s10, -1, s10
	v_lshrrev_b32_e32 v15, s12, v13
	v_bitop3_b32 v15, v15, s10, v15 bitop3:0x30
	v_lshl_or_b32 v16, v15, 4, v4
	v_mov_b32_e32 v15, 1
	ds_add_u32 v16, v15 offset:4096
	s_not_b32 s15, s10
	s_add_i32 s14, s8, 16
	s_cmp_gt_u32 s9, s14
	s_cselect_b64 s[10:11], -1, 0
	s_cmp_le_u32 s9, s14
	s_cbranch_scc1 .LBB2405_180
; %bb.178:
	s_sub_i32 s16, s9, s14
	s_min_u32 s16, s16, 8
	v_lshrrev_b32_e32 v16, s14, v13
	v_bfe_u32 v16, v16, 0, s16
	v_lshl_or_b32 v16, v16, 4, v4
	ds_add_u32 v16, v15 offset:8192
	s_add_i32 s16, s8, 24
	s_cmp_le_u32 s9, s16
	s_cbranch_scc1 .LBB2405_180
; %bb.179:
	s_sub_i32 s17, s9, s16
	s_min_u32 s17, s17, 8
	v_lshrrev_b32_e32 v13, s16, v13
	v_bfe_u32 v13, v13, 0, s17
	v_lshl_or_b32 v13, v13, 4, v4
	v_mov_b32_e32 v16, 1
	ds_add_u32 v13, v16 offset:12288
.LBB2405_180:
	v_lshl_or_b32 v13, v14, 4, v4
	ds_add_u32 v13, v15
	v_lshrrev_b32_e32 v13, s12, v5
	v_and_b32_e32 v13, s15, v13
	v_lshl_or_b32 v13, v13, 4, v4
	ds_add_u32 v13, v15 offset:4096
	s_andn2_b64 vcc, exec, s[10:11]
	s_cbranch_vccnz .LBB2405_183
; %bb.181:
	s_sub_i32 s10, s9, s14
	s_min_u32 s10, s10, 8
	v_lshrrev_b32_e32 v13, s14, v5
	v_bfe_u32 v13, v13, 0, s10
	v_lshl_or_b32 v13, v13, 4, v4
	v_mov_b32_e32 v14, 1
	ds_add_u32 v13, v14 offset:8192
	s_add_i32 s10, s8, 24
	s_cmp_gt_u32 s9, s10
                                        ; implicit-def: $vgpr15
	s_cbranch_scc0 .LBB2405_184
; %bb.182:
	s_sub_i32 s4, s9, s10
	s_min_u32 s4, s4, 8
	v_lshrrev_b32_e32 v5, s10, v5
	v_bfe_u32 v5, v5, 0, s4
	v_mov_b32_e32 v13, 0x3000
	v_lshl_add_u32 v15, v5, 4, v13
	s_mov_b64 s[4:5], -1
	s_branch .LBB2405_184
.LBB2405_183:
                                        ; implicit-def: $vgpr15
.LBB2405_184:
	s_and_b64 vcc, exec, s[4:5]
	s_cbranch_vccz .LBB2405_186
; %bb.185:
	v_lshl_add_u32 v5, v3, 2, v15
	v_mov_b32_e32 v13, 1
	ds_add_u32 v5, v13
.LBB2405_186:
	s_waitcnt vmcnt(3)
	v_xor_b32_e32 v13, 0x80000000, v8
	v_lshrrev_b32_e32 v14, s8, v13
	v_and_b32_e32 v14, s13, v14
	v_lshl_or_b32 v14, v14, 4, v4
	v_mov_b32_e32 v15, 1
	ds_add_u32 v14, v15
	s_waitcnt vmcnt(2)
	v_xor_b32_e32 v5, 0x80000000, v7
	v_lshrrev_b32_e32 v14, s8, v5
	s_and_b64 vcc, exec, s[2:3]
	v_and_b32_e32 v14, s13, v14
	s_cbranch_vccz .LBB2405_188
; %bb.187:
	v_lshlrev_b32_e32 v15, 4, v14
	s_mov_b64 s[4:5], -1
	s_cbranch_execz .LBB2405_189
	s_branch .LBB2405_196
.LBB2405_188:
	s_mov_b64 s[4:5], 0
                                        ; implicit-def: $vgpr15
.LBB2405_189:
	s_sub_i32 s10, s9, s12
	s_min_u32 s10, s10, 8
	s_lshl_b32 s10, -1, s10
	v_lshrrev_b32_e32 v15, s12, v13
	v_bitop3_b32 v15, v15, s10, v15 bitop3:0x30
	v_lshl_or_b32 v16, v15, 4, v4
	v_mov_b32_e32 v15, 1
	ds_add_u32 v16, v15 offset:4096
	s_not_b32 s15, s10
	s_add_i32 s14, s8, 16
	s_cmp_gt_u32 s9, s14
	s_cselect_b64 s[10:11], -1, 0
	s_cmp_le_u32 s9, s14
	s_cbranch_scc1 .LBB2405_192
; %bb.190:
	s_sub_i32 s16, s9, s14
	s_min_u32 s16, s16, 8
	v_lshrrev_b32_e32 v16, s14, v13
	v_bfe_u32 v16, v16, 0, s16
	v_lshl_or_b32 v16, v16, 4, v4
	ds_add_u32 v16, v15 offset:8192
	s_add_i32 s16, s8, 24
	s_cmp_le_u32 s9, s16
	s_cbranch_scc1 .LBB2405_192
; %bb.191:
	s_sub_i32 s17, s9, s16
	s_min_u32 s17, s17, 8
	v_lshrrev_b32_e32 v13, s16, v13
	v_bfe_u32 v13, v13, 0, s17
	v_lshl_or_b32 v13, v13, 4, v4
	v_mov_b32_e32 v16, 1
	ds_add_u32 v13, v16 offset:12288
.LBB2405_192:
	v_lshl_or_b32 v13, v14, 4, v4
	ds_add_u32 v13, v15
	v_lshrrev_b32_e32 v13, s12, v5
	v_and_b32_e32 v13, s15, v13
	v_lshl_or_b32 v13, v13, 4, v4
	ds_add_u32 v13, v15 offset:4096
	s_andn2_b64 vcc, exec, s[10:11]
	s_cbranch_vccnz .LBB2405_195
; %bb.193:
	s_sub_i32 s10, s9, s14
	s_min_u32 s10, s10, 8
	v_lshrrev_b32_e32 v13, s14, v5
	v_bfe_u32 v13, v13, 0, s10
	v_lshl_or_b32 v13, v13, 4, v4
	v_mov_b32_e32 v14, 1
	ds_add_u32 v13, v14 offset:8192
	s_add_i32 s10, s8, 24
	s_cmp_gt_u32 s9, s10
                                        ; implicit-def: $vgpr15
	s_cbranch_scc0 .LBB2405_196
; %bb.194:
	s_sub_i32 s4, s9, s10
	s_min_u32 s4, s4, 8
	v_lshrrev_b32_e32 v5, s10, v5
	v_bfe_u32 v5, v5, 0, s4
	v_mov_b32_e32 v13, 0x3000
	v_lshl_add_u32 v15, v5, 4, v13
	s_mov_b64 s[4:5], -1
	s_branch .LBB2405_196
.LBB2405_195:
                                        ; implicit-def: $vgpr15
.LBB2405_196:
	s_and_b64 vcc, exec, s[4:5]
	s_cbranch_vccz .LBB2405_198
; %bb.197:
	v_lshl_add_u32 v5, v3, 2, v15
	v_mov_b32_e32 v13, 1
	ds_add_u32 v5, v13
.LBB2405_198:
	s_waitcnt vmcnt(1)
	v_xor_b32_e32 v13, 0x80000000, v6
	v_lshrrev_b32_e32 v14, s8, v13
	v_and_b32_e32 v14, s13, v14
	v_lshl_or_b32 v14, v14, 4, v4
	v_mov_b32_e32 v15, 1
	ds_add_u32 v14, v15
	s_waitcnt vmcnt(0)
	v_xor_b32_e32 v5, 0x80000000, v1
	v_lshrrev_b32_e32 v14, s8, v5
	s_and_b64 vcc, exec, s[2:3]
	v_and_b32_e32 v14, s13, v14
	s_cbranch_vccz .LBB2405_200
; %bb.199:
	v_lshlrev_b32_e32 v15, 4, v14
	s_mov_b64 s[2:3], -1
	s_cbranch_execz .LBB2405_201
	s_branch .LBB2405_208
.LBB2405_200:
	s_mov_b64 s[2:3], 0
                                        ; implicit-def: $vgpr15
.LBB2405_201:
	s_sub_i32 s4, s9, s12
	s_min_u32 s4, s4, 8
	s_lshl_b32 s4, -1, s4
	v_lshrrev_b32_e32 v15, s12, v13
	v_bitop3_b32 v15, v15, s4, v15 bitop3:0x30
	v_lshl_or_b32 v16, v15, 4, v4
	v_mov_b32_e32 v15, 1
	ds_add_u32 v16, v15 offset:4096
	s_not_b32 s11, s4
	s_add_i32 s10, s8, 16
	s_cmp_gt_u32 s9, s10
	s_cselect_b64 s[4:5], -1, 0
	s_cmp_le_u32 s9, s10
	s_cbranch_scc1 .LBB2405_204
; %bb.202:
	s_sub_i32 s13, s9, s10
	s_min_u32 s13, s13, 8
	v_lshrrev_b32_e32 v16, s10, v13
	v_bfe_u32 v16, v16, 0, s13
	v_lshl_or_b32 v16, v16, 4, v4
	ds_add_u32 v16, v15 offset:8192
	s_add_i32 s13, s8, 24
	s_cmp_le_u32 s9, s13
	s_cbranch_scc1 .LBB2405_204
; %bb.203:
	s_sub_i32 s14, s9, s13
	s_min_u32 s14, s14, 8
	v_lshrrev_b32_e32 v13, s13, v13
	v_bfe_u32 v13, v13, 0, s14
	v_lshl_or_b32 v13, v13, 4, v4
	v_mov_b32_e32 v16, 1
	ds_add_u32 v13, v16 offset:12288
.LBB2405_204:
	v_lshl_or_b32 v13, v14, 4, v4
	ds_add_u32 v13, v15
	v_lshrrev_b32_e32 v13, s12, v5
	v_and_b32_e32 v13, s11, v13
	v_lshl_or_b32 v13, v13, 4, v4
	ds_add_u32 v13, v15 offset:4096
	s_andn2_b64 vcc, exec, s[4:5]
	s_cbranch_vccnz .LBB2405_207
; %bb.205:
	s_sub_i32 s4, s9, s10
	s_min_u32 s4, s4, 8
	v_lshrrev_b32_e32 v13, s10, v5
	v_bfe_u32 v13, v13, 0, s4
	v_lshl_or_b32 v4, v13, 4, v4
	v_mov_b32_e32 v13, 1
	ds_add_u32 v4, v13 offset:8192
	s_add_i32 s4, s8, 24
	s_cmp_gt_u32 s9, s4
                                        ; implicit-def: $vgpr15
	s_cbranch_scc0 .LBB2405_208
; %bb.206:
	s_sub_i32 s2, s9, s4
	s_min_u32 s2, s2, 8
	v_lshrrev_b32_e32 v4, s4, v5
	v_bfe_u32 v4, v4, 0, s2
	v_mov_b32_e32 v5, 0x3000
	v_lshl_add_u32 v15, v4, 4, v5
	s_mov_b64 s[2:3], -1
	s_branch .LBB2405_208
.LBB2405_207:
                                        ; implicit-def: $vgpr15
.LBB2405_208:
	s_and_b64 vcc, exec, s[2:3]
	s_cbranch_vccz .LBB2405_210
; %bb.209:
	v_lshl_add_u32 v3, v3, 2, v15
	v_mov_b32_e32 v4, 1
	ds_add_u32 v3, v4
.LBB2405_210:
	s_and_b64 vcc, exec, s[0:1]
	s_waitcnt lgkmcnt(0)
	s_barrier
	s_cbranch_vccz .LBB2405_215
; %bb.211:
	s_movk_i32 s0, 0x100
	v_cmp_gt_u32_e32 vcc, s0, v0
	v_lshlrev_b32_e32 v3, 4, v0
	v_mov_b32_e32 v5, 0
	v_mov_b32_e32 v4, v0
	s_branch .LBB2405_213
.LBB2405_212:                           ;   in Loop: Header=BB2405_213 Depth=1
	s_or_b64 exec, exec, s[0:1]
	s_add_i32 s8, s8, 8
	v_add_u32_e32 v4, 0x100, v4
	s_cmp_ge_u32 s8, s9
	v_add_u32_e32 v3, 0x1000, v3
	s_cbranch_scc1 .LBB2405_215
.LBB2405_213:                           ; =>This Inner Loop Header: Depth=1
	s_and_saveexec_b64 s[0:1], vcc
	s_cbranch_execz .LBB2405_212
; %bb.214:                              ;   in Loop: Header=BB2405_213 Depth=1
	ds_read2_b32 v[14:15], v3 offset1:1
	ds_read2_b32 v[16:17], v3 offset0:2 offset1:3
	s_waitcnt lgkmcnt(1)
	v_add_u32_e32 v13, v15, v14
	s_waitcnt lgkmcnt(0)
	v_add3_u32 v13, v13, v16, v17
	v_lshl_add_u64 v[14:15], v[4:5], 2, s[6:7]
	global_atomic_add v[14:15], v13, off
	s_branch .LBB2405_212
.LBB2405_215:
	s_mov_b64 s[0:1], 0
.LBB2405_216:
	s_and_b64 vcc, exec, s[0:1]
	s_cbranch_vccz .LBB2405_219
; %bb.217:
	v_mov_b32_e32 v3, 0
	ds_write2st64_b32 v2, v3, v3 offset1:16
	ds_write2st64_b32 v2, v3, v3 offset0:32 offset1:48
	v_and_b32_e32 v3, 3, v0
	s_waitcnt vmcnt(7)
	v_lshlrev_b32_e32 v4, 4, v12
	v_lshlrev_b32_e32 v3, 2, v3
	s_movk_i32 s0, 0xff0
	v_and_or_b32 v4, v4, s0, v3
	v_mov_b32_e32 v5, 1
	s_waitcnt lgkmcnt(0)
	s_barrier
	ds_add_u32 v4, v5
	v_bfe_u32 v4, v12, 8, 8
	v_lshl_or_b32 v4, v4, 4, v3
	ds_add_u32 v4, v5 offset:4096
	v_bfe_u32 v4, v12, 16, 8
	v_lshl_or_b32 v4, v4, 4, v3
	ds_add_u32 v4, v5 offset:8192
	v_mov_b32_e32 v4, 2
	v_lshlrev_b32_sdwa v12, v4, v12 dst_sel:DWORD dst_unused:UNUSED_PAD src0_sel:DWORD src1_sel:BYTE_3
	v_xor_b32_e32 v12, 0x200, v12
	v_lshl_or_b32 v12, v12, 2, v3
	ds_add_u32 v12, v5 offset:12288
	s_waitcnt vmcnt(6)
	v_lshlrev_b32_e32 v12, 4, v11
	v_and_or_b32 v12, v12, s0, v3
	ds_add_u32 v12, v5
	v_bfe_u32 v12, v11, 8, 8
	v_lshl_or_b32 v12, v12, 4, v3
	ds_add_u32 v12, v5 offset:4096
	v_bfe_u32 v12, v11, 16, 8
	v_lshlrev_b32_sdwa v11, v4, v11 dst_sel:DWORD dst_unused:UNUSED_PAD src0_sel:DWORD src1_sel:BYTE_3
	v_lshl_or_b32 v12, v12, 4, v3
	v_xor_b32_e32 v11, 0x200, v11
	ds_add_u32 v12, v5 offset:8192
	v_lshl_or_b32 v11, v11, 2, v3
	ds_add_u32 v11, v5 offset:12288
	s_waitcnt vmcnt(5)
	v_lshlrev_b32_e32 v11, 4, v10
	v_and_or_b32 v11, v11, s0, v3
	ds_add_u32 v11, v5
	v_bfe_u32 v11, v10, 8, 8
	v_lshl_or_b32 v11, v11, 4, v3
	ds_add_u32 v11, v5 offset:4096
	v_bfe_u32 v11, v10, 16, 8
	v_lshlrev_b32_sdwa v10, v4, v10 dst_sel:DWORD dst_unused:UNUSED_PAD src0_sel:DWORD src1_sel:BYTE_3
	v_lshl_or_b32 v11, v11, 4, v3
	v_xor_b32_e32 v10, 0x200, v10
	ds_add_u32 v11, v5 offset:8192
	v_lshl_or_b32 v10, v10, 2, v3
	ds_add_u32 v10, v5 offset:12288
	s_waitcnt vmcnt(4)
	v_lshlrev_b32_e32 v10, 4, v9
	v_and_or_b32 v10, v10, s0, v3
	ds_add_u32 v10, v5
	v_bfe_u32 v10, v9, 8, 8
	v_lshl_or_b32 v10, v10, 4, v3
	ds_add_u32 v10, v5 offset:4096
	v_bfe_u32 v10, v9, 16, 8
	v_lshlrev_b32_sdwa v9, v4, v9 dst_sel:DWORD dst_unused:UNUSED_PAD src0_sel:DWORD src1_sel:BYTE_3
	v_lshl_or_b32 v10, v10, 4, v3
	v_xor_b32_e32 v9, 0x200, v9
	ds_add_u32 v10, v5 offset:8192
	v_lshl_or_b32 v9, v9, 2, v3
	ds_add_u32 v9, v5 offset:12288
	s_waitcnt vmcnt(3)
	v_lshlrev_b32_e32 v9, 4, v8
	v_and_or_b32 v9, v9, s0, v3
	ds_add_u32 v9, v5
	v_bfe_u32 v9, v8, 8, 8
	v_lshl_or_b32 v9, v9, 4, v3
	ds_add_u32 v9, v5 offset:4096
	v_bfe_u32 v9, v8, 16, 8
	v_lshlrev_b32_sdwa v8, v4, v8 dst_sel:DWORD dst_unused:UNUSED_PAD src0_sel:DWORD src1_sel:BYTE_3
	v_lshl_or_b32 v9, v9, 4, v3
	v_xor_b32_e32 v8, 0x200, v8
	ds_add_u32 v9, v5 offset:8192
	v_lshl_or_b32 v8, v8, 2, v3
	ds_add_u32 v8, v5 offset:12288
	s_waitcnt vmcnt(2)
	v_lshlrev_b32_e32 v8, 4, v7
	v_and_or_b32 v8, v8, s0, v3
	ds_add_u32 v8, v5
	v_bfe_u32 v8, v7, 8, 8
	v_lshl_or_b32 v8, v8, 4, v3
	ds_add_u32 v8, v5 offset:4096
	v_bfe_u32 v8, v7, 16, 8
	v_lshlrev_b32_sdwa v7, v4, v7 dst_sel:DWORD dst_unused:UNUSED_PAD src0_sel:DWORD src1_sel:BYTE_3
	v_lshl_or_b32 v8, v8, 4, v3
	v_xor_b32_e32 v7, 0x200, v7
	ds_add_u32 v8, v5 offset:8192
	v_lshl_or_b32 v7, v7, 2, v3
	ds_add_u32 v7, v5 offset:12288
	s_waitcnt vmcnt(1)
	v_lshlrev_b32_e32 v7, 4, v6
	v_and_or_b32 v7, v7, s0, v3
	ds_add_u32 v7, v5
	v_bfe_u32 v7, v6, 8, 8
	v_lshl_or_b32 v7, v7, 4, v3
	ds_add_u32 v7, v5 offset:4096
	v_bfe_u32 v7, v6, 16, 8
	v_lshlrev_b32_sdwa v6, v4, v6 dst_sel:DWORD dst_unused:UNUSED_PAD src0_sel:DWORD src1_sel:BYTE_3
	v_lshl_or_b32 v7, v7, 4, v3
	v_xor_b32_e32 v6, 0x200, v6
	ds_add_u32 v7, v5 offset:8192
	v_lshl_or_b32 v6, v6, 2, v3
	ds_add_u32 v6, v5 offset:12288
	s_waitcnt vmcnt(0)
	v_lshlrev_b32_e32 v6, 4, v1
	v_and_or_b32 v6, v6, s0, v3
	ds_add_u32 v6, v5
	v_bfe_u32 v6, v1, 8, 8
	v_lshl_or_b32 v6, v6, 4, v3
	ds_add_u32 v6, v5 offset:4096
	v_bfe_u32 v6, v1, 16, 8
	v_lshlrev_b32_sdwa v1, v4, v1 dst_sel:DWORD dst_unused:UNUSED_PAD src0_sel:DWORD src1_sel:BYTE_3
	v_lshl_or_b32 v6, v6, 4, v3
	v_xor_b32_e32 v1, 0x200, v1
	ds_add_u32 v6, v5 offset:8192
	v_lshl_or_b32 v1, v1, 2, v3
	ds_add_u32 v1, v5 offset:12288
	s_movk_i32 s0, 0x100
	v_cmp_gt_u32_e32 vcc, s0, v0
	s_waitcnt lgkmcnt(0)
	s_barrier
	s_and_saveexec_b64 s[0:1], vcc
	s_cbranch_execz .LBB2405_219
; %bb.218:
	v_lshlrev_b32_e32 v3, 4, v0
	ds_read2_b32 v[0:1], v3 offset1:1
	ds_read2_b32 v[4:5], v3 offset0:2 offset1:3
	v_add_u32_e32 v6, 0x1000, v3
	v_add_u32_e32 v7, 0x1008, v3
	s_waitcnt lgkmcnt(1)
	v_add_u32_e32 v0, v1, v0
	s_waitcnt lgkmcnt(0)
	v_add3_u32 v0, v0, v4, v5
	global_atomic_add v2, v0, s[6:7]
	ds_read2_b32 v[0:1], v6 offset1:1
	ds_read2_b32 v[4:5], v7 offset1:1
	v_add_u32_e32 v6, 0x2000, v3
	v_add_u32_e32 v7, 0x2008, v3
	s_waitcnt lgkmcnt(1)
	v_add_u32_e32 v0, v1, v0
	s_waitcnt lgkmcnt(0)
	v_add3_u32 v0, v0, v4, v5
	global_atomic_add v2, v0, s[6:7] offset:1024
	ds_read2_b32 v[0:1], v6 offset1:1
	ds_read2_b32 v[4:5], v7 offset1:1
	v_add_u32_e32 v6, 0x3000, v3
	v_add_u32_e32 v3, 0x3008, v3
	s_waitcnt lgkmcnt(1)
	v_add_u32_e32 v0, v1, v0
	s_waitcnt lgkmcnt(0)
	v_add3_u32 v0, v0, v4, v5
	global_atomic_add v2, v0, s[6:7] offset:2048
	ds_read2_b32 v[0:1], v6 offset1:1
	ds_read2_b32 v[4:5], v3 offset1:1
	s_waitcnt lgkmcnt(1)
	v_add_u32_e32 v0, v1, v0
	s_waitcnt lgkmcnt(0)
	v_add3_u32 v0, v0, v4, v5
	global_atomic_add v2, v0, s[6:7] offset:3072
.LBB2405_219:
	s_endpgm
	.section	.rodata,"a",@progbits
	.p2align	6, 0x0
	.amdhsa_kernel _ZN7rocprim17ROCPRIM_400000_NS6detail17trampoline_kernelINS0_14default_configENS1_35radix_sort_onesweep_config_selectorIisEEZNS1_34radix_sort_onesweep_global_offsetsIS3_Lb0EN6thrust23THRUST_200600_302600_NS10device_ptrIiEENS9_IsEEjNS0_19identity_decomposerEEE10hipError_tT1_T2_PT3_SG_jT4_jjP12ihipStream_tbEUlT_E_NS1_11comp_targetILNS1_3genE6ELNS1_11target_archE950ELNS1_3gpuE13ELNS1_3repE0EEENS1_52radix_sort_onesweep_histogram_config_static_selectorELNS0_4arch9wavefront6targetE1EEEvSE_
		.amdhsa_group_segment_fixed_size 16384
		.amdhsa_private_segment_fixed_size 0
		.amdhsa_kernarg_size 40
		.amdhsa_user_sgpr_count 2
		.amdhsa_user_sgpr_dispatch_ptr 0
		.amdhsa_user_sgpr_queue_ptr 0
		.amdhsa_user_sgpr_kernarg_segment_ptr 1
		.amdhsa_user_sgpr_dispatch_id 0
		.amdhsa_user_sgpr_kernarg_preload_length 0
		.amdhsa_user_sgpr_kernarg_preload_offset 0
		.amdhsa_user_sgpr_private_segment_size 0
		.amdhsa_uses_dynamic_stack 0
		.amdhsa_enable_private_segment 0
		.amdhsa_system_sgpr_workgroup_id_x 1
		.amdhsa_system_sgpr_workgroup_id_y 0
		.amdhsa_system_sgpr_workgroup_id_z 0
		.amdhsa_system_sgpr_workgroup_info 0
		.amdhsa_system_vgpr_workitem_id 0
		.amdhsa_next_free_vgpr 22
		.amdhsa_next_free_sgpr 19
		.amdhsa_accum_offset 24
		.amdhsa_reserve_vcc 1
		.amdhsa_float_round_mode_32 0
		.amdhsa_float_round_mode_16_64 0
		.amdhsa_float_denorm_mode_32 3
		.amdhsa_float_denorm_mode_16_64 3
		.amdhsa_dx10_clamp 1
		.amdhsa_ieee_mode 1
		.amdhsa_fp16_overflow 0
		.amdhsa_tg_split 0
		.amdhsa_exception_fp_ieee_invalid_op 0
		.amdhsa_exception_fp_denorm_src 0
		.amdhsa_exception_fp_ieee_div_zero 0
		.amdhsa_exception_fp_ieee_overflow 0
		.amdhsa_exception_fp_ieee_underflow 0
		.amdhsa_exception_fp_ieee_inexact 0
		.amdhsa_exception_int_div_zero 0
	.end_amdhsa_kernel
	.section	.text._ZN7rocprim17ROCPRIM_400000_NS6detail17trampoline_kernelINS0_14default_configENS1_35radix_sort_onesweep_config_selectorIisEEZNS1_34radix_sort_onesweep_global_offsetsIS3_Lb0EN6thrust23THRUST_200600_302600_NS10device_ptrIiEENS9_IsEEjNS0_19identity_decomposerEEE10hipError_tT1_T2_PT3_SG_jT4_jjP12ihipStream_tbEUlT_E_NS1_11comp_targetILNS1_3genE6ELNS1_11target_archE950ELNS1_3gpuE13ELNS1_3repE0EEENS1_52radix_sort_onesweep_histogram_config_static_selectorELNS0_4arch9wavefront6targetE1EEEvSE_,"axG",@progbits,_ZN7rocprim17ROCPRIM_400000_NS6detail17trampoline_kernelINS0_14default_configENS1_35radix_sort_onesweep_config_selectorIisEEZNS1_34radix_sort_onesweep_global_offsetsIS3_Lb0EN6thrust23THRUST_200600_302600_NS10device_ptrIiEENS9_IsEEjNS0_19identity_decomposerEEE10hipError_tT1_T2_PT3_SG_jT4_jjP12ihipStream_tbEUlT_E_NS1_11comp_targetILNS1_3genE6ELNS1_11target_archE950ELNS1_3gpuE13ELNS1_3repE0EEENS1_52radix_sort_onesweep_histogram_config_static_selectorELNS0_4arch9wavefront6targetE1EEEvSE_,comdat
.Lfunc_end2405:
	.size	_ZN7rocprim17ROCPRIM_400000_NS6detail17trampoline_kernelINS0_14default_configENS1_35radix_sort_onesweep_config_selectorIisEEZNS1_34radix_sort_onesweep_global_offsetsIS3_Lb0EN6thrust23THRUST_200600_302600_NS10device_ptrIiEENS9_IsEEjNS0_19identity_decomposerEEE10hipError_tT1_T2_PT3_SG_jT4_jjP12ihipStream_tbEUlT_E_NS1_11comp_targetILNS1_3genE6ELNS1_11target_archE950ELNS1_3gpuE13ELNS1_3repE0EEENS1_52radix_sort_onesweep_histogram_config_static_selectorELNS0_4arch9wavefront6targetE1EEEvSE_, .Lfunc_end2405-_ZN7rocprim17ROCPRIM_400000_NS6detail17trampoline_kernelINS0_14default_configENS1_35radix_sort_onesweep_config_selectorIisEEZNS1_34radix_sort_onesweep_global_offsetsIS3_Lb0EN6thrust23THRUST_200600_302600_NS10device_ptrIiEENS9_IsEEjNS0_19identity_decomposerEEE10hipError_tT1_T2_PT3_SG_jT4_jjP12ihipStream_tbEUlT_E_NS1_11comp_targetILNS1_3genE6ELNS1_11target_archE950ELNS1_3gpuE13ELNS1_3repE0EEENS1_52radix_sort_onesweep_histogram_config_static_selectorELNS0_4arch9wavefront6targetE1EEEvSE_
                                        ; -- End function
	.set _ZN7rocprim17ROCPRIM_400000_NS6detail17trampoline_kernelINS0_14default_configENS1_35radix_sort_onesweep_config_selectorIisEEZNS1_34radix_sort_onesweep_global_offsetsIS3_Lb0EN6thrust23THRUST_200600_302600_NS10device_ptrIiEENS9_IsEEjNS0_19identity_decomposerEEE10hipError_tT1_T2_PT3_SG_jT4_jjP12ihipStream_tbEUlT_E_NS1_11comp_targetILNS1_3genE6ELNS1_11target_archE950ELNS1_3gpuE13ELNS1_3repE0EEENS1_52radix_sort_onesweep_histogram_config_static_selectorELNS0_4arch9wavefront6targetE1EEEvSE_.num_vgpr, 22
	.set _ZN7rocprim17ROCPRIM_400000_NS6detail17trampoline_kernelINS0_14default_configENS1_35radix_sort_onesweep_config_selectorIisEEZNS1_34radix_sort_onesweep_global_offsetsIS3_Lb0EN6thrust23THRUST_200600_302600_NS10device_ptrIiEENS9_IsEEjNS0_19identity_decomposerEEE10hipError_tT1_T2_PT3_SG_jT4_jjP12ihipStream_tbEUlT_E_NS1_11comp_targetILNS1_3genE6ELNS1_11target_archE950ELNS1_3gpuE13ELNS1_3repE0EEENS1_52radix_sort_onesweep_histogram_config_static_selectorELNS0_4arch9wavefront6targetE1EEEvSE_.num_agpr, 0
	.set _ZN7rocprim17ROCPRIM_400000_NS6detail17trampoline_kernelINS0_14default_configENS1_35radix_sort_onesweep_config_selectorIisEEZNS1_34radix_sort_onesweep_global_offsetsIS3_Lb0EN6thrust23THRUST_200600_302600_NS10device_ptrIiEENS9_IsEEjNS0_19identity_decomposerEEE10hipError_tT1_T2_PT3_SG_jT4_jjP12ihipStream_tbEUlT_E_NS1_11comp_targetILNS1_3genE6ELNS1_11target_archE950ELNS1_3gpuE13ELNS1_3repE0EEENS1_52radix_sort_onesweep_histogram_config_static_selectorELNS0_4arch9wavefront6targetE1EEEvSE_.numbered_sgpr, 19
	.set _ZN7rocprim17ROCPRIM_400000_NS6detail17trampoline_kernelINS0_14default_configENS1_35radix_sort_onesweep_config_selectorIisEEZNS1_34radix_sort_onesweep_global_offsetsIS3_Lb0EN6thrust23THRUST_200600_302600_NS10device_ptrIiEENS9_IsEEjNS0_19identity_decomposerEEE10hipError_tT1_T2_PT3_SG_jT4_jjP12ihipStream_tbEUlT_E_NS1_11comp_targetILNS1_3genE6ELNS1_11target_archE950ELNS1_3gpuE13ELNS1_3repE0EEENS1_52radix_sort_onesweep_histogram_config_static_selectorELNS0_4arch9wavefront6targetE1EEEvSE_.num_named_barrier, 0
	.set _ZN7rocprim17ROCPRIM_400000_NS6detail17trampoline_kernelINS0_14default_configENS1_35radix_sort_onesweep_config_selectorIisEEZNS1_34radix_sort_onesweep_global_offsetsIS3_Lb0EN6thrust23THRUST_200600_302600_NS10device_ptrIiEENS9_IsEEjNS0_19identity_decomposerEEE10hipError_tT1_T2_PT3_SG_jT4_jjP12ihipStream_tbEUlT_E_NS1_11comp_targetILNS1_3genE6ELNS1_11target_archE950ELNS1_3gpuE13ELNS1_3repE0EEENS1_52radix_sort_onesweep_histogram_config_static_selectorELNS0_4arch9wavefront6targetE1EEEvSE_.private_seg_size, 0
	.set _ZN7rocprim17ROCPRIM_400000_NS6detail17trampoline_kernelINS0_14default_configENS1_35radix_sort_onesweep_config_selectorIisEEZNS1_34radix_sort_onesweep_global_offsetsIS3_Lb0EN6thrust23THRUST_200600_302600_NS10device_ptrIiEENS9_IsEEjNS0_19identity_decomposerEEE10hipError_tT1_T2_PT3_SG_jT4_jjP12ihipStream_tbEUlT_E_NS1_11comp_targetILNS1_3genE6ELNS1_11target_archE950ELNS1_3gpuE13ELNS1_3repE0EEENS1_52radix_sort_onesweep_histogram_config_static_selectorELNS0_4arch9wavefront6targetE1EEEvSE_.uses_vcc, 1
	.set _ZN7rocprim17ROCPRIM_400000_NS6detail17trampoline_kernelINS0_14default_configENS1_35radix_sort_onesweep_config_selectorIisEEZNS1_34radix_sort_onesweep_global_offsetsIS3_Lb0EN6thrust23THRUST_200600_302600_NS10device_ptrIiEENS9_IsEEjNS0_19identity_decomposerEEE10hipError_tT1_T2_PT3_SG_jT4_jjP12ihipStream_tbEUlT_E_NS1_11comp_targetILNS1_3genE6ELNS1_11target_archE950ELNS1_3gpuE13ELNS1_3repE0EEENS1_52radix_sort_onesweep_histogram_config_static_selectorELNS0_4arch9wavefront6targetE1EEEvSE_.uses_flat_scratch, 0
	.set _ZN7rocprim17ROCPRIM_400000_NS6detail17trampoline_kernelINS0_14default_configENS1_35radix_sort_onesweep_config_selectorIisEEZNS1_34radix_sort_onesweep_global_offsetsIS3_Lb0EN6thrust23THRUST_200600_302600_NS10device_ptrIiEENS9_IsEEjNS0_19identity_decomposerEEE10hipError_tT1_T2_PT3_SG_jT4_jjP12ihipStream_tbEUlT_E_NS1_11comp_targetILNS1_3genE6ELNS1_11target_archE950ELNS1_3gpuE13ELNS1_3repE0EEENS1_52radix_sort_onesweep_histogram_config_static_selectorELNS0_4arch9wavefront6targetE1EEEvSE_.has_dyn_sized_stack, 0
	.set _ZN7rocprim17ROCPRIM_400000_NS6detail17trampoline_kernelINS0_14default_configENS1_35radix_sort_onesweep_config_selectorIisEEZNS1_34radix_sort_onesweep_global_offsetsIS3_Lb0EN6thrust23THRUST_200600_302600_NS10device_ptrIiEENS9_IsEEjNS0_19identity_decomposerEEE10hipError_tT1_T2_PT3_SG_jT4_jjP12ihipStream_tbEUlT_E_NS1_11comp_targetILNS1_3genE6ELNS1_11target_archE950ELNS1_3gpuE13ELNS1_3repE0EEENS1_52radix_sort_onesweep_histogram_config_static_selectorELNS0_4arch9wavefront6targetE1EEEvSE_.has_recursion, 0
	.set _ZN7rocprim17ROCPRIM_400000_NS6detail17trampoline_kernelINS0_14default_configENS1_35radix_sort_onesweep_config_selectorIisEEZNS1_34radix_sort_onesweep_global_offsetsIS3_Lb0EN6thrust23THRUST_200600_302600_NS10device_ptrIiEENS9_IsEEjNS0_19identity_decomposerEEE10hipError_tT1_T2_PT3_SG_jT4_jjP12ihipStream_tbEUlT_E_NS1_11comp_targetILNS1_3genE6ELNS1_11target_archE950ELNS1_3gpuE13ELNS1_3repE0EEENS1_52radix_sort_onesweep_histogram_config_static_selectorELNS0_4arch9wavefront6targetE1EEEvSE_.has_indirect_call, 0
	.section	.AMDGPU.csdata,"",@progbits
; Kernel info:
; codeLenInByte = 7504
; TotalNumSgprs: 25
; NumVgprs: 22
; NumAgprs: 0
; TotalNumVgprs: 22
; ScratchSize: 0
; MemoryBound: 0
; FloatMode: 240
; IeeeMode: 1
; LDSByteSize: 16384 bytes/workgroup (compile time only)
; SGPRBlocks: 3
; VGPRBlocks: 2
; NumSGPRsForWavesPerEU: 25
; NumVGPRsForWavesPerEU: 22
; AccumOffset: 24
; Occupancy: 8
; WaveLimiterHint : 1
; COMPUTE_PGM_RSRC2:SCRATCH_EN: 0
; COMPUTE_PGM_RSRC2:USER_SGPR: 2
; COMPUTE_PGM_RSRC2:TRAP_HANDLER: 0
; COMPUTE_PGM_RSRC2:TGID_X_EN: 1
; COMPUTE_PGM_RSRC2:TGID_Y_EN: 0
; COMPUTE_PGM_RSRC2:TGID_Z_EN: 0
; COMPUTE_PGM_RSRC2:TIDIG_COMP_CNT: 0
; COMPUTE_PGM_RSRC3_GFX90A:ACCUM_OFFSET: 5
; COMPUTE_PGM_RSRC3_GFX90A:TG_SPLIT: 0
	.section	.text._ZN7rocprim17ROCPRIM_400000_NS6detail17trampoline_kernelINS0_14default_configENS1_35radix_sort_onesweep_config_selectorIisEEZNS1_34radix_sort_onesweep_global_offsetsIS3_Lb0EN6thrust23THRUST_200600_302600_NS10device_ptrIiEENS9_IsEEjNS0_19identity_decomposerEEE10hipError_tT1_T2_PT3_SG_jT4_jjP12ihipStream_tbEUlT_E_NS1_11comp_targetILNS1_3genE5ELNS1_11target_archE942ELNS1_3gpuE9ELNS1_3repE0EEENS1_52radix_sort_onesweep_histogram_config_static_selectorELNS0_4arch9wavefront6targetE1EEEvSE_,"axG",@progbits,_ZN7rocprim17ROCPRIM_400000_NS6detail17trampoline_kernelINS0_14default_configENS1_35radix_sort_onesweep_config_selectorIisEEZNS1_34radix_sort_onesweep_global_offsetsIS3_Lb0EN6thrust23THRUST_200600_302600_NS10device_ptrIiEENS9_IsEEjNS0_19identity_decomposerEEE10hipError_tT1_T2_PT3_SG_jT4_jjP12ihipStream_tbEUlT_E_NS1_11comp_targetILNS1_3genE5ELNS1_11target_archE942ELNS1_3gpuE9ELNS1_3repE0EEENS1_52radix_sort_onesweep_histogram_config_static_selectorELNS0_4arch9wavefront6targetE1EEEvSE_,comdat
	.protected	_ZN7rocprim17ROCPRIM_400000_NS6detail17trampoline_kernelINS0_14default_configENS1_35radix_sort_onesweep_config_selectorIisEEZNS1_34radix_sort_onesweep_global_offsetsIS3_Lb0EN6thrust23THRUST_200600_302600_NS10device_ptrIiEENS9_IsEEjNS0_19identity_decomposerEEE10hipError_tT1_T2_PT3_SG_jT4_jjP12ihipStream_tbEUlT_E_NS1_11comp_targetILNS1_3genE5ELNS1_11target_archE942ELNS1_3gpuE9ELNS1_3repE0EEENS1_52radix_sort_onesweep_histogram_config_static_selectorELNS0_4arch9wavefront6targetE1EEEvSE_ ; -- Begin function _ZN7rocprim17ROCPRIM_400000_NS6detail17trampoline_kernelINS0_14default_configENS1_35radix_sort_onesweep_config_selectorIisEEZNS1_34radix_sort_onesweep_global_offsetsIS3_Lb0EN6thrust23THRUST_200600_302600_NS10device_ptrIiEENS9_IsEEjNS0_19identity_decomposerEEE10hipError_tT1_T2_PT3_SG_jT4_jjP12ihipStream_tbEUlT_E_NS1_11comp_targetILNS1_3genE5ELNS1_11target_archE942ELNS1_3gpuE9ELNS1_3repE0EEENS1_52radix_sort_onesweep_histogram_config_static_selectorELNS0_4arch9wavefront6targetE1EEEvSE_
	.globl	_ZN7rocprim17ROCPRIM_400000_NS6detail17trampoline_kernelINS0_14default_configENS1_35radix_sort_onesweep_config_selectorIisEEZNS1_34radix_sort_onesweep_global_offsetsIS3_Lb0EN6thrust23THRUST_200600_302600_NS10device_ptrIiEENS9_IsEEjNS0_19identity_decomposerEEE10hipError_tT1_T2_PT3_SG_jT4_jjP12ihipStream_tbEUlT_E_NS1_11comp_targetILNS1_3genE5ELNS1_11target_archE942ELNS1_3gpuE9ELNS1_3repE0EEENS1_52radix_sort_onesweep_histogram_config_static_selectorELNS0_4arch9wavefront6targetE1EEEvSE_
	.p2align	8
	.type	_ZN7rocprim17ROCPRIM_400000_NS6detail17trampoline_kernelINS0_14default_configENS1_35radix_sort_onesweep_config_selectorIisEEZNS1_34radix_sort_onesweep_global_offsetsIS3_Lb0EN6thrust23THRUST_200600_302600_NS10device_ptrIiEENS9_IsEEjNS0_19identity_decomposerEEE10hipError_tT1_T2_PT3_SG_jT4_jjP12ihipStream_tbEUlT_E_NS1_11comp_targetILNS1_3genE5ELNS1_11target_archE942ELNS1_3gpuE9ELNS1_3repE0EEENS1_52radix_sort_onesweep_histogram_config_static_selectorELNS0_4arch9wavefront6targetE1EEEvSE_,@function
_ZN7rocprim17ROCPRIM_400000_NS6detail17trampoline_kernelINS0_14default_configENS1_35radix_sort_onesweep_config_selectorIisEEZNS1_34radix_sort_onesweep_global_offsetsIS3_Lb0EN6thrust23THRUST_200600_302600_NS10device_ptrIiEENS9_IsEEjNS0_19identity_decomposerEEE10hipError_tT1_T2_PT3_SG_jT4_jjP12ihipStream_tbEUlT_E_NS1_11comp_targetILNS1_3genE5ELNS1_11target_archE942ELNS1_3gpuE9ELNS1_3repE0EEENS1_52radix_sort_onesweep_histogram_config_static_selectorELNS0_4arch9wavefront6targetE1EEEvSE_: ; @_ZN7rocprim17ROCPRIM_400000_NS6detail17trampoline_kernelINS0_14default_configENS1_35radix_sort_onesweep_config_selectorIisEEZNS1_34radix_sort_onesweep_global_offsetsIS3_Lb0EN6thrust23THRUST_200600_302600_NS10device_ptrIiEENS9_IsEEjNS0_19identity_decomposerEEE10hipError_tT1_T2_PT3_SG_jT4_jjP12ihipStream_tbEUlT_E_NS1_11comp_targetILNS1_3genE5ELNS1_11target_archE942ELNS1_3gpuE9ELNS1_3repE0EEENS1_52radix_sort_onesweep_histogram_config_static_selectorELNS0_4arch9wavefront6targetE1EEEvSE_
; %bb.0:
	.section	.rodata,"a",@progbits
	.p2align	6, 0x0
	.amdhsa_kernel _ZN7rocprim17ROCPRIM_400000_NS6detail17trampoline_kernelINS0_14default_configENS1_35radix_sort_onesweep_config_selectorIisEEZNS1_34radix_sort_onesweep_global_offsetsIS3_Lb0EN6thrust23THRUST_200600_302600_NS10device_ptrIiEENS9_IsEEjNS0_19identity_decomposerEEE10hipError_tT1_T2_PT3_SG_jT4_jjP12ihipStream_tbEUlT_E_NS1_11comp_targetILNS1_3genE5ELNS1_11target_archE942ELNS1_3gpuE9ELNS1_3repE0EEENS1_52radix_sort_onesweep_histogram_config_static_selectorELNS0_4arch9wavefront6targetE1EEEvSE_
		.amdhsa_group_segment_fixed_size 0
		.amdhsa_private_segment_fixed_size 0
		.amdhsa_kernarg_size 40
		.amdhsa_user_sgpr_count 2
		.amdhsa_user_sgpr_dispatch_ptr 0
		.amdhsa_user_sgpr_queue_ptr 0
		.amdhsa_user_sgpr_kernarg_segment_ptr 1
		.amdhsa_user_sgpr_dispatch_id 0
		.amdhsa_user_sgpr_kernarg_preload_length 0
		.amdhsa_user_sgpr_kernarg_preload_offset 0
		.amdhsa_user_sgpr_private_segment_size 0
		.amdhsa_uses_dynamic_stack 0
		.amdhsa_enable_private_segment 0
		.amdhsa_system_sgpr_workgroup_id_x 1
		.amdhsa_system_sgpr_workgroup_id_y 0
		.amdhsa_system_sgpr_workgroup_id_z 0
		.amdhsa_system_sgpr_workgroup_info 0
		.amdhsa_system_vgpr_workitem_id 0
		.amdhsa_next_free_vgpr 1
		.amdhsa_next_free_sgpr 0
		.amdhsa_accum_offset 4
		.amdhsa_reserve_vcc 0
		.amdhsa_float_round_mode_32 0
		.amdhsa_float_round_mode_16_64 0
		.amdhsa_float_denorm_mode_32 3
		.amdhsa_float_denorm_mode_16_64 3
		.amdhsa_dx10_clamp 1
		.amdhsa_ieee_mode 1
		.amdhsa_fp16_overflow 0
		.amdhsa_tg_split 0
		.amdhsa_exception_fp_ieee_invalid_op 0
		.amdhsa_exception_fp_denorm_src 0
		.amdhsa_exception_fp_ieee_div_zero 0
		.amdhsa_exception_fp_ieee_overflow 0
		.amdhsa_exception_fp_ieee_underflow 0
		.amdhsa_exception_fp_ieee_inexact 0
		.amdhsa_exception_int_div_zero 0
	.end_amdhsa_kernel
	.section	.text._ZN7rocprim17ROCPRIM_400000_NS6detail17trampoline_kernelINS0_14default_configENS1_35radix_sort_onesweep_config_selectorIisEEZNS1_34radix_sort_onesweep_global_offsetsIS3_Lb0EN6thrust23THRUST_200600_302600_NS10device_ptrIiEENS9_IsEEjNS0_19identity_decomposerEEE10hipError_tT1_T2_PT3_SG_jT4_jjP12ihipStream_tbEUlT_E_NS1_11comp_targetILNS1_3genE5ELNS1_11target_archE942ELNS1_3gpuE9ELNS1_3repE0EEENS1_52radix_sort_onesweep_histogram_config_static_selectorELNS0_4arch9wavefront6targetE1EEEvSE_,"axG",@progbits,_ZN7rocprim17ROCPRIM_400000_NS6detail17trampoline_kernelINS0_14default_configENS1_35radix_sort_onesweep_config_selectorIisEEZNS1_34radix_sort_onesweep_global_offsetsIS3_Lb0EN6thrust23THRUST_200600_302600_NS10device_ptrIiEENS9_IsEEjNS0_19identity_decomposerEEE10hipError_tT1_T2_PT3_SG_jT4_jjP12ihipStream_tbEUlT_E_NS1_11comp_targetILNS1_3genE5ELNS1_11target_archE942ELNS1_3gpuE9ELNS1_3repE0EEENS1_52radix_sort_onesweep_histogram_config_static_selectorELNS0_4arch9wavefront6targetE1EEEvSE_,comdat
.Lfunc_end2406:
	.size	_ZN7rocprim17ROCPRIM_400000_NS6detail17trampoline_kernelINS0_14default_configENS1_35radix_sort_onesweep_config_selectorIisEEZNS1_34radix_sort_onesweep_global_offsetsIS3_Lb0EN6thrust23THRUST_200600_302600_NS10device_ptrIiEENS9_IsEEjNS0_19identity_decomposerEEE10hipError_tT1_T2_PT3_SG_jT4_jjP12ihipStream_tbEUlT_E_NS1_11comp_targetILNS1_3genE5ELNS1_11target_archE942ELNS1_3gpuE9ELNS1_3repE0EEENS1_52radix_sort_onesweep_histogram_config_static_selectorELNS0_4arch9wavefront6targetE1EEEvSE_, .Lfunc_end2406-_ZN7rocprim17ROCPRIM_400000_NS6detail17trampoline_kernelINS0_14default_configENS1_35radix_sort_onesweep_config_selectorIisEEZNS1_34radix_sort_onesweep_global_offsetsIS3_Lb0EN6thrust23THRUST_200600_302600_NS10device_ptrIiEENS9_IsEEjNS0_19identity_decomposerEEE10hipError_tT1_T2_PT3_SG_jT4_jjP12ihipStream_tbEUlT_E_NS1_11comp_targetILNS1_3genE5ELNS1_11target_archE942ELNS1_3gpuE9ELNS1_3repE0EEENS1_52radix_sort_onesweep_histogram_config_static_selectorELNS0_4arch9wavefront6targetE1EEEvSE_
                                        ; -- End function
	.set _ZN7rocprim17ROCPRIM_400000_NS6detail17trampoline_kernelINS0_14default_configENS1_35radix_sort_onesweep_config_selectorIisEEZNS1_34radix_sort_onesweep_global_offsetsIS3_Lb0EN6thrust23THRUST_200600_302600_NS10device_ptrIiEENS9_IsEEjNS0_19identity_decomposerEEE10hipError_tT1_T2_PT3_SG_jT4_jjP12ihipStream_tbEUlT_E_NS1_11comp_targetILNS1_3genE5ELNS1_11target_archE942ELNS1_3gpuE9ELNS1_3repE0EEENS1_52radix_sort_onesweep_histogram_config_static_selectorELNS0_4arch9wavefront6targetE1EEEvSE_.num_vgpr, 0
	.set _ZN7rocprim17ROCPRIM_400000_NS6detail17trampoline_kernelINS0_14default_configENS1_35radix_sort_onesweep_config_selectorIisEEZNS1_34radix_sort_onesweep_global_offsetsIS3_Lb0EN6thrust23THRUST_200600_302600_NS10device_ptrIiEENS9_IsEEjNS0_19identity_decomposerEEE10hipError_tT1_T2_PT3_SG_jT4_jjP12ihipStream_tbEUlT_E_NS1_11comp_targetILNS1_3genE5ELNS1_11target_archE942ELNS1_3gpuE9ELNS1_3repE0EEENS1_52radix_sort_onesweep_histogram_config_static_selectorELNS0_4arch9wavefront6targetE1EEEvSE_.num_agpr, 0
	.set _ZN7rocprim17ROCPRIM_400000_NS6detail17trampoline_kernelINS0_14default_configENS1_35radix_sort_onesweep_config_selectorIisEEZNS1_34radix_sort_onesweep_global_offsetsIS3_Lb0EN6thrust23THRUST_200600_302600_NS10device_ptrIiEENS9_IsEEjNS0_19identity_decomposerEEE10hipError_tT1_T2_PT3_SG_jT4_jjP12ihipStream_tbEUlT_E_NS1_11comp_targetILNS1_3genE5ELNS1_11target_archE942ELNS1_3gpuE9ELNS1_3repE0EEENS1_52radix_sort_onesweep_histogram_config_static_selectorELNS0_4arch9wavefront6targetE1EEEvSE_.numbered_sgpr, 0
	.set _ZN7rocprim17ROCPRIM_400000_NS6detail17trampoline_kernelINS0_14default_configENS1_35radix_sort_onesweep_config_selectorIisEEZNS1_34radix_sort_onesweep_global_offsetsIS3_Lb0EN6thrust23THRUST_200600_302600_NS10device_ptrIiEENS9_IsEEjNS0_19identity_decomposerEEE10hipError_tT1_T2_PT3_SG_jT4_jjP12ihipStream_tbEUlT_E_NS1_11comp_targetILNS1_3genE5ELNS1_11target_archE942ELNS1_3gpuE9ELNS1_3repE0EEENS1_52radix_sort_onesweep_histogram_config_static_selectorELNS0_4arch9wavefront6targetE1EEEvSE_.num_named_barrier, 0
	.set _ZN7rocprim17ROCPRIM_400000_NS6detail17trampoline_kernelINS0_14default_configENS1_35radix_sort_onesweep_config_selectorIisEEZNS1_34radix_sort_onesweep_global_offsetsIS3_Lb0EN6thrust23THRUST_200600_302600_NS10device_ptrIiEENS9_IsEEjNS0_19identity_decomposerEEE10hipError_tT1_T2_PT3_SG_jT4_jjP12ihipStream_tbEUlT_E_NS1_11comp_targetILNS1_3genE5ELNS1_11target_archE942ELNS1_3gpuE9ELNS1_3repE0EEENS1_52radix_sort_onesweep_histogram_config_static_selectorELNS0_4arch9wavefront6targetE1EEEvSE_.private_seg_size, 0
	.set _ZN7rocprim17ROCPRIM_400000_NS6detail17trampoline_kernelINS0_14default_configENS1_35radix_sort_onesweep_config_selectorIisEEZNS1_34radix_sort_onesweep_global_offsetsIS3_Lb0EN6thrust23THRUST_200600_302600_NS10device_ptrIiEENS9_IsEEjNS0_19identity_decomposerEEE10hipError_tT1_T2_PT3_SG_jT4_jjP12ihipStream_tbEUlT_E_NS1_11comp_targetILNS1_3genE5ELNS1_11target_archE942ELNS1_3gpuE9ELNS1_3repE0EEENS1_52radix_sort_onesweep_histogram_config_static_selectorELNS0_4arch9wavefront6targetE1EEEvSE_.uses_vcc, 0
	.set _ZN7rocprim17ROCPRIM_400000_NS6detail17trampoline_kernelINS0_14default_configENS1_35radix_sort_onesweep_config_selectorIisEEZNS1_34radix_sort_onesweep_global_offsetsIS3_Lb0EN6thrust23THRUST_200600_302600_NS10device_ptrIiEENS9_IsEEjNS0_19identity_decomposerEEE10hipError_tT1_T2_PT3_SG_jT4_jjP12ihipStream_tbEUlT_E_NS1_11comp_targetILNS1_3genE5ELNS1_11target_archE942ELNS1_3gpuE9ELNS1_3repE0EEENS1_52radix_sort_onesweep_histogram_config_static_selectorELNS0_4arch9wavefront6targetE1EEEvSE_.uses_flat_scratch, 0
	.set _ZN7rocprim17ROCPRIM_400000_NS6detail17trampoline_kernelINS0_14default_configENS1_35radix_sort_onesweep_config_selectorIisEEZNS1_34radix_sort_onesweep_global_offsetsIS3_Lb0EN6thrust23THRUST_200600_302600_NS10device_ptrIiEENS9_IsEEjNS0_19identity_decomposerEEE10hipError_tT1_T2_PT3_SG_jT4_jjP12ihipStream_tbEUlT_E_NS1_11comp_targetILNS1_3genE5ELNS1_11target_archE942ELNS1_3gpuE9ELNS1_3repE0EEENS1_52radix_sort_onesweep_histogram_config_static_selectorELNS0_4arch9wavefront6targetE1EEEvSE_.has_dyn_sized_stack, 0
	.set _ZN7rocprim17ROCPRIM_400000_NS6detail17trampoline_kernelINS0_14default_configENS1_35radix_sort_onesweep_config_selectorIisEEZNS1_34radix_sort_onesweep_global_offsetsIS3_Lb0EN6thrust23THRUST_200600_302600_NS10device_ptrIiEENS9_IsEEjNS0_19identity_decomposerEEE10hipError_tT1_T2_PT3_SG_jT4_jjP12ihipStream_tbEUlT_E_NS1_11comp_targetILNS1_3genE5ELNS1_11target_archE942ELNS1_3gpuE9ELNS1_3repE0EEENS1_52radix_sort_onesweep_histogram_config_static_selectorELNS0_4arch9wavefront6targetE1EEEvSE_.has_recursion, 0
	.set _ZN7rocprim17ROCPRIM_400000_NS6detail17trampoline_kernelINS0_14default_configENS1_35radix_sort_onesweep_config_selectorIisEEZNS1_34radix_sort_onesweep_global_offsetsIS3_Lb0EN6thrust23THRUST_200600_302600_NS10device_ptrIiEENS9_IsEEjNS0_19identity_decomposerEEE10hipError_tT1_T2_PT3_SG_jT4_jjP12ihipStream_tbEUlT_E_NS1_11comp_targetILNS1_3genE5ELNS1_11target_archE942ELNS1_3gpuE9ELNS1_3repE0EEENS1_52radix_sort_onesweep_histogram_config_static_selectorELNS0_4arch9wavefront6targetE1EEEvSE_.has_indirect_call, 0
	.section	.AMDGPU.csdata,"",@progbits
; Kernel info:
; codeLenInByte = 0
; TotalNumSgprs: 6
; NumVgprs: 0
; NumAgprs: 0
; TotalNumVgprs: 0
; ScratchSize: 0
; MemoryBound: 0
; FloatMode: 240
; IeeeMode: 1
; LDSByteSize: 0 bytes/workgroup (compile time only)
; SGPRBlocks: 0
; VGPRBlocks: 0
; NumSGPRsForWavesPerEU: 6
; NumVGPRsForWavesPerEU: 1
; AccumOffset: 4
; Occupancy: 8
; WaveLimiterHint : 0
; COMPUTE_PGM_RSRC2:SCRATCH_EN: 0
; COMPUTE_PGM_RSRC2:USER_SGPR: 2
; COMPUTE_PGM_RSRC2:TRAP_HANDLER: 0
; COMPUTE_PGM_RSRC2:TGID_X_EN: 1
; COMPUTE_PGM_RSRC2:TGID_Y_EN: 0
; COMPUTE_PGM_RSRC2:TGID_Z_EN: 0
; COMPUTE_PGM_RSRC2:TIDIG_COMP_CNT: 0
; COMPUTE_PGM_RSRC3_GFX90A:ACCUM_OFFSET: 0
; COMPUTE_PGM_RSRC3_GFX90A:TG_SPLIT: 0
	.section	.text._ZN7rocprim17ROCPRIM_400000_NS6detail17trampoline_kernelINS0_14default_configENS1_35radix_sort_onesweep_config_selectorIisEEZNS1_34radix_sort_onesweep_global_offsetsIS3_Lb0EN6thrust23THRUST_200600_302600_NS10device_ptrIiEENS9_IsEEjNS0_19identity_decomposerEEE10hipError_tT1_T2_PT3_SG_jT4_jjP12ihipStream_tbEUlT_E_NS1_11comp_targetILNS1_3genE2ELNS1_11target_archE906ELNS1_3gpuE6ELNS1_3repE0EEENS1_52radix_sort_onesweep_histogram_config_static_selectorELNS0_4arch9wavefront6targetE1EEEvSE_,"axG",@progbits,_ZN7rocprim17ROCPRIM_400000_NS6detail17trampoline_kernelINS0_14default_configENS1_35radix_sort_onesweep_config_selectorIisEEZNS1_34radix_sort_onesweep_global_offsetsIS3_Lb0EN6thrust23THRUST_200600_302600_NS10device_ptrIiEENS9_IsEEjNS0_19identity_decomposerEEE10hipError_tT1_T2_PT3_SG_jT4_jjP12ihipStream_tbEUlT_E_NS1_11comp_targetILNS1_3genE2ELNS1_11target_archE906ELNS1_3gpuE6ELNS1_3repE0EEENS1_52radix_sort_onesweep_histogram_config_static_selectorELNS0_4arch9wavefront6targetE1EEEvSE_,comdat
	.protected	_ZN7rocprim17ROCPRIM_400000_NS6detail17trampoline_kernelINS0_14default_configENS1_35radix_sort_onesweep_config_selectorIisEEZNS1_34radix_sort_onesweep_global_offsetsIS3_Lb0EN6thrust23THRUST_200600_302600_NS10device_ptrIiEENS9_IsEEjNS0_19identity_decomposerEEE10hipError_tT1_T2_PT3_SG_jT4_jjP12ihipStream_tbEUlT_E_NS1_11comp_targetILNS1_3genE2ELNS1_11target_archE906ELNS1_3gpuE6ELNS1_3repE0EEENS1_52radix_sort_onesweep_histogram_config_static_selectorELNS0_4arch9wavefront6targetE1EEEvSE_ ; -- Begin function _ZN7rocprim17ROCPRIM_400000_NS6detail17trampoline_kernelINS0_14default_configENS1_35radix_sort_onesweep_config_selectorIisEEZNS1_34radix_sort_onesweep_global_offsetsIS3_Lb0EN6thrust23THRUST_200600_302600_NS10device_ptrIiEENS9_IsEEjNS0_19identity_decomposerEEE10hipError_tT1_T2_PT3_SG_jT4_jjP12ihipStream_tbEUlT_E_NS1_11comp_targetILNS1_3genE2ELNS1_11target_archE906ELNS1_3gpuE6ELNS1_3repE0EEENS1_52radix_sort_onesweep_histogram_config_static_selectorELNS0_4arch9wavefront6targetE1EEEvSE_
	.globl	_ZN7rocprim17ROCPRIM_400000_NS6detail17trampoline_kernelINS0_14default_configENS1_35radix_sort_onesweep_config_selectorIisEEZNS1_34radix_sort_onesweep_global_offsetsIS3_Lb0EN6thrust23THRUST_200600_302600_NS10device_ptrIiEENS9_IsEEjNS0_19identity_decomposerEEE10hipError_tT1_T2_PT3_SG_jT4_jjP12ihipStream_tbEUlT_E_NS1_11comp_targetILNS1_3genE2ELNS1_11target_archE906ELNS1_3gpuE6ELNS1_3repE0EEENS1_52radix_sort_onesweep_histogram_config_static_selectorELNS0_4arch9wavefront6targetE1EEEvSE_
	.p2align	8
	.type	_ZN7rocprim17ROCPRIM_400000_NS6detail17trampoline_kernelINS0_14default_configENS1_35radix_sort_onesweep_config_selectorIisEEZNS1_34radix_sort_onesweep_global_offsetsIS3_Lb0EN6thrust23THRUST_200600_302600_NS10device_ptrIiEENS9_IsEEjNS0_19identity_decomposerEEE10hipError_tT1_T2_PT3_SG_jT4_jjP12ihipStream_tbEUlT_E_NS1_11comp_targetILNS1_3genE2ELNS1_11target_archE906ELNS1_3gpuE6ELNS1_3repE0EEENS1_52radix_sort_onesweep_histogram_config_static_selectorELNS0_4arch9wavefront6targetE1EEEvSE_,@function
_ZN7rocprim17ROCPRIM_400000_NS6detail17trampoline_kernelINS0_14default_configENS1_35radix_sort_onesweep_config_selectorIisEEZNS1_34radix_sort_onesweep_global_offsetsIS3_Lb0EN6thrust23THRUST_200600_302600_NS10device_ptrIiEENS9_IsEEjNS0_19identity_decomposerEEE10hipError_tT1_T2_PT3_SG_jT4_jjP12ihipStream_tbEUlT_E_NS1_11comp_targetILNS1_3genE2ELNS1_11target_archE906ELNS1_3gpuE6ELNS1_3repE0EEENS1_52radix_sort_onesweep_histogram_config_static_selectorELNS0_4arch9wavefront6targetE1EEEvSE_: ; @_ZN7rocprim17ROCPRIM_400000_NS6detail17trampoline_kernelINS0_14default_configENS1_35radix_sort_onesweep_config_selectorIisEEZNS1_34radix_sort_onesweep_global_offsetsIS3_Lb0EN6thrust23THRUST_200600_302600_NS10device_ptrIiEENS9_IsEEjNS0_19identity_decomposerEEE10hipError_tT1_T2_PT3_SG_jT4_jjP12ihipStream_tbEUlT_E_NS1_11comp_targetILNS1_3genE2ELNS1_11target_archE906ELNS1_3gpuE6ELNS1_3repE0EEENS1_52radix_sort_onesweep_histogram_config_static_selectorELNS0_4arch9wavefront6targetE1EEEvSE_
; %bb.0:
	.section	.rodata,"a",@progbits
	.p2align	6, 0x0
	.amdhsa_kernel _ZN7rocprim17ROCPRIM_400000_NS6detail17trampoline_kernelINS0_14default_configENS1_35radix_sort_onesweep_config_selectorIisEEZNS1_34radix_sort_onesweep_global_offsetsIS3_Lb0EN6thrust23THRUST_200600_302600_NS10device_ptrIiEENS9_IsEEjNS0_19identity_decomposerEEE10hipError_tT1_T2_PT3_SG_jT4_jjP12ihipStream_tbEUlT_E_NS1_11comp_targetILNS1_3genE2ELNS1_11target_archE906ELNS1_3gpuE6ELNS1_3repE0EEENS1_52radix_sort_onesweep_histogram_config_static_selectorELNS0_4arch9wavefront6targetE1EEEvSE_
		.amdhsa_group_segment_fixed_size 0
		.amdhsa_private_segment_fixed_size 0
		.amdhsa_kernarg_size 40
		.amdhsa_user_sgpr_count 2
		.amdhsa_user_sgpr_dispatch_ptr 0
		.amdhsa_user_sgpr_queue_ptr 0
		.amdhsa_user_sgpr_kernarg_segment_ptr 1
		.amdhsa_user_sgpr_dispatch_id 0
		.amdhsa_user_sgpr_kernarg_preload_length 0
		.amdhsa_user_sgpr_kernarg_preload_offset 0
		.amdhsa_user_sgpr_private_segment_size 0
		.amdhsa_uses_dynamic_stack 0
		.amdhsa_enable_private_segment 0
		.amdhsa_system_sgpr_workgroup_id_x 1
		.amdhsa_system_sgpr_workgroup_id_y 0
		.amdhsa_system_sgpr_workgroup_id_z 0
		.amdhsa_system_sgpr_workgroup_info 0
		.amdhsa_system_vgpr_workitem_id 0
		.amdhsa_next_free_vgpr 1
		.amdhsa_next_free_sgpr 0
		.amdhsa_accum_offset 4
		.amdhsa_reserve_vcc 0
		.amdhsa_float_round_mode_32 0
		.amdhsa_float_round_mode_16_64 0
		.amdhsa_float_denorm_mode_32 3
		.amdhsa_float_denorm_mode_16_64 3
		.amdhsa_dx10_clamp 1
		.amdhsa_ieee_mode 1
		.amdhsa_fp16_overflow 0
		.amdhsa_tg_split 0
		.amdhsa_exception_fp_ieee_invalid_op 0
		.amdhsa_exception_fp_denorm_src 0
		.amdhsa_exception_fp_ieee_div_zero 0
		.amdhsa_exception_fp_ieee_overflow 0
		.amdhsa_exception_fp_ieee_underflow 0
		.amdhsa_exception_fp_ieee_inexact 0
		.amdhsa_exception_int_div_zero 0
	.end_amdhsa_kernel
	.section	.text._ZN7rocprim17ROCPRIM_400000_NS6detail17trampoline_kernelINS0_14default_configENS1_35radix_sort_onesweep_config_selectorIisEEZNS1_34radix_sort_onesweep_global_offsetsIS3_Lb0EN6thrust23THRUST_200600_302600_NS10device_ptrIiEENS9_IsEEjNS0_19identity_decomposerEEE10hipError_tT1_T2_PT3_SG_jT4_jjP12ihipStream_tbEUlT_E_NS1_11comp_targetILNS1_3genE2ELNS1_11target_archE906ELNS1_3gpuE6ELNS1_3repE0EEENS1_52radix_sort_onesweep_histogram_config_static_selectorELNS0_4arch9wavefront6targetE1EEEvSE_,"axG",@progbits,_ZN7rocprim17ROCPRIM_400000_NS6detail17trampoline_kernelINS0_14default_configENS1_35radix_sort_onesweep_config_selectorIisEEZNS1_34radix_sort_onesweep_global_offsetsIS3_Lb0EN6thrust23THRUST_200600_302600_NS10device_ptrIiEENS9_IsEEjNS0_19identity_decomposerEEE10hipError_tT1_T2_PT3_SG_jT4_jjP12ihipStream_tbEUlT_E_NS1_11comp_targetILNS1_3genE2ELNS1_11target_archE906ELNS1_3gpuE6ELNS1_3repE0EEENS1_52radix_sort_onesweep_histogram_config_static_selectorELNS0_4arch9wavefront6targetE1EEEvSE_,comdat
.Lfunc_end2407:
	.size	_ZN7rocprim17ROCPRIM_400000_NS6detail17trampoline_kernelINS0_14default_configENS1_35radix_sort_onesweep_config_selectorIisEEZNS1_34radix_sort_onesweep_global_offsetsIS3_Lb0EN6thrust23THRUST_200600_302600_NS10device_ptrIiEENS9_IsEEjNS0_19identity_decomposerEEE10hipError_tT1_T2_PT3_SG_jT4_jjP12ihipStream_tbEUlT_E_NS1_11comp_targetILNS1_3genE2ELNS1_11target_archE906ELNS1_3gpuE6ELNS1_3repE0EEENS1_52radix_sort_onesweep_histogram_config_static_selectorELNS0_4arch9wavefront6targetE1EEEvSE_, .Lfunc_end2407-_ZN7rocprim17ROCPRIM_400000_NS6detail17trampoline_kernelINS0_14default_configENS1_35radix_sort_onesweep_config_selectorIisEEZNS1_34radix_sort_onesweep_global_offsetsIS3_Lb0EN6thrust23THRUST_200600_302600_NS10device_ptrIiEENS9_IsEEjNS0_19identity_decomposerEEE10hipError_tT1_T2_PT3_SG_jT4_jjP12ihipStream_tbEUlT_E_NS1_11comp_targetILNS1_3genE2ELNS1_11target_archE906ELNS1_3gpuE6ELNS1_3repE0EEENS1_52radix_sort_onesweep_histogram_config_static_selectorELNS0_4arch9wavefront6targetE1EEEvSE_
                                        ; -- End function
	.set _ZN7rocprim17ROCPRIM_400000_NS6detail17trampoline_kernelINS0_14default_configENS1_35radix_sort_onesweep_config_selectorIisEEZNS1_34radix_sort_onesweep_global_offsetsIS3_Lb0EN6thrust23THRUST_200600_302600_NS10device_ptrIiEENS9_IsEEjNS0_19identity_decomposerEEE10hipError_tT1_T2_PT3_SG_jT4_jjP12ihipStream_tbEUlT_E_NS1_11comp_targetILNS1_3genE2ELNS1_11target_archE906ELNS1_3gpuE6ELNS1_3repE0EEENS1_52radix_sort_onesweep_histogram_config_static_selectorELNS0_4arch9wavefront6targetE1EEEvSE_.num_vgpr, 0
	.set _ZN7rocprim17ROCPRIM_400000_NS6detail17trampoline_kernelINS0_14default_configENS1_35radix_sort_onesweep_config_selectorIisEEZNS1_34radix_sort_onesweep_global_offsetsIS3_Lb0EN6thrust23THRUST_200600_302600_NS10device_ptrIiEENS9_IsEEjNS0_19identity_decomposerEEE10hipError_tT1_T2_PT3_SG_jT4_jjP12ihipStream_tbEUlT_E_NS1_11comp_targetILNS1_3genE2ELNS1_11target_archE906ELNS1_3gpuE6ELNS1_3repE0EEENS1_52radix_sort_onesweep_histogram_config_static_selectorELNS0_4arch9wavefront6targetE1EEEvSE_.num_agpr, 0
	.set _ZN7rocprim17ROCPRIM_400000_NS6detail17trampoline_kernelINS0_14default_configENS1_35radix_sort_onesweep_config_selectorIisEEZNS1_34radix_sort_onesweep_global_offsetsIS3_Lb0EN6thrust23THRUST_200600_302600_NS10device_ptrIiEENS9_IsEEjNS0_19identity_decomposerEEE10hipError_tT1_T2_PT3_SG_jT4_jjP12ihipStream_tbEUlT_E_NS1_11comp_targetILNS1_3genE2ELNS1_11target_archE906ELNS1_3gpuE6ELNS1_3repE0EEENS1_52radix_sort_onesweep_histogram_config_static_selectorELNS0_4arch9wavefront6targetE1EEEvSE_.numbered_sgpr, 0
	.set _ZN7rocprim17ROCPRIM_400000_NS6detail17trampoline_kernelINS0_14default_configENS1_35radix_sort_onesweep_config_selectorIisEEZNS1_34radix_sort_onesweep_global_offsetsIS3_Lb0EN6thrust23THRUST_200600_302600_NS10device_ptrIiEENS9_IsEEjNS0_19identity_decomposerEEE10hipError_tT1_T2_PT3_SG_jT4_jjP12ihipStream_tbEUlT_E_NS1_11comp_targetILNS1_3genE2ELNS1_11target_archE906ELNS1_3gpuE6ELNS1_3repE0EEENS1_52radix_sort_onesweep_histogram_config_static_selectorELNS0_4arch9wavefront6targetE1EEEvSE_.num_named_barrier, 0
	.set _ZN7rocprim17ROCPRIM_400000_NS6detail17trampoline_kernelINS0_14default_configENS1_35radix_sort_onesweep_config_selectorIisEEZNS1_34radix_sort_onesweep_global_offsetsIS3_Lb0EN6thrust23THRUST_200600_302600_NS10device_ptrIiEENS9_IsEEjNS0_19identity_decomposerEEE10hipError_tT1_T2_PT3_SG_jT4_jjP12ihipStream_tbEUlT_E_NS1_11comp_targetILNS1_3genE2ELNS1_11target_archE906ELNS1_3gpuE6ELNS1_3repE0EEENS1_52radix_sort_onesweep_histogram_config_static_selectorELNS0_4arch9wavefront6targetE1EEEvSE_.private_seg_size, 0
	.set _ZN7rocprim17ROCPRIM_400000_NS6detail17trampoline_kernelINS0_14default_configENS1_35radix_sort_onesweep_config_selectorIisEEZNS1_34radix_sort_onesweep_global_offsetsIS3_Lb0EN6thrust23THRUST_200600_302600_NS10device_ptrIiEENS9_IsEEjNS0_19identity_decomposerEEE10hipError_tT1_T2_PT3_SG_jT4_jjP12ihipStream_tbEUlT_E_NS1_11comp_targetILNS1_3genE2ELNS1_11target_archE906ELNS1_3gpuE6ELNS1_3repE0EEENS1_52radix_sort_onesweep_histogram_config_static_selectorELNS0_4arch9wavefront6targetE1EEEvSE_.uses_vcc, 0
	.set _ZN7rocprim17ROCPRIM_400000_NS6detail17trampoline_kernelINS0_14default_configENS1_35radix_sort_onesweep_config_selectorIisEEZNS1_34radix_sort_onesweep_global_offsetsIS3_Lb0EN6thrust23THRUST_200600_302600_NS10device_ptrIiEENS9_IsEEjNS0_19identity_decomposerEEE10hipError_tT1_T2_PT3_SG_jT4_jjP12ihipStream_tbEUlT_E_NS1_11comp_targetILNS1_3genE2ELNS1_11target_archE906ELNS1_3gpuE6ELNS1_3repE0EEENS1_52radix_sort_onesweep_histogram_config_static_selectorELNS0_4arch9wavefront6targetE1EEEvSE_.uses_flat_scratch, 0
	.set _ZN7rocprim17ROCPRIM_400000_NS6detail17trampoline_kernelINS0_14default_configENS1_35radix_sort_onesweep_config_selectorIisEEZNS1_34radix_sort_onesweep_global_offsetsIS3_Lb0EN6thrust23THRUST_200600_302600_NS10device_ptrIiEENS9_IsEEjNS0_19identity_decomposerEEE10hipError_tT1_T2_PT3_SG_jT4_jjP12ihipStream_tbEUlT_E_NS1_11comp_targetILNS1_3genE2ELNS1_11target_archE906ELNS1_3gpuE6ELNS1_3repE0EEENS1_52radix_sort_onesweep_histogram_config_static_selectorELNS0_4arch9wavefront6targetE1EEEvSE_.has_dyn_sized_stack, 0
	.set _ZN7rocprim17ROCPRIM_400000_NS6detail17trampoline_kernelINS0_14default_configENS1_35radix_sort_onesweep_config_selectorIisEEZNS1_34radix_sort_onesweep_global_offsetsIS3_Lb0EN6thrust23THRUST_200600_302600_NS10device_ptrIiEENS9_IsEEjNS0_19identity_decomposerEEE10hipError_tT1_T2_PT3_SG_jT4_jjP12ihipStream_tbEUlT_E_NS1_11comp_targetILNS1_3genE2ELNS1_11target_archE906ELNS1_3gpuE6ELNS1_3repE0EEENS1_52radix_sort_onesweep_histogram_config_static_selectorELNS0_4arch9wavefront6targetE1EEEvSE_.has_recursion, 0
	.set _ZN7rocprim17ROCPRIM_400000_NS6detail17trampoline_kernelINS0_14default_configENS1_35radix_sort_onesweep_config_selectorIisEEZNS1_34radix_sort_onesweep_global_offsetsIS3_Lb0EN6thrust23THRUST_200600_302600_NS10device_ptrIiEENS9_IsEEjNS0_19identity_decomposerEEE10hipError_tT1_T2_PT3_SG_jT4_jjP12ihipStream_tbEUlT_E_NS1_11comp_targetILNS1_3genE2ELNS1_11target_archE906ELNS1_3gpuE6ELNS1_3repE0EEENS1_52radix_sort_onesweep_histogram_config_static_selectorELNS0_4arch9wavefront6targetE1EEEvSE_.has_indirect_call, 0
	.section	.AMDGPU.csdata,"",@progbits
; Kernel info:
; codeLenInByte = 0
; TotalNumSgprs: 6
; NumVgprs: 0
; NumAgprs: 0
; TotalNumVgprs: 0
; ScratchSize: 0
; MemoryBound: 0
; FloatMode: 240
; IeeeMode: 1
; LDSByteSize: 0 bytes/workgroup (compile time only)
; SGPRBlocks: 0
; VGPRBlocks: 0
; NumSGPRsForWavesPerEU: 6
; NumVGPRsForWavesPerEU: 1
; AccumOffset: 4
; Occupancy: 8
; WaveLimiterHint : 0
; COMPUTE_PGM_RSRC2:SCRATCH_EN: 0
; COMPUTE_PGM_RSRC2:USER_SGPR: 2
; COMPUTE_PGM_RSRC2:TRAP_HANDLER: 0
; COMPUTE_PGM_RSRC2:TGID_X_EN: 1
; COMPUTE_PGM_RSRC2:TGID_Y_EN: 0
; COMPUTE_PGM_RSRC2:TGID_Z_EN: 0
; COMPUTE_PGM_RSRC2:TIDIG_COMP_CNT: 0
; COMPUTE_PGM_RSRC3_GFX90A:ACCUM_OFFSET: 0
; COMPUTE_PGM_RSRC3_GFX90A:TG_SPLIT: 0
	.section	.text._ZN7rocprim17ROCPRIM_400000_NS6detail17trampoline_kernelINS0_14default_configENS1_35radix_sort_onesweep_config_selectorIisEEZNS1_34radix_sort_onesweep_global_offsetsIS3_Lb0EN6thrust23THRUST_200600_302600_NS10device_ptrIiEENS9_IsEEjNS0_19identity_decomposerEEE10hipError_tT1_T2_PT3_SG_jT4_jjP12ihipStream_tbEUlT_E_NS1_11comp_targetILNS1_3genE4ELNS1_11target_archE910ELNS1_3gpuE8ELNS1_3repE0EEENS1_52radix_sort_onesweep_histogram_config_static_selectorELNS0_4arch9wavefront6targetE1EEEvSE_,"axG",@progbits,_ZN7rocprim17ROCPRIM_400000_NS6detail17trampoline_kernelINS0_14default_configENS1_35radix_sort_onesweep_config_selectorIisEEZNS1_34radix_sort_onesweep_global_offsetsIS3_Lb0EN6thrust23THRUST_200600_302600_NS10device_ptrIiEENS9_IsEEjNS0_19identity_decomposerEEE10hipError_tT1_T2_PT3_SG_jT4_jjP12ihipStream_tbEUlT_E_NS1_11comp_targetILNS1_3genE4ELNS1_11target_archE910ELNS1_3gpuE8ELNS1_3repE0EEENS1_52radix_sort_onesweep_histogram_config_static_selectorELNS0_4arch9wavefront6targetE1EEEvSE_,comdat
	.protected	_ZN7rocprim17ROCPRIM_400000_NS6detail17trampoline_kernelINS0_14default_configENS1_35radix_sort_onesweep_config_selectorIisEEZNS1_34radix_sort_onesweep_global_offsetsIS3_Lb0EN6thrust23THRUST_200600_302600_NS10device_ptrIiEENS9_IsEEjNS0_19identity_decomposerEEE10hipError_tT1_T2_PT3_SG_jT4_jjP12ihipStream_tbEUlT_E_NS1_11comp_targetILNS1_3genE4ELNS1_11target_archE910ELNS1_3gpuE8ELNS1_3repE0EEENS1_52radix_sort_onesweep_histogram_config_static_selectorELNS0_4arch9wavefront6targetE1EEEvSE_ ; -- Begin function _ZN7rocprim17ROCPRIM_400000_NS6detail17trampoline_kernelINS0_14default_configENS1_35radix_sort_onesweep_config_selectorIisEEZNS1_34radix_sort_onesweep_global_offsetsIS3_Lb0EN6thrust23THRUST_200600_302600_NS10device_ptrIiEENS9_IsEEjNS0_19identity_decomposerEEE10hipError_tT1_T2_PT3_SG_jT4_jjP12ihipStream_tbEUlT_E_NS1_11comp_targetILNS1_3genE4ELNS1_11target_archE910ELNS1_3gpuE8ELNS1_3repE0EEENS1_52radix_sort_onesweep_histogram_config_static_selectorELNS0_4arch9wavefront6targetE1EEEvSE_
	.globl	_ZN7rocprim17ROCPRIM_400000_NS6detail17trampoline_kernelINS0_14default_configENS1_35radix_sort_onesweep_config_selectorIisEEZNS1_34radix_sort_onesweep_global_offsetsIS3_Lb0EN6thrust23THRUST_200600_302600_NS10device_ptrIiEENS9_IsEEjNS0_19identity_decomposerEEE10hipError_tT1_T2_PT3_SG_jT4_jjP12ihipStream_tbEUlT_E_NS1_11comp_targetILNS1_3genE4ELNS1_11target_archE910ELNS1_3gpuE8ELNS1_3repE0EEENS1_52radix_sort_onesweep_histogram_config_static_selectorELNS0_4arch9wavefront6targetE1EEEvSE_
	.p2align	8
	.type	_ZN7rocprim17ROCPRIM_400000_NS6detail17trampoline_kernelINS0_14default_configENS1_35radix_sort_onesweep_config_selectorIisEEZNS1_34radix_sort_onesweep_global_offsetsIS3_Lb0EN6thrust23THRUST_200600_302600_NS10device_ptrIiEENS9_IsEEjNS0_19identity_decomposerEEE10hipError_tT1_T2_PT3_SG_jT4_jjP12ihipStream_tbEUlT_E_NS1_11comp_targetILNS1_3genE4ELNS1_11target_archE910ELNS1_3gpuE8ELNS1_3repE0EEENS1_52radix_sort_onesweep_histogram_config_static_selectorELNS0_4arch9wavefront6targetE1EEEvSE_,@function
_ZN7rocprim17ROCPRIM_400000_NS6detail17trampoline_kernelINS0_14default_configENS1_35radix_sort_onesweep_config_selectorIisEEZNS1_34radix_sort_onesweep_global_offsetsIS3_Lb0EN6thrust23THRUST_200600_302600_NS10device_ptrIiEENS9_IsEEjNS0_19identity_decomposerEEE10hipError_tT1_T2_PT3_SG_jT4_jjP12ihipStream_tbEUlT_E_NS1_11comp_targetILNS1_3genE4ELNS1_11target_archE910ELNS1_3gpuE8ELNS1_3repE0EEENS1_52radix_sort_onesweep_histogram_config_static_selectorELNS0_4arch9wavefront6targetE1EEEvSE_: ; @_ZN7rocprim17ROCPRIM_400000_NS6detail17trampoline_kernelINS0_14default_configENS1_35radix_sort_onesweep_config_selectorIisEEZNS1_34radix_sort_onesweep_global_offsetsIS3_Lb0EN6thrust23THRUST_200600_302600_NS10device_ptrIiEENS9_IsEEjNS0_19identity_decomposerEEE10hipError_tT1_T2_PT3_SG_jT4_jjP12ihipStream_tbEUlT_E_NS1_11comp_targetILNS1_3genE4ELNS1_11target_archE910ELNS1_3gpuE8ELNS1_3repE0EEENS1_52radix_sort_onesweep_histogram_config_static_selectorELNS0_4arch9wavefront6targetE1EEEvSE_
; %bb.0:
	.section	.rodata,"a",@progbits
	.p2align	6, 0x0
	.amdhsa_kernel _ZN7rocprim17ROCPRIM_400000_NS6detail17trampoline_kernelINS0_14default_configENS1_35radix_sort_onesweep_config_selectorIisEEZNS1_34radix_sort_onesweep_global_offsetsIS3_Lb0EN6thrust23THRUST_200600_302600_NS10device_ptrIiEENS9_IsEEjNS0_19identity_decomposerEEE10hipError_tT1_T2_PT3_SG_jT4_jjP12ihipStream_tbEUlT_E_NS1_11comp_targetILNS1_3genE4ELNS1_11target_archE910ELNS1_3gpuE8ELNS1_3repE0EEENS1_52radix_sort_onesweep_histogram_config_static_selectorELNS0_4arch9wavefront6targetE1EEEvSE_
		.amdhsa_group_segment_fixed_size 0
		.amdhsa_private_segment_fixed_size 0
		.amdhsa_kernarg_size 40
		.amdhsa_user_sgpr_count 2
		.amdhsa_user_sgpr_dispatch_ptr 0
		.amdhsa_user_sgpr_queue_ptr 0
		.amdhsa_user_sgpr_kernarg_segment_ptr 1
		.amdhsa_user_sgpr_dispatch_id 0
		.amdhsa_user_sgpr_kernarg_preload_length 0
		.amdhsa_user_sgpr_kernarg_preload_offset 0
		.amdhsa_user_sgpr_private_segment_size 0
		.amdhsa_uses_dynamic_stack 0
		.amdhsa_enable_private_segment 0
		.amdhsa_system_sgpr_workgroup_id_x 1
		.amdhsa_system_sgpr_workgroup_id_y 0
		.amdhsa_system_sgpr_workgroup_id_z 0
		.amdhsa_system_sgpr_workgroup_info 0
		.amdhsa_system_vgpr_workitem_id 0
		.amdhsa_next_free_vgpr 1
		.amdhsa_next_free_sgpr 0
		.amdhsa_accum_offset 4
		.amdhsa_reserve_vcc 0
		.amdhsa_float_round_mode_32 0
		.amdhsa_float_round_mode_16_64 0
		.amdhsa_float_denorm_mode_32 3
		.amdhsa_float_denorm_mode_16_64 3
		.amdhsa_dx10_clamp 1
		.amdhsa_ieee_mode 1
		.amdhsa_fp16_overflow 0
		.amdhsa_tg_split 0
		.amdhsa_exception_fp_ieee_invalid_op 0
		.amdhsa_exception_fp_denorm_src 0
		.amdhsa_exception_fp_ieee_div_zero 0
		.amdhsa_exception_fp_ieee_overflow 0
		.amdhsa_exception_fp_ieee_underflow 0
		.amdhsa_exception_fp_ieee_inexact 0
		.amdhsa_exception_int_div_zero 0
	.end_amdhsa_kernel
	.section	.text._ZN7rocprim17ROCPRIM_400000_NS6detail17trampoline_kernelINS0_14default_configENS1_35radix_sort_onesweep_config_selectorIisEEZNS1_34radix_sort_onesweep_global_offsetsIS3_Lb0EN6thrust23THRUST_200600_302600_NS10device_ptrIiEENS9_IsEEjNS0_19identity_decomposerEEE10hipError_tT1_T2_PT3_SG_jT4_jjP12ihipStream_tbEUlT_E_NS1_11comp_targetILNS1_3genE4ELNS1_11target_archE910ELNS1_3gpuE8ELNS1_3repE0EEENS1_52radix_sort_onesweep_histogram_config_static_selectorELNS0_4arch9wavefront6targetE1EEEvSE_,"axG",@progbits,_ZN7rocprim17ROCPRIM_400000_NS6detail17trampoline_kernelINS0_14default_configENS1_35radix_sort_onesweep_config_selectorIisEEZNS1_34radix_sort_onesweep_global_offsetsIS3_Lb0EN6thrust23THRUST_200600_302600_NS10device_ptrIiEENS9_IsEEjNS0_19identity_decomposerEEE10hipError_tT1_T2_PT3_SG_jT4_jjP12ihipStream_tbEUlT_E_NS1_11comp_targetILNS1_3genE4ELNS1_11target_archE910ELNS1_3gpuE8ELNS1_3repE0EEENS1_52radix_sort_onesweep_histogram_config_static_selectorELNS0_4arch9wavefront6targetE1EEEvSE_,comdat
.Lfunc_end2408:
	.size	_ZN7rocprim17ROCPRIM_400000_NS6detail17trampoline_kernelINS0_14default_configENS1_35radix_sort_onesweep_config_selectorIisEEZNS1_34radix_sort_onesweep_global_offsetsIS3_Lb0EN6thrust23THRUST_200600_302600_NS10device_ptrIiEENS9_IsEEjNS0_19identity_decomposerEEE10hipError_tT1_T2_PT3_SG_jT4_jjP12ihipStream_tbEUlT_E_NS1_11comp_targetILNS1_3genE4ELNS1_11target_archE910ELNS1_3gpuE8ELNS1_3repE0EEENS1_52radix_sort_onesweep_histogram_config_static_selectorELNS0_4arch9wavefront6targetE1EEEvSE_, .Lfunc_end2408-_ZN7rocprim17ROCPRIM_400000_NS6detail17trampoline_kernelINS0_14default_configENS1_35radix_sort_onesweep_config_selectorIisEEZNS1_34radix_sort_onesweep_global_offsetsIS3_Lb0EN6thrust23THRUST_200600_302600_NS10device_ptrIiEENS9_IsEEjNS0_19identity_decomposerEEE10hipError_tT1_T2_PT3_SG_jT4_jjP12ihipStream_tbEUlT_E_NS1_11comp_targetILNS1_3genE4ELNS1_11target_archE910ELNS1_3gpuE8ELNS1_3repE0EEENS1_52radix_sort_onesweep_histogram_config_static_selectorELNS0_4arch9wavefront6targetE1EEEvSE_
                                        ; -- End function
	.set _ZN7rocprim17ROCPRIM_400000_NS6detail17trampoline_kernelINS0_14default_configENS1_35radix_sort_onesweep_config_selectorIisEEZNS1_34radix_sort_onesweep_global_offsetsIS3_Lb0EN6thrust23THRUST_200600_302600_NS10device_ptrIiEENS9_IsEEjNS0_19identity_decomposerEEE10hipError_tT1_T2_PT3_SG_jT4_jjP12ihipStream_tbEUlT_E_NS1_11comp_targetILNS1_3genE4ELNS1_11target_archE910ELNS1_3gpuE8ELNS1_3repE0EEENS1_52radix_sort_onesweep_histogram_config_static_selectorELNS0_4arch9wavefront6targetE1EEEvSE_.num_vgpr, 0
	.set _ZN7rocprim17ROCPRIM_400000_NS6detail17trampoline_kernelINS0_14default_configENS1_35radix_sort_onesweep_config_selectorIisEEZNS1_34radix_sort_onesweep_global_offsetsIS3_Lb0EN6thrust23THRUST_200600_302600_NS10device_ptrIiEENS9_IsEEjNS0_19identity_decomposerEEE10hipError_tT1_T2_PT3_SG_jT4_jjP12ihipStream_tbEUlT_E_NS1_11comp_targetILNS1_3genE4ELNS1_11target_archE910ELNS1_3gpuE8ELNS1_3repE0EEENS1_52radix_sort_onesweep_histogram_config_static_selectorELNS0_4arch9wavefront6targetE1EEEvSE_.num_agpr, 0
	.set _ZN7rocprim17ROCPRIM_400000_NS6detail17trampoline_kernelINS0_14default_configENS1_35radix_sort_onesweep_config_selectorIisEEZNS1_34radix_sort_onesweep_global_offsetsIS3_Lb0EN6thrust23THRUST_200600_302600_NS10device_ptrIiEENS9_IsEEjNS0_19identity_decomposerEEE10hipError_tT1_T2_PT3_SG_jT4_jjP12ihipStream_tbEUlT_E_NS1_11comp_targetILNS1_3genE4ELNS1_11target_archE910ELNS1_3gpuE8ELNS1_3repE0EEENS1_52radix_sort_onesweep_histogram_config_static_selectorELNS0_4arch9wavefront6targetE1EEEvSE_.numbered_sgpr, 0
	.set _ZN7rocprim17ROCPRIM_400000_NS6detail17trampoline_kernelINS0_14default_configENS1_35radix_sort_onesweep_config_selectorIisEEZNS1_34radix_sort_onesweep_global_offsetsIS3_Lb0EN6thrust23THRUST_200600_302600_NS10device_ptrIiEENS9_IsEEjNS0_19identity_decomposerEEE10hipError_tT1_T2_PT3_SG_jT4_jjP12ihipStream_tbEUlT_E_NS1_11comp_targetILNS1_3genE4ELNS1_11target_archE910ELNS1_3gpuE8ELNS1_3repE0EEENS1_52radix_sort_onesweep_histogram_config_static_selectorELNS0_4arch9wavefront6targetE1EEEvSE_.num_named_barrier, 0
	.set _ZN7rocprim17ROCPRIM_400000_NS6detail17trampoline_kernelINS0_14default_configENS1_35radix_sort_onesweep_config_selectorIisEEZNS1_34radix_sort_onesweep_global_offsetsIS3_Lb0EN6thrust23THRUST_200600_302600_NS10device_ptrIiEENS9_IsEEjNS0_19identity_decomposerEEE10hipError_tT1_T2_PT3_SG_jT4_jjP12ihipStream_tbEUlT_E_NS1_11comp_targetILNS1_3genE4ELNS1_11target_archE910ELNS1_3gpuE8ELNS1_3repE0EEENS1_52radix_sort_onesweep_histogram_config_static_selectorELNS0_4arch9wavefront6targetE1EEEvSE_.private_seg_size, 0
	.set _ZN7rocprim17ROCPRIM_400000_NS6detail17trampoline_kernelINS0_14default_configENS1_35radix_sort_onesweep_config_selectorIisEEZNS1_34radix_sort_onesweep_global_offsetsIS3_Lb0EN6thrust23THRUST_200600_302600_NS10device_ptrIiEENS9_IsEEjNS0_19identity_decomposerEEE10hipError_tT1_T2_PT3_SG_jT4_jjP12ihipStream_tbEUlT_E_NS1_11comp_targetILNS1_3genE4ELNS1_11target_archE910ELNS1_3gpuE8ELNS1_3repE0EEENS1_52radix_sort_onesweep_histogram_config_static_selectorELNS0_4arch9wavefront6targetE1EEEvSE_.uses_vcc, 0
	.set _ZN7rocprim17ROCPRIM_400000_NS6detail17trampoline_kernelINS0_14default_configENS1_35radix_sort_onesweep_config_selectorIisEEZNS1_34radix_sort_onesweep_global_offsetsIS3_Lb0EN6thrust23THRUST_200600_302600_NS10device_ptrIiEENS9_IsEEjNS0_19identity_decomposerEEE10hipError_tT1_T2_PT3_SG_jT4_jjP12ihipStream_tbEUlT_E_NS1_11comp_targetILNS1_3genE4ELNS1_11target_archE910ELNS1_3gpuE8ELNS1_3repE0EEENS1_52radix_sort_onesweep_histogram_config_static_selectorELNS0_4arch9wavefront6targetE1EEEvSE_.uses_flat_scratch, 0
	.set _ZN7rocprim17ROCPRIM_400000_NS6detail17trampoline_kernelINS0_14default_configENS1_35radix_sort_onesweep_config_selectorIisEEZNS1_34radix_sort_onesweep_global_offsetsIS3_Lb0EN6thrust23THRUST_200600_302600_NS10device_ptrIiEENS9_IsEEjNS0_19identity_decomposerEEE10hipError_tT1_T2_PT3_SG_jT4_jjP12ihipStream_tbEUlT_E_NS1_11comp_targetILNS1_3genE4ELNS1_11target_archE910ELNS1_3gpuE8ELNS1_3repE0EEENS1_52radix_sort_onesweep_histogram_config_static_selectorELNS0_4arch9wavefront6targetE1EEEvSE_.has_dyn_sized_stack, 0
	.set _ZN7rocprim17ROCPRIM_400000_NS6detail17trampoline_kernelINS0_14default_configENS1_35radix_sort_onesweep_config_selectorIisEEZNS1_34radix_sort_onesweep_global_offsetsIS3_Lb0EN6thrust23THRUST_200600_302600_NS10device_ptrIiEENS9_IsEEjNS0_19identity_decomposerEEE10hipError_tT1_T2_PT3_SG_jT4_jjP12ihipStream_tbEUlT_E_NS1_11comp_targetILNS1_3genE4ELNS1_11target_archE910ELNS1_3gpuE8ELNS1_3repE0EEENS1_52radix_sort_onesweep_histogram_config_static_selectorELNS0_4arch9wavefront6targetE1EEEvSE_.has_recursion, 0
	.set _ZN7rocprim17ROCPRIM_400000_NS6detail17trampoline_kernelINS0_14default_configENS1_35radix_sort_onesweep_config_selectorIisEEZNS1_34radix_sort_onesweep_global_offsetsIS3_Lb0EN6thrust23THRUST_200600_302600_NS10device_ptrIiEENS9_IsEEjNS0_19identity_decomposerEEE10hipError_tT1_T2_PT3_SG_jT4_jjP12ihipStream_tbEUlT_E_NS1_11comp_targetILNS1_3genE4ELNS1_11target_archE910ELNS1_3gpuE8ELNS1_3repE0EEENS1_52radix_sort_onesweep_histogram_config_static_selectorELNS0_4arch9wavefront6targetE1EEEvSE_.has_indirect_call, 0
	.section	.AMDGPU.csdata,"",@progbits
; Kernel info:
; codeLenInByte = 0
; TotalNumSgprs: 6
; NumVgprs: 0
; NumAgprs: 0
; TotalNumVgprs: 0
; ScratchSize: 0
; MemoryBound: 0
; FloatMode: 240
; IeeeMode: 1
; LDSByteSize: 0 bytes/workgroup (compile time only)
; SGPRBlocks: 0
; VGPRBlocks: 0
; NumSGPRsForWavesPerEU: 6
; NumVGPRsForWavesPerEU: 1
; AccumOffset: 4
; Occupancy: 8
; WaveLimiterHint : 0
; COMPUTE_PGM_RSRC2:SCRATCH_EN: 0
; COMPUTE_PGM_RSRC2:USER_SGPR: 2
; COMPUTE_PGM_RSRC2:TRAP_HANDLER: 0
; COMPUTE_PGM_RSRC2:TGID_X_EN: 1
; COMPUTE_PGM_RSRC2:TGID_Y_EN: 0
; COMPUTE_PGM_RSRC2:TGID_Z_EN: 0
; COMPUTE_PGM_RSRC2:TIDIG_COMP_CNT: 0
; COMPUTE_PGM_RSRC3_GFX90A:ACCUM_OFFSET: 0
; COMPUTE_PGM_RSRC3_GFX90A:TG_SPLIT: 0
	.section	.text._ZN7rocprim17ROCPRIM_400000_NS6detail17trampoline_kernelINS0_14default_configENS1_35radix_sort_onesweep_config_selectorIisEEZNS1_34radix_sort_onesweep_global_offsetsIS3_Lb0EN6thrust23THRUST_200600_302600_NS10device_ptrIiEENS9_IsEEjNS0_19identity_decomposerEEE10hipError_tT1_T2_PT3_SG_jT4_jjP12ihipStream_tbEUlT_E_NS1_11comp_targetILNS1_3genE3ELNS1_11target_archE908ELNS1_3gpuE7ELNS1_3repE0EEENS1_52radix_sort_onesweep_histogram_config_static_selectorELNS0_4arch9wavefront6targetE1EEEvSE_,"axG",@progbits,_ZN7rocprim17ROCPRIM_400000_NS6detail17trampoline_kernelINS0_14default_configENS1_35radix_sort_onesweep_config_selectorIisEEZNS1_34radix_sort_onesweep_global_offsetsIS3_Lb0EN6thrust23THRUST_200600_302600_NS10device_ptrIiEENS9_IsEEjNS0_19identity_decomposerEEE10hipError_tT1_T2_PT3_SG_jT4_jjP12ihipStream_tbEUlT_E_NS1_11comp_targetILNS1_3genE3ELNS1_11target_archE908ELNS1_3gpuE7ELNS1_3repE0EEENS1_52radix_sort_onesweep_histogram_config_static_selectorELNS0_4arch9wavefront6targetE1EEEvSE_,comdat
	.protected	_ZN7rocprim17ROCPRIM_400000_NS6detail17trampoline_kernelINS0_14default_configENS1_35radix_sort_onesweep_config_selectorIisEEZNS1_34radix_sort_onesweep_global_offsetsIS3_Lb0EN6thrust23THRUST_200600_302600_NS10device_ptrIiEENS9_IsEEjNS0_19identity_decomposerEEE10hipError_tT1_T2_PT3_SG_jT4_jjP12ihipStream_tbEUlT_E_NS1_11comp_targetILNS1_3genE3ELNS1_11target_archE908ELNS1_3gpuE7ELNS1_3repE0EEENS1_52radix_sort_onesweep_histogram_config_static_selectorELNS0_4arch9wavefront6targetE1EEEvSE_ ; -- Begin function _ZN7rocprim17ROCPRIM_400000_NS6detail17trampoline_kernelINS0_14default_configENS1_35radix_sort_onesweep_config_selectorIisEEZNS1_34radix_sort_onesweep_global_offsetsIS3_Lb0EN6thrust23THRUST_200600_302600_NS10device_ptrIiEENS9_IsEEjNS0_19identity_decomposerEEE10hipError_tT1_T2_PT3_SG_jT4_jjP12ihipStream_tbEUlT_E_NS1_11comp_targetILNS1_3genE3ELNS1_11target_archE908ELNS1_3gpuE7ELNS1_3repE0EEENS1_52radix_sort_onesweep_histogram_config_static_selectorELNS0_4arch9wavefront6targetE1EEEvSE_
	.globl	_ZN7rocprim17ROCPRIM_400000_NS6detail17trampoline_kernelINS0_14default_configENS1_35radix_sort_onesweep_config_selectorIisEEZNS1_34radix_sort_onesweep_global_offsetsIS3_Lb0EN6thrust23THRUST_200600_302600_NS10device_ptrIiEENS9_IsEEjNS0_19identity_decomposerEEE10hipError_tT1_T2_PT3_SG_jT4_jjP12ihipStream_tbEUlT_E_NS1_11comp_targetILNS1_3genE3ELNS1_11target_archE908ELNS1_3gpuE7ELNS1_3repE0EEENS1_52radix_sort_onesweep_histogram_config_static_selectorELNS0_4arch9wavefront6targetE1EEEvSE_
	.p2align	8
	.type	_ZN7rocprim17ROCPRIM_400000_NS6detail17trampoline_kernelINS0_14default_configENS1_35radix_sort_onesweep_config_selectorIisEEZNS1_34radix_sort_onesweep_global_offsetsIS3_Lb0EN6thrust23THRUST_200600_302600_NS10device_ptrIiEENS9_IsEEjNS0_19identity_decomposerEEE10hipError_tT1_T2_PT3_SG_jT4_jjP12ihipStream_tbEUlT_E_NS1_11comp_targetILNS1_3genE3ELNS1_11target_archE908ELNS1_3gpuE7ELNS1_3repE0EEENS1_52radix_sort_onesweep_histogram_config_static_selectorELNS0_4arch9wavefront6targetE1EEEvSE_,@function
_ZN7rocprim17ROCPRIM_400000_NS6detail17trampoline_kernelINS0_14default_configENS1_35radix_sort_onesweep_config_selectorIisEEZNS1_34radix_sort_onesweep_global_offsetsIS3_Lb0EN6thrust23THRUST_200600_302600_NS10device_ptrIiEENS9_IsEEjNS0_19identity_decomposerEEE10hipError_tT1_T2_PT3_SG_jT4_jjP12ihipStream_tbEUlT_E_NS1_11comp_targetILNS1_3genE3ELNS1_11target_archE908ELNS1_3gpuE7ELNS1_3repE0EEENS1_52radix_sort_onesweep_histogram_config_static_selectorELNS0_4arch9wavefront6targetE1EEEvSE_: ; @_ZN7rocprim17ROCPRIM_400000_NS6detail17trampoline_kernelINS0_14default_configENS1_35radix_sort_onesweep_config_selectorIisEEZNS1_34radix_sort_onesweep_global_offsetsIS3_Lb0EN6thrust23THRUST_200600_302600_NS10device_ptrIiEENS9_IsEEjNS0_19identity_decomposerEEE10hipError_tT1_T2_PT3_SG_jT4_jjP12ihipStream_tbEUlT_E_NS1_11comp_targetILNS1_3genE3ELNS1_11target_archE908ELNS1_3gpuE7ELNS1_3repE0EEENS1_52radix_sort_onesweep_histogram_config_static_selectorELNS0_4arch9wavefront6targetE1EEEvSE_
; %bb.0:
	.section	.rodata,"a",@progbits
	.p2align	6, 0x0
	.amdhsa_kernel _ZN7rocprim17ROCPRIM_400000_NS6detail17trampoline_kernelINS0_14default_configENS1_35radix_sort_onesweep_config_selectorIisEEZNS1_34radix_sort_onesweep_global_offsetsIS3_Lb0EN6thrust23THRUST_200600_302600_NS10device_ptrIiEENS9_IsEEjNS0_19identity_decomposerEEE10hipError_tT1_T2_PT3_SG_jT4_jjP12ihipStream_tbEUlT_E_NS1_11comp_targetILNS1_3genE3ELNS1_11target_archE908ELNS1_3gpuE7ELNS1_3repE0EEENS1_52radix_sort_onesweep_histogram_config_static_selectorELNS0_4arch9wavefront6targetE1EEEvSE_
		.amdhsa_group_segment_fixed_size 0
		.amdhsa_private_segment_fixed_size 0
		.amdhsa_kernarg_size 40
		.amdhsa_user_sgpr_count 2
		.amdhsa_user_sgpr_dispatch_ptr 0
		.amdhsa_user_sgpr_queue_ptr 0
		.amdhsa_user_sgpr_kernarg_segment_ptr 1
		.amdhsa_user_sgpr_dispatch_id 0
		.amdhsa_user_sgpr_kernarg_preload_length 0
		.amdhsa_user_sgpr_kernarg_preload_offset 0
		.amdhsa_user_sgpr_private_segment_size 0
		.amdhsa_uses_dynamic_stack 0
		.amdhsa_enable_private_segment 0
		.amdhsa_system_sgpr_workgroup_id_x 1
		.amdhsa_system_sgpr_workgroup_id_y 0
		.amdhsa_system_sgpr_workgroup_id_z 0
		.amdhsa_system_sgpr_workgroup_info 0
		.amdhsa_system_vgpr_workitem_id 0
		.amdhsa_next_free_vgpr 1
		.amdhsa_next_free_sgpr 0
		.amdhsa_accum_offset 4
		.amdhsa_reserve_vcc 0
		.amdhsa_float_round_mode_32 0
		.amdhsa_float_round_mode_16_64 0
		.amdhsa_float_denorm_mode_32 3
		.amdhsa_float_denorm_mode_16_64 3
		.amdhsa_dx10_clamp 1
		.amdhsa_ieee_mode 1
		.amdhsa_fp16_overflow 0
		.amdhsa_tg_split 0
		.amdhsa_exception_fp_ieee_invalid_op 0
		.amdhsa_exception_fp_denorm_src 0
		.amdhsa_exception_fp_ieee_div_zero 0
		.amdhsa_exception_fp_ieee_overflow 0
		.amdhsa_exception_fp_ieee_underflow 0
		.amdhsa_exception_fp_ieee_inexact 0
		.amdhsa_exception_int_div_zero 0
	.end_amdhsa_kernel
	.section	.text._ZN7rocprim17ROCPRIM_400000_NS6detail17trampoline_kernelINS0_14default_configENS1_35radix_sort_onesweep_config_selectorIisEEZNS1_34radix_sort_onesweep_global_offsetsIS3_Lb0EN6thrust23THRUST_200600_302600_NS10device_ptrIiEENS9_IsEEjNS0_19identity_decomposerEEE10hipError_tT1_T2_PT3_SG_jT4_jjP12ihipStream_tbEUlT_E_NS1_11comp_targetILNS1_3genE3ELNS1_11target_archE908ELNS1_3gpuE7ELNS1_3repE0EEENS1_52radix_sort_onesweep_histogram_config_static_selectorELNS0_4arch9wavefront6targetE1EEEvSE_,"axG",@progbits,_ZN7rocprim17ROCPRIM_400000_NS6detail17trampoline_kernelINS0_14default_configENS1_35radix_sort_onesweep_config_selectorIisEEZNS1_34radix_sort_onesweep_global_offsetsIS3_Lb0EN6thrust23THRUST_200600_302600_NS10device_ptrIiEENS9_IsEEjNS0_19identity_decomposerEEE10hipError_tT1_T2_PT3_SG_jT4_jjP12ihipStream_tbEUlT_E_NS1_11comp_targetILNS1_3genE3ELNS1_11target_archE908ELNS1_3gpuE7ELNS1_3repE0EEENS1_52radix_sort_onesweep_histogram_config_static_selectorELNS0_4arch9wavefront6targetE1EEEvSE_,comdat
.Lfunc_end2409:
	.size	_ZN7rocprim17ROCPRIM_400000_NS6detail17trampoline_kernelINS0_14default_configENS1_35radix_sort_onesweep_config_selectorIisEEZNS1_34radix_sort_onesweep_global_offsetsIS3_Lb0EN6thrust23THRUST_200600_302600_NS10device_ptrIiEENS9_IsEEjNS0_19identity_decomposerEEE10hipError_tT1_T2_PT3_SG_jT4_jjP12ihipStream_tbEUlT_E_NS1_11comp_targetILNS1_3genE3ELNS1_11target_archE908ELNS1_3gpuE7ELNS1_3repE0EEENS1_52radix_sort_onesweep_histogram_config_static_selectorELNS0_4arch9wavefront6targetE1EEEvSE_, .Lfunc_end2409-_ZN7rocprim17ROCPRIM_400000_NS6detail17trampoline_kernelINS0_14default_configENS1_35radix_sort_onesweep_config_selectorIisEEZNS1_34radix_sort_onesweep_global_offsetsIS3_Lb0EN6thrust23THRUST_200600_302600_NS10device_ptrIiEENS9_IsEEjNS0_19identity_decomposerEEE10hipError_tT1_T2_PT3_SG_jT4_jjP12ihipStream_tbEUlT_E_NS1_11comp_targetILNS1_3genE3ELNS1_11target_archE908ELNS1_3gpuE7ELNS1_3repE0EEENS1_52radix_sort_onesweep_histogram_config_static_selectorELNS0_4arch9wavefront6targetE1EEEvSE_
                                        ; -- End function
	.set _ZN7rocprim17ROCPRIM_400000_NS6detail17trampoline_kernelINS0_14default_configENS1_35radix_sort_onesweep_config_selectorIisEEZNS1_34radix_sort_onesweep_global_offsetsIS3_Lb0EN6thrust23THRUST_200600_302600_NS10device_ptrIiEENS9_IsEEjNS0_19identity_decomposerEEE10hipError_tT1_T2_PT3_SG_jT4_jjP12ihipStream_tbEUlT_E_NS1_11comp_targetILNS1_3genE3ELNS1_11target_archE908ELNS1_3gpuE7ELNS1_3repE0EEENS1_52radix_sort_onesweep_histogram_config_static_selectorELNS0_4arch9wavefront6targetE1EEEvSE_.num_vgpr, 0
	.set _ZN7rocprim17ROCPRIM_400000_NS6detail17trampoline_kernelINS0_14default_configENS1_35radix_sort_onesweep_config_selectorIisEEZNS1_34radix_sort_onesweep_global_offsetsIS3_Lb0EN6thrust23THRUST_200600_302600_NS10device_ptrIiEENS9_IsEEjNS0_19identity_decomposerEEE10hipError_tT1_T2_PT3_SG_jT4_jjP12ihipStream_tbEUlT_E_NS1_11comp_targetILNS1_3genE3ELNS1_11target_archE908ELNS1_3gpuE7ELNS1_3repE0EEENS1_52radix_sort_onesweep_histogram_config_static_selectorELNS0_4arch9wavefront6targetE1EEEvSE_.num_agpr, 0
	.set _ZN7rocprim17ROCPRIM_400000_NS6detail17trampoline_kernelINS0_14default_configENS1_35radix_sort_onesweep_config_selectorIisEEZNS1_34radix_sort_onesweep_global_offsetsIS3_Lb0EN6thrust23THRUST_200600_302600_NS10device_ptrIiEENS9_IsEEjNS0_19identity_decomposerEEE10hipError_tT1_T2_PT3_SG_jT4_jjP12ihipStream_tbEUlT_E_NS1_11comp_targetILNS1_3genE3ELNS1_11target_archE908ELNS1_3gpuE7ELNS1_3repE0EEENS1_52radix_sort_onesweep_histogram_config_static_selectorELNS0_4arch9wavefront6targetE1EEEvSE_.numbered_sgpr, 0
	.set _ZN7rocprim17ROCPRIM_400000_NS6detail17trampoline_kernelINS0_14default_configENS1_35radix_sort_onesweep_config_selectorIisEEZNS1_34radix_sort_onesweep_global_offsetsIS3_Lb0EN6thrust23THRUST_200600_302600_NS10device_ptrIiEENS9_IsEEjNS0_19identity_decomposerEEE10hipError_tT1_T2_PT3_SG_jT4_jjP12ihipStream_tbEUlT_E_NS1_11comp_targetILNS1_3genE3ELNS1_11target_archE908ELNS1_3gpuE7ELNS1_3repE0EEENS1_52radix_sort_onesweep_histogram_config_static_selectorELNS0_4arch9wavefront6targetE1EEEvSE_.num_named_barrier, 0
	.set _ZN7rocprim17ROCPRIM_400000_NS6detail17trampoline_kernelINS0_14default_configENS1_35radix_sort_onesweep_config_selectorIisEEZNS1_34radix_sort_onesweep_global_offsetsIS3_Lb0EN6thrust23THRUST_200600_302600_NS10device_ptrIiEENS9_IsEEjNS0_19identity_decomposerEEE10hipError_tT1_T2_PT3_SG_jT4_jjP12ihipStream_tbEUlT_E_NS1_11comp_targetILNS1_3genE3ELNS1_11target_archE908ELNS1_3gpuE7ELNS1_3repE0EEENS1_52radix_sort_onesweep_histogram_config_static_selectorELNS0_4arch9wavefront6targetE1EEEvSE_.private_seg_size, 0
	.set _ZN7rocprim17ROCPRIM_400000_NS6detail17trampoline_kernelINS0_14default_configENS1_35radix_sort_onesweep_config_selectorIisEEZNS1_34radix_sort_onesweep_global_offsetsIS3_Lb0EN6thrust23THRUST_200600_302600_NS10device_ptrIiEENS9_IsEEjNS0_19identity_decomposerEEE10hipError_tT1_T2_PT3_SG_jT4_jjP12ihipStream_tbEUlT_E_NS1_11comp_targetILNS1_3genE3ELNS1_11target_archE908ELNS1_3gpuE7ELNS1_3repE0EEENS1_52radix_sort_onesweep_histogram_config_static_selectorELNS0_4arch9wavefront6targetE1EEEvSE_.uses_vcc, 0
	.set _ZN7rocprim17ROCPRIM_400000_NS6detail17trampoline_kernelINS0_14default_configENS1_35radix_sort_onesweep_config_selectorIisEEZNS1_34radix_sort_onesweep_global_offsetsIS3_Lb0EN6thrust23THRUST_200600_302600_NS10device_ptrIiEENS9_IsEEjNS0_19identity_decomposerEEE10hipError_tT1_T2_PT3_SG_jT4_jjP12ihipStream_tbEUlT_E_NS1_11comp_targetILNS1_3genE3ELNS1_11target_archE908ELNS1_3gpuE7ELNS1_3repE0EEENS1_52radix_sort_onesweep_histogram_config_static_selectorELNS0_4arch9wavefront6targetE1EEEvSE_.uses_flat_scratch, 0
	.set _ZN7rocprim17ROCPRIM_400000_NS6detail17trampoline_kernelINS0_14default_configENS1_35radix_sort_onesweep_config_selectorIisEEZNS1_34radix_sort_onesweep_global_offsetsIS3_Lb0EN6thrust23THRUST_200600_302600_NS10device_ptrIiEENS9_IsEEjNS0_19identity_decomposerEEE10hipError_tT1_T2_PT3_SG_jT4_jjP12ihipStream_tbEUlT_E_NS1_11comp_targetILNS1_3genE3ELNS1_11target_archE908ELNS1_3gpuE7ELNS1_3repE0EEENS1_52radix_sort_onesweep_histogram_config_static_selectorELNS0_4arch9wavefront6targetE1EEEvSE_.has_dyn_sized_stack, 0
	.set _ZN7rocprim17ROCPRIM_400000_NS6detail17trampoline_kernelINS0_14default_configENS1_35radix_sort_onesweep_config_selectorIisEEZNS1_34radix_sort_onesweep_global_offsetsIS3_Lb0EN6thrust23THRUST_200600_302600_NS10device_ptrIiEENS9_IsEEjNS0_19identity_decomposerEEE10hipError_tT1_T2_PT3_SG_jT4_jjP12ihipStream_tbEUlT_E_NS1_11comp_targetILNS1_3genE3ELNS1_11target_archE908ELNS1_3gpuE7ELNS1_3repE0EEENS1_52radix_sort_onesweep_histogram_config_static_selectorELNS0_4arch9wavefront6targetE1EEEvSE_.has_recursion, 0
	.set _ZN7rocprim17ROCPRIM_400000_NS6detail17trampoline_kernelINS0_14default_configENS1_35radix_sort_onesweep_config_selectorIisEEZNS1_34radix_sort_onesweep_global_offsetsIS3_Lb0EN6thrust23THRUST_200600_302600_NS10device_ptrIiEENS9_IsEEjNS0_19identity_decomposerEEE10hipError_tT1_T2_PT3_SG_jT4_jjP12ihipStream_tbEUlT_E_NS1_11comp_targetILNS1_3genE3ELNS1_11target_archE908ELNS1_3gpuE7ELNS1_3repE0EEENS1_52radix_sort_onesweep_histogram_config_static_selectorELNS0_4arch9wavefront6targetE1EEEvSE_.has_indirect_call, 0
	.section	.AMDGPU.csdata,"",@progbits
; Kernel info:
; codeLenInByte = 0
; TotalNumSgprs: 6
; NumVgprs: 0
; NumAgprs: 0
; TotalNumVgprs: 0
; ScratchSize: 0
; MemoryBound: 0
; FloatMode: 240
; IeeeMode: 1
; LDSByteSize: 0 bytes/workgroup (compile time only)
; SGPRBlocks: 0
; VGPRBlocks: 0
; NumSGPRsForWavesPerEU: 6
; NumVGPRsForWavesPerEU: 1
; AccumOffset: 4
; Occupancy: 8
; WaveLimiterHint : 0
; COMPUTE_PGM_RSRC2:SCRATCH_EN: 0
; COMPUTE_PGM_RSRC2:USER_SGPR: 2
; COMPUTE_PGM_RSRC2:TRAP_HANDLER: 0
; COMPUTE_PGM_RSRC2:TGID_X_EN: 1
; COMPUTE_PGM_RSRC2:TGID_Y_EN: 0
; COMPUTE_PGM_RSRC2:TGID_Z_EN: 0
; COMPUTE_PGM_RSRC2:TIDIG_COMP_CNT: 0
; COMPUTE_PGM_RSRC3_GFX90A:ACCUM_OFFSET: 0
; COMPUTE_PGM_RSRC3_GFX90A:TG_SPLIT: 0
	.section	.text._ZN7rocprim17ROCPRIM_400000_NS6detail17trampoline_kernelINS0_14default_configENS1_35radix_sort_onesweep_config_selectorIisEEZNS1_34radix_sort_onesweep_global_offsetsIS3_Lb0EN6thrust23THRUST_200600_302600_NS10device_ptrIiEENS9_IsEEjNS0_19identity_decomposerEEE10hipError_tT1_T2_PT3_SG_jT4_jjP12ihipStream_tbEUlT_E_NS1_11comp_targetILNS1_3genE10ELNS1_11target_archE1201ELNS1_3gpuE5ELNS1_3repE0EEENS1_52radix_sort_onesweep_histogram_config_static_selectorELNS0_4arch9wavefront6targetE1EEEvSE_,"axG",@progbits,_ZN7rocprim17ROCPRIM_400000_NS6detail17trampoline_kernelINS0_14default_configENS1_35radix_sort_onesweep_config_selectorIisEEZNS1_34radix_sort_onesweep_global_offsetsIS3_Lb0EN6thrust23THRUST_200600_302600_NS10device_ptrIiEENS9_IsEEjNS0_19identity_decomposerEEE10hipError_tT1_T2_PT3_SG_jT4_jjP12ihipStream_tbEUlT_E_NS1_11comp_targetILNS1_3genE10ELNS1_11target_archE1201ELNS1_3gpuE5ELNS1_3repE0EEENS1_52radix_sort_onesweep_histogram_config_static_selectorELNS0_4arch9wavefront6targetE1EEEvSE_,comdat
	.protected	_ZN7rocprim17ROCPRIM_400000_NS6detail17trampoline_kernelINS0_14default_configENS1_35radix_sort_onesweep_config_selectorIisEEZNS1_34radix_sort_onesweep_global_offsetsIS3_Lb0EN6thrust23THRUST_200600_302600_NS10device_ptrIiEENS9_IsEEjNS0_19identity_decomposerEEE10hipError_tT1_T2_PT3_SG_jT4_jjP12ihipStream_tbEUlT_E_NS1_11comp_targetILNS1_3genE10ELNS1_11target_archE1201ELNS1_3gpuE5ELNS1_3repE0EEENS1_52radix_sort_onesweep_histogram_config_static_selectorELNS0_4arch9wavefront6targetE1EEEvSE_ ; -- Begin function _ZN7rocprim17ROCPRIM_400000_NS6detail17trampoline_kernelINS0_14default_configENS1_35radix_sort_onesweep_config_selectorIisEEZNS1_34radix_sort_onesweep_global_offsetsIS3_Lb0EN6thrust23THRUST_200600_302600_NS10device_ptrIiEENS9_IsEEjNS0_19identity_decomposerEEE10hipError_tT1_T2_PT3_SG_jT4_jjP12ihipStream_tbEUlT_E_NS1_11comp_targetILNS1_3genE10ELNS1_11target_archE1201ELNS1_3gpuE5ELNS1_3repE0EEENS1_52radix_sort_onesweep_histogram_config_static_selectorELNS0_4arch9wavefront6targetE1EEEvSE_
	.globl	_ZN7rocprim17ROCPRIM_400000_NS6detail17trampoline_kernelINS0_14default_configENS1_35radix_sort_onesweep_config_selectorIisEEZNS1_34radix_sort_onesweep_global_offsetsIS3_Lb0EN6thrust23THRUST_200600_302600_NS10device_ptrIiEENS9_IsEEjNS0_19identity_decomposerEEE10hipError_tT1_T2_PT3_SG_jT4_jjP12ihipStream_tbEUlT_E_NS1_11comp_targetILNS1_3genE10ELNS1_11target_archE1201ELNS1_3gpuE5ELNS1_3repE0EEENS1_52radix_sort_onesweep_histogram_config_static_selectorELNS0_4arch9wavefront6targetE1EEEvSE_
	.p2align	8
	.type	_ZN7rocprim17ROCPRIM_400000_NS6detail17trampoline_kernelINS0_14default_configENS1_35radix_sort_onesweep_config_selectorIisEEZNS1_34radix_sort_onesweep_global_offsetsIS3_Lb0EN6thrust23THRUST_200600_302600_NS10device_ptrIiEENS9_IsEEjNS0_19identity_decomposerEEE10hipError_tT1_T2_PT3_SG_jT4_jjP12ihipStream_tbEUlT_E_NS1_11comp_targetILNS1_3genE10ELNS1_11target_archE1201ELNS1_3gpuE5ELNS1_3repE0EEENS1_52radix_sort_onesweep_histogram_config_static_selectorELNS0_4arch9wavefront6targetE1EEEvSE_,@function
_ZN7rocprim17ROCPRIM_400000_NS6detail17trampoline_kernelINS0_14default_configENS1_35radix_sort_onesweep_config_selectorIisEEZNS1_34radix_sort_onesweep_global_offsetsIS3_Lb0EN6thrust23THRUST_200600_302600_NS10device_ptrIiEENS9_IsEEjNS0_19identity_decomposerEEE10hipError_tT1_T2_PT3_SG_jT4_jjP12ihipStream_tbEUlT_E_NS1_11comp_targetILNS1_3genE10ELNS1_11target_archE1201ELNS1_3gpuE5ELNS1_3repE0EEENS1_52radix_sort_onesweep_histogram_config_static_selectorELNS0_4arch9wavefront6targetE1EEEvSE_: ; @_ZN7rocprim17ROCPRIM_400000_NS6detail17trampoline_kernelINS0_14default_configENS1_35radix_sort_onesweep_config_selectorIisEEZNS1_34radix_sort_onesweep_global_offsetsIS3_Lb0EN6thrust23THRUST_200600_302600_NS10device_ptrIiEENS9_IsEEjNS0_19identity_decomposerEEE10hipError_tT1_T2_PT3_SG_jT4_jjP12ihipStream_tbEUlT_E_NS1_11comp_targetILNS1_3genE10ELNS1_11target_archE1201ELNS1_3gpuE5ELNS1_3repE0EEENS1_52radix_sort_onesweep_histogram_config_static_selectorELNS0_4arch9wavefront6targetE1EEEvSE_
; %bb.0:
	.section	.rodata,"a",@progbits
	.p2align	6, 0x0
	.amdhsa_kernel _ZN7rocprim17ROCPRIM_400000_NS6detail17trampoline_kernelINS0_14default_configENS1_35radix_sort_onesweep_config_selectorIisEEZNS1_34radix_sort_onesweep_global_offsetsIS3_Lb0EN6thrust23THRUST_200600_302600_NS10device_ptrIiEENS9_IsEEjNS0_19identity_decomposerEEE10hipError_tT1_T2_PT3_SG_jT4_jjP12ihipStream_tbEUlT_E_NS1_11comp_targetILNS1_3genE10ELNS1_11target_archE1201ELNS1_3gpuE5ELNS1_3repE0EEENS1_52radix_sort_onesweep_histogram_config_static_selectorELNS0_4arch9wavefront6targetE1EEEvSE_
		.amdhsa_group_segment_fixed_size 0
		.amdhsa_private_segment_fixed_size 0
		.amdhsa_kernarg_size 40
		.amdhsa_user_sgpr_count 2
		.amdhsa_user_sgpr_dispatch_ptr 0
		.amdhsa_user_sgpr_queue_ptr 0
		.amdhsa_user_sgpr_kernarg_segment_ptr 1
		.amdhsa_user_sgpr_dispatch_id 0
		.amdhsa_user_sgpr_kernarg_preload_length 0
		.amdhsa_user_sgpr_kernarg_preload_offset 0
		.amdhsa_user_sgpr_private_segment_size 0
		.amdhsa_uses_dynamic_stack 0
		.amdhsa_enable_private_segment 0
		.amdhsa_system_sgpr_workgroup_id_x 1
		.amdhsa_system_sgpr_workgroup_id_y 0
		.amdhsa_system_sgpr_workgroup_id_z 0
		.amdhsa_system_sgpr_workgroup_info 0
		.amdhsa_system_vgpr_workitem_id 0
		.amdhsa_next_free_vgpr 1
		.amdhsa_next_free_sgpr 0
		.amdhsa_accum_offset 4
		.amdhsa_reserve_vcc 0
		.amdhsa_float_round_mode_32 0
		.amdhsa_float_round_mode_16_64 0
		.amdhsa_float_denorm_mode_32 3
		.amdhsa_float_denorm_mode_16_64 3
		.amdhsa_dx10_clamp 1
		.amdhsa_ieee_mode 1
		.amdhsa_fp16_overflow 0
		.amdhsa_tg_split 0
		.amdhsa_exception_fp_ieee_invalid_op 0
		.amdhsa_exception_fp_denorm_src 0
		.amdhsa_exception_fp_ieee_div_zero 0
		.amdhsa_exception_fp_ieee_overflow 0
		.amdhsa_exception_fp_ieee_underflow 0
		.amdhsa_exception_fp_ieee_inexact 0
		.amdhsa_exception_int_div_zero 0
	.end_amdhsa_kernel
	.section	.text._ZN7rocprim17ROCPRIM_400000_NS6detail17trampoline_kernelINS0_14default_configENS1_35radix_sort_onesweep_config_selectorIisEEZNS1_34radix_sort_onesweep_global_offsetsIS3_Lb0EN6thrust23THRUST_200600_302600_NS10device_ptrIiEENS9_IsEEjNS0_19identity_decomposerEEE10hipError_tT1_T2_PT3_SG_jT4_jjP12ihipStream_tbEUlT_E_NS1_11comp_targetILNS1_3genE10ELNS1_11target_archE1201ELNS1_3gpuE5ELNS1_3repE0EEENS1_52radix_sort_onesweep_histogram_config_static_selectorELNS0_4arch9wavefront6targetE1EEEvSE_,"axG",@progbits,_ZN7rocprim17ROCPRIM_400000_NS6detail17trampoline_kernelINS0_14default_configENS1_35radix_sort_onesweep_config_selectorIisEEZNS1_34radix_sort_onesweep_global_offsetsIS3_Lb0EN6thrust23THRUST_200600_302600_NS10device_ptrIiEENS9_IsEEjNS0_19identity_decomposerEEE10hipError_tT1_T2_PT3_SG_jT4_jjP12ihipStream_tbEUlT_E_NS1_11comp_targetILNS1_3genE10ELNS1_11target_archE1201ELNS1_3gpuE5ELNS1_3repE0EEENS1_52radix_sort_onesweep_histogram_config_static_selectorELNS0_4arch9wavefront6targetE1EEEvSE_,comdat
.Lfunc_end2410:
	.size	_ZN7rocprim17ROCPRIM_400000_NS6detail17trampoline_kernelINS0_14default_configENS1_35radix_sort_onesweep_config_selectorIisEEZNS1_34radix_sort_onesweep_global_offsetsIS3_Lb0EN6thrust23THRUST_200600_302600_NS10device_ptrIiEENS9_IsEEjNS0_19identity_decomposerEEE10hipError_tT1_T2_PT3_SG_jT4_jjP12ihipStream_tbEUlT_E_NS1_11comp_targetILNS1_3genE10ELNS1_11target_archE1201ELNS1_3gpuE5ELNS1_3repE0EEENS1_52radix_sort_onesweep_histogram_config_static_selectorELNS0_4arch9wavefront6targetE1EEEvSE_, .Lfunc_end2410-_ZN7rocprim17ROCPRIM_400000_NS6detail17trampoline_kernelINS0_14default_configENS1_35radix_sort_onesweep_config_selectorIisEEZNS1_34radix_sort_onesweep_global_offsetsIS3_Lb0EN6thrust23THRUST_200600_302600_NS10device_ptrIiEENS9_IsEEjNS0_19identity_decomposerEEE10hipError_tT1_T2_PT3_SG_jT4_jjP12ihipStream_tbEUlT_E_NS1_11comp_targetILNS1_3genE10ELNS1_11target_archE1201ELNS1_3gpuE5ELNS1_3repE0EEENS1_52radix_sort_onesweep_histogram_config_static_selectorELNS0_4arch9wavefront6targetE1EEEvSE_
                                        ; -- End function
	.set _ZN7rocprim17ROCPRIM_400000_NS6detail17trampoline_kernelINS0_14default_configENS1_35radix_sort_onesweep_config_selectorIisEEZNS1_34radix_sort_onesweep_global_offsetsIS3_Lb0EN6thrust23THRUST_200600_302600_NS10device_ptrIiEENS9_IsEEjNS0_19identity_decomposerEEE10hipError_tT1_T2_PT3_SG_jT4_jjP12ihipStream_tbEUlT_E_NS1_11comp_targetILNS1_3genE10ELNS1_11target_archE1201ELNS1_3gpuE5ELNS1_3repE0EEENS1_52radix_sort_onesweep_histogram_config_static_selectorELNS0_4arch9wavefront6targetE1EEEvSE_.num_vgpr, 0
	.set _ZN7rocprim17ROCPRIM_400000_NS6detail17trampoline_kernelINS0_14default_configENS1_35radix_sort_onesweep_config_selectorIisEEZNS1_34radix_sort_onesweep_global_offsetsIS3_Lb0EN6thrust23THRUST_200600_302600_NS10device_ptrIiEENS9_IsEEjNS0_19identity_decomposerEEE10hipError_tT1_T2_PT3_SG_jT4_jjP12ihipStream_tbEUlT_E_NS1_11comp_targetILNS1_3genE10ELNS1_11target_archE1201ELNS1_3gpuE5ELNS1_3repE0EEENS1_52radix_sort_onesweep_histogram_config_static_selectorELNS0_4arch9wavefront6targetE1EEEvSE_.num_agpr, 0
	.set _ZN7rocprim17ROCPRIM_400000_NS6detail17trampoline_kernelINS0_14default_configENS1_35radix_sort_onesweep_config_selectorIisEEZNS1_34radix_sort_onesweep_global_offsetsIS3_Lb0EN6thrust23THRUST_200600_302600_NS10device_ptrIiEENS9_IsEEjNS0_19identity_decomposerEEE10hipError_tT1_T2_PT3_SG_jT4_jjP12ihipStream_tbEUlT_E_NS1_11comp_targetILNS1_3genE10ELNS1_11target_archE1201ELNS1_3gpuE5ELNS1_3repE0EEENS1_52radix_sort_onesweep_histogram_config_static_selectorELNS0_4arch9wavefront6targetE1EEEvSE_.numbered_sgpr, 0
	.set _ZN7rocprim17ROCPRIM_400000_NS6detail17trampoline_kernelINS0_14default_configENS1_35radix_sort_onesweep_config_selectorIisEEZNS1_34radix_sort_onesweep_global_offsetsIS3_Lb0EN6thrust23THRUST_200600_302600_NS10device_ptrIiEENS9_IsEEjNS0_19identity_decomposerEEE10hipError_tT1_T2_PT3_SG_jT4_jjP12ihipStream_tbEUlT_E_NS1_11comp_targetILNS1_3genE10ELNS1_11target_archE1201ELNS1_3gpuE5ELNS1_3repE0EEENS1_52radix_sort_onesweep_histogram_config_static_selectorELNS0_4arch9wavefront6targetE1EEEvSE_.num_named_barrier, 0
	.set _ZN7rocprim17ROCPRIM_400000_NS6detail17trampoline_kernelINS0_14default_configENS1_35radix_sort_onesweep_config_selectorIisEEZNS1_34radix_sort_onesweep_global_offsetsIS3_Lb0EN6thrust23THRUST_200600_302600_NS10device_ptrIiEENS9_IsEEjNS0_19identity_decomposerEEE10hipError_tT1_T2_PT3_SG_jT4_jjP12ihipStream_tbEUlT_E_NS1_11comp_targetILNS1_3genE10ELNS1_11target_archE1201ELNS1_3gpuE5ELNS1_3repE0EEENS1_52radix_sort_onesweep_histogram_config_static_selectorELNS0_4arch9wavefront6targetE1EEEvSE_.private_seg_size, 0
	.set _ZN7rocprim17ROCPRIM_400000_NS6detail17trampoline_kernelINS0_14default_configENS1_35radix_sort_onesweep_config_selectorIisEEZNS1_34radix_sort_onesweep_global_offsetsIS3_Lb0EN6thrust23THRUST_200600_302600_NS10device_ptrIiEENS9_IsEEjNS0_19identity_decomposerEEE10hipError_tT1_T2_PT3_SG_jT4_jjP12ihipStream_tbEUlT_E_NS1_11comp_targetILNS1_3genE10ELNS1_11target_archE1201ELNS1_3gpuE5ELNS1_3repE0EEENS1_52radix_sort_onesweep_histogram_config_static_selectorELNS0_4arch9wavefront6targetE1EEEvSE_.uses_vcc, 0
	.set _ZN7rocprim17ROCPRIM_400000_NS6detail17trampoline_kernelINS0_14default_configENS1_35radix_sort_onesweep_config_selectorIisEEZNS1_34radix_sort_onesweep_global_offsetsIS3_Lb0EN6thrust23THRUST_200600_302600_NS10device_ptrIiEENS9_IsEEjNS0_19identity_decomposerEEE10hipError_tT1_T2_PT3_SG_jT4_jjP12ihipStream_tbEUlT_E_NS1_11comp_targetILNS1_3genE10ELNS1_11target_archE1201ELNS1_3gpuE5ELNS1_3repE0EEENS1_52radix_sort_onesweep_histogram_config_static_selectorELNS0_4arch9wavefront6targetE1EEEvSE_.uses_flat_scratch, 0
	.set _ZN7rocprim17ROCPRIM_400000_NS6detail17trampoline_kernelINS0_14default_configENS1_35radix_sort_onesweep_config_selectorIisEEZNS1_34radix_sort_onesweep_global_offsetsIS3_Lb0EN6thrust23THRUST_200600_302600_NS10device_ptrIiEENS9_IsEEjNS0_19identity_decomposerEEE10hipError_tT1_T2_PT3_SG_jT4_jjP12ihipStream_tbEUlT_E_NS1_11comp_targetILNS1_3genE10ELNS1_11target_archE1201ELNS1_3gpuE5ELNS1_3repE0EEENS1_52radix_sort_onesweep_histogram_config_static_selectorELNS0_4arch9wavefront6targetE1EEEvSE_.has_dyn_sized_stack, 0
	.set _ZN7rocprim17ROCPRIM_400000_NS6detail17trampoline_kernelINS0_14default_configENS1_35radix_sort_onesweep_config_selectorIisEEZNS1_34radix_sort_onesweep_global_offsetsIS3_Lb0EN6thrust23THRUST_200600_302600_NS10device_ptrIiEENS9_IsEEjNS0_19identity_decomposerEEE10hipError_tT1_T2_PT3_SG_jT4_jjP12ihipStream_tbEUlT_E_NS1_11comp_targetILNS1_3genE10ELNS1_11target_archE1201ELNS1_3gpuE5ELNS1_3repE0EEENS1_52radix_sort_onesweep_histogram_config_static_selectorELNS0_4arch9wavefront6targetE1EEEvSE_.has_recursion, 0
	.set _ZN7rocprim17ROCPRIM_400000_NS6detail17trampoline_kernelINS0_14default_configENS1_35radix_sort_onesweep_config_selectorIisEEZNS1_34radix_sort_onesweep_global_offsetsIS3_Lb0EN6thrust23THRUST_200600_302600_NS10device_ptrIiEENS9_IsEEjNS0_19identity_decomposerEEE10hipError_tT1_T2_PT3_SG_jT4_jjP12ihipStream_tbEUlT_E_NS1_11comp_targetILNS1_3genE10ELNS1_11target_archE1201ELNS1_3gpuE5ELNS1_3repE0EEENS1_52radix_sort_onesweep_histogram_config_static_selectorELNS0_4arch9wavefront6targetE1EEEvSE_.has_indirect_call, 0
	.section	.AMDGPU.csdata,"",@progbits
; Kernel info:
; codeLenInByte = 0
; TotalNumSgprs: 6
; NumVgprs: 0
; NumAgprs: 0
; TotalNumVgprs: 0
; ScratchSize: 0
; MemoryBound: 0
; FloatMode: 240
; IeeeMode: 1
; LDSByteSize: 0 bytes/workgroup (compile time only)
; SGPRBlocks: 0
; VGPRBlocks: 0
; NumSGPRsForWavesPerEU: 6
; NumVGPRsForWavesPerEU: 1
; AccumOffset: 4
; Occupancy: 8
; WaveLimiterHint : 0
; COMPUTE_PGM_RSRC2:SCRATCH_EN: 0
; COMPUTE_PGM_RSRC2:USER_SGPR: 2
; COMPUTE_PGM_RSRC2:TRAP_HANDLER: 0
; COMPUTE_PGM_RSRC2:TGID_X_EN: 1
; COMPUTE_PGM_RSRC2:TGID_Y_EN: 0
; COMPUTE_PGM_RSRC2:TGID_Z_EN: 0
; COMPUTE_PGM_RSRC2:TIDIG_COMP_CNT: 0
; COMPUTE_PGM_RSRC3_GFX90A:ACCUM_OFFSET: 0
; COMPUTE_PGM_RSRC3_GFX90A:TG_SPLIT: 0
	.section	.text._ZN7rocprim17ROCPRIM_400000_NS6detail17trampoline_kernelINS0_14default_configENS1_35radix_sort_onesweep_config_selectorIisEEZNS1_34radix_sort_onesweep_global_offsetsIS3_Lb0EN6thrust23THRUST_200600_302600_NS10device_ptrIiEENS9_IsEEjNS0_19identity_decomposerEEE10hipError_tT1_T2_PT3_SG_jT4_jjP12ihipStream_tbEUlT_E_NS1_11comp_targetILNS1_3genE9ELNS1_11target_archE1100ELNS1_3gpuE3ELNS1_3repE0EEENS1_52radix_sort_onesweep_histogram_config_static_selectorELNS0_4arch9wavefront6targetE1EEEvSE_,"axG",@progbits,_ZN7rocprim17ROCPRIM_400000_NS6detail17trampoline_kernelINS0_14default_configENS1_35radix_sort_onesweep_config_selectorIisEEZNS1_34radix_sort_onesweep_global_offsetsIS3_Lb0EN6thrust23THRUST_200600_302600_NS10device_ptrIiEENS9_IsEEjNS0_19identity_decomposerEEE10hipError_tT1_T2_PT3_SG_jT4_jjP12ihipStream_tbEUlT_E_NS1_11comp_targetILNS1_3genE9ELNS1_11target_archE1100ELNS1_3gpuE3ELNS1_3repE0EEENS1_52radix_sort_onesweep_histogram_config_static_selectorELNS0_4arch9wavefront6targetE1EEEvSE_,comdat
	.protected	_ZN7rocprim17ROCPRIM_400000_NS6detail17trampoline_kernelINS0_14default_configENS1_35radix_sort_onesweep_config_selectorIisEEZNS1_34radix_sort_onesweep_global_offsetsIS3_Lb0EN6thrust23THRUST_200600_302600_NS10device_ptrIiEENS9_IsEEjNS0_19identity_decomposerEEE10hipError_tT1_T2_PT3_SG_jT4_jjP12ihipStream_tbEUlT_E_NS1_11comp_targetILNS1_3genE9ELNS1_11target_archE1100ELNS1_3gpuE3ELNS1_3repE0EEENS1_52radix_sort_onesweep_histogram_config_static_selectorELNS0_4arch9wavefront6targetE1EEEvSE_ ; -- Begin function _ZN7rocprim17ROCPRIM_400000_NS6detail17trampoline_kernelINS0_14default_configENS1_35radix_sort_onesweep_config_selectorIisEEZNS1_34radix_sort_onesweep_global_offsetsIS3_Lb0EN6thrust23THRUST_200600_302600_NS10device_ptrIiEENS9_IsEEjNS0_19identity_decomposerEEE10hipError_tT1_T2_PT3_SG_jT4_jjP12ihipStream_tbEUlT_E_NS1_11comp_targetILNS1_3genE9ELNS1_11target_archE1100ELNS1_3gpuE3ELNS1_3repE0EEENS1_52radix_sort_onesweep_histogram_config_static_selectorELNS0_4arch9wavefront6targetE1EEEvSE_
	.globl	_ZN7rocprim17ROCPRIM_400000_NS6detail17trampoline_kernelINS0_14default_configENS1_35radix_sort_onesweep_config_selectorIisEEZNS1_34radix_sort_onesweep_global_offsetsIS3_Lb0EN6thrust23THRUST_200600_302600_NS10device_ptrIiEENS9_IsEEjNS0_19identity_decomposerEEE10hipError_tT1_T2_PT3_SG_jT4_jjP12ihipStream_tbEUlT_E_NS1_11comp_targetILNS1_3genE9ELNS1_11target_archE1100ELNS1_3gpuE3ELNS1_3repE0EEENS1_52radix_sort_onesweep_histogram_config_static_selectorELNS0_4arch9wavefront6targetE1EEEvSE_
	.p2align	8
	.type	_ZN7rocprim17ROCPRIM_400000_NS6detail17trampoline_kernelINS0_14default_configENS1_35radix_sort_onesweep_config_selectorIisEEZNS1_34radix_sort_onesweep_global_offsetsIS3_Lb0EN6thrust23THRUST_200600_302600_NS10device_ptrIiEENS9_IsEEjNS0_19identity_decomposerEEE10hipError_tT1_T2_PT3_SG_jT4_jjP12ihipStream_tbEUlT_E_NS1_11comp_targetILNS1_3genE9ELNS1_11target_archE1100ELNS1_3gpuE3ELNS1_3repE0EEENS1_52radix_sort_onesweep_histogram_config_static_selectorELNS0_4arch9wavefront6targetE1EEEvSE_,@function
_ZN7rocprim17ROCPRIM_400000_NS6detail17trampoline_kernelINS0_14default_configENS1_35radix_sort_onesweep_config_selectorIisEEZNS1_34radix_sort_onesweep_global_offsetsIS3_Lb0EN6thrust23THRUST_200600_302600_NS10device_ptrIiEENS9_IsEEjNS0_19identity_decomposerEEE10hipError_tT1_T2_PT3_SG_jT4_jjP12ihipStream_tbEUlT_E_NS1_11comp_targetILNS1_3genE9ELNS1_11target_archE1100ELNS1_3gpuE3ELNS1_3repE0EEENS1_52radix_sort_onesweep_histogram_config_static_selectorELNS0_4arch9wavefront6targetE1EEEvSE_: ; @_ZN7rocprim17ROCPRIM_400000_NS6detail17trampoline_kernelINS0_14default_configENS1_35radix_sort_onesweep_config_selectorIisEEZNS1_34radix_sort_onesweep_global_offsetsIS3_Lb0EN6thrust23THRUST_200600_302600_NS10device_ptrIiEENS9_IsEEjNS0_19identity_decomposerEEE10hipError_tT1_T2_PT3_SG_jT4_jjP12ihipStream_tbEUlT_E_NS1_11comp_targetILNS1_3genE9ELNS1_11target_archE1100ELNS1_3gpuE3ELNS1_3repE0EEENS1_52radix_sort_onesweep_histogram_config_static_selectorELNS0_4arch9wavefront6targetE1EEEvSE_
; %bb.0:
	.section	.rodata,"a",@progbits
	.p2align	6, 0x0
	.amdhsa_kernel _ZN7rocprim17ROCPRIM_400000_NS6detail17trampoline_kernelINS0_14default_configENS1_35radix_sort_onesweep_config_selectorIisEEZNS1_34radix_sort_onesweep_global_offsetsIS3_Lb0EN6thrust23THRUST_200600_302600_NS10device_ptrIiEENS9_IsEEjNS0_19identity_decomposerEEE10hipError_tT1_T2_PT3_SG_jT4_jjP12ihipStream_tbEUlT_E_NS1_11comp_targetILNS1_3genE9ELNS1_11target_archE1100ELNS1_3gpuE3ELNS1_3repE0EEENS1_52radix_sort_onesweep_histogram_config_static_selectorELNS0_4arch9wavefront6targetE1EEEvSE_
		.amdhsa_group_segment_fixed_size 0
		.amdhsa_private_segment_fixed_size 0
		.amdhsa_kernarg_size 40
		.amdhsa_user_sgpr_count 2
		.amdhsa_user_sgpr_dispatch_ptr 0
		.amdhsa_user_sgpr_queue_ptr 0
		.amdhsa_user_sgpr_kernarg_segment_ptr 1
		.amdhsa_user_sgpr_dispatch_id 0
		.amdhsa_user_sgpr_kernarg_preload_length 0
		.amdhsa_user_sgpr_kernarg_preload_offset 0
		.amdhsa_user_sgpr_private_segment_size 0
		.amdhsa_uses_dynamic_stack 0
		.amdhsa_enable_private_segment 0
		.amdhsa_system_sgpr_workgroup_id_x 1
		.amdhsa_system_sgpr_workgroup_id_y 0
		.amdhsa_system_sgpr_workgroup_id_z 0
		.amdhsa_system_sgpr_workgroup_info 0
		.amdhsa_system_vgpr_workitem_id 0
		.amdhsa_next_free_vgpr 1
		.amdhsa_next_free_sgpr 0
		.amdhsa_accum_offset 4
		.amdhsa_reserve_vcc 0
		.amdhsa_float_round_mode_32 0
		.amdhsa_float_round_mode_16_64 0
		.amdhsa_float_denorm_mode_32 3
		.amdhsa_float_denorm_mode_16_64 3
		.amdhsa_dx10_clamp 1
		.amdhsa_ieee_mode 1
		.amdhsa_fp16_overflow 0
		.amdhsa_tg_split 0
		.amdhsa_exception_fp_ieee_invalid_op 0
		.amdhsa_exception_fp_denorm_src 0
		.amdhsa_exception_fp_ieee_div_zero 0
		.amdhsa_exception_fp_ieee_overflow 0
		.amdhsa_exception_fp_ieee_underflow 0
		.amdhsa_exception_fp_ieee_inexact 0
		.amdhsa_exception_int_div_zero 0
	.end_amdhsa_kernel
	.section	.text._ZN7rocprim17ROCPRIM_400000_NS6detail17trampoline_kernelINS0_14default_configENS1_35radix_sort_onesweep_config_selectorIisEEZNS1_34radix_sort_onesweep_global_offsetsIS3_Lb0EN6thrust23THRUST_200600_302600_NS10device_ptrIiEENS9_IsEEjNS0_19identity_decomposerEEE10hipError_tT1_T2_PT3_SG_jT4_jjP12ihipStream_tbEUlT_E_NS1_11comp_targetILNS1_3genE9ELNS1_11target_archE1100ELNS1_3gpuE3ELNS1_3repE0EEENS1_52radix_sort_onesweep_histogram_config_static_selectorELNS0_4arch9wavefront6targetE1EEEvSE_,"axG",@progbits,_ZN7rocprim17ROCPRIM_400000_NS6detail17trampoline_kernelINS0_14default_configENS1_35radix_sort_onesweep_config_selectorIisEEZNS1_34radix_sort_onesweep_global_offsetsIS3_Lb0EN6thrust23THRUST_200600_302600_NS10device_ptrIiEENS9_IsEEjNS0_19identity_decomposerEEE10hipError_tT1_T2_PT3_SG_jT4_jjP12ihipStream_tbEUlT_E_NS1_11comp_targetILNS1_3genE9ELNS1_11target_archE1100ELNS1_3gpuE3ELNS1_3repE0EEENS1_52radix_sort_onesweep_histogram_config_static_selectorELNS0_4arch9wavefront6targetE1EEEvSE_,comdat
.Lfunc_end2411:
	.size	_ZN7rocprim17ROCPRIM_400000_NS6detail17trampoline_kernelINS0_14default_configENS1_35radix_sort_onesweep_config_selectorIisEEZNS1_34radix_sort_onesweep_global_offsetsIS3_Lb0EN6thrust23THRUST_200600_302600_NS10device_ptrIiEENS9_IsEEjNS0_19identity_decomposerEEE10hipError_tT1_T2_PT3_SG_jT4_jjP12ihipStream_tbEUlT_E_NS1_11comp_targetILNS1_3genE9ELNS1_11target_archE1100ELNS1_3gpuE3ELNS1_3repE0EEENS1_52radix_sort_onesweep_histogram_config_static_selectorELNS0_4arch9wavefront6targetE1EEEvSE_, .Lfunc_end2411-_ZN7rocprim17ROCPRIM_400000_NS6detail17trampoline_kernelINS0_14default_configENS1_35radix_sort_onesweep_config_selectorIisEEZNS1_34radix_sort_onesweep_global_offsetsIS3_Lb0EN6thrust23THRUST_200600_302600_NS10device_ptrIiEENS9_IsEEjNS0_19identity_decomposerEEE10hipError_tT1_T2_PT3_SG_jT4_jjP12ihipStream_tbEUlT_E_NS1_11comp_targetILNS1_3genE9ELNS1_11target_archE1100ELNS1_3gpuE3ELNS1_3repE0EEENS1_52radix_sort_onesweep_histogram_config_static_selectorELNS0_4arch9wavefront6targetE1EEEvSE_
                                        ; -- End function
	.set _ZN7rocprim17ROCPRIM_400000_NS6detail17trampoline_kernelINS0_14default_configENS1_35radix_sort_onesweep_config_selectorIisEEZNS1_34radix_sort_onesweep_global_offsetsIS3_Lb0EN6thrust23THRUST_200600_302600_NS10device_ptrIiEENS9_IsEEjNS0_19identity_decomposerEEE10hipError_tT1_T2_PT3_SG_jT4_jjP12ihipStream_tbEUlT_E_NS1_11comp_targetILNS1_3genE9ELNS1_11target_archE1100ELNS1_3gpuE3ELNS1_3repE0EEENS1_52radix_sort_onesweep_histogram_config_static_selectorELNS0_4arch9wavefront6targetE1EEEvSE_.num_vgpr, 0
	.set _ZN7rocprim17ROCPRIM_400000_NS6detail17trampoline_kernelINS0_14default_configENS1_35radix_sort_onesweep_config_selectorIisEEZNS1_34radix_sort_onesweep_global_offsetsIS3_Lb0EN6thrust23THRUST_200600_302600_NS10device_ptrIiEENS9_IsEEjNS0_19identity_decomposerEEE10hipError_tT1_T2_PT3_SG_jT4_jjP12ihipStream_tbEUlT_E_NS1_11comp_targetILNS1_3genE9ELNS1_11target_archE1100ELNS1_3gpuE3ELNS1_3repE0EEENS1_52radix_sort_onesweep_histogram_config_static_selectorELNS0_4arch9wavefront6targetE1EEEvSE_.num_agpr, 0
	.set _ZN7rocprim17ROCPRIM_400000_NS6detail17trampoline_kernelINS0_14default_configENS1_35radix_sort_onesweep_config_selectorIisEEZNS1_34radix_sort_onesweep_global_offsetsIS3_Lb0EN6thrust23THRUST_200600_302600_NS10device_ptrIiEENS9_IsEEjNS0_19identity_decomposerEEE10hipError_tT1_T2_PT3_SG_jT4_jjP12ihipStream_tbEUlT_E_NS1_11comp_targetILNS1_3genE9ELNS1_11target_archE1100ELNS1_3gpuE3ELNS1_3repE0EEENS1_52radix_sort_onesweep_histogram_config_static_selectorELNS0_4arch9wavefront6targetE1EEEvSE_.numbered_sgpr, 0
	.set _ZN7rocprim17ROCPRIM_400000_NS6detail17trampoline_kernelINS0_14default_configENS1_35radix_sort_onesweep_config_selectorIisEEZNS1_34radix_sort_onesweep_global_offsetsIS3_Lb0EN6thrust23THRUST_200600_302600_NS10device_ptrIiEENS9_IsEEjNS0_19identity_decomposerEEE10hipError_tT1_T2_PT3_SG_jT4_jjP12ihipStream_tbEUlT_E_NS1_11comp_targetILNS1_3genE9ELNS1_11target_archE1100ELNS1_3gpuE3ELNS1_3repE0EEENS1_52radix_sort_onesweep_histogram_config_static_selectorELNS0_4arch9wavefront6targetE1EEEvSE_.num_named_barrier, 0
	.set _ZN7rocprim17ROCPRIM_400000_NS6detail17trampoline_kernelINS0_14default_configENS1_35radix_sort_onesweep_config_selectorIisEEZNS1_34radix_sort_onesweep_global_offsetsIS3_Lb0EN6thrust23THRUST_200600_302600_NS10device_ptrIiEENS9_IsEEjNS0_19identity_decomposerEEE10hipError_tT1_T2_PT3_SG_jT4_jjP12ihipStream_tbEUlT_E_NS1_11comp_targetILNS1_3genE9ELNS1_11target_archE1100ELNS1_3gpuE3ELNS1_3repE0EEENS1_52radix_sort_onesweep_histogram_config_static_selectorELNS0_4arch9wavefront6targetE1EEEvSE_.private_seg_size, 0
	.set _ZN7rocprim17ROCPRIM_400000_NS6detail17trampoline_kernelINS0_14default_configENS1_35radix_sort_onesweep_config_selectorIisEEZNS1_34radix_sort_onesweep_global_offsetsIS3_Lb0EN6thrust23THRUST_200600_302600_NS10device_ptrIiEENS9_IsEEjNS0_19identity_decomposerEEE10hipError_tT1_T2_PT3_SG_jT4_jjP12ihipStream_tbEUlT_E_NS1_11comp_targetILNS1_3genE9ELNS1_11target_archE1100ELNS1_3gpuE3ELNS1_3repE0EEENS1_52radix_sort_onesweep_histogram_config_static_selectorELNS0_4arch9wavefront6targetE1EEEvSE_.uses_vcc, 0
	.set _ZN7rocprim17ROCPRIM_400000_NS6detail17trampoline_kernelINS0_14default_configENS1_35radix_sort_onesweep_config_selectorIisEEZNS1_34radix_sort_onesweep_global_offsetsIS3_Lb0EN6thrust23THRUST_200600_302600_NS10device_ptrIiEENS9_IsEEjNS0_19identity_decomposerEEE10hipError_tT1_T2_PT3_SG_jT4_jjP12ihipStream_tbEUlT_E_NS1_11comp_targetILNS1_3genE9ELNS1_11target_archE1100ELNS1_3gpuE3ELNS1_3repE0EEENS1_52radix_sort_onesweep_histogram_config_static_selectorELNS0_4arch9wavefront6targetE1EEEvSE_.uses_flat_scratch, 0
	.set _ZN7rocprim17ROCPRIM_400000_NS6detail17trampoline_kernelINS0_14default_configENS1_35radix_sort_onesweep_config_selectorIisEEZNS1_34radix_sort_onesweep_global_offsetsIS3_Lb0EN6thrust23THRUST_200600_302600_NS10device_ptrIiEENS9_IsEEjNS0_19identity_decomposerEEE10hipError_tT1_T2_PT3_SG_jT4_jjP12ihipStream_tbEUlT_E_NS1_11comp_targetILNS1_3genE9ELNS1_11target_archE1100ELNS1_3gpuE3ELNS1_3repE0EEENS1_52radix_sort_onesweep_histogram_config_static_selectorELNS0_4arch9wavefront6targetE1EEEvSE_.has_dyn_sized_stack, 0
	.set _ZN7rocprim17ROCPRIM_400000_NS6detail17trampoline_kernelINS0_14default_configENS1_35radix_sort_onesweep_config_selectorIisEEZNS1_34radix_sort_onesweep_global_offsetsIS3_Lb0EN6thrust23THRUST_200600_302600_NS10device_ptrIiEENS9_IsEEjNS0_19identity_decomposerEEE10hipError_tT1_T2_PT3_SG_jT4_jjP12ihipStream_tbEUlT_E_NS1_11comp_targetILNS1_3genE9ELNS1_11target_archE1100ELNS1_3gpuE3ELNS1_3repE0EEENS1_52radix_sort_onesweep_histogram_config_static_selectorELNS0_4arch9wavefront6targetE1EEEvSE_.has_recursion, 0
	.set _ZN7rocprim17ROCPRIM_400000_NS6detail17trampoline_kernelINS0_14default_configENS1_35radix_sort_onesweep_config_selectorIisEEZNS1_34radix_sort_onesweep_global_offsetsIS3_Lb0EN6thrust23THRUST_200600_302600_NS10device_ptrIiEENS9_IsEEjNS0_19identity_decomposerEEE10hipError_tT1_T2_PT3_SG_jT4_jjP12ihipStream_tbEUlT_E_NS1_11comp_targetILNS1_3genE9ELNS1_11target_archE1100ELNS1_3gpuE3ELNS1_3repE0EEENS1_52radix_sort_onesweep_histogram_config_static_selectorELNS0_4arch9wavefront6targetE1EEEvSE_.has_indirect_call, 0
	.section	.AMDGPU.csdata,"",@progbits
; Kernel info:
; codeLenInByte = 0
; TotalNumSgprs: 6
; NumVgprs: 0
; NumAgprs: 0
; TotalNumVgprs: 0
; ScratchSize: 0
; MemoryBound: 0
; FloatMode: 240
; IeeeMode: 1
; LDSByteSize: 0 bytes/workgroup (compile time only)
; SGPRBlocks: 0
; VGPRBlocks: 0
; NumSGPRsForWavesPerEU: 6
; NumVGPRsForWavesPerEU: 1
; AccumOffset: 4
; Occupancy: 8
; WaveLimiterHint : 0
; COMPUTE_PGM_RSRC2:SCRATCH_EN: 0
; COMPUTE_PGM_RSRC2:USER_SGPR: 2
; COMPUTE_PGM_RSRC2:TRAP_HANDLER: 0
; COMPUTE_PGM_RSRC2:TGID_X_EN: 1
; COMPUTE_PGM_RSRC2:TGID_Y_EN: 0
; COMPUTE_PGM_RSRC2:TGID_Z_EN: 0
; COMPUTE_PGM_RSRC2:TIDIG_COMP_CNT: 0
; COMPUTE_PGM_RSRC3_GFX90A:ACCUM_OFFSET: 0
; COMPUTE_PGM_RSRC3_GFX90A:TG_SPLIT: 0
	.section	.text._ZN7rocprim17ROCPRIM_400000_NS6detail17trampoline_kernelINS0_14default_configENS1_35radix_sort_onesweep_config_selectorIisEEZNS1_34radix_sort_onesweep_global_offsetsIS3_Lb0EN6thrust23THRUST_200600_302600_NS10device_ptrIiEENS9_IsEEjNS0_19identity_decomposerEEE10hipError_tT1_T2_PT3_SG_jT4_jjP12ihipStream_tbEUlT_E_NS1_11comp_targetILNS1_3genE8ELNS1_11target_archE1030ELNS1_3gpuE2ELNS1_3repE0EEENS1_52radix_sort_onesweep_histogram_config_static_selectorELNS0_4arch9wavefront6targetE1EEEvSE_,"axG",@progbits,_ZN7rocprim17ROCPRIM_400000_NS6detail17trampoline_kernelINS0_14default_configENS1_35radix_sort_onesweep_config_selectorIisEEZNS1_34radix_sort_onesweep_global_offsetsIS3_Lb0EN6thrust23THRUST_200600_302600_NS10device_ptrIiEENS9_IsEEjNS0_19identity_decomposerEEE10hipError_tT1_T2_PT3_SG_jT4_jjP12ihipStream_tbEUlT_E_NS1_11comp_targetILNS1_3genE8ELNS1_11target_archE1030ELNS1_3gpuE2ELNS1_3repE0EEENS1_52radix_sort_onesweep_histogram_config_static_selectorELNS0_4arch9wavefront6targetE1EEEvSE_,comdat
	.protected	_ZN7rocprim17ROCPRIM_400000_NS6detail17trampoline_kernelINS0_14default_configENS1_35radix_sort_onesweep_config_selectorIisEEZNS1_34radix_sort_onesweep_global_offsetsIS3_Lb0EN6thrust23THRUST_200600_302600_NS10device_ptrIiEENS9_IsEEjNS0_19identity_decomposerEEE10hipError_tT1_T2_PT3_SG_jT4_jjP12ihipStream_tbEUlT_E_NS1_11comp_targetILNS1_3genE8ELNS1_11target_archE1030ELNS1_3gpuE2ELNS1_3repE0EEENS1_52radix_sort_onesweep_histogram_config_static_selectorELNS0_4arch9wavefront6targetE1EEEvSE_ ; -- Begin function _ZN7rocprim17ROCPRIM_400000_NS6detail17trampoline_kernelINS0_14default_configENS1_35radix_sort_onesweep_config_selectorIisEEZNS1_34radix_sort_onesweep_global_offsetsIS3_Lb0EN6thrust23THRUST_200600_302600_NS10device_ptrIiEENS9_IsEEjNS0_19identity_decomposerEEE10hipError_tT1_T2_PT3_SG_jT4_jjP12ihipStream_tbEUlT_E_NS1_11comp_targetILNS1_3genE8ELNS1_11target_archE1030ELNS1_3gpuE2ELNS1_3repE0EEENS1_52radix_sort_onesweep_histogram_config_static_selectorELNS0_4arch9wavefront6targetE1EEEvSE_
	.globl	_ZN7rocprim17ROCPRIM_400000_NS6detail17trampoline_kernelINS0_14default_configENS1_35radix_sort_onesweep_config_selectorIisEEZNS1_34radix_sort_onesweep_global_offsetsIS3_Lb0EN6thrust23THRUST_200600_302600_NS10device_ptrIiEENS9_IsEEjNS0_19identity_decomposerEEE10hipError_tT1_T2_PT3_SG_jT4_jjP12ihipStream_tbEUlT_E_NS1_11comp_targetILNS1_3genE8ELNS1_11target_archE1030ELNS1_3gpuE2ELNS1_3repE0EEENS1_52radix_sort_onesweep_histogram_config_static_selectorELNS0_4arch9wavefront6targetE1EEEvSE_
	.p2align	8
	.type	_ZN7rocprim17ROCPRIM_400000_NS6detail17trampoline_kernelINS0_14default_configENS1_35radix_sort_onesweep_config_selectorIisEEZNS1_34radix_sort_onesweep_global_offsetsIS3_Lb0EN6thrust23THRUST_200600_302600_NS10device_ptrIiEENS9_IsEEjNS0_19identity_decomposerEEE10hipError_tT1_T2_PT3_SG_jT4_jjP12ihipStream_tbEUlT_E_NS1_11comp_targetILNS1_3genE8ELNS1_11target_archE1030ELNS1_3gpuE2ELNS1_3repE0EEENS1_52radix_sort_onesweep_histogram_config_static_selectorELNS0_4arch9wavefront6targetE1EEEvSE_,@function
_ZN7rocprim17ROCPRIM_400000_NS6detail17trampoline_kernelINS0_14default_configENS1_35radix_sort_onesweep_config_selectorIisEEZNS1_34radix_sort_onesweep_global_offsetsIS3_Lb0EN6thrust23THRUST_200600_302600_NS10device_ptrIiEENS9_IsEEjNS0_19identity_decomposerEEE10hipError_tT1_T2_PT3_SG_jT4_jjP12ihipStream_tbEUlT_E_NS1_11comp_targetILNS1_3genE8ELNS1_11target_archE1030ELNS1_3gpuE2ELNS1_3repE0EEENS1_52radix_sort_onesweep_histogram_config_static_selectorELNS0_4arch9wavefront6targetE1EEEvSE_: ; @_ZN7rocprim17ROCPRIM_400000_NS6detail17trampoline_kernelINS0_14default_configENS1_35radix_sort_onesweep_config_selectorIisEEZNS1_34radix_sort_onesweep_global_offsetsIS3_Lb0EN6thrust23THRUST_200600_302600_NS10device_ptrIiEENS9_IsEEjNS0_19identity_decomposerEEE10hipError_tT1_T2_PT3_SG_jT4_jjP12ihipStream_tbEUlT_E_NS1_11comp_targetILNS1_3genE8ELNS1_11target_archE1030ELNS1_3gpuE2ELNS1_3repE0EEENS1_52radix_sort_onesweep_histogram_config_static_selectorELNS0_4arch9wavefront6targetE1EEEvSE_
; %bb.0:
	.section	.rodata,"a",@progbits
	.p2align	6, 0x0
	.amdhsa_kernel _ZN7rocprim17ROCPRIM_400000_NS6detail17trampoline_kernelINS0_14default_configENS1_35radix_sort_onesweep_config_selectorIisEEZNS1_34radix_sort_onesweep_global_offsetsIS3_Lb0EN6thrust23THRUST_200600_302600_NS10device_ptrIiEENS9_IsEEjNS0_19identity_decomposerEEE10hipError_tT1_T2_PT3_SG_jT4_jjP12ihipStream_tbEUlT_E_NS1_11comp_targetILNS1_3genE8ELNS1_11target_archE1030ELNS1_3gpuE2ELNS1_3repE0EEENS1_52radix_sort_onesweep_histogram_config_static_selectorELNS0_4arch9wavefront6targetE1EEEvSE_
		.amdhsa_group_segment_fixed_size 0
		.amdhsa_private_segment_fixed_size 0
		.amdhsa_kernarg_size 40
		.amdhsa_user_sgpr_count 2
		.amdhsa_user_sgpr_dispatch_ptr 0
		.amdhsa_user_sgpr_queue_ptr 0
		.amdhsa_user_sgpr_kernarg_segment_ptr 1
		.amdhsa_user_sgpr_dispatch_id 0
		.amdhsa_user_sgpr_kernarg_preload_length 0
		.amdhsa_user_sgpr_kernarg_preload_offset 0
		.amdhsa_user_sgpr_private_segment_size 0
		.amdhsa_uses_dynamic_stack 0
		.amdhsa_enable_private_segment 0
		.amdhsa_system_sgpr_workgroup_id_x 1
		.amdhsa_system_sgpr_workgroup_id_y 0
		.amdhsa_system_sgpr_workgroup_id_z 0
		.amdhsa_system_sgpr_workgroup_info 0
		.amdhsa_system_vgpr_workitem_id 0
		.amdhsa_next_free_vgpr 1
		.amdhsa_next_free_sgpr 0
		.amdhsa_accum_offset 4
		.amdhsa_reserve_vcc 0
		.amdhsa_float_round_mode_32 0
		.amdhsa_float_round_mode_16_64 0
		.amdhsa_float_denorm_mode_32 3
		.amdhsa_float_denorm_mode_16_64 3
		.amdhsa_dx10_clamp 1
		.amdhsa_ieee_mode 1
		.amdhsa_fp16_overflow 0
		.amdhsa_tg_split 0
		.amdhsa_exception_fp_ieee_invalid_op 0
		.amdhsa_exception_fp_denorm_src 0
		.amdhsa_exception_fp_ieee_div_zero 0
		.amdhsa_exception_fp_ieee_overflow 0
		.amdhsa_exception_fp_ieee_underflow 0
		.amdhsa_exception_fp_ieee_inexact 0
		.amdhsa_exception_int_div_zero 0
	.end_amdhsa_kernel
	.section	.text._ZN7rocprim17ROCPRIM_400000_NS6detail17trampoline_kernelINS0_14default_configENS1_35radix_sort_onesweep_config_selectorIisEEZNS1_34radix_sort_onesweep_global_offsetsIS3_Lb0EN6thrust23THRUST_200600_302600_NS10device_ptrIiEENS9_IsEEjNS0_19identity_decomposerEEE10hipError_tT1_T2_PT3_SG_jT4_jjP12ihipStream_tbEUlT_E_NS1_11comp_targetILNS1_3genE8ELNS1_11target_archE1030ELNS1_3gpuE2ELNS1_3repE0EEENS1_52radix_sort_onesweep_histogram_config_static_selectorELNS0_4arch9wavefront6targetE1EEEvSE_,"axG",@progbits,_ZN7rocprim17ROCPRIM_400000_NS6detail17trampoline_kernelINS0_14default_configENS1_35radix_sort_onesweep_config_selectorIisEEZNS1_34radix_sort_onesweep_global_offsetsIS3_Lb0EN6thrust23THRUST_200600_302600_NS10device_ptrIiEENS9_IsEEjNS0_19identity_decomposerEEE10hipError_tT1_T2_PT3_SG_jT4_jjP12ihipStream_tbEUlT_E_NS1_11comp_targetILNS1_3genE8ELNS1_11target_archE1030ELNS1_3gpuE2ELNS1_3repE0EEENS1_52radix_sort_onesweep_histogram_config_static_selectorELNS0_4arch9wavefront6targetE1EEEvSE_,comdat
.Lfunc_end2412:
	.size	_ZN7rocprim17ROCPRIM_400000_NS6detail17trampoline_kernelINS0_14default_configENS1_35radix_sort_onesweep_config_selectorIisEEZNS1_34radix_sort_onesweep_global_offsetsIS3_Lb0EN6thrust23THRUST_200600_302600_NS10device_ptrIiEENS9_IsEEjNS0_19identity_decomposerEEE10hipError_tT1_T2_PT3_SG_jT4_jjP12ihipStream_tbEUlT_E_NS1_11comp_targetILNS1_3genE8ELNS1_11target_archE1030ELNS1_3gpuE2ELNS1_3repE0EEENS1_52radix_sort_onesweep_histogram_config_static_selectorELNS0_4arch9wavefront6targetE1EEEvSE_, .Lfunc_end2412-_ZN7rocprim17ROCPRIM_400000_NS6detail17trampoline_kernelINS0_14default_configENS1_35radix_sort_onesweep_config_selectorIisEEZNS1_34radix_sort_onesweep_global_offsetsIS3_Lb0EN6thrust23THRUST_200600_302600_NS10device_ptrIiEENS9_IsEEjNS0_19identity_decomposerEEE10hipError_tT1_T2_PT3_SG_jT4_jjP12ihipStream_tbEUlT_E_NS1_11comp_targetILNS1_3genE8ELNS1_11target_archE1030ELNS1_3gpuE2ELNS1_3repE0EEENS1_52radix_sort_onesweep_histogram_config_static_selectorELNS0_4arch9wavefront6targetE1EEEvSE_
                                        ; -- End function
	.set _ZN7rocprim17ROCPRIM_400000_NS6detail17trampoline_kernelINS0_14default_configENS1_35radix_sort_onesweep_config_selectorIisEEZNS1_34radix_sort_onesweep_global_offsetsIS3_Lb0EN6thrust23THRUST_200600_302600_NS10device_ptrIiEENS9_IsEEjNS0_19identity_decomposerEEE10hipError_tT1_T2_PT3_SG_jT4_jjP12ihipStream_tbEUlT_E_NS1_11comp_targetILNS1_3genE8ELNS1_11target_archE1030ELNS1_3gpuE2ELNS1_3repE0EEENS1_52radix_sort_onesweep_histogram_config_static_selectorELNS0_4arch9wavefront6targetE1EEEvSE_.num_vgpr, 0
	.set _ZN7rocprim17ROCPRIM_400000_NS6detail17trampoline_kernelINS0_14default_configENS1_35radix_sort_onesweep_config_selectorIisEEZNS1_34radix_sort_onesweep_global_offsetsIS3_Lb0EN6thrust23THRUST_200600_302600_NS10device_ptrIiEENS9_IsEEjNS0_19identity_decomposerEEE10hipError_tT1_T2_PT3_SG_jT4_jjP12ihipStream_tbEUlT_E_NS1_11comp_targetILNS1_3genE8ELNS1_11target_archE1030ELNS1_3gpuE2ELNS1_3repE0EEENS1_52radix_sort_onesweep_histogram_config_static_selectorELNS0_4arch9wavefront6targetE1EEEvSE_.num_agpr, 0
	.set _ZN7rocprim17ROCPRIM_400000_NS6detail17trampoline_kernelINS0_14default_configENS1_35radix_sort_onesweep_config_selectorIisEEZNS1_34radix_sort_onesweep_global_offsetsIS3_Lb0EN6thrust23THRUST_200600_302600_NS10device_ptrIiEENS9_IsEEjNS0_19identity_decomposerEEE10hipError_tT1_T2_PT3_SG_jT4_jjP12ihipStream_tbEUlT_E_NS1_11comp_targetILNS1_3genE8ELNS1_11target_archE1030ELNS1_3gpuE2ELNS1_3repE0EEENS1_52radix_sort_onesweep_histogram_config_static_selectorELNS0_4arch9wavefront6targetE1EEEvSE_.numbered_sgpr, 0
	.set _ZN7rocprim17ROCPRIM_400000_NS6detail17trampoline_kernelINS0_14default_configENS1_35radix_sort_onesweep_config_selectorIisEEZNS1_34radix_sort_onesweep_global_offsetsIS3_Lb0EN6thrust23THRUST_200600_302600_NS10device_ptrIiEENS9_IsEEjNS0_19identity_decomposerEEE10hipError_tT1_T2_PT3_SG_jT4_jjP12ihipStream_tbEUlT_E_NS1_11comp_targetILNS1_3genE8ELNS1_11target_archE1030ELNS1_3gpuE2ELNS1_3repE0EEENS1_52radix_sort_onesweep_histogram_config_static_selectorELNS0_4arch9wavefront6targetE1EEEvSE_.num_named_barrier, 0
	.set _ZN7rocprim17ROCPRIM_400000_NS6detail17trampoline_kernelINS0_14default_configENS1_35radix_sort_onesweep_config_selectorIisEEZNS1_34radix_sort_onesweep_global_offsetsIS3_Lb0EN6thrust23THRUST_200600_302600_NS10device_ptrIiEENS9_IsEEjNS0_19identity_decomposerEEE10hipError_tT1_T2_PT3_SG_jT4_jjP12ihipStream_tbEUlT_E_NS1_11comp_targetILNS1_3genE8ELNS1_11target_archE1030ELNS1_3gpuE2ELNS1_3repE0EEENS1_52radix_sort_onesweep_histogram_config_static_selectorELNS0_4arch9wavefront6targetE1EEEvSE_.private_seg_size, 0
	.set _ZN7rocprim17ROCPRIM_400000_NS6detail17trampoline_kernelINS0_14default_configENS1_35radix_sort_onesweep_config_selectorIisEEZNS1_34radix_sort_onesweep_global_offsetsIS3_Lb0EN6thrust23THRUST_200600_302600_NS10device_ptrIiEENS9_IsEEjNS0_19identity_decomposerEEE10hipError_tT1_T2_PT3_SG_jT4_jjP12ihipStream_tbEUlT_E_NS1_11comp_targetILNS1_3genE8ELNS1_11target_archE1030ELNS1_3gpuE2ELNS1_3repE0EEENS1_52radix_sort_onesweep_histogram_config_static_selectorELNS0_4arch9wavefront6targetE1EEEvSE_.uses_vcc, 0
	.set _ZN7rocprim17ROCPRIM_400000_NS6detail17trampoline_kernelINS0_14default_configENS1_35radix_sort_onesweep_config_selectorIisEEZNS1_34radix_sort_onesweep_global_offsetsIS3_Lb0EN6thrust23THRUST_200600_302600_NS10device_ptrIiEENS9_IsEEjNS0_19identity_decomposerEEE10hipError_tT1_T2_PT3_SG_jT4_jjP12ihipStream_tbEUlT_E_NS1_11comp_targetILNS1_3genE8ELNS1_11target_archE1030ELNS1_3gpuE2ELNS1_3repE0EEENS1_52radix_sort_onesweep_histogram_config_static_selectorELNS0_4arch9wavefront6targetE1EEEvSE_.uses_flat_scratch, 0
	.set _ZN7rocprim17ROCPRIM_400000_NS6detail17trampoline_kernelINS0_14default_configENS1_35radix_sort_onesweep_config_selectorIisEEZNS1_34radix_sort_onesweep_global_offsetsIS3_Lb0EN6thrust23THRUST_200600_302600_NS10device_ptrIiEENS9_IsEEjNS0_19identity_decomposerEEE10hipError_tT1_T2_PT3_SG_jT4_jjP12ihipStream_tbEUlT_E_NS1_11comp_targetILNS1_3genE8ELNS1_11target_archE1030ELNS1_3gpuE2ELNS1_3repE0EEENS1_52radix_sort_onesweep_histogram_config_static_selectorELNS0_4arch9wavefront6targetE1EEEvSE_.has_dyn_sized_stack, 0
	.set _ZN7rocprim17ROCPRIM_400000_NS6detail17trampoline_kernelINS0_14default_configENS1_35radix_sort_onesweep_config_selectorIisEEZNS1_34radix_sort_onesweep_global_offsetsIS3_Lb0EN6thrust23THRUST_200600_302600_NS10device_ptrIiEENS9_IsEEjNS0_19identity_decomposerEEE10hipError_tT1_T2_PT3_SG_jT4_jjP12ihipStream_tbEUlT_E_NS1_11comp_targetILNS1_3genE8ELNS1_11target_archE1030ELNS1_3gpuE2ELNS1_3repE0EEENS1_52radix_sort_onesweep_histogram_config_static_selectorELNS0_4arch9wavefront6targetE1EEEvSE_.has_recursion, 0
	.set _ZN7rocprim17ROCPRIM_400000_NS6detail17trampoline_kernelINS0_14default_configENS1_35radix_sort_onesweep_config_selectorIisEEZNS1_34radix_sort_onesweep_global_offsetsIS3_Lb0EN6thrust23THRUST_200600_302600_NS10device_ptrIiEENS9_IsEEjNS0_19identity_decomposerEEE10hipError_tT1_T2_PT3_SG_jT4_jjP12ihipStream_tbEUlT_E_NS1_11comp_targetILNS1_3genE8ELNS1_11target_archE1030ELNS1_3gpuE2ELNS1_3repE0EEENS1_52radix_sort_onesweep_histogram_config_static_selectorELNS0_4arch9wavefront6targetE1EEEvSE_.has_indirect_call, 0
	.section	.AMDGPU.csdata,"",@progbits
; Kernel info:
; codeLenInByte = 0
; TotalNumSgprs: 6
; NumVgprs: 0
; NumAgprs: 0
; TotalNumVgprs: 0
; ScratchSize: 0
; MemoryBound: 0
; FloatMode: 240
; IeeeMode: 1
; LDSByteSize: 0 bytes/workgroup (compile time only)
; SGPRBlocks: 0
; VGPRBlocks: 0
; NumSGPRsForWavesPerEU: 6
; NumVGPRsForWavesPerEU: 1
; AccumOffset: 4
; Occupancy: 8
; WaveLimiterHint : 0
; COMPUTE_PGM_RSRC2:SCRATCH_EN: 0
; COMPUTE_PGM_RSRC2:USER_SGPR: 2
; COMPUTE_PGM_RSRC2:TRAP_HANDLER: 0
; COMPUTE_PGM_RSRC2:TGID_X_EN: 1
; COMPUTE_PGM_RSRC2:TGID_Y_EN: 0
; COMPUTE_PGM_RSRC2:TGID_Z_EN: 0
; COMPUTE_PGM_RSRC2:TIDIG_COMP_CNT: 0
; COMPUTE_PGM_RSRC3_GFX90A:ACCUM_OFFSET: 0
; COMPUTE_PGM_RSRC3_GFX90A:TG_SPLIT: 0
	.section	.text._ZN7rocprim17ROCPRIM_400000_NS6detail17trampoline_kernelINS0_14default_configENS1_35radix_sort_onesweep_config_selectorIisEEZNS1_34radix_sort_onesweep_global_offsetsIS3_Lb0EN6thrust23THRUST_200600_302600_NS10device_ptrIiEENS9_IsEEjNS0_19identity_decomposerEEE10hipError_tT1_T2_PT3_SG_jT4_jjP12ihipStream_tbEUlT_E0_NS1_11comp_targetILNS1_3genE0ELNS1_11target_archE4294967295ELNS1_3gpuE0ELNS1_3repE0EEENS1_52radix_sort_onesweep_histogram_config_static_selectorELNS0_4arch9wavefront6targetE1EEEvSE_,"axG",@progbits,_ZN7rocprim17ROCPRIM_400000_NS6detail17trampoline_kernelINS0_14default_configENS1_35radix_sort_onesweep_config_selectorIisEEZNS1_34radix_sort_onesweep_global_offsetsIS3_Lb0EN6thrust23THRUST_200600_302600_NS10device_ptrIiEENS9_IsEEjNS0_19identity_decomposerEEE10hipError_tT1_T2_PT3_SG_jT4_jjP12ihipStream_tbEUlT_E0_NS1_11comp_targetILNS1_3genE0ELNS1_11target_archE4294967295ELNS1_3gpuE0ELNS1_3repE0EEENS1_52radix_sort_onesweep_histogram_config_static_selectorELNS0_4arch9wavefront6targetE1EEEvSE_,comdat
	.protected	_ZN7rocprim17ROCPRIM_400000_NS6detail17trampoline_kernelINS0_14default_configENS1_35radix_sort_onesweep_config_selectorIisEEZNS1_34radix_sort_onesweep_global_offsetsIS3_Lb0EN6thrust23THRUST_200600_302600_NS10device_ptrIiEENS9_IsEEjNS0_19identity_decomposerEEE10hipError_tT1_T2_PT3_SG_jT4_jjP12ihipStream_tbEUlT_E0_NS1_11comp_targetILNS1_3genE0ELNS1_11target_archE4294967295ELNS1_3gpuE0ELNS1_3repE0EEENS1_52radix_sort_onesweep_histogram_config_static_selectorELNS0_4arch9wavefront6targetE1EEEvSE_ ; -- Begin function _ZN7rocprim17ROCPRIM_400000_NS6detail17trampoline_kernelINS0_14default_configENS1_35radix_sort_onesweep_config_selectorIisEEZNS1_34radix_sort_onesweep_global_offsetsIS3_Lb0EN6thrust23THRUST_200600_302600_NS10device_ptrIiEENS9_IsEEjNS0_19identity_decomposerEEE10hipError_tT1_T2_PT3_SG_jT4_jjP12ihipStream_tbEUlT_E0_NS1_11comp_targetILNS1_3genE0ELNS1_11target_archE4294967295ELNS1_3gpuE0ELNS1_3repE0EEENS1_52radix_sort_onesweep_histogram_config_static_selectorELNS0_4arch9wavefront6targetE1EEEvSE_
	.globl	_ZN7rocprim17ROCPRIM_400000_NS6detail17trampoline_kernelINS0_14default_configENS1_35radix_sort_onesweep_config_selectorIisEEZNS1_34radix_sort_onesweep_global_offsetsIS3_Lb0EN6thrust23THRUST_200600_302600_NS10device_ptrIiEENS9_IsEEjNS0_19identity_decomposerEEE10hipError_tT1_T2_PT3_SG_jT4_jjP12ihipStream_tbEUlT_E0_NS1_11comp_targetILNS1_3genE0ELNS1_11target_archE4294967295ELNS1_3gpuE0ELNS1_3repE0EEENS1_52radix_sort_onesweep_histogram_config_static_selectorELNS0_4arch9wavefront6targetE1EEEvSE_
	.p2align	8
	.type	_ZN7rocprim17ROCPRIM_400000_NS6detail17trampoline_kernelINS0_14default_configENS1_35radix_sort_onesweep_config_selectorIisEEZNS1_34radix_sort_onesweep_global_offsetsIS3_Lb0EN6thrust23THRUST_200600_302600_NS10device_ptrIiEENS9_IsEEjNS0_19identity_decomposerEEE10hipError_tT1_T2_PT3_SG_jT4_jjP12ihipStream_tbEUlT_E0_NS1_11comp_targetILNS1_3genE0ELNS1_11target_archE4294967295ELNS1_3gpuE0ELNS1_3repE0EEENS1_52radix_sort_onesweep_histogram_config_static_selectorELNS0_4arch9wavefront6targetE1EEEvSE_,@function
_ZN7rocprim17ROCPRIM_400000_NS6detail17trampoline_kernelINS0_14default_configENS1_35radix_sort_onesweep_config_selectorIisEEZNS1_34radix_sort_onesweep_global_offsetsIS3_Lb0EN6thrust23THRUST_200600_302600_NS10device_ptrIiEENS9_IsEEjNS0_19identity_decomposerEEE10hipError_tT1_T2_PT3_SG_jT4_jjP12ihipStream_tbEUlT_E0_NS1_11comp_targetILNS1_3genE0ELNS1_11target_archE4294967295ELNS1_3gpuE0ELNS1_3repE0EEENS1_52radix_sort_onesweep_histogram_config_static_selectorELNS0_4arch9wavefront6targetE1EEEvSE_: ; @_ZN7rocprim17ROCPRIM_400000_NS6detail17trampoline_kernelINS0_14default_configENS1_35radix_sort_onesweep_config_selectorIisEEZNS1_34radix_sort_onesweep_global_offsetsIS3_Lb0EN6thrust23THRUST_200600_302600_NS10device_ptrIiEENS9_IsEEjNS0_19identity_decomposerEEE10hipError_tT1_T2_PT3_SG_jT4_jjP12ihipStream_tbEUlT_E0_NS1_11comp_targetILNS1_3genE0ELNS1_11target_archE4294967295ELNS1_3gpuE0ELNS1_3repE0EEENS1_52radix_sort_onesweep_histogram_config_static_selectorELNS0_4arch9wavefront6targetE1EEEvSE_
; %bb.0:
	.section	.rodata,"a",@progbits
	.p2align	6, 0x0
	.amdhsa_kernel _ZN7rocprim17ROCPRIM_400000_NS6detail17trampoline_kernelINS0_14default_configENS1_35radix_sort_onesweep_config_selectorIisEEZNS1_34radix_sort_onesweep_global_offsetsIS3_Lb0EN6thrust23THRUST_200600_302600_NS10device_ptrIiEENS9_IsEEjNS0_19identity_decomposerEEE10hipError_tT1_T2_PT3_SG_jT4_jjP12ihipStream_tbEUlT_E0_NS1_11comp_targetILNS1_3genE0ELNS1_11target_archE4294967295ELNS1_3gpuE0ELNS1_3repE0EEENS1_52radix_sort_onesweep_histogram_config_static_selectorELNS0_4arch9wavefront6targetE1EEEvSE_
		.amdhsa_group_segment_fixed_size 0
		.amdhsa_private_segment_fixed_size 0
		.amdhsa_kernarg_size 8
		.amdhsa_user_sgpr_count 2
		.amdhsa_user_sgpr_dispatch_ptr 0
		.amdhsa_user_sgpr_queue_ptr 0
		.amdhsa_user_sgpr_kernarg_segment_ptr 1
		.amdhsa_user_sgpr_dispatch_id 0
		.amdhsa_user_sgpr_kernarg_preload_length 0
		.amdhsa_user_sgpr_kernarg_preload_offset 0
		.amdhsa_user_sgpr_private_segment_size 0
		.amdhsa_uses_dynamic_stack 0
		.amdhsa_enable_private_segment 0
		.amdhsa_system_sgpr_workgroup_id_x 1
		.amdhsa_system_sgpr_workgroup_id_y 0
		.amdhsa_system_sgpr_workgroup_id_z 0
		.amdhsa_system_sgpr_workgroup_info 0
		.amdhsa_system_vgpr_workitem_id 0
		.amdhsa_next_free_vgpr 1
		.amdhsa_next_free_sgpr 0
		.amdhsa_accum_offset 4
		.amdhsa_reserve_vcc 0
		.amdhsa_float_round_mode_32 0
		.amdhsa_float_round_mode_16_64 0
		.amdhsa_float_denorm_mode_32 3
		.amdhsa_float_denorm_mode_16_64 3
		.amdhsa_dx10_clamp 1
		.amdhsa_ieee_mode 1
		.amdhsa_fp16_overflow 0
		.amdhsa_tg_split 0
		.amdhsa_exception_fp_ieee_invalid_op 0
		.amdhsa_exception_fp_denorm_src 0
		.amdhsa_exception_fp_ieee_div_zero 0
		.amdhsa_exception_fp_ieee_overflow 0
		.amdhsa_exception_fp_ieee_underflow 0
		.amdhsa_exception_fp_ieee_inexact 0
		.amdhsa_exception_int_div_zero 0
	.end_amdhsa_kernel
	.section	.text._ZN7rocprim17ROCPRIM_400000_NS6detail17trampoline_kernelINS0_14default_configENS1_35radix_sort_onesweep_config_selectorIisEEZNS1_34radix_sort_onesweep_global_offsetsIS3_Lb0EN6thrust23THRUST_200600_302600_NS10device_ptrIiEENS9_IsEEjNS0_19identity_decomposerEEE10hipError_tT1_T2_PT3_SG_jT4_jjP12ihipStream_tbEUlT_E0_NS1_11comp_targetILNS1_3genE0ELNS1_11target_archE4294967295ELNS1_3gpuE0ELNS1_3repE0EEENS1_52radix_sort_onesweep_histogram_config_static_selectorELNS0_4arch9wavefront6targetE1EEEvSE_,"axG",@progbits,_ZN7rocprim17ROCPRIM_400000_NS6detail17trampoline_kernelINS0_14default_configENS1_35radix_sort_onesweep_config_selectorIisEEZNS1_34radix_sort_onesweep_global_offsetsIS3_Lb0EN6thrust23THRUST_200600_302600_NS10device_ptrIiEENS9_IsEEjNS0_19identity_decomposerEEE10hipError_tT1_T2_PT3_SG_jT4_jjP12ihipStream_tbEUlT_E0_NS1_11comp_targetILNS1_3genE0ELNS1_11target_archE4294967295ELNS1_3gpuE0ELNS1_3repE0EEENS1_52radix_sort_onesweep_histogram_config_static_selectorELNS0_4arch9wavefront6targetE1EEEvSE_,comdat
.Lfunc_end2413:
	.size	_ZN7rocprim17ROCPRIM_400000_NS6detail17trampoline_kernelINS0_14default_configENS1_35radix_sort_onesweep_config_selectorIisEEZNS1_34radix_sort_onesweep_global_offsetsIS3_Lb0EN6thrust23THRUST_200600_302600_NS10device_ptrIiEENS9_IsEEjNS0_19identity_decomposerEEE10hipError_tT1_T2_PT3_SG_jT4_jjP12ihipStream_tbEUlT_E0_NS1_11comp_targetILNS1_3genE0ELNS1_11target_archE4294967295ELNS1_3gpuE0ELNS1_3repE0EEENS1_52radix_sort_onesweep_histogram_config_static_selectorELNS0_4arch9wavefront6targetE1EEEvSE_, .Lfunc_end2413-_ZN7rocprim17ROCPRIM_400000_NS6detail17trampoline_kernelINS0_14default_configENS1_35radix_sort_onesweep_config_selectorIisEEZNS1_34radix_sort_onesweep_global_offsetsIS3_Lb0EN6thrust23THRUST_200600_302600_NS10device_ptrIiEENS9_IsEEjNS0_19identity_decomposerEEE10hipError_tT1_T2_PT3_SG_jT4_jjP12ihipStream_tbEUlT_E0_NS1_11comp_targetILNS1_3genE0ELNS1_11target_archE4294967295ELNS1_3gpuE0ELNS1_3repE0EEENS1_52radix_sort_onesweep_histogram_config_static_selectorELNS0_4arch9wavefront6targetE1EEEvSE_
                                        ; -- End function
	.set _ZN7rocprim17ROCPRIM_400000_NS6detail17trampoline_kernelINS0_14default_configENS1_35radix_sort_onesweep_config_selectorIisEEZNS1_34radix_sort_onesweep_global_offsetsIS3_Lb0EN6thrust23THRUST_200600_302600_NS10device_ptrIiEENS9_IsEEjNS0_19identity_decomposerEEE10hipError_tT1_T2_PT3_SG_jT4_jjP12ihipStream_tbEUlT_E0_NS1_11comp_targetILNS1_3genE0ELNS1_11target_archE4294967295ELNS1_3gpuE0ELNS1_3repE0EEENS1_52radix_sort_onesweep_histogram_config_static_selectorELNS0_4arch9wavefront6targetE1EEEvSE_.num_vgpr, 0
	.set _ZN7rocprim17ROCPRIM_400000_NS6detail17trampoline_kernelINS0_14default_configENS1_35radix_sort_onesweep_config_selectorIisEEZNS1_34radix_sort_onesweep_global_offsetsIS3_Lb0EN6thrust23THRUST_200600_302600_NS10device_ptrIiEENS9_IsEEjNS0_19identity_decomposerEEE10hipError_tT1_T2_PT3_SG_jT4_jjP12ihipStream_tbEUlT_E0_NS1_11comp_targetILNS1_3genE0ELNS1_11target_archE4294967295ELNS1_3gpuE0ELNS1_3repE0EEENS1_52radix_sort_onesweep_histogram_config_static_selectorELNS0_4arch9wavefront6targetE1EEEvSE_.num_agpr, 0
	.set _ZN7rocprim17ROCPRIM_400000_NS6detail17trampoline_kernelINS0_14default_configENS1_35radix_sort_onesweep_config_selectorIisEEZNS1_34radix_sort_onesweep_global_offsetsIS3_Lb0EN6thrust23THRUST_200600_302600_NS10device_ptrIiEENS9_IsEEjNS0_19identity_decomposerEEE10hipError_tT1_T2_PT3_SG_jT4_jjP12ihipStream_tbEUlT_E0_NS1_11comp_targetILNS1_3genE0ELNS1_11target_archE4294967295ELNS1_3gpuE0ELNS1_3repE0EEENS1_52radix_sort_onesweep_histogram_config_static_selectorELNS0_4arch9wavefront6targetE1EEEvSE_.numbered_sgpr, 0
	.set _ZN7rocprim17ROCPRIM_400000_NS6detail17trampoline_kernelINS0_14default_configENS1_35radix_sort_onesweep_config_selectorIisEEZNS1_34radix_sort_onesweep_global_offsetsIS3_Lb0EN6thrust23THRUST_200600_302600_NS10device_ptrIiEENS9_IsEEjNS0_19identity_decomposerEEE10hipError_tT1_T2_PT3_SG_jT4_jjP12ihipStream_tbEUlT_E0_NS1_11comp_targetILNS1_3genE0ELNS1_11target_archE4294967295ELNS1_3gpuE0ELNS1_3repE0EEENS1_52radix_sort_onesweep_histogram_config_static_selectorELNS0_4arch9wavefront6targetE1EEEvSE_.num_named_barrier, 0
	.set _ZN7rocprim17ROCPRIM_400000_NS6detail17trampoline_kernelINS0_14default_configENS1_35radix_sort_onesweep_config_selectorIisEEZNS1_34radix_sort_onesweep_global_offsetsIS3_Lb0EN6thrust23THRUST_200600_302600_NS10device_ptrIiEENS9_IsEEjNS0_19identity_decomposerEEE10hipError_tT1_T2_PT3_SG_jT4_jjP12ihipStream_tbEUlT_E0_NS1_11comp_targetILNS1_3genE0ELNS1_11target_archE4294967295ELNS1_3gpuE0ELNS1_3repE0EEENS1_52radix_sort_onesweep_histogram_config_static_selectorELNS0_4arch9wavefront6targetE1EEEvSE_.private_seg_size, 0
	.set _ZN7rocprim17ROCPRIM_400000_NS6detail17trampoline_kernelINS0_14default_configENS1_35radix_sort_onesweep_config_selectorIisEEZNS1_34radix_sort_onesweep_global_offsetsIS3_Lb0EN6thrust23THRUST_200600_302600_NS10device_ptrIiEENS9_IsEEjNS0_19identity_decomposerEEE10hipError_tT1_T2_PT3_SG_jT4_jjP12ihipStream_tbEUlT_E0_NS1_11comp_targetILNS1_3genE0ELNS1_11target_archE4294967295ELNS1_3gpuE0ELNS1_3repE0EEENS1_52radix_sort_onesweep_histogram_config_static_selectorELNS0_4arch9wavefront6targetE1EEEvSE_.uses_vcc, 0
	.set _ZN7rocprim17ROCPRIM_400000_NS6detail17trampoline_kernelINS0_14default_configENS1_35radix_sort_onesweep_config_selectorIisEEZNS1_34radix_sort_onesweep_global_offsetsIS3_Lb0EN6thrust23THRUST_200600_302600_NS10device_ptrIiEENS9_IsEEjNS0_19identity_decomposerEEE10hipError_tT1_T2_PT3_SG_jT4_jjP12ihipStream_tbEUlT_E0_NS1_11comp_targetILNS1_3genE0ELNS1_11target_archE4294967295ELNS1_3gpuE0ELNS1_3repE0EEENS1_52radix_sort_onesweep_histogram_config_static_selectorELNS0_4arch9wavefront6targetE1EEEvSE_.uses_flat_scratch, 0
	.set _ZN7rocprim17ROCPRIM_400000_NS6detail17trampoline_kernelINS0_14default_configENS1_35radix_sort_onesweep_config_selectorIisEEZNS1_34radix_sort_onesweep_global_offsetsIS3_Lb0EN6thrust23THRUST_200600_302600_NS10device_ptrIiEENS9_IsEEjNS0_19identity_decomposerEEE10hipError_tT1_T2_PT3_SG_jT4_jjP12ihipStream_tbEUlT_E0_NS1_11comp_targetILNS1_3genE0ELNS1_11target_archE4294967295ELNS1_3gpuE0ELNS1_3repE0EEENS1_52radix_sort_onesweep_histogram_config_static_selectorELNS0_4arch9wavefront6targetE1EEEvSE_.has_dyn_sized_stack, 0
	.set _ZN7rocprim17ROCPRIM_400000_NS6detail17trampoline_kernelINS0_14default_configENS1_35radix_sort_onesweep_config_selectorIisEEZNS1_34radix_sort_onesweep_global_offsetsIS3_Lb0EN6thrust23THRUST_200600_302600_NS10device_ptrIiEENS9_IsEEjNS0_19identity_decomposerEEE10hipError_tT1_T2_PT3_SG_jT4_jjP12ihipStream_tbEUlT_E0_NS1_11comp_targetILNS1_3genE0ELNS1_11target_archE4294967295ELNS1_3gpuE0ELNS1_3repE0EEENS1_52radix_sort_onesweep_histogram_config_static_selectorELNS0_4arch9wavefront6targetE1EEEvSE_.has_recursion, 0
	.set _ZN7rocprim17ROCPRIM_400000_NS6detail17trampoline_kernelINS0_14default_configENS1_35radix_sort_onesweep_config_selectorIisEEZNS1_34radix_sort_onesweep_global_offsetsIS3_Lb0EN6thrust23THRUST_200600_302600_NS10device_ptrIiEENS9_IsEEjNS0_19identity_decomposerEEE10hipError_tT1_T2_PT3_SG_jT4_jjP12ihipStream_tbEUlT_E0_NS1_11comp_targetILNS1_3genE0ELNS1_11target_archE4294967295ELNS1_3gpuE0ELNS1_3repE0EEENS1_52radix_sort_onesweep_histogram_config_static_selectorELNS0_4arch9wavefront6targetE1EEEvSE_.has_indirect_call, 0
	.section	.AMDGPU.csdata,"",@progbits
; Kernel info:
; codeLenInByte = 0
; TotalNumSgprs: 6
; NumVgprs: 0
; NumAgprs: 0
; TotalNumVgprs: 0
; ScratchSize: 0
; MemoryBound: 0
; FloatMode: 240
; IeeeMode: 1
; LDSByteSize: 0 bytes/workgroup (compile time only)
; SGPRBlocks: 0
; VGPRBlocks: 0
; NumSGPRsForWavesPerEU: 6
; NumVGPRsForWavesPerEU: 1
; AccumOffset: 4
; Occupancy: 8
; WaveLimiterHint : 0
; COMPUTE_PGM_RSRC2:SCRATCH_EN: 0
; COMPUTE_PGM_RSRC2:USER_SGPR: 2
; COMPUTE_PGM_RSRC2:TRAP_HANDLER: 0
; COMPUTE_PGM_RSRC2:TGID_X_EN: 1
; COMPUTE_PGM_RSRC2:TGID_Y_EN: 0
; COMPUTE_PGM_RSRC2:TGID_Z_EN: 0
; COMPUTE_PGM_RSRC2:TIDIG_COMP_CNT: 0
; COMPUTE_PGM_RSRC3_GFX90A:ACCUM_OFFSET: 0
; COMPUTE_PGM_RSRC3_GFX90A:TG_SPLIT: 0
	.section	.text._ZN7rocprim17ROCPRIM_400000_NS6detail17trampoline_kernelINS0_14default_configENS1_35radix_sort_onesweep_config_selectorIisEEZNS1_34radix_sort_onesweep_global_offsetsIS3_Lb0EN6thrust23THRUST_200600_302600_NS10device_ptrIiEENS9_IsEEjNS0_19identity_decomposerEEE10hipError_tT1_T2_PT3_SG_jT4_jjP12ihipStream_tbEUlT_E0_NS1_11comp_targetILNS1_3genE6ELNS1_11target_archE950ELNS1_3gpuE13ELNS1_3repE0EEENS1_52radix_sort_onesweep_histogram_config_static_selectorELNS0_4arch9wavefront6targetE1EEEvSE_,"axG",@progbits,_ZN7rocprim17ROCPRIM_400000_NS6detail17trampoline_kernelINS0_14default_configENS1_35radix_sort_onesweep_config_selectorIisEEZNS1_34radix_sort_onesweep_global_offsetsIS3_Lb0EN6thrust23THRUST_200600_302600_NS10device_ptrIiEENS9_IsEEjNS0_19identity_decomposerEEE10hipError_tT1_T2_PT3_SG_jT4_jjP12ihipStream_tbEUlT_E0_NS1_11comp_targetILNS1_3genE6ELNS1_11target_archE950ELNS1_3gpuE13ELNS1_3repE0EEENS1_52radix_sort_onesweep_histogram_config_static_selectorELNS0_4arch9wavefront6targetE1EEEvSE_,comdat
	.protected	_ZN7rocprim17ROCPRIM_400000_NS6detail17trampoline_kernelINS0_14default_configENS1_35radix_sort_onesweep_config_selectorIisEEZNS1_34radix_sort_onesweep_global_offsetsIS3_Lb0EN6thrust23THRUST_200600_302600_NS10device_ptrIiEENS9_IsEEjNS0_19identity_decomposerEEE10hipError_tT1_T2_PT3_SG_jT4_jjP12ihipStream_tbEUlT_E0_NS1_11comp_targetILNS1_3genE6ELNS1_11target_archE950ELNS1_3gpuE13ELNS1_3repE0EEENS1_52radix_sort_onesweep_histogram_config_static_selectorELNS0_4arch9wavefront6targetE1EEEvSE_ ; -- Begin function _ZN7rocprim17ROCPRIM_400000_NS6detail17trampoline_kernelINS0_14default_configENS1_35radix_sort_onesweep_config_selectorIisEEZNS1_34radix_sort_onesweep_global_offsetsIS3_Lb0EN6thrust23THRUST_200600_302600_NS10device_ptrIiEENS9_IsEEjNS0_19identity_decomposerEEE10hipError_tT1_T2_PT3_SG_jT4_jjP12ihipStream_tbEUlT_E0_NS1_11comp_targetILNS1_3genE6ELNS1_11target_archE950ELNS1_3gpuE13ELNS1_3repE0EEENS1_52radix_sort_onesweep_histogram_config_static_selectorELNS0_4arch9wavefront6targetE1EEEvSE_
	.globl	_ZN7rocprim17ROCPRIM_400000_NS6detail17trampoline_kernelINS0_14default_configENS1_35radix_sort_onesweep_config_selectorIisEEZNS1_34radix_sort_onesweep_global_offsetsIS3_Lb0EN6thrust23THRUST_200600_302600_NS10device_ptrIiEENS9_IsEEjNS0_19identity_decomposerEEE10hipError_tT1_T2_PT3_SG_jT4_jjP12ihipStream_tbEUlT_E0_NS1_11comp_targetILNS1_3genE6ELNS1_11target_archE950ELNS1_3gpuE13ELNS1_3repE0EEENS1_52radix_sort_onesweep_histogram_config_static_selectorELNS0_4arch9wavefront6targetE1EEEvSE_
	.p2align	8
	.type	_ZN7rocprim17ROCPRIM_400000_NS6detail17trampoline_kernelINS0_14default_configENS1_35radix_sort_onesweep_config_selectorIisEEZNS1_34radix_sort_onesweep_global_offsetsIS3_Lb0EN6thrust23THRUST_200600_302600_NS10device_ptrIiEENS9_IsEEjNS0_19identity_decomposerEEE10hipError_tT1_T2_PT3_SG_jT4_jjP12ihipStream_tbEUlT_E0_NS1_11comp_targetILNS1_3genE6ELNS1_11target_archE950ELNS1_3gpuE13ELNS1_3repE0EEENS1_52radix_sort_onesweep_histogram_config_static_selectorELNS0_4arch9wavefront6targetE1EEEvSE_,@function
_ZN7rocprim17ROCPRIM_400000_NS6detail17trampoline_kernelINS0_14default_configENS1_35radix_sort_onesweep_config_selectorIisEEZNS1_34radix_sort_onesweep_global_offsetsIS3_Lb0EN6thrust23THRUST_200600_302600_NS10device_ptrIiEENS9_IsEEjNS0_19identity_decomposerEEE10hipError_tT1_T2_PT3_SG_jT4_jjP12ihipStream_tbEUlT_E0_NS1_11comp_targetILNS1_3genE6ELNS1_11target_archE950ELNS1_3gpuE13ELNS1_3repE0EEENS1_52radix_sort_onesweep_histogram_config_static_selectorELNS0_4arch9wavefront6targetE1EEEvSE_: ; @_ZN7rocprim17ROCPRIM_400000_NS6detail17trampoline_kernelINS0_14default_configENS1_35radix_sort_onesweep_config_selectorIisEEZNS1_34radix_sort_onesweep_global_offsetsIS3_Lb0EN6thrust23THRUST_200600_302600_NS10device_ptrIiEENS9_IsEEjNS0_19identity_decomposerEEE10hipError_tT1_T2_PT3_SG_jT4_jjP12ihipStream_tbEUlT_E0_NS1_11comp_targetILNS1_3genE6ELNS1_11target_archE950ELNS1_3gpuE13ELNS1_3repE0EEENS1_52radix_sort_onesweep_histogram_config_static_selectorELNS0_4arch9wavefront6targetE1EEEvSE_
; %bb.0:
	s_load_dwordx2 s[0:1], s[0:1], 0x0
	s_lshl_b32 s2, s2, 8
	s_mov_b32 s3, 0
	s_lshl_b64 s[2:3], s[2:3], 2
	v_lshlrev_b32_e32 v1, 2, v0
	s_waitcnt lgkmcnt(0)
	s_add_u32 s10, s0, s2
	s_movk_i32 s0, 0x100
	s_addc_u32 s11, s1, s3
	v_cmp_gt_u32_e32 vcc, s0, v0
                                        ; implicit-def: $vgpr3
	s_and_saveexec_b64 s[0:1], vcc
	s_cbranch_execz .LBB2414_2
; %bb.1:
	global_load_dword v3, v1, s[10:11]
.LBB2414_2:
	s_or_b64 exec, exec, s[0:1]
	v_mbcnt_lo_u32_b32 v2, -1, 0
	v_mbcnt_hi_u32_b32 v2, -1, v2
	v_and_b32_e32 v4, 15, v2
	s_waitcnt vmcnt(0)
	v_mov_b32_dpp v5, v3 row_shr:1 row_mask:0xf bank_mask:0xf
	v_cmp_eq_u32_e64 s[0:1], 0, v4
	v_cmp_lt_u32_e64 s[2:3], 1, v4
	v_cmp_lt_u32_e64 s[4:5], 3, v4
	v_cndmask_b32_e64 v5, v5, 0, s[0:1]
	v_add_u32_e32 v3, v5, v3
	v_cmp_lt_u32_e64 s[6:7], 7, v4
	v_cmp_lt_u32_e64 s[8:9], 31, v2
	v_mov_b32_dpp v5, v3 row_shr:2 row_mask:0xf bank_mask:0xf
	v_cndmask_b32_e64 v5, 0, v5, s[2:3]
	v_add_u32_e32 v3, v3, v5
	s_nop 1
	v_mov_b32_dpp v5, v3 row_shr:4 row_mask:0xf bank_mask:0xf
	v_cndmask_b32_e64 v5, 0, v5, s[4:5]
	v_add_u32_e32 v3, v3, v5
	s_nop 1
	v_mov_b32_dpp v5, v3 row_shr:8 row_mask:0xf bank_mask:0xf
	v_cndmask_b32_e64 v4, 0, v5, s[6:7]
	v_add_u32_e32 v3, v3, v4
	v_bfe_i32 v5, v2, 4, 1
	s_nop 0
	v_mov_b32_dpp v4, v3 row_bcast:15 row_mask:0xf bank_mask:0xf
	v_and_b32_e32 v4, v5, v4
	v_add_u32_e32 v3, v3, v4
	v_and_b32_e32 v5, 63, v0
	s_nop 0
	v_mov_b32_dpp v4, v3 row_bcast:31 row_mask:0xf bank_mask:0xf
	v_cndmask_b32_e64 v4, 0, v4, s[8:9]
	v_add_u32_e32 v3, v3, v4
	v_lshrrev_b32_e32 v4, 6, v0
	v_cmp_eq_u32_e64 s[8:9], 63, v5
	s_and_saveexec_b64 s[12:13], s[8:9]
; %bb.3:
	v_lshlrev_b32_e32 v5, 2, v4
	ds_write_b32 v5, v3
; %bb.4:
	s_or_b64 exec, exec, s[12:13]
	v_cmp_gt_u32_e64 s[8:9], 16, v0
	s_waitcnt lgkmcnt(0)
	s_barrier
	s_and_saveexec_b64 s[12:13], s[8:9]
	s_cbranch_execz .LBB2414_6
; %bb.5:
	ds_read_b32 v5, v1
	s_waitcnt lgkmcnt(0)
	s_nop 0
	v_mov_b32_dpp v6, v5 row_shr:1 row_mask:0xf bank_mask:0xf
	v_cndmask_b32_e64 v6, v6, 0, s[0:1]
	v_add_u32_e32 v5, v6, v5
	s_nop 1
	v_mov_b32_dpp v6, v5 row_shr:2 row_mask:0xf bank_mask:0xf
	v_cndmask_b32_e64 v6, 0, v6, s[2:3]
	v_add_u32_e32 v5, v5, v6
	;; [unrolled: 4-line block ×4, first 2 shown]
	ds_write_b32 v1, v5
.LBB2414_6:
	s_or_b64 exec, exec, s[12:13]
	v_cmp_lt_u32_e64 s[0:1], 63, v0
	v_mov_b32_e32 v0, 0
	s_waitcnt lgkmcnt(0)
	s_barrier
	s_and_saveexec_b64 s[2:3], s[0:1]
; %bb.7:
	v_lshl_add_u32 v0, v4, 2, -4
	ds_read_b32 v0, v0
; %bb.8:
	s_or_b64 exec, exec, s[2:3]
	v_add_u32_e32 v4, -1, v2
	v_and_b32_e32 v5, 64, v2
	v_cmp_lt_i32_e64 s[0:1], v4, v5
	s_waitcnt lgkmcnt(0)
	v_add_u32_e32 v3, v0, v3
	v_cndmask_b32_e64 v4, v4, v2, s[0:1]
	v_lshlrev_b32_e32 v4, 2, v4
	ds_bpermute_b32 v3, v4, v3
	s_and_saveexec_b64 s[0:1], vcc
	s_cbranch_execz .LBB2414_10
; %bb.9:
	v_cmp_eq_u32_e32 vcc, 0, v2
	s_waitcnt lgkmcnt(0)
	s_nop 0
	v_cndmask_b32_e32 v0, v3, v0, vcc
	global_store_dword v1, v0, s[10:11]
.LBB2414_10:
	s_endpgm
	.section	.rodata,"a",@progbits
	.p2align	6, 0x0
	.amdhsa_kernel _ZN7rocprim17ROCPRIM_400000_NS6detail17trampoline_kernelINS0_14default_configENS1_35radix_sort_onesweep_config_selectorIisEEZNS1_34radix_sort_onesweep_global_offsetsIS3_Lb0EN6thrust23THRUST_200600_302600_NS10device_ptrIiEENS9_IsEEjNS0_19identity_decomposerEEE10hipError_tT1_T2_PT3_SG_jT4_jjP12ihipStream_tbEUlT_E0_NS1_11comp_targetILNS1_3genE6ELNS1_11target_archE950ELNS1_3gpuE13ELNS1_3repE0EEENS1_52radix_sort_onesweep_histogram_config_static_selectorELNS0_4arch9wavefront6targetE1EEEvSE_
		.amdhsa_group_segment_fixed_size 64
		.amdhsa_private_segment_fixed_size 0
		.amdhsa_kernarg_size 8
		.amdhsa_user_sgpr_count 2
		.amdhsa_user_sgpr_dispatch_ptr 0
		.amdhsa_user_sgpr_queue_ptr 0
		.amdhsa_user_sgpr_kernarg_segment_ptr 1
		.amdhsa_user_sgpr_dispatch_id 0
		.amdhsa_user_sgpr_kernarg_preload_length 0
		.amdhsa_user_sgpr_kernarg_preload_offset 0
		.amdhsa_user_sgpr_private_segment_size 0
		.amdhsa_uses_dynamic_stack 0
		.amdhsa_enable_private_segment 0
		.amdhsa_system_sgpr_workgroup_id_x 1
		.amdhsa_system_sgpr_workgroup_id_y 0
		.amdhsa_system_sgpr_workgroup_id_z 0
		.amdhsa_system_sgpr_workgroup_info 0
		.amdhsa_system_vgpr_workitem_id 0
		.amdhsa_next_free_vgpr 7
		.amdhsa_next_free_sgpr 14
		.amdhsa_accum_offset 8
		.amdhsa_reserve_vcc 1
		.amdhsa_float_round_mode_32 0
		.amdhsa_float_round_mode_16_64 0
		.amdhsa_float_denorm_mode_32 3
		.amdhsa_float_denorm_mode_16_64 3
		.amdhsa_dx10_clamp 1
		.amdhsa_ieee_mode 1
		.amdhsa_fp16_overflow 0
		.amdhsa_tg_split 0
		.amdhsa_exception_fp_ieee_invalid_op 0
		.amdhsa_exception_fp_denorm_src 0
		.amdhsa_exception_fp_ieee_div_zero 0
		.amdhsa_exception_fp_ieee_overflow 0
		.amdhsa_exception_fp_ieee_underflow 0
		.amdhsa_exception_fp_ieee_inexact 0
		.amdhsa_exception_int_div_zero 0
	.end_amdhsa_kernel
	.section	.text._ZN7rocprim17ROCPRIM_400000_NS6detail17trampoline_kernelINS0_14default_configENS1_35radix_sort_onesweep_config_selectorIisEEZNS1_34radix_sort_onesweep_global_offsetsIS3_Lb0EN6thrust23THRUST_200600_302600_NS10device_ptrIiEENS9_IsEEjNS0_19identity_decomposerEEE10hipError_tT1_T2_PT3_SG_jT4_jjP12ihipStream_tbEUlT_E0_NS1_11comp_targetILNS1_3genE6ELNS1_11target_archE950ELNS1_3gpuE13ELNS1_3repE0EEENS1_52radix_sort_onesweep_histogram_config_static_selectorELNS0_4arch9wavefront6targetE1EEEvSE_,"axG",@progbits,_ZN7rocprim17ROCPRIM_400000_NS6detail17trampoline_kernelINS0_14default_configENS1_35radix_sort_onesweep_config_selectorIisEEZNS1_34radix_sort_onesweep_global_offsetsIS3_Lb0EN6thrust23THRUST_200600_302600_NS10device_ptrIiEENS9_IsEEjNS0_19identity_decomposerEEE10hipError_tT1_T2_PT3_SG_jT4_jjP12ihipStream_tbEUlT_E0_NS1_11comp_targetILNS1_3genE6ELNS1_11target_archE950ELNS1_3gpuE13ELNS1_3repE0EEENS1_52radix_sort_onesweep_histogram_config_static_selectorELNS0_4arch9wavefront6targetE1EEEvSE_,comdat
.Lfunc_end2414:
	.size	_ZN7rocprim17ROCPRIM_400000_NS6detail17trampoline_kernelINS0_14default_configENS1_35radix_sort_onesweep_config_selectorIisEEZNS1_34radix_sort_onesweep_global_offsetsIS3_Lb0EN6thrust23THRUST_200600_302600_NS10device_ptrIiEENS9_IsEEjNS0_19identity_decomposerEEE10hipError_tT1_T2_PT3_SG_jT4_jjP12ihipStream_tbEUlT_E0_NS1_11comp_targetILNS1_3genE6ELNS1_11target_archE950ELNS1_3gpuE13ELNS1_3repE0EEENS1_52radix_sort_onesweep_histogram_config_static_selectorELNS0_4arch9wavefront6targetE1EEEvSE_, .Lfunc_end2414-_ZN7rocprim17ROCPRIM_400000_NS6detail17trampoline_kernelINS0_14default_configENS1_35radix_sort_onesweep_config_selectorIisEEZNS1_34radix_sort_onesweep_global_offsetsIS3_Lb0EN6thrust23THRUST_200600_302600_NS10device_ptrIiEENS9_IsEEjNS0_19identity_decomposerEEE10hipError_tT1_T2_PT3_SG_jT4_jjP12ihipStream_tbEUlT_E0_NS1_11comp_targetILNS1_3genE6ELNS1_11target_archE950ELNS1_3gpuE13ELNS1_3repE0EEENS1_52radix_sort_onesweep_histogram_config_static_selectorELNS0_4arch9wavefront6targetE1EEEvSE_
                                        ; -- End function
	.set _ZN7rocprim17ROCPRIM_400000_NS6detail17trampoline_kernelINS0_14default_configENS1_35radix_sort_onesweep_config_selectorIisEEZNS1_34radix_sort_onesweep_global_offsetsIS3_Lb0EN6thrust23THRUST_200600_302600_NS10device_ptrIiEENS9_IsEEjNS0_19identity_decomposerEEE10hipError_tT1_T2_PT3_SG_jT4_jjP12ihipStream_tbEUlT_E0_NS1_11comp_targetILNS1_3genE6ELNS1_11target_archE950ELNS1_3gpuE13ELNS1_3repE0EEENS1_52radix_sort_onesweep_histogram_config_static_selectorELNS0_4arch9wavefront6targetE1EEEvSE_.num_vgpr, 7
	.set _ZN7rocprim17ROCPRIM_400000_NS6detail17trampoline_kernelINS0_14default_configENS1_35radix_sort_onesweep_config_selectorIisEEZNS1_34radix_sort_onesweep_global_offsetsIS3_Lb0EN6thrust23THRUST_200600_302600_NS10device_ptrIiEENS9_IsEEjNS0_19identity_decomposerEEE10hipError_tT1_T2_PT3_SG_jT4_jjP12ihipStream_tbEUlT_E0_NS1_11comp_targetILNS1_3genE6ELNS1_11target_archE950ELNS1_3gpuE13ELNS1_3repE0EEENS1_52radix_sort_onesweep_histogram_config_static_selectorELNS0_4arch9wavefront6targetE1EEEvSE_.num_agpr, 0
	.set _ZN7rocprim17ROCPRIM_400000_NS6detail17trampoline_kernelINS0_14default_configENS1_35radix_sort_onesweep_config_selectorIisEEZNS1_34radix_sort_onesweep_global_offsetsIS3_Lb0EN6thrust23THRUST_200600_302600_NS10device_ptrIiEENS9_IsEEjNS0_19identity_decomposerEEE10hipError_tT1_T2_PT3_SG_jT4_jjP12ihipStream_tbEUlT_E0_NS1_11comp_targetILNS1_3genE6ELNS1_11target_archE950ELNS1_3gpuE13ELNS1_3repE0EEENS1_52radix_sort_onesweep_histogram_config_static_selectorELNS0_4arch9wavefront6targetE1EEEvSE_.numbered_sgpr, 14
	.set _ZN7rocprim17ROCPRIM_400000_NS6detail17trampoline_kernelINS0_14default_configENS1_35radix_sort_onesweep_config_selectorIisEEZNS1_34radix_sort_onesweep_global_offsetsIS3_Lb0EN6thrust23THRUST_200600_302600_NS10device_ptrIiEENS9_IsEEjNS0_19identity_decomposerEEE10hipError_tT1_T2_PT3_SG_jT4_jjP12ihipStream_tbEUlT_E0_NS1_11comp_targetILNS1_3genE6ELNS1_11target_archE950ELNS1_3gpuE13ELNS1_3repE0EEENS1_52radix_sort_onesweep_histogram_config_static_selectorELNS0_4arch9wavefront6targetE1EEEvSE_.num_named_barrier, 0
	.set _ZN7rocprim17ROCPRIM_400000_NS6detail17trampoline_kernelINS0_14default_configENS1_35radix_sort_onesweep_config_selectorIisEEZNS1_34radix_sort_onesweep_global_offsetsIS3_Lb0EN6thrust23THRUST_200600_302600_NS10device_ptrIiEENS9_IsEEjNS0_19identity_decomposerEEE10hipError_tT1_T2_PT3_SG_jT4_jjP12ihipStream_tbEUlT_E0_NS1_11comp_targetILNS1_3genE6ELNS1_11target_archE950ELNS1_3gpuE13ELNS1_3repE0EEENS1_52radix_sort_onesweep_histogram_config_static_selectorELNS0_4arch9wavefront6targetE1EEEvSE_.private_seg_size, 0
	.set _ZN7rocprim17ROCPRIM_400000_NS6detail17trampoline_kernelINS0_14default_configENS1_35radix_sort_onesweep_config_selectorIisEEZNS1_34radix_sort_onesweep_global_offsetsIS3_Lb0EN6thrust23THRUST_200600_302600_NS10device_ptrIiEENS9_IsEEjNS0_19identity_decomposerEEE10hipError_tT1_T2_PT3_SG_jT4_jjP12ihipStream_tbEUlT_E0_NS1_11comp_targetILNS1_3genE6ELNS1_11target_archE950ELNS1_3gpuE13ELNS1_3repE0EEENS1_52radix_sort_onesweep_histogram_config_static_selectorELNS0_4arch9wavefront6targetE1EEEvSE_.uses_vcc, 1
	.set _ZN7rocprim17ROCPRIM_400000_NS6detail17trampoline_kernelINS0_14default_configENS1_35radix_sort_onesweep_config_selectorIisEEZNS1_34radix_sort_onesweep_global_offsetsIS3_Lb0EN6thrust23THRUST_200600_302600_NS10device_ptrIiEENS9_IsEEjNS0_19identity_decomposerEEE10hipError_tT1_T2_PT3_SG_jT4_jjP12ihipStream_tbEUlT_E0_NS1_11comp_targetILNS1_3genE6ELNS1_11target_archE950ELNS1_3gpuE13ELNS1_3repE0EEENS1_52radix_sort_onesweep_histogram_config_static_selectorELNS0_4arch9wavefront6targetE1EEEvSE_.uses_flat_scratch, 0
	.set _ZN7rocprim17ROCPRIM_400000_NS6detail17trampoline_kernelINS0_14default_configENS1_35radix_sort_onesweep_config_selectorIisEEZNS1_34radix_sort_onesweep_global_offsetsIS3_Lb0EN6thrust23THRUST_200600_302600_NS10device_ptrIiEENS9_IsEEjNS0_19identity_decomposerEEE10hipError_tT1_T2_PT3_SG_jT4_jjP12ihipStream_tbEUlT_E0_NS1_11comp_targetILNS1_3genE6ELNS1_11target_archE950ELNS1_3gpuE13ELNS1_3repE0EEENS1_52radix_sort_onesweep_histogram_config_static_selectorELNS0_4arch9wavefront6targetE1EEEvSE_.has_dyn_sized_stack, 0
	.set _ZN7rocprim17ROCPRIM_400000_NS6detail17trampoline_kernelINS0_14default_configENS1_35radix_sort_onesweep_config_selectorIisEEZNS1_34radix_sort_onesweep_global_offsetsIS3_Lb0EN6thrust23THRUST_200600_302600_NS10device_ptrIiEENS9_IsEEjNS0_19identity_decomposerEEE10hipError_tT1_T2_PT3_SG_jT4_jjP12ihipStream_tbEUlT_E0_NS1_11comp_targetILNS1_3genE6ELNS1_11target_archE950ELNS1_3gpuE13ELNS1_3repE0EEENS1_52radix_sort_onesweep_histogram_config_static_selectorELNS0_4arch9wavefront6targetE1EEEvSE_.has_recursion, 0
	.set _ZN7rocprim17ROCPRIM_400000_NS6detail17trampoline_kernelINS0_14default_configENS1_35radix_sort_onesweep_config_selectorIisEEZNS1_34radix_sort_onesweep_global_offsetsIS3_Lb0EN6thrust23THRUST_200600_302600_NS10device_ptrIiEENS9_IsEEjNS0_19identity_decomposerEEE10hipError_tT1_T2_PT3_SG_jT4_jjP12ihipStream_tbEUlT_E0_NS1_11comp_targetILNS1_3genE6ELNS1_11target_archE950ELNS1_3gpuE13ELNS1_3repE0EEENS1_52radix_sort_onesweep_histogram_config_static_selectorELNS0_4arch9wavefront6targetE1EEEvSE_.has_indirect_call, 0
	.section	.AMDGPU.csdata,"",@progbits
; Kernel info:
; codeLenInByte = 572
; TotalNumSgprs: 20
; NumVgprs: 7
; NumAgprs: 0
; TotalNumVgprs: 7
; ScratchSize: 0
; MemoryBound: 0
; FloatMode: 240
; IeeeMode: 1
; LDSByteSize: 64 bytes/workgroup (compile time only)
; SGPRBlocks: 2
; VGPRBlocks: 0
; NumSGPRsForWavesPerEU: 20
; NumVGPRsForWavesPerEU: 7
; AccumOffset: 8
; Occupancy: 8
; WaveLimiterHint : 0
; COMPUTE_PGM_RSRC2:SCRATCH_EN: 0
; COMPUTE_PGM_RSRC2:USER_SGPR: 2
; COMPUTE_PGM_RSRC2:TRAP_HANDLER: 0
; COMPUTE_PGM_RSRC2:TGID_X_EN: 1
; COMPUTE_PGM_RSRC2:TGID_Y_EN: 0
; COMPUTE_PGM_RSRC2:TGID_Z_EN: 0
; COMPUTE_PGM_RSRC2:TIDIG_COMP_CNT: 0
; COMPUTE_PGM_RSRC3_GFX90A:ACCUM_OFFSET: 1
; COMPUTE_PGM_RSRC3_GFX90A:TG_SPLIT: 0
	.section	.text._ZN7rocprim17ROCPRIM_400000_NS6detail17trampoline_kernelINS0_14default_configENS1_35radix_sort_onesweep_config_selectorIisEEZNS1_34radix_sort_onesweep_global_offsetsIS3_Lb0EN6thrust23THRUST_200600_302600_NS10device_ptrIiEENS9_IsEEjNS0_19identity_decomposerEEE10hipError_tT1_T2_PT3_SG_jT4_jjP12ihipStream_tbEUlT_E0_NS1_11comp_targetILNS1_3genE5ELNS1_11target_archE942ELNS1_3gpuE9ELNS1_3repE0EEENS1_52radix_sort_onesweep_histogram_config_static_selectorELNS0_4arch9wavefront6targetE1EEEvSE_,"axG",@progbits,_ZN7rocprim17ROCPRIM_400000_NS6detail17trampoline_kernelINS0_14default_configENS1_35radix_sort_onesweep_config_selectorIisEEZNS1_34radix_sort_onesweep_global_offsetsIS3_Lb0EN6thrust23THRUST_200600_302600_NS10device_ptrIiEENS9_IsEEjNS0_19identity_decomposerEEE10hipError_tT1_T2_PT3_SG_jT4_jjP12ihipStream_tbEUlT_E0_NS1_11comp_targetILNS1_3genE5ELNS1_11target_archE942ELNS1_3gpuE9ELNS1_3repE0EEENS1_52radix_sort_onesweep_histogram_config_static_selectorELNS0_4arch9wavefront6targetE1EEEvSE_,comdat
	.protected	_ZN7rocprim17ROCPRIM_400000_NS6detail17trampoline_kernelINS0_14default_configENS1_35radix_sort_onesweep_config_selectorIisEEZNS1_34radix_sort_onesweep_global_offsetsIS3_Lb0EN6thrust23THRUST_200600_302600_NS10device_ptrIiEENS9_IsEEjNS0_19identity_decomposerEEE10hipError_tT1_T2_PT3_SG_jT4_jjP12ihipStream_tbEUlT_E0_NS1_11comp_targetILNS1_3genE5ELNS1_11target_archE942ELNS1_3gpuE9ELNS1_3repE0EEENS1_52radix_sort_onesweep_histogram_config_static_selectorELNS0_4arch9wavefront6targetE1EEEvSE_ ; -- Begin function _ZN7rocprim17ROCPRIM_400000_NS6detail17trampoline_kernelINS0_14default_configENS1_35radix_sort_onesweep_config_selectorIisEEZNS1_34radix_sort_onesweep_global_offsetsIS3_Lb0EN6thrust23THRUST_200600_302600_NS10device_ptrIiEENS9_IsEEjNS0_19identity_decomposerEEE10hipError_tT1_T2_PT3_SG_jT4_jjP12ihipStream_tbEUlT_E0_NS1_11comp_targetILNS1_3genE5ELNS1_11target_archE942ELNS1_3gpuE9ELNS1_3repE0EEENS1_52radix_sort_onesweep_histogram_config_static_selectorELNS0_4arch9wavefront6targetE1EEEvSE_
	.globl	_ZN7rocprim17ROCPRIM_400000_NS6detail17trampoline_kernelINS0_14default_configENS1_35radix_sort_onesweep_config_selectorIisEEZNS1_34radix_sort_onesweep_global_offsetsIS3_Lb0EN6thrust23THRUST_200600_302600_NS10device_ptrIiEENS9_IsEEjNS0_19identity_decomposerEEE10hipError_tT1_T2_PT3_SG_jT4_jjP12ihipStream_tbEUlT_E0_NS1_11comp_targetILNS1_3genE5ELNS1_11target_archE942ELNS1_3gpuE9ELNS1_3repE0EEENS1_52radix_sort_onesweep_histogram_config_static_selectorELNS0_4arch9wavefront6targetE1EEEvSE_
	.p2align	8
	.type	_ZN7rocprim17ROCPRIM_400000_NS6detail17trampoline_kernelINS0_14default_configENS1_35radix_sort_onesweep_config_selectorIisEEZNS1_34radix_sort_onesweep_global_offsetsIS3_Lb0EN6thrust23THRUST_200600_302600_NS10device_ptrIiEENS9_IsEEjNS0_19identity_decomposerEEE10hipError_tT1_T2_PT3_SG_jT4_jjP12ihipStream_tbEUlT_E0_NS1_11comp_targetILNS1_3genE5ELNS1_11target_archE942ELNS1_3gpuE9ELNS1_3repE0EEENS1_52radix_sort_onesweep_histogram_config_static_selectorELNS0_4arch9wavefront6targetE1EEEvSE_,@function
_ZN7rocprim17ROCPRIM_400000_NS6detail17trampoline_kernelINS0_14default_configENS1_35radix_sort_onesweep_config_selectorIisEEZNS1_34radix_sort_onesweep_global_offsetsIS3_Lb0EN6thrust23THRUST_200600_302600_NS10device_ptrIiEENS9_IsEEjNS0_19identity_decomposerEEE10hipError_tT1_T2_PT3_SG_jT4_jjP12ihipStream_tbEUlT_E0_NS1_11comp_targetILNS1_3genE5ELNS1_11target_archE942ELNS1_3gpuE9ELNS1_3repE0EEENS1_52radix_sort_onesweep_histogram_config_static_selectorELNS0_4arch9wavefront6targetE1EEEvSE_: ; @_ZN7rocprim17ROCPRIM_400000_NS6detail17trampoline_kernelINS0_14default_configENS1_35radix_sort_onesweep_config_selectorIisEEZNS1_34radix_sort_onesweep_global_offsetsIS3_Lb0EN6thrust23THRUST_200600_302600_NS10device_ptrIiEENS9_IsEEjNS0_19identity_decomposerEEE10hipError_tT1_T2_PT3_SG_jT4_jjP12ihipStream_tbEUlT_E0_NS1_11comp_targetILNS1_3genE5ELNS1_11target_archE942ELNS1_3gpuE9ELNS1_3repE0EEENS1_52radix_sort_onesweep_histogram_config_static_selectorELNS0_4arch9wavefront6targetE1EEEvSE_
; %bb.0:
	.section	.rodata,"a",@progbits
	.p2align	6, 0x0
	.amdhsa_kernel _ZN7rocprim17ROCPRIM_400000_NS6detail17trampoline_kernelINS0_14default_configENS1_35radix_sort_onesweep_config_selectorIisEEZNS1_34radix_sort_onesweep_global_offsetsIS3_Lb0EN6thrust23THRUST_200600_302600_NS10device_ptrIiEENS9_IsEEjNS0_19identity_decomposerEEE10hipError_tT1_T2_PT3_SG_jT4_jjP12ihipStream_tbEUlT_E0_NS1_11comp_targetILNS1_3genE5ELNS1_11target_archE942ELNS1_3gpuE9ELNS1_3repE0EEENS1_52radix_sort_onesweep_histogram_config_static_selectorELNS0_4arch9wavefront6targetE1EEEvSE_
		.amdhsa_group_segment_fixed_size 0
		.amdhsa_private_segment_fixed_size 0
		.amdhsa_kernarg_size 8
		.amdhsa_user_sgpr_count 2
		.amdhsa_user_sgpr_dispatch_ptr 0
		.amdhsa_user_sgpr_queue_ptr 0
		.amdhsa_user_sgpr_kernarg_segment_ptr 1
		.amdhsa_user_sgpr_dispatch_id 0
		.amdhsa_user_sgpr_kernarg_preload_length 0
		.amdhsa_user_sgpr_kernarg_preload_offset 0
		.amdhsa_user_sgpr_private_segment_size 0
		.amdhsa_uses_dynamic_stack 0
		.amdhsa_enable_private_segment 0
		.amdhsa_system_sgpr_workgroup_id_x 1
		.amdhsa_system_sgpr_workgroup_id_y 0
		.amdhsa_system_sgpr_workgroup_id_z 0
		.amdhsa_system_sgpr_workgroup_info 0
		.amdhsa_system_vgpr_workitem_id 0
		.amdhsa_next_free_vgpr 1
		.amdhsa_next_free_sgpr 0
		.amdhsa_accum_offset 4
		.amdhsa_reserve_vcc 0
		.amdhsa_float_round_mode_32 0
		.amdhsa_float_round_mode_16_64 0
		.amdhsa_float_denorm_mode_32 3
		.amdhsa_float_denorm_mode_16_64 3
		.amdhsa_dx10_clamp 1
		.amdhsa_ieee_mode 1
		.amdhsa_fp16_overflow 0
		.amdhsa_tg_split 0
		.amdhsa_exception_fp_ieee_invalid_op 0
		.amdhsa_exception_fp_denorm_src 0
		.amdhsa_exception_fp_ieee_div_zero 0
		.amdhsa_exception_fp_ieee_overflow 0
		.amdhsa_exception_fp_ieee_underflow 0
		.amdhsa_exception_fp_ieee_inexact 0
		.amdhsa_exception_int_div_zero 0
	.end_amdhsa_kernel
	.section	.text._ZN7rocprim17ROCPRIM_400000_NS6detail17trampoline_kernelINS0_14default_configENS1_35radix_sort_onesweep_config_selectorIisEEZNS1_34radix_sort_onesweep_global_offsetsIS3_Lb0EN6thrust23THRUST_200600_302600_NS10device_ptrIiEENS9_IsEEjNS0_19identity_decomposerEEE10hipError_tT1_T2_PT3_SG_jT4_jjP12ihipStream_tbEUlT_E0_NS1_11comp_targetILNS1_3genE5ELNS1_11target_archE942ELNS1_3gpuE9ELNS1_3repE0EEENS1_52radix_sort_onesweep_histogram_config_static_selectorELNS0_4arch9wavefront6targetE1EEEvSE_,"axG",@progbits,_ZN7rocprim17ROCPRIM_400000_NS6detail17trampoline_kernelINS0_14default_configENS1_35radix_sort_onesweep_config_selectorIisEEZNS1_34radix_sort_onesweep_global_offsetsIS3_Lb0EN6thrust23THRUST_200600_302600_NS10device_ptrIiEENS9_IsEEjNS0_19identity_decomposerEEE10hipError_tT1_T2_PT3_SG_jT4_jjP12ihipStream_tbEUlT_E0_NS1_11comp_targetILNS1_3genE5ELNS1_11target_archE942ELNS1_3gpuE9ELNS1_3repE0EEENS1_52radix_sort_onesweep_histogram_config_static_selectorELNS0_4arch9wavefront6targetE1EEEvSE_,comdat
.Lfunc_end2415:
	.size	_ZN7rocprim17ROCPRIM_400000_NS6detail17trampoline_kernelINS0_14default_configENS1_35radix_sort_onesweep_config_selectorIisEEZNS1_34radix_sort_onesweep_global_offsetsIS3_Lb0EN6thrust23THRUST_200600_302600_NS10device_ptrIiEENS9_IsEEjNS0_19identity_decomposerEEE10hipError_tT1_T2_PT3_SG_jT4_jjP12ihipStream_tbEUlT_E0_NS1_11comp_targetILNS1_3genE5ELNS1_11target_archE942ELNS1_3gpuE9ELNS1_3repE0EEENS1_52radix_sort_onesweep_histogram_config_static_selectorELNS0_4arch9wavefront6targetE1EEEvSE_, .Lfunc_end2415-_ZN7rocprim17ROCPRIM_400000_NS6detail17trampoline_kernelINS0_14default_configENS1_35radix_sort_onesweep_config_selectorIisEEZNS1_34radix_sort_onesweep_global_offsetsIS3_Lb0EN6thrust23THRUST_200600_302600_NS10device_ptrIiEENS9_IsEEjNS0_19identity_decomposerEEE10hipError_tT1_T2_PT3_SG_jT4_jjP12ihipStream_tbEUlT_E0_NS1_11comp_targetILNS1_3genE5ELNS1_11target_archE942ELNS1_3gpuE9ELNS1_3repE0EEENS1_52radix_sort_onesweep_histogram_config_static_selectorELNS0_4arch9wavefront6targetE1EEEvSE_
                                        ; -- End function
	.set _ZN7rocprim17ROCPRIM_400000_NS6detail17trampoline_kernelINS0_14default_configENS1_35radix_sort_onesweep_config_selectorIisEEZNS1_34radix_sort_onesweep_global_offsetsIS3_Lb0EN6thrust23THRUST_200600_302600_NS10device_ptrIiEENS9_IsEEjNS0_19identity_decomposerEEE10hipError_tT1_T2_PT3_SG_jT4_jjP12ihipStream_tbEUlT_E0_NS1_11comp_targetILNS1_3genE5ELNS1_11target_archE942ELNS1_3gpuE9ELNS1_3repE0EEENS1_52radix_sort_onesweep_histogram_config_static_selectorELNS0_4arch9wavefront6targetE1EEEvSE_.num_vgpr, 0
	.set _ZN7rocprim17ROCPRIM_400000_NS6detail17trampoline_kernelINS0_14default_configENS1_35radix_sort_onesweep_config_selectorIisEEZNS1_34radix_sort_onesweep_global_offsetsIS3_Lb0EN6thrust23THRUST_200600_302600_NS10device_ptrIiEENS9_IsEEjNS0_19identity_decomposerEEE10hipError_tT1_T2_PT3_SG_jT4_jjP12ihipStream_tbEUlT_E0_NS1_11comp_targetILNS1_3genE5ELNS1_11target_archE942ELNS1_3gpuE9ELNS1_3repE0EEENS1_52radix_sort_onesweep_histogram_config_static_selectorELNS0_4arch9wavefront6targetE1EEEvSE_.num_agpr, 0
	.set _ZN7rocprim17ROCPRIM_400000_NS6detail17trampoline_kernelINS0_14default_configENS1_35radix_sort_onesweep_config_selectorIisEEZNS1_34radix_sort_onesweep_global_offsetsIS3_Lb0EN6thrust23THRUST_200600_302600_NS10device_ptrIiEENS9_IsEEjNS0_19identity_decomposerEEE10hipError_tT1_T2_PT3_SG_jT4_jjP12ihipStream_tbEUlT_E0_NS1_11comp_targetILNS1_3genE5ELNS1_11target_archE942ELNS1_3gpuE9ELNS1_3repE0EEENS1_52radix_sort_onesweep_histogram_config_static_selectorELNS0_4arch9wavefront6targetE1EEEvSE_.numbered_sgpr, 0
	.set _ZN7rocprim17ROCPRIM_400000_NS6detail17trampoline_kernelINS0_14default_configENS1_35radix_sort_onesweep_config_selectorIisEEZNS1_34radix_sort_onesweep_global_offsetsIS3_Lb0EN6thrust23THRUST_200600_302600_NS10device_ptrIiEENS9_IsEEjNS0_19identity_decomposerEEE10hipError_tT1_T2_PT3_SG_jT4_jjP12ihipStream_tbEUlT_E0_NS1_11comp_targetILNS1_3genE5ELNS1_11target_archE942ELNS1_3gpuE9ELNS1_3repE0EEENS1_52radix_sort_onesweep_histogram_config_static_selectorELNS0_4arch9wavefront6targetE1EEEvSE_.num_named_barrier, 0
	.set _ZN7rocprim17ROCPRIM_400000_NS6detail17trampoline_kernelINS0_14default_configENS1_35radix_sort_onesweep_config_selectorIisEEZNS1_34radix_sort_onesweep_global_offsetsIS3_Lb0EN6thrust23THRUST_200600_302600_NS10device_ptrIiEENS9_IsEEjNS0_19identity_decomposerEEE10hipError_tT1_T2_PT3_SG_jT4_jjP12ihipStream_tbEUlT_E0_NS1_11comp_targetILNS1_3genE5ELNS1_11target_archE942ELNS1_3gpuE9ELNS1_3repE0EEENS1_52radix_sort_onesweep_histogram_config_static_selectorELNS0_4arch9wavefront6targetE1EEEvSE_.private_seg_size, 0
	.set _ZN7rocprim17ROCPRIM_400000_NS6detail17trampoline_kernelINS0_14default_configENS1_35radix_sort_onesweep_config_selectorIisEEZNS1_34radix_sort_onesweep_global_offsetsIS3_Lb0EN6thrust23THRUST_200600_302600_NS10device_ptrIiEENS9_IsEEjNS0_19identity_decomposerEEE10hipError_tT1_T2_PT3_SG_jT4_jjP12ihipStream_tbEUlT_E0_NS1_11comp_targetILNS1_3genE5ELNS1_11target_archE942ELNS1_3gpuE9ELNS1_3repE0EEENS1_52radix_sort_onesweep_histogram_config_static_selectorELNS0_4arch9wavefront6targetE1EEEvSE_.uses_vcc, 0
	.set _ZN7rocprim17ROCPRIM_400000_NS6detail17trampoline_kernelINS0_14default_configENS1_35radix_sort_onesweep_config_selectorIisEEZNS1_34radix_sort_onesweep_global_offsetsIS3_Lb0EN6thrust23THRUST_200600_302600_NS10device_ptrIiEENS9_IsEEjNS0_19identity_decomposerEEE10hipError_tT1_T2_PT3_SG_jT4_jjP12ihipStream_tbEUlT_E0_NS1_11comp_targetILNS1_3genE5ELNS1_11target_archE942ELNS1_3gpuE9ELNS1_3repE0EEENS1_52radix_sort_onesweep_histogram_config_static_selectorELNS0_4arch9wavefront6targetE1EEEvSE_.uses_flat_scratch, 0
	.set _ZN7rocprim17ROCPRIM_400000_NS6detail17trampoline_kernelINS0_14default_configENS1_35radix_sort_onesweep_config_selectorIisEEZNS1_34radix_sort_onesweep_global_offsetsIS3_Lb0EN6thrust23THRUST_200600_302600_NS10device_ptrIiEENS9_IsEEjNS0_19identity_decomposerEEE10hipError_tT1_T2_PT3_SG_jT4_jjP12ihipStream_tbEUlT_E0_NS1_11comp_targetILNS1_3genE5ELNS1_11target_archE942ELNS1_3gpuE9ELNS1_3repE0EEENS1_52radix_sort_onesweep_histogram_config_static_selectorELNS0_4arch9wavefront6targetE1EEEvSE_.has_dyn_sized_stack, 0
	.set _ZN7rocprim17ROCPRIM_400000_NS6detail17trampoline_kernelINS0_14default_configENS1_35radix_sort_onesweep_config_selectorIisEEZNS1_34radix_sort_onesweep_global_offsetsIS3_Lb0EN6thrust23THRUST_200600_302600_NS10device_ptrIiEENS9_IsEEjNS0_19identity_decomposerEEE10hipError_tT1_T2_PT3_SG_jT4_jjP12ihipStream_tbEUlT_E0_NS1_11comp_targetILNS1_3genE5ELNS1_11target_archE942ELNS1_3gpuE9ELNS1_3repE0EEENS1_52radix_sort_onesweep_histogram_config_static_selectorELNS0_4arch9wavefront6targetE1EEEvSE_.has_recursion, 0
	.set _ZN7rocprim17ROCPRIM_400000_NS6detail17trampoline_kernelINS0_14default_configENS1_35radix_sort_onesweep_config_selectorIisEEZNS1_34radix_sort_onesweep_global_offsetsIS3_Lb0EN6thrust23THRUST_200600_302600_NS10device_ptrIiEENS9_IsEEjNS0_19identity_decomposerEEE10hipError_tT1_T2_PT3_SG_jT4_jjP12ihipStream_tbEUlT_E0_NS1_11comp_targetILNS1_3genE5ELNS1_11target_archE942ELNS1_3gpuE9ELNS1_3repE0EEENS1_52radix_sort_onesweep_histogram_config_static_selectorELNS0_4arch9wavefront6targetE1EEEvSE_.has_indirect_call, 0
	.section	.AMDGPU.csdata,"",@progbits
; Kernel info:
; codeLenInByte = 0
; TotalNumSgprs: 6
; NumVgprs: 0
; NumAgprs: 0
; TotalNumVgprs: 0
; ScratchSize: 0
; MemoryBound: 0
; FloatMode: 240
; IeeeMode: 1
; LDSByteSize: 0 bytes/workgroup (compile time only)
; SGPRBlocks: 0
; VGPRBlocks: 0
; NumSGPRsForWavesPerEU: 6
; NumVGPRsForWavesPerEU: 1
; AccumOffset: 4
; Occupancy: 8
; WaveLimiterHint : 0
; COMPUTE_PGM_RSRC2:SCRATCH_EN: 0
; COMPUTE_PGM_RSRC2:USER_SGPR: 2
; COMPUTE_PGM_RSRC2:TRAP_HANDLER: 0
; COMPUTE_PGM_RSRC2:TGID_X_EN: 1
; COMPUTE_PGM_RSRC2:TGID_Y_EN: 0
; COMPUTE_PGM_RSRC2:TGID_Z_EN: 0
; COMPUTE_PGM_RSRC2:TIDIG_COMP_CNT: 0
; COMPUTE_PGM_RSRC3_GFX90A:ACCUM_OFFSET: 0
; COMPUTE_PGM_RSRC3_GFX90A:TG_SPLIT: 0
	.section	.text._ZN7rocprim17ROCPRIM_400000_NS6detail17trampoline_kernelINS0_14default_configENS1_35radix_sort_onesweep_config_selectorIisEEZNS1_34radix_sort_onesweep_global_offsetsIS3_Lb0EN6thrust23THRUST_200600_302600_NS10device_ptrIiEENS9_IsEEjNS0_19identity_decomposerEEE10hipError_tT1_T2_PT3_SG_jT4_jjP12ihipStream_tbEUlT_E0_NS1_11comp_targetILNS1_3genE2ELNS1_11target_archE906ELNS1_3gpuE6ELNS1_3repE0EEENS1_52radix_sort_onesweep_histogram_config_static_selectorELNS0_4arch9wavefront6targetE1EEEvSE_,"axG",@progbits,_ZN7rocprim17ROCPRIM_400000_NS6detail17trampoline_kernelINS0_14default_configENS1_35radix_sort_onesweep_config_selectorIisEEZNS1_34radix_sort_onesweep_global_offsetsIS3_Lb0EN6thrust23THRUST_200600_302600_NS10device_ptrIiEENS9_IsEEjNS0_19identity_decomposerEEE10hipError_tT1_T2_PT3_SG_jT4_jjP12ihipStream_tbEUlT_E0_NS1_11comp_targetILNS1_3genE2ELNS1_11target_archE906ELNS1_3gpuE6ELNS1_3repE0EEENS1_52radix_sort_onesweep_histogram_config_static_selectorELNS0_4arch9wavefront6targetE1EEEvSE_,comdat
	.protected	_ZN7rocprim17ROCPRIM_400000_NS6detail17trampoline_kernelINS0_14default_configENS1_35radix_sort_onesweep_config_selectorIisEEZNS1_34radix_sort_onesweep_global_offsetsIS3_Lb0EN6thrust23THRUST_200600_302600_NS10device_ptrIiEENS9_IsEEjNS0_19identity_decomposerEEE10hipError_tT1_T2_PT3_SG_jT4_jjP12ihipStream_tbEUlT_E0_NS1_11comp_targetILNS1_3genE2ELNS1_11target_archE906ELNS1_3gpuE6ELNS1_3repE0EEENS1_52radix_sort_onesweep_histogram_config_static_selectorELNS0_4arch9wavefront6targetE1EEEvSE_ ; -- Begin function _ZN7rocprim17ROCPRIM_400000_NS6detail17trampoline_kernelINS0_14default_configENS1_35radix_sort_onesweep_config_selectorIisEEZNS1_34radix_sort_onesweep_global_offsetsIS3_Lb0EN6thrust23THRUST_200600_302600_NS10device_ptrIiEENS9_IsEEjNS0_19identity_decomposerEEE10hipError_tT1_T2_PT3_SG_jT4_jjP12ihipStream_tbEUlT_E0_NS1_11comp_targetILNS1_3genE2ELNS1_11target_archE906ELNS1_3gpuE6ELNS1_3repE0EEENS1_52radix_sort_onesweep_histogram_config_static_selectorELNS0_4arch9wavefront6targetE1EEEvSE_
	.globl	_ZN7rocprim17ROCPRIM_400000_NS6detail17trampoline_kernelINS0_14default_configENS1_35radix_sort_onesweep_config_selectorIisEEZNS1_34radix_sort_onesweep_global_offsetsIS3_Lb0EN6thrust23THRUST_200600_302600_NS10device_ptrIiEENS9_IsEEjNS0_19identity_decomposerEEE10hipError_tT1_T2_PT3_SG_jT4_jjP12ihipStream_tbEUlT_E0_NS1_11comp_targetILNS1_3genE2ELNS1_11target_archE906ELNS1_3gpuE6ELNS1_3repE0EEENS1_52radix_sort_onesweep_histogram_config_static_selectorELNS0_4arch9wavefront6targetE1EEEvSE_
	.p2align	8
	.type	_ZN7rocprim17ROCPRIM_400000_NS6detail17trampoline_kernelINS0_14default_configENS1_35radix_sort_onesweep_config_selectorIisEEZNS1_34radix_sort_onesweep_global_offsetsIS3_Lb0EN6thrust23THRUST_200600_302600_NS10device_ptrIiEENS9_IsEEjNS0_19identity_decomposerEEE10hipError_tT1_T2_PT3_SG_jT4_jjP12ihipStream_tbEUlT_E0_NS1_11comp_targetILNS1_3genE2ELNS1_11target_archE906ELNS1_3gpuE6ELNS1_3repE0EEENS1_52radix_sort_onesweep_histogram_config_static_selectorELNS0_4arch9wavefront6targetE1EEEvSE_,@function
_ZN7rocprim17ROCPRIM_400000_NS6detail17trampoline_kernelINS0_14default_configENS1_35radix_sort_onesweep_config_selectorIisEEZNS1_34radix_sort_onesweep_global_offsetsIS3_Lb0EN6thrust23THRUST_200600_302600_NS10device_ptrIiEENS9_IsEEjNS0_19identity_decomposerEEE10hipError_tT1_T2_PT3_SG_jT4_jjP12ihipStream_tbEUlT_E0_NS1_11comp_targetILNS1_3genE2ELNS1_11target_archE906ELNS1_3gpuE6ELNS1_3repE0EEENS1_52radix_sort_onesweep_histogram_config_static_selectorELNS0_4arch9wavefront6targetE1EEEvSE_: ; @_ZN7rocprim17ROCPRIM_400000_NS6detail17trampoline_kernelINS0_14default_configENS1_35radix_sort_onesweep_config_selectorIisEEZNS1_34radix_sort_onesweep_global_offsetsIS3_Lb0EN6thrust23THRUST_200600_302600_NS10device_ptrIiEENS9_IsEEjNS0_19identity_decomposerEEE10hipError_tT1_T2_PT3_SG_jT4_jjP12ihipStream_tbEUlT_E0_NS1_11comp_targetILNS1_3genE2ELNS1_11target_archE906ELNS1_3gpuE6ELNS1_3repE0EEENS1_52radix_sort_onesweep_histogram_config_static_selectorELNS0_4arch9wavefront6targetE1EEEvSE_
; %bb.0:
	.section	.rodata,"a",@progbits
	.p2align	6, 0x0
	.amdhsa_kernel _ZN7rocprim17ROCPRIM_400000_NS6detail17trampoline_kernelINS0_14default_configENS1_35radix_sort_onesweep_config_selectorIisEEZNS1_34radix_sort_onesweep_global_offsetsIS3_Lb0EN6thrust23THRUST_200600_302600_NS10device_ptrIiEENS9_IsEEjNS0_19identity_decomposerEEE10hipError_tT1_T2_PT3_SG_jT4_jjP12ihipStream_tbEUlT_E0_NS1_11comp_targetILNS1_3genE2ELNS1_11target_archE906ELNS1_3gpuE6ELNS1_3repE0EEENS1_52radix_sort_onesweep_histogram_config_static_selectorELNS0_4arch9wavefront6targetE1EEEvSE_
		.amdhsa_group_segment_fixed_size 0
		.amdhsa_private_segment_fixed_size 0
		.amdhsa_kernarg_size 8
		.amdhsa_user_sgpr_count 2
		.amdhsa_user_sgpr_dispatch_ptr 0
		.amdhsa_user_sgpr_queue_ptr 0
		.amdhsa_user_sgpr_kernarg_segment_ptr 1
		.amdhsa_user_sgpr_dispatch_id 0
		.amdhsa_user_sgpr_kernarg_preload_length 0
		.amdhsa_user_sgpr_kernarg_preload_offset 0
		.amdhsa_user_sgpr_private_segment_size 0
		.amdhsa_uses_dynamic_stack 0
		.amdhsa_enable_private_segment 0
		.amdhsa_system_sgpr_workgroup_id_x 1
		.amdhsa_system_sgpr_workgroup_id_y 0
		.amdhsa_system_sgpr_workgroup_id_z 0
		.amdhsa_system_sgpr_workgroup_info 0
		.amdhsa_system_vgpr_workitem_id 0
		.amdhsa_next_free_vgpr 1
		.amdhsa_next_free_sgpr 0
		.amdhsa_accum_offset 4
		.amdhsa_reserve_vcc 0
		.amdhsa_float_round_mode_32 0
		.amdhsa_float_round_mode_16_64 0
		.amdhsa_float_denorm_mode_32 3
		.amdhsa_float_denorm_mode_16_64 3
		.amdhsa_dx10_clamp 1
		.amdhsa_ieee_mode 1
		.amdhsa_fp16_overflow 0
		.amdhsa_tg_split 0
		.amdhsa_exception_fp_ieee_invalid_op 0
		.amdhsa_exception_fp_denorm_src 0
		.amdhsa_exception_fp_ieee_div_zero 0
		.amdhsa_exception_fp_ieee_overflow 0
		.amdhsa_exception_fp_ieee_underflow 0
		.amdhsa_exception_fp_ieee_inexact 0
		.amdhsa_exception_int_div_zero 0
	.end_amdhsa_kernel
	.section	.text._ZN7rocprim17ROCPRIM_400000_NS6detail17trampoline_kernelINS0_14default_configENS1_35radix_sort_onesweep_config_selectorIisEEZNS1_34radix_sort_onesweep_global_offsetsIS3_Lb0EN6thrust23THRUST_200600_302600_NS10device_ptrIiEENS9_IsEEjNS0_19identity_decomposerEEE10hipError_tT1_T2_PT3_SG_jT4_jjP12ihipStream_tbEUlT_E0_NS1_11comp_targetILNS1_3genE2ELNS1_11target_archE906ELNS1_3gpuE6ELNS1_3repE0EEENS1_52radix_sort_onesweep_histogram_config_static_selectorELNS0_4arch9wavefront6targetE1EEEvSE_,"axG",@progbits,_ZN7rocprim17ROCPRIM_400000_NS6detail17trampoline_kernelINS0_14default_configENS1_35radix_sort_onesweep_config_selectorIisEEZNS1_34radix_sort_onesweep_global_offsetsIS3_Lb0EN6thrust23THRUST_200600_302600_NS10device_ptrIiEENS9_IsEEjNS0_19identity_decomposerEEE10hipError_tT1_T2_PT3_SG_jT4_jjP12ihipStream_tbEUlT_E0_NS1_11comp_targetILNS1_3genE2ELNS1_11target_archE906ELNS1_3gpuE6ELNS1_3repE0EEENS1_52radix_sort_onesweep_histogram_config_static_selectorELNS0_4arch9wavefront6targetE1EEEvSE_,comdat
.Lfunc_end2416:
	.size	_ZN7rocprim17ROCPRIM_400000_NS6detail17trampoline_kernelINS0_14default_configENS1_35radix_sort_onesweep_config_selectorIisEEZNS1_34radix_sort_onesweep_global_offsetsIS3_Lb0EN6thrust23THRUST_200600_302600_NS10device_ptrIiEENS9_IsEEjNS0_19identity_decomposerEEE10hipError_tT1_T2_PT3_SG_jT4_jjP12ihipStream_tbEUlT_E0_NS1_11comp_targetILNS1_3genE2ELNS1_11target_archE906ELNS1_3gpuE6ELNS1_3repE0EEENS1_52radix_sort_onesweep_histogram_config_static_selectorELNS0_4arch9wavefront6targetE1EEEvSE_, .Lfunc_end2416-_ZN7rocprim17ROCPRIM_400000_NS6detail17trampoline_kernelINS0_14default_configENS1_35radix_sort_onesweep_config_selectorIisEEZNS1_34radix_sort_onesweep_global_offsetsIS3_Lb0EN6thrust23THRUST_200600_302600_NS10device_ptrIiEENS9_IsEEjNS0_19identity_decomposerEEE10hipError_tT1_T2_PT3_SG_jT4_jjP12ihipStream_tbEUlT_E0_NS1_11comp_targetILNS1_3genE2ELNS1_11target_archE906ELNS1_3gpuE6ELNS1_3repE0EEENS1_52radix_sort_onesweep_histogram_config_static_selectorELNS0_4arch9wavefront6targetE1EEEvSE_
                                        ; -- End function
	.set _ZN7rocprim17ROCPRIM_400000_NS6detail17trampoline_kernelINS0_14default_configENS1_35radix_sort_onesweep_config_selectorIisEEZNS1_34radix_sort_onesweep_global_offsetsIS3_Lb0EN6thrust23THRUST_200600_302600_NS10device_ptrIiEENS9_IsEEjNS0_19identity_decomposerEEE10hipError_tT1_T2_PT3_SG_jT4_jjP12ihipStream_tbEUlT_E0_NS1_11comp_targetILNS1_3genE2ELNS1_11target_archE906ELNS1_3gpuE6ELNS1_3repE0EEENS1_52radix_sort_onesweep_histogram_config_static_selectorELNS0_4arch9wavefront6targetE1EEEvSE_.num_vgpr, 0
	.set _ZN7rocprim17ROCPRIM_400000_NS6detail17trampoline_kernelINS0_14default_configENS1_35radix_sort_onesweep_config_selectorIisEEZNS1_34radix_sort_onesweep_global_offsetsIS3_Lb0EN6thrust23THRUST_200600_302600_NS10device_ptrIiEENS9_IsEEjNS0_19identity_decomposerEEE10hipError_tT1_T2_PT3_SG_jT4_jjP12ihipStream_tbEUlT_E0_NS1_11comp_targetILNS1_3genE2ELNS1_11target_archE906ELNS1_3gpuE6ELNS1_3repE0EEENS1_52radix_sort_onesweep_histogram_config_static_selectorELNS0_4arch9wavefront6targetE1EEEvSE_.num_agpr, 0
	.set _ZN7rocprim17ROCPRIM_400000_NS6detail17trampoline_kernelINS0_14default_configENS1_35radix_sort_onesweep_config_selectorIisEEZNS1_34radix_sort_onesweep_global_offsetsIS3_Lb0EN6thrust23THRUST_200600_302600_NS10device_ptrIiEENS9_IsEEjNS0_19identity_decomposerEEE10hipError_tT1_T2_PT3_SG_jT4_jjP12ihipStream_tbEUlT_E0_NS1_11comp_targetILNS1_3genE2ELNS1_11target_archE906ELNS1_3gpuE6ELNS1_3repE0EEENS1_52radix_sort_onesweep_histogram_config_static_selectorELNS0_4arch9wavefront6targetE1EEEvSE_.numbered_sgpr, 0
	.set _ZN7rocprim17ROCPRIM_400000_NS6detail17trampoline_kernelINS0_14default_configENS1_35radix_sort_onesweep_config_selectorIisEEZNS1_34radix_sort_onesweep_global_offsetsIS3_Lb0EN6thrust23THRUST_200600_302600_NS10device_ptrIiEENS9_IsEEjNS0_19identity_decomposerEEE10hipError_tT1_T2_PT3_SG_jT4_jjP12ihipStream_tbEUlT_E0_NS1_11comp_targetILNS1_3genE2ELNS1_11target_archE906ELNS1_3gpuE6ELNS1_3repE0EEENS1_52radix_sort_onesweep_histogram_config_static_selectorELNS0_4arch9wavefront6targetE1EEEvSE_.num_named_barrier, 0
	.set _ZN7rocprim17ROCPRIM_400000_NS6detail17trampoline_kernelINS0_14default_configENS1_35radix_sort_onesweep_config_selectorIisEEZNS1_34radix_sort_onesweep_global_offsetsIS3_Lb0EN6thrust23THRUST_200600_302600_NS10device_ptrIiEENS9_IsEEjNS0_19identity_decomposerEEE10hipError_tT1_T2_PT3_SG_jT4_jjP12ihipStream_tbEUlT_E0_NS1_11comp_targetILNS1_3genE2ELNS1_11target_archE906ELNS1_3gpuE6ELNS1_3repE0EEENS1_52radix_sort_onesweep_histogram_config_static_selectorELNS0_4arch9wavefront6targetE1EEEvSE_.private_seg_size, 0
	.set _ZN7rocprim17ROCPRIM_400000_NS6detail17trampoline_kernelINS0_14default_configENS1_35radix_sort_onesweep_config_selectorIisEEZNS1_34radix_sort_onesweep_global_offsetsIS3_Lb0EN6thrust23THRUST_200600_302600_NS10device_ptrIiEENS9_IsEEjNS0_19identity_decomposerEEE10hipError_tT1_T2_PT3_SG_jT4_jjP12ihipStream_tbEUlT_E0_NS1_11comp_targetILNS1_3genE2ELNS1_11target_archE906ELNS1_3gpuE6ELNS1_3repE0EEENS1_52radix_sort_onesweep_histogram_config_static_selectorELNS0_4arch9wavefront6targetE1EEEvSE_.uses_vcc, 0
	.set _ZN7rocprim17ROCPRIM_400000_NS6detail17trampoline_kernelINS0_14default_configENS1_35radix_sort_onesweep_config_selectorIisEEZNS1_34radix_sort_onesweep_global_offsetsIS3_Lb0EN6thrust23THRUST_200600_302600_NS10device_ptrIiEENS9_IsEEjNS0_19identity_decomposerEEE10hipError_tT1_T2_PT3_SG_jT4_jjP12ihipStream_tbEUlT_E0_NS1_11comp_targetILNS1_3genE2ELNS1_11target_archE906ELNS1_3gpuE6ELNS1_3repE0EEENS1_52radix_sort_onesweep_histogram_config_static_selectorELNS0_4arch9wavefront6targetE1EEEvSE_.uses_flat_scratch, 0
	.set _ZN7rocprim17ROCPRIM_400000_NS6detail17trampoline_kernelINS0_14default_configENS1_35radix_sort_onesweep_config_selectorIisEEZNS1_34radix_sort_onesweep_global_offsetsIS3_Lb0EN6thrust23THRUST_200600_302600_NS10device_ptrIiEENS9_IsEEjNS0_19identity_decomposerEEE10hipError_tT1_T2_PT3_SG_jT4_jjP12ihipStream_tbEUlT_E0_NS1_11comp_targetILNS1_3genE2ELNS1_11target_archE906ELNS1_3gpuE6ELNS1_3repE0EEENS1_52radix_sort_onesweep_histogram_config_static_selectorELNS0_4arch9wavefront6targetE1EEEvSE_.has_dyn_sized_stack, 0
	.set _ZN7rocprim17ROCPRIM_400000_NS6detail17trampoline_kernelINS0_14default_configENS1_35radix_sort_onesweep_config_selectorIisEEZNS1_34radix_sort_onesweep_global_offsetsIS3_Lb0EN6thrust23THRUST_200600_302600_NS10device_ptrIiEENS9_IsEEjNS0_19identity_decomposerEEE10hipError_tT1_T2_PT3_SG_jT4_jjP12ihipStream_tbEUlT_E0_NS1_11comp_targetILNS1_3genE2ELNS1_11target_archE906ELNS1_3gpuE6ELNS1_3repE0EEENS1_52radix_sort_onesweep_histogram_config_static_selectorELNS0_4arch9wavefront6targetE1EEEvSE_.has_recursion, 0
	.set _ZN7rocprim17ROCPRIM_400000_NS6detail17trampoline_kernelINS0_14default_configENS1_35radix_sort_onesweep_config_selectorIisEEZNS1_34radix_sort_onesweep_global_offsetsIS3_Lb0EN6thrust23THRUST_200600_302600_NS10device_ptrIiEENS9_IsEEjNS0_19identity_decomposerEEE10hipError_tT1_T2_PT3_SG_jT4_jjP12ihipStream_tbEUlT_E0_NS1_11comp_targetILNS1_3genE2ELNS1_11target_archE906ELNS1_3gpuE6ELNS1_3repE0EEENS1_52radix_sort_onesweep_histogram_config_static_selectorELNS0_4arch9wavefront6targetE1EEEvSE_.has_indirect_call, 0
	.section	.AMDGPU.csdata,"",@progbits
; Kernel info:
; codeLenInByte = 0
; TotalNumSgprs: 6
; NumVgprs: 0
; NumAgprs: 0
; TotalNumVgprs: 0
; ScratchSize: 0
; MemoryBound: 0
; FloatMode: 240
; IeeeMode: 1
; LDSByteSize: 0 bytes/workgroup (compile time only)
; SGPRBlocks: 0
; VGPRBlocks: 0
; NumSGPRsForWavesPerEU: 6
; NumVGPRsForWavesPerEU: 1
; AccumOffset: 4
; Occupancy: 8
; WaveLimiterHint : 0
; COMPUTE_PGM_RSRC2:SCRATCH_EN: 0
; COMPUTE_PGM_RSRC2:USER_SGPR: 2
; COMPUTE_PGM_RSRC2:TRAP_HANDLER: 0
; COMPUTE_PGM_RSRC2:TGID_X_EN: 1
; COMPUTE_PGM_RSRC2:TGID_Y_EN: 0
; COMPUTE_PGM_RSRC2:TGID_Z_EN: 0
; COMPUTE_PGM_RSRC2:TIDIG_COMP_CNT: 0
; COMPUTE_PGM_RSRC3_GFX90A:ACCUM_OFFSET: 0
; COMPUTE_PGM_RSRC3_GFX90A:TG_SPLIT: 0
	.section	.text._ZN7rocprim17ROCPRIM_400000_NS6detail17trampoline_kernelINS0_14default_configENS1_35radix_sort_onesweep_config_selectorIisEEZNS1_34radix_sort_onesweep_global_offsetsIS3_Lb0EN6thrust23THRUST_200600_302600_NS10device_ptrIiEENS9_IsEEjNS0_19identity_decomposerEEE10hipError_tT1_T2_PT3_SG_jT4_jjP12ihipStream_tbEUlT_E0_NS1_11comp_targetILNS1_3genE4ELNS1_11target_archE910ELNS1_3gpuE8ELNS1_3repE0EEENS1_52radix_sort_onesweep_histogram_config_static_selectorELNS0_4arch9wavefront6targetE1EEEvSE_,"axG",@progbits,_ZN7rocprim17ROCPRIM_400000_NS6detail17trampoline_kernelINS0_14default_configENS1_35radix_sort_onesweep_config_selectorIisEEZNS1_34radix_sort_onesweep_global_offsetsIS3_Lb0EN6thrust23THRUST_200600_302600_NS10device_ptrIiEENS9_IsEEjNS0_19identity_decomposerEEE10hipError_tT1_T2_PT3_SG_jT4_jjP12ihipStream_tbEUlT_E0_NS1_11comp_targetILNS1_3genE4ELNS1_11target_archE910ELNS1_3gpuE8ELNS1_3repE0EEENS1_52radix_sort_onesweep_histogram_config_static_selectorELNS0_4arch9wavefront6targetE1EEEvSE_,comdat
	.protected	_ZN7rocprim17ROCPRIM_400000_NS6detail17trampoline_kernelINS0_14default_configENS1_35radix_sort_onesweep_config_selectorIisEEZNS1_34radix_sort_onesweep_global_offsetsIS3_Lb0EN6thrust23THRUST_200600_302600_NS10device_ptrIiEENS9_IsEEjNS0_19identity_decomposerEEE10hipError_tT1_T2_PT3_SG_jT4_jjP12ihipStream_tbEUlT_E0_NS1_11comp_targetILNS1_3genE4ELNS1_11target_archE910ELNS1_3gpuE8ELNS1_3repE0EEENS1_52radix_sort_onesweep_histogram_config_static_selectorELNS0_4arch9wavefront6targetE1EEEvSE_ ; -- Begin function _ZN7rocprim17ROCPRIM_400000_NS6detail17trampoline_kernelINS0_14default_configENS1_35radix_sort_onesweep_config_selectorIisEEZNS1_34radix_sort_onesweep_global_offsetsIS3_Lb0EN6thrust23THRUST_200600_302600_NS10device_ptrIiEENS9_IsEEjNS0_19identity_decomposerEEE10hipError_tT1_T2_PT3_SG_jT4_jjP12ihipStream_tbEUlT_E0_NS1_11comp_targetILNS1_3genE4ELNS1_11target_archE910ELNS1_3gpuE8ELNS1_3repE0EEENS1_52radix_sort_onesweep_histogram_config_static_selectorELNS0_4arch9wavefront6targetE1EEEvSE_
	.globl	_ZN7rocprim17ROCPRIM_400000_NS6detail17trampoline_kernelINS0_14default_configENS1_35radix_sort_onesweep_config_selectorIisEEZNS1_34radix_sort_onesweep_global_offsetsIS3_Lb0EN6thrust23THRUST_200600_302600_NS10device_ptrIiEENS9_IsEEjNS0_19identity_decomposerEEE10hipError_tT1_T2_PT3_SG_jT4_jjP12ihipStream_tbEUlT_E0_NS1_11comp_targetILNS1_3genE4ELNS1_11target_archE910ELNS1_3gpuE8ELNS1_3repE0EEENS1_52radix_sort_onesweep_histogram_config_static_selectorELNS0_4arch9wavefront6targetE1EEEvSE_
	.p2align	8
	.type	_ZN7rocprim17ROCPRIM_400000_NS6detail17trampoline_kernelINS0_14default_configENS1_35radix_sort_onesweep_config_selectorIisEEZNS1_34radix_sort_onesweep_global_offsetsIS3_Lb0EN6thrust23THRUST_200600_302600_NS10device_ptrIiEENS9_IsEEjNS0_19identity_decomposerEEE10hipError_tT1_T2_PT3_SG_jT4_jjP12ihipStream_tbEUlT_E0_NS1_11comp_targetILNS1_3genE4ELNS1_11target_archE910ELNS1_3gpuE8ELNS1_3repE0EEENS1_52radix_sort_onesweep_histogram_config_static_selectorELNS0_4arch9wavefront6targetE1EEEvSE_,@function
_ZN7rocprim17ROCPRIM_400000_NS6detail17trampoline_kernelINS0_14default_configENS1_35radix_sort_onesweep_config_selectorIisEEZNS1_34radix_sort_onesweep_global_offsetsIS3_Lb0EN6thrust23THRUST_200600_302600_NS10device_ptrIiEENS9_IsEEjNS0_19identity_decomposerEEE10hipError_tT1_T2_PT3_SG_jT4_jjP12ihipStream_tbEUlT_E0_NS1_11comp_targetILNS1_3genE4ELNS1_11target_archE910ELNS1_3gpuE8ELNS1_3repE0EEENS1_52radix_sort_onesweep_histogram_config_static_selectorELNS0_4arch9wavefront6targetE1EEEvSE_: ; @_ZN7rocprim17ROCPRIM_400000_NS6detail17trampoline_kernelINS0_14default_configENS1_35radix_sort_onesweep_config_selectorIisEEZNS1_34radix_sort_onesweep_global_offsetsIS3_Lb0EN6thrust23THRUST_200600_302600_NS10device_ptrIiEENS9_IsEEjNS0_19identity_decomposerEEE10hipError_tT1_T2_PT3_SG_jT4_jjP12ihipStream_tbEUlT_E0_NS1_11comp_targetILNS1_3genE4ELNS1_11target_archE910ELNS1_3gpuE8ELNS1_3repE0EEENS1_52radix_sort_onesweep_histogram_config_static_selectorELNS0_4arch9wavefront6targetE1EEEvSE_
; %bb.0:
	.section	.rodata,"a",@progbits
	.p2align	6, 0x0
	.amdhsa_kernel _ZN7rocprim17ROCPRIM_400000_NS6detail17trampoline_kernelINS0_14default_configENS1_35radix_sort_onesweep_config_selectorIisEEZNS1_34radix_sort_onesweep_global_offsetsIS3_Lb0EN6thrust23THRUST_200600_302600_NS10device_ptrIiEENS9_IsEEjNS0_19identity_decomposerEEE10hipError_tT1_T2_PT3_SG_jT4_jjP12ihipStream_tbEUlT_E0_NS1_11comp_targetILNS1_3genE4ELNS1_11target_archE910ELNS1_3gpuE8ELNS1_3repE0EEENS1_52radix_sort_onesweep_histogram_config_static_selectorELNS0_4arch9wavefront6targetE1EEEvSE_
		.amdhsa_group_segment_fixed_size 0
		.amdhsa_private_segment_fixed_size 0
		.amdhsa_kernarg_size 8
		.amdhsa_user_sgpr_count 2
		.amdhsa_user_sgpr_dispatch_ptr 0
		.amdhsa_user_sgpr_queue_ptr 0
		.amdhsa_user_sgpr_kernarg_segment_ptr 1
		.amdhsa_user_sgpr_dispatch_id 0
		.amdhsa_user_sgpr_kernarg_preload_length 0
		.amdhsa_user_sgpr_kernarg_preload_offset 0
		.amdhsa_user_sgpr_private_segment_size 0
		.amdhsa_uses_dynamic_stack 0
		.amdhsa_enable_private_segment 0
		.amdhsa_system_sgpr_workgroup_id_x 1
		.amdhsa_system_sgpr_workgroup_id_y 0
		.amdhsa_system_sgpr_workgroup_id_z 0
		.amdhsa_system_sgpr_workgroup_info 0
		.amdhsa_system_vgpr_workitem_id 0
		.amdhsa_next_free_vgpr 1
		.amdhsa_next_free_sgpr 0
		.amdhsa_accum_offset 4
		.amdhsa_reserve_vcc 0
		.amdhsa_float_round_mode_32 0
		.amdhsa_float_round_mode_16_64 0
		.amdhsa_float_denorm_mode_32 3
		.amdhsa_float_denorm_mode_16_64 3
		.amdhsa_dx10_clamp 1
		.amdhsa_ieee_mode 1
		.amdhsa_fp16_overflow 0
		.amdhsa_tg_split 0
		.amdhsa_exception_fp_ieee_invalid_op 0
		.amdhsa_exception_fp_denorm_src 0
		.amdhsa_exception_fp_ieee_div_zero 0
		.amdhsa_exception_fp_ieee_overflow 0
		.amdhsa_exception_fp_ieee_underflow 0
		.amdhsa_exception_fp_ieee_inexact 0
		.amdhsa_exception_int_div_zero 0
	.end_amdhsa_kernel
	.section	.text._ZN7rocprim17ROCPRIM_400000_NS6detail17trampoline_kernelINS0_14default_configENS1_35radix_sort_onesweep_config_selectorIisEEZNS1_34radix_sort_onesweep_global_offsetsIS3_Lb0EN6thrust23THRUST_200600_302600_NS10device_ptrIiEENS9_IsEEjNS0_19identity_decomposerEEE10hipError_tT1_T2_PT3_SG_jT4_jjP12ihipStream_tbEUlT_E0_NS1_11comp_targetILNS1_3genE4ELNS1_11target_archE910ELNS1_3gpuE8ELNS1_3repE0EEENS1_52radix_sort_onesweep_histogram_config_static_selectorELNS0_4arch9wavefront6targetE1EEEvSE_,"axG",@progbits,_ZN7rocprim17ROCPRIM_400000_NS6detail17trampoline_kernelINS0_14default_configENS1_35radix_sort_onesweep_config_selectorIisEEZNS1_34radix_sort_onesweep_global_offsetsIS3_Lb0EN6thrust23THRUST_200600_302600_NS10device_ptrIiEENS9_IsEEjNS0_19identity_decomposerEEE10hipError_tT1_T2_PT3_SG_jT4_jjP12ihipStream_tbEUlT_E0_NS1_11comp_targetILNS1_3genE4ELNS1_11target_archE910ELNS1_3gpuE8ELNS1_3repE0EEENS1_52radix_sort_onesweep_histogram_config_static_selectorELNS0_4arch9wavefront6targetE1EEEvSE_,comdat
.Lfunc_end2417:
	.size	_ZN7rocprim17ROCPRIM_400000_NS6detail17trampoline_kernelINS0_14default_configENS1_35radix_sort_onesweep_config_selectorIisEEZNS1_34radix_sort_onesweep_global_offsetsIS3_Lb0EN6thrust23THRUST_200600_302600_NS10device_ptrIiEENS9_IsEEjNS0_19identity_decomposerEEE10hipError_tT1_T2_PT3_SG_jT4_jjP12ihipStream_tbEUlT_E0_NS1_11comp_targetILNS1_3genE4ELNS1_11target_archE910ELNS1_3gpuE8ELNS1_3repE0EEENS1_52radix_sort_onesweep_histogram_config_static_selectorELNS0_4arch9wavefront6targetE1EEEvSE_, .Lfunc_end2417-_ZN7rocprim17ROCPRIM_400000_NS6detail17trampoline_kernelINS0_14default_configENS1_35radix_sort_onesweep_config_selectorIisEEZNS1_34radix_sort_onesweep_global_offsetsIS3_Lb0EN6thrust23THRUST_200600_302600_NS10device_ptrIiEENS9_IsEEjNS0_19identity_decomposerEEE10hipError_tT1_T2_PT3_SG_jT4_jjP12ihipStream_tbEUlT_E0_NS1_11comp_targetILNS1_3genE4ELNS1_11target_archE910ELNS1_3gpuE8ELNS1_3repE0EEENS1_52radix_sort_onesweep_histogram_config_static_selectorELNS0_4arch9wavefront6targetE1EEEvSE_
                                        ; -- End function
	.set _ZN7rocprim17ROCPRIM_400000_NS6detail17trampoline_kernelINS0_14default_configENS1_35radix_sort_onesweep_config_selectorIisEEZNS1_34radix_sort_onesweep_global_offsetsIS3_Lb0EN6thrust23THRUST_200600_302600_NS10device_ptrIiEENS9_IsEEjNS0_19identity_decomposerEEE10hipError_tT1_T2_PT3_SG_jT4_jjP12ihipStream_tbEUlT_E0_NS1_11comp_targetILNS1_3genE4ELNS1_11target_archE910ELNS1_3gpuE8ELNS1_3repE0EEENS1_52radix_sort_onesweep_histogram_config_static_selectorELNS0_4arch9wavefront6targetE1EEEvSE_.num_vgpr, 0
	.set _ZN7rocprim17ROCPRIM_400000_NS6detail17trampoline_kernelINS0_14default_configENS1_35radix_sort_onesweep_config_selectorIisEEZNS1_34radix_sort_onesweep_global_offsetsIS3_Lb0EN6thrust23THRUST_200600_302600_NS10device_ptrIiEENS9_IsEEjNS0_19identity_decomposerEEE10hipError_tT1_T2_PT3_SG_jT4_jjP12ihipStream_tbEUlT_E0_NS1_11comp_targetILNS1_3genE4ELNS1_11target_archE910ELNS1_3gpuE8ELNS1_3repE0EEENS1_52radix_sort_onesweep_histogram_config_static_selectorELNS0_4arch9wavefront6targetE1EEEvSE_.num_agpr, 0
	.set _ZN7rocprim17ROCPRIM_400000_NS6detail17trampoline_kernelINS0_14default_configENS1_35radix_sort_onesweep_config_selectorIisEEZNS1_34radix_sort_onesweep_global_offsetsIS3_Lb0EN6thrust23THRUST_200600_302600_NS10device_ptrIiEENS9_IsEEjNS0_19identity_decomposerEEE10hipError_tT1_T2_PT3_SG_jT4_jjP12ihipStream_tbEUlT_E0_NS1_11comp_targetILNS1_3genE4ELNS1_11target_archE910ELNS1_3gpuE8ELNS1_3repE0EEENS1_52radix_sort_onesweep_histogram_config_static_selectorELNS0_4arch9wavefront6targetE1EEEvSE_.numbered_sgpr, 0
	.set _ZN7rocprim17ROCPRIM_400000_NS6detail17trampoline_kernelINS0_14default_configENS1_35radix_sort_onesweep_config_selectorIisEEZNS1_34radix_sort_onesweep_global_offsetsIS3_Lb0EN6thrust23THRUST_200600_302600_NS10device_ptrIiEENS9_IsEEjNS0_19identity_decomposerEEE10hipError_tT1_T2_PT3_SG_jT4_jjP12ihipStream_tbEUlT_E0_NS1_11comp_targetILNS1_3genE4ELNS1_11target_archE910ELNS1_3gpuE8ELNS1_3repE0EEENS1_52radix_sort_onesweep_histogram_config_static_selectorELNS0_4arch9wavefront6targetE1EEEvSE_.num_named_barrier, 0
	.set _ZN7rocprim17ROCPRIM_400000_NS6detail17trampoline_kernelINS0_14default_configENS1_35radix_sort_onesweep_config_selectorIisEEZNS1_34radix_sort_onesweep_global_offsetsIS3_Lb0EN6thrust23THRUST_200600_302600_NS10device_ptrIiEENS9_IsEEjNS0_19identity_decomposerEEE10hipError_tT1_T2_PT3_SG_jT4_jjP12ihipStream_tbEUlT_E0_NS1_11comp_targetILNS1_3genE4ELNS1_11target_archE910ELNS1_3gpuE8ELNS1_3repE0EEENS1_52radix_sort_onesweep_histogram_config_static_selectorELNS0_4arch9wavefront6targetE1EEEvSE_.private_seg_size, 0
	.set _ZN7rocprim17ROCPRIM_400000_NS6detail17trampoline_kernelINS0_14default_configENS1_35radix_sort_onesweep_config_selectorIisEEZNS1_34radix_sort_onesweep_global_offsetsIS3_Lb0EN6thrust23THRUST_200600_302600_NS10device_ptrIiEENS9_IsEEjNS0_19identity_decomposerEEE10hipError_tT1_T2_PT3_SG_jT4_jjP12ihipStream_tbEUlT_E0_NS1_11comp_targetILNS1_3genE4ELNS1_11target_archE910ELNS1_3gpuE8ELNS1_3repE0EEENS1_52radix_sort_onesweep_histogram_config_static_selectorELNS0_4arch9wavefront6targetE1EEEvSE_.uses_vcc, 0
	.set _ZN7rocprim17ROCPRIM_400000_NS6detail17trampoline_kernelINS0_14default_configENS1_35radix_sort_onesweep_config_selectorIisEEZNS1_34radix_sort_onesweep_global_offsetsIS3_Lb0EN6thrust23THRUST_200600_302600_NS10device_ptrIiEENS9_IsEEjNS0_19identity_decomposerEEE10hipError_tT1_T2_PT3_SG_jT4_jjP12ihipStream_tbEUlT_E0_NS1_11comp_targetILNS1_3genE4ELNS1_11target_archE910ELNS1_3gpuE8ELNS1_3repE0EEENS1_52radix_sort_onesweep_histogram_config_static_selectorELNS0_4arch9wavefront6targetE1EEEvSE_.uses_flat_scratch, 0
	.set _ZN7rocprim17ROCPRIM_400000_NS6detail17trampoline_kernelINS0_14default_configENS1_35radix_sort_onesweep_config_selectorIisEEZNS1_34radix_sort_onesweep_global_offsetsIS3_Lb0EN6thrust23THRUST_200600_302600_NS10device_ptrIiEENS9_IsEEjNS0_19identity_decomposerEEE10hipError_tT1_T2_PT3_SG_jT4_jjP12ihipStream_tbEUlT_E0_NS1_11comp_targetILNS1_3genE4ELNS1_11target_archE910ELNS1_3gpuE8ELNS1_3repE0EEENS1_52radix_sort_onesweep_histogram_config_static_selectorELNS0_4arch9wavefront6targetE1EEEvSE_.has_dyn_sized_stack, 0
	.set _ZN7rocprim17ROCPRIM_400000_NS6detail17trampoline_kernelINS0_14default_configENS1_35radix_sort_onesweep_config_selectorIisEEZNS1_34radix_sort_onesweep_global_offsetsIS3_Lb0EN6thrust23THRUST_200600_302600_NS10device_ptrIiEENS9_IsEEjNS0_19identity_decomposerEEE10hipError_tT1_T2_PT3_SG_jT4_jjP12ihipStream_tbEUlT_E0_NS1_11comp_targetILNS1_3genE4ELNS1_11target_archE910ELNS1_3gpuE8ELNS1_3repE0EEENS1_52radix_sort_onesweep_histogram_config_static_selectorELNS0_4arch9wavefront6targetE1EEEvSE_.has_recursion, 0
	.set _ZN7rocprim17ROCPRIM_400000_NS6detail17trampoline_kernelINS0_14default_configENS1_35radix_sort_onesweep_config_selectorIisEEZNS1_34radix_sort_onesweep_global_offsetsIS3_Lb0EN6thrust23THRUST_200600_302600_NS10device_ptrIiEENS9_IsEEjNS0_19identity_decomposerEEE10hipError_tT1_T2_PT3_SG_jT4_jjP12ihipStream_tbEUlT_E0_NS1_11comp_targetILNS1_3genE4ELNS1_11target_archE910ELNS1_3gpuE8ELNS1_3repE0EEENS1_52radix_sort_onesweep_histogram_config_static_selectorELNS0_4arch9wavefront6targetE1EEEvSE_.has_indirect_call, 0
	.section	.AMDGPU.csdata,"",@progbits
; Kernel info:
; codeLenInByte = 0
; TotalNumSgprs: 6
; NumVgprs: 0
; NumAgprs: 0
; TotalNumVgprs: 0
; ScratchSize: 0
; MemoryBound: 0
; FloatMode: 240
; IeeeMode: 1
; LDSByteSize: 0 bytes/workgroup (compile time only)
; SGPRBlocks: 0
; VGPRBlocks: 0
; NumSGPRsForWavesPerEU: 6
; NumVGPRsForWavesPerEU: 1
; AccumOffset: 4
; Occupancy: 8
; WaveLimiterHint : 0
; COMPUTE_PGM_RSRC2:SCRATCH_EN: 0
; COMPUTE_PGM_RSRC2:USER_SGPR: 2
; COMPUTE_PGM_RSRC2:TRAP_HANDLER: 0
; COMPUTE_PGM_RSRC2:TGID_X_EN: 1
; COMPUTE_PGM_RSRC2:TGID_Y_EN: 0
; COMPUTE_PGM_RSRC2:TGID_Z_EN: 0
; COMPUTE_PGM_RSRC2:TIDIG_COMP_CNT: 0
; COMPUTE_PGM_RSRC3_GFX90A:ACCUM_OFFSET: 0
; COMPUTE_PGM_RSRC3_GFX90A:TG_SPLIT: 0
	.section	.text._ZN7rocprim17ROCPRIM_400000_NS6detail17trampoline_kernelINS0_14default_configENS1_35radix_sort_onesweep_config_selectorIisEEZNS1_34radix_sort_onesweep_global_offsetsIS3_Lb0EN6thrust23THRUST_200600_302600_NS10device_ptrIiEENS9_IsEEjNS0_19identity_decomposerEEE10hipError_tT1_T2_PT3_SG_jT4_jjP12ihipStream_tbEUlT_E0_NS1_11comp_targetILNS1_3genE3ELNS1_11target_archE908ELNS1_3gpuE7ELNS1_3repE0EEENS1_52radix_sort_onesweep_histogram_config_static_selectorELNS0_4arch9wavefront6targetE1EEEvSE_,"axG",@progbits,_ZN7rocprim17ROCPRIM_400000_NS6detail17trampoline_kernelINS0_14default_configENS1_35radix_sort_onesweep_config_selectorIisEEZNS1_34radix_sort_onesweep_global_offsetsIS3_Lb0EN6thrust23THRUST_200600_302600_NS10device_ptrIiEENS9_IsEEjNS0_19identity_decomposerEEE10hipError_tT1_T2_PT3_SG_jT4_jjP12ihipStream_tbEUlT_E0_NS1_11comp_targetILNS1_3genE3ELNS1_11target_archE908ELNS1_3gpuE7ELNS1_3repE0EEENS1_52radix_sort_onesweep_histogram_config_static_selectorELNS0_4arch9wavefront6targetE1EEEvSE_,comdat
	.protected	_ZN7rocprim17ROCPRIM_400000_NS6detail17trampoline_kernelINS0_14default_configENS1_35radix_sort_onesweep_config_selectorIisEEZNS1_34radix_sort_onesweep_global_offsetsIS3_Lb0EN6thrust23THRUST_200600_302600_NS10device_ptrIiEENS9_IsEEjNS0_19identity_decomposerEEE10hipError_tT1_T2_PT3_SG_jT4_jjP12ihipStream_tbEUlT_E0_NS1_11comp_targetILNS1_3genE3ELNS1_11target_archE908ELNS1_3gpuE7ELNS1_3repE0EEENS1_52radix_sort_onesweep_histogram_config_static_selectorELNS0_4arch9wavefront6targetE1EEEvSE_ ; -- Begin function _ZN7rocprim17ROCPRIM_400000_NS6detail17trampoline_kernelINS0_14default_configENS1_35radix_sort_onesweep_config_selectorIisEEZNS1_34radix_sort_onesweep_global_offsetsIS3_Lb0EN6thrust23THRUST_200600_302600_NS10device_ptrIiEENS9_IsEEjNS0_19identity_decomposerEEE10hipError_tT1_T2_PT3_SG_jT4_jjP12ihipStream_tbEUlT_E0_NS1_11comp_targetILNS1_3genE3ELNS1_11target_archE908ELNS1_3gpuE7ELNS1_3repE0EEENS1_52radix_sort_onesweep_histogram_config_static_selectorELNS0_4arch9wavefront6targetE1EEEvSE_
	.globl	_ZN7rocprim17ROCPRIM_400000_NS6detail17trampoline_kernelINS0_14default_configENS1_35radix_sort_onesweep_config_selectorIisEEZNS1_34radix_sort_onesweep_global_offsetsIS3_Lb0EN6thrust23THRUST_200600_302600_NS10device_ptrIiEENS9_IsEEjNS0_19identity_decomposerEEE10hipError_tT1_T2_PT3_SG_jT4_jjP12ihipStream_tbEUlT_E0_NS1_11comp_targetILNS1_3genE3ELNS1_11target_archE908ELNS1_3gpuE7ELNS1_3repE0EEENS1_52radix_sort_onesweep_histogram_config_static_selectorELNS0_4arch9wavefront6targetE1EEEvSE_
	.p2align	8
	.type	_ZN7rocprim17ROCPRIM_400000_NS6detail17trampoline_kernelINS0_14default_configENS1_35radix_sort_onesweep_config_selectorIisEEZNS1_34radix_sort_onesweep_global_offsetsIS3_Lb0EN6thrust23THRUST_200600_302600_NS10device_ptrIiEENS9_IsEEjNS0_19identity_decomposerEEE10hipError_tT1_T2_PT3_SG_jT4_jjP12ihipStream_tbEUlT_E0_NS1_11comp_targetILNS1_3genE3ELNS1_11target_archE908ELNS1_3gpuE7ELNS1_3repE0EEENS1_52radix_sort_onesweep_histogram_config_static_selectorELNS0_4arch9wavefront6targetE1EEEvSE_,@function
_ZN7rocprim17ROCPRIM_400000_NS6detail17trampoline_kernelINS0_14default_configENS1_35radix_sort_onesweep_config_selectorIisEEZNS1_34radix_sort_onesweep_global_offsetsIS3_Lb0EN6thrust23THRUST_200600_302600_NS10device_ptrIiEENS9_IsEEjNS0_19identity_decomposerEEE10hipError_tT1_T2_PT3_SG_jT4_jjP12ihipStream_tbEUlT_E0_NS1_11comp_targetILNS1_3genE3ELNS1_11target_archE908ELNS1_3gpuE7ELNS1_3repE0EEENS1_52radix_sort_onesweep_histogram_config_static_selectorELNS0_4arch9wavefront6targetE1EEEvSE_: ; @_ZN7rocprim17ROCPRIM_400000_NS6detail17trampoline_kernelINS0_14default_configENS1_35radix_sort_onesweep_config_selectorIisEEZNS1_34radix_sort_onesweep_global_offsetsIS3_Lb0EN6thrust23THRUST_200600_302600_NS10device_ptrIiEENS9_IsEEjNS0_19identity_decomposerEEE10hipError_tT1_T2_PT3_SG_jT4_jjP12ihipStream_tbEUlT_E0_NS1_11comp_targetILNS1_3genE3ELNS1_11target_archE908ELNS1_3gpuE7ELNS1_3repE0EEENS1_52radix_sort_onesweep_histogram_config_static_selectorELNS0_4arch9wavefront6targetE1EEEvSE_
; %bb.0:
	.section	.rodata,"a",@progbits
	.p2align	6, 0x0
	.amdhsa_kernel _ZN7rocprim17ROCPRIM_400000_NS6detail17trampoline_kernelINS0_14default_configENS1_35radix_sort_onesweep_config_selectorIisEEZNS1_34radix_sort_onesweep_global_offsetsIS3_Lb0EN6thrust23THRUST_200600_302600_NS10device_ptrIiEENS9_IsEEjNS0_19identity_decomposerEEE10hipError_tT1_T2_PT3_SG_jT4_jjP12ihipStream_tbEUlT_E0_NS1_11comp_targetILNS1_3genE3ELNS1_11target_archE908ELNS1_3gpuE7ELNS1_3repE0EEENS1_52radix_sort_onesweep_histogram_config_static_selectorELNS0_4arch9wavefront6targetE1EEEvSE_
		.amdhsa_group_segment_fixed_size 0
		.amdhsa_private_segment_fixed_size 0
		.amdhsa_kernarg_size 8
		.amdhsa_user_sgpr_count 2
		.amdhsa_user_sgpr_dispatch_ptr 0
		.amdhsa_user_sgpr_queue_ptr 0
		.amdhsa_user_sgpr_kernarg_segment_ptr 1
		.amdhsa_user_sgpr_dispatch_id 0
		.amdhsa_user_sgpr_kernarg_preload_length 0
		.amdhsa_user_sgpr_kernarg_preload_offset 0
		.amdhsa_user_sgpr_private_segment_size 0
		.amdhsa_uses_dynamic_stack 0
		.amdhsa_enable_private_segment 0
		.amdhsa_system_sgpr_workgroup_id_x 1
		.amdhsa_system_sgpr_workgroup_id_y 0
		.amdhsa_system_sgpr_workgroup_id_z 0
		.amdhsa_system_sgpr_workgroup_info 0
		.amdhsa_system_vgpr_workitem_id 0
		.amdhsa_next_free_vgpr 1
		.amdhsa_next_free_sgpr 0
		.amdhsa_accum_offset 4
		.amdhsa_reserve_vcc 0
		.amdhsa_float_round_mode_32 0
		.amdhsa_float_round_mode_16_64 0
		.amdhsa_float_denorm_mode_32 3
		.amdhsa_float_denorm_mode_16_64 3
		.amdhsa_dx10_clamp 1
		.amdhsa_ieee_mode 1
		.amdhsa_fp16_overflow 0
		.amdhsa_tg_split 0
		.amdhsa_exception_fp_ieee_invalid_op 0
		.amdhsa_exception_fp_denorm_src 0
		.amdhsa_exception_fp_ieee_div_zero 0
		.amdhsa_exception_fp_ieee_overflow 0
		.amdhsa_exception_fp_ieee_underflow 0
		.amdhsa_exception_fp_ieee_inexact 0
		.amdhsa_exception_int_div_zero 0
	.end_amdhsa_kernel
	.section	.text._ZN7rocprim17ROCPRIM_400000_NS6detail17trampoline_kernelINS0_14default_configENS1_35radix_sort_onesweep_config_selectorIisEEZNS1_34radix_sort_onesweep_global_offsetsIS3_Lb0EN6thrust23THRUST_200600_302600_NS10device_ptrIiEENS9_IsEEjNS0_19identity_decomposerEEE10hipError_tT1_T2_PT3_SG_jT4_jjP12ihipStream_tbEUlT_E0_NS1_11comp_targetILNS1_3genE3ELNS1_11target_archE908ELNS1_3gpuE7ELNS1_3repE0EEENS1_52radix_sort_onesweep_histogram_config_static_selectorELNS0_4arch9wavefront6targetE1EEEvSE_,"axG",@progbits,_ZN7rocprim17ROCPRIM_400000_NS6detail17trampoline_kernelINS0_14default_configENS1_35radix_sort_onesweep_config_selectorIisEEZNS1_34radix_sort_onesweep_global_offsetsIS3_Lb0EN6thrust23THRUST_200600_302600_NS10device_ptrIiEENS9_IsEEjNS0_19identity_decomposerEEE10hipError_tT1_T2_PT3_SG_jT4_jjP12ihipStream_tbEUlT_E0_NS1_11comp_targetILNS1_3genE3ELNS1_11target_archE908ELNS1_3gpuE7ELNS1_3repE0EEENS1_52radix_sort_onesweep_histogram_config_static_selectorELNS0_4arch9wavefront6targetE1EEEvSE_,comdat
.Lfunc_end2418:
	.size	_ZN7rocprim17ROCPRIM_400000_NS6detail17trampoline_kernelINS0_14default_configENS1_35radix_sort_onesweep_config_selectorIisEEZNS1_34radix_sort_onesweep_global_offsetsIS3_Lb0EN6thrust23THRUST_200600_302600_NS10device_ptrIiEENS9_IsEEjNS0_19identity_decomposerEEE10hipError_tT1_T2_PT3_SG_jT4_jjP12ihipStream_tbEUlT_E0_NS1_11comp_targetILNS1_3genE3ELNS1_11target_archE908ELNS1_3gpuE7ELNS1_3repE0EEENS1_52radix_sort_onesweep_histogram_config_static_selectorELNS0_4arch9wavefront6targetE1EEEvSE_, .Lfunc_end2418-_ZN7rocprim17ROCPRIM_400000_NS6detail17trampoline_kernelINS0_14default_configENS1_35radix_sort_onesweep_config_selectorIisEEZNS1_34radix_sort_onesweep_global_offsetsIS3_Lb0EN6thrust23THRUST_200600_302600_NS10device_ptrIiEENS9_IsEEjNS0_19identity_decomposerEEE10hipError_tT1_T2_PT3_SG_jT4_jjP12ihipStream_tbEUlT_E0_NS1_11comp_targetILNS1_3genE3ELNS1_11target_archE908ELNS1_3gpuE7ELNS1_3repE0EEENS1_52radix_sort_onesweep_histogram_config_static_selectorELNS0_4arch9wavefront6targetE1EEEvSE_
                                        ; -- End function
	.set _ZN7rocprim17ROCPRIM_400000_NS6detail17trampoline_kernelINS0_14default_configENS1_35radix_sort_onesweep_config_selectorIisEEZNS1_34radix_sort_onesweep_global_offsetsIS3_Lb0EN6thrust23THRUST_200600_302600_NS10device_ptrIiEENS9_IsEEjNS0_19identity_decomposerEEE10hipError_tT1_T2_PT3_SG_jT4_jjP12ihipStream_tbEUlT_E0_NS1_11comp_targetILNS1_3genE3ELNS1_11target_archE908ELNS1_3gpuE7ELNS1_3repE0EEENS1_52radix_sort_onesweep_histogram_config_static_selectorELNS0_4arch9wavefront6targetE1EEEvSE_.num_vgpr, 0
	.set _ZN7rocprim17ROCPRIM_400000_NS6detail17trampoline_kernelINS0_14default_configENS1_35radix_sort_onesweep_config_selectorIisEEZNS1_34radix_sort_onesweep_global_offsetsIS3_Lb0EN6thrust23THRUST_200600_302600_NS10device_ptrIiEENS9_IsEEjNS0_19identity_decomposerEEE10hipError_tT1_T2_PT3_SG_jT4_jjP12ihipStream_tbEUlT_E0_NS1_11comp_targetILNS1_3genE3ELNS1_11target_archE908ELNS1_3gpuE7ELNS1_3repE0EEENS1_52radix_sort_onesweep_histogram_config_static_selectorELNS0_4arch9wavefront6targetE1EEEvSE_.num_agpr, 0
	.set _ZN7rocprim17ROCPRIM_400000_NS6detail17trampoline_kernelINS0_14default_configENS1_35radix_sort_onesweep_config_selectorIisEEZNS1_34radix_sort_onesweep_global_offsetsIS3_Lb0EN6thrust23THRUST_200600_302600_NS10device_ptrIiEENS9_IsEEjNS0_19identity_decomposerEEE10hipError_tT1_T2_PT3_SG_jT4_jjP12ihipStream_tbEUlT_E0_NS1_11comp_targetILNS1_3genE3ELNS1_11target_archE908ELNS1_3gpuE7ELNS1_3repE0EEENS1_52radix_sort_onesweep_histogram_config_static_selectorELNS0_4arch9wavefront6targetE1EEEvSE_.numbered_sgpr, 0
	.set _ZN7rocprim17ROCPRIM_400000_NS6detail17trampoline_kernelINS0_14default_configENS1_35radix_sort_onesweep_config_selectorIisEEZNS1_34radix_sort_onesweep_global_offsetsIS3_Lb0EN6thrust23THRUST_200600_302600_NS10device_ptrIiEENS9_IsEEjNS0_19identity_decomposerEEE10hipError_tT1_T2_PT3_SG_jT4_jjP12ihipStream_tbEUlT_E0_NS1_11comp_targetILNS1_3genE3ELNS1_11target_archE908ELNS1_3gpuE7ELNS1_3repE0EEENS1_52radix_sort_onesweep_histogram_config_static_selectorELNS0_4arch9wavefront6targetE1EEEvSE_.num_named_barrier, 0
	.set _ZN7rocprim17ROCPRIM_400000_NS6detail17trampoline_kernelINS0_14default_configENS1_35radix_sort_onesweep_config_selectorIisEEZNS1_34radix_sort_onesweep_global_offsetsIS3_Lb0EN6thrust23THRUST_200600_302600_NS10device_ptrIiEENS9_IsEEjNS0_19identity_decomposerEEE10hipError_tT1_T2_PT3_SG_jT4_jjP12ihipStream_tbEUlT_E0_NS1_11comp_targetILNS1_3genE3ELNS1_11target_archE908ELNS1_3gpuE7ELNS1_3repE0EEENS1_52radix_sort_onesweep_histogram_config_static_selectorELNS0_4arch9wavefront6targetE1EEEvSE_.private_seg_size, 0
	.set _ZN7rocprim17ROCPRIM_400000_NS6detail17trampoline_kernelINS0_14default_configENS1_35radix_sort_onesweep_config_selectorIisEEZNS1_34radix_sort_onesweep_global_offsetsIS3_Lb0EN6thrust23THRUST_200600_302600_NS10device_ptrIiEENS9_IsEEjNS0_19identity_decomposerEEE10hipError_tT1_T2_PT3_SG_jT4_jjP12ihipStream_tbEUlT_E0_NS1_11comp_targetILNS1_3genE3ELNS1_11target_archE908ELNS1_3gpuE7ELNS1_3repE0EEENS1_52radix_sort_onesweep_histogram_config_static_selectorELNS0_4arch9wavefront6targetE1EEEvSE_.uses_vcc, 0
	.set _ZN7rocprim17ROCPRIM_400000_NS6detail17trampoline_kernelINS0_14default_configENS1_35radix_sort_onesweep_config_selectorIisEEZNS1_34radix_sort_onesweep_global_offsetsIS3_Lb0EN6thrust23THRUST_200600_302600_NS10device_ptrIiEENS9_IsEEjNS0_19identity_decomposerEEE10hipError_tT1_T2_PT3_SG_jT4_jjP12ihipStream_tbEUlT_E0_NS1_11comp_targetILNS1_3genE3ELNS1_11target_archE908ELNS1_3gpuE7ELNS1_3repE0EEENS1_52radix_sort_onesweep_histogram_config_static_selectorELNS0_4arch9wavefront6targetE1EEEvSE_.uses_flat_scratch, 0
	.set _ZN7rocprim17ROCPRIM_400000_NS6detail17trampoline_kernelINS0_14default_configENS1_35radix_sort_onesweep_config_selectorIisEEZNS1_34radix_sort_onesweep_global_offsetsIS3_Lb0EN6thrust23THRUST_200600_302600_NS10device_ptrIiEENS9_IsEEjNS0_19identity_decomposerEEE10hipError_tT1_T2_PT3_SG_jT4_jjP12ihipStream_tbEUlT_E0_NS1_11comp_targetILNS1_3genE3ELNS1_11target_archE908ELNS1_3gpuE7ELNS1_3repE0EEENS1_52radix_sort_onesweep_histogram_config_static_selectorELNS0_4arch9wavefront6targetE1EEEvSE_.has_dyn_sized_stack, 0
	.set _ZN7rocprim17ROCPRIM_400000_NS6detail17trampoline_kernelINS0_14default_configENS1_35radix_sort_onesweep_config_selectorIisEEZNS1_34radix_sort_onesweep_global_offsetsIS3_Lb0EN6thrust23THRUST_200600_302600_NS10device_ptrIiEENS9_IsEEjNS0_19identity_decomposerEEE10hipError_tT1_T2_PT3_SG_jT4_jjP12ihipStream_tbEUlT_E0_NS1_11comp_targetILNS1_3genE3ELNS1_11target_archE908ELNS1_3gpuE7ELNS1_3repE0EEENS1_52radix_sort_onesweep_histogram_config_static_selectorELNS0_4arch9wavefront6targetE1EEEvSE_.has_recursion, 0
	.set _ZN7rocprim17ROCPRIM_400000_NS6detail17trampoline_kernelINS0_14default_configENS1_35radix_sort_onesweep_config_selectorIisEEZNS1_34radix_sort_onesweep_global_offsetsIS3_Lb0EN6thrust23THRUST_200600_302600_NS10device_ptrIiEENS9_IsEEjNS0_19identity_decomposerEEE10hipError_tT1_T2_PT3_SG_jT4_jjP12ihipStream_tbEUlT_E0_NS1_11comp_targetILNS1_3genE3ELNS1_11target_archE908ELNS1_3gpuE7ELNS1_3repE0EEENS1_52radix_sort_onesweep_histogram_config_static_selectorELNS0_4arch9wavefront6targetE1EEEvSE_.has_indirect_call, 0
	.section	.AMDGPU.csdata,"",@progbits
; Kernel info:
; codeLenInByte = 0
; TotalNumSgprs: 6
; NumVgprs: 0
; NumAgprs: 0
; TotalNumVgprs: 0
; ScratchSize: 0
; MemoryBound: 0
; FloatMode: 240
; IeeeMode: 1
; LDSByteSize: 0 bytes/workgroup (compile time only)
; SGPRBlocks: 0
; VGPRBlocks: 0
; NumSGPRsForWavesPerEU: 6
; NumVGPRsForWavesPerEU: 1
; AccumOffset: 4
; Occupancy: 8
; WaveLimiterHint : 0
; COMPUTE_PGM_RSRC2:SCRATCH_EN: 0
; COMPUTE_PGM_RSRC2:USER_SGPR: 2
; COMPUTE_PGM_RSRC2:TRAP_HANDLER: 0
; COMPUTE_PGM_RSRC2:TGID_X_EN: 1
; COMPUTE_PGM_RSRC2:TGID_Y_EN: 0
; COMPUTE_PGM_RSRC2:TGID_Z_EN: 0
; COMPUTE_PGM_RSRC2:TIDIG_COMP_CNT: 0
; COMPUTE_PGM_RSRC3_GFX90A:ACCUM_OFFSET: 0
; COMPUTE_PGM_RSRC3_GFX90A:TG_SPLIT: 0
	.section	.text._ZN7rocprim17ROCPRIM_400000_NS6detail17trampoline_kernelINS0_14default_configENS1_35radix_sort_onesweep_config_selectorIisEEZNS1_34radix_sort_onesweep_global_offsetsIS3_Lb0EN6thrust23THRUST_200600_302600_NS10device_ptrIiEENS9_IsEEjNS0_19identity_decomposerEEE10hipError_tT1_T2_PT3_SG_jT4_jjP12ihipStream_tbEUlT_E0_NS1_11comp_targetILNS1_3genE10ELNS1_11target_archE1201ELNS1_3gpuE5ELNS1_3repE0EEENS1_52radix_sort_onesweep_histogram_config_static_selectorELNS0_4arch9wavefront6targetE1EEEvSE_,"axG",@progbits,_ZN7rocprim17ROCPRIM_400000_NS6detail17trampoline_kernelINS0_14default_configENS1_35radix_sort_onesweep_config_selectorIisEEZNS1_34radix_sort_onesweep_global_offsetsIS3_Lb0EN6thrust23THRUST_200600_302600_NS10device_ptrIiEENS9_IsEEjNS0_19identity_decomposerEEE10hipError_tT1_T2_PT3_SG_jT4_jjP12ihipStream_tbEUlT_E0_NS1_11comp_targetILNS1_3genE10ELNS1_11target_archE1201ELNS1_3gpuE5ELNS1_3repE0EEENS1_52radix_sort_onesweep_histogram_config_static_selectorELNS0_4arch9wavefront6targetE1EEEvSE_,comdat
	.protected	_ZN7rocprim17ROCPRIM_400000_NS6detail17trampoline_kernelINS0_14default_configENS1_35radix_sort_onesweep_config_selectorIisEEZNS1_34radix_sort_onesweep_global_offsetsIS3_Lb0EN6thrust23THRUST_200600_302600_NS10device_ptrIiEENS9_IsEEjNS0_19identity_decomposerEEE10hipError_tT1_T2_PT3_SG_jT4_jjP12ihipStream_tbEUlT_E0_NS1_11comp_targetILNS1_3genE10ELNS1_11target_archE1201ELNS1_3gpuE5ELNS1_3repE0EEENS1_52radix_sort_onesweep_histogram_config_static_selectorELNS0_4arch9wavefront6targetE1EEEvSE_ ; -- Begin function _ZN7rocprim17ROCPRIM_400000_NS6detail17trampoline_kernelINS0_14default_configENS1_35radix_sort_onesweep_config_selectorIisEEZNS1_34radix_sort_onesweep_global_offsetsIS3_Lb0EN6thrust23THRUST_200600_302600_NS10device_ptrIiEENS9_IsEEjNS0_19identity_decomposerEEE10hipError_tT1_T2_PT3_SG_jT4_jjP12ihipStream_tbEUlT_E0_NS1_11comp_targetILNS1_3genE10ELNS1_11target_archE1201ELNS1_3gpuE5ELNS1_3repE0EEENS1_52radix_sort_onesweep_histogram_config_static_selectorELNS0_4arch9wavefront6targetE1EEEvSE_
	.globl	_ZN7rocprim17ROCPRIM_400000_NS6detail17trampoline_kernelINS0_14default_configENS1_35radix_sort_onesweep_config_selectorIisEEZNS1_34radix_sort_onesweep_global_offsetsIS3_Lb0EN6thrust23THRUST_200600_302600_NS10device_ptrIiEENS9_IsEEjNS0_19identity_decomposerEEE10hipError_tT1_T2_PT3_SG_jT4_jjP12ihipStream_tbEUlT_E0_NS1_11comp_targetILNS1_3genE10ELNS1_11target_archE1201ELNS1_3gpuE5ELNS1_3repE0EEENS1_52radix_sort_onesweep_histogram_config_static_selectorELNS0_4arch9wavefront6targetE1EEEvSE_
	.p2align	8
	.type	_ZN7rocprim17ROCPRIM_400000_NS6detail17trampoline_kernelINS0_14default_configENS1_35radix_sort_onesweep_config_selectorIisEEZNS1_34radix_sort_onesweep_global_offsetsIS3_Lb0EN6thrust23THRUST_200600_302600_NS10device_ptrIiEENS9_IsEEjNS0_19identity_decomposerEEE10hipError_tT1_T2_PT3_SG_jT4_jjP12ihipStream_tbEUlT_E0_NS1_11comp_targetILNS1_3genE10ELNS1_11target_archE1201ELNS1_3gpuE5ELNS1_3repE0EEENS1_52radix_sort_onesweep_histogram_config_static_selectorELNS0_4arch9wavefront6targetE1EEEvSE_,@function
_ZN7rocprim17ROCPRIM_400000_NS6detail17trampoline_kernelINS0_14default_configENS1_35radix_sort_onesweep_config_selectorIisEEZNS1_34radix_sort_onesweep_global_offsetsIS3_Lb0EN6thrust23THRUST_200600_302600_NS10device_ptrIiEENS9_IsEEjNS0_19identity_decomposerEEE10hipError_tT1_T2_PT3_SG_jT4_jjP12ihipStream_tbEUlT_E0_NS1_11comp_targetILNS1_3genE10ELNS1_11target_archE1201ELNS1_3gpuE5ELNS1_3repE0EEENS1_52radix_sort_onesweep_histogram_config_static_selectorELNS0_4arch9wavefront6targetE1EEEvSE_: ; @_ZN7rocprim17ROCPRIM_400000_NS6detail17trampoline_kernelINS0_14default_configENS1_35radix_sort_onesweep_config_selectorIisEEZNS1_34radix_sort_onesweep_global_offsetsIS3_Lb0EN6thrust23THRUST_200600_302600_NS10device_ptrIiEENS9_IsEEjNS0_19identity_decomposerEEE10hipError_tT1_T2_PT3_SG_jT4_jjP12ihipStream_tbEUlT_E0_NS1_11comp_targetILNS1_3genE10ELNS1_11target_archE1201ELNS1_3gpuE5ELNS1_3repE0EEENS1_52radix_sort_onesweep_histogram_config_static_selectorELNS0_4arch9wavefront6targetE1EEEvSE_
; %bb.0:
	.section	.rodata,"a",@progbits
	.p2align	6, 0x0
	.amdhsa_kernel _ZN7rocprim17ROCPRIM_400000_NS6detail17trampoline_kernelINS0_14default_configENS1_35radix_sort_onesweep_config_selectorIisEEZNS1_34radix_sort_onesweep_global_offsetsIS3_Lb0EN6thrust23THRUST_200600_302600_NS10device_ptrIiEENS9_IsEEjNS0_19identity_decomposerEEE10hipError_tT1_T2_PT3_SG_jT4_jjP12ihipStream_tbEUlT_E0_NS1_11comp_targetILNS1_3genE10ELNS1_11target_archE1201ELNS1_3gpuE5ELNS1_3repE0EEENS1_52radix_sort_onesweep_histogram_config_static_selectorELNS0_4arch9wavefront6targetE1EEEvSE_
		.amdhsa_group_segment_fixed_size 0
		.amdhsa_private_segment_fixed_size 0
		.amdhsa_kernarg_size 8
		.amdhsa_user_sgpr_count 2
		.amdhsa_user_sgpr_dispatch_ptr 0
		.amdhsa_user_sgpr_queue_ptr 0
		.amdhsa_user_sgpr_kernarg_segment_ptr 1
		.amdhsa_user_sgpr_dispatch_id 0
		.amdhsa_user_sgpr_kernarg_preload_length 0
		.amdhsa_user_sgpr_kernarg_preload_offset 0
		.amdhsa_user_sgpr_private_segment_size 0
		.amdhsa_uses_dynamic_stack 0
		.amdhsa_enable_private_segment 0
		.amdhsa_system_sgpr_workgroup_id_x 1
		.amdhsa_system_sgpr_workgroup_id_y 0
		.amdhsa_system_sgpr_workgroup_id_z 0
		.amdhsa_system_sgpr_workgroup_info 0
		.amdhsa_system_vgpr_workitem_id 0
		.amdhsa_next_free_vgpr 1
		.amdhsa_next_free_sgpr 0
		.amdhsa_accum_offset 4
		.amdhsa_reserve_vcc 0
		.amdhsa_float_round_mode_32 0
		.amdhsa_float_round_mode_16_64 0
		.amdhsa_float_denorm_mode_32 3
		.amdhsa_float_denorm_mode_16_64 3
		.amdhsa_dx10_clamp 1
		.amdhsa_ieee_mode 1
		.amdhsa_fp16_overflow 0
		.amdhsa_tg_split 0
		.amdhsa_exception_fp_ieee_invalid_op 0
		.amdhsa_exception_fp_denorm_src 0
		.amdhsa_exception_fp_ieee_div_zero 0
		.amdhsa_exception_fp_ieee_overflow 0
		.amdhsa_exception_fp_ieee_underflow 0
		.amdhsa_exception_fp_ieee_inexact 0
		.amdhsa_exception_int_div_zero 0
	.end_amdhsa_kernel
	.section	.text._ZN7rocprim17ROCPRIM_400000_NS6detail17trampoline_kernelINS0_14default_configENS1_35radix_sort_onesweep_config_selectorIisEEZNS1_34radix_sort_onesweep_global_offsetsIS3_Lb0EN6thrust23THRUST_200600_302600_NS10device_ptrIiEENS9_IsEEjNS0_19identity_decomposerEEE10hipError_tT1_T2_PT3_SG_jT4_jjP12ihipStream_tbEUlT_E0_NS1_11comp_targetILNS1_3genE10ELNS1_11target_archE1201ELNS1_3gpuE5ELNS1_3repE0EEENS1_52radix_sort_onesweep_histogram_config_static_selectorELNS0_4arch9wavefront6targetE1EEEvSE_,"axG",@progbits,_ZN7rocprim17ROCPRIM_400000_NS6detail17trampoline_kernelINS0_14default_configENS1_35radix_sort_onesweep_config_selectorIisEEZNS1_34radix_sort_onesweep_global_offsetsIS3_Lb0EN6thrust23THRUST_200600_302600_NS10device_ptrIiEENS9_IsEEjNS0_19identity_decomposerEEE10hipError_tT1_T2_PT3_SG_jT4_jjP12ihipStream_tbEUlT_E0_NS1_11comp_targetILNS1_3genE10ELNS1_11target_archE1201ELNS1_3gpuE5ELNS1_3repE0EEENS1_52radix_sort_onesweep_histogram_config_static_selectorELNS0_4arch9wavefront6targetE1EEEvSE_,comdat
.Lfunc_end2419:
	.size	_ZN7rocprim17ROCPRIM_400000_NS6detail17trampoline_kernelINS0_14default_configENS1_35radix_sort_onesweep_config_selectorIisEEZNS1_34radix_sort_onesweep_global_offsetsIS3_Lb0EN6thrust23THRUST_200600_302600_NS10device_ptrIiEENS9_IsEEjNS0_19identity_decomposerEEE10hipError_tT1_T2_PT3_SG_jT4_jjP12ihipStream_tbEUlT_E0_NS1_11comp_targetILNS1_3genE10ELNS1_11target_archE1201ELNS1_3gpuE5ELNS1_3repE0EEENS1_52radix_sort_onesweep_histogram_config_static_selectorELNS0_4arch9wavefront6targetE1EEEvSE_, .Lfunc_end2419-_ZN7rocprim17ROCPRIM_400000_NS6detail17trampoline_kernelINS0_14default_configENS1_35radix_sort_onesweep_config_selectorIisEEZNS1_34radix_sort_onesweep_global_offsetsIS3_Lb0EN6thrust23THRUST_200600_302600_NS10device_ptrIiEENS9_IsEEjNS0_19identity_decomposerEEE10hipError_tT1_T2_PT3_SG_jT4_jjP12ihipStream_tbEUlT_E0_NS1_11comp_targetILNS1_3genE10ELNS1_11target_archE1201ELNS1_3gpuE5ELNS1_3repE0EEENS1_52radix_sort_onesweep_histogram_config_static_selectorELNS0_4arch9wavefront6targetE1EEEvSE_
                                        ; -- End function
	.set _ZN7rocprim17ROCPRIM_400000_NS6detail17trampoline_kernelINS0_14default_configENS1_35radix_sort_onesweep_config_selectorIisEEZNS1_34radix_sort_onesweep_global_offsetsIS3_Lb0EN6thrust23THRUST_200600_302600_NS10device_ptrIiEENS9_IsEEjNS0_19identity_decomposerEEE10hipError_tT1_T2_PT3_SG_jT4_jjP12ihipStream_tbEUlT_E0_NS1_11comp_targetILNS1_3genE10ELNS1_11target_archE1201ELNS1_3gpuE5ELNS1_3repE0EEENS1_52radix_sort_onesweep_histogram_config_static_selectorELNS0_4arch9wavefront6targetE1EEEvSE_.num_vgpr, 0
	.set _ZN7rocprim17ROCPRIM_400000_NS6detail17trampoline_kernelINS0_14default_configENS1_35radix_sort_onesweep_config_selectorIisEEZNS1_34radix_sort_onesweep_global_offsetsIS3_Lb0EN6thrust23THRUST_200600_302600_NS10device_ptrIiEENS9_IsEEjNS0_19identity_decomposerEEE10hipError_tT1_T2_PT3_SG_jT4_jjP12ihipStream_tbEUlT_E0_NS1_11comp_targetILNS1_3genE10ELNS1_11target_archE1201ELNS1_3gpuE5ELNS1_3repE0EEENS1_52radix_sort_onesweep_histogram_config_static_selectorELNS0_4arch9wavefront6targetE1EEEvSE_.num_agpr, 0
	.set _ZN7rocprim17ROCPRIM_400000_NS6detail17trampoline_kernelINS0_14default_configENS1_35radix_sort_onesweep_config_selectorIisEEZNS1_34radix_sort_onesweep_global_offsetsIS3_Lb0EN6thrust23THRUST_200600_302600_NS10device_ptrIiEENS9_IsEEjNS0_19identity_decomposerEEE10hipError_tT1_T2_PT3_SG_jT4_jjP12ihipStream_tbEUlT_E0_NS1_11comp_targetILNS1_3genE10ELNS1_11target_archE1201ELNS1_3gpuE5ELNS1_3repE0EEENS1_52radix_sort_onesweep_histogram_config_static_selectorELNS0_4arch9wavefront6targetE1EEEvSE_.numbered_sgpr, 0
	.set _ZN7rocprim17ROCPRIM_400000_NS6detail17trampoline_kernelINS0_14default_configENS1_35radix_sort_onesweep_config_selectorIisEEZNS1_34radix_sort_onesweep_global_offsetsIS3_Lb0EN6thrust23THRUST_200600_302600_NS10device_ptrIiEENS9_IsEEjNS0_19identity_decomposerEEE10hipError_tT1_T2_PT3_SG_jT4_jjP12ihipStream_tbEUlT_E0_NS1_11comp_targetILNS1_3genE10ELNS1_11target_archE1201ELNS1_3gpuE5ELNS1_3repE0EEENS1_52radix_sort_onesweep_histogram_config_static_selectorELNS0_4arch9wavefront6targetE1EEEvSE_.num_named_barrier, 0
	.set _ZN7rocprim17ROCPRIM_400000_NS6detail17trampoline_kernelINS0_14default_configENS1_35radix_sort_onesweep_config_selectorIisEEZNS1_34radix_sort_onesweep_global_offsetsIS3_Lb0EN6thrust23THRUST_200600_302600_NS10device_ptrIiEENS9_IsEEjNS0_19identity_decomposerEEE10hipError_tT1_T2_PT3_SG_jT4_jjP12ihipStream_tbEUlT_E0_NS1_11comp_targetILNS1_3genE10ELNS1_11target_archE1201ELNS1_3gpuE5ELNS1_3repE0EEENS1_52radix_sort_onesweep_histogram_config_static_selectorELNS0_4arch9wavefront6targetE1EEEvSE_.private_seg_size, 0
	.set _ZN7rocprim17ROCPRIM_400000_NS6detail17trampoline_kernelINS0_14default_configENS1_35radix_sort_onesweep_config_selectorIisEEZNS1_34radix_sort_onesweep_global_offsetsIS3_Lb0EN6thrust23THRUST_200600_302600_NS10device_ptrIiEENS9_IsEEjNS0_19identity_decomposerEEE10hipError_tT1_T2_PT3_SG_jT4_jjP12ihipStream_tbEUlT_E0_NS1_11comp_targetILNS1_3genE10ELNS1_11target_archE1201ELNS1_3gpuE5ELNS1_3repE0EEENS1_52radix_sort_onesweep_histogram_config_static_selectorELNS0_4arch9wavefront6targetE1EEEvSE_.uses_vcc, 0
	.set _ZN7rocprim17ROCPRIM_400000_NS6detail17trampoline_kernelINS0_14default_configENS1_35radix_sort_onesweep_config_selectorIisEEZNS1_34radix_sort_onesweep_global_offsetsIS3_Lb0EN6thrust23THRUST_200600_302600_NS10device_ptrIiEENS9_IsEEjNS0_19identity_decomposerEEE10hipError_tT1_T2_PT3_SG_jT4_jjP12ihipStream_tbEUlT_E0_NS1_11comp_targetILNS1_3genE10ELNS1_11target_archE1201ELNS1_3gpuE5ELNS1_3repE0EEENS1_52radix_sort_onesweep_histogram_config_static_selectorELNS0_4arch9wavefront6targetE1EEEvSE_.uses_flat_scratch, 0
	.set _ZN7rocprim17ROCPRIM_400000_NS6detail17trampoline_kernelINS0_14default_configENS1_35radix_sort_onesweep_config_selectorIisEEZNS1_34radix_sort_onesweep_global_offsetsIS3_Lb0EN6thrust23THRUST_200600_302600_NS10device_ptrIiEENS9_IsEEjNS0_19identity_decomposerEEE10hipError_tT1_T2_PT3_SG_jT4_jjP12ihipStream_tbEUlT_E0_NS1_11comp_targetILNS1_3genE10ELNS1_11target_archE1201ELNS1_3gpuE5ELNS1_3repE0EEENS1_52radix_sort_onesweep_histogram_config_static_selectorELNS0_4arch9wavefront6targetE1EEEvSE_.has_dyn_sized_stack, 0
	.set _ZN7rocprim17ROCPRIM_400000_NS6detail17trampoline_kernelINS0_14default_configENS1_35radix_sort_onesweep_config_selectorIisEEZNS1_34radix_sort_onesweep_global_offsetsIS3_Lb0EN6thrust23THRUST_200600_302600_NS10device_ptrIiEENS9_IsEEjNS0_19identity_decomposerEEE10hipError_tT1_T2_PT3_SG_jT4_jjP12ihipStream_tbEUlT_E0_NS1_11comp_targetILNS1_3genE10ELNS1_11target_archE1201ELNS1_3gpuE5ELNS1_3repE0EEENS1_52radix_sort_onesweep_histogram_config_static_selectorELNS0_4arch9wavefront6targetE1EEEvSE_.has_recursion, 0
	.set _ZN7rocprim17ROCPRIM_400000_NS6detail17trampoline_kernelINS0_14default_configENS1_35radix_sort_onesweep_config_selectorIisEEZNS1_34radix_sort_onesweep_global_offsetsIS3_Lb0EN6thrust23THRUST_200600_302600_NS10device_ptrIiEENS9_IsEEjNS0_19identity_decomposerEEE10hipError_tT1_T2_PT3_SG_jT4_jjP12ihipStream_tbEUlT_E0_NS1_11comp_targetILNS1_3genE10ELNS1_11target_archE1201ELNS1_3gpuE5ELNS1_3repE0EEENS1_52radix_sort_onesweep_histogram_config_static_selectorELNS0_4arch9wavefront6targetE1EEEvSE_.has_indirect_call, 0
	.section	.AMDGPU.csdata,"",@progbits
; Kernel info:
; codeLenInByte = 0
; TotalNumSgprs: 6
; NumVgprs: 0
; NumAgprs: 0
; TotalNumVgprs: 0
; ScratchSize: 0
; MemoryBound: 0
; FloatMode: 240
; IeeeMode: 1
; LDSByteSize: 0 bytes/workgroup (compile time only)
; SGPRBlocks: 0
; VGPRBlocks: 0
; NumSGPRsForWavesPerEU: 6
; NumVGPRsForWavesPerEU: 1
; AccumOffset: 4
; Occupancy: 8
; WaveLimiterHint : 0
; COMPUTE_PGM_RSRC2:SCRATCH_EN: 0
; COMPUTE_PGM_RSRC2:USER_SGPR: 2
; COMPUTE_PGM_RSRC2:TRAP_HANDLER: 0
; COMPUTE_PGM_RSRC2:TGID_X_EN: 1
; COMPUTE_PGM_RSRC2:TGID_Y_EN: 0
; COMPUTE_PGM_RSRC2:TGID_Z_EN: 0
; COMPUTE_PGM_RSRC2:TIDIG_COMP_CNT: 0
; COMPUTE_PGM_RSRC3_GFX90A:ACCUM_OFFSET: 0
; COMPUTE_PGM_RSRC3_GFX90A:TG_SPLIT: 0
	.section	.text._ZN7rocprim17ROCPRIM_400000_NS6detail17trampoline_kernelINS0_14default_configENS1_35radix_sort_onesweep_config_selectorIisEEZNS1_34radix_sort_onesweep_global_offsetsIS3_Lb0EN6thrust23THRUST_200600_302600_NS10device_ptrIiEENS9_IsEEjNS0_19identity_decomposerEEE10hipError_tT1_T2_PT3_SG_jT4_jjP12ihipStream_tbEUlT_E0_NS1_11comp_targetILNS1_3genE9ELNS1_11target_archE1100ELNS1_3gpuE3ELNS1_3repE0EEENS1_52radix_sort_onesweep_histogram_config_static_selectorELNS0_4arch9wavefront6targetE1EEEvSE_,"axG",@progbits,_ZN7rocprim17ROCPRIM_400000_NS6detail17trampoline_kernelINS0_14default_configENS1_35radix_sort_onesweep_config_selectorIisEEZNS1_34radix_sort_onesweep_global_offsetsIS3_Lb0EN6thrust23THRUST_200600_302600_NS10device_ptrIiEENS9_IsEEjNS0_19identity_decomposerEEE10hipError_tT1_T2_PT3_SG_jT4_jjP12ihipStream_tbEUlT_E0_NS1_11comp_targetILNS1_3genE9ELNS1_11target_archE1100ELNS1_3gpuE3ELNS1_3repE0EEENS1_52radix_sort_onesweep_histogram_config_static_selectorELNS0_4arch9wavefront6targetE1EEEvSE_,comdat
	.protected	_ZN7rocprim17ROCPRIM_400000_NS6detail17trampoline_kernelINS0_14default_configENS1_35radix_sort_onesweep_config_selectorIisEEZNS1_34radix_sort_onesweep_global_offsetsIS3_Lb0EN6thrust23THRUST_200600_302600_NS10device_ptrIiEENS9_IsEEjNS0_19identity_decomposerEEE10hipError_tT1_T2_PT3_SG_jT4_jjP12ihipStream_tbEUlT_E0_NS1_11comp_targetILNS1_3genE9ELNS1_11target_archE1100ELNS1_3gpuE3ELNS1_3repE0EEENS1_52radix_sort_onesweep_histogram_config_static_selectorELNS0_4arch9wavefront6targetE1EEEvSE_ ; -- Begin function _ZN7rocprim17ROCPRIM_400000_NS6detail17trampoline_kernelINS0_14default_configENS1_35radix_sort_onesweep_config_selectorIisEEZNS1_34radix_sort_onesweep_global_offsetsIS3_Lb0EN6thrust23THRUST_200600_302600_NS10device_ptrIiEENS9_IsEEjNS0_19identity_decomposerEEE10hipError_tT1_T2_PT3_SG_jT4_jjP12ihipStream_tbEUlT_E0_NS1_11comp_targetILNS1_3genE9ELNS1_11target_archE1100ELNS1_3gpuE3ELNS1_3repE0EEENS1_52radix_sort_onesweep_histogram_config_static_selectorELNS0_4arch9wavefront6targetE1EEEvSE_
	.globl	_ZN7rocprim17ROCPRIM_400000_NS6detail17trampoline_kernelINS0_14default_configENS1_35radix_sort_onesweep_config_selectorIisEEZNS1_34radix_sort_onesweep_global_offsetsIS3_Lb0EN6thrust23THRUST_200600_302600_NS10device_ptrIiEENS9_IsEEjNS0_19identity_decomposerEEE10hipError_tT1_T2_PT3_SG_jT4_jjP12ihipStream_tbEUlT_E0_NS1_11comp_targetILNS1_3genE9ELNS1_11target_archE1100ELNS1_3gpuE3ELNS1_3repE0EEENS1_52radix_sort_onesweep_histogram_config_static_selectorELNS0_4arch9wavefront6targetE1EEEvSE_
	.p2align	8
	.type	_ZN7rocprim17ROCPRIM_400000_NS6detail17trampoline_kernelINS0_14default_configENS1_35radix_sort_onesweep_config_selectorIisEEZNS1_34radix_sort_onesweep_global_offsetsIS3_Lb0EN6thrust23THRUST_200600_302600_NS10device_ptrIiEENS9_IsEEjNS0_19identity_decomposerEEE10hipError_tT1_T2_PT3_SG_jT4_jjP12ihipStream_tbEUlT_E0_NS1_11comp_targetILNS1_3genE9ELNS1_11target_archE1100ELNS1_3gpuE3ELNS1_3repE0EEENS1_52radix_sort_onesweep_histogram_config_static_selectorELNS0_4arch9wavefront6targetE1EEEvSE_,@function
_ZN7rocprim17ROCPRIM_400000_NS6detail17trampoline_kernelINS0_14default_configENS1_35radix_sort_onesweep_config_selectorIisEEZNS1_34radix_sort_onesweep_global_offsetsIS3_Lb0EN6thrust23THRUST_200600_302600_NS10device_ptrIiEENS9_IsEEjNS0_19identity_decomposerEEE10hipError_tT1_T2_PT3_SG_jT4_jjP12ihipStream_tbEUlT_E0_NS1_11comp_targetILNS1_3genE9ELNS1_11target_archE1100ELNS1_3gpuE3ELNS1_3repE0EEENS1_52radix_sort_onesweep_histogram_config_static_selectorELNS0_4arch9wavefront6targetE1EEEvSE_: ; @_ZN7rocprim17ROCPRIM_400000_NS6detail17trampoline_kernelINS0_14default_configENS1_35radix_sort_onesweep_config_selectorIisEEZNS1_34radix_sort_onesweep_global_offsetsIS3_Lb0EN6thrust23THRUST_200600_302600_NS10device_ptrIiEENS9_IsEEjNS0_19identity_decomposerEEE10hipError_tT1_T2_PT3_SG_jT4_jjP12ihipStream_tbEUlT_E0_NS1_11comp_targetILNS1_3genE9ELNS1_11target_archE1100ELNS1_3gpuE3ELNS1_3repE0EEENS1_52radix_sort_onesweep_histogram_config_static_selectorELNS0_4arch9wavefront6targetE1EEEvSE_
; %bb.0:
	.section	.rodata,"a",@progbits
	.p2align	6, 0x0
	.amdhsa_kernel _ZN7rocprim17ROCPRIM_400000_NS6detail17trampoline_kernelINS0_14default_configENS1_35radix_sort_onesweep_config_selectorIisEEZNS1_34radix_sort_onesweep_global_offsetsIS3_Lb0EN6thrust23THRUST_200600_302600_NS10device_ptrIiEENS9_IsEEjNS0_19identity_decomposerEEE10hipError_tT1_T2_PT3_SG_jT4_jjP12ihipStream_tbEUlT_E0_NS1_11comp_targetILNS1_3genE9ELNS1_11target_archE1100ELNS1_3gpuE3ELNS1_3repE0EEENS1_52radix_sort_onesweep_histogram_config_static_selectorELNS0_4arch9wavefront6targetE1EEEvSE_
		.amdhsa_group_segment_fixed_size 0
		.amdhsa_private_segment_fixed_size 0
		.amdhsa_kernarg_size 8
		.amdhsa_user_sgpr_count 2
		.amdhsa_user_sgpr_dispatch_ptr 0
		.amdhsa_user_sgpr_queue_ptr 0
		.amdhsa_user_sgpr_kernarg_segment_ptr 1
		.amdhsa_user_sgpr_dispatch_id 0
		.amdhsa_user_sgpr_kernarg_preload_length 0
		.amdhsa_user_sgpr_kernarg_preload_offset 0
		.amdhsa_user_sgpr_private_segment_size 0
		.amdhsa_uses_dynamic_stack 0
		.amdhsa_enable_private_segment 0
		.amdhsa_system_sgpr_workgroup_id_x 1
		.amdhsa_system_sgpr_workgroup_id_y 0
		.amdhsa_system_sgpr_workgroup_id_z 0
		.amdhsa_system_sgpr_workgroup_info 0
		.amdhsa_system_vgpr_workitem_id 0
		.amdhsa_next_free_vgpr 1
		.amdhsa_next_free_sgpr 0
		.amdhsa_accum_offset 4
		.amdhsa_reserve_vcc 0
		.amdhsa_float_round_mode_32 0
		.amdhsa_float_round_mode_16_64 0
		.amdhsa_float_denorm_mode_32 3
		.amdhsa_float_denorm_mode_16_64 3
		.amdhsa_dx10_clamp 1
		.amdhsa_ieee_mode 1
		.amdhsa_fp16_overflow 0
		.amdhsa_tg_split 0
		.amdhsa_exception_fp_ieee_invalid_op 0
		.amdhsa_exception_fp_denorm_src 0
		.amdhsa_exception_fp_ieee_div_zero 0
		.amdhsa_exception_fp_ieee_overflow 0
		.amdhsa_exception_fp_ieee_underflow 0
		.amdhsa_exception_fp_ieee_inexact 0
		.amdhsa_exception_int_div_zero 0
	.end_amdhsa_kernel
	.section	.text._ZN7rocprim17ROCPRIM_400000_NS6detail17trampoline_kernelINS0_14default_configENS1_35radix_sort_onesweep_config_selectorIisEEZNS1_34radix_sort_onesweep_global_offsetsIS3_Lb0EN6thrust23THRUST_200600_302600_NS10device_ptrIiEENS9_IsEEjNS0_19identity_decomposerEEE10hipError_tT1_T2_PT3_SG_jT4_jjP12ihipStream_tbEUlT_E0_NS1_11comp_targetILNS1_3genE9ELNS1_11target_archE1100ELNS1_3gpuE3ELNS1_3repE0EEENS1_52radix_sort_onesweep_histogram_config_static_selectorELNS0_4arch9wavefront6targetE1EEEvSE_,"axG",@progbits,_ZN7rocprim17ROCPRIM_400000_NS6detail17trampoline_kernelINS0_14default_configENS1_35radix_sort_onesweep_config_selectorIisEEZNS1_34radix_sort_onesweep_global_offsetsIS3_Lb0EN6thrust23THRUST_200600_302600_NS10device_ptrIiEENS9_IsEEjNS0_19identity_decomposerEEE10hipError_tT1_T2_PT3_SG_jT4_jjP12ihipStream_tbEUlT_E0_NS1_11comp_targetILNS1_3genE9ELNS1_11target_archE1100ELNS1_3gpuE3ELNS1_3repE0EEENS1_52radix_sort_onesweep_histogram_config_static_selectorELNS0_4arch9wavefront6targetE1EEEvSE_,comdat
.Lfunc_end2420:
	.size	_ZN7rocprim17ROCPRIM_400000_NS6detail17trampoline_kernelINS0_14default_configENS1_35radix_sort_onesweep_config_selectorIisEEZNS1_34radix_sort_onesweep_global_offsetsIS3_Lb0EN6thrust23THRUST_200600_302600_NS10device_ptrIiEENS9_IsEEjNS0_19identity_decomposerEEE10hipError_tT1_T2_PT3_SG_jT4_jjP12ihipStream_tbEUlT_E0_NS1_11comp_targetILNS1_3genE9ELNS1_11target_archE1100ELNS1_3gpuE3ELNS1_3repE0EEENS1_52radix_sort_onesweep_histogram_config_static_selectorELNS0_4arch9wavefront6targetE1EEEvSE_, .Lfunc_end2420-_ZN7rocprim17ROCPRIM_400000_NS6detail17trampoline_kernelINS0_14default_configENS1_35radix_sort_onesweep_config_selectorIisEEZNS1_34radix_sort_onesweep_global_offsetsIS3_Lb0EN6thrust23THRUST_200600_302600_NS10device_ptrIiEENS9_IsEEjNS0_19identity_decomposerEEE10hipError_tT1_T2_PT3_SG_jT4_jjP12ihipStream_tbEUlT_E0_NS1_11comp_targetILNS1_3genE9ELNS1_11target_archE1100ELNS1_3gpuE3ELNS1_3repE0EEENS1_52radix_sort_onesweep_histogram_config_static_selectorELNS0_4arch9wavefront6targetE1EEEvSE_
                                        ; -- End function
	.set _ZN7rocprim17ROCPRIM_400000_NS6detail17trampoline_kernelINS0_14default_configENS1_35radix_sort_onesweep_config_selectorIisEEZNS1_34radix_sort_onesweep_global_offsetsIS3_Lb0EN6thrust23THRUST_200600_302600_NS10device_ptrIiEENS9_IsEEjNS0_19identity_decomposerEEE10hipError_tT1_T2_PT3_SG_jT4_jjP12ihipStream_tbEUlT_E0_NS1_11comp_targetILNS1_3genE9ELNS1_11target_archE1100ELNS1_3gpuE3ELNS1_3repE0EEENS1_52radix_sort_onesweep_histogram_config_static_selectorELNS0_4arch9wavefront6targetE1EEEvSE_.num_vgpr, 0
	.set _ZN7rocprim17ROCPRIM_400000_NS6detail17trampoline_kernelINS0_14default_configENS1_35radix_sort_onesweep_config_selectorIisEEZNS1_34radix_sort_onesweep_global_offsetsIS3_Lb0EN6thrust23THRUST_200600_302600_NS10device_ptrIiEENS9_IsEEjNS0_19identity_decomposerEEE10hipError_tT1_T2_PT3_SG_jT4_jjP12ihipStream_tbEUlT_E0_NS1_11comp_targetILNS1_3genE9ELNS1_11target_archE1100ELNS1_3gpuE3ELNS1_3repE0EEENS1_52radix_sort_onesweep_histogram_config_static_selectorELNS0_4arch9wavefront6targetE1EEEvSE_.num_agpr, 0
	.set _ZN7rocprim17ROCPRIM_400000_NS6detail17trampoline_kernelINS0_14default_configENS1_35radix_sort_onesweep_config_selectorIisEEZNS1_34radix_sort_onesweep_global_offsetsIS3_Lb0EN6thrust23THRUST_200600_302600_NS10device_ptrIiEENS9_IsEEjNS0_19identity_decomposerEEE10hipError_tT1_T2_PT3_SG_jT4_jjP12ihipStream_tbEUlT_E0_NS1_11comp_targetILNS1_3genE9ELNS1_11target_archE1100ELNS1_3gpuE3ELNS1_3repE0EEENS1_52radix_sort_onesweep_histogram_config_static_selectorELNS0_4arch9wavefront6targetE1EEEvSE_.numbered_sgpr, 0
	.set _ZN7rocprim17ROCPRIM_400000_NS6detail17trampoline_kernelINS0_14default_configENS1_35radix_sort_onesweep_config_selectorIisEEZNS1_34radix_sort_onesweep_global_offsetsIS3_Lb0EN6thrust23THRUST_200600_302600_NS10device_ptrIiEENS9_IsEEjNS0_19identity_decomposerEEE10hipError_tT1_T2_PT3_SG_jT4_jjP12ihipStream_tbEUlT_E0_NS1_11comp_targetILNS1_3genE9ELNS1_11target_archE1100ELNS1_3gpuE3ELNS1_3repE0EEENS1_52radix_sort_onesweep_histogram_config_static_selectorELNS0_4arch9wavefront6targetE1EEEvSE_.num_named_barrier, 0
	.set _ZN7rocprim17ROCPRIM_400000_NS6detail17trampoline_kernelINS0_14default_configENS1_35radix_sort_onesweep_config_selectorIisEEZNS1_34radix_sort_onesweep_global_offsetsIS3_Lb0EN6thrust23THRUST_200600_302600_NS10device_ptrIiEENS9_IsEEjNS0_19identity_decomposerEEE10hipError_tT1_T2_PT3_SG_jT4_jjP12ihipStream_tbEUlT_E0_NS1_11comp_targetILNS1_3genE9ELNS1_11target_archE1100ELNS1_3gpuE3ELNS1_3repE0EEENS1_52radix_sort_onesweep_histogram_config_static_selectorELNS0_4arch9wavefront6targetE1EEEvSE_.private_seg_size, 0
	.set _ZN7rocprim17ROCPRIM_400000_NS6detail17trampoline_kernelINS0_14default_configENS1_35radix_sort_onesweep_config_selectorIisEEZNS1_34radix_sort_onesweep_global_offsetsIS3_Lb0EN6thrust23THRUST_200600_302600_NS10device_ptrIiEENS9_IsEEjNS0_19identity_decomposerEEE10hipError_tT1_T2_PT3_SG_jT4_jjP12ihipStream_tbEUlT_E0_NS1_11comp_targetILNS1_3genE9ELNS1_11target_archE1100ELNS1_3gpuE3ELNS1_3repE0EEENS1_52radix_sort_onesweep_histogram_config_static_selectorELNS0_4arch9wavefront6targetE1EEEvSE_.uses_vcc, 0
	.set _ZN7rocprim17ROCPRIM_400000_NS6detail17trampoline_kernelINS0_14default_configENS1_35radix_sort_onesweep_config_selectorIisEEZNS1_34radix_sort_onesweep_global_offsetsIS3_Lb0EN6thrust23THRUST_200600_302600_NS10device_ptrIiEENS9_IsEEjNS0_19identity_decomposerEEE10hipError_tT1_T2_PT3_SG_jT4_jjP12ihipStream_tbEUlT_E0_NS1_11comp_targetILNS1_3genE9ELNS1_11target_archE1100ELNS1_3gpuE3ELNS1_3repE0EEENS1_52radix_sort_onesweep_histogram_config_static_selectorELNS0_4arch9wavefront6targetE1EEEvSE_.uses_flat_scratch, 0
	.set _ZN7rocprim17ROCPRIM_400000_NS6detail17trampoline_kernelINS0_14default_configENS1_35radix_sort_onesweep_config_selectorIisEEZNS1_34radix_sort_onesweep_global_offsetsIS3_Lb0EN6thrust23THRUST_200600_302600_NS10device_ptrIiEENS9_IsEEjNS0_19identity_decomposerEEE10hipError_tT1_T2_PT3_SG_jT4_jjP12ihipStream_tbEUlT_E0_NS1_11comp_targetILNS1_3genE9ELNS1_11target_archE1100ELNS1_3gpuE3ELNS1_3repE0EEENS1_52radix_sort_onesweep_histogram_config_static_selectorELNS0_4arch9wavefront6targetE1EEEvSE_.has_dyn_sized_stack, 0
	.set _ZN7rocprim17ROCPRIM_400000_NS6detail17trampoline_kernelINS0_14default_configENS1_35radix_sort_onesweep_config_selectorIisEEZNS1_34radix_sort_onesweep_global_offsetsIS3_Lb0EN6thrust23THRUST_200600_302600_NS10device_ptrIiEENS9_IsEEjNS0_19identity_decomposerEEE10hipError_tT1_T2_PT3_SG_jT4_jjP12ihipStream_tbEUlT_E0_NS1_11comp_targetILNS1_3genE9ELNS1_11target_archE1100ELNS1_3gpuE3ELNS1_3repE0EEENS1_52radix_sort_onesweep_histogram_config_static_selectorELNS0_4arch9wavefront6targetE1EEEvSE_.has_recursion, 0
	.set _ZN7rocprim17ROCPRIM_400000_NS6detail17trampoline_kernelINS0_14default_configENS1_35radix_sort_onesweep_config_selectorIisEEZNS1_34radix_sort_onesweep_global_offsetsIS3_Lb0EN6thrust23THRUST_200600_302600_NS10device_ptrIiEENS9_IsEEjNS0_19identity_decomposerEEE10hipError_tT1_T2_PT3_SG_jT4_jjP12ihipStream_tbEUlT_E0_NS1_11comp_targetILNS1_3genE9ELNS1_11target_archE1100ELNS1_3gpuE3ELNS1_3repE0EEENS1_52radix_sort_onesweep_histogram_config_static_selectorELNS0_4arch9wavefront6targetE1EEEvSE_.has_indirect_call, 0
	.section	.AMDGPU.csdata,"",@progbits
; Kernel info:
; codeLenInByte = 0
; TotalNumSgprs: 6
; NumVgprs: 0
; NumAgprs: 0
; TotalNumVgprs: 0
; ScratchSize: 0
; MemoryBound: 0
; FloatMode: 240
; IeeeMode: 1
; LDSByteSize: 0 bytes/workgroup (compile time only)
; SGPRBlocks: 0
; VGPRBlocks: 0
; NumSGPRsForWavesPerEU: 6
; NumVGPRsForWavesPerEU: 1
; AccumOffset: 4
; Occupancy: 8
; WaveLimiterHint : 0
; COMPUTE_PGM_RSRC2:SCRATCH_EN: 0
; COMPUTE_PGM_RSRC2:USER_SGPR: 2
; COMPUTE_PGM_RSRC2:TRAP_HANDLER: 0
; COMPUTE_PGM_RSRC2:TGID_X_EN: 1
; COMPUTE_PGM_RSRC2:TGID_Y_EN: 0
; COMPUTE_PGM_RSRC2:TGID_Z_EN: 0
; COMPUTE_PGM_RSRC2:TIDIG_COMP_CNT: 0
; COMPUTE_PGM_RSRC3_GFX90A:ACCUM_OFFSET: 0
; COMPUTE_PGM_RSRC3_GFX90A:TG_SPLIT: 0
	.section	.text._ZN7rocprim17ROCPRIM_400000_NS6detail17trampoline_kernelINS0_14default_configENS1_35radix_sort_onesweep_config_selectorIisEEZNS1_34radix_sort_onesweep_global_offsetsIS3_Lb0EN6thrust23THRUST_200600_302600_NS10device_ptrIiEENS9_IsEEjNS0_19identity_decomposerEEE10hipError_tT1_T2_PT3_SG_jT4_jjP12ihipStream_tbEUlT_E0_NS1_11comp_targetILNS1_3genE8ELNS1_11target_archE1030ELNS1_3gpuE2ELNS1_3repE0EEENS1_52radix_sort_onesweep_histogram_config_static_selectorELNS0_4arch9wavefront6targetE1EEEvSE_,"axG",@progbits,_ZN7rocprim17ROCPRIM_400000_NS6detail17trampoline_kernelINS0_14default_configENS1_35radix_sort_onesweep_config_selectorIisEEZNS1_34radix_sort_onesweep_global_offsetsIS3_Lb0EN6thrust23THRUST_200600_302600_NS10device_ptrIiEENS9_IsEEjNS0_19identity_decomposerEEE10hipError_tT1_T2_PT3_SG_jT4_jjP12ihipStream_tbEUlT_E0_NS1_11comp_targetILNS1_3genE8ELNS1_11target_archE1030ELNS1_3gpuE2ELNS1_3repE0EEENS1_52radix_sort_onesweep_histogram_config_static_selectorELNS0_4arch9wavefront6targetE1EEEvSE_,comdat
	.protected	_ZN7rocprim17ROCPRIM_400000_NS6detail17trampoline_kernelINS0_14default_configENS1_35radix_sort_onesweep_config_selectorIisEEZNS1_34radix_sort_onesweep_global_offsetsIS3_Lb0EN6thrust23THRUST_200600_302600_NS10device_ptrIiEENS9_IsEEjNS0_19identity_decomposerEEE10hipError_tT1_T2_PT3_SG_jT4_jjP12ihipStream_tbEUlT_E0_NS1_11comp_targetILNS1_3genE8ELNS1_11target_archE1030ELNS1_3gpuE2ELNS1_3repE0EEENS1_52radix_sort_onesweep_histogram_config_static_selectorELNS0_4arch9wavefront6targetE1EEEvSE_ ; -- Begin function _ZN7rocprim17ROCPRIM_400000_NS6detail17trampoline_kernelINS0_14default_configENS1_35radix_sort_onesweep_config_selectorIisEEZNS1_34radix_sort_onesweep_global_offsetsIS3_Lb0EN6thrust23THRUST_200600_302600_NS10device_ptrIiEENS9_IsEEjNS0_19identity_decomposerEEE10hipError_tT1_T2_PT3_SG_jT4_jjP12ihipStream_tbEUlT_E0_NS1_11comp_targetILNS1_3genE8ELNS1_11target_archE1030ELNS1_3gpuE2ELNS1_3repE0EEENS1_52radix_sort_onesweep_histogram_config_static_selectorELNS0_4arch9wavefront6targetE1EEEvSE_
	.globl	_ZN7rocprim17ROCPRIM_400000_NS6detail17trampoline_kernelINS0_14default_configENS1_35radix_sort_onesweep_config_selectorIisEEZNS1_34radix_sort_onesweep_global_offsetsIS3_Lb0EN6thrust23THRUST_200600_302600_NS10device_ptrIiEENS9_IsEEjNS0_19identity_decomposerEEE10hipError_tT1_T2_PT3_SG_jT4_jjP12ihipStream_tbEUlT_E0_NS1_11comp_targetILNS1_3genE8ELNS1_11target_archE1030ELNS1_3gpuE2ELNS1_3repE0EEENS1_52radix_sort_onesweep_histogram_config_static_selectorELNS0_4arch9wavefront6targetE1EEEvSE_
	.p2align	8
	.type	_ZN7rocprim17ROCPRIM_400000_NS6detail17trampoline_kernelINS0_14default_configENS1_35radix_sort_onesweep_config_selectorIisEEZNS1_34radix_sort_onesweep_global_offsetsIS3_Lb0EN6thrust23THRUST_200600_302600_NS10device_ptrIiEENS9_IsEEjNS0_19identity_decomposerEEE10hipError_tT1_T2_PT3_SG_jT4_jjP12ihipStream_tbEUlT_E0_NS1_11comp_targetILNS1_3genE8ELNS1_11target_archE1030ELNS1_3gpuE2ELNS1_3repE0EEENS1_52radix_sort_onesweep_histogram_config_static_selectorELNS0_4arch9wavefront6targetE1EEEvSE_,@function
_ZN7rocprim17ROCPRIM_400000_NS6detail17trampoline_kernelINS0_14default_configENS1_35radix_sort_onesweep_config_selectorIisEEZNS1_34radix_sort_onesweep_global_offsetsIS3_Lb0EN6thrust23THRUST_200600_302600_NS10device_ptrIiEENS9_IsEEjNS0_19identity_decomposerEEE10hipError_tT1_T2_PT3_SG_jT4_jjP12ihipStream_tbEUlT_E0_NS1_11comp_targetILNS1_3genE8ELNS1_11target_archE1030ELNS1_3gpuE2ELNS1_3repE0EEENS1_52radix_sort_onesweep_histogram_config_static_selectorELNS0_4arch9wavefront6targetE1EEEvSE_: ; @_ZN7rocprim17ROCPRIM_400000_NS6detail17trampoline_kernelINS0_14default_configENS1_35radix_sort_onesweep_config_selectorIisEEZNS1_34radix_sort_onesweep_global_offsetsIS3_Lb0EN6thrust23THRUST_200600_302600_NS10device_ptrIiEENS9_IsEEjNS0_19identity_decomposerEEE10hipError_tT1_T2_PT3_SG_jT4_jjP12ihipStream_tbEUlT_E0_NS1_11comp_targetILNS1_3genE8ELNS1_11target_archE1030ELNS1_3gpuE2ELNS1_3repE0EEENS1_52radix_sort_onesweep_histogram_config_static_selectorELNS0_4arch9wavefront6targetE1EEEvSE_
; %bb.0:
	.section	.rodata,"a",@progbits
	.p2align	6, 0x0
	.amdhsa_kernel _ZN7rocprim17ROCPRIM_400000_NS6detail17trampoline_kernelINS0_14default_configENS1_35radix_sort_onesweep_config_selectorIisEEZNS1_34radix_sort_onesweep_global_offsetsIS3_Lb0EN6thrust23THRUST_200600_302600_NS10device_ptrIiEENS9_IsEEjNS0_19identity_decomposerEEE10hipError_tT1_T2_PT3_SG_jT4_jjP12ihipStream_tbEUlT_E0_NS1_11comp_targetILNS1_3genE8ELNS1_11target_archE1030ELNS1_3gpuE2ELNS1_3repE0EEENS1_52radix_sort_onesweep_histogram_config_static_selectorELNS0_4arch9wavefront6targetE1EEEvSE_
		.amdhsa_group_segment_fixed_size 0
		.amdhsa_private_segment_fixed_size 0
		.amdhsa_kernarg_size 8
		.amdhsa_user_sgpr_count 2
		.amdhsa_user_sgpr_dispatch_ptr 0
		.amdhsa_user_sgpr_queue_ptr 0
		.amdhsa_user_sgpr_kernarg_segment_ptr 1
		.amdhsa_user_sgpr_dispatch_id 0
		.amdhsa_user_sgpr_kernarg_preload_length 0
		.amdhsa_user_sgpr_kernarg_preload_offset 0
		.amdhsa_user_sgpr_private_segment_size 0
		.amdhsa_uses_dynamic_stack 0
		.amdhsa_enable_private_segment 0
		.amdhsa_system_sgpr_workgroup_id_x 1
		.amdhsa_system_sgpr_workgroup_id_y 0
		.amdhsa_system_sgpr_workgroup_id_z 0
		.amdhsa_system_sgpr_workgroup_info 0
		.amdhsa_system_vgpr_workitem_id 0
		.amdhsa_next_free_vgpr 1
		.amdhsa_next_free_sgpr 0
		.amdhsa_accum_offset 4
		.amdhsa_reserve_vcc 0
		.amdhsa_float_round_mode_32 0
		.amdhsa_float_round_mode_16_64 0
		.amdhsa_float_denorm_mode_32 3
		.amdhsa_float_denorm_mode_16_64 3
		.amdhsa_dx10_clamp 1
		.amdhsa_ieee_mode 1
		.amdhsa_fp16_overflow 0
		.amdhsa_tg_split 0
		.amdhsa_exception_fp_ieee_invalid_op 0
		.amdhsa_exception_fp_denorm_src 0
		.amdhsa_exception_fp_ieee_div_zero 0
		.amdhsa_exception_fp_ieee_overflow 0
		.amdhsa_exception_fp_ieee_underflow 0
		.amdhsa_exception_fp_ieee_inexact 0
		.amdhsa_exception_int_div_zero 0
	.end_amdhsa_kernel
	.section	.text._ZN7rocprim17ROCPRIM_400000_NS6detail17trampoline_kernelINS0_14default_configENS1_35radix_sort_onesweep_config_selectorIisEEZNS1_34radix_sort_onesweep_global_offsetsIS3_Lb0EN6thrust23THRUST_200600_302600_NS10device_ptrIiEENS9_IsEEjNS0_19identity_decomposerEEE10hipError_tT1_T2_PT3_SG_jT4_jjP12ihipStream_tbEUlT_E0_NS1_11comp_targetILNS1_3genE8ELNS1_11target_archE1030ELNS1_3gpuE2ELNS1_3repE0EEENS1_52radix_sort_onesweep_histogram_config_static_selectorELNS0_4arch9wavefront6targetE1EEEvSE_,"axG",@progbits,_ZN7rocprim17ROCPRIM_400000_NS6detail17trampoline_kernelINS0_14default_configENS1_35radix_sort_onesweep_config_selectorIisEEZNS1_34radix_sort_onesweep_global_offsetsIS3_Lb0EN6thrust23THRUST_200600_302600_NS10device_ptrIiEENS9_IsEEjNS0_19identity_decomposerEEE10hipError_tT1_T2_PT3_SG_jT4_jjP12ihipStream_tbEUlT_E0_NS1_11comp_targetILNS1_3genE8ELNS1_11target_archE1030ELNS1_3gpuE2ELNS1_3repE0EEENS1_52radix_sort_onesweep_histogram_config_static_selectorELNS0_4arch9wavefront6targetE1EEEvSE_,comdat
.Lfunc_end2421:
	.size	_ZN7rocprim17ROCPRIM_400000_NS6detail17trampoline_kernelINS0_14default_configENS1_35radix_sort_onesweep_config_selectorIisEEZNS1_34radix_sort_onesweep_global_offsetsIS3_Lb0EN6thrust23THRUST_200600_302600_NS10device_ptrIiEENS9_IsEEjNS0_19identity_decomposerEEE10hipError_tT1_T2_PT3_SG_jT4_jjP12ihipStream_tbEUlT_E0_NS1_11comp_targetILNS1_3genE8ELNS1_11target_archE1030ELNS1_3gpuE2ELNS1_3repE0EEENS1_52radix_sort_onesweep_histogram_config_static_selectorELNS0_4arch9wavefront6targetE1EEEvSE_, .Lfunc_end2421-_ZN7rocprim17ROCPRIM_400000_NS6detail17trampoline_kernelINS0_14default_configENS1_35radix_sort_onesweep_config_selectorIisEEZNS1_34radix_sort_onesweep_global_offsetsIS3_Lb0EN6thrust23THRUST_200600_302600_NS10device_ptrIiEENS9_IsEEjNS0_19identity_decomposerEEE10hipError_tT1_T2_PT3_SG_jT4_jjP12ihipStream_tbEUlT_E0_NS1_11comp_targetILNS1_3genE8ELNS1_11target_archE1030ELNS1_3gpuE2ELNS1_3repE0EEENS1_52radix_sort_onesweep_histogram_config_static_selectorELNS0_4arch9wavefront6targetE1EEEvSE_
                                        ; -- End function
	.set _ZN7rocprim17ROCPRIM_400000_NS6detail17trampoline_kernelINS0_14default_configENS1_35radix_sort_onesweep_config_selectorIisEEZNS1_34radix_sort_onesweep_global_offsetsIS3_Lb0EN6thrust23THRUST_200600_302600_NS10device_ptrIiEENS9_IsEEjNS0_19identity_decomposerEEE10hipError_tT1_T2_PT3_SG_jT4_jjP12ihipStream_tbEUlT_E0_NS1_11comp_targetILNS1_3genE8ELNS1_11target_archE1030ELNS1_3gpuE2ELNS1_3repE0EEENS1_52radix_sort_onesweep_histogram_config_static_selectorELNS0_4arch9wavefront6targetE1EEEvSE_.num_vgpr, 0
	.set _ZN7rocprim17ROCPRIM_400000_NS6detail17trampoline_kernelINS0_14default_configENS1_35radix_sort_onesweep_config_selectorIisEEZNS1_34radix_sort_onesweep_global_offsetsIS3_Lb0EN6thrust23THRUST_200600_302600_NS10device_ptrIiEENS9_IsEEjNS0_19identity_decomposerEEE10hipError_tT1_T2_PT3_SG_jT4_jjP12ihipStream_tbEUlT_E0_NS1_11comp_targetILNS1_3genE8ELNS1_11target_archE1030ELNS1_3gpuE2ELNS1_3repE0EEENS1_52radix_sort_onesweep_histogram_config_static_selectorELNS0_4arch9wavefront6targetE1EEEvSE_.num_agpr, 0
	.set _ZN7rocprim17ROCPRIM_400000_NS6detail17trampoline_kernelINS0_14default_configENS1_35radix_sort_onesweep_config_selectorIisEEZNS1_34radix_sort_onesweep_global_offsetsIS3_Lb0EN6thrust23THRUST_200600_302600_NS10device_ptrIiEENS9_IsEEjNS0_19identity_decomposerEEE10hipError_tT1_T2_PT3_SG_jT4_jjP12ihipStream_tbEUlT_E0_NS1_11comp_targetILNS1_3genE8ELNS1_11target_archE1030ELNS1_3gpuE2ELNS1_3repE0EEENS1_52radix_sort_onesweep_histogram_config_static_selectorELNS0_4arch9wavefront6targetE1EEEvSE_.numbered_sgpr, 0
	.set _ZN7rocprim17ROCPRIM_400000_NS6detail17trampoline_kernelINS0_14default_configENS1_35radix_sort_onesweep_config_selectorIisEEZNS1_34radix_sort_onesweep_global_offsetsIS3_Lb0EN6thrust23THRUST_200600_302600_NS10device_ptrIiEENS9_IsEEjNS0_19identity_decomposerEEE10hipError_tT1_T2_PT3_SG_jT4_jjP12ihipStream_tbEUlT_E0_NS1_11comp_targetILNS1_3genE8ELNS1_11target_archE1030ELNS1_3gpuE2ELNS1_3repE0EEENS1_52radix_sort_onesweep_histogram_config_static_selectorELNS0_4arch9wavefront6targetE1EEEvSE_.num_named_barrier, 0
	.set _ZN7rocprim17ROCPRIM_400000_NS6detail17trampoline_kernelINS0_14default_configENS1_35radix_sort_onesweep_config_selectorIisEEZNS1_34radix_sort_onesweep_global_offsetsIS3_Lb0EN6thrust23THRUST_200600_302600_NS10device_ptrIiEENS9_IsEEjNS0_19identity_decomposerEEE10hipError_tT1_T2_PT3_SG_jT4_jjP12ihipStream_tbEUlT_E0_NS1_11comp_targetILNS1_3genE8ELNS1_11target_archE1030ELNS1_3gpuE2ELNS1_3repE0EEENS1_52radix_sort_onesweep_histogram_config_static_selectorELNS0_4arch9wavefront6targetE1EEEvSE_.private_seg_size, 0
	.set _ZN7rocprim17ROCPRIM_400000_NS6detail17trampoline_kernelINS0_14default_configENS1_35radix_sort_onesweep_config_selectorIisEEZNS1_34radix_sort_onesweep_global_offsetsIS3_Lb0EN6thrust23THRUST_200600_302600_NS10device_ptrIiEENS9_IsEEjNS0_19identity_decomposerEEE10hipError_tT1_T2_PT3_SG_jT4_jjP12ihipStream_tbEUlT_E0_NS1_11comp_targetILNS1_3genE8ELNS1_11target_archE1030ELNS1_3gpuE2ELNS1_3repE0EEENS1_52radix_sort_onesweep_histogram_config_static_selectorELNS0_4arch9wavefront6targetE1EEEvSE_.uses_vcc, 0
	.set _ZN7rocprim17ROCPRIM_400000_NS6detail17trampoline_kernelINS0_14default_configENS1_35radix_sort_onesweep_config_selectorIisEEZNS1_34radix_sort_onesweep_global_offsetsIS3_Lb0EN6thrust23THRUST_200600_302600_NS10device_ptrIiEENS9_IsEEjNS0_19identity_decomposerEEE10hipError_tT1_T2_PT3_SG_jT4_jjP12ihipStream_tbEUlT_E0_NS1_11comp_targetILNS1_3genE8ELNS1_11target_archE1030ELNS1_3gpuE2ELNS1_3repE0EEENS1_52radix_sort_onesweep_histogram_config_static_selectorELNS0_4arch9wavefront6targetE1EEEvSE_.uses_flat_scratch, 0
	.set _ZN7rocprim17ROCPRIM_400000_NS6detail17trampoline_kernelINS0_14default_configENS1_35radix_sort_onesweep_config_selectorIisEEZNS1_34radix_sort_onesweep_global_offsetsIS3_Lb0EN6thrust23THRUST_200600_302600_NS10device_ptrIiEENS9_IsEEjNS0_19identity_decomposerEEE10hipError_tT1_T2_PT3_SG_jT4_jjP12ihipStream_tbEUlT_E0_NS1_11comp_targetILNS1_3genE8ELNS1_11target_archE1030ELNS1_3gpuE2ELNS1_3repE0EEENS1_52radix_sort_onesweep_histogram_config_static_selectorELNS0_4arch9wavefront6targetE1EEEvSE_.has_dyn_sized_stack, 0
	.set _ZN7rocprim17ROCPRIM_400000_NS6detail17trampoline_kernelINS0_14default_configENS1_35radix_sort_onesweep_config_selectorIisEEZNS1_34radix_sort_onesweep_global_offsetsIS3_Lb0EN6thrust23THRUST_200600_302600_NS10device_ptrIiEENS9_IsEEjNS0_19identity_decomposerEEE10hipError_tT1_T2_PT3_SG_jT4_jjP12ihipStream_tbEUlT_E0_NS1_11comp_targetILNS1_3genE8ELNS1_11target_archE1030ELNS1_3gpuE2ELNS1_3repE0EEENS1_52radix_sort_onesweep_histogram_config_static_selectorELNS0_4arch9wavefront6targetE1EEEvSE_.has_recursion, 0
	.set _ZN7rocprim17ROCPRIM_400000_NS6detail17trampoline_kernelINS0_14default_configENS1_35radix_sort_onesweep_config_selectorIisEEZNS1_34radix_sort_onesweep_global_offsetsIS3_Lb0EN6thrust23THRUST_200600_302600_NS10device_ptrIiEENS9_IsEEjNS0_19identity_decomposerEEE10hipError_tT1_T2_PT3_SG_jT4_jjP12ihipStream_tbEUlT_E0_NS1_11comp_targetILNS1_3genE8ELNS1_11target_archE1030ELNS1_3gpuE2ELNS1_3repE0EEENS1_52radix_sort_onesweep_histogram_config_static_selectorELNS0_4arch9wavefront6targetE1EEEvSE_.has_indirect_call, 0
	.section	.AMDGPU.csdata,"",@progbits
; Kernel info:
; codeLenInByte = 0
; TotalNumSgprs: 6
; NumVgprs: 0
; NumAgprs: 0
; TotalNumVgprs: 0
; ScratchSize: 0
; MemoryBound: 0
; FloatMode: 240
; IeeeMode: 1
; LDSByteSize: 0 bytes/workgroup (compile time only)
; SGPRBlocks: 0
; VGPRBlocks: 0
; NumSGPRsForWavesPerEU: 6
; NumVGPRsForWavesPerEU: 1
; AccumOffset: 4
; Occupancy: 8
; WaveLimiterHint : 0
; COMPUTE_PGM_RSRC2:SCRATCH_EN: 0
; COMPUTE_PGM_RSRC2:USER_SGPR: 2
; COMPUTE_PGM_RSRC2:TRAP_HANDLER: 0
; COMPUTE_PGM_RSRC2:TGID_X_EN: 1
; COMPUTE_PGM_RSRC2:TGID_Y_EN: 0
; COMPUTE_PGM_RSRC2:TGID_Z_EN: 0
; COMPUTE_PGM_RSRC2:TIDIG_COMP_CNT: 0
; COMPUTE_PGM_RSRC3_GFX90A:ACCUM_OFFSET: 0
; COMPUTE_PGM_RSRC3_GFX90A:TG_SPLIT: 0
	.section	.text._ZN7rocprim17ROCPRIM_400000_NS6detail17trampoline_kernelINS0_14default_configENS1_25transform_config_selectorIiLb0EEEZNS1_14transform_implILb0ES3_S5_N6thrust23THRUST_200600_302600_NS10device_ptrIiEEPiNS0_8identityIiEEEE10hipError_tT2_T3_mT4_P12ihipStream_tbEUlT_E_NS1_11comp_targetILNS1_3genE0ELNS1_11target_archE4294967295ELNS1_3gpuE0ELNS1_3repE0EEENS1_30default_config_static_selectorELNS0_4arch9wavefront6targetE1EEEvT1_,"axG",@progbits,_ZN7rocprim17ROCPRIM_400000_NS6detail17trampoline_kernelINS0_14default_configENS1_25transform_config_selectorIiLb0EEEZNS1_14transform_implILb0ES3_S5_N6thrust23THRUST_200600_302600_NS10device_ptrIiEEPiNS0_8identityIiEEEE10hipError_tT2_T3_mT4_P12ihipStream_tbEUlT_E_NS1_11comp_targetILNS1_3genE0ELNS1_11target_archE4294967295ELNS1_3gpuE0ELNS1_3repE0EEENS1_30default_config_static_selectorELNS0_4arch9wavefront6targetE1EEEvT1_,comdat
	.protected	_ZN7rocprim17ROCPRIM_400000_NS6detail17trampoline_kernelINS0_14default_configENS1_25transform_config_selectorIiLb0EEEZNS1_14transform_implILb0ES3_S5_N6thrust23THRUST_200600_302600_NS10device_ptrIiEEPiNS0_8identityIiEEEE10hipError_tT2_T3_mT4_P12ihipStream_tbEUlT_E_NS1_11comp_targetILNS1_3genE0ELNS1_11target_archE4294967295ELNS1_3gpuE0ELNS1_3repE0EEENS1_30default_config_static_selectorELNS0_4arch9wavefront6targetE1EEEvT1_ ; -- Begin function _ZN7rocprim17ROCPRIM_400000_NS6detail17trampoline_kernelINS0_14default_configENS1_25transform_config_selectorIiLb0EEEZNS1_14transform_implILb0ES3_S5_N6thrust23THRUST_200600_302600_NS10device_ptrIiEEPiNS0_8identityIiEEEE10hipError_tT2_T3_mT4_P12ihipStream_tbEUlT_E_NS1_11comp_targetILNS1_3genE0ELNS1_11target_archE4294967295ELNS1_3gpuE0ELNS1_3repE0EEENS1_30default_config_static_selectorELNS0_4arch9wavefront6targetE1EEEvT1_
	.globl	_ZN7rocprim17ROCPRIM_400000_NS6detail17trampoline_kernelINS0_14default_configENS1_25transform_config_selectorIiLb0EEEZNS1_14transform_implILb0ES3_S5_N6thrust23THRUST_200600_302600_NS10device_ptrIiEEPiNS0_8identityIiEEEE10hipError_tT2_T3_mT4_P12ihipStream_tbEUlT_E_NS1_11comp_targetILNS1_3genE0ELNS1_11target_archE4294967295ELNS1_3gpuE0ELNS1_3repE0EEENS1_30default_config_static_selectorELNS0_4arch9wavefront6targetE1EEEvT1_
	.p2align	8
	.type	_ZN7rocprim17ROCPRIM_400000_NS6detail17trampoline_kernelINS0_14default_configENS1_25transform_config_selectorIiLb0EEEZNS1_14transform_implILb0ES3_S5_N6thrust23THRUST_200600_302600_NS10device_ptrIiEEPiNS0_8identityIiEEEE10hipError_tT2_T3_mT4_P12ihipStream_tbEUlT_E_NS1_11comp_targetILNS1_3genE0ELNS1_11target_archE4294967295ELNS1_3gpuE0ELNS1_3repE0EEENS1_30default_config_static_selectorELNS0_4arch9wavefront6targetE1EEEvT1_,@function
_ZN7rocprim17ROCPRIM_400000_NS6detail17trampoline_kernelINS0_14default_configENS1_25transform_config_selectorIiLb0EEEZNS1_14transform_implILb0ES3_S5_N6thrust23THRUST_200600_302600_NS10device_ptrIiEEPiNS0_8identityIiEEEE10hipError_tT2_T3_mT4_P12ihipStream_tbEUlT_E_NS1_11comp_targetILNS1_3genE0ELNS1_11target_archE4294967295ELNS1_3gpuE0ELNS1_3repE0EEENS1_30default_config_static_selectorELNS0_4arch9wavefront6targetE1EEEvT1_: ; @_ZN7rocprim17ROCPRIM_400000_NS6detail17trampoline_kernelINS0_14default_configENS1_25transform_config_selectorIiLb0EEEZNS1_14transform_implILb0ES3_S5_N6thrust23THRUST_200600_302600_NS10device_ptrIiEEPiNS0_8identityIiEEEE10hipError_tT2_T3_mT4_P12ihipStream_tbEUlT_E_NS1_11comp_targetILNS1_3genE0ELNS1_11target_archE4294967295ELNS1_3gpuE0ELNS1_3repE0EEENS1_30default_config_static_selectorELNS0_4arch9wavefront6targetE1EEEvT1_
; %bb.0:
	s_load_dwordx8 s[4:11], s[0:1], 0x0
	s_load_dword s3, s[0:1], 0x28
	s_waitcnt lgkmcnt(0)
	s_lshl_b64 s[0:1], s[6:7], 2
	s_add_u32 s4, s4, s0
	s_addc_u32 s5, s5, s1
	s_add_u32 s9, s10, s0
	s_addc_u32 s12, s11, s1
	s_lshl_b32 s0, s2, 8
	s_mov_b32 s1, 0
	s_add_i32 s3, s3, -1
	s_lshl_b64 s[6:7], s[0:1], 2
	s_add_u32 s10, s4, s6
	s_addc_u32 s11, s5, s7
	s_cmp_lg_u32 s2, s3
	s_cbranch_scc0 .LBB2422_2
; %bb.1:
	v_lshlrev_b32_e32 v2, 2, v0
	v_mov_b32_e32 v3, 0
	v_lshl_add_u64 v[4:5], s[10:11], 0, v[2:3]
	flat_load_dword v6, v[4:5]
	flat_load_dword v1, v[4:5] offset:512
	s_add_u32 s4, s9, s6
	s_addc_u32 s5, s12, s7
	v_lshl_add_u64 v[4:5], s[4:5], 0, v[2:3]
	s_waitcnt vmcnt(0) lgkmcnt(0)
	global_store_dword v2, v6, s[4:5]
	s_mov_b64 s[4:5], -1
	s_cbranch_execz .LBB2422_3
	s_branch .LBB2422_12
.LBB2422_2:
	s_mov_b64 s[4:5], 0
                                        ; implicit-def: $vgpr1
                                        ; implicit-def: $vgpr4_vgpr5
.LBB2422_3:
	s_sub_i32 s2, s8, s0
	v_mov_b32_e32 v2, 0
	v_cmp_gt_u32_e32 vcc, s2, v0
	v_mov_b32_e32 v3, v2
	s_and_saveexec_b64 s[0:1], vcc
	s_cbranch_execz .LBB2422_5
; %bb.4:
	v_lshlrev_b32_e32 v4, 2, v0
	v_mov_b32_e32 v5, v2
	v_lshl_add_u64 v[4:5], s[10:11], 0, v[4:5]
	flat_load_dword v4, v[4:5]
	v_mov_b32_e32 v5, v2
	s_waitcnt vmcnt(0) lgkmcnt(0)
	v_mov_b64_e32 v[2:3], v[4:5]
.LBB2422_5:
	s_or_b64 exec, exec, s[0:1]
	v_or_b32_e32 v1, 0x80, v0
	v_cmp_gt_u32_e64 s[0:1], s2, v1
	v_cmp_le_u32_e64 s[2:3], s2, v1
	s_and_saveexec_b64 s[14:15], s[2:3]
	s_xor_b64 s[2:3], exec, s[14:15]
	s_andn2_saveexec_b64 s[2:3], s[2:3]
	s_cbranch_execz .LBB2422_7
; %bb.6:
	v_lshlrev_b32_e32 v4, 2, v0
	v_mov_b32_e32 v5, 0
	v_lshl_add_u64 v[4:5], s[10:11], 0, v[4:5]
	flat_load_dword v3, v[4:5] offset:512
.LBB2422_7:
	s_or_b64 exec, exec, s[2:3]
	s_add_u32 s2, s9, s6
	v_mov_b32_e32 v5, 0
	s_addc_u32 s3, s12, s7
	v_lshlrev_b32_e32 v4, 2, v0
	v_cndmask_b32_e32 v1, 0, v2, vcc
	v_lshl_add_u64 v[4:5], s[2:3], 0, v[4:5]
	s_and_saveexec_b64 s[2:3], vcc
	s_cbranch_execz .LBB2422_9
; %bb.8:
	global_store_dword v[4:5], v1, off
.LBB2422_9:
	s_or_b64 exec, exec, s[2:3]
                                        ; implicit-def: $vgpr1
	s_and_saveexec_b64 s[2:3], s[0:1]
	s_cbranch_execz .LBB2422_11
; %bb.10:
	s_waitcnt vmcnt(0) lgkmcnt(0)
	v_cndmask_b32_e64 v1, 0, v3, s[0:1]
	s_or_b64 s[4:5], s[4:5], exec
.LBB2422_11:
	s_or_b64 exec, exec, s[2:3]
.LBB2422_12:
	s_and_saveexec_b64 s[0:1], s[4:5]
	s_cbranch_execnz .LBB2422_14
; %bb.13:
	s_endpgm
.LBB2422_14:
	global_store_dword v[4:5], v1, off offset:512
	s_endpgm
	.section	.rodata,"a",@progbits
	.p2align	6, 0x0
	.amdhsa_kernel _ZN7rocprim17ROCPRIM_400000_NS6detail17trampoline_kernelINS0_14default_configENS1_25transform_config_selectorIiLb0EEEZNS1_14transform_implILb0ES3_S5_N6thrust23THRUST_200600_302600_NS10device_ptrIiEEPiNS0_8identityIiEEEE10hipError_tT2_T3_mT4_P12ihipStream_tbEUlT_E_NS1_11comp_targetILNS1_3genE0ELNS1_11target_archE4294967295ELNS1_3gpuE0ELNS1_3repE0EEENS1_30default_config_static_selectorELNS0_4arch9wavefront6targetE1EEEvT1_
		.amdhsa_group_segment_fixed_size 0
		.amdhsa_private_segment_fixed_size 0
		.amdhsa_kernarg_size 296
		.amdhsa_user_sgpr_count 2
		.amdhsa_user_sgpr_dispatch_ptr 0
		.amdhsa_user_sgpr_queue_ptr 0
		.amdhsa_user_sgpr_kernarg_segment_ptr 1
		.amdhsa_user_sgpr_dispatch_id 0
		.amdhsa_user_sgpr_kernarg_preload_length 0
		.amdhsa_user_sgpr_kernarg_preload_offset 0
		.amdhsa_user_sgpr_private_segment_size 0
		.amdhsa_uses_dynamic_stack 0
		.amdhsa_enable_private_segment 0
		.amdhsa_system_sgpr_workgroup_id_x 1
		.amdhsa_system_sgpr_workgroup_id_y 0
		.amdhsa_system_sgpr_workgroup_id_z 0
		.amdhsa_system_sgpr_workgroup_info 0
		.amdhsa_system_vgpr_workitem_id 0
		.amdhsa_next_free_vgpr 7
		.amdhsa_next_free_sgpr 16
		.amdhsa_accum_offset 8
		.amdhsa_reserve_vcc 1
		.amdhsa_float_round_mode_32 0
		.amdhsa_float_round_mode_16_64 0
		.amdhsa_float_denorm_mode_32 3
		.amdhsa_float_denorm_mode_16_64 3
		.amdhsa_dx10_clamp 1
		.amdhsa_ieee_mode 1
		.amdhsa_fp16_overflow 0
		.amdhsa_tg_split 0
		.amdhsa_exception_fp_ieee_invalid_op 0
		.amdhsa_exception_fp_denorm_src 0
		.amdhsa_exception_fp_ieee_div_zero 0
		.amdhsa_exception_fp_ieee_overflow 0
		.amdhsa_exception_fp_ieee_underflow 0
		.amdhsa_exception_fp_ieee_inexact 0
		.amdhsa_exception_int_div_zero 0
	.end_amdhsa_kernel
	.section	.text._ZN7rocprim17ROCPRIM_400000_NS6detail17trampoline_kernelINS0_14default_configENS1_25transform_config_selectorIiLb0EEEZNS1_14transform_implILb0ES3_S5_N6thrust23THRUST_200600_302600_NS10device_ptrIiEEPiNS0_8identityIiEEEE10hipError_tT2_T3_mT4_P12ihipStream_tbEUlT_E_NS1_11comp_targetILNS1_3genE0ELNS1_11target_archE4294967295ELNS1_3gpuE0ELNS1_3repE0EEENS1_30default_config_static_selectorELNS0_4arch9wavefront6targetE1EEEvT1_,"axG",@progbits,_ZN7rocprim17ROCPRIM_400000_NS6detail17trampoline_kernelINS0_14default_configENS1_25transform_config_selectorIiLb0EEEZNS1_14transform_implILb0ES3_S5_N6thrust23THRUST_200600_302600_NS10device_ptrIiEEPiNS0_8identityIiEEEE10hipError_tT2_T3_mT4_P12ihipStream_tbEUlT_E_NS1_11comp_targetILNS1_3genE0ELNS1_11target_archE4294967295ELNS1_3gpuE0ELNS1_3repE0EEENS1_30default_config_static_selectorELNS0_4arch9wavefront6targetE1EEEvT1_,comdat
.Lfunc_end2422:
	.size	_ZN7rocprim17ROCPRIM_400000_NS6detail17trampoline_kernelINS0_14default_configENS1_25transform_config_selectorIiLb0EEEZNS1_14transform_implILb0ES3_S5_N6thrust23THRUST_200600_302600_NS10device_ptrIiEEPiNS0_8identityIiEEEE10hipError_tT2_T3_mT4_P12ihipStream_tbEUlT_E_NS1_11comp_targetILNS1_3genE0ELNS1_11target_archE4294967295ELNS1_3gpuE0ELNS1_3repE0EEENS1_30default_config_static_selectorELNS0_4arch9wavefront6targetE1EEEvT1_, .Lfunc_end2422-_ZN7rocprim17ROCPRIM_400000_NS6detail17trampoline_kernelINS0_14default_configENS1_25transform_config_selectorIiLb0EEEZNS1_14transform_implILb0ES3_S5_N6thrust23THRUST_200600_302600_NS10device_ptrIiEEPiNS0_8identityIiEEEE10hipError_tT2_T3_mT4_P12ihipStream_tbEUlT_E_NS1_11comp_targetILNS1_3genE0ELNS1_11target_archE4294967295ELNS1_3gpuE0ELNS1_3repE0EEENS1_30default_config_static_selectorELNS0_4arch9wavefront6targetE1EEEvT1_
                                        ; -- End function
	.set _ZN7rocprim17ROCPRIM_400000_NS6detail17trampoline_kernelINS0_14default_configENS1_25transform_config_selectorIiLb0EEEZNS1_14transform_implILb0ES3_S5_N6thrust23THRUST_200600_302600_NS10device_ptrIiEEPiNS0_8identityIiEEEE10hipError_tT2_T3_mT4_P12ihipStream_tbEUlT_E_NS1_11comp_targetILNS1_3genE0ELNS1_11target_archE4294967295ELNS1_3gpuE0ELNS1_3repE0EEENS1_30default_config_static_selectorELNS0_4arch9wavefront6targetE1EEEvT1_.num_vgpr, 7
	.set _ZN7rocprim17ROCPRIM_400000_NS6detail17trampoline_kernelINS0_14default_configENS1_25transform_config_selectorIiLb0EEEZNS1_14transform_implILb0ES3_S5_N6thrust23THRUST_200600_302600_NS10device_ptrIiEEPiNS0_8identityIiEEEE10hipError_tT2_T3_mT4_P12ihipStream_tbEUlT_E_NS1_11comp_targetILNS1_3genE0ELNS1_11target_archE4294967295ELNS1_3gpuE0ELNS1_3repE0EEENS1_30default_config_static_selectorELNS0_4arch9wavefront6targetE1EEEvT1_.num_agpr, 0
	.set _ZN7rocprim17ROCPRIM_400000_NS6detail17trampoline_kernelINS0_14default_configENS1_25transform_config_selectorIiLb0EEEZNS1_14transform_implILb0ES3_S5_N6thrust23THRUST_200600_302600_NS10device_ptrIiEEPiNS0_8identityIiEEEE10hipError_tT2_T3_mT4_P12ihipStream_tbEUlT_E_NS1_11comp_targetILNS1_3genE0ELNS1_11target_archE4294967295ELNS1_3gpuE0ELNS1_3repE0EEENS1_30default_config_static_selectorELNS0_4arch9wavefront6targetE1EEEvT1_.numbered_sgpr, 16
	.set _ZN7rocprim17ROCPRIM_400000_NS6detail17trampoline_kernelINS0_14default_configENS1_25transform_config_selectorIiLb0EEEZNS1_14transform_implILb0ES3_S5_N6thrust23THRUST_200600_302600_NS10device_ptrIiEEPiNS0_8identityIiEEEE10hipError_tT2_T3_mT4_P12ihipStream_tbEUlT_E_NS1_11comp_targetILNS1_3genE0ELNS1_11target_archE4294967295ELNS1_3gpuE0ELNS1_3repE0EEENS1_30default_config_static_selectorELNS0_4arch9wavefront6targetE1EEEvT1_.num_named_barrier, 0
	.set _ZN7rocprim17ROCPRIM_400000_NS6detail17trampoline_kernelINS0_14default_configENS1_25transform_config_selectorIiLb0EEEZNS1_14transform_implILb0ES3_S5_N6thrust23THRUST_200600_302600_NS10device_ptrIiEEPiNS0_8identityIiEEEE10hipError_tT2_T3_mT4_P12ihipStream_tbEUlT_E_NS1_11comp_targetILNS1_3genE0ELNS1_11target_archE4294967295ELNS1_3gpuE0ELNS1_3repE0EEENS1_30default_config_static_selectorELNS0_4arch9wavefront6targetE1EEEvT1_.private_seg_size, 0
	.set _ZN7rocprim17ROCPRIM_400000_NS6detail17trampoline_kernelINS0_14default_configENS1_25transform_config_selectorIiLb0EEEZNS1_14transform_implILb0ES3_S5_N6thrust23THRUST_200600_302600_NS10device_ptrIiEEPiNS0_8identityIiEEEE10hipError_tT2_T3_mT4_P12ihipStream_tbEUlT_E_NS1_11comp_targetILNS1_3genE0ELNS1_11target_archE4294967295ELNS1_3gpuE0ELNS1_3repE0EEENS1_30default_config_static_selectorELNS0_4arch9wavefront6targetE1EEEvT1_.uses_vcc, 1
	.set _ZN7rocprim17ROCPRIM_400000_NS6detail17trampoline_kernelINS0_14default_configENS1_25transform_config_selectorIiLb0EEEZNS1_14transform_implILb0ES3_S5_N6thrust23THRUST_200600_302600_NS10device_ptrIiEEPiNS0_8identityIiEEEE10hipError_tT2_T3_mT4_P12ihipStream_tbEUlT_E_NS1_11comp_targetILNS1_3genE0ELNS1_11target_archE4294967295ELNS1_3gpuE0ELNS1_3repE0EEENS1_30default_config_static_selectorELNS0_4arch9wavefront6targetE1EEEvT1_.uses_flat_scratch, 0
	.set _ZN7rocprim17ROCPRIM_400000_NS6detail17trampoline_kernelINS0_14default_configENS1_25transform_config_selectorIiLb0EEEZNS1_14transform_implILb0ES3_S5_N6thrust23THRUST_200600_302600_NS10device_ptrIiEEPiNS0_8identityIiEEEE10hipError_tT2_T3_mT4_P12ihipStream_tbEUlT_E_NS1_11comp_targetILNS1_3genE0ELNS1_11target_archE4294967295ELNS1_3gpuE0ELNS1_3repE0EEENS1_30default_config_static_selectorELNS0_4arch9wavefront6targetE1EEEvT1_.has_dyn_sized_stack, 0
	.set _ZN7rocprim17ROCPRIM_400000_NS6detail17trampoline_kernelINS0_14default_configENS1_25transform_config_selectorIiLb0EEEZNS1_14transform_implILb0ES3_S5_N6thrust23THRUST_200600_302600_NS10device_ptrIiEEPiNS0_8identityIiEEEE10hipError_tT2_T3_mT4_P12ihipStream_tbEUlT_E_NS1_11comp_targetILNS1_3genE0ELNS1_11target_archE4294967295ELNS1_3gpuE0ELNS1_3repE0EEENS1_30default_config_static_selectorELNS0_4arch9wavefront6targetE1EEEvT1_.has_recursion, 0
	.set _ZN7rocprim17ROCPRIM_400000_NS6detail17trampoline_kernelINS0_14default_configENS1_25transform_config_selectorIiLb0EEEZNS1_14transform_implILb0ES3_S5_N6thrust23THRUST_200600_302600_NS10device_ptrIiEEPiNS0_8identityIiEEEE10hipError_tT2_T3_mT4_P12ihipStream_tbEUlT_E_NS1_11comp_targetILNS1_3genE0ELNS1_11target_archE4294967295ELNS1_3gpuE0ELNS1_3repE0EEENS1_30default_config_static_selectorELNS0_4arch9wavefront6targetE1EEEvT1_.has_indirect_call, 0
	.section	.AMDGPU.csdata,"",@progbits
; Kernel info:
; codeLenInByte = 380
; TotalNumSgprs: 22
; NumVgprs: 7
; NumAgprs: 0
; TotalNumVgprs: 7
; ScratchSize: 0
; MemoryBound: 0
; FloatMode: 240
; IeeeMode: 1
; LDSByteSize: 0 bytes/workgroup (compile time only)
; SGPRBlocks: 2
; VGPRBlocks: 0
; NumSGPRsForWavesPerEU: 22
; NumVGPRsForWavesPerEU: 7
; AccumOffset: 8
; Occupancy: 8
; WaveLimiterHint : 1
; COMPUTE_PGM_RSRC2:SCRATCH_EN: 0
; COMPUTE_PGM_RSRC2:USER_SGPR: 2
; COMPUTE_PGM_RSRC2:TRAP_HANDLER: 0
; COMPUTE_PGM_RSRC2:TGID_X_EN: 1
; COMPUTE_PGM_RSRC2:TGID_Y_EN: 0
; COMPUTE_PGM_RSRC2:TGID_Z_EN: 0
; COMPUTE_PGM_RSRC2:TIDIG_COMP_CNT: 0
; COMPUTE_PGM_RSRC3_GFX90A:ACCUM_OFFSET: 1
; COMPUTE_PGM_RSRC3_GFX90A:TG_SPLIT: 0
	.section	.text._ZN7rocprim17ROCPRIM_400000_NS6detail17trampoline_kernelINS0_14default_configENS1_25transform_config_selectorIiLb0EEEZNS1_14transform_implILb0ES3_S5_N6thrust23THRUST_200600_302600_NS10device_ptrIiEEPiNS0_8identityIiEEEE10hipError_tT2_T3_mT4_P12ihipStream_tbEUlT_E_NS1_11comp_targetILNS1_3genE5ELNS1_11target_archE942ELNS1_3gpuE9ELNS1_3repE0EEENS1_30default_config_static_selectorELNS0_4arch9wavefront6targetE1EEEvT1_,"axG",@progbits,_ZN7rocprim17ROCPRIM_400000_NS6detail17trampoline_kernelINS0_14default_configENS1_25transform_config_selectorIiLb0EEEZNS1_14transform_implILb0ES3_S5_N6thrust23THRUST_200600_302600_NS10device_ptrIiEEPiNS0_8identityIiEEEE10hipError_tT2_T3_mT4_P12ihipStream_tbEUlT_E_NS1_11comp_targetILNS1_3genE5ELNS1_11target_archE942ELNS1_3gpuE9ELNS1_3repE0EEENS1_30default_config_static_selectorELNS0_4arch9wavefront6targetE1EEEvT1_,comdat
	.protected	_ZN7rocprim17ROCPRIM_400000_NS6detail17trampoline_kernelINS0_14default_configENS1_25transform_config_selectorIiLb0EEEZNS1_14transform_implILb0ES3_S5_N6thrust23THRUST_200600_302600_NS10device_ptrIiEEPiNS0_8identityIiEEEE10hipError_tT2_T3_mT4_P12ihipStream_tbEUlT_E_NS1_11comp_targetILNS1_3genE5ELNS1_11target_archE942ELNS1_3gpuE9ELNS1_3repE0EEENS1_30default_config_static_selectorELNS0_4arch9wavefront6targetE1EEEvT1_ ; -- Begin function _ZN7rocprim17ROCPRIM_400000_NS6detail17trampoline_kernelINS0_14default_configENS1_25transform_config_selectorIiLb0EEEZNS1_14transform_implILb0ES3_S5_N6thrust23THRUST_200600_302600_NS10device_ptrIiEEPiNS0_8identityIiEEEE10hipError_tT2_T3_mT4_P12ihipStream_tbEUlT_E_NS1_11comp_targetILNS1_3genE5ELNS1_11target_archE942ELNS1_3gpuE9ELNS1_3repE0EEENS1_30default_config_static_selectorELNS0_4arch9wavefront6targetE1EEEvT1_
	.globl	_ZN7rocprim17ROCPRIM_400000_NS6detail17trampoline_kernelINS0_14default_configENS1_25transform_config_selectorIiLb0EEEZNS1_14transform_implILb0ES3_S5_N6thrust23THRUST_200600_302600_NS10device_ptrIiEEPiNS0_8identityIiEEEE10hipError_tT2_T3_mT4_P12ihipStream_tbEUlT_E_NS1_11comp_targetILNS1_3genE5ELNS1_11target_archE942ELNS1_3gpuE9ELNS1_3repE0EEENS1_30default_config_static_selectorELNS0_4arch9wavefront6targetE1EEEvT1_
	.p2align	8
	.type	_ZN7rocprim17ROCPRIM_400000_NS6detail17trampoline_kernelINS0_14default_configENS1_25transform_config_selectorIiLb0EEEZNS1_14transform_implILb0ES3_S5_N6thrust23THRUST_200600_302600_NS10device_ptrIiEEPiNS0_8identityIiEEEE10hipError_tT2_T3_mT4_P12ihipStream_tbEUlT_E_NS1_11comp_targetILNS1_3genE5ELNS1_11target_archE942ELNS1_3gpuE9ELNS1_3repE0EEENS1_30default_config_static_selectorELNS0_4arch9wavefront6targetE1EEEvT1_,@function
_ZN7rocprim17ROCPRIM_400000_NS6detail17trampoline_kernelINS0_14default_configENS1_25transform_config_selectorIiLb0EEEZNS1_14transform_implILb0ES3_S5_N6thrust23THRUST_200600_302600_NS10device_ptrIiEEPiNS0_8identityIiEEEE10hipError_tT2_T3_mT4_P12ihipStream_tbEUlT_E_NS1_11comp_targetILNS1_3genE5ELNS1_11target_archE942ELNS1_3gpuE9ELNS1_3repE0EEENS1_30default_config_static_selectorELNS0_4arch9wavefront6targetE1EEEvT1_: ; @_ZN7rocprim17ROCPRIM_400000_NS6detail17trampoline_kernelINS0_14default_configENS1_25transform_config_selectorIiLb0EEEZNS1_14transform_implILb0ES3_S5_N6thrust23THRUST_200600_302600_NS10device_ptrIiEEPiNS0_8identityIiEEEE10hipError_tT2_T3_mT4_P12ihipStream_tbEUlT_E_NS1_11comp_targetILNS1_3genE5ELNS1_11target_archE942ELNS1_3gpuE9ELNS1_3repE0EEENS1_30default_config_static_selectorELNS0_4arch9wavefront6targetE1EEEvT1_
; %bb.0:
	.section	.rodata,"a",@progbits
	.p2align	6, 0x0
	.amdhsa_kernel _ZN7rocprim17ROCPRIM_400000_NS6detail17trampoline_kernelINS0_14default_configENS1_25transform_config_selectorIiLb0EEEZNS1_14transform_implILb0ES3_S5_N6thrust23THRUST_200600_302600_NS10device_ptrIiEEPiNS0_8identityIiEEEE10hipError_tT2_T3_mT4_P12ihipStream_tbEUlT_E_NS1_11comp_targetILNS1_3genE5ELNS1_11target_archE942ELNS1_3gpuE9ELNS1_3repE0EEENS1_30default_config_static_selectorELNS0_4arch9wavefront6targetE1EEEvT1_
		.amdhsa_group_segment_fixed_size 0
		.amdhsa_private_segment_fixed_size 0
		.amdhsa_kernarg_size 40
		.amdhsa_user_sgpr_count 2
		.amdhsa_user_sgpr_dispatch_ptr 0
		.amdhsa_user_sgpr_queue_ptr 0
		.amdhsa_user_sgpr_kernarg_segment_ptr 1
		.amdhsa_user_sgpr_dispatch_id 0
		.amdhsa_user_sgpr_kernarg_preload_length 0
		.amdhsa_user_sgpr_kernarg_preload_offset 0
		.amdhsa_user_sgpr_private_segment_size 0
		.amdhsa_uses_dynamic_stack 0
		.amdhsa_enable_private_segment 0
		.amdhsa_system_sgpr_workgroup_id_x 1
		.amdhsa_system_sgpr_workgroup_id_y 0
		.amdhsa_system_sgpr_workgroup_id_z 0
		.amdhsa_system_sgpr_workgroup_info 0
		.amdhsa_system_vgpr_workitem_id 0
		.amdhsa_next_free_vgpr 1
		.amdhsa_next_free_sgpr 0
		.amdhsa_accum_offset 4
		.amdhsa_reserve_vcc 0
		.amdhsa_float_round_mode_32 0
		.amdhsa_float_round_mode_16_64 0
		.amdhsa_float_denorm_mode_32 3
		.amdhsa_float_denorm_mode_16_64 3
		.amdhsa_dx10_clamp 1
		.amdhsa_ieee_mode 1
		.amdhsa_fp16_overflow 0
		.amdhsa_tg_split 0
		.amdhsa_exception_fp_ieee_invalid_op 0
		.amdhsa_exception_fp_denorm_src 0
		.amdhsa_exception_fp_ieee_div_zero 0
		.amdhsa_exception_fp_ieee_overflow 0
		.amdhsa_exception_fp_ieee_underflow 0
		.amdhsa_exception_fp_ieee_inexact 0
		.amdhsa_exception_int_div_zero 0
	.end_amdhsa_kernel
	.section	.text._ZN7rocprim17ROCPRIM_400000_NS6detail17trampoline_kernelINS0_14default_configENS1_25transform_config_selectorIiLb0EEEZNS1_14transform_implILb0ES3_S5_N6thrust23THRUST_200600_302600_NS10device_ptrIiEEPiNS0_8identityIiEEEE10hipError_tT2_T3_mT4_P12ihipStream_tbEUlT_E_NS1_11comp_targetILNS1_3genE5ELNS1_11target_archE942ELNS1_3gpuE9ELNS1_3repE0EEENS1_30default_config_static_selectorELNS0_4arch9wavefront6targetE1EEEvT1_,"axG",@progbits,_ZN7rocprim17ROCPRIM_400000_NS6detail17trampoline_kernelINS0_14default_configENS1_25transform_config_selectorIiLb0EEEZNS1_14transform_implILb0ES3_S5_N6thrust23THRUST_200600_302600_NS10device_ptrIiEEPiNS0_8identityIiEEEE10hipError_tT2_T3_mT4_P12ihipStream_tbEUlT_E_NS1_11comp_targetILNS1_3genE5ELNS1_11target_archE942ELNS1_3gpuE9ELNS1_3repE0EEENS1_30default_config_static_selectorELNS0_4arch9wavefront6targetE1EEEvT1_,comdat
.Lfunc_end2423:
	.size	_ZN7rocprim17ROCPRIM_400000_NS6detail17trampoline_kernelINS0_14default_configENS1_25transform_config_selectorIiLb0EEEZNS1_14transform_implILb0ES3_S5_N6thrust23THRUST_200600_302600_NS10device_ptrIiEEPiNS0_8identityIiEEEE10hipError_tT2_T3_mT4_P12ihipStream_tbEUlT_E_NS1_11comp_targetILNS1_3genE5ELNS1_11target_archE942ELNS1_3gpuE9ELNS1_3repE0EEENS1_30default_config_static_selectorELNS0_4arch9wavefront6targetE1EEEvT1_, .Lfunc_end2423-_ZN7rocprim17ROCPRIM_400000_NS6detail17trampoline_kernelINS0_14default_configENS1_25transform_config_selectorIiLb0EEEZNS1_14transform_implILb0ES3_S5_N6thrust23THRUST_200600_302600_NS10device_ptrIiEEPiNS0_8identityIiEEEE10hipError_tT2_T3_mT4_P12ihipStream_tbEUlT_E_NS1_11comp_targetILNS1_3genE5ELNS1_11target_archE942ELNS1_3gpuE9ELNS1_3repE0EEENS1_30default_config_static_selectorELNS0_4arch9wavefront6targetE1EEEvT1_
                                        ; -- End function
	.set _ZN7rocprim17ROCPRIM_400000_NS6detail17trampoline_kernelINS0_14default_configENS1_25transform_config_selectorIiLb0EEEZNS1_14transform_implILb0ES3_S5_N6thrust23THRUST_200600_302600_NS10device_ptrIiEEPiNS0_8identityIiEEEE10hipError_tT2_T3_mT4_P12ihipStream_tbEUlT_E_NS1_11comp_targetILNS1_3genE5ELNS1_11target_archE942ELNS1_3gpuE9ELNS1_3repE0EEENS1_30default_config_static_selectorELNS0_4arch9wavefront6targetE1EEEvT1_.num_vgpr, 0
	.set _ZN7rocprim17ROCPRIM_400000_NS6detail17trampoline_kernelINS0_14default_configENS1_25transform_config_selectorIiLb0EEEZNS1_14transform_implILb0ES3_S5_N6thrust23THRUST_200600_302600_NS10device_ptrIiEEPiNS0_8identityIiEEEE10hipError_tT2_T3_mT4_P12ihipStream_tbEUlT_E_NS1_11comp_targetILNS1_3genE5ELNS1_11target_archE942ELNS1_3gpuE9ELNS1_3repE0EEENS1_30default_config_static_selectorELNS0_4arch9wavefront6targetE1EEEvT1_.num_agpr, 0
	.set _ZN7rocprim17ROCPRIM_400000_NS6detail17trampoline_kernelINS0_14default_configENS1_25transform_config_selectorIiLb0EEEZNS1_14transform_implILb0ES3_S5_N6thrust23THRUST_200600_302600_NS10device_ptrIiEEPiNS0_8identityIiEEEE10hipError_tT2_T3_mT4_P12ihipStream_tbEUlT_E_NS1_11comp_targetILNS1_3genE5ELNS1_11target_archE942ELNS1_3gpuE9ELNS1_3repE0EEENS1_30default_config_static_selectorELNS0_4arch9wavefront6targetE1EEEvT1_.numbered_sgpr, 0
	.set _ZN7rocprim17ROCPRIM_400000_NS6detail17trampoline_kernelINS0_14default_configENS1_25transform_config_selectorIiLb0EEEZNS1_14transform_implILb0ES3_S5_N6thrust23THRUST_200600_302600_NS10device_ptrIiEEPiNS0_8identityIiEEEE10hipError_tT2_T3_mT4_P12ihipStream_tbEUlT_E_NS1_11comp_targetILNS1_3genE5ELNS1_11target_archE942ELNS1_3gpuE9ELNS1_3repE0EEENS1_30default_config_static_selectorELNS0_4arch9wavefront6targetE1EEEvT1_.num_named_barrier, 0
	.set _ZN7rocprim17ROCPRIM_400000_NS6detail17trampoline_kernelINS0_14default_configENS1_25transform_config_selectorIiLb0EEEZNS1_14transform_implILb0ES3_S5_N6thrust23THRUST_200600_302600_NS10device_ptrIiEEPiNS0_8identityIiEEEE10hipError_tT2_T3_mT4_P12ihipStream_tbEUlT_E_NS1_11comp_targetILNS1_3genE5ELNS1_11target_archE942ELNS1_3gpuE9ELNS1_3repE0EEENS1_30default_config_static_selectorELNS0_4arch9wavefront6targetE1EEEvT1_.private_seg_size, 0
	.set _ZN7rocprim17ROCPRIM_400000_NS6detail17trampoline_kernelINS0_14default_configENS1_25transform_config_selectorIiLb0EEEZNS1_14transform_implILb0ES3_S5_N6thrust23THRUST_200600_302600_NS10device_ptrIiEEPiNS0_8identityIiEEEE10hipError_tT2_T3_mT4_P12ihipStream_tbEUlT_E_NS1_11comp_targetILNS1_3genE5ELNS1_11target_archE942ELNS1_3gpuE9ELNS1_3repE0EEENS1_30default_config_static_selectorELNS0_4arch9wavefront6targetE1EEEvT1_.uses_vcc, 0
	.set _ZN7rocprim17ROCPRIM_400000_NS6detail17trampoline_kernelINS0_14default_configENS1_25transform_config_selectorIiLb0EEEZNS1_14transform_implILb0ES3_S5_N6thrust23THRUST_200600_302600_NS10device_ptrIiEEPiNS0_8identityIiEEEE10hipError_tT2_T3_mT4_P12ihipStream_tbEUlT_E_NS1_11comp_targetILNS1_3genE5ELNS1_11target_archE942ELNS1_3gpuE9ELNS1_3repE0EEENS1_30default_config_static_selectorELNS0_4arch9wavefront6targetE1EEEvT1_.uses_flat_scratch, 0
	.set _ZN7rocprim17ROCPRIM_400000_NS6detail17trampoline_kernelINS0_14default_configENS1_25transform_config_selectorIiLb0EEEZNS1_14transform_implILb0ES3_S5_N6thrust23THRUST_200600_302600_NS10device_ptrIiEEPiNS0_8identityIiEEEE10hipError_tT2_T3_mT4_P12ihipStream_tbEUlT_E_NS1_11comp_targetILNS1_3genE5ELNS1_11target_archE942ELNS1_3gpuE9ELNS1_3repE0EEENS1_30default_config_static_selectorELNS0_4arch9wavefront6targetE1EEEvT1_.has_dyn_sized_stack, 0
	.set _ZN7rocprim17ROCPRIM_400000_NS6detail17trampoline_kernelINS0_14default_configENS1_25transform_config_selectorIiLb0EEEZNS1_14transform_implILb0ES3_S5_N6thrust23THRUST_200600_302600_NS10device_ptrIiEEPiNS0_8identityIiEEEE10hipError_tT2_T3_mT4_P12ihipStream_tbEUlT_E_NS1_11comp_targetILNS1_3genE5ELNS1_11target_archE942ELNS1_3gpuE9ELNS1_3repE0EEENS1_30default_config_static_selectorELNS0_4arch9wavefront6targetE1EEEvT1_.has_recursion, 0
	.set _ZN7rocprim17ROCPRIM_400000_NS6detail17trampoline_kernelINS0_14default_configENS1_25transform_config_selectorIiLb0EEEZNS1_14transform_implILb0ES3_S5_N6thrust23THRUST_200600_302600_NS10device_ptrIiEEPiNS0_8identityIiEEEE10hipError_tT2_T3_mT4_P12ihipStream_tbEUlT_E_NS1_11comp_targetILNS1_3genE5ELNS1_11target_archE942ELNS1_3gpuE9ELNS1_3repE0EEENS1_30default_config_static_selectorELNS0_4arch9wavefront6targetE1EEEvT1_.has_indirect_call, 0
	.section	.AMDGPU.csdata,"",@progbits
; Kernel info:
; codeLenInByte = 0
; TotalNumSgprs: 6
; NumVgprs: 0
; NumAgprs: 0
; TotalNumVgprs: 0
; ScratchSize: 0
; MemoryBound: 0
; FloatMode: 240
; IeeeMode: 1
; LDSByteSize: 0 bytes/workgroup (compile time only)
; SGPRBlocks: 0
; VGPRBlocks: 0
; NumSGPRsForWavesPerEU: 6
; NumVGPRsForWavesPerEU: 1
; AccumOffset: 4
; Occupancy: 8
; WaveLimiterHint : 0
; COMPUTE_PGM_RSRC2:SCRATCH_EN: 0
; COMPUTE_PGM_RSRC2:USER_SGPR: 2
; COMPUTE_PGM_RSRC2:TRAP_HANDLER: 0
; COMPUTE_PGM_RSRC2:TGID_X_EN: 1
; COMPUTE_PGM_RSRC2:TGID_Y_EN: 0
; COMPUTE_PGM_RSRC2:TGID_Z_EN: 0
; COMPUTE_PGM_RSRC2:TIDIG_COMP_CNT: 0
; COMPUTE_PGM_RSRC3_GFX90A:ACCUM_OFFSET: 0
; COMPUTE_PGM_RSRC3_GFX90A:TG_SPLIT: 0
	.section	.text._ZN7rocprim17ROCPRIM_400000_NS6detail17trampoline_kernelINS0_14default_configENS1_25transform_config_selectorIiLb0EEEZNS1_14transform_implILb0ES3_S5_N6thrust23THRUST_200600_302600_NS10device_ptrIiEEPiNS0_8identityIiEEEE10hipError_tT2_T3_mT4_P12ihipStream_tbEUlT_E_NS1_11comp_targetILNS1_3genE4ELNS1_11target_archE910ELNS1_3gpuE8ELNS1_3repE0EEENS1_30default_config_static_selectorELNS0_4arch9wavefront6targetE1EEEvT1_,"axG",@progbits,_ZN7rocprim17ROCPRIM_400000_NS6detail17trampoline_kernelINS0_14default_configENS1_25transform_config_selectorIiLb0EEEZNS1_14transform_implILb0ES3_S5_N6thrust23THRUST_200600_302600_NS10device_ptrIiEEPiNS0_8identityIiEEEE10hipError_tT2_T3_mT4_P12ihipStream_tbEUlT_E_NS1_11comp_targetILNS1_3genE4ELNS1_11target_archE910ELNS1_3gpuE8ELNS1_3repE0EEENS1_30default_config_static_selectorELNS0_4arch9wavefront6targetE1EEEvT1_,comdat
	.protected	_ZN7rocprim17ROCPRIM_400000_NS6detail17trampoline_kernelINS0_14default_configENS1_25transform_config_selectorIiLb0EEEZNS1_14transform_implILb0ES3_S5_N6thrust23THRUST_200600_302600_NS10device_ptrIiEEPiNS0_8identityIiEEEE10hipError_tT2_T3_mT4_P12ihipStream_tbEUlT_E_NS1_11comp_targetILNS1_3genE4ELNS1_11target_archE910ELNS1_3gpuE8ELNS1_3repE0EEENS1_30default_config_static_selectorELNS0_4arch9wavefront6targetE1EEEvT1_ ; -- Begin function _ZN7rocprim17ROCPRIM_400000_NS6detail17trampoline_kernelINS0_14default_configENS1_25transform_config_selectorIiLb0EEEZNS1_14transform_implILb0ES3_S5_N6thrust23THRUST_200600_302600_NS10device_ptrIiEEPiNS0_8identityIiEEEE10hipError_tT2_T3_mT4_P12ihipStream_tbEUlT_E_NS1_11comp_targetILNS1_3genE4ELNS1_11target_archE910ELNS1_3gpuE8ELNS1_3repE0EEENS1_30default_config_static_selectorELNS0_4arch9wavefront6targetE1EEEvT1_
	.globl	_ZN7rocprim17ROCPRIM_400000_NS6detail17trampoline_kernelINS0_14default_configENS1_25transform_config_selectorIiLb0EEEZNS1_14transform_implILb0ES3_S5_N6thrust23THRUST_200600_302600_NS10device_ptrIiEEPiNS0_8identityIiEEEE10hipError_tT2_T3_mT4_P12ihipStream_tbEUlT_E_NS1_11comp_targetILNS1_3genE4ELNS1_11target_archE910ELNS1_3gpuE8ELNS1_3repE0EEENS1_30default_config_static_selectorELNS0_4arch9wavefront6targetE1EEEvT1_
	.p2align	8
	.type	_ZN7rocprim17ROCPRIM_400000_NS6detail17trampoline_kernelINS0_14default_configENS1_25transform_config_selectorIiLb0EEEZNS1_14transform_implILb0ES3_S5_N6thrust23THRUST_200600_302600_NS10device_ptrIiEEPiNS0_8identityIiEEEE10hipError_tT2_T3_mT4_P12ihipStream_tbEUlT_E_NS1_11comp_targetILNS1_3genE4ELNS1_11target_archE910ELNS1_3gpuE8ELNS1_3repE0EEENS1_30default_config_static_selectorELNS0_4arch9wavefront6targetE1EEEvT1_,@function
_ZN7rocprim17ROCPRIM_400000_NS6detail17trampoline_kernelINS0_14default_configENS1_25transform_config_selectorIiLb0EEEZNS1_14transform_implILb0ES3_S5_N6thrust23THRUST_200600_302600_NS10device_ptrIiEEPiNS0_8identityIiEEEE10hipError_tT2_T3_mT4_P12ihipStream_tbEUlT_E_NS1_11comp_targetILNS1_3genE4ELNS1_11target_archE910ELNS1_3gpuE8ELNS1_3repE0EEENS1_30default_config_static_selectorELNS0_4arch9wavefront6targetE1EEEvT1_: ; @_ZN7rocprim17ROCPRIM_400000_NS6detail17trampoline_kernelINS0_14default_configENS1_25transform_config_selectorIiLb0EEEZNS1_14transform_implILb0ES3_S5_N6thrust23THRUST_200600_302600_NS10device_ptrIiEEPiNS0_8identityIiEEEE10hipError_tT2_T3_mT4_P12ihipStream_tbEUlT_E_NS1_11comp_targetILNS1_3genE4ELNS1_11target_archE910ELNS1_3gpuE8ELNS1_3repE0EEENS1_30default_config_static_selectorELNS0_4arch9wavefront6targetE1EEEvT1_
; %bb.0:
	.section	.rodata,"a",@progbits
	.p2align	6, 0x0
	.amdhsa_kernel _ZN7rocprim17ROCPRIM_400000_NS6detail17trampoline_kernelINS0_14default_configENS1_25transform_config_selectorIiLb0EEEZNS1_14transform_implILb0ES3_S5_N6thrust23THRUST_200600_302600_NS10device_ptrIiEEPiNS0_8identityIiEEEE10hipError_tT2_T3_mT4_P12ihipStream_tbEUlT_E_NS1_11comp_targetILNS1_3genE4ELNS1_11target_archE910ELNS1_3gpuE8ELNS1_3repE0EEENS1_30default_config_static_selectorELNS0_4arch9wavefront6targetE1EEEvT1_
		.amdhsa_group_segment_fixed_size 0
		.amdhsa_private_segment_fixed_size 0
		.amdhsa_kernarg_size 40
		.amdhsa_user_sgpr_count 2
		.amdhsa_user_sgpr_dispatch_ptr 0
		.amdhsa_user_sgpr_queue_ptr 0
		.amdhsa_user_sgpr_kernarg_segment_ptr 1
		.amdhsa_user_sgpr_dispatch_id 0
		.amdhsa_user_sgpr_kernarg_preload_length 0
		.amdhsa_user_sgpr_kernarg_preload_offset 0
		.amdhsa_user_sgpr_private_segment_size 0
		.amdhsa_uses_dynamic_stack 0
		.amdhsa_enable_private_segment 0
		.amdhsa_system_sgpr_workgroup_id_x 1
		.amdhsa_system_sgpr_workgroup_id_y 0
		.amdhsa_system_sgpr_workgroup_id_z 0
		.amdhsa_system_sgpr_workgroup_info 0
		.amdhsa_system_vgpr_workitem_id 0
		.amdhsa_next_free_vgpr 1
		.amdhsa_next_free_sgpr 0
		.amdhsa_accum_offset 4
		.amdhsa_reserve_vcc 0
		.amdhsa_float_round_mode_32 0
		.amdhsa_float_round_mode_16_64 0
		.amdhsa_float_denorm_mode_32 3
		.amdhsa_float_denorm_mode_16_64 3
		.amdhsa_dx10_clamp 1
		.amdhsa_ieee_mode 1
		.amdhsa_fp16_overflow 0
		.amdhsa_tg_split 0
		.amdhsa_exception_fp_ieee_invalid_op 0
		.amdhsa_exception_fp_denorm_src 0
		.amdhsa_exception_fp_ieee_div_zero 0
		.amdhsa_exception_fp_ieee_overflow 0
		.amdhsa_exception_fp_ieee_underflow 0
		.amdhsa_exception_fp_ieee_inexact 0
		.amdhsa_exception_int_div_zero 0
	.end_amdhsa_kernel
	.section	.text._ZN7rocprim17ROCPRIM_400000_NS6detail17trampoline_kernelINS0_14default_configENS1_25transform_config_selectorIiLb0EEEZNS1_14transform_implILb0ES3_S5_N6thrust23THRUST_200600_302600_NS10device_ptrIiEEPiNS0_8identityIiEEEE10hipError_tT2_T3_mT4_P12ihipStream_tbEUlT_E_NS1_11comp_targetILNS1_3genE4ELNS1_11target_archE910ELNS1_3gpuE8ELNS1_3repE0EEENS1_30default_config_static_selectorELNS0_4arch9wavefront6targetE1EEEvT1_,"axG",@progbits,_ZN7rocprim17ROCPRIM_400000_NS6detail17trampoline_kernelINS0_14default_configENS1_25transform_config_selectorIiLb0EEEZNS1_14transform_implILb0ES3_S5_N6thrust23THRUST_200600_302600_NS10device_ptrIiEEPiNS0_8identityIiEEEE10hipError_tT2_T3_mT4_P12ihipStream_tbEUlT_E_NS1_11comp_targetILNS1_3genE4ELNS1_11target_archE910ELNS1_3gpuE8ELNS1_3repE0EEENS1_30default_config_static_selectorELNS0_4arch9wavefront6targetE1EEEvT1_,comdat
.Lfunc_end2424:
	.size	_ZN7rocprim17ROCPRIM_400000_NS6detail17trampoline_kernelINS0_14default_configENS1_25transform_config_selectorIiLb0EEEZNS1_14transform_implILb0ES3_S5_N6thrust23THRUST_200600_302600_NS10device_ptrIiEEPiNS0_8identityIiEEEE10hipError_tT2_T3_mT4_P12ihipStream_tbEUlT_E_NS1_11comp_targetILNS1_3genE4ELNS1_11target_archE910ELNS1_3gpuE8ELNS1_3repE0EEENS1_30default_config_static_selectorELNS0_4arch9wavefront6targetE1EEEvT1_, .Lfunc_end2424-_ZN7rocprim17ROCPRIM_400000_NS6detail17trampoline_kernelINS0_14default_configENS1_25transform_config_selectorIiLb0EEEZNS1_14transform_implILb0ES3_S5_N6thrust23THRUST_200600_302600_NS10device_ptrIiEEPiNS0_8identityIiEEEE10hipError_tT2_T3_mT4_P12ihipStream_tbEUlT_E_NS1_11comp_targetILNS1_3genE4ELNS1_11target_archE910ELNS1_3gpuE8ELNS1_3repE0EEENS1_30default_config_static_selectorELNS0_4arch9wavefront6targetE1EEEvT1_
                                        ; -- End function
	.set _ZN7rocprim17ROCPRIM_400000_NS6detail17trampoline_kernelINS0_14default_configENS1_25transform_config_selectorIiLb0EEEZNS1_14transform_implILb0ES3_S5_N6thrust23THRUST_200600_302600_NS10device_ptrIiEEPiNS0_8identityIiEEEE10hipError_tT2_T3_mT4_P12ihipStream_tbEUlT_E_NS1_11comp_targetILNS1_3genE4ELNS1_11target_archE910ELNS1_3gpuE8ELNS1_3repE0EEENS1_30default_config_static_selectorELNS0_4arch9wavefront6targetE1EEEvT1_.num_vgpr, 0
	.set _ZN7rocprim17ROCPRIM_400000_NS6detail17trampoline_kernelINS0_14default_configENS1_25transform_config_selectorIiLb0EEEZNS1_14transform_implILb0ES3_S5_N6thrust23THRUST_200600_302600_NS10device_ptrIiEEPiNS0_8identityIiEEEE10hipError_tT2_T3_mT4_P12ihipStream_tbEUlT_E_NS1_11comp_targetILNS1_3genE4ELNS1_11target_archE910ELNS1_3gpuE8ELNS1_3repE0EEENS1_30default_config_static_selectorELNS0_4arch9wavefront6targetE1EEEvT1_.num_agpr, 0
	.set _ZN7rocprim17ROCPRIM_400000_NS6detail17trampoline_kernelINS0_14default_configENS1_25transform_config_selectorIiLb0EEEZNS1_14transform_implILb0ES3_S5_N6thrust23THRUST_200600_302600_NS10device_ptrIiEEPiNS0_8identityIiEEEE10hipError_tT2_T3_mT4_P12ihipStream_tbEUlT_E_NS1_11comp_targetILNS1_3genE4ELNS1_11target_archE910ELNS1_3gpuE8ELNS1_3repE0EEENS1_30default_config_static_selectorELNS0_4arch9wavefront6targetE1EEEvT1_.numbered_sgpr, 0
	.set _ZN7rocprim17ROCPRIM_400000_NS6detail17trampoline_kernelINS0_14default_configENS1_25transform_config_selectorIiLb0EEEZNS1_14transform_implILb0ES3_S5_N6thrust23THRUST_200600_302600_NS10device_ptrIiEEPiNS0_8identityIiEEEE10hipError_tT2_T3_mT4_P12ihipStream_tbEUlT_E_NS1_11comp_targetILNS1_3genE4ELNS1_11target_archE910ELNS1_3gpuE8ELNS1_3repE0EEENS1_30default_config_static_selectorELNS0_4arch9wavefront6targetE1EEEvT1_.num_named_barrier, 0
	.set _ZN7rocprim17ROCPRIM_400000_NS6detail17trampoline_kernelINS0_14default_configENS1_25transform_config_selectorIiLb0EEEZNS1_14transform_implILb0ES3_S5_N6thrust23THRUST_200600_302600_NS10device_ptrIiEEPiNS0_8identityIiEEEE10hipError_tT2_T3_mT4_P12ihipStream_tbEUlT_E_NS1_11comp_targetILNS1_3genE4ELNS1_11target_archE910ELNS1_3gpuE8ELNS1_3repE0EEENS1_30default_config_static_selectorELNS0_4arch9wavefront6targetE1EEEvT1_.private_seg_size, 0
	.set _ZN7rocprim17ROCPRIM_400000_NS6detail17trampoline_kernelINS0_14default_configENS1_25transform_config_selectorIiLb0EEEZNS1_14transform_implILb0ES3_S5_N6thrust23THRUST_200600_302600_NS10device_ptrIiEEPiNS0_8identityIiEEEE10hipError_tT2_T3_mT4_P12ihipStream_tbEUlT_E_NS1_11comp_targetILNS1_3genE4ELNS1_11target_archE910ELNS1_3gpuE8ELNS1_3repE0EEENS1_30default_config_static_selectorELNS0_4arch9wavefront6targetE1EEEvT1_.uses_vcc, 0
	.set _ZN7rocprim17ROCPRIM_400000_NS6detail17trampoline_kernelINS0_14default_configENS1_25transform_config_selectorIiLb0EEEZNS1_14transform_implILb0ES3_S5_N6thrust23THRUST_200600_302600_NS10device_ptrIiEEPiNS0_8identityIiEEEE10hipError_tT2_T3_mT4_P12ihipStream_tbEUlT_E_NS1_11comp_targetILNS1_3genE4ELNS1_11target_archE910ELNS1_3gpuE8ELNS1_3repE0EEENS1_30default_config_static_selectorELNS0_4arch9wavefront6targetE1EEEvT1_.uses_flat_scratch, 0
	.set _ZN7rocprim17ROCPRIM_400000_NS6detail17trampoline_kernelINS0_14default_configENS1_25transform_config_selectorIiLb0EEEZNS1_14transform_implILb0ES3_S5_N6thrust23THRUST_200600_302600_NS10device_ptrIiEEPiNS0_8identityIiEEEE10hipError_tT2_T3_mT4_P12ihipStream_tbEUlT_E_NS1_11comp_targetILNS1_3genE4ELNS1_11target_archE910ELNS1_3gpuE8ELNS1_3repE0EEENS1_30default_config_static_selectorELNS0_4arch9wavefront6targetE1EEEvT1_.has_dyn_sized_stack, 0
	.set _ZN7rocprim17ROCPRIM_400000_NS6detail17trampoline_kernelINS0_14default_configENS1_25transform_config_selectorIiLb0EEEZNS1_14transform_implILb0ES3_S5_N6thrust23THRUST_200600_302600_NS10device_ptrIiEEPiNS0_8identityIiEEEE10hipError_tT2_T3_mT4_P12ihipStream_tbEUlT_E_NS1_11comp_targetILNS1_3genE4ELNS1_11target_archE910ELNS1_3gpuE8ELNS1_3repE0EEENS1_30default_config_static_selectorELNS0_4arch9wavefront6targetE1EEEvT1_.has_recursion, 0
	.set _ZN7rocprim17ROCPRIM_400000_NS6detail17trampoline_kernelINS0_14default_configENS1_25transform_config_selectorIiLb0EEEZNS1_14transform_implILb0ES3_S5_N6thrust23THRUST_200600_302600_NS10device_ptrIiEEPiNS0_8identityIiEEEE10hipError_tT2_T3_mT4_P12ihipStream_tbEUlT_E_NS1_11comp_targetILNS1_3genE4ELNS1_11target_archE910ELNS1_3gpuE8ELNS1_3repE0EEENS1_30default_config_static_selectorELNS0_4arch9wavefront6targetE1EEEvT1_.has_indirect_call, 0
	.section	.AMDGPU.csdata,"",@progbits
; Kernel info:
; codeLenInByte = 0
; TotalNumSgprs: 6
; NumVgprs: 0
; NumAgprs: 0
; TotalNumVgprs: 0
; ScratchSize: 0
; MemoryBound: 0
; FloatMode: 240
; IeeeMode: 1
; LDSByteSize: 0 bytes/workgroup (compile time only)
; SGPRBlocks: 0
; VGPRBlocks: 0
; NumSGPRsForWavesPerEU: 6
; NumVGPRsForWavesPerEU: 1
; AccumOffset: 4
; Occupancy: 8
; WaveLimiterHint : 0
; COMPUTE_PGM_RSRC2:SCRATCH_EN: 0
; COMPUTE_PGM_RSRC2:USER_SGPR: 2
; COMPUTE_PGM_RSRC2:TRAP_HANDLER: 0
; COMPUTE_PGM_RSRC2:TGID_X_EN: 1
; COMPUTE_PGM_RSRC2:TGID_Y_EN: 0
; COMPUTE_PGM_RSRC2:TGID_Z_EN: 0
; COMPUTE_PGM_RSRC2:TIDIG_COMP_CNT: 0
; COMPUTE_PGM_RSRC3_GFX90A:ACCUM_OFFSET: 0
; COMPUTE_PGM_RSRC3_GFX90A:TG_SPLIT: 0
	.section	.text._ZN7rocprim17ROCPRIM_400000_NS6detail17trampoline_kernelINS0_14default_configENS1_25transform_config_selectorIiLb0EEEZNS1_14transform_implILb0ES3_S5_N6thrust23THRUST_200600_302600_NS10device_ptrIiEEPiNS0_8identityIiEEEE10hipError_tT2_T3_mT4_P12ihipStream_tbEUlT_E_NS1_11comp_targetILNS1_3genE3ELNS1_11target_archE908ELNS1_3gpuE7ELNS1_3repE0EEENS1_30default_config_static_selectorELNS0_4arch9wavefront6targetE1EEEvT1_,"axG",@progbits,_ZN7rocprim17ROCPRIM_400000_NS6detail17trampoline_kernelINS0_14default_configENS1_25transform_config_selectorIiLb0EEEZNS1_14transform_implILb0ES3_S5_N6thrust23THRUST_200600_302600_NS10device_ptrIiEEPiNS0_8identityIiEEEE10hipError_tT2_T3_mT4_P12ihipStream_tbEUlT_E_NS1_11comp_targetILNS1_3genE3ELNS1_11target_archE908ELNS1_3gpuE7ELNS1_3repE0EEENS1_30default_config_static_selectorELNS0_4arch9wavefront6targetE1EEEvT1_,comdat
	.protected	_ZN7rocprim17ROCPRIM_400000_NS6detail17trampoline_kernelINS0_14default_configENS1_25transform_config_selectorIiLb0EEEZNS1_14transform_implILb0ES3_S5_N6thrust23THRUST_200600_302600_NS10device_ptrIiEEPiNS0_8identityIiEEEE10hipError_tT2_T3_mT4_P12ihipStream_tbEUlT_E_NS1_11comp_targetILNS1_3genE3ELNS1_11target_archE908ELNS1_3gpuE7ELNS1_3repE0EEENS1_30default_config_static_selectorELNS0_4arch9wavefront6targetE1EEEvT1_ ; -- Begin function _ZN7rocprim17ROCPRIM_400000_NS6detail17trampoline_kernelINS0_14default_configENS1_25transform_config_selectorIiLb0EEEZNS1_14transform_implILb0ES3_S5_N6thrust23THRUST_200600_302600_NS10device_ptrIiEEPiNS0_8identityIiEEEE10hipError_tT2_T3_mT4_P12ihipStream_tbEUlT_E_NS1_11comp_targetILNS1_3genE3ELNS1_11target_archE908ELNS1_3gpuE7ELNS1_3repE0EEENS1_30default_config_static_selectorELNS0_4arch9wavefront6targetE1EEEvT1_
	.globl	_ZN7rocprim17ROCPRIM_400000_NS6detail17trampoline_kernelINS0_14default_configENS1_25transform_config_selectorIiLb0EEEZNS1_14transform_implILb0ES3_S5_N6thrust23THRUST_200600_302600_NS10device_ptrIiEEPiNS0_8identityIiEEEE10hipError_tT2_T3_mT4_P12ihipStream_tbEUlT_E_NS1_11comp_targetILNS1_3genE3ELNS1_11target_archE908ELNS1_3gpuE7ELNS1_3repE0EEENS1_30default_config_static_selectorELNS0_4arch9wavefront6targetE1EEEvT1_
	.p2align	8
	.type	_ZN7rocprim17ROCPRIM_400000_NS6detail17trampoline_kernelINS0_14default_configENS1_25transform_config_selectorIiLb0EEEZNS1_14transform_implILb0ES3_S5_N6thrust23THRUST_200600_302600_NS10device_ptrIiEEPiNS0_8identityIiEEEE10hipError_tT2_T3_mT4_P12ihipStream_tbEUlT_E_NS1_11comp_targetILNS1_3genE3ELNS1_11target_archE908ELNS1_3gpuE7ELNS1_3repE0EEENS1_30default_config_static_selectorELNS0_4arch9wavefront6targetE1EEEvT1_,@function
_ZN7rocprim17ROCPRIM_400000_NS6detail17trampoline_kernelINS0_14default_configENS1_25transform_config_selectorIiLb0EEEZNS1_14transform_implILb0ES3_S5_N6thrust23THRUST_200600_302600_NS10device_ptrIiEEPiNS0_8identityIiEEEE10hipError_tT2_T3_mT4_P12ihipStream_tbEUlT_E_NS1_11comp_targetILNS1_3genE3ELNS1_11target_archE908ELNS1_3gpuE7ELNS1_3repE0EEENS1_30default_config_static_selectorELNS0_4arch9wavefront6targetE1EEEvT1_: ; @_ZN7rocprim17ROCPRIM_400000_NS6detail17trampoline_kernelINS0_14default_configENS1_25transform_config_selectorIiLb0EEEZNS1_14transform_implILb0ES3_S5_N6thrust23THRUST_200600_302600_NS10device_ptrIiEEPiNS0_8identityIiEEEE10hipError_tT2_T3_mT4_P12ihipStream_tbEUlT_E_NS1_11comp_targetILNS1_3genE3ELNS1_11target_archE908ELNS1_3gpuE7ELNS1_3repE0EEENS1_30default_config_static_selectorELNS0_4arch9wavefront6targetE1EEEvT1_
; %bb.0:
	.section	.rodata,"a",@progbits
	.p2align	6, 0x0
	.amdhsa_kernel _ZN7rocprim17ROCPRIM_400000_NS6detail17trampoline_kernelINS0_14default_configENS1_25transform_config_selectorIiLb0EEEZNS1_14transform_implILb0ES3_S5_N6thrust23THRUST_200600_302600_NS10device_ptrIiEEPiNS0_8identityIiEEEE10hipError_tT2_T3_mT4_P12ihipStream_tbEUlT_E_NS1_11comp_targetILNS1_3genE3ELNS1_11target_archE908ELNS1_3gpuE7ELNS1_3repE0EEENS1_30default_config_static_selectorELNS0_4arch9wavefront6targetE1EEEvT1_
		.amdhsa_group_segment_fixed_size 0
		.amdhsa_private_segment_fixed_size 0
		.amdhsa_kernarg_size 40
		.amdhsa_user_sgpr_count 2
		.amdhsa_user_sgpr_dispatch_ptr 0
		.amdhsa_user_sgpr_queue_ptr 0
		.amdhsa_user_sgpr_kernarg_segment_ptr 1
		.amdhsa_user_sgpr_dispatch_id 0
		.amdhsa_user_sgpr_kernarg_preload_length 0
		.amdhsa_user_sgpr_kernarg_preload_offset 0
		.amdhsa_user_sgpr_private_segment_size 0
		.amdhsa_uses_dynamic_stack 0
		.amdhsa_enable_private_segment 0
		.amdhsa_system_sgpr_workgroup_id_x 1
		.amdhsa_system_sgpr_workgroup_id_y 0
		.amdhsa_system_sgpr_workgroup_id_z 0
		.amdhsa_system_sgpr_workgroup_info 0
		.amdhsa_system_vgpr_workitem_id 0
		.amdhsa_next_free_vgpr 1
		.amdhsa_next_free_sgpr 0
		.amdhsa_accum_offset 4
		.amdhsa_reserve_vcc 0
		.amdhsa_float_round_mode_32 0
		.amdhsa_float_round_mode_16_64 0
		.amdhsa_float_denorm_mode_32 3
		.amdhsa_float_denorm_mode_16_64 3
		.amdhsa_dx10_clamp 1
		.amdhsa_ieee_mode 1
		.amdhsa_fp16_overflow 0
		.amdhsa_tg_split 0
		.amdhsa_exception_fp_ieee_invalid_op 0
		.amdhsa_exception_fp_denorm_src 0
		.amdhsa_exception_fp_ieee_div_zero 0
		.amdhsa_exception_fp_ieee_overflow 0
		.amdhsa_exception_fp_ieee_underflow 0
		.amdhsa_exception_fp_ieee_inexact 0
		.amdhsa_exception_int_div_zero 0
	.end_amdhsa_kernel
	.section	.text._ZN7rocprim17ROCPRIM_400000_NS6detail17trampoline_kernelINS0_14default_configENS1_25transform_config_selectorIiLb0EEEZNS1_14transform_implILb0ES3_S5_N6thrust23THRUST_200600_302600_NS10device_ptrIiEEPiNS0_8identityIiEEEE10hipError_tT2_T3_mT4_P12ihipStream_tbEUlT_E_NS1_11comp_targetILNS1_3genE3ELNS1_11target_archE908ELNS1_3gpuE7ELNS1_3repE0EEENS1_30default_config_static_selectorELNS0_4arch9wavefront6targetE1EEEvT1_,"axG",@progbits,_ZN7rocprim17ROCPRIM_400000_NS6detail17trampoline_kernelINS0_14default_configENS1_25transform_config_selectorIiLb0EEEZNS1_14transform_implILb0ES3_S5_N6thrust23THRUST_200600_302600_NS10device_ptrIiEEPiNS0_8identityIiEEEE10hipError_tT2_T3_mT4_P12ihipStream_tbEUlT_E_NS1_11comp_targetILNS1_3genE3ELNS1_11target_archE908ELNS1_3gpuE7ELNS1_3repE0EEENS1_30default_config_static_selectorELNS0_4arch9wavefront6targetE1EEEvT1_,comdat
.Lfunc_end2425:
	.size	_ZN7rocprim17ROCPRIM_400000_NS6detail17trampoline_kernelINS0_14default_configENS1_25transform_config_selectorIiLb0EEEZNS1_14transform_implILb0ES3_S5_N6thrust23THRUST_200600_302600_NS10device_ptrIiEEPiNS0_8identityIiEEEE10hipError_tT2_T3_mT4_P12ihipStream_tbEUlT_E_NS1_11comp_targetILNS1_3genE3ELNS1_11target_archE908ELNS1_3gpuE7ELNS1_3repE0EEENS1_30default_config_static_selectorELNS0_4arch9wavefront6targetE1EEEvT1_, .Lfunc_end2425-_ZN7rocprim17ROCPRIM_400000_NS6detail17trampoline_kernelINS0_14default_configENS1_25transform_config_selectorIiLb0EEEZNS1_14transform_implILb0ES3_S5_N6thrust23THRUST_200600_302600_NS10device_ptrIiEEPiNS0_8identityIiEEEE10hipError_tT2_T3_mT4_P12ihipStream_tbEUlT_E_NS1_11comp_targetILNS1_3genE3ELNS1_11target_archE908ELNS1_3gpuE7ELNS1_3repE0EEENS1_30default_config_static_selectorELNS0_4arch9wavefront6targetE1EEEvT1_
                                        ; -- End function
	.set _ZN7rocprim17ROCPRIM_400000_NS6detail17trampoline_kernelINS0_14default_configENS1_25transform_config_selectorIiLb0EEEZNS1_14transform_implILb0ES3_S5_N6thrust23THRUST_200600_302600_NS10device_ptrIiEEPiNS0_8identityIiEEEE10hipError_tT2_T3_mT4_P12ihipStream_tbEUlT_E_NS1_11comp_targetILNS1_3genE3ELNS1_11target_archE908ELNS1_3gpuE7ELNS1_3repE0EEENS1_30default_config_static_selectorELNS0_4arch9wavefront6targetE1EEEvT1_.num_vgpr, 0
	.set _ZN7rocprim17ROCPRIM_400000_NS6detail17trampoline_kernelINS0_14default_configENS1_25transform_config_selectorIiLb0EEEZNS1_14transform_implILb0ES3_S5_N6thrust23THRUST_200600_302600_NS10device_ptrIiEEPiNS0_8identityIiEEEE10hipError_tT2_T3_mT4_P12ihipStream_tbEUlT_E_NS1_11comp_targetILNS1_3genE3ELNS1_11target_archE908ELNS1_3gpuE7ELNS1_3repE0EEENS1_30default_config_static_selectorELNS0_4arch9wavefront6targetE1EEEvT1_.num_agpr, 0
	.set _ZN7rocprim17ROCPRIM_400000_NS6detail17trampoline_kernelINS0_14default_configENS1_25transform_config_selectorIiLb0EEEZNS1_14transform_implILb0ES3_S5_N6thrust23THRUST_200600_302600_NS10device_ptrIiEEPiNS0_8identityIiEEEE10hipError_tT2_T3_mT4_P12ihipStream_tbEUlT_E_NS1_11comp_targetILNS1_3genE3ELNS1_11target_archE908ELNS1_3gpuE7ELNS1_3repE0EEENS1_30default_config_static_selectorELNS0_4arch9wavefront6targetE1EEEvT1_.numbered_sgpr, 0
	.set _ZN7rocprim17ROCPRIM_400000_NS6detail17trampoline_kernelINS0_14default_configENS1_25transform_config_selectorIiLb0EEEZNS1_14transform_implILb0ES3_S5_N6thrust23THRUST_200600_302600_NS10device_ptrIiEEPiNS0_8identityIiEEEE10hipError_tT2_T3_mT4_P12ihipStream_tbEUlT_E_NS1_11comp_targetILNS1_3genE3ELNS1_11target_archE908ELNS1_3gpuE7ELNS1_3repE0EEENS1_30default_config_static_selectorELNS0_4arch9wavefront6targetE1EEEvT1_.num_named_barrier, 0
	.set _ZN7rocprim17ROCPRIM_400000_NS6detail17trampoline_kernelINS0_14default_configENS1_25transform_config_selectorIiLb0EEEZNS1_14transform_implILb0ES3_S5_N6thrust23THRUST_200600_302600_NS10device_ptrIiEEPiNS0_8identityIiEEEE10hipError_tT2_T3_mT4_P12ihipStream_tbEUlT_E_NS1_11comp_targetILNS1_3genE3ELNS1_11target_archE908ELNS1_3gpuE7ELNS1_3repE0EEENS1_30default_config_static_selectorELNS0_4arch9wavefront6targetE1EEEvT1_.private_seg_size, 0
	.set _ZN7rocprim17ROCPRIM_400000_NS6detail17trampoline_kernelINS0_14default_configENS1_25transform_config_selectorIiLb0EEEZNS1_14transform_implILb0ES3_S5_N6thrust23THRUST_200600_302600_NS10device_ptrIiEEPiNS0_8identityIiEEEE10hipError_tT2_T3_mT4_P12ihipStream_tbEUlT_E_NS1_11comp_targetILNS1_3genE3ELNS1_11target_archE908ELNS1_3gpuE7ELNS1_3repE0EEENS1_30default_config_static_selectorELNS0_4arch9wavefront6targetE1EEEvT1_.uses_vcc, 0
	.set _ZN7rocprim17ROCPRIM_400000_NS6detail17trampoline_kernelINS0_14default_configENS1_25transform_config_selectorIiLb0EEEZNS1_14transform_implILb0ES3_S5_N6thrust23THRUST_200600_302600_NS10device_ptrIiEEPiNS0_8identityIiEEEE10hipError_tT2_T3_mT4_P12ihipStream_tbEUlT_E_NS1_11comp_targetILNS1_3genE3ELNS1_11target_archE908ELNS1_3gpuE7ELNS1_3repE0EEENS1_30default_config_static_selectorELNS0_4arch9wavefront6targetE1EEEvT1_.uses_flat_scratch, 0
	.set _ZN7rocprim17ROCPRIM_400000_NS6detail17trampoline_kernelINS0_14default_configENS1_25transform_config_selectorIiLb0EEEZNS1_14transform_implILb0ES3_S5_N6thrust23THRUST_200600_302600_NS10device_ptrIiEEPiNS0_8identityIiEEEE10hipError_tT2_T3_mT4_P12ihipStream_tbEUlT_E_NS1_11comp_targetILNS1_3genE3ELNS1_11target_archE908ELNS1_3gpuE7ELNS1_3repE0EEENS1_30default_config_static_selectorELNS0_4arch9wavefront6targetE1EEEvT1_.has_dyn_sized_stack, 0
	.set _ZN7rocprim17ROCPRIM_400000_NS6detail17trampoline_kernelINS0_14default_configENS1_25transform_config_selectorIiLb0EEEZNS1_14transform_implILb0ES3_S5_N6thrust23THRUST_200600_302600_NS10device_ptrIiEEPiNS0_8identityIiEEEE10hipError_tT2_T3_mT4_P12ihipStream_tbEUlT_E_NS1_11comp_targetILNS1_3genE3ELNS1_11target_archE908ELNS1_3gpuE7ELNS1_3repE0EEENS1_30default_config_static_selectorELNS0_4arch9wavefront6targetE1EEEvT1_.has_recursion, 0
	.set _ZN7rocprim17ROCPRIM_400000_NS6detail17trampoline_kernelINS0_14default_configENS1_25transform_config_selectorIiLb0EEEZNS1_14transform_implILb0ES3_S5_N6thrust23THRUST_200600_302600_NS10device_ptrIiEEPiNS0_8identityIiEEEE10hipError_tT2_T3_mT4_P12ihipStream_tbEUlT_E_NS1_11comp_targetILNS1_3genE3ELNS1_11target_archE908ELNS1_3gpuE7ELNS1_3repE0EEENS1_30default_config_static_selectorELNS0_4arch9wavefront6targetE1EEEvT1_.has_indirect_call, 0
	.section	.AMDGPU.csdata,"",@progbits
; Kernel info:
; codeLenInByte = 0
; TotalNumSgprs: 6
; NumVgprs: 0
; NumAgprs: 0
; TotalNumVgprs: 0
; ScratchSize: 0
; MemoryBound: 0
; FloatMode: 240
; IeeeMode: 1
; LDSByteSize: 0 bytes/workgroup (compile time only)
; SGPRBlocks: 0
; VGPRBlocks: 0
; NumSGPRsForWavesPerEU: 6
; NumVGPRsForWavesPerEU: 1
; AccumOffset: 4
; Occupancy: 8
; WaveLimiterHint : 0
; COMPUTE_PGM_RSRC2:SCRATCH_EN: 0
; COMPUTE_PGM_RSRC2:USER_SGPR: 2
; COMPUTE_PGM_RSRC2:TRAP_HANDLER: 0
; COMPUTE_PGM_RSRC2:TGID_X_EN: 1
; COMPUTE_PGM_RSRC2:TGID_Y_EN: 0
; COMPUTE_PGM_RSRC2:TGID_Z_EN: 0
; COMPUTE_PGM_RSRC2:TIDIG_COMP_CNT: 0
; COMPUTE_PGM_RSRC3_GFX90A:ACCUM_OFFSET: 0
; COMPUTE_PGM_RSRC3_GFX90A:TG_SPLIT: 0
	.section	.text._ZN7rocprim17ROCPRIM_400000_NS6detail17trampoline_kernelINS0_14default_configENS1_25transform_config_selectorIiLb0EEEZNS1_14transform_implILb0ES3_S5_N6thrust23THRUST_200600_302600_NS10device_ptrIiEEPiNS0_8identityIiEEEE10hipError_tT2_T3_mT4_P12ihipStream_tbEUlT_E_NS1_11comp_targetILNS1_3genE2ELNS1_11target_archE906ELNS1_3gpuE6ELNS1_3repE0EEENS1_30default_config_static_selectorELNS0_4arch9wavefront6targetE1EEEvT1_,"axG",@progbits,_ZN7rocprim17ROCPRIM_400000_NS6detail17trampoline_kernelINS0_14default_configENS1_25transform_config_selectorIiLb0EEEZNS1_14transform_implILb0ES3_S5_N6thrust23THRUST_200600_302600_NS10device_ptrIiEEPiNS0_8identityIiEEEE10hipError_tT2_T3_mT4_P12ihipStream_tbEUlT_E_NS1_11comp_targetILNS1_3genE2ELNS1_11target_archE906ELNS1_3gpuE6ELNS1_3repE0EEENS1_30default_config_static_selectorELNS0_4arch9wavefront6targetE1EEEvT1_,comdat
	.protected	_ZN7rocprim17ROCPRIM_400000_NS6detail17trampoline_kernelINS0_14default_configENS1_25transform_config_selectorIiLb0EEEZNS1_14transform_implILb0ES3_S5_N6thrust23THRUST_200600_302600_NS10device_ptrIiEEPiNS0_8identityIiEEEE10hipError_tT2_T3_mT4_P12ihipStream_tbEUlT_E_NS1_11comp_targetILNS1_3genE2ELNS1_11target_archE906ELNS1_3gpuE6ELNS1_3repE0EEENS1_30default_config_static_selectorELNS0_4arch9wavefront6targetE1EEEvT1_ ; -- Begin function _ZN7rocprim17ROCPRIM_400000_NS6detail17trampoline_kernelINS0_14default_configENS1_25transform_config_selectorIiLb0EEEZNS1_14transform_implILb0ES3_S5_N6thrust23THRUST_200600_302600_NS10device_ptrIiEEPiNS0_8identityIiEEEE10hipError_tT2_T3_mT4_P12ihipStream_tbEUlT_E_NS1_11comp_targetILNS1_3genE2ELNS1_11target_archE906ELNS1_3gpuE6ELNS1_3repE0EEENS1_30default_config_static_selectorELNS0_4arch9wavefront6targetE1EEEvT1_
	.globl	_ZN7rocprim17ROCPRIM_400000_NS6detail17trampoline_kernelINS0_14default_configENS1_25transform_config_selectorIiLb0EEEZNS1_14transform_implILb0ES3_S5_N6thrust23THRUST_200600_302600_NS10device_ptrIiEEPiNS0_8identityIiEEEE10hipError_tT2_T3_mT4_P12ihipStream_tbEUlT_E_NS1_11comp_targetILNS1_3genE2ELNS1_11target_archE906ELNS1_3gpuE6ELNS1_3repE0EEENS1_30default_config_static_selectorELNS0_4arch9wavefront6targetE1EEEvT1_
	.p2align	8
	.type	_ZN7rocprim17ROCPRIM_400000_NS6detail17trampoline_kernelINS0_14default_configENS1_25transform_config_selectorIiLb0EEEZNS1_14transform_implILb0ES3_S5_N6thrust23THRUST_200600_302600_NS10device_ptrIiEEPiNS0_8identityIiEEEE10hipError_tT2_T3_mT4_P12ihipStream_tbEUlT_E_NS1_11comp_targetILNS1_3genE2ELNS1_11target_archE906ELNS1_3gpuE6ELNS1_3repE0EEENS1_30default_config_static_selectorELNS0_4arch9wavefront6targetE1EEEvT1_,@function
_ZN7rocprim17ROCPRIM_400000_NS6detail17trampoline_kernelINS0_14default_configENS1_25transform_config_selectorIiLb0EEEZNS1_14transform_implILb0ES3_S5_N6thrust23THRUST_200600_302600_NS10device_ptrIiEEPiNS0_8identityIiEEEE10hipError_tT2_T3_mT4_P12ihipStream_tbEUlT_E_NS1_11comp_targetILNS1_3genE2ELNS1_11target_archE906ELNS1_3gpuE6ELNS1_3repE0EEENS1_30default_config_static_selectorELNS0_4arch9wavefront6targetE1EEEvT1_: ; @_ZN7rocprim17ROCPRIM_400000_NS6detail17trampoline_kernelINS0_14default_configENS1_25transform_config_selectorIiLb0EEEZNS1_14transform_implILb0ES3_S5_N6thrust23THRUST_200600_302600_NS10device_ptrIiEEPiNS0_8identityIiEEEE10hipError_tT2_T3_mT4_P12ihipStream_tbEUlT_E_NS1_11comp_targetILNS1_3genE2ELNS1_11target_archE906ELNS1_3gpuE6ELNS1_3repE0EEENS1_30default_config_static_selectorELNS0_4arch9wavefront6targetE1EEEvT1_
; %bb.0:
	.section	.rodata,"a",@progbits
	.p2align	6, 0x0
	.amdhsa_kernel _ZN7rocprim17ROCPRIM_400000_NS6detail17trampoline_kernelINS0_14default_configENS1_25transform_config_selectorIiLb0EEEZNS1_14transform_implILb0ES3_S5_N6thrust23THRUST_200600_302600_NS10device_ptrIiEEPiNS0_8identityIiEEEE10hipError_tT2_T3_mT4_P12ihipStream_tbEUlT_E_NS1_11comp_targetILNS1_3genE2ELNS1_11target_archE906ELNS1_3gpuE6ELNS1_3repE0EEENS1_30default_config_static_selectorELNS0_4arch9wavefront6targetE1EEEvT1_
		.amdhsa_group_segment_fixed_size 0
		.amdhsa_private_segment_fixed_size 0
		.amdhsa_kernarg_size 40
		.amdhsa_user_sgpr_count 2
		.amdhsa_user_sgpr_dispatch_ptr 0
		.amdhsa_user_sgpr_queue_ptr 0
		.amdhsa_user_sgpr_kernarg_segment_ptr 1
		.amdhsa_user_sgpr_dispatch_id 0
		.amdhsa_user_sgpr_kernarg_preload_length 0
		.amdhsa_user_sgpr_kernarg_preload_offset 0
		.amdhsa_user_sgpr_private_segment_size 0
		.amdhsa_uses_dynamic_stack 0
		.amdhsa_enable_private_segment 0
		.amdhsa_system_sgpr_workgroup_id_x 1
		.amdhsa_system_sgpr_workgroup_id_y 0
		.amdhsa_system_sgpr_workgroup_id_z 0
		.amdhsa_system_sgpr_workgroup_info 0
		.amdhsa_system_vgpr_workitem_id 0
		.amdhsa_next_free_vgpr 1
		.amdhsa_next_free_sgpr 0
		.amdhsa_accum_offset 4
		.amdhsa_reserve_vcc 0
		.amdhsa_float_round_mode_32 0
		.amdhsa_float_round_mode_16_64 0
		.amdhsa_float_denorm_mode_32 3
		.amdhsa_float_denorm_mode_16_64 3
		.amdhsa_dx10_clamp 1
		.amdhsa_ieee_mode 1
		.amdhsa_fp16_overflow 0
		.amdhsa_tg_split 0
		.amdhsa_exception_fp_ieee_invalid_op 0
		.amdhsa_exception_fp_denorm_src 0
		.amdhsa_exception_fp_ieee_div_zero 0
		.amdhsa_exception_fp_ieee_overflow 0
		.amdhsa_exception_fp_ieee_underflow 0
		.amdhsa_exception_fp_ieee_inexact 0
		.amdhsa_exception_int_div_zero 0
	.end_amdhsa_kernel
	.section	.text._ZN7rocprim17ROCPRIM_400000_NS6detail17trampoline_kernelINS0_14default_configENS1_25transform_config_selectorIiLb0EEEZNS1_14transform_implILb0ES3_S5_N6thrust23THRUST_200600_302600_NS10device_ptrIiEEPiNS0_8identityIiEEEE10hipError_tT2_T3_mT4_P12ihipStream_tbEUlT_E_NS1_11comp_targetILNS1_3genE2ELNS1_11target_archE906ELNS1_3gpuE6ELNS1_3repE0EEENS1_30default_config_static_selectorELNS0_4arch9wavefront6targetE1EEEvT1_,"axG",@progbits,_ZN7rocprim17ROCPRIM_400000_NS6detail17trampoline_kernelINS0_14default_configENS1_25transform_config_selectorIiLb0EEEZNS1_14transform_implILb0ES3_S5_N6thrust23THRUST_200600_302600_NS10device_ptrIiEEPiNS0_8identityIiEEEE10hipError_tT2_T3_mT4_P12ihipStream_tbEUlT_E_NS1_11comp_targetILNS1_3genE2ELNS1_11target_archE906ELNS1_3gpuE6ELNS1_3repE0EEENS1_30default_config_static_selectorELNS0_4arch9wavefront6targetE1EEEvT1_,comdat
.Lfunc_end2426:
	.size	_ZN7rocprim17ROCPRIM_400000_NS6detail17trampoline_kernelINS0_14default_configENS1_25transform_config_selectorIiLb0EEEZNS1_14transform_implILb0ES3_S5_N6thrust23THRUST_200600_302600_NS10device_ptrIiEEPiNS0_8identityIiEEEE10hipError_tT2_T3_mT4_P12ihipStream_tbEUlT_E_NS1_11comp_targetILNS1_3genE2ELNS1_11target_archE906ELNS1_3gpuE6ELNS1_3repE0EEENS1_30default_config_static_selectorELNS0_4arch9wavefront6targetE1EEEvT1_, .Lfunc_end2426-_ZN7rocprim17ROCPRIM_400000_NS6detail17trampoline_kernelINS0_14default_configENS1_25transform_config_selectorIiLb0EEEZNS1_14transform_implILb0ES3_S5_N6thrust23THRUST_200600_302600_NS10device_ptrIiEEPiNS0_8identityIiEEEE10hipError_tT2_T3_mT4_P12ihipStream_tbEUlT_E_NS1_11comp_targetILNS1_3genE2ELNS1_11target_archE906ELNS1_3gpuE6ELNS1_3repE0EEENS1_30default_config_static_selectorELNS0_4arch9wavefront6targetE1EEEvT1_
                                        ; -- End function
	.set _ZN7rocprim17ROCPRIM_400000_NS6detail17trampoline_kernelINS0_14default_configENS1_25transform_config_selectorIiLb0EEEZNS1_14transform_implILb0ES3_S5_N6thrust23THRUST_200600_302600_NS10device_ptrIiEEPiNS0_8identityIiEEEE10hipError_tT2_T3_mT4_P12ihipStream_tbEUlT_E_NS1_11comp_targetILNS1_3genE2ELNS1_11target_archE906ELNS1_3gpuE6ELNS1_3repE0EEENS1_30default_config_static_selectorELNS0_4arch9wavefront6targetE1EEEvT1_.num_vgpr, 0
	.set _ZN7rocprim17ROCPRIM_400000_NS6detail17trampoline_kernelINS0_14default_configENS1_25transform_config_selectorIiLb0EEEZNS1_14transform_implILb0ES3_S5_N6thrust23THRUST_200600_302600_NS10device_ptrIiEEPiNS0_8identityIiEEEE10hipError_tT2_T3_mT4_P12ihipStream_tbEUlT_E_NS1_11comp_targetILNS1_3genE2ELNS1_11target_archE906ELNS1_3gpuE6ELNS1_3repE0EEENS1_30default_config_static_selectorELNS0_4arch9wavefront6targetE1EEEvT1_.num_agpr, 0
	.set _ZN7rocprim17ROCPRIM_400000_NS6detail17trampoline_kernelINS0_14default_configENS1_25transform_config_selectorIiLb0EEEZNS1_14transform_implILb0ES3_S5_N6thrust23THRUST_200600_302600_NS10device_ptrIiEEPiNS0_8identityIiEEEE10hipError_tT2_T3_mT4_P12ihipStream_tbEUlT_E_NS1_11comp_targetILNS1_3genE2ELNS1_11target_archE906ELNS1_3gpuE6ELNS1_3repE0EEENS1_30default_config_static_selectorELNS0_4arch9wavefront6targetE1EEEvT1_.numbered_sgpr, 0
	.set _ZN7rocprim17ROCPRIM_400000_NS6detail17trampoline_kernelINS0_14default_configENS1_25transform_config_selectorIiLb0EEEZNS1_14transform_implILb0ES3_S5_N6thrust23THRUST_200600_302600_NS10device_ptrIiEEPiNS0_8identityIiEEEE10hipError_tT2_T3_mT4_P12ihipStream_tbEUlT_E_NS1_11comp_targetILNS1_3genE2ELNS1_11target_archE906ELNS1_3gpuE6ELNS1_3repE0EEENS1_30default_config_static_selectorELNS0_4arch9wavefront6targetE1EEEvT1_.num_named_barrier, 0
	.set _ZN7rocprim17ROCPRIM_400000_NS6detail17trampoline_kernelINS0_14default_configENS1_25transform_config_selectorIiLb0EEEZNS1_14transform_implILb0ES3_S5_N6thrust23THRUST_200600_302600_NS10device_ptrIiEEPiNS0_8identityIiEEEE10hipError_tT2_T3_mT4_P12ihipStream_tbEUlT_E_NS1_11comp_targetILNS1_3genE2ELNS1_11target_archE906ELNS1_3gpuE6ELNS1_3repE0EEENS1_30default_config_static_selectorELNS0_4arch9wavefront6targetE1EEEvT1_.private_seg_size, 0
	.set _ZN7rocprim17ROCPRIM_400000_NS6detail17trampoline_kernelINS0_14default_configENS1_25transform_config_selectorIiLb0EEEZNS1_14transform_implILb0ES3_S5_N6thrust23THRUST_200600_302600_NS10device_ptrIiEEPiNS0_8identityIiEEEE10hipError_tT2_T3_mT4_P12ihipStream_tbEUlT_E_NS1_11comp_targetILNS1_3genE2ELNS1_11target_archE906ELNS1_3gpuE6ELNS1_3repE0EEENS1_30default_config_static_selectorELNS0_4arch9wavefront6targetE1EEEvT1_.uses_vcc, 0
	.set _ZN7rocprim17ROCPRIM_400000_NS6detail17trampoline_kernelINS0_14default_configENS1_25transform_config_selectorIiLb0EEEZNS1_14transform_implILb0ES3_S5_N6thrust23THRUST_200600_302600_NS10device_ptrIiEEPiNS0_8identityIiEEEE10hipError_tT2_T3_mT4_P12ihipStream_tbEUlT_E_NS1_11comp_targetILNS1_3genE2ELNS1_11target_archE906ELNS1_3gpuE6ELNS1_3repE0EEENS1_30default_config_static_selectorELNS0_4arch9wavefront6targetE1EEEvT1_.uses_flat_scratch, 0
	.set _ZN7rocprim17ROCPRIM_400000_NS6detail17trampoline_kernelINS0_14default_configENS1_25transform_config_selectorIiLb0EEEZNS1_14transform_implILb0ES3_S5_N6thrust23THRUST_200600_302600_NS10device_ptrIiEEPiNS0_8identityIiEEEE10hipError_tT2_T3_mT4_P12ihipStream_tbEUlT_E_NS1_11comp_targetILNS1_3genE2ELNS1_11target_archE906ELNS1_3gpuE6ELNS1_3repE0EEENS1_30default_config_static_selectorELNS0_4arch9wavefront6targetE1EEEvT1_.has_dyn_sized_stack, 0
	.set _ZN7rocprim17ROCPRIM_400000_NS6detail17trampoline_kernelINS0_14default_configENS1_25transform_config_selectorIiLb0EEEZNS1_14transform_implILb0ES3_S5_N6thrust23THRUST_200600_302600_NS10device_ptrIiEEPiNS0_8identityIiEEEE10hipError_tT2_T3_mT4_P12ihipStream_tbEUlT_E_NS1_11comp_targetILNS1_3genE2ELNS1_11target_archE906ELNS1_3gpuE6ELNS1_3repE0EEENS1_30default_config_static_selectorELNS0_4arch9wavefront6targetE1EEEvT1_.has_recursion, 0
	.set _ZN7rocprim17ROCPRIM_400000_NS6detail17trampoline_kernelINS0_14default_configENS1_25transform_config_selectorIiLb0EEEZNS1_14transform_implILb0ES3_S5_N6thrust23THRUST_200600_302600_NS10device_ptrIiEEPiNS0_8identityIiEEEE10hipError_tT2_T3_mT4_P12ihipStream_tbEUlT_E_NS1_11comp_targetILNS1_3genE2ELNS1_11target_archE906ELNS1_3gpuE6ELNS1_3repE0EEENS1_30default_config_static_selectorELNS0_4arch9wavefront6targetE1EEEvT1_.has_indirect_call, 0
	.section	.AMDGPU.csdata,"",@progbits
; Kernel info:
; codeLenInByte = 0
; TotalNumSgprs: 6
; NumVgprs: 0
; NumAgprs: 0
; TotalNumVgprs: 0
; ScratchSize: 0
; MemoryBound: 0
; FloatMode: 240
; IeeeMode: 1
; LDSByteSize: 0 bytes/workgroup (compile time only)
; SGPRBlocks: 0
; VGPRBlocks: 0
; NumSGPRsForWavesPerEU: 6
; NumVGPRsForWavesPerEU: 1
; AccumOffset: 4
; Occupancy: 8
; WaveLimiterHint : 0
; COMPUTE_PGM_RSRC2:SCRATCH_EN: 0
; COMPUTE_PGM_RSRC2:USER_SGPR: 2
; COMPUTE_PGM_RSRC2:TRAP_HANDLER: 0
; COMPUTE_PGM_RSRC2:TGID_X_EN: 1
; COMPUTE_PGM_RSRC2:TGID_Y_EN: 0
; COMPUTE_PGM_RSRC2:TGID_Z_EN: 0
; COMPUTE_PGM_RSRC2:TIDIG_COMP_CNT: 0
; COMPUTE_PGM_RSRC3_GFX90A:ACCUM_OFFSET: 0
; COMPUTE_PGM_RSRC3_GFX90A:TG_SPLIT: 0
	.section	.text._ZN7rocprim17ROCPRIM_400000_NS6detail17trampoline_kernelINS0_14default_configENS1_25transform_config_selectorIiLb0EEEZNS1_14transform_implILb0ES3_S5_N6thrust23THRUST_200600_302600_NS10device_ptrIiEEPiNS0_8identityIiEEEE10hipError_tT2_T3_mT4_P12ihipStream_tbEUlT_E_NS1_11comp_targetILNS1_3genE10ELNS1_11target_archE1201ELNS1_3gpuE5ELNS1_3repE0EEENS1_30default_config_static_selectorELNS0_4arch9wavefront6targetE1EEEvT1_,"axG",@progbits,_ZN7rocprim17ROCPRIM_400000_NS6detail17trampoline_kernelINS0_14default_configENS1_25transform_config_selectorIiLb0EEEZNS1_14transform_implILb0ES3_S5_N6thrust23THRUST_200600_302600_NS10device_ptrIiEEPiNS0_8identityIiEEEE10hipError_tT2_T3_mT4_P12ihipStream_tbEUlT_E_NS1_11comp_targetILNS1_3genE10ELNS1_11target_archE1201ELNS1_3gpuE5ELNS1_3repE0EEENS1_30default_config_static_selectorELNS0_4arch9wavefront6targetE1EEEvT1_,comdat
	.protected	_ZN7rocprim17ROCPRIM_400000_NS6detail17trampoline_kernelINS0_14default_configENS1_25transform_config_selectorIiLb0EEEZNS1_14transform_implILb0ES3_S5_N6thrust23THRUST_200600_302600_NS10device_ptrIiEEPiNS0_8identityIiEEEE10hipError_tT2_T3_mT4_P12ihipStream_tbEUlT_E_NS1_11comp_targetILNS1_3genE10ELNS1_11target_archE1201ELNS1_3gpuE5ELNS1_3repE0EEENS1_30default_config_static_selectorELNS0_4arch9wavefront6targetE1EEEvT1_ ; -- Begin function _ZN7rocprim17ROCPRIM_400000_NS6detail17trampoline_kernelINS0_14default_configENS1_25transform_config_selectorIiLb0EEEZNS1_14transform_implILb0ES3_S5_N6thrust23THRUST_200600_302600_NS10device_ptrIiEEPiNS0_8identityIiEEEE10hipError_tT2_T3_mT4_P12ihipStream_tbEUlT_E_NS1_11comp_targetILNS1_3genE10ELNS1_11target_archE1201ELNS1_3gpuE5ELNS1_3repE0EEENS1_30default_config_static_selectorELNS0_4arch9wavefront6targetE1EEEvT1_
	.globl	_ZN7rocprim17ROCPRIM_400000_NS6detail17trampoline_kernelINS0_14default_configENS1_25transform_config_selectorIiLb0EEEZNS1_14transform_implILb0ES3_S5_N6thrust23THRUST_200600_302600_NS10device_ptrIiEEPiNS0_8identityIiEEEE10hipError_tT2_T3_mT4_P12ihipStream_tbEUlT_E_NS1_11comp_targetILNS1_3genE10ELNS1_11target_archE1201ELNS1_3gpuE5ELNS1_3repE0EEENS1_30default_config_static_selectorELNS0_4arch9wavefront6targetE1EEEvT1_
	.p2align	8
	.type	_ZN7rocprim17ROCPRIM_400000_NS6detail17trampoline_kernelINS0_14default_configENS1_25transform_config_selectorIiLb0EEEZNS1_14transform_implILb0ES3_S5_N6thrust23THRUST_200600_302600_NS10device_ptrIiEEPiNS0_8identityIiEEEE10hipError_tT2_T3_mT4_P12ihipStream_tbEUlT_E_NS1_11comp_targetILNS1_3genE10ELNS1_11target_archE1201ELNS1_3gpuE5ELNS1_3repE0EEENS1_30default_config_static_selectorELNS0_4arch9wavefront6targetE1EEEvT1_,@function
_ZN7rocprim17ROCPRIM_400000_NS6detail17trampoline_kernelINS0_14default_configENS1_25transform_config_selectorIiLb0EEEZNS1_14transform_implILb0ES3_S5_N6thrust23THRUST_200600_302600_NS10device_ptrIiEEPiNS0_8identityIiEEEE10hipError_tT2_T3_mT4_P12ihipStream_tbEUlT_E_NS1_11comp_targetILNS1_3genE10ELNS1_11target_archE1201ELNS1_3gpuE5ELNS1_3repE0EEENS1_30default_config_static_selectorELNS0_4arch9wavefront6targetE1EEEvT1_: ; @_ZN7rocprim17ROCPRIM_400000_NS6detail17trampoline_kernelINS0_14default_configENS1_25transform_config_selectorIiLb0EEEZNS1_14transform_implILb0ES3_S5_N6thrust23THRUST_200600_302600_NS10device_ptrIiEEPiNS0_8identityIiEEEE10hipError_tT2_T3_mT4_P12ihipStream_tbEUlT_E_NS1_11comp_targetILNS1_3genE10ELNS1_11target_archE1201ELNS1_3gpuE5ELNS1_3repE0EEENS1_30default_config_static_selectorELNS0_4arch9wavefront6targetE1EEEvT1_
; %bb.0:
	.section	.rodata,"a",@progbits
	.p2align	6, 0x0
	.amdhsa_kernel _ZN7rocprim17ROCPRIM_400000_NS6detail17trampoline_kernelINS0_14default_configENS1_25transform_config_selectorIiLb0EEEZNS1_14transform_implILb0ES3_S5_N6thrust23THRUST_200600_302600_NS10device_ptrIiEEPiNS0_8identityIiEEEE10hipError_tT2_T3_mT4_P12ihipStream_tbEUlT_E_NS1_11comp_targetILNS1_3genE10ELNS1_11target_archE1201ELNS1_3gpuE5ELNS1_3repE0EEENS1_30default_config_static_selectorELNS0_4arch9wavefront6targetE1EEEvT1_
		.amdhsa_group_segment_fixed_size 0
		.amdhsa_private_segment_fixed_size 0
		.amdhsa_kernarg_size 40
		.amdhsa_user_sgpr_count 2
		.amdhsa_user_sgpr_dispatch_ptr 0
		.amdhsa_user_sgpr_queue_ptr 0
		.amdhsa_user_sgpr_kernarg_segment_ptr 1
		.amdhsa_user_sgpr_dispatch_id 0
		.amdhsa_user_sgpr_kernarg_preload_length 0
		.amdhsa_user_sgpr_kernarg_preload_offset 0
		.amdhsa_user_sgpr_private_segment_size 0
		.amdhsa_uses_dynamic_stack 0
		.amdhsa_enable_private_segment 0
		.amdhsa_system_sgpr_workgroup_id_x 1
		.amdhsa_system_sgpr_workgroup_id_y 0
		.amdhsa_system_sgpr_workgroup_id_z 0
		.amdhsa_system_sgpr_workgroup_info 0
		.amdhsa_system_vgpr_workitem_id 0
		.amdhsa_next_free_vgpr 1
		.amdhsa_next_free_sgpr 0
		.amdhsa_accum_offset 4
		.amdhsa_reserve_vcc 0
		.amdhsa_float_round_mode_32 0
		.amdhsa_float_round_mode_16_64 0
		.amdhsa_float_denorm_mode_32 3
		.amdhsa_float_denorm_mode_16_64 3
		.amdhsa_dx10_clamp 1
		.amdhsa_ieee_mode 1
		.amdhsa_fp16_overflow 0
		.amdhsa_tg_split 0
		.amdhsa_exception_fp_ieee_invalid_op 0
		.amdhsa_exception_fp_denorm_src 0
		.amdhsa_exception_fp_ieee_div_zero 0
		.amdhsa_exception_fp_ieee_overflow 0
		.amdhsa_exception_fp_ieee_underflow 0
		.amdhsa_exception_fp_ieee_inexact 0
		.amdhsa_exception_int_div_zero 0
	.end_amdhsa_kernel
	.section	.text._ZN7rocprim17ROCPRIM_400000_NS6detail17trampoline_kernelINS0_14default_configENS1_25transform_config_selectorIiLb0EEEZNS1_14transform_implILb0ES3_S5_N6thrust23THRUST_200600_302600_NS10device_ptrIiEEPiNS0_8identityIiEEEE10hipError_tT2_T3_mT4_P12ihipStream_tbEUlT_E_NS1_11comp_targetILNS1_3genE10ELNS1_11target_archE1201ELNS1_3gpuE5ELNS1_3repE0EEENS1_30default_config_static_selectorELNS0_4arch9wavefront6targetE1EEEvT1_,"axG",@progbits,_ZN7rocprim17ROCPRIM_400000_NS6detail17trampoline_kernelINS0_14default_configENS1_25transform_config_selectorIiLb0EEEZNS1_14transform_implILb0ES3_S5_N6thrust23THRUST_200600_302600_NS10device_ptrIiEEPiNS0_8identityIiEEEE10hipError_tT2_T3_mT4_P12ihipStream_tbEUlT_E_NS1_11comp_targetILNS1_3genE10ELNS1_11target_archE1201ELNS1_3gpuE5ELNS1_3repE0EEENS1_30default_config_static_selectorELNS0_4arch9wavefront6targetE1EEEvT1_,comdat
.Lfunc_end2427:
	.size	_ZN7rocprim17ROCPRIM_400000_NS6detail17trampoline_kernelINS0_14default_configENS1_25transform_config_selectorIiLb0EEEZNS1_14transform_implILb0ES3_S5_N6thrust23THRUST_200600_302600_NS10device_ptrIiEEPiNS0_8identityIiEEEE10hipError_tT2_T3_mT4_P12ihipStream_tbEUlT_E_NS1_11comp_targetILNS1_3genE10ELNS1_11target_archE1201ELNS1_3gpuE5ELNS1_3repE0EEENS1_30default_config_static_selectorELNS0_4arch9wavefront6targetE1EEEvT1_, .Lfunc_end2427-_ZN7rocprim17ROCPRIM_400000_NS6detail17trampoline_kernelINS0_14default_configENS1_25transform_config_selectorIiLb0EEEZNS1_14transform_implILb0ES3_S5_N6thrust23THRUST_200600_302600_NS10device_ptrIiEEPiNS0_8identityIiEEEE10hipError_tT2_T3_mT4_P12ihipStream_tbEUlT_E_NS1_11comp_targetILNS1_3genE10ELNS1_11target_archE1201ELNS1_3gpuE5ELNS1_3repE0EEENS1_30default_config_static_selectorELNS0_4arch9wavefront6targetE1EEEvT1_
                                        ; -- End function
	.set _ZN7rocprim17ROCPRIM_400000_NS6detail17trampoline_kernelINS0_14default_configENS1_25transform_config_selectorIiLb0EEEZNS1_14transform_implILb0ES3_S5_N6thrust23THRUST_200600_302600_NS10device_ptrIiEEPiNS0_8identityIiEEEE10hipError_tT2_T3_mT4_P12ihipStream_tbEUlT_E_NS1_11comp_targetILNS1_3genE10ELNS1_11target_archE1201ELNS1_3gpuE5ELNS1_3repE0EEENS1_30default_config_static_selectorELNS0_4arch9wavefront6targetE1EEEvT1_.num_vgpr, 0
	.set _ZN7rocprim17ROCPRIM_400000_NS6detail17trampoline_kernelINS0_14default_configENS1_25transform_config_selectorIiLb0EEEZNS1_14transform_implILb0ES3_S5_N6thrust23THRUST_200600_302600_NS10device_ptrIiEEPiNS0_8identityIiEEEE10hipError_tT2_T3_mT4_P12ihipStream_tbEUlT_E_NS1_11comp_targetILNS1_3genE10ELNS1_11target_archE1201ELNS1_3gpuE5ELNS1_3repE0EEENS1_30default_config_static_selectorELNS0_4arch9wavefront6targetE1EEEvT1_.num_agpr, 0
	.set _ZN7rocprim17ROCPRIM_400000_NS6detail17trampoline_kernelINS0_14default_configENS1_25transform_config_selectorIiLb0EEEZNS1_14transform_implILb0ES3_S5_N6thrust23THRUST_200600_302600_NS10device_ptrIiEEPiNS0_8identityIiEEEE10hipError_tT2_T3_mT4_P12ihipStream_tbEUlT_E_NS1_11comp_targetILNS1_3genE10ELNS1_11target_archE1201ELNS1_3gpuE5ELNS1_3repE0EEENS1_30default_config_static_selectorELNS0_4arch9wavefront6targetE1EEEvT1_.numbered_sgpr, 0
	.set _ZN7rocprim17ROCPRIM_400000_NS6detail17trampoline_kernelINS0_14default_configENS1_25transform_config_selectorIiLb0EEEZNS1_14transform_implILb0ES3_S5_N6thrust23THRUST_200600_302600_NS10device_ptrIiEEPiNS0_8identityIiEEEE10hipError_tT2_T3_mT4_P12ihipStream_tbEUlT_E_NS1_11comp_targetILNS1_3genE10ELNS1_11target_archE1201ELNS1_3gpuE5ELNS1_3repE0EEENS1_30default_config_static_selectorELNS0_4arch9wavefront6targetE1EEEvT1_.num_named_barrier, 0
	.set _ZN7rocprim17ROCPRIM_400000_NS6detail17trampoline_kernelINS0_14default_configENS1_25transform_config_selectorIiLb0EEEZNS1_14transform_implILb0ES3_S5_N6thrust23THRUST_200600_302600_NS10device_ptrIiEEPiNS0_8identityIiEEEE10hipError_tT2_T3_mT4_P12ihipStream_tbEUlT_E_NS1_11comp_targetILNS1_3genE10ELNS1_11target_archE1201ELNS1_3gpuE5ELNS1_3repE0EEENS1_30default_config_static_selectorELNS0_4arch9wavefront6targetE1EEEvT1_.private_seg_size, 0
	.set _ZN7rocprim17ROCPRIM_400000_NS6detail17trampoline_kernelINS0_14default_configENS1_25transform_config_selectorIiLb0EEEZNS1_14transform_implILb0ES3_S5_N6thrust23THRUST_200600_302600_NS10device_ptrIiEEPiNS0_8identityIiEEEE10hipError_tT2_T3_mT4_P12ihipStream_tbEUlT_E_NS1_11comp_targetILNS1_3genE10ELNS1_11target_archE1201ELNS1_3gpuE5ELNS1_3repE0EEENS1_30default_config_static_selectorELNS0_4arch9wavefront6targetE1EEEvT1_.uses_vcc, 0
	.set _ZN7rocprim17ROCPRIM_400000_NS6detail17trampoline_kernelINS0_14default_configENS1_25transform_config_selectorIiLb0EEEZNS1_14transform_implILb0ES3_S5_N6thrust23THRUST_200600_302600_NS10device_ptrIiEEPiNS0_8identityIiEEEE10hipError_tT2_T3_mT4_P12ihipStream_tbEUlT_E_NS1_11comp_targetILNS1_3genE10ELNS1_11target_archE1201ELNS1_3gpuE5ELNS1_3repE0EEENS1_30default_config_static_selectorELNS0_4arch9wavefront6targetE1EEEvT1_.uses_flat_scratch, 0
	.set _ZN7rocprim17ROCPRIM_400000_NS6detail17trampoline_kernelINS0_14default_configENS1_25transform_config_selectorIiLb0EEEZNS1_14transform_implILb0ES3_S5_N6thrust23THRUST_200600_302600_NS10device_ptrIiEEPiNS0_8identityIiEEEE10hipError_tT2_T3_mT4_P12ihipStream_tbEUlT_E_NS1_11comp_targetILNS1_3genE10ELNS1_11target_archE1201ELNS1_3gpuE5ELNS1_3repE0EEENS1_30default_config_static_selectorELNS0_4arch9wavefront6targetE1EEEvT1_.has_dyn_sized_stack, 0
	.set _ZN7rocprim17ROCPRIM_400000_NS6detail17trampoline_kernelINS0_14default_configENS1_25transform_config_selectorIiLb0EEEZNS1_14transform_implILb0ES3_S5_N6thrust23THRUST_200600_302600_NS10device_ptrIiEEPiNS0_8identityIiEEEE10hipError_tT2_T3_mT4_P12ihipStream_tbEUlT_E_NS1_11comp_targetILNS1_3genE10ELNS1_11target_archE1201ELNS1_3gpuE5ELNS1_3repE0EEENS1_30default_config_static_selectorELNS0_4arch9wavefront6targetE1EEEvT1_.has_recursion, 0
	.set _ZN7rocprim17ROCPRIM_400000_NS6detail17trampoline_kernelINS0_14default_configENS1_25transform_config_selectorIiLb0EEEZNS1_14transform_implILb0ES3_S5_N6thrust23THRUST_200600_302600_NS10device_ptrIiEEPiNS0_8identityIiEEEE10hipError_tT2_T3_mT4_P12ihipStream_tbEUlT_E_NS1_11comp_targetILNS1_3genE10ELNS1_11target_archE1201ELNS1_3gpuE5ELNS1_3repE0EEENS1_30default_config_static_selectorELNS0_4arch9wavefront6targetE1EEEvT1_.has_indirect_call, 0
	.section	.AMDGPU.csdata,"",@progbits
; Kernel info:
; codeLenInByte = 0
; TotalNumSgprs: 6
; NumVgprs: 0
; NumAgprs: 0
; TotalNumVgprs: 0
; ScratchSize: 0
; MemoryBound: 0
; FloatMode: 240
; IeeeMode: 1
; LDSByteSize: 0 bytes/workgroup (compile time only)
; SGPRBlocks: 0
; VGPRBlocks: 0
; NumSGPRsForWavesPerEU: 6
; NumVGPRsForWavesPerEU: 1
; AccumOffset: 4
; Occupancy: 8
; WaveLimiterHint : 0
; COMPUTE_PGM_RSRC2:SCRATCH_EN: 0
; COMPUTE_PGM_RSRC2:USER_SGPR: 2
; COMPUTE_PGM_RSRC2:TRAP_HANDLER: 0
; COMPUTE_PGM_RSRC2:TGID_X_EN: 1
; COMPUTE_PGM_RSRC2:TGID_Y_EN: 0
; COMPUTE_PGM_RSRC2:TGID_Z_EN: 0
; COMPUTE_PGM_RSRC2:TIDIG_COMP_CNT: 0
; COMPUTE_PGM_RSRC3_GFX90A:ACCUM_OFFSET: 0
; COMPUTE_PGM_RSRC3_GFX90A:TG_SPLIT: 0
	.section	.text._ZN7rocprim17ROCPRIM_400000_NS6detail17trampoline_kernelINS0_14default_configENS1_25transform_config_selectorIiLb0EEEZNS1_14transform_implILb0ES3_S5_N6thrust23THRUST_200600_302600_NS10device_ptrIiEEPiNS0_8identityIiEEEE10hipError_tT2_T3_mT4_P12ihipStream_tbEUlT_E_NS1_11comp_targetILNS1_3genE10ELNS1_11target_archE1200ELNS1_3gpuE4ELNS1_3repE0EEENS1_30default_config_static_selectorELNS0_4arch9wavefront6targetE1EEEvT1_,"axG",@progbits,_ZN7rocprim17ROCPRIM_400000_NS6detail17trampoline_kernelINS0_14default_configENS1_25transform_config_selectorIiLb0EEEZNS1_14transform_implILb0ES3_S5_N6thrust23THRUST_200600_302600_NS10device_ptrIiEEPiNS0_8identityIiEEEE10hipError_tT2_T3_mT4_P12ihipStream_tbEUlT_E_NS1_11comp_targetILNS1_3genE10ELNS1_11target_archE1200ELNS1_3gpuE4ELNS1_3repE0EEENS1_30default_config_static_selectorELNS0_4arch9wavefront6targetE1EEEvT1_,comdat
	.protected	_ZN7rocprim17ROCPRIM_400000_NS6detail17trampoline_kernelINS0_14default_configENS1_25transform_config_selectorIiLb0EEEZNS1_14transform_implILb0ES3_S5_N6thrust23THRUST_200600_302600_NS10device_ptrIiEEPiNS0_8identityIiEEEE10hipError_tT2_T3_mT4_P12ihipStream_tbEUlT_E_NS1_11comp_targetILNS1_3genE10ELNS1_11target_archE1200ELNS1_3gpuE4ELNS1_3repE0EEENS1_30default_config_static_selectorELNS0_4arch9wavefront6targetE1EEEvT1_ ; -- Begin function _ZN7rocprim17ROCPRIM_400000_NS6detail17trampoline_kernelINS0_14default_configENS1_25transform_config_selectorIiLb0EEEZNS1_14transform_implILb0ES3_S5_N6thrust23THRUST_200600_302600_NS10device_ptrIiEEPiNS0_8identityIiEEEE10hipError_tT2_T3_mT4_P12ihipStream_tbEUlT_E_NS1_11comp_targetILNS1_3genE10ELNS1_11target_archE1200ELNS1_3gpuE4ELNS1_3repE0EEENS1_30default_config_static_selectorELNS0_4arch9wavefront6targetE1EEEvT1_
	.globl	_ZN7rocprim17ROCPRIM_400000_NS6detail17trampoline_kernelINS0_14default_configENS1_25transform_config_selectorIiLb0EEEZNS1_14transform_implILb0ES3_S5_N6thrust23THRUST_200600_302600_NS10device_ptrIiEEPiNS0_8identityIiEEEE10hipError_tT2_T3_mT4_P12ihipStream_tbEUlT_E_NS1_11comp_targetILNS1_3genE10ELNS1_11target_archE1200ELNS1_3gpuE4ELNS1_3repE0EEENS1_30default_config_static_selectorELNS0_4arch9wavefront6targetE1EEEvT1_
	.p2align	8
	.type	_ZN7rocprim17ROCPRIM_400000_NS6detail17trampoline_kernelINS0_14default_configENS1_25transform_config_selectorIiLb0EEEZNS1_14transform_implILb0ES3_S5_N6thrust23THRUST_200600_302600_NS10device_ptrIiEEPiNS0_8identityIiEEEE10hipError_tT2_T3_mT4_P12ihipStream_tbEUlT_E_NS1_11comp_targetILNS1_3genE10ELNS1_11target_archE1200ELNS1_3gpuE4ELNS1_3repE0EEENS1_30default_config_static_selectorELNS0_4arch9wavefront6targetE1EEEvT1_,@function
_ZN7rocprim17ROCPRIM_400000_NS6detail17trampoline_kernelINS0_14default_configENS1_25transform_config_selectorIiLb0EEEZNS1_14transform_implILb0ES3_S5_N6thrust23THRUST_200600_302600_NS10device_ptrIiEEPiNS0_8identityIiEEEE10hipError_tT2_T3_mT4_P12ihipStream_tbEUlT_E_NS1_11comp_targetILNS1_3genE10ELNS1_11target_archE1200ELNS1_3gpuE4ELNS1_3repE0EEENS1_30default_config_static_selectorELNS0_4arch9wavefront6targetE1EEEvT1_: ; @_ZN7rocprim17ROCPRIM_400000_NS6detail17trampoline_kernelINS0_14default_configENS1_25transform_config_selectorIiLb0EEEZNS1_14transform_implILb0ES3_S5_N6thrust23THRUST_200600_302600_NS10device_ptrIiEEPiNS0_8identityIiEEEE10hipError_tT2_T3_mT4_P12ihipStream_tbEUlT_E_NS1_11comp_targetILNS1_3genE10ELNS1_11target_archE1200ELNS1_3gpuE4ELNS1_3repE0EEENS1_30default_config_static_selectorELNS0_4arch9wavefront6targetE1EEEvT1_
; %bb.0:
	.section	.rodata,"a",@progbits
	.p2align	6, 0x0
	.amdhsa_kernel _ZN7rocprim17ROCPRIM_400000_NS6detail17trampoline_kernelINS0_14default_configENS1_25transform_config_selectorIiLb0EEEZNS1_14transform_implILb0ES3_S5_N6thrust23THRUST_200600_302600_NS10device_ptrIiEEPiNS0_8identityIiEEEE10hipError_tT2_T3_mT4_P12ihipStream_tbEUlT_E_NS1_11comp_targetILNS1_3genE10ELNS1_11target_archE1200ELNS1_3gpuE4ELNS1_3repE0EEENS1_30default_config_static_selectorELNS0_4arch9wavefront6targetE1EEEvT1_
		.amdhsa_group_segment_fixed_size 0
		.amdhsa_private_segment_fixed_size 0
		.amdhsa_kernarg_size 40
		.amdhsa_user_sgpr_count 2
		.amdhsa_user_sgpr_dispatch_ptr 0
		.amdhsa_user_sgpr_queue_ptr 0
		.amdhsa_user_sgpr_kernarg_segment_ptr 1
		.amdhsa_user_sgpr_dispatch_id 0
		.amdhsa_user_sgpr_kernarg_preload_length 0
		.amdhsa_user_sgpr_kernarg_preload_offset 0
		.amdhsa_user_sgpr_private_segment_size 0
		.amdhsa_uses_dynamic_stack 0
		.amdhsa_enable_private_segment 0
		.amdhsa_system_sgpr_workgroup_id_x 1
		.amdhsa_system_sgpr_workgroup_id_y 0
		.amdhsa_system_sgpr_workgroup_id_z 0
		.amdhsa_system_sgpr_workgroup_info 0
		.amdhsa_system_vgpr_workitem_id 0
		.amdhsa_next_free_vgpr 1
		.amdhsa_next_free_sgpr 0
		.amdhsa_accum_offset 4
		.amdhsa_reserve_vcc 0
		.amdhsa_float_round_mode_32 0
		.amdhsa_float_round_mode_16_64 0
		.amdhsa_float_denorm_mode_32 3
		.amdhsa_float_denorm_mode_16_64 3
		.amdhsa_dx10_clamp 1
		.amdhsa_ieee_mode 1
		.amdhsa_fp16_overflow 0
		.amdhsa_tg_split 0
		.amdhsa_exception_fp_ieee_invalid_op 0
		.amdhsa_exception_fp_denorm_src 0
		.amdhsa_exception_fp_ieee_div_zero 0
		.amdhsa_exception_fp_ieee_overflow 0
		.amdhsa_exception_fp_ieee_underflow 0
		.amdhsa_exception_fp_ieee_inexact 0
		.amdhsa_exception_int_div_zero 0
	.end_amdhsa_kernel
	.section	.text._ZN7rocprim17ROCPRIM_400000_NS6detail17trampoline_kernelINS0_14default_configENS1_25transform_config_selectorIiLb0EEEZNS1_14transform_implILb0ES3_S5_N6thrust23THRUST_200600_302600_NS10device_ptrIiEEPiNS0_8identityIiEEEE10hipError_tT2_T3_mT4_P12ihipStream_tbEUlT_E_NS1_11comp_targetILNS1_3genE10ELNS1_11target_archE1200ELNS1_3gpuE4ELNS1_3repE0EEENS1_30default_config_static_selectorELNS0_4arch9wavefront6targetE1EEEvT1_,"axG",@progbits,_ZN7rocprim17ROCPRIM_400000_NS6detail17trampoline_kernelINS0_14default_configENS1_25transform_config_selectorIiLb0EEEZNS1_14transform_implILb0ES3_S5_N6thrust23THRUST_200600_302600_NS10device_ptrIiEEPiNS0_8identityIiEEEE10hipError_tT2_T3_mT4_P12ihipStream_tbEUlT_E_NS1_11comp_targetILNS1_3genE10ELNS1_11target_archE1200ELNS1_3gpuE4ELNS1_3repE0EEENS1_30default_config_static_selectorELNS0_4arch9wavefront6targetE1EEEvT1_,comdat
.Lfunc_end2428:
	.size	_ZN7rocprim17ROCPRIM_400000_NS6detail17trampoline_kernelINS0_14default_configENS1_25transform_config_selectorIiLb0EEEZNS1_14transform_implILb0ES3_S5_N6thrust23THRUST_200600_302600_NS10device_ptrIiEEPiNS0_8identityIiEEEE10hipError_tT2_T3_mT4_P12ihipStream_tbEUlT_E_NS1_11comp_targetILNS1_3genE10ELNS1_11target_archE1200ELNS1_3gpuE4ELNS1_3repE0EEENS1_30default_config_static_selectorELNS0_4arch9wavefront6targetE1EEEvT1_, .Lfunc_end2428-_ZN7rocprim17ROCPRIM_400000_NS6detail17trampoline_kernelINS0_14default_configENS1_25transform_config_selectorIiLb0EEEZNS1_14transform_implILb0ES3_S5_N6thrust23THRUST_200600_302600_NS10device_ptrIiEEPiNS0_8identityIiEEEE10hipError_tT2_T3_mT4_P12ihipStream_tbEUlT_E_NS1_11comp_targetILNS1_3genE10ELNS1_11target_archE1200ELNS1_3gpuE4ELNS1_3repE0EEENS1_30default_config_static_selectorELNS0_4arch9wavefront6targetE1EEEvT1_
                                        ; -- End function
	.set _ZN7rocprim17ROCPRIM_400000_NS6detail17trampoline_kernelINS0_14default_configENS1_25transform_config_selectorIiLb0EEEZNS1_14transform_implILb0ES3_S5_N6thrust23THRUST_200600_302600_NS10device_ptrIiEEPiNS0_8identityIiEEEE10hipError_tT2_T3_mT4_P12ihipStream_tbEUlT_E_NS1_11comp_targetILNS1_3genE10ELNS1_11target_archE1200ELNS1_3gpuE4ELNS1_3repE0EEENS1_30default_config_static_selectorELNS0_4arch9wavefront6targetE1EEEvT1_.num_vgpr, 0
	.set _ZN7rocprim17ROCPRIM_400000_NS6detail17trampoline_kernelINS0_14default_configENS1_25transform_config_selectorIiLb0EEEZNS1_14transform_implILb0ES3_S5_N6thrust23THRUST_200600_302600_NS10device_ptrIiEEPiNS0_8identityIiEEEE10hipError_tT2_T3_mT4_P12ihipStream_tbEUlT_E_NS1_11comp_targetILNS1_3genE10ELNS1_11target_archE1200ELNS1_3gpuE4ELNS1_3repE0EEENS1_30default_config_static_selectorELNS0_4arch9wavefront6targetE1EEEvT1_.num_agpr, 0
	.set _ZN7rocprim17ROCPRIM_400000_NS6detail17trampoline_kernelINS0_14default_configENS1_25transform_config_selectorIiLb0EEEZNS1_14transform_implILb0ES3_S5_N6thrust23THRUST_200600_302600_NS10device_ptrIiEEPiNS0_8identityIiEEEE10hipError_tT2_T3_mT4_P12ihipStream_tbEUlT_E_NS1_11comp_targetILNS1_3genE10ELNS1_11target_archE1200ELNS1_3gpuE4ELNS1_3repE0EEENS1_30default_config_static_selectorELNS0_4arch9wavefront6targetE1EEEvT1_.numbered_sgpr, 0
	.set _ZN7rocprim17ROCPRIM_400000_NS6detail17trampoline_kernelINS0_14default_configENS1_25transform_config_selectorIiLb0EEEZNS1_14transform_implILb0ES3_S5_N6thrust23THRUST_200600_302600_NS10device_ptrIiEEPiNS0_8identityIiEEEE10hipError_tT2_T3_mT4_P12ihipStream_tbEUlT_E_NS1_11comp_targetILNS1_3genE10ELNS1_11target_archE1200ELNS1_3gpuE4ELNS1_3repE0EEENS1_30default_config_static_selectorELNS0_4arch9wavefront6targetE1EEEvT1_.num_named_barrier, 0
	.set _ZN7rocprim17ROCPRIM_400000_NS6detail17trampoline_kernelINS0_14default_configENS1_25transform_config_selectorIiLb0EEEZNS1_14transform_implILb0ES3_S5_N6thrust23THRUST_200600_302600_NS10device_ptrIiEEPiNS0_8identityIiEEEE10hipError_tT2_T3_mT4_P12ihipStream_tbEUlT_E_NS1_11comp_targetILNS1_3genE10ELNS1_11target_archE1200ELNS1_3gpuE4ELNS1_3repE0EEENS1_30default_config_static_selectorELNS0_4arch9wavefront6targetE1EEEvT1_.private_seg_size, 0
	.set _ZN7rocprim17ROCPRIM_400000_NS6detail17trampoline_kernelINS0_14default_configENS1_25transform_config_selectorIiLb0EEEZNS1_14transform_implILb0ES3_S5_N6thrust23THRUST_200600_302600_NS10device_ptrIiEEPiNS0_8identityIiEEEE10hipError_tT2_T3_mT4_P12ihipStream_tbEUlT_E_NS1_11comp_targetILNS1_3genE10ELNS1_11target_archE1200ELNS1_3gpuE4ELNS1_3repE0EEENS1_30default_config_static_selectorELNS0_4arch9wavefront6targetE1EEEvT1_.uses_vcc, 0
	.set _ZN7rocprim17ROCPRIM_400000_NS6detail17trampoline_kernelINS0_14default_configENS1_25transform_config_selectorIiLb0EEEZNS1_14transform_implILb0ES3_S5_N6thrust23THRUST_200600_302600_NS10device_ptrIiEEPiNS0_8identityIiEEEE10hipError_tT2_T3_mT4_P12ihipStream_tbEUlT_E_NS1_11comp_targetILNS1_3genE10ELNS1_11target_archE1200ELNS1_3gpuE4ELNS1_3repE0EEENS1_30default_config_static_selectorELNS0_4arch9wavefront6targetE1EEEvT1_.uses_flat_scratch, 0
	.set _ZN7rocprim17ROCPRIM_400000_NS6detail17trampoline_kernelINS0_14default_configENS1_25transform_config_selectorIiLb0EEEZNS1_14transform_implILb0ES3_S5_N6thrust23THRUST_200600_302600_NS10device_ptrIiEEPiNS0_8identityIiEEEE10hipError_tT2_T3_mT4_P12ihipStream_tbEUlT_E_NS1_11comp_targetILNS1_3genE10ELNS1_11target_archE1200ELNS1_3gpuE4ELNS1_3repE0EEENS1_30default_config_static_selectorELNS0_4arch9wavefront6targetE1EEEvT1_.has_dyn_sized_stack, 0
	.set _ZN7rocprim17ROCPRIM_400000_NS6detail17trampoline_kernelINS0_14default_configENS1_25transform_config_selectorIiLb0EEEZNS1_14transform_implILb0ES3_S5_N6thrust23THRUST_200600_302600_NS10device_ptrIiEEPiNS0_8identityIiEEEE10hipError_tT2_T3_mT4_P12ihipStream_tbEUlT_E_NS1_11comp_targetILNS1_3genE10ELNS1_11target_archE1200ELNS1_3gpuE4ELNS1_3repE0EEENS1_30default_config_static_selectorELNS0_4arch9wavefront6targetE1EEEvT1_.has_recursion, 0
	.set _ZN7rocprim17ROCPRIM_400000_NS6detail17trampoline_kernelINS0_14default_configENS1_25transform_config_selectorIiLb0EEEZNS1_14transform_implILb0ES3_S5_N6thrust23THRUST_200600_302600_NS10device_ptrIiEEPiNS0_8identityIiEEEE10hipError_tT2_T3_mT4_P12ihipStream_tbEUlT_E_NS1_11comp_targetILNS1_3genE10ELNS1_11target_archE1200ELNS1_3gpuE4ELNS1_3repE0EEENS1_30default_config_static_selectorELNS0_4arch9wavefront6targetE1EEEvT1_.has_indirect_call, 0
	.section	.AMDGPU.csdata,"",@progbits
; Kernel info:
; codeLenInByte = 0
; TotalNumSgprs: 6
; NumVgprs: 0
; NumAgprs: 0
; TotalNumVgprs: 0
; ScratchSize: 0
; MemoryBound: 0
; FloatMode: 240
; IeeeMode: 1
; LDSByteSize: 0 bytes/workgroup (compile time only)
; SGPRBlocks: 0
; VGPRBlocks: 0
; NumSGPRsForWavesPerEU: 6
; NumVGPRsForWavesPerEU: 1
; AccumOffset: 4
; Occupancy: 8
; WaveLimiterHint : 0
; COMPUTE_PGM_RSRC2:SCRATCH_EN: 0
; COMPUTE_PGM_RSRC2:USER_SGPR: 2
; COMPUTE_PGM_RSRC2:TRAP_HANDLER: 0
; COMPUTE_PGM_RSRC2:TGID_X_EN: 1
; COMPUTE_PGM_RSRC2:TGID_Y_EN: 0
; COMPUTE_PGM_RSRC2:TGID_Z_EN: 0
; COMPUTE_PGM_RSRC2:TIDIG_COMP_CNT: 0
; COMPUTE_PGM_RSRC3_GFX90A:ACCUM_OFFSET: 0
; COMPUTE_PGM_RSRC3_GFX90A:TG_SPLIT: 0
	.section	.text._ZN7rocprim17ROCPRIM_400000_NS6detail17trampoline_kernelINS0_14default_configENS1_25transform_config_selectorIiLb0EEEZNS1_14transform_implILb0ES3_S5_N6thrust23THRUST_200600_302600_NS10device_ptrIiEEPiNS0_8identityIiEEEE10hipError_tT2_T3_mT4_P12ihipStream_tbEUlT_E_NS1_11comp_targetILNS1_3genE9ELNS1_11target_archE1100ELNS1_3gpuE3ELNS1_3repE0EEENS1_30default_config_static_selectorELNS0_4arch9wavefront6targetE1EEEvT1_,"axG",@progbits,_ZN7rocprim17ROCPRIM_400000_NS6detail17trampoline_kernelINS0_14default_configENS1_25transform_config_selectorIiLb0EEEZNS1_14transform_implILb0ES3_S5_N6thrust23THRUST_200600_302600_NS10device_ptrIiEEPiNS0_8identityIiEEEE10hipError_tT2_T3_mT4_P12ihipStream_tbEUlT_E_NS1_11comp_targetILNS1_3genE9ELNS1_11target_archE1100ELNS1_3gpuE3ELNS1_3repE0EEENS1_30default_config_static_selectorELNS0_4arch9wavefront6targetE1EEEvT1_,comdat
	.protected	_ZN7rocprim17ROCPRIM_400000_NS6detail17trampoline_kernelINS0_14default_configENS1_25transform_config_selectorIiLb0EEEZNS1_14transform_implILb0ES3_S5_N6thrust23THRUST_200600_302600_NS10device_ptrIiEEPiNS0_8identityIiEEEE10hipError_tT2_T3_mT4_P12ihipStream_tbEUlT_E_NS1_11comp_targetILNS1_3genE9ELNS1_11target_archE1100ELNS1_3gpuE3ELNS1_3repE0EEENS1_30default_config_static_selectorELNS0_4arch9wavefront6targetE1EEEvT1_ ; -- Begin function _ZN7rocprim17ROCPRIM_400000_NS6detail17trampoline_kernelINS0_14default_configENS1_25transform_config_selectorIiLb0EEEZNS1_14transform_implILb0ES3_S5_N6thrust23THRUST_200600_302600_NS10device_ptrIiEEPiNS0_8identityIiEEEE10hipError_tT2_T3_mT4_P12ihipStream_tbEUlT_E_NS1_11comp_targetILNS1_3genE9ELNS1_11target_archE1100ELNS1_3gpuE3ELNS1_3repE0EEENS1_30default_config_static_selectorELNS0_4arch9wavefront6targetE1EEEvT1_
	.globl	_ZN7rocprim17ROCPRIM_400000_NS6detail17trampoline_kernelINS0_14default_configENS1_25transform_config_selectorIiLb0EEEZNS1_14transform_implILb0ES3_S5_N6thrust23THRUST_200600_302600_NS10device_ptrIiEEPiNS0_8identityIiEEEE10hipError_tT2_T3_mT4_P12ihipStream_tbEUlT_E_NS1_11comp_targetILNS1_3genE9ELNS1_11target_archE1100ELNS1_3gpuE3ELNS1_3repE0EEENS1_30default_config_static_selectorELNS0_4arch9wavefront6targetE1EEEvT1_
	.p2align	8
	.type	_ZN7rocprim17ROCPRIM_400000_NS6detail17trampoline_kernelINS0_14default_configENS1_25transform_config_selectorIiLb0EEEZNS1_14transform_implILb0ES3_S5_N6thrust23THRUST_200600_302600_NS10device_ptrIiEEPiNS0_8identityIiEEEE10hipError_tT2_T3_mT4_P12ihipStream_tbEUlT_E_NS1_11comp_targetILNS1_3genE9ELNS1_11target_archE1100ELNS1_3gpuE3ELNS1_3repE0EEENS1_30default_config_static_selectorELNS0_4arch9wavefront6targetE1EEEvT1_,@function
_ZN7rocprim17ROCPRIM_400000_NS6detail17trampoline_kernelINS0_14default_configENS1_25transform_config_selectorIiLb0EEEZNS1_14transform_implILb0ES3_S5_N6thrust23THRUST_200600_302600_NS10device_ptrIiEEPiNS0_8identityIiEEEE10hipError_tT2_T3_mT4_P12ihipStream_tbEUlT_E_NS1_11comp_targetILNS1_3genE9ELNS1_11target_archE1100ELNS1_3gpuE3ELNS1_3repE0EEENS1_30default_config_static_selectorELNS0_4arch9wavefront6targetE1EEEvT1_: ; @_ZN7rocprim17ROCPRIM_400000_NS6detail17trampoline_kernelINS0_14default_configENS1_25transform_config_selectorIiLb0EEEZNS1_14transform_implILb0ES3_S5_N6thrust23THRUST_200600_302600_NS10device_ptrIiEEPiNS0_8identityIiEEEE10hipError_tT2_T3_mT4_P12ihipStream_tbEUlT_E_NS1_11comp_targetILNS1_3genE9ELNS1_11target_archE1100ELNS1_3gpuE3ELNS1_3repE0EEENS1_30default_config_static_selectorELNS0_4arch9wavefront6targetE1EEEvT1_
; %bb.0:
	.section	.rodata,"a",@progbits
	.p2align	6, 0x0
	.amdhsa_kernel _ZN7rocprim17ROCPRIM_400000_NS6detail17trampoline_kernelINS0_14default_configENS1_25transform_config_selectorIiLb0EEEZNS1_14transform_implILb0ES3_S5_N6thrust23THRUST_200600_302600_NS10device_ptrIiEEPiNS0_8identityIiEEEE10hipError_tT2_T3_mT4_P12ihipStream_tbEUlT_E_NS1_11comp_targetILNS1_3genE9ELNS1_11target_archE1100ELNS1_3gpuE3ELNS1_3repE0EEENS1_30default_config_static_selectorELNS0_4arch9wavefront6targetE1EEEvT1_
		.amdhsa_group_segment_fixed_size 0
		.amdhsa_private_segment_fixed_size 0
		.amdhsa_kernarg_size 40
		.amdhsa_user_sgpr_count 2
		.amdhsa_user_sgpr_dispatch_ptr 0
		.amdhsa_user_sgpr_queue_ptr 0
		.amdhsa_user_sgpr_kernarg_segment_ptr 1
		.amdhsa_user_sgpr_dispatch_id 0
		.amdhsa_user_sgpr_kernarg_preload_length 0
		.amdhsa_user_sgpr_kernarg_preload_offset 0
		.amdhsa_user_sgpr_private_segment_size 0
		.amdhsa_uses_dynamic_stack 0
		.amdhsa_enable_private_segment 0
		.amdhsa_system_sgpr_workgroup_id_x 1
		.amdhsa_system_sgpr_workgroup_id_y 0
		.amdhsa_system_sgpr_workgroup_id_z 0
		.amdhsa_system_sgpr_workgroup_info 0
		.amdhsa_system_vgpr_workitem_id 0
		.amdhsa_next_free_vgpr 1
		.amdhsa_next_free_sgpr 0
		.amdhsa_accum_offset 4
		.amdhsa_reserve_vcc 0
		.amdhsa_float_round_mode_32 0
		.amdhsa_float_round_mode_16_64 0
		.amdhsa_float_denorm_mode_32 3
		.amdhsa_float_denorm_mode_16_64 3
		.amdhsa_dx10_clamp 1
		.amdhsa_ieee_mode 1
		.amdhsa_fp16_overflow 0
		.amdhsa_tg_split 0
		.amdhsa_exception_fp_ieee_invalid_op 0
		.amdhsa_exception_fp_denorm_src 0
		.amdhsa_exception_fp_ieee_div_zero 0
		.amdhsa_exception_fp_ieee_overflow 0
		.amdhsa_exception_fp_ieee_underflow 0
		.amdhsa_exception_fp_ieee_inexact 0
		.amdhsa_exception_int_div_zero 0
	.end_amdhsa_kernel
	.section	.text._ZN7rocprim17ROCPRIM_400000_NS6detail17trampoline_kernelINS0_14default_configENS1_25transform_config_selectorIiLb0EEEZNS1_14transform_implILb0ES3_S5_N6thrust23THRUST_200600_302600_NS10device_ptrIiEEPiNS0_8identityIiEEEE10hipError_tT2_T3_mT4_P12ihipStream_tbEUlT_E_NS1_11comp_targetILNS1_3genE9ELNS1_11target_archE1100ELNS1_3gpuE3ELNS1_3repE0EEENS1_30default_config_static_selectorELNS0_4arch9wavefront6targetE1EEEvT1_,"axG",@progbits,_ZN7rocprim17ROCPRIM_400000_NS6detail17trampoline_kernelINS0_14default_configENS1_25transform_config_selectorIiLb0EEEZNS1_14transform_implILb0ES3_S5_N6thrust23THRUST_200600_302600_NS10device_ptrIiEEPiNS0_8identityIiEEEE10hipError_tT2_T3_mT4_P12ihipStream_tbEUlT_E_NS1_11comp_targetILNS1_3genE9ELNS1_11target_archE1100ELNS1_3gpuE3ELNS1_3repE0EEENS1_30default_config_static_selectorELNS0_4arch9wavefront6targetE1EEEvT1_,comdat
.Lfunc_end2429:
	.size	_ZN7rocprim17ROCPRIM_400000_NS6detail17trampoline_kernelINS0_14default_configENS1_25transform_config_selectorIiLb0EEEZNS1_14transform_implILb0ES3_S5_N6thrust23THRUST_200600_302600_NS10device_ptrIiEEPiNS0_8identityIiEEEE10hipError_tT2_T3_mT4_P12ihipStream_tbEUlT_E_NS1_11comp_targetILNS1_3genE9ELNS1_11target_archE1100ELNS1_3gpuE3ELNS1_3repE0EEENS1_30default_config_static_selectorELNS0_4arch9wavefront6targetE1EEEvT1_, .Lfunc_end2429-_ZN7rocprim17ROCPRIM_400000_NS6detail17trampoline_kernelINS0_14default_configENS1_25transform_config_selectorIiLb0EEEZNS1_14transform_implILb0ES3_S5_N6thrust23THRUST_200600_302600_NS10device_ptrIiEEPiNS0_8identityIiEEEE10hipError_tT2_T3_mT4_P12ihipStream_tbEUlT_E_NS1_11comp_targetILNS1_3genE9ELNS1_11target_archE1100ELNS1_3gpuE3ELNS1_3repE0EEENS1_30default_config_static_selectorELNS0_4arch9wavefront6targetE1EEEvT1_
                                        ; -- End function
	.set _ZN7rocprim17ROCPRIM_400000_NS6detail17trampoline_kernelINS0_14default_configENS1_25transform_config_selectorIiLb0EEEZNS1_14transform_implILb0ES3_S5_N6thrust23THRUST_200600_302600_NS10device_ptrIiEEPiNS0_8identityIiEEEE10hipError_tT2_T3_mT4_P12ihipStream_tbEUlT_E_NS1_11comp_targetILNS1_3genE9ELNS1_11target_archE1100ELNS1_3gpuE3ELNS1_3repE0EEENS1_30default_config_static_selectorELNS0_4arch9wavefront6targetE1EEEvT1_.num_vgpr, 0
	.set _ZN7rocprim17ROCPRIM_400000_NS6detail17trampoline_kernelINS0_14default_configENS1_25transform_config_selectorIiLb0EEEZNS1_14transform_implILb0ES3_S5_N6thrust23THRUST_200600_302600_NS10device_ptrIiEEPiNS0_8identityIiEEEE10hipError_tT2_T3_mT4_P12ihipStream_tbEUlT_E_NS1_11comp_targetILNS1_3genE9ELNS1_11target_archE1100ELNS1_3gpuE3ELNS1_3repE0EEENS1_30default_config_static_selectorELNS0_4arch9wavefront6targetE1EEEvT1_.num_agpr, 0
	.set _ZN7rocprim17ROCPRIM_400000_NS6detail17trampoline_kernelINS0_14default_configENS1_25transform_config_selectorIiLb0EEEZNS1_14transform_implILb0ES3_S5_N6thrust23THRUST_200600_302600_NS10device_ptrIiEEPiNS0_8identityIiEEEE10hipError_tT2_T3_mT4_P12ihipStream_tbEUlT_E_NS1_11comp_targetILNS1_3genE9ELNS1_11target_archE1100ELNS1_3gpuE3ELNS1_3repE0EEENS1_30default_config_static_selectorELNS0_4arch9wavefront6targetE1EEEvT1_.numbered_sgpr, 0
	.set _ZN7rocprim17ROCPRIM_400000_NS6detail17trampoline_kernelINS0_14default_configENS1_25transform_config_selectorIiLb0EEEZNS1_14transform_implILb0ES3_S5_N6thrust23THRUST_200600_302600_NS10device_ptrIiEEPiNS0_8identityIiEEEE10hipError_tT2_T3_mT4_P12ihipStream_tbEUlT_E_NS1_11comp_targetILNS1_3genE9ELNS1_11target_archE1100ELNS1_3gpuE3ELNS1_3repE0EEENS1_30default_config_static_selectorELNS0_4arch9wavefront6targetE1EEEvT1_.num_named_barrier, 0
	.set _ZN7rocprim17ROCPRIM_400000_NS6detail17trampoline_kernelINS0_14default_configENS1_25transform_config_selectorIiLb0EEEZNS1_14transform_implILb0ES3_S5_N6thrust23THRUST_200600_302600_NS10device_ptrIiEEPiNS0_8identityIiEEEE10hipError_tT2_T3_mT4_P12ihipStream_tbEUlT_E_NS1_11comp_targetILNS1_3genE9ELNS1_11target_archE1100ELNS1_3gpuE3ELNS1_3repE0EEENS1_30default_config_static_selectorELNS0_4arch9wavefront6targetE1EEEvT1_.private_seg_size, 0
	.set _ZN7rocprim17ROCPRIM_400000_NS6detail17trampoline_kernelINS0_14default_configENS1_25transform_config_selectorIiLb0EEEZNS1_14transform_implILb0ES3_S5_N6thrust23THRUST_200600_302600_NS10device_ptrIiEEPiNS0_8identityIiEEEE10hipError_tT2_T3_mT4_P12ihipStream_tbEUlT_E_NS1_11comp_targetILNS1_3genE9ELNS1_11target_archE1100ELNS1_3gpuE3ELNS1_3repE0EEENS1_30default_config_static_selectorELNS0_4arch9wavefront6targetE1EEEvT1_.uses_vcc, 0
	.set _ZN7rocprim17ROCPRIM_400000_NS6detail17trampoline_kernelINS0_14default_configENS1_25transform_config_selectorIiLb0EEEZNS1_14transform_implILb0ES3_S5_N6thrust23THRUST_200600_302600_NS10device_ptrIiEEPiNS0_8identityIiEEEE10hipError_tT2_T3_mT4_P12ihipStream_tbEUlT_E_NS1_11comp_targetILNS1_3genE9ELNS1_11target_archE1100ELNS1_3gpuE3ELNS1_3repE0EEENS1_30default_config_static_selectorELNS0_4arch9wavefront6targetE1EEEvT1_.uses_flat_scratch, 0
	.set _ZN7rocprim17ROCPRIM_400000_NS6detail17trampoline_kernelINS0_14default_configENS1_25transform_config_selectorIiLb0EEEZNS1_14transform_implILb0ES3_S5_N6thrust23THRUST_200600_302600_NS10device_ptrIiEEPiNS0_8identityIiEEEE10hipError_tT2_T3_mT4_P12ihipStream_tbEUlT_E_NS1_11comp_targetILNS1_3genE9ELNS1_11target_archE1100ELNS1_3gpuE3ELNS1_3repE0EEENS1_30default_config_static_selectorELNS0_4arch9wavefront6targetE1EEEvT1_.has_dyn_sized_stack, 0
	.set _ZN7rocprim17ROCPRIM_400000_NS6detail17trampoline_kernelINS0_14default_configENS1_25transform_config_selectorIiLb0EEEZNS1_14transform_implILb0ES3_S5_N6thrust23THRUST_200600_302600_NS10device_ptrIiEEPiNS0_8identityIiEEEE10hipError_tT2_T3_mT4_P12ihipStream_tbEUlT_E_NS1_11comp_targetILNS1_3genE9ELNS1_11target_archE1100ELNS1_3gpuE3ELNS1_3repE0EEENS1_30default_config_static_selectorELNS0_4arch9wavefront6targetE1EEEvT1_.has_recursion, 0
	.set _ZN7rocprim17ROCPRIM_400000_NS6detail17trampoline_kernelINS0_14default_configENS1_25transform_config_selectorIiLb0EEEZNS1_14transform_implILb0ES3_S5_N6thrust23THRUST_200600_302600_NS10device_ptrIiEEPiNS0_8identityIiEEEE10hipError_tT2_T3_mT4_P12ihipStream_tbEUlT_E_NS1_11comp_targetILNS1_3genE9ELNS1_11target_archE1100ELNS1_3gpuE3ELNS1_3repE0EEENS1_30default_config_static_selectorELNS0_4arch9wavefront6targetE1EEEvT1_.has_indirect_call, 0
	.section	.AMDGPU.csdata,"",@progbits
; Kernel info:
; codeLenInByte = 0
; TotalNumSgprs: 6
; NumVgprs: 0
; NumAgprs: 0
; TotalNumVgprs: 0
; ScratchSize: 0
; MemoryBound: 0
; FloatMode: 240
; IeeeMode: 1
; LDSByteSize: 0 bytes/workgroup (compile time only)
; SGPRBlocks: 0
; VGPRBlocks: 0
; NumSGPRsForWavesPerEU: 6
; NumVGPRsForWavesPerEU: 1
; AccumOffset: 4
; Occupancy: 8
; WaveLimiterHint : 0
; COMPUTE_PGM_RSRC2:SCRATCH_EN: 0
; COMPUTE_PGM_RSRC2:USER_SGPR: 2
; COMPUTE_PGM_RSRC2:TRAP_HANDLER: 0
; COMPUTE_PGM_RSRC2:TGID_X_EN: 1
; COMPUTE_PGM_RSRC2:TGID_Y_EN: 0
; COMPUTE_PGM_RSRC2:TGID_Z_EN: 0
; COMPUTE_PGM_RSRC2:TIDIG_COMP_CNT: 0
; COMPUTE_PGM_RSRC3_GFX90A:ACCUM_OFFSET: 0
; COMPUTE_PGM_RSRC3_GFX90A:TG_SPLIT: 0
	.section	.text._ZN7rocprim17ROCPRIM_400000_NS6detail17trampoline_kernelINS0_14default_configENS1_25transform_config_selectorIiLb0EEEZNS1_14transform_implILb0ES3_S5_N6thrust23THRUST_200600_302600_NS10device_ptrIiEEPiNS0_8identityIiEEEE10hipError_tT2_T3_mT4_P12ihipStream_tbEUlT_E_NS1_11comp_targetILNS1_3genE8ELNS1_11target_archE1030ELNS1_3gpuE2ELNS1_3repE0EEENS1_30default_config_static_selectorELNS0_4arch9wavefront6targetE1EEEvT1_,"axG",@progbits,_ZN7rocprim17ROCPRIM_400000_NS6detail17trampoline_kernelINS0_14default_configENS1_25transform_config_selectorIiLb0EEEZNS1_14transform_implILb0ES3_S5_N6thrust23THRUST_200600_302600_NS10device_ptrIiEEPiNS0_8identityIiEEEE10hipError_tT2_T3_mT4_P12ihipStream_tbEUlT_E_NS1_11comp_targetILNS1_3genE8ELNS1_11target_archE1030ELNS1_3gpuE2ELNS1_3repE0EEENS1_30default_config_static_selectorELNS0_4arch9wavefront6targetE1EEEvT1_,comdat
	.protected	_ZN7rocprim17ROCPRIM_400000_NS6detail17trampoline_kernelINS0_14default_configENS1_25transform_config_selectorIiLb0EEEZNS1_14transform_implILb0ES3_S5_N6thrust23THRUST_200600_302600_NS10device_ptrIiEEPiNS0_8identityIiEEEE10hipError_tT2_T3_mT4_P12ihipStream_tbEUlT_E_NS1_11comp_targetILNS1_3genE8ELNS1_11target_archE1030ELNS1_3gpuE2ELNS1_3repE0EEENS1_30default_config_static_selectorELNS0_4arch9wavefront6targetE1EEEvT1_ ; -- Begin function _ZN7rocprim17ROCPRIM_400000_NS6detail17trampoline_kernelINS0_14default_configENS1_25transform_config_selectorIiLb0EEEZNS1_14transform_implILb0ES3_S5_N6thrust23THRUST_200600_302600_NS10device_ptrIiEEPiNS0_8identityIiEEEE10hipError_tT2_T3_mT4_P12ihipStream_tbEUlT_E_NS1_11comp_targetILNS1_3genE8ELNS1_11target_archE1030ELNS1_3gpuE2ELNS1_3repE0EEENS1_30default_config_static_selectorELNS0_4arch9wavefront6targetE1EEEvT1_
	.globl	_ZN7rocprim17ROCPRIM_400000_NS6detail17trampoline_kernelINS0_14default_configENS1_25transform_config_selectorIiLb0EEEZNS1_14transform_implILb0ES3_S5_N6thrust23THRUST_200600_302600_NS10device_ptrIiEEPiNS0_8identityIiEEEE10hipError_tT2_T3_mT4_P12ihipStream_tbEUlT_E_NS1_11comp_targetILNS1_3genE8ELNS1_11target_archE1030ELNS1_3gpuE2ELNS1_3repE0EEENS1_30default_config_static_selectorELNS0_4arch9wavefront6targetE1EEEvT1_
	.p2align	8
	.type	_ZN7rocprim17ROCPRIM_400000_NS6detail17trampoline_kernelINS0_14default_configENS1_25transform_config_selectorIiLb0EEEZNS1_14transform_implILb0ES3_S5_N6thrust23THRUST_200600_302600_NS10device_ptrIiEEPiNS0_8identityIiEEEE10hipError_tT2_T3_mT4_P12ihipStream_tbEUlT_E_NS1_11comp_targetILNS1_3genE8ELNS1_11target_archE1030ELNS1_3gpuE2ELNS1_3repE0EEENS1_30default_config_static_selectorELNS0_4arch9wavefront6targetE1EEEvT1_,@function
_ZN7rocprim17ROCPRIM_400000_NS6detail17trampoline_kernelINS0_14default_configENS1_25transform_config_selectorIiLb0EEEZNS1_14transform_implILb0ES3_S5_N6thrust23THRUST_200600_302600_NS10device_ptrIiEEPiNS0_8identityIiEEEE10hipError_tT2_T3_mT4_P12ihipStream_tbEUlT_E_NS1_11comp_targetILNS1_3genE8ELNS1_11target_archE1030ELNS1_3gpuE2ELNS1_3repE0EEENS1_30default_config_static_selectorELNS0_4arch9wavefront6targetE1EEEvT1_: ; @_ZN7rocprim17ROCPRIM_400000_NS6detail17trampoline_kernelINS0_14default_configENS1_25transform_config_selectorIiLb0EEEZNS1_14transform_implILb0ES3_S5_N6thrust23THRUST_200600_302600_NS10device_ptrIiEEPiNS0_8identityIiEEEE10hipError_tT2_T3_mT4_P12ihipStream_tbEUlT_E_NS1_11comp_targetILNS1_3genE8ELNS1_11target_archE1030ELNS1_3gpuE2ELNS1_3repE0EEENS1_30default_config_static_selectorELNS0_4arch9wavefront6targetE1EEEvT1_
; %bb.0:
	.section	.rodata,"a",@progbits
	.p2align	6, 0x0
	.amdhsa_kernel _ZN7rocprim17ROCPRIM_400000_NS6detail17trampoline_kernelINS0_14default_configENS1_25transform_config_selectorIiLb0EEEZNS1_14transform_implILb0ES3_S5_N6thrust23THRUST_200600_302600_NS10device_ptrIiEEPiNS0_8identityIiEEEE10hipError_tT2_T3_mT4_P12ihipStream_tbEUlT_E_NS1_11comp_targetILNS1_3genE8ELNS1_11target_archE1030ELNS1_3gpuE2ELNS1_3repE0EEENS1_30default_config_static_selectorELNS0_4arch9wavefront6targetE1EEEvT1_
		.amdhsa_group_segment_fixed_size 0
		.amdhsa_private_segment_fixed_size 0
		.amdhsa_kernarg_size 40
		.amdhsa_user_sgpr_count 2
		.amdhsa_user_sgpr_dispatch_ptr 0
		.amdhsa_user_sgpr_queue_ptr 0
		.amdhsa_user_sgpr_kernarg_segment_ptr 1
		.amdhsa_user_sgpr_dispatch_id 0
		.amdhsa_user_sgpr_kernarg_preload_length 0
		.amdhsa_user_sgpr_kernarg_preload_offset 0
		.amdhsa_user_sgpr_private_segment_size 0
		.amdhsa_uses_dynamic_stack 0
		.amdhsa_enable_private_segment 0
		.amdhsa_system_sgpr_workgroup_id_x 1
		.amdhsa_system_sgpr_workgroup_id_y 0
		.amdhsa_system_sgpr_workgroup_id_z 0
		.amdhsa_system_sgpr_workgroup_info 0
		.amdhsa_system_vgpr_workitem_id 0
		.amdhsa_next_free_vgpr 1
		.amdhsa_next_free_sgpr 0
		.amdhsa_accum_offset 4
		.amdhsa_reserve_vcc 0
		.amdhsa_float_round_mode_32 0
		.amdhsa_float_round_mode_16_64 0
		.amdhsa_float_denorm_mode_32 3
		.amdhsa_float_denorm_mode_16_64 3
		.amdhsa_dx10_clamp 1
		.amdhsa_ieee_mode 1
		.amdhsa_fp16_overflow 0
		.amdhsa_tg_split 0
		.amdhsa_exception_fp_ieee_invalid_op 0
		.amdhsa_exception_fp_denorm_src 0
		.amdhsa_exception_fp_ieee_div_zero 0
		.amdhsa_exception_fp_ieee_overflow 0
		.amdhsa_exception_fp_ieee_underflow 0
		.amdhsa_exception_fp_ieee_inexact 0
		.amdhsa_exception_int_div_zero 0
	.end_amdhsa_kernel
	.section	.text._ZN7rocprim17ROCPRIM_400000_NS6detail17trampoline_kernelINS0_14default_configENS1_25transform_config_selectorIiLb0EEEZNS1_14transform_implILb0ES3_S5_N6thrust23THRUST_200600_302600_NS10device_ptrIiEEPiNS0_8identityIiEEEE10hipError_tT2_T3_mT4_P12ihipStream_tbEUlT_E_NS1_11comp_targetILNS1_3genE8ELNS1_11target_archE1030ELNS1_3gpuE2ELNS1_3repE0EEENS1_30default_config_static_selectorELNS0_4arch9wavefront6targetE1EEEvT1_,"axG",@progbits,_ZN7rocprim17ROCPRIM_400000_NS6detail17trampoline_kernelINS0_14default_configENS1_25transform_config_selectorIiLb0EEEZNS1_14transform_implILb0ES3_S5_N6thrust23THRUST_200600_302600_NS10device_ptrIiEEPiNS0_8identityIiEEEE10hipError_tT2_T3_mT4_P12ihipStream_tbEUlT_E_NS1_11comp_targetILNS1_3genE8ELNS1_11target_archE1030ELNS1_3gpuE2ELNS1_3repE0EEENS1_30default_config_static_selectorELNS0_4arch9wavefront6targetE1EEEvT1_,comdat
.Lfunc_end2430:
	.size	_ZN7rocprim17ROCPRIM_400000_NS6detail17trampoline_kernelINS0_14default_configENS1_25transform_config_selectorIiLb0EEEZNS1_14transform_implILb0ES3_S5_N6thrust23THRUST_200600_302600_NS10device_ptrIiEEPiNS0_8identityIiEEEE10hipError_tT2_T3_mT4_P12ihipStream_tbEUlT_E_NS1_11comp_targetILNS1_3genE8ELNS1_11target_archE1030ELNS1_3gpuE2ELNS1_3repE0EEENS1_30default_config_static_selectorELNS0_4arch9wavefront6targetE1EEEvT1_, .Lfunc_end2430-_ZN7rocprim17ROCPRIM_400000_NS6detail17trampoline_kernelINS0_14default_configENS1_25transform_config_selectorIiLb0EEEZNS1_14transform_implILb0ES3_S5_N6thrust23THRUST_200600_302600_NS10device_ptrIiEEPiNS0_8identityIiEEEE10hipError_tT2_T3_mT4_P12ihipStream_tbEUlT_E_NS1_11comp_targetILNS1_3genE8ELNS1_11target_archE1030ELNS1_3gpuE2ELNS1_3repE0EEENS1_30default_config_static_selectorELNS0_4arch9wavefront6targetE1EEEvT1_
                                        ; -- End function
	.set _ZN7rocprim17ROCPRIM_400000_NS6detail17trampoline_kernelINS0_14default_configENS1_25transform_config_selectorIiLb0EEEZNS1_14transform_implILb0ES3_S5_N6thrust23THRUST_200600_302600_NS10device_ptrIiEEPiNS0_8identityIiEEEE10hipError_tT2_T3_mT4_P12ihipStream_tbEUlT_E_NS1_11comp_targetILNS1_3genE8ELNS1_11target_archE1030ELNS1_3gpuE2ELNS1_3repE0EEENS1_30default_config_static_selectorELNS0_4arch9wavefront6targetE1EEEvT1_.num_vgpr, 0
	.set _ZN7rocprim17ROCPRIM_400000_NS6detail17trampoline_kernelINS0_14default_configENS1_25transform_config_selectorIiLb0EEEZNS1_14transform_implILb0ES3_S5_N6thrust23THRUST_200600_302600_NS10device_ptrIiEEPiNS0_8identityIiEEEE10hipError_tT2_T3_mT4_P12ihipStream_tbEUlT_E_NS1_11comp_targetILNS1_3genE8ELNS1_11target_archE1030ELNS1_3gpuE2ELNS1_3repE0EEENS1_30default_config_static_selectorELNS0_4arch9wavefront6targetE1EEEvT1_.num_agpr, 0
	.set _ZN7rocprim17ROCPRIM_400000_NS6detail17trampoline_kernelINS0_14default_configENS1_25transform_config_selectorIiLb0EEEZNS1_14transform_implILb0ES3_S5_N6thrust23THRUST_200600_302600_NS10device_ptrIiEEPiNS0_8identityIiEEEE10hipError_tT2_T3_mT4_P12ihipStream_tbEUlT_E_NS1_11comp_targetILNS1_3genE8ELNS1_11target_archE1030ELNS1_3gpuE2ELNS1_3repE0EEENS1_30default_config_static_selectorELNS0_4arch9wavefront6targetE1EEEvT1_.numbered_sgpr, 0
	.set _ZN7rocprim17ROCPRIM_400000_NS6detail17trampoline_kernelINS0_14default_configENS1_25transform_config_selectorIiLb0EEEZNS1_14transform_implILb0ES3_S5_N6thrust23THRUST_200600_302600_NS10device_ptrIiEEPiNS0_8identityIiEEEE10hipError_tT2_T3_mT4_P12ihipStream_tbEUlT_E_NS1_11comp_targetILNS1_3genE8ELNS1_11target_archE1030ELNS1_3gpuE2ELNS1_3repE0EEENS1_30default_config_static_selectorELNS0_4arch9wavefront6targetE1EEEvT1_.num_named_barrier, 0
	.set _ZN7rocprim17ROCPRIM_400000_NS6detail17trampoline_kernelINS0_14default_configENS1_25transform_config_selectorIiLb0EEEZNS1_14transform_implILb0ES3_S5_N6thrust23THRUST_200600_302600_NS10device_ptrIiEEPiNS0_8identityIiEEEE10hipError_tT2_T3_mT4_P12ihipStream_tbEUlT_E_NS1_11comp_targetILNS1_3genE8ELNS1_11target_archE1030ELNS1_3gpuE2ELNS1_3repE0EEENS1_30default_config_static_selectorELNS0_4arch9wavefront6targetE1EEEvT1_.private_seg_size, 0
	.set _ZN7rocprim17ROCPRIM_400000_NS6detail17trampoline_kernelINS0_14default_configENS1_25transform_config_selectorIiLb0EEEZNS1_14transform_implILb0ES3_S5_N6thrust23THRUST_200600_302600_NS10device_ptrIiEEPiNS0_8identityIiEEEE10hipError_tT2_T3_mT4_P12ihipStream_tbEUlT_E_NS1_11comp_targetILNS1_3genE8ELNS1_11target_archE1030ELNS1_3gpuE2ELNS1_3repE0EEENS1_30default_config_static_selectorELNS0_4arch9wavefront6targetE1EEEvT1_.uses_vcc, 0
	.set _ZN7rocprim17ROCPRIM_400000_NS6detail17trampoline_kernelINS0_14default_configENS1_25transform_config_selectorIiLb0EEEZNS1_14transform_implILb0ES3_S5_N6thrust23THRUST_200600_302600_NS10device_ptrIiEEPiNS0_8identityIiEEEE10hipError_tT2_T3_mT4_P12ihipStream_tbEUlT_E_NS1_11comp_targetILNS1_3genE8ELNS1_11target_archE1030ELNS1_3gpuE2ELNS1_3repE0EEENS1_30default_config_static_selectorELNS0_4arch9wavefront6targetE1EEEvT1_.uses_flat_scratch, 0
	.set _ZN7rocprim17ROCPRIM_400000_NS6detail17trampoline_kernelINS0_14default_configENS1_25transform_config_selectorIiLb0EEEZNS1_14transform_implILb0ES3_S5_N6thrust23THRUST_200600_302600_NS10device_ptrIiEEPiNS0_8identityIiEEEE10hipError_tT2_T3_mT4_P12ihipStream_tbEUlT_E_NS1_11comp_targetILNS1_3genE8ELNS1_11target_archE1030ELNS1_3gpuE2ELNS1_3repE0EEENS1_30default_config_static_selectorELNS0_4arch9wavefront6targetE1EEEvT1_.has_dyn_sized_stack, 0
	.set _ZN7rocprim17ROCPRIM_400000_NS6detail17trampoline_kernelINS0_14default_configENS1_25transform_config_selectorIiLb0EEEZNS1_14transform_implILb0ES3_S5_N6thrust23THRUST_200600_302600_NS10device_ptrIiEEPiNS0_8identityIiEEEE10hipError_tT2_T3_mT4_P12ihipStream_tbEUlT_E_NS1_11comp_targetILNS1_3genE8ELNS1_11target_archE1030ELNS1_3gpuE2ELNS1_3repE0EEENS1_30default_config_static_selectorELNS0_4arch9wavefront6targetE1EEEvT1_.has_recursion, 0
	.set _ZN7rocprim17ROCPRIM_400000_NS6detail17trampoline_kernelINS0_14default_configENS1_25transform_config_selectorIiLb0EEEZNS1_14transform_implILb0ES3_S5_N6thrust23THRUST_200600_302600_NS10device_ptrIiEEPiNS0_8identityIiEEEE10hipError_tT2_T3_mT4_P12ihipStream_tbEUlT_E_NS1_11comp_targetILNS1_3genE8ELNS1_11target_archE1030ELNS1_3gpuE2ELNS1_3repE0EEENS1_30default_config_static_selectorELNS0_4arch9wavefront6targetE1EEEvT1_.has_indirect_call, 0
	.section	.AMDGPU.csdata,"",@progbits
; Kernel info:
; codeLenInByte = 0
; TotalNumSgprs: 6
; NumVgprs: 0
; NumAgprs: 0
; TotalNumVgprs: 0
; ScratchSize: 0
; MemoryBound: 0
; FloatMode: 240
; IeeeMode: 1
; LDSByteSize: 0 bytes/workgroup (compile time only)
; SGPRBlocks: 0
; VGPRBlocks: 0
; NumSGPRsForWavesPerEU: 6
; NumVGPRsForWavesPerEU: 1
; AccumOffset: 4
; Occupancy: 8
; WaveLimiterHint : 0
; COMPUTE_PGM_RSRC2:SCRATCH_EN: 0
; COMPUTE_PGM_RSRC2:USER_SGPR: 2
; COMPUTE_PGM_RSRC2:TRAP_HANDLER: 0
; COMPUTE_PGM_RSRC2:TGID_X_EN: 1
; COMPUTE_PGM_RSRC2:TGID_Y_EN: 0
; COMPUTE_PGM_RSRC2:TGID_Z_EN: 0
; COMPUTE_PGM_RSRC2:TIDIG_COMP_CNT: 0
; COMPUTE_PGM_RSRC3_GFX90A:ACCUM_OFFSET: 0
; COMPUTE_PGM_RSRC3_GFX90A:TG_SPLIT: 0
	.section	.text._ZN7rocprim17ROCPRIM_400000_NS6detail17trampoline_kernelINS0_14default_configENS1_25transform_config_selectorIsLb0EEEZNS1_14transform_implILb0ES3_S5_N6thrust23THRUST_200600_302600_NS10device_ptrIsEEPsNS0_8identityIsEEEE10hipError_tT2_T3_mT4_P12ihipStream_tbEUlT_E_NS1_11comp_targetILNS1_3genE0ELNS1_11target_archE4294967295ELNS1_3gpuE0ELNS1_3repE0EEENS1_30default_config_static_selectorELNS0_4arch9wavefront6targetE1EEEvT1_,"axG",@progbits,_ZN7rocprim17ROCPRIM_400000_NS6detail17trampoline_kernelINS0_14default_configENS1_25transform_config_selectorIsLb0EEEZNS1_14transform_implILb0ES3_S5_N6thrust23THRUST_200600_302600_NS10device_ptrIsEEPsNS0_8identityIsEEEE10hipError_tT2_T3_mT4_P12ihipStream_tbEUlT_E_NS1_11comp_targetILNS1_3genE0ELNS1_11target_archE4294967295ELNS1_3gpuE0ELNS1_3repE0EEENS1_30default_config_static_selectorELNS0_4arch9wavefront6targetE1EEEvT1_,comdat
	.protected	_ZN7rocprim17ROCPRIM_400000_NS6detail17trampoline_kernelINS0_14default_configENS1_25transform_config_selectorIsLb0EEEZNS1_14transform_implILb0ES3_S5_N6thrust23THRUST_200600_302600_NS10device_ptrIsEEPsNS0_8identityIsEEEE10hipError_tT2_T3_mT4_P12ihipStream_tbEUlT_E_NS1_11comp_targetILNS1_3genE0ELNS1_11target_archE4294967295ELNS1_3gpuE0ELNS1_3repE0EEENS1_30default_config_static_selectorELNS0_4arch9wavefront6targetE1EEEvT1_ ; -- Begin function _ZN7rocprim17ROCPRIM_400000_NS6detail17trampoline_kernelINS0_14default_configENS1_25transform_config_selectorIsLb0EEEZNS1_14transform_implILb0ES3_S5_N6thrust23THRUST_200600_302600_NS10device_ptrIsEEPsNS0_8identityIsEEEE10hipError_tT2_T3_mT4_P12ihipStream_tbEUlT_E_NS1_11comp_targetILNS1_3genE0ELNS1_11target_archE4294967295ELNS1_3gpuE0ELNS1_3repE0EEENS1_30default_config_static_selectorELNS0_4arch9wavefront6targetE1EEEvT1_
	.globl	_ZN7rocprim17ROCPRIM_400000_NS6detail17trampoline_kernelINS0_14default_configENS1_25transform_config_selectorIsLb0EEEZNS1_14transform_implILb0ES3_S5_N6thrust23THRUST_200600_302600_NS10device_ptrIsEEPsNS0_8identityIsEEEE10hipError_tT2_T3_mT4_P12ihipStream_tbEUlT_E_NS1_11comp_targetILNS1_3genE0ELNS1_11target_archE4294967295ELNS1_3gpuE0ELNS1_3repE0EEENS1_30default_config_static_selectorELNS0_4arch9wavefront6targetE1EEEvT1_
	.p2align	8
	.type	_ZN7rocprim17ROCPRIM_400000_NS6detail17trampoline_kernelINS0_14default_configENS1_25transform_config_selectorIsLb0EEEZNS1_14transform_implILb0ES3_S5_N6thrust23THRUST_200600_302600_NS10device_ptrIsEEPsNS0_8identityIsEEEE10hipError_tT2_T3_mT4_P12ihipStream_tbEUlT_E_NS1_11comp_targetILNS1_3genE0ELNS1_11target_archE4294967295ELNS1_3gpuE0ELNS1_3repE0EEENS1_30default_config_static_selectorELNS0_4arch9wavefront6targetE1EEEvT1_,@function
_ZN7rocprim17ROCPRIM_400000_NS6detail17trampoline_kernelINS0_14default_configENS1_25transform_config_selectorIsLb0EEEZNS1_14transform_implILb0ES3_S5_N6thrust23THRUST_200600_302600_NS10device_ptrIsEEPsNS0_8identityIsEEEE10hipError_tT2_T3_mT4_P12ihipStream_tbEUlT_E_NS1_11comp_targetILNS1_3genE0ELNS1_11target_archE4294967295ELNS1_3gpuE0ELNS1_3repE0EEENS1_30default_config_static_selectorELNS0_4arch9wavefront6targetE1EEEvT1_: ; @_ZN7rocprim17ROCPRIM_400000_NS6detail17trampoline_kernelINS0_14default_configENS1_25transform_config_selectorIsLb0EEEZNS1_14transform_implILb0ES3_S5_N6thrust23THRUST_200600_302600_NS10device_ptrIsEEPsNS0_8identityIsEEEE10hipError_tT2_T3_mT4_P12ihipStream_tbEUlT_E_NS1_11comp_targetILNS1_3genE0ELNS1_11target_archE4294967295ELNS1_3gpuE0ELNS1_3repE0EEENS1_30default_config_static_selectorELNS0_4arch9wavefront6targetE1EEEvT1_
; %bb.0:
	s_load_dwordx8 s[4:11], s[0:1], 0x0
	s_load_dword s3, s[0:1], 0x28
	v_lshlrev_b32_e32 v4, 1, v0
	s_waitcnt lgkmcnt(0)
	s_lshl_b64 s[0:1], s[6:7], 1
	s_add_u32 s4, s4, s0
	s_addc_u32 s5, s5, s1
	s_add_u32 s9, s10, s0
	s_addc_u32 s16, s11, s1
	s_lshl_b32 s0, s2, 9
	s_mov_b32 s1, 0
	s_add_i32 s3, s3, -1
	s_lshl_b64 s[12:13], s[0:1], 1
	s_add_u32 s14, s4, s12
	s_addc_u32 s15, s5, s13
	s_cmp_lg_u32 s2, s3
	s_cbranch_scc0 .LBB2431_2
; %bb.1:
	v_mov_b32_e32 v5, 0
	v_lshl_add_u64 v[2:3], s[14:15], 0, v[4:5]
	flat_load_ushort v8, v[2:3]
	flat_load_ushort v9, v[2:3] offset:256
	flat_load_ushort v10, v[2:3] offset:512
	;; [unrolled: 1-line block ×3, first 2 shown]
	s_add_u32 s4, s9, s12
	s_addc_u32 s5, s16, s13
	v_lshl_add_u64 v[6:7], s[4:5], 0, v[4:5]
	s_mov_b64 s[10:11], -1
	s_waitcnt vmcnt(0) lgkmcnt(0)
	global_store_short v4, v8, s[4:5]
	global_store_short v4, v9, s[4:5] offset:256
	global_store_short v4, v10, s[4:5] offset:512
	s_cbranch_execz .LBB2431_3
	s_branch .LBB2431_17
.LBB2431_2:
	s_mov_b64 s[10:11], 0
                                        ; implicit-def: $vgpr1
                                        ; implicit-def: $vgpr6_vgpr7
.LBB2431_3:
	s_sub_i32 s6, s8, s0
	v_mov_b32_e32 v2, 0
	v_cmp_gt_u32_e32 vcc, s6, v0
	v_mov_b32_e32 v3, v2
	s_and_saveexec_b64 s[0:1], vcc
	s_cbranch_execz .LBB2431_5
; %bb.4:
	v_mov_b32_e32 v5, v2
	v_lshl_add_u64 v[6:7], s[14:15], 0, v[4:5]
	flat_load_ushort v1, v[6:7]
	v_mov_b32_e32 v7, v2
	s_waitcnt vmcnt(0) lgkmcnt(0)
	v_and_b32_e32 v6, 0xffff, v1
	v_mov_b64_e32 v[2:3], v[6:7]
.LBB2431_5:
	s_or_b64 exec, exec, s[0:1]
	v_or_b32_e32 v1, 0x80, v0
	v_cmp_gt_u32_e64 s[0:1], s6, v1
	s_and_saveexec_b64 s[2:3], s[0:1]
	s_cbranch_execz .LBB2431_7
; %bb.6:
	v_mov_b32_e32 v5, 0
	v_lshl_add_u64 v[6:7], s[14:15], 0, v[4:5]
	flat_load_ushort v1, v[6:7] offset:256
	s_mov_b32 s4, 0x5040100
	s_waitcnt vmcnt(0) lgkmcnt(0)
	v_perm_b32 v2, v1, v2, s4
.LBB2431_7:
	s_or_b64 exec, exec, s[2:3]
	v_or_b32_e32 v1, 0x100, v0
	v_cmp_gt_u32_e64 s[2:3], s6, v1
	s_and_saveexec_b64 s[4:5], s[2:3]
	s_cbranch_execz .LBB2431_9
; %bb.8:
	v_mov_b32_e32 v5, 0
	v_lshl_add_u64 v[4:5], s[14:15], 0, v[4:5]
	flat_load_ushort v1, v[4:5] offset:512
	s_mov_b32 s7, 0xffff
	s_waitcnt vmcnt(0) lgkmcnt(0)
	v_bfi_b32 v3, s7, v1, v3
.LBB2431_9:
	s_or_b64 exec, exec, s[4:5]
	v_or_b32_e32 v1, 0x180, v0
	v_cmp_gt_u32_e64 s[4:5], s6, v1
	v_cmp_le_u32_e64 s[6:7], s6, v1
	s_and_saveexec_b64 s[18:19], s[6:7]
	s_xor_b64 s[6:7], exec, s[18:19]
	s_andn2_saveexec_b64 s[6:7], s[6:7]
	s_cbranch_execz .LBB2431_11
; %bb.10:
	v_lshlrev_b32_e32 v4, 1, v0
	v_mov_b32_e32 v5, 0
	v_lshl_add_u64 v[4:5], s[14:15], 0, v[4:5]
	flat_load_ushort v1, v[4:5] offset:768
	s_mov_b32 s8, 0x5040100
	s_waitcnt vmcnt(0) lgkmcnt(0)
	v_perm_b32 v3, v1, v3, s8
.LBB2431_11:
	s_or_b64 exec, exec, s[6:7]
	s_add_u32 s6, s9, s12
	v_mov_b32_e32 v5, 0
	s_addc_u32 s7, s16, s13
	v_lshlrev_b32_e32 v4, 1, v0
	v_cndmask_b32_sdwa v1, v5, v2, vcc dst_sel:DWORD dst_unused:UNUSED_PAD src0_sel:DWORD src1_sel:WORD_0
	v_lshl_add_u64 v[6:7], s[6:7], 0, v[4:5]
	s_and_saveexec_b64 s[6:7], vcc
	s_cbranch_execnz .LBB2431_20
; %bb.12:
	s_or_b64 exec, exec, s[6:7]
	v_cndmask_b32_e64 v0, v1, v2, s[0:1]
	s_and_saveexec_b64 s[6:7], s[0:1]
	s_cbranch_execnz .LBB2431_21
.LBB2431_13:
	s_or_b64 exec, exec, s[6:7]
	s_and_saveexec_b64 s[0:1], s[2:3]
	s_cbranch_execnz .LBB2431_22
.LBB2431_14:
	s_or_b64 exec, exec, s[0:1]
                                        ; implicit-def: $vgpr1
	s_and_saveexec_b64 s[0:1], s[4:5]
.LBB2431_15:
	v_cndmask_b32_e64 v0, 0, v3, s[4:5]
	v_lshrrev_b32_e32 v1, 16, v0
	s_or_b64 s[10:11], s[10:11], exec
.LBB2431_16:
	s_or_b64 exec, exec, s[0:1]
.LBB2431_17:
	s_and_saveexec_b64 s[0:1], s[10:11]
	s_cbranch_execnz .LBB2431_19
; %bb.18:
	s_endpgm
.LBB2431_19:
	global_store_short v[6:7], v1, off offset:768
	s_endpgm
.LBB2431_20:
	global_store_short v[6:7], v1, off
	s_or_b64 exec, exec, s[6:7]
	v_cndmask_b32_e64 v0, v1, v2, s[0:1]
	s_and_saveexec_b64 s[6:7], s[0:1]
	s_cbranch_execz .LBB2431_13
.LBB2431_21:
	global_store_short_d16_hi v[6:7], v0, off offset:256
	s_or_b64 exec, exec, s[6:7]
	s_and_saveexec_b64 s[0:1], s[2:3]
	s_cbranch_execz .LBB2431_14
.LBB2431_22:
	v_cndmask_b32_e64 v0, 0, v3, s[2:3]
	global_store_short v[6:7], v0, off offset:512
	s_or_b64 exec, exec, s[0:1]
                                        ; implicit-def: $vgpr1
	s_and_saveexec_b64 s[0:1], s[4:5]
	s_cbranch_execnz .LBB2431_15
	s_branch .LBB2431_16
	.section	.rodata,"a",@progbits
	.p2align	6, 0x0
	.amdhsa_kernel _ZN7rocprim17ROCPRIM_400000_NS6detail17trampoline_kernelINS0_14default_configENS1_25transform_config_selectorIsLb0EEEZNS1_14transform_implILb0ES3_S5_N6thrust23THRUST_200600_302600_NS10device_ptrIsEEPsNS0_8identityIsEEEE10hipError_tT2_T3_mT4_P12ihipStream_tbEUlT_E_NS1_11comp_targetILNS1_3genE0ELNS1_11target_archE4294967295ELNS1_3gpuE0ELNS1_3repE0EEENS1_30default_config_static_selectorELNS0_4arch9wavefront6targetE1EEEvT1_
		.amdhsa_group_segment_fixed_size 0
		.amdhsa_private_segment_fixed_size 0
		.amdhsa_kernarg_size 296
		.amdhsa_user_sgpr_count 2
		.amdhsa_user_sgpr_dispatch_ptr 0
		.amdhsa_user_sgpr_queue_ptr 0
		.amdhsa_user_sgpr_kernarg_segment_ptr 1
		.amdhsa_user_sgpr_dispatch_id 0
		.amdhsa_user_sgpr_kernarg_preload_length 0
		.amdhsa_user_sgpr_kernarg_preload_offset 0
		.amdhsa_user_sgpr_private_segment_size 0
		.amdhsa_uses_dynamic_stack 0
		.amdhsa_enable_private_segment 0
		.amdhsa_system_sgpr_workgroup_id_x 1
		.amdhsa_system_sgpr_workgroup_id_y 0
		.amdhsa_system_sgpr_workgroup_id_z 0
		.amdhsa_system_sgpr_workgroup_info 0
		.amdhsa_system_vgpr_workitem_id 0
		.amdhsa_next_free_vgpr 11
		.amdhsa_next_free_sgpr 20
		.amdhsa_accum_offset 12
		.amdhsa_reserve_vcc 1
		.amdhsa_float_round_mode_32 0
		.amdhsa_float_round_mode_16_64 0
		.amdhsa_float_denorm_mode_32 3
		.amdhsa_float_denorm_mode_16_64 3
		.amdhsa_dx10_clamp 1
		.amdhsa_ieee_mode 1
		.amdhsa_fp16_overflow 0
		.amdhsa_tg_split 0
		.amdhsa_exception_fp_ieee_invalid_op 0
		.amdhsa_exception_fp_denorm_src 0
		.amdhsa_exception_fp_ieee_div_zero 0
		.amdhsa_exception_fp_ieee_overflow 0
		.amdhsa_exception_fp_ieee_underflow 0
		.amdhsa_exception_fp_ieee_inexact 0
		.amdhsa_exception_int_div_zero 0
	.end_amdhsa_kernel
	.section	.text._ZN7rocprim17ROCPRIM_400000_NS6detail17trampoline_kernelINS0_14default_configENS1_25transform_config_selectorIsLb0EEEZNS1_14transform_implILb0ES3_S5_N6thrust23THRUST_200600_302600_NS10device_ptrIsEEPsNS0_8identityIsEEEE10hipError_tT2_T3_mT4_P12ihipStream_tbEUlT_E_NS1_11comp_targetILNS1_3genE0ELNS1_11target_archE4294967295ELNS1_3gpuE0ELNS1_3repE0EEENS1_30default_config_static_selectorELNS0_4arch9wavefront6targetE1EEEvT1_,"axG",@progbits,_ZN7rocprim17ROCPRIM_400000_NS6detail17trampoline_kernelINS0_14default_configENS1_25transform_config_selectorIsLb0EEEZNS1_14transform_implILb0ES3_S5_N6thrust23THRUST_200600_302600_NS10device_ptrIsEEPsNS0_8identityIsEEEE10hipError_tT2_T3_mT4_P12ihipStream_tbEUlT_E_NS1_11comp_targetILNS1_3genE0ELNS1_11target_archE4294967295ELNS1_3gpuE0ELNS1_3repE0EEENS1_30default_config_static_selectorELNS0_4arch9wavefront6targetE1EEEvT1_,comdat
.Lfunc_end2431:
	.size	_ZN7rocprim17ROCPRIM_400000_NS6detail17trampoline_kernelINS0_14default_configENS1_25transform_config_selectorIsLb0EEEZNS1_14transform_implILb0ES3_S5_N6thrust23THRUST_200600_302600_NS10device_ptrIsEEPsNS0_8identityIsEEEE10hipError_tT2_T3_mT4_P12ihipStream_tbEUlT_E_NS1_11comp_targetILNS1_3genE0ELNS1_11target_archE4294967295ELNS1_3gpuE0ELNS1_3repE0EEENS1_30default_config_static_selectorELNS0_4arch9wavefront6targetE1EEEvT1_, .Lfunc_end2431-_ZN7rocprim17ROCPRIM_400000_NS6detail17trampoline_kernelINS0_14default_configENS1_25transform_config_selectorIsLb0EEEZNS1_14transform_implILb0ES3_S5_N6thrust23THRUST_200600_302600_NS10device_ptrIsEEPsNS0_8identityIsEEEE10hipError_tT2_T3_mT4_P12ihipStream_tbEUlT_E_NS1_11comp_targetILNS1_3genE0ELNS1_11target_archE4294967295ELNS1_3gpuE0ELNS1_3repE0EEENS1_30default_config_static_selectorELNS0_4arch9wavefront6targetE1EEEvT1_
                                        ; -- End function
	.set _ZN7rocprim17ROCPRIM_400000_NS6detail17trampoline_kernelINS0_14default_configENS1_25transform_config_selectorIsLb0EEEZNS1_14transform_implILb0ES3_S5_N6thrust23THRUST_200600_302600_NS10device_ptrIsEEPsNS0_8identityIsEEEE10hipError_tT2_T3_mT4_P12ihipStream_tbEUlT_E_NS1_11comp_targetILNS1_3genE0ELNS1_11target_archE4294967295ELNS1_3gpuE0ELNS1_3repE0EEENS1_30default_config_static_selectorELNS0_4arch9wavefront6targetE1EEEvT1_.num_vgpr, 11
	.set _ZN7rocprim17ROCPRIM_400000_NS6detail17trampoline_kernelINS0_14default_configENS1_25transform_config_selectorIsLb0EEEZNS1_14transform_implILb0ES3_S5_N6thrust23THRUST_200600_302600_NS10device_ptrIsEEPsNS0_8identityIsEEEE10hipError_tT2_T3_mT4_P12ihipStream_tbEUlT_E_NS1_11comp_targetILNS1_3genE0ELNS1_11target_archE4294967295ELNS1_3gpuE0ELNS1_3repE0EEENS1_30default_config_static_selectorELNS0_4arch9wavefront6targetE1EEEvT1_.num_agpr, 0
	.set _ZN7rocprim17ROCPRIM_400000_NS6detail17trampoline_kernelINS0_14default_configENS1_25transform_config_selectorIsLb0EEEZNS1_14transform_implILb0ES3_S5_N6thrust23THRUST_200600_302600_NS10device_ptrIsEEPsNS0_8identityIsEEEE10hipError_tT2_T3_mT4_P12ihipStream_tbEUlT_E_NS1_11comp_targetILNS1_3genE0ELNS1_11target_archE4294967295ELNS1_3gpuE0ELNS1_3repE0EEENS1_30default_config_static_selectorELNS0_4arch9wavefront6targetE1EEEvT1_.numbered_sgpr, 20
	.set _ZN7rocprim17ROCPRIM_400000_NS6detail17trampoline_kernelINS0_14default_configENS1_25transform_config_selectorIsLb0EEEZNS1_14transform_implILb0ES3_S5_N6thrust23THRUST_200600_302600_NS10device_ptrIsEEPsNS0_8identityIsEEEE10hipError_tT2_T3_mT4_P12ihipStream_tbEUlT_E_NS1_11comp_targetILNS1_3genE0ELNS1_11target_archE4294967295ELNS1_3gpuE0ELNS1_3repE0EEENS1_30default_config_static_selectorELNS0_4arch9wavefront6targetE1EEEvT1_.num_named_barrier, 0
	.set _ZN7rocprim17ROCPRIM_400000_NS6detail17trampoline_kernelINS0_14default_configENS1_25transform_config_selectorIsLb0EEEZNS1_14transform_implILb0ES3_S5_N6thrust23THRUST_200600_302600_NS10device_ptrIsEEPsNS0_8identityIsEEEE10hipError_tT2_T3_mT4_P12ihipStream_tbEUlT_E_NS1_11comp_targetILNS1_3genE0ELNS1_11target_archE4294967295ELNS1_3gpuE0ELNS1_3repE0EEENS1_30default_config_static_selectorELNS0_4arch9wavefront6targetE1EEEvT1_.private_seg_size, 0
	.set _ZN7rocprim17ROCPRIM_400000_NS6detail17trampoline_kernelINS0_14default_configENS1_25transform_config_selectorIsLb0EEEZNS1_14transform_implILb0ES3_S5_N6thrust23THRUST_200600_302600_NS10device_ptrIsEEPsNS0_8identityIsEEEE10hipError_tT2_T3_mT4_P12ihipStream_tbEUlT_E_NS1_11comp_targetILNS1_3genE0ELNS1_11target_archE4294967295ELNS1_3gpuE0ELNS1_3repE0EEENS1_30default_config_static_selectorELNS0_4arch9wavefront6targetE1EEEvT1_.uses_vcc, 1
	.set _ZN7rocprim17ROCPRIM_400000_NS6detail17trampoline_kernelINS0_14default_configENS1_25transform_config_selectorIsLb0EEEZNS1_14transform_implILb0ES3_S5_N6thrust23THRUST_200600_302600_NS10device_ptrIsEEPsNS0_8identityIsEEEE10hipError_tT2_T3_mT4_P12ihipStream_tbEUlT_E_NS1_11comp_targetILNS1_3genE0ELNS1_11target_archE4294967295ELNS1_3gpuE0ELNS1_3repE0EEENS1_30default_config_static_selectorELNS0_4arch9wavefront6targetE1EEEvT1_.uses_flat_scratch, 0
	.set _ZN7rocprim17ROCPRIM_400000_NS6detail17trampoline_kernelINS0_14default_configENS1_25transform_config_selectorIsLb0EEEZNS1_14transform_implILb0ES3_S5_N6thrust23THRUST_200600_302600_NS10device_ptrIsEEPsNS0_8identityIsEEEE10hipError_tT2_T3_mT4_P12ihipStream_tbEUlT_E_NS1_11comp_targetILNS1_3genE0ELNS1_11target_archE4294967295ELNS1_3gpuE0ELNS1_3repE0EEENS1_30default_config_static_selectorELNS0_4arch9wavefront6targetE1EEEvT1_.has_dyn_sized_stack, 0
	.set _ZN7rocprim17ROCPRIM_400000_NS6detail17trampoline_kernelINS0_14default_configENS1_25transform_config_selectorIsLb0EEEZNS1_14transform_implILb0ES3_S5_N6thrust23THRUST_200600_302600_NS10device_ptrIsEEPsNS0_8identityIsEEEE10hipError_tT2_T3_mT4_P12ihipStream_tbEUlT_E_NS1_11comp_targetILNS1_3genE0ELNS1_11target_archE4294967295ELNS1_3gpuE0ELNS1_3repE0EEENS1_30default_config_static_selectorELNS0_4arch9wavefront6targetE1EEEvT1_.has_recursion, 0
	.set _ZN7rocprim17ROCPRIM_400000_NS6detail17trampoline_kernelINS0_14default_configENS1_25transform_config_selectorIsLb0EEEZNS1_14transform_implILb0ES3_S5_N6thrust23THRUST_200600_302600_NS10device_ptrIsEEPsNS0_8identityIsEEEE10hipError_tT2_T3_mT4_P12ihipStream_tbEUlT_E_NS1_11comp_targetILNS1_3genE0ELNS1_11target_archE4294967295ELNS1_3gpuE0ELNS1_3repE0EEENS1_30default_config_static_selectorELNS0_4arch9wavefront6targetE1EEEvT1_.has_indirect_call, 0
	.section	.AMDGPU.csdata,"",@progbits
; Kernel info:
; codeLenInByte = 676
; TotalNumSgprs: 26
; NumVgprs: 11
; NumAgprs: 0
; TotalNumVgprs: 11
; ScratchSize: 0
; MemoryBound: 0
; FloatMode: 240
; IeeeMode: 1
; LDSByteSize: 0 bytes/workgroup (compile time only)
; SGPRBlocks: 3
; VGPRBlocks: 1
; NumSGPRsForWavesPerEU: 26
; NumVGPRsForWavesPerEU: 11
; AccumOffset: 12
; Occupancy: 8
; WaveLimiterHint : 1
; COMPUTE_PGM_RSRC2:SCRATCH_EN: 0
; COMPUTE_PGM_RSRC2:USER_SGPR: 2
; COMPUTE_PGM_RSRC2:TRAP_HANDLER: 0
; COMPUTE_PGM_RSRC2:TGID_X_EN: 1
; COMPUTE_PGM_RSRC2:TGID_Y_EN: 0
; COMPUTE_PGM_RSRC2:TGID_Z_EN: 0
; COMPUTE_PGM_RSRC2:TIDIG_COMP_CNT: 0
; COMPUTE_PGM_RSRC3_GFX90A:ACCUM_OFFSET: 2
; COMPUTE_PGM_RSRC3_GFX90A:TG_SPLIT: 0
	.section	.text._ZN7rocprim17ROCPRIM_400000_NS6detail17trampoline_kernelINS0_14default_configENS1_25transform_config_selectorIsLb0EEEZNS1_14transform_implILb0ES3_S5_N6thrust23THRUST_200600_302600_NS10device_ptrIsEEPsNS0_8identityIsEEEE10hipError_tT2_T3_mT4_P12ihipStream_tbEUlT_E_NS1_11comp_targetILNS1_3genE5ELNS1_11target_archE942ELNS1_3gpuE9ELNS1_3repE0EEENS1_30default_config_static_selectorELNS0_4arch9wavefront6targetE1EEEvT1_,"axG",@progbits,_ZN7rocprim17ROCPRIM_400000_NS6detail17trampoline_kernelINS0_14default_configENS1_25transform_config_selectorIsLb0EEEZNS1_14transform_implILb0ES3_S5_N6thrust23THRUST_200600_302600_NS10device_ptrIsEEPsNS0_8identityIsEEEE10hipError_tT2_T3_mT4_P12ihipStream_tbEUlT_E_NS1_11comp_targetILNS1_3genE5ELNS1_11target_archE942ELNS1_3gpuE9ELNS1_3repE0EEENS1_30default_config_static_selectorELNS0_4arch9wavefront6targetE1EEEvT1_,comdat
	.protected	_ZN7rocprim17ROCPRIM_400000_NS6detail17trampoline_kernelINS0_14default_configENS1_25transform_config_selectorIsLb0EEEZNS1_14transform_implILb0ES3_S5_N6thrust23THRUST_200600_302600_NS10device_ptrIsEEPsNS0_8identityIsEEEE10hipError_tT2_T3_mT4_P12ihipStream_tbEUlT_E_NS1_11comp_targetILNS1_3genE5ELNS1_11target_archE942ELNS1_3gpuE9ELNS1_3repE0EEENS1_30default_config_static_selectorELNS0_4arch9wavefront6targetE1EEEvT1_ ; -- Begin function _ZN7rocprim17ROCPRIM_400000_NS6detail17trampoline_kernelINS0_14default_configENS1_25transform_config_selectorIsLb0EEEZNS1_14transform_implILb0ES3_S5_N6thrust23THRUST_200600_302600_NS10device_ptrIsEEPsNS0_8identityIsEEEE10hipError_tT2_T3_mT4_P12ihipStream_tbEUlT_E_NS1_11comp_targetILNS1_3genE5ELNS1_11target_archE942ELNS1_3gpuE9ELNS1_3repE0EEENS1_30default_config_static_selectorELNS0_4arch9wavefront6targetE1EEEvT1_
	.globl	_ZN7rocprim17ROCPRIM_400000_NS6detail17trampoline_kernelINS0_14default_configENS1_25transform_config_selectorIsLb0EEEZNS1_14transform_implILb0ES3_S5_N6thrust23THRUST_200600_302600_NS10device_ptrIsEEPsNS0_8identityIsEEEE10hipError_tT2_T3_mT4_P12ihipStream_tbEUlT_E_NS1_11comp_targetILNS1_3genE5ELNS1_11target_archE942ELNS1_3gpuE9ELNS1_3repE0EEENS1_30default_config_static_selectorELNS0_4arch9wavefront6targetE1EEEvT1_
	.p2align	8
	.type	_ZN7rocprim17ROCPRIM_400000_NS6detail17trampoline_kernelINS0_14default_configENS1_25transform_config_selectorIsLb0EEEZNS1_14transform_implILb0ES3_S5_N6thrust23THRUST_200600_302600_NS10device_ptrIsEEPsNS0_8identityIsEEEE10hipError_tT2_T3_mT4_P12ihipStream_tbEUlT_E_NS1_11comp_targetILNS1_3genE5ELNS1_11target_archE942ELNS1_3gpuE9ELNS1_3repE0EEENS1_30default_config_static_selectorELNS0_4arch9wavefront6targetE1EEEvT1_,@function
_ZN7rocprim17ROCPRIM_400000_NS6detail17trampoline_kernelINS0_14default_configENS1_25transform_config_selectorIsLb0EEEZNS1_14transform_implILb0ES3_S5_N6thrust23THRUST_200600_302600_NS10device_ptrIsEEPsNS0_8identityIsEEEE10hipError_tT2_T3_mT4_P12ihipStream_tbEUlT_E_NS1_11comp_targetILNS1_3genE5ELNS1_11target_archE942ELNS1_3gpuE9ELNS1_3repE0EEENS1_30default_config_static_selectorELNS0_4arch9wavefront6targetE1EEEvT1_: ; @_ZN7rocprim17ROCPRIM_400000_NS6detail17trampoline_kernelINS0_14default_configENS1_25transform_config_selectorIsLb0EEEZNS1_14transform_implILb0ES3_S5_N6thrust23THRUST_200600_302600_NS10device_ptrIsEEPsNS0_8identityIsEEEE10hipError_tT2_T3_mT4_P12ihipStream_tbEUlT_E_NS1_11comp_targetILNS1_3genE5ELNS1_11target_archE942ELNS1_3gpuE9ELNS1_3repE0EEENS1_30default_config_static_selectorELNS0_4arch9wavefront6targetE1EEEvT1_
; %bb.0:
	.section	.rodata,"a",@progbits
	.p2align	6, 0x0
	.amdhsa_kernel _ZN7rocprim17ROCPRIM_400000_NS6detail17trampoline_kernelINS0_14default_configENS1_25transform_config_selectorIsLb0EEEZNS1_14transform_implILb0ES3_S5_N6thrust23THRUST_200600_302600_NS10device_ptrIsEEPsNS0_8identityIsEEEE10hipError_tT2_T3_mT4_P12ihipStream_tbEUlT_E_NS1_11comp_targetILNS1_3genE5ELNS1_11target_archE942ELNS1_3gpuE9ELNS1_3repE0EEENS1_30default_config_static_selectorELNS0_4arch9wavefront6targetE1EEEvT1_
		.amdhsa_group_segment_fixed_size 0
		.amdhsa_private_segment_fixed_size 0
		.amdhsa_kernarg_size 40
		.amdhsa_user_sgpr_count 2
		.amdhsa_user_sgpr_dispatch_ptr 0
		.amdhsa_user_sgpr_queue_ptr 0
		.amdhsa_user_sgpr_kernarg_segment_ptr 1
		.amdhsa_user_sgpr_dispatch_id 0
		.amdhsa_user_sgpr_kernarg_preload_length 0
		.amdhsa_user_sgpr_kernarg_preload_offset 0
		.amdhsa_user_sgpr_private_segment_size 0
		.amdhsa_uses_dynamic_stack 0
		.amdhsa_enable_private_segment 0
		.amdhsa_system_sgpr_workgroup_id_x 1
		.amdhsa_system_sgpr_workgroup_id_y 0
		.amdhsa_system_sgpr_workgroup_id_z 0
		.amdhsa_system_sgpr_workgroup_info 0
		.amdhsa_system_vgpr_workitem_id 0
		.amdhsa_next_free_vgpr 1
		.amdhsa_next_free_sgpr 0
		.amdhsa_accum_offset 4
		.amdhsa_reserve_vcc 0
		.amdhsa_float_round_mode_32 0
		.amdhsa_float_round_mode_16_64 0
		.amdhsa_float_denorm_mode_32 3
		.amdhsa_float_denorm_mode_16_64 3
		.amdhsa_dx10_clamp 1
		.amdhsa_ieee_mode 1
		.amdhsa_fp16_overflow 0
		.amdhsa_tg_split 0
		.amdhsa_exception_fp_ieee_invalid_op 0
		.amdhsa_exception_fp_denorm_src 0
		.amdhsa_exception_fp_ieee_div_zero 0
		.amdhsa_exception_fp_ieee_overflow 0
		.amdhsa_exception_fp_ieee_underflow 0
		.amdhsa_exception_fp_ieee_inexact 0
		.amdhsa_exception_int_div_zero 0
	.end_amdhsa_kernel
	.section	.text._ZN7rocprim17ROCPRIM_400000_NS6detail17trampoline_kernelINS0_14default_configENS1_25transform_config_selectorIsLb0EEEZNS1_14transform_implILb0ES3_S5_N6thrust23THRUST_200600_302600_NS10device_ptrIsEEPsNS0_8identityIsEEEE10hipError_tT2_T3_mT4_P12ihipStream_tbEUlT_E_NS1_11comp_targetILNS1_3genE5ELNS1_11target_archE942ELNS1_3gpuE9ELNS1_3repE0EEENS1_30default_config_static_selectorELNS0_4arch9wavefront6targetE1EEEvT1_,"axG",@progbits,_ZN7rocprim17ROCPRIM_400000_NS6detail17trampoline_kernelINS0_14default_configENS1_25transform_config_selectorIsLb0EEEZNS1_14transform_implILb0ES3_S5_N6thrust23THRUST_200600_302600_NS10device_ptrIsEEPsNS0_8identityIsEEEE10hipError_tT2_T3_mT4_P12ihipStream_tbEUlT_E_NS1_11comp_targetILNS1_3genE5ELNS1_11target_archE942ELNS1_3gpuE9ELNS1_3repE0EEENS1_30default_config_static_selectorELNS0_4arch9wavefront6targetE1EEEvT1_,comdat
.Lfunc_end2432:
	.size	_ZN7rocprim17ROCPRIM_400000_NS6detail17trampoline_kernelINS0_14default_configENS1_25transform_config_selectorIsLb0EEEZNS1_14transform_implILb0ES3_S5_N6thrust23THRUST_200600_302600_NS10device_ptrIsEEPsNS0_8identityIsEEEE10hipError_tT2_T3_mT4_P12ihipStream_tbEUlT_E_NS1_11comp_targetILNS1_3genE5ELNS1_11target_archE942ELNS1_3gpuE9ELNS1_3repE0EEENS1_30default_config_static_selectorELNS0_4arch9wavefront6targetE1EEEvT1_, .Lfunc_end2432-_ZN7rocprim17ROCPRIM_400000_NS6detail17trampoline_kernelINS0_14default_configENS1_25transform_config_selectorIsLb0EEEZNS1_14transform_implILb0ES3_S5_N6thrust23THRUST_200600_302600_NS10device_ptrIsEEPsNS0_8identityIsEEEE10hipError_tT2_T3_mT4_P12ihipStream_tbEUlT_E_NS1_11comp_targetILNS1_3genE5ELNS1_11target_archE942ELNS1_3gpuE9ELNS1_3repE0EEENS1_30default_config_static_selectorELNS0_4arch9wavefront6targetE1EEEvT1_
                                        ; -- End function
	.set _ZN7rocprim17ROCPRIM_400000_NS6detail17trampoline_kernelINS0_14default_configENS1_25transform_config_selectorIsLb0EEEZNS1_14transform_implILb0ES3_S5_N6thrust23THRUST_200600_302600_NS10device_ptrIsEEPsNS0_8identityIsEEEE10hipError_tT2_T3_mT4_P12ihipStream_tbEUlT_E_NS1_11comp_targetILNS1_3genE5ELNS1_11target_archE942ELNS1_3gpuE9ELNS1_3repE0EEENS1_30default_config_static_selectorELNS0_4arch9wavefront6targetE1EEEvT1_.num_vgpr, 0
	.set _ZN7rocprim17ROCPRIM_400000_NS6detail17trampoline_kernelINS0_14default_configENS1_25transform_config_selectorIsLb0EEEZNS1_14transform_implILb0ES3_S5_N6thrust23THRUST_200600_302600_NS10device_ptrIsEEPsNS0_8identityIsEEEE10hipError_tT2_T3_mT4_P12ihipStream_tbEUlT_E_NS1_11comp_targetILNS1_3genE5ELNS1_11target_archE942ELNS1_3gpuE9ELNS1_3repE0EEENS1_30default_config_static_selectorELNS0_4arch9wavefront6targetE1EEEvT1_.num_agpr, 0
	.set _ZN7rocprim17ROCPRIM_400000_NS6detail17trampoline_kernelINS0_14default_configENS1_25transform_config_selectorIsLb0EEEZNS1_14transform_implILb0ES3_S5_N6thrust23THRUST_200600_302600_NS10device_ptrIsEEPsNS0_8identityIsEEEE10hipError_tT2_T3_mT4_P12ihipStream_tbEUlT_E_NS1_11comp_targetILNS1_3genE5ELNS1_11target_archE942ELNS1_3gpuE9ELNS1_3repE0EEENS1_30default_config_static_selectorELNS0_4arch9wavefront6targetE1EEEvT1_.numbered_sgpr, 0
	.set _ZN7rocprim17ROCPRIM_400000_NS6detail17trampoline_kernelINS0_14default_configENS1_25transform_config_selectorIsLb0EEEZNS1_14transform_implILb0ES3_S5_N6thrust23THRUST_200600_302600_NS10device_ptrIsEEPsNS0_8identityIsEEEE10hipError_tT2_T3_mT4_P12ihipStream_tbEUlT_E_NS1_11comp_targetILNS1_3genE5ELNS1_11target_archE942ELNS1_3gpuE9ELNS1_3repE0EEENS1_30default_config_static_selectorELNS0_4arch9wavefront6targetE1EEEvT1_.num_named_barrier, 0
	.set _ZN7rocprim17ROCPRIM_400000_NS6detail17trampoline_kernelINS0_14default_configENS1_25transform_config_selectorIsLb0EEEZNS1_14transform_implILb0ES3_S5_N6thrust23THRUST_200600_302600_NS10device_ptrIsEEPsNS0_8identityIsEEEE10hipError_tT2_T3_mT4_P12ihipStream_tbEUlT_E_NS1_11comp_targetILNS1_3genE5ELNS1_11target_archE942ELNS1_3gpuE9ELNS1_3repE0EEENS1_30default_config_static_selectorELNS0_4arch9wavefront6targetE1EEEvT1_.private_seg_size, 0
	.set _ZN7rocprim17ROCPRIM_400000_NS6detail17trampoline_kernelINS0_14default_configENS1_25transform_config_selectorIsLb0EEEZNS1_14transform_implILb0ES3_S5_N6thrust23THRUST_200600_302600_NS10device_ptrIsEEPsNS0_8identityIsEEEE10hipError_tT2_T3_mT4_P12ihipStream_tbEUlT_E_NS1_11comp_targetILNS1_3genE5ELNS1_11target_archE942ELNS1_3gpuE9ELNS1_3repE0EEENS1_30default_config_static_selectorELNS0_4arch9wavefront6targetE1EEEvT1_.uses_vcc, 0
	.set _ZN7rocprim17ROCPRIM_400000_NS6detail17trampoline_kernelINS0_14default_configENS1_25transform_config_selectorIsLb0EEEZNS1_14transform_implILb0ES3_S5_N6thrust23THRUST_200600_302600_NS10device_ptrIsEEPsNS0_8identityIsEEEE10hipError_tT2_T3_mT4_P12ihipStream_tbEUlT_E_NS1_11comp_targetILNS1_3genE5ELNS1_11target_archE942ELNS1_3gpuE9ELNS1_3repE0EEENS1_30default_config_static_selectorELNS0_4arch9wavefront6targetE1EEEvT1_.uses_flat_scratch, 0
	.set _ZN7rocprim17ROCPRIM_400000_NS6detail17trampoline_kernelINS0_14default_configENS1_25transform_config_selectorIsLb0EEEZNS1_14transform_implILb0ES3_S5_N6thrust23THRUST_200600_302600_NS10device_ptrIsEEPsNS0_8identityIsEEEE10hipError_tT2_T3_mT4_P12ihipStream_tbEUlT_E_NS1_11comp_targetILNS1_3genE5ELNS1_11target_archE942ELNS1_3gpuE9ELNS1_3repE0EEENS1_30default_config_static_selectorELNS0_4arch9wavefront6targetE1EEEvT1_.has_dyn_sized_stack, 0
	.set _ZN7rocprim17ROCPRIM_400000_NS6detail17trampoline_kernelINS0_14default_configENS1_25transform_config_selectorIsLb0EEEZNS1_14transform_implILb0ES3_S5_N6thrust23THRUST_200600_302600_NS10device_ptrIsEEPsNS0_8identityIsEEEE10hipError_tT2_T3_mT4_P12ihipStream_tbEUlT_E_NS1_11comp_targetILNS1_3genE5ELNS1_11target_archE942ELNS1_3gpuE9ELNS1_3repE0EEENS1_30default_config_static_selectorELNS0_4arch9wavefront6targetE1EEEvT1_.has_recursion, 0
	.set _ZN7rocprim17ROCPRIM_400000_NS6detail17trampoline_kernelINS0_14default_configENS1_25transform_config_selectorIsLb0EEEZNS1_14transform_implILb0ES3_S5_N6thrust23THRUST_200600_302600_NS10device_ptrIsEEPsNS0_8identityIsEEEE10hipError_tT2_T3_mT4_P12ihipStream_tbEUlT_E_NS1_11comp_targetILNS1_3genE5ELNS1_11target_archE942ELNS1_3gpuE9ELNS1_3repE0EEENS1_30default_config_static_selectorELNS0_4arch9wavefront6targetE1EEEvT1_.has_indirect_call, 0
	.section	.AMDGPU.csdata,"",@progbits
; Kernel info:
; codeLenInByte = 0
; TotalNumSgprs: 6
; NumVgprs: 0
; NumAgprs: 0
; TotalNumVgprs: 0
; ScratchSize: 0
; MemoryBound: 0
; FloatMode: 240
; IeeeMode: 1
; LDSByteSize: 0 bytes/workgroup (compile time only)
; SGPRBlocks: 0
; VGPRBlocks: 0
; NumSGPRsForWavesPerEU: 6
; NumVGPRsForWavesPerEU: 1
; AccumOffset: 4
; Occupancy: 8
; WaveLimiterHint : 0
; COMPUTE_PGM_RSRC2:SCRATCH_EN: 0
; COMPUTE_PGM_RSRC2:USER_SGPR: 2
; COMPUTE_PGM_RSRC2:TRAP_HANDLER: 0
; COMPUTE_PGM_RSRC2:TGID_X_EN: 1
; COMPUTE_PGM_RSRC2:TGID_Y_EN: 0
; COMPUTE_PGM_RSRC2:TGID_Z_EN: 0
; COMPUTE_PGM_RSRC2:TIDIG_COMP_CNT: 0
; COMPUTE_PGM_RSRC3_GFX90A:ACCUM_OFFSET: 0
; COMPUTE_PGM_RSRC3_GFX90A:TG_SPLIT: 0
	.section	.text._ZN7rocprim17ROCPRIM_400000_NS6detail17trampoline_kernelINS0_14default_configENS1_25transform_config_selectorIsLb0EEEZNS1_14transform_implILb0ES3_S5_N6thrust23THRUST_200600_302600_NS10device_ptrIsEEPsNS0_8identityIsEEEE10hipError_tT2_T3_mT4_P12ihipStream_tbEUlT_E_NS1_11comp_targetILNS1_3genE4ELNS1_11target_archE910ELNS1_3gpuE8ELNS1_3repE0EEENS1_30default_config_static_selectorELNS0_4arch9wavefront6targetE1EEEvT1_,"axG",@progbits,_ZN7rocprim17ROCPRIM_400000_NS6detail17trampoline_kernelINS0_14default_configENS1_25transform_config_selectorIsLb0EEEZNS1_14transform_implILb0ES3_S5_N6thrust23THRUST_200600_302600_NS10device_ptrIsEEPsNS0_8identityIsEEEE10hipError_tT2_T3_mT4_P12ihipStream_tbEUlT_E_NS1_11comp_targetILNS1_3genE4ELNS1_11target_archE910ELNS1_3gpuE8ELNS1_3repE0EEENS1_30default_config_static_selectorELNS0_4arch9wavefront6targetE1EEEvT1_,comdat
	.protected	_ZN7rocprim17ROCPRIM_400000_NS6detail17trampoline_kernelINS0_14default_configENS1_25transform_config_selectorIsLb0EEEZNS1_14transform_implILb0ES3_S5_N6thrust23THRUST_200600_302600_NS10device_ptrIsEEPsNS0_8identityIsEEEE10hipError_tT2_T3_mT4_P12ihipStream_tbEUlT_E_NS1_11comp_targetILNS1_3genE4ELNS1_11target_archE910ELNS1_3gpuE8ELNS1_3repE0EEENS1_30default_config_static_selectorELNS0_4arch9wavefront6targetE1EEEvT1_ ; -- Begin function _ZN7rocprim17ROCPRIM_400000_NS6detail17trampoline_kernelINS0_14default_configENS1_25transform_config_selectorIsLb0EEEZNS1_14transform_implILb0ES3_S5_N6thrust23THRUST_200600_302600_NS10device_ptrIsEEPsNS0_8identityIsEEEE10hipError_tT2_T3_mT4_P12ihipStream_tbEUlT_E_NS1_11comp_targetILNS1_3genE4ELNS1_11target_archE910ELNS1_3gpuE8ELNS1_3repE0EEENS1_30default_config_static_selectorELNS0_4arch9wavefront6targetE1EEEvT1_
	.globl	_ZN7rocprim17ROCPRIM_400000_NS6detail17trampoline_kernelINS0_14default_configENS1_25transform_config_selectorIsLb0EEEZNS1_14transform_implILb0ES3_S5_N6thrust23THRUST_200600_302600_NS10device_ptrIsEEPsNS0_8identityIsEEEE10hipError_tT2_T3_mT4_P12ihipStream_tbEUlT_E_NS1_11comp_targetILNS1_3genE4ELNS1_11target_archE910ELNS1_3gpuE8ELNS1_3repE0EEENS1_30default_config_static_selectorELNS0_4arch9wavefront6targetE1EEEvT1_
	.p2align	8
	.type	_ZN7rocprim17ROCPRIM_400000_NS6detail17trampoline_kernelINS0_14default_configENS1_25transform_config_selectorIsLb0EEEZNS1_14transform_implILb0ES3_S5_N6thrust23THRUST_200600_302600_NS10device_ptrIsEEPsNS0_8identityIsEEEE10hipError_tT2_T3_mT4_P12ihipStream_tbEUlT_E_NS1_11comp_targetILNS1_3genE4ELNS1_11target_archE910ELNS1_3gpuE8ELNS1_3repE0EEENS1_30default_config_static_selectorELNS0_4arch9wavefront6targetE1EEEvT1_,@function
_ZN7rocprim17ROCPRIM_400000_NS6detail17trampoline_kernelINS0_14default_configENS1_25transform_config_selectorIsLb0EEEZNS1_14transform_implILb0ES3_S5_N6thrust23THRUST_200600_302600_NS10device_ptrIsEEPsNS0_8identityIsEEEE10hipError_tT2_T3_mT4_P12ihipStream_tbEUlT_E_NS1_11comp_targetILNS1_3genE4ELNS1_11target_archE910ELNS1_3gpuE8ELNS1_3repE0EEENS1_30default_config_static_selectorELNS0_4arch9wavefront6targetE1EEEvT1_: ; @_ZN7rocprim17ROCPRIM_400000_NS6detail17trampoline_kernelINS0_14default_configENS1_25transform_config_selectorIsLb0EEEZNS1_14transform_implILb0ES3_S5_N6thrust23THRUST_200600_302600_NS10device_ptrIsEEPsNS0_8identityIsEEEE10hipError_tT2_T3_mT4_P12ihipStream_tbEUlT_E_NS1_11comp_targetILNS1_3genE4ELNS1_11target_archE910ELNS1_3gpuE8ELNS1_3repE0EEENS1_30default_config_static_selectorELNS0_4arch9wavefront6targetE1EEEvT1_
; %bb.0:
	.section	.rodata,"a",@progbits
	.p2align	6, 0x0
	.amdhsa_kernel _ZN7rocprim17ROCPRIM_400000_NS6detail17trampoline_kernelINS0_14default_configENS1_25transform_config_selectorIsLb0EEEZNS1_14transform_implILb0ES3_S5_N6thrust23THRUST_200600_302600_NS10device_ptrIsEEPsNS0_8identityIsEEEE10hipError_tT2_T3_mT4_P12ihipStream_tbEUlT_E_NS1_11comp_targetILNS1_3genE4ELNS1_11target_archE910ELNS1_3gpuE8ELNS1_3repE0EEENS1_30default_config_static_selectorELNS0_4arch9wavefront6targetE1EEEvT1_
		.amdhsa_group_segment_fixed_size 0
		.amdhsa_private_segment_fixed_size 0
		.amdhsa_kernarg_size 40
		.amdhsa_user_sgpr_count 2
		.amdhsa_user_sgpr_dispatch_ptr 0
		.amdhsa_user_sgpr_queue_ptr 0
		.amdhsa_user_sgpr_kernarg_segment_ptr 1
		.amdhsa_user_sgpr_dispatch_id 0
		.amdhsa_user_sgpr_kernarg_preload_length 0
		.amdhsa_user_sgpr_kernarg_preload_offset 0
		.amdhsa_user_sgpr_private_segment_size 0
		.amdhsa_uses_dynamic_stack 0
		.amdhsa_enable_private_segment 0
		.amdhsa_system_sgpr_workgroup_id_x 1
		.amdhsa_system_sgpr_workgroup_id_y 0
		.amdhsa_system_sgpr_workgroup_id_z 0
		.amdhsa_system_sgpr_workgroup_info 0
		.amdhsa_system_vgpr_workitem_id 0
		.amdhsa_next_free_vgpr 1
		.amdhsa_next_free_sgpr 0
		.amdhsa_accum_offset 4
		.amdhsa_reserve_vcc 0
		.amdhsa_float_round_mode_32 0
		.amdhsa_float_round_mode_16_64 0
		.amdhsa_float_denorm_mode_32 3
		.amdhsa_float_denorm_mode_16_64 3
		.amdhsa_dx10_clamp 1
		.amdhsa_ieee_mode 1
		.amdhsa_fp16_overflow 0
		.amdhsa_tg_split 0
		.amdhsa_exception_fp_ieee_invalid_op 0
		.amdhsa_exception_fp_denorm_src 0
		.amdhsa_exception_fp_ieee_div_zero 0
		.amdhsa_exception_fp_ieee_overflow 0
		.amdhsa_exception_fp_ieee_underflow 0
		.amdhsa_exception_fp_ieee_inexact 0
		.amdhsa_exception_int_div_zero 0
	.end_amdhsa_kernel
	.section	.text._ZN7rocprim17ROCPRIM_400000_NS6detail17trampoline_kernelINS0_14default_configENS1_25transform_config_selectorIsLb0EEEZNS1_14transform_implILb0ES3_S5_N6thrust23THRUST_200600_302600_NS10device_ptrIsEEPsNS0_8identityIsEEEE10hipError_tT2_T3_mT4_P12ihipStream_tbEUlT_E_NS1_11comp_targetILNS1_3genE4ELNS1_11target_archE910ELNS1_3gpuE8ELNS1_3repE0EEENS1_30default_config_static_selectorELNS0_4arch9wavefront6targetE1EEEvT1_,"axG",@progbits,_ZN7rocprim17ROCPRIM_400000_NS6detail17trampoline_kernelINS0_14default_configENS1_25transform_config_selectorIsLb0EEEZNS1_14transform_implILb0ES3_S5_N6thrust23THRUST_200600_302600_NS10device_ptrIsEEPsNS0_8identityIsEEEE10hipError_tT2_T3_mT4_P12ihipStream_tbEUlT_E_NS1_11comp_targetILNS1_3genE4ELNS1_11target_archE910ELNS1_3gpuE8ELNS1_3repE0EEENS1_30default_config_static_selectorELNS0_4arch9wavefront6targetE1EEEvT1_,comdat
.Lfunc_end2433:
	.size	_ZN7rocprim17ROCPRIM_400000_NS6detail17trampoline_kernelINS0_14default_configENS1_25transform_config_selectorIsLb0EEEZNS1_14transform_implILb0ES3_S5_N6thrust23THRUST_200600_302600_NS10device_ptrIsEEPsNS0_8identityIsEEEE10hipError_tT2_T3_mT4_P12ihipStream_tbEUlT_E_NS1_11comp_targetILNS1_3genE4ELNS1_11target_archE910ELNS1_3gpuE8ELNS1_3repE0EEENS1_30default_config_static_selectorELNS0_4arch9wavefront6targetE1EEEvT1_, .Lfunc_end2433-_ZN7rocprim17ROCPRIM_400000_NS6detail17trampoline_kernelINS0_14default_configENS1_25transform_config_selectorIsLb0EEEZNS1_14transform_implILb0ES3_S5_N6thrust23THRUST_200600_302600_NS10device_ptrIsEEPsNS0_8identityIsEEEE10hipError_tT2_T3_mT4_P12ihipStream_tbEUlT_E_NS1_11comp_targetILNS1_3genE4ELNS1_11target_archE910ELNS1_3gpuE8ELNS1_3repE0EEENS1_30default_config_static_selectorELNS0_4arch9wavefront6targetE1EEEvT1_
                                        ; -- End function
	.set _ZN7rocprim17ROCPRIM_400000_NS6detail17trampoline_kernelINS0_14default_configENS1_25transform_config_selectorIsLb0EEEZNS1_14transform_implILb0ES3_S5_N6thrust23THRUST_200600_302600_NS10device_ptrIsEEPsNS0_8identityIsEEEE10hipError_tT2_T3_mT4_P12ihipStream_tbEUlT_E_NS1_11comp_targetILNS1_3genE4ELNS1_11target_archE910ELNS1_3gpuE8ELNS1_3repE0EEENS1_30default_config_static_selectorELNS0_4arch9wavefront6targetE1EEEvT1_.num_vgpr, 0
	.set _ZN7rocprim17ROCPRIM_400000_NS6detail17trampoline_kernelINS0_14default_configENS1_25transform_config_selectorIsLb0EEEZNS1_14transform_implILb0ES3_S5_N6thrust23THRUST_200600_302600_NS10device_ptrIsEEPsNS0_8identityIsEEEE10hipError_tT2_T3_mT4_P12ihipStream_tbEUlT_E_NS1_11comp_targetILNS1_3genE4ELNS1_11target_archE910ELNS1_3gpuE8ELNS1_3repE0EEENS1_30default_config_static_selectorELNS0_4arch9wavefront6targetE1EEEvT1_.num_agpr, 0
	.set _ZN7rocprim17ROCPRIM_400000_NS6detail17trampoline_kernelINS0_14default_configENS1_25transform_config_selectorIsLb0EEEZNS1_14transform_implILb0ES3_S5_N6thrust23THRUST_200600_302600_NS10device_ptrIsEEPsNS0_8identityIsEEEE10hipError_tT2_T3_mT4_P12ihipStream_tbEUlT_E_NS1_11comp_targetILNS1_3genE4ELNS1_11target_archE910ELNS1_3gpuE8ELNS1_3repE0EEENS1_30default_config_static_selectorELNS0_4arch9wavefront6targetE1EEEvT1_.numbered_sgpr, 0
	.set _ZN7rocprim17ROCPRIM_400000_NS6detail17trampoline_kernelINS0_14default_configENS1_25transform_config_selectorIsLb0EEEZNS1_14transform_implILb0ES3_S5_N6thrust23THRUST_200600_302600_NS10device_ptrIsEEPsNS0_8identityIsEEEE10hipError_tT2_T3_mT4_P12ihipStream_tbEUlT_E_NS1_11comp_targetILNS1_3genE4ELNS1_11target_archE910ELNS1_3gpuE8ELNS1_3repE0EEENS1_30default_config_static_selectorELNS0_4arch9wavefront6targetE1EEEvT1_.num_named_barrier, 0
	.set _ZN7rocprim17ROCPRIM_400000_NS6detail17trampoline_kernelINS0_14default_configENS1_25transform_config_selectorIsLb0EEEZNS1_14transform_implILb0ES3_S5_N6thrust23THRUST_200600_302600_NS10device_ptrIsEEPsNS0_8identityIsEEEE10hipError_tT2_T3_mT4_P12ihipStream_tbEUlT_E_NS1_11comp_targetILNS1_3genE4ELNS1_11target_archE910ELNS1_3gpuE8ELNS1_3repE0EEENS1_30default_config_static_selectorELNS0_4arch9wavefront6targetE1EEEvT1_.private_seg_size, 0
	.set _ZN7rocprim17ROCPRIM_400000_NS6detail17trampoline_kernelINS0_14default_configENS1_25transform_config_selectorIsLb0EEEZNS1_14transform_implILb0ES3_S5_N6thrust23THRUST_200600_302600_NS10device_ptrIsEEPsNS0_8identityIsEEEE10hipError_tT2_T3_mT4_P12ihipStream_tbEUlT_E_NS1_11comp_targetILNS1_3genE4ELNS1_11target_archE910ELNS1_3gpuE8ELNS1_3repE0EEENS1_30default_config_static_selectorELNS0_4arch9wavefront6targetE1EEEvT1_.uses_vcc, 0
	.set _ZN7rocprim17ROCPRIM_400000_NS6detail17trampoline_kernelINS0_14default_configENS1_25transform_config_selectorIsLb0EEEZNS1_14transform_implILb0ES3_S5_N6thrust23THRUST_200600_302600_NS10device_ptrIsEEPsNS0_8identityIsEEEE10hipError_tT2_T3_mT4_P12ihipStream_tbEUlT_E_NS1_11comp_targetILNS1_3genE4ELNS1_11target_archE910ELNS1_3gpuE8ELNS1_3repE0EEENS1_30default_config_static_selectorELNS0_4arch9wavefront6targetE1EEEvT1_.uses_flat_scratch, 0
	.set _ZN7rocprim17ROCPRIM_400000_NS6detail17trampoline_kernelINS0_14default_configENS1_25transform_config_selectorIsLb0EEEZNS1_14transform_implILb0ES3_S5_N6thrust23THRUST_200600_302600_NS10device_ptrIsEEPsNS0_8identityIsEEEE10hipError_tT2_T3_mT4_P12ihipStream_tbEUlT_E_NS1_11comp_targetILNS1_3genE4ELNS1_11target_archE910ELNS1_3gpuE8ELNS1_3repE0EEENS1_30default_config_static_selectorELNS0_4arch9wavefront6targetE1EEEvT1_.has_dyn_sized_stack, 0
	.set _ZN7rocprim17ROCPRIM_400000_NS6detail17trampoline_kernelINS0_14default_configENS1_25transform_config_selectorIsLb0EEEZNS1_14transform_implILb0ES3_S5_N6thrust23THRUST_200600_302600_NS10device_ptrIsEEPsNS0_8identityIsEEEE10hipError_tT2_T3_mT4_P12ihipStream_tbEUlT_E_NS1_11comp_targetILNS1_3genE4ELNS1_11target_archE910ELNS1_3gpuE8ELNS1_3repE0EEENS1_30default_config_static_selectorELNS0_4arch9wavefront6targetE1EEEvT1_.has_recursion, 0
	.set _ZN7rocprim17ROCPRIM_400000_NS6detail17trampoline_kernelINS0_14default_configENS1_25transform_config_selectorIsLb0EEEZNS1_14transform_implILb0ES3_S5_N6thrust23THRUST_200600_302600_NS10device_ptrIsEEPsNS0_8identityIsEEEE10hipError_tT2_T3_mT4_P12ihipStream_tbEUlT_E_NS1_11comp_targetILNS1_3genE4ELNS1_11target_archE910ELNS1_3gpuE8ELNS1_3repE0EEENS1_30default_config_static_selectorELNS0_4arch9wavefront6targetE1EEEvT1_.has_indirect_call, 0
	.section	.AMDGPU.csdata,"",@progbits
; Kernel info:
; codeLenInByte = 0
; TotalNumSgprs: 6
; NumVgprs: 0
; NumAgprs: 0
; TotalNumVgprs: 0
; ScratchSize: 0
; MemoryBound: 0
; FloatMode: 240
; IeeeMode: 1
; LDSByteSize: 0 bytes/workgroup (compile time only)
; SGPRBlocks: 0
; VGPRBlocks: 0
; NumSGPRsForWavesPerEU: 6
; NumVGPRsForWavesPerEU: 1
; AccumOffset: 4
; Occupancy: 8
; WaveLimiterHint : 0
; COMPUTE_PGM_RSRC2:SCRATCH_EN: 0
; COMPUTE_PGM_RSRC2:USER_SGPR: 2
; COMPUTE_PGM_RSRC2:TRAP_HANDLER: 0
; COMPUTE_PGM_RSRC2:TGID_X_EN: 1
; COMPUTE_PGM_RSRC2:TGID_Y_EN: 0
; COMPUTE_PGM_RSRC2:TGID_Z_EN: 0
; COMPUTE_PGM_RSRC2:TIDIG_COMP_CNT: 0
; COMPUTE_PGM_RSRC3_GFX90A:ACCUM_OFFSET: 0
; COMPUTE_PGM_RSRC3_GFX90A:TG_SPLIT: 0
	.section	.text._ZN7rocprim17ROCPRIM_400000_NS6detail17trampoline_kernelINS0_14default_configENS1_25transform_config_selectorIsLb0EEEZNS1_14transform_implILb0ES3_S5_N6thrust23THRUST_200600_302600_NS10device_ptrIsEEPsNS0_8identityIsEEEE10hipError_tT2_T3_mT4_P12ihipStream_tbEUlT_E_NS1_11comp_targetILNS1_3genE3ELNS1_11target_archE908ELNS1_3gpuE7ELNS1_3repE0EEENS1_30default_config_static_selectorELNS0_4arch9wavefront6targetE1EEEvT1_,"axG",@progbits,_ZN7rocprim17ROCPRIM_400000_NS6detail17trampoline_kernelINS0_14default_configENS1_25transform_config_selectorIsLb0EEEZNS1_14transform_implILb0ES3_S5_N6thrust23THRUST_200600_302600_NS10device_ptrIsEEPsNS0_8identityIsEEEE10hipError_tT2_T3_mT4_P12ihipStream_tbEUlT_E_NS1_11comp_targetILNS1_3genE3ELNS1_11target_archE908ELNS1_3gpuE7ELNS1_3repE0EEENS1_30default_config_static_selectorELNS0_4arch9wavefront6targetE1EEEvT1_,comdat
	.protected	_ZN7rocprim17ROCPRIM_400000_NS6detail17trampoline_kernelINS0_14default_configENS1_25transform_config_selectorIsLb0EEEZNS1_14transform_implILb0ES3_S5_N6thrust23THRUST_200600_302600_NS10device_ptrIsEEPsNS0_8identityIsEEEE10hipError_tT2_T3_mT4_P12ihipStream_tbEUlT_E_NS1_11comp_targetILNS1_3genE3ELNS1_11target_archE908ELNS1_3gpuE7ELNS1_3repE0EEENS1_30default_config_static_selectorELNS0_4arch9wavefront6targetE1EEEvT1_ ; -- Begin function _ZN7rocprim17ROCPRIM_400000_NS6detail17trampoline_kernelINS0_14default_configENS1_25transform_config_selectorIsLb0EEEZNS1_14transform_implILb0ES3_S5_N6thrust23THRUST_200600_302600_NS10device_ptrIsEEPsNS0_8identityIsEEEE10hipError_tT2_T3_mT4_P12ihipStream_tbEUlT_E_NS1_11comp_targetILNS1_3genE3ELNS1_11target_archE908ELNS1_3gpuE7ELNS1_3repE0EEENS1_30default_config_static_selectorELNS0_4arch9wavefront6targetE1EEEvT1_
	.globl	_ZN7rocprim17ROCPRIM_400000_NS6detail17trampoline_kernelINS0_14default_configENS1_25transform_config_selectorIsLb0EEEZNS1_14transform_implILb0ES3_S5_N6thrust23THRUST_200600_302600_NS10device_ptrIsEEPsNS0_8identityIsEEEE10hipError_tT2_T3_mT4_P12ihipStream_tbEUlT_E_NS1_11comp_targetILNS1_3genE3ELNS1_11target_archE908ELNS1_3gpuE7ELNS1_3repE0EEENS1_30default_config_static_selectorELNS0_4arch9wavefront6targetE1EEEvT1_
	.p2align	8
	.type	_ZN7rocprim17ROCPRIM_400000_NS6detail17trampoline_kernelINS0_14default_configENS1_25transform_config_selectorIsLb0EEEZNS1_14transform_implILb0ES3_S5_N6thrust23THRUST_200600_302600_NS10device_ptrIsEEPsNS0_8identityIsEEEE10hipError_tT2_T3_mT4_P12ihipStream_tbEUlT_E_NS1_11comp_targetILNS1_3genE3ELNS1_11target_archE908ELNS1_3gpuE7ELNS1_3repE0EEENS1_30default_config_static_selectorELNS0_4arch9wavefront6targetE1EEEvT1_,@function
_ZN7rocprim17ROCPRIM_400000_NS6detail17trampoline_kernelINS0_14default_configENS1_25transform_config_selectorIsLb0EEEZNS1_14transform_implILb0ES3_S5_N6thrust23THRUST_200600_302600_NS10device_ptrIsEEPsNS0_8identityIsEEEE10hipError_tT2_T3_mT4_P12ihipStream_tbEUlT_E_NS1_11comp_targetILNS1_3genE3ELNS1_11target_archE908ELNS1_3gpuE7ELNS1_3repE0EEENS1_30default_config_static_selectorELNS0_4arch9wavefront6targetE1EEEvT1_: ; @_ZN7rocprim17ROCPRIM_400000_NS6detail17trampoline_kernelINS0_14default_configENS1_25transform_config_selectorIsLb0EEEZNS1_14transform_implILb0ES3_S5_N6thrust23THRUST_200600_302600_NS10device_ptrIsEEPsNS0_8identityIsEEEE10hipError_tT2_T3_mT4_P12ihipStream_tbEUlT_E_NS1_11comp_targetILNS1_3genE3ELNS1_11target_archE908ELNS1_3gpuE7ELNS1_3repE0EEENS1_30default_config_static_selectorELNS0_4arch9wavefront6targetE1EEEvT1_
; %bb.0:
	.section	.rodata,"a",@progbits
	.p2align	6, 0x0
	.amdhsa_kernel _ZN7rocprim17ROCPRIM_400000_NS6detail17trampoline_kernelINS0_14default_configENS1_25transform_config_selectorIsLb0EEEZNS1_14transform_implILb0ES3_S5_N6thrust23THRUST_200600_302600_NS10device_ptrIsEEPsNS0_8identityIsEEEE10hipError_tT2_T3_mT4_P12ihipStream_tbEUlT_E_NS1_11comp_targetILNS1_3genE3ELNS1_11target_archE908ELNS1_3gpuE7ELNS1_3repE0EEENS1_30default_config_static_selectorELNS0_4arch9wavefront6targetE1EEEvT1_
		.amdhsa_group_segment_fixed_size 0
		.amdhsa_private_segment_fixed_size 0
		.amdhsa_kernarg_size 40
		.amdhsa_user_sgpr_count 2
		.amdhsa_user_sgpr_dispatch_ptr 0
		.amdhsa_user_sgpr_queue_ptr 0
		.amdhsa_user_sgpr_kernarg_segment_ptr 1
		.amdhsa_user_sgpr_dispatch_id 0
		.amdhsa_user_sgpr_kernarg_preload_length 0
		.amdhsa_user_sgpr_kernarg_preload_offset 0
		.amdhsa_user_sgpr_private_segment_size 0
		.amdhsa_uses_dynamic_stack 0
		.amdhsa_enable_private_segment 0
		.amdhsa_system_sgpr_workgroup_id_x 1
		.amdhsa_system_sgpr_workgroup_id_y 0
		.amdhsa_system_sgpr_workgroup_id_z 0
		.amdhsa_system_sgpr_workgroup_info 0
		.amdhsa_system_vgpr_workitem_id 0
		.amdhsa_next_free_vgpr 1
		.amdhsa_next_free_sgpr 0
		.amdhsa_accum_offset 4
		.amdhsa_reserve_vcc 0
		.amdhsa_float_round_mode_32 0
		.amdhsa_float_round_mode_16_64 0
		.amdhsa_float_denorm_mode_32 3
		.amdhsa_float_denorm_mode_16_64 3
		.amdhsa_dx10_clamp 1
		.amdhsa_ieee_mode 1
		.amdhsa_fp16_overflow 0
		.amdhsa_tg_split 0
		.amdhsa_exception_fp_ieee_invalid_op 0
		.amdhsa_exception_fp_denorm_src 0
		.amdhsa_exception_fp_ieee_div_zero 0
		.amdhsa_exception_fp_ieee_overflow 0
		.amdhsa_exception_fp_ieee_underflow 0
		.amdhsa_exception_fp_ieee_inexact 0
		.amdhsa_exception_int_div_zero 0
	.end_amdhsa_kernel
	.section	.text._ZN7rocprim17ROCPRIM_400000_NS6detail17trampoline_kernelINS0_14default_configENS1_25transform_config_selectorIsLb0EEEZNS1_14transform_implILb0ES3_S5_N6thrust23THRUST_200600_302600_NS10device_ptrIsEEPsNS0_8identityIsEEEE10hipError_tT2_T3_mT4_P12ihipStream_tbEUlT_E_NS1_11comp_targetILNS1_3genE3ELNS1_11target_archE908ELNS1_3gpuE7ELNS1_3repE0EEENS1_30default_config_static_selectorELNS0_4arch9wavefront6targetE1EEEvT1_,"axG",@progbits,_ZN7rocprim17ROCPRIM_400000_NS6detail17trampoline_kernelINS0_14default_configENS1_25transform_config_selectorIsLb0EEEZNS1_14transform_implILb0ES3_S5_N6thrust23THRUST_200600_302600_NS10device_ptrIsEEPsNS0_8identityIsEEEE10hipError_tT2_T3_mT4_P12ihipStream_tbEUlT_E_NS1_11comp_targetILNS1_3genE3ELNS1_11target_archE908ELNS1_3gpuE7ELNS1_3repE0EEENS1_30default_config_static_selectorELNS0_4arch9wavefront6targetE1EEEvT1_,comdat
.Lfunc_end2434:
	.size	_ZN7rocprim17ROCPRIM_400000_NS6detail17trampoline_kernelINS0_14default_configENS1_25transform_config_selectorIsLb0EEEZNS1_14transform_implILb0ES3_S5_N6thrust23THRUST_200600_302600_NS10device_ptrIsEEPsNS0_8identityIsEEEE10hipError_tT2_T3_mT4_P12ihipStream_tbEUlT_E_NS1_11comp_targetILNS1_3genE3ELNS1_11target_archE908ELNS1_3gpuE7ELNS1_3repE0EEENS1_30default_config_static_selectorELNS0_4arch9wavefront6targetE1EEEvT1_, .Lfunc_end2434-_ZN7rocprim17ROCPRIM_400000_NS6detail17trampoline_kernelINS0_14default_configENS1_25transform_config_selectorIsLb0EEEZNS1_14transform_implILb0ES3_S5_N6thrust23THRUST_200600_302600_NS10device_ptrIsEEPsNS0_8identityIsEEEE10hipError_tT2_T3_mT4_P12ihipStream_tbEUlT_E_NS1_11comp_targetILNS1_3genE3ELNS1_11target_archE908ELNS1_3gpuE7ELNS1_3repE0EEENS1_30default_config_static_selectorELNS0_4arch9wavefront6targetE1EEEvT1_
                                        ; -- End function
	.set _ZN7rocprim17ROCPRIM_400000_NS6detail17trampoline_kernelINS0_14default_configENS1_25transform_config_selectorIsLb0EEEZNS1_14transform_implILb0ES3_S5_N6thrust23THRUST_200600_302600_NS10device_ptrIsEEPsNS0_8identityIsEEEE10hipError_tT2_T3_mT4_P12ihipStream_tbEUlT_E_NS1_11comp_targetILNS1_3genE3ELNS1_11target_archE908ELNS1_3gpuE7ELNS1_3repE0EEENS1_30default_config_static_selectorELNS0_4arch9wavefront6targetE1EEEvT1_.num_vgpr, 0
	.set _ZN7rocprim17ROCPRIM_400000_NS6detail17trampoline_kernelINS0_14default_configENS1_25transform_config_selectorIsLb0EEEZNS1_14transform_implILb0ES3_S5_N6thrust23THRUST_200600_302600_NS10device_ptrIsEEPsNS0_8identityIsEEEE10hipError_tT2_T3_mT4_P12ihipStream_tbEUlT_E_NS1_11comp_targetILNS1_3genE3ELNS1_11target_archE908ELNS1_3gpuE7ELNS1_3repE0EEENS1_30default_config_static_selectorELNS0_4arch9wavefront6targetE1EEEvT1_.num_agpr, 0
	.set _ZN7rocprim17ROCPRIM_400000_NS6detail17trampoline_kernelINS0_14default_configENS1_25transform_config_selectorIsLb0EEEZNS1_14transform_implILb0ES3_S5_N6thrust23THRUST_200600_302600_NS10device_ptrIsEEPsNS0_8identityIsEEEE10hipError_tT2_T3_mT4_P12ihipStream_tbEUlT_E_NS1_11comp_targetILNS1_3genE3ELNS1_11target_archE908ELNS1_3gpuE7ELNS1_3repE0EEENS1_30default_config_static_selectorELNS0_4arch9wavefront6targetE1EEEvT1_.numbered_sgpr, 0
	.set _ZN7rocprim17ROCPRIM_400000_NS6detail17trampoline_kernelINS0_14default_configENS1_25transform_config_selectorIsLb0EEEZNS1_14transform_implILb0ES3_S5_N6thrust23THRUST_200600_302600_NS10device_ptrIsEEPsNS0_8identityIsEEEE10hipError_tT2_T3_mT4_P12ihipStream_tbEUlT_E_NS1_11comp_targetILNS1_3genE3ELNS1_11target_archE908ELNS1_3gpuE7ELNS1_3repE0EEENS1_30default_config_static_selectorELNS0_4arch9wavefront6targetE1EEEvT1_.num_named_barrier, 0
	.set _ZN7rocprim17ROCPRIM_400000_NS6detail17trampoline_kernelINS0_14default_configENS1_25transform_config_selectorIsLb0EEEZNS1_14transform_implILb0ES3_S5_N6thrust23THRUST_200600_302600_NS10device_ptrIsEEPsNS0_8identityIsEEEE10hipError_tT2_T3_mT4_P12ihipStream_tbEUlT_E_NS1_11comp_targetILNS1_3genE3ELNS1_11target_archE908ELNS1_3gpuE7ELNS1_3repE0EEENS1_30default_config_static_selectorELNS0_4arch9wavefront6targetE1EEEvT1_.private_seg_size, 0
	.set _ZN7rocprim17ROCPRIM_400000_NS6detail17trampoline_kernelINS0_14default_configENS1_25transform_config_selectorIsLb0EEEZNS1_14transform_implILb0ES3_S5_N6thrust23THRUST_200600_302600_NS10device_ptrIsEEPsNS0_8identityIsEEEE10hipError_tT2_T3_mT4_P12ihipStream_tbEUlT_E_NS1_11comp_targetILNS1_3genE3ELNS1_11target_archE908ELNS1_3gpuE7ELNS1_3repE0EEENS1_30default_config_static_selectorELNS0_4arch9wavefront6targetE1EEEvT1_.uses_vcc, 0
	.set _ZN7rocprim17ROCPRIM_400000_NS6detail17trampoline_kernelINS0_14default_configENS1_25transform_config_selectorIsLb0EEEZNS1_14transform_implILb0ES3_S5_N6thrust23THRUST_200600_302600_NS10device_ptrIsEEPsNS0_8identityIsEEEE10hipError_tT2_T3_mT4_P12ihipStream_tbEUlT_E_NS1_11comp_targetILNS1_3genE3ELNS1_11target_archE908ELNS1_3gpuE7ELNS1_3repE0EEENS1_30default_config_static_selectorELNS0_4arch9wavefront6targetE1EEEvT1_.uses_flat_scratch, 0
	.set _ZN7rocprim17ROCPRIM_400000_NS6detail17trampoline_kernelINS0_14default_configENS1_25transform_config_selectorIsLb0EEEZNS1_14transform_implILb0ES3_S5_N6thrust23THRUST_200600_302600_NS10device_ptrIsEEPsNS0_8identityIsEEEE10hipError_tT2_T3_mT4_P12ihipStream_tbEUlT_E_NS1_11comp_targetILNS1_3genE3ELNS1_11target_archE908ELNS1_3gpuE7ELNS1_3repE0EEENS1_30default_config_static_selectorELNS0_4arch9wavefront6targetE1EEEvT1_.has_dyn_sized_stack, 0
	.set _ZN7rocprim17ROCPRIM_400000_NS6detail17trampoline_kernelINS0_14default_configENS1_25transform_config_selectorIsLb0EEEZNS1_14transform_implILb0ES3_S5_N6thrust23THRUST_200600_302600_NS10device_ptrIsEEPsNS0_8identityIsEEEE10hipError_tT2_T3_mT4_P12ihipStream_tbEUlT_E_NS1_11comp_targetILNS1_3genE3ELNS1_11target_archE908ELNS1_3gpuE7ELNS1_3repE0EEENS1_30default_config_static_selectorELNS0_4arch9wavefront6targetE1EEEvT1_.has_recursion, 0
	.set _ZN7rocprim17ROCPRIM_400000_NS6detail17trampoline_kernelINS0_14default_configENS1_25transform_config_selectorIsLb0EEEZNS1_14transform_implILb0ES3_S5_N6thrust23THRUST_200600_302600_NS10device_ptrIsEEPsNS0_8identityIsEEEE10hipError_tT2_T3_mT4_P12ihipStream_tbEUlT_E_NS1_11comp_targetILNS1_3genE3ELNS1_11target_archE908ELNS1_3gpuE7ELNS1_3repE0EEENS1_30default_config_static_selectorELNS0_4arch9wavefront6targetE1EEEvT1_.has_indirect_call, 0
	.section	.AMDGPU.csdata,"",@progbits
; Kernel info:
; codeLenInByte = 0
; TotalNumSgprs: 6
; NumVgprs: 0
; NumAgprs: 0
; TotalNumVgprs: 0
; ScratchSize: 0
; MemoryBound: 0
; FloatMode: 240
; IeeeMode: 1
; LDSByteSize: 0 bytes/workgroup (compile time only)
; SGPRBlocks: 0
; VGPRBlocks: 0
; NumSGPRsForWavesPerEU: 6
; NumVGPRsForWavesPerEU: 1
; AccumOffset: 4
; Occupancy: 8
; WaveLimiterHint : 0
; COMPUTE_PGM_RSRC2:SCRATCH_EN: 0
; COMPUTE_PGM_RSRC2:USER_SGPR: 2
; COMPUTE_PGM_RSRC2:TRAP_HANDLER: 0
; COMPUTE_PGM_RSRC2:TGID_X_EN: 1
; COMPUTE_PGM_RSRC2:TGID_Y_EN: 0
; COMPUTE_PGM_RSRC2:TGID_Z_EN: 0
; COMPUTE_PGM_RSRC2:TIDIG_COMP_CNT: 0
; COMPUTE_PGM_RSRC3_GFX90A:ACCUM_OFFSET: 0
; COMPUTE_PGM_RSRC3_GFX90A:TG_SPLIT: 0
	.section	.text._ZN7rocprim17ROCPRIM_400000_NS6detail17trampoline_kernelINS0_14default_configENS1_25transform_config_selectorIsLb0EEEZNS1_14transform_implILb0ES3_S5_N6thrust23THRUST_200600_302600_NS10device_ptrIsEEPsNS0_8identityIsEEEE10hipError_tT2_T3_mT4_P12ihipStream_tbEUlT_E_NS1_11comp_targetILNS1_3genE2ELNS1_11target_archE906ELNS1_3gpuE6ELNS1_3repE0EEENS1_30default_config_static_selectorELNS0_4arch9wavefront6targetE1EEEvT1_,"axG",@progbits,_ZN7rocprim17ROCPRIM_400000_NS6detail17trampoline_kernelINS0_14default_configENS1_25transform_config_selectorIsLb0EEEZNS1_14transform_implILb0ES3_S5_N6thrust23THRUST_200600_302600_NS10device_ptrIsEEPsNS0_8identityIsEEEE10hipError_tT2_T3_mT4_P12ihipStream_tbEUlT_E_NS1_11comp_targetILNS1_3genE2ELNS1_11target_archE906ELNS1_3gpuE6ELNS1_3repE0EEENS1_30default_config_static_selectorELNS0_4arch9wavefront6targetE1EEEvT1_,comdat
	.protected	_ZN7rocprim17ROCPRIM_400000_NS6detail17trampoline_kernelINS0_14default_configENS1_25transform_config_selectorIsLb0EEEZNS1_14transform_implILb0ES3_S5_N6thrust23THRUST_200600_302600_NS10device_ptrIsEEPsNS0_8identityIsEEEE10hipError_tT2_T3_mT4_P12ihipStream_tbEUlT_E_NS1_11comp_targetILNS1_3genE2ELNS1_11target_archE906ELNS1_3gpuE6ELNS1_3repE0EEENS1_30default_config_static_selectorELNS0_4arch9wavefront6targetE1EEEvT1_ ; -- Begin function _ZN7rocprim17ROCPRIM_400000_NS6detail17trampoline_kernelINS0_14default_configENS1_25transform_config_selectorIsLb0EEEZNS1_14transform_implILb0ES3_S5_N6thrust23THRUST_200600_302600_NS10device_ptrIsEEPsNS0_8identityIsEEEE10hipError_tT2_T3_mT4_P12ihipStream_tbEUlT_E_NS1_11comp_targetILNS1_3genE2ELNS1_11target_archE906ELNS1_3gpuE6ELNS1_3repE0EEENS1_30default_config_static_selectorELNS0_4arch9wavefront6targetE1EEEvT1_
	.globl	_ZN7rocprim17ROCPRIM_400000_NS6detail17trampoline_kernelINS0_14default_configENS1_25transform_config_selectorIsLb0EEEZNS1_14transform_implILb0ES3_S5_N6thrust23THRUST_200600_302600_NS10device_ptrIsEEPsNS0_8identityIsEEEE10hipError_tT2_T3_mT4_P12ihipStream_tbEUlT_E_NS1_11comp_targetILNS1_3genE2ELNS1_11target_archE906ELNS1_3gpuE6ELNS1_3repE0EEENS1_30default_config_static_selectorELNS0_4arch9wavefront6targetE1EEEvT1_
	.p2align	8
	.type	_ZN7rocprim17ROCPRIM_400000_NS6detail17trampoline_kernelINS0_14default_configENS1_25transform_config_selectorIsLb0EEEZNS1_14transform_implILb0ES3_S5_N6thrust23THRUST_200600_302600_NS10device_ptrIsEEPsNS0_8identityIsEEEE10hipError_tT2_T3_mT4_P12ihipStream_tbEUlT_E_NS1_11comp_targetILNS1_3genE2ELNS1_11target_archE906ELNS1_3gpuE6ELNS1_3repE0EEENS1_30default_config_static_selectorELNS0_4arch9wavefront6targetE1EEEvT1_,@function
_ZN7rocprim17ROCPRIM_400000_NS6detail17trampoline_kernelINS0_14default_configENS1_25transform_config_selectorIsLb0EEEZNS1_14transform_implILb0ES3_S5_N6thrust23THRUST_200600_302600_NS10device_ptrIsEEPsNS0_8identityIsEEEE10hipError_tT2_T3_mT4_P12ihipStream_tbEUlT_E_NS1_11comp_targetILNS1_3genE2ELNS1_11target_archE906ELNS1_3gpuE6ELNS1_3repE0EEENS1_30default_config_static_selectorELNS0_4arch9wavefront6targetE1EEEvT1_: ; @_ZN7rocprim17ROCPRIM_400000_NS6detail17trampoline_kernelINS0_14default_configENS1_25transform_config_selectorIsLb0EEEZNS1_14transform_implILb0ES3_S5_N6thrust23THRUST_200600_302600_NS10device_ptrIsEEPsNS0_8identityIsEEEE10hipError_tT2_T3_mT4_P12ihipStream_tbEUlT_E_NS1_11comp_targetILNS1_3genE2ELNS1_11target_archE906ELNS1_3gpuE6ELNS1_3repE0EEENS1_30default_config_static_selectorELNS0_4arch9wavefront6targetE1EEEvT1_
; %bb.0:
	.section	.rodata,"a",@progbits
	.p2align	6, 0x0
	.amdhsa_kernel _ZN7rocprim17ROCPRIM_400000_NS6detail17trampoline_kernelINS0_14default_configENS1_25transform_config_selectorIsLb0EEEZNS1_14transform_implILb0ES3_S5_N6thrust23THRUST_200600_302600_NS10device_ptrIsEEPsNS0_8identityIsEEEE10hipError_tT2_T3_mT4_P12ihipStream_tbEUlT_E_NS1_11comp_targetILNS1_3genE2ELNS1_11target_archE906ELNS1_3gpuE6ELNS1_3repE0EEENS1_30default_config_static_selectorELNS0_4arch9wavefront6targetE1EEEvT1_
		.amdhsa_group_segment_fixed_size 0
		.amdhsa_private_segment_fixed_size 0
		.amdhsa_kernarg_size 40
		.amdhsa_user_sgpr_count 2
		.amdhsa_user_sgpr_dispatch_ptr 0
		.amdhsa_user_sgpr_queue_ptr 0
		.amdhsa_user_sgpr_kernarg_segment_ptr 1
		.amdhsa_user_sgpr_dispatch_id 0
		.amdhsa_user_sgpr_kernarg_preload_length 0
		.amdhsa_user_sgpr_kernarg_preload_offset 0
		.amdhsa_user_sgpr_private_segment_size 0
		.amdhsa_uses_dynamic_stack 0
		.amdhsa_enable_private_segment 0
		.amdhsa_system_sgpr_workgroup_id_x 1
		.amdhsa_system_sgpr_workgroup_id_y 0
		.amdhsa_system_sgpr_workgroup_id_z 0
		.amdhsa_system_sgpr_workgroup_info 0
		.amdhsa_system_vgpr_workitem_id 0
		.amdhsa_next_free_vgpr 1
		.amdhsa_next_free_sgpr 0
		.amdhsa_accum_offset 4
		.amdhsa_reserve_vcc 0
		.amdhsa_float_round_mode_32 0
		.amdhsa_float_round_mode_16_64 0
		.amdhsa_float_denorm_mode_32 3
		.amdhsa_float_denorm_mode_16_64 3
		.amdhsa_dx10_clamp 1
		.amdhsa_ieee_mode 1
		.amdhsa_fp16_overflow 0
		.amdhsa_tg_split 0
		.amdhsa_exception_fp_ieee_invalid_op 0
		.amdhsa_exception_fp_denorm_src 0
		.amdhsa_exception_fp_ieee_div_zero 0
		.amdhsa_exception_fp_ieee_overflow 0
		.amdhsa_exception_fp_ieee_underflow 0
		.amdhsa_exception_fp_ieee_inexact 0
		.amdhsa_exception_int_div_zero 0
	.end_amdhsa_kernel
	.section	.text._ZN7rocprim17ROCPRIM_400000_NS6detail17trampoline_kernelINS0_14default_configENS1_25transform_config_selectorIsLb0EEEZNS1_14transform_implILb0ES3_S5_N6thrust23THRUST_200600_302600_NS10device_ptrIsEEPsNS0_8identityIsEEEE10hipError_tT2_T3_mT4_P12ihipStream_tbEUlT_E_NS1_11comp_targetILNS1_3genE2ELNS1_11target_archE906ELNS1_3gpuE6ELNS1_3repE0EEENS1_30default_config_static_selectorELNS0_4arch9wavefront6targetE1EEEvT1_,"axG",@progbits,_ZN7rocprim17ROCPRIM_400000_NS6detail17trampoline_kernelINS0_14default_configENS1_25transform_config_selectorIsLb0EEEZNS1_14transform_implILb0ES3_S5_N6thrust23THRUST_200600_302600_NS10device_ptrIsEEPsNS0_8identityIsEEEE10hipError_tT2_T3_mT4_P12ihipStream_tbEUlT_E_NS1_11comp_targetILNS1_3genE2ELNS1_11target_archE906ELNS1_3gpuE6ELNS1_3repE0EEENS1_30default_config_static_selectorELNS0_4arch9wavefront6targetE1EEEvT1_,comdat
.Lfunc_end2435:
	.size	_ZN7rocprim17ROCPRIM_400000_NS6detail17trampoline_kernelINS0_14default_configENS1_25transform_config_selectorIsLb0EEEZNS1_14transform_implILb0ES3_S5_N6thrust23THRUST_200600_302600_NS10device_ptrIsEEPsNS0_8identityIsEEEE10hipError_tT2_T3_mT4_P12ihipStream_tbEUlT_E_NS1_11comp_targetILNS1_3genE2ELNS1_11target_archE906ELNS1_3gpuE6ELNS1_3repE0EEENS1_30default_config_static_selectorELNS0_4arch9wavefront6targetE1EEEvT1_, .Lfunc_end2435-_ZN7rocprim17ROCPRIM_400000_NS6detail17trampoline_kernelINS0_14default_configENS1_25transform_config_selectorIsLb0EEEZNS1_14transform_implILb0ES3_S5_N6thrust23THRUST_200600_302600_NS10device_ptrIsEEPsNS0_8identityIsEEEE10hipError_tT2_T3_mT4_P12ihipStream_tbEUlT_E_NS1_11comp_targetILNS1_3genE2ELNS1_11target_archE906ELNS1_3gpuE6ELNS1_3repE0EEENS1_30default_config_static_selectorELNS0_4arch9wavefront6targetE1EEEvT1_
                                        ; -- End function
	.set _ZN7rocprim17ROCPRIM_400000_NS6detail17trampoline_kernelINS0_14default_configENS1_25transform_config_selectorIsLb0EEEZNS1_14transform_implILb0ES3_S5_N6thrust23THRUST_200600_302600_NS10device_ptrIsEEPsNS0_8identityIsEEEE10hipError_tT2_T3_mT4_P12ihipStream_tbEUlT_E_NS1_11comp_targetILNS1_3genE2ELNS1_11target_archE906ELNS1_3gpuE6ELNS1_3repE0EEENS1_30default_config_static_selectorELNS0_4arch9wavefront6targetE1EEEvT1_.num_vgpr, 0
	.set _ZN7rocprim17ROCPRIM_400000_NS6detail17trampoline_kernelINS0_14default_configENS1_25transform_config_selectorIsLb0EEEZNS1_14transform_implILb0ES3_S5_N6thrust23THRUST_200600_302600_NS10device_ptrIsEEPsNS0_8identityIsEEEE10hipError_tT2_T3_mT4_P12ihipStream_tbEUlT_E_NS1_11comp_targetILNS1_3genE2ELNS1_11target_archE906ELNS1_3gpuE6ELNS1_3repE0EEENS1_30default_config_static_selectorELNS0_4arch9wavefront6targetE1EEEvT1_.num_agpr, 0
	.set _ZN7rocprim17ROCPRIM_400000_NS6detail17trampoline_kernelINS0_14default_configENS1_25transform_config_selectorIsLb0EEEZNS1_14transform_implILb0ES3_S5_N6thrust23THRUST_200600_302600_NS10device_ptrIsEEPsNS0_8identityIsEEEE10hipError_tT2_T3_mT4_P12ihipStream_tbEUlT_E_NS1_11comp_targetILNS1_3genE2ELNS1_11target_archE906ELNS1_3gpuE6ELNS1_3repE0EEENS1_30default_config_static_selectorELNS0_4arch9wavefront6targetE1EEEvT1_.numbered_sgpr, 0
	.set _ZN7rocprim17ROCPRIM_400000_NS6detail17trampoline_kernelINS0_14default_configENS1_25transform_config_selectorIsLb0EEEZNS1_14transform_implILb0ES3_S5_N6thrust23THRUST_200600_302600_NS10device_ptrIsEEPsNS0_8identityIsEEEE10hipError_tT2_T3_mT4_P12ihipStream_tbEUlT_E_NS1_11comp_targetILNS1_3genE2ELNS1_11target_archE906ELNS1_3gpuE6ELNS1_3repE0EEENS1_30default_config_static_selectorELNS0_4arch9wavefront6targetE1EEEvT1_.num_named_barrier, 0
	.set _ZN7rocprim17ROCPRIM_400000_NS6detail17trampoline_kernelINS0_14default_configENS1_25transform_config_selectorIsLb0EEEZNS1_14transform_implILb0ES3_S5_N6thrust23THRUST_200600_302600_NS10device_ptrIsEEPsNS0_8identityIsEEEE10hipError_tT2_T3_mT4_P12ihipStream_tbEUlT_E_NS1_11comp_targetILNS1_3genE2ELNS1_11target_archE906ELNS1_3gpuE6ELNS1_3repE0EEENS1_30default_config_static_selectorELNS0_4arch9wavefront6targetE1EEEvT1_.private_seg_size, 0
	.set _ZN7rocprim17ROCPRIM_400000_NS6detail17trampoline_kernelINS0_14default_configENS1_25transform_config_selectorIsLb0EEEZNS1_14transform_implILb0ES3_S5_N6thrust23THRUST_200600_302600_NS10device_ptrIsEEPsNS0_8identityIsEEEE10hipError_tT2_T3_mT4_P12ihipStream_tbEUlT_E_NS1_11comp_targetILNS1_3genE2ELNS1_11target_archE906ELNS1_3gpuE6ELNS1_3repE0EEENS1_30default_config_static_selectorELNS0_4arch9wavefront6targetE1EEEvT1_.uses_vcc, 0
	.set _ZN7rocprim17ROCPRIM_400000_NS6detail17trampoline_kernelINS0_14default_configENS1_25transform_config_selectorIsLb0EEEZNS1_14transform_implILb0ES3_S5_N6thrust23THRUST_200600_302600_NS10device_ptrIsEEPsNS0_8identityIsEEEE10hipError_tT2_T3_mT4_P12ihipStream_tbEUlT_E_NS1_11comp_targetILNS1_3genE2ELNS1_11target_archE906ELNS1_3gpuE6ELNS1_3repE0EEENS1_30default_config_static_selectorELNS0_4arch9wavefront6targetE1EEEvT1_.uses_flat_scratch, 0
	.set _ZN7rocprim17ROCPRIM_400000_NS6detail17trampoline_kernelINS0_14default_configENS1_25transform_config_selectorIsLb0EEEZNS1_14transform_implILb0ES3_S5_N6thrust23THRUST_200600_302600_NS10device_ptrIsEEPsNS0_8identityIsEEEE10hipError_tT2_T3_mT4_P12ihipStream_tbEUlT_E_NS1_11comp_targetILNS1_3genE2ELNS1_11target_archE906ELNS1_3gpuE6ELNS1_3repE0EEENS1_30default_config_static_selectorELNS0_4arch9wavefront6targetE1EEEvT1_.has_dyn_sized_stack, 0
	.set _ZN7rocprim17ROCPRIM_400000_NS6detail17trampoline_kernelINS0_14default_configENS1_25transform_config_selectorIsLb0EEEZNS1_14transform_implILb0ES3_S5_N6thrust23THRUST_200600_302600_NS10device_ptrIsEEPsNS0_8identityIsEEEE10hipError_tT2_T3_mT4_P12ihipStream_tbEUlT_E_NS1_11comp_targetILNS1_3genE2ELNS1_11target_archE906ELNS1_3gpuE6ELNS1_3repE0EEENS1_30default_config_static_selectorELNS0_4arch9wavefront6targetE1EEEvT1_.has_recursion, 0
	.set _ZN7rocprim17ROCPRIM_400000_NS6detail17trampoline_kernelINS0_14default_configENS1_25transform_config_selectorIsLb0EEEZNS1_14transform_implILb0ES3_S5_N6thrust23THRUST_200600_302600_NS10device_ptrIsEEPsNS0_8identityIsEEEE10hipError_tT2_T3_mT4_P12ihipStream_tbEUlT_E_NS1_11comp_targetILNS1_3genE2ELNS1_11target_archE906ELNS1_3gpuE6ELNS1_3repE0EEENS1_30default_config_static_selectorELNS0_4arch9wavefront6targetE1EEEvT1_.has_indirect_call, 0
	.section	.AMDGPU.csdata,"",@progbits
; Kernel info:
; codeLenInByte = 0
; TotalNumSgprs: 6
; NumVgprs: 0
; NumAgprs: 0
; TotalNumVgprs: 0
; ScratchSize: 0
; MemoryBound: 0
; FloatMode: 240
; IeeeMode: 1
; LDSByteSize: 0 bytes/workgroup (compile time only)
; SGPRBlocks: 0
; VGPRBlocks: 0
; NumSGPRsForWavesPerEU: 6
; NumVGPRsForWavesPerEU: 1
; AccumOffset: 4
; Occupancy: 8
; WaveLimiterHint : 0
; COMPUTE_PGM_RSRC2:SCRATCH_EN: 0
; COMPUTE_PGM_RSRC2:USER_SGPR: 2
; COMPUTE_PGM_RSRC2:TRAP_HANDLER: 0
; COMPUTE_PGM_RSRC2:TGID_X_EN: 1
; COMPUTE_PGM_RSRC2:TGID_Y_EN: 0
; COMPUTE_PGM_RSRC2:TGID_Z_EN: 0
; COMPUTE_PGM_RSRC2:TIDIG_COMP_CNT: 0
; COMPUTE_PGM_RSRC3_GFX90A:ACCUM_OFFSET: 0
; COMPUTE_PGM_RSRC3_GFX90A:TG_SPLIT: 0
	.section	.text._ZN7rocprim17ROCPRIM_400000_NS6detail17trampoline_kernelINS0_14default_configENS1_25transform_config_selectorIsLb0EEEZNS1_14transform_implILb0ES3_S5_N6thrust23THRUST_200600_302600_NS10device_ptrIsEEPsNS0_8identityIsEEEE10hipError_tT2_T3_mT4_P12ihipStream_tbEUlT_E_NS1_11comp_targetILNS1_3genE10ELNS1_11target_archE1201ELNS1_3gpuE5ELNS1_3repE0EEENS1_30default_config_static_selectorELNS0_4arch9wavefront6targetE1EEEvT1_,"axG",@progbits,_ZN7rocprim17ROCPRIM_400000_NS6detail17trampoline_kernelINS0_14default_configENS1_25transform_config_selectorIsLb0EEEZNS1_14transform_implILb0ES3_S5_N6thrust23THRUST_200600_302600_NS10device_ptrIsEEPsNS0_8identityIsEEEE10hipError_tT2_T3_mT4_P12ihipStream_tbEUlT_E_NS1_11comp_targetILNS1_3genE10ELNS1_11target_archE1201ELNS1_3gpuE5ELNS1_3repE0EEENS1_30default_config_static_selectorELNS0_4arch9wavefront6targetE1EEEvT1_,comdat
	.protected	_ZN7rocprim17ROCPRIM_400000_NS6detail17trampoline_kernelINS0_14default_configENS1_25transform_config_selectorIsLb0EEEZNS1_14transform_implILb0ES3_S5_N6thrust23THRUST_200600_302600_NS10device_ptrIsEEPsNS0_8identityIsEEEE10hipError_tT2_T3_mT4_P12ihipStream_tbEUlT_E_NS1_11comp_targetILNS1_3genE10ELNS1_11target_archE1201ELNS1_3gpuE5ELNS1_3repE0EEENS1_30default_config_static_selectorELNS0_4arch9wavefront6targetE1EEEvT1_ ; -- Begin function _ZN7rocprim17ROCPRIM_400000_NS6detail17trampoline_kernelINS0_14default_configENS1_25transform_config_selectorIsLb0EEEZNS1_14transform_implILb0ES3_S5_N6thrust23THRUST_200600_302600_NS10device_ptrIsEEPsNS0_8identityIsEEEE10hipError_tT2_T3_mT4_P12ihipStream_tbEUlT_E_NS1_11comp_targetILNS1_3genE10ELNS1_11target_archE1201ELNS1_3gpuE5ELNS1_3repE0EEENS1_30default_config_static_selectorELNS0_4arch9wavefront6targetE1EEEvT1_
	.globl	_ZN7rocprim17ROCPRIM_400000_NS6detail17trampoline_kernelINS0_14default_configENS1_25transform_config_selectorIsLb0EEEZNS1_14transform_implILb0ES3_S5_N6thrust23THRUST_200600_302600_NS10device_ptrIsEEPsNS0_8identityIsEEEE10hipError_tT2_T3_mT4_P12ihipStream_tbEUlT_E_NS1_11comp_targetILNS1_3genE10ELNS1_11target_archE1201ELNS1_3gpuE5ELNS1_3repE0EEENS1_30default_config_static_selectorELNS0_4arch9wavefront6targetE1EEEvT1_
	.p2align	8
	.type	_ZN7rocprim17ROCPRIM_400000_NS6detail17trampoline_kernelINS0_14default_configENS1_25transform_config_selectorIsLb0EEEZNS1_14transform_implILb0ES3_S5_N6thrust23THRUST_200600_302600_NS10device_ptrIsEEPsNS0_8identityIsEEEE10hipError_tT2_T3_mT4_P12ihipStream_tbEUlT_E_NS1_11comp_targetILNS1_3genE10ELNS1_11target_archE1201ELNS1_3gpuE5ELNS1_3repE0EEENS1_30default_config_static_selectorELNS0_4arch9wavefront6targetE1EEEvT1_,@function
_ZN7rocprim17ROCPRIM_400000_NS6detail17trampoline_kernelINS0_14default_configENS1_25transform_config_selectorIsLb0EEEZNS1_14transform_implILb0ES3_S5_N6thrust23THRUST_200600_302600_NS10device_ptrIsEEPsNS0_8identityIsEEEE10hipError_tT2_T3_mT4_P12ihipStream_tbEUlT_E_NS1_11comp_targetILNS1_3genE10ELNS1_11target_archE1201ELNS1_3gpuE5ELNS1_3repE0EEENS1_30default_config_static_selectorELNS0_4arch9wavefront6targetE1EEEvT1_: ; @_ZN7rocprim17ROCPRIM_400000_NS6detail17trampoline_kernelINS0_14default_configENS1_25transform_config_selectorIsLb0EEEZNS1_14transform_implILb0ES3_S5_N6thrust23THRUST_200600_302600_NS10device_ptrIsEEPsNS0_8identityIsEEEE10hipError_tT2_T3_mT4_P12ihipStream_tbEUlT_E_NS1_11comp_targetILNS1_3genE10ELNS1_11target_archE1201ELNS1_3gpuE5ELNS1_3repE0EEENS1_30default_config_static_selectorELNS0_4arch9wavefront6targetE1EEEvT1_
; %bb.0:
	.section	.rodata,"a",@progbits
	.p2align	6, 0x0
	.amdhsa_kernel _ZN7rocprim17ROCPRIM_400000_NS6detail17trampoline_kernelINS0_14default_configENS1_25transform_config_selectorIsLb0EEEZNS1_14transform_implILb0ES3_S5_N6thrust23THRUST_200600_302600_NS10device_ptrIsEEPsNS0_8identityIsEEEE10hipError_tT2_T3_mT4_P12ihipStream_tbEUlT_E_NS1_11comp_targetILNS1_3genE10ELNS1_11target_archE1201ELNS1_3gpuE5ELNS1_3repE0EEENS1_30default_config_static_selectorELNS0_4arch9wavefront6targetE1EEEvT1_
		.amdhsa_group_segment_fixed_size 0
		.amdhsa_private_segment_fixed_size 0
		.amdhsa_kernarg_size 40
		.amdhsa_user_sgpr_count 2
		.amdhsa_user_sgpr_dispatch_ptr 0
		.amdhsa_user_sgpr_queue_ptr 0
		.amdhsa_user_sgpr_kernarg_segment_ptr 1
		.amdhsa_user_sgpr_dispatch_id 0
		.amdhsa_user_sgpr_kernarg_preload_length 0
		.amdhsa_user_sgpr_kernarg_preload_offset 0
		.amdhsa_user_sgpr_private_segment_size 0
		.amdhsa_uses_dynamic_stack 0
		.amdhsa_enable_private_segment 0
		.amdhsa_system_sgpr_workgroup_id_x 1
		.amdhsa_system_sgpr_workgroup_id_y 0
		.amdhsa_system_sgpr_workgroup_id_z 0
		.amdhsa_system_sgpr_workgroup_info 0
		.amdhsa_system_vgpr_workitem_id 0
		.amdhsa_next_free_vgpr 1
		.amdhsa_next_free_sgpr 0
		.amdhsa_accum_offset 4
		.amdhsa_reserve_vcc 0
		.amdhsa_float_round_mode_32 0
		.amdhsa_float_round_mode_16_64 0
		.amdhsa_float_denorm_mode_32 3
		.amdhsa_float_denorm_mode_16_64 3
		.amdhsa_dx10_clamp 1
		.amdhsa_ieee_mode 1
		.amdhsa_fp16_overflow 0
		.amdhsa_tg_split 0
		.amdhsa_exception_fp_ieee_invalid_op 0
		.amdhsa_exception_fp_denorm_src 0
		.amdhsa_exception_fp_ieee_div_zero 0
		.amdhsa_exception_fp_ieee_overflow 0
		.amdhsa_exception_fp_ieee_underflow 0
		.amdhsa_exception_fp_ieee_inexact 0
		.amdhsa_exception_int_div_zero 0
	.end_amdhsa_kernel
	.section	.text._ZN7rocprim17ROCPRIM_400000_NS6detail17trampoline_kernelINS0_14default_configENS1_25transform_config_selectorIsLb0EEEZNS1_14transform_implILb0ES3_S5_N6thrust23THRUST_200600_302600_NS10device_ptrIsEEPsNS0_8identityIsEEEE10hipError_tT2_T3_mT4_P12ihipStream_tbEUlT_E_NS1_11comp_targetILNS1_3genE10ELNS1_11target_archE1201ELNS1_3gpuE5ELNS1_3repE0EEENS1_30default_config_static_selectorELNS0_4arch9wavefront6targetE1EEEvT1_,"axG",@progbits,_ZN7rocprim17ROCPRIM_400000_NS6detail17trampoline_kernelINS0_14default_configENS1_25transform_config_selectorIsLb0EEEZNS1_14transform_implILb0ES3_S5_N6thrust23THRUST_200600_302600_NS10device_ptrIsEEPsNS0_8identityIsEEEE10hipError_tT2_T3_mT4_P12ihipStream_tbEUlT_E_NS1_11comp_targetILNS1_3genE10ELNS1_11target_archE1201ELNS1_3gpuE5ELNS1_3repE0EEENS1_30default_config_static_selectorELNS0_4arch9wavefront6targetE1EEEvT1_,comdat
.Lfunc_end2436:
	.size	_ZN7rocprim17ROCPRIM_400000_NS6detail17trampoline_kernelINS0_14default_configENS1_25transform_config_selectorIsLb0EEEZNS1_14transform_implILb0ES3_S5_N6thrust23THRUST_200600_302600_NS10device_ptrIsEEPsNS0_8identityIsEEEE10hipError_tT2_T3_mT4_P12ihipStream_tbEUlT_E_NS1_11comp_targetILNS1_3genE10ELNS1_11target_archE1201ELNS1_3gpuE5ELNS1_3repE0EEENS1_30default_config_static_selectorELNS0_4arch9wavefront6targetE1EEEvT1_, .Lfunc_end2436-_ZN7rocprim17ROCPRIM_400000_NS6detail17trampoline_kernelINS0_14default_configENS1_25transform_config_selectorIsLb0EEEZNS1_14transform_implILb0ES3_S5_N6thrust23THRUST_200600_302600_NS10device_ptrIsEEPsNS0_8identityIsEEEE10hipError_tT2_T3_mT4_P12ihipStream_tbEUlT_E_NS1_11comp_targetILNS1_3genE10ELNS1_11target_archE1201ELNS1_3gpuE5ELNS1_3repE0EEENS1_30default_config_static_selectorELNS0_4arch9wavefront6targetE1EEEvT1_
                                        ; -- End function
	.set _ZN7rocprim17ROCPRIM_400000_NS6detail17trampoline_kernelINS0_14default_configENS1_25transform_config_selectorIsLb0EEEZNS1_14transform_implILb0ES3_S5_N6thrust23THRUST_200600_302600_NS10device_ptrIsEEPsNS0_8identityIsEEEE10hipError_tT2_T3_mT4_P12ihipStream_tbEUlT_E_NS1_11comp_targetILNS1_3genE10ELNS1_11target_archE1201ELNS1_3gpuE5ELNS1_3repE0EEENS1_30default_config_static_selectorELNS0_4arch9wavefront6targetE1EEEvT1_.num_vgpr, 0
	.set _ZN7rocprim17ROCPRIM_400000_NS6detail17trampoline_kernelINS0_14default_configENS1_25transform_config_selectorIsLb0EEEZNS1_14transform_implILb0ES3_S5_N6thrust23THRUST_200600_302600_NS10device_ptrIsEEPsNS0_8identityIsEEEE10hipError_tT2_T3_mT4_P12ihipStream_tbEUlT_E_NS1_11comp_targetILNS1_3genE10ELNS1_11target_archE1201ELNS1_3gpuE5ELNS1_3repE0EEENS1_30default_config_static_selectorELNS0_4arch9wavefront6targetE1EEEvT1_.num_agpr, 0
	.set _ZN7rocprim17ROCPRIM_400000_NS6detail17trampoline_kernelINS0_14default_configENS1_25transform_config_selectorIsLb0EEEZNS1_14transform_implILb0ES3_S5_N6thrust23THRUST_200600_302600_NS10device_ptrIsEEPsNS0_8identityIsEEEE10hipError_tT2_T3_mT4_P12ihipStream_tbEUlT_E_NS1_11comp_targetILNS1_3genE10ELNS1_11target_archE1201ELNS1_3gpuE5ELNS1_3repE0EEENS1_30default_config_static_selectorELNS0_4arch9wavefront6targetE1EEEvT1_.numbered_sgpr, 0
	.set _ZN7rocprim17ROCPRIM_400000_NS6detail17trampoline_kernelINS0_14default_configENS1_25transform_config_selectorIsLb0EEEZNS1_14transform_implILb0ES3_S5_N6thrust23THRUST_200600_302600_NS10device_ptrIsEEPsNS0_8identityIsEEEE10hipError_tT2_T3_mT4_P12ihipStream_tbEUlT_E_NS1_11comp_targetILNS1_3genE10ELNS1_11target_archE1201ELNS1_3gpuE5ELNS1_3repE0EEENS1_30default_config_static_selectorELNS0_4arch9wavefront6targetE1EEEvT1_.num_named_barrier, 0
	.set _ZN7rocprim17ROCPRIM_400000_NS6detail17trampoline_kernelINS0_14default_configENS1_25transform_config_selectorIsLb0EEEZNS1_14transform_implILb0ES3_S5_N6thrust23THRUST_200600_302600_NS10device_ptrIsEEPsNS0_8identityIsEEEE10hipError_tT2_T3_mT4_P12ihipStream_tbEUlT_E_NS1_11comp_targetILNS1_3genE10ELNS1_11target_archE1201ELNS1_3gpuE5ELNS1_3repE0EEENS1_30default_config_static_selectorELNS0_4arch9wavefront6targetE1EEEvT1_.private_seg_size, 0
	.set _ZN7rocprim17ROCPRIM_400000_NS6detail17trampoline_kernelINS0_14default_configENS1_25transform_config_selectorIsLb0EEEZNS1_14transform_implILb0ES3_S5_N6thrust23THRUST_200600_302600_NS10device_ptrIsEEPsNS0_8identityIsEEEE10hipError_tT2_T3_mT4_P12ihipStream_tbEUlT_E_NS1_11comp_targetILNS1_3genE10ELNS1_11target_archE1201ELNS1_3gpuE5ELNS1_3repE0EEENS1_30default_config_static_selectorELNS0_4arch9wavefront6targetE1EEEvT1_.uses_vcc, 0
	.set _ZN7rocprim17ROCPRIM_400000_NS6detail17trampoline_kernelINS0_14default_configENS1_25transform_config_selectorIsLb0EEEZNS1_14transform_implILb0ES3_S5_N6thrust23THRUST_200600_302600_NS10device_ptrIsEEPsNS0_8identityIsEEEE10hipError_tT2_T3_mT4_P12ihipStream_tbEUlT_E_NS1_11comp_targetILNS1_3genE10ELNS1_11target_archE1201ELNS1_3gpuE5ELNS1_3repE0EEENS1_30default_config_static_selectorELNS0_4arch9wavefront6targetE1EEEvT1_.uses_flat_scratch, 0
	.set _ZN7rocprim17ROCPRIM_400000_NS6detail17trampoline_kernelINS0_14default_configENS1_25transform_config_selectorIsLb0EEEZNS1_14transform_implILb0ES3_S5_N6thrust23THRUST_200600_302600_NS10device_ptrIsEEPsNS0_8identityIsEEEE10hipError_tT2_T3_mT4_P12ihipStream_tbEUlT_E_NS1_11comp_targetILNS1_3genE10ELNS1_11target_archE1201ELNS1_3gpuE5ELNS1_3repE0EEENS1_30default_config_static_selectorELNS0_4arch9wavefront6targetE1EEEvT1_.has_dyn_sized_stack, 0
	.set _ZN7rocprim17ROCPRIM_400000_NS6detail17trampoline_kernelINS0_14default_configENS1_25transform_config_selectorIsLb0EEEZNS1_14transform_implILb0ES3_S5_N6thrust23THRUST_200600_302600_NS10device_ptrIsEEPsNS0_8identityIsEEEE10hipError_tT2_T3_mT4_P12ihipStream_tbEUlT_E_NS1_11comp_targetILNS1_3genE10ELNS1_11target_archE1201ELNS1_3gpuE5ELNS1_3repE0EEENS1_30default_config_static_selectorELNS0_4arch9wavefront6targetE1EEEvT1_.has_recursion, 0
	.set _ZN7rocprim17ROCPRIM_400000_NS6detail17trampoline_kernelINS0_14default_configENS1_25transform_config_selectorIsLb0EEEZNS1_14transform_implILb0ES3_S5_N6thrust23THRUST_200600_302600_NS10device_ptrIsEEPsNS0_8identityIsEEEE10hipError_tT2_T3_mT4_P12ihipStream_tbEUlT_E_NS1_11comp_targetILNS1_3genE10ELNS1_11target_archE1201ELNS1_3gpuE5ELNS1_3repE0EEENS1_30default_config_static_selectorELNS0_4arch9wavefront6targetE1EEEvT1_.has_indirect_call, 0
	.section	.AMDGPU.csdata,"",@progbits
; Kernel info:
; codeLenInByte = 0
; TotalNumSgprs: 6
; NumVgprs: 0
; NumAgprs: 0
; TotalNumVgprs: 0
; ScratchSize: 0
; MemoryBound: 0
; FloatMode: 240
; IeeeMode: 1
; LDSByteSize: 0 bytes/workgroup (compile time only)
; SGPRBlocks: 0
; VGPRBlocks: 0
; NumSGPRsForWavesPerEU: 6
; NumVGPRsForWavesPerEU: 1
; AccumOffset: 4
; Occupancy: 8
; WaveLimiterHint : 0
; COMPUTE_PGM_RSRC2:SCRATCH_EN: 0
; COMPUTE_PGM_RSRC2:USER_SGPR: 2
; COMPUTE_PGM_RSRC2:TRAP_HANDLER: 0
; COMPUTE_PGM_RSRC2:TGID_X_EN: 1
; COMPUTE_PGM_RSRC2:TGID_Y_EN: 0
; COMPUTE_PGM_RSRC2:TGID_Z_EN: 0
; COMPUTE_PGM_RSRC2:TIDIG_COMP_CNT: 0
; COMPUTE_PGM_RSRC3_GFX90A:ACCUM_OFFSET: 0
; COMPUTE_PGM_RSRC3_GFX90A:TG_SPLIT: 0
	.section	.text._ZN7rocprim17ROCPRIM_400000_NS6detail17trampoline_kernelINS0_14default_configENS1_25transform_config_selectorIsLb0EEEZNS1_14transform_implILb0ES3_S5_N6thrust23THRUST_200600_302600_NS10device_ptrIsEEPsNS0_8identityIsEEEE10hipError_tT2_T3_mT4_P12ihipStream_tbEUlT_E_NS1_11comp_targetILNS1_3genE10ELNS1_11target_archE1200ELNS1_3gpuE4ELNS1_3repE0EEENS1_30default_config_static_selectorELNS0_4arch9wavefront6targetE1EEEvT1_,"axG",@progbits,_ZN7rocprim17ROCPRIM_400000_NS6detail17trampoline_kernelINS0_14default_configENS1_25transform_config_selectorIsLb0EEEZNS1_14transform_implILb0ES3_S5_N6thrust23THRUST_200600_302600_NS10device_ptrIsEEPsNS0_8identityIsEEEE10hipError_tT2_T3_mT4_P12ihipStream_tbEUlT_E_NS1_11comp_targetILNS1_3genE10ELNS1_11target_archE1200ELNS1_3gpuE4ELNS1_3repE0EEENS1_30default_config_static_selectorELNS0_4arch9wavefront6targetE1EEEvT1_,comdat
	.protected	_ZN7rocprim17ROCPRIM_400000_NS6detail17trampoline_kernelINS0_14default_configENS1_25transform_config_selectorIsLb0EEEZNS1_14transform_implILb0ES3_S5_N6thrust23THRUST_200600_302600_NS10device_ptrIsEEPsNS0_8identityIsEEEE10hipError_tT2_T3_mT4_P12ihipStream_tbEUlT_E_NS1_11comp_targetILNS1_3genE10ELNS1_11target_archE1200ELNS1_3gpuE4ELNS1_3repE0EEENS1_30default_config_static_selectorELNS0_4arch9wavefront6targetE1EEEvT1_ ; -- Begin function _ZN7rocprim17ROCPRIM_400000_NS6detail17trampoline_kernelINS0_14default_configENS1_25transform_config_selectorIsLb0EEEZNS1_14transform_implILb0ES3_S5_N6thrust23THRUST_200600_302600_NS10device_ptrIsEEPsNS0_8identityIsEEEE10hipError_tT2_T3_mT4_P12ihipStream_tbEUlT_E_NS1_11comp_targetILNS1_3genE10ELNS1_11target_archE1200ELNS1_3gpuE4ELNS1_3repE0EEENS1_30default_config_static_selectorELNS0_4arch9wavefront6targetE1EEEvT1_
	.globl	_ZN7rocprim17ROCPRIM_400000_NS6detail17trampoline_kernelINS0_14default_configENS1_25transform_config_selectorIsLb0EEEZNS1_14transform_implILb0ES3_S5_N6thrust23THRUST_200600_302600_NS10device_ptrIsEEPsNS0_8identityIsEEEE10hipError_tT2_T3_mT4_P12ihipStream_tbEUlT_E_NS1_11comp_targetILNS1_3genE10ELNS1_11target_archE1200ELNS1_3gpuE4ELNS1_3repE0EEENS1_30default_config_static_selectorELNS0_4arch9wavefront6targetE1EEEvT1_
	.p2align	8
	.type	_ZN7rocprim17ROCPRIM_400000_NS6detail17trampoline_kernelINS0_14default_configENS1_25transform_config_selectorIsLb0EEEZNS1_14transform_implILb0ES3_S5_N6thrust23THRUST_200600_302600_NS10device_ptrIsEEPsNS0_8identityIsEEEE10hipError_tT2_T3_mT4_P12ihipStream_tbEUlT_E_NS1_11comp_targetILNS1_3genE10ELNS1_11target_archE1200ELNS1_3gpuE4ELNS1_3repE0EEENS1_30default_config_static_selectorELNS0_4arch9wavefront6targetE1EEEvT1_,@function
_ZN7rocprim17ROCPRIM_400000_NS6detail17trampoline_kernelINS0_14default_configENS1_25transform_config_selectorIsLb0EEEZNS1_14transform_implILb0ES3_S5_N6thrust23THRUST_200600_302600_NS10device_ptrIsEEPsNS0_8identityIsEEEE10hipError_tT2_T3_mT4_P12ihipStream_tbEUlT_E_NS1_11comp_targetILNS1_3genE10ELNS1_11target_archE1200ELNS1_3gpuE4ELNS1_3repE0EEENS1_30default_config_static_selectorELNS0_4arch9wavefront6targetE1EEEvT1_: ; @_ZN7rocprim17ROCPRIM_400000_NS6detail17trampoline_kernelINS0_14default_configENS1_25transform_config_selectorIsLb0EEEZNS1_14transform_implILb0ES3_S5_N6thrust23THRUST_200600_302600_NS10device_ptrIsEEPsNS0_8identityIsEEEE10hipError_tT2_T3_mT4_P12ihipStream_tbEUlT_E_NS1_11comp_targetILNS1_3genE10ELNS1_11target_archE1200ELNS1_3gpuE4ELNS1_3repE0EEENS1_30default_config_static_selectorELNS0_4arch9wavefront6targetE1EEEvT1_
; %bb.0:
	.section	.rodata,"a",@progbits
	.p2align	6, 0x0
	.amdhsa_kernel _ZN7rocprim17ROCPRIM_400000_NS6detail17trampoline_kernelINS0_14default_configENS1_25transform_config_selectorIsLb0EEEZNS1_14transform_implILb0ES3_S5_N6thrust23THRUST_200600_302600_NS10device_ptrIsEEPsNS0_8identityIsEEEE10hipError_tT2_T3_mT4_P12ihipStream_tbEUlT_E_NS1_11comp_targetILNS1_3genE10ELNS1_11target_archE1200ELNS1_3gpuE4ELNS1_3repE0EEENS1_30default_config_static_selectorELNS0_4arch9wavefront6targetE1EEEvT1_
		.amdhsa_group_segment_fixed_size 0
		.amdhsa_private_segment_fixed_size 0
		.amdhsa_kernarg_size 40
		.amdhsa_user_sgpr_count 2
		.amdhsa_user_sgpr_dispatch_ptr 0
		.amdhsa_user_sgpr_queue_ptr 0
		.amdhsa_user_sgpr_kernarg_segment_ptr 1
		.amdhsa_user_sgpr_dispatch_id 0
		.amdhsa_user_sgpr_kernarg_preload_length 0
		.amdhsa_user_sgpr_kernarg_preload_offset 0
		.amdhsa_user_sgpr_private_segment_size 0
		.amdhsa_uses_dynamic_stack 0
		.amdhsa_enable_private_segment 0
		.amdhsa_system_sgpr_workgroup_id_x 1
		.amdhsa_system_sgpr_workgroup_id_y 0
		.amdhsa_system_sgpr_workgroup_id_z 0
		.amdhsa_system_sgpr_workgroup_info 0
		.amdhsa_system_vgpr_workitem_id 0
		.amdhsa_next_free_vgpr 1
		.amdhsa_next_free_sgpr 0
		.amdhsa_accum_offset 4
		.amdhsa_reserve_vcc 0
		.amdhsa_float_round_mode_32 0
		.amdhsa_float_round_mode_16_64 0
		.amdhsa_float_denorm_mode_32 3
		.amdhsa_float_denorm_mode_16_64 3
		.amdhsa_dx10_clamp 1
		.amdhsa_ieee_mode 1
		.amdhsa_fp16_overflow 0
		.amdhsa_tg_split 0
		.amdhsa_exception_fp_ieee_invalid_op 0
		.amdhsa_exception_fp_denorm_src 0
		.amdhsa_exception_fp_ieee_div_zero 0
		.amdhsa_exception_fp_ieee_overflow 0
		.amdhsa_exception_fp_ieee_underflow 0
		.amdhsa_exception_fp_ieee_inexact 0
		.amdhsa_exception_int_div_zero 0
	.end_amdhsa_kernel
	.section	.text._ZN7rocprim17ROCPRIM_400000_NS6detail17trampoline_kernelINS0_14default_configENS1_25transform_config_selectorIsLb0EEEZNS1_14transform_implILb0ES3_S5_N6thrust23THRUST_200600_302600_NS10device_ptrIsEEPsNS0_8identityIsEEEE10hipError_tT2_T3_mT4_P12ihipStream_tbEUlT_E_NS1_11comp_targetILNS1_3genE10ELNS1_11target_archE1200ELNS1_3gpuE4ELNS1_3repE0EEENS1_30default_config_static_selectorELNS0_4arch9wavefront6targetE1EEEvT1_,"axG",@progbits,_ZN7rocprim17ROCPRIM_400000_NS6detail17trampoline_kernelINS0_14default_configENS1_25transform_config_selectorIsLb0EEEZNS1_14transform_implILb0ES3_S5_N6thrust23THRUST_200600_302600_NS10device_ptrIsEEPsNS0_8identityIsEEEE10hipError_tT2_T3_mT4_P12ihipStream_tbEUlT_E_NS1_11comp_targetILNS1_3genE10ELNS1_11target_archE1200ELNS1_3gpuE4ELNS1_3repE0EEENS1_30default_config_static_selectorELNS0_4arch9wavefront6targetE1EEEvT1_,comdat
.Lfunc_end2437:
	.size	_ZN7rocprim17ROCPRIM_400000_NS6detail17trampoline_kernelINS0_14default_configENS1_25transform_config_selectorIsLb0EEEZNS1_14transform_implILb0ES3_S5_N6thrust23THRUST_200600_302600_NS10device_ptrIsEEPsNS0_8identityIsEEEE10hipError_tT2_T3_mT4_P12ihipStream_tbEUlT_E_NS1_11comp_targetILNS1_3genE10ELNS1_11target_archE1200ELNS1_3gpuE4ELNS1_3repE0EEENS1_30default_config_static_selectorELNS0_4arch9wavefront6targetE1EEEvT1_, .Lfunc_end2437-_ZN7rocprim17ROCPRIM_400000_NS6detail17trampoline_kernelINS0_14default_configENS1_25transform_config_selectorIsLb0EEEZNS1_14transform_implILb0ES3_S5_N6thrust23THRUST_200600_302600_NS10device_ptrIsEEPsNS0_8identityIsEEEE10hipError_tT2_T3_mT4_P12ihipStream_tbEUlT_E_NS1_11comp_targetILNS1_3genE10ELNS1_11target_archE1200ELNS1_3gpuE4ELNS1_3repE0EEENS1_30default_config_static_selectorELNS0_4arch9wavefront6targetE1EEEvT1_
                                        ; -- End function
	.set _ZN7rocprim17ROCPRIM_400000_NS6detail17trampoline_kernelINS0_14default_configENS1_25transform_config_selectorIsLb0EEEZNS1_14transform_implILb0ES3_S5_N6thrust23THRUST_200600_302600_NS10device_ptrIsEEPsNS0_8identityIsEEEE10hipError_tT2_T3_mT4_P12ihipStream_tbEUlT_E_NS1_11comp_targetILNS1_3genE10ELNS1_11target_archE1200ELNS1_3gpuE4ELNS1_3repE0EEENS1_30default_config_static_selectorELNS0_4arch9wavefront6targetE1EEEvT1_.num_vgpr, 0
	.set _ZN7rocprim17ROCPRIM_400000_NS6detail17trampoline_kernelINS0_14default_configENS1_25transform_config_selectorIsLb0EEEZNS1_14transform_implILb0ES3_S5_N6thrust23THRUST_200600_302600_NS10device_ptrIsEEPsNS0_8identityIsEEEE10hipError_tT2_T3_mT4_P12ihipStream_tbEUlT_E_NS1_11comp_targetILNS1_3genE10ELNS1_11target_archE1200ELNS1_3gpuE4ELNS1_3repE0EEENS1_30default_config_static_selectorELNS0_4arch9wavefront6targetE1EEEvT1_.num_agpr, 0
	.set _ZN7rocprim17ROCPRIM_400000_NS6detail17trampoline_kernelINS0_14default_configENS1_25transform_config_selectorIsLb0EEEZNS1_14transform_implILb0ES3_S5_N6thrust23THRUST_200600_302600_NS10device_ptrIsEEPsNS0_8identityIsEEEE10hipError_tT2_T3_mT4_P12ihipStream_tbEUlT_E_NS1_11comp_targetILNS1_3genE10ELNS1_11target_archE1200ELNS1_3gpuE4ELNS1_3repE0EEENS1_30default_config_static_selectorELNS0_4arch9wavefront6targetE1EEEvT1_.numbered_sgpr, 0
	.set _ZN7rocprim17ROCPRIM_400000_NS6detail17trampoline_kernelINS0_14default_configENS1_25transform_config_selectorIsLb0EEEZNS1_14transform_implILb0ES3_S5_N6thrust23THRUST_200600_302600_NS10device_ptrIsEEPsNS0_8identityIsEEEE10hipError_tT2_T3_mT4_P12ihipStream_tbEUlT_E_NS1_11comp_targetILNS1_3genE10ELNS1_11target_archE1200ELNS1_3gpuE4ELNS1_3repE0EEENS1_30default_config_static_selectorELNS0_4arch9wavefront6targetE1EEEvT1_.num_named_barrier, 0
	.set _ZN7rocprim17ROCPRIM_400000_NS6detail17trampoline_kernelINS0_14default_configENS1_25transform_config_selectorIsLb0EEEZNS1_14transform_implILb0ES3_S5_N6thrust23THRUST_200600_302600_NS10device_ptrIsEEPsNS0_8identityIsEEEE10hipError_tT2_T3_mT4_P12ihipStream_tbEUlT_E_NS1_11comp_targetILNS1_3genE10ELNS1_11target_archE1200ELNS1_3gpuE4ELNS1_3repE0EEENS1_30default_config_static_selectorELNS0_4arch9wavefront6targetE1EEEvT1_.private_seg_size, 0
	.set _ZN7rocprim17ROCPRIM_400000_NS6detail17trampoline_kernelINS0_14default_configENS1_25transform_config_selectorIsLb0EEEZNS1_14transform_implILb0ES3_S5_N6thrust23THRUST_200600_302600_NS10device_ptrIsEEPsNS0_8identityIsEEEE10hipError_tT2_T3_mT4_P12ihipStream_tbEUlT_E_NS1_11comp_targetILNS1_3genE10ELNS1_11target_archE1200ELNS1_3gpuE4ELNS1_3repE0EEENS1_30default_config_static_selectorELNS0_4arch9wavefront6targetE1EEEvT1_.uses_vcc, 0
	.set _ZN7rocprim17ROCPRIM_400000_NS6detail17trampoline_kernelINS0_14default_configENS1_25transform_config_selectorIsLb0EEEZNS1_14transform_implILb0ES3_S5_N6thrust23THRUST_200600_302600_NS10device_ptrIsEEPsNS0_8identityIsEEEE10hipError_tT2_T3_mT4_P12ihipStream_tbEUlT_E_NS1_11comp_targetILNS1_3genE10ELNS1_11target_archE1200ELNS1_3gpuE4ELNS1_3repE0EEENS1_30default_config_static_selectorELNS0_4arch9wavefront6targetE1EEEvT1_.uses_flat_scratch, 0
	.set _ZN7rocprim17ROCPRIM_400000_NS6detail17trampoline_kernelINS0_14default_configENS1_25transform_config_selectorIsLb0EEEZNS1_14transform_implILb0ES3_S5_N6thrust23THRUST_200600_302600_NS10device_ptrIsEEPsNS0_8identityIsEEEE10hipError_tT2_T3_mT4_P12ihipStream_tbEUlT_E_NS1_11comp_targetILNS1_3genE10ELNS1_11target_archE1200ELNS1_3gpuE4ELNS1_3repE0EEENS1_30default_config_static_selectorELNS0_4arch9wavefront6targetE1EEEvT1_.has_dyn_sized_stack, 0
	.set _ZN7rocprim17ROCPRIM_400000_NS6detail17trampoline_kernelINS0_14default_configENS1_25transform_config_selectorIsLb0EEEZNS1_14transform_implILb0ES3_S5_N6thrust23THRUST_200600_302600_NS10device_ptrIsEEPsNS0_8identityIsEEEE10hipError_tT2_T3_mT4_P12ihipStream_tbEUlT_E_NS1_11comp_targetILNS1_3genE10ELNS1_11target_archE1200ELNS1_3gpuE4ELNS1_3repE0EEENS1_30default_config_static_selectorELNS0_4arch9wavefront6targetE1EEEvT1_.has_recursion, 0
	.set _ZN7rocprim17ROCPRIM_400000_NS6detail17trampoline_kernelINS0_14default_configENS1_25transform_config_selectorIsLb0EEEZNS1_14transform_implILb0ES3_S5_N6thrust23THRUST_200600_302600_NS10device_ptrIsEEPsNS0_8identityIsEEEE10hipError_tT2_T3_mT4_P12ihipStream_tbEUlT_E_NS1_11comp_targetILNS1_3genE10ELNS1_11target_archE1200ELNS1_3gpuE4ELNS1_3repE0EEENS1_30default_config_static_selectorELNS0_4arch9wavefront6targetE1EEEvT1_.has_indirect_call, 0
	.section	.AMDGPU.csdata,"",@progbits
; Kernel info:
; codeLenInByte = 0
; TotalNumSgprs: 6
; NumVgprs: 0
; NumAgprs: 0
; TotalNumVgprs: 0
; ScratchSize: 0
; MemoryBound: 0
; FloatMode: 240
; IeeeMode: 1
; LDSByteSize: 0 bytes/workgroup (compile time only)
; SGPRBlocks: 0
; VGPRBlocks: 0
; NumSGPRsForWavesPerEU: 6
; NumVGPRsForWavesPerEU: 1
; AccumOffset: 4
; Occupancy: 8
; WaveLimiterHint : 0
; COMPUTE_PGM_RSRC2:SCRATCH_EN: 0
; COMPUTE_PGM_RSRC2:USER_SGPR: 2
; COMPUTE_PGM_RSRC2:TRAP_HANDLER: 0
; COMPUTE_PGM_RSRC2:TGID_X_EN: 1
; COMPUTE_PGM_RSRC2:TGID_Y_EN: 0
; COMPUTE_PGM_RSRC2:TGID_Z_EN: 0
; COMPUTE_PGM_RSRC2:TIDIG_COMP_CNT: 0
; COMPUTE_PGM_RSRC3_GFX90A:ACCUM_OFFSET: 0
; COMPUTE_PGM_RSRC3_GFX90A:TG_SPLIT: 0
	.section	.text._ZN7rocprim17ROCPRIM_400000_NS6detail17trampoline_kernelINS0_14default_configENS1_25transform_config_selectorIsLb0EEEZNS1_14transform_implILb0ES3_S5_N6thrust23THRUST_200600_302600_NS10device_ptrIsEEPsNS0_8identityIsEEEE10hipError_tT2_T3_mT4_P12ihipStream_tbEUlT_E_NS1_11comp_targetILNS1_3genE9ELNS1_11target_archE1100ELNS1_3gpuE3ELNS1_3repE0EEENS1_30default_config_static_selectorELNS0_4arch9wavefront6targetE1EEEvT1_,"axG",@progbits,_ZN7rocprim17ROCPRIM_400000_NS6detail17trampoline_kernelINS0_14default_configENS1_25transform_config_selectorIsLb0EEEZNS1_14transform_implILb0ES3_S5_N6thrust23THRUST_200600_302600_NS10device_ptrIsEEPsNS0_8identityIsEEEE10hipError_tT2_T3_mT4_P12ihipStream_tbEUlT_E_NS1_11comp_targetILNS1_3genE9ELNS1_11target_archE1100ELNS1_3gpuE3ELNS1_3repE0EEENS1_30default_config_static_selectorELNS0_4arch9wavefront6targetE1EEEvT1_,comdat
	.protected	_ZN7rocprim17ROCPRIM_400000_NS6detail17trampoline_kernelINS0_14default_configENS1_25transform_config_selectorIsLb0EEEZNS1_14transform_implILb0ES3_S5_N6thrust23THRUST_200600_302600_NS10device_ptrIsEEPsNS0_8identityIsEEEE10hipError_tT2_T3_mT4_P12ihipStream_tbEUlT_E_NS1_11comp_targetILNS1_3genE9ELNS1_11target_archE1100ELNS1_3gpuE3ELNS1_3repE0EEENS1_30default_config_static_selectorELNS0_4arch9wavefront6targetE1EEEvT1_ ; -- Begin function _ZN7rocprim17ROCPRIM_400000_NS6detail17trampoline_kernelINS0_14default_configENS1_25transform_config_selectorIsLb0EEEZNS1_14transform_implILb0ES3_S5_N6thrust23THRUST_200600_302600_NS10device_ptrIsEEPsNS0_8identityIsEEEE10hipError_tT2_T3_mT4_P12ihipStream_tbEUlT_E_NS1_11comp_targetILNS1_3genE9ELNS1_11target_archE1100ELNS1_3gpuE3ELNS1_3repE0EEENS1_30default_config_static_selectorELNS0_4arch9wavefront6targetE1EEEvT1_
	.globl	_ZN7rocprim17ROCPRIM_400000_NS6detail17trampoline_kernelINS0_14default_configENS1_25transform_config_selectorIsLb0EEEZNS1_14transform_implILb0ES3_S5_N6thrust23THRUST_200600_302600_NS10device_ptrIsEEPsNS0_8identityIsEEEE10hipError_tT2_T3_mT4_P12ihipStream_tbEUlT_E_NS1_11comp_targetILNS1_3genE9ELNS1_11target_archE1100ELNS1_3gpuE3ELNS1_3repE0EEENS1_30default_config_static_selectorELNS0_4arch9wavefront6targetE1EEEvT1_
	.p2align	8
	.type	_ZN7rocprim17ROCPRIM_400000_NS6detail17trampoline_kernelINS0_14default_configENS1_25transform_config_selectorIsLb0EEEZNS1_14transform_implILb0ES3_S5_N6thrust23THRUST_200600_302600_NS10device_ptrIsEEPsNS0_8identityIsEEEE10hipError_tT2_T3_mT4_P12ihipStream_tbEUlT_E_NS1_11comp_targetILNS1_3genE9ELNS1_11target_archE1100ELNS1_3gpuE3ELNS1_3repE0EEENS1_30default_config_static_selectorELNS0_4arch9wavefront6targetE1EEEvT1_,@function
_ZN7rocprim17ROCPRIM_400000_NS6detail17trampoline_kernelINS0_14default_configENS1_25transform_config_selectorIsLb0EEEZNS1_14transform_implILb0ES3_S5_N6thrust23THRUST_200600_302600_NS10device_ptrIsEEPsNS0_8identityIsEEEE10hipError_tT2_T3_mT4_P12ihipStream_tbEUlT_E_NS1_11comp_targetILNS1_3genE9ELNS1_11target_archE1100ELNS1_3gpuE3ELNS1_3repE0EEENS1_30default_config_static_selectorELNS0_4arch9wavefront6targetE1EEEvT1_: ; @_ZN7rocprim17ROCPRIM_400000_NS6detail17trampoline_kernelINS0_14default_configENS1_25transform_config_selectorIsLb0EEEZNS1_14transform_implILb0ES3_S5_N6thrust23THRUST_200600_302600_NS10device_ptrIsEEPsNS0_8identityIsEEEE10hipError_tT2_T3_mT4_P12ihipStream_tbEUlT_E_NS1_11comp_targetILNS1_3genE9ELNS1_11target_archE1100ELNS1_3gpuE3ELNS1_3repE0EEENS1_30default_config_static_selectorELNS0_4arch9wavefront6targetE1EEEvT1_
; %bb.0:
	.section	.rodata,"a",@progbits
	.p2align	6, 0x0
	.amdhsa_kernel _ZN7rocprim17ROCPRIM_400000_NS6detail17trampoline_kernelINS0_14default_configENS1_25transform_config_selectorIsLb0EEEZNS1_14transform_implILb0ES3_S5_N6thrust23THRUST_200600_302600_NS10device_ptrIsEEPsNS0_8identityIsEEEE10hipError_tT2_T3_mT4_P12ihipStream_tbEUlT_E_NS1_11comp_targetILNS1_3genE9ELNS1_11target_archE1100ELNS1_3gpuE3ELNS1_3repE0EEENS1_30default_config_static_selectorELNS0_4arch9wavefront6targetE1EEEvT1_
		.amdhsa_group_segment_fixed_size 0
		.amdhsa_private_segment_fixed_size 0
		.amdhsa_kernarg_size 40
		.amdhsa_user_sgpr_count 2
		.amdhsa_user_sgpr_dispatch_ptr 0
		.amdhsa_user_sgpr_queue_ptr 0
		.amdhsa_user_sgpr_kernarg_segment_ptr 1
		.amdhsa_user_sgpr_dispatch_id 0
		.amdhsa_user_sgpr_kernarg_preload_length 0
		.amdhsa_user_sgpr_kernarg_preload_offset 0
		.amdhsa_user_sgpr_private_segment_size 0
		.amdhsa_uses_dynamic_stack 0
		.amdhsa_enable_private_segment 0
		.amdhsa_system_sgpr_workgroup_id_x 1
		.amdhsa_system_sgpr_workgroup_id_y 0
		.amdhsa_system_sgpr_workgroup_id_z 0
		.amdhsa_system_sgpr_workgroup_info 0
		.amdhsa_system_vgpr_workitem_id 0
		.amdhsa_next_free_vgpr 1
		.amdhsa_next_free_sgpr 0
		.amdhsa_accum_offset 4
		.amdhsa_reserve_vcc 0
		.amdhsa_float_round_mode_32 0
		.amdhsa_float_round_mode_16_64 0
		.amdhsa_float_denorm_mode_32 3
		.amdhsa_float_denorm_mode_16_64 3
		.amdhsa_dx10_clamp 1
		.amdhsa_ieee_mode 1
		.amdhsa_fp16_overflow 0
		.amdhsa_tg_split 0
		.amdhsa_exception_fp_ieee_invalid_op 0
		.amdhsa_exception_fp_denorm_src 0
		.amdhsa_exception_fp_ieee_div_zero 0
		.amdhsa_exception_fp_ieee_overflow 0
		.amdhsa_exception_fp_ieee_underflow 0
		.amdhsa_exception_fp_ieee_inexact 0
		.amdhsa_exception_int_div_zero 0
	.end_amdhsa_kernel
	.section	.text._ZN7rocprim17ROCPRIM_400000_NS6detail17trampoline_kernelINS0_14default_configENS1_25transform_config_selectorIsLb0EEEZNS1_14transform_implILb0ES3_S5_N6thrust23THRUST_200600_302600_NS10device_ptrIsEEPsNS0_8identityIsEEEE10hipError_tT2_T3_mT4_P12ihipStream_tbEUlT_E_NS1_11comp_targetILNS1_3genE9ELNS1_11target_archE1100ELNS1_3gpuE3ELNS1_3repE0EEENS1_30default_config_static_selectorELNS0_4arch9wavefront6targetE1EEEvT1_,"axG",@progbits,_ZN7rocprim17ROCPRIM_400000_NS6detail17trampoline_kernelINS0_14default_configENS1_25transform_config_selectorIsLb0EEEZNS1_14transform_implILb0ES3_S5_N6thrust23THRUST_200600_302600_NS10device_ptrIsEEPsNS0_8identityIsEEEE10hipError_tT2_T3_mT4_P12ihipStream_tbEUlT_E_NS1_11comp_targetILNS1_3genE9ELNS1_11target_archE1100ELNS1_3gpuE3ELNS1_3repE0EEENS1_30default_config_static_selectorELNS0_4arch9wavefront6targetE1EEEvT1_,comdat
.Lfunc_end2438:
	.size	_ZN7rocprim17ROCPRIM_400000_NS6detail17trampoline_kernelINS0_14default_configENS1_25transform_config_selectorIsLb0EEEZNS1_14transform_implILb0ES3_S5_N6thrust23THRUST_200600_302600_NS10device_ptrIsEEPsNS0_8identityIsEEEE10hipError_tT2_T3_mT4_P12ihipStream_tbEUlT_E_NS1_11comp_targetILNS1_3genE9ELNS1_11target_archE1100ELNS1_3gpuE3ELNS1_3repE0EEENS1_30default_config_static_selectorELNS0_4arch9wavefront6targetE1EEEvT1_, .Lfunc_end2438-_ZN7rocprim17ROCPRIM_400000_NS6detail17trampoline_kernelINS0_14default_configENS1_25transform_config_selectorIsLb0EEEZNS1_14transform_implILb0ES3_S5_N6thrust23THRUST_200600_302600_NS10device_ptrIsEEPsNS0_8identityIsEEEE10hipError_tT2_T3_mT4_P12ihipStream_tbEUlT_E_NS1_11comp_targetILNS1_3genE9ELNS1_11target_archE1100ELNS1_3gpuE3ELNS1_3repE0EEENS1_30default_config_static_selectorELNS0_4arch9wavefront6targetE1EEEvT1_
                                        ; -- End function
	.set _ZN7rocprim17ROCPRIM_400000_NS6detail17trampoline_kernelINS0_14default_configENS1_25transform_config_selectorIsLb0EEEZNS1_14transform_implILb0ES3_S5_N6thrust23THRUST_200600_302600_NS10device_ptrIsEEPsNS0_8identityIsEEEE10hipError_tT2_T3_mT4_P12ihipStream_tbEUlT_E_NS1_11comp_targetILNS1_3genE9ELNS1_11target_archE1100ELNS1_3gpuE3ELNS1_3repE0EEENS1_30default_config_static_selectorELNS0_4arch9wavefront6targetE1EEEvT1_.num_vgpr, 0
	.set _ZN7rocprim17ROCPRIM_400000_NS6detail17trampoline_kernelINS0_14default_configENS1_25transform_config_selectorIsLb0EEEZNS1_14transform_implILb0ES3_S5_N6thrust23THRUST_200600_302600_NS10device_ptrIsEEPsNS0_8identityIsEEEE10hipError_tT2_T3_mT4_P12ihipStream_tbEUlT_E_NS1_11comp_targetILNS1_3genE9ELNS1_11target_archE1100ELNS1_3gpuE3ELNS1_3repE0EEENS1_30default_config_static_selectorELNS0_4arch9wavefront6targetE1EEEvT1_.num_agpr, 0
	.set _ZN7rocprim17ROCPRIM_400000_NS6detail17trampoline_kernelINS0_14default_configENS1_25transform_config_selectorIsLb0EEEZNS1_14transform_implILb0ES3_S5_N6thrust23THRUST_200600_302600_NS10device_ptrIsEEPsNS0_8identityIsEEEE10hipError_tT2_T3_mT4_P12ihipStream_tbEUlT_E_NS1_11comp_targetILNS1_3genE9ELNS1_11target_archE1100ELNS1_3gpuE3ELNS1_3repE0EEENS1_30default_config_static_selectorELNS0_4arch9wavefront6targetE1EEEvT1_.numbered_sgpr, 0
	.set _ZN7rocprim17ROCPRIM_400000_NS6detail17trampoline_kernelINS0_14default_configENS1_25transform_config_selectorIsLb0EEEZNS1_14transform_implILb0ES3_S5_N6thrust23THRUST_200600_302600_NS10device_ptrIsEEPsNS0_8identityIsEEEE10hipError_tT2_T3_mT4_P12ihipStream_tbEUlT_E_NS1_11comp_targetILNS1_3genE9ELNS1_11target_archE1100ELNS1_3gpuE3ELNS1_3repE0EEENS1_30default_config_static_selectorELNS0_4arch9wavefront6targetE1EEEvT1_.num_named_barrier, 0
	.set _ZN7rocprim17ROCPRIM_400000_NS6detail17trampoline_kernelINS0_14default_configENS1_25transform_config_selectorIsLb0EEEZNS1_14transform_implILb0ES3_S5_N6thrust23THRUST_200600_302600_NS10device_ptrIsEEPsNS0_8identityIsEEEE10hipError_tT2_T3_mT4_P12ihipStream_tbEUlT_E_NS1_11comp_targetILNS1_3genE9ELNS1_11target_archE1100ELNS1_3gpuE3ELNS1_3repE0EEENS1_30default_config_static_selectorELNS0_4arch9wavefront6targetE1EEEvT1_.private_seg_size, 0
	.set _ZN7rocprim17ROCPRIM_400000_NS6detail17trampoline_kernelINS0_14default_configENS1_25transform_config_selectorIsLb0EEEZNS1_14transform_implILb0ES3_S5_N6thrust23THRUST_200600_302600_NS10device_ptrIsEEPsNS0_8identityIsEEEE10hipError_tT2_T3_mT4_P12ihipStream_tbEUlT_E_NS1_11comp_targetILNS1_3genE9ELNS1_11target_archE1100ELNS1_3gpuE3ELNS1_3repE0EEENS1_30default_config_static_selectorELNS0_4arch9wavefront6targetE1EEEvT1_.uses_vcc, 0
	.set _ZN7rocprim17ROCPRIM_400000_NS6detail17trampoline_kernelINS0_14default_configENS1_25transform_config_selectorIsLb0EEEZNS1_14transform_implILb0ES3_S5_N6thrust23THRUST_200600_302600_NS10device_ptrIsEEPsNS0_8identityIsEEEE10hipError_tT2_T3_mT4_P12ihipStream_tbEUlT_E_NS1_11comp_targetILNS1_3genE9ELNS1_11target_archE1100ELNS1_3gpuE3ELNS1_3repE0EEENS1_30default_config_static_selectorELNS0_4arch9wavefront6targetE1EEEvT1_.uses_flat_scratch, 0
	.set _ZN7rocprim17ROCPRIM_400000_NS6detail17trampoline_kernelINS0_14default_configENS1_25transform_config_selectorIsLb0EEEZNS1_14transform_implILb0ES3_S5_N6thrust23THRUST_200600_302600_NS10device_ptrIsEEPsNS0_8identityIsEEEE10hipError_tT2_T3_mT4_P12ihipStream_tbEUlT_E_NS1_11comp_targetILNS1_3genE9ELNS1_11target_archE1100ELNS1_3gpuE3ELNS1_3repE0EEENS1_30default_config_static_selectorELNS0_4arch9wavefront6targetE1EEEvT1_.has_dyn_sized_stack, 0
	.set _ZN7rocprim17ROCPRIM_400000_NS6detail17trampoline_kernelINS0_14default_configENS1_25transform_config_selectorIsLb0EEEZNS1_14transform_implILb0ES3_S5_N6thrust23THRUST_200600_302600_NS10device_ptrIsEEPsNS0_8identityIsEEEE10hipError_tT2_T3_mT4_P12ihipStream_tbEUlT_E_NS1_11comp_targetILNS1_3genE9ELNS1_11target_archE1100ELNS1_3gpuE3ELNS1_3repE0EEENS1_30default_config_static_selectorELNS0_4arch9wavefront6targetE1EEEvT1_.has_recursion, 0
	.set _ZN7rocprim17ROCPRIM_400000_NS6detail17trampoline_kernelINS0_14default_configENS1_25transform_config_selectorIsLb0EEEZNS1_14transform_implILb0ES3_S5_N6thrust23THRUST_200600_302600_NS10device_ptrIsEEPsNS0_8identityIsEEEE10hipError_tT2_T3_mT4_P12ihipStream_tbEUlT_E_NS1_11comp_targetILNS1_3genE9ELNS1_11target_archE1100ELNS1_3gpuE3ELNS1_3repE0EEENS1_30default_config_static_selectorELNS0_4arch9wavefront6targetE1EEEvT1_.has_indirect_call, 0
	.section	.AMDGPU.csdata,"",@progbits
; Kernel info:
; codeLenInByte = 0
; TotalNumSgprs: 6
; NumVgprs: 0
; NumAgprs: 0
; TotalNumVgprs: 0
; ScratchSize: 0
; MemoryBound: 0
; FloatMode: 240
; IeeeMode: 1
; LDSByteSize: 0 bytes/workgroup (compile time only)
; SGPRBlocks: 0
; VGPRBlocks: 0
; NumSGPRsForWavesPerEU: 6
; NumVGPRsForWavesPerEU: 1
; AccumOffset: 4
; Occupancy: 8
; WaveLimiterHint : 0
; COMPUTE_PGM_RSRC2:SCRATCH_EN: 0
; COMPUTE_PGM_RSRC2:USER_SGPR: 2
; COMPUTE_PGM_RSRC2:TRAP_HANDLER: 0
; COMPUTE_PGM_RSRC2:TGID_X_EN: 1
; COMPUTE_PGM_RSRC2:TGID_Y_EN: 0
; COMPUTE_PGM_RSRC2:TGID_Z_EN: 0
; COMPUTE_PGM_RSRC2:TIDIG_COMP_CNT: 0
; COMPUTE_PGM_RSRC3_GFX90A:ACCUM_OFFSET: 0
; COMPUTE_PGM_RSRC3_GFX90A:TG_SPLIT: 0
	.section	.text._ZN7rocprim17ROCPRIM_400000_NS6detail17trampoline_kernelINS0_14default_configENS1_25transform_config_selectorIsLb0EEEZNS1_14transform_implILb0ES3_S5_N6thrust23THRUST_200600_302600_NS10device_ptrIsEEPsNS0_8identityIsEEEE10hipError_tT2_T3_mT4_P12ihipStream_tbEUlT_E_NS1_11comp_targetILNS1_3genE8ELNS1_11target_archE1030ELNS1_3gpuE2ELNS1_3repE0EEENS1_30default_config_static_selectorELNS0_4arch9wavefront6targetE1EEEvT1_,"axG",@progbits,_ZN7rocprim17ROCPRIM_400000_NS6detail17trampoline_kernelINS0_14default_configENS1_25transform_config_selectorIsLb0EEEZNS1_14transform_implILb0ES3_S5_N6thrust23THRUST_200600_302600_NS10device_ptrIsEEPsNS0_8identityIsEEEE10hipError_tT2_T3_mT4_P12ihipStream_tbEUlT_E_NS1_11comp_targetILNS1_3genE8ELNS1_11target_archE1030ELNS1_3gpuE2ELNS1_3repE0EEENS1_30default_config_static_selectorELNS0_4arch9wavefront6targetE1EEEvT1_,comdat
	.protected	_ZN7rocprim17ROCPRIM_400000_NS6detail17trampoline_kernelINS0_14default_configENS1_25transform_config_selectorIsLb0EEEZNS1_14transform_implILb0ES3_S5_N6thrust23THRUST_200600_302600_NS10device_ptrIsEEPsNS0_8identityIsEEEE10hipError_tT2_T3_mT4_P12ihipStream_tbEUlT_E_NS1_11comp_targetILNS1_3genE8ELNS1_11target_archE1030ELNS1_3gpuE2ELNS1_3repE0EEENS1_30default_config_static_selectorELNS0_4arch9wavefront6targetE1EEEvT1_ ; -- Begin function _ZN7rocprim17ROCPRIM_400000_NS6detail17trampoline_kernelINS0_14default_configENS1_25transform_config_selectorIsLb0EEEZNS1_14transform_implILb0ES3_S5_N6thrust23THRUST_200600_302600_NS10device_ptrIsEEPsNS0_8identityIsEEEE10hipError_tT2_T3_mT4_P12ihipStream_tbEUlT_E_NS1_11comp_targetILNS1_3genE8ELNS1_11target_archE1030ELNS1_3gpuE2ELNS1_3repE0EEENS1_30default_config_static_selectorELNS0_4arch9wavefront6targetE1EEEvT1_
	.globl	_ZN7rocprim17ROCPRIM_400000_NS6detail17trampoline_kernelINS0_14default_configENS1_25transform_config_selectorIsLb0EEEZNS1_14transform_implILb0ES3_S5_N6thrust23THRUST_200600_302600_NS10device_ptrIsEEPsNS0_8identityIsEEEE10hipError_tT2_T3_mT4_P12ihipStream_tbEUlT_E_NS1_11comp_targetILNS1_3genE8ELNS1_11target_archE1030ELNS1_3gpuE2ELNS1_3repE0EEENS1_30default_config_static_selectorELNS0_4arch9wavefront6targetE1EEEvT1_
	.p2align	8
	.type	_ZN7rocprim17ROCPRIM_400000_NS6detail17trampoline_kernelINS0_14default_configENS1_25transform_config_selectorIsLb0EEEZNS1_14transform_implILb0ES3_S5_N6thrust23THRUST_200600_302600_NS10device_ptrIsEEPsNS0_8identityIsEEEE10hipError_tT2_T3_mT4_P12ihipStream_tbEUlT_E_NS1_11comp_targetILNS1_3genE8ELNS1_11target_archE1030ELNS1_3gpuE2ELNS1_3repE0EEENS1_30default_config_static_selectorELNS0_4arch9wavefront6targetE1EEEvT1_,@function
_ZN7rocprim17ROCPRIM_400000_NS6detail17trampoline_kernelINS0_14default_configENS1_25transform_config_selectorIsLb0EEEZNS1_14transform_implILb0ES3_S5_N6thrust23THRUST_200600_302600_NS10device_ptrIsEEPsNS0_8identityIsEEEE10hipError_tT2_T3_mT4_P12ihipStream_tbEUlT_E_NS1_11comp_targetILNS1_3genE8ELNS1_11target_archE1030ELNS1_3gpuE2ELNS1_3repE0EEENS1_30default_config_static_selectorELNS0_4arch9wavefront6targetE1EEEvT1_: ; @_ZN7rocprim17ROCPRIM_400000_NS6detail17trampoline_kernelINS0_14default_configENS1_25transform_config_selectorIsLb0EEEZNS1_14transform_implILb0ES3_S5_N6thrust23THRUST_200600_302600_NS10device_ptrIsEEPsNS0_8identityIsEEEE10hipError_tT2_T3_mT4_P12ihipStream_tbEUlT_E_NS1_11comp_targetILNS1_3genE8ELNS1_11target_archE1030ELNS1_3gpuE2ELNS1_3repE0EEENS1_30default_config_static_selectorELNS0_4arch9wavefront6targetE1EEEvT1_
; %bb.0:
	.section	.rodata,"a",@progbits
	.p2align	6, 0x0
	.amdhsa_kernel _ZN7rocprim17ROCPRIM_400000_NS6detail17trampoline_kernelINS0_14default_configENS1_25transform_config_selectorIsLb0EEEZNS1_14transform_implILb0ES3_S5_N6thrust23THRUST_200600_302600_NS10device_ptrIsEEPsNS0_8identityIsEEEE10hipError_tT2_T3_mT4_P12ihipStream_tbEUlT_E_NS1_11comp_targetILNS1_3genE8ELNS1_11target_archE1030ELNS1_3gpuE2ELNS1_3repE0EEENS1_30default_config_static_selectorELNS0_4arch9wavefront6targetE1EEEvT1_
		.amdhsa_group_segment_fixed_size 0
		.amdhsa_private_segment_fixed_size 0
		.amdhsa_kernarg_size 40
		.amdhsa_user_sgpr_count 2
		.amdhsa_user_sgpr_dispatch_ptr 0
		.amdhsa_user_sgpr_queue_ptr 0
		.amdhsa_user_sgpr_kernarg_segment_ptr 1
		.amdhsa_user_sgpr_dispatch_id 0
		.amdhsa_user_sgpr_kernarg_preload_length 0
		.amdhsa_user_sgpr_kernarg_preload_offset 0
		.amdhsa_user_sgpr_private_segment_size 0
		.amdhsa_uses_dynamic_stack 0
		.amdhsa_enable_private_segment 0
		.amdhsa_system_sgpr_workgroup_id_x 1
		.amdhsa_system_sgpr_workgroup_id_y 0
		.amdhsa_system_sgpr_workgroup_id_z 0
		.amdhsa_system_sgpr_workgroup_info 0
		.amdhsa_system_vgpr_workitem_id 0
		.amdhsa_next_free_vgpr 1
		.amdhsa_next_free_sgpr 0
		.amdhsa_accum_offset 4
		.amdhsa_reserve_vcc 0
		.amdhsa_float_round_mode_32 0
		.amdhsa_float_round_mode_16_64 0
		.amdhsa_float_denorm_mode_32 3
		.amdhsa_float_denorm_mode_16_64 3
		.amdhsa_dx10_clamp 1
		.amdhsa_ieee_mode 1
		.amdhsa_fp16_overflow 0
		.amdhsa_tg_split 0
		.amdhsa_exception_fp_ieee_invalid_op 0
		.amdhsa_exception_fp_denorm_src 0
		.amdhsa_exception_fp_ieee_div_zero 0
		.amdhsa_exception_fp_ieee_overflow 0
		.amdhsa_exception_fp_ieee_underflow 0
		.amdhsa_exception_fp_ieee_inexact 0
		.amdhsa_exception_int_div_zero 0
	.end_amdhsa_kernel
	.section	.text._ZN7rocprim17ROCPRIM_400000_NS6detail17trampoline_kernelINS0_14default_configENS1_25transform_config_selectorIsLb0EEEZNS1_14transform_implILb0ES3_S5_N6thrust23THRUST_200600_302600_NS10device_ptrIsEEPsNS0_8identityIsEEEE10hipError_tT2_T3_mT4_P12ihipStream_tbEUlT_E_NS1_11comp_targetILNS1_3genE8ELNS1_11target_archE1030ELNS1_3gpuE2ELNS1_3repE0EEENS1_30default_config_static_selectorELNS0_4arch9wavefront6targetE1EEEvT1_,"axG",@progbits,_ZN7rocprim17ROCPRIM_400000_NS6detail17trampoline_kernelINS0_14default_configENS1_25transform_config_selectorIsLb0EEEZNS1_14transform_implILb0ES3_S5_N6thrust23THRUST_200600_302600_NS10device_ptrIsEEPsNS0_8identityIsEEEE10hipError_tT2_T3_mT4_P12ihipStream_tbEUlT_E_NS1_11comp_targetILNS1_3genE8ELNS1_11target_archE1030ELNS1_3gpuE2ELNS1_3repE0EEENS1_30default_config_static_selectorELNS0_4arch9wavefront6targetE1EEEvT1_,comdat
.Lfunc_end2439:
	.size	_ZN7rocprim17ROCPRIM_400000_NS6detail17trampoline_kernelINS0_14default_configENS1_25transform_config_selectorIsLb0EEEZNS1_14transform_implILb0ES3_S5_N6thrust23THRUST_200600_302600_NS10device_ptrIsEEPsNS0_8identityIsEEEE10hipError_tT2_T3_mT4_P12ihipStream_tbEUlT_E_NS1_11comp_targetILNS1_3genE8ELNS1_11target_archE1030ELNS1_3gpuE2ELNS1_3repE0EEENS1_30default_config_static_selectorELNS0_4arch9wavefront6targetE1EEEvT1_, .Lfunc_end2439-_ZN7rocprim17ROCPRIM_400000_NS6detail17trampoline_kernelINS0_14default_configENS1_25transform_config_selectorIsLb0EEEZNS1_14transform_implILb0ES3_S5_N6thrust23THRUST_200600_302600_NS10device_ptrIsEEPsNS0_8identityIsEEEE10hipError_tT2_T3_mT4_P12ihipStream_tbEUlT_E_NS1_11comp_targetILNS1_3genE8ELNS1_11target_archE1030ELNS1_3gpuE2ELNS1_3repE0EEENS1_30default_config_static_selectorELNS0_4arch9wavefront6targetE1EEEvT1_
                                        ; -- End function
	.set _ZN7rocprim17ROCPRIM_400000_NS6detail17trampoline_kernelINS0_14default_configENS1_25transform_config_selectorIsLb0EEEZNS1_14transform_implILb0ES3_S5_N6thrust23THRUST_200600_302600_NS10device_ptrIsEEPsNS0_8identityIsEEEE10hipError_tT2_T3_mT4_P12ihipStream_tbEUlT_E_NS1_11comp_targetILNS1_3genE8ELNS1_11target_archE1030ELNS1_3gpuE2ELNS1_3repE0EEENS1_30default_config_static_selectorELNS0_4arch9wavefront6targetE1EEEvT1_.num_vgpr, 0
	.set _ZN7rocprim17ROCPRIM_400000_NS6detail17trampoline_kernelINS0_14default_configENS1_25transform_config_selectorIsLb0EEEZNS1_14transform_implILb0ES3_S5_N6thrust23THRUST_200600_302600_NS10device_ptrIsEEPsNS0_8identityIsEEEE10hipError_tT2_T3_mT4_P12ihipStream_tbEUlT_E_NS1_11comp_targetILNS1_3genE8ELNS1_11target_archE1030ELNS1_3gpuE2ELNS1_3repE0EEENS1_30default_config_static_selectorELNS0_4arch9wavefront6targetE1EEEvT1_.num_agpr, 0
	.set _ZN7rocprim17ROCPRIM_400000_NS6detail17trampoline_kernelINS0_14default_configENS1_25transform_config_selectorIsLb0EEEZNS1_14transform_implILb0ES3_S5_N6thrust23THRUST_200600_302600_NS10device_ptrIsEEPsNS0_8identityIsEEEE10hipError_tT2_T3_mT4_P12ihipStream_tbEUlT_E_NS1_11comp_targetILNS1_3genE8ELNS1_11target_archE1030ELNS1_3gpuE2ELNS1_3repE0EEENS1_30default_config_static_selectorELNS0_4arch9wavefront6targetE1EEEvT1_.numbered_sgpr, 0
	.set _ZN7rocprim17ROCPRIM_400000_NS6detail17trampoline_kernelINS0_14default_configENS1_25transform_config_selectorIsLb0EEEZNS1_14transform_implILb0ES3_S5_N6thrust23THRUST_200600_302600_NS10device_ptrIsEEPsNS0_8identityIsEEEE10hipError_tT2_T3_mT4_P12ihipStream_tbEUlT_E_NS1_11comp_targetILNS1_3genE8ELNS1_11target_archE1030ELNS1_3gpuE2ELNS1_3repE0EEENS1_30default_config_static_selectorELNS0_4arch9wavefront6targetE1EEEvT1_.num_named_barrier, 0
	.set _ZN7rocprim17ROCPRIM_400000_NS6detail17trampoline_kernelINS0_14default_configENS1_25transform_config_selectorIsLb0EEEZNS1_14transform_implILb0ES3_S5_N6thrust23THRUST_200600_302600_NS10device_ptrIsEEPsNS0_8identityIsEEEE10hipError_tT2_T3_mT4_P12ihipStream_tbEUlT_E_NS1_11comp_targetILNS1_3genE8ELNS1_11target_archE1030ELNS1_3gpuE2ELNS1_3repE0EEENS1_30default_config_static_selectorELNS0_4arch9wavefront6targetE1EEEvT1_.private_seg_size, 0
	.set _ZN7rocprim17ROCPRIM_400000_NS6detail17trampoline_kernelINS0_14default_configENS1_25transform_config_selectorIsLb0EEEZNS1_14transform_implILb0ES3_S5_N6thrust23THRUST_200600_302600_NS10device_ptrIsEEPsNS0_8identityIsEEEE10hipError_tT2_T3_mT4_P12ihipStream_tbEUlT_E_NS1_11comp_targetILNS1_3genE8ELNS1_11target_archE1030ELNS1_3gpuE2ELNS1_3repE0EEENS1_30default_config_static_selectorELNS0_4arch9wavefront6targetE1EEEvT1_.uses_vcc, 0
	.set _ZN7rocprim17ROCPRIM_400000_NS6detail17trampoline_kernelINS0_14default_configENS1_25transform_config_selectorIsLb0EEEZNS1_14transform_implILb0ES3_S5_N6thrust23THRUST_200600_302600_NS10device_ptrIsEEPsNS0_8identityIsEEEE10hipError_tT2_T3_mT4_P12ihipStream_tbEUlT_E_NS1_11comp_targetILNS1_3genE8ELNS1_11target_archE1030ELNS1_3gpuE2ELNS1_3repE0EEENS1_30default_config_static_selectorELNS0_4arch9wavefront6targetE1EEEvT1_.uses_flat_scratch, 0
	.set _ZN7rocprim17ROCPRIM_400000_NS6detail17trampoline_kernelINS0_14default_configENS1_25transform_config_selectorIsLb0EEEZNS1_14transform_implILb0ES3_S5_N6thrust23THRUST_200600_302600_NS10device_ptrIsEEPsNS0_8identityIsEEEE10hipError_tT2_T3_mT4_P12ihipStream_tbEUlT_E_NS1_11comp_targetILNS1_3genE8ELNS1_11target_archE1030ELNS1_3gpuE2ELNS1_3repE0EEENS1_30default_config_static_selectorELNS0_4arch9wavefront6targetE1EEEvT1_.has_dyn_sized_stack, 0
	.set _ZN7rocprim17ROCPRIM_400000_NS6detail17trampoline_kernelINS0_14default_configENS1_25transform_config_selectorIsLb0EEEZNS1_14transform_implILb0ES3_S5_N6thrust23THRUST_200600_302600_NS10device_ptrIsEEPsNS0_8identityIsEEEE10hipError_tT2_T3_mT4_P12ihipStream_tbEUlT_E_NS1_11comp_targetILNS1_3genE8ELNS1_11target_archE1030ELNS1_3gpuE2ELNS1_3repE0EEENS1_30default_config_static_selectorELNS0_4arch9wavefront6targetE1EEEvT1_.has_recursion, 0
	.set _ZN7rocprim17ROCPRIM_400000_NS6detail17trampoline_kernelINS0_14default_configENS1_25transform_config_selectorIsLb0EEEZNS1_14transform_implILb0ES3_S5_N6thrust23THRUST_200600_302600_NS10device_ptrIsEEPsNS0_8identityIsEEEE10hipError_tT2_T3_mT4_P12ihipStream_tbEUlT_E_NS1_11comp_targetILNS1_3genE8ELNS1_11target_archE1030ELNS1_3gpuE2ELNS1_3repE0EEENS1_30default_config_static_selectorELNS0_4arch9wavefront6targetE1EEEvT1_.has_indirect_call, 0
	.section	.AMDGPU.csdata,"",@progbits
; Kernel info:
; codeLenInByte = 0
; TotalNumSgprs: 6
; NumVgprs: 0
; NumAgprs: 0
; TotalNumVgprs: 0
; ScratchSize: 0
; MemoryBound: 0
; FloatMode: 240
; IeeeMode: 1
; LDSByteSize: 0 bytes/workgroup (compile time only)
; SGPRBlocks: 0
; VGPRBlocks: 0
; NumSGPRsForWavesPerEU: 6
; NumVGPRsForWavesPerEU: 1
; AccumOffset: 4
; Occupancy: 8
; WaveLimiterHint : 0
; COMPUTE_PGM_RSRC2:SCRATCH_EN: 0
; COMPUTE_PGM_RSRC2:USER_SGPR: 2
; COMPUTE_PGM_RSRC2:TRAP_HANDLER: 0
; COMPUTE_PGM_RSRC2:TGID_X_EN: 1
; COMPUTE_PGM_RSRC2:TGID_Y_EN: 0
; COMPUTE_PGM_RSRC2:TGID_Z_EN: 0
; COMPUTE_PGM_RSRC2:TIDIG_COMP_CNT: 0
; COMPUTE_PGM_RSRC3_GFX90A:ACCUM_OFFSET: 0
; COMPUTE_PGM_RSRC3_GFX90A:TG_SPLIT: 0
	.section	.text._ZN7rocprim17ROCPRIM_400000_NS6detail17trampoline_kernelINS0_14default_configENS1_35radix_sort_onesweep_config_selectorIisEEZZNS1_29radix_sort_onesweep_iterationIS3_Lb0EN6thrust23THRUST_200600_302600_NS10device_ptrIiEESA_NS9_IsEESB_jNS0_19identity_decomposerENS1_16block_id_wrapperIjLb1EEEEE10hipError_tT1_PNSt15iterator_traitsISG_E10value_typeET2_T3_PNSH_ISM_E10value_typeET4_T5_PSR_SS_PNS1_23onesweep_lookback_stateEbbT6_jjT7_P12ihipStream_tbENKUlT_T0_SG_SL_E_clISA_SA_SB_SB_EEDaSZ_S10_SG_SL_EUlSZ_E_NS1_11comp_targetILNS1_3genE0ELNS1_11target_archE4294967295ELNS1_3gpuE0ELNS1_3repE0EEENS1_47radix_sort_onesweep_sort_config_static_selectorELNS0_4arch9wavefront6targetE1EEEvSG_,"axG",@progbits,_ZN7rocprim17ROCPRIM_400000_NS6detail17trampoline_kernelINS0_14default_configENS1_35radix_sort_onesweep_config_selectorIisEEZZNS1_29radix_sort_onesweep_iterationIS3_Lb0EN6thrust23THRUST_200600_302600_NS10device_ptrIiEESA_NS9_IsEESB_jNS0_19identity_decomposerENS1_16block_id_wrapperIjLb1EEEEE10hipError_tT1_PNSt15iterator_traitsISG_E10value_typeET2_T3_PNSH_ISM_E10value_typeET4_T5_PSR_SS_PNS1_23onesweep_lookback_stateEbbT6_jjT7_P12ihipStream_tbENKUlT_T0_SG_SL_E_clISA_SA_SB_SB_EEDaSZ_S10_SG_SL_EUlSZ_E_NS1_11comp_targetILNS1_3genE0ELNS1_11target_archE4294967295ELNS1_3gpuE0ELNS1_3repE0EEENS1_47radix_sort_onesweep_sort_config_static_selectorELNS0_4arch9wavefront6targetE1EEEvSG_,comdat
	.protected	_ZN7rocprim17ROCPRIM_400000_NS6detail17trampoline_kernelINS0_14default_configENS1_35radix_sort_onesweep_config_selectorIisEEZZNS1_29radix_sort_onesweep_iterationIS3_Lb0EN6thrust23THRUST_200600_302600_NS10device_ptrIiEESA_NS9_IsEESB_jNS0_19identity_decomposerENS1_16block_id_wrapperIjLb1EEEEE10hipError_tT1_PNSt15iterator_traitsISG_E10value_typeET2_T3_PNSH_ISM_E10value_typeET4_T5_PSR_SS_PNS1_23onesweep_lookback_stateEbbT6_jjT7_P12ihipStream_tbENKUlT_T0_SG_SL_E_clISA_SA_SB_SB_EEDaSZ_S10_SG_SL_EUlSZ_E_NS1_11comp_targetILNS1_3genE0ELNS1_11target_archE4294967295ELNS1_3gpuE0ELNS1_3repE0EEENS1_47radix_sort_onesweep_sort_config_static_selectorELNS0_4arch9wavefront6targetE1EEEvSG_ ; -- Begin function _ZN7rocprim17ROCPRIM_400000_NS6detail17trampoline_kernelINS0_14default_configENS1_35radix_sort_onesweep_config_selectorIisEEZZNS1_29radix_sort_onesweep_iterationIS3_Lb0EN6thrust23THRUST_200600_302600_NS10device_ptrIiEESA_NS9_IsEESB_jNS0_19identity_decomposerENS1_16block_id_wrapperIjLb1EEEEE10hipError_tT1_PNSt15iterator_traitsISG_E10value_typeET2_T3_PNSH_ISM_E10value_typeET4_T5_PSR_SS_PNS1_23onesweep_lookback_stateEbbT6_jjT7_P12ihipStream_tbENKUlT_T0_SG_SL_E_clISA_SA_SB_SB_EEDaSZ_S10_SG_SL_EUlSZ_E_NS1_11comp_targetILNS1_3genE0ELNS1_11target_archE4294967295ELNS1_3gpuE0ELNS1_3repE0EEENS1_47radix_sort_onesweep_sort_config_static_selectorELNS0_4arch9wavefront6targetE1EEEvSG_
	.globl	_ZN7rocprim17ROCPRIM_400000_NS6detail17trampoline_kernelINS0_14default_configENS1_35radix_sort_onesweep_config_selectorIisEEZZNS1_29radix_sort_onesweep_iterationIS3_Lb0EN6thrust23THRUST_200600_302600_NS10device_ptrIiEESA_NS9_IsEESB_jNS0_19identity_decomposerENS1_16block_id_wrapperIjLb1EEEEE10hipError_tT1_PNSt15iterator_traitsISG_E10value_typeET2_T3_PNSH_ISM_E10value_typeET4_T5_PSR_SS_PNS1_23onesweep_lookback_stateEbbT6_jjT7_P12ihipStream_tbENKUlT_T0_SG_SL_E_clISA_SA_SB_SB_EEDaSZ_S10_SG_SL_EUlSZ_E_NS1_11comp_targetILNS1_3genE0ELNS1_11target_archE4294967295ELNS1_3gpuE0ELNS1_3repE0EEENS1_47radix_sort_onesweep_sort_config_static_selectorELNS0_4arch9wavefront6targetE1EEEvSG_
	.p2align	8
	.type	_ZN7rocprim17ROCPRIM_400000_NS6detail17trampoline_kernelINS0_14default_configENS1_35radix_sort_onesweep_config_selectorIisEEZZNS1_29radix_sort_onesweep_iterationIS3_Lb0EN6thrust23THRUST_200600_302600_NS10device_ptrIiEESA_NS9_IsEESB_jNS0_19identity_decomposerENS1_16block_id_wrapperIjLb1EEEEE10hipError_tT1_PNSt15iterator_traitsISG_E10value_typeET2_T3_PNSH_ISM_E10value_typeET4_T5_PSR_SS_PNS1_23onesweep_lookback_stateEbbT6_jjT7_P12ihipStream_tbENKUlT_T0_SG_SL_E_clISA_SA_SB_SB_EEDaSZ_S10_SG_SL_EUlSZ_E_NS1_11comp_targetILNS1_3genE0ELNS1_11target_archE4294967295ELNS1_3gpuE0ELNS1_3repE0EEENS1_47radix_sort_onesweep_sort_config_static_selectorELNS0_4arch9wavefront6targetE1EEEvSG_,@function
_ZN7rocprim17ROCPRIM_400000_NS6detail17trampoline_kernelINS0_14default_configENS1_35radix_sort_onesweep_config_selectorIisEEZZNS1_29radix_sort_onesweep_iterationIS3_Lb0EN6thrust23THRUST_200600_302600_NS10device_ptrIiEESA_NS9_IsEESB_jNS0_19identity_decomposerENS1_16block_id_wrapperIjLb1EEEEE10hipError_tT1_PNSt15iterator_traitsISG_E10value_typeET2_T3_PNSH_ISM_E10value_typeET4_T5_PSR_SS_PNS1_23onesweep_lookback_stateEbbT6_jjT7_P12ihipStream_tbENKUlT_T0_SG_SL_E_clISA_SA_SB_SB_EEDaSZ_S10_SG_SL_EUlSZ_E_NS1_11comp_targetILNS1_3genE0ELNS1_11target_archE4294967295ELNS1_3gpuE0ELNS1_3repE0EEENS1_47radix_sort_onesweep_sort_config_static_selectorELNS0_4arch9wavefront6targetE1EEEvSG_: ; @_ZN7rocprim17ROCPRIM_400000_NS6detail17trampoline_kernelINS0_14default_configENS1_35radix_sort_onesweep_config_selectorIisEEZZNS1_29radix_sort_onesweep_iterationIS3_Lb0EN6thrust23THRUST_200600_302600_NS10device_ptrIiEESA_NS9_IsEESB_jNS0_19identity_decomposerENS1_16block_id_wrapperIjLb1EEEEE10hipError_tT1_PNSt15iterator_traitsISG_E10value_typeET2_T3_PNSH_ISM_E10value_typeET4_T5_PSR_SS_PNS1_23onesweep_lookback_stateEbbT6_jjT7_P12ihipStream_tbENKUlT_T0_SG_SL_E_clISA_SA_SB_SB_EEDaSZ_S10_SG_SL_EUlSZ_E_NS1_11comp_targetILNS1_3genE0ELNS1_11target_archE4294967295ELNS1_3gpuE0ELNS1_3repE0EEENS1_47radix_sort_onesweep_sort_config_static_selectorELNS0_4arch9wavefront6targetE1EEEvSG_
; %bb.0:
	.section	.rodata,"a",@progbits
	.p2align	6, 0x0
	.amdhsa_kernel _ZN7rocprim17ROCPRIM_400000_NS6detail17trampoline_kernelINS0_14default_configENS1_35radix_sort_onesweep_config_selectorIisEEZZNS1_29radix_sort_onesweep_iterationIS3_Lb0EN6thrust23THRUST_200600_302600_NS10device_ptrIiEESA_NS9_IsEESB_jNS0_19identity_decomposerENS1_16block_id_wrapperIjLb1EEEEE10hipError_tT1_PNSt15iterator_traitsISG_E10value_typeET2_T3_PNSH_ISM_E10value_typeET4_T5_PSR_SS_PNS1_23onesweep_lookback_stateEbbT6_jjT7_P12ihipStream_tbENKUlT_T0_SG_SL_E_clISA_SA_SB_SB_EEDaSZ_S10_SG_SL_EUlSZ_E_NS1_11comp_targetILNS1_3genE0ELNS1_11target_archE4294967295ELNS1_3gpuE0ELNS1_3repE0EEENS1_47radix_sort_onesweep_sort_config_static_selectorELNS0_4arch9wavefront6targetE1EEEvSG_
		.amdhsa_group_segment_fixed_size 0
		.amdhsa_private_segment_fixed_size 0
		.amdhsa_kernarg_size 88
		.amdhsa_user_sgpr_count 2
		.amdhsa_user_sgpr_dispatch_ptr 0
		.amdhsa_user_sgpr_queue_ptr 0
		.amdhsa_user_sgpr_kernarg_segment_ptr 1
		.amdhsa_user_sgpr_dispatch_id 0
		.amdhsa_user_sgpr_kernarg_preload_length 0
		.amdhsa_user_sgpr_kernarg_preload_offset 0
		.amdhsa_user_sgpr_private_segment_size 0
		.amdhsa_uses_dynamic_stack 0
		.amdhsa_enable_private_segment 0
		.amdhsa_system_sgpr_workgroup_id_x 1
		.amdhsa_system_sgpr_workgroup_id_y 0
		.amdhsa_system_sgpr_workgroup_id_z 0
		.amdhsa_system_sgpr_workgroup_info 0
		.amdhsa_system_vgpr_workitem_id 0
		.amdhsa_next_free_vgpr 1
		.amdhsa_next_free_sgpr 0
		.amdhsa_accum_offset 4
		.amdhsa_reserve_vcc 0
		.amdhsa_float_round_mode_32 0
		.amdhsa_float_round_mode_16_64 0
		.amdhsa_float_denorm_mode_32 3
		.amdhsa_float_denorm_mode_16_64 3
		.amdhsa_dx10_clamp 1
		.amdhsa_ieee_mode 1
		.amdhsa_fp16_overflow 0
		.amdhsa_tg_split 0
		.amdhsa_exception_fp_ieee_invalid_op 0
		.amdhsa_exception_fp_denorm_src 0
		.amdhsa_exception_fp_ieee_div_zero 0
		.amdhsa_exception_fp_ieee_overflow 0
		.amdhsa_exception_fp_ieee_underflow 0
		.amdhsa_exception_fp_ieee_inexact 0
		.amdhsa_exception_int_div_zero 0
	.end_amdhsa_kernel
	.section	.text._ZN7rocprim17ROCPRIM_400000_NS6detail17trampoline_kernelINS0_14default_configENS1_35radix_sort_onesweep_config_selectorIisEEZZNS1_29radix_sort_onesweep_iterationIS3_Lb0EN6thrust23THRUST_200600_302600_NS10device_ptrIiEESA_NS9_IsEESB_jNS0_19identity_decomposerENS1_16block_id_wrapperIjLb1EEEEE10hipError_tT1_PNSt15iterator_traitsISG_E10value_typeET2_T3_PNSH_ISM_E10value_typeET4_T5_PSR_SS_PNS1_23onesweep_lookback_stateEbbT6_jjT7_P12ihipStream_tbENKUlT_T0_SG_SL_E_clISA_SA_SB_SB_EEDaSZ_S10_SG_SL_EUlSZ_E_NS1_11comp_targetILNS1_3genE0ELNS1_11target_archE4294967295ELNS1_3gpuE0ELNS1_3repE0EEENS1_47radix_sort_onesweep_sort_config_static_selectorELNS0_4arch9wavefront6targetE1EEEvSG_,"axG",@progbits,_ZN7rocprim17ROCPRIM_400000_NS6detail17trampoline_kernelINS0_14default_configENS1_35radix_sort_onesweep_config_selectorIisEEZZNS1_29radix_sort_onesweep_iterationIS3_Lb0EN6thrust23THRUST_200600_302600_NS10device_ptrIiEESA_NS9_IsEESB_jNS0_19identity_decomposerENS1_16block_id_wrapperIjLb1EEEEE10hipError_tT1_PNSt15iterator_traitsISG_E10value_typeET2_T3_PNSH_ISM_E10value_typeET4_T5_PSR_SS_PNS1_23onesweep_lookback_stateEbbT6_jjT7_P12ihipStream_tbENKUlT_T0_SG_SL_E_clISA_SA_SB_SB_EEDaSZ_S10_SG_SL_EUlSZ_E_NS1_11comp_targetILNS1_3genE0ELNS1_11target_archE4294967295ELNS1_3gpuE0ELNS1_3repE0EEENS1_47radix_sort_onesweep_sort_config_static_selectorELNS0_4arch9wavefront6targetE1EEEvSG_,comdat
.Lfunc_end2440:
	.size	_ZN7rocprim17ROCPRIM_400000_NS6detail17trampoline_kernelINS0_14default_configENS1_35radix_sort_onesweep_config_selectorIisEEZZNS1_29radix_sort_onesweep_iterationIS3_Lb0EN6thrust23THRUST_200600_302600_NS10device_ptrIiEESA_NS9_IsEESB_jNS0_19identity_decomposerENS1_16block_id_wrapperIjLb1EEEEE10hipError_tT1_PNSt15iterator_traitsISG_E10value_typeET2_T3_PNSH_ISM_E10value_typeET4_T5_PSR_SS_PNS1_23onesweep_lookback_stateEbbT6_jjT7_P12ihipStream_tbENKUlT_T0_SG_SL_E_clISA_SA_SB_SB_EEDaSZ_S10_SG_SL_EUlSZ_E_NS1_11comp_targetILNS1_3genE0ELNS1_11target_archE4294967295ELNS1_3gpuE0ELNS1_3repE0EEENS1_47radix_sort_onesweep_sort_config_static_selectorELNS0_4arch9wavefront6targetE1EEEvSG_, .Lfunc_end2440-_ZN7rocprim17ROCPRIM_400000_NS6detail17trampoline_kernelINS0_14default_configENS1_35radix_sort_onesweep_config_selectorIisEEZZNS1_29radix_sort_onesweep_iterationIS3_Lb0EN6thrust23THRUST_200600_302600_NS10device_ptrIiEESA_NS9_IsEESB_jNS0_19identity_decomposerENS1_16block_id_wrapperIjLb1EEEEE10hipError_tT1_PNSt15iterator_traitsISG_E10value_typeET2_T3_PNSH_ISM_E10value_typeET4_T5_PSR_SS_PNS1_23onesweep_lookback_stateEbbT6_jjT7_P12ihipStream_tbENKUlT_T0_SG_SL_E_clISA_SA_SB_SB_EEDaSZ_S10_SG_SL_EUlSZ_E_NS1_11comp_targetILNS1_3genE0ELNS1_11target_archE4294967295ELNS1_3gpuE0ELNS1_3repE0EEENS1_47radix_sort_onesweep_sort_config_static_selectorELNS0_4arch9wavefront6targetE1EEEvSG_
                                        ; -- End function
	.set _ZN7rocprim17ROCPRIM_400000_NS6detail17trampoline_kernelINS0_14default_configENS1_35radix_sort_onesweep_config_selectorIisEEZZNS1_29radix_sort_onesweep_iterationIS3_Lb0EN6thrust23THRUST_200600_302600_NS10device_ptrIiEESA_NS9_IsEESB_jNS0_19identity_decomposerENS1_16block_id_wrapperIjLb1EEEEE10hipError_tT1_PNSt15iterator_traitsISG_E10value_typeET2_T3_PNSH_ISM_E10value_typeET4_T5_PSR_SS_PNS1_23onesweep_lookback_stateEbbT6_jjT7_P12ihipStream_tbENKUlT_T0_SG_SL_E_clISA_SA_SB_SB_EEDaSZ_S10_SG_SL_EUlSZ_E_NS1_11comp_targetILNS1_3genE0ELNS1_11target_archE4294967295ELNS1_3gpuE0ELNS1_3repE0EEENS1_47radix_sort_onesweep_sort_config_static_selectorELNS0_4arch9wavefront6targetE1EEEvSG_.num_vgpr, 0
	.set _ZN7rocprim17ROCPRIM_400000_NS6detail17trampoline_kernelINS0_14default_configENS1_35radix_sort_onesweep_config_selectorIisEEZZNS1_29radix_sort_onesweep_iterationIS3_Lb0EN6thrust23THRUST_200600_302600_NS10device_ptrIiEESA_NS9_IsEESB_jNS0_19identity_decomposerENS1_16block_id_wrapperIjLb1EEEEE10hipError_tT1_PNSt15iterator_traitsISG_E10value_typeET2_T3_PNSH_ISM_E10value_typeET4_T5_PSR_SS_PNS1_23onesweep_lookback_stateEbbT6_jjT7_P12ihipStream_tbENKUlT_T0_SG_SL_E_clISA_SA_SB_SB_EEDaSZ_S10_SG_SL_EUlSZ_E_NS1_11comp_targetILNS1_3genE0ELNS1_11target_archE4294967295ELNS1_3gpuE0ELNS1_3repE0EEENS1_47radix_sort_onesweep_sort_config_static_selectorELNS0_4arch9wavefront6targetE1EEEvSG_.num_agpr, 0
	.set _ZN7rocprim17ROCPRIM_400000_NS6detail17trampoline_kernelINS0_14default_configENS1_35radix_sort_onesweep_config_selectorIisEEZZNS1_29radix_sort_onesweep_iterationIS3_Lb0EN6thrust23THRUST_200600_302600_NS10device_ptrIiEESA_NS9_IsEESB_jNS0_19identity_decomposerENS1_16block_id_wrapperIjLb1EEEEE10hipError_tT1_PNSt15iterator_traitsISG_E10value_typeET2_T3_PNSH_ISM_E10value_typeET4_T5_PSR_SS_PNS1_23onesweep_lookback_stateEbbT6_jjT7_P12ihipStream_tbENKUlT_T0_SG_SL_E_clISA_SA_SB_SB_EEDaSZ_S10_SG_SL_EUlSZ_E_NS1_11comp_targetILNS1_3genE0ELNS1_11target_archE4294967295ELNS1_3gpuE0ELNS1_3repE0EEENS1_47radix_sort_onesweep_sort_config_static_selectorELNS0_4arch9wavefront6targetE1EEEvSG_.numbered_sgpr, 0
	.set _ZN7rocprim17ROCPRIM_400000_NS6detail17trampoline_kernelINS0_14default_configENS1_35radix_sort_onesweep_config_selectorIisEEZZNS1_29radix_sort_onesweep_iterationIS3_Lb0EN6thrust23THRUST_200600_302600_NS10device_ptrIiEESA_NS9_IsEESB_jNS0_19identity_decomposerENS1_16block_id_wrapperIjLb1EEEEE10hipError_tT1_PNSt15iterator_traitsISG_E10value_typeET2_T3_PNSH_ISM_E10value_typeET4_T5_PSR_SS_PNS1_23onesweep_lookback_stateEbbT6_jjT7_P12ihipStream_tbENKUlT_T0_SG_SL_E_clISA_SA_SB_SB_EEDaSZ_S10_SG_SL_EUlSZ_E_NS1_11comp_targetILNS1_3genE0ELNS1_11target_archE4294967295ELNS1_3gpuE0ELNS1_3repE0EEENS1_47radix_sort_onesweep_sort_config_static_selectorELNS0_4arch9wavefront6targetE1EEEvSG_.num_named_barrier, 0
	.set _ZN7rocprim17ROCPRIM_400000_NS6detail17trampoline_kernelINS0_14default_configENS1_35radix_sort_onesweep_config_selectorIisEEZZNS1_29radix_sort_onesweep_iterationIS3_Lb0EN6thrust23THRUST_200600_302600_NS10device_ptrIiEESA_NS9_IsEESB_jNS0_19identity_decomposerENS1_16block_id_wrapperIjLb1EEEEE10hipError_tT1_PNSt15iterator_traitsISG_E10value_typeET2_T3_PNSH_ISM_E10value_typeET4_T5_PSR_SS_PNS1_23onesweep_lookback_stateEbbT6_jjT7_P12ihipStream_tbENKUlT_T0_SG_SL_E_clISA_SA_SB_SB_EEDaSZ_S10_SG_SL_EUlSZ_E_NS1_11comp_targetILNS1_3genE0ELNS1_11target_archE4294967295ELNS1_3gpuE0ELNS1_3repE0EEENS1_47radix_sort_onesweep_sort_config_static_selectorELNS0_4arch9wavefront6targetE1EEEvSG_.private_seg_size, 0
	.set _ZN7rocprim17ROCPRIM_400000_NS6detail17trampoline_kernelINS0_14default_configENS1_35radix_sort_onesweep_config_selectorIisEEZZNS1_29radix_sort_onesweep_iterationIS3_Lb0EN6thrust23THRUST_200600_302600_NS10device_ptrIiEESA_NS9_IsEESB_jNS0_19identity_decomposerENS1_16block_id_wrapperIjLb1EEEEE10hipError_tT1_PNSt15iterator_traitsISG_E10value_typeET2_T3_PNSH_ISM_E10value_typeET4_T5_PSR_SS_PNS1_23onesweep_lookback_stateEbbT6_jjT7_P12ihipStream_tbENKUlT_T0_SG_SL_E_clISA_SA_SB_SB_EEDaSZ_S10_SG_SL_EUlSZ_E_NS1_11comp_targetILNS1_3genE0ELNS1_11target_archE4294967295ELNS1_3gpuE0ELNS1_3repE0EEENS1_47radix_sort_onesweep_sort_config_static_selectorELNS0_4arch9wavefront6targetE1EEEvSG_.uses_vcc, 0
	.set _ZN7rocprim17ROCPRIM_400000_NS6detail17trampoline_kernelINS0_14default_configENS1_35radix_sort_onesweep_config_selectorIisEEZZNS1_29radix_sort_onesweep_iterationIS3_Lb0EN6thrust23THRUST_200600_302600_NS10device_ptrIiEESA_NS9_IsEESB_jNS0_19identity_decomposerENS1_16block_id_wrapperIjLb1EEEEE10hipError_tT1_PNSt15iterator_traitsISG_E10value_typeET2_T3_PNSH_ISM_E10value_typeET4_T5_PSR_SS_PNS1_23onesweep_lookback_stateEbbT6_jjT7_P12ihipStream_tbENKUlT_T0_SG_SL_E_clISA_SA_SB_SB_EEDaSZ_S10_SG_SL_EUlSZ_E_NS1_11comp_targetILNS1_3genE0ELNS1_11target_archE4294967295ELNS1_3gpuE0ELNS1_3repE0EEENS1_47radix_sort_onesweep_sort_config_static_selectorELNS0_4arch9wavefront6targetE1EEEvSG_.uses_flat_scratch, 0
	.set _ZN7rocprim17ROCPRIM_400000_NS6detail17trampoline_kernelINS0_14default_configENS1_35radix_sort_onesweep_config_selectorIisEEZZNS1_29radix_sort_onesweep_iterationIS3_Lb0EN6thrust23THRUST_200600_302600_NS10device_ptrIiEESA_NS9_IsEESB_jNS0_19identity_decomposerENS1_16block_id_wrapperIjLb1EEEEE10hipError_tT1_PNSt15iterator_traitsISG_E10value_typeET2_T3_PNSH_ISM_E10value_typeET4_T5_PSR_SS_PNS1_23onesweep_lookback_stateEbbT6_jjT7_P12ihipStream_tbENKUlT_T0_SG_SL_E_clISA_SA_SB_SB_EEDaSZ_S10_SG_SL_EUlSZ_E_NS1_11comp_targetILNS1_3genE0ELNS1_11target_archE4294967295ELNS1_3gpuE0ELNS1_3repE0EEENS1_47radix_sort_onesweep_sort_config_static_selectorELNS0_4arch9wavefront6targetE1EEEvSG_.has_dyn_sized_stack, 0
	.set _ZN7rocprim17ROCPRIM_400000_NS6detail17trampoline_kernelINS0_14default_configENS1_35radix_sort_onesweep_config_selectorIisEEZZNS1_29radix_sort_onesweep_iterationIS3_Lb0EN6thrust23THRUST_200600_302600_NS10device_ptrIiEESA_NS9_IsEESB_jNS0_19identity_decomposerENS1_16block_id_wrapperIjLb1EEEEE10hipError_tT1_PNSt15iterator_traitsISG_E10value_typeET2_T3_PNSH_ISM_E10value_typeET4_T5_PSR_SS_PNS1_23onesweep_lookback_stateEbbT6_jjT7_P12ihipStream_tbENKUlT_T0_SG_SL_E_clISA_SA_SB_SB_EEDaSZ_S10_SG_SL_EUlSZ_E_NS1_11comp_targetILNS1_3genE0ELNS1_11target_archE4294967295ELNS1_3gpuE0ELNS1_3repE0EEENS1_47radix_sort_onesweep_sort_config_static_selectorELNS0_4arch9wavefront6targetE1EEEvSG_.has_recursion, 0
	.set _ZN7rocprim17ROCPRIM_400000_NS6detail17trampoline_kernelINS0_14default_configENS1_35radix_sort_onesweep_config_selectorIisEEZZNS1_29radix_sort_onesweep_iterationIS3_Lb0EN6thrust23THRUST_200600_302600_NS10device_ptrIiEESA_NS9_IsEESB_jNS0_19identity_decomposerENS1_16block_id_wrapperIjLb1EEEEE10hipError_tT1_PNSt15iterator_traitsISG_E10value_typeET2_T3_PNSH_ISM_E10value_typeET4_T5_PSR_SS_PNS1_23onesweep_lookback_stateEbbT6_jjT7_P12ihipStream_tbENKUlT_T0_SG_SL_E_clISA_SA_SB_SB_EEDaSZ_S10_SG_SL_EUlSZ_E_NS1_11comp_targetILNS1_3genE0ELNS1_11target_archE4294967295ELNS1_3gpuE0ELNS1_3repE0EEENS1_47radix_sort_onesweep_sort_config_static_selectorELNS0_4arch9wavefront6targetE1EEEvSG_.has_indirect_call, 0
	.section	.AMDGPU.csdata,"",@progbits
; Kernel info:
; codeLenInByte = 0
; TotalNumSgprs: 6
; NumVgprs: 0
; NumAgprs: 0
; TotalNumVgprs: 0
; ScratchSize: 0
; MemoryBound: 0
; FloatMode: 240
; IeeeMode: 1
; LDSByteSize: 0 bytes/workgroup (compile time only)
; SGPRBlocks: 0
; VGPRBlocks: 0
; NumSGPRsForWavesPerEU: 6
; NumVGPRsForWavesPerEU: 1
; AccumOffset: 4
; Occupancy: 8
; WaveLimiterHint : 0
; COMPUTE_PGM_RSRC2:SCRATCH_EN: 0
; COMPUTE_PGM_RSRC2:USER_SGPR: 2
; COMPUTE_PGM_RSRC2:TRAP_HANDLER: 0
; COMPUTE_PGM_RSRC2:TGID_X_EN: 1
; COMPUTE_PGM_RSRC2:TGID_Y_EN: 0
; COMPUTE_PGM_RSRC2:TGID_Z_EN: 0
; COMPUTE_PGM_RSRC2:TIDIG_COMP_CNT: 0
; COMPUTE_PGM_RSRC3_GFX90A:ACCUM_OFFSET: 0
; COMPUTE_PGM_RSRC3_GFX90A:TG_SPLIT: 0
	.section	.text._ZN7rocprim17ROCPRIM_400000_NS6detail17trampoline_kernelINS0_14default_configENS1_35radix_sort_onesweep_config_selectorIisEEZZNS1_29radix_sort_onesweep_iterationIS3_Lb0EN6thrust23THRUST_200600_302600_NS10device_ptrIiEESA_NS9_IsEESB_jNS0_19identity_decomposerENS1_16block_id_wrapperIjLb1EEEEE10hipError_tT1_PNSt15iterator_traitsISG_E10value_typeET2_T3_PNSH_ISM_E10value_typeET4_T5_PSR_SS_PNS1_23onesweep_lookback_stateEbbT6_jjT7_P12ihipStream_tbENKUlT_T0_SG_SL_E_clISA_SA_SB_SB_EEDaSZ_S10_SG_SL_EUlSZ_E_NS1_11comp_targetILNS1_3genE6ELNS1_11target_archE950ELNS1_3gpuE13ELNS1_3repE0EEENS1_47radix_sort_onesweep_sort_config_static_selectorELNS0_4arch9wavefront6targetE1EEEvSG_,"axG",@progbits,_ZN7rocprim17ROCPRIM_400000_NS6detail17trampoline_kernelINS0_14default_configENS1_35radix_sort_onesweep_config_selectorIisEEZZNS1_29radix_sort_onesweep_iterationIS3_Lb0EN6thrust23THRUST_200600_302600_NS10device_ptrIiEESA_NS9_IsEESB_jNS0_19identity_decomposerENS1_16block_id_wrapperIjLb1EEEEE10hipError_tT1_PNSt15iterator_traitsISG_E10value_typeET2_T3_PNSH_ISM_E10value_typeET4_T5_PSR_SS_PNS1_23onesweep_lookback_stateEbbT6_jjT7_P12ihipStream_tbENKUlT_T0_SG_SL_E_clISA_SA_SB_SB_EEDaSZ_S10_SG_SL_EUlSZ_E_NS1_11comp_targetILNS1_3genE6ELNS1_11target_archE950ELNS1_3gpuE13ELNS1_3repE0EEENS1_47radix_sort_onesweep_sort_config_static_selectorELNS0_4arch9wavefront6targetE1EEEvSG_,comdat
	.protected	_ZN7rocprim17ROCPRIM_400000_NS6detail17trampoline_kernelINS0_14default_configENS1_35radix_sort_onesweep_config_selectorIisEEZZNS1_29radix_sort_onesweep_iterationIS3_Lb0EN6thrust23THRUST_200600_302600_NS10device_ptrIiEESA_NS9_IsEESB_jNS0_19identity_decomposerENS1_16block_id_wrapperIjLb1EEEEE10hipError_tT1_PNSt15iterator_traitsISG_E10value_typeET2_T3_PNSH_ISM_E10value_typeET4_T5_PSR_SS_PNS1_23onesweep_lookback_stateEbbT6_jjT7_P12ihipStream_tbENKUlT_T0_SG_SL_E_clISA_SA_SB_SB_EEDaSZ_S10_SG_SL_EUlSZ_E_NS1_11comp_targetILNS1_3genE6ELNS1_11target_archE950ELNS1_3gpuE13ELNS1_3repE0EEENS1_47radix_sort_onesweep_sort_config_static_selectorELNS0_4arch9wavefront6targetE1EEEvSG_ ; -- Begin function _ZN7rocprim17ROCPRIM_400000_NS6detail17trampoline_kernelINS0_14default_configENS1_35radix_sort_onesweep_config_selectorIisEEZZNS1_29radix_sort_onesweep_iterationIS3_Lb0EN6thrust23THRUST_200600_302600_NS10device_ptrIiEESA_NS9_IsEESB_jNS0_19identity_decomposerENS1_16block_id_wrapperIjLb1EEEEE10hipError_tT1_PNSt15iterator_traitsISG_E10value_typeET2_T3_PNSH_ISM_E10value_typeET4_T5_PSR_SS_PNS1_23onesweep_lookback_stateEbbT6_jjT7_P12ihipStream_tbENKUlT_T0_SG_SL_E_clISA_SA_SB_SB_EEDaSZ_S10_SG_SL_EUlSZ_E_NS1_11comp_targetILNS1_3genE6ELNS1_11target_archE950ELNS1_3gpuE13ELNS1_3repE0EEENS1_47radix_sort_onesweep_sort_config_static_selectorELNS0_4arch9wavefront6targetE1EEEvSG_
	.globl	_ZN7rocprim17ROCPRIM_400000_NS6detail17trampoline_kernelINS0_14default_configENS1_35radix_sort_onesweep_config_selectorIisEEZZNS1_29radix_sort_onesweep_iterationIS3_Lb0EN6thrust23THRUST_200600_302600_NS10device_ptrIiEESA_NS9_IsEESB_jNS0_19identity_decomposerENS1_16block_id_wrapperIjLb1EEEEE10hipError_tT1_PNSt15iterator_traitsISG_E10value_typeET2_T3_PNSH_ISM_E10value_typeET4_T5_PSR_SS_PNS1_23onesweep_lookback_stateEbbT6_jjT7_P12ihipStream_tbENKUlT_T0_SG_SL_E_clISA_SA_SB_SB_EEDaSZ_S10_SG_SL_EUlSZ_E_NS1_11comp_targetILNS1_3genE6ELNS1_11target_archE950ELNS1_3gpuE13ELNS1_3repE0EEENS1_47radix_sort_onesweep_sort_config_static_selectorELNS0_4arch9wavefront6targetE1EEEvSG_
	.p2align	8
	.type	_ZN7rocprim17ROCPRIM_400000_NS6detail17trampoline_kernelINS0_14default_configENS1_35radix_sort_onesweep_config_selectorIisEEZZNS1_29radix_sort_onesweep_iterationIS3_Lb0EN6thrust23THRUST_200600_302600_NS10device_ptrIiEESA_NS9_IsEESB_jNS0_19identity_decomposerENS1_16block_id_wrapperIjLb1EEEEE10hipError_tT1_PNSt15iterator_traitsISG_E10value_typeET2_T3_PNSH_ISM_E10value_typeET4_T5_PSR_SS_PNS1_23onesweep_lookback_stateEbbT6_jjT7_P12ihipStream_tbENKUlT_T0_SG_SL_E_clISA_SA_SB_SB_EEDaSZ_S10_SG_SL_EUlSZ_E_NS1_11comp_targetILNS1_3genE6ELNS1_11target_archE950ELNS1_3gpuE13ELNS1_3repE0EEENS1_47radix_sort_onesweep_sort_config_static_selectorELNS0_4arch9wavefront6targetE1EEEvSG_,@function
_ZN7rocprim17ROCPRIM_400000_NS6detail17trampoline_kernelINS0_14default_configENS1_35radix_sort_onesweep_config_selectorIisEEZZNS1_29radix_sort_onesweep_iterationIS3_Lb0EN6thrust23THRUST_200600_302600_NS10device_ptrIiEESA_NS9_IsEESB_jNS0_19identity_decomposerENS1_16block_id_wrapperIjLb1EEEEE10hipError_tT1_PNSt15iterator_traitsISG_E10value_typeET2_T3_PNSH_ISM_E10value_typeET4_T5_PSR_SS_PNS1_23onesweep_lookback_stateEbbT6_jjT7_P12ihipStream_tbENKUlT_T0_SG_SL_E_clISA_SA_SB_SB_EEDaSZ_S10_SG_SL_EUlSZ_E_NS1_11comp_targetILNS1_3genE6ELNS1_11target_archE950ELNS1_3gpuE13ELNS1_3repE0EEENS1_47radix_sort_onesweep_sort_config_static_selectorELNS0_4arch9wavefront6targetE1EEEvSG_: ; @_ZN7rocprim17ROCPRIM_400000_NS6detail17trampoline_kernelINS0_14default_configENS1_35radix_sort_onesweep_config_selectorIisEEZZNS1_29radix_sort_onesweep_iterationIS3_Lb0EN6thrust23THRUST_200600_302600_NS10device_ptrIiEESA_NS9_IsEESB_jNS0_19identity_decomposerENS1_16block_id_wrapperIjLb1EEEEE10hipError_tT1_PNSt15iterator_traitsISG_E10value_typeET2_T3_PNSH_ISM_E10value_typeET4_T5_PSR_SS_PNS1_23onesweep_lookback_stateEbbT6_jjT7_P12ihipStream_tbENKUlT_T0_SG_SL_E_clISA_SA_SB_SB_EEDaSZ_S10_SG_SL_EUlSZ_E_NS1_11comp_targetILNS1_3genE6ELNS1_11target_archE950ELNS1_3gpuE13ELNS1_3repE0EEENS1_47radix_sort_onesweep_sort_config_static_selectorELNS0_4arch9wavefront6targetE1EEEvSG_
; %bb.0:
	s_load_dwordx4 s[48:51], s[2:3], 0x28
	s_load_dwordx2 s[38:39], s[2:3], 0x38
	s_load_dwordx4 s[52:55], s[2:3], 0x44
	v_and_b32_e32 v8, 0x3ff, v0
	v_cmp_eq_u32_e64 s[20:21], 0, v8
	s_and_saveexec_b64 s[6:7], s[20:21]
	s_cbranch_execz .LBB2441_4
; %bb.1:
	s_mov_b64 s[10:11], exec
	v_mbcnt_lo_u32_b32 v1, s10, 0
	v_mbcnt_hi_u32_b32 v1, s11, v1
	v_cmp_eq_u32_e32 vcc, 0, v1
                                        ; implicit-def: $vgpr2
	s_and_saveexec_b64 s[8:9], vcc
	s_cbranch_execz .LBB2441_3
; %bb.2:
	s_load_dwordx2 s[12:13], s[2:3], 0x50
	s_bcnt1_i32_b64 s5, s[10:11]
	v_mov_b32_e32 v2, 0
	v_mov_b32_e32 v3, s5
	s_waitcnt lgkmcnt(0)
	global_atomic_add v2, v2, v3, s[12:13] sc0
.LBB2441_3:
	s_or_b64 exec, exec, s[8:9]
	s_waitcnt vmcnt(0)
	v_readfirstlane_b32 s5, v2
	v_mov_b32_e32 v2, 0
	s_nop 0
	v_add_u32_e32 v1, s5, v1
	ds_write_b32 v2, v1 offset:20544
.LBB2441_4:
	s_or_b64 exec, exec, s[6:7]
	v_mov_b32_e32 v1, 0
	s_load_dwordx8 s[40:47], s[2:3], 0x0
	s_load_dword s5, s[2:3], 0x20
	s_waitcnt lgkmcnt(0)
	s_barrier
	ds_read_b32 v2, v1 offset:20544
	v_bfe_u32 v9, v0, 10, 10
	v_bfe_u32 v14, v0, 20, 10
	s_mov_b64 s[6:7], -1
	v_mbcnt_lo_u32_b32 v16, -1, 0
	s_waitcnt lgkmcnt(0)
	v_cmp_le_u32_e32 vcc, s54, v2
	v_readfirstlane_b32 s33, v2
	v_lshlrev_b32_e32 v15, 3, v8
	s_barrier
	s_cbranch_vccz .LBB2441_134
; %bb.5:
	s_lshl_b32 s6, s54, 13
	s_lshl_b32 s54, s33, 13
	s_mov_b32 s55, 0
	s_sub_i32 s5, s5, s6
	s_lshl_b64 s[6:7], s[54:55], 2
	v_mbcnt_hi_u32_b32 v20, -1, v16
	s_add_u32 s6, s40, s6
	v_and_b32_e32 v18, 63, v20
	s_addc_u32 s7, s41, s7
	v_and_b32_e32 v17, 0x1e00, v15
	v_lshlrev_b32_e32 v0, 2, v18
	v_lshl_add_u64 v[2:3], s[6:7], 0, v[0:1]
	v_lshlrev_b32_e32 v0, 2, v17
	v_lshl_add_u64 v[10:11], v[2:3], 0, v[0:1]
	v_or_b32_e32 v12, v18, v17
	v_bfrev_b32_e32 v0, -2
	v_cmp_gt_u32_e64 s[28:29], s5, v12
	v_mov_b32_e32 v1, v0
	v_mov_b32_e32 v2, v0
	;; [unrolled: 1-line block ×7, first 2 shown]
	s_and_saveexec_b64 s[6:7], s[28:29]
	s_cbranch_execz .LBB2441_7
; %bb.6:
	global_load_dword v22, v[10:11], off
	v_mov_b32_e32 v23, v0
	v_mov_b32_e32 v24, v0
	;; [unrolled: 1-line block ×7, first 2 shown]
	s_waitcnt vmcnt(0)
	v_mov_b64_e32 v[0:1], v[22:23]
	v_mov_b64_e32 v[2:3], v[24:25]
	;; [unrolled: 1-line block ×4, first 2 shown]
.LBB2441_7:
	s_or_b64 exec, exec, s[6:7]
	v_or_b32_e32 v13, 64, v12
	v_cmp_gt_u32_e64 s[6:7], s5, v13
	s_and_saveexec_b64 s[8:9], s[6:7]
	s_cbranch_execz .LBB2441_9
; %bb.8:
	global_load_dword v1, v[10:11], off offset:256
.LBB2441_9:
	s_or_b64 exec, exec, s[8:9]
	v_or_b32_e32 v13, 0x80, v12
	v_cmp_gt_u32_e64 s[8:9], s5, v13
	s_and_saveexec_b64 s[10:11], s[8:9]
	s_cbranch_execz .LBB2441_11
; %bb.10:
	global_load_dword v2, v[10:11], off offset:512
.LBB2441_11:
	;; [unrolled: 8-line block ×7, first 2 shown]
	s_or_b64 exec, exec, s[22:23]
	s_load_dword s22, s[2:3], 0x64
	s_load_dword s56, s[2:3], 0x58
	s_add_u32 s23, s2, 0x58
	s_addc_u32 s24, s3, 0
	v_mov_b32_e32 v11, 0
	s_waitcnt lgkmcnt(0)
	s_lshr_b32 s25, s22, 16
	s_cmp_lt_u32 s4, s56
	s_cselect_b32 s22, 12, 18
	s_add_u32 s22, s23, s22
	s_addc_u32 s23, s24, 0
	global_load_ushort v36, v11, s[22:23]
	v_xor_b32_e32 v19, 0x80000000, v0
	v_lshrrev_b32_e32 v0, s52, v19
	s_lshl_b32 s22, -1, s53
	v_bitop3_b32 v0, v0, s22, v0 bitop3:0x30
	s_movk_i32 s58, 0x44
	v_and_b32_e32 v10, 1, v0
	v_lshlrev_b32_e32 v13, 30, v0
	v_mov_b32_e32 v12, v11
	v_mov_b32_e32 v24, v11
	v_mul_lo_u32 v38, v0, s58
	v_lshlrev_b32_e32 v23, 29, v0
	v_lshlrev_b32_e32 v25, 28, v0
	;; [unrolled: 1-line block ×6, first 2 shown]
	v_lshl_add_u64 v[34:35], v[10:11], 0, -1
	v_cmp_ne_u32_e32 vcc, 0, v10
	v_not_b32_e32 v0, v13
	v_mov_b32_e32 v22, v11
	v_mov_b32_e32 v26, v11
	s_not_b32 s57, s22
	v_cmp_gt_i64_e64 s[22:23], 0, v[12:13]
	v_not_b32_e32 v10, v23
	v_cmp_gt_i64_e64 s[26:27], 0, v[24:25]
	v_not_b32_e32 v12, v25
	v_xor_b32_e32 v25, vcc_lo, v34
	v_ashrrev_i32_e32 v0, 31, v0
	v_mad_u32_u24 v37, v14, s25, v9
	v_cmp_gt_i64_e64 s[24:25], 0, v[22:23]
	v_cmp_gt_i64_e64 s[30:31], 0, v[26:27]
	v_ashrrev_i32_e32 v10, 31, v10
	v_and_b32_e32 v25, exec_lo, v25
	v_xor_b32_e32 v26, s23, v0
	v_xor_b32_e32 v0, s22, v0
	v_mov_b32_e32 v28, v11
	v_not_b32_e32 v13, v27
	v_ashrrev_i32_e32 v12, 31, v12
	v_xor_b32_e32 v27, s25, v10
	v_xor_b32_e32 v10, s24, v10
	v_and_b32_e32 v0, v25, v0
	v_cmp_gt_i64_e64 s[34:35], 0, v[28:29]
	v_xor_b32_e32 v24, vcc_hi, v35
	v_ashrrev_i32_e32 v13, 31, v13
	v_xor_b32_e32 v28, s27, v12
	v_xor_b32_e32 v12, s26, v12
	v_and_b32_e32 v0, v0, v10
	v_not_b32_e32 v22, v29
	v_and_b32_e32 v24, exec_hi, v24
	v_xor_b32_e32 v29, s31, v13
	v_xor_b32_e32 v13, s30, v13
	v_and_b32_e32 v0, v0, v12
	v_and_b32_e32 v24, v24, v26
	;; [unrolled: 1-line block ×3, first 2 shown]
	v_mov_b32_e32 v30, v11
	v_not_b32_e32 v23, v31
	v_ashrrev_i32_e32 v22, 31, v22
	v_and_b32_e32 v24, v24, v27
	v_mov_b32_e32 v32, v11
	v_cmp_gt_i64_e64 s[36:37], 0, v[30:31]
	v_ashrrev_i32_e32 v23, 31, v23
	v_xor_b32_e32 v30, s35, v22
	v_xor_b32_e32 v22, s34, v22
	v_and_b32_e32 v10, v24, v28
	v_xor_b32_e32 v31, s37, v23
	v_xor_b32_e32 v23, s36, v23
	v_and_b32_e32 v10, v10, v29
	v_and_b32_e32 v0, v0, v22
	v_cmp_gt_i64_e32 vcc, 0, v[32:33]
	v_and_b32_e32 v10, v10, v30
	v_and_b32_e32 v0, v0, v23
	;; [unrolled: 1-line block ×3, first 2 shown]
	v_mul_u32_u24_e32 v21, 20, v8
	ds_write2_b32 v21, v11, v11 offset0:16 offset1:17
	ds_write2_b32 v21, v11, v11 offset0:18 offset1:19
	ds_write_b32 v21, v11 offset:80
	s_waitcnt lgkmcnt(0)
	s_barrier
	s_waitcnt vmcnt(0)
	; wave barrier
	v_mad_u64_u32 v[12:13], s[22:23], v37, v36, v[8:9]
	v_lshrrev_b32_e32 v12, 4, v12
	v_and_b32_e32 v35, 0xffffffc, v12
	v_not_b32_e32 v12, v33
	v_ashrrev_i32_e32 v12, 31, v12
	v_xor_b32_e32 v13, vcc_hi, v12
	v_xor_b32_e32 v12, vcc_lo, v12
	v_and_b32_e32 v12, v0, v12
	v_and_b32_e32 v13, v10, v13
	v_mbcnt_lo_u32_b32 v0, v12, 0
	v_mbcnt_hi_u32_b32 v22, v13, v0
	v_cmp_eq_u32_e32 vcc, 0, v22
	v_cmp_ne_u64_e64 s[22:23], 0, v[12:13]
	s_and_b64 s[24:25], s[22:23], vcc
	v_add_u32_e32 v26, v35, v38
	s_and_saveexec_b64 s[22:23], s[24:25]
; %bb.22:
	v_bcnt_u32_b32 v0, v12, 0
	v_bcnt_u32_b32 v0, v13, v0
	ds_write_b32 v26, v0 offset:64
; %bb.23:
	s_or_b64 exec, exec, s[22:23]
	v_xor_b32_e32 v12, 0x80000000, v1
	v_lshrrev_b32_e32 v0, s52, v12
	v_and_b32_e32 v13, s57, v0
	v_mul_lo_u32 v0, v13, s58
	v_and_b32_e32 v10, 1, v13
	v_add_u32_e32 v27, v35, v0
	v_lshl_add_u64 v[0:1], v[10:11], 0, -1
	v_cmp_ne_u32_e32 vcc, 0, v10
	; wave barrier
	s_nop 1
	v_xor_b32_e32 v1, vcc_hi, v1
	v_xor_b32_e32 v0, vcc_lo, v0
	v_and_b32_e32 v10, exec_hi, v1
	v_and_b32_e32 v24, exec_lo, v0
	v_lshlrev_b32_e32 v1, 30, v13
	v_mov_b32_e32 v0, v11
	v_cmp_gt_i64_e32 vcc, 0, v[0:1]
	v_not_b32_e32 v0, v1
	v_ashrrev_i32_e32 v0, 31, v0
	v_xor_b32_e32 v1, vcc_hi, v0
	v_xor_b32_e32 v0, vcc_lo, v0
	v_and_b32_e32 v10, v10, v1
	v_and_b32_e32 v24, v24, v0
	v_lshlrev_b32_e32 v1, 29, v13
	v_mov_b32_e32 v0, v11
	v_cmp_gt_i64_e32 vcc, 0, v[0:1]
	v_not_b32_e32 v0, v1
	v_ashrrev_i32_e32 v0, 31, v0
	v_xor_b32_e32 v1, vcc_hi, v0
	v_xor_b32_e32 v0, vcc_lo, v0
	v_and_b32_e32 v10, v10, v1
	v_and_b32_e32 v24, v24, v0
	v_lshlrev_b32_e32 v1, 28, v13
	v_mov_b32_e32 v0, v11
	v_cmp_gt_i64_e32 vcc, 0, v[0:1]
	v_not_b32_e32 v0, v1
	v_ashrrev_i32_e32 v0, 31, v0
	v_xor_b32_e32 v1, vcc_hi, v0
	v_xor_b32_e32 v0, vcc_lo, v0
	v_and_b32_e32 v10, v10, v1
	v_and_b32_e32 v24, v24, v0
	v_lshlrev_b32_e32 v1, 27, v13
	v_mov_b32_e32 v0, v11
	v_cmp_gt_i64_e32 vcc, 0, v[0:1]
	v_not_b32_e32 v0, v1
	v_ashrrev_i32_e32 v0, 31, v0
	v_xor_b32_e32 v1, vcc_hi, v0
	v_xor_b32_e32 v0, vcc_lo, v0
	v_and_b32_e32 v10, v10, v1
	v_and_b32_e32 v24, v24, v0
	v_lshlrev_b32_e32 v1, 26, v13
	v_mov_b32_e32 v0, v11
	v_cmp_gt_i64_e32 vcc, 0, v[0:1]
	v_not_b32_e32 v0, v1
	v_ashrrev_i32_e32 v0, 31, v0
	v_xor_b32_e32 v1, vcc_hi, v0
	v_xor_b32_e32 v0, vcc_lo, v0
	v_and_b32_e32 v10, v10, v1
	v_and_b32_e32 v24, v24, v0
	v_lshlrev_b32_e32 v1, 25, v13
	v_mov_b32_e32 v0, v11
	v_cmp_gt_i64_e32 vcc, 0, v[0:1]
	v_not_b32_e32 v0, v1
	v_ashrrev_i32_e32 v0, 31, v0
	v_xor_b32_e32 v1, vcc_hi, v0
	v_xor_b32_e32 v0, vcc_lo, v0
	v_and_b32_e32 v10, v10, v1
	v_and_b32_e32 v24, v24, v0
	v_lshlrev_b32_e32 v1, 24, v13
	v_mov_b32_e32 v0, v11
	v_cmp_gt_i64_e32 vcc, 0, v[0:1]
	v_not_b32_e32 v0, v1
	v_ashrrev_i32_e32 v0, 31, v0
	v_xor_b32_e32 v1, vcc_hi, v0
	v_xor_b32_e32 v0, vcc_lo, v0
	ds_read_b32 v23, v27 offset:64
	v_and_b32_e32 v0, v24, v0
	v_and_b32_e32 v1, v10, v1
	v_mbcnt_lo_u32_b32 v10, v0, 0
	v_mbcnt_hi_u32_b32 v24, v1, v10
	v_cmp_eq_u32_e32 vcc, 0, v24
	v_cmp_ne_u64_e64 s[22:23], 0, v[0:1]
	s_and_b64 s[24:25], s[22:23], vcc
	; wave barrier
	s_and_saveexec_b64 s[22:23], s[24:25]
	s_cbranch_execz .LBB2441_25
; %bb.24:
	v_bcnt_u32_b32 v0, v0, 0
	v_bcnt_u32_b32 v0, v1, v0
	s_waitcnt lgkmcnt(0)
	v_add_u32_e32 v0, v23, v0
	ds_write_b32 v27, v0 offset:64
.LBB2441_25:
	s_or_b64 exec, exec, s[22:23]
	v_xor_b32_e32 v13, 0x80000000, v2
	v_lshrrev_b32_e32 v0, s52, v13
	v_and_b32_e32 v2, s57, v0
	s_movk_i32 s24, 0x44
	v_mul_lo_u32 v0, v2, s24
	v_add_u32_e32 v31, v35, v0
	v_and_b32_e32 v0, 1, v2
	v_mov_b32_e32 v1, 0
	v_lshl_add_u64 v[10:11], v[0:1], 0, -1
	v_cmp_ne_u32_e32 vcc, 0, v0
	; wave barrier
	s_nop 1
	v_xor_b32_e32 v10, vcc_lo, v10
	v_xor_b32_e32 v0, vcc_hi, v11
	v_and_b32_e32 v28, exec_lo, v10
	v_lshlrev_b32_e32 v11, 30, v2
	v_mov_b32_e32 v10, v1
	v_cmp_gt_i64_e32 vcc, 0, v[10:11]
	v_not_b32_e32 v10, v11
	v_ashrrev_i32_e32 v10, 31, v10
	v_and_b32_e32 v0, exec_hi, v0
	v_xor_b32_e32 v11, vcc_hi, v10
	v_xor_b32_e32 v10, vcc_lo, v10
	v_and_b32_e32 v0, v0, v11
	v_and_b32_e32 v28, v28, v10
	v_lshlrev_b32_e32 v11, 29, v2
	v_mov_b32_e32 v10, v1
	v_cmp_gt_i64_e32 vcc, 0, v[10:11]
	v_not_b32_e32 v10, v11
	v_ashrrev_i32_e32 v10, 31, v10
	v_xor_b32_e32 v11, vcc_hi, v10
	v_xor_b32_e32 v10, vcc_lo, v10
	v_and_b32_e32 v0, v0, v11
	v_and_b32_e32 v28, v28, v10
	v_lshlrev_b32_e32 v11, 28, v2
	v_mov_b32_e32 v10, v1
	v_cmp_gt_i64_e32 vcc, 0, v[10:11]
	v_not_b32_e32 v10, v11
	v_ashrrev_i32_e32 v10, 31, v10
	;; [unrolled: 9-line block ×5, first 2 shown]
	v_xor_b32_e32 v11, vcc_hi, v10
	v_xor_b32_e32 v10, vcc_lo, v10
	v_and_b32_e32 v0, v0, v11
	v_lshlrev_b32_e32 v11, 24, v2
	v_and_b32_e32 v28, v28, v10
	v_mov_b32_e32 v10, v1
	v_not_b32_e32 v2, v11
	v_cmp_gt_i64_e32 vcc, 0, v[10:11]
	v_ashrrev_i32_e32 v2, 31, v2
	ds_read_b32 v25, v31 offset:64
	v_xor_b32_e32 v10, vcc_hi, v2
	v_xor_b32_e32 v2, vcc_lo, v2
	v_and_b32_e32 v11, v0, v10
	v_and_b32_e32 v10, v28, v2
	v_mbcnt_lo_u32_b32 v0, v10, 0
	v_mbcnt_hi_u32_b32 v29, v11, v0
	v_cmp_eq_u32_e32 vcc, 0, v29
	v_cmp_ne_u64_e64 s[22:23], 0, v[10:11]
	s_and_b64 s[26:27], s[22:23], vcc
	; wave barrier
	s_and_saveexec_b64 s[22:23], s[26:27]
	s_cbranch_execz .LBB2441_27
; %bb.26:
	v_bcnt_u32_b32 v0, v10, 0
	v_bcnt_u32_b32 v0, v11, v0
	s_waitcnt lgkmcnt(0)
	v_add_u32_e32 v0, v25, v0
	ds_write_b32 v31, v0 offset:64
.LBB2441_27:
	s_or_b64 exec, exec, s[22:23]
	v_xor_b32_e32 v10, 0x80000000, v3
	v_lshrrev_b32_e32 v0, s52, v10
	v_and_b32_e32 v11, s57, v0
	v_mul_lo_u32 v0, v11, s24
	v_add_u32_e32 v36, v35, v0
	v_and_b32_e32 v0, 1, v11
	v_lshl_add_u64 v[2:3], v[0:1], 0, -1
	v_cmp_ne_u32_e32 vcc, 0, v0
	; wave barrier
	s_nop 1
	v_xor_b32_e32 v2, vcc_lo, v2
	v_xor_b32_e32 v0, vcc_hi, v3
	v_and_b32_e32 v28, exec_lo, v2
	v_lshlrev_b32_e32 v3, 30, v11
	v_mov_b32_e32 v2, v1
	v_cmp_gt_i64_e32 vcc, 0, v[2:3]
	v_not_b32_e32 v2, v3
	v_ashrrev_i32_e32 v2, 31, v2
	v_and_b32_e32 v0, exec_hi, v0
	v_xor_b32_e32 v3, vcc_hi, v2
	v_xor_b32_e32 v2, vcc_lo, v2
	v_and_b32_e32 v0, v0, v3
	v_and_b32_e32 v28, v28, v2
	v_lshlrev_b32_e32 v3, 29, v11
	v_mov_b32_e32 v2, v1
	v_cmp_gt_i64_e32 vcc, 0, v[2:3]
	v_not_b32_e32 v2, v3
	v_ashrrev_i32_e32 v2, 31, v2
	v_xor_b32_e32 v3, vcc_hi, v2
	v_xor_b32_e32 v2, vcc_lo, v2
	v_and_b32_e32 v0, v0, v3
	v_and_b32_e32 v28, v28, v2
	v_lshlrev_b32_e32 v3, 28, v11
	v_mov_b32_e32 v2, v1
	v_cmp_gt_i64_e32 vcc, 0, v[2:3]
	v_not_b32_e32 v2, v3
	v_ashrrev_i32_e32 v2, 31, v2
	;; [unrolled: 9-line block ×5, first 2 shown]
	v_xor_b32_e32 v3, vcc_hi, v2
	v_xor_b32_e32 v2, vcc_lo, v2
	v_and_b32_e32 v0, v0, v3
	v_lshlrev_b32_e32 v3, 24, v11
	v_and_b32_e32 v28, v28, v2
	v_mov_b32_e32 v2, v1
	v_not_b32_e32 v1, v3
	v_cmp_gt_i64_e32 vcc, 0, v[2:3]
	v_ashrrev_i32_e32 v1, 31, v1
	ds_read_b32 v30, v36 offset:64
	v_xor_b32_e32 v2, vcc_hi, v1
	v_xor_b32_e32 v3, vcc_lo, v1
	v_and_b32_e32 v1, v0, v2
	v_and_b32_e32 v0, v28, v3
	v_mbcnt_lo_u32_b32 v2, v0, 0
	v_mbcnt_hi_u32_b32 v33, v1, v2
	v_cmp_eq_u32_e32 vcc, 0, v33
	v_cmp_ne_u64_e64 s[22:23], 0, v[0:1]
	s_and_b64 s[24:25], s[22:23], vcc
	; wave barrier
	s_and_saveexec_b64 s[22:23], s[24:25]
	s_cbranch_execz .LBB2441_29
; %bb.28:
	v_bcnt_u32_b32 v0, v0, 0
	v_bcnt_u32_b32 v0, v1, v0
	s_waitcnt lgkmcnt(0)
	v_add_u32_e32 v0, v30, v0
	ds_write_b32 v36, v0 offset:64
.LBB2441_29:
	s_or_b64 exec, exec, s[22:23]
	v_xor_b32_e32 v11, 0x80000000, v4
	v_lshrrev_b32_e32 v0, s52, v11
	v_and_b32_e32 v28, s57, v0
	s_movk_i32 s24, 0x44
	v_mul_lo_u32 v0, v28, s24
	v_add_u32_e32 v4, v35, v0
	v_and_b32_e32 v0, 1, v28
	v_mov_b32_e32 v1, 0
	v_lshl_add_u64 v[2:3], v[0:1], 0, -1
	v_cmp_ne_u32_e32 vcc, 0, v0
	; wave barrier
	s_nop 1
	v_xor_b32_e32 v2, vcc_lo, v2
	v_xor_b32_e32 v0, vcc_hi, v3
	v_and_b32_e32 v32, exec_lo, v2
	v_lshlrev_b32_e32 v3, 30, v28
	v_mov_b32_e32 v2, v1
	v_cmp_gt_i64_e32 vcc, 0, v[2:3]
	v_not_b32_e32 v2, v3
	v_ashrrev_i32_e32 v2, 31, v2
	v_and_b32_e32 v0, exec_hi, v0
	v_xor_b32_e32 v3, vcc_hi, v2
	v_xor_b32_e32 v2, vcc_lo, v2
	v_and_b32_e32 v0, v0, v3
	v_and_b32_e32 v32, v32, v2
	v_lshlrev_b32_e32 v3, 29, v28
	v_mov_b32_e32 v2, v1
	v_cmp_gt_i64_e32 vcc, 0, v[2:3]
	v_not_b32_e32 v2, v3
	v_ashrrev_i32_e32 v2, 31, v2
	v_xor_b32_e32 v3, vcc_hi, v2
	v_xor_b32_e32 v2, vcc_lo, v2
	v_and_b32_e32 v0, v0, v3
	v_and_b32_e32 v32, v32, v2
	v_lshlrev_b32_e32 v3, 28, v28
	v_mov_b32_e32 v2, v1
	v_cmp_gt_i64_e32 vcc, 0, v[2:3]
	v_not_b32_e32 v2, v3
	v_ashrrev_i32_e32 v2, 31, v2
	;; [unrolled: 9-line block ×6, first 2 shown]
	v_xor_b32_e32 v3, vcc_hi, v2
	v_xor_b32_e32 v2, vcc_lo, v2
	ds_read_b32 v34, v4 offset:64
	v_and_b32_e32 v2, v32, v2
	v_and_b32_e32 v3, v0, v3
	v_mbcnt_lo_u32_b32 v0, v2, 0
	v_mbcnt_hi_u32_b32 v38, v3, v0
	v_cmp_eq_u32_e32 vcc, 0, v38
	v_cmp_ne_u64_e64 s[22:23], 0, v[2:3]
	s_and_b64 s[26:27], s[22:23], vcc
	; wave barrier
	s_and_saveexec_b64 s[22:23], s[26:27]
	s_cbranch_execz .LBB2441_31
; %bb.30:
	v_bcnt_u32_b32 v0, v2, 0
	v_bcnt_u32_b32 v0, v3, v0
	s_waitcnt lgkmcnt(0)
	v_add_u32_e32 v0, v34, v0
	ds_write_b32 v4, v0 offset:64
.LBB2441_31:
	s_or_b64 exec, exec, s[22:23]
	v_xor_b32_e32 v28, 0x80000000, v5
	v_lshrrev_b32_e32 v0, s52, v28
	v_and_b32_e32 v32, s57, v0
	v_mul_lo_u32 v0, v32, s24
	v_add_u32_e32 v5, v35, v0
	v_and_b32_e32 v0, 1, v32
	v_lshl_add_u64 v[2:3], v[0:1], 0, -1
	v_cmp_ne_u32_e32 vcc, 0, v0
	; wave barrier
	s_nop 1
	v_xor_b32_e32 v2, vcc_lo, v2
	v_xor_b32_e32 v0, vcc_hi, v3
	v_and_b32_e32 v37, exec_lo, v2
	v_lshlrev_b32_e32 v3, 30, v32
	v_mov_b32_e32 v2, v1
	v_cmp_gt_i64_e32 vcc, 0, v[2:3]
	v_not_b32_e32 v2, v3
	v_ashrrev_i32_e32 v2, 31, v2
	v_and_b32_e32 v0, exec_hi, v0
	v_xor_b32_e32 v3, vcc_hi, v2
	v_xor_b32_e32 v2, vcc_lo, v2
	v_and_b32_e32 v0, v0, v3
	v_and_b32_e32 v37, v37, v2
	v_lshlrev_b32_e32 v3, 29, v32
	v_mov_b32_e32 v2, v1
	v_cmp_gt_i64_e32 vcc, 0, v[2:3]
	v_not_b32_e32 v2, v3
	v_ashrrev_i32_e32 v2, 31, v2
	v_xor_b32_e32 v3, vcc_hi, v2
	v_xor_b32_e32 v2, vcc_lo, v2
	v_and_b32_e32 v0, v0, v3
	v_and_b32_e32 v37, v37, v2
	v_lshlrev_b32_e32 v3, 28, v32
	v_mov_b32_e32 v2, v1
	v_cmp_gt_i64_e32 vcc, 0, v[2:3]
	v_not_b32_e32 v2, v3
	v_ashrrev_i32_e32 v2, 31, v2
	;; [unrolled: 9-line block ×5, first 2 shown]
	v_xor_b32_e32 v3, vcc_hi, v2
	v_xor_b32_e32 v2, vcc_lo, v2
	v_and_b32_e32 v0, v0, v3
	v_lshlrev_b32_e32 v3, 24, v32
	v_and_b32_e32 v37, v37, v2
	v_mov_b32_e32 v2, v1
	v_not_b32_e32 v1, v3
	v_cmp_gt_i64_e32 vcc, 0, v[2:3]
	v_ashrrev_i32_e32 v1, 31, v1
	ds_read_b32 v39, v5 offset:64
	v_xor_b32_e32 v2, vcc_hi, v1
	v_xor_b32_e32 v3, vcc_lo, v1
	v_and_b32_e32 v1, v0, v2
	v_and_b32_e32 v0, v37, v3
	v_mbcnt_lo_u32_b32 v2, v0, 0
	v_mbcnt_hi_u32_b32 v40, v1, v2
	v_cmp_eq_u32_e32 vcc, 0, v40
	v_cmp_ne_u64_e64 s[22:23], 0, v[0:1]
	s_and_b64 s[24:25], s[22:23], vcc
	; wave barrier
	s_and_saveexec_b64 s[22:23], s[24:25]
	s_cbranch_execz .LBB2441_33
; %bb.32:
	v_bcnt_u32_b32 v0, v0, 0
	v_bcnt_u32_b32 v0, v1, v0
	s_waitcnt lgkmcnt(0)
	v_add_u32_e32 v0, v39, v0
	ds_write_b32 v5, v0 offset:64
.LBB2441_33:
	s_or_b64 exec, exec, s[22:23]
	v_xor_b32_e32 v32, 0x80000000, v6
	v_lshrrev_b32_e32 v0, s52, v32
	v_and_b32_e32 v37, s57, v0
	s_movk_i32 s24, 0x44
	v_mul_lo_u32 v0, v37, s24
	v_add_u32_e32 v6, v35, v0
	v_and_b32_e32 v0, 1, v37
	v_mov_b32_e32 v1, 0
	v_lshl_add_u64 v[2:3], v[0:1], 0, -1
	v_cmp_ne_u32_e32 vcc, 0, v0
	; wave barrier
	s_nop 1
	v_xor_b32_e32 v2, vcc_lo, v2
	v_xor_b32_e32 v0, vcc_hi, v3
	v_and_b32_e32 v42, exec_lo, v2
	v_lshlrev_b32_e32 v3, 30, v37
	v_mov_b32_e32 v2, v1
	v_cmp_gt_i64_e32 vcc, 0, v[2:3]
	v_not_b32_e32 v2, v3
	v_ashrrev_i32_e32 v2, 31, v2
	v_and_b32_e32 v0, exec_hi, v0
	v_xor_b32_e32 v3, vcc_hi, v2
	v_xor_b32_e32 v2, vcc_lo, v2
	v_and_b32_e32 v0, v0, v3
	v_and_b32_e32 v42, v42, v2
	v_lshlrev_b32_e32 v3, 29, v37
	v_mov_b32_e32 v2, v1
	v_cmp_gt_i64_e32 vcc, 0, v[2:3]
	v_not_b32_e32 v2, v3
	v_ashrrev_i32_e32 v2, 31, v2
	v_xor_b32_e32 v3, vcc_hi, v2
	v_xor_b32_e32 v2, vcc_lo, v2
	v_and_b32_e32 v0, v0, v3
	v_and_b32_e32 v42, v42, v2
	v_lshlrev_b32_e32 v3, 28, v37
	v_mov_b32_e32 v2, v1
	v_cmp_gt_i64_e32 vcc, 0, v[2:3]
	v_not_b32_e32 v2, v3
	v_ashrrev_i32_e32 v2, 31, v2
	;; [unrolled: 9-line block ×6, first 2 shown]
	v_xor_b32_e32 v3, vcc_hi, v2
	v_xor_b32_e32 v2, vcc_lo, v2
	ds_read_b32 v41, v6 offset:64
	v_and_b32_e32 v2, v42, v2
	v_and_b32_e32 v3, v0, v3
	v_mbcnt_lo_u32_b32 v0, v2, 0
	v_mbcnt_hi_u32_b32 v42, v3, v0
	v_cmp_eq_u32_e32 vcc, 0, v42
	v_cmp_ne_u64_e64 s[22:23], 0, v[2:3]
	s_and_b64 s[26:27], s[22:23], vcc
	; wave barrier
	s_and_saveexec_b64 s[22:23], s[26:27]
	s_cbranch_execz .LBB2441_35
; %bb.34:
	v_bcnt_u32_b32 v0, v2, 0
	v_bcnt_u32_b32 v0, v3, v0
	s_waitcnt lgkmcnt(0)
	v_add_u32_e32 v0, v41, v0
	ds_write_b32 v6, v0 offset:64
.LBB2441_35:
	s_or_b64 exec, exec, s[22:23]
	v_xor_b32_e32 v37, 0x80000000, v7
	v_lshrrev_b32_e32 v0, s52, v37
	v_and_b32_e32 v43, s57, v0
	v_mul_lo_u32 v0, v43, s24
	v_add_u32_e32 v7, v35, v0
	v_and_b32_e32 v0, 1, v43
	v_lshl_add_u64 v[2:3], v[0:1], 0, -1
	v_cmp_ne_u32_e32 vcc, 0, v0
	; wave barrier
	s_nop 1
	v_xor_b32_e32 v2, vcc_lo, v2
	v_xor_b32_e32 v0, vcc_hi, v3
	v_and_b32_e32 v44, exec_lo, v2
	v_lshlrev_b32_e32 v3, 30, v43
	v_mov_b32_e32 v2, v1
	v_cmp_gt_i64_e32 vcc, 0, v[2:3]
	v_not_b32_e32 v2, v3
	v_ashrrev_i32_e32 v2, 31, v2
	v_and_b32_e32 v0, exec_hi, v0
	v_xor_b32_e32 v3, vcc_hi, v2
	v_xor_b32_e32 v2, vcc_lo, v2
	v_and_b32_e32 v0, v0, v3
	v_and_b32_e32 v44, v44, v2
	v_lshlrev_b32_e32 v3, 29, v43
	v_mov_b32_e32 v2, v1
	v_cmp_gt_i64_e32 vcc, 0, v[2:3]
	v_not_b32_e32 v2, v3
	v_ashrrev_i32_e32 v2, 31, v2
	v_xor_b32_e32 v3, vcc_hi, v2
	v_xor_b32_e32 v2, vcc_lo, v2
	v_and_b32_e32 v0, v0, v3
	v_and_b32_e32 v44, v44, v2
	v_lshlrev_b32_e32 v3, 28, v43
	v_mov_b32_e32 v2, v1
	v_cmp_gt_i64_e32 vcc, 0, v[2:3]
	v_not_b32_e32 v2, v3
	v_ashrrev_i32_e32 v2, 31, v2
	;; [unrolled: 9-line block ×5, first 2 shown]
	v_xor_b32_e32 v3, vcc_hi, v2
	v_xor_b32_e32 v2, vcc_lo, v2
	v_and_b32_e32 v0, v0, v3
	v_lshlrev_b32_e32 v3, 24, v43
	v_and_b32_e32 v44, v44, v2
	v_mov_b32_e32 v2, v1
	v_not_b32_e32 v1, v3
	v_cmp_gt_i64_e32 vcc, 0, v[2:3]
	v_ashrrev_i32_e32 v1, 31, v1
	ds_read_b32 v35, v7 offset:64
	v_xor_b32_e32 v2, vcc_hi, v1
	v_xor_b32_e32 v3, vcc_lo, v1
	v_and_b32_e32 v1, v0, v2
	v_and_b32_e32 v0, v44, v3
	v_mbcnt_lo_u32_b32 v2, v0, 0
	v_mbcnt_hi_u32_b32 v43, v1, v2
	v_cmp_eq_u32_e32 vcc, 0, v43
	v_cmp_ne_u64_e64 s[22:23], 0, v[0:1]
	s_and_b64 s[24:25], s[22:23], vcc
	; wave barrier
	s_and_saveexec_b64 s[22:23], s[24:25]
	s_cbranch_execz .LBB2441_37
; %bb.36:
	v_bcnt_u32_b32 v0, v0, 0
	v_bcnt_u32_b32 v0, v1, v0
	s_waitcnt lgkmcnt(0)
	v_add_u32_e32 v0, v35, v0
	ds_write_b32 v7, v0 offset:64
.LBB2441_37:
	s_or_b64 exec, exec, s[22:23]
	; wave barrier
	s_waitcnt lgkmcnt(0)
	s_barrier
	ds_read2_b32 v[2:3], v21 offset0:16 offset1:17
	ds_read2_b32 v[0:1], v21 offset0:18 offset1:19
	ds_read_b32 v44, v21 offset:80
	v_cmp_lt_u32_e64 s[30:31], 31, v20
	s_waitcnt lgkmcnt(1)
	v_add3_u32 v45, v3, v2, v0
	s_waitcnt lgkmcnt(0)
	v_add3_u32 v44, v45, v1, v44
	v_and_b32_e32 v45, 15, v20
	v_cmp_eq_u32_e32 vcc, 0, v45
	v_mov_b32_dpp v46, v44 row_shr:1 row_mask:0xf bank_mask:0xf
	v_cmp_lt_u32_e64 s[22:23], 1, v45
	v_cndmask_b32_e64 v46, v46, 0, vcc
	v_add_u32_e32 v44, v46, v44
	v_cmp_lt_u32_e64 s[24:25], 3, v45
	v_cmp_lt_u32_e64 s[26:27], 7, v45
	v_mov_b32_dpp v46, v44 row_shr:2 row_mask:0xf bank_mask:0xf
	v_cndmask_b32_e64 v46, 0, v46, s[22:23]
	v_add_u32_e32 v44, v44, v46
	s_nop 1
	v_mov_b32_dpp v46, v44 row_shr:4 row_mask:0xf bank_mask:0xf
	v_cndmask_b32_e64 v46, 0, v46, s[24:25]
	v_add_u32_e32 v44, v44, v46
	s_nop 1
	v_mov_b32_dpp v46, v44 row_shr:8 row_mask:0xf bank_mask:0xf
	v_cndmask_b32_e64 v45, 0, v46, s[26:27]
	v_add_u32_e32 v44, v44, v45
	v_bfe_i32 v46, v20, 4, 1
	s_nop 0
	v_mov_b32_dpp v45, v44 row_bcast:15 row_mask:0xf bank_mask:0xf
	v_and_b32_e32 v45, v46, v45
	v_add_u32_e32 v44, v44, v45
	v_and_b32_e32 v46, 63, v8
	s_nop 0
	v_mov_b32_dpp v45, v44 row_bcast:31 row_mask:0xf bank_mask:0xf
	v_cndmask_b32_e64 v45, 0, v45, s[30:31]
	v_add_u32_e32 v44, v44, v45
	v_lshrrev_b32_e32 v45, 6, v8
	v_cmp_eq_u32_e64 s[30:31], 63, v46
	s_and_saveexec_b64 s[34:35], s[30:31]
; %bb.38:
	v_lshlrev_b32_e32 v46, 2, v45
	ds_write_b32 v46, v44
; %bb.39:
	s_or_b64 exec, exec, s[34:35]
	v_cmp_gt_u32_e64 s[30:31], 16, v8
	s_waitcnt lgkmcnt(0)
	s_barrier
	s_and_saveexec_b64 s[34:35], s[30:31]
	s_cbranch_execz .LBB2441_41
; %bb.40:
	v_lshlrev_b32_e32 v46, 2, v8
	ds_read_b32 v47, v46
	s_waitcnt lgkmcnt(0)
	s_nop 0
	v_mov_b32_dpp v48, v47 row_shr:1 row_mask:0xf bank_mask:0xf
	v_cndmask_b32_e64 v48, v48, 0, vcc
	v_add_u32_e32 v47, v48, v47
	s_nop 1
	v_mov_b32_dpp v48, v47 row_shr:2 row_mask:0xf bank_mask:0xf
	v_cndmask_b32_e64 v48, 0, v48, s[22:23]
	v_add_u32_e32 v47, v47, v48
	s_nop 1
	v_mov_b32_dpp v48, v47 row_shr:4 row_mask:0xf bank_mask:0xf
	v_cndmask_b32_e64 v48, 0, v48, s[24:25]
	;; [unrolled: 4-line block ×3, first 2 shown]
	v_add_u32_e32 v47, v47, v48
	ds_write_b32 v46, v47
.LBB2441_41:
	s_or_b64 exec, exec, s[34:35]
	v_cmp_lt_u32_e32 vcc, 63, v8
	v_mov_b32_e32 v46, 0
	s_waitcnt lgkmcnt(0)
	s_barrier
	s_and_saveexec_b64 s[22:23], vcc
; %bb.42:
	v_lshl_add_u32 v45, v45, 2, -4
	ds_read_b32 v46, v45
; %bb.43:
	s_or_b64 exec, exec, s[22:23]
	v_subrev_co_u32_e32 v45, vcc, 1, v20
	v_and_b32_e32 v47, 64, v20
	v_cmp_lt_i32_e64 s[22:23], v45, v47
	s_waitcnt lgkmcnt(0)
	v_add_u32_e32 v44, v46, v44
	s_movk_i32 s24, 0x100
	v_cndmask_b32_e64 v20, v45, v20, s[22:23]
	v_lshlrev_b32_e32 v20, 2, v20
	ds_bpermute_b32 v20, v20, v44
	s_movk_i32 s22, 0xff
	v_cmp_lt_u32_e64 s[22:23], s22, v8
	s_waitcnt lgkmcnt(0)
	v_cndmask_b32_e32 v20, v20, v46, vcc
	v_cndmask_b32_e64 v20, v20, 0, s[20:21]
	v_add_u32_e32 v2, v20, v2
	v_add_u32_e32 v3, v2, v3
	;; [unrolled: 1-line block ×4, first 2 shown]
	ds_write2_b32 v21, v20, v2 offset0:16 offset1:17
	ds_write2_b32 v21, v3, v0 offset0:18 offset1:19
	ds_write_b32 v21, v1 offset:80
	s_waitcnt lgkmcnt(0)
	s_barrier
	ds_read_b32 v26, v26 offset:64
	ds_read_b32 v45, v27 offset:64
	;; [unrolled: 1-line block ×8, first 2 shown]
	v_cmp_gt_u32_e32 vcc, s24, v8
                                        ; implicit-def: $vgpr6
                                        ; implicit-def: $vgpr7
	s_and_saveexec_b64 s[26:27], vcc
	s_cbranch_execz .LBB2441_47
; %bb.44:
	v_mul_u32_u24_e32 v0, 0x44, v8
	ds_read_b32 v6, v0 offset:64
	v_add_u32_e32 v1, 1, v8
	v_cmp_ne_u32_e64 s[24:25], s24, v1
	v_mov_b32_e32 v0, 0x2000
	s_and_saveexec_b64 s[30:31], s[24:25]
; %bb.45:
	v_mul_u32_u24_e32 v0, 0x44, v1
	ds_read_b32 v0, v0 offset:64
; %bb.46:
	s_or_b64 exec, exec, s[30:31]
	s_waitcnt lgkmcnt(0)
	v_sub_u32_e32 v7, v0, v6
.LBB2441_47:
	s_or_b64 exec, exec, s[26:27]
	v_mov_b32_e32 v1, 0
	v_lshlrev_b32_e32 v20, 2, v8
	s_waitcnt lgkmcnt(0)
	s_barrier
	s_and_saveexec_b64 s[24:25], vcc
	s_cbranch_execz .LBB2441_57
; %bb.48:
	v_lshl_add_u32 v0, s33, 8, v8
	v_lshl_add_u64 v[2:3], v[0:1], 2, s[38:39]
	v_or_b32_e32 v0, 2.0, v7
	s_mov_b64 s[26:27], 0
	s_brev_b32 s36, -4
	s_mov_b32 s37, s33
	v_mov_b32_e32 v27, 0
	global_store_dword v[2:3], v0, off sc1
                                        ; implicit-def: $sgpr30_sgpr31
	s_branch .LBB2441_51
.LBB2441_49:                            ;   in Loop: Header=BB2441_51 Depth=1
	s_or_b64 exec, exec, s[34:35]
.LBB2441_50:                            ;   in Loop: Header=BB2441_51 Depth=1
	s_or_b64 exec, exec, s[30:31]
	v_and_b32_e32 v4, 0x3fffffff, v0
	v_add_u32_e32 v27, v4, v27
	v_cmp_gt_i32_e64 s[30:31], -2.0, v0
	s_and_b64 s[34:35], exec, s[30:31]
	s_or_b64 s[26:27], s[34:35], s[26:27]
	s_andn2_b64 exec, exec, s[26:27]
	s_cbranch_execz .LBB2441_56
.LBB2441_51:                            ; =>This Loop Header: Depth=1
                                        ;     Child Loop BB2441_54 Depth 2
	s_or_b64 s[30:31], s[30:31], exec
	s_cmp_eq_u32 s37, 0
	s_cbranch_scc1 .LBB2441_55
; %bb.52:                               ;   in Loop: Header=BB2441_51 Depth=1
	s_add_i32 s37, s37, -1
	v_lshl_or_b32 v0, s37, 8, v8
	v_lshl_add_u64 v[4:5], v[0:1], 2, s[38:39]
	global_load_dword v0, v[4:5], off sc1
	s_waitcnt vmcnt(0)
	v_cmp_gt_u32_e32 vcc, 2.0, v0
	s_and_saveexec_b64 s[30:31], vcc
	s_cbranch_execz .LBB2441_50
; %bb.53:                               ;   in Loop: Header=BB2441_51 Depth=1
	s_mov_b64 s[34:35], 0
.LBB2441_54:                            ;   Parent Loop BB2441_51 Depth=1
                                        ; =>  This Inner Loop Header: Depth=2
	global_load_dword v0, v[4:5], off sc1
	s_waitcnt vmcnt(0)
	v_cmp_lt_u32_e32 vcc, s36, v0
	s_or_b64 s[34:35], vcc, s[34:35]
	s_andn2_b64 exec, exec, s[34:35]
	s_cbranch_execnz .LBB2441_54
	s_branch .LBB2441_49
.LBB2441_55:                            ;   in Loop: Header=BB2441_51 Depth=1
                                        ; implicit-def: $sgpr37
	s_and_b64 s[34:35], exec, s[30:31]
	s_or_b64 s[26:27], s[34:35], s[26:27]
	s_andn2_b64 exec, exec, s[26:27]
	s_cbranch_execnz .LBB2441_51
.LBB2441_56:
	s_or_b64 exec, exec, s[26:27]
	v_add_u32_e32 v0, v27, v7
	v_or_b32_e32 v0, 0x80000000, v0
	global_store_dword v[2:3], v0, off sc1
	global_load_dword v0, v20, s[48:49]
	v_sub_u32_e32 v1, v27, v6
	s_waitcnt vmcnt(0)
	v_add_u32_e32 v0, v1, v0
	ds_write_b32 v20, v0
.LBB2441_57:
	s_or_b64 exec, exec, s[24:25]
	s_load_dwordx2 s[24:25], s[0:1], 0x4
	v_add_u32_e32 v27, v26, v22
	v_add3_u32 v26, v24, v23, v45
	v_add3_u32 v24, v29, v25, v46
	;; [unrolled: 1-line block ×3, first 2 shown]
	s_waitcnt lgkmcnt(0)
	s_lshr_b32 s0, s24, 16
	s_mul_i32 s0, s0, s25
	v_mul_lo_u32 v0, s0, v8
	v_mad_u32_u24 v0, v9, s25, v0
	v_add_lshl_u32 v0, v0, v14, 5
	v_add3_u32 v22, v38, v34, v21
	v_add3_u32 v21, v40, v39, v31
	;; [unrolled: 1-line block ×4, first 2 shown]
	v_add_u32_e32 v2, 0x5050, v0
	v_add_u32_e32 v3, 0x5060, v0
	v_lshlrev_b32_e32 v25, 2, v4
	v_lshlrev_b32_e32 v29, 2, v5
	v_lshlrev_b32_e32 v30, 2, v21
	v_lshlrev_b32_e32 v31, 2, v22
	v_lshlrev_b32_e32 v33, 2, v23
	v_lshlrev_b32_e32 v34, 2, v24
	v_lshlrev_b32_e32 v35, 2, v26
	v_lshlrev_b32_e32 v36, 2, v27
	s_mov_b32 s26, 0
	s_mov_b64 s[0:1], -1
	v_mov_b32_e32 v1, 0
	s_movk_i32 s27, 0x400
	s_movk_i32 s30, 0x800
	;; [unrolled: 1-line block ×3, first 2 shown]
	v_mov_b32_e32 v38, v27
	v_mov_b32_e32 v39, v26
	;; [unrolled: 1-line block ×9, first 2 shown]
	s_mov_b32 s34, 0
	s_branch .LBB2441_59
.LBB2441_58:                            ;   in Loop: Header=BB2441_59 Depth=1
	s_or_b64 exec, exec, s[24:25]
	s_xor_b64 s[24:25], s[0:1], -1
	s_addk_i32 s34, 0x1000
	s_addk_i32 s26, 0xc000
	s_mov_b64 s[0:1], 0
	s_and_b64 vcc, exec, s[24:25]
	v_mov_b32_e32 v46, v3
	s_waitcnt lgkmcnt(0)
	s_barrier
	s_cbranch_vccnz .LBB2441_83
.LBB2441_59:                            ; =>This Inner Loop Header: Depth=1
	v_subrev_co_u32_e32 v38, vcc, 0x1000, v38
	s_and_saveexec_b64 s[24:25], vcc
	s_cbranch_execz .LBB2441_67
; %bb.60:                               ;   in Loop: Header=BB2441_59 Depth=1
	v_add_u32_e32 v0, s26, v36
	ds_write_b32 v0, v19 offset:1024
	s_or_b64 exec, exec, s[24:25]
	v_subrev_co_u32_e32 v39, vcc, 0x1000, v39
	s_and_saveexec_b64 s[24:25], vcc
	s_cbranch_execnz .LBB2441_68
.LBB2441_61:                            ;   in Loop: Header=BB2441_59 Depth=1
	s_or_b64 exec, exec, s[24:25]
	v_subrev_co_u32_e32 v40, vcc, 0x1000, v40
	s_and_saveexec_b64 s[24:25], vcc
	s_cbranch_execz .LBB2441_69
.LBB2441_62:                            ;   in Loop: Header=BB2441_59 Depth=1
	v_add_u32_e32 v0, s26, v34
	ds_write_b32 v0, v13 offset:1024
	s_or_b64 exec, exec, s[24:25]
	v_subrev_co_u32_e32 v41, vcc, 0x1000, v41
	s_and_saveexec_b64 s[24:25], vcc
	s_cbranch_execnz .LBB2441_70
.LBB2441_63:                            ;   in Loop: Header=BB2441_59 Depth=1
	s_or_b64 exec, exec, s[24:25]
	v_subrev_co_u32_e32 v42, vcc, 0x1000, v42
	s_and_saveexec_b64 s[24:25], vcc
	s_cbranch_execz .LBB2441_71
.LBB2441_64:                            ;   in Loop: Header=BB2441_59 Depth=1
	v_add_u32_e32 v0, s26, v31
	ds_write_b32 v0, v11 offset:1024
	s_or_b64 exec, exec, s[24:25]
	v_subrev_co_u32_e32 v43, vcc, 0x1000, v43
	s_and_saveexec_b64 s[24:25], vcc
	s_cbranch_execnz .LBB2441_72
.LBB2441_65:                            ;   in Loop: Header=BB2441_59 Depth=1
	s_or_b64 exec, exec, s[24:25]
	v_subrev_co_u32_e32 v44, vcc, 0x1000, v44
	s_and_saveexec_b64 s[24:25], vcc
	s_cbranch_execz .LBB2441_73
.LBB2441_66:                            ;   in Loop: Header=BB2441_59 Depth=1
	v_add_u32_e32 v0, s26, v29
	ds_write_b32 v0, v32 offset:1024
	s_or_b64 exec, exec, s[24:25]
	v_subrev_co_u32_e32 v45, vcc, 0x1000, v45
	s_and_saveexec_b64 s[24:25], vcc
	s_cbranch_execnz .LBB2441_74
	s_branch .LBB2441_75
.LBB2441_67:                            ;   in Loop: Header=BB2441_59 Depth=1
	s_or_b64 exec, exec, s[24:25]
	v_subrev_co_u32_e32 v39, vcc, 0x1000, v39
	s_and_saveexec_b64 s[24:25], vcc
	s_cbranch_execz .LBB2441_61
.LBB2441_68:                            ;   in Loop: Header=BB2441_59 Depth=1
	v_add_u32_e32 v0, s26, v35
	ds_write_b32 v0, v12 offset:1024
	s_or_b64 exec, exec, s[24:25]
	v_subrev_co_u32_e32 v40, vcc, 0x1000, v40
	s_and_saveexec_b64 s[24:25], vcc
	s_cbranch_execnz .LBB2441_62
.LBB2441_69:                            ;   in Loop: Header=BB2441_59 Depth=1
	s_or_b64 exec, exec, s[24:25]
	v_subrev_co_u32_e32 v41, vcc, 0x1000, v41
	s_and_saveexec_b64 s[24:25], vcc
	s_cbranch_execz .LBB2441_63
.LBB2441_70:                            ;   in Loop: Header=BB2441_59 Depth=1
	v_add_u32_e32 v0, s26, v33
	ds_write_b32 v0, v10 offset:1024
	s_or_b64 exec, exec, s[24:25]
	v_subrev_co_u32_e32 v42, vcc, 0x1000, v42
	s_and_saveexec_b64 s[24:25], vcc
	s_cbranch_execnz .LBB2441_64
.LBB2441_71:                            ;   in Loop: Header=BB2441_59 Depth=1
	s_or_b64 exec, exec, s[24:25]
	v_subrev_co_u32_e32 v43, vcc, 0x1000, v43
	s_and_saveexec_b64 s[24:25], vcc
	s_cbranch_execz .LBB2441_65
.LBB2441_72:                            ;   in Loop: Header=BB2441_59 Depth=1
	v_add_u32_e32 v0, s26, v30
	ds_write_b32 v0, v28 offset:1024
	s_or_b64 exec, exec, s[24:25]
	v_subrev_co_u32_e32 v44, vcc, 0x1000, v44
	s_and_saveexec_b64 s[24:25], vcc
	s_cbranch_execnz .LBB2441_66
.LBB2441_73:                            ;   in Loop: Header=BB2441_59 Depth=1
	s_or_b64 exec, exec, s[24:25]
	v_subrev_co_u32_e32 v45, vcc, 0x1000, v45
	s_and_saveexec_b64 s[24:25], vcc
.LBB2441_74:                            ;   in Loop: Header=BB2441_59 Depth=1
	v_add_u32_e32 v0, s26, v25
	ds_write_b32 v0, v37 offset:1024
.LBB2441_75:                            ;   in Loop: Header=BB2441_59 Depth=1
	s_or_b64 exec, exec, s[24:25]
	v_add_u32_e32 v47, s34, v8
	v_cmp_gt_u32_e32 vcc, s5, v47
	s_waitcnt lgkmcnt(0)
	s_barrier
	s_and_saveexec_b64 s[24:25], vcc
	s_cbranch_execz .LBB2441_77
; %bb.76:                               ;   in Loop: Header=BB2441_59 Depth=1
	ds_read_b32 v0, v20 offset:1024
	s_waitcnt lgkmcnt(0)
	v_lshrrev_b32_e32 v48, s52, v0
	v_and_b32_e32 v50, s57, v48
	v_lshlrev_b32_e32 v48, 2, v50
	ds_read_b32 v48, v48
	v_xor_b32_e32 v51, 0x80000000, v0
	ds_write_b32 v46, v50
	s_waitcnt lgkmcnt(1)
	v_add_u32_e32 v0, v47, v48
	v_lshl_add_u64 v[48:49], v[0:1], 2, s[42:43]
	global_store_dword v[48:49], v51, off
.LBB2441_77:                            ;   in Loop: Header=BB2441_59 Depth=1
	s_or_b64 exec, exec, s[24:25]
	v_add_u32_e32 v0, 0x400, v47
	v_cmp_gt_u32_e32 vcc, s5, v0
	s_and_saveexec_b64 s[24:25], vcc
	s_cbranch_execz .LBB2441_79
; %bb.78:                               ;   in Loop: Header=BB2441_59 Depth=1
	ds_read_b32 v0, v20 offset:5120
	s_waitcnt lgkmcnt(0)
	v_lshrrev_b32_e32 v48, s52, v0
	v_and_b32_e32 v50, s57, v48
	v_lshlrev_b32_e32 v48, 2, v50
	ds_read_b32 v48, v48
	v_xor_b32_e32 v51, 0x80000000, v0
	ds_write_b32 v46, v50 offset:4
	s_waitcnt lgkmcnt(1)
	v_add3_u32 v0, v47, v48, s27
	v_lshl_add_u64 v[48:49], v[0:1], 2, s[42:43]
	global_store_dword v[48:49], v51, off
.LBB2441_79:                            ;   in Loop: Header=BB2441_59 Depth=1
	s_or_b64 exec, exec, s[24:25]
	v_add_u32_e32 v0, 0x800, v47
	v_cmp_gt_u32_e32 vcc, s5, v0
	s_and_saveexec_b64 s[24:25], vcc
	s_cbranch_execz .LBB2441_81
; %bb.80:                               ;   in Loop: Header=BB2441_59 Depth=1
	ds_read_b32 v0, v20 offset:9216
	s_waitcnt lgkmcnt(0)
	v_lshrrev_b32_e32 v48, s52, v0
	v_and_b32_e32 v50, s57, v48
	v_lshlrev_b32_e32 v48, 2, v50
	ds_read_b32 v48, v48
	v_xor_b32_e32 v51, 0x80000000, v0
	ds_write_b32 v46, v50 offset:8
	s_waitcnt lgkmcnt(1)
	v_add3_u32 v0, v47, v48, s30
	v_lshl_add_u64 v[48:49], v[0:1], 2, s[42:43]
	global_store_dword v[48:49], v51, off
.LBB2441_81:                            ;   in Loop: Header=BB2441_59 Depth=1
	s_or_b64 exec, exec, s[24:25]
	v_add_u32_e32 v0, 0xc00, v47
	v_cmp_gt_u32_e32 vcc, s5, v0
	s_and_saveexec_b64 s[24:25], vcc
	s_cbranch_execz .LBB2441_58
; %bb.82:                               ;   in Loop: Header=BB2441_59 Depth=1
	ds_read_b32 v0, v20 offset:13312
	s_waitcnt lgkmcnt(0)
	v_lshrrev_b32_e32 v48, s52, v0
	v_and_b32_e32 v50, s57, v48
	v_lshlrev_b32_e32 v48, 2, v50
	ds_read_b32 v48, v48
	v_xor_b32_e32 v51, 0x80000000, v0
	ds_write_b32 v46, v50 offset:12
	s_waitcnt lgkmcnt(1)
	v_add3_u32 v0, v47, v48, s31
	v_lshl_add_u64 v[48:49], v[0:1], 2, s[42:43]
	global_store_dword v[48:49], v51, off
	s_branch .LBB2441_58
.LBB2441_83:
	s_lshl_b64 s[0:1], s[54:55], 1
	s_add_u32 s0, s44, s0
	s_addc_u32 s1, s45, s1
	v_lshlrev_b32_e32 v0, 1, v18
	v_mov_b32_e32 v1, 0
	v_lshl_add_u64 v[10:11], s[0:1], 0, v[0:1]
	v_lshlrev_b32_e32 v0, 1, v17
	v_lshl_add_u64 v[0:1], v[10:11], 0, v[0:1]
                                        ; implicit-def: $vgpr10
	s_and_saveexec_b64 s[0:1], s[28:29]
	s_cbranch_execz .LBB2441_91
; %bb.84:
	global_load_ushort v10, v[0:1], off
	s_or_b64 exec, exec, s[0:1]
                                        ; implicit-def: $vgpr11
	s_and_saveexec_b64 s[0:1], s[6:7]
	s_cbranch_execnz .LBB2441_92
.LBB2441_85:
	s_or_b64 exec, exec, s[0:1]
                                        ; implicit-def: $vgpr12
	s_and_saveexec_b64 s[0:1], s[8:9]
	s_cbranch_execz .LBB2441_93
.LBB2441_86:
	global_load_ushort v12, v[0:1], off offset:256
	s_or_b64 exec, exec, s[0:1]
                                        ; implicit-def: $vgpr13
	s_and_saveexec_b64 s[0:1], s[10:11]
	s_cbranch_execnz .LBB2441_94
.LBB2441_87:
	s_or_b64 exec, exec, s[0:1]
                                        ; implicit-def: $vgpr17
	s_and_saveexec_b64 s[0:1], s[12:13]
	s_cbranch_execz .LBB2441_95
.LBB2441_88:
	global_load_ushort v17, v[0:1], off offset:512
	s_or_b64 exec, exec, s[0:1]
                                        ; implicit-def: $vgpr18
	s_and_saveexec_b64 s[0:1], s[14:15]
	s_cbranch_execnz .LBB2441_96
.LBB2441_89:
	s_or_b64 exec, exec, s[0:1]
                                        ; implicit-def: $vgpr19
	s_and_saveexec_b64 s[0:1], s[16:17]
	s_cbranch_execz .LBB2441_97
.LBB2441_90:
	global_load_ushort v19, v[0:1], off offset:768
	s_or_b64 exec, exec, s[0:1]
                                        ; implicit-def: $vgpr25
	s_and_saveexec_b64 s[0:1], s[18:19]
	s_cbranch_execnz .LBB2441_98
	s_branch .LBB2441_99
.LBB2441_91:
	s_or_b64 exec, exec, s[0:1]
                                        ; implicit-def: $vgpr11
	s_and_saveexec_b64 s[0:1], s[6:7]
	s_cbranch_execz .LBB2441_85
.LBB2441_92:
	global_load_ushort v11, v[0:1], off offset:128
	s_or_b64 exec, exec, s[0:1]
                                        ; implicit-def: $vgpr12
	s_and_saveexec_b64 s[0:1], s[8:9]
	s_cbranch_execnz .LBB2441_86
.LBB2441_93:
	s_or_b64 exec, exec, s[0:1]
                                        ; implicit-def: $vgpr13
	s_and_saveexec_b64 s[0:1], s[10:11]
	s_cbranch_execz .LBB2441_87
.LBB2441_94:
	global_load_ushort v13, v[0:1], off offset:384
	s_or_b64 exec, exec, s[0:1]
                                        ; implicit-def: $vgpr17
	s_and_saveexec_b64 s[0:1], s[12:13]
	s_cbranch_execnz .LBB2441_88
.LBB2441_95:
	s_or_b64 exec, exec, s[0:1]
                                        ; implicit-def: $vgpr18
	s_and_saveexec_b64 s[0:1], s[14:15]
	s_cbranch_execz .LBB2441_89
.LBB2441_96:
	global_load_ushort v18, v[0:1], off offset:640
	s_or_b64 exec, exec, s[0:1]
                                        ; implicit-def: $vgpr19
	s_and_saveexec_b64 s[0:1], s[16:17]
	s_cbranch_execnz .LBB2441_90
.LBB2441_97:
	s_or_b64 exec, exec, s[0:1]
                                        ; implicit-def: $vgpr25
	s_and_saveexec_b64 s[0:1], s[18:19]
	s_cbranch_execz .LBB2441_99
.LBB2441_98:
	global_load_ushort v25, v[0:1], off offset:896
.LBB2441_99:
	s_or_b64 exec, exec, s[0:1]
	s_movk_i32 s6, 0x2000
	v_cmp_gt_u32_e32 vcc, s6, v27
	s_and_saveexec_b64 s[0:1], vcc
	s_cbranch_execz .LBB2441_107
; %bb.100:
	v_lshlrev_b32_e32 v0, 1, v27
	s_waitcnt vmcnt(0)
	ds_write_b16 v0, v10 offset:1024
	s_or_b64 exec, exec, s[0:1]
	v_cmp_gt_u32_e32 vcc, s6, v26
	s_and_saveexec_b64 s[0:1], vcc
	s_cbranch_execnz .LBB2441_108
.LBB2441_101:
	s_or_b64 exec, exec, s[0:1]
	v_cmp_gt_u32_e32 vcc, s6, v24
	s_and_saveexec_b64 s[0:1], vcc
	s_cbranch_execz .LBB2441_109
.LBB2441_102:
	v_lshlrev_b32_e32 v0, 1, v24
	s_waitcnt vmcnt(0)
	ds_write_b16 v0, v12 offset:1024
	s_or_b64 exec, exec, s[0:1]
	v_cmp_gt_u32_e32 vcc, s6, v23
	s_and_saveexec_b64 s[0:1], vcc
	s_cbranch_execnz .LBB2441_110
.LBB2441_103:
	s_or_b64 exec, exec, s[0:1]
	v_cmp_gt_u32_e32 vcc, s6, v22
	s_and_saveexec_b64 s[0:1], vcc
	s_cbranch_execz .LBB2441_111
.LBB2441_104:
	v_lshlrev_b32_e32 v0, 1, v22
	s_waitcnt vmcnt(0)
	ds_write_b16 v0, v17 offset:1024
	s_or_b64 exec, exec, s[0:1]
	v_cmp_gt_u32_e32 vcc, s6, v21
	s_and_saveexec_b64 s[0:1], vcc
	s_cbranch_execnz .LBB2441_112
.LBB2441_105:
	s_or_b64 exec, exec, s[0:1]
	v_cmp_gt_u32_e32 vcc, s6, v5
	s_and_saveexec_b64 s[0:1], vcc
	s_cbranch_execz .LBB2441_113
.LBB2441_106:
	v_lshlrev_b32_e32 v0, 1, v5
	s_waitcnt vmcnt(0)
	ds_write_b16 v0, v19 offset:1024
	s_or_b64 exec, exec, s[0:1]
	v_cmp_gt_u32_e32 vcc, s6, v4
	s_and_saveexec_b64 s[0:1], vcc
	s_cbranch_execnz .LBB2441_114
	s_branch .LBB2441_115
.LBB2441_107:
	s_or_b64 exec, exec, s[0:1]
	v_cmp_gt_u32_e32 vcc, s6, v26
	s_and_saveexec_b64 s[0:1], vcc
	s_cbranch_execz .LBB2441_101
.LBB2441_108:
	v_lshlrev_b32_e32 v0, 1, v26
	s_waitcnt vmcnt(0)
	ds_write_b16 v0, v11 offset:1024
	s_or_b64 exec, exec, s[0:1]
	v_cmp_gt_u32_e32 vcc, s6, v24
	s_and_saveexec_b64 s[0:1], vcc
	s_cbranch_execnz .LBB2441_102
.LBB2441_109:
	s_or_b64 exec, exec, s[0:1]
	v_cmp_gt_u32_e32 vcc, s6, v23
	s_and_saveexec_b64 s[0:1], vcc
	s_cbranch_execz .LBB2441_103
.LBB2441_110:
	v_lshlrev_b32_e32 v0, 1, v23
	s_waitcnt vmcnt(0)
	ds_write_b16 v0, v13 offset:1024
	s_or_b64 exec, exec, s[0:1]
	v_cmp_gt_u32_e32 vcc, s6, v22
	s_and_saveexec_b64 s[0:1], vcc
	s_cbranch_execnz .LBB2441_104
.LBB2441_111:
	s_or_b64 exec, exec, s[0:1]
	v_cmp_gt_u32_e32 vcc, s6, v21
	s_and_saveexec_b64 s[0:1], vcc
	s_cbranch_execz .LBB2441_105
.LBB2441_112:
	v_lshlrev_b32_e32 v0, 1, v21
	s_waitcnt vmcnt(0)
	ds_write_b16 v0, v18 offset:1024
	s_or_b64 exec, exec, s[0:1]
	v_cmp_gt_u32_e32 vcc, s6, v5
	s_and_saveexec_b64 s[0:1], vcc
	s_cbranch_execnz .LBB2441_106
.LBB2441_113:
	s_or_b64 exec, exec, s[0:1]
	v_cmp_gt_u32_e32 vcc, s6, v4
	s_and_saveexec_b64 s[0:1], vcc
	s_cbranch_execz .LBB2441_115
.LBB2441_114:
	v_lshlrev_b32_e32 v0, 1, v4
	s_waitcnt vmcnt(0)
	ds_write_b16 v0, v25 offset:1024
.LBB2441_115:
	s_or_b64 exec, exec, s[0:1]
	v_cmp_gt_u32_e32 vcc, s5, v8
	s_waitcnt lgkmcnt(0)
	s_barrier
	s_and_saveexec_b64 s[0:1], vcc
	s_cbranch_execz .LBB2441_117
; %bb.116:
	ds_read_b32 v0, v2
	v_lshlrev_b32_e32 v1, 1, v8
	ds_read_u16 v4, v1 offset:1024
	v_mov_b32_e32 v1, 0
	s_waitcnt lgkmcnt(1)
	v_lshlrev_b32_e32 v0, 2, v0
	ds_read_b32 v0, v0
	s_waitcnt lgkmcnt(0)
	v_add_u32_e32 v0, v0, v8
	v_lshl_add_u64 v[0:1], v[0:1], 1, s[46:47]
	global_store_short v[0:1], v4, off
.LBB2441_117:
	s_or_b64 exec, exec, s[0:1]
	v_or_b32_e32 v0, 0x400, v8
	v_cmp_gt_u32_e32 vcc, s5, v0
	s_and_saveexec_b64 s[0:1], vcc
	s_cbranch_execz .LBB2441_119
; %bb.118:
	ds_read_b32 v1, v2 offset:4
	v_lshlrev_b32_e32 v4, 1, v8
	ds_read_u16 v4, v4 offset:3072
	s_waitcnt lgkmcnt(1)
	v_lshlrev_b32_e32 v1, 2, v1
	ds_read_b32 v1, v1
	s_waitcnt lgkmcnt(0)
	v_add_u32_e32 v0, v1, v0
	v_mov_b32_e32 v1, 0
	v_lshl_add_u64 v[0:1], v[0:1], 1, s[46:47]
	global_store_short v[0:1], v4, off
.LBB2441_119:
	s_or_b64 exec, exec, s[0:1]
	v_or_b32_e32 v0, 0x800, v8
	v_cmp_gt_u32_e32 vcc, s5, v0
	s_and_saveexec_b64 s[0:1], vcc
	s_cbranch_execz .LBB2441_121
; %bb.120:
	ds_read_b32 v1, v2 offset:8
	v_lshlrev_b32_e32 v4, 1, v8
	ds_read_u16 v4, v4 offset:5120
	s_waitcnt lgkmcnt(1)
	v_lshlrev_b32_e32 v1, 2, v1
	ds_read_b32 v1, v1
	s_waitcnt lgkmcnt(0)
	v_add_u32_e32 v0, v1, v0
	v_mov_b32_e32 v1, 0
	v_lshl_add_u64 v[0:1], v[0:1], 1, s[46:47]
	global_store_short v[0:1], v4, off
.LBB2441_121:
	;; [unrolled: 18-line block ×3, first 2 shown]
	s_or_b64 exec, exec, s[0:1]
	v_or_b32_e32 v0, 0x1000, v8
	v_cmp_gt_u32_e32 vcc, s5, v0
	s_and_saveexec_b64 s[0:1], vcc
	s_cbranch_execz .LBB2441_125
; %bb.124:
	ds_read_b32 v1, v3
	v_lshlrev_b32_e32 v3, 1, v8
	ds_read_u16 v3, v3 offset:9216
	s_waitcnt lgkmcnt(1)
	v_lshlrev_b32_e32 v1, 2, v1
	ds_read_b32 v1, v1
	s_waitcnt lgkmcnt(0)
	v_add_u32_e32 v0, v1, v0
	v_mov_b32_e32 v1, 0
	v_lshl_add_u64 v[0:1], v[0:1], 1, s[46:47]
	global_store_short v[0:1], v3, off
.LBB2441_125:
	s_or_b64 exec, exec, s[0:1]
	v_or_b32_e32 v0, 0x1400, v8
	v_cmp_gt_u32_e32 vcc, s5, v0
	s_and_saveexec_b64 s[0:1], vcc
	s_cbranch_execz .LBB2441_127
; %bb.126:
	ds_read_b32 v1, v2 offset:20
	v_lshlrev_b32_e32 v3, 1, v8
	ds_read_u16 v3, v3 offset:11264
	s_waitcnt lgkmcnt(1)
	v_lshlrev_b32_e32 v1, 2, v1
	ds_read_b32 v1, v1
	s_waitcnt lgkmcnt(0)
	v_add_u32_e32 v0, v1, v0
	v_mov_b32_e32 v1, 0
	v_lshl_add_u64 v[0:1], v[0:1], 1, s[46:47]
	global_store_short v[0:1], v3, off
.LBB2441_127:
	s_or_b64 exec, exec, s[0:1]
	v_or_b32_e32 v0, 0x1800, v8
	v_cmp_gt_u32_e32 vcc, s5, v0
	s_and_saveexec_b64 s[0:1], vcc
	s_cbranch_execz .LBB2441_129
; %bb.128:
	ds_read_b32 v1, v2 offset:24
	v_lshlrev_b32_e32 v3, 1, v8
	ds_read_u16 v3, v3 offset:13312
	s_waitcnt lgkmcnt(1)
	v_lshlrev_b32_e32 v1, 2, v1
	ds_read_b32 v1, v1
	s_waitcnt lgkmcnt(0)
	v_add_u32_e32 v0, v1, v0
	v_mov_b32_e32 v1, 0
	v_lshl_add_u64 v[0:1], v[0:1], 1, s[46:47]
	global_store_short v[0:1], v3, off
.LBB2441_129:
	;; [unrolled: 18-line block ×3, first 2 shown]
	s_or_b64 exec, exec, s[0:1]
	s_add_i32 s56, s56, -1
	s_cmp_eq_u32 s33, s56
	s_cselect_b64 s[0:1], -1, 0
	s_xor_b64 s[6:7], s[22:23], -1
	s_and_b64 s[6:7], s[6:7], s[0:1]
	s_and_saveexec_b64 s[0:1], s[6:7]
	s_cbranch_execz .LBB2441_133
; %bb.132:
	ds_read_b32 v0, v20
	s_waitcnt lgkmcnt(0)
	v_add3_u32 v0, v6, v7, v0
	global_store_dword v20, v0, s[50:51]
.LBB2441_133:
	s_or_b64 exec, exec, s[0:1]
	s_mov_b64 s[6:7], 0
.LBB2441_134:
	s_and_b64 vcc, exec, s[6:7]
	s_cbranch_vccz .LBB2441_207
; %bb.135:
	s_lshl_b32 s10, s33, 13
	s_mov_b32 s11, 0
	s_lshl_b64 s[0:1], s[10:11], 2
	v_mbcnt_hi_u32_b32 v4, -1, v16
	s_add_u32 s0, s40, s0
	v_and_b32_e32 v7, 63, v4
	s_addc_u32 s1, s41, s1
	v_and_b32_e32 v6, 0x1e00, v15
	v_mov_b32_e32 v1, 0
	v_lshlrev_b32_e32 v0, 2, v7
	v_lshl_add_u64 v[2:3], s[0:1], 0, v[0:1]
	v_lshlrev_b32_e32 v0, 2, v6
	v_lshl_add_u64 v[2:3], v[2:3], 0, v[0:1]
	global_load_dword v0, v[2:3], off
	s_load_dword s0, s[2:3], 0x64
	s_load_dword s12, s[2:3], 0x58
	s_add_u32 s1, s2, 0x58
	s_addc_u32 s2, s3, 0
	v_mul_u32_u24_e32 v5, 20, v8
	s_waitcnt lgkmcnt(0)
	s_lshr_b32 s3, s0, 16
	s_cmp_lt_u32 s4, s12
	s_cselect_b32 s0, 12, 18
	s_add_u32 s0, s1, s0
	s_addc_u32 s1, s2, 0
	global_load_ushort v15, v1, s[0:1]
	ds_write2_b32 v5, v1, v1 offset0:16 offset1:17
	ds_write2_b32 v5, v1, v1 offset0:18 offset1:19
	ds_write_b32 v5, v1 offset:80
	global_load_dword v10, v[2:3], off offset:256
	global_load_dword v11, v[2:3], off offset:512
	;; [unrolled: 1-line block ×7, first 2 shown]
	v_mad_u32_u24 v2, v14, s3, v9
	s_lshl_b32 s0, -1, s53
	s_waitcnt vmcnt(9)
	v_mov_b32_e32 v12, v1
	v_mov_b32_e32 v26, v1
	s_not_b32 s13, s0
	s_movk_i32 s14, 0x44
	v_mov_b32_e32 v16, v1
	v_mov_b32_e32 v30, v1
	;; [unrolled: 1-line block ×3, first 2 shown]
	s_waitcnt lgkmcnt(0)
	s_barrier
	s_waitcnt vmcnt(8)
	; wave barrier
	v_xor_b32_e32 v9, 0x80000000, v0
	v_lshrrev_b32_e32 v0, s52, v9
	v_bitop3_b32 v19, v0, s0, v0 bitop3:0x30
	v_and_b32_e32 v0, 1, v19
	v_lshlrev_b32_e32 v13, 30, v19
	v_lshlrev_b32_e32 v17, 29, v19
	v_lshlrev_b32_e32 v27, 28, v19
	v_cmp_ne_u32_e32 vcc, 0, v0
	v_cmp_gt_i64_e64 s[4:5], 0, v[26:27]
	v_mul_lo_u32 v20, v19, s14
	s_waitcnt vmcnt(7)
	v_mad_u64_u32 v[2:3], s[0:1], v2, v15, v[8:9]
	v_lshl_add_u64 v[14:15], v[0:1], 0, -1
	v_not_b32_e32 v0, v13
	v_cmp_gt_i64_e64 s[0:1], 0, v[12:13]
	v_not_b32_e32 v3, v17
	v_lshrrev_b32_e32 v26, 6, v2
	v_xor_b32_e32 v2, vcc_hi, v15
	v_xor_b32_e32 v14, vcc_lo, v14
	v_ashrrev_i32_e32 v0, 31, v0
	v_lshlrev_b32_e32 v31, 27, v19
	v_cmp_gt_i64_e64 s[2:3], 0, v[16:17]
	v_not_b32_e32 v12, v27
	v_ashrrev_i32_e32 v3, 31, v3
	v_and_b32_e32 v2, exec_hi, v2
	v_and_b32_e32 v14, exec_lo, v14
	v_xor_b32_e32 v15, s1, v0
	v_xor_b32_e32 v0, s0, v0
	v_lshlrev_b32_e32 v33, 26, v19
	v_not_b32_e32 v13, v31
	v_ashrrev_i32_e32 v12, 31, v12
	v_lshl_add_u32 v16, v26, 2, v20
	v_xor_b32_e32 v20, s3, v3
	v_xor_b32_e32 v3, s2, v3
	v_and_b32_e32 v2, v2, v15
	v_and_b32_e32 v0, v14, v0
	v_cmp_gt_i64_e64 s[6:7], 0, v[30:31]
	v_not_b32_e32 v17, v33
	v_ashrrev_i32_e32 v13, 31, v13
	v_xor_b32_e32 v23, s5, v12
	v_xor_b32_e32 v12, s4, v12
	v_and_b32_e32 v2, v2, v20
	v_and_b32_e32 v0, v0, v3
	v_cmp_gt_i64_e64 s[8:9], 0, v[32:33]
	v_xor_b32_e32 v25, s7, v13
	v_xor_b32_e32 v13, s6, v13
	v_and_b32_e32 v2, v2, v23
	v_and_b32_e32 v0, v0, v12
	v_ashrrev_i32_e32 v3, 31, v17
	v_and_b32_e32 v2, v2, v25
	v_and_b32_e32 v0, v0, v13
	v_xor_b32_e32 v12, s9, v3
	v_xor_b32_e32 v3, s8, v3
	v_and_b32_e32 v12, v2, v12
	v_and_b32_e32 v0, v0, v3
	v_lshlrev_b32_e32 v3, 25, v19
	v_mov_b32_e32 v2, v1
	v_cmp_gt_i64_e32 vcc, 0, v[2:3]
	v_not_b32_e32 v2, v3
	v_ashrrev_i32_e32 v2, 31, v2
	v_xor_b32_e32 v3, vcc_hi, v2
	v_xor_b32_e32 v2, vcc_lo, v2
	v_and_b32_e32 v12, v12, v3
	v_and_b32_e32 v0, v0, v2
	v_lshlrev_b32_e32 v3, 24, v19
	v_mov_b32_e32 v2, v1
	v_cmp_gt_i64_e32 vcc, 0, v[2:3]
	v_not_b32_e32 v2, v3
	v_ashrrev_i32_e32 v2, 31, v2
	v_xor_b32_e32 v3, vcc_hi, v2
	v_xor_b32_e32 v2, vcc_lo, v2
	v_and_b32_e32 v2, v0, v2
	v_and_b32_e32 v3, v12, v3
	v_mbcnt_lo_u32_b32 v0, v2, 0
	v_mbcnt_hi_u32_b32 v13, v3, v0
	v_cmp_eq_u32_e32 vcc, 0, v13
	v_cmp_ne_u64_e64 s[0:1], 0, v[2:3]
	s_and_b64 s[2:3], s[0:1], vcc
	s_and_saveexec_b64 s[0:1], s[2:3]
; %bb.136:
	v_bcnt_u32_b32 v0, v2, 0
	v_bcnt_u32_b32 v0, v3, v0
	ds_write_b32 v16, v0 offset:64
; %bb.137:
	s_or_b64 exec, exec, s[0:1]
	s_waitcnt vmcnt(6)
	v_xor_b32_e32 v10, 0x80000000, v10
	v_lshrrev_b32_e32 v0, s52, v10
	v_and_b32_e32 v14, s13, v0
	v_mul_lo_u32 v0, v14, s14
	v_lshl_add_u32 v19, v26, 2, v0
	v_and_b32_e32 v0, 1, v14
	v_lshl_add_u64 v[2:3], v[0:1], 0, -1
	v_cmp_ne_u32_e32 vcc, 0, v0
	; wave barrier
	s_nop 1
	v_xor_b32_e32 v2, vcc_lo, v2
	v_xor_b32_e32 v0, vcc_hi, v3
	v_and_b32_e32 v15, exec_lo, v2
	v_lshlrev_b32_e32 v3, 30, v14
	v_mov_b32_e32 v2, v1
	v_cmp_gt_i64_e32 vcc, 0, v[2:3]
	v_not_b32_e32 v2, v3
	v_ashrrev_i32_e32 v2, 31, v2
	v_and_b32_e32 v0, exec_hi, v0
	v_xor_b32_e32 v3, vcc_hi, v2
	v_xor_b32_e32 v2, vcc_lo, v2
	v_and_b32_e32 v0, v0, v3
	v_and_b32_e32 v15, v15, v2
	v_lshlrev_b32_e32 v3, 29, v14
	v_mov_b32_e32 v2, v1
	v_cmp_gt_i64_e32 vcc, 0, v[2:3]
	v_not_b32_e32 v2, v3
	v_ashrrev_i32_e32 v2, 31, v2
	v_xor_b32_e32 v3, vcc_hi, v2
	v_xor_b32_e32 v2, vcc_lo, v2
	v_and_b32_e32 v0, v0, v3
	v_and_b32_e32 v15, v15, v2
	v_lshlrev_b32_e32 v3, 28, v14
	v_mov_b32_e32 v2, v1
	v_cmp_gt_i64_e32 vcc, 0, v[2:3]
	v_not_b32_e32 v2, v3
	v_ashrrev_i32_e32 v2, 31, v2
	;; [unrolled: 9-line block ×5, first 2 shown]
	v_xor_b32_e32 v3, vcc_hi, v2
	v_xor_b32_e32 v2, vcc_lo, v2
	v_and_b32_e32 v0, v0, v3
	v_lshlrev_b32_e32 v3, 24, v14
	v_and_b32_e32 v15, v15, v2
	v_mov_b32_e32 v2, v1
	v_not_b32_e32 v1, v3
	v_cmp_gt_i64_e32 vcc, 0, v[2:3]
	v_ashrrev_i32_e32 v1, 31, v1
	ds_read_b32 v12, v19 offset:64
	v_xor_b32_e32 v2, vcc_hi, v1
	v_xor_b32_e32 v3, vcc_lo, v1
	v_and_b32_e32 v1, v0, v2
	v_and_b32_e32 v0, v15, v3
	v_mbcnt_lo_u32_b32 v2, v0, 0
	v_mbcnt_hi_u32_b32 v15, v1, v2
	v_cmp_eq_u32_e32 vcc, 0, v15
	v_cmp_ne_u64_e64 s[0:1], 0, v[0:1]
	s_and_b64 s[2:3], s[0:1], vcc
	; wave barrier
	s_and_saveexec_b64 s[0:1], s[2:3]
	s_cbranch_execz .LBB2441_139
; %bb.138:
	v_bcnt_u32_b32 v0, v0, 0
	v_bcnt_u32_b32 v0, v1, v0
	s_waitcnt lgkmcnt(0)
	v_add_u32_e32 v0, v12, v0
	ds_write_b32 v19, v0 offset:64
.LBB2441_139:
	s_or_b64 exec, exec, s[0:1]
	s_waitcnt vmcnt(5)
	v_xor_b32_e32 v11, 0x80000000, v11
	v_lshrrev_b32_e32 v0, s52, v11
	v_and_b32_e32 v14, s13, v0
	s_movk_i32 s2, 0x44
	v_mul_lo_u32 v0, v14, s2
	v_lshl_add_u32 v23, v26, 2, v0
	v_and_b32_e32 v0, 1, v14
	v_mov_b32_e32 v1, 0
	v_lshl_add_u64 v[2:3], v[0:1], 0, -1
	v_cmp_ne_u32_e32 vcc, 0, v0
	; wave barrier
	s_nop 1
	v_xor_b32_e32 v2, vcc_lo, v2
	v_xor_b32_e32 v0, vcc_hi, v3
	v_and_b32_e32 v20, exec_lo, v2
	v_lshlrev_b32_e32 v3, 30, v14
	v_mov_b32_e32 v2, v1
	v_cmp_gt_i64_e32 vcc, 0, v[2:3]
	v_not_b32_e32 v2, v3
	v_ashrrev_i32_e32 v2, 31, v2
	v_and_b32_e32 v0, exec_hi, v0
	v_xor_b32_e32 v3, vcc_hi, v2
	v_xor_b32_e32 v2, vcc_lo, v2
	v_and_b32_e32 v0, v0, v3
	v_and_b32_e32 v20, v20, v2
	v_lshlrev_b32_e32 v3, 29, v14
	v_mov_b32_e32 v2, v1
	v_cmp_gt_i64_e32 vcc, 0, v[2:3]
	v_not_b32_e32 v2, v3
	v_ashrrev_i32_e32 v2, 31, v2
	v_xor_b32_e32 v3, vcc_hi, v2
	v_xor_b32_e32 v2, vcc_lo, v2
	v_and_b32_e32 v0, v0, v3
	v_and_b32_e32 v20, v20, v2
	v_lshlrev_b32_e32 v3, 28, v14
	v_mov_b32_e32 v2, v1
	v_cmp_gt_i64_e32 vcc, 0, v[2:3]
	v_not_b32_e32 v2, v3
	v_ashrrev_i32_e32 v2, 31, v2
	;; [unrolled: 9-line block ×6, first 2 shown]
	v_xor_b32_e32 v3, vcc_hi, v2
	v_xor_b32_e32 v2, vcc_lo, v2
	ds_read_b32 v17, v23 offset:64
	v_and_b32_e32 v2, v20, v2
	v_and_b32_e32 v3, v0, v3
	v_mbcnt_lo_u32_b32 v0, v2, 0
	v_mbcnt_hi_u32_b32 v20, v3, v0
	v_cmp_eq_u32_e32 vcc, 0, v20
	v_cmp_ne_u64_e64 s[0:1], 0, v[2:3]
	s_and_b64 s[4:5], s[0:1], vcc
	; wave barrier
	s_and_saveexec_b64 s[0:1], s[4:5]
	s_cbranch_execz .LBB2441_141
; %bb.140:
	v_bcnt_u32_b32 v0, v2, 0
	v_bcnt_u32_b32 v0, v3, v0
	s_waitcnt lgkmcnt(0)
	v_add_u32_e32 v0, v17, v0
	ds_write_b32 v23, v0 offset:64
.LBB2441_141:
	s_or_b64 exec, exec, s[0:1]
	s_waitcnt vmcnt(4)
	v_xor_b32_e32 v14, 0x80000000, v21
	v_lshrrev_b32_e32 v0, s52, v14
	v_and_b32_e32 v25, s13, v0
	v_mul_lo_u32 v0, v25, s2
	v_lshl_add_u32 v29, v26, 2, v0
	v_and_b32_e32 v0, 1, v25
	v_lshl_add_u64 v[2:3], v[0:1], 0, -1
	v_cmp_ne_u32_e32 vcc, 0, v0
	; wave barrier
	s_nop 1
	v_xor_b32_e32 v2, vcc_lo, v2
	v_xor_b32_e32 v0, vcc_hi, v3
	v_and_b32_e32 v27, exec_lo, v2
	v_lshlrev_b32_e32 v3, 30, v25
	v_mov_b32_e32 v2, v1
	v_cmp_gt_i64_e32 vcc, 0, v[2:3]
	v_not_b32_e32 v2, v3
	v_ashrrev_i32_e32 v2, 31, v2
	v_and_b32_e32 v0, exec_hi, v0
	v_xor_b32_e32 v3, vcc_hi, v2
	v_xor_b32_e32 v2, vcc_lo, v2
	v_and_b32_e32 v0, v0, v3
	v_and_b32_e32 v27, v27, v2
	v_lshlrev_b32_e32 v3, 29, v25
	v_mov_b32_e32 v2, v1
	v_cmp_gt_i64_e32 vcc, 0, v[2:3]
	v_not_b32_e32 v2, v3
	v_ashrrev_i32_e32 v2, 31, v2
	v_xor_b32_e32 v3, vcc_hi, v2
	v_xor_b32_e32 v2, vcc_lo, v2
	v_and_b32_e32 v0, v0, v3
	v_and_b32_e32 v27, v27, v2
	v_lshlrev_b32_e32 v3, 28, v25
	v_mov_b32_e32 v2, v1
	v_cmp_gt_i64_e32 vcc, 0, v[2:3]
	v_not_b32_e32 v2, v3
	v_ashrrev_i32_e32 v2, 31, v2
	;; [unrolled: 9-line block ×5, first 2 shown]
	v_xor_b32_e32 v3, vcc_hi, v2
	v_xor_b32_e32 v2, vcc_lo, v2
	v_and_b32_e32 v0, v0, v3
	v_lshlrev_b32_e32 v3, 24, v25
	v_and_b32_e32 v27, v27, v2
	v_mov_b32_e32 v2, v1
	v_not_b32_e32 v1, v3
	v_cmp_gt_i64_e32 vcc, 0, v[2:3]
	v_ashrrev_i32_e32 v1, 31, v1
	ds_read_b32 v21, v29 offset:64
	v_xor_b32_e32 v2, vcc_hi, v1
	v_xor_b32_e32 v3, vcc_lo, v1
	v_and_b32_e32 v1, v0, v2
	v_and_b32_e32 v0, v27, v3
	v_mbcnt_lo_u32_b32 v2, v0, 0
	v_mbcnt_hi_u32_b32 v25, v1, v2
	v_cmp_eq_u32_e32 vcc, 0, v25
	v_cmp_ne_u64_e64 s[0:1], 0, v[0:1]
	s_and_b64 s[2:3], s[0:1], vcc
	; wave barrier
	s_and_saveexec_b64 s[0:1], s[2:3]
	s_cbranch_execz .LBB2441_143
; %bb.142:
	v_bcnt_u32_b32 v0, v0, 0
	v_bcnt_u32_b32 v0, v1, v0
	s_waitcnt lgkmcnt(0)
	v_add_u32_e32 v0, v21, v0
	ds_write_b32 v29, v0 offset:64
.LBB2441_143:
	s_or_b64 exec, exec, s[0:1]
	s_waitcnt vmcnt(3)
	v_xor_b32_e32 v18, 0x80000000, v18
	v_lshrrev_b32_e32 v0, s52, v18
	v_and_b32_e32 v30, s13, v0
	s_movk_i32 s2, 0x44
	v_mul_lo_u32 v0, v30, s2
	v_lshl_add_u32 v33, v26, 2, v0
	v_and_b32_e32 v0, 1, v30
	v_mov_b32_e32 v1, 0
	v_lshl_add_u64 v[2:3], v[0:1], 0, -1
	v_cmp_ne_u32_e32 vcc, 0, v0
	; wave barrier
	s_nop 1
	v_xor_b32_e32 v2, vcc_lo, v2
	v_xor_b32_e32 v0, vcc_hi, v3
	v_and_b32_e32 v31, exec_lo, v2
	v_lshlrev_b32_e32 v3, 30, v30
	v_mov_b32_e32 v2, v1
	v_cmp_gt_i64_e32 vcc, 0, v[2:3]
	v_not_b32_e32 v2, v3
	v_ashrrev_i32_e32 v2, 31, v2
	v_and_b32_e32 v0, exec_hi, v0
	v_xor_b32_e32 v3, vcc_hi, v2
	v_xor_b32_e32 v2, vcc_lo, v2
	v_and_b32_e32 v0, v0, v3
	v_and_b32_e32 v31, v31, v2
	v_lshlrev_b32_e32 v3, 29, v30
	v_mov_b32_e32 v2, v1
	v_cmp_gt_i64_e32 vcc, 0, v[2:3]
	v_not_b32_e32 v2, v3
	v_ashrrev_i32_e32 v2, 31, v2
	v_xor_b32_e32 v3, vcc_hi, v2
	v_xor_b32_e32 v2, vcc_lo, v2
	v_and_b32_e32 v0, v0, v3
	v_and_b32_e32 v31, v31, v2
	v_lshlrev_b32_e32 v3, 28, v30
	v_mov_b32_e32 v2, v1
	v_cmp_gt_i64_e32 vcc, 0, v[2:3]
	v_not_b32_e32 v2, v3
	v_ashrrev_i32_e32 v2, 31, v2
	;; [unrolled: 9-line block ×6, first 2 shown]
	v_xor_b32_e32 v3, vcc_hi, v2
	v_xor_b32_e32 v2, vcc_lo, v2
	ds_read_b32 v27, v33 offset:64
	v_and_b32_e32 v2, v31, v2
	v_and_b32_e32 v3, v0, v3
	v_mbcnt_lo_u32_b32 v0, v2, 0
	v_mbcnt_hi_u32_b32 v30, v3, v0
	v_cmp_eq_u32_e32 vcc, 0, v30
	v_cmp_ne_u64_e64 s[0:1], 0, v[2:3]
	s_and_b64 s[4:5], s[0:1], vcc
	; wave barrier
	s_and_saveexec_b64 s[0:1], s[4:5]
	s_cbranch_execz .LBB2441_145
; %bb.144:
	v_bcnt_u32_b32 v0, v2, 0
	v_bcnt_u32_b32 v0, v3, v0
	s_waitcnt lgkmcnt(0)
	v_add_u32_e32 v0, v27, v0
	ds_write_b32 v33, v0 offset:64
.LBB2441_145:
	s_or_b64 exec, exec, s[0:1]
	s_waitcnt vmcnt(2)
	v_xor_b32_e32 v22, 0x80000000, v22
	v_lshrrev_b32_e32 v0, s52, v22
	v_and_b32_e32 v32, s13, v0
	v_mul_lo_u32 v0, v32, s2
	v_lshl_add_u32 v36, v26, 2, v0
	v_and_b32_e32 v0, 1, v32
	v_lshl_add_u64 v[2:3], v[0:1], 0, -1
	v_cmp_ne_u32_e32 vcc, 0, v0
	; wave barrier
	s_nop 1
	v_xor_b32_e32 v2, vcc_lo, v2
	v_xor_b32_e32 v0, vcc_hi, v3
	v_and_b32_e32 v34, exec_lo, v2
	v_lshlrev_b32_e32 v3, 30, v32
	v_mov_b32_e32 v2, v1
	v_cmp_gt_i64_e32 vcc, 0, v[2:3]
	v_not_b32_e32 v2, v3
	v_ashrrev_i32_e32 v2, 31, v2
	v_and_b32_e32 v0, exec_hi, v0
	v_xor_b32_e32 v3, vcc_hi, v2
	v_xor_b32_e32 v2, vcc_lo, v2
	v_and_b32_e32 v0, v0, v3
	v_and_b32_e32 v34, v34, v2
	v_lshlrev_b32_e32 v3, 29, v32
	v_mov_b32_e32 v2, v1
	v_cmp_gt_i64_e32 vcc, 0, v[2:3]
	v_not_b32_e32 v2, v3
	v_ashrrev_i32_e32 v2, 31, v2
	v_xor_b32_e32 v3, vcc_hi, v2
	v_xor_b32_e32 v2, vcc_lo, v2
	v_and_b32_e32 v0, v0, v3
	v_and_b32_e32 v34, v34, v2
	v_lshlrev_b32_e32 v3, 28, v32
	v_mov_b32_e32 v2, v1
	v_cmp_gt_i64_e32 vcc, 0, v[2:3]
	v_not_b32_e32 v2, v3
	v_ashrrev_i32_e32 v2, 31, v2
	;; [unrolled: 9-line block ×5, first 2 shown]
	v_xor_b32_e32 v3, vcc_hi, v2
	v_xor_b32_e32 v2, vcc_lo, v2
	v_and_b32_e32 v0, v0, v3
	v_lshlrev_b32_e32 v3, 24, v32
	v_and_b32_e32 v34, v34, v2
	v_mov_b32_e32 v2, v1
	v_not_b32_e32 v1, v3
	v_cmp_gt_i64_e32 vcc, 0, v[2:3]
	v_ashrrev_i32_e32 v1, 31, v1
	ds_read_b32 v31, v36 offset:64
	v_xor_b32_e32 v2, vcc_hi, v1
	v_xor_b32_e32 v3, vcc_lo, v1
	v_and_b32_e32 v1, v0, v2
	v_and_b32_e32 v0, v34, v3
	v_mbcnt_lo_u32_b32 v2, v0, 0
	v_mbcnt_hi_u32_b32 v34, v1, v2
	v_cmp_eq_u32_e32 vcc, 0, v34
	v_cmp_ne_u64_e64 s[0:1], 0, v[0:1]
	s_and_b64 s[2:3], s[0:1], vcc
	; wave barrier
	s_and_saveexec_b64 s[0:1], s[2:3]
	s_cbranch_execz .LBB2441_147
; %bb.146:
	v_bcnt_u32_b32 v0, v0, 0
	v_bcnt_u32_b32 v0, v1, v0
	s_waitcnt lgkmcnt(0)
	v_add_u32_e32 v0, v31, v0
	ds_write_b32 v36, v0 offset:64
.LBB2441_147:
	s_or_b64 exec, exec, s[0:1]
	s_waitcnt vmcnt(1)
	v_xor_b32_e32 v28, 0x80000000, v28
	v_lshrrev_b32_e32 v0, s52, v28
	v_and_b32_e32 v32, s13, v0
	s_movk_i32 s2, 0x44
	v_mul_lo_u32 v0, v32, s2
	v_lshl_add_u32 v38, v26, 2, v0
	v_and_b32_e32 v0, 1, v32
	v_mov_b32_e32 v1, 0
	v_lshl_add_u64 v[2:3], v[0:1], 0, -1
	v_cmp_ne_u32_e32 vcc, 0, v0
	; wave barrier
	s_nop 1
	v_xor_b32_e32 v2, vcc_lo, v2
	v_xor_b32_e32 v0, vcc_hi, v3
	v_and_b32_e32 v37, exec_lo, v2
	v_lshlrev_b32_e32 v3, 30, v32
	v_mov_b32_e32 v2, v1
	v_cmp_gt_i64_e32 vcc, 0, v[2:3]
	v_not_b32_e32 v2, v3
	v_ashrrev_i32_e32 v2, 31, v2
	v_and_b32_e32 v0, exec_hi, v0
	v_xor_b32_e32 v3, vcc_hi, v2
	v_xor_b32_e32 v2, vcc_lo, v2
	v_and_b32_e32 v0, v0, v3
	v_and_b32_e32 v37, v37, v2
	v_lshlrev_b32_e32 v3, 29, v32
	v_mov_b32_e32 v2, v1
	v_cmp_gt_i64_e32 vcc, 0, v[2:3]
	v_not_b32_e32 v2, v3
	v_ashrrev_i32_e32 v2, 31, v2
	v_xor_b32_e32 v3, vcc_hi, v2
	v_xor_b32_e32 v2, vcc_lo, v2
	v_and_b32_e32 v0, v0, v3
	v_and_b32_e32 v37, v37, v2
	v_lshlrev_b32_e32 v3, 28, v32
	v_mov_b32_e32 v2, v1
	v_cmp_gt_i64_e32 vcc, 0, v[2:3]
	v_not_b32_e32 v2, v3
	v_ashrrev_i32_e32 v2, 31, v2
	;; [unrolled: 9-line block ×6, first 2 shown]
	v_xor_b32_e32 v3, vcc_hi, v2
	v_xor_b32_e32 v2, vcc_lo, v2
	ds_read_b32 v35, v38 offset:64
	v_and_b32_e32 v2, v37, v2
	v_and_b32_e32 v3, v0, v3
	v_mbcnt_lo_u32_b32 v0, v2, 0
	v_mbcnt_hi_u32_b32 v37, v3, v0
	v_cmp_eq_u32_e32 vcc, 0, v37
	v_cmp_ne_u64_e64 s[0:1], 0, v[2:3]
	s_and_b64 s[4:5], s[0:1], vcc
	; wave barrier
	s_and_saveexec_b64 s[0:1], s[4:5]
	s_cbranch_execz .LBB2441_149
; %bb.148:
	v_bcnt_u32_b32 v0, v2, 0
	v_bcnt_u32_b32 v0, v3, v0
	s_waitcnt lgkmcnt(0)
	v_add_u32_e32 v0, v35, v0
	ds_write_b32 v38, v0 offset:64
.LBB2441_149:
	s_or_b64 exec, exec, s[0:1]
	s_waitcnt vmcnt(0)
	v_xor_b32_e32 v32, 0x80000000, v24
	v_lshrrev_b32_e32 v0, s52, v32
	v_and_b32_e32 v24, s13, v0
	v_mul_lo_u32 v0, v24, s2
	v_lshl_add_u32 v40, v26, 2, v0
	v_and_b32_e32 v0, 1, v24
	v_lshl_add_u64 v[2:3], v[0:1], 0, -1
	v_cmp_ne_u32_e32 vcc, 0, v0
	; wave barrier
	s_nop 1
	v_xor_b32_e32 v2, vcc_lo, v2
	v_xor_b32_e32 v0, vcc_hi, v3
	v_and_b32_e32 v39, exec_lo, v2
	v_lshlrev_b32_e32 v3, 30, v24
	v_mov_b32_e32 v2, v1
	v_cmp_gt_i64_e32 vcc, 0, v[2:3]
	v_not_b32_e32 v2, v3
	v_ashrrev_i32_e32 v2, 31, v2
	v_and_b32_e32 v0, exec_hi, v0
	v_xor_b32_e32 v3, vcc_hi, v2
	v_xor_b32_e32 v2, vcc_lo, v2
	v_and_b32_e32 v0, v0, v3
	v_and_b32_e32 v39, v39, v2
	v_lshlrev_b32_e32 v3, 29, v24
	v_mov_b32_e32 v2, v1
	v_cmp_gt_i64_e32 vcc, 0, v[2:3]
	v_not_b32_e32 v2, v3
	v_ashrrev_i32_e32 v2, 31, v2
	v_xor_b32_e32 v3, vcc_hi, v2
	v_xor_b32_e32 v2, vcc_lo, v2
	v_and_b32_e32 v0, v0, v3
	v_and_b32_e32 v39, v39, v2
	v_lshlrev_b32_e32 v3, 28, v24
	v_mov_b32_e32 v2, v1
	v_cmp_gt_i64_e32 vcc, 0, v[2:3]
	v_not_b32_e32 v2, v3
	v_ashrrev_i32_e32 v2, 31, v2
	;; [unrolled: 9-line block ×5, first 2 shown]
	v_xor_b32_e32 v3, vcc_hi, v2
	v_xor_b32_e32 v2, vcc_lo, v2
	v_and_b32_e32 v0, v0, v3
	v_lshlrev_b32_e32 v3, 24, v24
	v_and_b32_e32 v39, v39, v2
	v_mov_b32_e32 v2, v1
	v_not_b32_e32 v1, v3
	v_cmp_gt_i64_e32 vcc, 0, v[2:3]
	v_ashrrev_i32_e32 v1, 31, v1
	ds_read_b32 v26, v40 offset:64
	v_xor_b32_e32 v2, vcc_hi, v1
	v_xor_b32_e32 v3, vcc_lo, v1
	v_and_b32_e32 v1, v0, v2
	v_and_b32_e32 v0, v39, v3
	v_mbcnt_lo_u32_b32 v2, v0, 0
	v_mbcnt_hi_u32_b32 v39, v1, v2
	v_cmp_eq_u32_e32 vcc, 0, v39
	v_cmp_ne_u64_e64 s[0:1], 0, v[0:1]
	s_and_b64 s[2:3], s[0:1], vcc
	; wave barrier
	s_and_saveexec_b64 s[0:1], s[2:3]
	s_cbranch_execz .LBB2441_151
; %bb.150:
	v_bcnt_u32_b32 v0, v0, 0
	v_bcnt_u32_b32 v0, v1, v0
	s_waitcnt lgkmcnt(0)
	v_add_u32_e32 v0, v26, v0
	ds_write_b32 v40, v0 offset:64
.LBB2441_151:
	s_or_b64 exec, exec, s[0:1]
	; wave barrier
	s_waitcnt lgkmcnt(0)
	s_barrier
	ds_read2_b32 v[2:3], v5 offset0:16 offset1:17
	ds_read2_b32 v[0:1], v5 offset0:18 offset1:19
	ds_read_b32 v24, v5 offset:80
	v_cmp_lt_u32_e64 s[6:7], 31, v4
	s_waitcnt lgkmcnt(1)
	v_add3_u32 v41, v3, v2, v0
	s_waitcnt lgkmcnt(0)
	v_add3_u32 v24, v41, v1, v24
	v_and_b32_e32 v41, 15, v4
	v_cmp_eq_u32_e32 vcc, 0, v41
	v_mov_b32_dpp v42, v24 row_shr:1 row_mask:0xf bank_mask:0xf
	v_cmp_lt_u32_e64 s[0:1], 1, v41
	v_cndmask_b32_e64 v42, v42, 0, vcc
	v_add_u32_e32 v24, v42, v24
	v_cmp_lt_u32_e64 s[2:3], 3, v41
	v_cmp_lt_u32_e64 s[4:5], 7, v41
	v_mov_b32_dpp v42, v24 row_shr:2 row_mask:0xf bank_mask:0xf
	v_cndmask_b32_e64 v42, 0, v42, s[0:1]
	v_add_u32_e32 v24, v24, v42
	s_nop 1
	v_mov_b32_dpp v42, v24 row_shr:4 row_mask:0xf bank_mask:0xf
	v_cndmask_b32_e64 v42, 0, v42, s[2:3]
	v_add_u32_e32 v24, v24, v42
	s_nop 1
	v_mov_b32_dpp v42, v24 row_shr:8 row_mask:0xf bank_mask:0xf
	v_cndmask_b32_e64 v41, 0, v42, s[4:5]
	v_add_u32_e32 v24, v24, v41
	v_bfe_i32 v42, v4, 4, 1
	s_nop 0
	v_mov_b32_dpp v41, v24 row_bcast:15 row_mask:0xf bank_mask:0xf
	v_and_b32_e32 v41, v42, v41
	v_add_u32_e32 v24, v24, v41
	v_lshrrev_b32_e32 v42, 6, v8
	s_nop 0
	v_mov_b32_dpp v41, v24 row_bcast:31 row_mask:0xf bank_mask:0xf
	v_cndmask_b32_e64 v41, 0, v41, s[6:7]
	v_add_u32_e32 v41, v24, v41
	v_and_b32_e32 v24, 63, v8
	v_cmp_eq_u32_e64 s[6:7], 63, v24
	s_and_saveexec_b64 s[8:9], s[6:7]
; %bb.152:
	v_lshlrev_b32_e32 v24, 2, v42
	ds_write_b32 v24, v41
; %bb.153:
	s_or_b64 exec, exec, s[8:9]
	v_cmp_gt_u32_e64 s[6:7], 16, v8
	v_lshlrev_b32_e32 v24, 2, v8
	s_waitcnt lgkmcnt(0)
	s_barrier
	s_and_saveexec_b64 s[8:9], s[6:7]
	s_cbranch_execz .LBB2441_155
; %bb.154:
	ds_read_b32 v43, v24
	s_waitcnt lgkmcnt(0)
	s_nop 0
	v_mov_b32_dpp v44, v43 row_shr:1 row_mask:0xf bank_mask:0xf
	v_cndmask_b32_e64 v44, v44, 0, vcc
	v_add_u32_e32 v43, v44, v43
	s_nop 1
	v_mov_b32_dpp v44, v43 row_shr:2 row_mask:0xf bank_mask:0xf
	v_cndmask_b32_e64 v44, 0, v44, s[0:1]
	v_add_u32_e32 v43, v43, v44
	s_nop 1
	v_mov_b32_dpp v44, v43 row_shr:4 row_mask:0xf bank_mask:0xf
	v_cndmask_b32_e64 v44, 0, v44, s[2:3]
	;; [unrolled: 4-line block ×3, first 2 shown]
	v_add_u32_e32 v43, v43, v44
	ds_write_b32 v24, v43
.LBB2441_155:
	s_or_b64 exec, exec, s[8:9]
	v_cmp_lt_u32_e32 vcc, 63, v8
	v_mov_b32_e32 v43, 0
	s_waitcnt lgkmcnt(0)
	s_barrier
	s_and_saveexec_b64 s[0:1], vcc
; %bb.156:
	v_lshl_add_u32 v42, v42, 2, -4
	ds_read_b32 v43, v42
; %bb.157:
	s_or_b64 exec, exec, s[0:1]
	v_subrev_co_u32_e32 v42, vcc, 1, v4
	v_and_b32_e32 v44, 64, v4
	v_cmp_lt_i32_e64 s[0:1], v42, v44
	s_waitcnt lgkmcnt(0)
	v_add_u32_e32 v41, v43, v41
	s_movk_i32 s2, 0x100
	v_cndmask_b32_e64 v4, v42, v4, s[0:1]
	v_lshlrev_b32_e32 v4, 2, v4
	ds_bpermute_b32 v4, v4, v41
	s_movk_i32 s0, 0xff
	v_cmp_lt_u32_e64 s[0:1], s0, v8
	s_waitcnt lgkmcnt(0)
	v_cndmask_b32_e32 v4, v4, v43, vcc
	v_cndmask_b32_e64 v4, v4, 0, s[20:21]
	v_add_u32_e32 v2, v4, v2
	v_add_u32_e32 v3, v2, v3
	;; [unrolled: 1-line block ×4, first 2 shown]
	ds_write2_b32 v5, v4, v2 offset0:16 offset1:17
	ds_write2_b32 v5, v3, v0 offset0:18 offset1:19
	ds_write_b32 v5, v1 offset:80
	s_waitcnt lgkmcnt(0)
	s_barrier
	ds_read_b32 v47, v16 offset:64
	ds_read_b32 v41, v19 offset:64
	;; [unrolled: 1-line block ×8, first 2 shown]
	v_cmp_gt_u32_e32 vcc, s2, v8
                                        ; implicit-def: $vgpr16
                                        ; implicit-def: $vgpr19
	s_and_saveexec_b64 s[4:5], vcc
	s_cbranch_execz .LBB2441_161
; %bb.158:
	v_mul_u32_u24_e32 v0, 0x44, v8
	ds_read_b32 v16, v0 offset:64
	v_add_u32_e32 v1, 1, v8
	v_cmp_ne_u32_e64 s[2:3], s2, v1
	v_mov_b32_e32 v0, 0x2000
	s_and_saveexec_b64 s[6:7], s[2:3]
; %bb.159:
	v_mul_u32_u24_e32 v0, 0x44, v1
	ds_read_b32 v0, v0 offset:64
; %bb.160:
	s_or_b64 exec, exec, s[6:7]
	s_waitcnt lgkmcnt(0)
	v_sub_u32_e32 v19, v0, v16
.LBB2441_161:
	s_or_b64 exec, exec, s[4:5]
	v_mov_b32_e32 v1, 0
	s_waitcnt lgkmcnt(0)
	s_barrier
	s_and_saveexec_b64 s[2:3], vcc
	s_cbranch_execz .LBB2441_171
; %bb.162:
	v_lshl_add_u32 v0, s33, 8, v8
	v_lshl_add_u64 v[2:3], v[0:1], 2, s[38:39]
	v_or_b32_e32 v0, 2.0, v19
	s_mov_b64 s[4:5], 0
	s_brev_b32 s14, -4
	s_mov_b32 s15, s33
	v_mov_b32_e32 v23, 0
	global_store_dword v[2:3], v0, off sc1
                                        ; implicit-def: $sgpr6_sgpr7
	s_branch .LBB2441_165
.LBB2441_163:                           ;   in Loop: Header=BB2441_165 Depth=1
	s_or_b64 exec, exec, s[8:9]
.LBB2441_164:                           ;   in Loop: Header=BB2441_165 Depth=1
	s_or_b64 exec, exec, s[6:7]
	v_and_b32_e32 v4, 0x3fffffff, v0
	v_add_u32_e32 v23, v4, v23
	v_cmp_gt_i32_e64 s[6:7], -2.0, v0
	s_and_b64 s[8:9], exec, s[6:7]
	s_or_b64 s[4:5], s[8:9], s[4:5]
	s_andn2_b64 exec, exec, s[4:5]
	s_cbranch_execz .LBB2441_170
.LBB2441_165:                           ; =>This Loop Header: Depth=1
                                        ;     Child Loop BB2441_168 Depth 2
	s_or_b64 s[6:7], s[6:7], exec
	s_cmp_eq_u32 s15, 0
	s_cbranch_scc1 .LBB2441_169
; %bb.166:                              ;   in Loop: Header=BB2441_165 Depth=1
	s_add_i32 s15, s15, -1
	v_lshl_or_b32 v0, s15, 8, v8
	v_lshl_add_u64 v[4:5], v[0:1], 2, s[38:39]
	global_load_dword v0, v[4:5], off sc1
	s_waitcnt vmcnt(0)
	v_cmp_gt_u32_e32 vcc, 2.0, v0
	s_and_saveexec_b64 s[6:7], vcc
	s_cbranch_execz .LBB2441_164
; %bb.167:                              ;   in Loop: Header=BB2441_165 Depth=1
	s_mov_b64 s[8:9], 0
.LBB2441_168:                           ;   Parent Loop BB2441_165 Depth=1
                                        ; =>  This Inner Loop Header: Depth=2
	global_load_dword v0, v[4:5], off sc1
	s_waitcnt vmcnt(0)
	v_cmp_lt_u32_e32 vcc, s14, v0
	s_or_b64 s[8:9], vcc, s[8:9]
	s_andn2_b64 exec, exec, s[8:9]
	s_cbranch_execnz .LBB2441_168
	s_branch .LBB2441_163
.LBB2441_169:                           ;   in Loop: Header=BB2441_165 Depth=1
                                        ; implicit-def: $sgpr15
	s_and_b64 s[8:9], exec, s[6:7]
	s_or_b64 s[4:5], s[8:9], s[4:5]
	s_andn2_b64 exec, exec, s[4:5]
	s_cbranch_execnz .LBB2441_165
.LBB2441_170:
	s_or_b64 exec, exec, s[4:5]
	v_add_u32_e32 v0, v23, v19
	v_or_b32_e32 v0, 0x80000000, v0
	global_store_dword v[2:3], v0, off sc1
	global_load_dword v0, v24, s[48:49]
	v_sub_u32_e32 v1, v23, v16
	s_waitcnt vmcnt(0)
	v_add_u32_e32 v0, v1, v0
	ds_write_b32 v24, v0
.LBB2441_171:
	s_or_b64 exec, exec, s[2:3]
	v_add_u32_e32 v33, v47, v13
	v_add3_u32 v29, v15, v12, v41
	v_add3_u32 v23, v20, v17, v42
	;; [unrolled: 1-line block ×7, first 2 shown]
	s_mov_b32 s6, 16
	s_mov_b32 s7, s52
	;; [unrolled: 1-line block ×3, first 2 shown]
	v_lshlrev_b32_e32 v36, 2, v2
	v_add3_u32 v26, v39, v38, v26
	v_lshlrev_b32_e32 v38, 2, v3
	v_add3_u32 v35, v37, v46, v35
	;; [unrolled: 2-line block ×7, first 2 shown]
	v_lshlrev_b32_e32 v15, 2, v33
	s_mov_b32 s19, 0
	s_mov_b64 s[2:3], -1
	s_mov_b32 s9, 0
	s_movk_i32 s14, 0x1000
	v_mov_b32_e32 v1, 0
	s_movk_i32 s15, 0x400
	s_movk_i32 s16, 0x800
	;; [unrolled: 1-line block ×3, first 2 shown]
	s_mov_b32 s18, 0
	v_mov_b32_e32 v39, v8
	s_branch .LBB2441_173
.LBB2441_172:                           ;   in Loop: Header=BB2441_173 Depth=1
	s_or_b64 exec, exec, s[4:5]
	s_waitcnt lgkmcnt(0)
	s_barrier
	ds_read2st64_b32 v[40:41], v24 offset0:4 offset1:20
	ds_read2st64_b32 v[44:45], v24 offset0:36 offset1:52
	s_xor_b64 s[4:5], s[2:3], -1
	s_addk_i32 s18, 0xc000
	s_addk_i32 s9, 0xf000
	s_waitcnt lgkmcnt(1)
	v_xor_b32_e32 v48, 0x80000000, v40
	v_lshrrev_b32_e32 v40, s52, v40
	v_lshrrev_b32_e32 v0, s7, v41
	v_and_b32_e32 v40, s13, v40
	v_xor_b32_e32 v49, 0x80000000, v41
	v_and_b32_e32 v41, s8, v0
	v_lshlrev_b32_e32 v0, 2, v40
	ds_read_b32 v0, v0
	s_waitcnt lgkmcnt(1)
	v_lshrrev_b32_e32 v42, s7, v45
	v_lshrrev_b32_e32 v47, s52, v44
	v_and_b32_e32 v43, s8, v42
	v_lshlrev_b32_e32 v46, 2, v41
	v_and_b32_e32 v42, s13, v47
	v_lshlrev_b32_e32 v50, 2, v43
	v_lshlrev_b32_e32 v47, 2, v42
	ds_read_b32 v51, v46
	ds_read_b32 v52, v47
	;; [unrolled: 1-line block ×3, first 2 shown]
	s_waitcnt lgkmcnt(3)
	v_add_u32_e32 v0, v39, v0
	v_lshl_add_u64 v[46:47], v[0:1], 2, s[42:43]
	s_waitcnt lgkmcnt(2)
	v_add3_u32 v0, v39, v51, s15
	global_store_dword v[46:47], v48, off
	v_lshl_add_u64 v[46:47], v[0:1], 2, s[42:43]
	s_waitcnt lgkmcnt(1)
	v_add3_u32 v0, v39, v52, s16
	global_store_dword v[46:47], v49, off
	v_xor_b32_e32 v46, 0x80000000, v44
	v_xor_b32_e32 v47, 0x80000000, v45
	v_lshl_add_u64 v[44:45], v[0:1], 2, s[42:43]
	s_waitcnt lgkmcnt(0)
	v_add3_u32 v0, v39, v50, s17
	global_store_dword v[44:45], v46, off
	v_lshl_add_u64 v[44:45], v[0:1], 2, s[42:43]
	global_store_dword v[44:45], v47, off
	scratch_store_dwordx4 off, v[40:43], s19
	v_add_u32_e32 v39, 0x1000, v39
	s_mov_b64 s[2:3], 0
	s_and_b64 vcc, exec, s[4:5]
	s_mov_b32 s19, s6
	s_barrier
	s_cbranch_vccnz .LBB2441_189
.LBB2441_173:                           ; =>This Inner Loop Header: Depth=1
	v_add_u32_e32 v0, s9, v33
	v_cmp_gt_u32_e32 vcc, s14, v0
	s_and_saveexec_b64 s[4:5], vcc
; %bb.174:                              ;   in Loop: Header=BB2441_173 Depth=1
	v_add_u32_e32 v0, s18, v15
	ds_write_b32 v0, v9 offset:1024
; %bb.175:                              ;   in Loop: Header=BB2441_173 Depth=1
	s_or_b64 exec, exec, s[4:5]
	v_add_u32_e32 v0, s9, v12
	v_cmp_gt_u32_e32 vcc, s14, v0
	s_and_saveexec_b64 s[4:5], vcc
; %bb.176:                              ;   in Loop: Header=BB2441_173 Depth=1
	v_add_u32_e32 v0, s18, v20
	ds_write_b32 v0, v10 offset:1024
; %bb.177:                              ;   in Loop: Header=BB2441_173 Depth=1
	s_or_b64 exec, exec, s[4:5]
	;; [unrolled: 8-line block ×7, first 2 shown]
	v_add_u32_e32 v0, s9, v26
	v_cmp_gt_u32_e32 vcc, s14, v0
	s_and_saveexec_b64 s[4:5], vcc
	s_cbranch_execz .LBB2441_172
; %bb.188:                              ;   in Loop: Header=BB2441_173 Depth=1
	v_add_u32_e32 v0, s18, v36
	ds_write_b32 v0, v32 offset:1024
	s_branch .LBB2441_172
.LBB2441_189:
	s_lshl_b64 s[2:3], s[10:11], 1
	s_add_u32 s2, s44, s2
	s_addc_u32 s3, s45, s3
	v_lshlrev_b32_e32 v0, 1, v7
	v_mov_b32_e32 v1, 0
	v_lshl_add_u64 v[10:11], s[2:3], 0, v[0:1]
	v_lshlrev_b32_e32 v0, 1, v6
	v_lshl_add_u64 v[0:1], v[10:11], 0, v[0:1]
	global_load_ushort v14, v[0:1], off offset:128
	global_load_ushort v12, v[0:1], off offset:256
	;; [unrolled: 1-line block ×7, first 2 shown]
	s_movk_i32 s4, 0x2000
	v_cmp_gt_u32_e32 vcc, s4, v33
	s_and_saveexec_b64 s[2:3], vcc
	s_cbranch_execz .LBB2441_197
; %bb.190:
	global_load_ushort v0, v[0:1], off
	v_lshlrev_b32_e32 v1, 1, v33
	s_waitcnt vmcnt(0)
	ds_write_b16 v1, v0 offset:1024
	s_or_b64 exec, exec, s[2:3]
	v_cmp_gt_u32_e32 vcc, s4, v29
	s_and_saveexec_b64 s[2:3], vcc
	s_cbranch_execnz .LBB2441_198
.LBB2441_191:
	s_or_b64 exec, exec, s[2:3]
	v_cmp_gt_u32_e32 vcc, s4, v23
	s_and_saveexec_b64 s[2:3], vcc
	s_cbranch_execz .LBB2441_199
.LBB2441_192:
	v_lshlrev_b32_e32 v0, 1, v23
	s_waitcnt vmcnt(5)
	ds_write_b16 v0, v12 offset:1024
	s_or_b64 exec, exec, s[2:3]
	v_cmp_gt_u32_e32 vcc, s4, v13
	s_and_saveexec_b64 s[2:3], vcc
	s_cbranch_execnz .LBB2441_200
.LBB2441_193:
	s_or_b64 exec, exec, s[2:3]
	v_cmp_gt_u32_e32 vcc, s4, v5
	s_and_saveexec_b64 s[2:3], vcc
	s_cbranch_execz .LBB2441_201
.LBB2441_194:
	v_lshlrev_b32_e32 v0, 1, v5
	s_waitcnt vmcnt(3)
	ds_write_b16 v0, v10 offset:1024
	s_or_b64 exec, exec, s[2:3]
	v_cmp_gt_u32_e32 vcc, s4, v4
	s_and_saveexec_b64 s[2:3], vcc
	s_cbranch_execnz .LBB2441_202
.LBB2441_195:
	s_or_b64 exec, exec, s[2:3]
	v_cmp_gt_u32_e32 vcc, s4, v3
	s_and_saveexec_b64 s[2:3], vcc
	s_cbranch_execz .LBB2441_203
.LBB2441_196:
	v_lshlrev_b32_e32 v0, 1, v3
	s_waitcnt vmcnt(1)
	ds_write_b16 v0, v7 offset:1024
	s_or_b64 exec, exec, s[2:3]
	v_cmp_gt_u32_e32 vcc, s4, v2
	s_and_saveexec_b64 s[2:3], vcc
	s_cbranch_execnz .LBB2441_204
	s_branch .LBB2441_205
.LBB2441_197:
	s_or_b64 exec, exec, s[2:3]
	v_cmp_gt_u32_e32 vcc, s4, v29
	s_and_saveexec_b64 s[2:3], vcc
	s_cbranch_execz .LBB2441_191
.LBB2441_198:
	v_lshlrev_b32_e32 v0, 1, v29
	s_waitcnt vmcnt(6)
	ds_write_b16 v0, v14 offset:1024
	s_or_b64 exec, exec, s[2:3]
	v_cmp_gt_u32_e32 vcc, s4, v23
	s_and_saveexec_b64 s[2:3], vcc
	s_cbranch_execnz .LBB2441_192
.LBB2441_199:
	s_or_b64 exec, exec, s[2:3]
	v_cmp_gt_u32_e32 vcc, s4, v13
	s_and_saveexec_b64 s[2:3], vcc
	s_cbranch_execz .LBB2441_193
.LBB2441_200:
	v_lshlrev_b32_e32 v0, 1, v13
	s_waitcnt vmcnt(4)
	ds_write_b16 v0, v11 offset:1024
	s_or_b64 exec, exec, s[2:3]
	v_cmp_gt_u32_e32 vcc, s4, v5
	s_and_saveexec_b64 s[2:3], vcc
	s_cbranch_execnz .LBB2441_194
.LBB2441_201:
	s_or_b64 exec, exec, s[2:3]
	v_cmp_gt_u32_e32 vcc, s4, v4
	s_and_saveexec_b64 s[2:3], vcc
	s_cbranch_execz .LBB2441_195
.LBB2441_202:
	v_lshlrev_b32_e32 v0, 1, v4
	s_waitcnt vmcnt(2)
	ds_write_b16 v0, v9 offset:1024
	s_or_b64 exec, exec, s[2:3]
	v_cmp_gt_u32_e32 vcc, s4, v3
	s_and_saveexec_b64 s[2:3], vcc
	s_cbranch_execnz .LBB2441_196
.LBB2441_203:
	s_or_b64 exec, exec, s[2:3]
	v_cmp_gt_u32_e32 vcc, s4, v2
	s_and_saveexec_b64 s[2:3], vcc
	s_cbranch_execz .LBB2441_205
.LBB2441_204:
	v_lshlrev_b32_e32 v0, 1, v2
	s_waitcnt vmcnt(0)
	ds_write_b16 v0, v6 offset:1024
.LBB2441_205:
	s_or_b64 exec, exec, s[2:3]
	s_waitcnt lgkmcnt(0)
	s_barrier
	scratch_load_dwordx4 v[0:3], off, off
	scratch_load_dwordx4 v[4:7], off, off offset:16
	s_waitcnt vmcnt(4)
	v_lshlrev_b32_e32 v9, 1, v8
	v_mov_b32_e32 v11, 0
	s_movk_i32 s4, 0x400
	ds_read_u16 v12, v9 offset:1024
	ds_read_u16 v13, v9 offset:3072
	ds_read_u16 v14, v9 offset:5120
	ds_read_u16 v15, v9 offset:7168
	ds_read_u16 v17, v9 offset:9216
	ds_read_u16 v18, v9 offset:11264
	ds_read_u16 v20, v9 offset:13312
	ds_read_u16 v9, v9 offset:15360
	s_movk_i32 s5, 0x800
	s_movk_i32 s6, 0xc00
	;; [unrolled: 1-line block ×5, first 2 shown]
	s_add_i32 s12, s12, -1
	s_movk_i32 s10, 0x1c00
	s_cmp_eq_u32 s33, s12
	s_cselect_b64 s[2:3], -1, 0
	s_xor_b64 s[0:1], s[0:1], -1
	s_and_b64 s[0:1], s[0:1], s[2:3]
	s_waitcnt vmcnt(1)
	v_lshlrev_b32_e32 v0, 2, v0
	v_lshlrev_b32_e32 v2, 2, v2
	;; [unrolled: 1-line block ×3, first 2 shown]
	s_waitcnt vmcnt(0)
	v_lshlrev_b32_e32 v4, 2, v4
	v_lshlrev_b32_e32 v5, 2, v5
	;; [unrolled: 1-line block ×5, first 2 shown]
	ds_read_b32 v0, v0
	ds_read_b32 v21, v1
	;; [unrolled: 1-line block ×8, first 2 shown]
	s_waitcnt lgkmcnt(7)
	v_add_u32_e32 v10, v0, v8
	v_lshl_add_u64 v[0:1], v[10:11], 1, s[46:47]
	s_waitcnt lgkmcnt(6)
	v_add3_u32 v10, v21, v8, s4
	global_store_short v[0:1], v12, off
	v_lshl_add_u64 v[0:1], v[10:11], 1, s[46:47]
	s_waitcnt lgkmcnt(5)
	v_add3_u32 v10, v2, v8, s5
	global_store_short v[0:1], v13, off
	;; [unrolled: 4-line block ×7, first 2 shown]
	v_lshl_add_u64 v[0:1], v[10:11], 1, s[46:47]
	global_store_short v[0:1], v9, off
	s_and_saveexec_b64 s[2:3], s[0:1]
	s_cbranch_execz .LBB2441_207
; %bb.206:
	ds_read_b32 v0, v24
	s_waitcnt lgkmcnt(0)
	v_add3_u32 v0, v16, v19, v0
	global_store_dword v24, v0, s[50:51]
.LBB2441_207:
	s_endpgm
	.section	.rodata,"a",@progbits
	.p2align	6, 0x0
	.amdhsa_kernel _ZN7rocprim17ROCPRIM_400000_NS6detail17trampoline_kernelINS0_14default_configENS1_35radix_sort_onesweep_config_selectorIisEEZZNS1_29radix_sort_onesweep_iterationIS3_Lb0EN6thrust23THRUST_200600_302600_NS10device_ptrIiEESA_NS9_IsEESB_jNS0_19identity_decomposerENS1_16block_id_wrapperIjLb1EEEEE10hipError_tT1_PNSt15iterator_traitsISG_E10value_typeET2_T3_PNSH_ISM_E10value_typeET4_T5_PSR_SS_PNS1_23onesweep_lookback_stateEbbT6_jjT7_P12ihipStream_tbENKUlT_T0_SG_SL_E_clISA_SA_SB_SB_EEDaSZ_S10_SG_SL_EUlSZ_E_NS1_11comp_targetILNS1_3genE6ELNS1_11target_archE950ELNS1_3gpuE13ELNS1_3repE0EEENS1_47radix_sort_onesweep_sort_config_static_selectorELNS0_4arch9wavefront6targetE1EEEvSG_
		.amdhsa_group_segment_fixed_size 53328
		.amdhsa_private_segment_fixed_size 48
		.amdhsa_kernarg_size 344
		.amdhsa_user_sgpr_count 4
		.amdhsa_user_sgpr_dispatch_ptr 1
		.amdhsa_user_sgpr_queue_ptr 0
		.amdhsa_user_sgpr_kernarg_segment_ptr 1
		.amdhsa_user_sgpr_dispatch_id 0
		.amdhsa_user_sgpr_kernarg_preload_length 0
		.amdhsa_user_sgpr_kernarg_preload_offset 0
		.amdhsa_user_sgpr_private_segment_size 0
		.amdhsa_uses_dynamic_stack 0
		.amdhsa_enable_private_segment 1
		.amdhsa_system_sgpr_workgroup_id_x 1
		.amdhsa_system_sgpr_workgroup_id_y 0
		.amdhsa_system_sgpr_workgroup_id_z 0
		.amdhsa_system_sgpr_workgroup_info 0
		.amdhsa_system_vgpr_workitem_id 2
		.amdhsa_next_free_vgpr 53
		.amdhsa_next_free_sgpr 59
		.amdhsa_accum_offset 56
		.amdhsa_reserve_vcc 1
		.amdhsa_float_round_mode_32 0
		.amdhsa_float_round_mode_16_64 0
		.amdhsa_float_denorm_mode_32 3
		.amdhsa_float_denorm_mode_16_64 3
		.amdhsa_dx10_clamp 1
		.amdhsa_ieee_mode 1
		.amdhsa_fp16_overflow 0
		.amdhsa_tg_split 0
		.amdhsa_exception_fp_ieee_invalid_op 0
		.amdhsa_exception_fp_denorm_src 0
		.amdhsa_exception_fp_ieee_div_zero 0
		.amdhsa_exception_fp_ieee_overflow 0
		.amdhsa_exception_fp_ieee_underflow 0
		.amdhsa_exception_fp_ieee_inexact 0
		.amdhsa_exception_int_div_zero 0
	.end_amdhsa_kernel
	.section	.text._ZN7rocprim17ROCPRIM_400000_NS6detail17trampoline_kernelINS0_14default_configENS1_35radix_sort_onesweep_config_selectorIisEEZZNS1_29radix_sort_onesweep_iterationIS3_Lb0EN6thrust23THRUST_200600_302600_NS10device_ptrIiEESA_NS9_IsEESB_jNS0_19identity_decomposerENS1_16block_id_wrapperIjLb1EEEEE10hipError_tT1_PNSt15iterator_traitsISG_E10value_typeET2_T3_PNSH_ISM_E10value_typeET4_T5_PSR_SS_PNS1_23onesweep_lookback_stateEbbT6_jjT7_P12ihipStream_tbENKUlT_T0_SG_SL_E_clISA_SA_SB_SB_EEDaSZ_S10_SG_SL_EUlSZ_E_NS1_11comp_targetILNS1_3genE6ELNS1_11target_archE950ELNS1_3gpuE13ELNS1_3repE0EEENS1_47radix_sort_onesweep_sort_config_static_selectorELNS0_4arch9wavefront6targetE1EEEvSG_,"axG",@progbits,_ZN7rocprim17ROCPRIM_400000_NS6detail17trampoline_kernelINS0_14default_configENS1_35radix_sort_onesweep_config_selectorIisEEZZNS1_29radix_sort_onesweep_iterationIS3_Lb0EN6thrust23THRUST_200600_302600_NS10device_ptrIiEESA_NS9_IsEESB_jNS0_19identity_decomposerENS1_16block_id_wrapperIjLb1EEEEE10hipError_tT1_PNSt15iterator_traitsISG_E10value_typeET2_T3_PNSH_ISM_E10value_typeET4_T5_PSR_SS_PNS1_23onesweep_lookback_stateEbbT6_jjT7_P12ihipStream_tbENKUlT_T0_SG_SL_E_clISA_SA_SB_SB_EEDaSZ_S10_SG_SL_EUlSZ_E_NS1_11comp_targetILNS1_3genE6ELNS1_11target_archE950ELNS1_3gpuE13ELNS1_3repE0EEENS1_47radix_sort_onesweep_sort_config_static_selectorELNS0_4arch9wavefront6targetE1EEEvSG_,comdat
.Lfunc_end2441:
	.size	_ZN7rocprim17ROCPRIM_400000_NS6detail17trampoline_kernelINS0_14default_configENS1_35radix_sort_onesweep_config_selectorIisEEZZNS1_29radix_sort_onesweep_iterationIS3_Lb0EN6thrust23THRUST_200600_302600_NS10device_ptrIiEESA_NS9_IsEESB_jNS0_19identity_decomposerENS1_16block_id_wrapperIjLb1EEEEE10hipError_tT1_PNSt15iterator_traitsISG_E10value_typeET2_T3_PNSH_ISM_E10value_typeET4_T5_PSR_SS_PNS1_23onesweep_lookback_stateEbbT6_jjT7_P12ihipStream_tbENKUlT_T0_SG_SL_E_clISA_SA_SB_SB_EEDaSZ_S10_SG_SL_EUlSZ_E_NS1_11comp_targetILNS1_3genE6ELNS1_11target_archE950ELNS1_3gpuE13ELNS1_3repE0EEENS1_47radix_sort_onesweep_sort_config_static_selectorELNS0_4arch9wavefront6targetE1EEEvSG_, .Lfunc_end2441-_ZN7rocprim17ROCPRIM_400000_NS6detail17trampoline_kernelINS0_14default_configENS1_35radix_sort_onesweep_config_selectorIisEEZZNS1_29radix_sort_onesweep_iterationIS3_Lb0EN6thrust23THRUST_200600_302600_NS10device_ptrIiEESA_NS9_IsEESB_jNS0_19identity_decomposerENS1_16block_id_wrapperIjLb1EEEEE10hipError_tT1_PNSt15iterator_traitsISG_E10value_typeET2_T3_PNSH_ISM_E10value_typeET4_T5_PSR_SS_PNS1_23onesweep_lookback_stateEbbT6_jjT7_P12ihipStream_tbENKUlT_T0_SG_SL_E_clISA_SA_SB_SB_EEDaSZ_S10_SG_SL_EUlSZ_E_NS1_11comp_targetILNS1_3genE6ELNS1_11target_archE950ELNS1_3gpuE13ELNS1_3repE0EEENS1_47radix_sort_onesweep_sort_config_static_selectorELNS0_4arch9wavefront6targetE1EEEvSG_
                                        ; -- End function
	.set _ZN7rocprim17ROCPRIM_400000_NS6detail17trampoline_kernelINS0_14default_configENS1_35radix_sort_onesweep_config_selectorIisEEZZNS1_29radix_sort_onesweep_iterationIS3_Lb0EN6thrust23THRUST_200600_302600_NS10device_ptrIiEESA_NS9_IsEESB_jNS0_19identity_decomposerENS1_16block_id_wrapperIjLb1EEEEE10hipError_tT1_PNSt15iterator_traitsISG_E10value_typeET2_T3_PNSH_ISM_E10value_typeET4_T5_PSR_SS_PNS1_23onesweep_lookback_stateEbbT6_jjT7_P12ihipStream_tbENKUlT_T0_SG_SL_E_clISA_SA_SB_SB_EEDaSZ_S10_SG_SL_EUlSZ_E_NS1_11comp_targetILNS1_3genE6ELNS1_11target_archE950ELNS1_3gpuE13ELNS1_3repE0EEENS1_47radix_sort_onesweep_sort_config_static_selectorELNS0_4arch9wavefront6targetE1EEEvSG_.num_vgpr, 53
	.set _ZN7rocprim17ROCPRIM_400000_NS6detail17trampoline_kernelINS0_14default_configENS1_35radix_sort_onesweep_config_selectorIisEEZZNS1_29radix_sort_onesweep_iterationIS3_Lb0EN6thrust23THRUST_200600_302600_NS10device_ptrIiEESA_NS9_IsEESB_jNS0_19identity_decomposerENS1_16block_id_wrapperIjLb1EEEEE10hipError_tT1_PNSt15iterator_traitsISG_E10value_typeET2_T3_PNSH_ISM_E10value_typeET4_T5_PSR_SS_PNS1_23onesweep_lookback_stateEbbT6_jjT7_P12ihipStream_tbENKUlT_T0_SG_SL_E_clISA_SA_SB_SB_EEDaSZ_S10_SG_SL_EUlSZ_E_NS1_11comp_targetILNS1_3genE6ELNS1_11target_archE950ELNS1_3gpuE13ELNS1_3repE0EEENS1_47radix_sort_onesweep_sort_config_static_selectorELNS0_4arch9wavefront6targetE1EEEvSG_.num_agpr, 0
	.set _ZN7rocprim17ROCPRIM_400000_NS6detail17trampoline_kernelINS0_14default_configENS1_35radix_sort_onesweep_config_selectorIisEEZZNS1_29radix_sort_onesweep_iterationIS3_Lb0EN6thrust23THRUST_200600_302600_NS10device_ptrIiEESA_NS9_IsEESB_jNS0_19identity_decomposerENS1_16block_id_wrapperIjLb1EEEEE10hipError_tT1_PNSt15iterator_traitsISG_E10value_typeET2_T3_PNSH_ISM_E10value_typeET4_T5_PSR_SS_PNS1_23onesweep_lookback_stateEbbT6_jjT7_P12ihipStream_tbENKUlT_T0_SG_SL_E_clISA_SA_SB_SB_EEDaSZ_S10_SG_SL_EUlSZ_E_NS1_11comp_targetILNS1_3genE6ELNS1_11target_archE950ELNS1_3gpuE13ELNS1_3repE0EEENS1_47radix_sort_onesweep_sort_config_static_selectorELNS0_4arch9wavefront6targetE1EEEvSG_.numbered_sgpr, 59
	.set _ZN7rocprim17ROCPRIM_400000_NS6detail17trampoline_kernelINS0_14default_configENS1_35radix_sort_onesweep_config_selectorIisEEZZNS1_29radix_sort_onesweep_iterationIS3_Lb0EN6thrust23THRUST_200600_302600_NS10device_ptrIiEESA_NS9_IsEESB_jNS0_19identity_decomposerENS1_16block_id_wrapperIjLb1EEEEE10hipError_tT1_PNSt15iterator_traitsISG_E10value_typeET2_T3_PNSH_ISM_E10value_typeET4_T5_PSR_SS_PNS1_23onesweep_lookback_stateEbbT6_jjT7_P12ihipStream_tbENKUlT_T0_SG_SL_E_clISA_SA_SB_SB_EEDaSZ_S10_SG_SL_EUlSZ_E_NS1_11comp_targetILNS1_3genE6ELNS1_11target_archE950ELNS1_3gpuE13ELNS1_3repE0EEENS1_47radix_sort_onesweep_sort_config_static_selectorELNS0_4arch9wavefront6targetE1EEEvSG_.num_named_barrier, 0
	.set _ZN7rocprim17ROCPRIM_400000_NS6detail17trampoline_kernelINS0_14default_configENS1_35radix_sort_onesweep_config_selectorIisEEZZNS1_29radix_sort_onesweep_iterationIS3_Lb0EN6thrust23THRUST_200600_302600_NS10device_ptrIiEESA_NS9_IsEESB_jNS0_19identity_decomposerENS1_16block_id_wrapperIjLb1EEEEE10hipError_tT1_PNSt15iterator_traitsISG_E10value_typeET2_T3_PNSH_ISM_E10value_typeET4_T5_PSR_SS_PNS1_23onesweep_lookback_stateEbbT6_jjT7_P12ihipStream_tbENKUlT_T0_SG_SL_E_clISA_SA_SB_SB_EEDaSZ_S10_SG_SL_EUlSZ_E_NS1_11comp_targetILNS1_3genE6ELNS1_11target_archE950ELNS1_3gpuE13ELNS1_3repE0EEENS1_47radix_sort_onesweep_sort_config_static_selectorELNS0_4arch9wavefront6targetE1EEEvSG_.private_seg_size, 48
	.set _ZN7rocprim17ROCPRIM_400000_NS6detail17trampoline_kernelINS0_14default_configENS1_35radix_sort_onesweep_config_selectorIisEEZZNS1_29radix_sort_onesweep_iterationIS3_Lb0EN6thrust23THRUST_200600_302600_NS10device_ptrIiEESA_NS9_IsEESB_jNS0_19identity_decomposerENS1_16block_id_wrapperIjLb1EEEEE10hipError_tT1_PNSt15iterator_traitsISG_E10value_typeET2_T3_PNSH_ISM_E10value_typeET4_T5_PSR_SS_PNS1_23onesweep_lookback_stateEbbT6_jjT7_P12ihipStream_tbENKUlT_T0_SG_SL_E_clISA_SA_SB_SB_EEDaSZ_S10_SG_SL_EUlSZ_E_NS1_11comp_targetILNS1_3genE6ELNS1_11target_archE950ELNS1_3gpuE13ELNS1_3repE0EEENS1_47radix_sort_onesweep_sort_config_static_selectorELNS0_4arch9wavefront6targetE1EEEvSG_.uses_vcc, 1
	.set _ZN7rocprim17ROCPRIM_400000_NS6detail17trampoline_kernelINS0_14default_configENS1_35radix_sort_onesweep_config_selectorIisEEZZNS1_29radix_sort_onesweep_iterationIS3_Lb0EN6thrust23THRUST_200600_302600_NS10device_ptrIiEESA_NS9_IsEESB_jNS0_19identity_decomposerENS1_16block_id_wrapperIjLb1EEEEE10hipError_tT1_PNSt15iterator_traitsISG_E10value_typeET2_T3_PNSH_ISM_E10value_typeET4_T5_PSR_SS_PNS1_23onesweep_lookback_stateEbbT6_jjT7_P12ihipStream_tbENKUlT_T0_SG_SL_E_clISA_SA_SB_SB_EEDaSZ_S10_SG_SL_EUlSZ_E_NS1_11comp_targetILNS1_3genE6ELNS1_11target_archE950ELNS1_3gpuE13ELNS1_3repE0EEENS1_47radix_sort_onesweep_sort_config_static_selectorELNS0_4arch9wavefront6targetE1EEEvSG_.uses_flat_scratch, 0
	.set _ZN7rocprim17ROCPRIM_400000_NS6detail17trampoline_kernelINS0_14default_configENS1_35radix_sort_onesweep_config_selectorIisEEZZNS1_29radix_sort_onesweep_iterationIS3_Lb0EN6thrust23THRUST_200600_302600_NS10device_ptrIiEESA_NS9_IsEESB_jNS0_19identity_decomposerENS1_16block_id_wrapperIjLb1EEEEE10hipError_tT1_PNSt15iterator_traitsISG_E10value_typeET2_T3_PNSH_ISM_E10value_typeET4_T5_PSR_SS_PNS1_23onesweep_lookback_stateEbbT6_jjT7_P12ihipStream_tbENKUlT_T0_SG_SL_E_clISA_SA_SB_SB_EEDaSZ_S10_SG_SL_EUlSZ_E_NS1_11comp_targetILNS1_3genE6ELNS1_11target_archE950ELNS1_3gpuE13ELNS1_3repE0EEENS1_47radix_sort_onesweep_sort_config_static_selectorELNS0_4arch9wavefront6targetE1EEEvSG_.has_dyn_sized_stack, 0
	.set _ZN7rocprim17ROCPRIM_400000_NS6detail17trampoline_kernelINS0_14default_configENS1_35radix_sort_onesweep_config_selectorIisEEZZNS1_29radix_sort_onesweep_iterationIS3_Lb0EN6thrust23THRUST_200600_302600_NS10device_ptrIiEESA_NS9_IsEESB_jNS0_19identity_decomposerENS1_16block_id_wrapperIjLb1EEEEE10hipError_tT1_PNSt15iterator_traitsISG_E10value_typeET2_T3_PNSH_ISM_E10value_typeET4_T5_PSR_SS_PNS1_23onesweep_lookback_stateEbbT6_jjT7_P12ihipStream_tbENKUlT_T0_SG_SL_E_clISA_SA_SB_SB_EEDaSZ_S10_SG_SL_EUlSZ_E_NS1_11comp_targetILNS1_3genE6ELNS1_11target_archE950ELNS1_3gpuE13ELNS1_3repE0EEENS1_47radix_sort_onesweep_sort_config_static_selectorELNS0_4arch9wavefront6targetE1EEEvSG_.has_recursion, 0
	.set _ZN7rocprim17ROCPRIM_400000_NS6detail17trampoline_kernelINS0_14default_configENS1_35radix_sort_onesweep_config_selectorIisEEZZNS1_29radix_sort_onesweep_iterationIS3_Lb0EN6thrust23THRUST_200600_302600_NS10device_ptrIiEESA_NS9_IsEESB_jNS0_19identity_decomposerENS1_16block_id_wrapperIjLb1EEEEE10hipError_tT1_PNSt15iterator_traitsISG_E10value_typeET2_T3_PNSH_ISM_E10value_typeET4_T5_PSR_SS_PNS1_23onesweep_lookback_stateEbbT6_jjT7_P12ihipStream_tbENKUlT_T0_SG_SL_E_clISA_SA_SB_SB_EEDaSZ_S10_SG_SL_EUlSZ_E_NS1_11comp_targetILNS1_3genE6ELNS1_11target_archE950ELNS1_3gpuE13ELNS1_3repE0EEENS1_47radix_sort_onesweep_sort_config_static_selectorELNS0_4arch9wavefront6targetE1EEEvSG_.has_indirect_call, 0
	.section	.AMDGPU.csdata,"",@progbits
; Kernel info:
; codeLenInByte = 13840
; TotalNumSgprs: 65
; NumVgprs: 53
; NumAgprs: 0
; TotalNumVgprs: 53
; ScratchSize: 48
; MemoryBound: 0
; FloatMode: 240
; IeeeMode: 1
; LDSByteSize: 53328 bytes/workgroup (compile time only)
; SGPRBlocks: 8
; VGPRBlocks: 6
; NumSGPRsForWavesPerEU: 65
; NumVGPRsForWavesPerEU: 53
; AccumOffset: 56
; Occupancy: 8
; WaveLimiterHint : 1
; COMPUTE_PGM_RSRC2:SCRATCH_EN: 1
; COMPUTE_PGM_RSRC2:USER_SGPR: 4
; COMPUTE_PGM_RSRC2:TRAP_HANDLER: 0
; COMPUTE_PGM_RSRC2:TGID_X_EN: 1
; COMPUTE_PGM_RSRC2:TGID_Y_EN: 0
; COMPUTE_PGM_RSRC2:TGID_Z_EN: 0
; COMPUTE_PGM_RSRC2:TIDIG_COMP_CNT: 2
; COMPUTE_PGM_RSRC3_GFX90A:ACCUM_OFFSET: 13
; COMPUTE_PGM_RSRC3_GFX90A:TG_SPLIT: 0
	.section	.text._ZN7rocprim17ROCPRIM_400000_NS6detail17trampoline_kernelINS0_14default_configENS1_35radix_sort_onesweep_config_selectorIisEEZZNS1_29radix_sort_onesweep_iterationIS3_Lb0EN6thrust23THRUST_200600_302600_NS10device_ptrIiEESA_NS9_IsEESB_jNS0_19identity_decomposerENS1_16block_id_wrapperIjLb1EEEEE10hipError_tT1_PNSt15iterator_traitsISG_E10value_typeET2_T3_PNSH_ISM_E10value_typeET4_T5_PSR_SS_PNS1_23onesweep_lookback_stateEbbT6_jjT7_P12ihipStream_tbENKUlT_T0_SG_SL_E_clISA_SA_SB_SB_EEDaSZ_S10_SG_SL_EUlSZ_E_NS1_11comp_targetILNS1_3genE5ELNS1_11target_archE942ELNS1_3gpuE9ELNS1_3repE0EEENS1_47radix_sort_onesweep_sort_config_static_selectorELNS0_4arch9wavefront6targetE1EEEvSG_,"axG",@progbits,_ZN7rocprim17ROCPRIM_400000_NS6detail17trampoline_kernelINS0_14default_configENS1_35radix_sort_onesweep_config_selectorIisEEZZNS1_29radix_sort_onesweep_iterationIS3_Lb0EN6thrust23THRUST_200600_302600_NS10device_ptrIiEESA_NS9_IsEESB_jNS0_19identity_decomposerENS1_16block_id_wrapperIjLb1EEEEE10hipError_tT1_PNSt15iterator_traitsISG_E10value_typeET2_T3_PNSH_ISM_E10value_typeET4_T5_PSR_SS_PNS1_23onesweep_lookback_stateEbbT6_jjT7_P12ihipStream_tbENKUlT_T0_SG_SL_E_clISA_SA_SB_SB_EEDaSZ_S10_SG_SL_EUlSZ_E_NS1_11comp_targetILNS1_3genE5ELNS1_11target_archE942ELNS1_3gpuE9ELNS1_3repE0EEENS1_47radix_sort_onesweep_sort_config_static_selectorELNS0_4arch9wavefront6targetE1EEEvSG_,comdat
	.protected	_ZN7rocprim17ROCPRIM_400000_NS6detail17trampoline_kernelINS0_14default_configENS1_35radix_sort_onesweep_config_selectorIisEEZZNS1_29radix_sort_onesweep_iterationIS3_Lb0EN6thrust23THRUST_200600_302600_NS10device_ptrIiEESA_NS9_IsEESB_jNS0_19identity_decomposerENS1_16block_id_wrapperIjLb1EEEEE10hipError_tT1_PNSt15iterator_traitsISG_E10value_typeET2_T3_PNSH_ISM_E10value_typeET4_T5_PSR_SS_PNS1_23onesweep_lookback_stateEbbT6_jjT7_P12ihipStream_tbENKUlT_T0_SG_SL_E_clISA_SA_SB_SB_EEDaSZ_S10_SG_SL_EUlSZ_E_NS1_11comp_targetILNS1_3genE5ELNS1_11target_archE942ELNS1_3gpuE9ELNS1_3repE0EEENS1_47radix_sort_onesweep_sort_config_static_selectorELNS0_4arch9wavefront6targetE1EEEvSG_ ; -- Begin function _ZN7rocprim17ROCPRIM_400000_NS6detail17trampoline_kernelINS0_14default_configENS1_35radix_sort_onesweep_config_selectorIisEEZZNS1_29radix_sort_onesweep_iterationIS3_Lb0EN6thrust23THRUST_200600_302600_NS10device_ptrIiEESA_NS9_IsEESB_jNS0_19identity_decomposerENS1_16block_id_wrapperIjLb1EEEEE10hipError_tT1_PNSt15iterator_traitsISG_E10value_typeET2_T3_PNSH_ISM_E10value_typeET4_T5_PSR_SS_PNS1_23onesweep_lookback_stateEbbT6_jjT7_P12ihipStream_tbENKUlT_T0_SG_SL_E_clISA_SA_SB_SB_EEDaSZ_S10_SG_SL_EUlSZ_E_NS1_11comp_targetILNS1_3genE5ELNS1_11target_archE942ELNS1_3gpuE9ELNS1_3repE0EEENS1_47radix_sort_onesweep_sort_config_static_selectorELNS0_4arch9wavefront6targetE1EEEvSG_
	.globl	_ZN7rocprim17ROCPRIM_400000_NS6detail17trampoline_kernelINS0_14default_configENS1_35radix_sort_onesweep_config_selectorIisEEZZNS1_29radix_sort_onesweep_iterationIS3_Lb0EN6thrust23THRUST_200600_302600_NS10device_ptrIiEESA_NS9_IsEESB_jNS0_19identity_decomposerENS1_16block_id_wrapperIjLb1EEEEE10hipError_tT1_PNSt15iterator_traitsISG_E10value_typeET2_T3_PNSH_ISM_E10value_typeET4_T5_PSR_SS_PNS1_23onesweep_lookback_stateEbbT6_jjT7_P12ihipStream_tbENKUlT_T0_SG_SL_E_clISA_SA_SB_SB_EEDaSZ_S10_SG_SL_EUlSZ_E_NS1_11comp_targetILNS1_3genE5ELNS1_11target_archE942ELNS1_3gpuE9ELNS1_3repE0EEENS1_47radix_sort_onesweep_sort_config_static_selectorELNS0_4arch9wavefront6targetE1EEEvSG_
	.p2align	8
	.type	_ZN7rocprim17ROCPRIM_400000_NS6detail17trampoline_kernelINS0_14default_configENS1_35radix_sort_onesweep_config_selectorIisEEZZNS1_29radix_sort_onesweep_iterationIS3_Lb0EN6thrust23THRUST_200600_302600_NS10device_ptrIiEESA_NS9_IsEESB_jNS0_19identity_decomposerENS1_16block_id_wrapperIjLb1EEEEE10hipError_tT1_PNSt15iterator_traitsISG_E10value_typeET2_T3_PNSH_ISM_E10value_typeET4_T5_PSR_SS_PNS1_23onesweep_lookback_stateEbbT6_jjT7_P12ihipStream_tbENKUlT_T0_SG_SL_E_clISA_SA_SB_SB_EEDaSZ_S10_SG_SL_EUlSZ_E_NS1_11comp_targetILNS1_3genE5ELNS1_11target_archE942ELNS1_3gpuE9ELNS1_3repE0EEENS1_47radix_sort_onesweep_sort_config_static_selectorELNS0_4arch9wavefront6targetE1EEEvSG_,@function
_ZN7rocprim17ROCPRIM_400000_NS6detail17trampoline_kernelINS0_14default_configENS1_35radix_sort_onesweep_config_selectorIisEEZZNS1_29radix_sort_onesweep_iterationIS3_Lb0EN6thrust23THRUST_200600_302600_NS10device_ptrIiEESA_NS9_IsEESB_jNS0_19identity_decomposerENS1_16block_id_wrapperIjLb1EEEEE10hipError_tT1_PNSt15iterator_traitsISG_E10value_typeET2_T3_PNSH_ISM_E10value_typeET4_T5_PSR_SS_PNS1_23onesweep_lookback_stateEbbT6_jjT7_P12ihipStream_tbENKUlT_T0_SG_SL_E_clISA_SA_SB_SB_EEDaSZ_S10_SG_SL_EUlSZ_E_NS1_11comp_targetILNS1_3genE5ELNS1_11target_archE942ELNS1_3gpuE9ELNS1_3repE0EEENS1_47radix_sort_onesweep_sort_config_static_selectorELNS0_4arch9wavefront6targetE1EEEvSG_: ; @_ZN7rocprim17ROCPRIM_400000_NS6detail17trampoline_kernelINS0_14default_configENS1_35radix_sort_onesweep_config_selectorIisEEZZNS1_29radix_sort_onesweep_iterationIS3_Lb0EN6thrust23THRUST_200600_302600_NS10device_ptrIiEESA_NS9_IsEESB_jNS0_19identity_decomposerENS1_16block_id_wrapperIjLb1EEEEE10hipError_tT1_PNSt15iterator_traitsISG_E10value_typeET2_T3_PNSH_ISM_E10value_typeET4_T5_PSR_SS_PNS1_23onesweep_lookback_stateEbbT6_jjT7_P12ihipStream_tbENKUlT_T0_SG_SL_E_clISA_SA_SB_SB_EEDaSZ_S10_SG_SL_EUlSZ_E_NS1_11comp_targetILNS1_3genE5ELNS1_11target_archE942ELNS1_3gpuE9ELNS1_3repE0EEENS1_47radix_sort_onesweep_sort_config_static_selectorELNS0_4arch9wavefront6targetE1EEEvSG_
; %bb.0:
	.section	.rodata,"a",@progbits
	.p2align	6, 0x0
	.amdhsa_kernel _ZN7rocprim17ROCPRIM_400000_NS6detail17trampoline_kernelINS0_14default_configENS1_35radix_sort_onesweep_config_selectorIisEEZZNS1_29radix_sort_onesweep_iterationIS3_Lb0EN6thrust23THRUST_200600_302600_NS10device_ptrIiEESA_NS9_IsEESB_jNS0_19identity_decomposerENS1_16block_id_wrapperIjLb1EEEEE10hipError_tT1_PNSt15iterator_traitsISG_E10value_typeET2_T3_PNSH_ISM_E10value_typeET4_T5_PSR_SS_PNS1_23onesweep_lookback_stateEbbT6_jjT7_P12ihipStream_tbENKUlT_T0_SG_SL_E_clISA_SA_SB_SB_EEDaSZ_S10_SG_SL_EUlSZ_E_NS1_11comp_targetILNS1_3genE5ELNS1_11target_archE942ELNS1_3gpuE9ELNS1_3repE0EEENS1_47radix_sort_onesweep_sort_config_static_selectorELNS0_4arch9wavefront6targetE1EEEvSG_
		.amdhsa_group_segment_fixed_size 0
		.amdhsa_private_segment_fixed_size 0
		.amdhsa_kernarg_size 88
		.amdhsa_user_sgpr_count 2
		.amdhsa_user_sgpr_dispatch_ptr 0
		.amdhsa_user_sgpr_queue_ptr 0
		.amdhsa_user_sgpr_kernarg_segment_ptr 1
		.amdhsa_user_sgpr_dispatch_id 0
		.amdhsa_user_sgpr_kernarg_preload_length 0
		.amdhsa_user_sgpr_kernarg_preload_offset 0
		.amdhsa_user_sgpr_private_segment_size 0
		.amdhsa_uses_dynamic_stack 0
		.amdhsa_enable_private_segment 0
		.amdhsa_system_sgpr_workgroup_id_x 1
		.amdhsa_system_sgpr_workgroup_id_y 0
		.amdhsa_system_sgpr_workgroup_id_z 0
		.amdhsa_system_sgpr_workgroup_info 0
		.amdhsa_system_vgpr_workitem_id 0
		.amdhsa_next_free_vgpr 1
		.amdhsa_next_free_sgpr 0
		.amdhsa_accum_offset 4
		.amdhsa_reserve_vcc 0
		.amdhsa_float_round_mode_32 0
		.amdhsa_float_round_mode_16_64 0
		.amdhsa_float_denorm_mode_32 3
		.amdhsa_float_denorm_mode_16_64 3
		.amdhsa_dx10_clamp 1
		.amdhsa_ieee_mode 1
		.amdhsa_fp16_overflow 0
		.amdhsa_tg_split 0
		.amdhsa_exception_fp_ieee_invalid_op 0
		.amdhsa_exception_fp_denorm_src 0
		.amdhsa_exception_fp_ieee_div_zero 0
		.amdhsa_exception_fp_ieee_overflow 0
		.amdhsa_exception_fp_ieee_underflow 0
		.amdhsa_exception_fp_ieee_inexact 0
		.amdhsa_exception_int_div_zero 0
	.end_amdhsa_kernel
	.section	.text._ZN7rocprim17ROCPRIM_400000_NS6detail17trampoline_kernelINS0_14default_configENS1_35radix_sort_onesweep_config_selectorIisEEZZNS1_29radix_sort_onesweep_iterationIS3_Lb0EN6thrust23THRUST_200600_302600_NS10device_ptrIiEESA_NS9_IsEESB_jNS0_19identity_decomposerENS1_16block_id_wrapperIjLb1EEEEE10hipError_tT1_PNSt15iterator_traitsISG_E10value_typeET2_T3_PNSH_ISM_E10value_typeET4_T5_PSR_SS_PNS1_23onesweep_lookback_stateEbbT6_jjT7_P12ihipStream_tbENKUlT_T0_SG_SL_E_clISA_SA_SB_SB_EEDaSZ_S10_SG_SL_EUlSZ_E_NS1_11comp_targetILNS1_3genE5ELNS1_11target_archE942ELNS1_3gpuE9ELNS1_3repE0EEENS1_47radix_sort_onesweep_sort_config_static_selectorELNS0_4arch9wavefront6targetE1EEEvSG_,"axG",@progbits,_ZN7rocprim17ROCPRIM_400000_NS6detail17trampoline_kernelINS0_14default_configENS1_35radix_sort_onesweep_config_selectorIisEEZZNS1_29radix_sort_onesweep_iterationIS3_Lb0EN6thrust23THRUST_200600_302600_NS10device_ptrIiEESA_NS9_IsEESB_jNS0_19identity_decomposerENS1_16block_id_wrapperIjLb1EEEEE10hipError_tT1_PNSt15iterator_traitsISG_E10value_typeET2_T3_PNSH_ISM_E10value_typeET4_T5_PSR_SS_PNS1_23onesweep_lookback_stateEbbT6_jjT7_P12ihipStream_tbENKUlT_T0_SG_SL_E_clISA_SA_SB_SB_EEDaSZ_S10_SG_SL_EUlSZ_E_NS1_11comp_targetILNS1_3genE5ELNS1_11target_archE942ELNS1_3gpuE9ELNS1_3repE0EEENS1_47radix_sort_onesweep_sort_config_static_selectorELNS0_4arch9wavefront6targetE1EEEvSG_,comdat
.Lfunc_end2442:
	.size	_ZN7rocprim17ROCPRIM_400000_NS6detail17trampoline_kernelINS0_14default_configENS1_35radix_sort_onesweep_config_selectorIisEEZZNS1_29radix_sort_onesweep_iterationIS3_Lb0EN6thrust23THRUST_200600_302600_NS10device_ptrIiEESA_NS9_IsEESB_jNS0_19identity_decomposerENS1_16block_id_wrapperIjLb1EEEEE10hipError_tT1_PNSt15iterator_traitsISG_E10value_typeET2_T3_PNSH_ISM_E10value_typeET4_T5_PSR_SS_PNS1_23onesweep_lookback_stateEbbT6_jjT7_P12ihipStream_tbENKUlT_T0_SG_SL_E_clISA_SA_SB_SB_EEDaSZ_S10_SG_SL_EUlSZ_E_NS1_11comp_targetILNS1_3genE5ELNS1_11target_archE942ELNS1_3gpuE9ELNS1_3repE0EEENS1_47radix_sort_onesweep_sort_config_static_selectorELNS0_4arch9wavefront6targetE1EEEvSG_, .Lfunc_end2442-_ZN7rocprim17ROCPRIM_400000_NS6detail17trampoline_kernelINS0_14default_configENS1_35radix_sort_onesweep_config_selectorIisEEZZNS1_29radix_sort_onesweep_iterationIS3_Lb0EN6thrust23THRUST_200600_302600_NS10device_ptrIiEESA_NS9_IsEESB_jNS0_19identity_decomposerENS1_16block_id_wrapperIjLb1EEEEE10hipError_tT1_PNSt15iterator_traitsISG_E10value_typeET2_T3_PNSH_ISM_E10value_typeET4_T5_PSR_SS_PNS1_23onesweep_lookback_stateEbbT6_jjT7_P12ihipStream_tbENKUlT_T0_SG_SL_E_clISA_SA_SB_SB_EEDaSZ_S10_SG_SL_EUlSZ_E_NS1_11comp_targetILNS1_3genE5ELNS1_11target_archE942ELNS1_3gpuE9ELNS1_3repE0EEENS1_47radix_sort_onesweep_sort_config_static_selectorELNS0_4arch9wavefront6targetE1EEEvSG_
                                        ; -- End function
	.set _ZN7rocprim17ROCPRIM_400000_NS6detail17trampoline_kernelINS0_14default_configENS1_35radix_sort_onesweep_config_selectorIisEEZZNS1_29radix_sort_onesweep_iterationIS3_Lb0EN6thrust23THRUST_200600_302600_NS10device_ptrIiEESA_NS9_IsEESB_jNS0_19identity_decomposerENS1_16block_id_wrapperIjLb1EEEEE10hipError_tT1_PNSt15iterator_traitsISG_E10value_typeET2_T3_PNSH_ISM_E10value_typeET4_T5_PSR_SS_PNS1_23onesweep_lookback_stateEbbT6_jjT7_P12ihipStream_tbENKUlT_T0_SG_SL_E_clISA_SA_SB_SB_EEDaSZ_S10_SG_SL_EUlSZ_E_NS1_11comp_targetILNS1_3genE5ELNS1_11target_archE942ELNS1_3gpuE9ELNS1_3repE0EEENS1_47radix_sort_onesweep_sort_config_static_selectorELNS0_4arch9wavefront6targetE1EEEvSG_.num_vgpr, 0
	.set _ZN7rocprim17ROCPRIM_400000_NS6detail17trampoline_kernelINS0_14default_configENS1_35radix_sort_onesweep_config_selectorIisEEZZNS1_29radix_sort_onesweep_iterationIS3_Lb0EN6thrust23THRUST_200600_302600_NS10device_ptrIiEESA_NS9_IsEESB_jNS0_19identity_decomposerENS1_16block_id_wrapperIjLb1EEEEE10hipError_tT1_PNSt15iterator_traitsISG_E10value_typeET2_T3_PNSH_ISM_E10value_typeET4_T5_PSR_SS_PNS1_23onesweep_lookback_stateEbbT6_jjT7_P12ihipStream_tbENKUlT_T0_SG_SL_E_clISA_SA_SB_SB_EEDaSZ_S10_SG_SL_EUlSZ_E_NS1_11comp_targetILNS1_3genE5ELNS1_11target_archE942ELNS1_3gpuE9ELNS1_3repE0EEENS1_47radix_sort_onesweep_sort_config_static_selectorELNS0_4arch9wavefront6targetE1EEEvSG_.num_agpr, 0
	.set _ZN7rocprim17ROCPRIM_400000_NS6detail17trampoline_kernelINS0_14default_configENS1_35radix_sort_onesweep_config_selectorIisEEZZNS1_29radix_sort_onesweep_iterationIS3_Lb0EN6thrust23THRUST_200600_302600_NS10device_ptrIiEESA_NS9_IsEESB_jNS0_19identity_decomposerENS1_16block_id_wrapperIjLb1EEEEE10hipError_tT1_PNSt15iterator_traitsISG_E10value_typeET2_T3_PNSH_ISM_E10value_typeET4_T5_PSR_SS_PNS1_23onesweep_lookback_stateEbbT6_jjT7_P12ihipStream_tbENKUlT_T0_SG_SL_E_clISA_SA_SB_SB_EEDaSZ_S10_SG_SL_EUlSZ_E_NS1_11comp_targetILNS1_3genE5ELNS1_11target_archE942ELNS1_3gpuE9ELNS1_3repE0EEENS1_47radix_sort_onesweep_sort_config_static_selectorELNS0_4arch9wavefront6targetE1EEEvSG_.numbered_sgpr, 0
	.set _ZN7rocprim17ROCPRIM_400000_NS6detail17trampoline_kernelINS0_14default_configENS1_35radix_sort_onesweep_config_selectorIisEEZZNS1_29radix_sort_onesweep_iterationIS3_Lb0EN6thrust23THRUST_200600_302600_NS10device_ptrIiEESA_NS9_IsEESB_jNS0_19identity_decomposerENS1_16block_id_wrapperIjLb1EEEEE10hipError_tT1_PNSt15iterator_traitsISG_E10value_typeET2_T3_PNSH_ISM_E10value_typeET4_T5_PSR_SS_PNS1_23onesweep_lookback_stateEbbT6_jjT7_P12ihipStream_tbENKUlT_T0_SG_SL_E_clISA_SA_SB_SB_EEDaSZ_S10_SG_SL_EUlSZ_E_NS1_11comp_targetILNS1_3genE5ELNS1_11target_archE942ELNS1_3gpuE9ELNS1_3repE0EEENS1_47radix_sort_onesweep_sort_config_static_selectorELNS0_4arch9wavefront6targetE1EEEvSG_.num_named_barrier, 0
	.set _ZN7rocprim17ROCPRIM_400000_NS6detail17trampoline_kernelINS0_14default_configENS1_35radix_sort_onesweep_config_selectorIisEEZZNS1_29radix_sort_onesweep_iterationIS3_Lb0EN6thrust23THRUST_200600_302600_NS10device_ptrIiEESA_NS9_IsEESB_jNS0_19identity_decomposerENS1_16block_id_wrapperIjLb1EEEEE10hipError_tT1_PNSt15iterator_traitsISG_E10value_typeET2_T3_PNSH_ISM_E10value_typeET4_T5_PSR_SS_PNS1_23onesweep_lookback_stateEbbT6_jjT7_P12ihipStream_tbENKUlT_T0_SG_SL_E_clISA_SA_SB_SB_EEDaSZ_S10_SG_SL_EUlSZ_E_NS1_11comp_targetILNS1_3genE5ELNS1_11target_archE942ELNS1_3gpuE9ELNS1_3repE0EEENS1_47radix_sort_onesweep_sort_config_static_selectorELNS0_4arch9wavefront6targetE1EEEvSG_.private_seg_size, 0
	.set _ZN7rocprim17ROCPRIM_400000_NS6detail17trampoline_kernelINS0_14default_configENS1_35radix_sort_onesweep_config_selectorIisEEZZNS1_29radix_sort_onesweep_iterationIS3_Lb0EN6thrust23THRUST_200600_302600_NS10device_ptrIiEESA_NS9_IsEESB_jNS0_19identity_decomposerENS1_16block_id_wrapperIjLb1EEEEE10hipError_tT1_PNSt15iterator_traitsISG_E10value_typeET2_T3_PNSH_ISM_E10value_typeET4_T5_PSR_SS_PNS1_23onesweep_lookback_stateEbbT6_jjT7_P12ihipStream_tbENKUlT_T0_SG_SL_E_clISA_SA_SB_SB_EEDaSZ_S10_SG_SL_EUlSZ_E_NS1_11comp_targetILNS1_3genE5ELNS1_11target_archE942ELNS1_3gpuE9ELNS1_3repE0EEENS1_47radix_sort_onesweep_sort_config_static_selectorELNS0_4arch9wavefront6targetE1EEEvSG_.uses_vcc, 0
	.set _ZN7rocprim17ROCPRIM_400000_NS6detail17trampoline_kernelINS0_14default_configENS1_35radix_sort_onesweep_config_selectorIisEEZZNS1_29radix_sort_onesweep_iterationIS3_Lb0EN6thrust23THRUST_200600_302600_NS10device_ptrIiEESA_NS9_IsEESB_jNS0_19identity_decomposerENS1_16block_id_wrapperIjLb1EEEEE10hipError_tT1_PNSt15iterator_traitsISG_E10value_typeET2_T3_PNSH_ISM_E10value_typeET4_T5_PSR_SS_PNS1_23onesweep_lookback_stateEbbT6_jjT7_P12ihipStream_tbENKUlT_T0_SG_SL_E_clISA_SA_SB_SB_EEDaSZ_S10_SG_SL_EUlSZ_E_NS1_11comp_targetILNS1_3genE5ELNS1_11target_archE942ELNS1_3gpuE9ELNS1_3repE0EEENS1_47radix_sort_onesweep_sort_config_static_selectorELNS0_4arch9wavefront6targetE1EEEvSG_.uses_flat_scratch, 0
	.set _ZN7rocprim17ROCPRIM_400000_NS6detail17trampoline_kernelINS0_14default_configENS1_35radix_sort_onesweep_config_selectorIisEEZZNS1_29radix_sort_onesweep_iterationIS3_Lb0EN6thrust23THRUST_200600_302600_NS10device_ptrIiEESA_NS9_IsEESB_jNS0_19identity_decomposerENS1_16block_id_wrapperIjLb1EEEEE10hipError_tT1_PNSt15iterator_traitsISG_E10value_typeET2_T3_PNSH_ISM_E10value_typeET4_T5_PSR_SS_PNS1_23onesweep_lookback_stateEbbT6_jjT7_P12ihipStream_tbENKUlT_T0_SG_SL_E_clISA_SA_SB_SB_EEDaSZ_S10_SG_SL_EUlSZ_E_NS1_11comp_targetILNS1_3genE5ELNS1_11target_archE942ELNS1_3gpuE9ELNS1_3repE0EEENS1_47radix_sort_onesweep_sort_config_static_selectorELNS0_4arch9wavefront6targetE1EEEvSG_.has_dyn_sized_stack, 0
	.set _ZN7rocprim17ROCPRIM_400000_NS6detail17trampoline_kernelINS0_14default_configENS1_35radix_sort_onesweep_config_selectorIisEEZZNS1_29radix_sort_onesweep_iterationIS3_Lb0EN6thrust23THRUST_200600_302600_NS10device_ptrIiEESA_NS9_IsEESB_jNS0_19identity_decomposerENS1_16block_id_wrapperIjLb1EEEEE10hipError_tT1_PNSt15iterator_traitsISG_E10value_typeET2_T3_PNSH_ISM_E10value_typeET4_T5_PSR_SS_PNS1_23onesweep_lookback_stateEbbT6_jjT7_P12ihipStream_tbENKUlT_T0_SG_SL_E_clISA_SA_SB_SB_EEDaSZ_S10_SG_SL_EUlSZ_E_NS1_11comp_targetILNS1_3genE5ELNS1_11target_archE942ELNS1_3gpuE9ELNS1_3repE0EEENS1_47radix_sort_onesweep_sort_config_static_selectorELNS0_4arch9wavefront6targetE1EEEvSG_.has_recursion, 0
	.set _ZN7rocprim17ROCPRIM_400000_NS6detail17trampoline_kernelINS0_14default_configENS1_35radix_sort_onesweep_config_selectorIisEEZZNS1_29radix_sort_onesweep_iterationIS3_Lb0EN6thrust23THRUST_200600_302600_NS10device_ptrIiEESA_NS9_IsEESB_jNS0_19identity_decomposerENS1_16block_id_wrapperIjLb1EEEEE10hipError_tT1_PNSt15iterator_traitsISG_E10value_typeET2_T3_PNSH_ISM_E10value_typeET4_T5_PSR_SS_PNS1_23onesweep_lookback_stateEbbT6_jjT7_P12ihipStream_tbENKUlT_T0_SG_SL_E_clISA_SA_SB_SB_EEDaSZ_S10_SG_SL_EUlSZ_E_NS1_11comp_targetILNS1_3genE5ELNS1_11target_archE942ELNS1_3gpuE9ELNS1_3repE0EEENS1_47radix_sort_onesweep_sort_config_static_selectorELNS0_4arch9wavefront6targetE1EEEvSG_.has_indirect_call, 0
	.section	.AMDGPU.csdata,"",@progbits
; Kernel info:
; codeLenInByte = 0
; TotalNumSgprs: 6
; NumVgprs: 0
; NumAgprs: 0
; TotalNumVgprs: 0
; ScratchSize: 0
; MemoryBound: 0
; FloatMode: 240
; IeeeMode: 1
; LDSByteSize: 0 bytes/workgroup (compile time only)
; SGPRBlocks: 0
; VGPRBlocks: 0
; NumSGPRsForWavesPerEU: 6
; NumVGPRsForWavesPerEU: 1
; AccumOffset: 4
; Occupancy: 8
; WaveLimiterHint : 0
; COMPUTE_PGM_RSRC2:SCRATCH_EN: 0
; COMPUTE_PGM_RSRC2:USER_SGPR: 2
; COMPUTE_PGM_RSRC2:TRAP_HANDLER: 0
; COMPUTE_PGM_RSRC2:TGID_X_EN: 1
; COMPUTE_PGM_RSRC2:TGID_Y_EN: 0
; COMPUTE_PGM_RSRC2:TGID_Z_EN: 0
; COMPUTE_PGM_RSRC2:TIDIG_COMP_CNT: 0
; COMPUTE_PGM_RSRC3_GFX90A:ACCUM_OFFSET: 0
; COMPUTE_PGM_RSRC3_GFX90A:TG_SPLIT: 0
	.section	.text._ZN7rocprim17ROCPRIM_400000_NS6detail17trampoline_kernelINS0_14default_configENS1_35radix_sort_onesweep_config_selectorIisEEZZNS1_29radix_sort_onesweep_iterationIS3_Lb0EN6thrust23THRUST_200600_302600_NS10device_ptrIiEESA_NS9_IsEESB_jNS0_19identity_decomposerENS1_16block_id_wrapperIjLb1EEEEE10hipError_tT1_PNSt15iterator_traitsISG_E10value_typeET2_T3_PNSH_ISM_E10value_typeET4_T5_PSR_SS_PNS1_23onesweep_lookback_stateEbbT6_jjT7_P12ihipStream_tbENKUlT_T0_SG_SL_E_clISA_SA_SB_SB_EEDaSZ_S10_SG_SL_EUlSZ_E_NS1_11comp_targetILNS1_3genE2ELNS1_11target_archE906ELNS1_3gpuE6ELNS1_3repE0EEENS1_47radix_sort_onesweep_sort_config_static_selectorELNS0_4arch9wavefront6targetE1EEEvSG_,"axG",@progbits,_ZN7rocprim17ROCPRIM_400000_NS6detail17trampoline_kernelINS0_14default_configENS1_35radix_sort_onesweep_config_selectorIisEEZZNS1_29radix_sort_onesweep_iterationIS3_Lb0EN6thrust23THRUST_200600_302600_NS10device_ptrIiEESA_NS9_IsEESB_jNS0_19identity_decomposerENS1_16block_id_wrapperIjLb1EEEEE10hipError_tT1_PNSt15iterator_traitsISG_E10value_typeET2_T3_PNSH_ISM_E10value_typeET4_T5_PSR_SS_PNS1_23onesweep_lookback_stateEbbT6_jjT7_P12ihipStream_tbENKUlT_T0_SG_SL_E_clISA_SA_SB_SB_EEDaSZ_S10_SG_SL_EUlSZ_E_NS1_11comp_targetILNS1_3genE2ELNS1_11target_archE906ELNS1_3gpuE6ELNS1_3repE0EEENS1_47radix_sort_onesweep_sort_config_static_selectorELNS0_4arch9wavefront6targetE1EEEvSG_,comdat
	.protected	_ZN7rocprim17ROCPRIM_400000_NS6detail17trampoline_kernelINS0_14default_configENS1_35radix_sort_onesweep_config_selectorIisEEZZNS1_29radix_sort_onesweep_iterationIS3_Lb0EN6thrust23THRUST_200600_302600_NS10device_ptrIiEESA_NS9_IsEESB_jNS0_19identity_decomposerENS1_16block_id_wrapperIjLb1EEEEE10hipError_tT1_PNSt15iterator_traitsISG_E10value_typeET2_T3_PNSH_ISM_E10value_typeET4_T5_PSR_SS_PNS1_23onesweep_lookback_stateEbbT6_jjT7_P12ihipStream_tbENKUlT_T0_SG_SL_E_clISA_SA_SB_SB_EEDaSZ_S10_SG_SL_EUlSZ_E_NS1_11comp_targetILNS1_3genE2ELNS1_11target_archE906ELNS1_3gpuE6ELNS1_3repE0EEENS1_47radix_sort_onesweep_sort_config_static_selectorELNS0_4arch9wavefront6targetE1EEEvSG_ ; -- Begin function _ZN7rocprim17ROCPRIM_400000_NS6detail17trampoline_kernelINS0_14default_configENS1_35radix_sort_onesweep_config_selectorIisEEZZNS1_29radix_sort_onesweep_iterationIS3_Lb0EN6thrust23THRUST_200600_302600_NS10device_ptrIiEESA_NS9_IsEESB_jNS0_19identity_decomposerENS1_16block_id_wrapperIjLb1EEEEE10hipError_tT1_PNSt15iterator_traitsISG_E10value_typeET2_T3_PNSH_ISM_E10value_typeET4_T5_PSR_SS_PNS1_23onesweep_lookback_stateEbbT6_jjT7_P12ihipStream_tbENKUlT_T0_SG_SL_E_clISA_SA_SB_SB_EEDaSZ_S10_SG_SL_EUlSZ_E_NS1_11comp_targetILNS1_3genE2ELNS1_11target_archE906ELNS1_3gpuE6ELNS1_3repE0EEENS1_47radix_sort_onesweep_sort_config_static_selectorELNS0_4arch9wavefront6targetE1EEEvSG_
	.globl	_ZN7rocprim17ROCPRIM_400000_NS6detail17trampoline_kernelINS0_14default_configENS1_35radix_sort_onesweep_config_selectorIisEEZZNS1_29radix_sort_onesweep_iterationIS3_Lb0EN6thrust23THRUST_200600_302600_NS10device_ptrIiEESA_NS9_IsEESB_jNS0_19identity_decomposerENS1_16block_id_wrapperIjLb1EEEEE10hipError_tT1_PNSt15iterator_traitsISG_E10value_typeET2_T3_PNSH_ISM_E10value_typeET4_T5_PSR_SS_PNS1_23onesweep_lookback_stateEbbT6_jjT7_P12ihipStream_tbENKUlT_T0_SG_SL_E_clISA_SA_SB_SB_EEDaSZ_S10_SG_SL_EUlSZ_E_NS1_11comp_targetILNS1_3genE2ELNS1_11target_archE906ELNS1_3gpuE6ELNS1_3repE0EEENS1_47radix_sort_onesweep_sort_config_static_selectorELNS0_4arch9wavefront6targetE1EEEvSG_
	.p2align	8
	.type	_ZN7rocprim17ROCPRIM_400000_NS6detail17trampoline_kernelINS0_14default_configENS1_35radix_sort_onesweep_config_selectorIisEEZZNS1_29radix_sort_onesweep_iterationIS3_Lb0EN6thrust23THRUST_200600_302600_NS10device_ptrIiEESA_NS9_IsEESB_jNS0_19identity_decomposerENS1_16block_id_wrapperIjLb1EEEEE10hipError_tT1_PNSt15iterator_traitsISG_E10value_typeET2_T3_PNSH_ISM_E10value_typeET4_T5_PSR_SS_PNS1_23onesweep_lookback_stateEbbT6_jjT7_P12ihipStream_tbENKUlT_T0_SG_SL_E_clISA_SA_SB_SB_EEDaSZ_S10_SG_SL_EUlSZ_E_NS1_11comp_targetILNS1_3genE2ELNS1_11target_archE906ELNS1_3gpuE6ELNS1_3repE0EEENS1_47radix_sort_onesweep_sort_config_static_selectorELNS0_4arch9wavefront6targetE1EEEvSG_,@function
_ZN7rocprim17ROCPRIM_400000_NS6detail17trampoline_kernelINS0_14default_configENS1_35radix_sort_onesweep_config_selectorIisEEZZNS1_29radix_sort_onesweep_iterationIS3_Lb0EN6thrust23THRUST_200600_302600_NS10device_ptrIiEESA_NS9_IsEESB_jNS0_19identity_decomposerENS1_16block_id_wrapperIjLb1EEEEE10hipError_tT1_PNSt15iterator_traitsISG_E10value_typeET2_T3_PNSH_ISM_E10value_typeET4_T5_PSR_SS_PNS1_23onesweep_lookback_stateEbbT6_jjT7_P12ihipStream_tbENKUlT_T0_SG_SL_E_clISA_SA_SB_SB_EEDaSZ_S10_SG_SL_EUlSZ_E_NS1_11comp_targetILNS1_3genE2ELNS1_11target_archE906ELNS1_3gpuE6ELNS1_3repE0EEENS1_47radix_sort_onesweep_sort_config_static_selectorELNS0_4arch9wavefront6targetE1EEEvSG_: ; @_ZN7rocprim17ROCPRIM_400000_NS6detail17trampoline_kernelINS0_14default_configENS1_35radix_sort_onesweep_config_selectorIisEEZZNS1_29radix_sort_onesweep_iterationIS3_Lb0EN6thrust23THRUST_200600_302600_NS10device_ptrIiEESA_NS9_IsEESB_jNS0_19identity_decomposerENS1_16block_id_wrapperIjLb1EEEEE10hipError_tT1_PNSt15iterator_traitsISG_E10value_typeET2_T3_PNSH_ISM_E10value_typeET4_T5_PSR_SS_PNS1_23onesweep_lookback_stateEbbT6_jjT7_P12ihipStream_tbENKUlT_T0_SG_SL_E_clISA_SA_SB_SB_EEDaSZ_S10_SG_SL_EUlSZ_E_NS1_11comp_targetILNS1_3genE2ELNS1_11target_archE906ELNS1_3gpuE6ELNS1_3repE0EEENS1_47radix_sort_onesweep_sort_config_static_selectorELNS0_4arch9wavefront6targetE1EEEvSG_
; %bb.0:
	.section	.rodata,"a",@progbits
	.p2align	6, 0x0
	.amdhsa_kernel _ZN7rocprim17ROCPRIM_400000_NS6detail17trampoline_kernelINS0_14default_configENS1_35radix_sort_onesweep_config_selectorIisEEZZNS1_29radix_sort_onesweep_iterationIS3_Lb0EN6thrust23THRUST_200600_302600_NS10device_ptrIiEESA_NS9_IsEESB_jNS0_19identity_decomposerENS1_16block_id_wrapperIjLb1EEEEE10hipError_tT1_PNSt15iterator_traitsISG_E10value_typeET2_T3_PNSH_ISM_E10value_typeET4_T5_PSR_SS_PNS1_23onesweep_lookback_stateEbbT6_jjT7_P12ihipStream_tbENKUlT_T0_SG_SL_E_clISA_SA_SB_SB_EEDaSZ_S10_SG_SL_EUlSZ_E_NS1_11comp_targetILNS1_3genE2ELNS1_11target_archE906ELNS1_3gpuE6ELNS1_3repE0EEENS1_47radix_sort_onesweep_sort_config_static_selectorELNS0_4arch9wavefront6targetE1EEEvSG_
		.amdhsa_group_segment_fixed_size 0
		.amdhsa_private_segment_fixed_size 0
		.amdhsa_kernarg_size 88
		.amdhsa_user_sgpr_count 2
		.amdhsa_user_sgpr_dispatch_ptr 0
		.amdhsa_user_sgpr_queue_ptr 0
		.amdhsa_user_sgpr_kernarg_segment_ptr 1
		.amdhsa_user_sgpr_dispatch_id 0
		.amdhsa_user_sgpr_kernarg_preload_length 0
		.amdhsa_user_sgpr_kernarg_preload_offset 0
		.amdhsa_user_sgpr_private_segment_size 0
		.amdhsa_uses_dynamic_stack 0
		.amdhsa_enable_private_segment 0
		.amdhsa_system_sgpr_workgroup_id_x 1
		.amdhsa_system_sgpr_workgroup_id_y 0
		.amdhsa_system_sgpr_workgroup_id_z 0
		.amdhsa_system_sgpr_workgroup_info 0
		.amdhsa_system_vgpr_workitem_id 0
		.amdhsa_next_free_vgpr 1
		.amdhsa_next_free_sgpr 0
		.amdhsa_accum_offset 4
		.amdhsa_reserve_vcc 0
		.amdhsa_float_round_mode_32 0
		.amdhsa_float_round_mode_16_64 0
		.amdhsa_float_denorm_mode_32 3
		.amdhsa_float_denorm_mode_16_64 3
		.amdhsa_dx10_clamp 1
		.amdhsa_ieee_mode 1
		.amdhsa_fp16_overflow 0
		.amdhsa_tg_split 0
		.amdhsa_exception_fp_ieee_invalid_op 0
		.amdhsa_exception_fp_denorm_src 0
		.amdhsa_exception_fp_ieee_div_zero 0
		.amdhsa_exception_fp_ieee_overflow 0
		.amdhsa_exception_fp_ieee_underflow 0
		.amdhsa_exception_fp_ieee_inexact 0
		.amdhsa_exception_int_div_zero 0
	.end_amdhsa_kernel
	.section	.text._ZN7rocprim17ROCPRIM_400000_NS6detail17trampoline_kernelINS0_14default_configENS1_35radix_sort_onesweep_config_selectorIisEEZZNS1_29radix_sort_onesweep_iterationIS3_Lb0EN6thrust23THRUST_200600_302600_NS10device_ptrIiEESA_NS9_IsEESB_jNS0_19identity_decomposerENS1_16block_id_wrapperIjLb1EEEEE10hipError_tT1_PNSt15iterator_traitsISG_E10value_typeET2_T3_PNSH_ISM_E10value_typeET4_T5_PSR_SS_PNS1_23onesweep_lookback_stateEbbT6_jjT7_P12ihipStream_tbENKUlT_T0_SG_SL_E_clISA_SA_SB_SB_EEDaSZ_S10_SG_SL_EUlSZ_E_NS1_11comp_targetILNS1_3genE2ELNS1_11target_archE906ELNS1_3gpuE6ELNS1_3repE0EEENS1_47radix_sort_onesweep_sort_config_static_selectorELNS0_4arch9wavefront6targetE1EEEvSG_,"axG",@progbits,_ZN7rocprim17ROCPRIM_400000_NS6detail17trampoline_kernelINS0_14default_configENS1_35radix_sort_onesweep_config_selectorIisEEZZNS1_29radix_sort_onesweep_iterationIS3_Lb0EN6thrust23THRUST_200600_302600_NS10device_ptrIiEESA_NS9_IsEESB_jNS0_19identity_decomposerENS1_16block_id_wrapperIjLb1EEEEE10hipError_tT1_PNSt15iterator_traitsISG_E10value_typeET2_T3_PNSH_ISM_E10value_typeET4_T5_PSR_SS_PNS1_23onesweep_lookback_stateEbbT6_jjT7_P12ihipStream_tbENKUlT_T0_SG_SL_E_clISA_SA_SB_SB_EEDaSZ_S10_SG_SL_EUlSZ_E_NS1_11comp_targetILNS1_3genE2ELNS1_11target_archE906ELNS1_3gpuE6ELNS1_3repE0EEENS1_47radix_sort_onesweep_sort_config_static_selectorELNS0_4arch9wavefront6targetE1EEEvSG_,comdat
.Lfunc_end2443:
	.size	_ZN7rocprim17ROCPRIM_400000_NS6detail17trampoline_kernelINS0_14default_configENS1_35radix_sort_onesweep_config_selectorIisEEZZNS1_29radix_sort_onesweep_iterationIS3_Lb0EN6thrust23THRUST_200600_302600_NS10device_ptrIiEESA_NS9_IsEESB_jNS0_19identity_decomposerENS1_16block_id_wrapperIjLb1EEEEE10hipError_tT1_PNSt15iterator_traitsISG_E10value_typeET2_T3_PNSH_ISM_E10value_typeET4_T5_PSR_SS_PNS1_23onesweep_lookback_stateEbbT6_jjT7_P12ihipStream_tbENKUlT_T0_SG_SL_E_clISA_SA_SB_SB_EEDaSZ_S10_SG_SL_EUlSZ_E_NS1_11comp_targetILNS1_3genE2ELNS1_11target_archE906ELNS1_3gpuE6ELNS1_3repE0EEENS1_47radix_sort_onesweep_sort_config_static_selectorELNS0_4arch9wavefront6targetE1EEEvSG_, .Lfunc_end2443-_ZN7rocprim17ROCPRIM_400000_NS6detail17trampoline_kernelINS0_14default_configENS1_35radix_sort_onesweep_config_selectorIisEEZZNS1_29radix_sort_onesweep_iterationIS3_Lb0EN6thrust23THRUST_200600_302600_NS10device_ptrIiEESA_NS9_IsEESB_jNS0_19identity_decomposerENS1_16block_id_wrapperIjLb1EEEEE10hipError_tT1_PNSt15iterator_traitsISG_E10value_typeET2_T3_PNSH_ISM_E10value_typeET4_T5_PSR_SS_PNS1_23onesweep_lookback_stateEbbT6_jjT7_P12ihipStream_tbENKUlT_T0_SG_SL_E_clISA_SA_SB_SB_EEDaSZ_S10_SG_SL_EUlSZ_E_NS1_11comp_targetILNS1_3genE2ELNS1_11target_archE906ELNS1_3gpuE6ELNS1_3repE0EEENS1_47radix_sort_onesweep_sort_config_static_selectorELNS0_4arch9wavefront6targetE1EEEvSG_
                                        ; -- End function
	.set _ZN7rocprim17ROCPRIM_400000_NS6detail17trampoline_kernelINS0_14default_configENS1_35radix_sort_onesweep_config_selectorIisEEZZNS1_29radix_sort_onesweep_iterationIS3_Lb0EN6thrust23THRUST_200600_302600_NS10device_ptrIiEESA_NS9_IsEESB_jNS0_19identity_decomposerENS1_16block_id_wrapperIjLb1EEEEE10hipError_tT1_PNSt15iterator_traitsISG_E10value_typeET2_T3_PNSH_ISM_E10value_typeET4_T5_PSR_SS_PNS1_23onesweep_lookback_stateEbbT6_jjT7_P12ihipStream_tbENKUlT_T0_SG_SL_E_clISA_SA_SB_SB_EEDaSZ_S10_SG_SL_EUlSZ_E_NS1_11comp_targetILNS1_3genE2ELNS1_11target_archE906ELNS1_3gpuE6ELNS1_3repE0EEENS1_47radix_sort_onesweep_sort_config_static_selectorELNS0_4arch9wavefront6targetE1EEEvSG_.num_vgpr, 0
	.set _ZN7rocprim17ROCPRIM_400000_NS6detail17trampoline_kernelINS0_14default_configENS1_35radix_sort_onesweep_config_selectorIisEEZZNS1_29radix_sort_onesweep_iterationIS3_Lb0EN6thrust23THRUST_200600_302600_NS10device_ptrIiEESA_NS9_IsEESB_jNS0_19identity_decomposerENS1_16block_id_wrapperIjLb1EEEEE10hipError_tT1_PNSt15iterator_traitsISG_E10value_typeET2_T3_PNSH_ISM_E10value_typeET4_T5_PSR_SS_PNS1_23onesweep_lookback_stateEbbT6_jjT7_P12ihipStream_tbENKUlT_T0_SG_SL_E_clISA_SA_SB_SB_EEDaSZ_S10_SG_SL_EUlSZ_E_NS1_11comp_targetILNS1_3genE2ELNS1_11target_archE906ELNS1_3gpuE6ELNS1_3repE0EEENS1_47radix_sort_onesweep_sort_config_static_selectorELNS0_4arch9wavefront6targetE1EEEvSG_.num_agpr, 0
	.set _ZN7rocprim17ROCPRIM_400000_NS6detail17trampoline_kernelINS0_14default_configENS1_35radix_sort_onesweep_config_selectorIisEEZZNS1_29radix_sort_onesweep_iterationIS3_Lb0EN6thrust23THRUST_200600_302600_NS10device_ptrIiEESA_NS9_IsEESB_jNS0_19identity_decomposerENS1_16block_id_wrapperIjLb1EEEEE10hipError_tT1_PNSt15iterator_traitsISG_E10value_typeET2_T3_PNSH_ISM_E10value_typeET4_T5_PSR_SS_PNS1_23onesweep_lookback_stateEbbT6_jjT7_P12ihipStream_tbENKUlT_T0_SG_SL_E_clISA_SA_SB_SB_EEDaSZ_S10_SG_SL_EUlSZ_E_NS1_11comp_targetILNS1_3genE2ELNS1_11target_archE906ELNS1_3gpuE6ELNS1_3repE0EEENS1_47radix_sort_onesweep_sort_config_static_selectorELNS0_4arch9wavefront6targetE1EEEvSG_.numbered_sgpr, 0
	.set _ZN7rocprim17ROCPRIM_400000_NS6detail17trampoline_kernelINS0_14default_configENS1_35radix_sort_onesweep_config_selectorIisEEZZNS1_29radix_sort_onesweep_iterationIS3_Lb0EN6thrust23THRUST_200600_302600_NS10device_ptrIiEESA_NS9_IsEESB_jNS0_19identity_decomposerENS1_16block_id_wrapperIjLb1EEEEE10hipError_tT1_PNSt15iterator_traitsISG_E10value_typeET2_T3_PNSH_ISM_E10value_typeET4_T5_PSR_SS_PNS1_23onesweep_lookback_stateEbbT6_jjT7_P12ihipStream_tbENKUlT_T0_SG_SL_E_clISA_SA_SB_SB_EEDaSZ_S10_SG_SL_EUlSZ_E_NS1_11comp_targetILNS1_3genE2ELNS1_11target_archE906ELNS1_3gpuE6ELNS1_3repE0EEENS1_47radix_sort_onesweep_sort_config_static_selectorELNS0_4arch9wavefront6targetE1EEEvSG_.num_named_barrier, 0
	.set _ZN7rocprim17ROCPRIM_400000_NS6detail17trampoline_kernelINS0_14default_configENS1_35radix_sort_onesweep_config_selectorIisEEZZNS1_29radix_sort_onesweep_iterationIS3_Lb0EN6thrust23THRUST_200600_302600_NS10device_ptrIiEESA_NS9_IsEESB_jNS0_19identity_decomposerENS1_16block_id_wrapperIjLb1EEEEE10hipError_tT1_PNSt15iterator_traitsISG_E10value_typeET2_T3_PNSH_ISM_E10value_typeET4_T5_PSR_SS_PNS1_23onesweep_lookback_stateEbbT6_jjT7_P12ihipStream_tbENKUlT_T0_SG_SL_E_clISA_SA_SB_SB_EEDaSZ_S10_SG_SL_EUlSZ_E_NS1_11comp_targetILNS1_3genE2ELNS1_11target_archE906ELNS1_3gpuE6ELNS1_3repE0EEENS1_47radix_sort_onesweep_sort_config_static_selectorELNS0_4arch9wavefront6targetE1EEEvSG_.private_seg_size, 0
	.set _ZN7rocprim17ROCPRIM_400000_NS6detail17trampoline_kernelINS0_14default_configENS1_35radix_sort_onesweep_config_selectorIisEEZZNS1_29radix_sort_onesweep_iterationIS3_Lb0EN6thrust23THRUST_200600_302600_NS10device_ptrIiEESA_NS9_IsEESB_jNS0_19identity_decomposerENS1_16block_id_wrapperIjLb1EEEEE10hipError_tT1_PNSt15iterator_traitsISG_E10value_typeET2_T3_PNSH_ISM_E10value_typeET4_T5_PSR_SS_PNS1_23onesweep_lookback_stateEbbT6_jjT7_P12ihipStream_tbENKUlT_T0_SG_SL_E_clISA_SA_SB_SB_EEDaSZ_S10_SG_SL_EUlSZ_E_NS1_11comp_targetILNS1_3genE2ELNS1_11target_archE906ELNS1_3gpuE6ELNS1_3repE0EEENS1_47radix_sort_onesweep_sort_config_static_selectorELNS0_4arch9wavefront6targetE1EEEvSG_.uses_vcc, 0
	.set _ZN7rocprim17ROCPRIM_400000_NS6detail17trampoline_kernelINS0_14default_configENS1_35radix_sort_onesweep_config_selectorIisEEZZNS1_29radix_sort_onesweep_iterationIS3_Lb0EN6thrust23THRUST_200600_302600_NS10device_ptrIiEESA_NS9_IsEESB_jNS0_19identity_decomposerENS1_16block_id_wrapperIjLb1EEEEE10hipError_tT1_PNSt15iterator_traitsISG_E10value_typeET2_T3_PNSH_ISM_E10value_typeET4_T5_PSR_SS_PNS1_23onesweep_lookback_stateEbbT6_jjT7_P12ihipStream_tbENKUlT_T0_SG_SL_E_clISA_SA_SB_SB_EEDaSZ_S10_SG_SL_EUlSZ_E_NS1_11comp_targetILNS1_3genE2ELNS1_11target_archE906ELNS1_3gpuE6ELNS1_3repE0EEENS1_47radix_sort_onesweep_sort_config_static_selectorELNS0_4arch9wavefront6targetE1EEEvSG_.uses_flat_scratch, 0
	.set _ZN7rocprim17ROCPRIM_400000_NS6detail17trampoline_kernelINS0_14default_configENS1_35radix_sort_onesweep_config_selectorIisEEZZNS1_29radix_sort_onesweep_iterationIS3_Lb0EN6thrust23THRUST_200600_302600_NS10device_ptrIiEESA_NS9_IsEESB_jNS0_19identity_decomposerENS1_16block_id_wrapperIjLb1EEEEE10hipError_tT1_PNSt15iterator_traitsISG_E10value_typeET2_T3_PNSH_ISM_E10value_typeET4_T5_PSR_SS_PNS1_23onesweep_lookback_stateEbbT6_jjT7_P12ihipStream_tbENKUlT_T0_SG_SL_E_clISA_SA_SB_SB_EEDaSZ_S10_SG_SL_EUlSZ_E_NS1_11comp_targetILNS1_3genE2ELNS1_11target_archE906ELNS1_3gpuE6ELNS1_3repE0EEENS1_47radix_sort_onesweep_sort_config_static_selectorELNS0_4arch9wavefront6targetE1EEEvSG_.has_dyn_sized_stack, 0
	.set _ZN7rocprim17ROCPRIM_400000_NS6detail17trampoline_kernelINS0_14default_configENS1_35radix_sort_onesweep_config_selectorIisEEZZNS1_29radix_sort_onesweep_iterationIS3_Lb0EN6thrust23THRUST_200600_302600_NS10device_ptrIiEESA_NS9_IsEESB_jNS0_19identity_decomposerENS1_16block_id_wrapperIjLb1EEEEE10hipError_tT1_PNSt15iterator_traitsISG_E10value_typeET2_T3_PNSH_ISM_E10value_typeET4_T5_PSR_SS_PNS1_23onesweep_lookback_stateEbbT6_jjT7_P12ihipStream_tbENKUlT_T0_SG_SL_E_clISA_SA_SB_SB_EEDaSZ_S10_SG_SL_EUlSZ_E_NS1_11comp_targetILNS1_3genE2ELNS1_11target_archE906ELNS1_3gpuE6ELNS1_3repE0EEENS1_47radix_sort_onesweep_sort_config_static_selectorELNS0_4arch9wavefront6targetE1EEEvSG_.has_recursion, 0
	.set _ZN7rocprim17ROCPRIM_400000_NS6detail17trampoline_kernelINS0_14default_configENS1_35radix_sort_onesweep_config_selectorIisEEZZNS1_29radix_sort_onesweep_iterationIS3_Lb0EN6thrust23THRUST_200600_302600_NS10device_ptrIiEESA_NS9_IsEESB_jNS0_19identity_decomposerENS1_16block_id_wrapperIjLb1EEEEE10hipError_tT1_PNSt15iterator_traitsISG_E10value_typeET2_T3_PNSH_ISM_E10value_typeET4_T5_PSR_SS_PNS1_23onesweep_lookback_stateEbbT6_jjT7_P12ihipStream_tbENKUlT_T0_SG_SL_E_clISA_SA_SB_SB_EEDaSZ_S10_SG_SL_EUlSZ_E_NS1_11comp_targetILNS1_3genE2ELNS1_11target_archE906ELNS1_3gpuE6ELNS1_3repE0EEENS1_47radix_sort_onesweep_sort_config_static_selectorELNS0_4arch9wavefront6targetE1EEEvSG_.has_indirect_call, 0
	.section	.AMDGPU.csdata,"",@progbits
; Kernel info:
; codeLenInByte = 0
; TotalNumSgprs: 6
; NumVgprs: 0
; NumAgprs: 0
; TotalNumVgprs: 0
; ScratchSize: 0
; MemoryBound: 0
; FloatMode: 240
; IeeeMode: 1
; LDSByteSize: 0 bytes/workgroup (compile time only)
; SGPRBlocks: 0
; VGPRBlocks: 0
; NumSGPRsForWavesPerEU: 6
; NumVGPRsForWavesPerEU: 1
; AccumOffset: 4
; Occupancy: 8
; WaveLimiterHint : 0
; COMPUTE_PGM_RSRC2:SCRATCH_EN: 0
; COMPUTE_PGM_RSRC2:USER_SGPR: 2
; COMPUTE_PGM_RSRC2:TRAP_HANDLER: 0
; COMPUTE_PGM_RSRC2:TGID_X_EN: 1
; COMPUTE_PGM_RSRC2:TGID_Y_EN: 0
; COMPUTE_PGM_RSRC2:TGID_Z_EN: 0
; COMPUTE_PGM_RSRC2:TIDIG_COMP_CNT: 0
; COMPUTE_PGM_RSRC3_GFX90A:ACCUM_OFFSET: 0
; COMPUTE_PGM_RSRC3_GFX90A:TG_SPLIT: 0
	.section	.text._ZN7rocprim17ROCPRIM_400000_NS6detail17trampoline_kernelINS0_14default_configENS1_35radix_sort_onesweep_config_selectorIisEEZZNS1_29radix_sort_onesweep_iterationIS3_Lb0EN6thrust23THRUST_200600_302600_NS10device_ptrIiEESA_NS9_IsEESB_jNS0_19identity_decomposerENS1_16block_id_wrapperIjLb1EEEEE10hipError_tT1_PNSt15iterator_traitsISG_E10value_typeET2_T3_PNSH_ISM_E10value_typeET4_T5_PSR_SS_PNS1_23onesweep_lookback_stateEbbT6_jjT7_P12ihipStream_tbENKUlT_T0_SG_SL_E_clISA_SA_SB_SB_EEDaSZ_S10_SG_SL_EUlSZ_E_NS1_11comp_targetILNS1_3genE4ELNS1_11target_archE910ELNS1_3gpuE8ELNS1_3repE0EEENS1_47radix_sort_onesweep_sort_config_static_selectorELNS0_4arch9wavefront6targetE1EEEvSG_,"axG",@progbits,_ZN7rocprim17ROCPRIM_400000_NS6detail17trampoline_kernelINS0_14default_configENS1_35radix_sort_onesweep_config_selectorIisEEZZNS1_29radix_sort_onesweep_iterationIS3_Lb0EN6thrust23THRUST_200600_302600_NS10device_ptrIiEESA_NS9_IsEESB_jNS0_19identity_decomposerENS1_16block_id_wrapperIjLb1EEEEE10hipError_tT1_PNSt15iterator_traitsISG_E10value_typeET2_T3_PNSH_ISM_E10value_typeET4_T5_PSR_SS_PNS1_23onesweep_lookback_stateEbbT6_jjT7_P12ihipStream_tbENKUlT_T0_SG_SL_E_clISA_SA_SB_SB_EEDaSZ_S10_SG_SL_EUlSZ_E_NS1_11comp_targetILNS1_3genE4ELNS1_11target_archE910ELNS1_3gpuE8ELNS1_3repE0EEENS1_47radix_sort_onesweep_sort_config_static_selectorELNS0_4arch9wavefront6targetE1EEEvSG_,comdat
	.protected	_ZN7rocprim17ROCPRIM_400000_NS6detail17trampoline_kernelINS0_14default_configENS1_35radix_sort_onesweep_config_selectorIisEEZZNS1_29radix_sort_onesweep_iterationIS3_Lb0EN6thrust23THRUST_200600_302600_NS10device_ptrIiEESA_NS9_IsEESB_jNS0_19identity_decomposerENS1_16block_id_wrapperIjLb1EEEEE10hipError_tT1_PNSt15iterator_traitsISG_E10value_typeET2_T3_PNSH_ISM_E10value_typeET4_T5_PSR_SS_PNS1_23onesweep_lookback_stateEbbT6_jjT7_P12ihipStream_tbENKUlT_T0_SG_SL_E_clISA_SA_SB_SB_EEDaSZ_S10_SG_SL_EUlSZ_E_NS1_11comp_targetILNS1_3genE4ELNS1_11target_archE910ELNS1_3gpuE8ELNS1_3repE0EEENS1_47radix_sort_onesweep_sort_config_static_selectorELNS0_4arch9wavefront6targetE1EEEvSG_ ; -- Begin function _ZN7rocprim17ROCPRIM_400000_NS6detail17trampoline_kernelINS0_14default_configENS1_35radix_sort_onesweep_config_selectorIisEEZZNS1_29radix_sort_onesweep_iterationIS3_Lb0EN6thrust23THRUST_200600_302600_NS10device_ptrIiEESA_NS9_IsEESB_jNS0_19identity_decomposerENS1_16block_id_wrapperIjLb1EEEEE10hipError_tT1_PNSt15iterator_traitsISG_E10value_typeET2_T3_PNSH_ISM_E10value_typeET4_T5_PSR_SS_PNS1_23onesweep_lookback_stateEbbT6_jjT7_P12ihipStream_tbENKUlT_T0_SG_SL_E_clISA_SA_SB_SB_EEDaSZ_S10_SG_SL_EUlSZ_E_NS1_11comp_targetILNS1_3genE4ELNS1_11target_archE910ELNS1_3gpuE8ELNS1_3repE0EEENS1_47radix_sort_onesweep_sort_config_static_selectorELNS0_4arch9wavefront6targetE1EEEvSG_
	.globl	_ZN7rocprim17ROCPRIM_400000_NS6detail17trampoline_kernelINS0_14default_configENS1_35radix_sort_onesweep_config_selectorIisEEZZNS1_29radix_sort_onesweep_iterationIS3_Lb0EN6thrust23THRUST_200600_302600_NS10device_ptrIiEESA_NS9_IsEESB_jNS0_19identity_decomposerENS1_16block_id_wrapperIjLb1EEEEE10hipError_tT1_PNSt15iterator_traitsISG_E10value_typeET2_T3_PNSH_ISM_E10value_typeET4_T5_PSR_SS_PNS1_23onesweep_lookback_stateEbbT6_jjT7_P12ihipStream_tbENKUlT_T0_SG_SL_E_clISA_SA_SB_SB_EEDaSZ_S10_SG_SL_EUlSZ_E_NS1_11comp_targetILNS1_3genE4ELNS1_11target_archE910ELNS1_3gpuE8ELNS1_3repE0EEENS1_47radix_sort_onesweep_sort_config_static_selectorELNS0_4arch9wavefront6targetE1EEEvSG_
	.p2align	8
	.type	_ZN7rocprim17ROCPRIM_400000_NS6detail17trampoline_kernelINS0_14default_configENS1_35radix_sort_onesweep_config_selectorIisEEZZNS1_29radix_sort_onesweep_iterationIS3_Lb0EN6thrust23THRUST_200600_302600_NS10device_ptrIiEESA_NS9_IsEESB_jNS0_19identity_decomposerENS1_16block_id_wrapperIjLb1EEEEE10hipError_tT1_PNSt15iterator_traitsISG_E10value_typeET2_T3_PNSH_ISM_E10value_typeET4_T5_PSR_SS_PNS1_23onesweep_lookback_stateEbbT6_jjT7_P12ihipStream_tbENKUlT_T0_SG_SL_E_clISA_SA_SB_SB_EEDaSZ_S10_SG_SL_EUlSZ_E_NS1_11comp_targetILNS1_3genE4ELNS1_11target_archE910ELNS1_3gpuE8ELNS1_3repE0EEENS1_47radix_sort_onesweep_sort_config_static_selectorELNS0_4arch9wavefront6targetE1EEEvSG_,@function
_ZN7rocprim17ROCPRIM_400000_NS6detail17trampoline_kernelINS0_14default_configENS1_35radix_sort_onesweep_config_selectorIisEEZZNS1_29radix_sort_onesweep_iterationIS3_Lb0EN6thrust23THRUST_200600_302600_NS10device_ptrIiEESA_NS9_IsEESB_jNS0_19identity_decomposerENS1_16block_id_wrapperIjLb1EEEEE10hipError_tT1_PNSt15iterator_traitsISG_E10value_typeET2_T3_PNSH_ISM_E10value_typeET4_T5_PSR_SS_PNS1_23onesweep_lookback_stateEbbT6_jjT7_P12ihipStream_tbENKUlT_T0_SG_SL_E_clISA_SA_SB_SB_EEDaSZ_S10_SG_SL_EUlSZ_E_NS1_11comp_targetILNS1_3genE4ELNS1_11target_archE910ELNS1_3gpuE8ELNS1_3repE0EEENS1_47radix_sort_onesweep_sort_config_static_selectorELNS0_4arch9wavefront6targetE1EEEvSG_: ; @_ZN7rocprim17ROCPRIM_400000_NS6detail17trampoline_kernelINS0_14default_configENS1_35radix_sort_onesweep_config_selectorIisEEZZNS1_29radix_sort_onesweep_iterationIS3_Lb0EN6thrust23THRUST_200600_302600_NS10device_ptrIiEESA_NS9_IsEESB_jNS0_19identity_decomposerENS1_16block_id_wrapperIjLb1EEEEE10hipError_tT1_PNSt15iterator_traitsISG_E10value_typeET2_T3_PNSH_ISM_E10value_typeET4_T5_PSR_SS_PNS1_23onesweep_lookback_stateEbbT6_jjT7_P12ihipStream_tbENKUlT_T0_SG_SL_E_clISA_SA_SB_SB_EEDaSZ_S10_SG_SL_EUlSZ_E_NS1_11comp_targetILNS1_3genE4ELNS1_11target_archE910ELNS1_3gpuE8ELNS1_3repE0EEENS1_47radix_sort_onesweep_sort_config_static_selectorELNS0_4arch9wavefront6targetE1EEEvSG_
; %bb.0:
	.section	.rodata,"a",@progbits
	.p2align	6, 0x0
	.amdhsa_kernel _ZN7rocprim17ROCPRIM_400000_NS6detail17trampoline_kernelINS0_14default_configENS1_35radix_sort_onesweep_config_selectorIisEEZZNS1_29radix_sort_onesweep_iterationIS3_Lb0EN6thrust23THRUST_200600_302600_NS10device_ptrIiEESA_NS9_IsEESB_jNS0_19identity_decomposerENS1_16block_id_wrapperIjLb1EEEEE10hipError_tT1_PNSt15iterator_traitsISG_E10value_typeET2_T3_PNSH_ISM_E10value_typeET4_T5_PSR_SS_PNS1_23onesweep_lookback_stateEbbT6_jjT7_P12ihipStream_tbENKUlT_T0_SG_SL_E_clISA_SA_SB_SB_EEDaSZ_S10_SG_SL_EUlSZ_E_NS1_11comp_targetILNS1_3genE4ELNS1_11target_archE910ELNS1_3gpuE8ELNS1_3repE0EEENS1_47radix_sort_onesweep_sort_config_static_selectorELNS0_4arch9wavefront6targetE1EEEvSG_
		.amdhsa_group_segment_fixed_size 0
		.amdhsa_private_segment_fixed_size 0
		.amdhsa_kernarg_size 88
		.amdhsa_user_sgpr_count 2
		.amdhsa_user_sgpr_dispatch_ptr 0
		.amdhsa_user_sgpr_queue_ptr 0
		.amdhsa_user_sgpr_kernarg_segment_ptr 1
		.amdhsa_user_sgpr_dispatch_id 0
		.amdhsa_user_sgpr_kernarg_preload_length 0
		.amdhsa_user_sgpr_kernarg_preload_offset 0
		.amdhsa_user_sgpr_private_segment_size 0
		.amdhsa_uses_dynamic_stack 0
		.amdhsa_enable_private_segment 0
		.amdhsa_system_sgpr_workgroup_id_x 1
		.amdhsa_system_sgpr_workgroup_id_y 0
		.amdhsa_system_sgpr_workgroup_id_z 0
		.amdhsa_system_sgpr_workgroup_info 0
		.amdhsa_system_vgpr_workitem_id 0
		.amdhsa_next_free_vgpr 1
		.amdhsa_next_free_sgpr 0
		.amdhsa_accum_offset 4
		.amdhsa_reserve_vcc 0
		.amdhsa_float_round_mode_32 0
		.amdhsa_float_round_mode_16_64 0
		.amdhsa_float_denorm_mode_32 3
		.amdhsa_float_denorm_mode_16_64 3
		.amdhsa_dx10_clamp 1
		.amdhsa_ieee_mode 1
		.amdhsa_fp16_overflow 0
		.amdhsa_tg_split 0
		.amdhsa_exception_fp_ieee_invalid_op 0
		.amdhsa_exception_fp_denorm_src 0
		.amdhsa_exception_fp_ieee_div_zero 0
		.amdhsa_exception_fp_ieee_overflow 0
		.amdhsa_exception_fp_ieee_underflow 0
		.amdhsa_exception_fp_ieee_inexact 0
		.amdhsa_exception_int_div_zero 0
	.end_amdhsa_kernel
	.section	.text._ZN7rocprim17ROCPRIM_400000_NS6detail17trampoline_kernelINS0_14default_configENS1_35radix_sort_onesweep_config_selectorIisEEZZNS1_29radix_sort_onesweep_iterationIS3_Lb0EN6thrust23THRUST_200600_302600_NS10device_ptrIiEESA_NS9_IsEESB_jNS0_19identity_decomposerENS1_16block_id_wrapperIjLb1EEEEE10hipError_tT1_PNSt15iterator_traitsISG_E10value_typeET2_T3_PNSH_ISM_E10value_typeET4_T5_PSR_SS_PNS1_23onesweep_lookback_stateEbbT6_jjT7_P12ihipStream_tbENKUlT_T0_SG_SL_E_clISA_SA_SB_SB_EEDaSZ_S10_SG_SL_EUlSZ_E_NS1_11comp_targetILNS1_3genE4ELNS1_11target_archE910ELNS1_3gpuE8ELNS1_3repE0EEENS1_47radix_sort_onesweep_sort_config_static_selectorELNS0_4arch9wavefront6targetE1EEEvSG_,"axG",@progbits,_ZN7rocprim17ROCPRIM_400000_NS6detail17trampoline_kernelINS0_14default_configENS1_35radix_sort_onesweep_config_selectorIisEEZZNS1_29radix_sort_onesweep_iterationIS3_Lb0EN6thrust23THRUST_200600_302600_NS10device_ptrIiEESA_NS9_IsEESB_jNS0_19identity_decomposerENS1_16block_id_wrapperIjLb1EEEEE10hipError_tT1_PNSt15iterator_traitsISG_E10value_typeET2_T3_PNSH_ISM_E10value_typeET4_T5_PSR_SS_PNS1_23onesweep_lookback_stateEbbT6_jjT7_P12ihipStream_tbENKUlT_T0_SG_SL_E_clISA_SA_SB_SB_EEDaSZ_S10_SG_SL_EUlSZ_E_NS1_11comp_targetILNS1_3genE4ELNS1_11target_archE910ELNS1_3gpuE8ELNS1_3repE0EEENS1_47radix_sort_onesweep_sort_config_static_selectorELNS0_4arch9wavefront6targetE1EEEvSG_,comdat
.Lfunc_end2444:
	.size	_ZN7rocprim17ROCPRIM_400000_NS6detail17trampoline_kernelINS0_14default_configENS1_35radix_sort_onesweep_config_selectorIisEEZZNS1_29radix_sort_onesweep_iterationIS3_Lb0EN6thrust23THRUST_200600_302600_NS10device_ptrIiEESA_NS9_IsEESB_jNS0_19identity_decomposerENS1_16block_id_wrapperIjLb1EEEEE10hipError_tT1_PNSt15iterator_traitsISG_E10value_typeET2_T3_PNSH_ISM_E10value_typeET4_T5_PSR_SS_PNS1_23onesweep_lookback_stateEbbT6_jjT7_P12ihipStream_tbENKUlT_T0_SG_SL_E_clISA_SA_SB_SB_EEDaSZ_S10_SG_SL_EUlSZ_E_NS1_11comp_targetILNS1_3genE4ELNS1_11target_archE910ELNS1_3gpuE8ELNS1_3repE0EEENS1_47radix_sort_onesweep_sort_config_static_selectorELNS0_4arch9wavefront6targetE1EEEvSG_, .Lfunc_end2444-_ZN7rocprim17ROCPRIM_400000_NS6detail17trampoline_kernelINS0_14default_configENS1_35radix_sort_onesweep_config_selectorIisEEZZNS1_29radix_sort_onesweep_iterationIS3_Lb0EN6thrust23THRUST_200600_302600_NS10device_ptrIiEESA_NS9_IsEESB_jNS0_19identity_decomposerENS1_16block_id_wrapperIjLb1EEEEE10hipError_tT1_PNSt15iterator_traitsISG_E10value_typeET2_T3_PNSH_ISM_E10value_typeET4_T5_PSR_SS_PNS1_23onesweep_lookback_stateEbbT6_jjT7_P12ihipStream_tbENKUlT_T0_SG_SL_E_clISA_SA_SB_SB_EEDaSZ_S10_SG_SL_EUlSZ_E_NS1_11comp_targetILNS1_3genE4ELNS1_11target_archE910ELNS1_3gpuE8ELNS1_3repE0EEENS1_47radix_sort_onesweep_sort_config_static_selectorELNS0_4arch9wavefront6targetE1EEEvSG_
                                        ; -- End function
	.set _ZN7rocprim17ROCPRIM_400000_NS6detail17trampoline_kernelINS0_14default_configENS1_35radix_sort_onesweep_config_selectorIisEEZZNS1_29radix_sort_onesweep_iterationIS3_Lb0EN6thrust23THRUST_200600_302600_NS10device_ptrIiEESA_NS9_IsEESB_jNS0_19identity_decomposerENS1_16block_id_wrapperIjLb1EEEEE10hipError_tT1_PNSt15iterator_traitsISG_E10value_typeET2_T3_PNSH_ISM_E10value_typeET4_T5_PSR_SS_PNS1_23onesweep_lookback_stateEbbT6_jjT7_P12ihipStream_tbENKUlT_T0_SG_SL_E_clISA_SA_SB_SB_EEDaSZ_S10_SG_SL_EUlSZ_E_NS1_11comp_targetILNS1_3genE4ELNS1_11target_archE910ELNS1_3gpuE8ELNS1_3repE0EEENS1_47radix_sort_onesweep_sort_config_static_selectorELNS0_4arch9wavefront6targetE1EEEvSG_.num_vgpr, 0
	.set _ZN7rocprim17ROCPRIM_400000_NS6detail17trampoline_kernelINS0_14default_configENS1_35radix_sort_onesweep_config_selectorIisEEZZNS1_29radix_sort_onesweep_iterationIS3_Lb0EN6thrust23THRUST_200600_302600_NS10device_ptrIiEESA_NS9_IsEESB_jNS0_19identity_decomposerENS1_16block_id_wrapperIjLb1EEEEE10hipError_tT1_PNSt15iterator_traitsISG_E10value_typeET2_T3_PNSH_ISM_E10value_typeET4_T5_PSR_SS_PNS1_23onesweep_lookback_stateEbbT6_jjT7_P12ihipStream_tbENKUlT_T0_SG_SL_E_clISA_SA_SB_SB_EEDaSZ_S10_SG_SL_EUlSZ_E_NS1_11comp_targetILNS1_3genE4ELNS1_11target_archE910ELNS1_3gpuE8ELNS1_3repE0EEENS1_47radix_sort_onesweep_sort_config_static_selectorELNS0_4arch9wavefront6targetE1EEEvSG_.num_agpr, 0
	.set _ZN7rocprim17ROCPRIM_400000_NS6detail17trampoline_kernelINS0_14default_configENS1_35radix_sort_onesweep_config_selectorIisEEZZNS1_29radix_sort_onesweep_iterationIS3_Lb0EN6thrust23THRUST_200600_302600_NS10device_ptrIiEESA_NS9_IsEESB_jNS0_19identity_decomposerENS1_16block_id_wrapperIjLb1EEEEE10hipError_tT1_PNSt15iterator_traitsISG_E10value_typeET2_T3_PNSH_ISM_E10value_typeET4_T5_PSR_SS_PNS1_23onesweep_lookback_stateEbbT6_jjT7_P12ihipStream_tbENKUlT_T0_SG_SL_E_clISA_SA_SB_SB_EEDaSZ_S10_SG_SL_EUlSZ_E_NS1_11comp_targetILNS1_3genE4ELNS1_11target_archE910ELNS1_3gpuE8ELNS1_3repE0EEENS1_47radix_sort_onesweep_sort_config_static_selectorELNS0_4arch9wavefront6targetE1EEEvSG_.numbered_sgpr, 0
	.set _ZN7rocprim17ROCPRIM_400000_NS6detail17trampoline_kernelINS0_14default_configENS1_35radix_sort_onesweep_config_selectorIisEEZZNS1_29radix_sort_onesweep_iterationIS3_Lb0EN6thrust23THRUST_200600_302600_NS10device_ptrIiEESA_NS9_IsEESB_jNS0_19identity_decomposerENS1_16block_id_wrapperIjLb1EEEEE10hipError_tT1_PNSt15iterator_traitsISG_E10value_typeET2_T3_PNSH_ISM_E10value_typeET4_T5_PSR_SS_PNS1_23onesweep_lookback_stateEbbT6_jjT7_P12ihipStream_tbENKUlT_T0_SG_SL_E_clISA_SA_SB_SB_EEDaSZ_S10_SG_SL_EUlSZ_E_NS1_11comp_targetILNS1_3genE4ELNS1_11target_archE910ELNS1_3gpuE8ELNS1_3repE0EEENS1_47radix_sort_onesweep_sort_config_static_selectorELNS0_4arch9wavefront6targetE1EEEvSG_.num_named_barrier, 0
	.set _ZN7rocprim17ROCPRIM_400000_NS6detail17trampoline_kernelINS0_14default_configENS1_35radix_sort_onesweep_config_selectorIisEEZZNS1_29radix_sort_onesweep_iterationIS3_Lb0EN6thrust23THRUST_200600_302600_NS10device_ptrIiEESA_NS9_IsEESB_jNS0_19identity_decomposerENS1_16block_id_wrapperIjLb1EEEEE10hipError_tT1_PNSt15iterator_traitsISG_E10value_typeET2_T3_PNSH_ISM_E10value_typeET4_T5_PSR_SS_PNS1_23onesweep_lookback_stateEbbT6_jjT7_P12ihipStream_tbENKUlT_T0_SG_SL_E_clISA_SA_SB_SB_EEDaSZ_S10_SG_SL_EUlSZ_E_NS1_11comp_targetILNS1_3genE4ELNS1_11target_archE910ELNS1_3gpuE8ELNS1_3repE0EEENS1_47radix_sort_onesweep_sort_config_static_selectorELNS0_4arch9wavefront6targetE1EEEvSG_.private_seg_size, 0
	.set _ZN7rocprim17ROCPRIM_400000_NS6detail17trampoline_kernelINS0_14default_configENS1_35radix_sort_onesweep_config_selectorIisEEZZNS1_29radix_sort_onesweep_iterationIS3_Lb0EN6thrust23THRUST_200600_302600_NS10device_ptrIiEESA_NS9_IsEESB_jNS0_19identity_decomposerENS1_16block_id_wrapperIjLb1EEEEE10hipError_tT1_PNSt15iterator_traitsISG_E10value_typeET2_T3_PNSH_ISM_E10value_typeET4_T5_PSR_SS_PNS1_23onesweep_lookback_stateEbbT6_jjT7_P12ihipStream_tbENKUlT_T0_SG_SL_E_clISA_SA_SB_SB_EEDaSZ_S10_SG_SL_EUlSZ_E_NS1_11comp_targetILNS1_3genE4ELNS1_11target_archE910ELNS1_3gpuE8ELNS1_3repE0EEENS1_47radix_sort_onesweep_sort_config_static_selectorELNS0_4arch9wavefront6targetE1EEEvSG_.uses_vcc, 0
	.set _ZN7rocprim17ROCPRIM_400000_NS6detail17trampoline_kernelINS0_14default_configENS1_35radix_sort_onesweep_config_selectorIisEEZZNS1_29radix_sort_onesweep_iterationIS3_Lb0EN6thrust23THRUST_200600_302600_NS10device_ptrIiEESA_NS9_IsEESB_jNS0_19identity_decomposerENS1_16block_id_wrapperIjLb1EEEEE10hipError_tT1_PNSt15iterator_traitsISG_E10value_typeET2_T3_PNSH_ISM_E10value_typeET4_T5_PSR_SS_PNS1_23onesweep_lookback_stateEbbT6_jjT7_P12ihipStream_tbENKUlT_T0_SG_SL_E_clISA_SA_SB_SB_EEDaSZ_S10_SG_SL_EUlSZ_E_NS1_11comp_targetILNS1_3genE4ELNS1_11target_archE910ELNS1_3gpuE8ELNS1_3repE0EEENS1_47radix_sort_onesweep_sort_config_static_selectorELNS0_4arch9wavefront6targetE1EEEvSG_.uses_flat_scratch, 0
	.set _ZN7rocprim17ROCPRIM_400000_NS6detail17trampoline_kernelINS0_14default_configENS1_35radix_sort_onesweep_config_selectorIisEEZZNS1_29radix_sort_onesweep_iterationIS3_Lb0EN6thrust23THRUST_200600_302600_NS10device_ptrIiEESA_NS9_IsEESB_jNS0_19identity_decomposerENS1_16block_id_wrapperIjLb1EEEEE10hipError_tT1_PNSt15iterator_traitsISG_E10value_typeET2_T3_PNSH_ISM_E10value_typeET4_T5_PSR_SS_PNS1_23onesweep_lookback_stateEbbT6_jjT7_P12ihipStream_tbENKUlT_T0_SG_SL_E_clISA_SA_SB_SB_EEDaSZ_S10_SG_SL_EUlSZ_E_NS1_11comp_targetILNS1_3genE4ELNS1_11target_archE910ELNS1_3gpuE8ELNS1_3repE0EEENS1_47radix_sort_onesweep_sort_config_static_selectorELNS0_4arch9wavefront6targetE1EEEvSG_.has_dyn_sized_stack, 0
	.set _ZN7rocprim17ROCPRIM_400000_NS6detail17trampoline_kernelINS0_14default_configENS1_35radix_sort_onesweep_config_selectorIisEEZZNS1_29radix_sort_onesweep_iterationIS3_Lb0EN6thrust23THRUST_200600_302600_NS10device_ptrIiEESA_NS9_IsEESB_jNS0_19identity_decomposerENS1_16block_id_wrapperIjLb1EEEEE10hipError_tT1_PNSt15iterator_traitsISG_E10value_typeET2_T3_PNSH_ISM_E10value_typeET4_T5_PSR_SS_PNS1_23onesweep_lookback_stateEbbT6_jjT7_P12ihipStream_tbENKUlT_T0_SG_SL_E_clISA_SA_SB_SB_EEDaSZ_S10_SG_SL_EUlSZ_E_NS1_11comp_targetILNS1_3genE4ELNS1_11target_archE910ELNS1_3gpuE8ELNS1_3repE0EEENS1_47radix_sort_onesweep_sort_config_static_selectorELNS0_4arch9wavefront6targetE1EEEvSG_.has_recursion, 0
	.set _ZN7rocprim17ROCPRIM_400000_NS6detail17trampoline_kernelINS0_14default_configENS1_35radix_sort_onesweep_config_selectorIisEEZZNS1_29radix_sort_onesweep_iterationIS3_Lb0EN6thrust23THRUST_200600_302600_NS10device_ptrIiEESA_NS9_IsEESB_jNS0_19identity_decomposerENS1_16block_id_wrapperIjLb1EEEEE10hipError_tT1_PNSt15iterator_traitsISG_E10value_typeET2_T3_PNSH_ISM_E10value_typeET4_T5_PSR_SS_PNS1_23onesweep_lookback_stateEbbT6_jjT7_P12ihipStream_tbENKUlT_T0_SG_SL_E_clISA_SA_SB_SB_EEDaSZ_S10_SG_SL_EUlSZ_E_NS1_11comp_targetILNS1_3genE4ELNS1_11target_archE910ELNS1_3gpuE8ELNS1_3repE0EEENS1_47radix_sort_onesweep_sort_config_static_selectorELNS0_4arch9wavefront6targetE1EEEvSG_.has_indirect_call, 0
	.section	.AMDGPU.csdata,"",@progbits
; Kernel info:
; codeLenInByte = 0
; TotalNumSgprs: 6
; NumVgprs: 0
; NumAgprs: 0
; TotalNumVgprs: 0
; ScratchSize: 0
; MemoryBound: 0
; FloatMode: 240
; IeeeMode: 1
; LDSByteSize: 0 bytes/workgroup (compile time only)
; SGPRBlocks: 0
; VGPRBlocks: 0
; NumSGPRsForWavesPerEU: 6
; NumVGPRsForWavesPerEU: 1
; AccumOffset: 4
; Occupancy: 8
; WaveLimiterHint : 0
; COMPUTE_PGM_RSRC2:SCRATCH_EN: 0
; COMPUTE_PGM_RSRC2:USER_SGPR: 2
; COMPUTE_PGM_RSRC2:TRAP_HANDLER: 0
; COMPUTE_PGM_RSRC2:TGID_X_EN: 1
; COMPUTE_PGM_RSRC2:TGID_Y_EN: 0
; COMPUTE_PGM_RSRC2:TGID_Z_EN: 0
; COMPUTE_PGM_RSRC2:TIDIG_COMP_CNT: 0
; COMPUTE_PGM_RSRC3_GFX90A:ACCUM_OFFSET: 0
; COMPUTE_PGM_RSRC3_GFX90A:TG_SPLIT: 0
	.section	.text._ZN7rocprim17ROCPRIM_400000_NS6detail17trampoline_kernelINS0_14default_configENS1_35radix_sort_onesweep_config_selectorIisEEZZNS1_29radix_sort_onesweep_iterationIS3_Lb0EN6thrust23THRUST_200600_302600_NS10device_ptrIiEESA_NS9_IsEESB_jNS0_19identity_decomposerENS1_16block_id_wrapperIjLb1EEEEE10hipError_tT1_PNSt15iterator_traitsISG_E10value_typeET2_T3_PNSH_ISM_E10value_typeET4_T5_PSR_SS_PNS1_23onesweep_lookback_stateEbbT6_jjT7_P12ihipStream_tbENKUlT_T0_SG_SL_E_clISA_SA_SB_SB_EEDaSZ_S10_SG_SL_EUlSZ_E_NS1_11comp_targetILNS1_3genE3ELNS1_11target_archE908ELNS1_3gpuE7ELNS1_3repE0EEENS1_47radix_sort_onesweep_sort_config_static_selectorELNS0_4arch9wavefront6targetE1EEEvSG_,"axG",@progbits,_ZN7rocprim17ROCPRIM_400000_NS6detail17trampoline_kernelINS0_14default_configENS1_35radix_sort_onesweep_config_selectorIisEEZZNS1_29radix_sort_onesweep_iterationIS3_Lb0EN6thrust23THRUST_200600_302600_NS10device_ptrIiEESA_NS9_IsEESB_jNS0_19identity_decomposerENS1_16block_id_wrapperIjLb1EEEEE10hipError_tT1_PNSt15iterator_traitsISG_E10value_typeET2_T3_PNSH_ISM_E10value_typeET4_T5_PSR_SS_PNS1_23onesweep_lookback_stateEbbT6_jjT7_P12ihipStream_tbENKUlT_T0_SG_SL_E_clISA_SA_SB_SB_EEDaSZ_S10_SG_SL_EUlSZ_E_NS1_11comp_targetILNS1_3genE3ELNS1_11target_archE908ELNS1_3gpuE7ELNS1_3repE0EEENS1_47radix_sort_onesweep_sort_config_static_selectorELNS0_4arch9wavefront6targetE1EEEvSG_,comdat
	.protected	_ZN7rocprim17ROCPRIM_400000_NS6detail17trampoline_kernelINS0_14default_configENS1_35radix_sort_onesweep_config_selectorIisEEZZNS1_29radix_sort_onesweep_iterationIS3_Lb0EN6thrust23THRUST_200600_302600_NS10device_ptrIiEESA_NS9_IsEESB_jNS0_19identity_decomposerENS1_16block_id_wrapperIjLb1EEEEE10hipError_tT1_PNSt15iterator_traitsISG_E10value_typeET2_T3_PNSH_ISM_E10value_typeET4_T5_PSR_SS_PNS1_23onesweep_lookback_stateEbbT6_jjT7_P12ihipStream_tbENKUlT_T0_SG_SL_E_clISA_SA_SB_SB_EEDaSZ_S10_SG_SL_EUlSZ_E_NS1_11comp_targetILNS1_3genE3ELNS1_11target_archE908ELNS1_3gpuE7ELNS1_3repE0EEENS1_47radix_sort_onesweep_sort_config_static_selectorELNS0_4arch9wavefront6targetE1EEEvSG_ ; -- Begin function _ZN7rocprim17ROCPRIM_400000_NS6detail17trampoline_kernelINS0_14default_configENS1_35radix_sort_onesweep_config_selectorIisEEZZNS1_29radix_sort_onesweep_iterationIS3_Lb0EN6thrust23THRUST_200600_302600_NS10device_ptrIiEESA_NS9_IsEESB_jNS0_19identity_decomposerENS1_16block_id_wrapperIjLb1EEEEE10hipError_tT1_PNSt15iterator_traitsISG_E10value_typeET2_T3_PNSH_ISM_E10value_typeET4_T5_PSR_SS_PNS1_23onesweep_lookback_stateEbbT6_jjT7_P12ihipStream_tbENKUlT_T0_SG_SL_E_clISA_SA_SB_SB_EEDaSZ_S10_SG_SL_EUlSZ_E_NS1_11comp_targetILNS1_3genE3ELNS1_11target_archE908ELNS1_3gpuE7ELNS1_3repE0EEENS1_47radix_sort_onesweep_sort_config_static_selectorELNS0_4arch9wavefront6targetE1EEEvSG_
	.globl	_ZN7rocprim17ROCPRIM_400000_NS6detail17trampoline_kernelINS0_14default_configENS1_35radix_sort_onesweep_config_selectorIisEEZZNS1_29radix_sort_onesweep_iterationIS3_Lb0EN6thrust23THRUST_200600_302600_NS10device_ptrIiEESA_NS9_IsEESB_jNS0_19identity_decomposerENS1_16block_id_wrapperIjLb1EEEEE10hipError_tT1_PNSt15iterator_traitsISG_E10value_typeET2_T3_PNSH_ISM_E10value_typeET4_T5_PSR_SS_PNS1_23onesweep_lookback_stateEbbT6_jjT7_P12ihipStream_tbENKUlT_T0_SG_SL_E_clISA_SA_SB_SB_EEDaSZ_S10_SG_SL_EUlSZ_E_NS1_11comp_targetILNS1_3genE3ELNS1_11target_archE908ELNS1_3gpuE7ELNS1_3repE0EEENS1_47radix_sort_onesweep_sort_config_static_selectorELNS0_4arch9wavefront6targetE1EEEvSG_
	.p2align	8
	.type	_ZN7rocprim17ROCPRIM_400000_NS6detail17trampoline_kernelINS0_14default_configENS1_35radix_sort_onesweep_config_selectorIisEEZZNS1_29radix_sort_onesweep_iterationIS3_Lb0EN6thrust23THRUST_200600_302600_NS10device_ptrIiEESA_NS9_IsEESB_jNS0_19identity_decomposerENS1_16block_id_wrapperIjLb1EEEEE10hipError_tT1_PNSt15iterator_traitsISG_E10value_typeET2_T3_PNSH_ISM_E10value_typeET4_T5_PSR_SS_PNS1_23onesweep_lookback_stateEbbT6_jjT7_P12ihipStream_tbENKUlT_T0_SG_SL_E_clISA_SA_SB_SB_EEDaSZ_S10_SG_SL_EUlSZ_E_NS1_11comp_targetILNS1_3genE3ELNS1_11target_archE908ELNS1_3gpuE7ELNS1_3repE0EEENS1_47radix_sort_onesweep_sort_config_static_selectorELNS0_4arch9wavefront6targetE1EEEvSG_,@function
_ZN7rocprim17ROCPRIM_400000_NS6detail17trampoline_kernelINS0_14default_configENS1_35radix_sort_onesweep_config_selectorIisEEZZNS1_29radix_sort_onesweep_iterationIS3_Lb0EN6thrust23THRUST_200600_302600_NS10device_ptrIiEESA_NS9_IsEESB_jNS0_19identity_decomposerENS1_16block_id_wrapperIjLb1EEEEE10hipError_tT1_PNSt15iterator_traitsISG_E10value_typeET2_T3_PNSH_ISM_E10value_typeET4_T5_PSR_SS_PNS1_23onesweep_lookback_stateEbbT6_jjT7_P12ihipStream_tbENKUlT_T0_SG_SL_E_clISA_SA_SB_SB_EEDaSZ_S10_SG_SL_EUlSZ_E_NS1_11comp_targetILNS1_3genE3ELNS1_11target_archE908ELNS1_3gpuE7ELNS1_3repE0EEENS1_47radix_sort_onesweep_sort_config_static_selectorELNS0_4arch9wavefront6targetE1EEEvSG_: ; @_ZN7rocprim17ROCPRIM_400000_NS6detail17trampoline_kernelINS0_14default_configENS1_35radix_sort_onesweep_config_selectorIisEEZZNS1_29radix_sort_onesweep_iterationIS3_Lb0EN6thrust23THRUST_200600_302600_NS10device_ptrIiEESA_NS9_IsEESB_jNS0_19identity_decomposerENS1_16block_id_wrapperIjLb1EEEEE10hipError_tT1_PNSt15iterator_traitsISG_E10value_typeET2_T3_PNSH_ISM_E10value_typeET4_T5_PSR_SS_PNS1_23onesweep_lookback_stateEbbT6_jjT7_P12ihipStream_tbENKUlT_T0_SG_SL_E_clISA_SA_SB_SB_EEDaSZ_S10_SG_SL_EUlSZ_E_NS1_11comp_targetILNS1_3genE3ELNS1_11target_archE908ELNS1_3gpuE7ELNS1_3repE0EEENS1_47radix_sort_onesweep_sort_config_static_selectorELNS0_4arch9wavefront6targetE1EEEvSG_
; %bb.0:
	.section	.rodata,"a",@progbits
	.p2align	6, 0x0
	.amdhsa_kernel _ZN7rocprim17ROCPRIM_400000_NS6detail17trampoline_kernelINS0_14default_configENS1_35radix_sort_onesweep_config_selectorIisEEZZNS1_29radix_sort_onesweep_iterationIS3_Lb0EN6thrust23THRUST_200600_302600_NS10device_ptrIiEESA_NS9_IsEESB_jNS0_19identity_decomposerENS1_16block_id_wrapperIjLb1EEEEE10hipError_tT1_PNSt15iterator_traitsISG_E10value_typeET2_T3_PNSH_ISM_E10value_typeET4_T5_PSR_SS_PNS1_23onesweep_lookback_stateEbbT6_jjT7_P12ihipStream_tbENKUlT_T0_SG_SL_E_clISA_SA_SB_SB_EEDaSZ_S10_SG_SL_EUlSZ_E_NS1_11comp_targetILNS1_3genE3ELNS1_11target_archE908ELNS1_3gpuE7ELNS1_3repE0EEENS1_47radix_sort_onesweep_sort_config_static_selectorELNS0_4arch9wavefront6targetE1EEEvSG_
		.amdhsa_group_segment_fixed_size 0
		.amdhsa_private_segment_fixed_size 0
		.amdhsa_kernarg_size 88
		.amdhsa_user_sgpr_count 2
		.amdhsa_user_sgpr_dispatch_ptr 0
		.amdhsa_user_sgpr_queue_ptr 0
		.amdhsa_user_sgpr_kernarg_segment_ptr 1
		.amdhsa_user_sgpr_dispatch_id 0
		.amdhsa_user_sgpr_kernarg_preload_length 0
		.amdhsa_user_sgpr_kernarg_preload_offset 0
		.amdhsa_user_sgpr_private_segment_size 0
		.amdhsa_uses_dynamic_stack 0
		.amdhsa_enable_private_segment 0
		.amdhsa_system_sgpr_workgroup_id_x 1
		.amdhsa_system_sgpr_workgroup_id_y 0
		.amdhsa_system_sgpr_workgroup_id_z 0
		.amdhsa_system_sgpr_workgroup_info 0
		.amdhsa_system_vgpr_workitem_id 0
		.amdhsa_next_free_vgpr 1
		.amdhsa_next_free_sgpr 0
		.amdhsa_accum_offset 4
		.amdhsa_reserve_vcc 0
		.amdhsa_float_round_mode_32 0
		.amdhsa_float_round_mode_16_64 0
		.amdhsa_float_denorm_mode_32 3
		.amdhsa_float_denorm_mode_16_64 3
		.amdhsa_dx10_clamp 1
		.amdhsa_ieee_mode 1
		.amdhsa_fp16_overflow 0
		.amdhsa_tg_split 0
		.amdhsa_exception_fp_ieee_invalid_op 0
		.amdhsa_exception_fp_denorm_src 0
		.amdhsa_exception_fp_ieee_div_zero 0
		.amdhsa_exception_fp_ieee_overflow 0
		.amdhsa_exception_fp_ieee_underflow 0
		.amdhsa_exception_fp_ieee_inexact 0
		.amdhsa_exception_int_div_zero 0
	.end_amdhsa_kernel
	.section	.text._ZN7rocprim17ROCPRIM_400000_NS6detail17trampoline_kernelINS0_14default_configENS1_35radix_sort_onesweep_config_selectorIisEEZZNS1_29radix_sort_onesweep_iterationIS3_Lb0EN6thrust23THRUST_200600_302600_NS10device_ptrIiEESA_NS9_IsEESB_jNS0_19identity_decomposerENS1_16block_id_wrapperIjLb1EEEEE10hipError_tT1_PNSt15iterator_traitsISG_E10value_typeET2_T3_PNSH_ISM_E10value_typeET4_T5_PSR_SS_PNS1_23onesweep_lookback_stateEbbT6_jjT7_P12ihipStream_tbENKUlT_T0_SG_SL_E_clISA_SA_SB_SB_EEDaSZ_S10_SG_SL_EUlSZ_E_NS1_11comp_targetILNS1_3genE3ELNS1_11target_archE908ELNS1_3gpuE7ELNS1_3repE0EEENS1_47radix_sort_onesweep_sort_config_static_selectorELNS0_4arch9wavefront6targetE1EEEvSG_,"axG",@progbits,_ZN7rocprim17ROCPRIM_400000_NS6detail17trampoline_kernelINS0_14default_configENS1_35radix_sort_onesweep_config_selectorIisEEZZNS1_29radix_sort_onesweep_iterationIS3_Lb0EN6thrust23THRUST_200600_302600_NS10device_ptrIiEESA_NS9_IsEESB_jNS0_19identity_decomposerENS1_16block_id_wrapperIjLb1EEEEE10hipError_tT1_PNSt15iterator_traitsISG_E10value_typeET2_T3_PNSH_ISM_E10value_typeET4_T5_PSR_SS_PNS1_23onesweep_lookback_stateEbbT6_jjT7_P12ihipStream_tbENKUlT_T0_SG_SL_E_clISA_SA_SB_SB_EEDaSZ_S10_SG_SL_EUlSZ_E_NS1_11comp_targetILNS1_3genE3ELNS1_11target_archE908ELNS1_3gpuE7ELNS1_3repE0EEENS1_47radix_sort_onesweep_sort_config_static_selectorELNS0_4arch9wavefront6targetE1EEEvSG_,comdat
.Lfunc_end2445:
	.size	_ZN7rocprim17ROCPRIM_400000_NS6detail17trampoline_kernelINS0_14default_configENS1_35radix_sort_onesweep_config_selectorIisEEZZNS1_29radix_sort_onesweep_iterationIS3_Lb0EN6thrust23THRUST_200600_302600_NS10device_ptrIiEESA_NS9_IsEESB_jNS0_19identity_decomposerENS1_16block_id_wrapperIjLb1EEEEE10hipError_tT1_PNSt15iterator_traitsISG_E10value_typeET2_T3_PNSH_ISM_E10value_typeET4_T5_PSR_SS_PNS1_23onesweep_lookback_stateEbbT6_jjT7_P12ihipStream_tbENKUlT_T0_SG_SL_E_clISA_SA_SB_SB_EEDaSZ_S10_SG_SL_EUlSZ_E_NS1_11comp_targetILNS1_3genE3ELNS1_11target_archE908ELNS1_3gpuE7ELNS1_3repE0EEENS1_47radix_sort_onesweep_sort_config_static_selectorELNS0_4arch9wavefront6targetE1EEEvSG_, .Lfunc_end2445-_ZN7rocprim17ROCPRIM_400000_NS6detail17trampoline_kernelINS0_14default_configENS1_35radix_sort_onesweep_config_selectorIisEEZZNS1_29radix_sort_onesweep_iterationIS3_Lb0EN6thrust23THRUST_200600_302600_NS10device_ptrIiEESA_NS9_IsEESB_jNS0_19identity_decomposerENS1_16block_id_wrapperIjLb1EEEEE10hipError_tT1_PNSt15iterator_traitsISG_E10value_typeET2_T3_PNSH_ISM_E10value_typeET4_T5_PSR_SS_PNS1_23onesweep_lookback_stateEbbT6_jjT7_P12ihipStream_tbENKUlT_T0_SG_SL_E_clISA_SA_SB_SB_EEDaSZ_S10_SG_SL_EUlSZ_E_NS1_11comp_targetILNS1_3genE3ELNS1_11target_archE908ELNS1_3gpuE7ELNS1_3repE0EEENS1_47radix_sort_onesweep_sort_config_static_selectorELNS0_4arch9wavefront6targetE1EEEvSG_
                                        ; -- End function
	.set _ZN7rocprim17ROCPRIM_400000_NS6detail17trampoline_kernelINS0_14default_configENS1_35radix_sort_onesweep_config_selectorIisEEZZNS1_29radix_sort_onesweep_iterationIS3_Lb0EN6thrust23THRUST_200600_302600_NS10device_ptrIiEESA_NS9_IsEESB_jNS0_19identity_decomposerENS1_16block_id_wrapperIjLb1EEEEE10hipError_tT1_PNSt15iterator_traitsISG_E10value_typeET2_T3_PNSH_ISM_E10value_typeET4_T5_PSR_SS_PNS1_23onesweep_lookback_stateEbbT6_jjT7_P12ihipStream_tbENKUlT_T0_SG_SL_E_clISA_SA_SB_SB_EEDaSZ_S10_SG_SL_EUlSZ_E_NS1_11comp_targetILNS1_3genE3ELNS1_11target_archE908ELNS1_3gpuE7ELNS1_3repE0EEENS1_47radix_sort_onesweep_sort_config_static_selectorELNS0_4arch9wavefront6targetE1EEEvSG_.num_vgpr, 0
	.set _ZN7rocprim17ROCPRIM_400000_NS6detail17trampoline_kernelINS0_14default_configENS1_35radix_sort_onesweep_config_selectorIisEEZZNS1_29radix_sort_onesweep_iterationIS3_Lb0EN6thrust23THRUST_200600_302600_NS10device_ptrIiEESA_NS9_IsEESB_jNS0_19identity_decomposerENS1_16block_id_wrapperIjLb1EEEEE10hipError_tT1_PNSt15iterator_traitsISG_E10value_typeET2_T3_PNSH_ISM_E10value_typeET4_T5_PSR_SS_PNS1_23onesweep_lookback_stateEbbT6_jjT7_P12ihipStream_tbENKUlT_T0_SG_SL_E_clISA_SA_SB_SB_EEDaSZ_S10_SG_SL_EUlSZ_E_NS1_11comp_targetILNS1_3genE3ELNS1_11target_archE908ELNS1_3gpuE7ELNS1_3repE0EEENS1_47radix_sort_onesweep_sort_config_static_selectorELNS0_4arch9wavefront6targetE1EEEvSG_.num_agpr, 0
	.set _ZN7rocprim17ROCPRIM_400000_NS6detail17trampoline_kernelINS0_14default_configENS1_35radix_sort_onesweep_config_selectorIisEEZZNS1_29radix_sort_onesweep_iterationIS3_Lb0EN6thrust23THRUST_200600_302600_NS10device_ptrIiEESA_NS9_IsEESB_jNS0_19identity_decomposerENS1_16block_id_wrapperIjLb1EEEEE10hipError_tT1_PNSt15iterator_traitsISG_E10value_typeET2_T3_PNSH_ISM_E10value_typeET4_T5_PSR_SS_PNS1_23onesweep_lookback_stateEbbT6_jjT7_P12ihipStream_tbENKUlT_T0_SG_SL_E_clISA_SA_SB_SB_EEDaSZ_S10_SG_SL_EUlSZ_E_NS1_11comp_targetILNS1_3genE3ELNS1_11target_archE908ELNS1_3gpuE7ELNS1_3repE0EEENS1_47radix_sort_onesweep_sort_config_static_selectorELNS0_4arch9wavefront6targetE1EEEvSG_.numbered_sgpr, 0
	.set _ZN7rocprim17ROCPRIM_400000_NS6detail17trampoline_kernelINS0_14default_configENS1_35radix_sort_onesweep_config_selectorIisEEZZNS1_29radix_sort_onesweep_iterationIS3_Lb0EN6thrust23THRUST_200600_302600_NS10device_ptrIiEESA_NS9_IsEESB_jNS0_19identity_decomposerENS1_16block_id_wrapperIjLb1EEEEE10hipError_tT1_PNSt15iterator_traitsISG_E10value_typeET2_T3_PNSH_ISM_E10value_typeET4_T5_PSR_SS_PNS1_23onesweep_lookback_stateEbbT6_jjT7_P12ihipStream_tbENKUlT_T0_SG_SL_E_clISA_SA_SB_SB_EEDaSZ_S10_SG_SL_EUlSZ_E_NS1_11comp_targetILNS1_3genE3ELNS1_11target_archE908ELNS1_3gpuE7ELNS1_3repE0EEENS1_47radix_sort_onesweep_sort_config_static_selectorELNS0_4arch9wavefront6targetE1EEEvSG_.num_named_barrier, 0
	.set _ZN7rocprim17ROCPRIM_400000_NS6detail17trampoline_kernelINS0_14default_configENS1_35radix_sort_onesweep_config_selectorIisEEZZNS1_29radix_sort_onesweep_iterationIS3_Lb0EN6thrust23THRUST_200600_302600_NS10device_ptrIiEESA_NS9_IsEESB_jNS0_19identity_decomposerENS1_16block_id_wrapperIjLb1EEEEE10hipError_tT1_PNSt15iterator_traitsISG_E10value_typeET2_T3_PNSH_ISM_E10value_typeET4_T5_PSR_SS_PNS1_23onesweep_lookback_stateEbbT6_jjT7_P12ihipStream_tbENKUlT_T0_SG_SL_E_clISA_SA_SB_SB_EEDaSZ_S10_SG_SL_EUlSZ_E_NS1_11comp_targetILNS1_3genE3ELNS1_11target_archE908ELNS1_3gpuE7ELNS1_3repE0EEENS1_47radix_sort_onesweep_sort_config_static_selectorELNS0_4arch9wavefront6targetE1EEEvSG_.private_seg_size, 0
	.set _ZN7rocprim17ROCPRIM_400000_NS6detail17trampoline_kernelINS0_14default_configENS1_35radix_sort_onesweep_config_selectorIisEEZZNS1_29radix_sort_onesweep_iterationIS3_Lb0EN6thrust23THRUST_200600_302600_NS10device_ptrIiEESA_NS9_IsEESB_jNS0_19identity_decomposerENS1_16block_id_wrapperIjLb1EEEEE10hipError_tT1_PNSt15iterator_traitsISG_E10value_typeET2_T3_PNSH_ISM_E10value_typeET4_T5_PSR_SS_PNS1_23onesweep_lookback_stateEbbT6_jjT7_P12ihipStream_tbENKUlT_T0_SG_SL_E_clISA_SA_SB_SB_EEDaSZ_S10_SG_SL_EUlSZ_E_NS1_11comp_targetILNS1_3genE3ELNS1_11target_archE908ELNS1_3gpuE7ELNS1_3repE0EEENS1_47radix_sort_onesweep_sort_config_static_selectorELNS0_4arch9wavefront6targetE1EEEvSG_.uses_vcc, 0
	.set _ZN7rocprim17ROCPRIM_400000_NS6detail17trampoline_kernelINS0_14default_configENS1_35radix_sort_onesweep_config_selectorIisEEZZNS1_29radix_sort_onesweep_iterationIS3_Lb0EN6thrust23THRUST_200600_302600_NS10device_ptrIiEESA_NS9_IsEESB_jNS0_19identity_decomposerENS1_16block_id_wrapperIjLb1EEEEE10hipError_tT1_PNSt15iterator_traitsISG_E10value_typeET2_T3_PNSH_ISM_E10value_typeET4_T5_PSR_SS_PNS1_23onesweep_lookback_stateEbbT6_jjT7_P12ihipStream_tbENKUlT_T0_SG_SL_E_clISA_SA_SB_SB_EEDaSZ_S10_SG_SL_EUlSZ_E_NS1_11comp_targetILNS1_3genE3ELNS1_11target_archE908ELNS1_3gpuE7ELNS1_3repE0EEENS1_47radix_sort_onesweep_sort_config_static_selectorELNS0_4arch9wavefront6targetE1EEEvSG_.uses_flat_scratch, 0
	.set _ZN7rocprim17ROCPRIM_400000_NS6detail17trampoline_kernelINS0_14default_configENS1_35radix_sort_onesweep_config_selectorIisEEZZNS1_29radix_sort_onesweep_iterationIS3_Lb0EN6thrust23THRUST_200600_302600_NS10device_ptrIiEESA_NS9_IsEESB_jNS0_19identity_decomposerENS1_16block_id_wrapperIjLb1EEEEE10hipError_tT1_PNSt15iterator_traitsISG_E10value_typeET2_T3_PNSH_ISM_E10value_typeET4_T5_PSR_SS_PNS1_23onesweep_lookback_stateEbbT6_jjT7_P12ihipStream_tbENKUlT_T0_SG_SL_E_clISA_SA_SB_SB_EEDaSZ_S10_SG_SL_EUlSZ_E_NS1_11comp_targetILNS1_3genE3ELNS1_11target_archE908ELNS1_3gpuE7ELNS1_3repE0EEENS1_47radix_sort_onesweep_sort_config_static_selectorELNS0_4arch9wavefront6targetE1EEEvSG_.has_dyn_sized_stack, 0
	.set _ZN7rocprim17ROCPRIM_400000_NS6detail17trampoline_kernelINS0_14default_configENS1_35radix_sort_onesweep_config_selectorIisEEZZNS1_29radix_sort_onesweep_iterationIS3_Lb0EN6thrust23THRUST_200600_302600_NS10device_ptrIiEESA_NS9_IsEESB_jNS0_19identity_decomposerENS1_16block_id_wrapperIjLb1EEEEE10hipError_tT1_PNSt15iterator_traitsISG_E10value_typeET2_T3_PNSH_ISM_E10value_typeET4_T5_PSR_SS_PNS1_23onesweep_lookback_stateEbbT6_jjT7_P12ihipStream_tbENKUlT_T0_SG_SL_E_clISA_SA_SB_SB_EEDaSZ_S10_SG_SL_EUlSZ_E_NS1_11comp_targetILNS1_3genE3ELNS1_11target_archE908ELNS1_3gpuE7ELNS1_3repE0EEENS1_47radix_sort_onesweep_sort_config_static_selectorELNS0_4arch9wavefront6targetE1EEEvSG_.has_recursion, 0
	.set _ZN7rocprim17ROCPRIM_400000_NS6detail17trampoline_kernelINS0_14default_configENS1_35radix_sort_onesweep_config_selectorIisEEZZNS1_29radix_sort_onesweep_iterationIS3_Lb0EN6thrust23THRUST_200600_302600_NS10device_ptrIiEESA_NS9_IsEESB_jNS0_19identity_decomposerENS1_16block_id_wrapperIjLb1EEEEE10hipError_tT1_PNSt15iterator_traitsISG_E10value_typeET2_T3_PNSH_ISM_E10value_typeET4_T5_PSR_SS_PNS1_23onesweep_lookback_stateEbbT6_jjT7_P12ihipStream_tbENKUlT_T0_SG_SL_E_clISA_SA_SB_SB_EEDaSZ_S10_SG_SL_EUlSZ_E_NS1_11comp_targetILNS1_3genE3ELNS1_11target_archE908ELNS1_3gpuE7ELNS1_3repE0EEENS1_47radix_sort_onesweep_sort_config_static_selectorELNS0_4arch9wavefront6targetE1EEEvSG_.has_indirect_call, 0
	.section	.AMDGPU.csdata,"",@progbits
; Kernel info:
; codeLenInByte = 0
; TotalNumSgprs: 6
; NumVgprs: 0
; NumAgprs: 0
; TotalNumVgprs: 0
; ScratchSize: 0
; MemoryBound: 0
; FloatMode: 240
; IeeeMode: 1
; LDSByteSize: 0 bytes/workgroup (compile time only)
; SGPRBlocks: 0
; VGPRBlocks: 0
; NumSGPRsForWavesPerEU: 6
; NumVGPRsForWavesPerEU: 1
; AccumOffset: 4
; Occupancy: 8
; WaveLimiterHint : 0
; COMPUTE_PGM_RSRC2:SCRATCH_EN: 0
; COMPUTE_PGM_RSRC2:USER_SGPR: 2
; COMPUTE_PGM_RSRC2:TRAP_HANDLER: 0
; COMPUTE_PGM_RSRC2:TGID_X_EN: 1
; COMPUTE_PGM_RSRC2:TGID_Y_EN: 0
; COMPUTE_PGM_RSRC2:TGID_Z_EN: 0
; COMPUTE_PGM_RSRC2:TIDIG_COMP_CNT: 0
; COMPUTE_PGM_RSRC3_GFX90A:ACCUM_OFFSET: 0
; COMPUTE_PGM_RSRC3_GFX90A:TG_SPLIT: 0
	.section	.text._ZN7rocprim17ROCPRIM_400000_NS6detail17trampoline_kernelINS0_14default_configENS1_35radix_sort_onesweep_config_selectorIisEEZZNS1_29radix_sort_onesweep_iterationIS3_Lb0EN6thrust23THRUST_200600_302600_NS10device_ptrIiEESA_NS9_IsEESB_jNS0_19identity_decomposerENS1_16block_id_wrapperIjLb1EEEEE10hipError_tT1_PNSt15iterator_traitsISG_E10value_typeET2_T3_PNSH_ISM_E10value_typeET4_T5_PSR_SS_PNS1_23onesweep_lookback_stateEbbT6_jjT7_P12ihipStream_tbENKUlT_T0_SG_SL_E_clISA_SA_SB_SB_EEDaSZ_S10_SG_SL_EUlSZ_E_NS1_11comp_targetILNS1_3genE10ELNS1_11target_archE1201ELNS1_3gpuE5ELNS1_3repE0EEENS1_47radix_sort_onesweep_sort_config_static_selectorELNS0_4arch9wavefront6targetE1EEEvSG_,"axG",@progbits,_ZN7rocprim17ROCPRIM_400000_NS6detail17trampoline_kernelINS0_14default_configENS1_35radix_sort_onesweep_config_selectorIisEEZZNS1_29radix_sort_onesweep_iterationIS3_Lb0EN6thrust23THRUST_200600_302600_NS10device_ptrIiEESA_NS9_IsEESB_jNS0_19identity_decomposerENS1_16block_id_wrapperIjLb1EEEEE10hipError_tT1_PNSt15iterator_traitsISG_E10value_typeET2_T3_PNSH_ISM_E10value_typeET4_T5_PSR_SS_PNS1_23onesweep_lookback_stateEbbT6_jjT7_P12ihipStream_tbENKUlT_T0_SG_SL_E_clISA_SA_SB_SB_EEDaSZ_S10_SG_SL_EUlSZ_E_NS1_11comp_targetILNS1_3genE10ELNS1_11target_archE1201ELNS1_3gpuE5ELNS1_3repE0EEENS1_47radix_sort_onesweep_sort_config_static_selectorELNS0_4arch9wavefront6targetE1EEEvSG_,comdat
	.protected	_ZN7rocprim17ROCPRIM_400000_NS6detail17trampoline_kernelINS0_14default_configENS1_35radix_sort_onesweep_config_selectorIisEEZZNS1_29radix_sort_onesweep_iterationIS3_Lb0EN6thrust23THRUST_200600_302600_NS10device_ptrIiEESA_NS9_IsEESB_jNS0_19identity_decomposerENS1_16block_id_wrapperIjLb1EEEEE10hipError_tT1_PNSt15iterator_traitsISG_E10value_typeET2_T3_PNSH_ISM_E10value_typeET4_T5_PSR_SS_PNS1_23onesweep_lookback_stateEbbT6_jjT7_P12ihipStream_tbENKUlT_T0_SG_SL_E_clISA_SA_SB_SB_EEDaSZ_S10_SG_SL_EUlSZ_E_NS1_11comp_targetILNS1_3genE10ELNS1_11target_archE1201ELNS1_3gpuE5ELNS1_3repE0EEENS1_47radix_sort_onesweep_sort_config_static_selectorELNS0_4arch9wavefront6targetE1EEEvSG_ ; -- Begin function _ZN7rocprim17ROCPRIM_400000_NS6detail17trampoline_kernelINS0_14default_configENS1_35radix_sort_onesweep_config_selectorIisEEZZNS1_29radix_sort_onesweep_iterationIS3_Lb0EN6thrust23THRUST_200600_302600_NS10device_ptrIiEESA_NS9_IsEESB_jNS0_19identity_decomposerENS1_16block_id_wrapperIjLb1EEEEE10hipError_tT1_PNSt15iterator_traitsISG_E10value_typeET2_T3_PNSH_ISM_E10value_typeET4_T5_PSR_SS_PNS1_23onesweep_lookback_stateEbbT6_jjT7_P12ihipStream_tbENKUlT_T0_SG_SL_E_clISA_SA_SB_SB_EEDaSZ_S10_SG_SL_EUlSZ_E_NS1_11comp_targetILNS1_3genE10ELNS1_11target_archE1201ELNS1_3gpuE5ELNS1_3repE0EEENS1_47radix_sort_onesweep_sort_config_static_selectorELNS0_4arch9wavefront6targetE1EEEvSG_
	.globl	_ZN7rocprim17ROCPRIM_400000_NS6detail17trampoline_kernelINS0_14default_configENS1_35radix_sort_onesweep_config_selectorIisEEZZNS1_29radix_sort_onesweep_iterationIS3_Lb0EN6thrust23THRUST_200600_302600_NS10device_ptrIiEESA_NS9_IsEESB_jNS0_19identity_decomposerENS1_16block_id_wrapperIjLb1EEEEE10hipError_tT1_PNSt15iterator_traitsISG_E10value_typeET2_T3_PNSH_ISM_E10value_typeET4_T5_PSR_SS_PNS1_23onesweep_lookback_stateEbbT6_jjT7_P12ihipStream_tbENKUlT_T0_SG_SL_E_clISA_SA_SB_SB_EEDaSZ_S10_SG_SL_EUlSZ_E_NS1_11comp_targetILNS1_3genE10ELNS1_11target_archE1201ELNS1_3gpuE5ELNS1_3repE0EEENS1_47radix_sort_onesweep_sort_config_static_selectorELNS0_4arch9wavefront6targetE1EEEvSG_
	.p2align	8
	.type	_ZN7rocprim17ROCPRIM_400000_NS6detail17trampoline_kernelINS0_14default_configENS1_35radix_sort_onesweep_config_selectorIisEEZZNS1_29radix_sort_onesweep_iterationIS3_Lb0EN6thrust23THRUST_200600_302600_NS10device_ptrIiEESA_NS9_IsEESB_jNS0_19identity_decomposerENS1_16block_id_wrapperIjLb1EEEEE10hipError_tT1_PNSt15iterator_traitsISG_E10value_typeET2_T3_PNSH_ISM_E10value_typeET4_T5_PSR_SS_PNS1_23onesweep_lookback_stateEbbT6_jjT7_P12ihipStream_tbENKUlT_T0_SG_SL_E_clISA_SA_SB_SB_EEDaSZ_S10_SG_SL_EUlSZ_E_NS1_11comp_targetILNS1_3genE10ELNS1_11target_archE1201ELNS1_3gpuE5ELNS1_3repE0EEENS1_47radix_sort_onesweep_sort_config_static_selectorELNS0_4arch9wavefront6targetE1EEEvSG_,@function
_ZN7rocprim17ROCPRIM_400000_NS6detail17trampoline_kernelINS0_14default_configENS1_35radix_sort_onesweep_config_selectorIisEEZZNS1_29radix_sort_onesweep_iterationIS3_Lb0EN6thrust23THRUST_200600_302600_NS10device_ptrIiEESA_NS9_IsEESB_jNS0_19identity_decomposerENS1_16block_id_wrapperIjLb1EEEEE10hipError_tT1_PNSt15iterator_traitsISG_E10value_typeET2_T3_PNSH_ISM_E10value_typeET4_T5_PSR_SS_PNS1_23onesweep_lookback_stateEbbT6_jjT7_P12ihipStream_tbENKUlT_T0_SG_SL_E_clISA_SA_SB_SB_EEDaSZ_S10_SG_SL_EUlSZ_E_NS1_11comp_targetILNS1_3genE10ELNS1_11target_archE1201ELNS1_3gpuE5ELNS1_3repE0EEENS1_47radix_sort_onesweep_sort_config_static_selectorELNS0_4arch9wavefront6targetE1EEEvSG_: ; @_ZN7rocprim17ROCPRIM_400000_NS6detail17trampoline_kernelINS0_14default_configENS1_35radix_sort_onesweep_config_selectorIisEEZZNS1_29radix_sort_onesweep_iterationIS3_Lb0EN6thrust23THRUST_200600_302600_NS10device_ptrIiEESA_NS9_IsEESB_jNS0_19identity_decomposerENS1_16block_id_wrapperIjLb1EEEEE10hipError_tT1_PNSt15iterator_traitsISG_E10value_typeET2_T3_PNSH_ISM_E10value_typeET4_T5_PSR_SS_PNS1_23onesweep_lookback_stateEbbT6_jjT7_P12ihipStream_tbENKUlT_T0_SG_SL_E_clISA_SA_SB_SB_EEDaSZ_S10_SG_SL_EUlSZ_E_NS1_11comp_targetILNS1_3genE10ELNS1_11target_archE1201ELNS1_3gpuE5ELNS1_3repE0EEENS1_47radix_sort_onesweep_sort_config_static_selectorELNS0_4arch9wavefront6targetE1EEEvSG_
; %bb.0:
	.section	.rodata,"a",@progbits
	.p2align	6, 0x0
	.amdhsa_kernel _ZN7rocprim17ROCPRIM_400000_NS6detail17trampoline_kernelINS0_14default_configENS1_35radix_sort_onesweep_config_selectorIisEEZZNS1_29radix_sort_onesweep_iterationIS3_Lb0EN6thrust23THRUST_200600_302600_NS10device_ptrIiEESA_NS9_IsEESB_jNS0_19identity_decomposerENS1_16block_id_wrapperIjLb1EEEEE10hipError_tT1_PNSt15iterator_traitsISG_E10value_typeET2_T3_PNSH_ISM_E10value_typeET4_T5_PSR_SS_PNS1_23onesweep_lookback_stateEbbT6_jjT7_P12ihipStream_tbENKUlT_T0_SG_SL_E_clISA_SA_SB_SB_EEDaSZ_S10_SG_SL_EUlSZ_E_NS1_11comp_targetILNS1_3genE10ELNS1_11target_archE1201ELNS1_3gpuE5ELNS1_3repE0EEENS1_47radix_sort_onesweep_sort_config_static_selectorELNS0_4arch9wavefront6targetE1EEEvSG_
		.amdhsa_group_segment_fixed_size 0
		.amdhsa_private_segment_fixed_size 0
		.amdhsa_kernarg_size 88
		.amdhsa_user_sgpr_count 2
		.amdhsa_user_sgpr_dispatch_ptr 0
		.amdhsa_user_sgpr_queue_ptr 0
		.amdhsa_user_sgpr_kernarg_segment_ptr 1
		.amdhsa_user_sgpr_dispatch_id 0
		.amdhsa_user_sgpr_kernarg_preload_length 0
		.amdhsa_user_sgpr_kernarg_preload_offset 0
		.amdhsa_user_sgpr_private_segment_size 0
		.amdhsa_uses_dynamic_stack 0
		.amdhsa_enable_private_segment 0
		.amdhsa_system_sgpr_workgroup_id_x 1
		.amdhsa_system_sgpr_workgroup_id_y 0
		.amdhsa_system_sgpr_workgroup_id_z 0
		.amdhsa_system_sgpr_workgroup_info 0
		.amdhsa_system_vgpr_workitem_id 0
		.amdhsa_next_free_vgpr 1
		.amdhsa_next_free_sgpr 0
		.amdhsa_accum_offset 4
		.amdhsa_reserve_vcc 0
		.amdhsa_float_round_mode_32 0
		.amdhsa_float_round_mode_16_64 0
		.amdhsa_float_denorm_mode_32 3
		.amdhsa_float_denorm_mode_16_64 3
		.amdhsa_dx10_clamp 1
		.amdhsa_ieee_mode 1
		.amdhsa_fp16_overflow 0
		.amdhsa_tg_split 0
		.amdhsa_exception_fp_ieee_invalid_op 0
		.amdhsa_exception_fp_denorm_src 0
		.amdhsa_exception_fp_ieee_div_zero 0
		.amdhsa_exception_fp_ieee_overflow 0
		.amdhsa_exception_fp_ieee_underflow 0
		.amdhsa_exception_fp_ieee_inexact 0
		.amdhsa_exception_int_div_zero 0
	.end_amdhsa_kernel
	.section	.text._ZN7rocprim17ROCPRIM_400000_NS6detail17trampoline_kernelINS0_14default_configENS1_35radix_sort_onesweep_config_selectorIisEEZZNS1_29radix_sort_onesweep_iterationIS3_Lb0EN6thrust23THRUST_200600_302600_NS10device_ptrIiEESA_NS9_IsEESB_jNS0_19identity_decomposerENS1_16block_id_wrapperIjLb1EEEEE10hipError_tT1_PNSt15iterator_traitsISG_E10value_typeET2_T3_PNSH_ISM_E10value_typeET4_T5_PSR_SS_PNS1_23onesweep_lookback_stateEbbT6_jjT7_P12ihipStream_tbENKUlT_T0_SG_SL_E_clISA_SA_SB_SB_EEDaSZ_S10_SG_SL_EUlSZ_E_NS1_11comp_targetILNS1_3genE10ELNS1_11target_archE1201ELNS1_3gpuE5ELNS1_3repE0EEENS1_47radix_sort_onesweep_sort_config_static_selectorELNS0_4arch9wavefront6targetE1EEEvSG_,"axG",@progbits,_ZN7rocprim17ROCPRIM_400000_NS6detail17trampoline_kernelINS0_14default_configENS1_35radix_sort_onesweep_config_selectorIisEEZZNS1_29radix_sort_onesweep_iterationIS3_Lb0EN6thrust23THRUST_200600_302600_NS10device_ptrIiEESA_NS9_IsEESB_jNS0_19identity_decomposerENS1_16block_id_wrapperIjLb1EEEEE10hipError_tT1_PNSt15iterator_traitsISG_E10value_typeET2_T3_PNSH_ISM_E10value_typeET4_T5_PSR_SS_PNS1_23onesweep_lookback_stateEbbT6_jjT7_P12ihipStream_tbENKUlT_T0_SG_SL_E_clISA_SA_SB_SB_EEDaSZ_S10_SG_SL_EUlSZ_E_NS1_11comp_targetILNS1_3genE10ELNS1_11target_archE1201ELNS1_3gpuE5ELNS1_3repE0EEENS1_47radix_sort_onesweep_sort_config_static_selectorELNS0_4arch9wavefront6targetE1EEEvSG_,comdat
.Lfunc_end2446:
	.size	_ZN7rocprim17ROCPRIM_400000_NS6detail17trampoline_kernelINS0_14default_configENS1_35radix_sort_onesweep_config_selectorIisEEZZNS1_29radix_sort_onesweep_iterationIS3_Lb0EN6thrust23THRUST_200600_302600_NS10device_ptrIiEESA_NS9_IsEESB_jNS0_19identity_decomposerENS1_16block_id_wrapperIjLb1EEEEE10hipError_tT1_PNSt15iterator_traitsISG_E10value_typeET2_T3_PNSH_ISM_E10value_typeET4_T5_PSR_SS_PNS1_23onesweep_lookback_stateEbbT6_jjT7_P12ihipStream_tbENKUlT_T0_SG_SL_E_clISA_SA_SB_SB_EEDaSZ_S10_SG_SL_EUlSZ_E_NS1_11comp_targetILNS1_3genE10ELNS1_11target_archE1201ELNS1_3gpuE5ELNS1_3repE0EEENS1_47radix_sort_onesweep_sort_config_static_selectorELNS0_4arch9wavefront6targetE1EEEvSG_, .Lfunc_end2446-_ZN7rocprim17ROCPRIM_400000_NS6detail17trampoline_kernelINS0_14default_configENS1_35radix_sort_onesweep_config_selectorIisEEZZNS1_29radix_sort_onesweep_iterationIS3_Lb0EN6thrust23THRUST_200600_302600_NS10device_ptrIiEESA_NS9_IsEESB_jNS0_19identity_decomposerENS1_16block_id_wrapperIjLb1EEEEE10hipError_tT1_PNSt15iterator_traitsISG_E10value_typeET2_T3_PNSH_ISM_E10value_typeET4_T5_PSR_SS_PNS1_23onesweep_lookback_stateEbbT6_jjT7_P12ihipStream_tbENKUlT_T0_SG_SL_E_clISA_SA_SB_SB_EEDaSZ_S10_SG_SL_EUlSZ_E_NS1_11comp_targetILNS1_3genE10ELNS1_11target_archE1201ELNS1_3gpuE5ELNS1_3repE0EEENS1_47radix_sort_onesweep_sort_config_static_selectorELNS0_4arch9wavefront6targetE1EEEvSG_
                                        ; -- End function
	.set _ZN7rocprim17ROCPRIM_400000_NS6detail17trampoline_kernelINS0_14default_configENS1_35radix_sort_onesweep_config_selectorIisEEZZNS1_29radix_sort_onesweep_iterationIS3_Lb0EN6thrust23THRUST_200600_302600_NS10device_ptrIiEESA_NS9_IsEESB_jNS0_19identity_decomposerENS1_16block_id_wrapperIjLb1EEEEE10hipError_tT1_PNSt15iterator_traitsISG_E10value_typeET2_T3_PNSH_ISM_E10value_typeET4_T5_PSR_SS_PNS1_23onesweep_lookback_stateEbbT6_jjT7_P12ihipStream_tbENKUlT_T0_SG_SL_E_clISA_SA_SB_SB_EEDaSZ_S10_SG_SL_EUlSZ_E_NS1_11comp_targetILNS1_3genE10ELNS1_11target_archE1201ELNS1_3gpuE5ELNS1_3repE0EEENS1_47radix_sort_onesweep_sort_config_static_selectorELNS0_4arch9wavefront6targetE1EEEvSG_.num_vgpr, 0
	.set _ZN7rocprim17ROCPRIM_400000_NS6detail17trampoline_kernelINS0_14default_configENS1_35radix_sort_onesweep_config_selectorIisEEZZNS1_29radix_sort_onesweep_iterationIS3_Lb0EN6thrust23THRUST_200600_302600_NS10device_ptrIiEESA_NS9_IsEESB_jNS0_19identity_decomposerENS1_16block_id_wrapperIjLb1EEEEE10hipError_tT1_PNSt15iterator_traitsISG_E10value_typeET2_T3_PNSH_ISM_E10value_typeET4_T5_PSR_SS_PNS1_23onesweep_lookback_stateEbbT6_jjT7_P12ihipStream_tbENKUlT_T0_SG_SL_E_clISA_SA_SB_SB_EEDaSZ_S10_SG_SL_EUlSZ_E_NS1_11comp_targetILNS1_3genE10ELNS1_11target_archE1201ELNS1_3gpuE5ELNS1_3repE0EEENS1_47radix_sort_onesweep_sort_config_static_selectorELNS0_4arch9wavefront6targetE1EEEvSG_.num_agpr, 0
	.set _ZN7rocprim17ROCPRIM_400000_NS6detail17trampoline_kernelINS0_14default_configENS1_35radix_sort_onesweep_config_selectorIisEEZZNS1_29radix_sort_onesweep_iterationIS3_Lb0EN6thrust23THRUST_200600_302600_NS10device_ptrIiEESA_NS9_IsEESB_jNS0_19identity_decomposerENS1_16block_id_wrapperIjLb1EEEEE10hipError_tT1_PNSt15iterator_traitsISG_E10value_typeET2_T3_PNSH_ISM_E10value_typeET4_T5_PSR_SS_PNS1_23onesweep_lookback_stateEbbT6_jjT7_P12ihipStream_tbENKUlT_T0_SG_SL_E_clISA_SA_SB_SB_EEDaSZ_S10_SG_SL_EUlSZ_E_NS1_11comp_targetILNS1_3genE10ELNS1_11target_archE1201ELNS1_3gpuE5ELNS1_3repE0EEENS1_47radix_sort_onesweep_sort_config_static_selectorELNS0_4arch9wavefront6targetE1EEEvSG_.numbered_sgpr, 0
	.set _ZN7rocprim17ROCPRIM_400000_NS6detail17trampoline_kernelINS0_14default_configENS1_35radix_sort_onesweep_config_selectorIisEEZZNS1_29radix_sort_onesweep_iterationIS3_Lb0EN6thrust23THRUST_200600_302600_NS10device_ptrIiEESA_NS9_IsEESB_jNS0_19identity_decomposerENS1_16block_id_wrapperIjLb1EEEEE10hipError_tT1_PNSt15iterator_traitsISG_E10value_typeET2_T3_PNSH_ISM_E10value_typeET4_T5_PSR_SS_PNS1_23onesweep_lookback_stateEbbT6_jjT7_P12ihipStream_tbENKUlT_T0_SG_SL_E_clISA_SA_SB_SB_EEDaSZ_S10_SG_SL_EUlSZ_E_NS1_11comp_targetILNS1_3genE10ELNS1_11target_archE1201ELNS1_3gpuE5ELNS1_3repE0EEENS1_47radix_sort_onesweep_sort_config_static_selectorELNS0_4arch9wavefront6targetE1EEEvSG_.num_named_barrier, 0
	.set _ZN7rocprim17ROCPRIM_400000_NS6detail17trampoline_kernelINS0_14default_configENS1_35radix_sort_onesweep_config_selectorIisEEZZNS1_29radix_sort_onesweep_iterationIS3_Lb0EN6thrust23THRUST_200600_302600_NS10device_ptrIiEESA_NS9_IsEESB_jNS0_19identity_decomposerENS1_16block_id_wrapperIjLb1EEEEE10hipError_tT1_PNSt15iterator_traitsISG_E10value_typeET2_T3_PNSH_ISM_E10value_typeET4_T5_PSR_SS_PNS1_23onesweep_lookback_stateEbbT6_jjT7_P12ihipStream_tbENKUlT_T0_SG_SL_E_clISA_SA_SB_SB_EEDaSZ_S10_SG_SL_EUlSZ_E_NS1_11comp_targetILNS1_3genE10ELNS1_11target_archE1201ELNS1_3gpuE5ELNS1_3repE0EEENS1_47radix_sort_onesweep_sort_config_static_selectorELNS0_4arch9wavefront6targetE1EEEvSG_.private_seg_size, 0
	.set _ZN7rocprim17ROCPRIM_400000_NS6detail17trampoline_kernelINS0_14default_configENS1_35radix_sort_onesweep_config_selectorIisEEZZNS1_29radix_sort_onesweep_iterationIS3_Lb0EN6thrust23THRUST_200600_302600_NS10device_ptrIiEESA_NS9_IsEESB_jNS0_19identity_decomposerENS1_16block_id_wrapperIjLb1EEEEE10hipError_tT1_PNSt15iterator_traitsISG_E10value_typeET2_T3_PNSH_ISM_E10value_typeET4_T5_PSR_SS_PNS1_23onesweep_lookback_stateEbbT6_jjT7_P12ihipStream_tbENKUlT_T0_SG_SL_E_clISA_SA_SB_SB_EEDaSZ_S10_SG_SL_EUlSZ_E_NS1_11comp_targetILNS1_3genE10ELNS1_11target_archE1201ELNS1_3gpuE5ELNS1_3repE0EEENS1_47radix_sort_onesweep_sort_config_static_selectorELNS0_4arch9wavefront6targetE1EEEvSG_.uses_vcc, 0
	.set _ZN7rocprim17ROCPRIM_400000_NS6detail17trampoline_kernelINS0_14default_configENS1_35radix_sort_onesweep_config_selectorIisEEZZNS1_29radix_sort_onesweep_iterationIS3_Lb0EN6thrust23THRUST_200600_302600_NS10device_ptrIiEESA_NS9_IsEESB_jNS0_19identity_decomposerENS1_16block_id_wrapperIjLb1EEEEE10hipError_tT1_PNSt15iterator_traitsISG_E10value_typeET2_T3_PNSH_ISM_E10value_typeET4_T5_PSR_SS_PNS1_23onesweep_lookback_stateEbbT6_jjT7_P12ihipStream_tbENKUlT_T0_SG_SL_E_clISA_SA_SB_SB_EEDaSZ_S10_SG_SL_EUlSZ_E_NS1_11comp_targetILNS1_3genE10ELNS1_11target_archE1201ELNS1_3gpuE5ELNS1_3repE0EEENS1_47radix_sort_onesweep_sort_config_static_selectorELNS0_4arch9wavefront6targetE1EEEvSG_.uses_flat_scratch, 0
	.set _ZN7rocprim17ROCPRIM_400000_NS6detail17trampoline_kernelINS0_14default_configENS1_35radix_sort_onesweep_config_selectorIisEEZZNS1_29radix_sort_onesweep_iterationIS3_Lb0EN6thrust23THRUST_200600_302600_NS10device_ptrIiEESA_NS9_IsEESB_jNS0_19identity_decomposerENS1_16block_id_wrapperIjLb1EEEEE10hipError_tT1_PNSt15iterator_traitsISG_E10value_typeET2_T3_PNSH_ISM_E10value_typeET4_T5_PSR_SS_PNS1_23onesweep_lookback_stateEbbT6_jjT7_P12ihipStream_tbENKUlT_T0_SG_SL_E_clISA_SA_SB_SB_EEDaSZ_S10_SG_SL_EUlSZ_E_NS1_11comp_targetILNS1_3genE10ELNS1_11target_archE1201ELNS1_3gpuE5ELNS1_3repE0EEENS1_47radix_sort_onesweep_sort_config_static_selectorELNS0_4arch9wavefront6targetE1EEEvSG_.has_dyn_sized_stack, 0
	.set _ZN7rocprim17ROCPRIM_400000_NS6detail17trampoline_kernelINS0_14default_configENS1_35radix_sort_onesweep_config_selectorIisEEZZNS1_29radix_sort_onesweep_iterationIS3_Lb0EN6thrust23THRUST_200600_302600_NS10device_ptrIiEESA_NS9_IsEESB_jNS0_19identity_decomposerENS1_16block_id_wrapperIjLb1EEEEE10hipError_tT1_PNSt15iterator_traitsISG_E10value_typeET2_T3_PNSH_ISM_E10value_typeET4_T5_PSR_SS_PNS1_23onesweep_lookback_stateEbbT6_jjT7_P12ihipStream_tbENKUlT_T0_SG_SL_E_clISA_SA_SB_SB_EEDaSZ_S10_SG_SL_EUlSZ_E_NS1_11comp_targetILNS1_3genE10ELNS1_11target_archE1201ELNS1_3gpuE5ELNS1_3repE0EEENS1_47radix_sort_onesweep_sort_config_static_selectorELNS0_4arch9wavefront6targetE1EEEvSG_.has_recursion, 0
	.set _ZN7rocprim17ROCPRIM_400000_NS6detail17trampoline_kernelINS0_14default_configENS1_35radix_sort_onesweep_config_selectorIisEEZZNS1_29radix_sort_onesweep_iterationIS3_Lb0EN6thrust23THRUST_200600_302600_NS10device_ptrIiEESA_NS9_IsEESB_jNS0_19identity_decomposerENS1_16block_id_wrapperIjLb1EEEEE10hipError_tT1_PNSt15iterator_traitsISG_E10value_typeET2_T3_PNSH_ISM_E10value_typeET4_T5_PSR_SS_PNS1_23onesweep_lookback_stateEbbT6_jjT7_P12ihipStream_tbENKUlT_T0_SG_SL_E_clISA_SA_SB_SB_EEDaSZ_S10_SG_SL_EUlSZ_E_NS1_11comp_targetILNS1_3genE10ELNS1_11target_archE1201ELNS1_3gpuE5ELNS1_3repE0EEENS1_47radix_sort_onesweep_sort_config_static_selectorELNS0_4arch9wavefront6targetE1EEEvSG_.has_indirect_call, 0
	.section	.AMDGPU.csdata,"",@progbits
; Kernel info:
; codeLenInByte = 0
; TotalNumSgprs: 6
; NumVgprs: 0
; NumAgprs: 0
; TotalNumVgprs: 0
; ScratchSize: 0
; MemoryBound: 0
; FloatMode: 240
; IeeeMode: 1
; LDSByteSize: 0 bytes/workgroup (compile time only)
; SGPRBlocks: 0
; VGPRBlocks: 0
; NumSGPRsForWavesPerEU: 6
; NumVGPRsForWavesPerEU: 1
; AccumOffset: 4
; Occupancy: 8
; WaveLimiterHint : 0
; COMPUTE_PGM_RSRC2:SCRATCH_EN: 0
; COMPUTE_PGM_RSRC2:USER_SGPR: 2
; COMPUTE_PGM_RSRC2:TRAP_HANDLER: 0
; COMPUTE_PGM_RSRC2:TGID_X_EN: 1
; COMPUTE_PGM_RSRC2:TGID_Y_EN: 0
; COMPUTE_PGM_RSRC2:TGID_Z_EN: 0
; COMPUTE_PGM_RSRC2:TIDIG_COMP_CNT: 0
; COMPUTE_PGM_RSRC3_GFX90A:ACCUM_OFFSET: 0
; COMPUTE_PGM_RSRC3_GFX90A:TG_SPLIT: 0
	.section	.text._ZN7rocprim17ROCPRIM_400000_NS6detail17trampoline_kernelINS0_14default_configENS1_35radix_sort_onesweep_config_selectorIisEEZZNS1_29radix_sort_onesweep_iterationIS3_Lb0EN6thrust23THRUST_200600_302600_NS10device_ptrIiEESA_NS9_IsEESB_jNS0_19identity_decomposerENS1_16block_id_wrapperIjLb1EEEEE10hipError_tT1_PNSt15iterator_traitsISG_E10value_typeET2_T3_PNSH_ISM_E10value_typeET4_T5_PSR_SS_PNS1_23onesweep_lookback_stateEbbT6_jjT7_P12ihipStream_tbENKUlT_T0_SG_SL_E_clISA_SA_SB_SB_EEDaSZ_S10_SG_SL_EUlSZ_E_NS1_11comp_targetILNS1_3genE9ELNS1_11target_archE1100ELNS1_3gpuE3ELNS1_3repE0EEENS1_47radix_sort_onesweep_sort_config_static_selectorELNS0_4arch9wavefront6targetE1EEEvSG_,"axG",@progbits,_ZN7rocprim17ROCPRIM_400000_NS6detail17trampoline_kernelINS0_14default_configENS1_35radix_sort_onesweep_config_selectorIisEEZZNS1_29radix_sort_onesweep_iterationIS3_Lb0EN6thrust23THRUST_200600_302600_NS10device_ptrIiEESA_NS9_IsEESB_jNS0_19identity_decomposerENS1_16block_id_wrapperIjLb1EEEEE10hipError_tT1_PNSt15iterator_traitsISG_E10value_typeET2_T3_PNSH_ISM_E10value_typeET4_T5_PSR_SS_PNS1_23onesweep_lookback_stateEbbT6_jjT7_P12ihipStream_tbENKUlT_T0_SG_SL_E_clISA_SA_SB_SB_EEDaSZ_S10_SG_SL_EUlSZ_E_NS1_11comp_targetILNS1_3genE9ELNS1_11target_archE1100ELNS1_3gpuE3ELNS1_3repE0EEENS1_47radix_sort_onesweep_sort_config_static_selectorELNS0_4arch9wavefront6targetE1EEEvSG_,comdat
	.protected	_ZN7rocprim17ROCPRIM_400000_NS6detail17trampoline_kernelINS0_14default_configENS1_35radix_sort_onesweep_config_selectorIisEEZZNS1_29radix_sort_onesweep_iterationIS3_Lb0EN6thrust23THRUST_200600_302600_NS10device_ptrIiEESA_NS9_IsEESB_jNS0_19identity_decomposerENS1_16block_id_wrapperIjLb1EEEEE10hipError_tT1_PNSt15iterator_traitsISG_E10value_typeET2_T3_PNSH_ISM_E10value_typeET4_T5_PSR_SS_PNS1_23onesweep_lookback_stateEbbT6_jjT7_P12ihipStream_tbENKUlT_T0_SG_SL_E_clISA_SA_SB_SB_EEDaSZ_S10_SG_SL_EUlSZ_E_NS1_11comp_targetILNS1_3genE9ELNS1_11target_archE1100ELNS1_3gpuE3ELNS1_3repE0EEENS1_47radix_sort_onesweep_sort_config_static_selectorELNS0_4arch9wavefront6targetE1EEEvSG_ ; -- Begin function _ZN7rocprim17ROCPRIM_400000_NS6detail17trampoline_kernelINS0_14default_configENS1_35radix_sort_onesweep_config_selectorIisEEZZNS1_29radix_sort_onesweep_iterationIS3_Lb0EN6thrust23THRUST_200600_302600_NS10device_ptrIiEESA_NS9_IsEESB_jNS0_19identity_decomposerENS1_16block_id_wrapperIjLb1EEEEE10hipError_tT1_PNSt15iterator_traitsISG_E10value_typeET2_T3_PNSH_ISM_E10value_typeET4_T5_PSR_SS_PNS1_23onesweep_lookback_stateEbbT6_jjT7_P12ihipStream_tbENKUlT_T0_SG_SL_E_clISA_SA_SB_SB_EEDaSZ_S10_SG_SL_EUlSZ_E_NS1_11comp_targetILNS1_3genE9ELNS1_11target_archE1100ELNS1_3gpuE3ELNS1_3repE0EEENS1_47radix_sort_onesweep_sort_config_static_selectorELNS0_4arch9wavefront6targetE1EEEvSG_
	.globl	_ZN7rocprim17ROCPRIM_400000_NS6detail17trampoline_kernelINS0_14default_configENS1_35radix_sort_onesweep_config_selectorIisEEZZNS1_29radix_sort_onesweep_iterationIS3_Lb0EN6thrust23THRUST_200600_302600_NS10device_ptrIiEESA_NS9_IsEESB_jNS0_19identity_decomposerENS1_16block_id_wrapperIjLb1EEEEE10hipError_tT1_PNSt15iterator_traitsISG_E10value_typeET2_T3_PNSH_ISM_E10value_typeET4_T5_PSR_SS_PNS1_23onesweep_lookback_stateEbbT6_jjT7_P12ihipStream_tbENKUlT_T0_SG_SL_E_clISA_SA_SB_SB_EEDaSZ_S10_SG_SL_EUlSZ_E_NS1_11comp_targetILNS1_3genE9ELNS1_11target_archE1100ELNS1_3gpuE3ELNS1_3repE0EEENS1_47radix_sort_onesweep_sort_config_static_selectorELNS0_4arch9wavefront6targetE1EEEvSG_
	.p2align	8
	.type	_ZN7rocprim17ROCPRIM_400000_NS6detail17trampoline_kernelINS0_14default_configENS1_35radix_sort_onesweep_config_selectorIisEEZZNS1_29radix_sort_onesweep_iterationIS3_Lb0EN6thrust23THRUST_200600_302600_NS10device_ptrIiEESA_NS9_IsEESB_jNS0_19identity_decomposerENS1_16block_id_wrapperIjLb1EEEEE10hipError_tT1_PNSt15iterator_traitsISG_E10value_typeET2_T3_PNSH_ISM_E10value_typeET4_T5_PSR_SS_PNS1_23onesweep_lookback_stateEbbT6_jjT7_P12ihipStream_tbENKUlT_T0_SG_SL_E_clISA_SA_SB_SB_EEDaSZ_S10_SG_SL_EUlSZ_E_NS1_11comp_targetILNS1_3genE9ELNS1_11target_archE1100ELNS1_3gpuE3ELNS1_3repE0EEENS1_47radix_sort_onesweep_sort_config_static_selectorELNS0_4arch9wavefront6targetE1EEEvSG_,@function
_ZN7rocprim17ROCPRIM_400000_NS6detail17trampoline_kernelINS0_14default_configENS1_35radix_sort_onesweep_config_selectorIisEEZZNS1_29radix_sort_onesweep_iterationIS3_Lb0EN6thrust23THRUST_200600_302600_NS10device_ptrIiEESA_NS9_IsEESB_jNS0_19identity_decomposerENS1_16block_id_wrapperIjLb1EEEEE10hipError_tT1_PNSt15iterator_traitsISG_E10value_typeET2_T3_PNSH_ISM_E10value_typeET4_T5_PSR_SS_PNS1_23onesweep_lookback_stateEbbT6_jjT7_P12ihipStream_tbENKUlT_T0_SG_SL_E_clISA_SA_SB_SB_EEDaSZ_S10_SG_SL_EUlSZ_E_NS1_11comp_targetILNS1_3genE9ELNS1_11target_archE1100ELNS1_3gpuE3ELNS1_3repE0EEENS1_47radix_sort_onesweep_sort_config_static_selectorELNS0_4arch9wavefront6targetE1EEEvSG_: ; @_ZN7rocprim17ROCPRIM_400000_NS6detail17trampoline_kernelINS0_14default_configENS1_35radix_sort_onesweep_config_selectorIisEEZZNS1_29radix_sort_onesweep_iterationIS3_Lb0EN6thrust23THRUST_200600_302600_NS10device_ptrIiEESA_NS9_IsEESB_jNS0_19identity_decomposerENS1_16block_id_wrapperIjLb1EEEEE10hipError_tT1_PNSt15iterator_traitsISG_E10value_typeET2_T3_PNSH_ISM_E10value_typeET4_T5_PSR_SS_PNS1_23onesweep_lookback_stateEbbT6_jjT7_P12ihipStream_tbENKUlT_T0_SG_SL_E_clISA_SA_SB_SB_EEDaSZ_S10_SG_SL_EUlSZ_E_NS1_11comp_targetILNS1_3genE9ELNS1_11target_archE1100ELNS1_3gpuE3ELNS1_3repE0EEENS1_47radix_sort_onesweep_sort_config_static_selectorELNS0_4arch9wavefront6targetE1EEEvSG_
; %bb.0:
	.section	.rodata,"a",@progbits
	.p2align	6, 0x0
	.amdhsa_kernel _ZN7rocprim17ROCPRIM_400000_NS6detail17trampoline_kernelINS0_14default_configENS1_35radix_sort_onesweep_config_selectorIisEEZZNS1_29radix_sort_onesweep_iterationIS3_Lb0EN6thrust23THRUST_200600_302600_NS10device_ptrIiEESA_NS9_IsEESB_jNS0_19identity_decomposerENS1_16block_id_wrapperIjLb1EEEEE10hipError_tT1_PNSt15iterator_traitsISG_E10value_typeET2_T3_PNSH_ISM_E10value_typeET4_T5_PSR_SS_PNS1_23onesweep_lookback_stateEbbT6_jjT7_P12ihipStream_tbENKUlT_T0_SG_SL_E_clISA_SA_SB_SB_EEDaSZ_S10_SG_SL_EUlSZ_E_NS1_11comp_targetILNS1_3genE9ELNS1_11target_archE1100ELNS1_3gpuE3ELNS1_3repE0EEENS1_47radix_sort_onesweep_sort_config_static_selectorELNS0_4arch9wavefront6targetE1EEEvSG_
		.amdhsa_group_segment_fixed_size 0
		.amdhsa_private_segment_fixed_size 0
		.amdhsa_kernarg_size 88
		.amdhsa_user_sgpr_count 2
		.amdhsa_user_sgpr_dispatch_ptr 0
		.amdhsa_user_sgpr_queue_ptr 0
		.amdhsa_user_sgpr_kernarg_segment_ptr 1
		.amdhsa_user_sgpr_dispatch_id 0
		.amdhsa_user_sgpr_kernarg_preload_length 0
		.amdhsa_user_sgpr_kernarg_preload_offset 0
		.amdhsa_user_sgpr_private_segment_size 0
		.amdhsa_uses_dynamic_stack 0
		.amdhsa_enable_private_segment 0
		.amdhsa_system_sgpr_workgroup_id_x 1
		.amdhsa_system_sgpr_workgroup_id_y 0
		.amdhsa_system_sgpr_workgroup_id_z 0
		.amdhsa_system_sgpr_workgroup_info 0
		.amdhsa_system_vgpr_workitem_id 0
		.amdhsa_next_free_vgpr 1
		.amdhsa_next_free_sgpr 0
		.amdhsa_accum_offset 4
		.amdhsa_reserve_vcc 0
		.amdhsa_float_round_mode_32 0
		.amdhsa_float_round_mode_16_64 0
		.amdhsa_float_denorm_mode_32 3
		.amdhsa_float_denorm_mode_16_64 3
		.amdhsa_dx10_clamp 1
		.amdhsa_ieee_mode 1
		.amdhsa_fp16_overflow 0
		.amdhsa_tg_split 0
		.amdhsa_exception_fp_ieee_invalid_op 0
		.amdhsa_exception_fp_denorm_src 0
		.amdhsa_exception_fp_ieee_div_zero 0
		.amdhsa_exception_fp_ieee_overflow 0
		.amdhsa_exception_fp_ieee_underflow 0
		.amdhsa_exception_fp_ieee_inexact 0
		.amdhsa_exception_int_div_zero 0
	.end_amdhsa_kernel
	.section	.text._ZN7rocprim17ROCPRIM_400000_NS6detail17trampoline_kernelINS0_14default_configENS1_35radix_sort_onesweep_config_selectorIisEEZZNS1_29radix_sort_onesweep_iterationIS3_Lb0EN6thrust23THRUST_200600_302600_NS10device_ptrIiEESA_NS9_IsEESB_jNS0_19identity_decomposerENS1_16block_id_wrapperIjLb1EEEEE10hipError_tT1_PNSt15iterator_traitsISG_E10value_typeET2_T3_PNSH_ISM_E10value_typeET4_T5_PSR_SS_PNS1_23onesweep_lookback_stateEbbT6_jjT7_P12ihipStream_tbENKUlT_T0_SG_SL_E_clISA_SA_SB_SB_EEDaSZ_S10_SG_SL_EUlSZ_E_NS1_11comp_targetILNS1_3genE9ELNS1_11target_archE1100ELNS1_3gpuE3ELNS1_3repE0EEENS1_47radix_sort_onesweep_sort_config_static_selectorELNS0_4arch9wavefront6targetE1EEEvSG_,"axG",@progbits,_ZN7rocprim17ROCPRIM_400000_NS6detail17trampoline_kernelINS0_14default_configENS1_35radix_sort_onesweep_config_selectorIisEEZZNS1_29radix_sort_onesweep_iterationIS3_Lb0EN6thrust23THRUST_200600_302600_NS10device_ptrIiEESA_NS9_IsEESB_jNS0_19identity_decomposerENS1_16block_id_wrapperIjLb1EEEEE10hipError_tT1_PNSt15iterator_traitsISG_E10value_typeET2_T3_PNSH_ISM_E10value_typeET4_T5_PSR_SS_PNS1_23onesweep_lookback_stateEbbT6_jjT7_P12ihipStream_tbENKUlT_T0_SG_SL_E_clISA_SA_SB_SB_EEDaSZ_S10_SG_SL_EUlSZ_E_NS1_11comp_targetILNS1_3genE9ELNS1_11target_archE1100ELNS1_3gpuE3ELNS1_3repE0EEENS1_47radix_sort_onesweep_sort_config_static_selectorELNS0_4arch9wavefront6targetE1EEEvSG_,comdat
.Lfunc_end2447:
	.size	_ZN7rocprim17ROCPRIM_400000_NS6detail17trampoline_kernelINS0_14default_configENS1_35radix_sort_onesweep_config_selectorIisEEZZNS1_29radix_sort_onesweep_iterationIS3_Lb0EN6thrust23THRUST_200600_302600_NS10device_ptrIiEESA_NS9_IsEESB_jNS0_19identity_decomposerENS1_16block_id_wrapperIjLb1EEEEE10hipError_tT1_PNSt15iterator_traitsISG_E10value_typeET2_T3_PNSH_ISM_E10value_typeET4_T5_PSR_SS_PNS1_23onesweep_lookback_stateEbbT6_jjT7_P12ihipStream_tbENKUlT_T0_SG_SL_E_clISA_SA_SB_SB_EEDaSZ_S10_SG_SL_EUlSZ_E_NS1_11comp_targetILNS1_3genE9ELNS1_11target_archE1100ELNS1_3gpuE3ELNS1_3repE0EEENS1_47radix_sort_onesweep_sort_config_static_selectorELNS0_4arch9wavefront6targetE1EEEvSG_, .Lfunc_end2447-_ZN7rocprim17ROCPRIM_400000_NS6detail17trampoline_kernelINS0_14default_configENS1_35radix_sort_onesweep_config_selectorIisEEZZNS1_29radix_sort_onesweep_iterationIS3_Lb0EN6thrust23THRUST_200600_302600_NS10device_ptrIiEESA_NS9_IsEESB_jNS0_19identity_decomposerENS1_16block_id_wrapperIjLb1EEEEE10hipError_tT1_PNSt15iterator_traitsISG_E10value_typeET2_T3_PNSH_ISM_E10value_typeET4_T5_PSR_SS_PNS1_23onesweep_lookback_stateEbbT6_jjT7_P12ihipStream_tbENKUlT_T0_SG_SL_E_clISA_SA_SB_SB_EEDaSZ_S10_SG_SL_EUlSZ_E_NS1_11comp_targetILNS1_3genE9ELNS1_11target_archE1100ELNS1_3gpuE3ELNS1_3repE0EEENS1_47radix_sort_onesweep_sort_config_static_selectorELNS0_4arch9wavefront6targetE1EEEvSG_
                                        ; -- End function
	.set _ZN7rocprim17ROCPRIM_400000_NS6detail17trampoline_kernelINS0_14default_configENS1_35radix_sort_onesweep_config_selectorIisEEZZNS1_29radix_sort_onesweep_iterationIS3_Lb0EN6thrust23THRUST_200600_302600_NS10device_ptrIiEESA_NS9_IsEESB_jNS0_19identity_decomposerENS1_16block_id_wrapperIjLb1EEEEE10hipError_tT1_PNSt15iterator_traitsISG_E10value_typeET2_T3_PNSH_ISM_E10value_typeET4_T5_PSR_SS_PNS1_23onesweep_lookback_stateEbbT6_jjT7_P12ihipStream_tbENKUlT_T0_SG_SL_E_clISA_SA_SB_SB_EEDaSZ_S10_SG_SL_EUlSZ_E_NS1_11comp_targetILNS1_3genE9ELNS1_11target_archE1100ELNS1_3gpuE3ELNS1_3repE0EEENS1_47radix_sort_onesweep_sort_config_static_selectorELNS0_4arch9wavefront6targetE1EEEvSG_.num_vgpr, 0
	.set _ZN7rocprim17ROCPRIM_400000_NS6detail17trampoline_kernelINS0_14default_configENS1_35radix_sort_onesweep_config_selectorIisEEZZNS1_29radix_sort_onesweep_iterationIS3_Lb0EN6thrust23THRUST_200600_302600_NS10device_ptrIiEESA_NS9_IsEESB_jNS0_19identity_decomposerENS1_16block_id_wrapperIjLb1EEEEE10hipError_tT1_PNSt15iterator_traitsISG_E10value_typeET2_T3_PNSH_ISM_E10value_typeET4_T5_PSR_SS_PNS1_23onesweep_lookback_stateEbbT6_jjT7_P12ihipStream_tbENKUlT_T0_SG_SL_E_clISA_SA_SB_SB_EEDaSZ_S10_SG_SL_EUlSZ_E_NS1_11comp_targetILNS1_3genE9ELNS1_11target_archE1100ELNS1_3gpuE3ELNS1_3repE0EEENS1_47radix_sort_onesweep_sort_config_static_selectorELNS0_4arch9wavefront6targetE1EEEvSG_.num_agpr, 0
	.set _ZN7rocprim17ROCPRIM_400000_NS6detail17trampoline_kernelINS0_14default_configENS1_35radix_sort_onesweep_config_selectorIisEEZZNS1_29radix_sort_onesweep_iterationIS3_Lb0EN6thrust23THRUST_200600_302600_NS10device_ptrIiEESA_NS9_IsEESB_jNS0_19identity_decomposerENS1_16block_id_wrapperIjLb1EEEEE10hipError_tT1_PNSt15iterator_traitsISG_E10value_typeET2_T3_PNSH_ISM_E10value_typeET4_T5_PSR_SS_PNS1_23onesweep_lookback_stateEbbT6_jjT7_P12ihipStream_tbENKUlT_T0_SG_SL_E_clISA_SA_SB_SB_EEDaSZ_S10_SG_SL_EUlSZ_E_NS1_11comp_targetILNS1_3genE9ELNS1_11target_archE1100ELNS1_3gpuE3ELNS1_3repE0EEENS1_47radix_sort_onesweep_sort_config_static_selectorELNS0_4arch9wavefront6targetE1EEEvSG_.numbered_sgpr, 0
	.set _ZN7rocprim17ROCPRIM_400000_NS6detail17trampoline_kernelINS0_14default_configENS1_35radix_sort_onesweep_config_selectorIisEEZZNS1_29radix_sort_onesweep_iterationIS3_Lb0EN6thrust23THRUST_200600_302600_NS10device_ptrIiEESA_NS9_IsEESB_jNS0_19identity_decomposerENS1_16block_id_wrapperIjLb1EEEEE10hipError_tT1_PNSt15iterator_traitsISG_E10value_typeET2_T3_PNSH_ISM_E10value_typeET4_T5_PSR_SS_PNS1_23onesweep_lookback_stateEbbT6_jjT7_P12ihipStream_tbENKUlT_T0_SG_SL_E_clISA_SA_SB_SB_EEDaSZ_S10_SG_SL_EUlSZ_E_NS1_11comp_targetILNS1_3genE9ELNS1_11target_archE1100ELNS1_3gpuE3ELNS1_3repE0EEENS1_47radix_sort_onesweep_sort_config_static_selectorELNS0_4arch9wavefront6targetE1EEEvSG_.num_named_barrier, 0
	.set _ZN7rocprim17ROCPRIM_400000_NS6detail17trampoline_kernelINS0_14default_configENS1_35radix_sort_onesweep_config_selectorIisEEZZNS1_29radix_sort_onesweep_iterationIS3_Lb0EN6thrust23THRUST_200600_302600_NS10device_ptrIiEESA_NS9_IsEESB_jNS0_19identity_decomposerENS1_16block_id_wrapperIjLb1EEEEE10hipError_tT1_PNSt15iterator_traitsISG_E10value_typeET2_T3_PNSH_ISM_E10value_typeET4_T5_PSR_SS_PNS1_23onesweep_lookback_stateEbbT6_jjT7_P12ihipStream_tbENKUlT_T0_SG_SL_E_clISA_SA_SB_SB_EEDaSZ_S10_SG_SL_EUlSZ_E_NS1_11comp_targetILNS1_3genE9ELNS1_11target_archE1100ELNS1_3gpuE3ELNS1_3repE0EEENS1_47radix_sort_onesweep_sort_config_static_selectorELNS0_4arch9wavefront6targetE1EEEvSG_.private_seg_size, 0
	.set _ZN7rocprim17ROCPRIM_400000_NS6detail17trampoline_kernelINS0_14default_configENS1_35radix_sort_onesweep_config_selectorIisEEZZNS1_29radix_sort_onesweep_iterationIS3_Lb0EN6thrust23THRUST_200600_302600_NS10device_ptrIiEESA_NS9_IsEESB_jNS0_19identity_decomposerENS1_16block_id_wrapperIjLb1EEEEE10hipError_tT1_PNSt15iterator_traitsISG_E10value_typeET2_T3_PNSH_ISM_E10value_typeET4_T5_PSR_SS_PNS1_23onesweep_lookback_stateEbbT6_jjT7_P12ihipStream_tbENKUlT_T0_SG_SL_E_clISA_SA_SB_SB_EEDaSZ_S10_SG_SL_EUlSZ_E_NS1_11comp_targetILNS1_3genE9ELNS1_11target_archE1100ELNS1_3gpuE3ELNS1_3repE0EEENS1_47radix_sort_onesweep_sort_config_static_selectorELNS0_4arch9wavefront6targetE1EEEvSG_.uses_vcc, 0
	.set _ZN7rocprim17ROCPRIM_400000_NS6detail17trampoline_kernelINS0_14default_configENS1_35radix_sort_onesweep_config_selectorIisEEZZNS1_29radix_sort_onesweep_iterationIS3_Lb0EN6thrust23THRUST_200600_302600_NS10device_ptrIiEESA_NS9_IsEESB_jNS0_19identity_decomposerENS1_16block_id_wrapperIjLb1EEEEE10hipError_tT1_PNSt15iterator_traitsISG_E10value_typeET2_T3_PNSH_ISM_E10value_typeET4_T5_PSR_SS_PNS1_23onesweep_lookback_stateEbbT6_jjT7_P12ihipStream_tbENKUlT_T0_SG_SL_E_clISA_SA_SB_SB_EEDaSZ_S10_SG_SL_EUlSZ_E_NS1_11comp_targetILNS1_3genE9ELNS1_11target_archE1100ELNS1_3gpuE3ELNS1_3repE0EEENS1_47radix_sort_onesweep_sort_config_static_selectorELNS0_4arch9wavefront6targetE1EEEvSG_.uses_flat_scratch, 0
	.set _ZN7rocprim17ROCPRIM_400000_NS6detail17trampoline_kernelINS0_14default_configENS1_35radix_sort_onesweep_config_selectorIisEEZZNS1_29radix_sort_onesweep_iterationIS3_Lb0EN6thrust23THRUST_200600_302600_NS10device_ptrIiEESA_NS9_IsEESB_jNS0_19identity_decomposerENS1_16block_id_wrapperIjLb1EEEEE10hipError_tT1_PNSt15iterator_traitsISG_E10value_typeET2_T3_PNSH_ISM_E10value_typeET4_T5_PSR_SS_PNS1_23onesweep_lookback_stateEbbT6_jjT7_P12ihipStream_tbENKUlT_T0_SG_SL_E_clISA_SA_SB_SB_EEDaSZ_S10_SG_SL_EUlSZ_E_NS1_11comp_targetILNS1_3genE9ELNS1_11target_archE1100ELNS1_3gpuE3ELNS1_3repE0EEENS1_47radix_sort_onesweep_sort_config_static_selectorELNS0_4arch9wavefront6targetE1EEEvSG_.has_dyn_sized_stack, 0
	.set _ZN7rocprim17ROCPRIM_400000_NS6detail17trampoline_kernelINS0_14default_configENS1_35radix_sort_onesweep_config_selectorIisEEZZNS1_29radix_sort_onesweep_iterationIS3_Lb0EN6thrust23THRUST_200600_302600_NS10device_ptrIiEESA_NS9_IsEESB_jNS0_19identity_decomposerENS1_16block_id_wrapperIjLb1EEEEE10hipError_tT1_PNSt15iterator_traitsISG_E10value_typeET2_T3_PNSH_ISM_E10value_typeET4_T5_PSR_SS_PNS1_23onesweep_lookback_stateEbbT6_jjT7_P12ihipStream_tbENKUlT_T0_SG_SL_E_clISA_SA_SB_SB_EEDaSZ_S10_SG_SL_EUlSZ_E_NS1_11comp_targetILNS1_3genE9ELNS1_11target_archE1100ELNS1_3gpuE3ELNS1_3repE0EEENS1_47radix_sort_onesweep_sort_config_static_selectorELNS0_4arch9wavefront6targetE1EEEvSG_.has_recursion, 0
	.set _ZN7rocprim17ROCPRIM_400000_NS6detail17trampoline_kernelINS0_14default_configENS1_35radix_sort_onesweep_config_selectorIisEEZZNS1_29radix_sort_onesweep_iterationIS3_Lb0EN6thrust23THRUST_200600_302600_NS10device_ptrIiEESA_NS9_IsEESB_jNS0_19identity_decomposerENS1_16block_id_wrapperIjLb1EEEEE10hipError_tT1_PNSt15iterator_traitsISG_E10value_typeET2_T3_PNSH_ISM_E10value_typeET4_T5_PSR_SS_PNS1_23onesweep_lookback_stateEbbT6_jjT7_P12ihipStream_tbENKUlT_T0_SG_SL_E_clISA_SA_SB_SB_EEDaSZ_S10_SG_SL_EUlSZ_E_NS1_11comp_targetILNS1_3genE9ELNS1_11target_archE1100ELNS1_3gpuE3ELNS1_3repE0EEENS1_47radix_sort_onesweep_sort_config_static_selectorELNS0_4arch9wavefront6targetE1EEEvSG_.has_indirect_call, 0
	.section	.AMDGPU.csdata,"",@progbits
; Kernel info:
; codeLenInByte = 0
; TotalNumSgprs: 6
; NumVgprs: 0
; NumAgprs: 0
; TotalNumVgprs: 0
; ScratchSize: 0
; MemoryBound: 0
; FloatMode: 240
; IeeeMode: 1
; LDSByteSize: 0 bytes/workgroup (compile time only)
; SGPRBlocks: 0
; VGPRBlocks: 0
; NumSGPRsForWavesPerEU: 6
; NumVGPRsForWavesPerEU: 1
; AccumOffset: 4
; Occupancy: 8
; WaveLimiterHint : 0
; COMPUTE_PGM_RSRC2:SCRATCH_EN: 0
; COMPUTE_PGM_RSRC2:USER_SGPR: 2
; COMPUTE_PGM_RSRC2:TRAP_HANDLER: 0
; COMPUTE_PGM_RSRC2:TGID_X_EN: 1
; COMPUTE_PGM_RSRC2:TGID_Y_EN: 0
; COMPUTE_PGM_RSRC2:TGID_Z_EN: 0
; COMPUTE_PGM_RSRC2:TIDIG_COMP_CNT: 0
; COMPUTE_PGM_RSRC3_GFX90A:ACCUM_OFFSET: 0
; COMPUTE_PGM_RSRC3_GFX90A:TG_SPLIT: 0
	.section	.text._ZN7rocprim17ROCPRIM_400000_NS6detail17trampoline_kernelINS0_14default_configENS1_35radix_sort_onesweep_config_selectorIisEEZZNS1_29radix_sort_onesweep_iterationIS3_Lb0EN6thrust23THRUST_200600_302600_NS10device_ptrIiEESA_NS9_IsEESB_jNS0_19identity_decomposerENS1_16block_id_wrapperIjLb1EEEEE10hipError_tT1_PNSt15iterator_traitsISG_E10value_typeET2_T3_PNSH_ISM_E10value_typeET4_T5_PSR_SS_PNS1_23onesweep_lookback_stateEbbT6_jjT7_P12ihipStream_tbENKUlT_T0_SG_SL_E_clISA_SA_SB_SB_EEDaSZ_S10_SG_SL_EUlSZ_E_NS1_11comp_targetILNS1_3genE8ELNS1_11target_archE1030ELNS1_3gpuE2ELNS1_3repE0EEENS1_47radix_sort_onesweep_sort_config_static_selectorELNS0_4arch9wavefront6targetE1EEEvSG_,"axG",@progbits,_ZN7rocprim17ROCPRIM_400000_NS6detail17trampoline_kernelINS0_14default_configENS1_35radix_sort_onesweep_config_selectorIisEEZZNS1_29radix_sort_onesweep_iterationIS3_Lb0EN6thrust23THRUST_200600_302600_NS10device_ptrIiEESA_NS9_IsEESB_jNS0_19identity_decomposerENS1_16block_id_wrapperIjLb1EEEEE10hipError_tT1_PNSt15iterator_traitsISG_E10value_typeET2_T3_PNSH_ISM_E10value_typeET4_T5_PSR_SS_PNS1_23onesweep_lookback_stateEbbT6_jjT7_P12ihipStream_tbENKUlT_T0_SG_SL_E_clISA_SA_SB_SB_EEDaSZ_S10_SG_SL_EUlSZ_E_NS1_11comp_targetILNS1_3genE8ELNS1_11target_archE1030ELNS1_3gpuE2ELNS1_3repE0EEENS1_47radix_sort_onesweep_sort_config_static_selectorELNS0_4arch9wavefront6targetE1EEEvSG_,comdat
	.protected	_ZN7rocprim17ROCPRIM_400000_NS6detail17trampoline_kernelINS0_14default_configENS1_35radix_sort_onesweep_config_selectorIisEEZZNS1_29radix_sort_onesweep_iterationIS3_Lb0EN6thrust23THRUST_200600_302600_NS10device_ptrIiEESA_NS9_IsEESB_jNS0_19identity_decomposerENS1_16block_id_wrapperIjLb1EEEEE10hipError_tT1_PNSt15iterator_traitsISG_E10value_typeET2_T3_PNSH_ISM_E10value_typeET4_T5_PSR_SS_PNS1_23onesweep_lookback_stateEbbT6_jjT7_P12ihipStream_tbENKUlT_T0_SG_SL_E_clISA_SA_SB_SB_EEDaSZ_S10_SG_SL_EUlSZ_E_NS1_11comp_targetILNS1_3genE8ELNS1_11target_archE1030ELNS1_3gpuE2ELNS1_3repE0EEENS1_47radix_sort_onesweep_sort_config_static_selectorELNS0_4arch9wavefront6targetE1EEEvSG_ ; -- Begin function _ZN7rocprim17ROCPRIM_400000_NS6detail17trampoline_kernelINS0_14default_configENS1_35radix_sort_onesweep_config_selectorIisEEZZNS1_29radix_sort_onesweep_iterationIS3_Lb0EN6thrust23THRUST_200600_302600_NS10device_ptrIiEESA_NS9_IsEESB_jNS0_19identity_decomposerENS1_16block_id_wrapperIjLb1EEEEE10hipError_tT1_PNSt15iterator_traitsISG_E10value_typeET2_T3_PNSH_ISM_E10value_typeET4_T5_PSR_SS_PNS1_23onesweep_lookback_stateEbbT6_jjT7_P12ihipStream_tbENKUlT_T0_SG_SL_E_clISA_SA_SB_SB_EEDaSZ_S10_SG_SL_EUlSZ_E_NS1_11comp_targetILNS1_3genE8ELNS1_11target_archE1030ELNS1_3gpuE2ELNS1_3repE0EEENS1_47radix_sort_onesweep_sort_config_static_selectorELNS0_4arch9wavefront6targetE1EEEvSG_
	.globl	_ZN7rocprim17ROCPRIM_400000_NS6detail17trampoline_kernelINS0_14default_configENS1_35radix_sort_onesweep_config_selectorIisEEZZNS1_29radix_sort_onesweep_iterationIS3_Lb0EN6thrust23THRUST_200600_302600_NS10device_ptrIiEESA_NS9_IsEESB_jNS0_19identity_decomposerENS1_16block_id_wrapperIjLb1EEEEE10hipError_tT1_PNSt15iterator_traitsISG_E10value_typeET2_T3_PNSH_ISM_E10value_typeET4_T5_PSR_SS_PNS1_23onesweep_lookback_stateEbbT6_jjT7_P12ihipStream_tbENKUlT_T0_SG_SL_E_clISA_SA_SB_SB_EEDaSZ_S10_SG_SL_EUlSZ_E_NS1_11comp_targetILNS1_3genE8ELNS1_11target_archE1030ELNS1_3gpuE2ELNS1_3repE0EEENS1_47radix_sort_onesweep_sort_config_static_selectorELNS0_4arch9wavefront6targetE1EEEvSG_
	.p2align	8
	.type	_ZN7rocprim17ROCPRIM_400000_NS6detail17trampoline_kernelINS0_14default_configENS1_35radix_sort_onesweep_config_selectorIisEEZZNS1_29radix_sort_onesweep_iterationIS3_Lb0EN6thrust23THRUST_200600_302600_NS10device_ptrIiEESA_NS9_IsEESB_jNS0_19identity_decomposerENS1_16block_id_wrapperIjLb1EEEEE10hipError_tT1_PNSt15iterator_traitsISG_E10value_typeET2_T3_PNSH_ISM_E10value_typeET4_T5_PSR_SS_PNS1_23onesweep_lookback_stateEbbT6_jjT7_P12ihipStream_tbENKUlT_T0_SG_SL_E_clISA_SA_SB_SB_EEDaSZ_S10_SG_SL_EUlSZ_E_NS1_11comp_targetILNS1_3genE8ELNS1_11target_archE1030ELNS1_3gpuE2ELNS1_3repE0EEENS1_47radix_sort_onesweep_sort_config_static_selectorELNS0_4arch9wavefront6targetE1EEEvSG_,@function
_ZN7rocprim17ROCPRIM_400000_NS6detail17trampoline_kernelINS0_14default_configENS1_35radix_sort_onesweep_config_selectorIisEEZZNS1_29radix_sort_onesweep_iterationIS3_Lb0EN6thrust23THRUST_200600_302600_NS10device_ptrIiEESA_NS9_IsEESB_jNS0_19identity_decomposerENS1_16block_id_wrapperIjLb1EEEEE10hipError_tT1_PNSt15iterator_traitsISG_E10value_typeET2_T3_PNSH_ISM_E10value_typeET4_T5_PSR_SS_PNS1_23onesweep_lookback_stateEbbT6_jjT7_P12ihipStream_tbENKUlT_T0_SG_SL_E_clISA_SA_SB_SB_EEDaSZ_S10_SG_SL_EUlSZ_E_NS1_11comp_targetILNS1_3genE8ELNS1_11target_archE1030ELNS1_3gpuE2ELNS1_3repE0EEENS1_47radix_sort_onesweep_sort_config_static_selectorELNS0_4arch9wavefront6targetE1EEEvSG_: ; @_ZN7rocprim17ROCPRIM_400000_NS6detail17trampoline_kernelINS0_14default_configENS1_35radix_sort_onesweep_config_selectorIisEEZZNS1_29radix_sort_onesweep_iterationIS3_Lb0EN6thrust23THRUST_200600_302600_NS10device_ptrIiEESA_NS9_IsEESB_jNS0_19identity_decomposerENS1_16block_id_wrapperIjLb1EEEEE10hipError_tT1_PNSt15iterator_traitsISG_E10value_typeET2_T3_PNSH_ISM_E10value_typeET4_T5_PSR_SS_PNS1_23onesweep_lookback_stateEbbT6_jjT7_P12ihipStream_tbENKUlT_T0_SG_SL_E_clISA_SA_SB_SB_EEDaSZ_S10_SG_SL_EUlSZ_E_NS1_11comp_targetILNS1_3genE8ELNS1_11target_archE1030ELNS1_3gpuE2ELNS1_3repE0EEENS1_47radix_sort_onesweep_sort_config_static_selectorELNS0_4arch9wavefront6targetE1EEEvSG_
; %bb.0:
	.section	.rodata,"a",@progbits
	.p2align	6, 0x0
	.amdhsa_kernel _ZN7rocprim17ROCPRIM_400000_NS6detail17trampoline_kernelINS0_14default_configENS1_35radix_sort_onesweep_config_selectorIisEEZZNS1_29radix_sort_onesweep_iterationIS3_Lb0EN6thrust23THRUST_200600_302600_NS10device_ptrIiEESA_NS9_IsEESB_jNS0_19identity_decomposerENS1_16block_id_wrapperIjLb1EEEEE10hipError_tT1_PNSt15iterator_traitsISG_E10value_typeET2_T3_PNSH_ISM_E10value_typeET4_T5_PSR_SS_PNS1_23onesweep_lookback_stateEbbT6_jjT7_P12ihipStream_tbENKUlT_T0_SG_SL_E_clISA_SA_SB_SB_EEDaSZ_S10_SG_SL_EUlSZ_E_NS1_11comp_targetILNS1_3genE8ELNS1_11target_archE1030ELNS1_3gpuE2ELNS1_3repE0EEENS1_47radix_sort_onesweep_sort_config_static_selectorELNS0_4arch9wavefront6targetE1EEEvSG_
		.amdhsa_group_segment_fixed_size 0
		.amdhsa_private_segment_fixed_size 0
		.amdhsa_kernarg_size 88
		.amdhsa_user_sgpr_count 2
		.amdhsa_user_sgpr_dispatch_ptr 0
		.amdhsa_user_sgpr_queue_ptr 0
		.amdhsa_user_sgpr_kernarg_segment_ptr 1
		.amdhsa_user_sgpr_dispatch_id 0
		.amdhsa_user_sgpr_kernarg_preload_length 0
		.amdhsa_user_sgpr_kernarg_preload_offset 0
		.amdhsa_user_sgpr_private_segment_size 0
		.amdhsa_uses_dynamic_stack 0
		.amdhsa_enable_private_segment 0
		.amdhsa_system_sgpr_workgroup_id_x 1
		.amdhsa_system_sgpr_workgroup_id_y 0
		.amdhsa_system_sgpr_workgroup_id_z 0
		.amdhsa_system_sgpr_workgroup_info 0
		.amdhsa_system_vgpr_workitem_id 0
		.amdhsa_next_free_vgpr 1
		.amdhsa_next_free_sgpr 0
		.amdhsa_accum_offset 4
		.amdhsa_reserve_vcc 0
		.amdhsa_float_round_mode_32 0
		.amdhsa_float_round_mode_16_64 0
		.amdhsa_float_denorm_mode_32 3
		.amdhsa_float_denorm_mode_16_64 3
		.amdhsa_dx10_clamp 1
		.amdhsa_ieee_mode 1
		.amdhsa_fp16_overflow 0
		.amdhsa_tg_split 0
		.amdhsa_exception_fp_ieee_invalid_op 0
		.amdhsa_exception_fp_denorm_src 0
		.amdhsa_exception_fp_ieee_div_zero 0
		.amdhsa_exception_fp_ieee_overflow 0
		.amdhsa_exception_fp_ieee_underflow 0
		.amdhsa_exception_fp_ieee_inexact 0
		.amdhsa_exception_int_div_zero 0
	.end_amdhsa_kernel
	.section	.text._ZN7rocprim17ROCPRIM_400000_NS6detail17trampoline_kernelINS0_14default_configENS1_35radix_sort_onesweep_config_selectorIisEEZZNS1_29radix_sort_onesweep_iterationIS3_Lb0EN6thrust23THRUST_200600_302600_NS10device_ptrIiEESA_NS9_IsEESB_jNS0_19identity_decomposerENS1_16block_id_wrapperIjLb1EEEEE10hipError_tT1_PNSt15iterator_traitsISG_E10value_typeET2_T3_PNSH_ISM_E10value_typeET4_T5_PSR_SS_PNS1_23onesweep_lookback_stateEbbT6_jjT7_P12ihipStream_tbENKUlT_T0_SG_SL_E_clISA_SA_SB_SB_EEDaSZ_S10_SG_SL_EUlSZ_E_NS1_11comp_targetILNS1_3genE8ELNS1_11target_archE1030ELNS1_3gpuE2ELNS1_3repE0EEENS1_47radix_sort_onesweep_sort_config_static_selectorELNS0_4arch9wavefront6targetE1EEEvSG_,"axG",@progbits,_ZN7rocprim17ROCPRIM_400000_NS6detail17trampoline_kernelINS0_14default_configENS1_35radix_sort_onesweep_config_selectorIisEEZZNS1_29radix_sort_onesweep_iterationIS3_Lb0EN6thrust23THRUST_200600_302600_NS10device_ptrIiEESA_NS9_IsEESB_jNS0_19identity_decomposerENS1_16block_id_wrapperIjLb1EEEEE10hipError_tT1_PNSt15iterator_traitsISG_E10value_typeET2_T3_PNSH_ISM_E10value_typeET4_T5_PSR_SS_PNS1_23onesweep_lookback_stateEbbT6_jjT7_P12ihipStream_tbENKUlT_T0_SG_SL_E_clISA_SA_SB_SB_EEDaSZ_S10_SG_SL_EUlSZ_E_NS1_11comp_targetILNS1_3genE8ELNS1_11target_archE1030ELNS1_3gpuE2ELNS1_3repE0EEENS1_47radix_sort_onesweep_sort_config_static_selectorELNS0_4arch9wavefront6targetE1EEEvSG_,comdat
.Lfunc_end2448:
	.size	_ZN7rocprim17ROCPRIM_400000_NS6detail17trampoline_kernelINS0_14default_configENS1_35radix_sort_onesweep_config_selectorIisEEZZNS1_29radix_sort_onesweep_iterationIS3_Lb0EN6thrust23THRUST_200600_302600_NS10device_ptrIiEESA_NS9_IsEESB_jNS0_19identity_decomposerENS1_16block_id_wrapperIjLb1EEEEE10hipError_tT1_PNSt15iterator_traitsISG_E10value_typeET2_T3_PNSH_ISM_E10value_typeET4_T5_PSR_SS_PNS1_23onesweep_lookback_stateEbbT6_jjT7_P12ihipStream_tbENKUlT_T0_SG_SL_E_clISA_SA_SB_SB_EEDaSZ_S10_SG_SL_EUlSZ_E_NS1_11comp_targetILNS1_3genE8ELNS1_11target_archE1030ELNS1_3gpuE2ELNS1_3repE0EEENS1_47radix_sort_onesweep_sort_config_static_selectorELNS0_4arch9wavefront6targetE1EEEvSG_, .Lfunc_end2448-_ZN7rocprim17ROCPRIM_400000_NS6detail17trampoline_kernelINS0_14default_configENS1_35radix_sort_onesweep_config_selectorIisEEZZNS1_29radix_sort_onesweep_iterationIS3_Lb0EN6thrust23THRUST_200600_302600_NS10device_ptrIiEESA_NS9_IsEESB_jNS0_19identity_decomposerENS1_16block_id_wrapperIjLb1EEEEE10hipError_tT1_PNSt15iterator_traitsISG_E10value_typeET2_T3_PNSH_ISM_E10value_typeET4_T5_PSR_SS_PNS1_23onesweep_lookback_stateEbbT6_jjT7_P12ihipStream_tbENKUlT_T0_SG_SL_E_clISA_SA_SB_SB_EEDaSZ_S10_SG_SL_EUlSZ_E_NS1_11comp_targetILNS1_3genE8ELNS1_11target_archE1030ELNS1_3gpuE2ELNS1_3repE0EEENS1_47radix_sort_onesweep_sort_config_static_selectorELNS0_4arch9wavefront6targetE1EEEvSG_
                                        ; -- End function
	.set _ZN7rocprim17ROCPRIM_400000_NS6detail17trampoline_kernelINS0_14default_configENS1_35radix_sort_onesweep_config_selectorIisEEZZNS1_29radix_sort_onesweep_iterationIS3_Lb0EN6thrust23THRUST_200600_302600_NS10device_ptrIiEESA_NS9_IsEESB_jNS0_19identity_decomposerENS1_16block_id_wrapperIjLb1EEEEE10hipError_tT1_PNSt15iterator_traitsISG_E10value_typeET2_T3_PNSH_ISM_E10value_typeET4_T5_PSR_SS_PNS1_23onesweep_lookback_stateEbbT6_jjT7_P12ihipStream_tbENKUlT_T0_SG_SL_E_clISA_SA_SB_SB_EEDaSZ_S10_SG_SL_EUlSZ_E_NS1_11comp_targetILNS1_3genE8ELNS1_11target_archE1030ELNS1_3gpuE2ELNS1_3repE0EEENS1_47radix_sort_onesweep_sort_config_static_selectorELNS0_4arch9wavefront6targetE1EEEvSG_.num_vgpr, 0
	.set _ZN7rocprim17ROCPRIM_400000_NS6detail17trampoline_kernelINS0_14default_configENS1_35radix_sort_onesweep_config_selectorIisEEZZNS1_29radix_sort_onesweep_iterationIS3_Lb0EN6thrust23THRUST_200600_302600_NS10device_ptrIiEESA_NS9_IsEESB_jNS0_19identity_decomposerENS1_16block_id_wrapperIjLb1EEEEE10hipError_tT1_PNSt15iterator_traitsISG_E10value_typeET2_T3_PNSH_ISM_E10value_typeET4_T5_PSR_SS_PNS1_23onesweep_lookback_stateEbbT6_jjT7_P12ihipStream_tbENKUlT_T0_SG_SL_E_clISA_SA_SB_SB_EEDaSZ_S10_SG_SL_EUlSZ_E_NS1_11comp_targetILNS1_3genE8ELNS1_11target_archE1030ELNS1_3gpuE2ELNS1_3repE0EEENS1_47radix_sort_onesweep_sort_config_static_selectorELNS0_4arch9wavefront6targetE1EEEvSG_.num_agpr, 0
	.set _ZN7rocprim17ROCPRIM_400000_NS6detail17trampoline_kernelINS0_14default_configENS1_35radix_sort_onesweep_config_selectorIisEEZZNS1_29radix_sort_onesweep_iterationIS3_Lb0EN6thrust23THRUST_200600_302600_NS10device_ptrIiEESA_NS9_IsEESB_jNS0_19identity_decomposerENS1_16block_id_wrapperIjLb1EEEEE10hipError_tT1_PNSt15iterator_traitsISG_E10value_typeET2_T3_PNSH_ISM_E10value_typeET4_T5_PSR_SS_PNS1_23onesweep_lookback_stateEbbT6_jjT7_P12ihipStream_tbENKUlT_T0_SG_SL_E_clISA_SA_SB_SB_EEDaSZ_S10_SG_SL_EUlSZ_E_NS1_11comp_targetILNS1_3genE8ELNS1_11target_archE1030ELNS1_3gpuE2ELNS1_3repE0EEENS1_47radix_sort_onesweep_sort_config_static_selectorELNS0_4arch9wavefront6targetE1EEEvSG_.numbered_sgpr, 0
	.set _ZN7rocprim17ROCPRIM_400000_NS6detail17trampoline_kernelINS0_14default_configENS1_35radix_sort_onesweep_config_selectorIisEEZZNS1_29radix_sort_onesweep_iterationIS3_Lb0EN6thrust23THRUST_200600_302600_NS10device_ptrIiEESA_NS9_IsEESB_jNS0_19identity_decomposerENS1_16block_id_wrapperIjLb1EEEEE10hipError_tT1_PNSt15iterator_traitsISG_E10value_typeET2_T3_PNSH_ISM_E10value_typeET4_T5_PSR_SS_PNS1_23onesweep_lookback_stateEbbT6_jjT7_P12ihipStream_tbENKUlT_T0_SG_SL_E_clISA_SA_SB_SB_EEDaSZ_S10_SG_SL_EUlSZ_E_NS1_11comp_targetILNS1_3genE8ELNS1_11target_archE1030ELNS1_3gpuE2ELNS1_3repE0EEENS1_47radix_sort_onesweep_sort_config_static_selectorELNS0_4arch9wavefront6targetE1EEEvSG_.num_named_barrier, 0
	.set _ZN7rocprim17ROCPRIM_400000_NS6detail17trampoline_kernelINS0_14default_configENS1_35radix_sort_onesweep_config_selectorIisEEZZNS1_29radix_sort_onesweep_iterationIS3_Lb0EN6thrust23THRUST_200600_302600_NS10device_ptrIiEESA_NS9_IsEESB_jNS0_19identity_decomposerENS1_16block_id_wrapperIjLb1EEEEE10hipError_tT1_PNSt15iterator_traitsISG_E10value_typeET2_T3_PNSH_ISM_E10value_typeET4_T5_PSR_SS_PNS1_23onesweep_lookback_stateEbbT6_jjT7_P12ihipStream_tbENKUlT_T0_SG_SL_E_clISA_SA_SB_SB_EEDaSZ_S10_SG_SL_EUlSZ_E_NS1_11comp_targetILNS1_3genE8ELNS1_11target_archE1030ELNS1_3gpuE2ELNS1_3repE0EEENS1_47radix_sort_onesweep_sort_config_static_selectorELNS0_4arch9wavefront6targetE1EEEvSG_.private_seg_size, 0
	.set _ZN7rocprim17ROCPRIM_400000_NS6detail17trampoline_kernelINS0_14default_configENS1_35radix_sort_onesweep_config_selectorIisEEZZNS1_29radix_sort_onesweep_iterationIS3_Lb0EN6thrust23THRUST_200600_302600_NS10device_ptrIiEESA_NS9_IsEESB_jNS0_19identity_decomposerENS1_16block_id_wrapperIjLb1EEEEE10hipError_tT1_PNSt15iterator_traitsISG_E10value_typeET2_T3_PNSH_ISM_E10value_typeET4_T5_PSR_SS_PNS1_23onesweep_lookback_stateEbbT6_jjT7_P12ihipStream_tbENKUlT_T0_SG_SL_E_clISA_SA_SB_SB_EEDaSZ_S10_SG_SL_EUlSZ_E_NS1_11comp_targetILNS1_3genE8ELNS1_11target_archE1030ELNS1_3gpuE2ELNS1_3repE0EEENS1_47radix_sort_onesweep_sort_config_static_selectorELNS0_4arch9wavefront6targetE1EEEvSG_.uses_vcc, 0
	.set _ZN7rocprim17ROCPRIM_400000_NS6detail17trampoline_kernelINS0_14default_configENS1_35radix_sort_onesweep_config_selectorIisEEZZNS1_29radix_sort_onesweep_iterationIS3_Lb0EN6thrust23THRUST_200600_302600_NS10device_ptrIiEESA_NS9_IsEESB_jNS0_19identity_decomposerENS1_16block_id_wrapperIjLb1EEEEE10hipError_tT1_PNSt15iterator_traitsISG_E10value_typeET2_T3_PNSH_ISM_E10value_typeET4_T5_PSR_SS_PNS1_23onesweep_lookback_stateEbbT6_jjT7_P12ihipStream_tbENKUlT_T0_SG_SL_E_clISA_SA_SB_SB_EEDaSZ_S10_SG_SL_EUlSZ_E_NS1_11comp_targetILNS1_3genE8ELNS1_11target_archE1030ELNS1_3gpuE2ELNS1_3repE0EEENS1_47radix_sort_onesweep_sort_config_static_selectorELNS0_4arch9wavefront6targetE1EEEvSG_.uses_flat_scratch, 0
	.set _ZN7rocprim17ROCPRIM_400000_NS6detail17trampoline_kernelINS0_14default_configENS1_35radix_sort_onesweep_config_selectorIisEEZZNS1_29radix_sort_onesweep_iterationIS3_Lb0EN6thrust23THRUST_200600_302600_NS10device_ptrIiEESA_NS9_IsEESB_jNS0_19identity_decomposerENS1_16block_id_wrapperIjLb1EEEEE10hipError_tT1_PNSt15iterator_traitsISG_E10value_typeET2_T3_PNSH_ISM_E10value_typeET4_T5_PSR_SS_PNS1_23onesweep_lookback_stateEbbT6_jjT7_P12ihipStream_tbENKUlT_T0_SG_SL_E_clISA_SA_SB_SB_EEDaSZ_S10_SG_SL_EUlSZ_E_NS1_11comp_targetILNS1_3genE8ELNS1_11target_archE1030ELNS1_3gpuE2ELNS1_3repE0EEENS1_47radix_sort_onesweep_sort_config_static_selectorELNS0_4arch9wavefront6targetE1EEEvSG_.has_dyn_sized_stack, 0
	.set _ZN7rocprim17ROCPRIM_400000_NS6detail17trampoline_kernelINS0_14default_configENS1_35radix_sort_onesweep_config_selectorIisEEZZNS1_29radix_sort_onesweep_iterationIS3_Lb0EN6thrust23THRUST_200600_302600_NS10device_ptrIiEESA_NS9_IsEESB_jNS0_19identity_decomposerENS1_16block_id_wrapperIjLb1EEEEE10hipError_tT1_PNSt15iterator_traitsISG_E10value_typeET2_T3_PNSH_ISM_E10value_typeET4_T5_PSR_SS_PNS1_23onesweep_lookback_stateEbbT6_jjT7_P12ihipStream_tbENKUlT_T0_SG_SL_E_clISA_SA_SB_SB_EEDaSZ_S10_SG_SL_EUlSZ_E_NS1_11comp_targetILNS1_3genE8ELNS1_11target_archE1030ELNS1_3gpuE2ELNS1_3repE0EEENS1_47radix_sort_onesweep_sort_config_static_selectorELNS0_4arch9wavefront6targetE1EEEvSG_.has_recursion, 0
	.set _ZN7rocprim17ROCPRIM_400000_NS6detail17trampoline_kernelINS0_14default_configENS1_35radix_sort_onesweep_config_selectorIisEEZZNS1_29radix_sort_onesweep_iterationIS3_Lb0EN6thrust23THRUST_200600_302600_NS10device_ptrIiEESA_NS9_IsEESB_jNS0_19identity_decomposerENS1_16block_id_wrapperIjLb1EEEEE10hipError_tT1_PNSt15iterator_traitsISG_E10value_typeET2_T3_PNSH_ISM_E10value_typeET4_T5_PSR_SS_PNS1_23onesweep_lookback_stateEbbT6_jjT7_P12ihipStream_tbENKUlT_T0_SG_SL_E_clISA_SA_SB_SB_EEDaSZ_S10_SG_SL_EUlSZ_E_NS1_11comp_targetILNS1_3genE8ELNS1_11target_archE1030ELNS1_3gpuE2ELNS1_3repE0EEENS1_47radix_sort_onesweep_sort_config_static_selectorELNS0_4arch9wavefront6targetE1EEEvSG_.has_indirect_call, 0
	.section	.AMDGPU.csdata,"",@progbits
; Kernel info:
; codeLenInByte = 0
; TotalNumSgprs: 6
; NumVgprs: 0
; NumAgprs: 0
; TotalNumVgprs: 0
; ScratchSize: 0
; MemoryBound: 0
; FloatMode: 240
; IeeeMode: 1
; LDSByteSize: 0 bytes/workgroup (compile time only)
; SGPRBlocks: 0
; VGPRBlocks: 0
; NumSGPRsForWavesPerEU: 6
; NumVGPRsForWavesPerEU: 1
; AccumOffset: 4
; Occupancy: 8
; WaveLimiterHint : 0
; COMPUTE_PGM_RSRC2:SCRATCH_EN: 0
; COMPUTE_PGM_RSRC2:USER_SGPR: 2
; COMPUTE_PGM_RSRC2:TRAP_HANDLER: 0
; COMPUTE_PGM_RSRC2:TGID_X_EN: 1
; COMPUTE_PGM_RSRC2:TGID_Y_EN: 0
; COMPUTE_PGM_RSRC2:TGID_Z_EN: 0
; COMPUTE_PGM_RSRC2:TIDIG_COMP_CNT: 0
; COMPUTE_PGM_RSRC3_GFX90A:ACCUM_OFFSET: 0
; COMPUTE_PGM_RSRC3_GFX90A:TG_SPLIT: 0
	.section	.text._ZN7rocprim17ROCPRIM_400000_NS6detail17trampoline_kernelINS0_14default_configENS1_35radix_sort_onesweep_config_selectorIisEEZZNS1_29radix_sort_onesweep_iterationIS3_Lb0EN6thrust23THRUST_200600_302600_NS10device_ptrIiEESA_NS9_IsEESB_jNS0_19identity_decomposerENS1_16block_id_wrapperIjLb1EEEEE10hipError_tT1_PNSt15iterator_traitsISG_E10value_typeET2_T3_PNSH_ISM_E10value_typeET4_T5_PSR_SS_PNS1_23onesweep_lookback_stateEbbT6_jjT7_P12ihipStream_tbENKUlT_T0_SG_SL_E_clISA_PiSB_PsEEDaSZ_S10_SG_SL_EUlSZ_E_NS1_11comp_targetILNS1_3genE0ELNS1_11target_archE4294967295ELNS1_3gpuE0ELNS1_3repE0EEENS1_47radix_sort_onesweep_sort_config_static_selectorELNS0_4arch9wavefront6targetE1EEEvSG_,"axG",@progbits,_ZN7rocprim17ROCPRIM_400000_NS6detail17trampoline_kernelINS0_14default_configENS1_35radix_sort_onesweep_config_selectorIisEEZZNS1_29radix_sort_onesweep_iterationIS3_Lb0EN6thrust23THRUST_200600_302600_NS10device_ptrIiEESA_NS9_IsEESB_jNS0_19identity_decomposerENS1_16block_id_wrapperIjLb1EEEEE10hipError_tT1_PNSt15iterator_traitsISG_E10value_typeET2_T3_PNSH_ISM_E10value_typeET4_T5_PSR_SS_PNS1_23onesweep_lookback_stateEbbT6_jjT7_P12ihipStream_tbENKUlT_T0_SG_SL_E_clISA_PiSB_PsEEDaSZ_S10_SG_SL_EUlSZ_E_NS1_11comp_targetILNS1_3genE0ELNS1_11target_archE4294967295ELNS1_3gpuE0ELNS1_3repE0EEENS1_47radix_sort_onesweep_sort_config_static_selectorELNS0_4arch9wavefront6targetE1EEEvSG_,comdat
	.protected	_ZN7rocprim17ROCPRIM_400000_NS6detail17trampoline_kernelINS0_14default_configENS1_35radix_sort_onesweep_config_selectorIisEEZZNS1_29radix_sort_onesweep_iterationIS3_Lb0EN6thrust23THRUST_200600_302600_NS10device_ptrIiEESA_NS9_IsEESB_jNS0_19identity_decomposerENS1_16block_id_wrapperIjLb1EEEEE10hipError_tT1_PNSt15iterator_traitsISG_E10value_typeET2_T3_PNSH_ISM_E10value_typeET4_T5_PSR_SS_PNS1_23onesweep_lookback_stateEbbT6_jjT7_P12ihipStream_tbENKUlT_T0_SG_SL_E_clISA_PiSB_PsEEDaSZ_S10_SG_SL_EUlSZ_E_NS1_11comp_targetILNS1_3genE0ELNS1_11target_archE4294967295ELNS1_3gpuE0ELNS1_3repE0EEENS1_47radix_sort_onesweep_sort_config_static_selectorELNS0_4arch9wavefront6targetE1EEEvSG_ ; -- Begin function _ZN7rocprim17ROCPRIM_400000_NS6detail17trampoline_kernelINS0_14default_configENS1_35radix_sort_onesweep_config_selectorIisEEZZNS1_29radix_sort_onesweep_iterationIS3_Lb0EN6thrust23THRUST_200600_302600_NS10device_ptrIiEESA_NS9_IsEESB_jNS0_19identity_decomposerENS1_16block_id_wrapperIjLb1EEEEE10hipError_tT1_PNSt15iterator_traitsISG_E10value_typeET2_T3_PNSH_ISM_E10value_typeET4_T5_PSR_SS_PNS1_23onesweep_lookback_stateEbbT6_jjT7_P12ihipStream_tbENKUlT_T0_SG_SL_E_clISA_PiSB_PsEEDaSZ_S10_SG_SL_EUlSZ_E_NS1_11comp_targetILNS1_3genE0ELNS1_11target_archE4294967295ELNS1_3gpuE0ELNS1_3repE0EEENS1_47radix_sort_onesweep_sort_config_static_selectorELNS0_4arch9wavefront6targetE1EEEvSG_
	.globl	_ZN7rocprim17ROCPRIM_400000_NS6detail17trampoline_kernelINS0_14default_configENS1_35radix_sort_onesweep_config_selectorIisEEZZNS1_29radix_sort_onesweep_iterationIS3_Lb0EN6thrust23THRUST_200600_302600_NS10device_ptrIiEESA_NS9_IsEESB_jNS0_19identity_decomposerENS1_16block_id_wrapperIjLb1EEEEE10hipError_tT1_PNSt15iterator_traitsISG_E10value_typeET2_T3_PNSH_ISM_E10value_typeET4_T5_PSR_SS_PNS1_23onesweep_lookback_stateEbbT6_jjT7_P12ihipStream_tbENKUlT_T0_SG_SL_E_clISA_PiSB_PsEEDaSZ_S10_SG_SL_EUlSZ_E_NS1_11comp_targetILNS1_3genE0ELNS1_11target_archE4294967295ELNS1_3gpuE0ELNS1_3repE0EEENS1_47radix_sort_onesweep_sort_config_static_selectorELNS0_4arch9wavefront6targetE1EEEvSG_
	.p2align	8
	.type	_ZN7rocprim17ROCPRIM_400000_NS6detail17trampoline_kernelINS0_14default_configENS1_35radix_sort_onesweep_config_selectorIisEEZZNS1_29radix_sort_onesweep_iterationIS3_Lb0EN6thrust23THRUST_200600_302600_NS10device_ptrIiEESA_NS9_IsEESB_jNS0_19identity_decomposerENS1_16block_id_wrapperIjLb1EEEEE10hipError_tT1_PNSt15iterator_traitsISG_E10value_typeET2_T3_PNSH_ISM_E10value_typeET4_T5_PSR_SS_PNS1_23onesweep_lookback_stateEbbT6_jjT7_P12ihipStream_tbENKUlT_T0_SG_SL_E_clISA_PiSB_PsEEDaSZ_S10_SG_SL_EUlSZ_E_NS1_11comp_targetILNS1_3genE0ELNS1_11target_archE4294967295ELNS1_3gpuE0ELNS1_3repE0EEENS1_47radix_sort_onesweep_sort_config_static_selectorELNS0_4arch9wavefront6targetE1EEEvSG_,@function
_ZN7rocprim17ROCPRIM_400000_NS6detail17trampoline_kernelINS0_14default_configENS1_35radix_sort_onesweep_config_selectorIisEEZZNS1_29radix_sort_onesweep_iterationIS3_Lb0EN6thrust23THRUST_200600_302600_NS10device_ptrIiEESA_NS9_IsEESB_jNS0_19identity_decomposerENS1_16block_id_wrapperIjLb1EEEEE10hipError_tT1_PNSt15iterator_traitsISG_E10value_typeET2_T3_PNSH_ISM_E10value_typeET4_T5_PSR_SS_PNS1_23onesweep_lookback_stateEbbT6_jjT7_P12ihipStream_tbENKUlT_T0_SG_SL_E_clISA_PiSB_PsEEDaSZ_S10_SG_SL_EUlSZ_E_NS1_11comp_targetILNS1_3genE0ELNS1_11target_archE4294967295ELNS1_3gpuE0ELNS1_3repE0EEENS1_47radix_sort_onesweep_sort_config_static_selectorELNS0_4arch9wavefront6targetE1EEEvSG_: ; @_ZN7rocprim17ROCPRIM_400000_NS6detail17trampoline_kernelINS0_14default_configENS1_35radix_sort_onesweep_config_selectorIisEEZZNS1_29radix_sort_onesweep_iterationIS3_Lb0EN6thrust23THRUST_200600_302600_NS10device_ptrIiEESA_NS9_IsEESB_jNS0_19identity_decomposerENS1_16block_id_wrapperIjLb1EEEEE10hipError_tT1_PNSt15iterator_traitsISG_E10value_typeET2_T3_PNSH_ISM_E10value_typeET4_T5_PSR_SS_PNS1_23onesweep_lookback_stateEbbT6_jjT7_P12ihipStream_tbENKUlT_T0_SG_SL_E_clISA_PiSB_PsEEDaSZ_S10_SG_SL_EUlSZ_E_NS1_11comp_targetILNS1_3genE0ELNS1_11target_archE4294967295ELNS1_3gpuE0ELNS1_3repE0EEENS1_47radix_sort_onesweep_sort_config_static_selectorELNS0_4arch9wavefront6targetE1EEEvSG_
; %bb.0:
	.section	.rodata,"a",@progbits
	.p2align	6, 0x0
	.amdhsa_kernel _ZN7rocprim17ROCPRIM_400000_NS6detail17trampoline_kernelINS0_14default_configENS1_35radix_sort_onesweep_config_selectorIisEEZZNS1_29radix_sort_onesweep_iterationIS3_Lb0EN6thrust23THRUST_200600_302600_NS10device_ptrIiEESA_NS9_IsEESB_jNS0_19identity_decomposerENS1_16block_id_wrapperIjLb1EEEEE10hipError_tT1_PNSt15iterator_traitsISG_E10value_typeET2_T3_PNSH_ISM_E10value_typeET4_T5_PSR_SS_PNS1_23onesweep_lookback_stateEbbT6_jjT7_P12ihipStream_tbENKUlT_T0_SG_SL_E_clISA_PiSB_PsEEDaSZ_S10_SG_SL_EUlSZ_E_NS1_11comp_targetILNS1_3genE0ELNS1_11target_archE4294967295ELNS1_3gpuE0ELNS1_3repE0EEENS1_47radix_sort_onesweep_sort_config_static_selectorELNS0_4arch9wavefront6targetE1EEEvSG_
		.amdhsa_group_segment_fixed_size 0
		.amdhsa_private_segment_fixed_size 0
		.amdhsa_kernarg_size 88
		.amdhsa_user_sgpr_count 2
		.amdhsa_user_sgpr_dispatch_ptr 0
		.amdhsa_user_sgpr_queue_ptr 0
		.amdhsa_user_sgpr_kernarg_segment_ptr 1
		.amdhsa_user_sgpr_dispatch_id 0
		.amdhsa_user_sgpr_kernarg_preload_length 0
		.amdhsa_user_sgpr_kernarg_preload_offset 0
		.amdhsa_user_sgpr_private_segment_size 0
		.amdhsa_uses_dynamic_stack 0
		.amdhsa_enable_private_segment 0
		.amdhsa_system_sgpr_workgroup_id_x 1
		.amdhsa_system_sgpr_workgroup_id_y 0
		.amdhsa_system_sgpr_workgroup_id_z 0
		.amdhsa_system_sgpr_workgroup_info 0
		.amdhsa_system_vgpr_workitem_id 0
		.amdhsa_next_free_vgpr 1
		.amdhsa_next_free_sgpr 0
		.amdhsa_accum_offset 4
		.amdhsa_reserve_vcc 0
		.amdhsa_float_round_mode_32 0
		.amdhsa_float_round_mode_16_64 0
		.amdhsa_float_denorm_mode_32 3
		.amdhsa_float_denorm_mode_16_64 3
		.amdhsa_dx10_clamp 1
		.amdhsa_ieee_mode 1
		.amdhsa_fp16_overflow 0
		.amdhsa_tg_split 0
		.amdhsa_exception_fp_ieee_invalid_op 0
		.amdhsa_exception_fp_denorm_src 0
		.amdhsa_exception_fp_ieee_div_zero 0
		.amdhsa_exception_fp_ieee_overflow 0
		.amdhsa_exception_fp_ieee_underflow 0
		.amdhsa_exception_fp_ieee_inexact 0
		.amdhsa_exception_int_div_zero 0
	.end_amdhsa_kernel
	.section	.text._ZN7rocprim17ROCPRIM_400000_NS6detail17trampoline_kernelINS0_14default_configENS1_35radix_sort_onesweep_config_selectorIisEEZZNS1_29radix_sort_onesweep_iterationIS3_Lb0EN6thrust23THRUST_200600_302600_NS10device_ptrIiEESA_NS9_IsEESB_jNS0_19identity_decomposerENS1_16block_id_wrapperIjLb1EEEEE10hipError_tT1_PNSt15iterator_traitsISG_E10value_typeET2_T3_PNSH_ISM_E10value_typeET4_T5_PSR_SS_PNS1_23onesweep_lookback_stateEbbT6_jjT7_P12ihipStream_tbENKUlT_T0_SG_SL_E_clISA_PiSB_PsEEDaSZ_S10_SG_SL_EUlSZ_E_NS1_11comp_targetILNS1_3genE0ELNS1_11target_archE4294967295ELNS1_3gpuE0ELNS1_3repE0EEENS1_47radix_sort_onesweep_sort_config_static_selectorELNS0_4arch9wavefront6targetE1EEEvSG_,"axG",@progbits,_ZN7rocprim17ROCPRIM_400000_NS6detail17trampoline_kernelINS0_14default_configENS1_35radix_sort_onesweep_config_selectorIisEEZZNS1_29radix_sort_onesweep_iterationIS3_Lb0EN6thrust23THRUST_200600_302600_NS10device_ptrIiEESA_NS9_IsEESB_jNS0_19identity_decomposerENS1_16block_id_wrapperIjLb1EEEEE10hipError_tT1_PNSt15iterator_traitsISG_E10value_typeET2_T3_PNSH_ISM_E10value_typeET4_T5_PSR_SS_PNS1_23onesweep_lookback_stateEbbT6_jjT7_P12ihipStream_tbENKUlT_T0_SG_SL_E_clISA_PiSB_PsEEDaSZ_S10_SG_SL_EUlSZ_E_NS1_11comp_targetILNS1_3genE0ELNS1_11target_archE4294967295ELNS1_3gpuE0ELNS1_3repE0EEENS1_47radix_sort_onesweep_sort_config_static_selectorELNS0_4arch9wavefront6targetE1EEEvSG_,comdat
.Lfunc_end2449:
	.size	_ZN7rocprim17ROCPRIM_400000_NS6detail17trampoline_kernelINS0_14default_configENS1_35radix_sort_onesweep_config_selectorIisEEZZNS1_29radix_sort_onesweep_iterationIS3_Lb0EN6thrust23THRUST_200600_302600_NS10device_ptrIiEESA_NS9_IsEESB_jNS0_19identity_decomposerENS1_16block_id_wrapperIjLb1EEEEE10hipError_tT1_PNSt15iterator_traitsISG_E10value_typeET2_T3_PNSH_ISM_E10value_typeET4_T5_PSR_SS_PNS1_23onesweep_lookback_stateEbbT6_jjT7_P12ihipStream_tbENKUlT_T0_SG_SL_E_clISA_PiSB_PsEEDaSZ_S10_SG_SL_EUlSZ_E_NS1_11comp_targetILNS1_3genE0ELNS1_11target_archE4294967295ELNS1_3gpuE0ELNS1_3repE0EEENS1_47radix_sort_onesweep_sort_config_static_selectorELNS0_4arch9wavefront6targetE1EEEvSG_, .Lfunc_end2449-_ZN7rocprim17ROCPRIM_400000_NS6detail17trampoline_kernelINS0_14default_configENS1_35radix_sort_onesweep_config_selectorIisEEZZNS1_29radix_sort_onesweep_iterationIS3_Lb0EN6thrust23THRUST_200600_302600_NS10device_ptrIiEESA_NS9_IsEESB_jNS0_19identity_decomposerENS1_16block_id_wrapperIjLb1EEEEE10hipError_tT1_PNSt15iterator_traitsISG_E10value_typeET2_T3_PNSH_ISM_E10value_typeET4_T5_PSR_SS_PNS1_23onesweep_lookback_stateEbbT6_jjT7_P12ihipStream_tbENKUlT_T0_SG_SL_E_clISA_PiSB_PsEEDaSZ_S10_SG_SL_EUlSZ_E_NS1_11comp_targetILNS1_3genE0ELNS1_11target_archE4294967295ELNS1_3gpuE0ELNS1_3repE0EEENS1_47radix_sort_onesweep_sort_config_static_selectorELNS0_4arch9wavefront6targetE1EEEvSG_
                                        ; -- End function
	.set _ZN7rocprim17ROCPRIM_400000_NS6detail17trampoline_kernelINS0_14default_configENS1_35radix_sort_onesweep_config_selectorIisEEZZNS1_29radix_sort_onesweep_iterationIS3_Lb0EN6thrust23THRUST_200600_302600_NS10device_ptrIiEESA_NS9_IsEESB_jNS0_19identity_decomposerENS1_16block_id_wrapperIjLb1EEEEE10hipError_tT1_PNSt15iterator_traitsISG_E10value_typeET2_T3_PNSH_ISM_E10value_typeET4_T5_PSR_SS_PNS1_23onesweep_lookback_stateEbbT6_jjT7_P12ihipStream_tbENKUlT_T0_SG_SL_E_clISA_PiSB_PsEEDaSZ_S10_SG_SL_EUlSZ_E_NS1_11comp_targetILNS1_3genE0ELNS1_11target_archE4294967295ELNS1_3gpuE0ELNS1_3repE0EEENS1_47radix_sort_onesweep_sort_config_static_selectorELNS0_4arch9wavefront6targetE1EEEvSG_.num_vgpr, 0
	.set _ZN7rocprim17ROCPRIM_400000_NS6detail17trampoline_kernelINS0_14default_configENS1_35radix_sort_onesweep_config_selectorIisEEZZNS1_29radix_sort_onesweep_iterationIS3_Lb0EN6thrust23THRUST_200600_302600_NS10device_ptrIiEESA_NS9_IsEESB_jNS0_19identity_decomposerENS1_16block_id_wrapperIjLb1EEEEE10hipError_tT1_PNSt15iterator_traitsISG_E10value_typeET2_T3_PNSH_ISM_E10value_typeET4_T5_PSR_SS_PNS1_23onesweep_lookback_stateEbbT6_jjT7_P12ihipStream_tbENKUlT_T0_SG_SL_E_clISA_PiSB_PsEEDaSZ_S10_SG_SL_EUlSZ_E_NS1_11comp_targetILNS1_3genE0ELNS1_11target_archE4294967295ELNS1_3gpuE0ELNS1_3repE0EEENS1_47radix_sort_onesweep_sort_config_static_selectorELNS0_4arch9wavefront6targetE1EEEvSG_.num_agpr, 0
	.set _ZN7rocprim17ROCPRIM_400000_NS6detail17trampoline_kernelINS0_14default_configENS1_35radix_sort_onesweep_config_selectorIisEEZZNS1_29radix_sort_onesweep_iterationIS3_Lb0EN6thrust23THRUST_200600_302600_NS10device_ptrIiEESA_NS9_IsEESB_jNS0_19identity_decomposerENS1_16block_id_wrapperIjLb1EEEEE10hipError_tT1_PNSt15iterator_traitsISG_E10value_typeET2_T3_PNSH_ISM_E10value_typeET4_T5_PSR_SS_PNS1_23onesweep_lookback_stateEbbT6_jjT7_P12ihipStream_tbENKUlT_T0_SG_SL_E_clISA_PiSB_PsEEDaSZ_S10_SG_SL_EUlSZ_E_NS1_11comp_targetILNS1_3genE0ELNS1_11target_archE4294967295ELNS1_3gpuE0ELNS1_3repE0EEENS1_47radix_sort_onesweep_sort_config_static_selectorELNS0_4arch9wavefront6targetE1EEEvSG_.numbered_sgpr, 0
	.set _ZN7rocprim17ROCPRIM_400000_NS6detail17trampoline_kernelINS0_14default_configENS1_35radix_sort_onesweep_config_selectorIisEEZZNS1_29radix_sort_onesweep_iterationIS3_Lb0EN6thrust23THRUST_200600_302600_NS10device_ptrIiEESA_NS9_IsEESB_jNS0_19identity_decomposerENS1_16block_id_wrapperIjLb1EEEEE10hipError_tT1_PNSt15iterator_traitsISG_E10value_typeET2_T3_PNSH_ISM_E10value_typeET4_T5_PSR_SS_PNS1_23onesweep_lookback_stateEbbT6_jjT7_P12ihipStream_tbENKUlT_T0_SG_SL_E_clISA_PiSB_PsEEDaSZ_S10_SG_SL_EUlSZ_E_NS1_11comp_targetILNS1_3genE0ELNS1_11target_archE4294967295ELNS1_3gpuE0ELNS1_3repE0EEENS1_47radix_sort_onesweep_sort_config_static_selectorELNS0_4arch9wavefront6targetE1EEEvSG_.num_named_barrier, 0
	.set _ZN7rocprim17ROCPRIM_400000_NS6detail17trampoline_kernelINS0_14default_configENS1_35radix_sort_onesweep_config_selectorIisEEZZNS1_29radix_sort_onesweep_iterationIS3_Lb0EN6thrust23THRUST_200600_302600_NS10device_ptrIiEESA_NS9_IsEESB_jNS0_19identity_decomposerENS1_16block_id_wrapperIjLb1EEEEE10hipError_tT1_PNSt15iterator_traitsISG_E10value_typeET2_T3_PNSH_ISM_E10value_typeET4_T5_PSR_SS_PNS1_23onesweep_lookback_stateEbbT6_jjT7_P12ihipStream_tbENKUlT_T0_SG_SL_E_clISA_PiSB_PsEEDaSZ_S10_SG_SL_EUlSZ_E_NS1_11comp_targetILNS1_3genE0ELNS1_11target_archE4294967295ELNS1_3gpuE0ELNS1_3repE0EEENS1_47radix_sort_onesweep_sort_config_static_selectorELNS0_4arch9wavefront6targetE1EEEvSG_.private_seg_size, 0
	.set _ZN7rocprim17ROCPRIM_400000_NS6detail17trampoline_kernelINS0_14default_configENS1_35radix_sort_onesweep_config_selectorIisEEZZNS1_29radix_sort_onesweep_iterationIS3_Lb0EN6thrust23THRUST_200600_302600_NS10device_ptrIiEESA_NS9_IsEESB_jNS0_19identity_decomposerENS1_16block_id_wrapperIjLb1EEEEE10hipError_tT1_PNSt15iterator_traitsISG_E10value_typeET2_T3_PNSH_ISM_E10value_typeET4_T5_PSR_SS_PNS1_23onesweep_lookback_stateEbbT6_jjT7_P12ihipStream_tbENKUlT_T0_SG_SL_E_clISA_PiSB_PsEEDaSZ_S10_SG_SL_EUlSZ_E_NS1_11comp_targetILNS1_3genE0ELNS1_11target_archE4294967295ELNS1_3gpuE0ELNS1_3repE0EEENS1_47radix_sort_onesweep_sort_config_static_selectorELNS0_4arch9wavefront6targetE1EEEvSG_.uses_vcc, 0
	.set _ZN7rocprim17ROCPRIM_400000_NS6detail17trampoline_kernelINS0_14default_configENS1_35radix_sort_onesweep_config_selectorIisEEZZNS1_29radix_sort_onesweep_iterationIS3_Lb0EN6thrust23THRUST_200600_302600_NS10device_ptrIiEESA_NS9_IsEESB_jNS0_19identity_decomposerENS1_16block_id_wrapperIjLb1EEEEE10hipError_tT1_PNSt15iterator_traitsISG_E10value_typeET2_T3_PNSH_ISM_E10value_typeET4_T5_PSR_SS_PNS1_23onesweep_lookback_stateEbbT6_jjT7_P12ihipStream_tbENKUlT_T0_SG_SL_E_clISA_PiSB_PsEEDaSZ_S10_SG_SL_EUlSZ_E_NS1_11comp_targetILNS1_3genE0ELNS1_11target_archE4294967295ELNS1_3gpuE0ELNS1_3repE0EEENS1_47radix_sort_onesweep_sort_config_static_selectorELNS0_4arch9wavefront6targetE1EEEvSG_.uses_flat_scratch, 0
	.set _ZN7rocprim17ROCPRIM_400000_NS6detail17trampoline_kernelINS0_14default_configENS1_35radix_sort_onesweep_config_selectorIisEEZZNS1_29radix_sort_onesweep_iterationIS3_Lb0EN6thrust23THRUST_200600_302600_NS10device_ptrIiEESA_NS9_IsEESB_jNS0_19identity_decomposerENS1_16block_id_wrapperIjLb1EEEEE10hipError_tT1_PNSt15iterator_traitsISG_E10value_typeET2_T3_PNSH_ISM_E10value_typeET4_T5_PSR_SS_PNS1_23onesweep_lookback_stateEbbT6_jjT7_P12ihipStream_tbENKUlT_T0_SG_SL_E_clISA_PiSB_PsEEDaSZ_S10_SG_SL_EUlSZ_E_NS1_11comp_targetILNS1_3genE0ELNS1_11target_archE4294967295ELNS1_3gpuE0ELNS1_3repE0EEENS1_47radix_sort_onesweep_sort_config_static_selectorELNS0_4arch9wavefront6targetE1EEEvSG_.has_dyn_sized_stack, 0
	.set _ZN7rocprim17ROCPRIM_400000_NS6detail17trampoline_kernelINS0_14default_configENS1_35radix_sort_onesweep_config_selectorIisEEZZNS1_29radix_sort_onesweep_iterationIS3_Lb0EN6thrust23THRUST_200600_302600_NS10device_ptrIiEESA_NS9_IsEESB_jNS0_19identity_decomposerENS1_16block_id_wrapperIjLb1EEEEE10hipError_tT1_PNSt15iterator_traitsISG_E10value_typeET2_T3_PNSH_ISM_E10value_typeET4_T5_PSR_SS_PNS1_23onesweep_lookback_stateEbbT6_jjT7_P12ihipStream_tbENKUlT_T0_SG_SL_E_clISA_PiSB_PsEEDaSZ_S10_SG_SL_EUlSZ_E_NS1_11comp_targetILNS1_3genE0ELNS1_11target_archE4294967295ELNS1_3gpuE0ELNS1_3repE0EEENS1_47radix_sort_onesweep_sort_config_static_selectorELNS0_4arch9wavefront6targetE1EEEvSG_.has_recursion, 0
	.set _ZN7rocprim17ROCPRIM_400000_NS6detail17trampoline_kernelINS0_14default_configENS1_35radix_sort_onesweep_config_selectorIisEEZZNS1_29radix_sort_onesweep_iterationIS3_Lb0EN6thrust23THRUST_200600_302600_NS10device_ptrIiEESA_NS9_IsEESB_jNS0_19identity_decomposerENS1_16block_id_wrapperIjLb1EEEEE10hipError_tT1_PNSt15iterator_traitsISG_E10value_typeET2_T3_PNSH_ISM_E10value_typeET4_T5_PSR_SS_PNS1_23onesweep_lookback_stateEbbT6_jjT7_P12ihipStream_tbENKUlT_T0_SG_SL_E_clISA_PiSB_PsEEDaSZ_S10_SG_SL_EUlSZ_E_NS1_11comp_targetILNS1_3genE0ELNS1_11target_archE4294967295ELNS1_3gpuE0ELNS1_3repE0EEENS1_47radix_sort_onesweep_sort_config_static_selectorELNS0_4arch9wavefront6targetE1EEEvSG_.has_indirect_call, 0
	.section	.AMDGPU.csdata,"",@progbits
; Kernel info:
; codeLenInByte = 0
; TotalNumSgprs: 6
; NumVgprs: 0
; NumAgprs: 0
; TotalNumVgprs: 0
; ScratchSize: 0
; MemoryBound: 0
; FloatMode: 240
; IeeeMode: 1
; LDSByteSize: 0 bytes/workgroup (compile time only)
; SGPRBlocks: 0
; VGPRBlocks: 0
; NumSGPRsForWavesPerEU: 6
; NumVGPRsForWavesPerEU: 1
; AccumOffset: 4
; Occupancy: 8
; WaveLimiterHint : 0
; COMPUTE_PGM_RSRC2:SCRATCH_EN: 0
; COMPUTE_PGM_RSRC2:USER_SGPR: 2
; COMPUTE_PGM_RSRC2:TRAP_HANDLER: 0
; COMPUTE_PGM_RSRC2:TGID_X_EN: 1
; COMPUTE_PGM_RSRC2:TGID_Y_EN: 0
; COMPUTE_PGM_RSRC2:TGID_Z_EN: 0
; COMPUTE_PGM_RSRC2:TIDIG_COMP_CNT: 0
; COMPUTE_PGM_RSRC3_GFX90A:ACCUM_OFFSET: 0
; COMPUTE_PGM_RSRC3_GFX90A:TG_SPLIT: 0
	.section	.text._ZN7rocprim17ROCPRIM_400000_NS6detail17trampoline_kernelINS0_14default_configENS1_35radix_sort_onesweep_config_selectorIisEEZZNS1_29radix_sort_onesweep_iterationIS3_Lb0EN6thrust23THRUST_200600_302600_NS10device_ptrIiEESA_NS9_IsEESB_jNS0_19identity_decomposerENS1_16block_id_wrapperIjLb1EEEEE10hipError_tT1_PNSt15iterator_traitsISG_E10value_typeET2_T3_PNSH_ISM_E10value_typeET4_T5_PSR_SS_PNS1_23onesweep_lookback_stateEbbT6_jjT7_P12ihipStream_tbENKUlT_T0_SG_SL_E_clISA_PiSB_PsEEDaSZ_S10_SG_SL_EUlSZ_E_NS1_11comp_targetILNS1_3genE6ELNS1_11target_archE950ELNS1_3gpuE13ELNS1_3repE0EEENS1_47radix_sort_onesweep_sort_config_static_selectorELNS0_4arch9wavefront6targetE1EEEvSG_,"axG",@progbits,_ZN7rocprim17ROCPRIM_400000_NS6detail17trampoline_kernelINS0_14default_configENS1_35radix_sort_onesweep_config_selectorIisEEZZNS1_29radix_sort_onesweep_iterationIS3_Lb0EN6thrust23THRUST_200600_302600_NS10device_ptrIiEESA_NS9_IsEESB_jNS0_19identity_decomposerENS1_16block_id_wrapperIjLb1EEEEE10hipError_tT1_PNSt15iterator_traitsISG_E10value_typeET2_T3_PNSH_ISM_E10value_typeET4_T5_PSR_SS_PNS1_23onesweep_lookback_stateEbbT6_jjT7_P12ihipStream_tbENKUlT_T0_SG_SL_E_clISA_PiSB_PsEEDaSZ_S10_SG_SL_EUlSZ_E_NS1_11comp_targetILNS1_3genE6ELNS1_11target_archE950ELNS1_3gpuE13ELNS1_3repE0EEENS1_47radix_sort_onesweep_sort_config_static_selectorELNS0_4arch9wavefront6targetE1EEEvSG_,comdat
	.protected	_ZN7rocprim17ROCPRIM_400000_NS6detail17trampoline_kernelINS0_14default_configENS1_35radix_sort_onesweep_config_selectorIisEEZZNS1_29radix_sort_onesweep_iterationIS3_Lb0EN6thrust23THRUST_200600_302600_NS10device_ptrIiEESA_NS9_IsEESB_jNS0_19identity_decomposerENS1_16block_id_wrapperIjLb1EEEEE10hipError_tT1_PNSt15iterator_traitsISG_E10value_typeET2_T3_PNSH_ISM_E10value_typeET4_T5_PSR_SS_PNS1_23onesweep_lookback_stateEbbT6_jjT7_P12ihipStream_tbENKUlT_T0_SG_SL_E_clISA_PiSB_PsEEDaSZ_S10_SG_SL_EUlSZ_E_NS1_11comp_targetILNS1_3genE6ELNS1_11target_archE950ELNS1_3gpuE13ELNS1_3repE0EEENS1_47radix_sort_onesweep_sort_config_static_selectorELNS0_4arch9wavefront6targetE1EEEvSG_ ; -- Begin function _ZN7rocprim17ROCPRIM_400000_NS6detail17trampoline_kernelINS0_14default_configENS1_35radix_sort_onesweep_config_selectorIisEEZZNS1_29radix_sort_onesweep_iterationIS3_Lb0EN6thrust23THRUST_200600_302600_NS10device_ptrIiEESA_NS9_IsEESB_jNS0_19identity_decomposerENS1_16block_id_wrapperIjLb1EEEEE10hipError_tT1_PNSt15iterator_traitsISG_E10value_typeET2_T3_PNSH_ISM_E10value_typeET4_T5_PSR_SS_PNS1_23onesweep_lookback_stateEbbT6_jjT7_P12ihipStream_tbENKUlT_T0_SG_SL_E_clISA_PiSB_PsEEDaSZ_S10_SG_SL_EUlSZ_E_NS1_11comp_targetILNS1_3genE6ELNS1_11target_archE950ELNS1_3gpuE13ELNS1_3repE0EEENS1_47radix_sort_onesweep_sort_config_static_selectorELNS0_4arch9wavefront6targetE1EEEvSG_
	.globl	_ZN7rocprim17ROCPRIM_400000_NS6detail17trampoline_kernelINS0_14default_configENS1_35radix_sort_onesweep_config_selectorIisEEZZNS1_29radix_sort_onesweep_iterationIS3_Lb0EN6thrust23THRUST_200600_302600_NS10device_ptrIiEESA_NS9_IsEESB_jNS0_19identity_decomposerENS1_16block_id_wrapperIjLb1EEEEE10hipError_tT1_PNSt15iterator_traitsISG_E10value_typeET2_T3_PNSH_ISM_E10value_typeET4_T5_PSR_SS_PNS1_23onesweep_lookback_stateEbbT6_jjT7_P12ihipStream_tbENKUlT_T0_SG_SL_E_clISA_PiSB_PsEEDaSZ_S10_SG_SL_EUlSZ_E_NS1_11comp_targetILNS1_3genE6ELNS1_11target_archE950ELNS1_3gpuE13ELNS1_3repE0EEENS1_47radix_sort_onesweep_sort_config_static_selectorELNS0_4arch9wavefront6targetE1EEEvSG_
	.p2align	8
	.type	_ZN7rocprim17ROCPRIM_400000_NS6detail17trampoline_kernelINS0_14default_configENS1_35radix_sort_onesweep_config_selectorIisEEZZNS1_29radix_sort_onesweep_iterationIS3_Lb0EN6thrust23THRUST_200600_302600_NS10device_ptrIiEESA_NS9_IsEESB_jNS0_19identity_decomposerENS1_16block_id_wrapperIjLb1EEEEE10hipError_tT1_PNSt15iterator_traitsISG_E10value_typeET2_T3_PNSH_ISM_E10value_typeET4_T5_PSR_SS_PNS1_23onesweep_lookback_stateEbbT6_jjT7_P12ihipStream_tbENKUlT_T0_SG_SL_E_clISA_PiSB_PsEEDaSZ_S10_SG_SL_EUlSZ_E_NS1_11comp_targetILNS1_3genE6ELNS1_11target_archE950ELNS1_3gpuE13ELNS1_3repE0EEENS1_47radix_sort_onesweep_sort_config_static_selectorELNS0_4arch9wavefront6targetE1EEEvSG_,@function
_ZN7rocprim17ROCPRIM_400000_NS6detail17trampoline_kernelINS0_14default_configENS1_35radix_sort_onesweep_config_selectorIisEEZZNS1_29radix_sort_onesweep_iterationIS3_Lb0EN6thrust23THRUST_200600_302600_NS10device_ptrIiEESA_NS9_IsEESB_jNS0_19identity_decomposerENS1_16block_id_wrapperIjLb1EEEEE10hipError_tT1_PNSt15iterator_traitsISG_E10value_typeET2_T3_PNSH_ISM_E10value_typeET4_T5_PSR_SS_PNS1_23onesweep_lookback_stateEbbT6_jjT7_P12ihipStream_tbENKUlT_T0_SG_SL_E_clISA_PiSB_PsEEDaSZ_S10_SG_SL_EUlSZ_E_NS1_11comp_targetILNS1_3genE6ELNS1_11target_archE950ELNS1_3gpuE13ELNS1_3repE0EEENS1_47radix_sort_onesweep_sort_config_static_selectorELNS0_4arch9wavefront6targetE1EEEvSG_: ; @_ZN7rocprim17ROCPRIM_400000_NS6detail17trampoline_kernelINS0_14default_configENS1_35radix_sort_onesweep_config_selectorIisEEZZNS1_29radix_sort_onesweep_iterationIS3_Lb0EN6thrust23THRUST_200600_302600_NS10device_ptrIiEESA_NS9_IsEESB_jNS0_19identity_decomposerENS1_16block_id_wrapperIjLb1EEEEE10hipError_tT1_PNSt15iterator_traitsISG_E10value_typeET2_T3_PNSH_ISM_E10value_typeET4_T5_PSR_SS_PNS1_23onesweep_lookback_stateEbbT6_jjT7_P12ihipStream_tbENKUlT_T0_SG_SL_E_clISA_PiSB_PsEEDaSZ_S10_SG_SL_EUlSZ_E_NS1_11comp_targetILNS1_3genE6ELNS1_11target_archE950ELNS1_3gpuE13ELNS1_3repE0EEENS1_47radix_sort_onesweep_sort_config_static_selectorELNS0_4arch9wavefront6targetE1EEEvSG_
; %bb.0:
	s_load_dwordx4 s[48:51], s[2:3], 0x28
	s_load_dwordx2 s[38:39], s[2:3], 0x38
	s_load_dwordx4 s[52:55], s[2:3], 0x44
	v_and_b32_e32 v8, 0x3ff, v0
	v_cmp_eq_u32_e64 s[20:21], 0, v8
	s_and_saveexec_b64 s[6:7], s[20:21]
	s_cbranch_execz .LBB2450_4
; %bb.1:
	s_mov_b64 s[10:11], exec
	v_mbcnt_lo_u32_b32 v1, s10, 0
	v_mbcnt_hi_u32_b32 v1, s11, v1
	v_cmp_eq_u32_e32 vcc, 0, v1
                                        ; implicit-def: $vgpr2
	s_and_saveexec_b64 s[8:9], vcc
	s_cbranch_execz .LBB2450_3
; %bb.2:
	s_load_dwordx2 s[12:13], s[2:3], 0x50
	s_bcnt1_i32_b64 s5, s[10:11]
	v_mov_b32_e32 v2, 0
	v_mov_b32_e32 v3, s5
	s_waitcnt lgkmcnt(0)
	global_atomic_add v2, v2, v3, s[12:13] sc0
.LBB2450_3:
	s_or_b64 exec, exec, s[8:9]
	s_waitcnt vmcnt(0)
	v_readfirstlane_b32 s5, v2
	v_mov_b32_e32 v2, 0
	s_nop 0
	v_add_u32_e32 v1, s5, v1
	ds_write_b32 v2, v1 offset:20544
.LBB2450_4:
	s_or_b64 exec, exec, s[6:7]
	v_mov_b32_e32 v1, 0
	s_load_dwordx8 s[40:47], s[2:3], 0x0
	s_load_dword s5, s[2:3], 0x20
	s_waitcnt lgkmcnt(0)
	s_barrier
	ds_read_b32 v2, v1 offset:20544
	v_bfe_u32 v9, v0, 10, 10
	v_bfe_u32 v14, v0, 20, 10
	s_mov_b64 s[6:7], -1
	v_mbcnt_lo_u32_b32 v16, -1, 0
	s_waitcnt lgkmcnt(0)
	v_cmp_le_u32_e32 vcc, s54, v2
	v_readfirstlane_b32 s33, v2
	v_lshlrev_b32_e32 v15, 3, v8
	s_barrier
	s_cbranch_vccz .LBB2450_134
; %bb.5:
	s_lshl_b32 s6, s54, 13
	s_lshl_b32 s54, s33, 13
	s_mov_b32 s55, 0
	s_sub_i32 s5, s5, s6
	s_lshl_b64 s[6:7], s[54:55], 2
	v_mbcnt_hi_u32_b32 v20, -1, v16
	s_add_u32 s6, s40, s6
	v_and_b32_e32 v18, 63, v20
	s_addc_u32 s7, s41, s7
	v_and_b32_e32 v17, 0x1e00, v15
	v_lshlrev_b32_e32 v0, 2, v18
	v_lshl_add_u64 v[2:3], s[6:7], 0, v[0:1]
	v_lshlrev_b32_e32 v0, 2, v17
	v_lshl_add_u64 v[10:11], v[2:3], 0, v[0:1]
	v_or_b32_e32 v12, v18, v17
	v_bfrev_b32_e32 v0, -2
	v_cmp_gt_u32_e64 s[28:29], s5, v12
	v_mov_b32_e32 v1, v0
	v_mov_b32_e32 v2, v0
	;; [unrolled: 1-line block ×7, first 2 shown]
	s_and_saveexec_b64 s[6:7], s[28:29]
	s_cbranch_execz .LBB2450_7
; %bb.6:
	global_load_dword v22, v[10:11], off
	v_mov_b32_e32 v23, v0
	v_mov_b32_e32 v24, v0
	v_mov_b32_e32 v25, v0
	v_mov_b32_e32 v26, v0
	v_mov_b32_e32 v27, v0
	v_mov_b32_e32 v28, v0
	v_mov_b32_e32 v29, v0
	s_waitcnt vmcnt(0)
	v_mov_b64_e32 v[0:1], v[22:23]
	v_mov_b64_e32 v[2:3], v[24:25]
	;; [unrolled: 1-line block ×4, first 2 shown]
.LBB2450_7:
	s_or_b64 exec, exec, s[6:7]
	v_or_b32_e32 v13, 64, v12
	v_cmp_gt_u32_e64 s[6:7], s5, v13
	s_and_saveexec_b64 s[8:9], s[6:7]
	s_cbranch_execz .LBB2450_9
; %bb.8:
	global_load_dword v1, v[10:11], off offset:256
.LBB2450_9:
	s_or_b64 exec, exec, s[8:9]
	v_or_b32_e32 v13, 0x80, v12
	v_cmp_gt_u32_e64 s[8:9], s5, v13
	s_and_saveexec_b64 s[10:11], s[8:9]
	s_cbranch_execz .LBB2450_11
; %bb.10:
	global_load_dword v2, v[10:11], off offset:512
.LBB2450_11:
	;; [unrolled: 8-line block ×7, first 2 shown]
	s_or_b64 exec, exec, s[22:23]
	s_load_dword s22, s[2:3], 0x64
	s_load_dword s56, s[2:3], 0x58
	s_add_u32 s23, s2, 0x58
	s_addc_u32 s24, s3, 0
	v_mov_b32_e32 v11, 0
	s_waitcnt lgkmcnt(0)
	s_lshr_b32 s25, s22, 16
	s_cmp_lt_u32 s4, s56
	s_cselect_b32 s22, 12, 18
	s_add_u32 s22, s23, s22
	s_addc_u32 s23, s24, 0
	global_load_ushort v36, v11, s[22:23]
	v_xor_b32_e32 v19, 0x80000000, v0
	v_lshrrev_b32_e32 v0, s52, v19
	s_lshl_b32 s22, -1, s53
	v_bitop3_b32 v0, v0, s22, v0 bitop3:0x30
	s_movk_i32 s58, 0x44
	v_and_b32_e32 v10, 1, v0
	v_lshlrev_b32_e32 v13, 30, v0
	v_mov_b32_e32 v12, v11
	v_mov_b32_e32 v24, v11
	v_mul_lo_u32 v38, v0, s58
	v_lshlrev_b32_e32 v23, 29, v0
	v_lshlrev_b32_e32 v25, 28, v0
	;; [unrolled: 1-line block ×6, first 2 shown]
	v_lshl_add_u64 v[34:35], v[10:11], 0, -1
	v_cmp_ne_u32_e32 vcc, 0, v10
	v_not_b32_e32 v0, v13
	v_mov_b32_e32 v22, v11
	v_mov_b32_e32 v26, v11
	s_not_b32 s57, s22
	v_cmp_gt_i64_e64 s[22:23], 0, v[12:13]
	v_not_b32_e32 v10, v23
	v_cmp_gt_i64_e64 s[26:27], 0, v[24:25]
	v_not_b32_e32 v12, v25
	v_xor_b32_e32 v25, vcc_lo, v34
	v_ashrrev_i32_e32 v0, 31, v0
	v_mad_u32_u24 v37, v14, s25, v9
	v_cmp_gt_i64_e64 s[24:25], 0, v[22:23]
	v_cmp_gt_i64_e64 s[30:31], 0, v[26:27]
	v_ashrrev_i32_e32 v10, 31, v10
	v_and_b32_e32 v25, exec_lo, v25
	v_xor_b32_e32 v26, s23, v0
	v_xor_b32_e32 v0, s22, v0
	v_mov_b32_e32 v28, v11
	v_not_b32_e32 v13, v27
	v_ashrrev_i32_e32 v12, 31, v12
	v_xor_b32_e32 v27, s25, v10
	v_xor_b32_e32 v10, s24, v10
	v_and_b32_e32 v0, v25, v0
	v_cmp_gt_i64_e64 s[34:35], 0, v[28:29]
	v_xor_b32_e32 v24, vcc_hi, v35
	v_ashrrev_i32_e32 v13, 31, v13
	v_xor_b32_e32 v28, s27, v12
	v_xor_b32_e32 v12, s26, v12
	v_and_b32_e32 v0, v0, v10
	v_not_b32_e32 v22, v29
	v_and_b32_e32 v24, exec_hi, v24
	v_xor_b32_e32 v29, s31, v13
	v_xor_b32_e32 v13, s30, v13
	v_and_b32_e32 v0, v0, v12
	v_and_b32_e32 v24, v24, v26
	v_and_b32_e32 v0, v0, v13
	v_mov_b32_e32 v30, v11
	v_not_b32_e32 v23, v31
	v_ashrrev_i32_e32 v22, 31, v22
	v_and_b32_e32 v24, v24, v27
	v_mov_b32_e32 v32, v11
	v_cmp_gt_i64_e64 s[36:37], 0, v[30:31]
	v_ashrrev_i32_e32 v23, 31, v23
	v_xor_b32_e32 v30, s35, v22
	v_xor_b32_e32 v22, s34, v22
	v_and_b32_e32 v10, v24, v28
	v_xor_b32_e32 v31, s37, v23
	v_xor_b32_e32 v23, s36, v23
	v_and_b32_e32 v10, v10, v29
	v_and_b32_e32 v0, v0, v22
	v_cmp_gt_i64_e32 vcc, 0, v[32:33]
	v_and_b32_e32 v10, v10, v30
	v_and_b32_e32 v0, v0, v23
	;; [unrolled: 1-line block ×3, first 2 shown]
	v_mul_u32_u24_e32 v21, 20, v8
	ds_write2_b32 v21, v11, v11 offset0:16 offset1:17
	ds_write2_b32 v21, v11, v11 offset0:18 offset1:19
	ds_write_b32 v21, v11 offset:80
	s_waitcnt lgkmcnt(0)
	s_barrier
	s_waitcnt vmcnt(0)
	; wave barrier
	v_mad_u64_u32 v[12:13], s[22:23], v37, v36, v[8:9]
	v_lshrrev_b32_e32 v12, 4, v12
	v_and_b32_e32 v35, 0xffffffc, v12
	v_not_b32_e32 v12, v33
	v_ashrrev_i32_e32 v12, 31, v12
	v_xor_b32_e32 v13, vcc_hi, v12
	v_xor_b32_e32 v12, vcc_lo, v12
	v_and_b32_e32 v12, v0, v12
	v_and_b32_e32 v13, v10, v13
	v_mbcnt_lo_u32_b32 v0, v12, 0
	v_mbcnt_hi_u32_b32 v22, v13, v0
	v_cmp_eq_u32_e32 vcc, 0, v22
	v_cmp_ne_u64_e64 s[22:23], 0, v[12:13]
	s_and_b64 s[24:25], s[22:23], vcc
	v_add_u32_e32 v26, v35, v38
	s_and_saveexec_b64 s[22:23], s[24:25]
; %bb.22:
	v_bcnt_u32_b32 v0, v12, 0
	v_bcnt_u32_b32 v0, v13, v0
	ds_write_b32 v26, v0 offset:64
; %bb.23:
	s_or_b64 exec, exec, s[22:23]
	v_xor_b32_e32 v12, 0x80000000, v1
	v_lshrrev_b32_e32 v0, s52, v12
	v_and_b32_e32 v13, s57, v0
	v_mul_lo_u32 v0, v13, s58
	v_and_b32_e32 v10, 1, v13
	v_add_u32_e32 v27, v35, v0
	v_lshl_add_u64 v[0:1], v[10:11], 0, -1
	v_cmp_ne_u32_e32 vcc, 0, v10
	; wave barrier
	s_nop 1
	v_xor_b32_e32 v1, vcc_hi, v1
	v_xor_b32_e32 v0, vcc_lo, v0
	v_and_b32_e32 v10, exec_hi, v1
	v_and_b32_e32 v24, exec_lo, v0
	v_lshlrev_b32_e32 v1, 30, v13
	v_mov_b32_e32 v0, v11
	v_cmp_gt_i64_e32 vcc, 0, v[0:1]
	v_not_b32_e32 v0, v1
	v_ashrrev_i32_e32 v0, 31, v0
	v_xor_b32_e32 v1, vcc_hi, v0
	v_xor_b32_e32 v0, vcc_lo, v0
	v_and_b32_e32 v10, v10, v1
	v_and_b32_e32 v24, v24, v0
	v_lshlrev_b32_e32 v1, 29, v13
	v_mov_b32_e32 v0, v11
	v_cmp_gt_i64_e32 vcc, 0, v[0:1]
	v_not_b32_e32 v0, v1
	v_ashrrev_i32_e32 v0, 31, v0
	v_xor_b32_e32 v1, vcc_hi, v0
	v_xor_b32_e32 v0, vcc_lo, v0
	v_and_b32_e32 v10, v10, v1
	v_and_b32_e32 v24, v24, v0
	v_lshlrev_b32_e32 v1, 28, v13
	v_mov_b32_e32 v0, v11
	v_cmp_gt_i64_e32 vcc, 0, v[0:1]
	v_not_b32_e32 v0, v1
	v_ashrrev_i32_e32 v0, 31, v0
	v_xor_b32_e32 v1, vcc_hi, v0
	v_xor_b32_e32 v0, vcc_lo, v0
	v_and_b32_e32 v10, v10, v1
	v_and_b32_e32 v24, v24, v0
	v_lshlrev_b32_e32 v1, 27, v13
	v_mov_b32_e32 v0, v11
	v_cmp_gt_i64_e32 vcc, 0, v[0:1]
	v_not_b32_e32 v0, v1
	v_ashrrev_i32_e32 v0, 31, v0
	v_xor_b32_e32 v1, vcc_hi, v0
	v_xor_b32_e32 v0, vcc_lo, v0
	v_and_b32_e32 v10, v10, v1
	v_and_b32_e32 v24, v24, v0
	v_lshlrev_b32_e32 v1, 26, v13
	v_mov_b32_e32 v0, v11
	v_cmp_gt_i64_e32 vcc, 0, v[0:1]
	v_not_b32_e32 v0, v1
	v_ashrrev_i32_e32 v0, 31, v0
	v_xor_b32_e32 v1, vcc_hi, v0
	v_xor_b32_e32 v0, vcc_lo, v0
	v_and_b32_e32 v10, v10, v1
	v_and_b32_e32 v24, v24, v0
	v_lshlrev_b32_e32 v1, 25, v13
	v_mov_b32_e32 v0, v11
	v_cmp_gt_i64_e32 vcc, 0, v[0:1]
	v_not_b32_e32 v0, v1
	v_ashrrev_i32_e32 v0, 31, v0
	v_xor_b32_e32 v1, vcc_hi, v0
	v_xor_b32_e32 v0, vcc_lo, v0
	v_and_b32_e32 v10, v10, v1
	v_and_b32_e32 v24, v24, v0
	v_lshlrev_b32_e32 v1, 24, v13
	v_mov_b32_e32 v0, v11
	v_cmp_gt_i64_e32 vcc, 0, v[0:1]
	v_not_b32_e32 v0, v1
	v_ashrrev_i32_e32 v0, 31, v0
	v_xor_b32_e32 v1, vcc_hi, v0
	v_xor_b32_e32 v0, vcc_lo, v0
	ds_read_b32 v23, v27 offset:64
	v_and_b32_e32 v0, v24, v0
	v_and_b32_e32 v1, v10, v1
	v_mbcnt_lo_u32_b32 v10, v0, 0
	v_mbcnt_hi_u32_b32 v24, v1, v10
	v_cmp_eq_u32_e32 vcc, 0, v24
	v_cmp_ne_u64_e64 s[22:23], 0, v[0:1]
	s_and_b64 s[24:25], s[22:23], vcc
	; wave barrier
	s_and_saveexec_b64 s[22:23], s[24:25]
	s_cbranch_execz .LBB2450_25
; %bb.24:
	v_bcnt_u32_b32 v0, v0, 0
	v_bcnt_u32_b32 v0, v1, v0
	s_waitcnt lgkmcnt(0)
	v_add_u32_e32 v0, v23, v0
	ds_write_b32 v27, v0 offset:64
.LBB2450_25:
	s_or_b64 exec, exec, s[22:23]
	v_xor_b32_e32 v13, 0x80000000, v2
	v_lshrrev_b32_e32 v0, s52, v13
	v_and_b32_e32 v2, s57, v0
	s_movk_i32 s24, 0x44
	v_mul_lo_u32 v0, v2, s24
	v_add_u32_e32 v31, v35, v0
	v_and_b32_e32 v0, 1, v2
	v_mov_b32_e32 v1, 0
	v_lshl_add_u64 v[10:11], v[0:1], 0, -1
	v_cmp_ne_u32_e32 vcc, 0, v0
	; wave barrier
	s_nop 1
	v_xor_b32_e32 v10, vcc_lo, v10
	v_xor_b32_e32 v0, vcc_hi, v11
	v_and_b32_e32 v28, exec_lo, v10
	v_lshlrev_b32_e32 v11, 30, v2
	v_mov_b32_e32 v10, v1
	v_cmp_gt_i64_e32 vcc, 0, v[10:11]
	v_not_b32_e32 v10, v11
	v_ashrrev_i32_e32 v10, 31, v10
	v_and_b32_e32 v0, exec_hi, v0
	v_xor_b32_e32 v11, vcc_hi, v10
	v_xor_b32_e32 v10, vcc_lo, v10
	v_and_b32_e32 v0, v0, v11
	v_and_b32_e32 v28, v28, v10
	v_lshlrev_b32_e32 v11, 29, v2
	v_mov_b32_e32 v10, v1
	v_cmp_gt_i64_e32 vcc, 0, v[10:11]
	v_not_b32_e32 v10, v11
	v_ashrrev_i32_e32 v10, 31, v10
	v_xor_b32_e32 v11, vcc_hi, v10
	v_xor_b32_e32 v10, vcc_lo, v10
	v_and_b32_e32 v0, v0, v11
	v_and_b32_e32 v28, v28, v10
	v_lshlrev_b32_e32 v11, 28, v2
	v_mov_b32_e32 v10, v1
	v_cmp_gt_i64_e32 vcc, 0, v[10:11]
	v_not_b32_e32 v10, v11
	v_ashrrev_i32_e32 v10, 31, v10
	;; [unrolled: 9-line block ×5, first 2 shown]
	v_xor_b32_e32 v11, vcc_hi, v10
	v_xor_b32_e32 v10, vcc_lo, v10
	v_and_b32_e32 v0, v0, v11
	v_lshlrev_b32_e32 v11, 24, v2
	v_and_b32_e32 v28, v28, v10
	v_mov_b32_e32 v10, v1
	v_not_b32_e32 v2, v11
	v_cmp_gt_i64_e32 vcc, 0, v[10:11]
	v_ashrrev_i32_e32 v2, 31, v2
	ds_read_b32 v25, v31 offset:64
	v_xor_b32_e32 v10, vcc_hi, v2
	v_xor_b32_e32 v2, vcc_lo, v2
	v_and_b32_e32 v11, v0, v10
	v_and_b32_e32 v10, v28, v2
	v_mbcnt_lo_u32_b32 v0, v10, 0
	v_mbcnt_hi_u32_b32 v29, v11, v0
	v_cmp_eq_u32_e32 vcc, 0, v29
	v_cmp_ne_u64_e64 s[22:23], 0, v[10:11]
	s_and_b64 s[26:27], s[22:23], vcc
	; wave barrier
	s_and_saveexec_b64 s[22:23], s[26:27]
	s_cbranch_execz .LBB2450_27
; %bb.26:
	v_bcnt_u32_b32 v0, v10, 0
	v_bcnt_u32_b32 v0, v11, v0
	s_waitcnt lgkmcnt(0)
	v_add_u32_e32 v0, v25, v0
	ds_write_b32 v31, v0 offset:64
.LBB2450_27:
	s_or_b64 exec, exec, s[22:23]
	v_xor_b32_e32 v10, 0x80000000, v3
	v_lshrrev_b32_e32 v0, s52, v10
	v_and_b32_e32 v11, s57, v0
	v_mul_lo_u32 v0, v11, s24
	v_add_u32_e32 v36, v35, v0
	v_and_b32_e32 v0, 1, v11
	v_lshl_add_u64 v[2:3], v[0:1], 0, -1
	v_cmp_ne_u32_e32 vcc, 0, v0
	; wave barrier
	s_nop 1
	v_xor_b32_e32 v2, vcc_lo, v2
	v_xor_b32_e32 v0, vcc_hi, v3
	v_and_b32_e32 v28, exec_lo, v2
	v_lshlrev_b32_e32 v3, 30, v11
	v_mov_b32_e32 v2, v1
	v_cmp_gt_i64_e32 vcc, 0, v[2:3]
	v_not_b32_e32 v2, v3
	v_ashrrev_i32_e32 v2, 31, v2
	v_and_b32_e32 v0, exec_hi, v0
	v_xor_b32_e32 v3, vcc_hi, v2
	v_xor_b32_e32 v2, vcc_lo, v2
	v_and_b32_e32 v0, v0, v3
	v_and_b32_e32 v28, v28, v2
	v_lshlrev_b32_e32 v3, 29, v11
	v_mov_b32_e32 v2, v1
	v_cmp_gt_i64_e32 vcc, 0, v[2:3]
	v_not_b32_e32 v2, v3
	v_ashrrev_i32_e32 v2, 31, v2
	v_xor_b32_e32 v3, vcc_hi, v2
	v_xor_b32_e32 v2, vcc_lo, v2
	v_and_b32_e32 v0, v0, v3
	v_and_b32_e32 v28, v28, v2
	v_lshlrev_b32_e32 v3, 28, v11
	v_mov_b32_e32 v2, v1
	v_cmp_gt_i64_e32 vcc, 0, v[2:3]
	v_not_b32_e32 v2, v3
	v_ashrrev_i32_e32 v2, 31, v2
	;; [unrolled: 9-line block ×5, first 2 shown]
	v_xor_b32_e32 v3, vcc_hi, v2
	v_xor_b32_e32 v2, vcc_lo, v2
	v_and_b32_e32 v0, v0, v3
	v_lshlrev_b32_e32 v3, 24, v11
	v_and_b32_e32 v28, v28, v2
	v_mov_b32_e32 v2, v1
	v_not_b32_e32 v1, v3
	v_cmp_gt_i64_e32 vcc, 0, v[2:3]
	v_ashrrev_i32_e32 v1, 31, v1
	ds_read_b32 v30, v36 offset:64
	v_xor_b32_e32 v2, vcc_hi, v1
	v_xor_b32_e32 v3, vcc_lo, v1
	v_and_b32_e32 v1, v0, v2
	v_and_b32_e32 v0, v28, v3
	v_mbcnt_lo_u32_b32 v2, v0, 0
	v_mbcnt_hi_u32_b32 v33, v1, v2
	v_cmp_eq_u32_e32 vcc, 0, v33
	v_cmp_ne_u64_e64 s[22:23], 0, v[0:1]
	s_and_b64 s[24:25], s[22:23], vcc
	; wave barrier
	s_and_saveexec_b64 s[22:23], s[24:25]
	s_cbranch_execz .LBB2450_29
; %bb.28:
	v_bcnt_u32_b32 v0, v0, 0
	v_bcnt_u32_b32 v0, v1, v0
	s_waitcnt lgkmcnt(0)
	v_add_u32_e32 v0, v30, v0
	ds_write_b32 v36, v0 offset:64
.LBB2450_29:
	s_or_b64 exec, exec, s[22:23]
	v_xor_b32_e32 v11, 0x80000000, v4
	v_lshrrev_b32_e32 v0, s52, v11
	v_and_b32_e32 v28, s57, v0
	s_movk_i32 s24, 0x44
	v_mul_lo_u32 v0, v28, s24
	v_add_u32_e32 v4, v35, v0
	v_and_b32_e32 v0, 1, v28
	v_mov_b32_e32 v1, 0
	v_lshl_add_u64 v[2:3], v[0:1], 0, -1
	v_cmp_ne_u32_e32 vcc, 0, v0
	; wave barrier
	s_nop 1
	v_xor_b32_e32 v2, vcc_lo, v2
	v_xor_b32_e32 v0, vcc_hi, v3
	v_and_b32_e32 v32, exec_lo, v2
	v_lshlrev_b32_e32 v3, 30, v28
	v_mov_b32_e32 v2, v1
	v_cmp_gt_i64_e32 vcc, 0, v[2:3]
	v_not_b32_e32 v2, v3
	v_ashrrev_i32_e32 v2, 31, v2
	v_and_b32_e32 v0, exec_hi, v0
	v_xor_b32_e32 v3, vcc_hi, v2
	v_xor_b32_e32 v2, vcc_lo, v2
	v_and_b32_e32 v0, v0, v3
	v_and_b32_e32 v32, v32, v2
	v_lshlrev_b32_e32 v3, 29, v28
	v_mov_b32_e32 v2, v1
	v_cmp_gt_i64_e32 vcc, 0, v[2:3]
	v_not_b32_e32 v2, v3
	v_ashrrev_i32_e32 v2, 31, v2
	v_xor_b32_e32 v3, vcc_hi, v2
	v_xor_b32_e32 v2, vcc_lo, v2
	v_and_b32_e32 v0, v0, v3
	v_and_b32_e32 v32, v32, v2
	v_lshlrev_b32_e32 v3, 28, v28
	v_mov_b32_e32 v2, v1
	v_cmp_gt_i64_e32 vcc, 0, v[2:3]
	v_not_b32_e32 v2, v3
	v_ashrrev_i32_e32 v2, 31, v2
	;; [unrolled: 9-line block ×6, first 2 shown]
	v_xor_b32_e32 v3, vcc_hi, v2
	v_xor_b32_e32 v2, vcc_lo, v2
	ds_read_b32 v34, v4 offset:64
	v_and_b32_e32 v2, v32, v2
	v_and_b32_e32 v3, v0, v3
	v_mbcnt_lo_u32_b32 v0, v2, 0
	v_mbcnt_hi_u32_b32 v38, v3, v0
	v_cmp_eq_u32_e32 vcc, 0, v38
	v_cmp_ne_u64_e64 s[22:23], 0, v[2:3]
	s_and_b64 s[26:27], s[22:23], vcc
	; wave barrier
	s_and_saveexec_b64 s[22:23], s[26:27]
	s_cbranch_execz .LBB2450_31
; %bb.30:
	v_bcnt_u32_b32 v0, v2, 0
	v_bcnt_u32_b32 v0, v3, v0
	s_waitcnt lgkmcnt(0)
	v_add_u32_e32 v0, v34, v0
	ds_write_b32 v4, v0 offset:64
.LBB2450_31:
	s_or_b64 exec, exec, s[22:23]
	v_xor_b32_e32 v28, 0x80000000, v5
	v_lshrrev_b32_e32 v0, s52, v28
	v_and_b32_e32 v32, s57, v0
	v_mul_lo_u32 v0, v32, s24
	v_add_u32_e32 v5, v35, v0
	v_and_b32_e32 v0, 1, v32
	v_lshl_add_u64 v[2:3], v[0:1], 0, -1
	v_cmp_ne_u32_e32 vcc, 0, v0
	; wave barrier
	s_nop 1
	v_xor_b32_e32 v2, vcc_lo, v2
	v_xor_b32_e32 v0, vcc_hi, v3
	v_and_b32_e32 v37, exec_lo, v2
	v_lshlrev_b32_e32 v3, 30, v32
	v_mov_b32_e32 v2, v1
	v_cmp_gt_i64_e32 vcc, 0, v[2:3]
	v_not_b32_e32 v2, v3
	v_ashrrev_i32_e32 v2, 31, v2
	v_and_b32_e32 v0, exec_hi, v0
	v_xor_b32_e32 v3, vcc_hi, v2
	v_xor_b32_e32 v2, vcc_lo, v2
	v_and_b32_e32 v0, v0, v3
	v_and_b32_e32 v37, v37, v2
	v_lshlrev_b32_e32 v3, 29, v32
	v_mov_b32_e32 v2, v1
	v_cmp_gt_i64_e32 vcc, 0, v[2:3]
	v_not_b32_e32 v2, v3
	v_ashrrev_i32_e32 v2, 31, v2
	v_xor_b32_e32 v3, vcc_hi, v2
	v_xor_b32_e32 v2, vcc_lo, v2
	v_and_b32_e32 v0, v0, v3
	v_and_b32_e32 v37, v37, v2
	v_lshlrev_b32_e32 v3, 28, v32
	v_mov_b32_e32 v2, v1
	v_cmp_gt_i64_e32 vcc, 0, v[2:3]
	v_not_b32_e32 v2, v3
	v_ashrrev_i32_e32 v2, 31, v2
	v_xor_b32_e32 v3, vcc_hi, v2
	v_xor_b32_e32 v2, vcc_lo, v2
	v_and_b32_e32 v0, v0, v3
	v_and_b32_e32 v37, v37, v2
	v_lshlrev_b32_e32 v3, 27, v32
	v_mov_b32_e32 v2, v1
	v_cmp_gt_i64_e32 vcc, 0, v[2:3]
	v_not_b32_e32 v2, v3
	v_ashrrev_i32_e32 v2, 31, v2
	v_xor_b32_e32 v3, vcc_hi, v2
	v_xor_b32_e32 v2, vcc_lo, v2
	v_and_b32_e32 v0, v0, v3
	v_and_b32_e32 v37, v37, v2
	v_lshlrev_b32_e32 v3, 26, v32
	v_mov_b32_e32 v2, v1
	v_cmp_gt_i64_e32 vcc, 0, v[2:3]
	v_not_b32_e32 v2, v3
	v_ashrrev_i32_e32 v2, 31, v2
	v_xor_b32_e32 v3, vcc_hi, v2
	v_xor_b32_e32 v2, vcc_lo, v2
	v_and_b32_e32 v0, v0, v3
	v_and_b32_e32 v37, v37, v2
	v_lshlrev_b32_e32 v3, 25, v32
	v_mov_b32_e32 v2, v1
	v_cmp_gt_i64_e32 vcc, 0, v[2:3]
	v_not_b32_e32 v2, v3
	v_ashrrev_i32_e32 v2, 31, v2
	v_xor_b32_e32 v3, vcc_hi, v2
	v_xor_b32_e32 v2, vcc_lo, v2
	v_and_b32_e32 v0, v0, v3
	v_lshlrev_b32_e32 v3, 24, v32
	v_and_b32_e32 v37, v37, v2
	v_mov_b32_e32 v2, v1
	v_not_b32_e32 v1, v3
	v_cmp_gt_i64_e32 vcc, 0, v[2:3]
	v_ashrrev_i32_e32 v1, 31, v1
	ds_read_b32 v39, v5 offset:64
	v_xor_b32_e32 v2, vcc_hi, v1
	v_xor_b32_e32 v3, vcc_lo, v1
	v_and_b32_e32 v1, v0, v2
	v_and_b32_e32 v0, v37, v3
	v_mbcnt_lo_u32_b32 v2, v0, 0
	v_mbcnt_hi_u32_b32 v40, v1, v2
	v_cmp_eq_u32_e32 vcc, 0, v40
	v_cmp_ne_u64_e64 s[22:23], 0, v[0:1]
	s_and_b64 s[24:25], s[22:23], vcc
	; wave barrier
	s_and_saveexec_b64 s[22:23], s[24:25]
	s_cbranch_execz .LBB2450_33
; %bb.32:
	v_bcnt_u32_b32 v0, v0, 0
	v_bcnt_u32_b32 v0, v1, v0
	s_waitcnt lgkmcnt(0)
	v_add_u32_e32 v0, v39, v0
	ds_write_b32 v5, v0 offset:64
.LBB2450_33:
	s_or_b64 exec, exec, s[22:23]
	v_xor_b32_e32 v32, 0x80000000, v6
	v_lshrrev_b32_e32 v0, s52, v32
	v_and_b32_e32 v37, s57, v0
	s_movk_i32 s24, 0x44
	v_mul_lo_u32 v0, v37, s24
	v_add_u32_e32 v6, v35, v0
	v_and_b32_e32 v0, 1, v37
	v_mov_b32_e32 v1, 0
	v_lshl_add_u64 v[2:3], v[0:1], 0, -1
	v_cmp_ne_u32_e32 vcc, 0, v0
	; wave barrier
	s_nop 1
	v_xor_b32_e32 v2, vcc_lo, v2
	v_xor_b32_e32 v0, vcc_hi, v3
	v_and_b32_e32 v42, exec_lo, v2
	v_lshlrev_b32_e32 v3, 30, v37
	v_mov_b32_e32 v2, v1
	v_cmp_gt_i64_e32 vcc, 0, v[2:3]
	v_not_b32_e32 v2, v3
	v_ashrrev_i32_e32 v2, 31, v2
	v_and_b32_e32 v0, exec_hi, v0
	v_xor_b32_e32 v3, vcc_hi, v2
	v_xor_b32_e32 v2, vcc_lo, v2
	v_and_b32_e32 v0, v0, v3
	v_and_b32_e32 v42, v42, v2
	v_lshlrev_b32_e32 v3, 29, v37
	v_mov_b32_e32 v2, v1
	v_cmp_gt_i64_e32 vcc, 0, v[2:3]
	v_not_b32_e32 v2, v3
	v_ashrrev_i32_e32 v2, 31, v2
	v_xor_b32_e32 v3, vcc_hi, v2
	v_xor_b32_e32 v2, vcc_lo, v2
	v_and_b32_e32 v0, v0, v3
	v_and_b32_e32 v42, v42, v2
	v_lshlrev_b32_e32 v3, 28, v37
	v_mov_b32_e32 v2, v1
	v_cmp_gt_i64_e32 vcc, 0, v[2:3]
	v_not_b32_e32 v2, v3
	v_ashrrev_i32_e32 v2, 31, v2
	;; [unrolled: 9-line block ×6, first 2 shown]
	v_xor_b32_e32 v3, vcc_hi, v2
	v_xor_b32_e32 v2, vcc_lo, v2
	ds_read_b32 v41, v6 offset:64
	v_and_b32_e32 v2, v42, v2
	v_and_b32_e32 v3, v0, v3
	v_mbcnt_lo_u32_b32 v0, v2, 0
	v_mbcnt_hi_u32_b32 v42, v3, v0
	v_cmp_eq_u32_e32 vcc, 0, v42
	v_cmp_ne_u64_e64 s[22:23], 0, v[2:3]
	s_and_b64 s[26:27], s[22:23], vcc
	; wave barrier
	s_and_saveexec_b64 s[22:23], s[26:27]
	s_cbranch_execz .LBB2450_35
; %bb.34:
	v_bcnt_u32_b32 v0, v2, 0
	v_bcnt_u32_b32 v0, v3, v0
	s_waitcnt lgkmcnt(0)
	v_add_u32_e32 v0, v41, v0
	ds_write_b32 v6, v0 offset:64
.LBB2450_35:
	s_or_b64 exec, exec, s[22:23]
	v_xor_b32_e32 v37, 0x80000000, v7
	v_lshrrev_b32_e32 v0, s52, v37
	v_and_b32_e32 v43, s57, v0
	v_mul_lo_u32 v0, v43, s24
	v_add_u32_e32 v7, v35, v0
	v_and_b32_e32 v0, 1, v43
	v_lshl_add_u64 v[2:3], v[0:1], 0, -1
	v_cmp_ne_u32_e32 vcc, 0, v0
	; wave barrier
	s_nop 1
	v_xor_b32_e32 v2, vcc_lo, v2
	v_xor_b32_e32 v0, vcc_hi, v3
	v_and_b32_e32 v44, exec_lo, v2
	v_lshlrev_b32_e32 v3, 30, v43
	v_mov_b32_e32 v2, v1
	v_cmp_gt_i64_e32 vcc, 0, v[2:3]
	v_not_b32_e32 v2, v3
	v_ashrrev_i32_e32 v2, 31, v2
	v_and_b32_e32 v0, exec_hi, v0
	v_xor_b32_e32 v3, vcc_hi, v2
	v_xor_b32_e32 v2, vcc_lo, v2
	v_and_b32_e32 v0, v0, v3
	v_and_b32_e32 v44, v44, v2
	v_lshlrev_b32_e32 v3, 29, v43
	v_mov_b32_e32 v2, v1
	v_cmp_gt_i64_e32 vcc, 0, v[2:3]
	v_not_b32_e32 v2, v3
	v_ashrrev_i32_e32 v2, 31, v2
	v_xor_b32_e32 v3, vcc_hi, v2
	v_xor_b32_e32 v2, vcc_lo, v2
	v_and_b32_e32 v0, v0, v3
	v_and_b32_e32 v44, v44, v2
	v_lshlrev_b32_e32 v3, 28, v43
	v_mov_b32_e32 v2, v1
	v_cmp_gt_i64_e32 vcc, 0, v[2:3]
	v_not_b32_e32 v2, v3
	v_ashrrev_i32_e32 v2, 31, v2
	;; [unrolled: 9-line block ×5, first 2 shown]
	v_xor_b32_e32 v3, vcc_hi, v2
	v_xor_b32_e32 v2, vcc_lo, v2
	v_and_b32_e32 v0, v0, v3
	v_lshlrev_b32_e32 v3, 24, v43
	v_and_b32_e32 v44, v44, v2
	v_mov_b32_e32 v2, v1
	v_not_b32_e32 v1, v3
	v_cmp_gt_i64_e32 vcc, 0, v[2:3]
	v_ashrrev_i32_e32 v1, 31, v1
	ds_read_b32 v35, v7 offset:64
	v_xor_b32_e32 v2, vcc_hi, v1
	v_xor_b32_e32 v3, vcc_lo, v1
	v_and_b32_e32 v1, v0, v2
	v_and_b32_e32 v0, v44, v3
	v_mbcnt_lo_u32_b32 v2, v0, 0
	v_mbcnt_hi_u32_b32 v43, v1, v2
	v_cmp_eq_u32_e32 vcc, 0, v43
	v_cmp_ne_u64_e64 s[22:23], 0, v[0:1]
	s_and_b64 s[24:25], s[22:23], vcc
	; wave barrier
	s_and_saveexec_b64 s[22:23], s[24:25]
	s_cbranch_execz .LBB2450_37
; %bb.36:
	v_bcnt_u32_b32 v0, v0, 0
	v_bcnt_u32_b32 v0, v1, v0
	s_waitcnt lgkmcnt(0)
	v_add_u32_e32 v0, v35, v0
	ds_write_b32 v7, v0 offset:64
.LBB2450_37:
	s_or_b64 exec, exec, s[22:23]
	; wave barrier
	s_waitcnt lgkmcnt(0)
	s_barrier
	ds_read2_b32 v[2:3], v21 offset0:16 offset1:17
	ds_read2_b32 v[0:1], v21 offset0:18 offset1:19
	ds_read_b32 v44, v21 offset:80
	v_cmp_lt_u32_e64 s[30:31], 31, v20
	s_waitcnt lgkmcnt(1)
	v_add3_u32 v45, v3, v2, v0
	s_waitcnt lgkmcnt(0)
	v_add3_u32 v44, v45, v1, v44
	v_and_b32_e32 v45, 15, v20
	v_cmp_eq_u32_e32 vcc, 0, v45
	v_mov_b32_dpp v46, v44 row_shr:1 row_mask:0xf bank_mask:0xf
	v_cmp_lt_u32_e64 s[22:23], 1, v45
	v_cndmask_b32_e64 v46, v46, 0, vcc
	v_add_u32_e32 v44, v46, v44
	v_cmp_lt_u32_e64 s[24:25], 3, v45
	v_cmp_lt_u32_e64 s[26:27], 7, v45
	v_mov_b32_dpp v46, v44 row_shr:2 row_mask:0xf bank_mask:0xf
	v_cndmask_b32_e64 v46, 0, v46, s[22:23]
	v_add_u32_e32 v44, v44, v46
	s_nop 1
	v_mov_b32_dpp v46, v44 row_shr:4 row_mask:0xf bank_mask:0xf
	v_cndmask_b32_e64 v46, 0, v46, s[24:25]
	v_add_u32_e32 v44, v44, v46
	s_nop 1
	v_mov_b32_dpp v46, v44 row_shr:8 row_mask:0xf bank_mask:0xf
	v_cndmask_b32_e64 v45, 0, v46, s[26:27]
	v_add_u32_e32 v44, v44, v45
	v_bfe_i32 v46, v20, 4, 1
	s_nop 0
	v_mov_b32_dpp v45, v44 row_bcast:15 row_mask:0xf bank_mask:0xf
	v_and_b32_e32 v45, v46, v45
	v_add_u32_e32 v44, v44, v45
	v_and_b32_e32 v46, 63, v8
	s_nop 0
	v_mov_b32_dpp v45, v44 row_bcast:31 row_mask:0xf bank_mask:0xf
	v_cndmask_b32_e64 v45, 0, v45, s[30:31]
	v_add_u32_e32 v44, v44, v45
	v_lshrrev_b32_e32 v45, 6, v8
	v_cmp_eq_u32_e64 s[30:31], 63, v46
	s_and_saveexec_b64 s[34:35], s[30:31]
; %bb.38:
	v_lshlrev_b32_e32 v46, 2, v45
	ds_write_b32 v46, v44
; %bb.39:
	s_or_b64 exec, exec, s[34:35]
	v_cmp_gt_u32_e64 s[30:31], 16, v8
	s_waitcnt lgkmcnt(0)
	s_barrier
	s_and_saveexec_b64 s[34:35], s[30:31]
	s_cbranch_execz .LBB2450_41
; %bb.40:
	v_lshlrev_b32_e32 v46, 2, v8
	ds_read_b32 v47, v46
	s_waitcnt lgkmcnt(0)
	s_nop 0
	v_mov_b32_dpp v48, v47 row_shr:1 row_mask:0xf bank_mask:0xf
	v_cndmask_b32_e64 v48, v48, 0, vcc
	v_add_u32_e32 v47, v48, v47
	s_nop 1
	v_mov_b32_dpp v48, v47 row_shr:2 row_mask:0xf bank_mask:0xf
	v_cndmask_b32_e64 v48, 0, v48, s[22:23]
	v_add_u32_e32 v47, v47, v48
	s_nop 1
	v_mov_b32_dpp v48, v47 row_shr:4 row_mask:0xf bank_mask:0xf
	v_cndmask_b32_e64 v48, 0, v48, s[24:25]
	;; [unrolled: 4-line block ×3, first 2 shown]
	v_add_u32_e32 v47, v47, v48
	ds_write_b32 v46, v47
.LBB2450_41:
	s_or_b64 exec, exec, s[34:35]
	v_cmp_lt_u32_e32 vcc, 63, v8
	v_mov_b32_e32 v46, 0
	s_waitcnt lgkmcnt(0)
	s_barrier
	s_and_saveexec_b64 s[22:23], vcc
; %bb.42:
	v_lshl_add_u32 v45, v45, 2, -4
	ds_read_b32 v46, v45
; %bb.43:
	s_or_b64 exec, exec, s[22:23]
	v_subrev_co_u32_e32 v45, vcc, 1, v20
	v_and_b32_e32 v47, 64, v20
	v_cmp_lt_i32_e64 s[22:23], v45, v47
	s_waitcnt lgkmcnt(0)
	v_add_u32_e32 v44, v46, v44
	s_movk_i32 s24, 0x100
	v_cndmask_b32_e64 v20, v45, v20, s[22:23]
	v_lshlrev_b32_e32 v20, 2, v20
	ds_bpermute_b32 v20, v20, v44
	s_movk_i32 s22, 0xff
	v_cmp_lt_u32_e64 s[22:23], s22, v8
	s_waitcnt lgkmcnt(0)
	v_cndmask_b32_e32 v20, v20, v46, vcc
	v_cndmask_b32_e64 v20, v20, 0, s[20:21]
	v_add_u32_e32 v2, v20, v2
	v_add_u32_e32 v3, v2, v3
	;; [unrolled: 1-line block ×4, first 2 shown]
	ds_write2_b32 v21, v20, v2 offset0:16 offset1:17
	ds_write2_b32 v21, v3, v0 offset0:18 offset1:19
	ds_write_b32 v21, v1 offset:80
	s_waitcnt lgkmcnt(0)
	s_barrier
	ds_read_b32 v26, v26 offset:64
	ds_read_b32 v45, v27 offset:64
	;; [unrolled: 1-line block ×8, first 2 shown]
	v_cmp_gt_u32_e32 vcc, s24, v8
                                        ; implicit-def: $vgpr6
                                        ; implicit-def: $vgpr7
	s_and_saveexec_b64 s[26:27], vcc
	s_cbranch_execz .LBB2450_47
; %bb.44:
	v_mul_u32_u24_e32 v0, 0x44, v8
	ds_read_b32 v6, v0 offset:64
	v_add_u32_e32 v1, 1, v8
	v_cmp_ne_u32_e64 s[24:25], s24, v1
	v_mov_b32_e32 v0, 0x2000
	s_and_saveexec_b64 s[30:31], s[24:25]
; %bb.45:
	v_mul_u32_u24_e32 v0, 0x44, v1
	ds_read_b32 v0, v0 offset:64
; %bb.46:
	s_or_b64 exec, exec, s[30:31]
	s_waitcnt lgkmcnt(0)
	v_sub_u32_e32 v7, v0, v6
.LBB2450_47:
	s_or_b64 exec, exec, s[26:27]
	v_mov_b32_e32 v1, 0
	v_lshlrev_b32_e32 v20, 2, v8
	s_waitcnt lgkmcnt(0)
	s_barrier
	s_and_saveexec_b64 s[24:25], vcc
	s_cbranch_execz .LBB2450_57
; %bb.48:
	v_lshl_add_u32 v0, s33, 8, v8
	v_lshl_add_u64 v[2:3], v[0:1], 2, s[38:39]
	v_or_b32_e32 v0, 2.0, v7
	s_mov_b64 s[26:27], 0
	s_brev_b32 s36, -4
	s_mov_b32 s37, s33
	v_mov_b32_e32 v27, 0
	global_store_dword v[2:3], v0, off sc1
                                        ; implicit-def: $sgpr30_sgpr31
	s_branch .LBB2450_51
.LBB2450_49:                            ;   in Loop: Header=BB2450_51 Depth=1
	s_or_b64 exec, exec, s[34:35]
.LBB2450_50:                            ;   in Loop: Header=BB2450_51 Depth=1
	s_or_b64 exec, exec, s[30:31]
	v_and_b32_e32 v4, 0x3fffffff, v0
	v_add_u32_e32 v27, v4, v27
	v_cmp_gt_i32_e64 s[30:31], -2.0, v0
	s_and_b64 s[34:35], exec, s[30:31]
	s_or_b64 s[26:27], s[34:35], s[26:27]
	s_andn2_b64 exec, exec, s[26:27]
	s_cbranch_execz .LBB2450_56
.LBB2450_51:                            ; =>This Loop Header: Depth=1
                                        ;     Child Loop BB2450_54 Depth 2
	s_or_b64 s[30:31], s[30:31], exec
	s_cmp_eq_u32 s37, 0
	s_cbranch_scc1 .LBB2450_55
; %bb.52:                               ;   in Loop: Header=BB2450_51 Depth=1
	s_add_i32 s37, s37, -1
	v_lshl_or_b32 v0, s37, 8, v8
	v_lshl_add_u64 v[4:5], v[0:1], 2, s[38:39]
	global_load_dword v0, v[4:5], off sc1
	s_waitcnt vmcnt(0)
	v_cmp_gt_u32_e32 vcc, 2.0, v0
	s_and_saveexec_b64 s[30:31], vcc
	s_cbranch_execz .LBB2450_50
; %bb.53:                               ;   in Loop: Header=BB2450_51 Depth=1
	s_mov_b64 s[34:35], 0
.LBB2450_54:                            ;   Parent Loop BB2450_51 Depth=1
                                        ; =>  This Inner Loop Header: Depth=2
	global_load_dword v0, v[4:5], off sc1
	s_waitcnt vmcnt(0)
	v_cmp_lt_u32_e32 vcc, s36, v0
	s_or_b64 s[34:35], vcc, s[34:35]
	s_andn2_b64 exec, exec, s[34:35]
	s_cbranch_execnz .LBB2450_54
	s_branch .LBB2450_49
.LBB2450_55:                            ;   in Loop: Header=BB2450_51 Depth=1
                                        ; implicit-def: $sgpr37
	s_and_b64 s[34:35], exec, s[30:31]
	s_or_b64 s[26:27], s[34:35], s[26:27]
	s_andn2_b64 exec, exec, s[26:27]
	s_cbranch_execnz .LBB2450_51
.LBB2450_56:
	s_or_b64 exec, exec, s[26:27]
	v_add_u32_e32 v0, v27, v7
	v_or_b32_e32 v0, 0x80000000, v0
	global_store_dword v[2:3], v0, off sc1
	global_load_dword v0, v20, s[48:49]
	v_sub_u32_e32 v1, v27, v6
	s_waitcnt vmcnt(0)
	v_add_u32_e32 v0, v1, v0
	ds_write_b32 v20, v0
.LBB2450_57:
	s_or_b64 exec, exec, s[24:25]
	s_load_dwordx2 s[24:25], s[0:1], 0x4
	v_add_u32_e32 v27, v26, v22
	v_add3_u32 v26, v24, v23, v45
	v_add3_u32 v24, v29, v25, v46
	;; [unrolled: 1-line block ×3, first 2 shown]
	s_waitcnt lgkmcnt(0)
	s_lshr_b32 s0, s24, 16
	s_mul_i32 s0, s0, s25
	v_mul_lo_u32 v0, s0, v8
	v_mad_u32_u24 v0, v9, s25, v0
	v_add_lshl_u32 v0, v0, v14, 5
	v_add3_u32 v22, v38, v34, v21
	v_add3_u32 v21, v40, v39, v31
	;; [unrolled: 1-line block ×4, first 2 shown]
	v_add_u32_e32 v2, 0x5050, v0
	v_add_u32_e32 v3, 0x5060, v0
	v_lshlrev_b32_e32 v25, 2, v4
	v_lshlrev_b32_e32 v29, 2, v5
	;; [unrolled: 1-line block ×8, first 2 shown]
	s_mov_b32 s26, 0
	s_mov_b64 s[0:1], -1
	v_mov_b32_e32 v1, 0
	s_movk_i32 s27, 0x400
	s_movk_i32 s30, 0x800
	;; [unrolled: 1-line block ×3, first 2 shown]
	v_mov_b32_e32 v38, v27
	v_mov_b32_e32 v39, v26
	;; [unrolled: 1-line block ×9, first 2 shown]
	s_mov_b32 s34, 0
	s_branch .LBB2450_59
.LBB2450_58:                            ;   in Loop: Header=BB2450_59 Depth=1
	s_or_b64 exec, exec, s[24:25]
	s_xor_b64 s[24:25], s[0:1], -1
	s_addk_i32 s34, 0x1000
	s_addk_i32 s26, 0xc000
	s_mov_b64 s[0:1], 0
	s_and_b64 vcc, exec, s[24:25]
	v_mov_b32_e32 v46, v3
	s_waitcnt lgkmcnt(0)
	s_barrier
	s_cbranch_vccnz .LBB2450_83
.LBB2450_59:                            ; =>This Inner Loop Header: Depth=1
	v_subrev_co_u32_e32 v38, vcc, 0x1000, v38
	s_and_saveexec_b64 s[24:25], vcc
	s_cbranch_execz .LBB2450_67
; %bb.60:                               ;   in Loop: Header=BB2450_59 Depth=1
	v_add_u32_e32 v0, s26, v36
	ds_write_b32 v0, v19 offset:1024
	s_or_b64 exec, exec, s[24:25]
	v_subrev_co_u32_e32 v39, vcc, 0x1000, v39
	s_and_saveexec_b64 s[24:25], vcc
	s_cbranch_execnz .LBB2450_68
.LBB2450_61:                            ;   in Loop: Header=BB2450_59 Depth=1
	s_or_b64 exec, exec, s[24:25]
	v_subrev_co_u32_e32 v40, vcc, 0x1000, v40
	s_and_saveexec_b64 s[24:25], vcc
	s_cbranch_execz .LBB2450_69
.LBB2450_62:                            ;   in Loop: Header=BB2450_59 Depth=1
	v_add_u32_e32 v0, s26, v34
	ds_write_b32 v0, v13 offset:1024
	s_or_b64 exec, exec, s[24:25]
	v_subrev_co_u32_e32 v41, vcc, 0x1000, v41
	s_and_saveexec_b64 s[24:25], vcc
	s_cbranch_execnz .LBB2450_70
.LBB2450_63:                            ;   in Loop: Header=BB2450_59 Depth=1
	s_or_b64 exec, exec, s[24:25]
	v_subrev_co_u32_e32 v42, vcc, 0x1000, v42
	s_and_saveexec_b64 s[24:25], vcc
	s_cbranch_execz .LBB2450_71
.LBB2450_64:                            ;   in Loop: Header=BB2450_59 Depth=1
	v_add_u32_e32 v0, s26, v31
	ds_write_b32 v0, v11 offset:1024
	s_or_b64 exec, exec, s[24:25]
	v_subrev_co_u32_e32 v43, vcc, 0x1000, v43
	s_and_saveexec_b64 s[24:25], vcc
	s_cbranch_execnz .LBB2450_72
.LBB2450_65:                            ;   in Loop: Header=BB2450_59 Depth=1
	s_or_b64 exec, exec, s[24:25]
	v_subrev_co_u32_e32 v44, vcc, 0x1000, v44
	s_and_saveexec_b64 s[24:25], vcc
	s_cbranch_execz .LBB2450_73
.LBB2450_66:                            ;   in Loop: Header=BB2450_59 Depth=1
	v_add_u32_e32 v0, s26, v29
	ds_write_b32 v0, v32 offset:1024
	s_or_b64 exec, exec, s[24:25]
	v_subrev_co_u32_e32 v45, vcc, 0x1000, v45
	s_and_saveexec_b64 s[24:25], vcc
	s_cbranch_execnz .LBB2450_74
	s_branch .LBB2450_75
.LBB2450_67:                            ;   in Loop: Header=BB2450_59 Depth=1
	s_or_b64 exec, exec, s[24:25]
	v_subrev_co_u32_e32 v39, vcc, 0x1000, v39
	s_and_saveexec_b64 s[24:25], vcc
	s_cbranch_execz .LBB2450_61
.LBB2450_68:                            ;   in Loop: Header=BB2450_59 Depth=1
	v_add_u32_e32 v0, s26, v35
	ds_write_b32 v0, v12 offset:1024
	s_or_b64 exec, exec, s[24:25]
	v_subrev_co_u32_e32 v40, vcc, 0x1000, v40
	s_and_saveexec_b64 s[24:25], vcc
	s_cbranch_execnz .LBB2450_62
.LBB2450_69:                            ;   in Loop: Header=BB2450_59 Depth=1
	s_or_b64 exec, exec, s[24:25]
	v_subrev_co_u32_e32 v41, vcc, 0x1000, v41
	s_and_saveexec_b64 s[24:25], vcc
	s_cbranch_execz .LBB2450_63
.LBB2450_70:                            ;   in Loop: Header=BB2450_59 Depth=1
	v_add_u32_e32 v0, s26, v33
	ds_write_b32 v0, v10 offset:1024
	s_or_b64 exec, exec, s[24:25]
	v_subrev_co_u32_e32 v42, vcc, 0x1000, v42
	s_and_saveexec_b64 s[24:25], vcc
	s_cbranch_execnz .LBB2450_64
.LBB2450_71:                            ;   in Loop: Header=BB2450_59 Depth=1
	s_or_b64 exec, exec, s[24:25]
	v_subrev_co_u32_e32 v43, vcc, 0x1000, v43
	s_and_saveexec_b64 s[24:25], vcc
	s_cbranch_execz .LBB2450_65
.LBB2450_72:                            ;   in Loop: Header=BB2450_59 Depth=1
	v_add_u32_e32 v0, s26, v30
	ds_write_b32 v0, v28 offset:1024
	s_or_b64 exec, exec, s[24:25]
	v_subrev_co_u32_e32 v44, vcc, 0x1000, v44
	s_and_saveexec_b64 s[24:25], vcc
	s_cbranch_execnz .LBB2450_66
.LBB2450_73:                            ;   in Loop: Header=BB2450_59 Depth=1
	s_or_b64 exec, exec, s[24:25]
	v_subrev_co_u32_e32 v45, vcc, 0x1000, v45
	s_and_saveexec_b64 s[24:25], vcc
.LBB2450_74:                            ;   in Loop: Header=BB2450_59 Depth=1
	v_add_u32_e32 v0, s26, v25
	ds_write_b32 v0, v37 offset:1024
.LBB2450_75:                            ;   in Loop: Header=BB2450_59 Depth=1
	s_or_b64 exec, exec, s[24:25]
	v_add_u32_e32 v47, s34, v8
	v_cmp_gt_u32_e32 vcc, s5, v47
	s_waitcnt lgkmcnt(0)
	s_barrier
	s_and_saveexec_b64 s[24:25], vcc
	s_cbranch_execz .LBB2450_77
; %bb.76:                               ;   in Loop: Header=BB2450_59 Depth=1
	ds_read_b32 v0, v20 offset:1024
	s_waitcnt lgkmcnt(0)
	v_lshrrev_b32_e32 v48, s52, v0
	v_and_b32_e32 v50, s57, v48
	v_lshlrev_b32_e32 v48, 2, v50
	ds_read_b32 v48, v48
	v_xor_b32_e32 v51, 0x80000000, v0
	ds_write_b32 v46, v50
	s_waitcnt lgkmcnt(1)
	v_add_u32_e32 v0, v47, v48
	v_lshl_add_u64 v[48:49], v[0:1], 2, s[42:43]
	global_store_dword v[48:49], v51, off
.LBB2450_77:                            ;   in Loop: Header=BB2450_59 Depth=1
	s_or_b64 exec, exec, s[24:25]
	v_add_u32_e32 v0, 0x400, v47
	v_cmp_gt_u32_e32 vcc, s5, v0
	s_and_saveexec_b64 s[24:25], vcc
	s_cbranch_execz .LBB2450_79
; %bb.78:                               ;   in Loop: Header=BB2450_59 Depth=1
	ds_read_b32 v0, v20 offset:5120
	s_waitcnt lgkmcnt(0)
	v_lshrrev_b32_e32 v48, s52, v0
	v_and_b32_e32 v50, s57, v48
	v_lshlrev_b32_e32 v48, 2, v50
	ds_read_b32 v48, v48
	v_xor_b32_e32 v51, 0x80000000, v0
	ds_write_b32 v46, v50 offset:4
	s_waitcnt lgkmcnt(1)
	v_add3_u32 v0, v47, v48, s27
	v_lshl_add_u64 v[48:49], v[0:1], 2, s[42:43]
	global_store_dword v[48:49], v51, off
.LBB2450_79:                            ;   in Loop: Header=BB2450_59 Depth=1
	s_or_b64 exec, exec, s[24:25]
	v_add_u32_e32 v0, 0x800, v47
	v_cmp_gt_u32_e32 vcc, s5, v0
	s_and_saveexec_b64 s[24:25], vcc
	s_cbranch_execz .LBB2450_81
; %bb.80:                               ;   in Loop: Header=BB2450_59 Depth=1
	ds_read_b32 v0, v20 offset:9216
	s_waitcnt lgkmcnt(0)
	v_lshrrev_b32_e32 v48, s52, v0
	v_and_b32_e32 v50, s57, v48
	v_lshlrev_b32_e32 v48, 2, v50
	ds_read_b32 v48, v48
	v_xor_b32_e32 v51, 0x80000000, v0
	ds_write_b32 v46, v50 offset:8
	s_waitcnt lgkmcnt(1)
	v_add3_u32 v0, v47, v48, s30
	v_lshl_add_u64 v[48:49], v[0:1], 2, s[42:43]
	global_store_dword v[48:49], v51, off
.LBB2450_81:                            ;   in Loop: Header=BB2450_59 Depth=1
	s_or_b64 exec, exec, s[24:25]
	v_add_u32_e32 v0, 0xc00, v47
	v_cmp_gt_u32_e32 vcc, s5, v0
	s_and_saveexec_b64 s[24:25], vcc
	s_cbranch_execz .LBB2450_58
; %bb.82:                               ;   in Loop: Header=BB2450_59 Depth=1
	ds_read_b32 v0, v20 offset:13312
	s_waitcnt lgkmcnt(0)
	v_lshrrev_b32_e32 v48, s52, v0
	v_and_b32_e32 v50, s57, v48
	v_lshlrev_b32_e32 v48, 2, v50
	ds_read_b32 v48, v48
	v_xor_b32_e32 v51, 0x80000000, v0
	ds_write_b32 v46, v50 offset:12
	s_waitcnt lgkmcnt(1)
	v_add3_u32 v0, v47, v48, s31
	v_lshl_add_u64 v[48:49], v[0:1], 2, s[42:43]
	global_store_dword v[48:49], v51, off
	s_branch .LBB2450_58
.LBB2450_83:
	s_lshl_b64 s[0:1], s[54:55], 1
	s_add_u32 s0, s44, s0
	s_addc_u32 s1, s45, s1
	v_lshlrev_b32_e32 v0, 1, v18
	v_mov_b32_e32 v1, 0
	v_lshl_add_u64 v[10:11], s[0:1], 0, v[0:1]
	v_lshlrev_b32_e32 v0, 1, v17
	v_lshl_add_u64 v[0:1], v[10:11], 0, v[0:1]
                                        ; implicit-def: $vgpr10
	s_and_saveexec_b64 s[0:1], s[28:29]
	s_cbranch_execz .LBB2450_91
; %bb.84:
	global_load_ushort v10, v[0:1], off
	s_or_b64 exec, exec, s[0:1]
                                        ; implicit-def: $vgpr11
	s_and_saveexec_b64 s[0:1], s[6:7]
	s_cbranch_execnz .LBB2450_92
.LBB2450_85:
	s_or_b64 exec, exec, s[0:1]
                                        ; implicit-def: $vgpr12
	s_and_saveexec_b64 s[0:1], s[8:9]
	s_cbranch_execz .LBB2450_93
.LBB2450_86:
	global_load_ushort v12, v[0:1], off offset:256
	s_or_b64 exec, exec, s[0:1]
                                        ; implicit-def: $vgpr13
	s_and_saveexec_b64 s[0:1], s[10:11]
	s_cbranch_execnz .LBB2450_94
.LBB2450_87:
	s_or_b64 exec, exec, s[0:1]
                                        ; implicit-def: $vgpr17
	s_and_saveexec_b64 s[0:1], s[12:13]
	s_cbranch_execz .LBB2450_95
.LBB2450_88:
	global_load_ushort v17, v[0:1], off offset:512
	s_or_b64 exec, exec, s[0:1]
                                        ; implicit-def: $vgpr18
	s_and_saveexec_b64 s[0:1], s[14:15]
	s_cbranch_execnz .LBB2450_96
.LBB2450_89:
	s_or_b64 exec, exec, s[0:1]
                                        ; implicit-def: $vgpr19
	s_and_saveexec_b64 s[0:1], s[16:17]
	s_cbranch_execz .LBB2450_97
.LBB2450_90:
	global_load_ushort v19, v[0:1], off offset:768
	s_or_b64 exec, exec, s[0:1]
                                        ; implicit-def: $vgpr25
	s_and_saveexec_b64 s[0:1], s[18:19]
	s_cbranch_execnz .LBB2450_98
	s_branch .LBB2450_99
.LBB2450_91:
	s_or_b64 exec, exec, s[0:1]
                                        ; implicit-def: $vgpr11
	s_and_saveexec_b64 s[0:1], s[6:7]
	s_cbranch_execz .LBB2450_85
.LBB2450_92:
	global_load_ushort v11, v[0:1], off offset:128
	s_or_b64 exec, exec, s[0:1]
                                        ; implicit-def: $vgpr12
	s_and_saveexec_b64 s[0:1], s[8:9]
	s_cbranch_execnz .LBB2450_86
.LBB2450_93:
	s_or_b64 exec, exec, s[0:1]
                                        ; implicit-def: $vgpr13
	s_and_saveexec_b64 s[0:1], s[10:11]
	s_cbranch_execz .LBB2450_87
.LBB2450_94:
	global_load_ushort v13, v[0:1], off offset:384
	s_or_b64 exec, exec, s[0:1]
                                        ; implicit-def: $vgpr17
	s_and_saveexec_b64 s[0:1], s[12:13]
	s_cbranch_execnz .LBB2450_88
.LBB2450_95:
	s_or_b64 exec, exec, s[0:1]
                                        ; implicit-def: $vgpr18
	s_and_saveexec_b64 s[0:1], s[14:15]
	s_cbranch_execz .LBB2450_89
.LBB2450_96:
	global_load_ushort v18, v[0:1], off offset:640
	s_or_b64 exec, exec, s[0:1]
                                        ; implicit-def: $vgpr19
	s_and_saveexec_b64 s[0:1], s[16:17]
	s_cbranch_execnz .LBB2450_90
.LBB2450_97:
	s_or_b64 exec, exec, s[0:1]
                                        ; implicit-def: $vgpr25
	s_and_saveexec_b64 s[0:1], s[18:19]
	s_cbranch_execz .LBB2450_99
.LBB2450_98:
	global_load_ushort v25, v[0:1], off offset:896
.LBB2450_99:
	s_or_b64 exec, exec, s[0:1]
	s_movk_i32 s6, 0x2000
	v_cmp_gt_u32_e32 vcc, s6, v27
	s_and_saveexec_b64 s[0:1], vcc
	s_cbranch_execz .LBB2450_107
; %bb.100:
	v_lshlrev_b32_e32 v0, 1, v27
	s_waitcnt vmcnt(0)
	ds_write_b16 v0, v10 offset:1024
	s_or_b64 exec, exec, s[0:1]
	v_cmp_gt_u32_e32 vcc, s6, v26
	s_and_saveexec_b64 s[0:1], vcc
	s_cbranch_execnz .LBB2450_108
.LBB2450_101:
	s_or_b64 exec, exec, s[0:1]
	v_cmp_gt_u32_e32 vcc, s6, v24
	s_and_saveexec_b64 s[0:1], vcc
	s_cbranch_execz .LBB2450_109
.LBB2450_102:
	v_lshlrev_b32_e32 v0, 1, v24
	s_waitcnt vmcnt(0)
	ds_write_b16 v0, v12 offset:1024
	s_or_b64 exec, exec, s[0:1]
	v_cmp_gt_u32_e32 vcc, s6, v23
	s_and_saveexec_b64 s[0:1], vcc
	s_cbranch_execnz .LBB2450_110
.LBB2450_103:
	s_or_b64 exec, exec, s[0:1]
	v_cmp_gt_u32_e32 vcc, s6, v22
	s_and_saveexec_b64 s[0:1], vcc
	s_cbranch_execz .LBB2450_111
.LBB2450_104:
	v_lshlrev_b32_e32 v0, 1, v22
	s_waitcnt vmcnt(0)
	ds_write_b16 v0, v17 offset:1024
	s_or_b64 exec, exec, s[0:1]
	v_cmp_gt_u32_e32 vcc, s6, v21
	s_and_saveexec_b64 s[0:1], vcc
	s_cbranch_execnz .LBB2450_112
.LBB2450_105:
	s_or_b64 exec, exec, s[0:1]
	v_cmp_gt_u32_e32 vcc, s6, v5
	s_and_saveexec_b64 s[0:1], vcc
	s_cbranch_execz .LBB2450_113
.LBB2450_106:
	v_lshlrev_b32_e32 v0, 1, v5
	s_waitcnt vmcnt(0)
	ds_write_b16 v0, v19 offset:1024
	s_or_b64 exec, exec, s[0:1]
	v_cmp_gt_u32_e32 vcc, s6, v4
	s_and_saveexec_b64 s[0:1], vcc
	s_cbranch_execnz .LBB2450_114
	s_branch .LBB2450_115
.LBB2450_107:
	s_or_b64 exec, exec, s[0:1]
	v_cmp_gt_u32_e32 vcc, s6, v26
	s_and_saveexec_b64 s[0:1], vcc
	s_cbranch_execz .LBB2450_101
.LBB2450_108:
	v_lshlrev_b32_e32 v0, 1, v26
	s_waitcnt vmcnt(0)
	ds_write_b16 v0, v11 offset:1024
	s_or_b64 exec, exec, s[0:1]
	v_cmp_gt_u32_e32 vcc, s6, v24
	s_and_saveexec_b64 s[0:1], vcc
	s_cbranch_execnz .LBB2450_102
.LBB2450_109:
	s_or_b64 exec, exec, s[0:1]
	v_cmp_gt_u32_e32 vcc, s6, v23
	s_and_saveexec_b64 s[0:1], vcc
	s_cbranch_execz .LBB2450_103
.LBB2450_110:
	v_lshlrev_b32_e32 v0, 1, v23
	s_waitcnt vmcnt(0)
	ds_write_b16 v0, v13 offset:1024
	s_or_b64 exec, exec, s[0:1]
	v_cmp_gt_u32_e32 vcc, s6, v22
	s_and_saveexec_b64 s[0:1], vcc
	s_cbranch_execnz .LBB2450_104
.LBB2450_111:
	s_or_b64 exec, exec, s[0:1]
	v_cmp_gt_u32_e32 vcc, s6, v21
	s_and_saveexec_b64 s[0:1], vcc
	s_cbranch_execz .LBB2450_105
.LBB2450_112:
	v_lshlrev_b32_e32 v0, 1, v21
	s_waitcnt vmcnt(0)
	ds_write_b16 v0, v18 offset:1024
	s_or_b64 exec, exec, s[0:1]
	v_cmp_gt_u32_e32 vcc, s6, v5
	s_and_saveexec_b64 s[0:1], vcc
	s_cbranch_execnz .LBB2450_106
.LBB2450_113:
	s_or_b64 exec, exec, s[0:1]
	v_cmp_gt_u32_e32 vcc, s6, v4
	s_and_saveexec_b64 s[0:1], vcc
	s_cbranch_execz .LBB2450_115
.LBB2450_114:
	v_lshlrev_b32_e32 v0, 1, v4
	s_waitcnt vmcnt(0)
	ds_write_b16 v0, v25 offset:1024
.LBB2450_115:
	s_or_b64 exec, exec, s[0:1]
	v_cmp_gt_u32_e32 vcc, s5, v8
	s_waitcnt lgkmcnt(0)
	s_barrier
	s_and_saveexec_b64 s[0:1], vcc
	s_cbranch_execz .LBB2450_117
; %bb.116:
	ds_read_b32 v0, v2
	v_lshlrev_b32_e32 v1, 1, v8
	ds_read_u16 v4, v1 offset:1024
	v_mov_b32_e32 v1, 0
	s_waitcnt lgkmcnt(1)
	v_lshlrev_b32_e32 v0, 2, v0
	ds_read_b32 v0, v0
	s_waitcnt lgkmcnt(0)
	v_add_u32_e32 v0, v0, v8
	v_lshl_add_u64 v[0:1], v[0:1], 1, s[46:47]
	global_store_short v[0:1], v4, off
.LBB2450_117:
	s_or_b64 exec, exec, s[0:1]
	v_or_b32_e32 v0, 0x400, v8
	v_cmp_gt_u32_e32 vcc, s5, v0
	s_and_saveexec_b64 s[0:1], vcc
	s_cbranch_execz .LBB2450_119
; %bb.118:
	ds_read_b32 v1, v2 offset:4
	v_lshlrev_b32_e32 v4, 1, v8
	ds_read_u16 v4, v4 offset:3072
	s_waitcnt lgkmcnt(1)
	v_lshlrev_b32_e32 v1, 2, v1
	ds_read_b32 v1, v1
	s_waitcnt lgkmcnt(0)
	v_add_u32_e32 v0, v1, v0
	v_mov_b32_e32 v1, 0
	v_lshl_add_u64 v[0:1], v[0:1], 1, s[46:47]
	global_store_short v[0:1], v4, off
.LBB2450_119:
	s_or_b64 exec, exec, s[0:1]
	v_or_b32_e32 v0, 0x800, v8
	v_cmp_gt_u32_e32 vcc, s5, v0
	s_and_saveexec_b64 s[0:1], vcc
	s_cbranch_execz .LBB2450_121
; %bb.120:
	ds_read_b32 v1, v2 offset:8
	v_lshlrev_b32_e32 v4, 1, v8
	ds_read_u16 v4, v4 offset:5120
	s_waitcnt lgkmcnt(1)
	v_lshlrev_b32_e32 v1, 2, v1
	ds_read_b32 v1, v1
	s_waitcnt lgkmcnt(0)
	v_add_u32_e32 v0, v1, v0
	v_mov_b32_e32 v1, 0
	v_lshl_add_u64 v[0:1], v[0:1], 1, s[46:47]
	global_store_short v[0:1], v4, off
.LBB2450_121:
	;; [unrolled: 18-line block ×3, first 2 shown]
	s_or_b64 exec, exec, s[0:1]
	v_or_b32_e32 v0, 0x1000, v8
	v_cmp_gt_u32_e32 vcc, s5, v0
	s_and_saveexec_b64 s[0:1], vcc
	s_cbranch_execz .LBB2450_125
; %bb.124:
	ds_read_b32 v1, v3
	v_lshlrev_b32_e32 v3, 1, v8
	ds_read_u16 v3, v3 offset:9216
	s_waitcnt lgkmcnt(1)
	v_lshlrev_b32_e32 v1, 2, v1
	ds_read_b32 v1, v1
	s_waitcnt lgkmcnt(0)
	v_add_u32_e32 v0, v1, v0
	v_mov_b32_e32 v1, 0
	v_lshl_add_u64 v[0:1], v[0:1], 1, s[46:47]
	global_store_short v[0:1], v3, off
.LBB2450_125:
	s_or_b64 exec, exec, s[0:1]
	v_or_b32_e32 v0, 0x1400, v8
	v_cmp_gt_u32_e32 vcc, s5, v0
	s_and_saveexec_b64 s[0:1], vcc
	s_cbranch_execz .LBB2450_127
; %bb.126:
	ds_read_b32 v1, v2 offset:20
	v_lshlrev_b32_e32 v3, 1, v8
	ds_read_u16 v3, v3 offset:11264
	s_waitcnt lgkmcnt(1)
	v_lshlrev_b32_e32 v1, 2, v1
	ds_read_b32 v1, v1
	s_waitcnt lgkmcnt(0)
	v_add_u32_e32 v0, v1, v0
	v_mov_b32_e32 v1, 0
	v_lshl_add_u64 v[0:1], v[0:1], 1, s[46:47]
	global_store_short v[0:1], v3, off
.LBB2450_127:
	s_or_b64 exec, exec, s[0:1]
	v_or_b32_e32 v0, 0x1800, v8
	v_cmp_gt_u32_e32 vcc, s5, v0
	s_and_saveexec_b64 s[0:1], vcc
	s_cbranch_execz .LBB2450_129
; %bb.128:
	ds_read_b32 v1, v2 offset:24
	v_lshlrev_b32_e32 v3, 1, v8
	ds_read_u16 v3, v3 offset:13312
	s_waitcnt lgkmcnt(1)
	v_lshlrev_b32_e32 v1, 2, v1
	ds_read_b32 v1, v1
	s_waitcnt lgkmcnt(0)
	v_add_u32_e32 v0, v1, v0
	v_mov_b32_e32 v1, 0
	v_lshl_add_u64 v[0:1], v[0:1], 1, s[46:47]
	global_store_short v[0:1], v3, off
.LBB2450_129:
	;; [unrolled: 18-line block ×3, first 2 shown]
	s_or_b64 exec, exec, s[0:1]
	s_add_i32 s56, s56, -1
	s_cmp_eq_u32 s33, s56
	s_cselect_b64 s[0:1], -1, 0
	s_xor_b64 s[6:7], s[22:23], -1
	s_and_b64 s[6:7], s[6:7], s[0:1]
	s_and_saveexec_b64 s[0:1], s[6:7]
	s_cbranch_execz .LBB2450_133
; %bb.132:
	ds_read_b32 v0, v20
	s_waitcnt lgkmcnt(0)
	v_add3_u32 v0, v6, v7, v0
	global_store_dword v20, v0, s[50:51]
.LBB2450_133:
	s_or_b64 exec, exec, s[0:1]
	s_mov_b64 s[6:7], 0
.LBB2450_134:
	s_and_b64 vcc, exec, s[6:7]
	s_cbranch_vccz .LBB2450_207
; %bb.135:
	s_lshl_b32 s10, s33, 13
	s_mov_b32 s11, 0
	s_lshl_b64 s[0:1], s[10:11], 2
	v_mbcnt_hi_u32_b32 v4, -1, v16
	s_add_u32 s0, s40, s0
	v_and_b32_e32 v7, 63, v4
	s_addc_u32 s1, s41, s1
	v_and_b32_e32 v6, 0x1e00, v15
	v_mov_b32_e32 v1, 0
	v_lshlrev_b32_e32 v0, 2, v7
	v_lshl_add_u64 v[2:3], s[0:1], 0, v[0:1]
	v_lshlrev_b32_e32 v0, 2, v6
	v_lshl_add_u64 v[2:3], v[2:3], 0, v[0:1]
	global_load_dword v0, v[2:3], off
	s_load_dword s0, s[2:3], 0x64
	s_load_dword s12, s[2:3], 0x58
	s_add_u32 s1, s2, 0x58
	s_addc_u32 s2, s3, 0
	v_mul_u32_u24_e32 v5, 20, v8
	s_waitcnt lgkmcnt(0)
	s_lshr_b32 s3, s0, 16
	s_cmp_lt_u32 s4, s12
	s_cselect_b32 s0, 12, 18
	s_add_u32 s0, s1, s0
	s_addc_u32 s1, s2, 0
	global_load_ushort v15, v1, s[0:1]
	ds_write2_b32 v5, v1, v1 offset0:16 offset1:17
	ds_write2_b32 v5, v1, v1 offset0:18 offset1:19
	ds_write_b32 v5, v1 offset:80
	global_load_dword v10, v[2:3], off offset:256
	global_load_dword v11, v[2:3], off offset:512
	;; [unrolled: 1-line block ×7, first 2 shown]
	v_mad_u32_u24 v2, v14, s3, v9
	s_lshl_b32 s0, -1, s53
	s_waitcnt vmcnt(9)
	v_mov_b32_e32 v12, v1
	v_mov_b32_e32 v26, v1
	s_not_b32 s13, s0
	s_movk_i32 s14, 0x44
	v_mov_b32_e32 v16, v1
	v_mov_b32_e32 v30, v1
	v_mov_b32_e32 v32, v1
	s_waitcnt lgkmcnt(0)
	s_barrier
	s_waitcnt vmcnt(8)
	; wave barrier
	v_xor_b32_e32 v9, 0x80000000, v0
	v_lshrrev_b32_e32 v0, s52, v9
	v_bitop3_b32 v19, v0, s0, v0 bitop3:0x30
	v_and_b32_e32 v0, 1, v19
	v_lshlrev_b32_e32 v13, 30, v19
	v_lshlrev_b32_e32 v17, 29, v19
	;; [unrolled: 1-line block ×3, first 2 shown]
	v_cmp_ne_u32_e32 vcc, 0, v0
	v_cmp_gt_i64_e64 s[4:5], 0, v[26:27]
	v_mul_lo_u32 v20, v19, s14
	s_waitcnt vmcnt(7)
	v_mad_u64_u32 v[2:3], s[0:1], v2, v15, v[8:9]
	v_lshl_add_u64 v[14:15], v[0:1], 0, -1
	v_not_b32_e32 v0, v13
	v_cmp_gt_i64_e64 s[0:1], 0, v[12:13]
	v_not_b32_e32 v3, v17
	v_lshrrev_b32_e32 v26, 6, v2
	v_xor_b32_e32 v2, vcc_hi, v15
	v_xor_b32_e32 v14, vcc_lo, v14
	v_ashrrev_i32_e32 v0, 31, v0
	v_lshlrev_b32_e32 v31, 27, v19
	v_cmp_gt_i64_e64 s[2:3], 0, v[16:17]
	v_not_b32_e32 v12, v27
	v_ashrrev_i32_e32 v3, 31, v3
	v_and_b32_e32 v2, exec_hi, v2
	v_and_b32_e32 v14, exec_lo, v14
	v_xor_b32_e32 v15, s1, v0
	v_xor_b32_e32 v0, s0, v0
	v_lshlrev_b32_e32 v33, 26, v19
	v_not_b32_e32 v13, v31
	v_ashrrev_i32_e32 v12, 31, v12
	v_lshl_add_u32 v16, v26, 2, v20
	v_xor_b32_e32 v20, s3, v3
	v_xor_b32_e32 v3, s2, v3
	v_and_b32_e32 v2, v2, v15
	v_and_b32_e32 v0, v14, v0
	v_cmp_gt_i64_e64 s[6:7], 0, v[30:31]
	v_not_b32_e32 v17, v33
	v_ashrrev_i32_e32 v13, 31, v13
	v_xor_b32_e32 v23, s5, v12
	v_xor_b32_e32 v12, s4, v12
	v_and_b32_e32 v2, v2, v20
	v_and_b32_e32 v0, v0, v3
	v_cmp_gt_i64_e64 s[8:9], 0, v[32:33]
	v_xor_b32_e32 v25, s7, v13
	v_xor_b32_e32 v13, s6, v13
	v_and_b32_e32 v2, v2, v23
	v_and_b32_e32 v0, v0, v12
	v_ashrrev_i32_e32 v3, 31, v17
	v_and_b32_e32 v2, v2, v25
	v_and_b32_e32 v0, v0, v13
	v_xor_b32_e32 v12, s9, v3
	v_xor_b32_e32 v3, s8, v3
	v_and_b32_e32 v12, v2, v12
	v_and_b32_e32 v0, v0, v3
	v_lshlrev_b32_e32 v3, 25, v19
	v_mov_b32_e32 v2, v1
	v_cmp_gt_i64_e32 vcc, 0, v[2:3]
	v_not_b32_e32 v2, v3
	v_ashrrev_i32_e32 v2, 31, v2
	v_xor_b32_e32 v3, vcc_hi, v2
	v_xor_b32_e32 v2, vcc_lo, v2
	v_and_b32_e32 v12, v12, v3
	v_and_b32_e32 v0, v0, v2
	v_lshlrev_b32_e32 v3, 24, v19
	v_mov_b32_e32 v2, v1
	v_cmp_gt_i64_e32 vcc, 0, v[2:3]
	v_not_b32_e32 v2, v3
	v_ashrrev_i32_e32 v2, 31, v2
	v_xor_b32_e32 v3, vcc_hi, v2
	v_xor_b32_e32 v2, vcc_lo, v2
	v_and_b32_e32 v2, v0, v2
	v_and_b32_e32 v3, v12, v3
	v_mbcnt_lo_u32_b32 v0, v2, 0
	v_mbcnt_hi_u32_b32 v13, v3, v0
	v_cmp_eq_u32_e32 vcc, 0, v13
	v_cmp_ne_u64_e64 s[0:1], 0, v[2:3]
	s_and_b64 s[2:3], s[0:1], vcc
	s_and_saveexec_b64 s[0:1], s[2:3]
; %bb.136:
	v_bcnt_u32_b32 v0, v2, 0
	v_bcnt_u32_b32 v0, v3, v0
	ds_write_b32 v16, v0 offset:64
; %bb.137:
	s_or_b64 exec, exec, s[0:1]
	s_waitcnt vmcnt(6)
	v_xor_b32_e32 v10, 0x80000000, v10
	v_lshrrev_b32_e32 v0, s52, v10
	v_and_b32_e32 v14, s13, v0
	v_mul_lo_u32 v0, v14, s14
	v_lshl_add_u32 v19, v26, 2, v0
	v_and_b32_e32 v0, 1, v14
	v_lshl_add_u64 v[2:3], v[0:1], 0, -1
	v_cmp_ne_u32_e32 vcc, 0, v0
	; wave barrier
	s_nop 1
	v_xor_b32_e32 v2, vcc_lo, v2
	v_xor_b32_e32 v0, vcc_hi, v3
	v_and_b32_e32 v15, exec_lo, v2
	v_lshlrev_b32_e32 v3, 30, v14
	v_mov_b32_e32 v2, v1
	v_cmp_gt_i64_e32 vcc, 0, v[2:3]
	v_not_b32_e32 v2, v3
	v_ashrrev_i32_e32 v2, 31, v2
	v_and_b32_e32 v0, exec_hi, v0
	v_xor_b32_e32 v3, vcc_hi, v2
	v_xor_b32_e32 v2, vcc_lo, v2
	v_and_b32_e32 v0, v0, v3
	v_and_b32_e32 v15, v15, v2
	v_lshlrev_b32_e32 v3, 29, v14
	v_mov_b32_e32 v2, v1
	v_cmp_gt_i64_e32 vcc, 0, v[2:3]
	v_not_b32_e32 v2, v3
	v_ashrrev_i32_e32 v2, 31, v2
	v_xor_b32_e32 v3, vcc_hi, v2
	v_xor_b32_e32 v2, vcc_lo, v2
	v_and_b32_e32 v0, v0, v3
	v_and_b32_e32 v15, v15, v2
	v_lshlrev_b32_e32 v3, 28, v14
	v_mov_b32_e32 v2, v1
	v_cmp_gt_i64_e32 vcc, 0, v[2:3]
	v_not_b32_e32 v2, v3
	v_ashrrev_i32_e32 v2, 31, v2
	v_xor_b32_e32 v3, vcc_hi, v2
	v_xor_b32_e32 v2, vcc_lo, v2
	v_and_b32_e32 v0, v0, v3
	v_and_b32_e32 v15, v15, v2
	v_lshlrev_b32_e32 v3, 27, v14
	v_mov_b32_e32 v2, v1
	v_cmp_gt_i64_e32 vcc, 0, v[2:3]
	v_not_b32_e32 v2, v3
	v_ashrrev_i32_e32 v2, 31, v2
	v_xor_b32_e32 v3, vcc_hi, v2
	v_xor_b32_e32 v2, vcc_lo, v2
	v_and_b32_e32 v0, v0, v3
	v_and_b32_e32 v15, v15, v2
	v_lshlrev_b32_e32 v3, 26, v14
	v_mov_b32_e32 v2, v1
	v_cmp_gt_i64_e32 vcc, 0, v[2:3]
	v_not_b32_e32 v2, v3
	v_ashrrev_i32_e32 v2, 31, v2
	v_xor_b32_e32 v3, vcc_hi, v2
	v_xor_b32_e32 v2, vcc_lo, v2
	v_and_b32_e32 v0, v0, v3
	v_and_b32_e32 v15, v15, v2
	v_lshlrev_b32_e32 v3, 25, v14
	v_mov_b32_e32 v2, v1
	v_cmp_gt_i64_e32 vcc, 0, v[2:3]
	v_not_b32_e32 v2, v3
	v_ashrrev_i32_e32 v2, 31, v2
	v_xor_b32_e32 v3, vcc_hi, v2
	v_xor_b32_e32 v2, vcc_lo, v2
	v_and_b32_e32 v0, v0, v3
	v_lshlrev_b32_e32 v3, 24, v14
	v_and_b32_e32 v15, v15, v2
	v_mov_b32_e32 v2, v1
	v_not_b32_e32 v1, v3
	v_cmp_gt_i64_e32 vcc, 0, v[2:3]
	v_ashrrev_i32_e32 v1, 31, v1
	ds_read_b32 v12, v19 offset:64
	v_xor_b32_e32 v2, vcc_hi, v1
	v_xor_b32_e32 v3, vcc_lo, v1
	v_and_b32_e32 v1, v0, v2
	v_and_b32_e32 v0, v15, v3
	v_mbcnt_lo_u32_b32 v2, v0, 0
	v_mbcnt_hi_u32_b32 v15, v1, v2
	v_cmp_eq_u32_e32 vcc, 0, v15
	v_cmp_ne_u64_e64 s[0:1], 0, v[0:1]
	s_and_b64 s[2:3], s[0:1], vcc
	; wave barrier
	s_and_saveexec_b64 s[0:1], s[2:3]
	s_cbranch_execz .LBB2450_139
; %bb.138:
	v_bcnt_u32_b32 v0, v0, 0
	v_bcnt_u32_b32 v0, v1, v0
	s_waitcnt lgkmcnt(0)
	v_add_u32_e32 v0, v12, v0
	ds_write_b32 v19, v0 offset:64
.LBB2450_139:
	s_or_b64 exec, exec, s[0:1]
	s_waitcnt vmcnt(5)
	v_xor_b32_e32 v11, 0x80000000, v11
	v_lshrrev_b32_e32 v0, s52, v11
	v_and_b32_e32 v14, s13, v0
	s_movk_i32 s2, 0x44
	v_mul_lo_u32 v0, v14, s2
	v_lshl_add_u32 v23, v26, 2, v0
	v_and_b32_e32 v0, 1, v14
	v_mov_b32_e32 v1, 0
	v_lshl_add_u64 v[2:3], v[0:1], 0, -1
	v_cmp_ne_u32_e32 vcc, 0, v0
	; wave barrier
	s_nop 1
	v_xor_b32_e32 v2, vcc_lo, v2
	v_xor_b32_e32 v0, vcc_hi, v3
	v_and_b32_e32 v20, exec_lo, v2
	v_lshlrev_b32_e32 v3, 30, v14
	v_mov_b32_e32 v2, v1
	v_cmp_gt_i64_e32 vcc, 0, v[2:3]
	v_not_b32_e32 v2, v3
	v_ashrrev_i32_e32 v2, 31, v2
	v_and_b32_e32 v0, exec_hi, v0
	v_xor_b32_e32 v3, vcc_hi, v2
	v_xor_b32_e32 v2, vcc_lo, v2
	v_and_b32_e32 v0, v0, v3
	v_and_b32_e32 v20, v20, v2
	v_lshlrev_b32_e32 v3, 29, v14
	v_mov_b32_e32 v2, v1
	v_cmp_gt_i64_e32 vcc, 0, v[2:3]
	v_not_b32_e32 v2, v3
	v_ashrrev_i32_e32 v2, 31, v2
	v_xor_b32_e32 v3, vcc_hi, v2
	v_xor_b32_e32 v2, vcc_lo, v2
	v_and_b32_e32 v0, v0, v3
	v_and_b32_e32 v20, v20, v2
	v_lshlrev_b32_e32 v3, 28, v14
	v_mov_b32_e32 v2, v1
	v_cmp_gt_i64_e32 vcc, 0, v[2:3]
	v_not_b32_e32 v2, v3
	v_ashrrev_i32_e32 v2, 31, v2
	;; [unrolled: 9-line block ×6, first 2 shown]
	v_xor_b32_e32 v3, vcc_hi, v2
	v_xor_b32_e32 v2, vcc_lo, v2
	ds_read_b32 v17, v23 offset:64
	v_and_b32_e32 v2, v20, v2
	v_and_b32_e32 v3, v0, v3
	v_mbcnt_lo_u32_b32 v0, v2, 0
	v_mbcnt_hi_u32_b32 v20, v3, v0
	v_cmp_eq_u32_e32 vcc, 0, v20
	v_cmp_ne_u64_e64 s[0:1], 0, v[2:3]
	s_and_b64 s[4:5], s[0:1], vcc
	; wave barrier
	s_and_saveexec_b64 s[0:1], s[4:5]
	s_cbranch_execz .LBB2450_141
; %bb.140:
	v_bcnt_u32_b32 v0, v2, 0
	v_bcnt_u32_b32 v0, v3, v0
	s_waitcnt lgkmcnt(0)
	v_add_u32_e32 v0, v17, v0
	ds_write_b32 v23, v0 offset:64
.LBB2450_141:
	s_or_b64 exec, exec, s[0:1]
	s_waitcnt vmcnt(4)
	v_xor_b32_e32 v14, 0x80000000, v21
	v_lshrrev_b32_e32 v0, s52, v14
	v_and_b32_e32 v25, s13, v0
	v_mul_lo_u32 v0, v25, s2
	v_lshl_add_u32 v29, v26, 2, v0
	v_and_b32_e32 v0, 1, v25
	v_lshl_add_u64 v[2:3], v[0:1], 0, -1
	v_cmp_ne_u32_e32 vcc, 0, v0
	; wave barrier
	s_nop 1
	v_xor_b32_e32 v2, vcc_lo, v2
	v_xor_b32_e32 v0, vcc_hi, v3
	v_and_b32_e32 v27, exec_lo, v2
	v_lshlrev_b32_e32 v3, 30, v25
	v_mov_b32_e32 v2, v1
	v_cmp_gt_i64_e32 vcc, 0, v[2:3]
	v_not_b32_e32 v2, v3
	v_ashrrev_i32_e32 v2, 31, v2
	v_and_b32_e32 v0, exec_hi, v0
	v_xor_b32_e32 v3, vcc_hi, v2
	v_xor_b32_e32 v2, vcc_lo, v2
	v_and_b32_e32 v0, v0, v3
	v_and_b32_e32 v27, v27, v2
	v_lshlrev_b32_e32 v3, 29, v25
	v_mov_b32_e32 v2, v1
	v_cmp_gt_i64_e32 vcc, 0, v[2:3]
	v_not_b32_e32 v2, v3
	v_ashrrev_i32_e32 v2, 31, v2
	v_xor_b32_e32 v3, vcc_hi, v2
	v_xor_b32_e32 v2, vcc_lo, v2
	v_and_b32_e32 v0, v0, v3
	v_and_b32_e32 v27, v27, v2
	v_lshlrev_b32_e32 v3, 28, v25
	v_mov_b32_e32 v2, v1
	v_cmp_gt_i64_e32 vcc, 0, v[2:3]
	v_not_b32_e32 v2, v3
	v_ashrrev_i32_e32 v2, 31, v2
	;; [unrolled: 9-line block ×5, first 2 shown]
	v_xor_b32_e32 v3, vcc_hi, v2
	v_xor_b32_e32 v2, vcc_lo, v2
	v_and_b32_e32 v0, v0, v3
	v_lshlrev_b32_e32 v3, 24, v25
	v_and_b32_e32 v27, v27, v2
	v_mov_b32_e32 v2, v1
	v_not_b32_e32 v1, v3
	v_cmp_gt_i64_e32 vcc, 0, v[2:3]
	v_ashrrev_i32_e32 v1, 31, v1
	ds_read_b32 v21, v29 offset:64
	v_xor_b32_e32 v2, vcc_hi, v1
	v_xor_b32_e32 v3, vcc_lo, v1
	v_and_b32_e32 v1, v0, v2
	v_and_b32_e32 v0, v27, v3
	v_mbcnt_lo_u32_b32 v2, v0, 0
	v_mbcnt_hi_u32_b32 v25, v1, v2
	v_cmp_eq_u32_e32 vcc, 0, v25
	v_cmp_ne_u64_e64 s[0:1], 0, v[0:1]
	s_and_b64 s[2:3], s[0:1], vcc
	; wave barrier
	s_and_saveexec_b64 s[0:1], s[2:3]
	s_cbranch_execz .LBB2450_143
; %bb.142:
	v_bcnt_u32_b32 v0, v0, 0
	v_bcnt_u32_b32 v0, v1, v0
	s_waitcnt lgkmcnt(0)
	v_add_u32_e32 v0, v21, v0
	ds_write_b32 v29, v0 offset:64
.LBB2450_143:
	s_or_b64 exec, exec, s[0:1]
	s_waitcnt vmcnt(3)
	v_xor_b32_e32 v18, 0x80000000, v18
	v_lshrrev_b32_e32 v0, s52, v18
	v_and_b32_e32 v30, s13, v0
	s_movk_i32 s2, 0x44
	v_mul_lo_u32 v0, v30, s2
	v_lshl_add_u32 v33, v26, 2, v0
	v_and_b32_e32 v0, 1, v30
	v_mov_b32_e32 v1, 0
	v_lshl_add_u64 v[2:3], v[0:1], 0, -1
	v_cmp_ne_u32_e32 vcc, 0, v0
	; wave barrier
	s_nop 1
	v_xor_b32_e32 v2, vcc_lo, v2
	v_xor_b32_e32 v0, vcc_hi, v3
	v_and_b32_e32 v31, exec_lo, v2
	v_lshlrev_b32_e32 v3, 30, v30
	v_mov_b32_e32 v2, v1
	v_cmp_gt_i64_e32 vcc, 0, v[2:3]
	v_not_b32_e32 v2, v3
	v_ashrrev_i32_e32 v2, 31, v2
	v_and_b32_e32 v0, exec_hi, v0
	v_xor_b32_e32 v3, vcc_hi, v2
	v_xor_b32_e32 v2, vcc_lo, v2
	v_and_b32_e32 v0, v0, v3
	v_and_b32_e32 v31, v31, v2
	v_lshlrev_b32_e32 v3, 29, v30
	v_mov_b32_e32 v2, v1
	v_cmp_gt_i64_e32 vcc, 0, v[2:3]
	v_not_b32_e32 v2, v3
	v_ashrrev_i32_e32 v2, 31, v2
	v_xor_b32_e32 v3, vcc_hi, v2
	v_xor_b32_e32 v2, vcc_lo, v2
	v_and_b32_e32 v0, v0, v3
	v_and_b32_e32 v31, v31, v2
	v_lshlrev_b32_e32 v3, 28, v30
	v_mov_b32_e32 v2, v1
	v_cmp_gt_i64_e32 vcc, 0, v[2:3]
	v_not_b32_e32 v2, v3
	v_ashrrev_i32_e32 v2, 31, v2
	;; [unrolled: 9-line block ×6, first 2 shown]
	v_xor_b32_e32 v3, vcc_hi, v2
	v_xor_b32_e32 v2, vcc_lo, v2
	ds_read_b32 v27, v33 offset:64
	v_and_b32_e32 v2, v31, v2
	v_and_b32_e32 v3, v0, v3
	v_mbcnt_lo_u32_b32 v0, v2, 0
	v_mbcnt_hi_u32_b32 v30, v3, v0
	v_cmp_eq_u32_e32 vcc, 0, v30
	v_cmp_ne_u64_e64 s[0:1], 0, v[2:3]
	s_and_b64 s[4:5], s[0:1], vcc
	; wave barrier
	s_and_saveexec_b64 s[0:1], s[4:5]
	s_cbranch_execz .LBB2450_145
; %bb.144:
	v_bcnt_u32_b32 v0, v2, 0
	v_bcnt_u32_b32 v0, v3, v0
	s_waitcnt lgkmcnt(0)
	v_add_u32_e32 v0, v27, v0
	ds_write_b32 v33, v0 offset:64
.LBB2450_145:
	s_or_b64 exec, exec, s[0:1]
	s_waitcnt vmcnt(2)
	v_xor_b32_e32 v22, 0x80000000, v22
	v_lshrrev_b32_e32 v0, s52, v22
	v_and_b32_e32 v32, s13, v0
	v_mul_lo_u32 v0, v32, s2
	v_lshl_add_u32 v36, v26, 2, v0
	v_and_b32_e32 v0, 1, v32
	v_lshl_add_u64 v[2:3], v[0:1], 0, -1
	v_cmp_ne_u32_e32 vcc, 0, v0
	; wave barrier
	s_nop 1
	v_xor_b32_e32 v2, vcc_lo, v2
	v_xor_b32_e32 v0, vcc_hi, v3
	v_and_b32_e32 v34, exec_lo, v2
	v_lshlrev_b32_e32 v3, 30, v32
	v_mov_b32_e32 v2, v1
	v_cmp_gt_i64_e32 vcc, 0, v[2:3]
	v_not_b32_e32 v2, v3
	v_ashrrev_i32_e32 v2, 31, v2
	v_and_b32_e32 v0, exec_hi, v0
	v_xor_b32_e32 v3, vcc_hi, v2
	v_xor_b32_e32 v2, vcc_lo, v2
	v_and_b32_e32 v0, v0, v3
	v_and_b32_e32 v34, v34, v2
	v_lshlrev_b32_e32 v3, 29, v32
	v_mov_b32_e32 v2, v1
	v_cmp_gt_i64_e32 vcc, 0, v[2:3]
	v_not_b32_e32 v2, v3
	v_ashrrev_i32_e32 v2, 31, v2
	v_xor_b32_e32 v3, vcc_hi, v2
	v_xor_b32_e32 v2, vcc_lo, v2
	v_and_b32_e32 v0, v0, v3
	v_and_b32_e32 v34, v34, v2
	v_lshlrev_b32_e32 v3, 28, v32
	v_mov_b32_e32 v2, v1
	v_cmp_gt_i64_e32 vcc, 0, v[2:3]
	v_not_b32_e32 v2, v3
	v_ashrrev_i32_e32 v2, 31, v2
	;; [unrolled: 9-line block ×5, first 2 shown]
	v_xor_b32_e32 v3, vcc_hi, v2
	v_xor_b32_e32 v2, vcc_lo, v2
	v_and_b32_e32 v0, v0, v3
	v_lshlrev_b32_e32 v3, 24, v32
	v_and_b32_e32 v34, v34, v2
	v_mov_b32_e32 v2, v1
	v_not_b32_e32 v1, v3
	v_cmp_gt_i64_e32 vcc, 0, v[2:3]
	v_ashrrev_i32_e32 v1, 31, v1
	ds_read_b32 v31, v36 offset:64
	v_xor_b32_e32 v2, vcc_hi, v1
	v_xor_b32_e32 v3, vcc_lo, v1
	v_and_b32_e32 v1, v0, v2
	v_and_b32_e32 v0, v34, v3
	v_mbcnt_lo_u32_b32 v2, v0, 0
	v_mbcnt_hi_u32_b32 v34, v1, v2
	v_cmp_eq_u32_e32 vcc, 0, v34
	v_cmp_ne_u64_e64 s[0:1], 0, v[0:1]
	s_and_b64 s[2:3], s[0:1], vcc
	; wave barrier
	s_and_saveexec_b64 s[0:1], s[2:3]
	s_cbranch_execz .LBB2450_147
; %bb.146:
	v_bcnt_u32_b32 v0, v0, 0
	v_bcnt_u32_b32 v0, v1, v0
	s_waitcnt lgkmcnt(0)
	v_add_u32_e32 v0, v31, v0
	ds_write_b32 v36, v0 offset:64
.LBB2450_147:
	s_or_b64 exec, exec, s[0:1]
	s_waitcnt vmcnt(1)
	v_xor_b32_e32 v28, 0x80000000, v28
	v_lshrrev_b32_e32 v0, s52, v28
	v_and_b32_e32 v32, s13, v0
	s_movk_i32 s2, 0x44
	v_mul_lo_u32 v0, v32, s2
	v_lshl_add_u32 v38, v26, 2, v0
	v_and_b32_e32 v0, 1, v32
	v_mov_b32_e32 v1, 0
	v_lshl_add_u64 v[2:3], v[0:1], 0, -1
	v_cmp_ne_u32_e32 vcc, 0, v0
	; wave barrier
	s_nop 1
	v_xor_b32_e32 v2, vcc_lo, v2
	v_xor_b32_e32 v0, vcc_hi, v3
	v_and_b32_e32 v37, exec_lo, v2
	v_lshlrev_b32_e32 v3, 30, v32
	v_mov_b32_e32 v2, v1
	v_cmp_gt_i64_e32 vcc, 0, v[2:3]
	v_not_b32_e32 v2, v3
	v_ashrrev_i32_e32 v2, 31, v2
	v_and_b32_e32 v0, exec_hi, v0
	v_xor_b32_e32 v3, vcc_hi, v2
	v_xor_b32_e32 v2, vcc_lo, v2
	v_and_b32_e32 v0, v0, v3
	v_and_b32_e32 v37, v37, v2
	v_lshlrev_b32_e32 v3, 29, v32
	v_mov_b32_e32 v2, v1
	v_cmp_gt_i64_e32 vcc, 0, v[2:3]
	v_not_b32_e32 v2, v3
	v_ashrrev_i32_e32 v2, 31, v2
	v_xor_b32_e32 v3, vcc_hi, v2
	v_xor_b32_e32 v2, vcc_lo, v2
	v_and_b32_e32 v0, v0, v3
	v_and_b32_e32 v37, v37, v2
	v_lshlrev_b32_e32 v3, 28, v32
	v_mov_b32_e32 v2, v1
	v_cmp_gt_i64_e32 vcc, 0, v[2:3]
	v_not_b32_e32 v2, v3
	v_ashrrev_i32_e32 v2, 31, v2
	;; [unrolled: 9-line block ×6, first 2 shown]
	v_xor_b32_e32 v3, vcc_hi, v2
	v_xor_b32_e32 v2, vcc_lo, v2
	ds_read_b32 v35, v38 offset:64
	v_and_b32_e32 v2, v37, v2
	v_and_b32_e32 v3, v0, v3
	v_mbcnt_lo_u32_b32 v0, v2, 0
	v_mbcnt_hi_u32_b32 v37, v3, v0
	v_cmp_eq_u32_e32 vcc, 0, v37
	v_cmp_ne_u64_e64 s[0:1], 0, v[2:3]
	s_and_b64 s[4:5], s[0:1], vcc
	; wave barrier
	s_and_saveexec_b64 s[0:1], s[4:5]
	s_cbranch_execz .LBB2450_149
; %bb.148:
	v_bcnt_u32_b32 v0, v2, 0
	v_bcnt_u32_b32 v0, v3, v0
	s_waitcnt lgkmcnt(0)
	v_add_u32_e32 v0, v35, v0
	ds_write_b32 v38, v0 offset:64
.LBB2450_149:
	s_or_b64 exec, exec, s[0:1]
	s_waitcnt vmcnt(0)
	v_xor_b32_e32 v32, 0x80000000, v24
	v_lshrrev_b32_e32 v0, s52, v32
	v_and_b32_e32 v24, s13, v0
	v_mul_lo_u32 v0, v24, s2
	v_lshl_add_u32 v40, v26, 2, v0
	v_and_b32_e32 v0, 1, v24
	v_lshl_add_u64 v[2:3], v[0:1], 0, -1
	v_cmp_ne_u32_e32 vcc, 0, v0
	; wave barrier
	s_nop 1
	v_xor_b32_e32 v2, vcc_lo, v2
	v_xor_b32_e32 v0, vcc_hi, v3
	v_and_b32_e32 v39, exec_lo, v2
	v_lshlrev_b32_e32 v3, 30, v24
	v_mov_b32_e32 v2, v1
	v_cmp_gt_i64_e32 vcc, 0, v[2:3]
	v_not_b32_e32 v2, v3
	v_ashrrev_i32_e32 v2, 31, v2
	v_and_b32_e32 v0, exec_hi, v0
	v_xor_b32_e32 v3, vcc_hi, v2
	v_xor_b32_e32 v2, vcc_lo, v2
	v_and_b32_e32 v0, v0, v3
	v_and_b32_e32 v39, v39, v2
	v_lshlrev_b32_e32 v3, 29, v24
	v_mov_b32_e32 v2, v1
	v_cmp_gt_i64_e32 vcc, 0, v[2:3]
	v_not_b32_e32 v2, v3
	v_ashrrev_i32_e32 v2, 31, v2
	v_xor_b32_e32 v3, vcc_hi, v2
	v_xor_b32_e32 v2, vcc_lo, v2
	v_and_b32_e32 v0, v0, v3
	v_and_b32_e32 v39, v39, v2
	v_lshlrev_b32_e32 v3, 28, v24
	v_mov_b32_e32 v2, v1
	v_cmp_gt_i64_e32 vcc, 0, v[2:3]
	v_not_b32_e32 v2, v3
	v_ashrrev_i32_e32 v2, 31, v2
	;; [unrolled: 9-line block ×5, first 2 shown]
	v_xor_b32_e32 v3, vcc_hi, v2
	v_xor_b32_e32 v2, vcc_lo, v2
	v_and_b32_e32 v0, v0, v3
	v_lshlrev_b32_e32 v3, 24, v24
	v_and_b32_e32 v39, v39, v2
	v_mov_b32_e32 v2, v1
	v_not_b32_e32 v1, v3
	v_cmp_gt_i64_e32 vcc, 0, v[2:3]
	v_ashrrev_i32_e32 v1, 31, v1
	ds_read_b32 v26, v40 offset:64
	v_xor_b32_e32 v2, vcc_hi, v1
	v_xor_b32_e32 v3, vcc_lo, v1
	v_and_b32_e32 v1, v0, v2
	v_and_b32_e32 v0, v39, v3
	v_mbcnt_lo_u32_b32 v2, v0, 0
	v_mbcnt_hi_u32_b32 v39, v1, v2
	v_cmp_eq_u32_e32 vcc, 0, v39
	v_cmp_ne_u64_e64 s[0:1], 0, v[0:1]
	s_and_b64 s[2:3], s[0:1], vcc
	; wave barrier
	s_and_saveexec_b64 s[0:1], s[2:3]
	s_cbranch_execz .LBB2450_151
; %bb.150:
	v_bcnt_u32_b32 v0, v0, 0
	v_bcnt_u32_b32 v0, v1, v0
	s_waitcnt lgkmcnt(0)
	v_add_u32_e32 v0, v26, v0
	ds_write_b32 v40, v0 offset:64
.LBB2450_151:
	s_or_b64 exec, exec, s[0:1]
	; wave barrier
	s_waitcnt lgkmcnt(0)
	s_barrier
	ds_read2_b32 v[2:3], v5 offset0:16 offset1:17
	ds_read2_b32 v[0:1], v5 offset0:18 offset1:19
	ds_read_b32 v24, v5 offset:80
	v_cmp_lt_u32_e64 s[6:7], 31, v4
	s_waitcnt lgkmcnt(1)
	v_add3_u32 v41, v3, v2, v0
	s_waitcnt lgkmcnt(0)
	v_add3_u32 v24, v41, v1, v24
	v_and_b32_e32 v41, 15, v4
	v_cmp_eq_u32_e32 vcc, 0, v41
	v_mov_b32_dpp v42, v24 row_shr:1 row_mask:0xf bank_mask:0xf
	v_cmp_lt_u32_e64 s[0:1], 1, v41
	v_cndmask_b32_e64 v42, v42, 0, vcc
	v_add_u32_e32 v24, v42, v24
	v_cmp_lt_u32_e64 s[2:3], 3, v41
	v_cmp_lt_u32_e64 s[4:5], 7, v41
	v_mov_b32_dpp v42, v24 row_shr:2 row_mask:0xf bank_mask:0xf
	v_cndmask_b32_e64 v42, 0, v42, s[0:1]
	v_add_u32_e32 v24, v24, v42
	s_nop 1
	v_mov_b32_dpp v42, v24 row_shr:4 row_mask:0xf bank_mask:0xf
	v_cndmask_b32_e64 v42, 0, v42, s[2:3]
	v_add_u32_e32 v24, v24, v42
	s_nop 1
	v_mov_b32_dpp v42, v24 row_shr:8 row_mask:0xf bank_mask:0xf
	v_cndmask_b32_e64 v41, 0, v42, s[4:5]
	v_add_u32_e32 v24, v24, v41
	v_bfe_i32 v42, v4, 4, 1
	s_nop 0
	v_mov_b32_dpp v41, v24 row_bcast:15 row_mask:0xf bank_mask:0xf
	v_and_b32_e32 v41, v42, v41
	v_add_u32_e32 v24, v24, v41
	v_lshrrev_b32_e32 v42, 6, v8
	s_nop 0
	v_mov_b32_dpp v41, v24 row_bcast:31 row_mask:0xf bank_mask:0xf
	v_cndmask_b32_e64 v41, 0, v41, s[6:7]
	v_add_u32_e32 v41, v24, v41
	v_and_b32_e32 v24, 63, v8
	v_cmp_eq_u32_e64 s[6:7], 63, v24
	s_and_saveexec_b64 s[8:9], s[6:7]
; %bb.152:
	v_lshlrev_b32_e32 v24, 2, v42
	ds_write_b32 v24, v41
; %bb.153:
	s_or_b64 exec, exec, s[8:9]
	v_cmp_gt_u32_e64 s[6:7], 16, v8
	v_lshlrev_b32_e32 v24, 2, v8
	s_waitcnt lgkmcnt(0)
	s_barrier
	s_and_saveexec_b64 s[8:9], s[6:7]
	s_cbranch_execz .LBB2450_155
; %bb.154:
	ds_read_b32 v43, v24
	s_waitcnt lgkmcnt(0)
	s_nop 0
	v_mov_b32_dpp v44, v43 row_shr:1 row_mask:0xf bank_mask:0xf
	v_cndmask_b32_e64 v44, v44, 0, vcc
	v_add_u32_e32 v43, v44, v43
	s_nop 1
	v_mov_b32_dpp v44, v43 row_shr:2 row_mask:0xf bank_mask:0xf
	v_cndmask_b32_e64 v44, 0, v44, s[0:1]
	v_add_u32_e32 v43, v43, v44
	s_nop 1
	v_mov_b32_dpp v44, v43 row_shr:4 row_mask:0xf bank_mask:0xf
	v_cndmask_b32_e64 v44, 0, v44, s[2:3]
	;; [unrolled: 4-line block ×3, first 2 shown]
	v_add_u32_e32 v43, v43, v44
	ds_write_b32 v24, v43
.LBB2450_155:
	s_or_b64 exec, exec, s[8:9]
	v_cmp_lt_u32_e32 vcc, 63, v8
	v_mov_b32_e32 v43, 0
	s_waitcnt lgkmcnt(0)
	s_barrier
	s_and_saveexec_b64 s[0:1], vcc
; %bb.156:
	v_lshl_add_u32 v42, v42, 2, -4
	ds_read_b32 v43, v42
; %bb.157:
	s_or_b64 exec, exec, s[0:1]
	v_subrev_co_u32_e32 v42, vcc, 1, v4
	v_and_b32_e32 v44, 64, v4
	v_cmp_lt_i32_e64 s[0:1], v42, v44
	s_waitcnt lgkmcnt(0)
	v_add_u32_e32 v41, v43, v41
	s_movk_i32 s2, 0x100
	v_cndmask_b32_e64 v4, v42, v4, s[0:1]
	v_lshlrev_b32_e32 v4, 2, v4
	ds_bpermute_b32 v4, v4, v41
	s_movk_i32 s0, 0xff
	v_cmp_lt_u32_e64 s[0:1], s0, v8
	s_waitcnt lgkmcnt(0)
	v_cndmask_b32_e32 v4, v4, v43, vcc
	v_cndmask_b32_e64 v4, v4, 0, s[20:21]
	v_add_u32_e32 v2, v4, v2
	v_add_u32_e32 v3, v2, v3
	;; [unrolled: 1-line block ×4, first 2 shown]
	ds_write2_b32 v5, v4, v2 offset0:16 offset1:17
	ds_write2_b32 v5, v3, v0 offset0:18 offset1:19
	ds_write_b32 v5, v1 offset:80
	s_waitcnt lgkmcnt(0)
	s_barrier
	ds_read_b32 v47, v16 offset:64
	ds_read_b32 v41, v19 offset:64
	;; [unrolled: 1-line block ×8, first 2 shown]
	v_cmp_gt_u32_e32 vcc, s2, v8
                                        ; implicit-def: $vgpr16
                                        ; implicit-def: $vgpr19
	s_and_saveexec_b64 s[4:5], vcc
	s_cbranch_execz .LBB2450_161
; %bb.158:
	v_mul_u32_u24_e32 v0, 0x44, v8
	ds_read_b32 v16, v0 offset:64
	v_add_u32_e32 v1, 1, v8
	v_cmp_ne_u32_e64 s[2:3], s2, v1
	v_mov_b32_e32 v0, 0x2000
	s_and_saveexec_b64 s[6:7], s[2:3]
; %bb.159:
	v_mul_u32_u24_e32 v0, 0x44, v1
	ds_read_b32 v0, v0 offset:64
; %bb.160:
	s_or_b64 exec, exec, s[6:7]
	s_waitcnt lgkmcnt(0)
	v_sub_u32_e32 v19, v0, v16
.LBB2450_161:
	s_or_b64 exec, exec, s[4:5]
	v_mov_b32_e32 v1, 0
	s_waitcnt lgkmcnt(0)
	s_barrier
	s_and_saveexec_b64 s[2:3], vcc
	s_cbranch_execz .LBB2450_171
; %bb.162:
	v_lshl_add_u32 v0, s33, 8, v8
	v_lshl_add_u64 v[2:3], v[0:1], 2, s[38:39]
	v_or_b32_e32 v0, 2.0, v19
	s_mov_b64 s[4:5], 0
	s_brev_b32 s14, -4
	s_mov_b32 s15, s33
	v_mov_b32_e32 v23, 0
	global_store_dword v[2:3], v0, off sc1
                                        ; implicit-def: $sgpr6_sgpr7
	s_branch .LBB2450_165
.LBB2450_163:                           ;   in Loop: Header=BB2450_165 Depth=1
	s_or_b64 exec, exec, s[8:9]
.LBB2450_164:                           ;   in Loop: Header=BB2450_165 Depth=1
	s_or_b64 exec, exec, s[6:7]
	v_and_b32_e32 v4, 0x3fffffff, v0
	v_add_u32_e32 v23, v4, v23
	v_cmp_gt_i32_e64 s[6:7], -2.0, v0
	s_and_b64 s[8:9], exec, s[6:7]
	s_or_b64 s[4:5], s[8:9], s[4:5]
	s_andn2_b64 exec, exec, s[4:5]
	s_cbranch_execz .LBB2450_170
.LBB2450_165:                           ; =>This Loop Header: Depth=1
                                        ;     Child Loop BB2450_168 Depth 2
	s_or_b64 s[6:7], s[6:7], exec
	s_cmp_eq_u32 s15, 0
	s_cbranch_scc1 .LBB2450_169
; %bb.166:                              ;   in Loop: Header=BB2450_165 Depth=1
	s_add_i32 s15, s15, -1
	v_lshl_or_b32 v0, s15, 8, v8
	v_lshl_add_u64 v[4:5], v[0:1], 2, s[38:39]
	global_load_dword v0, v[4:5], off sc1
	s_waitcnt vmcnt(0)
	v_cmp_gt_u32_e32 vcc, 2.0, v0
	s_and_saveexec_b64 s[6:7], vcc
	s_cbranch_execz .LBB2450_164
; %bb.167:                              ;   in Loop: Header=BB2450_165 Depth=1
	s_mov_b64 s[8:9], 0
.LBB2450_168:                           ;   Parent Loop BB2450_165 Depth=1
                                        ; =>  This Inner Loop Header: Depth=2
	global_load_dword v0, v[4:5], off sc1
	s_waitcnt vmcnt(0)
	v_cmp_lt_u32_e32 vcc, s14, v0
	s_or_b64 s[8:9], vcc, s[8:9]
	s_andn2_b64 exec, exec, s[8:9]
	s_cbranch_execnz .LBB2450_168
	s_branch .LBB2450_163
.LBB2450_169:                           ;   in Loop: Header=BB2450_165 Depth=1
                                        ; implicit-def: $sgpr15
	s_and_b64 s[8:9], exec, s[6:7]
	s_or_b64 s[4:5], s[8:9], s[4:5]
	s_andn2_b64 exec, exec, s[4:5]
	s_cbranch_execnz .LBB2450_165
.LBB2450_170:
	s_or_b64 exec, exec, s[4:5]
	v_add_u32_e32 v0, v23, v19
	v_or_b32_e32 v0, 0x80000000, v0
	global_store_dword v[2:3], v0, off sc1
	global_load_dword v0, v24, s[48:49]
	v_sub_u32_e32 v1, v23, v16
	s_waitcnt vmcnt(0)
	v_add_u32_e32 v0, v1, v0
	ds_write_b32 v24, v0
.LBB2450_171:
	s_or_b64 exec, exec, s[2:3]
	v_add_u32_e32 v33, v47, v13
	v_add3_u32 v29, v15, v12, v41
	v_add3_u32 v23, v20, v17, v42
	;; [unrolled: 1-line block ×7, first 2 shown]
	s_mov_b32 s6, 16
	s_mov_b32 s7, s52
	;; [unrolled: 1-line block ×3, first 2 shown]
	v_lshlrev_b32_e32 v36, 2, v2
	v_add3_u32 v26, v39, v38, v26
	v_lshlrev_b32_e32 v38, 2, v3
	v_add3_u32 v35, v37, v46, v35
	;; [unrolled: 2-line block ×7, first 2 shown]
	v_lshlrev_b32_e32 v15, 2, v33
	s_mov_b32 s19, 0
	s_mov_b64 s[2:3], -1
	s_mov_b32 s9, 0
	s_movk_i32 s14, 0x1000
	v_mov_b32_e32 v1, 0
	s_movk_i32 s15, 0x400
	s_movk_i32 s16, 0x800
	;; [unrolled: 1-line block ×3, first 2 shown]
	s_mov_b32 s18, 0
	v_mov_b32_e32 v39, v8
	s_branch .LBB2450_173
.LBB2450_172:                           ;   in Loop: Header=BB2450_173 Depth=1
	s_or_b64 exec, exec, s[4:5]
	s_waitcnt lgkmcnt(0)
	s_barrier
	ds_read2st64_b32 v[40:41], v24 offset0:4 offset1:20
	ds_read2st64_b32 v[44:45], v24 offset0:36 offset1:52
	s_xor_b64 s[4:5], s[2:3], -1
	s_addk_i32 s18, 0xc000
	s_addk_i32 s9, 0xf000
	s_waitcnt lgkmcnt(1)
	v_xor_b32_e32 v48, 0x80000000, v40
	v_lshrrev_b32_e32 v40, s52, v40
	v_lshrrev_b32_e32 v0, s7, v41
	v_and_b32_e32 v40, s13, v40
	v_xor_b32_e32 v49, 0x80000000, v41
	v_and_b32_e32 v41, s8, v0
	v_lshlrev_b32_e32 v0, 2, v40
	ds_read_b32 v0, v0
	s_waitcnt lgkmcnt(1)
	v_lshrrev_b32_e32 v42, s7, v45
	v_lshrrev_b32_e32 v47, s52, v44
	v_and_b32_e32 v43, s8, v42
	v_lshlrev_b32_e32 v46, 2, v41
	v_and_b32_e32 v42, s13, v47
	v_lshlrev_b32_e32 v50, 2, v43
	v_lshlrev_b32_e32 v47, 2, v42
	ds_read_b32 v51, v46
	ds_read_b32 v52, v47
	;; [unrolled: 1-line block ×3, first 2 shown]
	s_waitcnt lgkmcnt(3)
	v_add_u32_e32 v0, v39, v0
	v_lshl_add_u64 v[46:47], v[0:1], 2, s[42:43]
	s_waitcnt lgkmcnt(2)
	v_add3_u32 v0, v39, v51, s15
	global_store_dword v[46:47], v48, off
	v_lshl_add_u64 v[46:47], v[0:1], 2, s[42:43]
	s_waitcnt lgkmcnt(1)
	v_add3_u32 v0, v39, v52, s16
	global_store_dword v[46:47], v49, off
	v_xor_b32_e32 v46, 0x80000000, v44
	v_xor_b32_e32 v47, 0x80000000, v45
	v_lshl_add_u64 v[44:45], v[0:1], 2, s[42:43]
	s_waitcnt lgkmcnt(0)
	v_add3_u32 v0, v39, v50, s17
	global_store_dword v[44:45], v46, off
	v_lshl_add_u64 v[44:45], v[0:1], 2, s[42:43]
	global_store_dword v[44:45], v47, off
	scratch_store_dwordx4 off, v[40:43], s19
	v_add_u32_e32 v39, 0x1000, v39
	s_mov_b64 s[2:3], 0
	s_and_b64 vcc, exec, s[4:5]
	s_mov_b32 s19, s6
	s_barrier
	s_cbranch_vccnz .LBB2450_189
.LBB2450_173:                           ; =>This Inner Loop Header: Depth=1
	v_add_u32_e32 v0, s9, v33
	v_cmp_gt_u32_e32 vcc, s14, v0
	s_and_saveexec_b64 s[4:5], vcc
; %bb.174:                              ;   in Loop: Header=BB2450_173 Depth=1
	v_add_u32_e32 v0, s18, v15
	ds_write_b32 v0, v9 offset:1024
; %bb.175:                              ;   in Loop: Header=BB2450_173 Depth=1
	s_or_b64 exec, exec, s[4:5]
	v_add_u32_e32 v0, s9, v12
	v_cmp_gt_u32_e32 vcc, s14, v0
	s_and_saveexec_b64 s[4:5], vcc
; %bb.176:                              ;   in Loop: Header=BB2450_173 Depth=1
	v_add_u32_e32 v0, s18, v20
	ds_write_b32 v0, v10 offset:1024
; %bb.177:                              ;   in Loop: Header=BB2450_173 Depth=1
	s_or_b64 exec, exec, s[4:5]
	;; [unrolled: 8-line block ×7, first 2 shown]
	v_add_u32_e32 v0, s9, v26
	v_cmp_gt_u32_e32 vcc, s14, v0
	s_and_saveexec_b64 s[4:5], vcc
	s_cbranch_execz .LBB2450_172
; %bb.188:                              ;   in Loop: Header=BB2450_173 Depth=1
	v_add_u32_e32 v0, s18, v36
	ds_write_b32 v0, v32 offset:1024
	s_branch .LBB2450_172
.LBB2450_189:
	s_lshl_b64 s[2:3], s[10:11], 1
	s_add_u32 s2, s44, s2
	s_addc_u32 s3, s45, s3
	v_lshlrev_b32_e32 v0, 1, v7
	v_mov_b32_e32 v1, 0
	v_lshl_add_u64 v[10:11], s[2:3], 0, v[0:1]
	v_lshlrev_b32_e32 v0, 1, v6
	v_lshl_add_u64 v[0:1], v[10:11], 0, v[0:1]
	global_load_ushort v14, v[0:1], off offset:128
	global_load_ushort v12, v[0:1], off offset:256
	;; [unrolled: 1-line block ×7, first 2 shown]
	s_movk_i32 s4, 0x2000
	v_cmp_gt_u32_e32 vcc, s4, v33
	s_and_saveexec_b64 s[2:3], vcc
	s_cbranch_execz .LBB2450_197
; %bb.190:
	global_load_ushort v0, v[0:1], off
	v_lshlrev_b32_e32 v1, 1, v33
	s_waitcnt vmcnt(0)
	ds_write_b16 v1, v0 offset:1024
	s_or_b64 exec, exec, s[2:3]
	v_cmp_gt_u32_e32 vcc, s4, v29
	s_and_saveexec_b64 s[2:3], vcc
	s_cbranch_execnz .LBB2450_198
.LBB2450_191:
	s_or_b64 exec, exec, s[2:3]
	v_cmp_gt_u32_e32 vcc, s4, v23
	s_and_saveexec_b64 s[2:3], vcc
	s_cbranch_execz .LBB2450_199
.LBB2450_192:
	v_lshlrev_b32_e32 v0, 1, v23
	s_waitcnt vmcnt(5)
	ds_write_b16 v0, v12 offset:1024
	s_or_b64 exec, exec, s[2:3]
	v_cmp_gt_u32_e32 vcc, s4, v13
	s_and_saveexec_b64 s[2:3], vcc
	s_cbranch_execnz .LBB2450_200
.LBB2450_193:
	s_or_b64 exec, exec, s[2:3]
	v_cmp_gt_u32_e32 vcc, s4, v5
	s_and_saveexec_b64 s[2:3], vcc
	s_cbranch_execz .LBB2450_201
.LBB2450_194:
	v_lshlrev_b32_e32 v0, 1, v5
	s_waitcnt vmcnt(3)
	ds_write_b16 v0, v10 offset:1024
	s_or_b64 exec, exec, s[2:3]
	v_cmp_gt_u32_e32 vcc, s4, v4
	s_and_saveexec_b64 s[2:3], vcc
	s_cbranch_execnz .LBB2450_202
.LBB2450_195:
	s_or_b64 exec, exec, s[2:3]
	v_cmp_gt_u32_e32 vcc, s4, v3
	s_and_saveexec_b64 s[2:3], vcc
	s_cbranch_execz .LBB2450_203
.LBB2450_196:
	v_lshlrev_b32_e32 v0, 1, v3
	s_waitcnt vmcnt(1)
	ds_write_b16 v0, v7 offset:1024
	s_or_b64 exec, exec, s[2:3]
	v_cmp_gt_u32_e32 vcc, s4, v2
	s_and_saveexec_b64 s[2:3], vcc
	s_cbranch_execnz .LBB2450_204
	s_branch .LBB2450_205
.LBB2450_197:
	s_or_b64 exec, exec, s[2:3]
	v_cmp_gt_u32_e32 vcc, s4, v29
	s_and_saveexec_b64 s[2:3], vcc
	s_cbranch_execz .LBB2450_191
.LBB2450_198:
	v_lshlrev_b32_e32 v0, 1, v29
	s_waitcnt vmcnt(6)
	ds_write_b16 v0, v14 offset:1024
	s_or_b64 exec, exec, s[2:3]
	v_cmp_gt_u32_e32 vcc, s4, v23
	s_and_saveexec_b64 s[2:3], vcc
	s_cbranch_execnz .LBB2450_192
.LBB2450_199:
	s_or_b64 exec, exec, s[2:3]
	v_cmp_gt_u32_e32 vcc, s4, v13
	s_and_saveexec_b64 s[2:3], vcc
	s_cbranch_execz .LBB2450_193
.LBB2450_200:
	v_lshlrev_b32_e32 v0, 1, v13
	s_waitcnt vmcnt(4)
	ds_write_b16 v0, v11 offset:1024
	s_or_b64 exec, exec, s[2:3]
	v_cmp_gt_u32_e32 vcc, s4, v5
	s_and_saveexec_b64 s[2:3], vcc
	s_cbranch_execnz .LBB2450_194
.LBB2450_201:
	s_or_b64 exec, exec, s[2:3]
	v_cmp_gt_u32_e32 vcc, s4, v4
	s_and_saveexec_b64 s[2:3], vcc
	s_cbranch_execz .LBB2450_195
.LBB2450_202:
	v_lshlrev_b32_e32 v0, 1, v4
	s_waitcnt vmcnt(2)
	ds_write_b16 v0, v9 offset:1024
	s_or_b64 exec, exec, s[2:3]
	v_cmp_gt_u32_e32 vcc, s4, v3
	s_and_saveexec_b64 s[2:3], vcc
	s_cbranch_execnz .LBB2450_196
.LBB2450_203:
	s_or_b64 exec, exec, s[2:3]
	v_cmp_gt_u32_e32 vcc, s4, v2
	s_and_saveexec_b64 s[2:3], vcc
	s_cbranch_execz .LBB2450_205
.LBB2450_204:
	v_lshlrev_b32_e32 v0, 1, v2
	s_waitcnt vmcnt(0)
	ds_write_b16 v0, v6 offset:1024
.LBB2450_205:
	s_or_b64 exec, exec, s[2:3]
	s_waitcnt lgkmcnt(0)
	s_barrier
	scratch_load_dwordx4 v[0:3], off, off
	scratch_load_dwordx4 v[4:7], off, off offset:16
	s_waitcnt vmcnt(4)
	v_lshlrev_b32_e32 v9, 1, v8
	v_mov_b32_e32 v11, 0
	s_movk_i32 s4, 0x400
	ds_read_u16 v12, v9 offset:1024
	ds_read_u16 v13, v9 offset:3072
	ds_read_u16 v14, v9 offset:5120
	ds_read_u16 v15, v9 offset:7168
	ds_read_u16 v17, v9 offset:9216
	ds_read_u16 v18, v9 offset:11264
	ds_read_u16 v20, v9 offset:13312
	ds_read_u16 v9, v9 offset:15360
	s_movk_i32 s5, 0x800
	s_movk_i32 s6, 0xc00
	;; [unrolled: 1-line block ×5, first 2 shown]
	s_add_i32 s12, s12, -1
	s_movk_i32 s10, 0x1c00
	s_cmp_eq_u32 s33, s12
	s_cselect_b64 s[2:3], -1, 0
	s_xor_b64 s[0:1], s[0:1], -1
	s_and_b64 s[0:1], s[0:1], s[2:3]
	s_waitcnt vmcnt(1)
	v_lshlrev_b32_e32 v0, 2, v0
	v_lshlrev_b32_e32 v2, 2, v2
	v_lshlrev_b32_e32 v3, 2, v3
	s_waitcnt vmcnt(0)
	v_lshlrev_b32_e32 v4, 2, v4
	v_lshlrev_b32_e32 v5, 2, v5
	;; [unrolled: 1-line block ×5, first 2 shown]
	ds_read_b32 v0, v0
	ds_read_b32 v21, v1
	;; [unrolled: 1-line block ×8, first 2 shown]
	s_waitcnt lgkmcnt(7)
	v_add_u32_e32 v10, v0, v8
	v_lshl_add_u64 v[0:1], v[10:11], 1, s[46:47]
	s_waitcnt lgkmcnt(6)
	v_add3_u32 v10, v21, v8, s4
	global_store_short v[0:1], v12, off
	v_lshl_add_u64 v[0:1], v[10:11], 1, s[46:47]
	s_waitcnt lgkmcnt(5)
	v_add3_u32 v10, v2, v8, s5
	global_store_short v[0:1], v13, off
	;; [unrolled: 4-line block ×7, first 2 shown]
	v_lshl_add_u64 v[0:1], v[10:11], 1, s[46:47]
	global_store_short v[0:1], v9, off
	s_and_saveexec_b64 s[2:3], s[0:1]
	s_cbranch_execz .LBB2450_207
; %bb.206:
	ds_read_b32 v0, v24
	s_waitcnt lgkmcnt(0)
	v_add3_u32 v0, v16, v19, v0
	global_store_dword v24, v0, s[50:51]
.LBB2450_207:
	s_endpgm
	.section	.rodata,"a",@progbits
	.p2align	6, 0x0
	.amdhsa_kernel _ZN7rocprim17ROCPRIM_400000_NS6detail17trampoline_kernelINS0_14default_configENS1_35radix_sort_onesweep_config_selectorIisEEZZNS1_29radix_sort_onesweep_iterationIS3_Lb0EN6thrust23THRUST_200600_302600_NS10device_ptrIiEESA_NS9_IsEESB_jNS0_19identity_decomposerENS1_16block_id_wrapperIjLb1EEEEE10hipError_tT1_PNSt15iterator_traitsISG_E10value_typeET2_T3_PNSH_ISM_E10value_typeET4_T5_PSR_SS_PNS1_23onesweep_lookback_stateEbbT6_jjT7_P12ihipStream_tbENKUlT_T0_SG_SL_E_clISA_PiSB_PsEEDaSZ_S10_SG_SL_EUlSZ_E_NS1_11comp_targetILNS1_3genE6ELNS1_11target_archE950ELNS1_3gpuE13ELNS1_3repE0EEENS1_47radix_sort_onesweep_sort_config_static_selectorELNS0_4arch9wavefront6targetE1EEEvSG_
		.amdhsa_group_segment_fixed_size 53328
		.amdhsa_private_segment_fixed_size 48
		.amdhsa_kernarg_size 344
		.amdhsa_user_sgpr_count 4
		.amdhsa_user_sgpr_dispatch_ptr 1
		.amdhsa_user_sgpr_queue_ptr 0
		.amdhsa_user_sgpr_kernarg_segment_ptr 1
		.amdhsa_user_sgpr_dispatch_id 0
		.amdhsa_user_sgpr_kernarg_preload_length 0
		.amdhsa_user_sgpr_kernarg_preload_offset 0
		.amdhsa_user_sgpr_private_segment_size 0
		.amdhsa_uses_dynamic_stack 0
		.amdhsa_enable_private_segment 1
		.amdhsa_system_sgpr_workgroup_id_x 1
		.amdhsa_system_sgpr_workgroup_id_y 0
		.amdhsa_system_sgpr_workgroup_id_z 0
		.amdhsa_system_sgpr_workgroup_info 0
		.amdhsa_system_vgpr_workitem_id 2
		.amdhsa_next_free_vgpr 53
		.amdhsa_next_free_sgpr 59
		.amdhsa_accum_offset 56
		.amdhsa_reserve_vcc 1
		.amdhsa_float_round_mode_32 0
		.amdhsa_float_round_mode_16_64 0
		.amdhsa_float_denorm_mode_32 3
		.amdhsa_float_denorm_mode_16_64 3
		.amdhsa_dx10_clamp 1
		.amdhsa_ieee_mode 1
		.amdhsa_fp16_overflow 0
		.amdhsa_tg_split 0
		.amdhsa_exception_fp_ieee_invalid_op 0
		.amdhsa_exception_fp_denorm_src 0
		.amdhsa_exception_fp_ieee_div_zero 0
		.amdhsa_exception_fp_ieee_overflow 0
		.amdhsa_exception_fp_ieee_underflow 0
		.amdhsa_exception_fp_ieee_inexact 0
		.amdhsa_exception_int_div_zero 0
	.end_amdhsa_kernel
	.section	.text._ZN7rocprim17ROCPRIM_400000_NS6detail17trampoline_kernelINS0_14default_configENS1_35radix_sort_onesweep_config_selectorIisEEZZNS1_29radix_sort_onesweep_iterationIS3_Lb0EN6thrust23THRUST_200600_302600_NS10device_ptrIiEESA_NS9_IsEESB_jNS0_19identity_decomposerENS1_16block_id_wrapperIjLb1EEEEE10hipError_tT1_PNSt15iterator_traitsISG_E10value_typeET2_T3_PNSH_ISM_E10value_typeET4_T5_PSR_SS_PNS1_23onesweep_lookback_stateEbbT6_jjT7_P12ihipStream_tbENKUlT_T0_SG_SL_E_clISA_PiSB_PsEEDaSZ_S10_SG_SL_EUlSZ_E_NS1_11comp_targetILNS1_3genE6ELNS1_11target_archE950ELNS1_3gpuE13ELNS1_3repE0EEENS1_47radix_sort_onesweep_sort_config_static_selectorELNS0_4arch9wavefront6targetE1EEEvSG_,"axG",@progbits,_ZN7rocprim17ROCPRIM_400000_NS6detail17trampoline_kernelINS0_14default_configENS1_35radix_sort_onesweep_config_selectorIisEEZZNS1_29radix_sort_onesweep_iterationIS3_Lb0EN6thrust23THRUST_200600_302600_NS10device_ptrIiEESA_NS9_IsEESB_jNS0_19identity_decomposerENS1_16block_id_wrapperIjLb1EEEEE10hipError_tT1_PNSt15iterator_traitsISG_E10value_typeET2_T3_PNSH_ISM_E10value_typeET4_T5_PSR_SS_PNS1_23onesweep_lookback_stateEbbT6_jjT7_P12ihipStream_tbENKUlT_T0_SG_SL_E_clISA_PiSB_PsEEDaSZ_S10_SG_SL_EUlSZ_E_NS1_11comp_targetILNS1_3genE6ELNS1_11target_archE950ELNS1_3gpuE13ELNS1_3repE0EEENS1_47radix_sort_onesweep_sort_config_static_selectorELNS0_4arch9wavefront6targetE1EEEvSG_,comdat
.Lfunc_end2450:
	.size	_ZN7rocprim17ROCPRIM_400000_NS6detail17trampoline_kernelINS0_14default_configENS1_35radix_sort_onesweep_config_selectorIisEEZZNS1_29radix_sort_onesweep_iterationIS3_Lb0EN6thrust23THRUST_200600_302600_NS10device_ptrIiEESA_NS9_IsEESB_jNS0_19identity_decomposerENS1_16block_id_wrapperIjLb1EEEEE10hipError_tT1_PNSt15iterator_traitsISG_E10value_typeET2_T3_PNSH_ISM_E10value_typeET4_T5_PSR_SS_PNS1_23onesweep_lookback_stateEbbT6_jjT7_P12ihipStream_tbENKUlT_T0_SG_SL_E_clISA_PiSB_PsEEDaSZ_S10_SG_SL_EUlSZ_E_NS1_11comp_targetILNS1_3genE6ELNS1_11target_archE950ELNS1_3gpuE13ELNS1_3repE0EEENS1_47radix_sort_onesweep_sort_config_static_selectorELNS0_4arch9wavefront6targetE1EEEvSG_, .Lfunc_end2450-_ZN7rocprim17ROCPRIM_400000_NS6detail17trampoline_kernelINS0_14default_configENS1_35radix_sort_onesweep_config_selectorIisEEZZNS1_29radix_sort_onesweep_iterationIS3_Lb0EN6thrust23THRUST_200600_302600_NS10device_ptrIiEESA_NS9_IsEESB_jNS0_19identity_decomposerENS1_16block_id_wrapperIjLb1EEEEE10hipError_tT1_PNSt15iterator_traitsISG_E10value_typeET2_T3_PNSH_ISM_E10value_typeET4_T5_PSR_SS_PNS1_23onesweep_lookback_stateEbbT6_jjT7_P12ihipStream_tbENKUlT_T0_SG_SL_E_clISA_PiSB_PsEEDaSZ_S10_SG_SL_EUlSZ_E_NS1_11comp_targetILNS1_3genE6ELNS1_11target_archE950ELNS1_3gpuE13ELNS1_3repE0EEENS1_47radix_sort_onesweep_sort_config_static_selectorELNS0_4arch9wavefront6targetE1EEEvSG_
                                        ; -- End function
	.set _ZN7rocprim17ROCPRIM_400000_NS6detail17trampoline_kernelINS0_14default_configENS1_35radix_sort_onesweep_config_selectorIisEEZZNS1_29radix_sort_onesweep_iterationIS3_Lb0EN6thrust23THRUST_200600_302600_NS10device_ptrIiEESA_NS9_IsEESB_jNS0_19identity_decomposerENS1_16block_id_wrapperIjLb1EEEEE10hipError_tT1_PNSt15iterator_traitsISG_E10value_typeET2_T3_PNSH_ISM_E10value_typeET4_T5_PSR_SS_PNS1_23onesweep_lookback_stateEbbT6_jjT7_P12ihipStream_tbENKUlT_T0_SG_SL_E_clISA_PiSB_PsEEDaSZ_S10_SG_SL_EUlSZ_E_NS1_11comp_targetILNS1_3genE6ELNS1_11target_archE950ELNS1_3gpuE13ELNS1_3repE0EEENS1_47radix_sort_onesweep_sort_config_static_selectorELNS0_4arch9wavefront6targetE1EEEvSG_.num_vgpr, 53
	.set _ZN7rocprim17ROCPRIM_400000_NS6detail17trampoline_kernelINS0_14default_configENS1_35radix_sort_onesweep_config_selectorIisEEZZNS1_29radix_sort_onesweep_iterationIS3_Lb0EN6thrust23THRUST_200600_302600_NS10device_ptrIiEESA_NS9_IsEESB_jNS0_19identity_decomposerENS1_16block_id_wrapperIjLb1EEEEE10hipError_tT1_PNSt15iterator_traitsISG_E10value_typeET2_T3_PNSH_ISM_E10value_typeET4_T5_PSR_SS_PNS1_23onesweep_lookback_stateEbbT6_jjT7_P12ihipStream_tbENKUlT_T0_SG_SL_E_clISA_PiSB_PsEEDaSZ_S10_SG_SL_EUlSZ_E_NS1_11comp_targetILNS1_3genE6ELNS1_11target_archE950ELNS1_3gpuE13ELNS1_3repE0EEENS1_47radix_sort_onesweep_sort_config_static_selectorELNS0_4arch9wavefront6targetE1EEEvSG_.num_agpr, 0
	.set _ZN7rocprim17ROCPRIM_400000_NS6detail17trampoline_kernelINS0_14default_configENS1_35radix_sort_onesweep_config_selectorIisEEZZNS1_29radix_sort_onesweep_iterationIS3_Lb0EN6thrust23THRUST_200600_302600_NS10device_ptrIiEESA_NS9_IsEESB_jNS0_19identity_decomposerENS1_16block_id_wrapperIjLb1EEEEE10hipError_tT1_PNSt15iterator_traitsISG_E10value_typeET2_T3_PNSH_ISM_E10value_typeET4_T5_PSR_SS_PNS1_23onesweep_lookback_stateEbbT6_jjT7_P12ihipStream_tbENKUlT_T0_SG_SL_E_clISA_PiSB_PsEEDaSZ_S10_SG_SL_EUlSZ_E_NS1_11comp_targetILNS1_3genE6ELNS1_11target_archE950ELNS1_3gpuE13ELNS1_3repE0EEENS1_47radix_sort_onesweep_sort_config_static_selectorELNS0_4arch9wavefront6targetE1EEEvSG_.numbered_sgpr, 59
	.set _ZN7rocprim17ROCPRIM_400000_NS6detail17trampoline_kernelINS0_14default_configENS1_35radix_sort_onesweep_config_selectorIisEEZZNS1_29radix_sort_onesweep_iterationIS3_Lb0EN6thrust23THRUST_200600_302600_NS10device_ptrIiEESA_NS9_IsEESB_jNS0_19identity_decomposerENS1_16block_id_wrapperIjLb1EEEEE10hipError_tT1_PNSt15iterator_traitsISG_E10value_typeET2_T3_PNSH_ISM_E10value_typeET4_T5_PSR_SS_PNS1_23onesweep_lookback_stateEbbT6_jjT7_P12ihipStream_tbENKUlT_T0_SG_SL_E_clISA_PiSB_PsEEDaSZ_S10_SG_SL_EUlSZ_E_NS1_11comp_targetILNS1_3genE6ELNS1_11target_archE950ELNS1_3gpuE13ELNS1_3repE0EEENS1_47radix_sort_onesweep_sort_config_static_selectorELNS0_4arch9wavefront6targetE1EEEvSG_.num_named_barrier, 0
	.set _ZN7rocprim17ROCPRIM_400000_NS6detail17trampoline_kernelINS0_14default_configENS1_35radix_sort_onesweep_config_selectorIisEEZZNS1_29radix_sort_onesweep_iterationIS3_Lb0EN6thrust23THRUST_200600_302600_NS10device_ptrIiEESA_NS9_IsEESB_jNS0_19identity_decomposerENS1_16block_id_wrapperIjLb1EEEEE10hipError_tT1_PNSt15iterator_traitsISG_E10value_typeET2_T3_PNSH_ISM_E10value_typeET4_T5_PSR_SS_PNS1_23onesweep_lookback_stateEbbT6_jjT7_P12ihipStream_tbENKUlT_T0_SG_SL_E_clISA_PiSB_PsEEDaSZ_S10_SG_SL_EUlSZ_E_NS1_11comp_targetILNS1_3genE6ELNS1_11target_archE950ELNS1_3gpuE13ELNS1_3repE0EEENS1_47radix_sort_onesweep_sort_config_static_selectorELNS0_4arch9wavefront6targetE1EEEvSG_.private_seg_size, 48
	.set _ZN7rocprim17ROCPRIM_400000_NS6detail17trampoline_kernelINS0_14default_configENS1_35radix_sort_onesweep_config_selectorIisEEZZNS1_29radix_sort_onesweep_iterationIS3_Lb0EN6thrust23THRUST_200600_302600_NS10device_ptrIiEESA_NS9_IsEESB_jNS0_19identity_decomposerENS1_16block_id_wrapperIjLb1EEEEE10hipError_tT1_PNSt15iterator_traitsISG_E10value_typeET2_T3_PNSH_ISM_E10value_typeET4_T5_PSR_SS_PNS1_23onesweep_lookback_stateEbbT6_jjT7_P12ihipStream_tbENKUlT_T0_SG_SL_E_clISA_PiSB_PsEEDaSZ_S10_SG_SL_EUlSZ_E_NS1_11comp_targetILNS1_3genE6ELNS1_11target_archE950ELNS1_3gpuE13ELNS1_3repE0EEENS1_47radix_sort_onesweep_sort_config_static_selectorELNS0_4arch9wavefront6targetE1EEEvSG_.uses_vcc, 1
	.set _ZN7rocprim17ROCPRIM_400000_NS6detail17trampoline_kernelINS0_14default_configENS1_35radix_sort_onesweep_config_selectorIisEEZZNS1_29radix_sort_onesweep_iterationIS3_Lb0EN6thrust23THRUST_200600_302600_NS10device_ptrIiEESA_NS9_IsEESB_jNS0_19identity_decomposerENS1_16block_id_wrapperIjLb1EEEEE10hipError_tT1_PNSt15iterator_traitsISG_E10value_typeET2_T3_PNSH_ISM_E10value_typeET4_T5_PSR_SS_PNS1_23onesweep_lookback_stateEbbT6_jjT7_P12ihipStream_tbENKUlT_T0_SG_SL_E_clISA_PiSB_PsEEDaSZ_S10_SG_SL_EUlSZ_E_NS1_11comp_targetILNS1_3genE6ELNS1_11target_archE950ELNS1_3gpuE13ELNS1_3repE0EEENS1_47radix_sort_onesweep_sort_config_static_selectorELNS0_4arch9wavefront6targetE1EEEvSG_.uses_flat_scratch, 0
	.set _ZN7rocprim17ROCPRIM_400000_NS6detail17trampoline_kernelINS0_14default_configENS1_35radix_sort_onesweep_config_selectorIisEEZZNS1_29radix_sort_onesweep_iterationIS3_Lb0EN6thrust23THRUST_200600_302600_NS10device_ptrIiEESA_NS9_IsEESB_jNS0_19identity_decomposerENS1_16block_id_wrapperIjLb1EEEEE10hipError_tT1_PNSt15iterator_traitsISG_E10value_typeET2_T3_PNSH_ISM_E10value_typeET4_T5_PSR_SS_PNS1_23onesweep_lookback_stateEbbT6_jjT7_P12ihipStream_tbENKUlT_T0_SG_SL_E_clISA_PiSB_PsEEDaSZ_S10_SG_SL_EUlSZ_E_NS1_11comp_targetILNS1_3genE6ELNS1_11target_archE950ELNS1_3gpuE13ELNS1_3repE0EEENS1_47radix_sort_onesweep_sort_config_static_selectorELNS0_4arch9wavefront6targetE1EEEvSG_.has_dyn_sized_stack, 0
	.set _ZN7rocprim17ROCPRIM_400000_NS6detail17trampoline_kernelINS0_14default_configENS1_35radix_sort_onesweep_config_selectorIisEEZZNS1_29radix_sort_onesweep_iterationIS3_Lb0EN6thrust23THRUST_200600_302600_NS10device_ptrIiEESA_NS9_IsEESB_jNS0_19identity_decomposerENS1_16block_id_wrapperIjLb1EEEEE10hipError_tT1_PNSt15iterator_traitsISG_E10value_typeET2_T3_PNSH_ISM_E10value_typeET4_T5_PSR_SS_PNS1_23onesweep_lookback_stateEbbT6_jjT7_P12ihipStream_tbENKUlT_T0_SG_SL_E_clISA_PiSB_PsEEDaSZ_S10_SG_SL_EUlSZ_E_NS1_11comp_targetILNS1_3genE6ELNS1_11target_archE950ELNS1_3gpuE13ELNS1_3repE0EEENS1_47radix_sort_onesweep_sort_config_static_selectorELNS0_4arch9wavefront6targetE1EEEvSG_.has_recursion, 0
	.set _ZN7rocprim17ROCPRIM_400000_NS6detail17trampoline_kernelINS0_14default_configENS1_35radix_sort_onesweep_config_selectorIisEEZZNS1_29radix_sort_onesweep_iterationIS3_Lb0EN6thrust23THRUST_200600_302600_NS10device_ptrIiEESA_NS9_IsEESB_jNS0_19identity_decomposerENS1_16block_id_wrapperIjLb1EEEEE10hipError_tT1_PNSt15iterator_traitsISG_E10value_typeET2_T3_PNSH_ISM_E10value_typeET4_T5_PSR_SS_PNS1_23onesweep_lookback_stateEbbT6_jjT7_P12ihipStream_tbENKUlT_T0_SG_SL_E_clISA_PiSB_PsEEDaSZ_S10_SG_SL_EUlSZ_E_NS1_11comp_targetILNS1_3genE6ELNS1_11target_archE950ELNS1_3gpuE13ELNS1_3repE0EEENS1_47radix_sort_onesweep_sort_config_static_selectorELNS0_4arch9wavefront6targetE1EEEvSG_.has_indirect_call, 0
	.section	.AMDGPU.csdata,"",@progbits
; Kernel info:
; codeLenInByte = 13840
; TotalNumSgprs: 65
; NumVgprs: 53
; NumAgprs: 0
; TotalNumVgprs: 53
; ScratchSize: 48
; MemoryBound: 0
; FloatMode: 240
; IeeeMode: 1
; LDSByteSize: 53328 bytes/workgroup (compile time only)
; SGPRBlocks: 8
; VGPRBlocks: 6
; NumSGPRsForWavesPerEU: 65
; NumVGPRsForWavesPerEU: 53
; AccumOffset: 56
; Occupancy: 8
; WaveLimiterHint : 1
; COMPUTE_PGM_RSRC2:SCRATCH_EN: 1
; COMPUTE_PGM_RSRC2:USER_SGPR: 4
; COMPUTE_PGM_RSRC2:TRAP_HANDLER: 0
; COMPUTE_PGM_RSRC2:TGID_X_EN: 1
; COMPUTE_PGM_RSRC2:TGID_Y_EN: 0
; COMPUTE_PGM_RSRC2:TGID_Z_EN: 0
; COMPUTE_PGM_RSRC2:TIDIG_COMP_CNT: 2
; COMPUTE_PGM_RSRC3_GFX90A:ACCUM_OFFSET: 13
; COMPUTE_PGM_RSRC3_GFX90A:TG_SPLIT: 0
	.section	.text._ZN7rocprim17ROCPRIM_400000_NS6detail17trampoline_kernelINS0_14default_configENS1_35radix_sort_onesweep_config_selectorIisEEZZNS1_29radix_sort_onesweep_iterationIS3_Lb0EN6thrust23THRUST_200600_302600_NS10device_ptrIiEESA_NS9_IsEESB_jNS0_19identity_decomposerENS1_16block_id_wrapperIjLb1EEEEE10hipError_tT1_PNSt15iterator_traitsISG_E10value_typeET2_T3_PNSH_ISM_E10value_typeET4_T5_PSR_SS_PNS1_23onesweep_lookback_stateEbbT6_jjT7_P12ihipStream_tbENKUlT_T0_SG_SL_E_clISA_PiSB_PsEEDaSZ_S10_SG_SL_EUlSZ_E_NS1_11comp_targetILNS1_3genE5ELNS1_11target_archE942ELNS1_3gpuE9ELNS1_3repE0EEENS1_47radix_sort_onesweep_sort_config_static_selectorELNS0_4arch9wavefront6targetE1EEEvSG_,"axG",@progbits,_ZN7rocprim17ROCPRIM_400000_NS6detail17trampoline_kernelINS0_14default_configENS1_35radix_sort_onesweep_config_selectorIisEEZZNS1_29radix_sort_onesweep_iterationIS3_Lb0EN6thrust23THRUST_200600_302600_NS10device_ptrIiEESA_NS9_IsEESB_jNS0_19identity_decomposerENS1_16block_id_wrapperIjLb1EEEEE10hipError_tT1_PNSt15iterator_traitsISG_E10value_typeET2_T3_PNSH_ISM_E10value_typeET4_T5_PSR_SS_PNS1_23onesweep_lookback_stateEbbT6_jjT7_P12ihipStream_tbENKUlT_T0_SG_SL_E_clISA_PiSB_PsEEDaSZ_S10_SG_SL_EUlSZ_E_NS1_11comp_targetILNS1_3genE5ELNS1_11target_archE942ELNS1_3gpuE9ELNS1_3repE0EEENS1_47radix_sort_onesweep_sort_config_static_selectorELNS0_4arch9wavefront6targetE1EEEvSG_,comdat
	.protected	_ZN7rocprim17ROCPRIM_400000_NS6detail17trampoline_kernelINS0_14default_configENS1_35radix_sort_onesweep_config_selectorIisEEZZNS1_29radix_sort_onesweep_iterationIS3_Lb0EN6thrust23THRUST_200600_302600_NS10device_ptrIiEESA_NS9_IsEESB_jNS0_19identity_decomposerENS1_16block_id_wrapperIjLb1EEEEE10hipError_tT1_PNSt15iterator_traitsISG_E10value_typeET2_T3_PNSH_ISM_E10value_typeET4_T5_PSR_SS_PNS1_23onesweep_lookback_stateEbbT6_jjT7_P12ihipStream_tbENKUlT_T0_SG_SL_E_clISA_PiSB_PsEEDaSZ_S10_SG_SL_EUlSZ_E_NS1_11comp_targetILNS1_3genE5ELNS1_11target_archE942ELNS1_3gpuE9ELNS1_3repE0EEENS1_47radix_sort_onesweep_sort_config_static_selectorELNS0_4arch9wavefront6targetE1EEEvSG_ ; -- Begin function _ZN7rocprim17ROCPRIM_400000_NS6detail17trampoline_kernelINS0_14default_configENS1_35radix_sort_onesweep_config_selectorIisEEZZNS1_29radix_sort_onesweep_iterationIS3_Lb0EN6thrust23THRUST_200600_302600_NS10device_ptrIiEESA_NS9_IsEESB_jNS0_19identity_decomposerENS1_16block_id_wrapperIjLb1EEEEE10hipError_tT1_PNSt15iterator_traitsISG_E10value_typeET2_T3_PNSH_ISM_E10value_typeET4_T5_PSR_SS_PNS1_23onesweep_lookback_stateEbbT6_jjT7_P12ihipStream_tbENKUlT_T0_SG_SL_E_clISA_PiSB_PsEEDaSZ_S10_SG_SL_EUlSZ_E_NS1_11comp_targetILNS1_3genE5ELNS1_11target_archE942ELNS1_3gpuE9ELNS1_3repE0EEENS1_47radix_sort_onesweep_sort_config_static_selectorELNS0_4arch9wavefront6targetE1EEEvSG_
	.globl	_ZN7rocprim17ROCPRIM_400000_NS6detail17trampoline_kernelINS0_14default_configENS1_35radix_sort_onesweep_config_selectorIisEEZZNS1_29radix_sort_onesweep_iterationIS3_Lb0EN6thrust23THRUST_200600_302600_NS10device_ptrIiEESA_NS9_IsEESB_jNS0_19identity_decomposerENS1_16block_id_wrapperIjLb1EEEEE10hipError_tT1_PNSt15iterator_traitsISG_E10value_typeET2_T3_PNSH_ISM_E10value_typeET4_T5_PSR_SS_PNS1_23onesweep_lookback_stateEbbT6_jjT7_P12ihipStream_tbENKUlT_T0_SG_SL_E_clISA_PiSB_PsEEDaSZ_S10_SG_SL_EUlSZ_E_NS1_11comp_targetILNS1_3genE5ELNS1_11target_archE942ELNS1_3gpuE9ELNS1_3repE0EEENS1_47radix_sort_onesweep_sort_config_static_selectorELNS0_4arch9wavefront6targetE1EEEvSG_
	.p2align	8
	.type	_ZN7rocprim17ROCPRIM_400000_NS6detail17trampoline_kernelINS0_14default_configENS1_35radix_sort_onesweep_config_selectorIisEEZZNS1_29radix_sort_onesweep_iterationIS3_Lb0EN6thrust23THRUST_200600_302600_NS10device_ptrIiEESA_NS9_IsEESB_jNS0_19identity_decomposerENS1_16block_id_wrapperIjLb1EEEEE10hipError_tT1_PNSt15iterator_traitsISG_E10value_typeET2_T3_PNSH_ISM_E10value_typeET4_T5_PSR_SS_PNS1_23onesweep_lookback_stateEbbT6_jjT7_P12ihipStream_tbENKUlT_T0_SG_SL_E_clISA_PiSB_PsEEDaSZ_S10_SG_SL_EUlSZ_E_NS1_11comp_targetILNS1_3genE5ELNS1_11target_archE942ELNS1_3gpuE9ELNS1_3repE0EEENS1_47radix_sort_onesweep_sort_config_static_selectorELNS0_4arch9wavefront6targetE1EEEvSG_,@function
_ZN7rocprim17ROCPRIM_400000_NS6detail17trampoline_kernelINS0_14default_configENS1_35radix_sort_onesweep_config_selectorIisEEZZNS1_29radix_sort_onesweep_iterationIS3_Lb0EN6thrust23THRUST_200600_302600_NS10device_ptrIiEESA_NS9_IsEESB_jNS0_19identity_decomposerENS1_16block_id_wrapperIjLb1EEEEE10hipError_tT1_PNSt15iterator_traitsISG_E10value_typeET2_T3_PNSH_ISM_E10value_typeET4_T5_PSR_SS_PNS1_23onesweep_lookback_stateEbbT6_jjT7_P12ihipStream_tbENKUlT_T0_SG_SL_E_clISA_PiSB_PsEEDaSZ_S10_SG_SL_EUlSZ_E_NS1_11comp_targetILNS1_3genE5ELNS1_11target_archE942ELNS1_3gpuE9ELNS1_3repE0EEENS1_47radix_sort_onesweep_sort_config_static_selectorELNS0_4arch9wavefront6targetE1EEEvSG_: ; @_ZN7rocprim17ROCPRIM_400000_NS6detail17trampoline_kernelINS0_14default_configENS1_35radix_sort_onesweep_config_selectorIisEEZZNS1_29radix_sort_onesweep_iterationIS3_Lb0EN6thrust23THRUST_200600_302600_NS10device_ptrIiEESA_NS9_IsEESB_jNS0_19identity_decomposerENS1_16block_id_wrapperIjLb1EEEEE10hipError_tT1_PNSt15iterator_traitsISG_E10value_typeET2_T3_PNSH_ISM_E10value_typeET4_T5_PSR_SS_PNS1_23onesweep_lookback_stateEbbT6_jjT7_P12ihipStream_tbENKUlT_T0_SG_SL_E_clISA_PiSB_PsEEDaSZ_S10_SG_SL_EUlSZ_E_NS1_11comp_targetILNS1_3genE5ELNS1_11target_archE942ELNS1_3gpuE9ELNS1_3repE0EEENS1_47radix_sort_onesweep_sort_config_static_selectorELNS0_4arch9wavefront6targetE1EEEvSG_
; %bb.0:
	.section	.rodata,"a",@progbits
	.p2align	6, 0x0
	.amdhsa_kernel _ZN7rocprim17ROCPRIM_400000_NS6detail17trampoline_kernelINS0_14default_configENS1_35radix_sort_onesweep_config_selectorIisEEZZNS1_29radix_sort_onesweep_iterationIS3_Lb0EN6thrust23THRUST_200600_302600_NS10device_ptrIiEESA_NS9_IsEESB_jNS0_19identity_decomposerENS1_16block_id_wrapperIjLb1EEEEE10hipError_tT1_PNSt15iterator_traitsISG_E10value_typeET2_T3_PNSH_ISM_E10value_typeET4_T5_PSR_SS_PNS1_23onesweep_lookback_stateEbbT6_jjT7_P12ihipStream_tbENKUlT_T0_SG_SL_E_clISA_PiSB_PsEEDaSZ_S10_SG_SL_EUlSZ_E_NS1_11comp_targetILNS1_3genE5ELNS1_11target_archE942ELNS1_3gpuE9ELNS1_3repE0EEENS1_47radix_sort_onesweep_sort_config_static_selectorELNS0_4arch9wavefront6targetE1EEEvSG_
		.amdhsa_group_segment_fixed_size 0
		.amdhsa_private_segment_fixed_size 0
		.amdhsa_kernarg_size 88
		.amdhsa_user_sgpr_count 2
		.amdhsa_user_sgpr_dispatch_ptr 0
		.amdhsa_user_sgpr_queue_ptr 0
		.amdhsa_user_sgpr_kernarg_segment_ptr 1
		.amdhsa_user_sgpr_dispatch_id 0
		.amdhsa_user_sgpr_kernarg_preload_length 0
		.amdhsa_user_sgpr_kernarg_preload_offset 0
		.amdhsa_user_sgpr_private_segment_size 0
		.amdhsa_uses_dynamic_stack 0
		.amdhsa_enable_private_segment 0
		.amdhsa_system_sgpr_workgroup_id_x 1
		.amdhsa_system_sgpr_workgroup_id_y 0
		.amdhsa_system_sgpr_workgroup_id_z 0
		.amdhsa_system_sgpr_workgroup_info 0
		.amdhsa_system_vgpr_workitem_id 0
		.amdhsa_next_free_vgpr 1
		.amdhsa_next_free_sgpr 0
		.amdhsa_accum_offset 4
		.amdhsa_reserve_vcc 0
		.amdhsa_float_round_mode_32 0
		.amdhsa_float_round_mode_16_64 0
		.amdhsa_float_denorm_mode_32 3
		.amdhsa_float_denorm_mode_16_64 3
		.amdhsa_dx10_clamp 1
		.amdhsa_ieee_mode 1
		.amdhsa_fp16_overflow 0
		.amdhsa_tg_split 0
		.amdhsa_exception_fp_ieee_invalid_op 0
		.amdhsa_exception_fp_denorm_src 0
		.amdhsa_exception_fp_ieee_div_zero 0
		.amdhsa_exception_fp_ieee_overflow 0
		.amdhsa_exception_fp_ieee_underflow 0
		.amdhsa_exception_fp_ieee_inexact 0
		.amdhsa_exception_int_div_zero 0
	.end_amdhsa_kernel
	.section	.text._ZN7rocprim17ROCPRIM_400000_NS6detail17trampoline_kernelINS0_14default_configENS1_35radix_sort_onesweep_config_selectorIisEEZZNS1_29radix_sort_onesweep_iterationIS3_Lb0EN6thrust23THRUST_200600_302600_NS10device_ptrIiEESA_NS9_IsEESB_jNS0_19identity_decomposerENS1_16block_id_wrapperIjLb1EEEEE10hipError_tT1_PNSt15iterator_traitsISG_E10value_typeET2_T3_PNSH_ISM_E10value_typeET4_T5_PSR_SS_PNS1_23onesweep_lookback_stateEbbT6_jjT7_P12ihipStream_tbENKUlT_T0_SG_SL_E_clISA_PiSB_PsEEDaSZ_S10_SG_SL_EUlSZ_E_NS1_11comp_targetILNS1_3genE5ELNS1_11target_archE942ELNS1_3gpuE9ELNS1_3repE0EEENS1_47radix_sort_onesweep_sort_config_static_selectorELNS0_4arch9wavefront6targetE1EEEvSG_,"axG",@progbits,_ZN7rocprim17ROCPRIM_400000_NS6detail17trampoline_kernelINS0_14default_configENS1_35radix_sort_onesweep_config_selectorIisEEZZNS1_29radix_sort_onesweep_iterationIS3_Lb0EN6thrust23THRUST_200600_302600_NS10device_ptrIiEESA_NS9_IsEESB_jNS0_19identity_decomposerENS1_16block_id_wrapperIjLb1EEEEE10hipError_tT1_PNSt15iterator_traitsISG_E10value_typeET2_T3_PNSH_ISM_E10value_typeET4_T5_PSR_SS_PNS1_23onesweep_lookback_stateEbbT6_jjT7_P12ihipStream_tbENKUlT_T0_SG_SL_E_clISA_PiSB_PsEEDaSZ_S10_SG_SL_EUlSZ_E_NS1_11comp_targetILNS1_3genE5ELNS1_11target_archE942ELNS1_3gpuE9ELNS1_3repE0EEENS1_47radix_sort_onesweep_sort_config_static_selectorELNS0_4arch9wavefront6targetE1EEEvSG_,comdat
.Lfunc_end2451:
	.size	_ZN7rocprim17ROCPRIM_400000_NS6detail17trampoline_kernelINS0_14default_configENS1_35radix_sort_onesweep_config_selectorIisEEZZNS1_29radix_sort_onesweep_iterationIS3_Lb0EN6thrust23THRUST_200600_302600_NS10device_ptrIiEESA_NS9_IsEESB_jNS0_19identity_decomposerENS1_16block_id_wrapperIjLb1EEEEE10hipError_tT1_PNSt15iterator_traitsISG_E10value_typeET2_T3_PNSH_ISM_E10value_typeET4_T5_PSR_SS_PNS1_23onesweep_lookback_stateEbbT6_jjT7_P12ihipStream_tbENKUlT_T0_SG_SL_E_clISA_PiSB_PsEEDaSZ_S10_SG_SL_EUlSZ_E_NS1_11comp_targetILNS1_3genE5ELNS1_11target_archE942ELNS1_3gpuE9ELNS1_3repE0EEENS1_47radix_sort_onesweep_sort_config_static_selectorELNS0_4arch9wavefront6targetE1EEEvSG_, .Lfunc_end2451-_ZN7rocprim17ROCPRIM_400000_NS6detail17trampoline_kernelINS0_14default_configENS1_35radix_sort_onesweep_config_selectorIisEEZZNS1_29radix_sort_onesweep_iterationIS3_Lb0EN6thrust23THRUST_200600_302600_NS10device_ptrIiEESA_NS9_IsEESB_jNS0_19identity_decomposerENS1_16block_id_wrapperIjLb1EEEEE10hipError_tT1_PNSt15iterator_traitsISG_E10value_typeET2_T3_PNSH_ISM_E10value_typeET4_T5_PSR_SS_PNS1_23onesweep_lookback_stateEbbT6_jjT7_P12ihipStream_tbENKUlT_T0_SG_SL_E_clISA_PiSB_PsEEDaSZ_S10_SG_SL_EUlSZ_E_NS1_11comp_targetILNS1_3genE5ELNS1_11target_archE942ELNS1_3gpuE9ELNS1_3repE0EEENS1_47radix_sort_onesweep_sort_config_static_selectorELNS0_4arch9wavefront6targetE1EEEvSG_
                                        ; -- End function
	.set _ZN7rocprim17ROCPRIM_400000_NS6detail17trampoline_kernelINS0_14default_configENS1_35radix_sort_onesweep_config_selectorIisEEZZNS1_29radix_sort_onesweep_iterationIS3_Lb0EN6thrust23THRUST_200600_302600_NS10device_ptrIiEESA_NS9_IsEESB_jNS0_19identity_decomposerENS1_16block_id_wrapperIjLb1EEEEE10hipError_tT1_PNSt15iterator_traitsISG_E10value_typeET2_T3_PNSH_ISM_E10value_typeET4_T5_PSR_SS_PNS1_23onesweep_lookback_stateEbbT6_jjT7_P12ihipStream_tbENKUlT_T0_SG_SL_E_clISA_PiSB_PsEEDaSZ_S10_SG_SL_EUlSZ_E_NS1_11comp_targetILNS1_3genE5ELNS1_11target_archE942ELNS1_3gpuE9ELNS1_3repE0EEENS1_47radix_sort_onesweep_sort_config_static_selectorELNS0_4arch9wavefront6targetE1EEEvSG_.num_vgpr, 0
	.set _ZN7rocprim17ROCPRIM_400000_NS6detail17trampoline_kernelINS0_14default_configENS1_35radix_sort_onesweep_config_selectorIisEEZZNS1_29radix_sort_onesweep_iterationIS3_Lb0EN6thrust23THRUST_200600_302600_NS10device_ptrIiEESA_NS9_IsEESB_jNS0_19identity_decomposerENS1_16block_id_wrapperIjLb1EEEEE10hipError_tT1_PNSt15iterator_traitsISG_E10value_typeET2_T3_PNSH_ISM_E10value_typeET4_T5_PSR_SS_PNS1_23onesweep_lookback_stateEbbT6_jjT7_P12ihipStream_tbENKUlT_T0_SG_SL_E_clISA_PiSB_PsEEDaSZ_S10_SG_SL_EUlSZ_E_NS1_11comp_targetILNS1_3genE5ELNS1_11target_archE942ELNS1_3gpuE9ELNS1_3repE0EEENS1_47radix_sort_onesweep_sort_config_static_selectorELNS0_4arch9wavefront6targetE1EEEvSG_.num_agpr, 0
	.set _ZN7rocprim17ROCPRIM_400000_NS6detail17trampoline_kernelINS0_14default_configENS1_35radix_sort_onesweep_config_selectorIisEEZZNS1_29radix_sort_onesweep_iterationIS3_Lb0EN6thrust23THRUST_200600_302600_NS10device_ptrIiEESA_NS9_IsEESB_jNS0_19identity_decomposerENS1_16block_id_wrapperIjLb1EEEEE10hipError_tT1_PNSt15iterator_traitsISG_E10value_typeET2_T3_PNSH_ISM_E10value_typeET4_T5_PSR_SS_PNS1_23onesweep_lookback_stateEbbT6_jjT7_P12ihipStream_tbENKUlT_T0_SG_SL_E_clISA_PiSB_PsEEDaSZ_S10_SG_SL_EUlSZ_E_NS1_11comp_targetILNS1_3genE5ELNS1_11target_archE942ELNS1_3gpuE9ELNS1_3repE0EEENS1_47radix_sort_onesweep_sort_config_static_selectorELNS0_4arch9wavefront6targetE1EEEvSG_.numbered_sgpr, 0
	.set _ZN7rocprim17ROCPRIM_400000_NS6detail17trampoline_kernelINS0_14default_configENS1_35radix_sort_onesweep_config_selectorIisEEZZNS1_29radix_sort_onesweep_iterationIS3_Lb0EN6thrust23THRUST_200600_302600_NS10device_ptrIiEESA_NS9_IsEESB_jNS0_19identity_decomposerENS1_16block_id_wrapperIjLb1EEEEE10hipError_tT1_PNSt15iterator_traitsISG_E10value_typeET2_T3_PNSH_ISM_E10value_typeET4_T5_PSR_SS_PNS1_23onesweep_lookback_stateEbbT6_jjT7_P12ihipStream_tbENKUlT_T0_SG_SL_E_clISA_PiSB_PsEEDaSZ_S10_SG_SL_EUlSZ_E_NS1_11comp_targetILNS1_3genE5ELNS1_11target_archE942ELNS1_3gpuE9ELNS1_3repE0EEENS1_47radix_sort_onesweep_sort_config_static_selectorELNS0_4arch9wavefront6targetE1EEEvSG_.num_named_barrier, 0
	.set _ZN7rocprim17ROCPRIM_400000_NS6detail17trampoline_kernelINS0_14default_configENS1_35radix_sort_onesweep_config_selectorIisEEZZNS1_29radix_sort_onesweep_iterationIS3_Lb0EN6thrust23THRUST_200600_302600_NS10device_ptrIiEESA_NS9_IsEESB_jNS0_19identity_decomposerENS1_16block_id_wrapperIjLb1EEEEE10hipError_tT1_PNSt15iterator_traitsISG_E10value_typeET2_T3_PNSH_ISM_E10value_typeET4_T5_PSR_SS_PNS1_23onesweep_lookback_stateEbbT6_jjT7_P12ihipStream_tbENKUlT_T0_SG_SL_E_clISA_PiSB_PsEEDaSZ_S10_SG_SL_EUlSZ_E_NS1_11comp_targetILNS1_3genE5ELNS1_11target_archE942ELNS1_3gpuE9ELNS1_3repE0EEENS1_47radix_sort_onesweep_sort_config_static_selectorELNS0_4arch9wavefront6targetE1EEEvSG_.private_seg_size, 0
	.set _ZN7rocprim17ROCPRIM_400000_NS6detail17trampoline_kernelINS0_14default_configENS1_35radix_sort_onesweep_config_selectorIisEEZZNS1_29radix_sort_onesweep_iterationIS3_Lb0EN6thrust23THRUST_200600_302600_NS10device_ptrIiEESA_NS9_IsEESB_jNS0_19identity_decomposerENS1_16block_id_wrapperIjLb1EEEEE10hipError_tT1_PNSt15iterator_traitsISG_E10value_typeET2_T3_PNSH_ISM_E10value_typeET4_T5_PSR_SS_PNS1_23onesweep_lookback_stateEbbT6_jjT7_P12ihipStream_tbENKUlT_T0_SG_SL_E_clISA_PiSB_PsEEDaSZ_S10_SG_SL_EUlSZ_E_NS1_11comp_targetILNS1_3genE5ELNS1_11target_archE942ELNS1_3gpuE9ELNS1_3repE0EEENS1_47radix_sort_onesweep_sort_config_static_selectorELNS0_4arch9wavefront6targetE1EEEvSG_.uses_vcc, 0
	.set _ZN7rocprim17ROCPRIM_400000_NS6detail17trampoline_kernelINS0_14default_configENS1_35radix_sort_onesweep_config_selectorIisEEZZNS1_29radix_sort_onesweep_iterationIS3_Lb0EN6thrust23THRUST_200600_302600_NS10device_ptrIiEESA_NS9_IsEESB_jNS0_19identity_decomposerENS1_16block_id_wrapperIjLb1EEEEE10hipError_tT1_PNSt15iterator_traitsISG_E10value_typeET2_T3_PNSH_ISM_E10value_typeET4_T5_PSR_SS_PNS1_23onesweep_lookback_stateEbbT6_jjT7_P12ihipStream_tbENKUlT_T0_SG_SL_E_clISA_PiSB_PsEEDaSZ_S10_SG_SL_EUlSZ_E_NS1_11comp_targetILNS1_3genE5ELNS1_11target_archE942ELNS1_3gpuE9ELNS1_3repE0EEENS1_47radix_sort_onesweep_sort_config_static_selectorELNS0_4arch9wavefront6targetE1EEEvSG_.uses_flat_scratch, 0
	.set _ZN7rocprim17ROCPRIM_400000_NS6detail17trampoline_kernelINS0_14default_configENS1_35radix_sort_onesweep_config_selectorIisEEZZNS1_29radix_sort_onesweep_iterationIS3_Lb0EN6thrust23THRUST_200600_302600_NS10device_ptrIiEESA_NS9_IsEESB_jNS0_19identity_decomposerENS1_16block_id_wrapperIjLb1EEEEE10hipError_tT1_PNSt15iterator_traitsISG_E10value_typeET2_T3_PNSH_ISM_E10value_typeET4_T5_PSR_SS_PNS1_23onesweep_lookback_stateEbbT6_jjT7_P12ihipStream_tbENKUlT_T0_SG_SL_E_clISA_PiSB_PsEEDaSZ_S10_SG_SL_EUlSZ_E_NS1_11comp_targetILNS1_3genE5ELNS1_11target_archE942ELNS1_3gpuE9ELNS1_3repE0EEENS1_47radix_sort_onesweep_sort_config_static_selectorELNS0_4arch9wavefront6targetE1EEEvSG_.has_dyn_sized_stack, 0
	.set _ZN7rocprim17ROCPRIM_400000_NS6detail17trampoline_kernelINS0_14default_configENS1_35radix_sort_onesweep_config_selectorIisEEZZNS1_29radix_sort_onesweep_iterationIS3_Lb0EN6thrust23THRUST_200600_302600_NS10device_ptrIiEESA_NS9_IsEESB_jNS0_19identity_decomposerENS1_16block_id_wrapperIjLb1EEEEE10hipError_tT1_PNSt15iterator_traitsISG_E10value_typeET2_T3_PNSH_ISM_E10value_typeET4_T5_PSR_SS_PNS1_23onesweep_lookback_stateEbbT6_jjT7_P12ihipStream_tbENKUlT_T0_SG_SL_E_clISA_PiSB_PsEEDaSZ_S10_SG_SL_EUlSZ_E_NS1_11comp_targetILNS1_3genE5ELNS1_11target_archE942ELNS1_3gpuE9ELNS1_3repE0EEENS1_47radix_sort_onesweep_sort_config_static_selectorELNS0_4arch9wavefront6targetE1EEEvSG_.has_recursion, 0
	.set _ZN7rocprim17ROCPRIM_400000_NS6detail17trampoline_kernelINS0_14default_configENS1_35radix_sort_onesweep_config_selectorIisEEZZNS1_29radix_sort_onesweep_iterationIS3_Lb0EN6thrust23THRUST_200600_302600_NS10device_ptrIiEESA_NS9_IsEESB_jNS0_19identity_decomposerENS1_16block_id_wrapperIjLb1EEEEE10hipError_tT1_PNSt15iterator_traitsISG_E10value_typeET2_T3_PNSH_ISM_E10value_typeET4_T5_PSR_SS_PNS1_23onesweep_lookback_stateEbbT6_jjT7_P12ihipStream_tbENKUlT_T0_SG_SL_E_clISA_PiSB_PsEEDaSZ_S10_SG_SL_EUlSZ_E_NS1_11comp_targetILNS1_3genE5ELNS1_11target_archE942ELNS1_3gpuE9ELNS1_3repE0EEENS1_47radix_sort_onesweep_sort_config_static_selectorELNS0_4arch9wavefront6targetE1EEEvSG_.has_indirect_call, 0
	.section	.AMDGPU.csdata,"",@progbits
; Kernel info:
; codeLenInByte = 0
; TotalNumSgprs: 6
; NumVgprs: 0
; NumAgprs: 0
; TotalNumVgprs: 0
; ScratchSize: 0
; MemoryBound: 0
; FloatMode: 240
; IeeeMode: 1
; LDSByteSize: 0 bytes/workgroup (compile time only)
; SGPRBlocks: 0
; VGPRBlocks: 0
; NumSGPRsForWavesPerEU: 6
; NumVGPRsForWavesPerEU: 1
; AccumOffset: 4
; Occupancy: 8
; WaveLimiterHint : 0
; COMPUTE_PGM_RSRC2:SCRATCH_EN: 0
; COMPUTE_PGM_RSRC2:USER_SGPR: 2
; COMPUTE_PGM_RSRC2:TRAP_HANDLER: 0
; COMPUTE_PGM_RSRC2:TGID_X_EN: 1
; COMPUTE_PGM_RSRC2:TGID_Y_EN: 0
; COMPUTE_PGM_RSRC2:TGID_Z_EN: 0
; COMPUTE_PGM_RSRC2:TIDIG_COMP_CNT: 0
; COMPUTE_PGM_RSRC3_GFX90A:ACCUM_OFFSET: 0
; COMPUTE_PGM_RSRC3_GFX90A:TG_SPLIT: 0
	.section	.text._ZN7rocprim17ROCPRIM_400000_NS6detail17trampoline_kernelINS0_14default_configENS1_35radix_sort_onesweep_config_selectorIisEEZZNS1_29radix_sort_onesweep_iterationIS3_Lb0EN6thrust23THRUST_200600_302600_NS10device_ptrIiEESA_NS9_IsEESB_jNS0_19identity_decomposerENS1_16block_id_wrapperIjLb1EEEEE10hipError_tT1_PNSt15iterator_traitsISG_E10value_typeET2_T3_PNSH_ISM_E10value_typeET4_T5_PSR_SS_PNS1_23onesweep_lookback_stateEbbT6_jjT7_P12ihipStream_tbENKUlT_T0_SG_SL_E_clISA_PiSB_PsEEDaSZ_S10_SG_SL_EUlSZ_E_NS1_11comp_targetILNS1_3genE2ELNS1_11target_archE906ELNS1_3gpuE6ELNS1_3repE0EEENS1_47radix_sort_onesweep_sort_config_static_selectorELNS0_4arch9wavefront6targetE1EEEvSG_,"axG",@progbits,_ZN7rocprim17ROCPRIM_400000_NS6detail17trampoline_kernelINS0_14default_configENS1_35radix_sort_onesweep_config_selectorIisEEZZNS1_29radix_sort_onesweep_iterationIS3_Lb0EN6thrust23THRUST_200600_302600_NS10device_ptrIiEESA_NS9_IsEESB_jNS0_19identity_decomposerENS1_16block_id_wrapperIjLb1EEEEE10hipError_tT1_PNSt15iterator_traitsISG_E10value_typeET2_T3_PNSH_ISM_E10value_typeET4_T5_PSR_SS_PNS1_23onesweep_lookback_stateEbbT6_jjT7_P12ihipStream_tbENKUlT_T0_SG_SL_E_clISA_PiSB_PsEEDaSZ_S10_SG_SL_EUlSZ_E_NS1_11comp_targetILNS1_3genE2ELNS1_11target_archE906ELNS1_3gpuE6ELNS1_3repE0EEENS1_47radix_sort_onesweep_sort_config_static_selectorELNS0_4arch9wavefront6targetE1EEEvSG_,comdat
	.protected	_ZN7rocprim17ROCPRIM_400000_NS6detail17trampoline_kernelINS0_14default_configENS1_35radix_sort_onesweep_config_selectorIisEEZZNS1_29radix_sort_onesweep_iterationIS3_Lb0EN6thrust23THRUST_200600_302600_NS10device_ptrIiEESA_NS9_IsEESB_jNS0_19identity_decomposerENS1_16block_id_wrapperIjLb1EEEEE10hipError_tT1_PNSt15iterator_traitsISG_E10value_typeET2_T3_PNSH_ISM_E10value_typeET4_T5_PSR_SS_PNS1_23onesweep_lookback_stateEbbT6_jjT7_P12ihipStream_tbENKUlT_T0_SG_SL_E_clISA_PiSB_PsEEDaSZ_S10_SG_SL_EUlSZ_E_NS1_11comp_targetILNS1_3genE2ELNS1_11target_archE906ELNS1_3gpuE6ELNS1_3repE0EEENS1_47radix_sort_onesweep_sort_config_static_selectorELNS0_4arch9wavefront6targetE1EEEvSG_ ; -- Begin function _ZN7rocprim17ROCPRIM_400000_NS6detail17trampoline_kernelINS0_14default_configENS1_35radix_sort_onesweep_config_selectorIisEEZZNS1_29radix_sort_onesweep_iterationIS3_Lb0EN6thrust23THRUST_200600_302600_NS10device_ptrIiEESA_NS9_IsEESB_jNS0_19identity_decomposerENS1_16block_id_wrapperIjLb1EEEEE10hipError_tT1_PNSt15iterator_traitsISG_E10value_typeET2_T3_PNSH_ISM_E10value_typeET4_T5_PSR_SS_PNS1_23onesweep_lookback_stateEbbT6_jjT7_P12ihipStream_tbENKUlT_T0_SG_SL_E_clISA_PiSB_PsEEDaSZ_S10_SG_SL_EUlSZ_E_NS1_11comp_targetILNS1_3genE2ELNS1_11target_archE906ELNS1_3gpuE6ELNS1_3repE0EEENS1_47radix_sort_onesweep_sort_config_static_selectorELNS0_4arch9wavefront6targetE1EEEvSG_
	.globl	_ZN7rocprim17ROCPRIM_400000_NS6detail17trampoline_kernelINS0_14default_configENS1_35radix_sort_onesweep_config_selectorIisEEZZNS1_29radix_sort_onesweep_iterationIS3_Lb0EN6thrust23THRUST_200600_302600_NS10device_ptrIiEESA_NS9_IsEESB_jNS0_19identity_decomposerENS1_16block_id_wrapperIjLb1EEEEE10hipError_tT1_PNSt15iterator_traitsISG_E10value_typeET2_T3_PNSH_ISM_E10value_typeET4_T5_PSR_SS_PNS1_23onesweep_lookback_stateEbbT6_jjT7_P12ihipStream_tbENKUlT_T0_SG_SL_E_clISA_PiSB_PsEEDaSZ_S10_SG_SL_EUlSZ_E_NS1_11comp_targetILNS1_3genE2ELNS1_11target_archE906ELNS1_3gpuE6ELNS1_3repE0EEENS1_47radix_sort_onesweep_sort_config_static_selectorELNS0_4arch9wavefront6targetE1EEEvSG_
	.p2align	8
	.type	_ZN7rocprim17ROCPRIM_400000_NS6detail17trampoline_kernelINS0_14default_configENS1_35radix_sort_onesweep_config_selectorIisEEZZNS1_29radix_sort_onesweep_iterationIS3_Lb0EN6thrust23THRUST_200600_302600_NS10device_ptrIiEESA_NS9_IsEESB_jNS0_19identity_decomposerENS1_16block_id_wrapperIjLb1EEEEE10hipError_tT1_PNSt15iterator_traitsISG_E10value_typeET2_T3_PNSH_ISM_E10value_typeET4_T5_PSR_SS_PNS1_23onesweep_lookback_stateEbbT6_jjT7_P12ihipStream_tbENKUlT_T0_SG_SL_E_clISA_PiSB_PsEEDaSZ_S10_SG_SL_EUlSZ_E_NS1_11comp_targetILNS1_3genE2ELNS1_11target_archE906ELNS1_3gpuE6ELNS1_3repE0EEENS1_47radix_sort_onesweep_sort_config_static_selectorELNS0_4arch9wavefront6targetE1EEEvSG_,@function
_ZN7rocprim17ROCPRIM_400000_NS6detail17trampoline_kernelINS0_14default_configENS1_35radix_sort_onesweep_config_selectorIisEEZZNS1_29radix_sort_onesweep_iterationIS3_Lb0EN6thrust23THRUST_200600_302600_NS10device_ptrIiEESA_NS9_IsEESB_jNS0_19identity_decomposerENS1_16block_id_wrapperIjLb1EEEEE10hipError_tT1_PNSt15iterator_traitsISG_E10value_typeET2_T3_PNSH_ISM_E10value_typeET4_T5_PSR_SS_PNS1_23onesweep_lookback_stateEbbT6_jjT7_P12ihipStream_tbENKUlT_T0_SG_SL_E_clISA_PiSB_PsEEDaSZ_S10_SG_SL_EUlSZ_E_NS1_11comp_targetILNS1_3genE2ELNS1_11target_archE906ELNS1_3gpuE6ELNS1_3repE0EEENS1_47radix_sort_onesweep_sort_config_static_selectorELNS0_4arch9wavefront6targetE1EEEvSG_: ; @_ZN7rocprim17ROCPRIM_400000_NS6detail17trampoline_kernelINS0_14default_configENS1_35radix_sort_onesweep_config_selectorIisEEZZNS1_29radix_sort_onesweep_iterationIS3_Lb0EN6thrust23THRUST_200600_302600_NS10device_ptrIiEESA_NS9_IsEESB_jNS0_19identity_decomposerENS1_16block_id_wrapperIjLb1EEEEE10hipError_tT1_PNSt15iterator_traitsISG_E10value_typeET2_T3_PNSH_ISM_E10value_typeET4_T5_PSR_SS_PNS1_23onesweep_lookback_stateEbbT6_jjT7_P12ihipStream_tbENKUlT_T0_SG_SL_E_clISA_PiSB_PsEEDaSZ_S10_SG_SL_EUlSZ_E_NS1_11comp_targetILNS1_3genE2ELNS1_11target_archE906ELNS1_3gpuE6ELNS1_3repE0EEENS1_47radix_sort_onesweep_sort_config_static_selectorELNS0_4arch9wavefront6targetE1EEEvSG_
; %bb.0:
	.section	.rodata,"a",@progbits
	.p2align	6, 0x0
	.amdhsa_kernel _ZN7rocprim17ROCPRIM_400000_NS6detail17trampoline_kernelINS0_14default_configENS1_35radix_sort_onesweep_config_selectorIisEEZZNS1_29radix_sort_onesweep_iterationIS3_Lb0EN6thrust23THRUST_200600_302600_NS10device_ptrIiEESA_NS9_IsEESB_jNS0_19identity_decomposerENS1_16block_id_wrapperIjLb1EEEEE10hipError_tT1_PNSt15iterator_traitsISG_E10value_typeET2_T3_PNSH_ISM_E10value_typeET4_T5_PSR_SS_PNS1_23onesweep_lookback_stateEbbT6_jjT7_P12ihipStream_tbENKUlT_T0_SG_SL_E_clISA_PiSB_PsEEDaSZ_S10_SG_SL_EUlSZ_E_NS1_11comp_targetILNS1_3genE2ELNS1_11target_archE906ELNS1_3gpuE6ELNS1_3repE0EEENS1_47radix_sort_onesweep_sort_config_static_selectorELNS0_4arch9wavefront6targetE1EEEvSG_
		.amdhsa_group_segment_fixed_size 0
		.amdhsa_private_segment_fixed_size 0
		.amdhsa_kernarg_size 88
		.amdhsa_user_sgpr_count 2
		.amdhsa_user_sgpr_dispatch_ptr 0
		.amdhsa_user_sgpr_queue_ptr 0
		.amdhsa_user_sgpr_kernarg_segment_ptr 1
		.amdhsa_user_sgpr_dispatch_id 0
		.amdhsa_user_sgpr_kernarg_preload_length 0
		.amdhsa_user_sgpr_kernarg_preload_offset 0
		.amdhsa_user_sgpr_private_segment_size 0
		.amdhsa_uses_dynamic_stack 0
		.amdhsa_enable_private_segment 0
		.amdhsa_system_sgpr_workgroup_id_x 1
		.amdhsa_system_sgpr_workgroup_id_y 0
		.amdhsa_system_sgpr_workgroup_id_z 0
		.amdhsa_system_sgpr_workgroup_info 0
		.amdhsa_system_vgpr_workitem_id 0
		.amdhsa_next_free_vgpr 1
		.amdhsa_next_free_sgpr 0
		.amdhsa_accum_offset 4
		.amdhsa_reserve_vcc 0
		.amdhsa_float_round_mode_32 0
		.amdhsa_float_round_mode_16_64 0
		.amdhsa_float_denorm_mode_32 3
		.amdhsa_float_denorm_mode_16_64 3
		.amdhsa_dx10_clamp 1
		.amdhsa_ieee_mode 1
		.amdhsa_fp16_overflow 0
		.amdhsa_tg_split 0
		.amdhsa_exception_fp_ieee_invalid_op 0
		.amdhsa_exception_fp_denorm_src 0
		.amdhsa_exception_fp_ieee_div_zero 0
		.amdhsa_exception_fp_ieee_overflow 0
		.amdhsa_exception_fp_ieee_underflow 0
		.amdhsa_exception_fp_ieee_inexact 0
		.amdhsa_exception_int_div_zero 0
	.end_amdhsa_kernel
	.section	.text._ZN7rocprim17ROCPRIM_400000_NS6detail17trampoline_kernelINS0_14default_configENS1_35radix_sort_onesweep_config_selectorIisEEZZNS1_29radix_sort_onesweep_iterationIS3_Lb0EN6thrust23THRUST_200600_302600_NS10device_ptrIiEESA_NS9_IsEESB_jNS0_19identity_decomposerENS1_16block_id_wrapperIjLb1EEEEE10hipError_tT1_PNSt15iterator_traitsISG_E10value_typeET2_T3_PNSH_ISM_E10value_typeET4_T5_PSR_SS_PNS1_23onesweep_lookback_stateEbbT6_jjT7_P12ihipStream_tbENKUlT_T0_SG_SL_E_clISA_PiSB_PsEEDaSZ_S10_SG_SL_EUlSZ_E_NS1_11comp_targetILNS1_3genE2ELNS1_11target_archE906ELNS1_3gpuE6ELNS1_3repE0EEENS1_47radix_sort_onesweep_sort_config_static_selectorELNS0_4arch9wavefront6targetE1EEEvSG_,"axG",@progbits,_ZN7rocprim17ROCPRIM_400000_NS6detail17trampoline_kernelINS0_14default_configENS1_35radix_sort_onesweep_config_selectorIisEEZZNS1_29radix_sort_onesweep_iterationIS3_Lb0EN6thrust23THRUST_200600_302600_NS10device_ptrIiEESA_NS9_IsEESB_jNS0_19identity_decomposerENS1_16block_id_wrapperIjLb1EEEEE10hipError_tT1_PNSt15iterator_traitsISG_E10value_typeET2_T3_PNSH_ISM_E10value_typeET4_T5_PSR_SS_PNS1_23onesweep_lookback_stateEbbT6_jjT7_P12ihipStream_tbENKUlT_T0_SG_SL_E_clISA_PiSB_PsEEDaSZ_S10_SG_SL_EUlSZ_E_NS1_11comp_targetILNS1_3genE2ELNS1_11target_archE906ELNS1_3gpuE6ELNS1_3repE0EEENS1_47radix_sort_onesweep_sort_config_static_selectorELNS0_4arch9wavefront6targetE1EEEvSG_,comdat
.Lfunc_end2452:
	.size	_ZN7rocprim17ROCPRIM_400000_NS6detail17trampoline_kernelINS0_14default_configENS1_35radix_sort_onesweep_config_selectorIisEEZZNS1_29radix_sort_onesweep_iterationIS3_Lb0EN6thrust23THRUST_200600_302600_NS10device_ptrIiEESA_NS9_IsEESB_jNS0_19identity_decomposerENS1_16block_id_wrapperIjLb1EEEEE10hipError_tT1_PNSt15iterator_traitsISG_E10value_typeET2_T3_PNSH_ISM_E10value_typeET4_T5_PSR_SS_PNS1_23onesweep_lookback_stateEbbT6_jjT7_P12ihipStream_tbENKUlT_T0_SG_SL_E_clISA_PiSB_PsEEDaSZ_S10_SG_SL_EUlSZ_E_NS1_11comp_targetILNS1_3genE2ELNS1_11target_archE906ELNS1_3gpuE6ELNS1_3repE0EEENS1_47radix_sort_onesweep_sort_config_static_selectorELNS0_4arch9wavefront6targetE1EEEvSG_, .Lfunc_end2452-_ZN7rocprim17ROCPRIM_400000_NS6detail17trampoline_kernelINS0_14default_configENS1_35radix_sort_onesweep_config_selectorIisEEZZNS1_29radix_sort_onesweep_iterationIS3_Lb0EN6thrust23THRUST_200600_302600_NS10device_ptrIiEESA_NS9_IsEESB_jNS0_19identity_decomposerENS1_16block_id_wrapperIjLb1EEEEE10hipError_tT1_PNSt15iterator_traitsISG_E10value_typeET2_T3_PNSH_ISM_E10value_typeET4_T5_PSR_SS_PNS1_23onesweep_lookback_stateEbbT6_jjT7_P12ihipStream_tbENKUlT_T0_SG_SL_E_clISA_PiSB_PsEEDaSZ_S10_SG_SL_EUlSZ_E_NS1_11comp_targetILNS1_3genE2ELNS1_11target_archE906ELNS1_3gpuE6ELNS1_3repE0EEENS1_47radix_sort_onesweep_sort_config_static_selectorELNS0_4arch9wavefront6targetE1EEEvSG_
                                        ; -- End function
	.set _ZN7rocprim17ROCPRIM_400000_NS6detail17trampoline_kernelINS0_14default_configENS1_35radix_sort_onesweep_config_selectorIisEEZZNS1_29radix_sort_onesweep_iterationIS3_Lb0EN6thrust23THRUST_200600_302600_NS10device_ptrIiEESA_NS9_IsEESB_jNS0_19identity_decomposerENS1_16block_id_wrapperIjLb1EEEEE10hipError_tT1_PNSt15iterator_traitsISG_E10value_typeET2_T3_PNSH_ISM_E10value_typeET4_T5_PSR_SS_PNS1_23onesweep_lookback_stateEbbT6_jjT7_P12ihipStream_tbENKUlT_T0_SG_SL_E_clISA_PiSB_PsEEDaSZ_S10_SG_SL_EUlSZ_E_NS1_11comp_targetILNS1_3genE2ELNS1_11target_archE906ELNS1_3gpuE6ELNS1_3repE0EEENS1_47radix_sort_onesweep_sort_config_static_selectorELNS0_4arch9wavefront6targetE1EEEvSG_.num_vgpr, 0
	.set _ZN7rocprim17ROCPRIM_400000_NS6detail17trampoline_kernelINS0_14default_configENS1_35radix_sort_onesweep_config_selectorIisEEZZNS1_29radix_sort_onesweep_iterationIS3_Lb0EN6thrust23THRUST_200600_302600_NS10device_ptrIiEESA_NS9_IsEESB_jNS0_19identity_decomposerENS1_16block_id_wrapperIjLb1EEEEE10hipError_tT1_PNSt15iterator_traitsISG_E10value_typeET2_T3_PNSH_ISM_E10value_typeET4_T5_PSR_SS_PNS1_23onesweep_lookback_stateEbbT6_jjT7_P12ihipStream_tbENKUlT_T0_SG_SL_E_clISA_PiSB_PsEEDaSZ_S10_SG_SL_EUlSZ_E_NS1_11comp_targetILNS1_3genE2ELNS1_11target_archE906ELNS1_3gpuE6ELNS1_3repE0EEENS1_47radix_sort_onesweep_sort_config_static_selectorELNS0_4arch9wavefront6targetE1EEEvSG_.num_agpr, 0
	.set _ZN7rocprim17ROCPRIM_400000_NS6detail17trampoline_kernelINS0_14default_configENS1_35radix_sort_onesweep_config_selectorIisEEZZNS1_29radix_sort_onesweep_iterationIS3_Lb0EN6thrust23THRUST_200600_302600_NS10device_ptrIiEESA_NS9_IsEESB_jNS0_19identity_decomposerENS1_16block_id_wrapperIjLb1EEEEE10hipError_tT1_PNSt15iterator_traitsISG_E10value_typeET2_T3_PNSH_ISM_E10value_typeET4_T5_PSR_SS_PNS1_23onesweep_lookback_stateEbbT6_jjT7_P12ihipStream_tbENKUlT_T0_SG_SL_E_clISA_PiSB_PsEEDaSZ_S10_SG_SL_EUlSZ_E_NS1_11comp_targetILNS1_3genE2ELNS1_11target_archE906ELNS1_3gpuE6ELNS1_3repE0EEENS1_47radix_sort_onesweep_sort_config_static_selectorELNS0_4arch9wavefront6targetE1EEEvSG_.numbered_sgpr, 0
	.set _ZN7rocprim17ROCPRIM_400000_NS6detail17trampoline_kernelINS0_14default_configENS1_35radix_sort_onesweep_config_selectorIisEEZZNS1_29radix_sort_onesweep_iterationIS3_Lb0EN6thrust23THRUST_200600_302600_NS10device_ptrIiEESA_NS9_IsEESB_jNS0_19identity_decomposerENS1_16block_id_wrapperIjLb1EEEEE10hipError_tT1_PNSt15iterator_traitsISG_E10value_typeET2_T3_PNSH_ISM_E10value_typeET4_T5_PSR_SS_PNS1_23onesweep_lookback_stateEbbT6_jjT7_P12ihipStream_tbENKUlT_T0_SG_SL_E_clISA_PiSB_PsEEDaSZ_S10_SG_SL_EUlSZ_E_NS1_11comp_targetILNS1_3genE2ELNS1_11target_archE906ELNS1_3gpuE6ELNS1_3repE0EEENS1_47radix_sort_onesweep_sort_config_static_selectorELNS0_4arch9wavefront6targetE1EEEvSG_.num_named_barrier, 0
	.set _ZN7rocprim17ROCPRIM_400000_NS6detail17trampoline_kernelINS0_14default_configENS1_35radix_sort_onesweep_config_selectorIisEEZZNS1_29radix_sort_onesweep_iterationIS3_Lb0EN6thrust23THRUST_200600_302600_NS10device_ptrIiEESA_NS9_IsEESB_jNS0_19identity_decomposerENS1_16block_id_wrapperIjLb1EEEEE10hipError_tT1_PNSt15iterator_traitsISG_E10value_typeET2_T3_PNSH_ISM_E10value_typeET4_T5_PSR_SS_PNS1_23onesweep_lookback_stateEbbT6_jjT7_P12ihipStream_tbENKUlT_T0_SG_SL_E_clISA_PiSB_PsEEDaSZ_S10_SG_SL_EUlSZ_E_NS1_11comp_targetILNS1_3genE2ELNS1_11target_archE906ELNS1_3gpuE6ELNS1_3repE0EEENS1_47radix_sort_onesweep_sort_config_static_selectorELNS0_4arch9wavefront6targetE1EEEvSG_.private_seg_size, 0
	.set _ZN7rocprim17ROCPRIM_400000_NS6detail17trampoline_kernelINS0_14default_configENS1_35radix_sort_onesweep_config_selectorIisEEZZNS1_29radix_sort_onesweep_iterationIS3_Lb0EN6thrust23THRUST_200600_302600_NS10device_ptrIiEESA_NS9_IsEESB_jNS0_19identity_decomposerENS1_16block_id_wrapperIjLb1EEEEE10hipError_tT1_PNSt15iterator_traitsISG_E10value_typeET2_T3_PNSH_ISM_E10value_typeET4_T5_PSR_SS_PNS1_23onesweep_lookback_stateEbbT6_jjT7_P12ihipStream_tbENKUlT_T0_SG_SL_E_clISA_PiSB_PsEEDaSZ_S10_SG_SL_EUlSZ_E_NS1_11comp_targetILNS1_3genE2ELNS1_11target_archE906ELNS1_3gpuE6ELNS1_3repE0EEENS1_47radix_sort_onesweep_sort_config_static_selectorELNS0_4arch9wavefront6targetE1EEEvSG_.uses_vcc, 0
	.set _ZN7rocprim17ROCPRIM_400000_NS6detail17trampoline_kernelINS0_14default_configENS1_35radix_sort_onesweep_config_selectorIisEEZZNS1_29radix_sort_onesweep_iterationIS3_Lb0EN6thrust23THRUST_200600_302600_NS10device_ptrIiEESA_NS9_IsEESB_jNS0_19identity_decomposerENS1_16block_id_wrapperIjLb1EEEEE10hipError_tT1_PNSt15iterator_traitsISG_E10value_typeET2_T3_PNSH_ISM_E10value_typeET4_T5_PSR_SS_PNS1_23onesweep_lookback_stateEbbT6_jjT7_P12ihipStream_tbENKUlT_T0_SG_SL_E_clISA_PiSB_PsEEDaSZ_S10_SG_SL_EUlSZ_E_NS1_11comp_targetILNS1_3genE2ELNS1_11target_archE906ELNS1_3gpuE6ELNS1_3repE0EEENS1_47radix_sort_onesweep_sort_config_static_selectorELNS0_4arch9wavefront6targetE1EEEvSG_.uses_flat_scratch, 0
	.set _ZN7rocprim17ROCPRIM_400000_NS6detail17trampoline_kernelINS0_14default_configENS1_35radix_sort_onesweep_config_selectorIisEEZZNS1_29radix_sort_onesweep_iterationIS3_Lb0EN6thrust23THRUST_200600_302600_NS10device_ptrIiEESA_NS9_IsEESB_jNS0_19identity_decomposerENS1_16block_id_wrapperIjLb1EEEEE10hipError_tT1_PNSt15iterator_traitsISG_E10value_typeET2_T3_PNSH_ISM_E10value_typeET4_T5_PSR_SS_PNS1_23onesweep_lookback_stateEbbT6_jjT7_P12ihipStream_tbENKUlT_T0_SG_SL_E_clISA_PiSB_PsEEDaSZ_S10_SG_SL_EUlSZ_E_NS1_11comp_targetILNS1_3genE2ELNS1_11target_archE906ELNS1_3gpuE6ELNS1_3repE0EEENS1_47radix_sort_onesweep_sort_config_static_selectorELNS0_4arch9wavefront6targetE1EEEvSG_.has_dyn_sized_stack, 0
	.set _ZN7rocprim17ROCPRIM_400000_NS6detail17trampoline_kernelINS0_14default_configENS1_35radix_sort_onesweep_config_selectorIisEEZZNS1_29radix_sort_onesweep_iterationIS3_Lb0EN6thrust23THRUST_200600_302600_NS10device_ptrIiEESA_NS9_IsEESB_jNS0_19identity_decomposerENS1_16block_id_wrapperIjLb1EEEEE10hipError_tT1_PNSt15iterator_traitsISG_E10value_typeET2_T3_PNSH_ISM_E10value_typeET4_T5_PSR_SS_PNS1_23onesweep_lookback_stateEbbT6_jjT7_P12ihipStream_tbENKUlT_T0_SG_SL_E_clISA_PiSB_PsEEDaSZ_S10_SG_SL_EUlSZ_E_NS1_11comp_targetILNS1_3genE2ELNS1_11target_archE906ELNS1_3gpuE6ELNS1_3repE0EEENS1_47radix_sort_onesweep_sort_config_static_selectorELNS0_4arch9wavefront6targetE1EEEvSG_.has_recursion, 0
	.set _ZN7rocprim17ROCPRIM_400000_NS6detail17trampoline_kernelINS0_14default_configENS1_35radix_sort_onesweep_config_selectorIisEEZZNS1_29radix_sort_onesweep_iterationIS3_Lb0EN6thrust23THRUST_200600_302600_NS10device_ptrIiEESA_NS9_IsEESB_jNS0_19identity_decomposerENS1_16block_id_wrapperIjLb1EEEEE10hipError_tT1_PNSt15iterator_traitsISG_E10value_typeET2_T3_PNSH_ISM_E10value_typeET4_T5_PSR_SS_PNS1_23onesweep_lookback_stateEbbT6_jjT7_P12ihipStream_tbENKUlT_T0_SG_SL_E_clISA_PiSB_PsEEDaSZ_S10_SG_SL_EUlSZ_E_NS1_11comp_targetILNS1_3genE2ELNS1_11target_archE906ELNS1_3gpuE6ELNS1_3repE0EEENS1_47radix_sort_onesweep_sort_config_static_selectorELNS0_4arch9wavefront6targetE1EEEvSG_.has_indirect_call, 0
	.section	.AMDGPU.csdata,"",@progbits
; Kernel info:
; codeLenInByte = 0
; TotalNumSgprs: 6
; NumVgprs: 0
; NumAgprs: 0
; TotalNumVgprs: 0
; ScratchSize: 0
; MemoryBound: 0
; FloatMode: 240
; IeeeMode: 1
; LDSByteSize: 0 bytes/workgroup (compile time only)
; SGPRBlocks: 0
; VGPRBlocks: 0
; NumSGPRsForWavesPerEU: 6
; NumVGPRsForWavesPerEU: 1
; AccumOffset: 4
; Occupancy: 8
; WaveLimiterHint : 0
; COMPUTE_PGM_RSRC2:SCRATCH_EN: 0
; COMPUTE_PGM_RSRC2:USER_SGPR: 2
; COMPUTE_PGM_RSRC2:TRAP_HANDLER: 0
; COMPUTE_PGM_RSRC2:TGID_X_EN: 1
; COMPUTE_PGM_RSRC2:TGID_Y_EN: 0
; COMPUTE_PGM_RSRC2:TGID_Z_EN: 0
; COMPUTE_PGM_RSRC2:TIDIG_COMP_CNT: 0
; COMPUTE_PGM_RSRC3_GFX90A:ACCUM_OFFSET: 0
; COMPUTE_PGM_RSRC3_GFX90A:TG_SPLIT: 0
	.section	.text._ZN7rocprim17ROCPRIM_400000_NS6detail17trampoline_kernelINS0_14default_configENS1_35radix_sort_onesweep_config_selectorIisEEZZNS1_29radix_sort_onesweep_iterationIS3_Lb0EN6thrust23THRUST_200600_302600_NS10device_ptrIiEESA_NS9_IsEESB_jNS0_19identity_decomposerENS1_16block_id_wrapperIjLb1EEEEE10hipError_tT1_PNSt15iterator_traitsISG_E10value_typeET2_T3_PNSH_ISM_E10value_typeET4_T5_PSR_SS_PNS1_23onesweep_lookback_stateEbbT6_jjT7_P12ihipStream_tbENKUlT_T0_SG_SL_E_clISA_PiSB_PsEEDaSZ_S10_SG_SL_EUlSZ_E_NS1_11comp_targetILNS1_3genE4ELNS1_11target_archE910ELNS1_3gpuE8ELNS1_3repE0EEENS1_47radix_sort_onesweep_sort_config_static_selectorELNS0_4arch9wavefront6targetE1EEEvSG_,"axG",@progbits,_ZN7rocprim17ROCPRIM_400000_NS6detail17trampoline_kernelINS0_14default_configENS1_35radix_sort_onesweep_config_selectorIisEEZZNS1_29radix_sort_onesweep_iterationIS3_Lb0EN6thrust23THRUST_200600_302600_NS10device_ptrIiEESA_NS9_IsEESB_jNS0_19identity_decomposerENS1_16block_id_wrapperIjLb1EEEEE10hipError_tT1_PNSt15iterator_traitsISG_E10value_typeET2_T3_PNSH_ISM_E10value_typeET4_T5_PSR_SS_PNS1_23onesweep_lookback_stateEbbT6_jjT7_P12ihipStream_tbENKUlT_T0_SG_SL_E_clISA_PiSB_PsEEDaSZ_S10_SG_SL_EUlSZ_E_NS1_11comp_targetILNS1_3genE4ELNS1_11target_archE910ELNS1_3gpuE8ELNS1_3repE0EEENS1_47radix_sort_onesweep_sort_config_static_selectorELNS0_4arch9wavefront6targetE1EEEvSG_,comdat
	.protected	_ZN7rocprim17ROCPRIM_400000_NS6detail17trampoline_kernelINS0_14default_configENS1_35radix_sort_onesweep_config_selectorIisEEZZNS1_29radix_sort_onesweep_iterationIS3_Lb0EN6thrust23THRUST_200600_302600_NS10device_ptrIiEESA_NS9_IsEESB_jNS0_19identity_decomposerENS1_16block_id_wrapperIjLb1EEEEE10hipError_tT1_PNSt15iterator_traitsISG_E10value_typeET2_T3_PNSH_ISM_E10value_typeET4_T5_PSR_SS_PNS1_23onesweep_lookback_stateEbbT6_jjT7_P12ihipStream_tbENKUlT_T0_SG_SL_E_clISA_PiSB_PsEEDaSZ_S10_SG_SL_EUlSZ_E_NS1_11comp_targetILNS1_3genE4ELNS1_11target_archE910ELNS1_3gpuE8ELNS1_3repE0EEENS1_47radix_sort_onesweep_sort_config_static_selectorELNS0_4arch9wavefront6targetE1EEEvSG_ ; -- Begin function _ZN7rocprim17ROCPRIM_400000_NS6detail17trampoline_kernelINS0_14default_configENS1_35radix_sort_onesweep_config_selectorIisEEZZNS1_29radix_sort_onesweep_iterationIS3_Lb0EN6thrust23THRUST_200600_302600_NS10device_ptrIiEESA_NS9_IsEESB_jNS0_19identity_decomposerENS1_16block_id_wrapperIjLb1EEEEE10hipError_tT1_PNSt15iterator_traitsISG_E10value_typeET2_T3_PNSH_ISM_E10value_typeET4_T5_PSR_SS_PNS1_23onesweep_lookback_stateEbbT6_jjT7_P12ihipStream_tbENKUlT_T0_SG_SL_E_clISA_PiSB_PsEEDaSZ_S10_SG_SL_EUlSZ_E_NS1_11comp_targetILNS1_3genE4ELNS1_11target_archE910ELNS1_3gpuE8ELNS1_3repE0EEENS1_47radix_sort_onesweep_sort_config_static_selectorELNS0_4arch9wavefront6targetE1EEEvSG_
	.globl	_ZN7rocprim17ROCPRIM_400000_NS6detail17trampoline_kernelINS0_14default_configENS1_35radix_sort_onesweep_config_selectorIisEEZZNS1_29radix_sort_onesweep_iterationIS3_Lb0EN6thrust23THRUST_200600_302600_NS10device_ptrIiEESA_NS9_IsEESB_jNS0_19identity_decomposerENS1_16block_id_wrapperIjLb1EEEEE10hipError_tT1_PNSt15iterator_traitsISG_E10value_typeET2_T3_PNSH_ISM_E10value_typeET4_T5_PSR_SS_PNS1_23onesweep_lookback_stateEbbT6_jjT7_P12ihipStream_tbENKUlT_T0_SG_SL_E_clISA_PiSB_PsEEDaSZ_S10_SG_SL_EUlSZ_E_NS1_11comp_targetILNS1_3genE4ELNS1_11target_archE910ELNS1_3gpuE8ELNS1_3repE0EEENS1_47radix_sort_onesweep_sort_config_static_selectorELNS0_4arch9wavefront6targetE1EEEvSG_
	.p2align	8
	.type	_ZN7rocprim17ROCPRIM_400000_NS6detail17trampoline_kernelINS0_14default_configENS1_35radix_sort_onesweep_config_selectorIisEEZZNS1_29radix_sort_onesweep_iterationIS3_Lb0EN6thrust23THRUST_200600_302600_NS10device_ptrIiEESA_NS9_IsEESB_jNS0_19identity_decomposerENS1_16block_id_wrapperIjLb1EEEEE10hipError_tT1_PNSt15iterator_traitsISG_E10value_typeET2_T3_PNSH_ISM_E10value_typeET4_T5_PSR_SS_PNS1_23onesweep_lookback_stateEbbT6_jjT7_P12ihipStream_tbENKUlT_T0_SG_SL_E_clISA_PiSB_PsEEDaSZ_S10_SG_SL_EUlSZ_E_NS1_11comp_targetILNS1_3genE4ELNS1_11target_archE910ELNS1_3gpuE8ELNS1_3repE0EEENS1_47radix_sort_onesweep_sort_config_static_selectorELNS0_4arch9wavefront6targetE1EEEvSG_,@function
_ZN7rocprim17ROCPRIM_400000_NS6detail17trampoline_kernelINS0_14default_configENS1_35radix_sort_onesweep_config_selectorIisEEZZNS1_29radix_sort_onesweep_iterationIS3_Lb0EN6thrust23THRUST_200600_302600_NS10device_ptrIiEESA_NS9_IsEESB_jNS0_19identity_decomposerENS1_16block_id_wrapperIjLb1EEEEE10hipError_tT1_PNSt15iterator_traitsISG_E10value_typeET2_T3_PNSH_ISM_E10value_typeET4_T5_PSR_SS_PNS1_23onesweep_lookback_stateEbbT6_jjT7_P12ihipStream_tbENKUlT_T0_SG_SL_E_clISA_PiSB_PsEEDaSZ_S10_SG_SL_EUlSZ_E_NS1_11comp_targetILNS1_3genE4ELNS1_11target_archE910ELNS1_3gpuE8ELNS1_3repE0EEENS1_47radix_sort_onesweep_sort_config_static_selectorELNS0_4arch9wavefront6targetE1EEEvSG_: ; @_ZN7rocprim17ROCPRIM_400000_NS6detail17trampoline_kernelINS0_14default_configENS1_35radix_sort_onesweep_config_selectorIisEEZZNS1_29radix_sort_onesweep_iterationIS3_Lb0EN6thrust23THRUST_200600_302600_NS10device_ptrIiEESA_NS9_IsEESB_jNS0_19identity_decomposerENS1_16block_id_wrapperIjLb1EEEEE10hipError_tT1_PNSt15iterator_traitsISG_E10value_typeET2_T3_PNSH_ISM_E10value_typeET4_T5_PSR_SS_PNS1_23onesweep_lookback_stateEbbT6_jjT7_P12ihipStream_tbENKUlT_T0_SG_SL_E_clISA_PiSB_PsEEDaSZ_S10_SG_SL_EUlSZ_E_NS1_11comp_targetILNS1_3genE4ELNS1_11target_archE910ELNS1_3gpuE8ELNS1_3repE0EEENS1_47radix_sort_onesweep_sort_config_static_selectorELNS0_4arch9wavefront6targetE1EEEvSG_
; %bb.0:
	.section	.rodata,"a",@progbits
	.p2align	6, 0x0
	.amdhsa_kernel _ZN7rocprim17ROCPRIM_400000_NS6detail17trampoline_kernelINS0_14default_configENS1_35radix_sort_onesweep_config_selectorIisEEZZNS1_29radix_sort_onesweep_iterationIS3_Lb0EN6thrust23THRUST_200600_302600_NS10device_ptrIiEESA_NS9_IsEESB_jNS0_19identity_decomposerENS1_16block_id_wrapperIjLb1EEEEE10hipError_tT1_PNSt15iterator_traitsISG_E10value_typeET2_T3_PNSH_ISM_E10value_typeET4_T5_PSR_SS_PNS1_23onesweep_lookback_stateEbbT6_jjT7_P12ihipStream_tbENKUlT_T0_SG_SL_E_clISA_PiSB_PsEEDaSZ_S10_SG_SL_EUlSZ_E_NS1_11comp_targetILNS1_3genE4ELNS1_11target_archE910ELNS1_3gpuE8ELNS1_3repE0EEENS1_47radix_sort_onesweep_sort_config_static_selectorELNS0_4arch9wavefront6targetE1EEEvSG_
		.amdhsa_group_segment_fixed_size 0
		.amdhsa_private_segment_fixed_size 0
		.amdhsa_kernarg_size 88
		.amdhsa_user_sgpr_count 2
		.amdhsa_user_sgpr_dispatch_ptr 0
		.amdhsa_user_sgpr_queue_ptr 0
		.amdhsa_user_sgpr_kernarg_segment_ptr 1
		.amdhsa_user_sgpr_dispatch_id 0
		.amdhsa_user_sgpr_kernarg_preload_length 0
		.amdhsa_user_sgpr_kernarg_preload_offset 0
		.amdhsa_user_sgpr_private_segment_size 0
		.amdhsa_uses_dynamic_stack 0
		.amdhsa_enable_private_segment 0
		.amdhsa_system_sgpr_workgroup_id_x 1
		.amdhsa_system_sgpr_workgroup_id_y 0
		.amdhsa_system_sgpr_workgroup_id_z 0
		.amdhsa_system_sgpr_workgroup_info 0
		.amdhsa_system_vgpr_workitem_id 0
		.amdhsa_next_free_vgpr 1
		.amdhsa_next_free_sgpr 0
		.amdhsa_accum_offset 4
		.amdhsa_reserve_vcc 0
		.amdhsa_float_round_mode_32 0
		.amdhsa_float_round_mode_16_64 0
		.amdhsa_float_denorm_mode_32 3
		.amdhsa_float_denorm_mode_16_64 3
		.amdhsa_dx10_clamp 1
		.amdhsa_ieee_mode 1
		.amdhsa_fp16_overflow 0
		.amdhsa_tg_split 0
		.amdhsa_exception_fp_ieee_invalid_op 0
		.amdhsa_exception_fp_denorm_src 0
		.amdhsa_exception_fp_ieee_div_zero 0
		.amdhsa_exception_fp_ieee_overflow 0
		.amdhsa_exception_fp_ieee_underflow 0
		.amdhsa_exception_fp_ieee_inexact 0
		.amdhsa_exception_int_div_zero 0
	.end_amdhsa_kernel
	.section	.text._ZN7rocprim17ROCPRIM_400000_NS6detail17trampoline_kernelINS0_14default_configENS1_35radix_sort_onesweep_config_selectorIisEEZZNS1_29radix_sort_onesweep_iterationIS3_Lb0EN6thrust23THRUST_200600_302600_NS10device_ptrIiEESA_NS9_IsEESB_jNS0_19identity_decomposerENS1_16block_id_wrapperIjLb1EEEEE10hipError_tT1_PNSt15iterator_traitsISG_E10value_typeET2_T3_PNSH_ISM_E10value_typeET4_T5_PSR_SS_PNS1_23onesweep_lookback_stateEbbT6_jjT7_P12ihipStream_tbENKUlT_T0_SG_SL_E_clISA_PiSB_PsEEDaSZ_S10_SG_SL_EUlSZ_E_NS1_11comp_targetILNS1_3genE4ELNS1_11target_archE910ELNS1_3gpuE8ELNS1_3repE0EEENS1_47radix_sort_onesweep_sort_config_static_selectorELNS0_4arch9wavefront6targetE1EEEvSG_,"axG",@progbits,_ZN7rocprim17ROCPRIM_400000_NS6detail17trampoline_kernelINS0_14default_configENS1_35radix_sort_onesweep_config_selectorIisEEZZNS1_29radix_sort_onesweep_iterationIS3_Lb0EN6thrust23THRUST_200600_302600_NS10device_ptrIiEESA_NS9_IsEESB_jNS0_19identity_decomposerENS1_16block_id_wrapperIjLb1EEEEE10hipError_tT1_PNSt15iterator_traitsISG_E10value_typeET2_T3_PNSH_ISM_E10value_typeET4_T5_PSR_SS_PNS1_23onesweep_lookback_stateEbbT6_jjT7_P12ihipStream_tbENKUlT_T0_SG_SL_E_clISA_PiSB_PsEEDaSZ_S10_SG_SL_EUlSZ_E_NS1_11comp_targetILNS1_3genE4ELNS1_11target_archE910ELNS1_3gpuE8ELNS1_3repE0EEENS1_47radix_sort_onesweep_sort_config_static_selectorELNS0_4arch9wavefront6targetE1EEEvSG_,comdat
.Lfunc_end2453:
	.size	_ZN7rocprim17ROCPRIM_400000_NS6detail17trampoline_kernelINS0_14default_configENS1_35radix_sort_onesweep_config_selectorIisEEZZNS1_29radix_sort_onesweep_iterationIS3_Lb0EN6thrust23THRUST_200600_302600_NS10device_ptrIiEESA_NS9_IsEESB_jNS0_19identity_decomposerENS1_16block_id_wrapperIjLb1EEEEE10hipError_tT1_PNSt15iterator_traitsISG_E10value_typeET2_T3_PNSH_ISM_E10value_typeET4_T5_PSR_SS_PNS1_23onesweep_lookback_stateEbbT6_jjT7_P12ihipStream_tbENKUlT_T0_SG_SL_E_clISA_PiSB_PsEEDaSZ_S10_SG_SL_EUlSZ_E_NS1_11comp_targetILNS1_3genE4ELNS1_11target_archE910ELNS1_3gpuE8ELNS1_3repE0EEENS1_47radix_sort_onesweep_sort_config_static_selectorELNS0_4arch9wavefront6targetE1EEEvSG_, .Lfunc_end2453-_ZN7rocprim17ROCPRIM_400000_NS6detail17trampoline_kernelINS0_14default_configENS1_35radix_sort_onesweep_config_selectorIisEEZZNS1_29radix_sort_onesweep_iterationIS3_Lb0EN6thrust23THRUST_200600_302600_NS10device_ptrIiEESA_NS9_IsEESB_jNS0_19identity_decomposerENS1_16block_id_wrapperIjLb1EEEEE10hipError_tT1_PNSt15iterator_traitsISG_E10value_typeET2_T3_PNSH_ISM_E10value_typeET4_T5_PSR_SS_PNS1_23onesweep_lookback_stateEbbT6_jjT7_P12ihipStream_tbENKUlT_T0_SG_SL_E_clISA_PiSB_PsEEDaSZ_S10_SG_SL_EUlSZ_E_NS1_11comp_targetILNS1_3genE4ELNS1_11target_archE910ELNS1_3gpuE8ELNS1_3repE0EEENS1_47radix_sort_onesweep_sort_config_static_selectorELNS0_4arch9wavefront6targetE1EEEvSG_
                                        ; -- End function
	.set _ZN7rocprim17ROCPRIM_400000_NS6detail17trampoline_kernelINS0_14default_configENS1_35radix_sort_onesweep_config_selectorIisEEZZNS1_29radix_sort_onesweep_iterationIS3_Lb0EN6thrust23THRUST_200600_302600_NS10device_ptrIiEESA_NS9_IsEESB_jNS0_19identity_decomposerENS1_16block_id_wrapperIjLb1EEEEE10hipError_tT1_PNSt15iterator_traitsISG_E10value_typeET2_T3_PNSH_ISM_E10value_typeET4_T5_PSR_SS_PNS1_23onesweep_lookback_stateEbbT6_jjT7_P12ihipStream_tbENKUlT_T0_SG_SL_E_clISA_PiSB_PsEEDaSZ_S10_SG_SL_EUlSZ_E_NS1_11comp_targetILNS1_3genE4ELNS1_11target_archE910ELNS1_3gpuE8ELNS1_3repE0EEENS1_47radix_sort_onesweep_sort_config_static_selectorELNS0_4arch9wavefront6targetE1EEEvSG_.num_vgpr, 0
	.set _ZN7rocprim17ROCPRIM_400000_NS6detail17trampoline_kernelINS0_14default_configENS1_35radix_sort_onesweep_config_selectorIisEEZZNS1_29radix_sort_onesweep_iterationIS3_Lb0EN6thrust23THRUST_200600_302600_NS10device_ptrIiEESA_NS9_IsEESB_jNS0_19identity_decomposerENS1_16block_id_wrapperIjLb1EEEEE10hipError_tT1_PNSt15iterator_traitsISG_E10value_typeET2_T3_PNSH_ISM_E10value_typeET4_T5_PSR_SS_PNS1_23onesweep_lookback_stateEbbT6_jjT7_P12ihipStream_tbENKUlT_T0_SG_SL_E_clISA_PiSB_PsEEDaSZ_S10_SG_SL_EUlSZ_E_NS1_11comp_targetILNS1_3genE4ELNS1_11target_archE910ELNS1_3gpuE8ELNS1_3repE0EEENS1_47radix_sort_onesweep_sort_config_static_selectorELNS0_4arch9wavefront6targetE1EEEvSG_.num_agpr, 0
	.set _ZN7rocprim17ROCPRIM_400000_NS6detail17trampoline_kernelINS0_14default_configENS1_35radix_sort_onesweep_config_selectorIisEEZZNS1_29radix_sort_onesweep_iterationIS3_Lb0EN6thrust23THRUST_200600_302600_NS10device_ptrIiEESA_NS9_IsEESB_jNS0_19identity_decomposerENS1_16block_id_wrapperIjLb1EEEEE10hipError_tT1_PNSt15iterator_traitsISG_E10value_typeET2_T3_PNSH_ISM_E10value_typeET4_T5_PSR_SS_PNS1_23onesweep_lookback_stateEbbT6_jjT7_P12ihipStream_tbENKUlT_T0_SG_SL_E_clISA_PiSB_PsEEDaSZ_S10_SG_SL_EUlSZ_E_NS1_11comp_targetILNS1_3genE4ELNS1_11target_archE910ELNS1_3gpuE8ELNS1_3repE0EEENS1_47radix_sort_onesweep_sort_config_static_selectorELNS0_4arch9wavefront6targetE1EEEvSG_.numbered_sgpr, 0
	.set _ZN7rocprim17ROCPRIM_400000_NS6detail17trampoline_kernelINS0_14default_configENS1_35radix_sort_onesweep_config_selectorIisEEZZNS1_29radix_sort_onesweep_iterationIS3_Lb0EN6thrust23THRUST_200600_302600_NS10device_ptrIiEESA_NS9_IsEESB_jNS0_19identity_decomposerENS1_16block_id_wrapperIjLb1EEEEE10hipError_tT1_PNSt15iterator_traitsISG_E10value_typeET2_T3_PNSH_ISM_E10value_typeET4_T5_PSR_SS_PNS1_23onesweep_lookback_stateEbbT6_jjT7_P12ihipStream_tbENKUlT_T0_SG_SL_E_clISA_PiSB_PsEEDaSZ_S10_SG_SL_EUlSZ_E_NS1_11comp_targetILNS1_3genE4ELNS1_11target_archE910ELNS1_3gpuE8ELNS1_3repE0EEENS1_47radix_sort_onesweep_sort_config_static_selectorELNS0_4arch9wavefront6targetE1EEEvSG_.num_named_barrier, 0
	.set _ZN7rocprim17ROCPRIM_400000_NS6detail17trampoline_kernelINS0_14default_configENS1_35radix_sort_onesweep_config_selectorIisEEZZNS1_29radix_sort_onesweep_iterationIS3_Lb0EN6thrust23THRUST_200600_302600_NS10device_ptrIiEESA_NS9_IsEESB_jNS0_19identity_decomposerENS1_16block_id_wrapperIjLb1EEEEE10hipError_tT1_PNSt15iterator_traitsISG_E10value_typeET2_T3_PNSH_ISM_E10value_typeET4_T5_PSR_SS_PNS1_23onesweep_lookback_stateEbbT6_jjT7_P12ihipStream_tbENKUlT_T0_SG_SL_E_clISA_PiSB_PsEEDaSZ_S10_SG_SL_EUlSZ_E_NS1_11comp_targetILNS1_3genE4ELNS1_11target_archE910ELNS1_3gpuE8ELNS1_3repE0EEENS1_47radix_sort_onesweep_sort_config_static_selectorELNS0_4arch9wavefront6targetE1EEEvSG_.private_seg_size, 0
	.set _ZN7rocprim17ROCPRIM_400000_NS6detail17trampoline_kernelINS0_14default_configENS1_35radix_sort_onesweep_config_selectorIisEEZZNS1_29radix_sort_onesweep_iterationIS3_Lb0EN6thrust23THRUST_200600_302600_NS10device_ptrIiEESA_NS9_IsEESB_jNS0_19identity_decomposerENS1_16block_id_wrapperIjLb1EEEEE10hipError_tT1_PNSt15iterator_traitsISG_E10value_typeET2_T3_PNSH_ISM_E10value_typeET4_T5_PSR_SS_PNS1_23onesweep_lookback_stateEbbT6_jjT7_P12ihipStream_tbENKUlT_T0_SG_SL_E_clISA_PiSB_PsEEDaSZ_S10_SG_SL_EUlSZ_E_NS1_11comp_targetILNS1_3genE4ELNS1_11target_archE910ELNS1_3gpuE8ELNS1_3repE0EEENS1_47radix_sort_onesweep_sort_config_static_selectorELNS0_4arch9wavefront6targetE1EEEvSG_.uses_vcc, 0
	.set _ZN7rocprim17ROCPRIM_400000_NS6detail17trampoline_kernelINS0_14default_configENS1_35radix_sort_onesweep_config_selectorIisEEZZNS1_29radix_sort_onesweep_iterationIS3_Lb0EN6thrust23THRUST_200600_302600_NS10device_ptrIiEESA_NS9_IsEESB_jNS0_19identity_decomposerENS1_16block_id_wrapperIjLb1EEEEE10hipError_tT1_PNSt15iterator_traitsISG_E10value_typeET2_T3_PNSH_ISM_E10value_typeET4_T5_PSR_SS_PNS1_23onesweep_lookback_stateEbbT6_jjT7_P12ihipStream_tbENKUlT_T0_SG_SL_E_clISA_PiSB_PsEEDaSZ_S10_SG_SL_EUlSZ_E_NS1_11comp_targetILNS1_3genE4ELNS1_11target_archE910ELNS1_3gpuE8ELNS1_3repE0EEENS1_47radix_sort_onesweep_sort_config_static_selectorELNS0_4arch9wavefront6targetE1EEEvSG_.uses_flat_scratch, 0
	.set _ZN7rocprim17ROCPRIM_400000_NS6detail17trampoline_kernelINS0_14default_configENS1_35radix_sort_onesweep_config_selectorIisEEZZNS1_29radix_sort_onesweep_iterationIS3_Lb0EN6thrust23THRUST_200600_302600_NS10device_ptrIiEESA_NS9_IsEESB_jNS0_19identity_decomposerENS1_16block_id_wrapperIjLb1EEEEE10hipError_tT1_PNSt15iterator_traitsISG_E10value_typeET2_T3_PNSH_ISM_E10value_typeET4_T5_PSR_SS_PNS1_23onesweep_lookback_stateEbbT6_jjT7_P12ihipStream_tbENKUlT_T0_SG_SL_E_clISA_PiSB_PsEEDaSZ_S10_SG_SL_EUlSZ_E_NS1_11comp_targetILNS1_3genE4ELNS1_11target_archE910ELNS1_3gpuE8ELNS1_3repE0EEENS1_47radix_sort_onesweep_sort_config_static_selectorELNS0_4arch9wavefront6targetE1EEEvSG_.has_dyn_sized_stack, 0
	.set _ZN7rocprim17ROCPRIM_400000_NS6detail17trampoline_kernelINS0_14default_configENS1_35radix_sort_onesweep_config_selectorIisEEZZNS1_29radix_sort_onesweep_iterationIS3_Lb0EN6thrust23THRUST_200600_302600_NS10device_ptrIiEESA_NS9_IsEESB_jNS0_19identity_decomposerENS1_16block_id_wrapperIjLb1EEEEE10hipError_tT1_PNSt15iterator_traitsISG_E10value_typeET2_T3_PNSH_ISM_E10value_typeET4_T5_PSR_SS_PNS1_23onesweep_lookback_stateEbbT6_jjT7_P12ihipStream_tbENKUlT_T0_SG_SL_E_clISA_PiSB_PsEEDaSZ_S10_SG_SL_EUlSZ_E_NS1_11comp_targetILNS1_3genE4ELNS1_11target_archE910ELNS1_3gpuE8ELNS1_3repE0EEENS1_47radix_sort_onesweep_sort_config_static_selectorELNS0_4arch9wavefront6targetE1EEEvSG_.has_recursion, 0
	.set _ZN7rocprim17ROCPRIM_400000_NS6detail17trampoline_kernelINS0_14default_configENS1_35radix_sort_onesweep_config_selectorIisEEZZNS1_29radix_sort_onesweep_iterationIS3_Lb0EN6thrust23THRUST_200600_302600_NS10device_ptrIiEESA_NS9_IsEESB_jNS0_19identity_decomposerENS1_16block_id_wrapperIjLb1EEEEE10hipError_tT1_PNSt15iterator_traitsISG_E10value_typeET2_T3_PNSH_ISM_E10value_typeET4_T5_PSR_SS_PNS1_23onesweep_lookback_stateEbbT6_jjT7_P12ihipStream_tbENKUlT_T0_SG_SL_E_clISA_PiSB_PsEEDaSZ_S10_SG_SL_EUlSZ_E_NS1_11comp_targetILNS1_3genE4ELNS1_11target_archE910ELNS1_3gpuE8ELNS1_3repE0EEENS1_47radix_sort_onesweep_sort_config_static_selectorELNS0_4arch9wavefront6targetE1EEEvSG_.has_indirect_call, 0
	.section	.AMDGPU.csdata,"",@progbits
; Kernel info:
; codeLenInByte = 0
; TotalNumSgprs: 6
; NumVgprs: 0
; NumAgprs: 0
; TotalNumVgprs: 0
; ScratchSize: 0
; MemoryBound: 0
; FloatMode: 240
; IeeeMode: 1
; LDSByteSize: 0 bytes/workgroup (compile time only)
; SGPRBlocks: 0
; VGPRBlocks: 0
; NumSGPRsForWavesPerEU: 6
; NumVGPRsForWavesPerEU: 1
; AccumOffset: 4
; Occupancy: 8
; WaveLimiterHint : 0
; COMPUTE_PGM_RSRC2:SCRATCH_EN: 0
; COMPUTE_PGM_RSRC2:USER_SGPR: 2
; COMPUTE_PGM_RSRC2:TRAP_HANDLER: 0
; COMPUTE_PGM_RSRC2:TGID_X_EN: 1
; COMPUTE_PGM_RSRC2:TGID_Y_EN: 0
; COMPUTE_PGM_RSRC2:TGID_Z_EN: 0
; COMPUTE_PGM_RSRC2:TIDIG_COMP_CNT: 0
; COMPUTE_PGM_RSRC3_GFX90A:ACCUM_OFFSET: 0
; COMPUTE_PGM_RSRC3_GFX90A:TG_SPLIT: 0
	.section	.text._ZN7rocprim17ROCPRIM_400000_NS6detail17trampoline_kernelINS0_14default_configENS1_35radix_sort_onesweep_config_selectorIisEEZZNS1_29radix_sort_onesweep_iterationIS3_Lb0EN6thrust23THRUST_200600_302600_NS10device_ptrIiEESA_NS9_IsEESB_jNS0_19identity_decomposerENS1_16block_id_wrapperIjLb1EEEEE10hipError_tT1_PNSt15iterator_traitsISG_E10value_typeET2_T3_PNSH_ISM_E10value_typeET4_T5_PSR_SS_PNS1_23onesweep_lookback_stateEbbT6_jjT7_P12ihipStream_tbENKUlT_T0_SG_SL_E_clISA_PiSB_PsEEDaSZ_S10_SG_SL_EUlSZ_E_NS1_11comp_targetILNS1_3genE3ELNS1_11target_archE908ELNS1_3gpuE7ELNS1_3repE0EEENS1_47radix_sort_onesweep_sort_config_static_selectorELNS0_4arch9wavefront6targetE1EEEvSG_,"axG",@progbits,_ZN7rocprim17ROCPRIM_400000_NS6detail17trampoline_kernelINS0_14default_configENS1_35radix_sort_onesweep_config_selectorIisEEZZNS1_29radix_sort_onesweep_iterationIS3_Lb0EN6thrust23THRUST_200600_302600_NS10device_ptrIiEESA_NS9_IsEESB_jNS0_19identity_decomposerENS1_16block_id_wrapperIjLb1EEEEE10hipError_tT1_PNSt15iterator_traitsISG_E10value_typeET2_T3_PNSH_ISM_E10value_typeET4_T5_PSR_SS_PNS1_23onesweep_lookback_stateEbbT6_jjT7_P12ihipStream_tbENKUlT_T0_SG_SL_E_clISA_PiSB_PsEEDaSZ_S10_SG_SL_EUlSZ_E_NS1_11comp_targetILNS1_3genE3ELNS1_11target_archE908ELNS1_3gpuE7ELNS1_3repE0EEENS1_47radix_sort_onesweep_sort_config_static_selectorELNS0_4arch9wavefront6targetE1EEEvSG_,comdat
	.protected	_ZN7rocprim17ROCPRIM_400000_NS6detail17trampoline_kernelINS0_14default_configENS1_35radix_sort_onesweep_config_selectorIisEEZZNS1_29radix_sort_onesweep_iterationIS3_Lb0EN6thrust23THRUST_200600_302600_NS10device_ptrIiEESA_NS9_IsEESB_jNS0_19identity_decomposerENS1_16block_id_wrapperIjLb1EEEEE10hipError_tT1_PNSt15iterator_traitsISG_E10value_typeET2_T3_PNSH_ISM_E10value_typeET4_T5_PSR_SS_PNS1_23onesweep_lookback_stateEbbT6_jjT7_P12ihipStream_tbENKUlT_T0_SG_SL_E_clISA_PiSB_PsEEDaSZ_S10_SG_SL_EUlSZ_E_NS1_11comp_targetILNS1_3genE3ELNS1_11target_archE908ELNS1_3gpuE7ELNS1_3repE0EEENS1_47radix_sort_onesweep_sort_config_static_selectorELNS0_4arch9wavefront6targetE1EEEvSG_ ; -- Begin function _ZN7rocprim17ROCPRIM_400000_NS6detail17trampoline_kernelINS0_14default_configENS1_35radix_sort_onesweep_config_selectorIisEEZZNS1_29radix_sort_onesweep_iterationIS3_Lb0EN6thrust23THRUST_200600_302600_NS10device_ptrIiEESA_NS9_IsEESB_jNS0_19identity_decomposerENS1_16block_id_wrapperIjLb1EEEEE10hipError_tT1_PNSt15iterator_traitsISG_E10value_typeET2_T3_PNSH_ISM_E10value_typeET4_T5_PSR_SS_PNS1_23onesweep_lookback_stateEbbT6_jjT7_P12ihipStream_tbENKUlT_T0_SG_SL_E_clISA_PiSB_PsEEDaSZ_S10_SG_SL_EUlSZ_E_NS1_11comp_targetILNS1_3genE3ELNS1_11target_archE908ELNS1_3gpuE7ELNS1_3repE0EEENS1_47radix_sort_onesweep_sort_config_static_selectorELNS0_4arch9wavefront6targetE1EEEvSG_
	.globl	_ZN7rocprim17ROCPRIM_400000_NS6detail17trampoline_kernelINS0_14default_configENS1_35radix_sort_onesweep_config_selectorIisEEZZNS1_29radix_sort_onesweep_iterationIS3_Lb0EN6thrust23THRUST_200600_302600_NS10device_ptrIiEESA_NS9_IsEESB_jNS0_19identity_decomposerENS1_16block_id_wrapperIjLb1EEEEE10hipError_tT1_PNSt15iterator_traitsISG_E10value_typeET2_T3_PNSH_ISM_E10value_typeET4_T5_PSR_SS_PNS1_23onesweep_lookback_stateEbbT6_jjT7_P12ihipStream_tbENKUlT_T0_SG_SL_E_clISA_PiSB_PsEEDaSZ_S10_SG_SL_EUlSZ_E_NS1_11comp_targetILNS1_3genE3ELNS1_11target_archE908ELNS1_3gpuE7ELNS1_3repE0EEENS1_47radix_sort_onesweep_sort_config_static_selectorELNS0_4arch9wavefront6targetE1EEEvSG_
	.p2align	8
	.type	_ZN7rocprim17ROCPRIM_400000_NS6detail17trampoline_kernelINS0_14default_configENS1_35radix_sort_onesweep_config_selectorIisEEZZNS1_29radix_sort_onesweep_iterationIS3_Lb0EN6thrust23THRUST_200600_302600_NS10device_ptrIiEESA_NS9_IsEESB_jNS0_19identity_decomposerENS1_16block_id_wrapperIjLb1EEEEE10hipError_tT1_PNSt15iterator_traitsISG_E10value_typeET2_T3_PNSH_ISM_E10value_typeET4_T5_PSR_SS_PNS1_23onesweep_lookback_stateEbbT6_jjT7_P12ihipStream_tbENKUlT_T0_SG_SL_E_clISA_PiSB_PsEEDaSZ_S10_SG_SL_EUlSZ_E_NS1_11comp_targetILNS1_3genE3ELNS1_11target_archE908ELNS1_3gpuE7ELNS1_3repE0EEENS1_47radix_sort_onesweep_sort_config_static_selectorELNS0_4arch9wavefront6targetE1EEEvSG_,@function
_ZN7rocprim17ROCPRIM_400000_NS6detail17trampoline_kernelINS0_14default_configENS1_35radix_sort_onesweep_config_selectorIisEEZZNS1_29radix_sort_onesweep_iterationIS3_Lb0EN6thrust23THRUST_200600_302600_NS10device_ptrIiEESA_NS9_IsEESB_jNS0_19identity_decomposerENS1_16block_id_wrapperIjLb1EEEEE10hipError_tT1_PNSt15iterator_traitsISG_E10value_typeET2_T3_PNSH_ISM_E10value_typeET4_T5_PSR_SS_PNS1_23onesweep_lookback_stateEbbT6_jjT7_P12ihipStream_tbENKUlT_T0_SG_SL_E_clISA_PiSB_PsEEDaSZ_S10_SG_SL_EUlSZ_E_NS1_11comp_targetILNS1_3genE3ELNS1_11target_archE908ELNS1_3gpuE7ELNS1_3repE0EEENS1_47radix_sort_onesweep_sort_config_static_selectorELNS0_4arch9wavefront6targetE1EEEvSG_: ; @_ZN7rocprim17ROCPRIM_400000_NS6detail17trampoline_kernelINS0_14default_configENS1_35radix_sort_onesweep_config_selectorIisEEZZNS1_29radix_sort_onesweep_iterationIS3_Lb0EN6thrust23THRUST_200600_302600_NS10device_ptrIiEESA_NS9_IsEESB_jNS0_19identity_decomposerENS1_16block_id_wrapperIjLb1EEEEE10hipError_tT1_PNSt15iterator_traitsISG_E10value_typeET2_T3_PNSH_ISM_E10value_typeET4_T5_PSR_SS_PNS1_23onesweep_lookback_stateEbbT6_jjT7_P12ihipStream_tbENKUlT_T0_SG_SL_E_clISA_PiSB_PsEEDaSZ_S10_SG_SL_EUlSZ_E_NS1_11comp_targetILNS1_3genE3ELNS1_11target_archE908ELNS1_3gpuE7ELNS1_3repE0EEENS1_47radix_sort_onesweep_sort_config_static_selectorELNS0_4arch9wavefront6targetE1EEEvSG_
; %bb.0:
	.section	.rodata,"a",@progbits
	.p2align	6, 0x0
	.amdhsa_kernel _ZN7rocprim17ROCPRIM_400000_NS6detail17trampoline_kernelINS0_14default_configENS1_35radix_sort_onesweep_config_selectorIisEEZZNS1_29radix_sort_onesweep_iterationIS3_Lb0EN6thrust23THRUST_200600_302600_NS10device_ptrIiEESA_NS9_IsEESB_jNS0_19identity_decomposerENS1_16block_id_wrapperIjLb1EEEEE10hipError_tT1_PNSt15iterator_traitsISG_E10value_typeET2_T3_PNSH_ISM_E10value_typeET4_T5_PSR_SS_PNS1_23onesweep_lookback_stateEbbT6_jjT7_P12ihipStream_tbENKUlT_T0_SG_SL_E_clISA_PiSB_PsEEDaSZ_S10_SG_SL_EUlSZ_E_NS1_11comp_targetILNS1_3genE3ELNS1_11target_archE908ELNS1_3gpuE7ELNS1_3repE0EEENS1_47radix_sort_onesweep_sort_config_static_selectorELNS0_4arch9wavefront6targetE1EEEvSG_
		.amdhsa_group_segment_fixed_size 0
		.amdhsa_private_segment_fixed_size 0
		.amdhsa_kernarg_size 88
		.amdhsa_user_sgpr_count 2
		.amdhsa_user_sgpr_dispatch_ptr 0
		.amdhsa_user_sgpr_queue_ptr 0
		.amdhsa_user_sgpr_kernarg_segment_ptr 1
		.amdhsa_user_sgpr_dispatch_id 0
		.amdhsa_user_sgpr_kernarg_preload_length 0
		.amdhsa_user_sgpr_kernarg_preload_offset 0
		.amdhsa_user_sgpr_private_segment_size 0
		.amdhsa_uses_dynamic_stack 0
		.amdhsa_enable_private_segment 0
		.amdhsa_system_sgpr_workgroup_id_x 1
		.amdhsa_system_sgpr_workgroup_id_y 0
		.amdhsa_system_sgpr_workgroup_id_z 0
		.amdhsa_system_sgpr_workgroup_info 0
		.amdhsa_system_vgpr_workitem_id 0
		.amdhsa_next_free_vgpr 1
		.amdhsa_next_free_sgpr 0
		.amdhsa_accum_offset 4
		.amdhsa_reserve_vcc 0
		.amdhsa_float_round_mode_32 0
		.amdhsa_float_round_mode_16_64 0
		.amdhsa_float_denorm_mode_32 3
		.amdhsa_float_denorm_mode_16_64 3
		.amdhsa_dx10_clamp 1
		.amdhsa_ieee_mode 1
		.amdhsa_fp16_overflow 0
		.amdhsa_tg_split 0
		.amdhsa_exception_fp_ieee_invalid_op 0
		.amdhsa_exception_fp_denorm_src 0
		.amdhsa_exception_fp_ieee_div_zero 0
		.amdhsa_exception_fp_ieee_overflow 0
		.amdhsa_exception_fp_ieee_underflow 0
		.amdhsa_exception_fp_ieee_inexact 0
		.amdhsa_exception_int_div_zero 0
	.end_amdhsa_kernel
	.section	.text._ZN7rocprim17ROCPRIM_400000_NS6detail17trampoline_kernelINS0_14default_configENS1_35radix_sort_onesweep_config_selectorIisEEZZNS1_29radix_sort_onesweep_iterationIS3_Lb0EN6thrust23THRUST_200600_302600_NS10device_ptrIiEESA_NS9_IsEESB_jNS0_19identity_decomposerENS1_16block_id_wrapperIjLb1EEEEE10hipError_tT1_PNSt15iterator_traitsISG_E10value_typeET2_T3_PNSH_ISM_E10value_typeET4_T5_PSR_SS_PNS1_23onesweep_lookback_stateEbbT6_jjT7_P12ihipStream_tbENKUlT_T0_SG_SL_E_clISA_PiSB_PsEEDaSZ_S10_SG_SL_EUlSZ_E_NS1_11comp_targetILNS1_3genE3ELNS1_11target_archE908ELNS1_3gpuE7ELNS1_3repE0EEENS1_47radix_sort_onesweep_sort_config_static_selectorELNS0_4arch9wavefront6targetE1EEEvSG_,"axG",@progbits,_ZN7rocprim17ROCPRIM_400000_NS6detail17trampoline_kernelINS0_14default_configENS1_35radix_sort_onesweep_config_selectorIisEEZZNS1_29radix_sort_onesweep_iterationIS3_Lb0EN6thrust23THRUST_200600_302600_NS10device_ptrIiEESA_NS9_IsEESB_jNS0_19identity_decomposerENS1_16block_id_wrapperIjLb1EEEEE10hipError_tT1_PNSt15iterator_traitsISG_E10value_typeET2_T3_PNSH_ISM_E10value_typeET4_T5_PSR_SS_PNS1_23onesweep_lookback_stateEbbT6_jjT7_P12ihipStream_tbENKUlT_T0_SG_SL_E_clISA_PiSB_PsEEDaSZ_S10_SG_SL_EUlSZ_E_NS1_11comp_targetILNS1_3genE3ELNS1_11target_archE908ELNS1_3gpuE7ELNS1_3repE0EEENS1_47radix_sort_onesweep_sort_config_static_selectorELNS0_4arch9wavefront6targetE1EEEvSG_,comdat
.Lfunc_end2454:
	.size	_ZN7rocprim17ROCPRIM_400000_NS6detail17trampoline_kernelINS0_14default_configENS1_35radix_sort_onesweep_config_selectorIisEEZZNS1_29radix_sort_onesweep_iterationIS3_Lb0EN6thrust23THRUST_200600_302600_NS10device_ptrIiEESA_NS9_IsEESB_jNS0_19identity_decomposerENS1_16block_id_wrapperIjLb1EEEEE10hipError_tT1_PNSt15iterator_traitsISG_E10value_typeET2_T3_PNSH_ISM_E10value_typeET4_T5_PSR_SS_PNS1_23onesweep_lookback_stateEbbT6_jjT7_P12ihipStream_tbENKUlT_T0_SG_SL_E_clISA_PiSB_PsEEDaSZ_S10_SG_SL_EUlSZ_E_NS1_11comp_targetILNS1_3genE3ELNS1_11target_archE908ELNS1_3gpuE7ELNS1_3repE0EEENS1_47radix_sort_onesweep_sort_config_static_selectorELNS0_4arch9wavefront6targetE1EEEvSG_, .Lfunc_end2454-_ZN7rocprim17ROCPRIM_400000_NS6detail17trampoline_kernelINS0_14default_configENS1_35radix_sort_onesweep_config_selectorIisEEZZNS1_29radix_sort_onesweep_iterationIS3_Lb0EN6thrust23THRUST_200600_302600_NS10device_ptrIiEESA_NS9_IsEESB_jNS0_19identity_decomposerENS1_16block_id_wrapperIjLb1EEEEE10hipError_tT1_PNSt15iterator_traitsISG_E10value_typeET2_T3_PNSH_ISM_E10value_typeET4_T5_PSR_SS_PNS1_23onesweep_lookback_stateEbbT6_jjT7_P12ihipStream_tbENKUlT_T0_SG_SL_E_clISA_PiSB_PsEEDaSZ_S10_SG_SL_EUlSZ_E_NS1_11comp_targetILNS1_3genE3ELNS1_11target_archE908ELNS1_3gpuE7ELNS1_3repE0EEENS1_47radix_sort_onesweep_sort_config_static_selectorELNS0_4arch9wavefront6targetE1EEEvSG_
                                        ; -- End function
	.set _ZN7rocprim17ROCPRIM_400000_NS6detail17trampoline_kernelINS0_14default_configENS1_35radix_sort_onesweep_config_selectorIisEEZZNS1_29radix_sort_onesweep_iterationIS3_Lb0EN6thrust23THRUST_200600_302600_NS10device_ptrIiEESA_NS9_IsEESB_jNS0_19identity_decomposerENS1_16block_id_wrapperIjLb1EEEEE10hipError_tT1_PNSt15iterator_traitsISG_E10value_typeET2_T3_PNSH_ISM_E10value_typeET4_T5_PSR_SS_PNS1_23onesweep_lookback_stateEbbT6_jjT7_P12ihipStream_tbENKUlT_T0_SG_SL_E_clISA_PiSB_PsEEDaSZ_S10_SG_SL_EUlSZ_E_NS1_11comp_targetILNS1_3genE3ELNS1_11target_archE908ELNS1_3gpuE7ELNS1_3repE0EEENS1_47radix_sort_onesweep_sort_config_static_selectorELNS0_4arch9wavefront6targetE1EEEvSG_.num_vgpr, 0
	.set _ZN7rocprim17ROCPRIM_400000_NS6detail17trampoline_kernelINS0_14default_configENS1_35radix_sort_onesweep_config_selectorIisEEZZNS1_29radix_sort_onesweep_iterationIS3_Lb0EN6thrust23THRUST_200600_302600_NS10device_ptrIiEESA_NS9_IsEESB_jNS0_19identity_decomposerENS1_16block_id_wrapperIjLb1EEEEE10hipError_tT1_PNSt15iterator_traitsISG_E10value_typeET2_T3_PNSH_ISM_E10value_typeET4_T5_PSR_SS_PNS1_23onesweep_lookback_stateEbbT6_jjT7_P12ihipStream_tbENKUlT_T0_SG_SL_E_clISA_PiSB_PsEEDaSZ_S10_SG_SL_EUlSZ_E_NS1_11comp_targetILNS1_3genE3ELNS1_11target_archE908ELNS1_3gpuE7ELNS1_3repE0EEENS1_47radix_sort_onesweep_sort_config_static_selectorELNS0_4arch9wavefront6targetE1EEEvSG_.num_agpr, 0
	.set _ZN7rocprim17ROCPRIM_400000_NS6detail17trampoline_kernelINS0_14default_configENS1_35radix_sort_onesweep_config_selectorIisEEZZNS1_29radix_sort_onesweep_iterationIS3_Lb0EN6thrust23THRUST_200600_302600_NS10device_ptrIiEESA_NS9_IsEESB_jNS0_19identity_decomposerENS1_16block_id_wrapperIjLb1EEEEE10hipError_tT1_PNSt15iterator_traitsISG_E10value_typeET2_T3_PNSH_ISM_E10value_typeET4_T5_PSR_SS_PNS1_23onesweep_lookback_stateEbbT6_jjT7_P12ihipStream_tbENKUlT_T0_SG_SL_E_clISA_PiSB_PsEEDaSZ_S10_SG_SL_EUlSZ_E_NS1_11comp_targetILNS1_3genE3ELNS1_11target_archE908ELNS1_3gpuE7ELNS1_3repE0EEENS1_47radix_sort_onesweep_sort_config_static_selectorELNS0_4arch9wavefront6targetE1EEEvSG_.numbered_sgpr, 0
	.set _ZN7rocprim17ROCPRIM_400000_NS6detail17trampoline_kernelINS0_14default_configENS1_35radix_sort_onesweep_config_selectorIisEEZZNS1_29radix_sort_onesweep_iterationIS3_Lb0EN6thrust23THRUST_200600_302600_NS10device_ptrIiEESA_NS9_IsEESB_jNS0_19identity_decomposerENS1_16block_id_wrapperIjLb1EEEEE10hipError_tT1_PNSt15iterator_traitsISG_E10value_typeET2_T3_PNSH_ISM_E10value_typeET4_T5_PSR_SS_PNS1_23onesweep_lookback_stateEbbT6_jjT7_P12ihipStream_tbENKUlT_T0_SG_SL_E_clISA_PiSB_PsEEDaSZ_S10_SG_SL_EUlSZ_E_NS1_11comp_targetILNS1_3genE3ELNS1_11target_archE908ELNS1_3gpuE7ELNS1_3repE0EEENS1_47radix_sort_onesweep_sort_config_static_selectorELNS0_4arch9wavefront6targetE1EEEvSG_.num_named_barrier, 0
	.set _ZN7rocprim17ROCPRIM_400000_NS6detail17trampoline_kernelINS0_14default_configENS1_35radix_sort_onesweep_config_selectorIisEEZZNS1_29radix_sort_onesweep_iterationIS3_Lb0EN6thrust23THRUST_200600_302600_NS10device_ptrIiEESA_NS9_IsEESB_jNS0_19identity_decomposerENS1_16block_id_wrapperIjLb1EEEEE10hipError_tT1_PNSt15iterator_traitsISG_E10value_typeET2_T3_PNSH_ISM_E10value_typeET4_T5_PSR_SS_PNS1_23onesweep_lookback_stateEbbT6_jjT7_P12ihipStream_tbENKUlT_T0_SG_SL_E_clISA_PiSB_PsEEDaSZ_S10_SG_SL_EUlSZ_E_NS1_11comp_targetILNS1_3genE3ELNS1_11target_archE908ELNS1_3gpuE7ELNS1_3repE0EEENS1_47radix_sort_onesweep_sort_config_static_selectorELNS0_4arch9wavefront6targetE1EEEvSG_.private_seg_size, 0
	.set _ZN7rocprim17ROCPRIM_400000_NS6detail17trampoline_kernelINS0_14default_configENS1_35radix_sort_onesweep_config_selectorIisEEZZNS1_29radix_sort_onesweep_iterationIS3_Lb0EN6thrust23THRUST_200600_302600_NS10device_ptrIiEESA_NS9_IsEESB_jNS0_19identity_decomposerENS1_16block_id_wrapperIjLb1EEEEE10hipError_tT1_PNSt15iterator_traitsISG_E10value_typeET2_T3_PNSH_ISM_E10value_typeET4_T5_PSR_SS_PNS1_23onesweep_lookback_stateEbbT6_jjT7_P12ihipStream_tbENKUlT_T0_SG_SL_E_clISA_PiSB_PsEEDaSZ_S10_SG_SL_EUlSZ_E_NS1_11comp_targetILNS1_3genE3ELNS1_11target_archE908ELNS1_3gpuE7ELNS1_3repE0EEENS1_47radix_sort_onesweep_sort_config_static_selectorELNS0_4arch9wavefront6targetE1EEEvSG_.uses_vcc, 0
	.set _ZN7rocprim17ROCPRIM_400000_NS6detail17trampoline_kernelINS0_14default_configENS1_35radix_sort_onesweep_config_selectorIisEEZZNS1_29radix_sort_onesweep_iterationIS3_Lb0EN6thrust23THRUST_200600_302600_NS10device_ptrIiEESA_NS9_IsEESB_jNS0_19identity_decomposerENS1_16block_id_wrapperIjLb1EEEEE10hipError_tT1_PNSt15iterator_traitsISG_E10value_typeET2_T3_PNSH_ISM_E10value_typeET4_T5_PSR_SS_PNS1_23onesweep_lookback_stateEbbT6_jjT7_P12ihipStream_tbENKUlT_T0_SG_SL_E_clISA_PiSB_PsEEDaSZ_S10_SG_SL_EUlSZ_E_NS1_11comp_targetILNS1_3genE3ELNS1_11target_archE908ELNS1_3gpuE7ELNS1_3repE0EEENS1_47radix_sort_onesweep_sort_config_static_selectorELNS0_4arch9wavefront6targetE1EEEvSG_.uses_flat_scratch, 0
	.set _ZN7rocprim17ROCPRIM_400000_NS6detail17trampoline_kernelINS0_14default_configENS1_35radix_sort_onesweep_config_selectorIisEEZZNS1_29radix_sort_onesweep_iterationIS3_Lb0EN6thrust23THRUST_200600_302600_NS10device_ptrIiEESA_NS9_IsEESB_jNS0_19identity_decomposerENS1_16block_id_wrapperIjLb1EEEEE10hipError_tT1_PNSt15iterator_traitsISG_E10value_typeET2_T3_PNSH_ISM_E10value_typeET4_T5_PSR_SS_PNS1_23onesweep_lookback_stateEbbT6_jjT7_P12ihipStream_tbENKUlT_T0_SG_SL_E_clISA_PiSB_PsEEDaSZ_S10_SG_SL_EUlSZ_E_NS1_11comp_targetILNS1_3genE3ELNS1_11target_archE908ELNS1_3gpuE7ELNS1_3repE0EEENS1_47radix_sort_onesweep_sort_config_static_selectorELNS0_4arch9wavefront6targetE1EEEvSG_.has_dyn_sized_stack, 0
	.set _ZN7rocprim17ROCPRIM_400000_NS6detail17trampoline_kernelINS0_14default_configENS1_35radix_sort_onesweep_config_selectorIisEEZZNS1_29radix_sort_onesweep_iterationIS3_Lb0EN6thrust23THRUST_200600_302600_NS10device_ptrIiEESA_NS9_IsEESB_jNS0_19identity_decomposerENS1_16block_id_wrapperIjLb1EEEEE10hipError_tT1_PNSt15iterator_traitsISG_E10value_typeET2_T3_PNSH_ISM_E10value_typeET4_T5_PSR_SS_PNS1_23onesweep_lookback_stateEbbT6_jjT7_P12ihipStream_tbENKUlT_T0_SG_SL_E_clISA_PiSB_PsEEDaSZ_S10_SG_SL_EUlSZ_E_NS1_11comp_targetILNS1_3genE3ELNS1_11target_archE908ELNS1_3gpuE7ELNS1_3repE0EEENS1_47radix_sort_onesweep_sort_config_static_selectorELNS0_4arch9wavefront6targetE1EEEvSG_.has_recursion, 0
	.set _ZN7rocprim17ROCPRIM_400000_NS6detail17trampoline_kernelINS0_14default_configENS1_35radix_sort_onesweep_config_selectorIisEEZZNS1_29radix_sort_onesweep_iterationIS3_Lb0EN6thrust23THRUST_200600_302600_NS10device_ptrIiEESA_NS9_IsEESB_jNS0_19identity_decomposerENS1_16block_id_wrapperIjLb1EEEEE10hipError_tT1_PNSt15iterator_traitsISG_E10value_typeET2_T3_PNSH_ISM_E10value_typeET4_T5_PSR_SS_PNS1_23onesweep_lookback_stateEbbT6_jjT7_P12ihipStream_tbENKUlT_T0_SG_SL_E_clISA_PiSB_PsEEDaSZ_S10_SG_SL_EUlSZ_E_NS1_11comp_targetILNS1_3genE3ELNS1_11target_archE908ELNS1_3gpuE7ELNS1_3repE0EEENS1_47radix_sort_onesweep_sort_config_static_selectorELNS0_4arch9wavefront6targetE1EEEvSG_.has_indirect_call, 0
	.section	.AMDGPU.csdata,"",@progbits
; Kernel info:
; codeLenInByte = 0
; TotalNumSgprs: 6
; NumVgprs: 0
; NumAgprs: 0
; TotalNumVgprs: 0
; ScratchSize: 0
; MemoryBound: 0
; FloatMode: 240
; IeeeMode: 1
; LDSByteSize: 0 bytes/workgroup (compile time only)
; SGPRBlocks: 0
; VGPRBlocks: 0
; NumSGPRsForWavesPerEU: 6
; NumVGPRsForWavesPerEU: 1
; AccumOffset: 4
; Occupancy: 8
; WaveLimiterHint : 0
; COMPUTE_PGM_RSRC2:SCRATCH_EN: 0
; COMPUTE_PGM_RSRC2:USER_SGPR: 2
; COMPUTE_PGM_RSRC2:TRAP_HANDLER: 0
; COMPUTE_PGM_RSRC2:TGID_X_EN: 1
; COMPUTE_PGM_RSRC2:TGID_Y_EN: 0
; COMPUTE_PGM_RSRC2:TGID_Z_EN: 0
; COMPUTE_PGM_RSRC2:TIDIG_COMP_CNT: 0
; COMPUTE_PGM_RSRC3_GFX90A:ACCUM_OFFSET: 0
; COMPUTE_PGM_RSRC3_GFX90A:TG_SPLIT: 0
	.section	.text._ZN7rocprim17ROCPRIM_400000_NS6detail17trampoline_kernelINS0_14default_configENS1_35radix_sort_onesweep_config_selectorIisEEZZNS1_29radix_sort_onesweep_iterationIS3_Lb0EN6thrust23THRUST_200600_302600_NS10device_ptrIiEESA_NS9_IsEESB_jNS0_19identity_decomposerENS1_16block_id_wrapperIjLb1EEEEE10hipError_tT1_PNSt15iterator_traitsISG_E10value_typeET2_T3_PNSH_ISM_E10value_typeET4_T5_PSR_SS_PNS1_23onesweep_lookback_stateEbbT6_jjT7_P12ihipStream_tbENKUlT_T0_SG_SL_E_clISA_PiSB_PsEEDaSZ_S10_SG_SL_EUlSZ_E_NS1_11comp_targetILNS1_3genE10ELNS1_11target_archE1201ELNS1_3gpuE5ELNS1_3repE0EEENS1_47radix_sort_onesweep_sort_config_static_selectorELNS0_4arch9wavefront6targetE1EEEvSG_,"axG",@progbits,_ZN7rocprim17ROCPRIM_400000_NS6detail17trampoline_kernelINS0_14default_configENS1_35radix_sort_onesweep_config_selectorIisEEZZNS1_29radix_sort_onesweep_iterationIS3_Lb0EN6thrust23THRUST_200600_302600_NS10device_ptrIiEESA_NS9_IsEESB_jNS0_19identity_decomposerENS1_16block_id_wrapperIjLb1EEEEE10hipError_tT1_PNSt15iterator_traitsISG_E10value_typeET2_T3_PNSH_ISM_E10value_typeET4_T5_PSR_SS_PNS1_23onesweep_lookback_stateEbbT6_jjT7_P12ihipStream_tbENKUlT_T0_SG_SL_E_clISA_PiSB_PsEEDaSZ_S10_SG_SL_EUlSZ_E_NS1_11comp_targetILNS1_3genE10ELNS1_11target_archE1201ELNS1_3gpuE5ELNS1_3repE0EEENS1_47radix_sort_onesweep_sort_config_static_selectorELNS0_4arch9wavefront6targetE1EEEvSG_,comdat
	.protected	_ZN7rocprim17ROCPRIM_400000_NS6detail17trampoline_kernelINS0_14default_configENS1_35radix_sort_onesweep_config_selectorIisEEZZNS1_29radix_sort_onesweep_iterationIS3_Lb0EN6thrust23THRUST_200600_302600_NS10device_ptrIiEESA_NS9_IsEESB_jNS0_19identity_decomposerENS1_16block_id_wrapperIjLb1EEEEE10hipError_tT1_PNSt15iterator_traitsISG_E10value_typeET2_T3_PNSH_ISM_E10value_typeET4_T5_PSR_SS_PNS1_23onesweep_lookback_stateEbbT6_jjT7_P12ihipStream_tbENKUlT_T0_SG_SL_E_clISA_PiSB_PsEEDaSZ_S10_SG_SL_EUlSZ_E_NS1_11comp_targetILNS1_3genE10ELNS1_11target_archE1201ELNS1_3gpuE5ELNS1_3repE0EEENS1_47radix_sort_onesweep_sort_config_static_selectorELNS0_4arch9wavefront6targetE1EEEvSG_ ; -- Begin function _ZN7rocprim17ROCPRIM_400000_NS6detail17trampoline_kernelINS0_14default_configENS1_35radix_sort_onesweep_config_selectorIisEEZZNS1_29radix_sort_onesweep_iterationIS3_Lb0EN6thrust23THRUST_200600_302600_NS10device_ptrIiEESA_NS9_IsEESB_jNS0_19identity_decomposerENS1_16block_id_wrapperIjLb1EEEEE10hipError_tT1_PNSt15iterator_traitsISG_E10value_typeET2_T3_PNSH_ISM_E10value_typeET4_T5_PSR_SS_PNS1_23onesweep_lookback_stateEbbT6_jjT7_P12ihipStream_tbENKUlT_T0_SG_SL_E_clISA_PiSB_PsEEDaSZ_S10_SG_SL_EUlSZ_E_NS1_11comp_targetILNS1_3genE10ELNS1_11target_archE1201ELNS1_3gpuE5ELNS1_3repE0EEENS1_47radix_sort_onesweep_sort_config_static_selectorELNS0_4arch9wavefront6targetE1EEEvSG_
	.globl	_ZN7rocprim17ROCPRIM_400000_NS6detail17trampoline_kernelINS0_14default_configENS1_35radix_sort_onesweep_config_selectorIisEEZZNS1_29radix_sort_onesweep_iterationIS3_Lb0EN6thrust23THRUST_200600_302600_NS10device_ptrIiEESA_NS9_IsEESB_jNS0_19identity_decomposerENS1_16block_id_wrapperIjLb1EEEEE10hipError_tT1_PNSt15iterator_traitsISG_E10value_typeET2_T3_PNSH_ISM_E10value_typeET4_T5_PSR_SS_PNS1_23onesweep_lookback_stateEbbT6_jjT7_P12ihipStream_tbENKUlT_T0_SG_SL_E_clISA_PiSB_PsEEDaSZ_S10_SG_SL_EUlSZ_E_NS1_11comp_targetILNS1_3genE10ELNS1_11target_archE1201ELNS1_3gpuE5ELNS1_3repE0EEENS1_47radix_sort_onesweep_sort_config_static_selectorELNS0_4arch9wavefront6targetE1EEEvSG_
	.p2align	8
	.type	_ZN7rocprim17ROCPRIM_400000_NS6detail17trampoline_kernelINS0_14default_configENS1_35radix_sort_onesweep_config_selectorIisEEZZNS1_29radix_sort_onesweep_iterationIS3_Lb0EN6thrust23THRUST_200600_302600_NS10device_ptrIiEESA_NS9_IsEESB_jNS0_19identity_decomposerENS1_16block_id_wrapperIjLb1EEEEE10hipError_tT1_PNSt15iterator_traitsISG_E10value_typeET2_T3_PNSH_ISM_E10value_typeET4_T5_PSR_SS_PNS1_23onesweep_lookback_stateEbbT6_jjT7_P12ihipStream_tbENKUlT_T0_SG_SL_E_clISA_PiSB_PsEEDaSZ_S10_SG_SL_EUlSZ_E_NS1_11comp_targetILNS1_3genE10ELNS1_11target_archE1201ELNS1_3gpuE5ELNS1_3repE0EEENS1_47radix_sort_onesweep_sort_config_static_selectorELNS0_4arch9wavefront6targetE1EEEvSG_,@function
_ZN7rocprim17ROCPRIM_400000_NS6detail17trampoline_kernelINS0_14default_configENS1_35radix_sort_onesweep_config_selectorIisEEZZNS1_29radix_sort_onesweep_iterationIS3_Lb0EN6thrust23THRUST_200600_302600_NS10device_ptrIiEESA_NS9_IsEESB_jNS0_19identity_decomposerENS1_16block_id_wrapperIjLb1EEEEE10hipError_tT1_PNSt15iterator_traitsISG_E10value_typeET2_T3_PNSH_ISM_E10value_typeET4_T5_PSR_SS_PNS1_23onesweep_lookback_stateEbbT6_jjT7_P12ihipStream_tbENKUlT_T0_SG_SL_E_clISA_PiSB_PsEEDaSZ_S10_SG_SL_EUlSZ_E_NS1_11comp_targetILNS1_3genE10ELNS1_11target_archE1201ELNS1_3gpuE5ELNS1_3repE0EEENS1_47radix_sort_onesweep_sort_config_static_selectorELNS0_4arch9wavefront6targetE1EEEvSG_: ; @_ZN7rocprim17ROCPRIM_400000_NS6detail17trampoline_kernelINS0_14default_configENS1_35radix_sort_onesweep_config_selectorIisEEZZNS1_29radix_sort_onesweep_iterationIS3_Lb0EN6thrust23THRUST_200600_302600_NS10device_ptrIiEESA_NS9_IsEESB_jNS0_19identity_decomposerENS1_16block_id_wrapperIjLb1EEEEE10hipError_tT1_PNSt15iterator_traitsISG_E10value_typeET2_T3_PNSH_ISM_E10value_typeET4_T5_PSR_SS_PNS1_23onesweep_lookback_stateEbbT6_jjT7_P12ihipStream_tbENKUlT_T0_SG_SL_E_clISA_PiSB_PsEEDaSZ_S10_SG_SL_EUlSZ_E_NS1_11comp_targetILNS1_3genE10ELNS1_11target_archE1201ELNS1_3gpuE5ELNS1_3repE0EEENS1_47radix_sort_onesweep_sort_config_static_selectorELNS0_4arch9wavefront6targetE1EEEvSG_
; %bb.0:
	.section	.rodata,"a",@progbits
	.p2align	6, 0x0
	.amdhsa_kernel _ZN7rocprim17ROCPRIM_400000_NS6detail17trampoline_kernelINS0_14default_configENS1_35radix_sort_onesweep_config_selectorIisEEZZNS1_29radix_sort_onesweep_iterationIS3_Lb0EN6thrust23THRUST_200600_302600_NS10device_ptrIiEESA_NS9_IsEESB_jNS0_19identity_decomposerENS1_16block_id_wrapperIjLb1EEEEE10hipError_tT1_PNSt15iterator_traitsISG_E10value_typeET2_T3_PNSH_ISM_E10value_typeET4_T5_PSR_SS_PNS1_23onesweep_lookback_stateEbbT6_jjT7_P12ihipStream_tbENKUlT_T0_SG_SL_E_clISA_PiSB_PsEEDaSZ_S10_SG_SL_EUlSZ_E_NS1_11comp_targetILNS1_3genE10ELNS1_11target_archE1201ELNS1_3gpuE5ELNS1_3repE0EEENS1_47radix_sort_onesweep_sort_config_static_selectorELNS0_4arch9wavefront6targetE1EEEvSG_
		.amdhsa_group_segment_fixed_size 0
		.amdhsa_private_segment_fixed_size 0
		.amdhsa_kernarg_size 88
		.amdhsa_user_sgpr_count 2
		.amdhsa_user_sgpr_dispatch_ptr 0
		.amdhsa_user_sgpr_queue_ptr 0
		.amdhsa_user_sgpr_kernarg_segment_ptr 1
		.amdhsa_user_sgpr_dispatch_id 0
		.amdhsa_user_sgpr_kernarg_preload_length 0
		.amdhsa_user_sgpr_kernarg_preload_offset 0
		.amdhsa_user_sgpr_private_segment_size 0
		.amdhsa_uses_dynamic_stack 0
		.amdhsa_enable_private_segment 0
		.amdhsa_system_sgpr_workgroup_id_x 1
		.amdhsa_system_sgpr_workgroup_id_y 0
		.amdhsa_system_sgpr_workgroup_id_z 0
		.amdhsa_system_sgpr_workgroup_info 0
		.amdhsa_system_vgpr_workitem_id 0
		.amdhsa_next_free_vgpr 1
		.amdhsa_next_free_sgpr 0
		.amdhsa_accum_offset 4
		.amdhsa_reserve_vcc 0
		.amdhsa_float_round_mode_32 0
		.amdhsa_float_round_mode_16_64 0
		.amdhsa_float_denorm_mode_32 3
		.amdhsa_float_denorm_mode_16_64 3
		.amdhsa_dx10_clamp 1
		.amdhsa_ieee_mode 1
		.amdhsa_fp16_overflow 0
		.amdhsa_tg_split 0
		.amdhsa_exception_fp_ieee_invalid_op 0
		.amdhsa_exception_fp_denorm_src 0
		.amdhsa_exception_fp_ieee_div_zero 0
		.amdhsa_exception_fp_ieee_overflow 0
		.amdhsa_exception_fp_ieee_underflow 0
		.amdhsa_exception_fp_ieee_inexact 0
		.amdhsa_exception_int_div_zero 0
	.end_amdhsa_kernel
	.section	.text._ZN7rocprim17ROCPRIM_400000_NS6detail17trampoline_kernelINS0_14default_configENS1_35radix_sort_onesweep_config_selectorIisEEZZNS1_29radix_sort_onesweep_iterationIS3_Lb0EN6thrust23THRUST_200600_302600_NS10device_ptrIiEESA_NS9_IsEESB_jNS0_19identity_decomposerENS1_16block_id_wrapperIjLb1EEEEE10hipError_tT1_PNSt15iterator_traitsISG_E10value_typeET2_T3_PNSH_ISM_E10value_typeET4_T5_PSR_SS_PNS1_23onesweep_lookback_stateEbbT6_jjT7_P12ihipStream_tbENKUlT_T0_SG_SL_E_clISA_PiSB_PsEEDaSZ_S10_SG_SL_EUlSZ_E_NS1_11comp_targetILNS1_3genE10ELNS1_11target_archE1201ELNS1_3gpuE5ELNS1_3repE0EEENS1_47radix_sort_onesweep_sort_config_static_selectorELNS0_4arch9wavefront6targetE1EEEvSG_,"axG",@progbits,_ZN7rocprim17ROCPRIM_400000_NS6detail17trampoline_kernelINS0_14default_configENS1_35radix_sort_onesweep_config_selectorIisEEZZNS1_29radix_sort_onesweep_iterationIS3_Lb0EN6thrust23THRUST_200600_302600_NS10device_ptrIiEESA_NS9_IsEESB_jNS0_19identity_decomposerENS1_16block_id_wrapperIjLb1EEEEE10hipError_tT1_PNSt15iterator_traitsISG_E10value_typeET2_T3_PNSH_ISM_E10value_typeET4_T5_PSR_SS_PNS1_23onesweep_lookback_stateEbbT6_jjT7_P12ihipStream_tbENKUlT_T0_SG_SL_E_clISA_PiSB_PsEEDaSZ_S10_SG_SL_EUlSZ_E_NS1_11comp_targetILNS1_3genE10ELNS1_11target_archE1201ELNS1_3gpuE5ELNS1_3repE0EEENS1_47radix_sort_onesweep_sort_config_static_selectorELNS0_4arch9wavefront6targetE1EEEvSG_,comdat
.Lfunc_end2455:
	.size	_ZN7rocprim17ROCPRIM_400000_NS6detail17trampoline_kernelINS0_14default_configENS1_35radix_sort_onesweep_config_selectorIisEEZZNS1_29radix_sort_onesweep_iterationIS3_Lb0EN6thrust23THRUST_200600_302600_NS10device_ptrIiEESA_NS9_IsEESB_jNS0_19identity_decomposerENS1_16block_id_wrapperIjLb1EEEEE10hipError_tT1_PNSt15iterator_traitsISG_E10value_typeET2_T3_PNSH_ISM_E10value_typeET4_T5_PSR_SS_PNS1_23onesweep_lookback_stateEbbT6_jjT7_P12ihipStream_tbENKUlT_T0_SG_SL_E_clISA_PiSB_PsEEDaSZ_S10_SG_SL_EUlSZ_E_NS1_11comp_targetILNS1_3genE10ELNS1_11target_archE1201ELNS1_3gpuE5ELNS1_3repE0EEENS1_47radix_sort_onesweep_sort_config_static_selectorELNS0_4arch9wavefront6targetE1EEEvSG_, .Lfunc_end2455-_ZN7rocprim17ROCPRIM_400000_NS6detail17trampoline_kernelINS0_14default_configENS1_35radix_sort_onesweep_config_selectorIisEEZZNS1_29radix_sort_onesweep_iterationIS3_Lb0EN6thrust23THRUST_200600_302600_NS10device_ptrIiEESA_NS9_IsEESB_jNS0_19identity_decomposerENS1_16block_id_wrapperIjLb1EEEEE10hipError_tT1_PNSt15iterator_traitsISG_E10value_typeET2_T3_PNSH_ISM_E10value_typeET4_T5_PSR_SS_PNS1_23onesweep_lookback_stateEbbT6_jjT7_P12ihipStream_tbENKUlT_T0_SG_SL_E_clISA_PiSB_PsEEDaSZ_S10_SG_SL_EUlSZ_E_NS1_11comp_targetILNS1_3genE10ELNS1_11target_archE1201ELNS1_3gpuE5ELNS1_3repE0EEENS1_47radix_sort_onesweep_sort_config_static_selectorELNS0_4arch9wavefront6targetE1EEEvSG_
                                        ; -- End function
	.set _ZN7rocprim17ROCPRIM_400000_NS6detail17trampoline_kernelINS0_14default_configENS1_35radix_sort_onesweep_config_selectorIisEEZZNS1_29radix_sort_onesweep_iterationIS3_Lb0EN6thrust23THRUST_200600_302600_NS10device_ptrIiEESA_NS9_IsEESB_jNS0_19identity_decomposerENS1_16block_id_wrapperIjLb1EEEEE10hipError_tT1_PNSt15iterator_traitsISG_E10value_typeET2_T3_PNSH_ISM_E10value_typeET4_T5_PSR_SS_PNS1_23onesweep_lookback_stateEbbT6_jjT7_P12ihipStream_tbENKUlT_T0_SG_SL_E_clISA_PiSB_PsEEDaSZ_S10_SG_SL_EUlSZ_E_NS1_11comp_targetILNS1_3genE10ELNS1_11target_archE1201ELNS1_3gpuE5ELNS1_3repE0EEENS1_47radix_sort_onesweep_sort_config_static_selectorELNS0_4arch9wavefront6targetE1EEEvSG_.num_vgpr, 0
	.set _ZN7rocprim17ROCPRIM_400000_NS6detail17trampoline_kernelINS0_14default_configENS1_35radix_sort_onesweep_config_selectorIisEEZZNS1_29radix_sort_onesweep_iterationIS3_Lb0EN6thrust23THRUST_200600_302600_NS10device_ptrIiEESA_NS9_IsEESB_jNS0_19identity_decomposerENS1_16block_id_wrapperIjLb1EEEEE10hipError_tT1_PNSt15iterator_traitsISG_E10value_typeET2_T3_PNSH_ISM_E10value_typeET4_T5_PSR_SS_PNS1_23onesweep_lookback_stateEbbT6_jjT7_P12ihipStream_tbENKUlT_T0_SG_SL_E_clISA_PiSB_PsEEDaSZ_S10_SG_SL_EUlSZ_E_NS1_11comp_targetILNS1_3genE10ELNS1_11target_archE1201ELNS1_3gpuE5ELNS1_3repE0EEENS1_47radix_sort_onesweep_sort_config_static_selectorELNS0_4arch9wavefront6targetE1EEEvSG_.num_agpr, 0
	.set _ZN7rocprim17ROCPRIM_400000_NS6detail17trampoline_kernelINS0_14default_configENS1_35radix_sort_onesweep_config_selectorIisEEZZNS1_29radix_sort_onesweep_iterationIS3_Lb0EN6thrust23THRUST_200600_302600_NS10device_ptrIiEESA_NS9_IsEESB_jNS0_19identity_decomposerENS1_16block_id_wrapperIjLb1EEEEE10hipError_tT1_PNSt15iterator_traitsISG_E10value_typeET2_T3_PNSH_ISM_E10value_typeET4_T5_PSR_SS_PNS1_23onesweep_lookback_stateEbbT6_jjT7_P12ihipStream_tbENKUlT_T0_SG_SL_E_clISA_PiSB_PsEEDaSZ_S10_SG_SL_EUlSZ_E_NS1_11comp_targetILNS1_3genE10ELNS1_11target_archE1201ELNS1_3gpuE5ELNS1_3repE0EEENS1_47radix_sort_onesweep_sort_config_static_selectorELNS0_4arch9wavefront6targetE1EEEvSG_.numbered_sgpr, 0
	.set _ZN7rocprim17ROCPRIM_400000_NS6detail17trampoline_kernelINS0_14default_configENS1_35radix_sort_onesweep_config_selectorIisEEZZNS1_29radix_sort_onesweep_iterationIS3_Lb0EN6thrust23THRUST_200600_302600_NS10device_ptrIiEESA_NS9_IsEESB_jNS0_19identity_decomposerENS1_16block_id_wrapperIjLb1EEEEE10hipError_tT1_PNSt15iterator_traitsISG_E10value_typeET2_T3_PNSH_ISM_E10value_typeET4_T5_PSR_SS_PNS1_23onesweep_lookback_stateEbbT6_jjT7_P12ihipStream_tbENKUlT_T0_SG_SL_E_clISA_PiSB_PsEEDaSZ_S10_SG_SL_EUlSZ_E_NS1_11comp_targetILNS1_3genE10ELNS1_11target_archE1201ELNS1_3gpuE5ELNS1_3repE0EEENS1_47radix_sort_onesweep_sort_config_static_selectorELNS0_4arch9wavefront6targetE1EEEvSG_.num_named_barrier, 0
	.set _ZN7rocprim17ROCPRIM_400000_NS6detail17trampoline_kernelINS0_14default_configENS1_35radix_sort_onesweep_config_selectorIisEEZZNS1_29radix_sort_onesweep_iterationIS3_Lb0EN6thrust23THRUST_200600_302600_NS10device_ptrIiEESA_NS9_IsEESB_jNS0_19identity_decomposerENS1_16block_id_wrapperIjLb1EEEEE10hipError_tT1_PNSt15iterator_traitsISG_E10value_typeET2_T3_PNSH_ISM_E10value_typeET4_T5_PSR_SS_PNS1_23onesweep_lookback_stateEbbT6_jjT7_P12ihipStream_tbENKUlT_T0_SG_SL_E_clISA_PiSB_PsEEDaSZ_S10_SG_SL_EUlSZ_E_NS1_11comp_targetILNS1_3genE10ELNS1_11target_archE1201ELNS1_3gpuE5ELNS1_3repE0EEENS1_47radix_sort_onesweep_sort_config_static_selectorELNS0_4arch9wavefront6targetE1EEEvSG_.private_seg_size, 0
	.set _ZN7rocprim17ROCPRIM_400000_NS6detail17trampoline_kernelINS0_14default_configENS1_35radix_sort_onesweep_config_selectorIisEEZZNS1_29radix_sort_onesweep_iterationIS3_Lb0EN6thrust23THRUST_200600_302600_NS10device_ptrIiEESA_NS9_IsEESB_jNS0_19identity_decomposerENS1_16block_id_wrapperIjLb1EEEEE10hipError_tT1_PNSt15iterator_traitsISG_E10value_typeET2_T3_PNSH_ISM_E10value_typeET4_T5_PSR_SS_PNS1_23onesweep_lookback_stateEbbT6_jjT7_P12ihipStream_tbENKUlT_T0_SG_SL_E_clISA_PiSB_PsEEDaSZ_S10_SG_SL_EUlSZ_E_NS1_11comp_targetILNS1_3genE10ELNS1_11target_archE1201ELNS1_3gpuE5ELNS1_3repE0EEENS1_47radix_sort_onesweep_sort_config_static_selectorELNS0_4arch9wavefront6targetE1EEEvSG_.uses_vcc, 0
	.set _ZN7rocprim17ROCPRIM_400000_NS6detail17trampoline_kernelINS0_14default_configENS1_35radix_sort_onesweep_config_selectorIisEEZZNS1_29radix_sort_onesweep_iterationIS3_Lb0EN6thrust23THRUST_200600_302600_NS10device_ptrIiEESA_NS9_IsEESB_jNS0_19identity_decomposerENS1_16block_id_wrapperIjLb1EEEEE10hipError_tT1_PNSt15iterator_traitsISG_E10value_typeET2_T3_PNSH_ISM_E10value_typeET4_T5_PSR_SS_PNS1_23onesweep_lookback_stateEbbT6_jjT7_P12ihipStream_tbENKUlT_T0_SG_SL_E_clISA_PiSB_PsEEDaSZ_S10_SG_SL_EUlSZ_E_NS1_11comp_targetILNS1_3genE10ELNS1_11target_archE1201ELNS1_3gpuE5ELNS1_3repE0EEENS1_47radix_sort_onesweep_sort_config_static_selectorELNS0_4arch9wavefront6targetE1EEEvSG_.uses_flat_scratch, 0
	.set _ZN7rocprim17ROCPRIM_400000_NS6detail17trampoline_kernelINS0_14default_configENS1_35radix_sort_onesweep_config_selectorIisEEZZNS1_29radix_sort_onesweep_iterationIS3_Lb0EN6thrust23THRUST_200600_302600_NS10device_ptrIiEESA_NS9_IsEESB_jNS0_19identity_decomposerENS1_16block_id_wrapperIjLb1EEEEE10hipError_tT1_PNSt15iterator_traitsISG_E10value_typeET2_T3_PNSH_ISM_E10value_typeET4_T5_PSR_SS_PNS1_23onesweep_lookback_stateEbbT6_jjT7_P12ihipStream_tbENKUlT_T0_SG_SL_E_clISA_PiSB_PsEEDaSZ_S10_SG_SL_EUlSZ_E_NS1_11comp_targetILNS1_3genE10ELNS1_11target_archE1201ELNS1_3gpuE5ELNS1_3repE0EEENS1_47radix_sort_onesweep_sort_config_static_selectorELNS0_4arch9wavefront6targetE1EEEvSG_.has_dyn_sized_stack, 0
	.set _ZN7rocprim17ROCPRIM_400000_NS6detail17trampoline_kernelINS0_14default_configENS1_35radix_sort_onesweep_config_selectorIisEEZZNS1_29radix_sort_onesweep_iterationIS3_Lb0EN6thrust23THRUST_200600_302600_NS10device_ptrIiEESA_NS9_IsEESB_jNS0_19identity_decomposerENS1_16block_id_wrapperIjLb1EEEEE10hipError_tT1_PNSt15iterator_traitsISG_E10value_typeET2_T3_PNSH_ISM_E10value_typeET4_T5_PSR_SS_PNS1_23onesweep_lookback_stateEbbT6_jjT7_P12ihipStream_tbENKUlT_T0_SG_SL_E_clISA_PiSB_PsEEDaSZ_S10_SG_SL_EUlSZ_E_NS1_11comp_targetILNS1_3genE10ELNS1_11target_archE1201ELNS1_3gpuE5ELNS1_3repE0EEENS1_47radix_sort_onesweep_sort_config_static_selectorELNS0_4arch9wavefront6targetE1EEEvSG_.has_recursion, 0
	.set _ZN7rocprim17ROCPRIM_400000_NS6detail17trampoline_kernelINS0_14default_configENS1_35radix_sort_onesweep_config_selectorIisEEZZNS1_29radix_sort_onesweep_iterationIS3_Lb0EN6thrust23THRUST_200600_302600_NS10device_ptrIiEESA_NS9_IsEESB_jNS0_19identity_decomposerENS1_16block_id_wrapperIjLb1EEEEE10hipError_tT1_PNSt15iterator_traitsISG_E10value_typeET2_T3_PNSH_ISM_E10value_typeET4_T5_PSR_SS_PNS1_23onesweep_lookback_stateEbbT6_jjT7_P12ihipStream_tbENKUlT_T0_SG_SL_E_clISA_PiSB_PsEEDaSZ_S10_SG_SL_EUlSZ_E_NS1_11comp_targetILNS1_3genE10ELNS1_11target_archE1201ELNS1_3gpuE5ELNS1_3repE0EEENS1_47radix_sort_onesweep_sort_config_static_selectorELNS0_4arch9wavefront6targetE1EEEvSG_.has_indirect_call, 0
	.section	.AMDGPU.csdata,"",@progbits
; Kernel info:
; codeLenInByte = 0
; TotalNumSgprs: 6
; NumVgprs: 0
; NumAgprs: 0
; TotalNumVgprs: 0
; ScratchSize: 0
; MemoryBound: 0
; FloatMode: 240
; IeeeMode: 1
; LDSByteSize: 0 bytes/workgroup (compile time only)
; SGPRBlocks: 0
; VGPRBlocks: 0
; NumSGPRsForWavesPerEU: 6
; NumVGPRsForWavesPerEU: 1
; AccumOffset: 4
; Occupancy: 8
; WaveLimiterHint : 0
; COMPUTE_PGM_RSRC2:SCRATCH_EN: 0
; COMPUTE_PGM_RSRC2:USER_SGPR: 2
; COMPUTE_PGM_RSRC2:TRAP_HANDLER: 0
; COMPUTE_PGM_RSRC2:TGID_X_EN: 1
; COMPUTE_PGM_RSRC2:TGID_Y_EN: 0
; COMPUTE_PGM_RSRC2:TGID_Z_EN: 0
; COMPUTE_PGM_RSRC2:TIDIG_COMP_CNT: 0
; COMPUTE_PGM_RSRC3_GFX90A:ACCUM_OFFSET: 0
; COMPUTE_PGM_RSRC3_GFX90A:TG_SPLIT: 0
	.section	.text._ZN7rocprim17ROCPRIM_400000_NS6detail17trampoline_kernelINS0_14default_configENS1_35radix_sort_onesweep_config_selectorIisEEZZNS1_29radix_sort_onesweep_iterationIS3_Lb0EN6thrust23THRUST_200600_302600_NS10device_ptrIiEESA_NS9_IsEESB_jNS0_19identity_decomposerENS1_16block_id_wrapperIjLb1EEEEE10hipError_tT1_PNSt15iterator_traitsISG_E10value_typeET2_T3_PNSH_ISM_E10value_typeET4_T5_PSR_SS_PNS1_23onesweep_lookback_stateEbbT6_jjT7_P12ihipStream_tbENKUlT_T0_SG_SL_E_clISA_PiSB_PsEEDaSZ_S10_SG_SL_EUlSZ_E_NS1_11comp_targetILNS1_3genE9ELNS1_11target_archE1100ELNS1_3gpuE3ELNS1_3repE0EEENS1_47radix_sort_onesweep_sort_config_static_selectorELNS0_4arch9wavefront6targetE1EEEvSG_,"axG",@progbits,_ZN7rocprim17ROCPRIM_400000_NS6detail17trampoline_kernelINS0_14default_configENS1_35radix_sort_onesweep_config_selectorIisEEZZNS1_29radix_sort_onesweep_iterationIS3_Lb0EN6thrust23THRUST_200600_302600_NS10device_ptrIiEESA_NS9_IsEESB_jNS0_19identity_decomposerENS1_16block_id_wrapperIjLb1EEEEE10hipError_tT1_PNSt15iterator_traitsISG_E10value_typeET2_T3_PNSH_ISM_E10value_typeET4_T5_PSR_SS_PNS1_23onesweep_lookback_stateEbbT6_jjT7_P12ihipStream_tbENKUlT_T0_SG_SL_E_clISA_PiSB_PsEEDaSZ_S10_SG_SL_EUlSZ_E_NS1_11comp_targetILNS1_3genE9ELNS1_11target_archE1100ELNS1_3gpuE3ELNS1_3repE0EEENS1_47radix_sort_onesweep_sort_config_static_selectorELNS0_4arch9wavefront6targetE1EEEvSG_,comdat
	.protected	_ZN7rocprim17ROCPRIM_400000_NS6detail17trampoline_kernelINS0_14default_configENS1_35radix_sort_onesweep_config_selectorIisEEZZNS1_29radix_sort_onesweep_iterationIS3_Lb0EN6thrust23THRUST_200600_302600_NS10device_ptrIiEESA_NS9_IsEESB_jNS0_19identity_decomposerENS1_16block_id_wrapperIjLb1EEEEE10hipError_tT1_PNSt15iterator_traitsISG_E10value_typeET2_T3_PNSH_ISM_E10value_typeET4_T5_PSR_SS_PNS1_23onesweep_lookback_stateEbbT6_jjT7_P12ihipStream_tbENKUlT_T0_SG_SL_E_clISA_PiSB_PsEEDaSZ_S10_SG_SL_EUlSZ_E_NS1_11comp_targetILNS1_3genE9ELNS1_11target_archE1100ELNS1_3gpuE3ELNS1_3repE0EEENS1_47radix_sort_onesweep_sort_config_static_selectorELNS0_4arch9wavefront6targetE1EEEvSG_ ; -- Begin function _ZN7rocprim17ROCPRIM_400000_NS6detail17trampoline_kernelINS0_14default_configENS1_35radix_sort_onesweep_config_selectorIisEEZZNS1_29radix_sort_onesweep_iterationIS3_Lb0EN6thrust23THRUST_200600_302600_NS10device_ptrIiEESA_NS9_IsEESB_jNS0_19identity_decomposerENS1_16block_id_wrapperIjLb1EEEEE10hipError_tT1_PNSt15iterator_traitsISG_E10value_typeET2_T3_PNSH_ISM_E10value_typeET4_T5_PSR_SS_PNS1_23onesweep_lookback_stateEbbT6_jjT7_P12ihipStream_tbENKUlT_T0_SG_SL_E_clISA_PiSB_PsEEDaSZ_S10_SG_SL_EUlSZ_E_NS1_11comp_targetILNS1_3genE9ELNS1_11target_archE1100ELNS1_3gpuE3ELNS1_3repE0EEENS1_47radix_sort_onesweep_sort_config_static_selectorELNS0_4arch9wavefront6targetE1EEEvSG_
	.globl	_ZN7rocprim17ROCPRIM_400000_NS6detail17trampoline_kernelINS0_14default_configENS1_35radix_sort_onesweep_config_selectorIisEEZZNS1_29radix_sort_onesweep_iterationIS3_Lb0EN6thrust23THRUST_200600_302600_NS10device_ptrIiEESA_NS9_IsEESB_jNS0_19identity_decomposerENS1_16block_id_wrapperIjLb1EEEEE10hipError_tT1_PNSt15iterator_traitsISG_E10value_typeET2_T3_PNSH_ISM_E10value_typeET4_T5_PSR_SS_PNS1_23onesweep_lookback_stateEbbT6_jjT7_P12ihipStream_tbENKUlT_T0_SG_SL_E_clISA_PiSB_PsEEDaSZ_S10_SG_SL_EUlSZ_E_NS1_11comp_targetILNS1_3genE9ELNS1_11target_archE1100ELNS1_3gpuE3ELNS1_3repE0EEENS1_47radix_sort_onesweep_sort_config_static_selectorELNS0_4arch9wavefront6targetE1EEEvSG_
	.p2align	8
	.type	_ZN7rocprim17ROCPRIM_400000_NS6detail17trampoline_kernelINS0_14default_configENS1_35radix_sort_onesweep_config_selectorIisEEZZNS1_29radix_sort_onesweep_iterationIS3_Lb0EN6thrust23THRUST_200600_302600_NS10device_ptrIiEESA_NS9_IsEESB_jNS0_19identity_decomposerENS1_16block_id_wrapperIjLb1EEEEE10hipError_tT1_PNSt15iterator_traitsISG_E10value_typeET2_T3_PNSH_ISM_E10value_typeET4_T5_PSR_SS_PNS1_23onesweep_lookback_stateEbbT6_jjT7_P12ihipStream_tbENKUlT_T0_SG_SL_E_clISA_PiSB_PsEEDaSZ_S10_SG_SL_EUlSZ_E_NS1_11comp_targetILNS1_3genE9ELNS1_11target_archE1100ELNS1_3gpuE3ELNS1_3repE0EEENS1_47radix_sort_onesweep_sort_config_static_selectorELNS0_4arch9wavefront6targetE1EEEvSG_,@function
_ZN7rocprim17ROCPRIM_400000_NS6detail17trampoline_kernelINS0_14default_configENS1_35radix_sort_onesweep_config_selectorIisEEZZNS1_29radix_sort_onesweep_iterationIS3_Lb0EN6thrust23THRUST_200600_302600_NS10device_ptrIiEESA_NS9_IsEESB_jNS0_19identity_decomposerENS1_16block_id_wrapperIjLb1EEEEE10hipError_tT1_PNSt15iterator_traitsISG_E10value_typeET2_T3_PNSH_ISM_E10value_typeET4_T5_PSR_SS_PNS1_23onesweep_lookback_stateEbbT6_jjT7_P12ihipStream_tbENKUlT_T0_SG_SL_E_clISA_PiSB_PsEEDaSZ_S10_SG_SL_EUlSZ_E_NS1_11comp_targetILNS1_3genE9ELNS1_11target_archE1100ELNS1_3gpuE3ELNS1_3repE0EEENS1_47radix_sort_onesweep_sort_config_static_selectorELNS0_4arch9wavefront6targetE1EEEvSG_: ; @_ZN7rocprim17ROCPRIM_400000_NS6detail17trampoline_kernelINS0_14default_configENS1_35radix_sort_onesweep_config_selectorIisEEZZNS1_29radix_sort_onesweep_iterationIS3_Lb0EN6thrust23THRUST_200600_302600_NS10device_ptrIiEESA_NS9_IsEESB_jNS0_19identity_decomposerENS1_16block_id_wrapperIjLb1EEEEE10hipError_tT1_PNSt15iterator_traitsISG_E10value_typeET2_T3_PNSH_ISM_E10value_typeET4_T5_PSR_SS_PNS1_23onesweep_lookback_stateEbbT6_jjT7_P12ihipStream_tbENKUlT_T0_SG_SL_E_clISA_PiSB_PsEEDaSZ_S10_SG_SL_EUlSZ_E_NS1_11comp_targetILNS1_3genE9ELNS1_11target_archE1100ELNS1_3gpuE3ELNS1_3repE0EEENS1_47radix_sort_onesweep_sort_config_static_selectorELNS0_4arch9wavefront6targetE1EEEvSG_
; %bb.0:
	.section	.rodata,"a",@progbits
	.p2align	6, 0x0
	.amdhsa_kernel _ZN7rocprim17ROCPRIM_400000_NS6detail17trampoline_kernelINS0_14default_configENS1_35radix_sort_onesweep_config_selectorIisEEZZNS1_29radix_sort_onesweep_iterationIS3_Lb0EN6thrust23THRUST_200600_302600_NS10device_ptrIiEESA_NS9_IsEESB_jNS0_19identity_decomposerENS1_16block_id_wrapperIjLb1EEEEE10hipError_tT1_PNSt15iterator_traitsISG_E10value_typeET2_T3_PNSH_ISM_E10value_typeET4_T5_PSR_SS_PNS1_23onesweep_lookback_stateEbbT6_jjT7_P12ihipStream_tbENKUlT_T0_SG_SL_E_clISA_PiSB_PsEEDaSZ_S10_SG_SL_EUlSZ_E_NS1_11comp_targetILNS1_3genE9ELNS1_11target_archE1100ELNS1_3gpuE3ELNS1_3repE0EEENS1_47radix_sort_onesweep_sort_config_static_selectorELNS0_4arch9wavefront6targetE1EEEvSG_
		.amdhsa_group_segment_fixed_size 0
		.amdhsa_private_segment_fixed_size 0
		.amdhsa_kernarg_size 88
		.amdhsa_user_sgpr_count 2
		.amdhsa_user_sgpr_dispatch_ptr 0
		.amdhsa_user_sgpr_queue_ptr 0
		.amdhsa_user_sgpr_kernarg_segment_ptr 1
		.amdhsa_user_sgpr_dispatch_id 0
		.amdhsa_user_sgpr_kernarg_preload_length 0
		.amdhsa_user_sgpr_kernarg_preload_offset 0
		.amdhsa_user_sgpr_private_segment_size 0
		.amdhsa_uses_dynamic_stack 0
		.amdhsa_enable_private_segment 0
		.amdhsa_system_sgpr_workgroup_id_x 1
		.amdhsa_system_sgpr_workgroup_id_y 0
		.amdhsa_system_sgpr_workgroup_id_z 0
		.amdhsa_system_sgpr_workgroup_info 0
		.amdhsa_system_vgpr_workitem_id 0
		.amdhsa_next_free_vgpr 1
		.amdhsa_next_free_sgpr 0
		.amdhsa_accum_offset 4
		.amdhsa_reserve_vcc 0
		.amdhsa_float_round_mode_32 0
		.amdhsa_float_round_mode_16_64 0
		.amdhsa_float_denorm_mode_32 3
		.amdhsa_float_denorm_mode_16_64 3
		.amdhsa_dx10_clamp 1
		.amdhsa_ieee_mode 1
		.amdhsa_fp16_overflow 0
		.amdhsa_tg_split 0
		.amdhsa_exception_fp_ieee_invalid_op 0
		.amdhsa_exception_fp_denorm_src 0
		.amdhsa_exception_fp_ieee_div_zero 0
		.amdhsa_exception_fp_ieee_overflow 0
		.amdhsa_exception_fp_ieee_underflow 0
		.amdhsa_exception_fp_ieee_inexact 0
		.amdhsa_exception_int_div_zero 0
	.end_amdhsa_kernel
	.section	.text._ZN7rocprim17ROCPRIM_400000_NS6detail17trampoline_kernelINS0_14default_configENS1_35radix_sort_onesweep_config_selectorIisEEZZNS1_29radix_sort_onesweep_iterationIS3_Lb0EN6thrust23THRUST_200600_302600_NS10device_ptrIiEESA_NS9_IsEESB_jNS0_19identity_decomposerENS1_16block_id_wrapperIjLb1EEEEE10hipError_tT1_PNSt15iterator_traitsISG_E10value_typeET2_T3_PNSH_ISM_E10value_typeET4_T5_PSR_SS_PNS1_23onesweep_lookback_stateEbbT6_jjT7_P12ihipStream_tbENKUlT_T0_SG_SL_E_clISA_PiSB_PsEEDaSZ_S10_SG_SL_EUlSZ_E_NS1_11comp_targetILNS1_3genE9ELNS1_11target_archE1100ELNS1_3gpuE3ELNS1_3repE0EEENS1_47radix_sort_onesweep_sort_config_static_selectorELNS0_4arch9wavefront6targetE1EEEvSG_,"axG",@progbits,_ZN7rocprim17ROCPRIM_400000_NS6detail17trampoline_kernelINS0_14default_configENS1_35radix_sort_onesweep_config_selectorIisEEZZNS1_29radix_sort_onesweep_iterationIS3_Lb0EN6thrust23THRUST_200600_302600_NS10device_ptrIiEESA_NS9_IsEESB_jNS0_19identity_decomposerENS1_16block_id_wrapperIjLb1EEEEE10hipError_tT1_PNSt15iterator_traitsISG_E10value_typeET2_T3_PNSH_ISM_E10value_typeET4_T5_PSR_SS_PNS1_23onesweep_lookback_stateEbbT6_jjT7_P12ihipStream_tbENKUlT_T0_SG_SL_E_clISA_PiSB_PsEEDaSZ_S10_SG_SL_EUlSZ_E_NS1_11comp_targetILNS1_3genE9ELNS1_11target_archE1100ELNS1_3gpuE3ELNS1_3repE0EEENS1_47radix_sort_onesweep_sort_config_static_selectorELNS0_4arch9wavefront6targetE1EEEvSG_,comdat
.Lfunc_end2456:
	.size	_ZN7rocprim17ROCPRIM_400000_NS6detail17trampoline_kernelINS0_14default_configENS1_35radix_sort_onesweep_config_selectorIisEEZZNS1_29radix_sort_onesweep_iterationIS3_Lb0EN6thrust23THRUST_200600_302600_NS10device_ptrIiEESA_NS9_IsEESB_jNS0_19identity_decomposerENS1_16block_id_wrapperIjLb1EEEEE10hipError_tT1_PNSt15iterator_traitsISG_E10value_typeET2_T3_PNSH_ISM_E10value_typeET4_T5_PSR_SS_PNS1_23onesweep_lookback_stateEbbT6_jjT7_P12ihipStream_tbENKUlT_T0_SG_SL_E_clISA_PiSB_PsEEDaSZ_S10_SG_SL_EUlSZ_E_NS1_11comp_targetILNS1_3genE9ELNS1_11target_archE1100ELNS1_3gpuE3ELNS1_3repE0EEENS1_47radix_sort_onesweep_sort_config_static_selectorELNS0_4arch9wavefront6targetE1EEEvSG_, .Lfunc_end2456-_ZN7rocprim17ROCPRIM_400000_NS6detail17trampoline_kernelINS0_14default_configENS1_35radix_sort_onesweep_config_selectorIisEEZZNS1_29radix_sort_onesweep_iterationIS3_Lb0EN6thrust23THRUST_200600_302600_NS10device_ptrIiEESA_NS9_IsEESB_jNS0_19identity_decomposerENS1_16block_id_wrapperIjLb1EEEEE10hipError_tT1_PNSt15iterator_traitsISG_E10value_typeET2_T3_PNSH_ISM_E10value_typeET4_T5_PSR_SS_PNS1_23onesweep_lookback_stateEbbT6_jjT7_P12ihipStream_tbENKUlT_T0_SG_SL_E_clISA_PiSB_PsEEDaSZ_S10_SG_SL_EUlSZ_E_NS1_11comp_targetILNS1_3genE9ELNS1_11target_archE1100ELNS1_3gpuE3ELNS1_3repE0EEENS1_47radix_sort_onesweep_sort_config_static_selectorELNS0_4arch9wavefront6targetE1EEEvSG_
                                        ; -- End function
	.set _ZN7rocprim17ROCPRIM_400000_NS6detail17trampoline_kernelINS0_14default_configENS1_35radix_sort_onesweep_config_selectorIisEEZZNS1_29radix_sort_onesweep_iterationIS3_Lb0EN6thrust23THRUST_200600_302600_NS10device_ptrIiEESA_NS9_IsEESB_jNS0_19identity_decomposerENS1_16block_id_wrapperIjLb1EEEEE10hipError_tT1_PNSt15iterator_traitsISG_E10value_typeET2_T3_PNSH_ISM_E10value_typeET4_T5_PSR_SS_PNS1_23onesweep_lookback_stateEbbT6_jjT7_P12ihipStream_tbENKUlT_T0_SG_SL_E_clISA_PiSB_PsEEDaSZ_S10_SG_SL_EUlSZ_E_NS1_11comp_targetILNS1_3genE9ELNS1_11target_archE1100ELNS1_3gpuE3ELNS1_3repE0EEENS1_47radix_sort_onesweep_sort_config_static_selectorELNS0_4arch9wavefront6targetE1EEEvSG_.num_vgpr, 0
	.set _ZN7rocprim17ROCPRIM_400000_NS6detail17trampoline_kernelINS0_14default_configENS1_35radix_sort_onesweep_config_selectorIisEEZZNS1_29radix_sort_onesweep_iterationIS3_Lb0EN6thrust23THRUST_200600_302600_NS10device_ptrIiEESA_NS9_IsEESB_jNS0_19identity_decomposerENS1_16block_id_wrapperIjLb1EEEEE10hipError_tT1_PNSt15iterator_traitsISG_E10value_typeET2_T3_PNSH_ISM_E10value_typeET4_T5_PSR_SS_PNS1_23onesweep_lookback_stateEbbT6_jjT7_P12ihipStream_tbENKUlT_T0_SG_SL_E_clISA_PiSB_PsEEDaSZ_S10_SG_SL_EUlSZ_E_NS1_11comp_targetILNS1_3genE9ELNS1_11target_archE1100ELNS1_3gpuE3ELNS1_3repE0EEENS1_47radix_sort_onesweep_sort_config_static_selectorELNS0_4arch9wavefront6targetE1EEEvSG_.num_agpr, 0
	.set _ZN7rocprim17ROCPRIM_400000_NS6detail17trampoline_kernelINS0_14default_configENS1_35radix_sort_onesweep_config_selectorIisEEZZNS1_29radix_sort_onesweep_iterationIS3_Lb0EN6thrust23THRUST_200600_302600_NS10device_ptrIiEESA_NS9_IsEESB_jNS0_19identity_decomposerENS1_16block_id_wrapperIjLb1EEEEE10hipError_tT1_PNSt15iterator_traitsISG_E10value_typeET2_T3_PNSH_ISM_E10value_typeET4_T5_PSR_SS_PNS1_23onesweep_lookback_stateEbbT6_jjT7_P12ihipStream_tbENKUlT_T0_SG_SL_E_clISA_PiSB_PsEEDaSZ_S10_SG_SL_EUlSZ_E_NS1_11comp_targetILNS1_3genE9ELNS1_11target_archE1100ELNS1_3gpuE3ELNS1_3repE0EEENS1_47radix_sort_onesweep_sort_config_static_selectorELNS0_4arch9wavefront6targetE1EEEvSG_.numbered_sgpr, 0
	.set _ZN7rocprim17ROCPRIM_400000_NS6detail17trampoline_kernelINS0_14default_configENS1_35radix_sort_onesweep_config_selectorIisEEZZNS1_29radix_sort_onesweep_iterationIS3_Lb0EN6thrust23THRUST_200600_302600_NS10device_ptrIiEESA_NS9_IsEESB_jNS0_19identity_decomposerENS1_16block_id_wrapperIjLb1EEEEE10hipError_tT1_PNSt15iterator_traitsISG_E10value_typeET2_T3_PNSH_ISM_E10value_typeET4_T5_PSR_SS_PNS1_23onesweep_lookback_stateEbbT6_jjT7_P12ihipStream_tbENKUlT_T0_SG_SL_E_clISA_PiSB_PsEEDaSZ_S10_SG_SL_EUlSZ_E_NS1_11comp_targetILNS1_3genE9ELNS1_11target_archE1100ELNS1_3gpuE3ELNS1_3repE0EEENS1_47radix_sort_onesweep_sort_config_static_selectorELNS0_4arch9wavefront6targetE1EEEvSG_.num_named_barrier, 0
	.set _ZN7rocprim17ROCPRIM_400000_NS6detail17trampoline_kernelINS0_14default_configENS1_35radix_sort_onesweep_config_selectorIisEEZZNS1_29radix_sort_onesweep_iterationIS3_Lb0EN6thrust23THRUST_200600_302600_NS10device_ptrIiEESA_NS9_IsEESB_jNS0_19identity_decomposerENS1_16block_id_wrapperIjLb1EEEEE10hipError_tT1_PNSt15iterator_traitsISG_E10value_typeET2_T3_PNSH_ISM_E10value_typeET4_T5_PSR_SS_PNS1_23onesweep_lookback_stateEbbT6_jjT7_P12ihipStream_tbENKUlT_T0_SG_SL_E_clISA_PiSB_PsEEDaSZ_S10_SG_SL_EUlSZ_E_NS1_11comp_targetILNS1_3genE9ELNS1_11target_archE1100ELNS1_3gpuE3ELNS1_3repE0EEENS1_47radix_sort_onesweep_sort_config_static_selectorELNS0_4arch9wavefront6targetE1EEEvSG_.private_seg_size, 0
	.set _ZN7rocprim17ROCPRIM_400000_NS6detail17trampoline_kernelINS0_14default_configENS1_35radix_sort_onesweep_config_selectorIisEEZZNS1_29radix_sort_onesweep_iterationIS3_Lb0EN6thrust23THRUST_200600_302600_NS10device_ptrIiEESA_NS9_IsEESB_jNS0_19identity_decomposerENS1_16block_id_wrapperIjLb1EEEEE10hipError_tT1_PNSt15iterator_traitsISG_E10value_typeET2_T3_PNSH_ISM_E10value_typeET4_T5_PSR_SS_PNS1_23onesweep_lookback_stateEbbT6_jjT7_P12ihipStream_tbENKUlT_T0_SG_SL_E_clISA_PiSB_PsEEDaSZ_S10_SG_SL_EUlSZ_E_NS1_11comp_targetILNS1_3genE9ELNS1_11target_archE1100ELNS1_3gpuE3ELNS1_3repE0EEENS1_47radix_sort_onesweep_sort_config_static_selectorELNS0_4arch9wavefront6targetE1EEEvSG_.uses_vcc, 0
	.set _ZN7rocprim17ROCPRIM_400000_NS6detail17trampoline_kernelINS0_14default_configENS1_35radix_sort_onesweep_config_selectorIisEEZZNS1_29radix_sort_onesweep_iterationIS3_Lb0EN6thrust23THRUST_200600_302600_NS10device_ptrIiEESA_NS9_IsEESB_jNS0_19identity_decomposerENS1_16block_id_wrapperIjLb1EEEEE10hipError_tT1_PNSt15iterator_traitsISG_E10value_typeET2_T3_PNSH_ISM_E10value_typeET4_T5_PSR_SS_PNS1_23onesweep_lookback_stateEbbT6_jjT7_P12ihipStream_tbENKUlT_T0_SG_SL_E_clISA_PiSB_PsEEDaSZ_S10_SG_SL_EUlSZ_E_NS1_11comp_targetILNS1_3genE9ELNS1_11target_archE1100ELNS1_3gpuE3ELNS1_3repE0EEENS1_47radix_sort_onesweep_sort_config_static_selectorELNS0_4arch9wavefront6targetE1EEEvSG_.uses_flat_scratch, 0
	.set _ZN7rocprim17ROCPRIM_400000_NS6detail17trampoline_kernelINS0_14default_configENS1_35radix_sort_onesweep_config_selectorIisEEZZNS1_29radix_sort_onesweep_iterationIS3_Lb0EN6thrust23THRUST_200600_302600_NS10device_ptrIiEESA_NS9_IsEESB_jNS0_19identity_decomposerENS1_16block_id_wrapperIjLb1EEEEE10hipError_tT1_PNSt15iterator_traitsISG_E10value_typeET2_T3_PNSH_ISM_E10value_typeET4_T5_PSR_SS_PNS1_23onesweep_lookback_stateEbbT6_jjT7_P12ihipStream_tbENKUlT_T0_SG_SL_E_clISA_PiSB_PsEEDaSZ_S10_SG_SL_EUlSZ_E_NS1_11comp_targetILNS1_3genE9ELNS1_11target_archE1100ELNS1_3gpuE3ELNS1_3repE0EEENS1_47radix_sort_onesweep_sort_config_static_selectorELNS0_4arch9wavefront6targetE1EEEvSG_.has_dyn_sized_stack, 0
	.set _ZN7rocprim17ROCPRIM_400000_NS6detail17trampoline_kernelINS0_14default_configENS1_35radix_sort_onesweep_config_selectorIisEEZZNS1_29radix_sort_onesweep_iterationIS3_Lb0EN6thrust23THRUST_200600_302600_NS10device_ptrIiEESA_NS9_IsEESB_jNS0_19identity_decomposerENS1_16block_id_wrapperIjLb1EEEEE10hipError_tT1_PNSt15iterator_traitsISG_E10value_typeET2_T3_PNSH_ISM_E10value_typeET4_T5_PSR_SS_PNS1_23onesweep_lookback_stateEbbT6_jjT7_P12ihipStream_tbENKUlT_T0_SG_SL_E_clISA_PiSB_PsEEDaSZ_S10_SG_SL_EUlSZ_E_NS1_11comp_targetILNS1_3genE9ELNS1_11target_archE1100ELNS1_3gpuE3ELNS1_3repE0EEENS1_47radix_sort_onesweep_sort_config_static_selectorELNS0_4arch9wavefront6targetE1EEEvSG_.has_recursion, 0
	.set _ZN7rocprim17ROCPRIM_400000_NS6detail17trampoline_kernelINS0_14default_configENS1_35radix_sort_onesweep_config_selectorIisEEZZNS1_29radix_sort_onesweep_iterationIS3_Lb0EN6thrust23THRUST_200600_302600_NS10device_ptrIiEESA_NS9_IsEESB_jNS0_19identity_decomposerENS1_16block_id_wrapperIjLb1EEEEE10hipError_tT1_PNSt15iterator_traitsISG_E10value_typeET2_T3_PNSH_ISM_E10value_typeET4_T5_PSR_SS_PNS1_23onesweep_lookback_stateEbbT6_jjT7_P12ihipStream_tbENKUlT_T0_SG_SL_E_clISA_PiSB_PsEEDaSZ_S10_SG_SL_EUlSZ_E_NS1_11comp_targetILNS1_3genE9ELNS1_11target_archE1100ELNS1_3gpuE3ELNS1_3repE0EEENS1_47radix_sort_onesweep_sort_config_static_selectorELNS0_4arch9wavefront6targetE1EEEvSG_.has_indirect_call, 0
	.section	.AMDGPU.csdata,"",@progbits
; Kernel info:
; codeLenInByte = 0
; TotalNumSgprs: 6
; NumVgprs: 0
; NumAgprs: 0
; TotalNumVgprs: 0
; ScratchSize: 0
; MemoryBound: 0
; FloatMode: 240
; IeeeMode: 1
; LDSByteSize: 0 bytes/workgroup (compile time only)
; SGPRBlocks: 0
; VGPRBlocks: 0
; NumSGPRsForWavesPerEU: 6
; NumVGPRsForWavesPerEU: 1
; AccumOffset: 4
; Occupancy: 8
; WaveLimiterHint : 0
; COMPUTE_PGM_RSRC2:SCRATCH_EN: 0
; COMPUTE_PGM_RSRC2:USER_SGPR: 2
; COMPUTE_PGM_RSRC2:TRAP_HANDLER: 0
; COMPUTE_PGM_RSRC2:TGID_X_EN: 1
; COMPUTE_PGM_RSRC2:TGID_Y_EN: 0
; COMPUTE_PGM_RSRC2:TGID_Z_EN: 0
; COMPUTE_PGM_RSRC2:TIDIG_COMP_CNT: 0
; COMPUTE_PGM_RSRC3_GFX90A:ACCUM_OFFSET: 0
; COMPUTE_PGM_RSRC3_GFX90A:TG_SPLIT: 0
	.section	.text._ZN7rocprim17ROCPRIM_400000_NS6detail17trampoline_kernelINS0_14default_configENS1_35radix_sort_onesweep_config_selectorIisEEZZNS1_29radix_sort_onesweep_iterationIS3_Lb0EN6thrust23THRUST_200600_302600_NS10device_ptrIiEESA_NS9_IsEESB_jNS0_19identity_decomposerENS1_16block_id_wrapperIjLb1EEEEE10hipError_tT1_PNSt15iterator_traitsISG_E10value_typeET2_T3_PNSH_ISM_E10value_typeET4_T5_PSR_SS_PNS1_23onesweep_lookback_stateEbbT6_jjT7_P12ihipStream_tbENKUlT_T0_SG_SL_E_clISA_PiSB_PsEEDaSZ_S10_SG_SL_EUlSZ_E_NS1_11comp_targetILNS1_3genE8ELNS1_11target_archE1030ELNS1_3gpuE2ELNS1_3repE0EEENS1_47radix_sort_onesweep_sort_config_static_selectorELNS0_4arch9wavefront6targetE1EEEvSG_,"axG",@progbits,_ZN7rocprim17ROCPRIM_400000_NS6detail17trampoline_kernelINS0_14default_configENS1_35radix_sort_onesweep_config_selectorIisEEZZNS1_29radix_sort_onesweep_iterationIS3_Lb0EN6thrust23THRUST_200600_302600_NS10device_ptrIiEESA_NS9_IsEESB_jNS0_19identity_decomposerENS1_16block_id_wrapperIjLb1EEEEE10hipError_tT1_PNSt15iterator_traitsISG_E10value_typeET2_T3_PNSH_ISM_E10value_typeET4_T5_PSR_SS_PNS1_23onesweep_lookback_stateEbbT6_jjT7_P12ihipStream_tbENKUlT_T0_SG_SL_E_clISA_PiSB_PsEEDaSZ_S10_SG_SL_EUlSZ_E_NS1_11comp_targetILNS1_3genE8ELNS1_11target_archE1030ELNS1_3gpuE2ELNS1_3repE0EEENS1_47radix_sort_onesweep_sort_config_static_selectorELNS0_4arch9wavefront6targetE1EEEvSG_,comdat
	.protected	_ZN7rocprim17ROCPRIM_400000_NS6detail17trampoline_kernelINS0_14default_configENS1_35radix_sort_onesweep_config_selectorIisEEZZNS1_29radix_sort_onesweep_iterationIS3_Lb0EN6thrust23THRUST_200600_302600_NS10device_ptrIiEESA_NS9_IsEESB_jNS0_19identity_decomposerENS1_16block_id_wrapperIjLb1EEEEE10hipError_tT1_PNSt15iterator_traitsISG_E10value_typeET2_T3_PNSH_ISM_E10value_typeET4_T5_PSR_SS_PNS1_23onesweep_lookback_stateEbbT6_jjT7_P12ihipStream_tbENKUlT_T0_SG_SL_E_clISA_PiSB_PsEEDaSZ_S10_SG_SL_EUlSZ_E_NS1_11comp_targetILNS1_3genE8ELNS1_11target_archE1030ELNS1_3gpuE2ELNS1_3repE0EEENS1_47radix_sort_onesweep_sort_config_static_selectorELNS0_4arch9wavefront6targetE1EEEvSG_ ; -- Begin function _ZN7rocprim17ROCPRIM_400000_NS6detail17trampoline_kernelINS0_14default_configENS1_35radix_sort_onesweep_config_selectorIisEEZZNS1_29radix_sort_onesweep_iterationIS3_Lb0EN6thrust23THRUST_200600_302600_NS10device_ptrIiEESA_NS9_IsEESB_jNS0_19identity_decomposerENS1_16block_id_wrapperIjLb1EEEEE10hipError_tT1_PNSt15iterator_traitsISG_E10value_typeET2_T3_PNSH_ISM_E10value_typeET4_T5_PSR_SS_PNS1_23onesweep_lookback_stateEbbT6_jjT7_P12ihipStream_tbENKUlT_T0_SG_SL_E_clISA_PiSB_PsEEDaSZ_S10_SG_SL_EUlSZ_E_NS1_11comp_targetILNS1_3genE8ELNS1_11target_archE1030ELNS1_3gpuE2ELNS1_3repE0EEENS1_47radix_sort_onesweep_sort_config_static_selectorELNS0_4arch9wavefront6targetE1EEEvSG_
	.globl	_ZN7rocprim17ROCPRIM_400000_NS6detail17trampoline_kernelINS0_14default_configENS1_35radix_sort_onesweep_config_selectorIisEEZZNS1_29radix_sort_onesweep_iterationIS3_Lb0EN6thrust23THRUST_200600_302600_NS10device_ptrIiEESA_NS9_IsEESB_jNS0_19identity_decomposerENS1_16block_id_wrapperIjLb1EEEEE10hipError_tT1_PNSt15iterator_traitsISG_E10value_typeET2_T3_PNSH_ISM_E10value_typeET4_T5_PSR_SS_PNS1_23onesweep_lookback_stateEbbT6_jjT7_P12ihipStream_tbENKUlT_T0_SG_SL_E_clISA_PiSB_PsEEDaSZ_S10_SG_SL_EUlSZ_E_NS1_11comp_targetILNS1_3genE8ELNS1_11target_archE1030ELNS1_3gpuE2ELNS1_3repE0EEENS1_47radix_sort_onesweep_sort_config_static_selectorELNS0_4arch9wavefront6targetE1EEEvSG_
	.p2align	8
	.type	_ZN7rocprim17ROCPRIM_400000_NS6detail17trampoline_kernelINS0_14default_configENS1_35radix_sort_onesweep_config_selectorIisEEZZNS1_29radix_sort_onesweep_iterationIS3_Lb0EN6thrust23THRUST_200600_302600_NS10device_ptrIiEESA_NS9_IsEESB_jNS0_19identity_decomposerENS1_16block_id_wrapperIjLb1EEEEE10hipError_tT1_PNSt15iterator_traitsISG_E10value_typeET2_T3_PNSH_ISM_E10value_typeET4_T5_PSR_SS_PNS1_23onesweep_lookback_stateEbbT6_jjT7_P12ihipStream_tbENKUlT_T0_SG_SL_E_clISA_PiSB_PsEEDaSZ_S10_SG_SL_EUlSZ_E_NS1_11comp_targetILNS1_3genE8ELNS1_11target_archE1030ELNS1_3gpuE2ELNS1_3repE0EEENS1_47radix_sort_onesweep_sort_config_static_selectorELNS0_4arch9wavefront6targetE1EEEvSG_,@function
_ZN7rocprim17ROCPRIM_400000_NS6detail17trampoline_kernelINS0_14default_configENS1_35radix_sort_onesweep_config_selectorIisEEZZNS1_29radix_sort_onesweep_iterationIS3_Lb0EN6thrust23THRUST_200600_302600_NS10device_ptrIiEESA_NS9_IsEESB_jNS0_19identity_decomposerENS1_16block_id_wrapperIjLb1EEEEE10hipError_tT1_PNSt15iterator_traitsISG_E10value_typeET2_T3_PNSH_ISM_E10value_typeET4_T5_PSR_SS_PNS1_23onesweep_lookback_stateEbbT6_jjT7_P12ihipStream_tbENKUlT_T0_SG_SL_E_clISA_PiSB_PsEEDaSZ_S10_SG_SL_EUlSZ_E_NS1_11comp_targetILNS1_3genE8ELNS1_11target_archE1030ELNS1_3gpuE2ELNS1_3repE0EEENS1_47radix_sort_onesweep_sort_config_static_selectorELNS0_4arch9wavefront6targetE1EEEvSG_: ; @_ZN7rocprim17ROCPRIM_400000_NS6detail17trampoline_kernelINS0_14default_configENS1_35radix_sort_onesweep_config_selectorIisEEZZNS1_29radix_sort_onesweep_iterationIS3_Lb0EN6thrust23THRUST_200600_302600_NS10device_ptrIiEESA_NS9_IsEESB_jNS0_19identity_decomposerENS1_16block_id_wrapperIjLb1EEEEE10hipError_tT1_PNSt15iterator_traitsISG_E10value_typeET2_T3_PNSH_ISM_E10value_typeET4_T5_PSR_SS_PNS1_23onesweep_lookback_stateEbbT6_jjT7_P12ihipStream_tbENKUlT_T0_SG_SL_E_clISA_PiSB_PsEEDaSZ_S10_SG_SL_EUlSZ_E_NS1_11comp_targetILNS1_3genE8ELNS1_11target_archE1030ELNS1_3gpuE2ELNS1_3repE0EEENS1_47radix_sort_onesweep_sort_config_static_selectorELNS0_4arch9wavefront6targetE1EEEvSG_
; %bb.0:
	.section	.rodata,"a",@progbits
	.p2align	6, 0x0
	.amdhsa_kernel _ZN7rocprim17ROCPRIM_400000_NS6detail17trampoline_kernelINS0_14default_configENS1_35radix_sort_onesweep_config_selectorIisEEZZNS1_29radix_sort_onesweep_iterationIS3_Lb0EN6thrust23THRUST_200600_302600_NS10device_ptrIiEESA_NS9_IsEESB_jNS0_19identity_decomposerENS1_16block_id_wrapperIjLb1EEEEE10hipError_tT1_PNSt15iterator_traitsISG_E10value_typeET2_T3_PNSH_ISM_E10value_typeET4_T5_PSR_SS_PNS1_23onesweep_lookback_stateEbbT6_jjT7_P12ihipStream_tbENKUlT_T0_SG_SL_E_clISA_PiSB_PsEEDaSZ_S10_SG_SL_EUlSZ_E_NS1_11comp_targetILNS1_3genE8ELNS1_11target_archE1030ELNS1_3gpuE2ELNS1_3repE0EEENS1_47radix_sort_onesweep_sort_config_static_selectorELNS0_4arch9wavefront6targetE1EEEvSG_
		.amdhsa_group_segment_fixed_size 0
		.amdhsa_private_segment_fixed_size 0
		.amdhsa_kernarg_size 88
		.amdhsa_user_sgpr_count 2
		.amdhsa_user_sgpr_dispatch_ptr 0
		.amdhsa_user_sgpr_queue_ptr 0
		.amdhsa_user_sgpr_kernarg_segment_ptr 1
		.amdhsa_user_sgpr_dispatch_id 0
		.amdhsa_user_sgpr_kernarg_preload_length 0
		.amdhsa_user_sgpr_kernarg_preload_offset 0
		.amdhsa_user_sgpr_private_segment_size 0
		.amdhsa_uses_dynamic_stack 0
		.amdhsa_enable_private_segment 0
		.amdhsa_system_sgpr_workgroup_id_x 1
		.amdhsa_system_sgpr_workgroup_id_y 0
		.amdhsa_system_sgpr_workgroup_id_z 0
		.amdhsa_system_sgpr_workgroup_info 0
		.amdhsa_system_vgpr_workitem_id 0
		.amdhsa_next_free_vgpr 1
		.amdhsa_next_free_sgpr 0
		.amdhsa_accum_offset 4
		.amdhsa_reserve_vcc 0
		.amdhsa_float_round_mode_32 0
		.amdhsa_float_round_mode_16_64 0
		.amdhsa_float_denorm_mode_32 3
		.amdhsa_float_denorm_mode_16_64 3
		.amdhsa_dx10_clamp 1
		.amdhsa_ieee_mode 1
		.amdhsa_fp16_overflow 0
		.amdhsa_tg_split 0
		.amdhsa_exception_fp_ieee_invalid_op 0
		.amdhsa_exception_fp_denorm_src 0
		.amdhsa_exception_fp_ieee_div_zero 0
		.amdhsa_exception_fp_ieee_overflow 0
		.amdhsa_exception_fp_ieee_underflow 0
		.amdhsa_exception_fp_ieee_inexact 0
		.amdhsa_exception_int_div_zero 0
	.end_amdhsa_kernel
	.section	.text._ZN7rocprim17ROCPRIM_400000_NS6detail17trampoline_kernelINS0_14default_configENS1_35radix_sort_onesweep_config_selectorIisEEZZNS1_29radix_sort_onesweep_iterationIS3_Lb0EN6thrust23THRUST_200600_302600_NS10device_ptrIiEESA_NS9_IsEESB_jNS0_19identity_decomposerENS1_16block_id_wrapperIjLb1EEEEE10hipError_tT1_PNSt15iterator_traitsISG_E10value_typeET2_T3_PNSH_ISM_E10value_typeET4_T5_PSR_SS_PNS1_23onesweep_lookback_stateEbbT6_jjT7_P12ihipStream_tbENKUlT_T0_SG_SL_E_clISA_PiSB_PsEEDaSZ_S10_SG_SL_EUlSZ_E_NS1_11comp_targetILNS1_3genE8ELNS1_11target_archE1030ELNS1_3gpuE2ELNS1_3repE0EEENS1_47radix_sort_onesweep_sort_config_static_selectorELNS0_4arch9wavefront6targetE1EEEvSG_,"axG",@progbits,_ZN7rocprim17ROCPRIM_400000_NS6detail17trampoline_kernelINS0_14default_configENS1_35radix_sort_onesweep_config_selectorIisEEZZNS1_29radix_sort_onesweep_iterationIS3_Lb0EN6thrust23THRUST_200600_302600_NS10device_ptrIiEESA_NS9_IsEESB_jNS0_19identity_decomposerENS1_16block_id_wrapperIjLb1EEEEE10hipError_tT1_PNSt15iterator_traitsISG_E10value_typeET2_T3_PNSH_ISM_E10value_typeET4_T5_PSR_SS_PNS1_23onesweep_lookback_stateEbbT6_jjT7_P12ihipStream_tbENKUlT_T0_SG_SL_E_clISA_PiSB_PsEEDaSZ_S10_SG_SL_EUlSZ_E_NS1_11comp_targetILNS1_3genE8ELNS1_11target_archE1030ELNS1_3gpuE2ELNS1_3repE0EEENS1_47radix_sort_onesweep_sort_config_static_selectorELNS0_4arch9wavefront6targetE1EEEvSG_,comdat
.Lfunc_end2457:
	.size	_ZN7rocprim17ROCPRIM_400000_NS6detail17trampoline_kernelINS0_14default_configENS1_35radix_sort_onesweep_config_selectorIisEEZZNS1_29radix_sort_onesweep_iterationIS3_Lb0EN6thrust23THRUST_200600_302600_NS10device_ptrIiEESA_NS9_IsEESB_jNS0_19identity_decomposerENS1_16block_id_wrapperIjLb1EEEEE10hipError_tT1_PNSt15iterator_traitsISG_E10value_typeET2_T3_PNSH_ISM_E10value_typeET4_T5_PSR_SS_PNS1_23onesweep_lookback_stateEbbT6_jjT7_P12ihipStream_tbENKUlT_T0_SG_SL_E_clISA_PiSB_PsEEDaSZ_S10_SG_SL_EUlSZ_E_NS1_11comp_targetILNS1_3genE8ELNS1_11target_archE1030ELNS1_3gpuE2ELNS1_3repE0EEENS1_47radix_sort_onesweep_sort_config_static_selectorELNS0_4arch9wavefront6targetE1EEEvSG_, .Lfunc_end2457-_ZN7rocprim17ROCPRIM_400000_NS6detail17trampoline_kernelINS0_14default_configENS1_35radix_sort_onesweep_config_selectorIisEEZZNS1_29radix_sort_onesweep_iterationIS3_Lb0EN6thrust23THRUST_200600_302600_NS10device_ptrIiEESA_NS9_IsEESB_jNS0_19identity_decomposerENS1_16block_id_wrapperIjLb1EEEEE10hipError_tT1_PNSt15iterator_traitsISG_E10value_typeET2_T3_PNSH_ISM_E10value_typeET4_T5_PSR_SS_PNS1_23onesweep_lookback_stateEbbT6_jjT7_P12ihipStream_tbENKUlT_T0_SG_SL_E_clISA_PiSB_PsEEDaSZ_S10_SG_SL_EUlSZ_E_NS1_11comp_targetILNS1_3genE8ELNS1_11target_archE1030ELNS1_3gpuE2ELNS1_3repE0EEENS1_47radix_sort_onesweep_sort_config_static_selectorELNS0_4arch9wavefront6targetE1EEEvSG_
                                        ; -- End function
	.set _ZN7rocprim17ROCPRIM_400000_NS6detail17trampoline_kernelINS0_14default_configENS1_35radix_sort_onesweep_config_selectorIisEEZZNS1_29radix_sort_onesweep_iterationIS3_Lb0EN6thrust23THRUST_200600_302600_NS10device_ptrIiEESA_NS9_IsEESB_jNS0_19identity_decomposerENS1_16block_id_wrapperIjLb1EEEEE10hipError_tT1_PNSt15iterator_traitsISG_E10value_typeET2_T3_PNSH_ISM_E10value_typeET4_T5_PSR_SS_PNS1_23onesweep_lookback_stateEbbT6_jjT7_P12ihipStream_tbENKUlT_T0_SG_SL_E_clISA_PiSB_PsEEDaSZ_S10_SG_SL_EUlSZ_E_NS1_11comp_targetILNS1_3genE8ELNS1_11target_archE1030ELNS1_3gpuE2ELNS1_3repE0EEENS1_47radix_sort_onesweep_sort_config_static_selectorELNS0_4arch9wavefront6targetE1EEEvSG_.num_vgpr, 0
	.set _ZN7rocprim17ROCPRIM_400000_NS6detail17trampoline_kernelINS0_14default_configENS1_35radix_sort_onesweep_config_selectorIisEEZZNS1_29radix_sort_onesweep_iterationIS3_Lb0EN6thrust23THRUST_200600_302600_NS10device_ptrIiEESA_NS9_IsEESB_jNS0_19identity_decomposerENS1_16block_id_wrapperIjLb1EEEEE10hipError_tT1_PNSt15iterator_traitsISG_E10value_typeET2_T3_PNSH_ISM_E10value_typeET4_T5_PSR_SS_PNS1_23onesweep_lookback_stateEbbT6_jjT7_P12ihipStream_tbENKUlT_T0_SG_SL_E_clISA_PiSB_PsEEDaSZ_S10_SG_SL_EUlSZ_E_NS1_11comp_targetILNS1_3genE8ELNS1_11target_archE1030ELNS1_3gpuE2ELNS1_3repE0EEENS1_47radix_sort_onesweep_sort_config_static_selectorELNS0_4arch9wavefront6targetE1EEEvSG_.num_agpr, 0
	.set _ZN7rocprim17ROCPRIM_400000_NS6detail17trampoline_kernelINS0_14default_configENS1_35radix_sort_onesweep_config_selectorIisEEZZNS1_29radix_sort_onesweep_iterationIS3_Lb0EN6thrust23THRUST_200600_302600_NS10device_ptrIiEESA_NS9_IsEESB_jNS0_19identity_decomposerENS1_16block_id_wrapperIjLb1EEEEE10hipError_tT1_PNSt15iterator_traitsISG_E10value_typeET2_T3_PNSH_ISM_E10value_typeET4_T5_PSR_SS_PNS1_23onesweep_lookback_stateEbbT6_jjT7_P12ihipStream_tbENKUlT_T0_SG_SL_E_clISA_PiSB_PsEEDaSZ_S10_SG_SL_EUlSZ_E_NS1_11comp_targetILNS1_3genE8ELNS1_11target_archE1030ELNS1_3gpuE2ELNS1_3repE0EEENS1_47radix_sort_onesweep_sort_config_static_selectorELNS0_4arch9wavefront6targetE1EEEvSG_.numbered_sgpr, 0
	.set _ZN7rocprim17ROCPRIM_400000_NS6detail17trampoline_kernelINS0_14default_configENS1_35radix_sort_onesweep_config_selectorIisEEZZNS1_29radix_sort_onesweep_iterationIS3_Lb0EN6thrust23THRUST_200600_302600_NS10device_ptrIiEESA_NS9_IsEESB_jNS0_19identity_decomposerENS1_16block_id_wrapperIjLb1EEEEE10hipError_tT1_PNSt15iterator_traitsISG_E10value_typeET2_T3_PNSH_ISM_E10value_typeET4_T5_PSR_SS_PNS1_23onesweep_lookback_stateEbbT6_jjT7_P12ihipStream_tbENKUlT_T0_SG_SL_E_clISA_PiSB_PsEEDaSZ_S10_SG_SL_EUlSZ_E_NS1_11comp_targetILNS1_3genE8ELNS1_11target_archE1030ELNS1_3gpuE2ELNS1_3repE0EEENS1_47radix_sort_onesweep_sort_config_static_selectorELNS0_4arch9wavefront6targetE1EEEvSG_.num_named_barrier, 0
	.set _ZN7rocprim17ROCPRIM_400000_NS6detail17trampoline_kernelINS0_14default_configENS1_35radix_sort_onesweep_config_selectorIisEEZZNS1_29radix_sort_onesweep_iterationIS3_Lb0EN6thrust23THRUST_200600_302600_NS10device_ptrIiEESA_NS9_IsEESB_jNS0_19identity_decomposerENS1_16block_id_wrapperIjLb1EEEEE10hipError_tT1_PNSt15iterator_traitsISG_E10value_typeET2_T3_PNSH_ISM_E10value_typeET4_T5_PSR_SS_PNS1_23onesweep_lookback_stateEbbT6_jjT7_P12ihipStream_tbENKUlT_T0_SG_SL_E_clISA_PiSB_PsEEDaSZ_S10_SG_SL_EUlSZ_E_NS1_11comp_targetILNS1_3genE8ELNS1_11target_archE1030ELNS1_3gpuE2ELNS1_3repE0EEENS1_47radix_sort_onesweep_sort_config_static_selectorELNS0_4arch9wavefront6targetE1EEEvSG_.private_seg_size, 0
	.set _ZN7rocprim17ROCPRIM_400000_NS6detail17trampoline_kernelINS0_14default_configENS1_35radix_sort_onesweep_config_selectorIisEEZZNS1_29radix_sort_onesweep_iterationIS3_Lb0EN6thrust23THRUST_200600_302600_NS10device_ptrIiEESA_NS9_IsEESB_jNS0_19identity_decomposerENS1_16block_id_wrapperIjLb1EEEEE10hipError_tT1_PNSt15iterator_traitsISG_E10value_typeET2_T3_PNSH_ISM_E10value_typeET4_T5_PSR_SS_PNS1_23onesweep_lookback_stateEbbT6_jjT7_P12ihipStream_tbENKUlT_T0_SG_SL_E_clISA_PiSB_PsEEDaSZ_S10_SG_SL_EUlSZ_E_NS1_11comp_targetILNS1_3genE8ELNS1_11target_archE1030ELNS1_3gpuE2ELNS1_3repE0EEENS1_47radix_sort_onesweep_sort_config_static_selectorELNS0_4arch9wavefront6targetE1EEEvSG_.uses_vcc, 0
	.set _ZN7rocprim17ROCPRIM_400000_NS6detail17trampoline_kernelINS0_14default_configENS1_35radix_sort_onesweep_config_selectorIisEEZZNS1_29radix_sort_onesweep_iterationIS3_Lb0EN6thrust23THRUST_200600_302600_NS10device_ptrIiEESA_NS9_IsEESB_jNS0_19identity_decomposerENS1_16block_id_wrapperIjLb1EEEEE10hipError_tT1_PNSt15iterator_traitsISG_E10value_typeET2_T3_PNSH_ISM_E10value_typeET4_T5_PSR_SS_PNS1_23onesweep_lookback_stateEbbT6_jjT7_P12ihipStream_tbENKUlT_T0_SG_SL_E_clISA_PiSB_PsEEDaSZ_S10_SG_SL_EUlSZ_E_NS1_11comp_targetILNS1_3genE8ELNS1_11target_archE1030ELNS1_3gpuE2ELNS1_3repE0EEENS1_47radix_sort_onesweep_sort_config_static_selectorELNS0_4arch9wavefront6targetE1EEEvSG_.uses_flat_scratch, 0
	.set _ZN7rocprim17ROCPRIM_400000_NS6detail17trampoline_kernelINS0_14default_configENS1_35radix_sort_onesweep_config_selectorIisEEZZNS1_29radix_sort_onesweep_iterationIS3_Lb0EN6thrust23THRUST_200600_302600_NS10device_ptrIiEESA_NS9_IsEESB_jNS0_19identity_decomposerENS1_16block_id_wrapperIjLb1EEEEE10hipError_tT1_PNSt15iterator_traitsISG_E10value_typeET2_T3_PNSH_ISM_E10value_typeET4_T5_PSR_SS_PNS1_23onesweep_lookback_stateEbbT6_jjT7_P12ihipStream_tbENKUlT_T0_SG_SL_E_clISA_PiSB_PsEEDaSZ_S10_SG_SL_EUlSZ_E_NS1_11comp_targetILNS1_3genE8ELNS1_11target_archE1030ELNS1_3gpuE2ELNS1_3repE0EEENS1_47radix_sort_onesweep_sort_config_static_selectorELNS0_4arch9wavefront6targetE1EEEvSG_.has_dyn_sized_stack, 0
	.set _ZN7rocprim17ROCPRIM_400000_NS6detail17trampoline_kernelINS0_14default_configENS1_35radix_sort_onesweep_config_selectorIisEEZZNS1_29radix_sort_onesweep_iterationIS3_Lb0EN6thrust23THRUST_200600_302600_NS10device_ptrIiEESA_NS9_IsEESB_jNS0_19identity_decomposerENS1_16block_id_wrapperIjLb1EEEEE10hipError_tT1_PNSt15iterator_traitsISG_E10value_typeET2_T3_PNSH_ISM_E10value_typeET4_T5_PSR_SS_PNS1_23onesweep_lookback_stateEbbT6_jjT7_P12ihipStream_tbENKUlT_T0_SG_SL_E_clISA_PiSB_PsEEDaSZ_S10_SG_SL_EUlSZ_E_NS1_11comp_targetILNS1_3genE8ELNS1_11target_archE1030ELNS1_3gpuE2ELNS1_3repE0EEENS1_47radix_sort_onesweep_sort_config_static_selectorELNS0_4arch9wavefront6targetE1EEEvSG_.has_recursion, 0
	.set _ZN7rocprim17ROCPRIM_400000_NS6detail17trampoline_kernelINS0_14default_configENS1_35radix_sort_onesweep_config_selectorIisEEZZNS1_29radix_sort_onesweep_iterationIS3_Lb0EN6thrust23THRUST_200600_302600_NS10device_ptrIiEESA_NS9_IsEESB_jNS0_19identity_decomposerENS1_16block_id_wrapperIjLb1EEEEE10hipError_tT1_PNSt15iterator_traitsISG_E10value_typeET2_T3_PNSH_ISM_E10value_typeET4_T5_PSR_SS_PNS1_23onesweep_lookback_stateEbbT6_jjT7_P12ihipStream_tbENKUlT_T0_SG_SL_E_clISA_PiSB_PsEEDaSZ_S10_SG_SL_EUlSZ_E_NS1_11comp_targetILNS1_3genE8ELNS1_11target_archE1030ELNS1_3gpuE2ELNS1_3repE0EEENS1_47radix_sort_onesweep_sort_config_static_selectorELNS0_4arch9wavefront6targetE1EEEvSG_.has_indirect_call, 0
	.section	.AMDGPU.csdata,"",@progbits
; Kernel info:
; codeLenInByte = 0
; TotalNumSgprs: 6
; NumVgprs: 0
; NumAgprs: 0
; TotalNumVgprs: 0
; ScratchSize: 0
; MemoryBound: 0
; FloatMode: 240
; IeeeMode: 1
; LDSByteSize: 0 bytes/workgroup (compile time only)
; SGPRBlocks: 0
; VGPRBlocks: 0
; NumSGPRsForWavesPerEU: 6
; NumVGPRsForWavesPerEU: 1
; AccumOffset: 4
; Occupancy: 8
; WaveLimiterHint : 0
; COMPUTE_PGM_RSRC2:SCRATCH_EN: 0
; COMPUTE_PGM_RSRC2:USER_SGPR: 2
; COMPUTE_PGM_RSRC2:TRAP_HANDLER: 0
; COMPUTE_PGM_RSRC2:TGID_X_EN: 1
; COMPUTE_PGM_RSRC2:TGID_Y_EN: 0
; COMPUTE_PGM_RSRC2:TGID_Z_EN: 0
; COMPUTE_PGM_RSRC2:TIDIG_COMP_CNT: 0
; COMPUTE_PGM_RSRC3_GFX90A:ACCUM_OFFSET: 0
; COMPUTE_PGM_RSRC3_GFX90A:TG_SPLIT: 0
	.section	.text._ZN7rocprim17ROCPRIM_400000_NS6detail17trampoline_kernelINS0_14default_configENS1_35radix_sort_onesweep_config_selectorIisEEZZNS1_29radix_sort_onesweep_iterationIS3_Lb0EN6thrust23THRUST_200600_302600_NS10device_ptrIiEESA_NS9_IsEESB_jNS0_19identity_decomposerENS1_16block_id_wrapperIjLb1EEEEE10hipError_tT1_PNSt15iterator_traitsISG_E10value_typeET2_T3_PNSH_ISM_E10value_typeET4_T5_PSR_SS_PNS1_23onesweep_lookback_stateEbbT6_jjT7_P12ihipStream_tbENKUlT_T0_SG_SL_E_clIPiSA_PsSB_EEDaSZ_S10_SG_SL_EUlSZ_E_NS1_11comp_targetILNS1_3genE0ELNS1_11target_archE4294967295ELNS1_3gpuE0ELNS1_3repE0EEENS1_47radix_sort_onesweep_sort_config_static_selectorELNS0_4arch9wavefront6targetE1EEEvSG_,"axG",@progbits,_ZN7rocprim17ROCPRIM_400000_NS6detail17trampoline_kernelINS0_14default_configENS1_35radix_sort_onesweep_config_selectorIisEEZZNS1_29radix_sort_onesweep_iterationIS3_Lb0EN6thrust23THRUST_200600_302600_NS10device_ptrIiEESA_NS9_IsEESB_jNS0_19identity_decomposerENS1_16block_id_wrapperIjLb1EEEEE10hipError_tT1_PNSt15iterator_traitsISG_E10value_typeET2_T3_PNSH_ISM_E10value_typeET4_T5_PSR_SS_PNS1_23onesweep_lookback_stateEbbT6_jjT7_P12ihipStream_tbENKUlT_T0_SG_SL_E_clIPiSA_PsSB_EEDaSZ_S10_SG_SL_EUlSZ_E_NS1_11comp_targetILNS1_3genE0ELNS1_11target_archE4294967295ELNS1_3gpuE0ELNS1_3repE0EEENS1_47radix_sort_onesweep_sort_config_static_selectorELNS0_4arch9wavefront6targetE1EEEvSG_,comdat
	.protected	_ZN7rocprim17ROCPRIM_400000_NS6detail17trampoline_kernelINS0_14default_configENS1_35radix_sort_onesweep_config_selectorIisEEZZNS1_29radix_sort_onesweep_iterationIS3_Lb0EN6thrust23THRUST_200600_302600_NS10device_ptrIiEESA_NS9_IsEESB_jNS0_19identity_decomposerENS1_16block_id_wrapperIjLb1EEEEE10hipError_tT1_PNSt15iterator_traitsISG_E10value_typeET2_T3_PNSH_ISM_E10value_typeET4_T5_PSR_SS_PNS1_23onesweep_lookback_stateEbbT6_jjT7_P12ihipStream_tbENKUlT_T0_SG_SL_E_clIPiSA_PsSB_EEDaSZ_S10_SG_SL_EUlSZ_E_NS1_11comp_targetILNS1_3genE0ELNS1_11target_archE4294967295ELNS1_3gpuE0ELNS1_3repE0EEENS1_47radix_sort_onesweep_sort_config_static_selectorELNS0_4arch9wavefront6targetE1EEEvSG_ ; -- Begin function _ZN7rocprim17ROCPRIM_400000_NS6detail17trampoline_kernelINS0_14default_configENS1_35radix_sort_onesweep_config_selectorIisEEZZNS1_29radix_sort_onesweep_iterationIS3_Lb0EN6thrust23THRUST_200600_302600_NS10device_ptrIiEESA_NS9_IsEESB_jNS0_19identity_decomposerENS1_16block_id_wrapperIjLb1EEEEE10hipError_tT1_PNSt15iterator_traitsISG_E10value_typeET2_T3_PNSH_ISM_E10value_typeET4_T5_PSR_SS_PNS1_23onesweep_lookback_stateEbbT6_jjT7_P12ihipStream_tbENKUlT_T0_SG_SL_E_clIPiSA_PsSB_EEDaSZ_S10_SG_SL_EUlSZ_E_NS1_11comp_targetILNS1_3genE0ELNS1_11target_archE4294967295ELNS1_3gpuE0ELNS1_3repE0EEENS1_47radix_sort_onesweep_sort_config_static_selectorELNS0_4arch9wavefront6targetE1EEEvSG_
	.globl	_ZN7rocprim17ROCPRIM_400000_NS6detail17trampoline_kernelINS0_14default_configENS1_35radix_sort_onesweep_config_selectorIisEEZZNS1_29radix_sort_onesweep_iterationIS3_Lb0EN6thrust23THRUST_200600_302600_NS10device_ptrIiEESA_NS9_IsEESB_jNS0_19identity_decomposerENS1_16block_id_wrapperIjLb1EEEEE10hipError_tT1_PNSt15iterator_traitsISG_E10value_typeET2_T3_PNSH_ISM_E10value_typeET4_T5_PSR_SS_PNS1_23onesweep_lookback_stateEbbT6_jjT7_P12ihipStream_tbENKUlT_T0_SG_SL_E_clIPiSA_PsSB_EEDaSZ_S10_SG_SL_EUlSZ_E_NS1_11comp_targetILNS1_3genE0ELNS1_11target_archE4294967295ELNS1_3gpuE0ELNS1_3repE0EEENS1_47radix_sort_onesweep_sort_config_static_selectorELNS0_4arch9wavefront6targetE1EEEvSG_
	.p2align	8
	.type	_ZN7rocprim17ROCPRIM_400000_NS6detail17trampoline_kernelINS0_14default_configENS1_35radix_sort_onesweep_config_selectorIisEEZZNS1_29radix_sort_onesweep_iterationIS3_Lb0EN6thrust23THRUST_200600_302600_NS10device_ptrIiEESA_NS9_IsEESB_jNS0_19identity_decomposerENS1_16block_id_wrapperIjLb1EEEEE10hipError_tT1_PNSt15iterator_traitsISG_E10value_typeET2_T3_PNSH_ISM_E10value_typeET4_T5_PSR_SS_PNS1_23onesweep_lookback_stateEbbT6_jjT7_P12ihipStream_tbENKUlT_T0_SG_SL_E_clIPiSA_PsSB_EEDaSZ_S10_SG_SL_EUlSZ_E_NS1_11comp_targetILNS1_3genE0ELNS1_11target_archE4294967295ELNS1_3gpuE0ELNS1_3repE0EEENS1_47radix_sort_onesweep_sort_config_static_selectorELNS0_4arch9wavefront6targetE1EEEvSG_,@function
_ZN7rocprim17ROCPRIM_400000_NS6detail17trampoline_kernelINS0_14default_configENS1_35radix_sort_onesweep_config_selectorIisEEZZNS1_29radix_sort_onesweep_iterationIS3_Lb0EN6thrust23THRUST_200600_302600_NS10device_ptrIiEESA_NS9_IsEESB_jNS0_19identity_decomposerENS1_16block_id_wrapperIjLb1EEEEE10hipError_tT1_PNSt15iterator_traitsISG_E10value_typeET2_T3_PNSH_ISM_E10value_typeET4_T5_PSR_SS_PNS1_23onesweep_lookback_stateEbbT6_jjT7_P12ihipStream_tbENKUlT_T0_SG_SL_E_clIPiSA_PsSB_EEDaSZ_S10_SG_SL_EUlSZ_E_NS1_11comp_targetILNS1_3genE0ELNS1_11target_archE4294967295ELNS1_3gpuE0ELNS1_3repE0EEENS1_47radix_sort_onesweep_sort_config_static_selectorELNS0_4arch9wavefront6targetE1EEEvSG_: ; @_ZN7rocprim17ROCPRIM_400000_NS6detail17trampoline_kernelINS0_14default_configENS1_35radix_sort_onesweep_config_selectorIisEEZZNS1_29radix_sort_onesweep_iterationIS3_Lb0EN6thrust23THRUST_200600_302600_NS10device_ptrIiEESA_NS9_IsEESB_jNS0_19identity_decomposerENS1_16block_id_wrapperIjLb1EEEEE10hipError_tT1_PNSt15iterator_traitsISG_E10value_typeET2_T3_PNSH_ISM_E10value_typeET4_T5_PSR_SS_PNS1_23onesweep_lookback_stateEbbT6_jjT7_P12ihipStream_tbENKUlT_T0_SG_SL_E_clIPiSA_PsSB_EEDaSZ_S10_SG_SL_EUlSZ_E_NS1_11comp_targetILNS1_3genE0ELNS1_11target_archE4294967295ELNS1_3gpuE0ELNS1_3repE0EEENS1_47radix_sort_onesweep_sort_config_static_selectorELNS0_4arch9wavefront6targetE1EEEvSG_
; %bb.0:
	.section	.rodata,"a",@progbits
	.p2align	6, 0x0
	.amdhsa_kernel _ZN7rocprim17ROCPRIM_400000_NS6detail17trampoline_kernelINS0_14default_configENS1_35radix_sort_onesweep_config_selectorIisEEZZNS1_29radix_sort_onesweep_iterationIS3_Lb0EN6thrust23THRUST_200600_302600_NS10device_ptrIiEESA_NS9_IsEESB_jNS0_19identity_decomposerENS1_16block_id_wrapperIjLb1EEEEE10hipError_tT1_PNSt15iterator_traitsISG_E10value_typeET2_T3_PNSH_ISM_E10value_typeET4_T5_PSR_SS_PNS1_23onesweep_lookback_stateEbbT6_jjT7_P12ihipStream_tbENKUlT_T0_SG_SL_E_clIPiSA_PsSB_EEDaSZ_S10_SG_SL_EUlSZ_E_NS1_11comp_targetILNS1_3genE0ELNS1_11target_archE4294967295ELNS1_3gpuE0ELNS1_3repE0EEENS1_47radix_sort_onesweep_sort_config_static_selectorELNS0_4arch9wavefront6targetE1EEEvSG_
		.amdhsa_group_segment_fixed_size 0
		.amdhsa_private_segment_fixed_size 0
		.amdhsa_kernarg_size 88
		.amdhsa_user_sgpr_count 2
		.amdhsa_user_sgpr_dispatch_ptr 0
		.amdhsa_user_sgpr_queue_ptr 0
		.amdhsa_user_sgpr_kernarg_segment_ptr 1
		.amdhsa_user_sgpr_dispatch_id 0
		.amdhsa_user_sgpr_kernarg_preload_length 0
		.amdhsa_user_sgpr_kernarg_preload_offset 0
		.amdhsa_user_sgpr_private_segment_size 0
		.amdhsa_uses_dynamic_stack 0
		.amdhsa_enable_private_segment 0
		.amdhsa_system_sgpr_workgroup_id_x 1
		.amdhsa_system_sgpr_workgroup_id_y 0
		.amdhsa_system_sgpr_workgroup_id_z 0
		.amdhsa_system_sgpr_workgroup_info 0
		.amdhsa_system_vgpr_workitem_id 0
		.amdhsa_next_free_vgpr 1
		.amdhsa_next_free_sgpr 0
		.amdhsa_accum_offset 4
		.amdhsa_reserve_vcc 0
		.amdhsa_float_round_mode_32 0
		.amdhsa_float_round_mode_16_64 0
		.amdhsa_float_denorm_mode_32 3
		.amdhsa_float_denorm_mode_16_64 3
		.amdhsa_dx10_clamp 1
		.amdhsa_ieee_mode 1
		.amdhsa_fp16_overflow 0
		.amdhsa_tg_split 0
		.amdhsa_exception_fp_ieee_invalid_op 0
		.amdhsa_exception_fp_denorm_src 0
		.amdhsa_exception_fp_ieee_div_zero 0
		.amdhsa_exception_fp_ieee_overflow 0
		.amdhsa_exception_fp_ieee_underflow 0
		.amdhsa_exception_fp_ieee_inexact 0
		.amdhsa_exception_int_div_zero 0
	.end_amdhsa_kernel
	.section	.text._ZN7rocprim17ROCPRIM_400000_NS6detail17trampoline_kernelINS0_14default_configENS1_35radix_sort_onesweep_config_selectorIisEEZZNS1_29radix_sort_onesweep_iterationIS3_Lb0EN6thrust23THRUST_200600_302600_NS10device_ptrIiEESA_NS9_IsEESB_jNS0_19identity_decomposerENS1_16block_id_wrapperIjLb1EEEEE10hipError_tT1_PNSt15iterator_traitsISG_E10value_typeET2_T3_PNSH_ISM_E10value_typeET4_T5_PSR_SS_PNS1_23onesweep_lookback_stateEbbT6_jjT7_P12ihipStream_tbENKUlT_T0_SG_SL_E_clIPiSA_PsSB_EEDaSZ_S10_SG_SL_EUlSZ_E_NS1_11comp_targetILNS1_3genE0ELNS1_11target_archE4294967295ELNS1_3gpuE0ELNS1_3repE0EEENS1_47radix_sort_onesweep_sort_config_static_selectorELNS0_4arch9wavefront6targetE1EEEvSG_,"axG",@progbits,_ZN7rocprim17ROCPRIM_400000_NS6detail17trampoline_kernelINS0_14default_configENS1_35radix_sort_onesweep_config_selectorIisEEZZNS1_29radix_sort_onesweep_iterationIS3_Lb0EN6thrust23THRUST_200600_302600_NS10device_ptrIiEESA_NS9_IsEESB_jNS0_19identity_decomposerENS1_16block_id_wrapperIjLb1EEEEE10hipError_tT1_PNSt15iterator_traitsISG_E10value_typeET2_T3_PNSH_ISM_E10value_typeET4_T5_PSR_SS_PNS1_23onesweep_lookback_stateEbbT6_jjT7_P12ihipStream_tbENKUlT_T0_SG_SL_E_clIPiSA_PsSB_EEDaSZ_S10_SG_SL_EUlSZ_E_NS1_11comp_targetILNS1_3genE0ELNS1_11target_archE4294967295ELNS1_3gpuE0ELNS1_3repE0EEENS1_47radix_sort_onesweep_sort_config_static_selectorELNS0_4arch9wavefront6targetE1EEEvSG_,comdat
.Lfunc_end2458:
	.size	_ZN7rocprim17ROCPRIM_400000_NS6detail17trampoline_kernelINS0_14default_configENS1_35radix_sort_onesweep_config_selectorIisEEZZNS1_29radix_sort_onesweep_iterationIS3_Lb0EN6thrust23THRUST_200600_302600_NS10device_ptrIiEESA_NS9_IsEESB_jNS0_19identity_decomposerENS1_16block_id_wrapperIjLb1EEEEE10hipError_tT1_PNSt15iterator_traitsISG_E10value_typeET2_T3_PNSH_ISM_E10value_typeET4_T5_PSR_SS_PNS1_23onesweep_lookback_stateEbbT6_jjT7_P12ihipStream_tbENKUlT_T0_SG_SL_E_clIPiSA_PsSB_EEDaSZ_S10_SG_SL_EUlSZ_E_NS1_11comp_targetILNS1_3genE0ELNS1_11target_archE4294967295ELNS1_3gpuE0ELNS1_3repE0EEENS1_47radix_sort_onesweep_sort_config_static_selectorELNS0_4arch9wavefront6targetE1EEEvSG_, .Lfunc_end2458-_ZN7rocprim17ROCPRIM_400000_NS6detail17trampoline_kernelINS0_14default_configENS1_35radix_sort_onesweep_config_selectorIisEEZZNS1_29radix_sort_onesweep_iterationIS3_Lb0EN6thrust23THRUST_200600_302600_NS10device_ptrIiEESA_NS9_IsEESB_jNS0_19identity_decomposerENS1_16block_id_wrapperIjLb1EEEEE10hipError_tT1_PNSt15iterator_traitsISG_E10value_typeET2_T3_PNSH_ISM_E10value_typeET4_T5_PSR_SS_PNS1_23onesweep_lookback_stateEbbT6_jjT7_P12ihipStream_tbENKUlT_T0_SG_SL_E_clIPiSA_PsSB_EEDaSZ_S10_SG_SL_EUlSZ_E_NS1_11comp_targetILNS1_3genE0ELNS1_11target_archE4294967295ELNS1_3gpuE0ELNS1_3repE0EEENS1_47radix_sort_onesweep_sort_config_static_selectorELNS0_4arch9wavefront6targetE1EEEvSG_
                                        ; -- End function
	.set _ZN7rocprim17ROCPRIM_400000_NS6detail17trampoline_kernelINS0_14default_configENS1_35radix_sort_onesweep_config_selectorIisEEZZNS1_29radix_sort_onesweep_iterationIS3_Lb0EN6thrust23THRUST_200600_302600_NS10device_ptrIiEESA_NS9_IsEESB_jNS0_19identity_decomposerENS1_16block_id_wrapperIjLb1EEEEE10hipError_tT1_PNSt15iterator_traitsISG_E10value_typeET2_T3_PNSH_ISM_E10value_typeET4_T5_PSR_SS_PNS1_23onesweep_lookback_stateEbbT6_jjT7_P12ihipStream_tbENKUlT_T0_SG_SL_E_clIPiSA_PsSB_EEDaSZ_S10_SG_SL_EUlSZ_E_NS1_11comp_targetILNS1_3genE0ELNS1_11target_archE4294967295ELNS1_3gpuE0ELNS1_3repE0EEENS1_47radix_sort_onesweep_sort_config_static_selectorELNS0_4arch9wavefront6targetE1EEEvSG_.num_vgpr, 0
	.set _ZN7rocprim17ROCPRIM_400000_NS6detail17trampoline_kernelINS0_14default_configENS1_35radix_sort_onesweep_config_selectorIisEEZZNS1_29radix_sort_onesweep_iterationIS3_Lb0EN6thrust23THRUST_200600_302600_NS10device_ptrIiEESA_NS9_IsEESB_jNS0_19identity_decomposerENS1_16block_id_wrapperIjLb1EEEEE10hipError_tT1_PNSt15iterator_traitsISG_E10value_typeET2_T3_PNSH_ISM_E10value_typeET4_T5_PSR_SS_PNS1_23onesweep_lookback_stateEbbT6_jjT7_P12ihipStream_tbENKUlT_T0_SG_SL_E_clIPiSA_PsSB_EEDaSZ_S10_SG_SL_EUlSZ_E_NS1_11comp_targetILNS1_3genE0ELNS1_11target_archE4294967295ELNS1_3gpuE0ELNS1_3repE0EEENS1_47radix_sort_onesweep_sort_config_static_selectorELNS0_4arch9wavefront6targetE1EEEvSG_.num_agpr, 0
	.set _ZN7rocprim17ROCPRIM_400000_NS6detail17trampoline_kernelINS0_14default_configENS1_35radix_sort_onesweep_config_selectorIisEEZZNS1_29radix_sort_onesweep_iterationIS3_Lb0EN6thrust23THRUST_200600_302600_NS10device_ptrIiEESA_NS9_IsEESB_jNS0_19identity_decomposerENS1_16block_id_wrapperIjLb1EEEEE10hipError_tT1_PNSt15iterator_traitsISG_E10value_typeET2_T3_PNSH_ISM_E10value_typeET4_T5_PSR_SS_PNS1_23onesweep_lookback_stateEbbT6_jjT7_P12ihipStream_tbENKUlT_T0_SG_SL_E_clIPiSA_PsSB_EEDaSZ_S10_SG_SL_EUlSZ_E_NS1_11comp_targetILNS1_3genE0ELNS1_11target_archE4294967295ELNS1_3gpuE0ELNS1_3repE0EEENS1_47radix_sort_onesweep_sort_config_static_selectorELNS0_4arch9wavefront6targetE1EEEvSG_.numbered_sgpr, 0
	.set _ZN7rocprim17ROCPRIM_400000_NS6detail17trampoline_kernelINS0_14default_configENS1_35radix_sort_onesweep_config_selectorIisEEZZNS1_29radix_sort_onesweep_iterationIS3_Lb0EN6thrust23THRUST_200600_302600_NS10device_ptrIiEESA_NS9_IsEESB_jNS0_19identity_decomposerENS1_16block_id_wrapperIjLb1EEEEE10hipError_tT1_PNSt15iterator_traitsISG_E10value_typeET2_T3_PNSH_ISM_E10value_typeET4_T5_PSR_SS_PNS1_23onesweep_lookback_stateEbbT6_jjT7_P12ihipStream_tbENKUlT_T0_SG_SL_E_clIPiSA_PsSB_EEDaSZ_S10_SG_SL_EUlSZ_E_NS1_11comp_targetILNS1_3genE0ELNS1_11target_archE4294967295ELNS1_3gpuE0ELNS1_3repE0EEENS1_47radix_sort_onesweep_sort_config_static_selectorELNS0_4arch9wavefront6targetE1EEEvSG_.num_named_barrier, 0
	.set _ZN7rocprim17ROCPRIM_400000_NS6detail17trampoline_kernelINS0_14default_configENS1_35radix_sort_onesweep_config_selectorIisEEZZNS1_29radix_sort_onesweep_iterationIS3_Lb0EN6thrust23THRUST_200600_302600_NS10device_ptrIiEESA_NS9_IsEESB_jNS0_19identity_decomposerENS1_16block_id_wrapperIjLb1EEEEE10hipError_tT1_PNSt15iterator_traitsISG_E10value_typeET2_T3_PNSH_ISM_E10value_typeET4_T5_PSR_SS_PNS1_23onesweep_lookback_stateEbbT6_jjT7_P12ihipStream_tbENKUlT_T0_SG_SL_E_clIPiSA_PsSB_EEDaSZ_S10_SG_SL_EUlSZ_E_NS1_11comp_targetILNS1_3genE0ELNS1_11target_archE4294967295ELNS1_3gpuE0ELNS1_3repE0EEENS1_47radix_sort_onesweep_sort_config_static_selectorELNS0_4arch9wavefront6targetE1EEEvSG_.private_seg_size, 0
	.set _ZN7rocprim17ROCPRIM_400000_NS6detail17trampoline_kernelINS0_14default_configENS1_35radix_sort_onesweep_config_selectorIisEEZZNS1_29radix_sort_onesweep_iterationIS3_Lb0EN6thrust23THRUST_200600_302600_NS10device_ptrIiEESA_NS9_IsEESB_jNS0_19identity_decomposerENS1_16block_id_wrapperIjLb1EEEEE10hipError_tT1_PNSt15iterator_traitsISG_E10value_typeET2_T3_PNSH_ISM_E10value_typeET4_T5_PSR_SS_PNS1_23onesweep_lookback_stateEbbT6_jjT7_P12ihipStream_tbENKUlT_T0_SG_SL_E_clIPiSA_PsSB_EEDaSZ_S10_SG_SL_EUlSZ_E_NS1_11comp_targetILNS1_3genE0ELNS1_11target_archE4294967295ELNS1_3gpuE0ELNS1_3repE0EEENS1_47radix_sort_onesweep_sort_config_static_selectorELNS0_4arch9wavefront6targetE1EEEvSG_.uses_vcc, 0
	.set _ZN7rocprim17ROCPRIM_400000_NS6detail17trampoline_kernelINS0_14default_configENS1_35radix_sort_onesweep_config_selectorIisEEZZNS1_29radix_sort_onesweep_iterationIS3_Lb0EN6thrust23THRUST_200600_302600_NS10device_ptrIiEESA_NS9_IsEESB_jNS0_19identity_decomposerENS1_16block_id_wrapperIjLb1EEEEE10hipError_tT1_PNSt15iterator_traitsISG_E10value_typeET2_T3_PNSH_ISM_E10value_typeET4_T5_PSR_SS_PNS1_23onesweep_lookback_stateEbbT6_jjT7_P12ihipStream_tbENKUlT_T0_SG_SL_E_clIPiSA_PsSB_EEDaSZ_S10_SG_SL_EUlSZ_E_NS1_11comp_targetILNS1_3genE0ELNS1_11target_archE4294967295ELNS1_3gpuE0ELNS1_3repE0EEENS1_47radix_sort_onesweep_sort_config_static_selectorELNS0_4arch9wavefront6targetE1EEEvSG_.uses_flat_scratch, 0
	.set _ZN7rocprim17ROCPRIM_400000_NS6detail17trampoline_kernelINS0_14default_configENS1_35radix_sort_onesweep_config_selectorIisEEZZNS1_29radix_sort_onesweep_iterationIS3_Lb0EN6thrust23THRUST_200600_302600_NS10device_ptrIiEESA_NS9_IsEESB_jNS0_19identity_decomposerENS1_16block_id_wrapperIjLb1EEEEE10hipError_tT1_PNSt15iterator_traitsISG_E10value_typeET2_T3_PNSH_ISM_E10value_typeET4_T5_PSR_SS_PNS1_23onesweep_lookback_stateEbbT6_jjT7_P12ihipStream_tbENKUlT_T0_SG_SL_E_clIPiSA_PsSB_EEDaSZ_S10_SG_SL_EUlSZ_E_NS1_11comp_targetILNS1_3genE0ELNS1_11target_archE4294967295ELNS1_3gpuE0ELNS1_3repE0EEENS1_47radix_sort_onesweep_sort_config_static_selectorELNS0_4arch9wavefront6targetE1EEEvSG_.has_dyn_sized_stack, 0
	.set _ZN7rocprim17ROCPRIM_400000_NS6detail17trampoline_kernelINS0_14default_configENS1_35radix_sort_onesweep_config_selectorIisEEZZNS1_29radix_sort_onesweep_iterationIS3_Lb0EN6thrust23THRUST_200600_302600_NS10device_ptrIiEESA_NS9_IsEESB_jNS0_19identity_decomposerENS1_16block_id_wrapperIjLb1EEEEE10hipError_tT1_PNSt15iterator_traitsISG_E10value_typeET2_T3_PNSH_ISM_E10value_typeET4_T5_PSR_SS_PNS1_23onesweep_lookback_stateEbbT6_jjT7_P12ihipStream_tbENKUlT_T0_SG_SL_E_clIPiSA_PsSB_EEDaSZ_S10_SG_SL_EUlSZ_E_NS1_11comp_targetILNS1_3genE0ELNS1_11target_archE4294967295ELNS1_3gpuE0ELNS1_3repE0EEENS1_47radix_sort_onesweep_sort_config_static_selectorELNS0_4arch9wavefront6targetE1EEEvSG_.has_recursion, 0
	.set _ZN7rocprim17ROCPRIM_400000_NS6detail17trampoline_kernelINS0_14default_configENS1_35radix_sort_onesweep_config_selectorIisEEZZNS1_29radix_sort_onesweep_iterationIS3_Lb0EN6thrust23THRUST_200600_302600_NS10device_ptrIiEESA_NS9_IsEESB_jNS0_19identity_decomposerENS1_16block_id_wrapperIjLb1EEEEE10hipError_tT1_PNSt15iterator_traitsISG_E10value_typeET2_T3_PNSH_ISM_E10value_typeET4_T5_PSR_SS_PNS1_23onesweep_lookback_stateEbbT6_jjT7_P12ihipStream_tbENKUlT_T0_SG_SL_E_clIPiSA_PsSB_EEDaSZ_S10_SG_SL_EUlSZ_E_NS1_11comp_targetILNS1_3genE0ELNS1_11target_archE4294967295ELNS1_3gpuE0ELNS1_3repE0EEENS1_47radix_sort_onesweep_sort_config_static_selectorELNS0_4arch9wavefront6targetE1EEEvSG_.has_indirect_call, 0
	.section	.AMDGPU.csdata,"",@progbits
; Kernel info:
; codeLenInByte = 0
; TotalNumSgprs: 6
; NumVgprs: 0
; NumAgprs: 0
; TotalNumVgprs: 0
; ScratchSize: 0
; MemoryBound: 0
; FloatMode: 240
; IeeeMode: 1
; LDSByteSize: 0 bytes/workgroup (compile time only)
; SGPRBlocks: 0
; VGPRBlocks: 0
; NumSGPRsForWavesPerEU: 6
; NumVGPRsForWavesPerEU: 1
; AccumOffset: 4
; Occupancy: 8
; WaveLimiterHint : 0
; COMPUTE_PGM_RSRC2:SCRATCH_EN: 0
; COMPUTE_PGM_RSRC2:USER_SGPR: 2
; COMPUTE_PGM_RSRC2:TRAP_HANDLER: 0
; COMPUTE_PGM_RSRC2:TGID_X_EN: 1
; COMPUTE_PGM_RSRC2:TGID_Y_EN: 0
; COMPUTE_PGM_RSRC2:TGID_Z_EN: 0
; COMPUTE_PGM_RSRC2:TIDIG_COMP_CNT: 0
; COMPUTE_PGM_RSRC3_GFX90A:ACCUM_OFFSET: 0
; COMPUTE_PGM_RSRC3_GFX90A:TG_SPLIT: 0
	.section	.text._ZN7rocprim17ROCPRIM_400000_NS6detail17trampoline_kernelINS0_14default_configENS1_35radix_sort_onesweep_config_selectorIisEEZZNS1_29radix_sort_onesweep_iterationIS3_Lb0EN6thrust23THRUST_200600_302600_NS10device_ptrIiEESA_NS9_IsEESB_jNS0_19identity_decomposerENS1_16block_id_wrapperIjLb1EEEEE10hipError_tT1_PNSt15iterator_traitsISG_E10value_typeET2_T3_PNSH_ISM_E10value_typeET4_T5_PSR_SS_PNS1_23onesweep_lookback_stateEbbT6_jjT7_P12ihipStream_tbENKUlT_T0_SG_SL_E_clIPiSA_PsSB_EEDaSZ_S10_SG_SL_EUlSZ_E_NS1_11comp_targetILNS1_3genE6ELNS1_11target_archE950ELNS1_3gpuE13ELNS1_3repE0EEENS1_47radix_sort_onesweep_sort_config_static_selectorELNS0_4arch9wavefront6targetE1EEEvSG_,"axG",@progbits,_ZN7rocprim17ROCPRIM_400000_NS6detail17trampoline_kernelINS0_14default_configENS1_35radix_sort_onesweep_config_selectorIisEEZZNS1_29radix_sort_onesweep_iterationIS3_Lb0EN6thrust23THRUST_200600_302600_NS10device_ptrIiEESA_NS9_IsEESB_jNS0_19identity_decomposerENS1_16block_id_wrapperIjLb1EEEEE10hipError_tT1_PNSt15iterator_traitsISG_E10value_typeET2_T3_PNSH_ISM_E10value_typeET4_T5_PSR_SS_PNS1_23onesweep_lookback_stateEbbT6_jjT7_P12ihipStream_tbENKUlT_T0_SG_SL_E_clIPiSA_PsSB_EEDaSZ_S10_SG_SL_EUlSZ_E_NS1_11comp_targetILNS1_3genE6ELNS1_11target_archE950ELNS1_3gpuE13ELNS1_3repE0EEENS1_47radix_sort_onesweep_sort_config_static_selectorELNS0_4arch9wavefront6targetE1EEEvSG_,comdat
	.protected	_ZN7rocprim17ROCPRIM_400000_NS6detail17trampoline_kernelINS0_14default_configENS1_35radix_sort_onesweep_config_selectorIisEEZZNS1_29radix_sort_onesweep_iterationIS3_Lb0EN6thrust23THRUST_200600_302600_NS10device_ptrIiEESA_NS9_IsEESB_jNS0_19identity_decomposerENS1_16block_id_wrapperIjLb1EEEEE10hipError_tT1_PNSt15iterator_traitsISG_E10value_typeET2_T3_PNSH_ISM_E10value_typeET4_T5_PSR_SS_PNS1_23onesweep_lookback_stateEbbT6_jjT7_P12ihipStream_tbENKUlT_T0_SG_SL_E_clIPiSA_PsSB_EEDaSZ_S10_SG_SL_EUlSZ_E_NS1_11comp_targetILNS1_3genE6ELNS1_11target_archE950ELNS1_3gpuE13ELNS1_3repE0EEENS1_47radix_sort_onesweep_sort_config_static_selectorELNS0_4arch9wavefront6targetE1EEEvSG_ ; -- Begin function _ZN7rocprim17ROCPRIM_400000_NS6detail17trampoline_kernelINS0_14default_configENS1_35radix_sort_onesweep_config_selectorIisEEZZNS1_29radix_sort_onesweep_iterationIS3_Lb0EN6thrust23THRUST_200600_302600_NS10device_ptrIiEESA_NS9_IsEESB_jNS0_19identity_decomposerENS1_16block_id_wrapperIjLb1EEEEE10hipError_tT1_PNSt15iterator_traitsISG_E10value_typeET2_T3_PNSH_ISM_E10value_typeET4_T5_PSR_SS_PNS1_23onesweep_lookback_stateEbbT6_jjT7_P12ihipStream_tbENKUlT_T0_SG_SL_E_clIPiSA_PsSB_EEDaSZ_S10_SG_SL_EUlSZ_E_NS1_11comp_targetILNS1_3genE6ELNS1_11target_archE950ELNS1_3gpuE13ELNS1_3repE0EEENS1_47radix_sort_onesweep_sort_config_static_selectorELNS0_4arch9wavefront6targetE1EEEvSG_
	.globl	_ZN7rocprim17ROCPRIM_400000_NS6detail17trampoline_kernelINS0_14default_configENS1_35radix_sort_onesweep_config_selectorIisEEZZNS1_29radix_sort_onesweep_iterationIS3_Lb0EN6thrust23THRUST_200600_302600_NS10device_ptrIiEESA_NS9_IsEESB_jNS0_19identity_decomposerENS1_16block_id_wrapperIjLb1EEEEE10hipError_tT1_PNSt15iterator_traitsISG_E10value_typeET2_T3_PNSH_ISM_E10value_typeET4_T5_PSR_SS_PNS1_23onesweep_lookback_stateEbbT6_jjT7_P12ihipStream_tbENKUlT_T0_SG_SL_E_clIPiSA_PsSB_EEDaSZ_S10_SG_SL_EUlSZ_E_NS1_11comp_targetILNS1_3genE6ELNS1_11target_archE950ELNS1_3gpuE13ELNS1_3repE0EEENS1_47radix_sort_onesweep_sort_config_static_selectorELNS0_4arch9wavefront6targetE1EEEvSG_
	.p2align	8
	.type	_ZN7rocprim17ROCPRIM_400000_NS6detail17trampoline_kernelINS0_14default_configENS1_35radix_sort_onesweep_config_selectorIisEEZZNS1_29radix_sort_onesweep_iterationIS3_Lb0EN6thrust23THRUST_200600_302600_NS10device_ptrIiEESA_NS9_IsEESB_jNS0_19identity_decomposerENS1_16block_id_wrapperIjLb1EEEEE10hipError_tT1_PNSt15iterator_traitsISG_E10value_typeET2_T3_PNSH_ISM_E10value_typeET4_T5_PSR_SS_PNS1_23onesweep_lookback_stateEbbT6_jjT7_P12ihipStream_tbENKUlT_T0_SG_SL_E_clIPiSA_PsSB_EEDaSZ_S10_SG_SL_EUlSZ_E_NS1_11comp_targetILNS1_3genE6ELNS1_11target_archE950ELNS1_3gpuE13ELNS1_3repE0EEENS1_47radix_sort_onesweep_sort_config_static_selectorELNS0_4arch9wavefront6targetE1EEEvSG_,@function
_ZN7rocprim17ROCPRIM_400000_NS6detail17trampoline_kernelINS0_14default_configENS1_35radix_sort_onesweep_config_selectorIisEEZZNS1_29radix_sort_onesweep_iterationIS3_Lb0EN6thrust23THRUST_200600_302600_NS10device_ptrIiEESA_NS9_IsEESB_jNS0_19identity_decomposerENS1_16block_id_wrapperIjLb1EEEEE10hipError_tT1_PNSt15iterator_traitsISG_E10value_typeET2_T3_PNSH_ISM_E10value_typeET4_T5_PSR_SS_PNS1_23onesweep_lookback_stateEbbT6_jjT7_P12ihipStream_tbENKUlT_T0_SG_SL_E_clIPiSA_PsSB_EEDaSZ_S10_SG_SL_EUlSZ_E_NS1_11comp_targetILNS1_3genE6ELNS1_11target_archE950ELNS1_3gpuE13ELNS1_3repE0EEENS1_47radix_sort_onesweep_sort_config_static_selectorELNS0_4arch9wavefront6targetE1EEEvSG_: ; @_ZN7rocprim17ROCPRIM_400000_NS6detail17trampoline_kernelINS0_14default_configENS1_35radix_sort_onesweep_config_selectorIisEEZZNS1_29radix_sort_onesweep_iterationIS3_Lb0EN6thrust23THRUST_200600_302600_NS10device_ptrIiEESA_NS9_IsEESB_jNS0_19identity_decomposerENS1_16block_id_wrapperIjLb1EEEEE10hipError_tT1_PNSt15iterator_traitsISG_E10value_typeET2_T3_PNSH_ISM_E10value_typeET4_T5_PSR_SS_PNS1_23onesweep_lookback_stateEbbT6_jjT7_P12ihipStream_tbENKUlT_T0_SG_SL_E_clIPiSA_PsSB_EEDaSZ_S10_SG_SL_EUlSZ_E_NS1_11comp_targetILNS1_3genE6ELNS1_11target_archE950ELNS1_3gpuE13ELNS1_3repE0EEENS1_47radix_sort_onesweep_sort_config_static_selectorELNS0_4arch9wavefront6targetE1EEEvSG_
; %bb.0:
	s_load_dwordx4 s[48:51], s[2:3], 0x28
	s_load_dwordx2 s[38:39], s[2:3], 0x38
	s_load_dwordx4 s[52:55], s[2:3], 0x44
	v_and_b32_e32 v8, 0x3ff, v0
	v_cmp_eq_u32_e64 s[20:21], 0, v8
	s_and_saveexec_b64 s[6:7], s[20:21]
	s_cbranch_execz .LBB2459_4
; %bb.1:
	s_mov_b64 s[10:11], exec
	v_mbcnt_lo_u32_b32 v1, s10, 0
	v_mbcnt_hi_u32_b32 v1, s11, v1
	v_cmp_eq_u32_e32 vcc, 0, v1
                                        ; implicit-def: $vgpr2
	s_and_saveexec_b64 s[8:9], vcc
	s_cbranch_execz .LBB2459_3
; %bb.2:
	s_load_dwordx2 s[12:13], s[2:3], 0x50
	s_bcnt1_i32_b64 s5, s[10:11]
	v_mov_b32_e32 v2, 0
	v_mov_b32_e32 v3, s5
	s_waitcnt lgkmcnt(0)
	global_atomic_add v2, v2, v3, s[12:13] sc0
.LBB2459_3:
	s_or_b64 exec, exec, s[8:9]
	s_waitcnt vmcnt(0)
	v_readfirstlane_b32 s5, v2
	v_mov_b32_e32 v2, 0
	s_nop 0
	v_add_u32_e32 v1, s5, v1
	ds_write_b32 v2, v1 offset:20544
.LBB2459_4:
	s_or_b64 exec, exec, s[6:7]
	v_mov_b32_e32 v1, 0
	s_load_dwordx8 s[40:47], s[2:3], 0x0
	s_load_dword s5, s[2:3], 0x20
	s_waitcnt lgkmcnt(0)
	s_barrier
	ds_read_b32 v2, v1 offset:20544
	v_bfe_u32 v9, v0, 10, 10
	v_bfe_u32 v14, v0, 20, 10
	s_mov_b64 s[6:7], -1
	v_mbcnt_lo_u32_b32 v16, -1, 0
	s_waitcnt lgkmcnt(0)
	v_cmp_le_u32_e32 vcc, s54, v2
	v_readfirstlane_b32 s33, v2
	v_lshlrev_b32_e32 v15, 3, v8
	s_barrier
	s_cbranch_vccz .LBB2459_134
; %bb.5:
	s_lshl_b32 s6, s54, 13
	s_lshl_b32 s54, s33, 13
	s_mov_b32 s55, 0
	s_sub_i32 s5, s5, s6
	s_lshl_b64 s[6:7], s[54:55], 2
	v_mbcnt_hi_u32_b32 v20, -1, v16
	s_add_u32 s6, s40, s6
	v_and_b32_e32 v18, 63, v20
	s_addc_u32 s7, s41, s7
	v_and_b32_e32 v17, 0x1e00, v15
	v_lshlrev_b32_e32 v0, 2, v18
	v_lshl_add_u64 v[2:3], s[6:7], 0, v[0:1]
	v_lshlrev_b32_e32 v0, 2, v17
	v_lshl_add_u64 v[10:11], v[2:3], 0, v[0:1]
	v_or_b32_e32 v12, v18, v17
	v_bfrev_b32_e32 v0, -2
	v_cmp_gt_u32_e64 s[28:29], s5, v12
	v_mov_b32_e32 v1, v0
	v_mov_b32_e32 v2, v0
	;; [unrolled: 1-line block ×7, first 2 shown]
	s_and_saveexec_b64 s[6:7], s[28:29]
	s_cbranch_execz .LBB2459_7
; %bb.6:
	global_load_dword v22, v[10:11], off
	v_mov_b32_e32 v23, v0
	v_mov_b32_e32 v24, v0
	;; [unrolled: 1-line block ×7, first 2 shown]
	s_waitcnt vmcnt(0)
	v_mov_b64_e32 v[0:1], v[22:23]
	v_mov_b64_e32 v[2:3], v[24:25]
	;; [unrolled: 1-line block ×4, first 2 shown]
.LBB2459_7:
	s_or_b64 exec, exec, s[6:7]
	v_or_b32_e32 v13, 64, v12
	v_cmp_gt_u32_e64 s[6:7], s5, v13
	s_and_saveexec_b64 s[8:9], s[6:7]
	s_cbranch_execz .LBB2459_9
; %bb.8:
	global_load_dword v1, v[10:11], off offset:256
.LBB2459_9:
	s_or_b64 exec, exec, s[8:9]
	v_or_b32_e32 v13, 0x80, v12
	v_cmp_gt_u32_e64 s[8:9], s5, v13
	s_and_saveexec_b64 s[10:11], s[8:9]
	s_cbranch_execz .LBB2459_11
; %bb.10:
	global_load_dword v2, v[10:11], off offset:512
.LBB2459_11:
	;; [unrolled: 8-line block ×7, first 2 shown]
	s_or_b64 exec, exec, s[22:23]
	s_load_dword s22, s[2:3], 0x64
	s_load_dword s56, s[2:3], 0x58
	s_add_u32 s23, s2, 0x58
	s_addc_u32 s24, s3, 0
	v_mov_b32_e32 v11, 0
	s_waitcnt lgkmcnt(0)
	s_lshr_b32 s25, s22, 16
	s_cmp_lt_u32 s4, s56
	s_cselect_b32 s22, 12, 18
	s_add_u32 s22, s23, s22
	s_addc_u32 s23, s24, 0
	global_load_ushort v36, v11, s[22:23]
	v_xor_b32_e32 v19, 0x80000000, v0
	v_lshrrev_b32_e32 v0, s52, v19
	s_lshl_b32 s22, -1, s53
	v_bitop3_b32 v0, v0, s22, v0 bitop3:0x30
	s_movk_i32 s58, 0x44
	v_and_b32_e32 v10, 1, v0
	v_lshlrev_b32_e32 v13, 30, v0
	v_mov_b32_e32 v12, v11
	v_mov_b32_e32 v24, v11
	v_mul_lo_u32 v38, v0, s58
	v_lshlrev_b32_e32 v23, 29, v0
	v_lshlrev_b32_e32 v25, 28, v0
	;; [unrolled: 1-line block ×6, first 2 shown]
	v_lshl_add_u64 v[34:35], v[10:11], 0, -1
	v_cmp_ne_u32_e32 vcc, 0, v10
	v_not_b32_e32 v0, v13
	v_mov_b32_e32 v22, v11
	v_mov_b32_e32 v26, v11
	s_not_b32 s57, s22
	v_cmp_gt_i64_e64 s[22:23], 0, v[12:13]
	v_not_b32_e32 v10, v23
	v_cmp_gt_i64_e64 s[26:27], 0, v[24:25]
	v_not_b32_e32 v12, v25
	v_xor_b32_e32 v25, vcc_lo, v34
	v_ashrrev_i32_e32 v0, 31, v0
	v_mad_u32_u24 v37, v14, s25, v9
	v_cmp_gt_i64_e64 s[24:25], 0, v[22:23]
	v_cmp_gt_i64_e64 s[30:31], 0, v[26:27]
	v_ashrrev_i32_e32 v10, 31, v10
	v_and_b32_e32 v25, exec_lo, v25
	v_xor_b32_e32 v26, s23, v0
	v_xor_b32_e32 v0, s22, v0
	v_mov_b32_e32 v28, v11
	v_not_b32_e32 v13, v27
	v_ashrrev_i32_e32 v12, 31, v12
	v_xor_b32_e32 v27, s25, v10
	v_xor_b32_e32 v10, s24, v10
	v_and_b32_e32 v0, v25, v0
	v_cmp_gt_i64_e64 s[34:35], 0, v[28:29]
	v_xor_b32_e32 v24, vcc_hi, v35
	v_ashrrev_i32_e32 v13, 31, v13
	v_xor_b32_e32 v28, s27, v12
	v_xor_b32_e32 v12, s26, v12
	v_and_b32_e32 v0, v0, v10
	v_not_b32_e32 v22, v29
	v_and_b32_e32 v24, exec_hi, v24
	v_xor_b32_e32 v29, s31, v13
	v_xor_b32_e32 v13, s30, v13
	v_and_b32_e32 v0, v0, v12
	v_and_b32_e32 v24, v24, v26
	;; [unrolled: 1-line block ×3, first 2 shown]
	v_mov_b32_e32 v30, v11
	v_not_b32_e32 v23, v31
	v_ashrrev_i32_e32 v22, 31, v22
	v_and_b32_e32 v24, v24, v27
	v_mov_b32_e32 v32, v11
	v_cmp_gt_i64_e64 s[36:37], 0, v[30:31]
	v_ashrrev_i32_e32 v23, 31, v23
	v_xor_b32_e32 v30, s35, v22
	v_xor_b32_e32 v22, s34, v22
	v_and_b32_e32 v10, v24, v28
	v_xor_b32_e32 v31, s37, v23
	v_xor_b32_e32 v23, s36, v23
	v_and_b32_e32 v10, v10, v29
	v_and_b32_e32 v0, v0, v22
	v_cmp_gt_i64_e32 vcc, 0, v[32:33]
	v_and_b32_e32 v10, v10, v30
	v_and_b32_e32 v0, v0, v23
	;; [unrolled: 1-line block ×3, first 2 shown]
	v_mul_u32_u24_e32 v21, 20, v8
	ds_write2_b32 v21, v11, v11 offset0:16 offset1:17
	ds_write2_b32 v21, v11, v11 offset0:18 offset1:19
	ds_write_b32 v21, v11 offset:80
	s_waitcnt lgkmcnt(0)
	s_barrier
	s_waitcnt vmcnt(0)
	; wave barrier
	v_mad_u64_u32 v[12:13], s[22:23], v37, v36, v[8:9]
	v_lshrrev_b32_e32 v12, 4, v12
	v_and_b32_e32 v35, 0xffffffc, v12
	v_not_b32_e32 v12, v33
	v_ashrrev_i32_e32 v12, 31, v12
	v_xor_b32_e32 v13, vcc_hi, v12
	v_xor_b32_e32 v12, vcc_lo, v12
	v_and_b32_e32 v12, v0, v12
	v_and_b32_e32 v13, v10, v13
	v_mbcnt_lo_u32_b32 v0, v12, 0
	v_mbcnt_hi_u32_b32 v22, v13, v0
	v_cmp_eq_u32_e32 vcc, 0, v22
	v_cmp_ne_u64_e64 s[22:23], 0, v[12:13]
	s_and_b64 s[24:25], s[22:23], vcc
	v_add_u32_e32 v26, v35, v38
	s_and_saveexec_b64 s[22:23], s[24:25]
; %bb.22:
	v_bcnt_u32_b32 v0, v12, 0
	v_bcnt_u32_b32 v0, v13, v0
	ds_write_b32 v26, v0 offset:64
; %bb.23:
	s_or_b64 exec, exec, s[22:23]
	v_xor_b32_e32 v12, 0x80000000, v1
	v_lshrrev_b32_e32 v0, s52, v12
	v_and_b32_e32 v13, s57, v0
	v_mul_lo_u32 v0, v13, s58
	v_and_b32_e32 v10, 1, v13
	v_add_u32_e32 v27, v35, v0
	v_lshl_add_u64 v[0:1], v[10:11], 0, -1
	v_cmp_ne_u32_e32 vcc, 0, v10
	; wave barrier
	s_nop 1
	v_xor_b32_e32 v1, vcc_hi, v1
	v_xor_b32_e32 v0, vcc_lo, v0
	v_and_b32_e32 v10, exec_hi, v1
	v_and_b32_e32 v24, exec_lo, v0
	v_lshlrev_b32_e32 v1, 30, v13
	v_mov_b32_e32 v0, v11
	v_cmp_gt_i64_e32 vcc, 0, v[0:1]
	v_not_b32_e32 v0, v1
	v_ashrrev_i32_e32 v0, 31, v0
	v_xor_b32_e32 v1, vcc_hi, v0
	v_xor_b32_e32 v0, vcc_lo, v0
	v_and_b32_e32 v10, v10, v1
	v_and_b32_e32 v24, v24, v0
	v_lshlrev_b32_e32 v1, 29, v13
	v_mov_b32_e32 v0, v11
	v_cmp_gt_i64_e32 vcc, 0, v[0:1]
	v_not_b32_e32 v0, v1
	v_ashrrev_i32_e32 v0, 31, v0
	v_xor_b32_e32 v1, vcc_hi, v0
	v_xor_b32_e32 v0, vcc_lo, v0
	v_and_b32_e32 v10, v10, v1
	v_and_b32_e32 v24, v24, v0
	;; [unrolled: 9-line block ×6, first 2 shown]
	v_lshlrev_b32_e32 v1, 24, v13
	v_mov_b32_e32 v0, v11
	v_cmp_gt_i64_e32 vcc, 0, v[0:1]
	v_not_b32_e32 v0, v1
	v_ashrrev_i32_e32 v0, 31, v0
	v_xor_b32_e32 v1, vcc_hi, v0
	v_xor_b32_e32 v0, vcc_lo, v0
	ds_read_b32 v23, v27 offset:64
	v_and_b32_e32 v0, v24, v0
	v_and_b32_e32 v1, v10, v1
	v_mbcnt_lo_u32_b32 v10, v0, 0
	v_mbcnt_hi_u32_b32 v24, v1, v10
	v_cmp_eq_u32_e32 vcc, 0, v24
	v_cmp_ne_u64_e64 s[22:23], 0, v[0:1]
	s_and_b64 s[24:25], s[22:23], vcc
	; wave barrier
	s_and_saveexec_b64 s[22:23], s[24:25]
	s_cbranch_execz .LBB2459_25
; %bb.24:
	v_bcnt_u32_b32 v0, v0, 0
	v_bcnt_u32_b32 v0, v1, v0
	s_waitcnt lgkmcnt(0)
	v_add_u32_e32 v0, v23, v0
	ds_write_b32 v27, v0 offset:64
.LBB2459_25:
	s_or_b64 exec, exec, s[22:23]
	v_xor_b32_e32 v13, 0x80000000, v2
	v_lshrrev_b32_e32 v0, s52, v13
	v_and_b32_e32 v2, s57, v0
	s_movk_i32 s24, 0x44
	v_mul_lo_u32 v0, v2, s24
	v_add_u32_e32 v31, v35, v0
	v_and_b32_e32 v0, 1, v2
	v_mov_b32_e32 v1, 0
	v_lshl_add_u64 v[10:11], v[0:1], 0, -1
	v_cmp_ne_u32_e32 vcc, 0, v0
	; wave barrier
	s_nop 1
	v_xor_b32_e32 v10, vcc_lo, v10
	v_xor_b32_e32 v0, vcc_hi, v11
	v_and_b32_e32 v28, exec_lo, v10
	v_lshlrev_b32_e32 v11, 30, v2
	v_mov_b32_e32 v10, v1
	v_cmp_gt_i64_e32 vcc, 0, v[10:11]
	v_not_b32_e32 v10, v11
	v_ashrrev_i32_e32 v10, 31, v10
	v_and_b32_e32 v0, exec_hi, v0
	v_xor_b32_e32 v11, vcc_hi, v10
	v_xor_b32_e32 v10, vcc_lo, v10
	v_and_b32_e32 v0, v0, v11
	v_and_b32_e32 v28, v28, v10
	v_lshlrev_b32_e32 v11, 29, v2
	v_mov_b32_e32 v10, v1
	v_cmp_gt_i64_e32 vcc, 0, v[10:11]
	v_not_b32_e32 v10, v11
	v_ashrrev_i32_e32 v10, 31, v10
	v_xor_b32_e32 v11, vcc_hi, v10
	v_xor_b32_e32 v10, vcc_lo, v10
	v_and_b32_e32 v0, v0, v11
	v_and_b32_e32 v28, v28, v10
	v_lshlrev_b32_e32 v11, 28, v2
	v_mov_b32_e32 v10, v1
	v_cmp_gt_i64_e32 vcc, 0, v[10:11]
	v_not_b32_e32 v10, v11
	v_ashrrev_i32_e32 v10, 31, v10
	;; [unrolled: 9-line block ×5, first 2 shown]
	v_xor_b32_e32 v11, vcc_hi, v10
	v_xor_b32_e32 v10, vcc_lo, v10
	v_and_b32_e32 v0, v0, v11
	v_lshlrev_b32_e32 v11, 24, v2
	v_and_b32_e32 v28, v28, v10
	v_mov_b32_e32 v10, v1
	v_not_b32_e32 v2, v11
	v_cmp_gt_i64_e32 vcc, 0, v[10:11]
	v_ashrrev_i32_e32 v2, 31, v2
	ds_read_b32 v25, v31 offset:64
	v_xor_b32_e32 v10, vcc_hi, v2
	v_xor_b32_e32 v2, vcc_lo, v2
	v_and_b32_e32 v11, v0, v10
	v_and_b32_e32 v10, v28, v2
	v_mbcnt_lo_u32_b32 v0, v10, 0
	v_mbcnt_hi_u32_b32 v29, v11, v0
	v_cmp_eq_u32_e32 vcc, 0, v29
	v_cmp_ne_u64_e64 s[22:23], 0, v[10:11]
	s_and_b64 s[26:27], s[22:23], vcc
	; wave barrier
	s_and_saveexec_b64 s[22:23], s[26:27]
	s_cbranch_execz .LBB2459_27
; %bb.26:
	v_bcnt_u32_b32 v0, v10, 0
	v_bcnt_u32_b32 v0, v11, v0
	s_waitcnt lgkmcnt(0)
	v_add_u32_e32 v0, v25, v0
	ds_write_b32 v31, v0 offset:64
.LBB2459_27:
	s_or_b64 exec, exec, s[22:23]
	v_xor_b32_e32 v10, 0x80000000, v3
	v_lshrrev_b32_e32 v0, s52, v10
	v_and_b32_e32 v11, s57, v0
	v_mul_lo_u32 v0, v11, s24
	v_add_u32_e32 v36, v35, v0
	v_and_b32_e32 v0, 1, v11
	v_lshl_add_u64 v[2:3], v[0:1], 0, -1
	v_cmp_ne_u32_e32 vcc, 0, v0
	; wave barrier
	s_nop 1
	v_xor_b32_e32 v2, vcc_lo, v2
	v_xor_b32_e32 v0, vcc_hi, v3
	v_and_b32_e32 v28, exec_lo, v2
	v_lshlrev_b32_e32 v3, 30, v11
	v_mov_b32_e32 v2, v1
	v_cmp_gt_i64_e32 vcc, 0, v[2:3]
	v_not_b32_e32 v2, v3
	v_ashrrev_i32_e32 v2, 31, v2
	v_and_b32_e32 v0, exec_hi, v0
	v_xor_b32_e32 v3, vcc_hi, v2
	v_xor_b32_e32 v2, vcc_lo, v2
	v_and_b32_e32 v0, v0, v3
	v_and_b32_e32 v28, v28, v2
	v_lshlrev_b32_e32 v3, 29, v11
	v_mov_b32_e32 v2, v1
	v_cmp_gt_i64_e32 vcc, 0, v[2:3]
	v_not_b32_e32 v2, v3
	v_ashrrev_i32_e32 v2, 31, v2
	v_xor_b32_e32 v3, vcc_hi, v2
	v_xor_b32_e32 v2, vcc_lo, v2
	v_and_b32_e32 v0, v0, v3
	v_and_b32_e32 v28, v28, v2
	v_lshlrev_b32_e32 v3, 28, v11
	v_mov_b32_e32 v2, v1
	v_cmp_gt_i64_e32 vcc, 0, v[2:3]
	v_not_b32_e32 v2, v3
	v_ashrrev_i32_e32 v2, 31, v2
	;; [unrolled: 9-line block ×5, first 2 shown]
	v_xor_b32_e32 v3, vcc_hi, v2
	v_xor_b32_e32 v2, vcc_lo, v2
	v_and_b32_e32 v0, v0, v3
	v_lshlrev_b32_e32 v3, 24, v11
	v_and_b32_e32 v28, v28, v2
	v_mov_b32_e32 v2, v1
	v_not_b32_e32 v1, v3
	v_cmp_gt_i64_e32 vcc, 0, v[2:3]
	v_ashrrev_i32_e32 v1, 31, v1
	ds_read_b32 v30, v36 offset:64
	v_xor_b32_e32 v2, vcc_hi, v1
	v_xor_b32_e32 v3, vcc_lo, v1
	v_and_b32_e32 v1, v0, v2
	v_and_b32_e32 v0, v28, v3
	v_mbcnt_lo_u32_b32 v2, v0, 0
	v_mbcnt_hi_u32_b32 v33, v1, v2
	v_cmp_eq_u32_e32 vcc, 0, v33
	v_cmp_ne_u64_e64 s[22:23], 0, v[0:1]
	s_and_b64 s[24:25], s[22:23], vcc
	; wave barrier
	s_and_saveexec_b64 s[22:23], s[24:25]
	s_cbranch_execz .LBB2459_29
; %bb.28:
	v_bcnt_u32_b32 v0, v0, 0
	v_bcnt_u32_b32 v0, v1, v0
	s_waitcnt lgkmcnt(0)
	v_add_u32_e32 v0, v30, v0
	ds_write_b32 v36, v0 offset:64
.LBB2459_29:
	s_or_b64 exec, exec, s[22:23]
	v_xor_b32_e32 v11, 0x80000000, v4
	v_lshrrev_b32_e32 v0, s52, v11
	v_and_b32_e32 v28, s57, v0
	s_movk_i32 s24, 0x44
	v_mul_lo_u32 v0, v28, s24
	v_add_u32_e32 v4, v35, v0
	v_and_b32_e32 v0, 1, v28
	v_mov_b32_e32 v1, 0
	v_lshl_add_u64 v[2:3], v[0:1], 0, -1
	v_cmp_ne_u32_e32 vcc, 0, v0
	; wave barrier
	s_nop 1
	v_xor_b32_e32 v2, vcc_lo, v2
	v_xor_b32_e32 v0, vcc_hi, v3
	v_and_b32_e32 v32, exec_lo, v2
	v_lshlrev_b32_e32 v3, 30, v28
	v_mov_b32_e32 v2, v1
	v_cmp_gt_i64_e32 vcc, 0, v[2:3]
	v_not_b32_e32 v2, v3
	v_ashrrev_i32_e32 v2, 31, v2
	v_and_b32_e32 v0, exec_hi, v0
	v_xor_b32_e32 v3, vcc_hi, v2
	v_xor_b32_e32 v2, vcc_lo, v2
	v_and_b32_e32 v0, v0, v3
	v_and_b32_e32 v32, v32, v2
	v_lshlrev_b32_e32 v3, 29, v28
	v_mov_b32_e32 v2, v1
	v_cmp_gt_i64_e32 vcc, 0, v[2:3]
	v_not_b32_e32 v2, v3
	v_ashrrev_i32_e32 v2, 31, v2
	v_xor_b32_e32 v3, vcc_hi, v2
	v_xor_b32_e32 v2, vcc_lo, v2
	v_and_b32_e32 v0, v0, v3
	v_and_b32_e32 v32, v32, v2
	v_lshlrev_b32_e32 v3, 28, v28
	v_mov_b32_e32 v2, v1
	v_cmp_gt_i64_e32 vcc, 0, v[2:3]
	v_not_b32_e32 v2, v3
	v_ashrrev_i32_e32 v2, 31, v2
	;; [unrolled: 9-line block ×6, first 2 shown]
	v_xor_b32_e32 v3, vcc_hi, v2
	v_xor_b32_e32 v2, vcc_lo, v2
	ds_read_b32 v34, v4 offset:64
	v_and_b32_e32 v2, v32, v2
	v_and_b32_e32 v3, v0, v3
	v_mbcnt_lo_u32_b32 v0, v2, 0
	v_mbcnt_hi_u32_b32 v38, v3, v0
	v_cmp_eq_u32_e32 vcc, 0, v38
	v_cmp_ne_u64_e64 s[22:23], 0, v[2:3]
	s_and_b64 s[26:27], s[22:23], vcc
	; wave barrier
	s_and_saveexec_b64 s[22:23], s[26:27]
	s_cbranch_execz .LBB2459_31
; %bb.30:
	v_bcnt_u32_b32 v0, v2, 0
	v_bcnt_u32_b32 v0, v3, v0
	s_waitcnt lgkmcnt(0)
	v_add_u32_e32 v0, v34, v0
	ds_write_b32 v4, v0 offset:64
.LBB2459_31:
	s_or_b64 exec, exec, s[22:23]
	v_xor_b32_e32 v28, 0x80000000, v5
	v_lshrrev_b32_e32 v0, s52, v28
	v_and_b32_e32 v32, s57, v0
	v_mul_lo_u32 v0, v32, s24
	v_add_u32_e32 v5, v35, v0
	v_and_b32_e32 v0, 1, v32
	v_lshl_add_u64 v[2:3], v[0:1], 0, -1
	v_cmp_ne_u32_e32 vcc, 0, v0
	; wave barrier
	s_nop 1
	v_xor_b32_e32 v2, vcc_lo, v2
	v_xor_b32_e32 v0, vcc_hi, v3
	v_and_b32_e32 v37, exec_lo, v2
	v_lshlrev_b32_e32 v3, 30, v32
	v_mov_b32_e32 v2, v1
	v_cmp_gt_i64_e32 vcc, 0, v[2:3]
	v_not_b32_e32 v2, v3
	v_ashrrev_i32_e32 v2, 31, v2
	v_and_b32_e32 v0, exec_hi, v0
	v_xor_b32_e32 v3, vcc_hi, v2
	v_xor_b32_e32 v2, vcc_lo, v2
	v_and_b32_e32 v0, v0, v3
	v_and_b32_e32 v37, v37, v2
	v_lshlrev_b32_e32 v3, 29, v32
	v_mov_b32_e32 v2, v1
	v_cmp_gt_i64_e32 vcc, 0, v[2:3]
	v_not_b32_e32 v2, v3
	v_ashrrev_i32_e32 v2, 31, v2
	v_xor_b32_e32 v3, vcc_hi, v2
	v_xor_b32_e32 v2, vcc_lo, v2
	v_and_b32_e32 v0, v0, v3
	v_and_b32_e32 v37, v37, v2
	v_lshlrev_b32_e32 v3, 28, v32
	v_mov_b32_e32 v2, v1
	v_cmp_gt_i64_e32 vcc, 0, v[2:3]
	v_not_b32_e32 v2, v3
	v_ashrrev_i32_e32 v2, 31, v2
	;; [unrolled: 9-line block ×5, first 2 shown]
	v_xor_b32_e32 v3, vcc_hi, v2
	v_xor_b32_e32 v2, vcc_lo, v2
	v_and_b32_e32 v0, v0, v3
	v_lshlrev_b32_e32 v3, 24, v32
	v_and_b32_e32 v37, v37, v2
	v_mov_b32_e32 v2, v1
	v_not_b32_e32 v1, v3
	v_cmp_gt_i64_e32 vcc, 0, v[2:3]
	v_ashrrev_i32_e32 v1, 31, v1
	ds_read_b32 v39, v5 offset:64
	v_xor_b32_e32 v2, vcc_hi, v1
	v_xor_b32_e32 v3, vcc_lo, v1
	v_and_b32_e32 v1, v0, v2
	v_and_b32_e32 v0, v37, v3
	v_mbcnt_lo_u32_b32 v2, v0, 0
	v_mbcnt_hi_u32_b32 v40, v1, v2
	v_cmp_eq_u32_e32 vcc, 0, v40
	v_cmp_ne_u64_e64 s[22:23], 0, v[0:1]
	s_and_b64 s[24:25], s[22:23], vcc
	; wave barrier
	s_and_saveexec_b64 s[22:23], s[24:25]
	s_cbranch_execz .LBB2459_33
; %bb.32:
	v_bcnt_u32_b32 v0, v0, 0
	v_bcnt_u32_b32 v0, v1, v0
	s_waitcnt lgkmcnt(0)
	v_add_u32_e32 v0, v39, v0
	ds_write_b32 v5, v0 offset:64
.LBB2459_33:
	s_or_b64 exec, exec, s[22:23]
	v_xor_b32_e32 v32, 0x80000000, v6
	v_lshrrev_b32_e32 v0, s52, v32
	v_and_b32_e32 v37, s57, v0
	s_movk_i32 s24, 0x44
	v_mul_lo_u32 v0, v37, s24
	v_add_u32_e32 v6, v35, v0
	v_and_b32_e32 v0, 1, v37
	v_mov_b32_e32 v1, 0
	v_lshl_add_u64 v[2:3], v[0:1], 0, -1
	v_cmp_ne_u32_e32 vcc, 0, v0
	; wave barrier
	s_nop 1
	v_xor_b32_e32 v2, vcc_lo, v2
	v_xor_b32_e32 v0, vcc_hi, v3
	v_and_b32_e32 v42, exec_lo, v2
	v_lshlrev_b32_e32 v3, 30, v37
	v_mov_b32_e32 v2, v1
	v_cmp_gt_i64_e32 vcc, 0, v[2:3]
	v_not_b32_e32 v2, v3
	v_ashrrev_i32_e32 v2, 31, v2
	v_and_b32_e32 v0, exec_hi, v0
	v_xor_b32_e32 v3, vcc_hi, v2
	v_xor_b32_e32 v2, vcc_lo, v2
	v_and_b32_e32 v0, v0, v3
	v_and_b32_e32 v42, v42, v2
	v_lshlrev_b32_e32 v3, 29, v37
	v_mov_b32_e32 v2, v1
	v_cmp_gt_i64_e32 vcc, 0, v[2:3]
	v_not_b32_e32 v2, v3
	v_ashrrev_i32_e32 v2, 31, v2
	v_xor_b32_e32 v3, vcc_hi, v2
	v_xor_b32_e32 v2, vcc_lo, v2
	v_and_b32_e32 v0, v0, v3
	v_and_b32_e32 v42, v42, v2
	v_lshlrev_b32_e32 v3, 28, v37
	v_mov_b32_e32 v2, v1
	v_cmp_gt_i64_e32 vcc, 0, v[2:3]
	v_not_b32_e32 v2, v3
	v_ashrrev_i32_e32 v2, 31, v2
	;; [unrolled: 9-line block ×6, first 2 shown]
	v_xor_b32_e32 v3, vcc_hi, v2
	v_xor_b32_e32 v2, vcc_lo, v2
	ds_read_b32 v41, v6 offset:64
	v_and_b32_e32 v2, v42, v2
	v_and_b32_e32 v3, v0, v3
	v_mbcnt_lo_u32_b32 v0, v2, 0
	v_mbcnt_hi_u32_b32 v42, v3, v0
	v_cmp_eq_u32_e32 vcc, 0, v42
	v_cmp_ne_u64_e64 s[22:23], 0, v[2:3]
	s_and_b64 s[26:27], s[22:23], vcc
	; wave barrier
	s_and_saveexec_b64 s[22:23], s[26:27]
	s_cbranch_execz .LBB2459_35
; %bb.34:
	v_bcnt_u32_b32 v0, v2, 0
	v_bcnt_u32_b32 v0, v3, v0
	s_waitcnt lgkmcnt(0)
	v_add_u32_e32 v0, v41, v0
	ds_write_b32 v6, v0 offset:64
.LBB2459_35:
	s_or_b64 exec, exec, s[22:23]
	v_xor_b32_e32 v37, 0x80000000, v7
	v_lshrrev_b32_e32 v0, s52, v37
	v_and_b32_e32 v43, s57, v0
	v_mul_lo_u32 v0, v43, s24
	v_add_u32_e32 v7, v35, v0
	v_and_b32_e32 v0, 1, v43
	v_lshl_add_u64 v[2:3], v[0:1], 0, -1
	v_cmp_ne_u32_e32 vcc, 0, v0
	; wave barrier
	s_nop 1
	v_xor_b32_e32 v2, vcc_lo, v2
	v_xor_b32_e32 v0, vcc_hi, v3
	v_and_b32_e32 v44, exec_lo, v2
	v_lshlrev_b32_e32 v3, 30, v43
	v_mov_b32_e32 v2, v1
	v_cmp_gt_i64_e32 vcc, 0, v[2:3]
	v_not_b32_e32 v2, v3
	v_ashrrev_i32_e32 v2, 31, v2
	v_and_b32_e32 v0, exec_hi, v0
	v_xor_b32_e32 v3, vcc_hi, v2
	v_xor_b32_e32 v2, vcc_lo, v2
	v_and_b32_e32 v0, v0, v3
	v_and_b32_e32 v44, v44, v2
	v_lshlrev_b32_e32 v3, 29, v43
	v_mov_b32_e32 v2, v1
	v_cmp_gt_i64_e32 vcc, 0, v[2:3]
	v_not_b32_e32 v2, v3
	v_ashrrev_i32_e32 v2, 31, v2
	v_xor_b32_e32 v3, vcc_hi, v2
	v_xor_b32_e32 v2, vcc_lo, v2
	v_and_b32_e32 v0, v0, v3
	v_and_b32_e32 v44, v44, v2
	v_lshlrev_b32_e32 v3, 28, v43
	v_mov_b32_e32 v2, v1
	v_cmp_gt_i64_e32 vcc, 0, v[2:3]
	v_not_b32_e32 v2, v3
	v_ashrrev_i32_e32 v2, 31, v2
	;; [unrolled: 9-line block ×5, first 2 shown]
	v_xor_b32_e32 v3, vcc_hi, v2
	v_xor_b32_e32 v2, vcc_lo, v2
	v_and_b32_e32 v0, v0, v3
	v_lshlrev_b32_e32 v3, 24, v43
	v_and_b32_e32 v44, v44, v2
	v_mov_b32_e32 v2, v1
	v_not_b32_e32 v1, v3
	v_cmp_gt_i64_e32 vcc, 0, v[2:3]
	v_ashrrev_i32_e32 v1, 31, v1
	ds_read_b32 v35, v7 offset:64
	v_xor_b32_e32 v2, vcc_hi, v1
	v_xor_b32_e32 v3, vcc_lo, v1
	v_and_b32_e32 v1, v0, v2
	v_and_b32_e32 v0, v44, v3
	v_mbcnt_lo_u32_b32 v2, v0, 0
	v_mbcnt_hi_u32_b32 v43, v1, v2
	v_cmp_eq_u32_e32 vcc, 0, v43
	v_cmp_ne_u64_e64 s[22:23], 0, v[0:1]
	s_and_b64 s[24:25], s[22:23], vcc
	; wave barrier
	s_and_saveexec_b64 s[22:23], s[24:25]
	s_cbranch_execz .LBB2459_37
; %bb.36:
	v_bcnt_u32_b32 v0, v0, 0
	v_bcnt_u32_b32 v0, v1, v0
	s_waitcnt lgkmcnt(0)
	v_add_u32_e32 v0, v35, v0
	ds_write_b32 v7, v0 offset:64
.LBB2459_37:
	s_or_b64 exec, exec, s[22:23]
	; wave barrier
	s_waitcnt lgkmcnt(0)
	s_barrier
	ds_read2_b32 v[2:3], v21 offset0:16 offset1:17
	ds_read2_b32 v[0:1], v21 offset0:18 offset1:19
	ds_read_b32 v44, v21 offset:80
	v_cmp_lt_u32_e64 s[30:31], 31, v20
	s_waitcnt lgkmcnt(1)
	v_add3_u32 v45, v3, v2, v0
	s_waitcnt lgkmcnt(0)
	v_add3_u32 v44, v45, v1, v44
	v_and_b32_e32 v45, 15, v20
	v_cmp_eq_u32_e32 vcc, 0, v45
	v_mov_b32_dpp v46, v44 row_shr:1 row_mask:0xf bank_mask:0xf
	v_cmp_lt_u32_e64 s[22:23], 1, v45
	v_cndmask_b32_e64 v46, v46, 0, vcc
	v_add_u32_e32 v44, v46, v44
	v_cmp_lt_u32_e64 s[24:25], 3, v45
	v_cmp_lt_u32_e64 s[26:27], 7, v45
	v_mov_b32_dpp v46, v44 row_shr:2 row_mask:0xf bank_mask:0xf
	v_cndmask_b32_e64 v46, 0, v46, s[22:23]
	v_add_u32_e32 v44, v44, v46
	s_nop 1
	v_mov_b32_dpp v46, v44 row_shr:4 row_mask:0xf bank_mask:0xf
	v_cndmask_b32_e64 v46, 0, v46, s[24:25]
	v_add_u32_e32 v44, v44, v46
	s_nop 1
	v_mov_b32_dpp v46, v44 row_shr:8 row_mask:0xf bank_mask:0xf
	v_cndmask_b32_e64 v45, 0, v46, s[26:27]
	v_add_u32_e32 v44, v44, v45
	v_bfe_i32 v46, v20, 4, 1
	s_nop 0
	v_mov_b32_dpp v45, v44 row_bcast:15 row_mask:0xf bank_mask:0xf
	v_and_b32_e32 v45, v46, v45
	v_add_u32_e32 v44, v44, v45
	v_and_b32_e32 v46, 63, v8
	s_nop 0
	v_mov_b32_dpp v45, v44 row_bcast:31 row_mask:0xf bank_mask:0xf
	v_cndmask_b32_e64 v45, 0, v45, s[30:31]
	v_add_u32_e32 v44, v44, v45
	v_lshrrev_b32_e32 v45, 6, v8
	v_cmp_eq_u32_e64 s[30:31], 63, v46
	s_and_saveexec_b64 s[34:35], s[30:31]
; %bb.38:
	v_lshlrev_b32_e32 v46, 2, v45
	ds_write_b32 v46, v44
; %bb.39:
	s_or_b64 exec, exec, s[34:35]
	v_cmp_gt_u32_e64 s[30:31], 16, v8
	s_waitcnt lgkmcnt(0)
	s_barrier
	s_and_saveexec_b64 s[34:35], s[30:31]
	s_cbranch_execz .LBB2459_41
; %bb.40:
	v_lshlrev_b32_e32 v46, 2, v8
	ds_read_b32 v47, v46
	s_waitcnt lgkmcnt(0)
	s_nop 0
	v_mov_b32_dpp v48, v47 row_shr:1 row_mask:0xf bank_mask:0xf
	v_cndmask_b32_e64 v48, v48, 0, vcc
	v_add_u32_e32 v47, v48, v47
	s_nop 1
	v_mov_b32_dpp v48, v47 row_shr:2 row_mask:0xf bank_mask:0xf
	v_cndmask_b32_e64 v48, 0, v48, s[22:23]
	v_add_u32_e32 v47, v47, v48
	s_nop 1
	v_mov_b32_dpp v48, v47 row_shr:4 row_mask:0xf bank_mask:0xf
	v_cndmask_b32_e64 v48, 0, v48, s[24:25]
	;; [unrolled: 4-line block ×3, first 2 shown]
	v_add_u32_e32 v47, v47, v48
	ds_write_b32 v46, v47
.LBB2459_41:
	s_or_b64 exec, exec, s[34:35]
	v_cmp_lt_u32_e32 vcc, 63, v8
	v_mov_b32_e32 v46, 0
	s_waitcnt lgkmcnt(0)
	s_barrier
	s_and_saveexec_b64 s[22:23], vcc
; %bb.42:
	v_lshl_add_u32 v45, v45, 2, -4
	ds_read_b32 v46, v45
; %bb.43:
	s_or_b64 exec, exec, s[22:23]
	v_subrev_co_u32_e32 v45, vcc, 1, v20
	v_and_b32_e32 v47, 64, v20
	v_cmp_lt_i32_e64 s[22:23], v45, v47
	s_waitcnt lgkmcnt(0)
	v_add_u32_e32 v44, v46, v44
	s_movk_i32 s24, 0x100
	v_cndmask_b32_e64 v20, v45, v20, s[22:23]
	v_lshlrev_b32_e32 v20, 2, v20
	ds_bpermute_b32 v20, v20, v44
	s_movk_i32 s22, 0xff
	v_cmp_lt_u32_e64 s[22:23], s22, v8
	s_waitcnt lgkmcnt(0)
	v_cndmask_b32_e32 v20, v20, v46, vcc
	v_cndmask_b32_e64 v20, v20, 0, s[20:21]
	v_add_u32_e32 v2, v20, v2
	v_add_u32_e32 v3, v2, v3
	;; [unrolled: 1-line block ×4, first 2 shown]
	ds_write2_b32 v21, v20, v2 offset0:16 offset1:17
	ds_write2_b32 v21, v3, v0 offset0:18 offset1:19
	ds_write_b32 v21, v1 offset:80
	s_waitcnt lgkmcnt(0)
	s_barrier
	ds_read_b32 v26, v26 offset:64
	ds_read_b32 v45, v27 offset:64
	ds_read_b32 v46, v31 offset:64
	ds_read_b32 v47, v36 offset:64
	ds_read_b32 v21, v4 offset:64
	ds_read_b32 v31, v5 offset:64
	ds_read_b32 v36, v6 offset:64
	ds_read_b32 v44, v7 offset:64
	v_cmp_gt_u32_e32 vcc, s24, v8
                                        ; implicit-def: $vgpr6
                                        ; implicit-def: $vgpr7
	s_and_saveexec_b64 s[26:27], vcc
	s_cbranch_execz .LBB2459_47
; %bb.44:
	v_mul_u32_u24_e32 v0, 0x44, v8
	ds_read_b32 v6, v0 offset:64
	v_add_u32_e32 v1, 1, v8
	v_cmp_ne_u32_e64 s[24:25], s24, v1
	v_mov_b32_e32 v0, 0x2000
	s_and_saveexec_b64 s[30:31], s[24:25]
; %bb.45:
	v_mul_u32_u24_e32 v0, 0x44, v1
	ds_read_b32 v0, v0 offset:64
; %bb.46:
	s_or_b64 exec, exec, s[30:31]
	s_waitcnt lgkmcnt(0)
	v_sub_u32_e32 v7, v0, v6
.LBB2459_47:
	s_or_b64 exec, exec, s[26:27]
	v_mov_b32_e32 v1, 0
	v_lshlrev_b32_e32 v20, 2, v8
	s_waitcnt lgkmcnt(0)
	s_barrier
	s_and_saveexec_b64 s[24:25], vcc
	s_cbranch_execz .LBB2459_57
; %bb.48:
	v_lshl_add_u32 v0, s33, 8, v8
	v_lshl_add_u64 v[2:3], v[0:1], 2, s[38:39]
	v_or_b32_e32 v0, 2.0, v7
	s_mov_b64 s[26:27], 0
	s_brev_b32 s36, -4
	s_mov_b32 s37, s33
	v_mov_b32_e32 v27, 0
	global_store_dword v[2:3], v0, off sc1
                                        ; implicit-def: $sgpr30_sgpr31
	s_branch .LBB2459_51
.LBB2459_49:                            ;   in Loop: Header=BB2459_51 Depth=1
	s_or_b64 exec, exec, s[34:35]
.LBB2459_50:                            ;   in Loop: Header=BB2459_51 Depth=1
	s_or_b64 exec, exec, s[30:31]
	v_and_b32_e32 v4, 0x3fffffff, v0
	v_add_u32_e32 v27, v4, v27
	v_cmp_gt_i32_e64 s[30:31], -2.0, v0
	s_and_b64 s[34:35], exec, s[30:31]
	s_or_b64 s[26:27], s[34:35], s[26:27]
	s_andn2_b64 exec, exec, s[26:27]
	s_cbranch_execz .LBB2459_56
.LBB2459_51:                            ; =>This Loop Header: Depth=1
                                        ;     Child Loop BB2459_54 Depth 2
	s_or_b64 s[30:31], s[30:31], exec
	s_cmp_eq_u32 s37, 0
	s_cbranch_scc1 .LBB2459_55
; %bb.52:                               ;   in Loop: Header=BB2459_51 Depth=1
	s_add_i32 s37, s37, -1
	v_lshl_or_b32 v0, s37, 8, v8
	v_lshl_add_u64 v[4:5], v[0:1], 2, s[38:39]
	global_load_dword v0, v[4:5], off sc1
	s_waitcnt vmcnt(0)
	v_cmp_gt_u32_e32 vcc, 2.0, v0
	s_and_saveexec_b64 s[30:31], vcc
	s_cbranch_execz .LBB2459_50
; %bb.53:                               ;   in Loop: Header=BB2459_51 Depth=1
	s_mov_b64 s[34:35], 0
.LBB2459_54:                            ;   Parent Loop BB2459_51 Depth=1
                                        ; =>  This Inner Loop Header: Depth=2
	global_load_dword v0, v[4:5], off sc1
	s_waitcnt vmcnt(0)
	v_cmp_lt_u32_e32 vcc, s36, v0
	s_or_b64 s[34:35], vcc, s[34:35]
	s_andn2_b64 exec, exec, s[34:35]
	s_cbranch_execnz .LBB2459_54
	s_branch .LBB2459_49
.LBB2459_55:                            ;   in Loop: Header=BB2459_51 Depth=1
                                        ; implicit-def: $sgpr37
	s_and_b64 s[34:35], exec, s[30:31]
	s_or_b64 s[26:27], s[34:35], s[26:27]
	s_andn2_b64 exec, exec, s[26:27]
	s_cbranch_execnz .LBB2459_51
.LBB2459_56:
	s_or_b64 exec, exec, s[26:27]
	v_add_u32_e32 v0, v27, v7
	v_or_b32_e32 v0, 0x80000000, v0
	global_store_dword v[2:3], v0, off sc1
	global_load_dword v0, v20, s[48:49]
	v_sub_u32_e32 v1, v27, v6
	s_waitcnt vmcnt(0)
	v_add_u32_e32 v0, v1, v0
	ds_write_b32 v20, v0
.LBB2459_57:
	s_or_b64 exec, exec, s[24:25]
	s_load_dwordx2 s[24:25], s[0:1], 0x4
	v_add_u32_e32 v27, v26, v22
	v_add3_u32 v26, v24, v23, v45
	v_add3_u32 v24, v29, v25, v46
	;; [unrolled: 1-line block ×3, first 2 shown]
	s_waitcnt lgkmcnt(0)
	s_lshr_b32 s0, s24, 16
	s_mul_i32 s0, s0, s25
	v_mul_lo_u32 v0, s0, v8
	v_mad_u32_u24 v0, v9, s25, v0
	v_add_lshl_u32 v0, v0, v14, 5
	v_add3_u32 v22, v38, v34, v21
	v_add3_u32 v21, v40, v39, v31
	;; [unrolled: 1-line block ×4, first 2 shown]
	v_add_u32_e32 v2, 0x5050, v0
	v_add_u32_e32 v3, 0x5060, v0
	v_lshlrev_b32_e32 v25, 2, v4
	v_lshlrev_b32_e32 v29, 2, v5
	;; [unrolled: 1-line block ×8, first 2 shown]
	s_mov_b32 s26, 0
	s_mov_b64 s[0:1], -1
	v_mov_b32_e32 v1, 0
	s_movk_i32 s27, 0x400
	s_movk_i32 s30, 0x800
	;; [unrolled: 1-line block ×3, first 2 shown]
	v_mov_b32_e32 v38, v27
	v_mov_b32_e32 v39, v26
	;; [unrolled: 1-line block ×9, first 2 shown]
	s_mov_b32 s34, 0
	s_branch .LBB2459_59
.LBB2459_58:                            ;   in Loop: Header=BB2459_59 Depth=1
	s_or_b64 exec, exec, s[24:25]
	s_xor_b64 s[24:25], s[0:1], -1
	s_addk_i32 s34, 0x1000
	s_addk_i32 s26, 0xc000
	s_mov_b64 s[0:1], 0
	s_and_b64 vcc, exec, s[24:25]
	v_mov_b32_e32 v46, v3
	s_waitcnt lgkmcnt(0)
	s_barrier
	s_cbranch_vccnz .LBB2459_83
.LBB2459_59:                            ; =>This Inner Loop Header: Depth=1
	v_subrev_co_u32_e32 v38, vcc, 0x1000, v38
	s_and_saveexec_b64 s[24:25], vcc
	s_cbranch_execz .LBB2459_67
; %bb.60:                               ;   in Loop: Header=BB2459_59 Depth=1
	v_add_u32_e32 v0, s26, v36
	ds_write_b32 v0, v19 offset:1024
	s_or_b64 exec, exec, s[24:25]
	v_subrev_co_u32_e32 v39, vcc, 0x1000, v39
	s_and_saveexec_b64 s[24:25], vcc
	s_cbranch_execnz .LBB2459_68
.LBB2459_61:                            ;   in Loop: Header=BB2459_59 Depth=1
	s_or_b64 exec, exec, s[24:25]
	v_subrev_co_u32_e32 v40, vcc, 0x1000, v40
	s_and_saveexec_b64 s[24:25], vcc
	s_cbranch_execz .LBB2459_69
.LBB2459_62:                            ;   in Loop: Header=BB2459_59 Depth=1
	v_add_u32_e32 v0, s26, v34
	ds_write_b32 v0, v13 offset:1024
	s_or_b64 exec, exec, s[24:25]
	v_subrev_co_u32_e32 v41, vcc, 0x1000, v41
	s_and_saveexec_b64 s[24:25], vcc
	s_cbranch_execnz .LBB2459_70
.LBB2459_63:                            ;   in Loop: Header=BB2459_59 Depth=1
	s_or_b64 exec, exec, s[24:25]
	v_subrev_co_u32_e32 v42, vcc, 0x1000, v42
	s_and_saveexec_b64 s[24:25], vcc
	s_cbranch_execz .LBB2459_71
.LBB2459_64:                            ;   in Loop: Header=BB2459_59 Depth=1
	v_add_u32_e32 v0, s26, v31
	ds_write_b32 v0, v11 offset:1024
	s_or_b64 exec, exec, s[24:25]
	v_subrev_co_u32_e32 v43, vcc, 0x1000, v43
	s_and_saveexec_b64 s[24:25], vcc
	s_cbranch_execnz .LBB2459_72
.LBB2459_65:                            ;   in Loop: Header=BB2459_59 Depth=1
	s_or_b64 exec, exec, s[24:25]
	v_subrev_co_u32_e32 v44, vcc, 0x1000, v44
	s_and_saveexec_b64 s[24:25], vcc
	s_cbranch_execz .LBB2459_73
.LBB2459_66:                            ;   in Loop: Header=BB2459_59 Depth=1
	v_add_u32_e32 v0, s26, v29
	ds_write_b32 v0, v32 offset:1024
	s_or_b64 exec, exec, s[24:25]
	v_subrev_co_u32_e32 v45, vcc, 0x1000, v45
	s_and_saveexec_b64 s[24:25], vcc
	s_cbranch_execnz .LBB2459_74
	s_branch .LBB2459_75
.LBB2459_67:                            ;   in Loop: Header=BB2459_59 Depth=1
	s_or_b64 exec, exec, s[24:25]
	v_subrev_co_u32_e32 v39, vcc, 0x1000, v39
	s_and_saveexec_b64 s[24:25], vcc
	s_cbranch_execz .LBB2459_61
.LBB2459_68:                            ;   in Loop: Header=BB2459_59 Depth=1
	v_add_u32_e32 v0, s26, v35
	ds_write_b32 v0, v12 offset:1024
	s_or_b64 exec, exec, s[24:25]
	v_subrev_co_u32_e32 v40, vcc, 0x1000, v40
	s_and_saveexec_b64 s[24:25], vcc
	s_cbranch_execnz .LBB2459_62
.LBB2459_69:                            ;   in Loop: Header=BB2459_59 Depth=1
	s_or_b64 exec, exec, s[24:25]
	v_subrev_co_u32_e32 v41, vcc, 0x1000, v41
	s_and_saveexec_b64 s[24:25], vcc
	s_cbranch_execz .LBB2459_63
.LBB2459_70:                            ;   in Loop: Header=BB2459_59 Depth=1
	v_add_u32_e32 v0, s26, v33
	ds_write_b32 v0, v10 offset:1024
	s_or_b64 exec, exec, s[24:25]
	v_subrev_co_u32_e32 v42, vcc, 0x1000, v42
	s_and_saveexec_b64 s[24:25], vcc
	s_cbranch_execnz .LBB2459_64
.LBB2459_71:                            ;   in Loop: Header=BB2459_59 Depth=1
	s_or_b64 exec, exec, s[24:25]
	v_subrev_co_u32_e32 v43, vcc, 0x1000, v43
	s_and_saveexec_b64 s[24:25], vcc
	s_cbranch_execz .LBB2459_65
.LBB2459_72:                            ;   in Loop: Header=BB2459_59 Depth=1
	v_add_u32_e32 v0, s26, v30
	ds_write_b32 v0, v28 offset:1024
	s_or_b64 exec, exec, s[24:25]
	v_subrev_co_u32_e32 v44, vcc, 0x1000, v44
	s_and_saveexec_b64 s[24:25], vcc
	s_cbranch_execnz .LBB2459_66
.LBB2459_73:                            ;   in Loop: Header=BB2459_59 Depth=1
	s_or_b64 exec, exec, s[24:25]
	v_subrev_co_u32_e32 v45, vcc, 0x1000, v45
	s_and_saveexec_b64 s[24:25], vcc
.LBB2459_74:                            ;   in Loop: Header=BB2459_59 Depth=1
	v_add_u32_e32 v0, s26, v25
	ds_write_b32 v0, v37 offset:1024
.LBB2459_75:                            ;   in Loop: Header=BB2459_59 Depth=1
	s_or_b64 exec, exec, s[24:25]
	v_add_u32_e32 v47, s34, v8
	v_cmp_gt_u32_e32 vcc, s5, v47
	s_waitcnt lgkmcnt(0)
	s_barrier
	s_and_saveexec_b64 s[24:25], vcc
	s_cbranch_execz .LBB2459_77
; %bb.76:                               ;   in Loop: Header=BB2459_59 Depth=1
	ds_read_b32 v0, v20 offset:1024
	s_waitcnt lgkmcnt(0)
	v_lshrrev_b32_e32 v48, s52, v0
	v_and_b32_e32 v50, s57, v48
	v_lshlrev_b32_e32 v48, 2, v50
	ds_read_b32 v48, v48
	v_xor_b32_e32 v51, 0x80000000, v0
	ds_write_b32 v46, v50
	s_waitcnt lgkmcnt(1)
	v_add_u32_e32 v0, v47, v48
	v_lshl_add_u64 v[48:49], v[0:1], 2, s[42:43]
	global_store_dword v[48:49], v51, off
.LBB2459_77:                            ;   in Loop: Header=BB2459_59 Depth=1
	s_or_b64 exec, exec, s[24:25]
	v_add_u32_e32 v0, 0x400, v47
	v_cmp_gt_u32_e32 vcc, s5, v0
	s_and_saveexec_b64 s[24:25], vcc
	s_cbranch_execz .LBB2459_79
; %bb.78:                               ;   in Loop: Header=BB2459_59 Depth=1
	ds_read_b32 v0, v20 offset:5120
	s_waitcnt lgkmcnt(0)
	v_lshrrev_b32_e32 v48, s52, v0
	v_and_b32_e32 v50, s57, v48
	v_lshlrev_b32_e32 v48, 2, v50
	ds_read_b32 v48, v48
	v_xor_b32_e32 v51, 0x80000000, v0
	ds_write_b32 v46, v50 offset:4
	s_waitcnt lgkmcnt(1)
	v_add3_u32 v0, v47, v48, s27
	v_lshl_add_u64 v[48:49], v[0:1], 2, s[42:43]
	global_store_dword v[48:49], v51, off
.LBB2459_79:                            ;   in Loop: Header=BB2459_59 Depth=1
	s_or_b64 exec, exec, s[24:25]
	v_add_u32_e32 v0, 0x800, v47
	v_cmp_gt_u32_e32 vcc, s5, v0
	s_and_saveexec_b64 s[24:25], vcc
	s_cbranch_execz .LBB2459_81
; %bb.80:                               ;   in Loop: Header=BB2459_59 Depth=1
	ds_read_b32 v0, v20 offset:9216
	s_waitcnt lgkmcnt(0)
	v_lshrrev_b32_e32 v48, s52, v0
	v_and_b32_e32 v50, s57, v48
	v_lshlrev_b32_e32 v48, 2, v50
	ds_read_b32 v48, v48
	v_xor_b32_e32 v51, 0x80000000, v0
	ds_write_b32 v46, v50 offset:8
	s_waitcnt lgkmcnt(1)
	v_add3_u32 v0, v47, v48, s30
	v_lshl_add_u64 v[48:49], v[0:1], 2, s[42:43]
	global_store_dword v[48:49], v51, off
.LBB2459_81:                            ;   in Loop: Header=BB2459_59 Depth=1
	s_or_b64 exec, exec, s[24:25]
	v_add_u32_e32 v0, 0xc00, v47
	v_cmp_gt_u32_e32 vcc, s5, v0
	s_and_saveexec_b64 s[24:25], vcc
	s_cbranch_execz .LBB2459_58
; %bb.82:                               ;   in Loop: Header=BB2459_59 Depth=1
	ds_read_b32 v0, v20 offset:13312
	s_waitcnt lgkmcnt(0)
	v_lshrrev_b32_e32 v48, s52, v0
	v_and_b32_e32 v50, s57, v48
	v_lshlrev_b32_e32 v48, 2, v50
	ds_read_b32 v48, v48
	v_xor_b32_e32 v51, 0x80000000, v0
	ds_write_b32 v46, v50 offset:12
	s_waitcnt lgkmcnt(1)
	v_add3_u32 v0, v47, v48, s31
	v_lshl_add_u64 v[48:49], v[0:1], 2, s[42:43]
	global_store_dword v[48:49], v51, off
	s_branch .LBB2459_58
.LBB2459_83:
	s_lshl_b64 s[0:1], s[54:55], 1
	s_add_u32 s0, s44, s0
	s_addc_u32 s1, s45, s1
	v_lshlrev_b32_e32 v0, 1, v18
	v_mov_b32_e32 v1, 0
	v_lshl_add_u64 v[10:11], s[0:1], 0, v[0:1]
	v_lshlrev_b32_e32 v0, 1, v17
	v_lshl_add_u64 v[0:1], v[10:11], 0, v[0:1]
                                        ; implicit-def: $vgpr10
	s_and_saveexec_b64 s[0:1], s[28:29]
	s_cbranch_execz .LBB2459_91
; %bb.84:
	global_load_ushort v10, v[0:1], off
	s_or_b64 exec, exec, s[0:1]
                                        ; implicit-def: $vgpr11
	s_and_saveexec_b64 s[0:1], s[6:7]
	s_cbranch_execnz .LBB2459_92
.LBB2459_85:
	s_or_b64 exec, exec, s[0:1]
                                        ; implicit-def: $vgpr12
	s_and_saveexec_b64 s[0:1], s[8:9]
	s_cbranch_execz .LBB2459_93
.LBB2459_86:
	global_load_ushort v12, v[0:1], off offset:256
	s_or_b64 exec, exec, s[0:1]
                                        ; implicit-def: $vgpr13
	s_and_saveexec_b64 s[0:1], s[10:11]
	s_cbranch_execnz .LBB2459_94
.LBB2459_87:
	s_or_b64 exec, exec, s[0:1]
                                        ; implicit-def: $vgpr17
	s_and_saveexec_b64 s[0:1], s[12:13]
	s_cbranch_execz .LBB2459_95
.LBB2459_88:
	global_load_ushort v17, v[0:1], off offset:512
	s_or_b64 exec, exec, s[0:1]
                                        ; implicit-def: $vgpr18
	s_and_saveexec_b64 s[0:1], s[14:15]
	s_cbranch_execnz .LBB2459_96
.LBB2459_89:
	s_or_b64 exec, exec, s[0:1]
                                        ; implicit-def: $vgpr19
	s_and_saveexec_b64 s[0:1], s[16:17]
	s_cbranch_execz .LBB2459_97
.LBB2459_90:
	global_load_ushort v19, v[0:1], off offset:768
	s_or_b64 exec, exec, s[0:1]
                                        ; implicit-def: $vgpr25
	s_and_saveexec_b64 s[0:1], s[18:19]
	s_cbranch_execnz .LBB2459_98
	s_branch .LBB2459_99
.LBB2459_91:
	s_or_b64 exec, exec, s[0:1]
                                        ; implicit-def: $vgpr11
	s_and_saveexec_b64 s[0:1], s[6:7]
	s_cbranch_execz .LBB2459_85
.LBB2459_92:
	global_load_ushort v11, v[0:1], off offset:128
	s_or_b64 exec, exec, s[0:1]
                                        ; implicit-def: $vgpr12
	s_and_saveexec_b64 s[0:1], s[8:9]
	s_cbranch_execnz .LBB2459_86
.LBB2459_93:
	s_or_b64 exec, exec, s[0:1]
                                        ; implicit-def: $vgpr13
	s_and_saveexec_b64 s[0:1], s[10:11]
	s_cbranch_execz .LBB2459_87
.LBB2459_94:
	global_load_ushort v13, v[0:1], off offset:384
	s_or_b64 exec, exec, s[0:1]
                                        ; implicit-def: $vgpr17
	s_and_saveexec_b64 s[0:1], s[12:13]
	s_cbranch_execnz .LBB2459_88
.LBB2459_95:
	s_or_b64 exec, exec, s[0:1]
                                        ; implicit-def: $vgpr18
	s_and_saveexec_b64 s[0:1], s[14:15]
	s_cbranch_execz .LBB2459_89
.LBB2459_96:
	global_load_ushort v18, v[0:1], off offset:640
	s_or_b64 exec, exec, s[0:1]
                                        ; implicit-def: $vgpr19
	s_and_saveexec_b64 s[0:1], s[16:17]
	s_cbranch_execnz .LBB2459_90
.LBB2459_97:
	s_or_b64 exec, exec, s[0:1]
                                        ; implicit-def: $vgpr25
	s_and_saveexec_b64 s[0:1], s[18:19]
	s_cbranch_execz .LBB2459_99
.LBB2459_98:
	global_load_ushort v25, v[0:1], off offset:896
.LBB2459_99:
	s_or_b64 exec, exec, s[0:1]
	s_movk_i32 s6, 0x2000
	v_cmp_gt_u32_e32 vcc, s6, v27
	s_and_saveexec_b64 s[0:1], vcc
	s_cbranch_execz .LBB2459_107
; %bb.100:
	v_lshlrev_b32_e32 v0, 1, v27
	s_waitcnt vmcnt(0)
	ds_write_b16 v0, v10 offset:1024
	s_or_b64 exec, exec, s[0:1]
	v_cmp_gt_u32_e32 vcc, s6, v26
	s_and_saveexec_b64 s[0:1], vcc
	s_cbranch_execnz .LBB2459_108
.LBB2459_101:
	s_or_b64 exec, exec, s[0:1]
	v_cmp_gt_u32_e32 vcc, s6, v24
	s_and_saveexec_b64 s[0:1], vcc
	s_cbranch_execz .LBB2459_109
.LBB2459_102:
	v_lshlrev_b32_e32 v0, 1, v24
	s_waitcnt vmcnt(0)
	ds_write_b16 v0, v12 offset:1024
	s_or_b64 exec, exec, s[0:1]
	v_cmp_gt_u32_e32 vcc, s6, v23
	s_and_saveexec_b64 s[0:1], vcc
	s_cbranch_execnz .LBB2459_110
.LBB2459_103:
	s_or_b64 exec, exec, s[0:1]
	v_cmp_gt_u32_e32 vcc, s6, v22
	s_and_saveexec_b64 s[0:1], vcc
	s_cbranch_execz .LBB2459_111
.LBB2459_104:
	v_lshlrev_b32_e32 v0, 1, v22
	s_waitcnt vmcnt(0)
	ds_write_b16 v0, v17 offset:1024
	s_or_b64 exec, exec, s[0:1]
	v_cmp_gt_u32_e32 vcc, s6, v21
	s_and_saveexec_b64 s[0:1], vcc
	s_cbranch_execnz .LBB2459_112
.LBB2459_105:
	s_or_b64 exec, exec, s[0:1]
	v_cmp_gt_u32_e32 vcc, s6, v5
	s_and_saveexec_b64 s[0:1], vcc
	s_cbranch_execz .LBB2459_113
.LBB2459_106:
	v_lshlrev_b32_e32 v0, 1, v5
	s_waitcnt vmcnt(0)
	ds_write_b16 v0, v19 offset:1024
	s_or_b64 exec, exec, s[0:1]
	v_cmp_gt_u32_e32 vcc, s6, v4
	s_and_saveexec_b64 s[0:1], vcc
	s_cbranch_execnz .LBB2459_114
	s_branch .LBB2459_115
.LBB2459_107:
	s_or_b64 exec, exec, s[0:1]
	v_cmp_gt_u32_e32 vcc, s6, v26
	s_and_saveexec_b64 s[0:1], vcc
	s_cbranch_execz .LBB2459_101
.LBB2459_108:
	v_lshlrev_b32_e32 v0, 1, v26
	s_waitcnt vmcnt(0)
	ds_write_b16 v0, v11 offset:1024
	s_or_b64 exec, exec, s[0:1]
	v_cmp_gt_u32_e32 vcc, s6, v24
	s_and_saveexec_b64 s[0:1], vcc
	s_cbranch_execnz .LBB2459_102
.LBB2459_109:
	s_or_b64 exec, exec, s[0:1]
	v_cmp_gt_u32_e32 vcc, s6, v23
	s_and_saveexec_b64 s[0:1], vcc
	s_cbranch_execz .LBB2459_103
.LBB2459_110:
	v_lshlrev_b32_e32 v0, 1, v23
	s_waitcnt vmcnt(0)
	ds_write_b16 v0, v13 offset:1024
	s_or_b64 exec, exec, s[0:1]
	v_cmp_gt_u32_e32 vcc, s6, v22
	s_and_saveexec_b64 s[0:1], vcc
	s_cbranch_execnz .LBB2459_104
.LBB2459_111:
	s_or_b64 exec, exec, s[0:1]
	v_cmp_gt_u32_e32 vcc, s6, v21
	s_and_saveexec_b64 s[0:1], vcc
	s_cbranch_execz .LBB2459_105
.LBB2459_112:
	v_lshlrev_b32_e32 v0, 1, v21
	s_waitcnt vmcnt(0)
	ds_write_b16 v0, v18 offset:1024
	s_or_b64 exec, exec, s[0:1]
	v_cmp_gt_u32_e32 vcc, s6, v5
	s_and_saveexec_b64 s[0:1], vcc
	s_cbranch_execnz .LBB2459_106
.LBB2459_113:
	s_or_b64 exec, exec, s[0:1]
	v_cmp_gt_u32_e32 vcc, s6, v4
	s_and_saveexec_b64 s[0:1], vcc
	s_cbranch_execz .LBB2459_115
.LBB2459_114:
	v_lshlrev_b32_e32 v0, 1, v4
	s_waitcnt vmcnt(0)
	ds_write_b16 v0, v25 offset:1024
.LBB2459_115:
	s_or_b64 exec, exec, s[0:1]
	v_cmp_gt_u32_e32 vcc, s5, v8
	s_waitcnt lgkmcnt(0)
	s_barrier
	s_and_saveexec_b64 s[0:1], vcc
	s_cbranch_execz .LBB2459_117
; %bb.116:
	ds_read_b32 v0, v2
	v_lshlrev_b32_e32 v1, 1, v8
	ds_read_u16 v4, v1 offset:1024
	v_mov_b32_e32 v1, 0
	s_waitcnt lgkmcnt(1)
	v_lshlrev_b32_e32 v0, 2, v0
	ds_read_b32 v0, v0
	s_waitcnt lgkmcnt(0)
	v_add_u32_e32 v0, v0, v8
	v_lshl_add_u64 v[0:1], v[0:1], 1, s[46:47]
	global_store_short v[0:1], v4, off
.LBB2459_117:
	s_or_b64 exec, exec, s[0:1]
	v_or_b32_e32 v0, 0x400, v8
	v_cmp_gt_u32_e32 vcc, s5, v0
	s_and_saveexec_b64 s[0:1], vcc
	s_cbranch_execz .LBB2459_119
; %bb.118:
	ds_read_b32 v1, v2 offset:4
	v_lshlrev_b32_e32 v4, 1, v8
	ds_read_u16 v4, v4 offset:3072
	s_waitcnt lgkmcnt(1)
	v_lshlrev_b32_e32 v1, 2, v1
	ds_read_b32 v1, v1
	s_waitcnt lgkmcnt(0)
	v_add_u32_e32 v0, v1, v0
	v_mov_b32_e32 v1, 0
	v_lshl_add_u64 v[0:1], v[0:1], 1, s[46:47]
	global_store_short v[0:1], v4, off
.LBB2459_119:
	s_or_b64 exec, exec, s[0:1]
	v_or_b32_e32 v0, 0x800, v8
	v_cmp_gt_u32_e32 vcc, s5, v0
	s_and_saveexec_b64 s[0:1], vcc
	s_cbranch_execz .LBB2459_121
; %bb.120:
	ds_read_b32 v1, v2 offset:8
	v_lshlrev_b32_e32 v4, 1, v8
	ds_read_u16 v4, v4 offset:5120
	s_waitcnt lgkmcnt(1)
	v_lshlrev_b32_e32 v1, 2, v1
	ds_read_b32 v1, v1
	s_waitcnt lgkmcnt(0)
	v_add_u32_e32 v0, v1, v0
	v_mov_b32_e32 v1, 0
	v_lshl_add_u64 v[0:1], v[0:1], 1, s[46:47]
	global_store_short v[0:1], v4, off
.LBB2459_121:
	;; [unrolled: 18-line block ×3, first 2 shown]
	s_or_b64 exec, exec, s[0:1]
	v_or_b32_e32 v0, 0x1000, v8
	v_cmp_gt_u32_e32 vcc, s5, v0
	s_and_saveexec_b64 s[0:1], vcc
	s_cbranch_execz .LBB2459_125
; %bb.124:
	ds_read_b32 v1, v3
	v_lshlrev_b32_e32 v3, 1, v8
	ds_read_u16 v3, v3 offset:9216
	s_waitcnt lgkmcnt(1)
	v_lshlrev_b32_e32 v1, 2, v1
	ds_read_b32 v1, v1
	s_waitcnt lgkmcnt(0)
	v_add_u32_e32 v0, v1, v0
	v_mov_b32_e32 v1, 0
	v_lshl_add_u64 v[0:1], v[0:1], 1, s[46:47]
	global_store_short v[0:1], v3, off
.LBB2459_125:
	s_or_b64 exec, exec, s[0:1]
	v_or_b32_e32 v0, 0x1400, v8
	v_cmp_gt_u32_e32 vcc, s5, v0
	s_and_saveexec_b64 s[0:1], vcc
	s_cbranch_execz .LBB2459_127
; %bb.126:
	ds_read_b32 v1, v2 offset:20
	v_lshlrev_b32_e32 v3, 1, v8
	ds_read_u16 v3, v3 offset:11264
	s_waitcnt lgkmcnt(1)
	v_lshlrev_b32_e32 v1, 2, v1
	ds_read_b32 v1, v1
	s_waitcnt lgkmcnt(0)
	v_add_u32_e32 v0, v1, v0
	v_mov_b32_e32 v1, 0
	v_lshl_add_u64 v[0:1], v[0:1], 1, s[46:47]
	global_store_short v[0:1], v3, off
.LBB2459_127:
	s_or_b64 exec, exec, s[0:1]
	v_or_b32_e32 v0, 0x1800, v8
	v_cmp_gt_u32_e32 vcc, s5, v0
	s_and_saveexec_b64 s[0:1], vcc
	s_cbranch_execz .LBB2459_129
; %bb.128:
	ds_read_b32 v1, v2 offset:24
	v_lshlrev_b32_e32 v3, 1, v8
	ds_read_u16 v3, v3 offset:13312
	s_waitcnt lgkmcnt(1)
	v_lshlrev_b32_e32 v1, 2, v1
	ds_read_b32 v1, v1
	s_waitcnt lgkmcnt(0)
	v_add_u32_e32 v0, v1, v0
	v_mov_b32_e32 v1, 0
	v_lshl_add_u64 v[0:1], v[0:1], 1, s[46:47]
	global_store_short v[0:1], v3, off
.LBB2459_129:
	s_or_b64 exec, exec, s[0:1]
	v_or_b32_e32 v0, 0x1c00, v8
	v_cmp_gt_u32_e32 vcc, s5, v0
	s_and_saveexec_b64 s[0:1], vcc
	s_cbranch_execz .LBB2459_131
; %bb.130:
	ds_read_b32 v1, v2 offset:28
	v_lshlrev_b32_e32 v2, 1, v8
	ds_read_u16 v2, v2 offset:15360
	s_waitcnt lgkmcnt(1)
	v_lshlrev_b32_e32 v1, 2, v1
	ds_read_b32 v1, v1
	s_waitcnt lgkmcnt(0)
	v_add_u32_e32 v0, v1, v0
	v_mov_b32_e32 v1, 0
	v_lshl_add_u64 v[0:1], v[0:1], 1, s[46:47]
	global_store_short v[0:1], v2, off
.LBB2459_131:
	s_or_b64 exec, exec, s[0:1]
	s_add_i32 s56, s56, -1
	s_cmp_eq_u32 s33, s56
	s_cselect_b64 s[0:1], -1, 0
	s_xor_b64 s[6:7], s[22:23], -1
	s_and_b64 s[6:7], s[6:7], s[0:1]
	s_and_saveexec_b64 s[0:1], s[6:7]
	s_cbranch_execz .LBB2459_133
; %bb.132:
	ds_read_b32 v0, v20
	s_waitcnt lgkmcnt(0)
	v_add3_u32 v0, v6, v7, v0
	global_store_dword v20, v0, s[50:51]
.LBB2459_133:
	s_or_b64 exec, exec, s[0:1]
	s_mov_b64 s[6:7], 0
.LBB2459_134:
	s_and_b64 vcc, exec, s[6:7]
	s_cbranch_vccz .LBB2459_207
; %bb.135:
	s_lshl_b32 s10, s33, 13
	s_mov_b32 s11, 0
	s_lshl_b64 s[0:1], s[10:11], 2
	v_mbcnt_hi_u32_b32 v4, -1, v16
	s_add_u32 s0, s40, s0
	v_and_b32_e32 v7, 63, v4
	s_addc_u32 s1, s41, s1
	v_and_b32_e32 v6, 0x1e00, v15
	v_mov_b32_e32 v1, 0
	v_lshlrev_b32_e32 v0, 2, v7
	v_lshl_add_u64 v[2:3], s[0:1], 0, v[0:1]
	v_lshlrev_b32_e32 v0, 2, v6
	v_lshl_add_u64 v[2:3], v[2:3], 0, v[0:1]
	global_load_dword v0, v[2:3], off
	s_load_dword s0, s[2:3], 0x64
	s_load_dword s12, s[2:3], 0x58
	s_add_u32 s1, s2, 0x58
	s_addc_u32 s2, s3, 0
	v_mul_u32_u24_e32 v5, 20, v8
	s_waitcnt lgkmcnt(0)
	s_lshr_b32 s3, s0, 16
	s_cmp_lt_u32 s4, s12
	s_cselect_b32 s0, 12, 18
	s_add_u32 s0, s1, s0
	s_addc_u32 s1, s2, 0
	global_load_ushort v15, v1, s[0:1]
	ds_write2_b32 v5, v1, v1 offset0:16 offset1:17
	ds_write2_b32 v5, v1, v1 offset0:18 offset1:19
	ds_write_b32 v5, v1 offset:80
	global_load_dword v10, v[2:3], off offset:256
	global_load_dword v11, v[2:3], off offset:512
	;; [unrolled: 1-line block ×7, first 2 shown]
	v_mad_u32_u24 v2, v14, s3, v9
	s_lshl_b32 s0, -1, s53
	s_waitcnt vmcnt(9)
	v_mov_b32_e32 v12, v1
	v_mov_b32_e32 v26, v1
	s_not_b32 s13, s0
	s_movk_i32 s14, 0x44
	v_mov_b32_e32 v16, v1
	v_mov_b32_e32 v30, v1
	;; [unrolled: 1-line block ×3, first 2 shown]
	s_waitcnt lgkmcnt(0)
	s_barrier
	s_waitcnt vmcnt(8)
	; wave barrier
	v_xor_b32_e32 v9, 0x80000000, v0
	v_lshrrev_b32_e32 v0, s52, v9
	v_bitop3_b32 v19, v0, s0, v0 bitop3:0x30
	v_and_b32_e32 v0, 1, v19
	v_lshlrev_b32_e32 v13, 30, v19
	v_lshlrev_b32_e32 v17, 29, v19
	v_lshlrev_b32_e32 v27, 28, v19
	v_cmp_ne_u32_e32 vcc, 0, v0
	v_cmp_gt_i64_e64 s[4:5], 0, v[26:27]
	v_mul_lo_u32 v20, v19, s14
	s_waitcnt vmcnt(7)
	v_mad_u64_u32 v[2:3], s[0:1], v2, v15, v[8:9]
	v_lshl_add_u64 v[14:15], v[0:1], 0, -1
	v_not_b32_e32 v0, v13
	v_cmp_gt_i64_e64 s[0:1], 0, v[12:13]
	v_not_b32_e32 v3, v17
	v_lshrrev_b32_e32 v26, 6, v2
	v_xor_b32_e32 v2, vcc_hi, v15
	v_xor_b32_e32 v14, vcc_lo, v14
	v_ashrrev_i32_e32 v0, 31, v0
	v_lshlrev_b32_e32 v31, 27, v19
	v_cmp_gt_i64_e64 s[2:3], 0, v[16:17]
	v_not_b32_e32 v12, v27
	v_ashrrev_i32_e32 v3, 31, v3
	v_and_b32_e32 v2, exec_hi, v2
	v_and_b32_e32 v14, exec_lo, v14
	v_xor_b32_e32 v15, s1, v0
	v_xor_b32_e32 v0, s0, v0
	v_lshlrev_b32_e32 v33, 26, v19
	v_not_b32_e32 v13, v31
	v_ashrrev_i32_e32 v12, 31, v12
	v_lshl_add_u32 v16, v26, 2, v20
	v_xor_b32_e32 v20, s3, v3
	v_xor_b32_e32 v3, s2, v3
	v_and_b32_e32 v2, v2, v15
	v_and_b32_e32 v0, v14, v0
	v_cmp_gt_i64_e64 s[6:7], 0, v[30:31]
	v_not_b32_e32 v17, v33
	v_ashrrev_i32_e32 v13, 31, v13
	v_xor_b32_e32 v23, s5, v12
	v_xor_b32_e32 v12, s4, v12
	v_and_b32_e32 v2, v2, v20
	v_and_b32_e32 v0, v0, v3
	v_cmp_gt_i64_e64 s[8:9], 0, v[32:33]
	v_xor_b32_e32 v25, s7, v13
	v_xor_b32_e32 v13, s6, v13
	v_and_b32_e32 v2, v2, v23
	v_and_b32_e32 v0, v0, v12
	v_ashrrev_i32_e32 v3, 31, v17
	v_and_b32_e32 v2, v2, v25
	v_and_b32_e32 v0, v0, v13
	v_xor_b32_e32 v12, s9, v3
	v_xor_b32_e32 v3, s8, v3
	v_and_b32_e32 v12, v2, v12
	v_and_b32_e32 v0, v0, v3
	v_lshlrev_b32_e32 v3, 25, v19
	v_mov_b32_e32 v2, v1
	v_cmp_gt_i64_e32 vcc, 0, v[2:3]
	v_not_b32_e32 v2, v3
	v_ashrrev_i32_e32 v2, 31, v2
	v_xor_b32_e32 v3, vcc_hi, v2
	v_xor_b32_e32 v2, vcc_lo, v2
	v_and_b32_e32 v12, v12, v3
	v_and_b32_e32 v0, v0, v2
	v_lshlrev_b32_e32 v3, 24, v19
	v_mov_b32_e32 v2, v1
	v_cmp_gt_i64_e32 vcc, 0, v[2:3]
	v_not_b32_e32 v2, v3
	v_ashrrev_i32_e32 v2, 31, v2
	v_xor_b32_e32 v3, vcc_hi, v2
	v_xor_b32_e32 v2, vcc_lo, v2
	v_and_b32_e32 v2, v0, v2
	v_and_b32_e32 v3, v12, v3
	v_mbcnt_lo_u32_b32 v0, v2, 0
	v_mbcnt_hi_u32_b32 v13, v3, v0
	v_cmp_eq_u32_e32 vcc, 0, v13
	v_cmp_ne_u64_e64 s[0:1], 0, v[2:3]
	s_and_b64 s[2:3], s[0:1], vcc
	s_and_saveexec_b64 s[0:1], s[2:3]
; %bb.136:
	v_bcnt_u32_b32 v0, v2, 0
	v_bcnt_u32_b32 v0, v3, v0
	ds_write_b32 v16, v0 offset:64
; %bb.137:
	s_or_b64 exec, exec, s[0:1]
	s_waitcnt vmcnt(6)
	v_xor_b32_e32 v10, 0x80000000, v10
	v_lshrrev_b32_e32 v0, s52, v10
	v_and_b32_e32 v14, s13, v0
	v_mul_lo_u32 v0, v14, s14
	v_lshl_add_u32 v19, v26, 2, v0
	v_and_b32_e32 v0, 1, v14
	v_lshl_add_u64 v[2:3], v[0:1], 0, -1
	v_cmp_ne_u32_e32 vcc, 0, v0
	; wave barrier
	s_nop 1
	v_xor_b32_e32 v2, vcc_lo, v2
	v_xor_b32_e32 v0, vcc_hi, v3
	v_and_b32_e32 v15, exec_lo, v2
	v_lshlrev_b32_e32 v3, 30, v14
	v_mov_b32_e32 v2, v1
	v_cmp_gt_i64_e32 vcc, 0, v[2:3]
	v_not_b32_e32 v2, v3
	v_ashrrev_i32_e32 v2, 31, v2
	v_and_b32_e32 v0, exec_hi, v0
	v_xor_b32_e32 v3, vcc_hi, v2
	v_xor_b32_e32 v2, vcc_lo, v2
	v_and_b32_e32 v0, v0, v3
	v_and_b32_e32 v15, v15, v2
	v_lshlrev_b32_e32 v3, 29, v14
	v_mov_b32_e32 v2, v1
	v_cmp_gt_i64_e32 vcc, 0, v[2:3]
	v_not_b32_e32 v2, v3
	v_ashrrev_i32_e32 v2, 31, v2
	v_xor_b32_e32 v3, vcc_hi, v2
	v_xor_b32_e32 v2, vcc_lo, v2
	v_and_b32_e32 v0, v0, v3
	v_and_b32_e32 v15, v15, v2
	v_lshlrev_b32_e32 v3, 28, v14
	v_mov_b32_e32 v2, v1
	v_cmp_gt_i64_e32 vcc, 0, v[2:3]
	v_not_b32_e32 v2, v3
	v_ashrrev_i32_e32 v2, 31, v2
	;; [unrolled: 9-line block ×5, first 2 shown]
	v_xor_b32_e32 v3, vcc_hi, v2
	v_xor_b32_e32 v2, vcc_lo, v2
	v_and_b32_e32 v0, v0, v3
	v_lshlrev_b32_e32 v3, 24, v14
	v_and_b32_e32 v15, v15, v2
	v_mov_b32_e32 v2, v1
	v_not_b32_e32 v1, v3
	v_cmp_gt_i64_e32 vcc, 0, v[2:3]
	v_ashrrev_i32_e32 v1, 31, v1
	ds_read_b32 v12, v19 offset:64
	v_xor_b32_e32 v2, vcc_hi, v1
	v_xor_b32_e32 v3, vcc_lo, v1
	v_and_b32_e32 v1, v0, v2
	v_and_b32_e32 v0, v15, v3
	v_mbcnt_lo_u32_b32 v2, v0, 0
	v_mbcnt_hi_u32_b32 v15, v1, v2
	v_cmp_eq_u32_e32 vcc, 0, v15
	v_cmp_ne_u64_e64 s[0:1], 0, v[0:1]
	s_and_b64 s[2:3], s[0:1], vcc
	; wave barrier
	s_and_saveexec_b64 s[0:1], s[2:3]
	s_cbranch_execz .LBB2459_139
; %bb.138:
	v_bcnt_u32_b32 v0, v0, 0
	v_bcnt_u32_b32 v0, v1, v0
	s_waitcnt lgkmcnt(0)
	v_add_u32_e32 v0, v12, v0
	ds_write_b32 v19, v0 offset:64
.LBB2459_139:
	s_or_b64 exec, exec, s[0:1]
	s_waitcnt vmcnt(5)
	v_xor_b32_e32 v11, 0x80000000, v11
	v_lshrrev_b32_e32 v0, s52, v11
	v_and_b32_e32 v14, s13, v0
	s_movk_i32 s2, 0x44
	v_mul_lo_u32 v0, v14, s2
	v_lshl_add_u32 v23, v26, 2, v0
	v_and_b32_e32 v0, 1, v14
	v_mov_b32_e32 v1, 0
	v_lshl_add_u64 v[2:3], v[0:1], 0, -1
	v_cmp_ne_u32_e32 vcc, 0, v0
	; wave barrier
	s_nop 1
	v_xor_b32_e32 v2, vcc_lo, v2
	v_xor_b32_e32 v0, vcc_hi, v3
	v_and_b32_e32 v20, exec_lo, v2
	v_lshlrev_b32_e32 v3, 30, v14
	v_mov_b32_e32 v2, v1
	v_cmp_gt_i64_e32 vcc, 0, v[2:3]
	v_not_b32_e32 v2, v3
	v_ashrrev_i32_e32 v2, 31, v2
	v_and_b32_e32 v0, exec_hi, v0
	v_xor_b32_e32 v3, vcc_hi, v2
	v_xor_b32_e32 v2, vcc_lo, v2
	v_and_b32_e32 v0, v0, v3
	v_and_b32_e32 v20, v20, v2
	v_lshlrev_b32_e32 v3, 29, v14
	v_mov_b32_e32 v2, v1
	v_cmp_gt_i64_e32 vcc, 0, v[2:3]
	v_not_b32_e32 v2, v3
	v_ashrrev_i32_e32 v2, 31, v2
	v_xor_b32_e32 v3, vcc_hi, v2
	v_xor_b32_e32 v2, vcc_lo, v2
	v_and_b32_e32 v0, v0, v3
	v_and_b32_e32 v20, v20, v2
	v_lshlrev_b32_e32 v3, 28, v14
	v_mov_b32_e32 v2, v1
	v_cmp_gt_i64_e32 vcc, 0, v[2:3]
	v_not_b32_e32 v2, v3
	v_ashrrev_i32_e32 v2, 31, v2
	;; [unrolled: 9-line block ×6, first 2 shown]
	v_xor_b32_e32 v3, vcc_hi, v2
	v_xor_b32_e32 v2, vcc_lo, v2
	ds_read_b32 v17, v23 offset:64
	v_and_b32_e32 v2, v20, v2
	v_and_b32_e32 v3, v0, v3
	v_mbcnt_lo_u32_b32 v0, v2, 0
	v_mbcnt_hi_u32_b32 v20, v3, v0
	v_cmp_eq_u32_e32 vcc, 0, v20
	v_cmp_ne_u64_e64 s[0:1], 0, v[2:3]
	s_and_b64 s[4:5], s[0:1], vcc
	; wave barrier
	s_and_saveexec_b64 s[0:1], s[4:5]
	s_cbranch_execz .LBB2459_141
; %bb.140:
	v_bcnt_u32_b32 v0, v2, 0
	v_bcnt_u32_b32 v0, v3, v0
	s_waitcnt lgkmcnt(0)
	v_add_u32_e32 v0, v17, v0
	ds_write_b32 v23, v0 offset:64
.LBB2459_141:
	s_or_b64 exec, exec, s[0:1]
	s_waitcnt vmcnt(4)
	v_xor_b32_e32 v14, 0x80000000, v21
	v_lshrrev_b32_e32 v0, s52, v14
	v_and_b32_e32 v25, s13, v0
	v_mul_lo_u32 v0, v25, s2
	v_lshl_add_u32 v29, v26, 2, v0
	v_and_b32_e32 v0, 1, v25
	v_lshl_add_u64 v[2:3], v[0:1], 0, -1
	v_cmp_ne_u32_e32 vcc, 0, v0
	; wave barrier
	s_nop 1
	v_xor_b32_e32 v2, vcc_lo, v2
	v_xor_b32_e32 v0, vcc_hi, v3
	v_and_b32_e32 v27, exec_lo, v2
	v_lshlrev_b32_e32 v3, 30, v25
	v_mov_b32_e32 v2, v1
	v_cmp_gt_i64_e32 vcc, 0, v[2:3]
	v_not_b32_e32 v2, v3
	v_ashrrev_i32_e32 v2, 31, v2
	v_and_b32_e32 v0, exec_hi, v0
	v_xor_b32_e32 v3, vcc_hi, v2
	v_xor_b32_e32 v2, vcc_lo, v2
	v_and_b32_e32 v0, v0, v3
	v_and_b32_e32 v27, v27, v2
	v_lshlrev_b32_e32 v3, 29, v25
	v_mov_b32_e32 v2, v1
	v_cmp_gt_i64_e32 vcc, 0, v[2:3]
	v_not_b32_e32 v2, v3
	v_ashrrev_i32_e32 v2, 31, v2
	v_xor_b32_e32 v3, vcc_hi, v2
	v_xor_b32_e32 v2, vcc_lo, v2
	v_and_b32_e32 v0, v0, v3
	v_and_b32_e32 v27, v27, v2
	v_lshlrev_b32_e32 v3, 28, v25
	v_mov_b32_e32 v2, v1
	v_cmp_gt_i64_e32 vcc, 0, v[2:3]
	v_not_b32_e32 v2, v3
	v_ashrrev_i32_e32 v2, 31, v2
	;; [unrolled: 9-line block ×5, first 2 shown]
	v_xor_b32_e32 v3, vcc_hi, v2
	v_xor_b32_e32 v2, vcc_lo, v2
	v_and_b32_e32 v0, v0, v3
	v_lshlrev_b32_e32 v3, 24, v25
	v_and_b32_e32 v27, v27, v2
	v_mov_b32_e32 v2, v1
	v_not_b32_e32 v1, v3
	v_cmp_gt_i64_e32 vcc, 0, v[2:3]
	v_ashrrev_i32_e32 v1, 31, v1
	ds_read_b32 v21, v29 offset:64
	v_xor_b32_e32 v2, vcc_hi, v1
	v_xor_b32_e32 v3, vcc_lo, v1
	v_and_b32_e32 v1, v0, v2
	v_and_b32_e32 v0, v27, v3
	v_mbcnt_lo_u32_b32 v2, v0, 0
	v_mbcnt_hi_u32_b32 v25, v1, v2
	v_cmp_eq_u32_e32 vcc, 0, v25
	v_cmp_ne_u64_e64 s[0:1], 0, v[0:1]
	s_and_b64 s[2:3], s[0:1], vcc
	; wave barrier
	s_and_saveexec_b64 s[0:1], s[2:3]
	s_cbranch_execz .LBB2459_143
; %bb.142:
	v_bcnt_u32_b32 v0, v0, 0
	v_bcnt_u32_b32 v0, v1, v0
	s_waitcnt lgkmcnt(0)
	v_add_u32_e32 v0, v21, v0
	ds_write_b32 v29, v0 offset:64
.LBB2459_143:
	s_or_b64 exec, exec, s[0:1]
	s_waitcnt vmcnt(3)
	v_xor_b32_e32 v18, 0x80000000, v18
	v_lshrrev_b32_e32 v0, s52, v18
	v_and_b32_e32 v30, s13, v0
	s_movk_i32 s2, 0x44
	v_mul_lo_u32 v0, v30, s2
	v_lshl_add_u32 v33, v26, 2, v0
	v_and_b32_e32 v0, 1, v30
	v_mov_b32_e32 v1, 0
	v_lshl_add_u64 v[2:3], v[0:1], 0, -1
	v_cmp_ne_u32_e32 vcc, 0, v0
	; wave barrier
	s_nop 1
	v_xor_b32_e32 v2, vcc_lo, v2
	v_xor_b32_e32 v0, vcc_hi, v3
	v_and_b32_e32 v31, exec_lo, v2
	v_lshlrev_b32_e32 v3, 30, v30
	v_mov_b32_e32 v2, v1
	v_cmp_gt_i64_e32 vcc, 0, v[2:3]
	v_not_b32_e32 v2, v3
	v_ashrrev_i32_e32 v2, 31, v2
	v_and_b32_e32 v0, exec_hi, v0
	v_xor_b32_e32 v3, vcc_hi, v2
	v_xor_b32_e32 v2, vcc_lo, v2
	v_and_b32_e32 v0, v0, v3
	v_and_b32_e32 v31, v31, v2
	v_lshlrev_b32_e32 v3, 29, v30
	v_mov_b32_e32 v2, v1
	v_cmp_gt_i64_e32 vcc, 0, v[2:3]
	v_not_b32_e32 v2, v3
	v_ashrrev_i32_e32 v2, 31, v2
	v_xor_b32_e32 v3, vcc_hi, v2
	v_xor_b32_e32 v2, vcc_lo, v2
	v_and_b32_e32 v0, v0, v3
	v_and_b32_e32 v31, v31, v2
	v_lshlrev_b32_e32 v3, 28, v30
	v_mov_b32_e32 v2, v1
	v_cmp_gt_i64_e32 vcc, 0, v[2:3]
	v_not_b32_e32 v2, v3
	v_ashrrev_i32_e32 v2, 31, v2
	;; [unrolled: 9-line block ×6, first 2 shown]
	v_xor_b32_e32 v3, vcc_hi, v2
	v_xor_b32_e32 v2, vcc_lo, v2
	ds_read_b32 v27, v33 offset:64
	v_and_b32_e32 v2, v31, v2
	v_and_b32_e32 v3, v0, v3
	v_mbcnt_lo_u32_b32 v0, v2, 0
	v_mbcnt_hi_u32_b32 v30, v3, v0
	v_cmp_eq_u32_e32 vcc, 0, v30
	v_cmp_ne_u64_e64 s[0:1], 0, v[2:3]
	s_and_b64 s[4:5], s[0:1], vcc
	; wave barrier
	s_and_saveexec_b64 s[0:1], s[4:5]
	s_cbranch_execz .LBB2459_145
; %bb.144:
	v_bcnt_u32_b32 v0, v2, 0
	v_bcnt_u32_b32 v0, v3, v0
	s_waitcnt lgkmcnt(0)
	v_add_u32_e32 v0, v27, v0
	ds_write_b32 v33, v0 offset:64
.LBB2459_145:
	s_or_b64 exec, exec, s[0:1]
	s_waitcnt vmcnt(2)
	v_xor_b32_e32 v22, 0x80000000, v22
	v_lshrrev_b32_e32 v0, s52, v22
	v_and_b32_e32 v32, s13, v0
	v_mul_lo_u32 v0, v32, s2
	v_lshl_add_u32 v36, v26, 2, v0
	v_and_b32_e32 v0, 1, v32
	v_lshl_add_u64 v[2:3], v[0:1], 0, -1
	v_cmp_ne_u32_e32 vcc, 0, v0
	; wave barrier
	s_nop 1
	v_xor_b32_e32 v2, vcc_lo, v2
	v_xor_b32_e32 v0, vcc_hi, v3
	v_and_b32_e32 v34, exec_lo, v2
	v_lshlrev_b32_e32 v3, 30, v32
	v_mov_b32_e32 v2, v1
	v_cmp_gt_i64_e32 vcc, 0, v[2:3]
	v_not_b32_e32 v2, v3
	v_ashrrev_i32_e32 v2, 31, v2
	v_and_b32_e32 v0, exec_hi, v0
	v_xor_b32_e32 v3, vcc_hi, v2
	v_xor_b32_e32 v2, vcc_lo, v2
	v_and_b32_e32 v0, v0, v3
	v_and_b32_e32 v34, v34, v2
	v_lshlrev_b32_e32 v3, 29, v32
	v_mov_b32_e32 v2, v1
	v_cmp_gt_i64_e32 vcc, 0, v[2:3]
	v_not_b32_e32 v2, v3
	v_ashrrev_i32_e32 v2, 31, v2
	v_xor_b32_e32 v3, vcc_hi, v2
	v_xor_b32_e32 v2, vcc_lo, v2
	v_and_b32_e32 v0, v0, v3
	v_and_b32_e32 v34, v34, v2
	v_lshlrev_b32_e32 v3, 28, v32
	v_mov_b32_e32 v2, v1
	v_cmp_gt_i64_e32 vcc, 0, v[2:3]
	v_not_b32_e32 v2, v3
	v_ashrrev_i32_e32 v2, 31, v2
	v_xor_b32_e32 v3, vcc_hi, v2
	v_xor_b32_e32 v2, vcc_lo, v2
	v_and_b32_e32 v0, v0, v3
	v_and_b32_e32 v34, v34, v2
	v_lshlrev_b32_e32 v3, 27, v32
	v_mov_b32_e32 v2, v1
	v_cmp_gt_i64_e32 vcc, 0, v[2:3]
	v_not_b32_e32 v2, v3
	v_ashrrev_i32_e32 v2, 31, v2
	v_xor_b32_e32 v3, vcc_hi, v2
	v_xor_b32_e32 v2, vcc_lo, v2
	v_and_b32_e32 v0, v0, v3
	v_and_b32_e32 v34, v34, v2
	v_lshlrev_b32_e32 v3, 26, v32
	v_mov_b32_e32 v2, v1
	v_cmp_gt_i64_e32 vcc, 0, v[2:3]
	v_not_b32_e32 v2, v3
	v_ashrrev_i32_e32 v2, 31, v2
	v_xor_b32_e32 v3, vcc_hi, v2
	v_xor_b32_e32 v2, vcc_lo, v2
	v_and_b32_e32 v0, v0, v3
	v_and_b32_e32 v34, v34, v2
	v_lshlrev_b32_e32 v3, 25, v32
	v_mov_b32_e32 v2, v1
	v_cmp_gt_i64_e32 vcc, 0, v[2:3]
	v_not_b32_e32 v2, v3
	v_ashrrev_i32_e32 v2, 31, v2
	v_xor_b32_e32 v3, vcc_hi, v2
	v_xor_b32_e32 v2, vcc_lo, v2
	v_and_b32_e32 v0, v0, v3
	v_lshlrev_b32_e32 v3, 24, v32
	v_and_b32_e32 v34, v34, v2
	v_mov_b32_e32 v2, v1
	v_not_b32_e32 v1, v3
	v_cmp_gt_i64_e32 vcc, 0, v[2:3]
	v_ashrrev_i32_e32 v1, 31, v1
	ds_read_b32 v31, v36 offset:64
	v_xor_b32_e32 v2, vcc_hi, v1
	v_xor_b32_e32 v3, vcc_lo, v1
	v_and_b32_e32 v1, v0, v2
	v_and_b32_e32 v0, v34, v3
	v_mbcnt_lo_u32_b32 v2, v0, 0
	v_mbcnt_hi_u32_b32 v34, v1, v2
	v_cmp_eq_u32_e32 vcc, 0, v34
	v_cmp_ne_u64_e64 s[0:1], 0, v[0:1]
	s_and_b64 s[2:3], s[0:1], vcc
	; wave barrier
	s_and_saveexec_b64 s[0:1], s[2:3]
	s_cbranch_execz .LBB2459_147
; %bb.146:
	v_bcnt_u32_b32 v0, v0, 0
	v_bcnt_u32_b32 v0, v1, v0
	s_waitcnt lgkmcnt(0)
	v_add_u32_e32 v0, v31, v0
	ds_write_b32 v36, v0 offset:64
.LBB2459_147:
	s_or_b64 exec, exec, s[0:1]
	s_waitcnt vmcnt(1)
	v_xor_b32_e32 v28, 0x80000000, v28
	v_lshrrev_b32_e32 v0, s52, v28
	v_and_b32_e32 v32, s13, v0
	s_movk_i32 s2, 0x44
	v_mul_lo_u32 v0, v32, s2
	v_lshl_add_u32 v38, v26, 2, v0
	v_and_b32_e32 v0, 1, v32
	v_mov_b32_e32 v1, 0
	v_lshl_add_u64 v[2:3], v[0:1], 0, -1
	v_cmp_ne_u32_e32 vcc, 0, v0
	; wave barrier
	s_nop 1
	v_xor_b32_e32 v2, vcc_lo, v2
	v_xor_b32_e32 v0, vcc_hi, v3
	v_and_b32_e32 v37, exec_lo, v2
	v_lshlrev_b32_e32 v3, 30, v32
	v_mov_b32_e32 v2, v1
	v_cmp_gt_i64_e32 vcc, 0, v[2:3]
	v_not_b32_e32 v2, v3
	v_ashrrev_i32_e32 v2, 31, v2
	v_and_b32_e32 v0, exec_hi, v0
	v_xor_b32_e32 v3, vcc_hi, v2
	v_xor_b32_e32 v2, vcc_lo, v2
	v_and_b32_e32 v0, v0, v3
	v_and_b32_e32 v37, v37, v2
	v_lshlrev_b32_e32 v3, 29, v32
	v_mov_b32_e32 v2, v1
	v_cmp_gt_i64_e32 vcc, 0, v[2:3]
	v_not_b32_e32 v2, v3
	v_ashrrev_i32_e32 v2, 31, v2
	v_xor_b32_e32 v3, vcc_hi, v2
	v_xor_b32_e32 v2, vcc_lo, v2
	v_and_b32_e32 v0, v0, v3
	v_and_b32_e32 v37, v37, v2
	v_lshlrev_b32_e32 v3, 28, v32
	v_mov_b32_e32 v2, v1
	v_cmp_gt_i64_e32 vcc, 0, v[2:3]
	v_not_b32_e32 v2, v3
	v_ashrrev_i32_e32 v2, 31, v2
	;; [unrolled: 9-line block ×6, first 2 shown]
	v_xor_b32_e32 v3, vcc_hi, v2
	v_xor_b32_e32 v2, vcc_lo, v2
	ds_read_b32 v35, v38 offset:64
	v_and_b32_e32 v2, v37, v2
	v_and_b32_e32 v3, v0, v3
	v_mbcnt_lo_u32_b32 v0, v2, 0
	v_mbcnt_hi_u32_b32 v37, v3, v0
	v_cmp_eq_u32_e32 vcc, 0, v37
	v_cmp_ne_u64_e64 s[0:1], 0, v[2:3]
	s_and_b64 s[4:5], s[0:1], vcc
	; wave barrier
	s_and_saveexec_b64 s[0:1], s[4:5]
	s_cbranch_execz .LBB2459_149
; %bb.148:
	v_bcnt_u32_b32 v0, v2, 0
	v_bcnt_u32_b32 v0, v3, v0
	s_waitcnt lgkmcnt(0)
	v_add_u32_e32 v0, v35, v0
	ds_write_b32 v38, v0 offset:64
.LBB2459_149:
	s_or_b64 exec, exec, s[0:1]
	s_waitcnt vmcnt(0)
	v_xor_b32_e32 v32, 0x80000000, v24
	v_lshrrev_b32_e32 v0, s52, v32
	v_and_b32_e32 v24, s13, v0
	v_mul_lo_u32 v0, v24, s2
	v_lshl_add_u32 v40, v26, 2, v0
	v_and_b32_e32 v0, 1, v24
	v_lshl_add_u64 v[2:3], v[0:1], 0, -1
	v_cmp_ne_u32_e32 vcc, 0, v0
	; wave barrier
	s_nop 1
	v_xor_b32_e32 v2, vcc_lo, v2
	v_xor_b32_e32 v0, vcc_hi, v3
	v_and_b32_e32 v39, exec_lo, v2
	v_lshlrev_b32_e32 v3, 30, v24
	v_mov_b32_e32 v2, v1
	v_cmp_gt_i64_e32 vcc, 0, v[2:3]
	v_not_b32_e32 v2, v3
	v_ashrrev_i32_e32 v2, 31, v2
	v_and_b32_e32 v0, exec_hi, v0
	v_xor_b32_e32 v3, vcc_hi, v2
	v_xor_b32_e32 v2, vcc_lo, v2
	v_and_b32_e32 v0, v0, v3
	v_and_b32_e32 v39, v39, v2
	v_lshlrev_b32_e32 v3, 29, v24
	v_mov_b32_e32 v2, v1
	v_cmp_gt_i64_e32 vcc, 0, v[2:3]
	v_not_b32_e32 v2, v3
	v_ashrrev_i32_e32 v2, 31, v2
	v_xor_b32_e32 v3, vcc_hi, v2
	v_xor_b32_e32 v2, vcc_lo, v2
	v_and_b32_e32 v0, v0, v3
	v_and_b32_e32 v39, v39, v2
	v_lshlrev_b32_e32 v3, 28, v24
	v_mov_b32_e32 v2, v1
	v_cmp_gt_i64_e32 vcc, 0, v[2:3]
	v_not_b32_e32 v2, v3
	v_ashrrev_i32_e32 v2, 31, v2
	;; [unrolled: 9-line block ×5, first 2 shown]
	v_xor_b32_e32 v3, vcc_hi, v2
	v_xor_b32_e32 v2, vcc_lo, v2
	v_and_b32_e32 v0, v0, v3
	v_lshlrev_b32_e32 v3, 24, v24
	v_and_b32_e32 v39, v39, v2
	v_mov_b32_e32 v2, v1
	v_not_b32_e32 v1, v3
	v_cmp_gt_i64_e32 vcc, 0, v[2:3]
	v_ashrrev_i32_e32 v1, 31, v1
	ds_read_b32 v26, v40 offset:64
	v_xor_b32_e32 v2, vcc_hi, v1
	v_xor_b32_e32 v3, vcc_lo, v1
	v_and_b32_e32 v1, v0, v2
	v_and_b32_e32 v0, v39, v3
	v_mbcnt_lo_u32_b32 v2, v0, 0
	v_mbcnt_hi_u32_b32 v39, v1, v2
	v_cmp_eq_u32_e32 vcc, 0, v39
	v_cmp_ne_u64_e64 s[0:1], 0, v[0:1]
	s_and_b64 s[2:3], s[0:1], vcc
	; wave barrier
	s_and_saveexec_b64 s[0:1], s[2:3]
	s_cbranch_execz .LBB2459_151
; %bb.150:
	v_bcnt_u32_b32 v0, v0, 0
	v_bcnt_u32_b32 v0, v1, v0
	s_waitcnt lgkmcnt(0)
	v_add_u32_e32 v0, v26, v0
	ds_write_b32 v40, v0 offset:64
.LBB2459_151:
	s_or_b64 exec, exec, s[0:1]
	; wave barrier
	s_waitcnt lgkmcnt(0)
	s_barrier
	ds_read2_b32 v[2:3], v5 offset0:16 offset1:17
	ds_read2_b32 v[0:1], v5 offset0:18 offset1:19
	ds_read_b32 v24, v5 offset:80
	v_cmp_lt_u32_e64 s[6:7], 31, v4
	s_waitcnt lgkmcnt(1)
	v_add3_u32 v41, v3, v2, v0
	s_waitcnt lgkmcnt(0)
	v_add3_u32 v24, v41, v1, v24
	v_and_b32_e32 v41, 15, v4
	v_cmp_eq_u32_e32 vcc, 0, v41
	v_mov_b32_dpp v42, v24 row_shr:1 row_mask:0xf bank_mask:0xf
	v_cmp_lt_u32_e64 s[0:1], 1, v41
	v_cndmask_b32_e64 v42, v42, 0, vcc
	v_add_u32_e32 v24, v42, v24
	v_cmp_lt_u32_e64 s[2:3], 3, v41
	v_cmp_lt_u32_e64 s[4:5], 7, v41
	v_mov_b32_dpp v42, v24 row_shr:2 row_mask:0xf bank_mask:0xf
	v_cndmask_b32_e64 v42, 0, v42, s[0:1]
	v_add_u32_e32 v24, v24, v42
	s_nop 1
	v_mov_b32_dpp v42, v24 row_shr:4 row_mask:0xf bank_mask:0xf
	v_cndmask_b32_e64 v42, 0, v42, s[2:3]
	v_add_u32_e32 v24, v24, v42
	s_nop 1
	v_mov_b32_dpp v42, v24 row_shr:8 row_mask:0xf bank_mask:0xf
	v_cndmask_b32_e64 v41, 0, v42, s[4:5]
	v_add_u32_e32 v24, v24, v41
	v_bfe_i32 v42, v4, 4, 1
	s_nop 0
	v_mov_b32_dpp v41, v24 row_bcast:15 row_mask:0xf bank_mask:0xf
	v_and_b32_e32 v41, v42, v41
	v_add_u32_e32 v24, v24, v41
	v_lshrrev_b32_e32 v42, 6, v8
	s_nop 0
	v_mov_b32_dpp v41, v24 row_bcast:31 row_mask:0xf bank_mask:0xf
	v_cndmask_b32_e64 v41, 0, v41, s[6:7]
	v_add_u32_e32 v41, v24, v41
	v_and_b32_e32 v24, 63, v8
	v_cmp_eq_u32_e64 s[6:7], 63, v24
	s_and_saveexec_b64 s[8:9], s[6:7]
; %bb.152:
	v_lshlrev_b32_e32 v24, 2, v42
	ds_write_b32 v24, v41
; %bb.153:
	s_or_b64 exec, exec, s[8:9]
	v_cmp_gt_u32_e64 s[6:7], 16, v8
	v_lshlrev_b32_e32 v24, 2, v8
	s_waitcnt lgkmcnt(0)
	s_barrier
	s_and_saveexec_b64 s[8:9], s[6:7]
	s_cbranch_execz .LBB2459_155
; %bb.154:
	ds_read_b32 v43, v24
	s_waitcnt lgkmcnt(0)
	s_nop 0
	v_mov_b32_dpp v44, v43 row_shr:1 row_mask:0xf bank_mask:0xf
	v_cndmask_b32_e64 v44, v44, 0, vcc
	v_add_u32_e32 v43, v44, v43
	s_nop 1
	v_mov_b32_dpp v44, v43 row_shr:2 row_mask:0xf bank_mask:0xf
	v_cndmask_b32_e64 v44, 0, v44, s[0:1]
	v_add_u32_e32 v43, v43, v44
	s_nop 1
	v_mov_b32_dpp v44, v43 row_shr:4 row_mask:0xf bank_mask:0xf
	v_cndmask_b32_e64 v44, 0, v44, s[2:3]
	v_add_u32_e32 v43, v43, v44
	s_nop 1
	v_mov_b32_dpp v44, v43 row_shr:8 row_mask:0xf bank_mask:0xf
	v_cndmask_b32_e64 v44, 0, v44, s[4:5]
	v_add_u32_e32 v43, v43, v44
	ds_write_b32 v24, v43
.LBB2459_155:
	s_or_b64 exec, exec, s[8:9]
	v_cmp_lt_u32_e32 vcc, 63, v8
	v_mov_b32_e32 v43, 0
	s_waitcnt lgkmcnt(0)
	s_barrier
	s_and_saveexec_b64 s[0:1], vcc
; %bb.156:
	v_lshl_add_u32 v42, v42, 2, -4
	ds_read_b32 v43, v42
; %bb.157:
	s_or_b64 exec, exec, s[0:1]
	v_subrev_co_u32_e32 v42, vcc, 1, v4
	v_and_b32_e32 v44, 64, v4
	v_cmp_lt_i32_e64 s[0:1], v42, v44
	s_waitcnt lgkmcnt(0)
	v_add_u32_e32 v41, v43, v41
	s_movk_i32 s2, 0x100
	v_cndmask_b32_e64 v4, v42, v4, s[0:1]
	v_lshlrev_b32_e32 v4, 2, v4
	ds_bpermute_b32 v4, v4, v41
	s_movk_i32 s0, 0xff
	v_cmp_lt_u32_e64 s[0:1], s0, v8
	s_waitcnt lgkmcnt(0)
	v_cndmask_b32_e32 v4, v4, v43, vcc
	v_cndmask_b32_e64 v4, v4, 0, s[20:21]
	v_add_u32_e32 v2, v4, v2
	v_add_u32_e32 v3, v2, v3
	;; [unrolled: 1-line block ×4, first 2 shown]
	ds_write2_b32 v5, v4, v2 offset0:16 offset1:17
	ds_write2_b32 v5, v3, v0 offset0:18 offset1:19
	ds_write_b32 v5, v1 offset:80
	s_waitcnt lgkmcnt(0)
	s_barrier
	ds_read_b32 v47, v16 offset:64
	ds_read_b32 v41, v19 offset:64
	;; [unrolled: 1-line block ×8, first 2 shown]
	v_cmp_gt_u32_e32 vcc, s2, v8
                                        ; implicit-def: $vgpr16
                                        ; implicit-def: $vgpr19
	s_and_saveexec_b64 s[4:5], vcc
	s_cbranch_execz .LBB2459_161
; %bb.158:
	v_mul_u32_u24_e32 v0, 0x44, v8
	ds_read_b32 v16, v0 offset:64
	v_add_u32_e32 v1, 1, v8
	v_cmp_ne_u32_e64 s[2:3], s2, v1
	v_mov_b32_e32 v0, 0x2000
	s_and_saveexec_b64 s[6:7], s[2:3]
; %bb.159:
	v_mul_u32_u24_e32 v0, 0x44, v1
	ds_read_b32 v0, v0 offset:64
; %bb.160:
	s_or_b64 exec, exec, s[6:7]
	s_waitcnt lgkmcnt(0)
	v_sub_u32_e32 v19, v0, v16
.LBB2459_161:
	s_or_b64 exec, exec, s[4:5]
	v_mov_b32_e32 v1, 0
	s_waitcnt lgkmcnt(0)
	s_barrier
	s_and_saveexec_b64 s[2:3], vcc
	s_cbranch_execz .LBB2459_171
; %bb.162:
	v_lshl_add_u32 v0, s33, 8, v8
	v_lshl_add_u64 v[2:3], v[0:1], 2, s[38:39]
	v_or_b32_e32 v0, 2.0, v19
	s_mov_b64 s[4:5], 0
	s_brev_b32 s14, -4
	s_mov_b32 s15, s33
	v_mov_b32_e32 v23, 0
	global_store_dword v[2:3], v0, off sc1
                                        ; implicit-def: $sgpr6_sgpr7
	s_branch .LBB2459_165
.LBB2459_163:                           ;   in Loop: Header=BB2459_165 Depth=1
	s_or_b64 exec, exec, s[8:9]
.LBB2459_164:                           ;   in Loop: Header=BB2459_165 Depth=1
	s_or_b64 exec, exec, s[6:7]
	v_and_b32_e32 v4, 0x3fffffff, v0
	v_add_u32_e32 v23, v4, v23
	v_cmp_gt_i32_e64 s[6:7], -2.0, v0
	s_and_b64 s[8:9], exec, s[6:7]
	s_or_b64 s[4:5], s[8:9], s[4:5]
	s_andn2_b64 exec, exec, s[4:5]
	s_cbranch_execz .LBB2459_170
.LBB2459_165:                           ; =>This Loop Header: Depth=1
                                        ;     Child Loop BB2459_168 Depth 2
	s_or_b64 s[6:7], s[6:7], exec
	s_cmp_eq_u32 s15, 0
	s_cbranch_scc1 .LBB2459_169
; %bb.166:                              ;   in Loop: Header=BB2459_165 Depth=1
	s_add_i32 s15, s15, -1
	v_lshl_or_b32 v0, s15, 8, v8
	v_lshl_add_u64 v[4:5], v[0:1], 2, s[38:39]
	global_load_dword v0, v[4:5], off sc1
	s_waitcnt vmcnt(0)
	v_cmp_gt_u32_e32 vcc, 2.0, v0
	s_and_saveexec_b64 s[6:7], vcc
	s_cbranch_execz .LBB2459_164
; %bb.167:                              ;   in Loop: Header=BB2459_165 Depth=1
	s_mov_b64 s[8:9], 0
.LBB2459_168:                           ;   Parent Loop BB2459_165 Depth=1
                                        ; =>  This Inner Loop Header: Depth=2
	global_load_dword v0, v[4:5], off sc1
	s_waitcnt vmcnt(0)
	v_cmp_lt_u32_e32 vcc, s14, v0
	s_or_b64 s[8:9], vcc, s[8:9]
	s_andn2_b64 exec, exec, s[8:9]
	s_cbranch_execnz .LBB2459_168
	s_branch .LBB2459_163
.LBB2459_169:                           ;   in Loop: Header=BB2459_165 Depth=1
                                        ; implicit-def: $sgpr15
	s_and_b64 s[8:9], exec, s[6:7]
	s_or_b64 s[4:5], s[8:9], s[4:5]
	s_andn2_b64 exec, exec, s[4:5]
	s_cbranch_execnz .LBB2459_165
.LBB2459_170:
	s_or_b64 exec, exec, s[4:5]
	v_add_u32_e32 v0, v23, v19
	v_or_b32_e32 v0, 0x80000000, v0
	global_store_dword v[2:3], v0, off sc1
	global_load_dword v0, v24, s[48:49]
	v_sub_u32_e32 v1, v23, v16
	s_waitcnt vmcnt(0)
	v_add_u32_e32 v0, v1, v0
	ds_write_b32 v24, v0
.LBB2459_171:
	s_or_b64 exec, exec, s[2:3]
	v_add_u32_e32 v33, v47, v13
	v_add3_u32 v29, v15, v12, v41
	v_add3_u32 v23, v20, v17, v42
	;; [unrolled: 1-line block ×7, first 2 shown]
	s_mov_b32 s6, 16
	s_mov_b32 s7, s52
	s_mov_b32 s8, s13
	v_lshlrev_b32_e32 v36, 2, v2
	v_add3_u32 v26, v39, v38, v26
	v_lshlrev_b32_e32 v38, 2, v3
	v_add3_u32 v35, v37, v46, v35
	;; [unrolled: 2-line block ×7, first 2 shown]
	v_lshlrev_b32_e32 v15, 2, v33
	s_mov_b32 s19, 0
	s_mov_b64 s[2:3], -1
	s_mov_b32 s9, 0
	s_movk_i32 s14, 0x1000
	v_mov_b32_e32 v1, 0
	s_movk_i32 s15, 0x400
	s_movk_i32 s16, 0x800
	;; [unrolled: 1-line block ×3, first 2 shown]
	s_mov_b32 s18, 0
	v_mov_b32_e32 v39, v8
	s_branch .LBB2459_173
.LBB2459_172:                           ;   in Loop: Header=BB2459_173 Depth=1
	s_or_b64 exec, exec, s[4:5]
	s_waitcnt lgkmcnt(0)
	s_barrier
	ds_read2st64_b32 v[40:41], v24 offset0:4 offset1:20
	ds_read2st64_b32 v[44:45], v24 offset0:36 offset1:52
	s_xor_b64 s[4:5], s[2:3], -1
	s_addk_i32 s18, 0xc000
	s_addk_i32 s9, 0xf000
	s_waitcnt lgkmcnt(1)
	v_xor_b32_e32 v48, 0x80000000, v40
	v_lshrrev_b32_e32 v40, s52, v40
	v_lshrrev_b32_e32 v0, s7, v41
	v_and_b32_e32 v40, s13, v40
	v_xor_b32_e32 v49, 0x80000000, v41
	v_and_b32_e32 v41, s8, v0
	v_lshlrev_b32_e32 v0, 2, v40
	ds_read_b32 v0, v0
	s_waitcnt lgkmcnt(1)
	v_lshrrev_b32_e32 v42, s7, v45
	v_lshrrev_b32_e32 v47, s52, v44
	v_and_b32_e32 v43, s8, v42
	v_lshlrev_b32_e32 v46, 2, v41
	v_and_b32_e32 v42, s13, v47
	v_lshlrev_b32_e32 v50, 2, v43
	v_lshlrev_b32_e32 v47, 2, v42
	ds_read_b32 v51, v46
	ds_read_b32 v52, v47
	;; [unrolled: 1-line block ×3, first 2 shown]
	s_waitcnt lgkmcnt(3)
	v_add_u32_e32 v0, v39, v0
	v_lshl_add_u64 v[46:47], v[0:1], 2, s[42:43]
	s_waitcnt lgkmcnt(2)
	v_add3_u32 v0, v39, v51, s15
	global_store_dword v[46:47], v48, off
	v_lshl_add_u64 v[46:47], v[0:1], 2, s[42:43]
	s_waitcnt lgkmcnt(1)
	v_add3_u32 v0, v39, v52, s16
	global_store_dword v[46:47], v49, off
	v_xor_b32_e32 v46, 0x80000000, v44
	v_xor_b32_e32 v47, 0x80000000, v45
	v_lshl_add_u64 v[44:45], v[0:1], 2, s[42:43]
	s_waitcnt lgkmcnt(0)
	v_add3_u32 v0, v39, v50, s17
	global_store_dword v[44:45], v46, off
	v_lshl_add_u64 v[44:45], v[0:1], 2, s[42:43]
	global_store_dword v[44:45], v47, off
	scratch_store_dwordx4 off, v[40:43], s19
	v_add_u32_e32 v39, 0x1000, v39
	s_mov_b64 s[2:3], 0
	s_and_b64 vcc, exec, s[4:5]
	s_mov_b32 s19, s6
	s_barrier
	s_cbranch_vccnz .LBB2459_189
.LBB2459_173:                           ; =>This Inner Loop Header: Depth=1
	v_add_u32_e32 v0, s9, v33
	v_cmp_gt_u32_e32 vcc, s14, v0
	s_and_saveexec_b64 s[4:5], vcc
; %bb.174:                              ;   in Loop: Header=BB2459_173 Depth=1
	v_add_u32_e32 v0, s18, v15
	ds_write_b32 v0, v9 offset:1024
; %bb.175:                              ;   in Loop: Header=BB2459_173 Depth=1
	s_or_b64 exec, exec, s[4:5]
	v_add_u32_e32 v0, s9, v12
	v_cmp_gt_u32_e32 vcc, s14, v0
	s_and_saveexec_b64 s[4:5], vcc
; %bb.176:                              ;   in Loop: Header=BB2459_173 Depth=1
	v_add_u32_e32 v0, s18, v20
	ds_write_b32 v0, v10 offset:1024
; %bb.177:                              ;   in Loop: Header=BB2459_173 Depth=1
	s_or_b64 exec, exec, s[4:5]
	;; [unrolled: 8-line block ×7, first 2 shown]
	v_add_u32_e32 v0, s9, v26
	v_cmp_gt_u32_e32 vcc, s14, v0
	s_and_saveexec_b64 s[4:5], vcc
	s_cbranch_execz .LBB2459_172
; %bb.188:                              ;   in Loop: Header=BB2459_173 Depth=1
	v_add_u32_e32 v0, s18, v36
	ds_write_b32 v0, v32 offset:1024
	s_branch .LBB2459_172
.LBB2459_189:
	s_lshl_b64 s[2:3], s[10:11], 1
	s_add_u32 s2, s44, s2
	s_addc_u32 s3, s45, s3
	v_lshlrev_b32_e32 v0, 1, v7
	v_mov_b32_e32 v1, 0
	v_lshl_add_u64 v[10:11], s[2:3], 0, v[0:1]
	v_lshlrev_b32_e32 v0, 1, v6
	v_lshl_add_u64 v[0:1], v[10:11], 0, v[0:1]
	global_load_ushort v14, v[0:1], off offset:128
	global_load_ushort v12, v[0:1], off offset:256
	;; [unrolled: 1-line block ×7, first 2 shown]
	s_movk_i32 s4, 0x2000
	v_cmp_gt_u32_e32 vcc, s4, v33
	s_and_saveexec_b64 s[2:3], vcc
	s_cbranch_execz .LBB2459_197
; %bb.190:
	global_load_ushort v0, v[0:1], off
	v_lshlrev_b32_e32 v1, 1, v33
	s_waitcnt vmcnt(0)
	ds_write_b16 v1, v0 offset:1024
	s_or_b64 exec, exec, s[2:3]
	v_cmp_gt_u32_e32 vcc, s4, v29
	s_and_saveexec_b64 s[2:3], vcc
	s_cbranch_execnz .LBB2459_198
.LBB2459_191:
	s_or_b64 exec, exec, s[2:3]
	v_cmp_gt_u32_e32 vcc, s4, v23
	s_and_saveexec_b64 s[2:3], vcc
	s_cbranch_execz .LBB2459_199
.LBB2459_192:
	v_lshlrev_b32_e32 v0, 1, v23
	s_waitcnt vmcnt(5)
	ds_write_b16 v0, v12 offset:1024
	s_or_b64 exec, exec, s[2:3]
	v_cmp_gt_u32_e32 vcc, s4, v13
	s_and_saveexec_b64 s[2:3], vcc
	s_cbranch_execnz .LBB2459_200
.LBB2459_193:
	s_or_b64 exec, exec, s[2:3]
	v_cmp_gt_u32_e32 vcc, s4, v5
	s_and_saveexec_b64 s[2:3], vcc
	s_cbranch_execz .LBB2459_201
.LBB2459_194:
	v_lshlrev_b32_e32 v0, 1, v5
	s_waitcnt vmcnt(3)
	ds_write_b16 v0, v10 offset:1024
	s_or_b64 exec, exec, s[2:3]
	v_cmp_gt_u32_e32 vcc, s4, v4
	s_and_saveexec_b64 s[2:3], vcc
	s_cbranch_execnz .LBB2459_202
.LBB2459_195:
	s_or_b64 exec, exec, s[2:3]
	v_cmp_gt_u32_e32 vcc, s4, v3
	s_and_saveexec_b64 s[2:3], vcc
	s_cbranch_execz .LBB2459_203
.LBB2459_196:
	v_lshlrev_b32_e32 v0, 1, v3
	s_waitcnt vmcnt(1)
	ds_write_b16 v0, v7 offset:1024
	s_or_b64 exec, exec, s[2:3]
	v_cmp_gt_u32_e32 vcc, s4, v2
	s_and_saveexec_b64 s[2:3], vcc
	s_cbranch_execnz .LBB2459_204
	s_branch .LBB2459_205
.LBB2459_197:
	s_or_b64 exec, exec, s[2:3]
	v_cmp_gt_u32_e32 vcc, s4, v29
	s_and_saveexec_b64 s[2:3], vcc
	s_cbranch_execz .LBB2459_191
.LBB2459_198:
	v_lshlrev_b32_e32 v0, 1, v29
	s_waitcnt vmcnt(6)
	ds_write_b16 v0, v14 offset:1024
	s_or_b64 exec, exec, s[2:3]
	v_cmp_gt_u32_e32 vcc, s4, v23
	s_and_saveexec_b64 s[2:3], vcc
	s_cbranch_execnz .LBB2459_192
.LBB2459_199:
	s_or_b64 exec, exec, s[2:3]
	v_cmp_gt_u32_e32 vcc, s4, v13
	s_and_saveexec_b64 s[2:3], vcc
	s_cbranch_execz .LBB2459_193
.LBB2459_200:
	v_lshlrev_b32_e32 v0, 1, v13
	s_waitcnt vmcnt(4)
	ds_write_b16 v0, v11 offset:1024
	s_or_b64 exec, exec, s[2:3]
	v_cmp_gt_u32_e32 vcc, s4, v5
	s_and_saveexec_b64 s[2:3], vcc
	s_cbranch_execnz .LBB2459_194
.LBB2459_201:
	s_or_b64 exec, exec, s[2:3]
	v_cmp_gt_u32_e32 vcc, s4, v4
	s_and_saveexec_b64 s[2:3], vcc
	s_cbranch_execz .LBB2459_195
.LBB2459_202:
	v_lshlrev_b32_e32 v0, 1, v4
	s_waitcnt vmcnt(2)
	ds_write_b16 v0, v9 offset:1024
	s_or_b64 exec, exec, s[2:3]
	v_cmp_gt_u32_e32 vcc, s4, v3
	s_and_saveexec_b64 s[2:3], vcc
	s_cbranch_execnz .LBB2459_196
.LBB2459_203:
	s_or_b64 exec, exec, s[2:3]
	v_cmp_gt_u32_e32 vcc, s4, v2
	s_and_saveexec_b64 s[2:3], vcc
	s_cbranch_execz .LBB2459_205
.LBB2459_204:
	v_lshlrev_b32_e32 v0, 1, v2
	s_waitcnt vmcnt(0)
	ds_write_b16 v0, v6 offset:1024
.LBB2459_205:
	s_or_b64 exec, exec, s[2:3]
	s_waitcnt lgkmcnt(0)
	s_barrier
	scratch_load_dwordx4 v[0:3], off, off
	scratch_load_dwordx4 v[4:7], off, off offset:16
	s_waitcnt vmcnt(4)
	v_lshlrev_b32_e32 v9, 1, v8
	v_mov_b32_e32 v11, 0
	s_movk_i32 s4, 0x400
	ds_read_u16 v12, v9 offset:1024
	ds_read_u16 v13, v9 offset:3072
	;; [unrolled: 1-line block ×8, first 2 shown]
	s_movk_i32 s5, 0x800
	s_movk_i32 s6, 0xc00
	;; [unrolled: 1-line block ×5, first 2 shown]
	s_add_i32 s12, s12, -1
	s_movk_i32 s10, 0x1c00
	s_cmp_eq_u32 s33, s12
	s_cselect_b64 s[2:3], -1, 0
	s_xor_b64 s[0:1], s[0:1], -1
	s_and_b64 s[0:1], s[0:1], s[2:3]
	s_waitcnt vmcnt(1)
	v_lshlrev_b32_e32 v0, 2, v0
	v_lshlrev_b32_e32 v2, 2, v2
	;; [unrolled: 1-line block ×3, first 2 shown]
	s_waitcnt vmcnt(0)
	v_lshlrev_b32_e32 v4, 2, v4
	v_lshlrev_b32_e32 v5, 2, v5
	;; [unrolled: 1-line block ×5, first 2 shown]
	ds_read_b32 v0, v0
	ds_read_b32 v21, v1
	;; [unrolled: 1-line block ×8, first 2 shown]
	s_waitcnt lgkmcnt(7)
	v_add_u32_e32 v10, v0, v8
	v_lshl_add_u64 v[0:1], v[10:11], 1, s[46:47]
	s_waitcnt lgkmcnt(6)
	v_add3_u32 v10, v21, v8, s4
	global_store_short v[0:1], v12, off
	v_lshl_add_u64 v[0:1], v[10:11], 1, s[46:47]
	s_waitcnt lgkmcnt(5)
	v_add3_u32 v10, v2, v8, s5
	global_store_short v[0:1], v13, off
	;; [unrolled: 4-line block ×7, first 2 shown]
	v_lshl_add_u64 v[0:1], v[10:11], 1, s[46:47]
	global_store_short v[0:1], v9, off
	s_and_saveexec_b64 s[2:3], s[0:1]
	s_cbranch_execz .LBB2459_207
; %bb.206:
	ds_read_b32 v0, v24
	s_waitcnt lgkmcnt(0)
	v_add3_u32 v0, v16, v19, v0
	global_store_dword v24, v0, s[50:51]
.LBB2459_207:
	s_endpgm
	.section	.rodata,"a",@progbits
	.p2align	6, 0x0
	.amdhsa_kernel _ZN7rocprim17ROCPRIM_400000_NS6detail17trampoline_kernelINS0_14default_configENS1_35radix_sort_onesweep_config_selectorIisEEZZNS1_29radix_sort_onesweep_iterationIS3_Lb0EN6thrust23THRUST_200600_302600_NS10device_ptrIiEESA_NS9_IsEESB_jNS0_19identity_decomposerENS1_16block_id_wrapperIjLb1EEEEE10hipError_tT1_PNSt15iterator_traitsISG_E10value_typeET2_T3_PNSH_ISM_E10value_typeET4_T5_PSR_SS_PNS1_23onesweep_lookback_stateEbbT6_jjT7_P12ihipStream_tbENKUlT_T0_SG_SL_E_clIPiSA_PsSB_EEDaSZ_S10_SG_SL_EUlSZ_E_NS1_11comp_targetILNS1_3genE6ELNS1_11target_archE950ELNS1_3gpuE13ELNS1_3repE0EEENS1_47radix_sort_onesweep_sort_config_static_selectorELNS0_4arch9wavefront6targetE1EEEvSG_
		.amdhsa_group_segment_fixed_size 53328
		.amdhsa_private_segment_fixed_size 48
		.amdhsa_kernarg_size 344
		.amdhsa_user_sgpr_count 4
		.amdhsa_user_sgpr_dispatch_ptr 1
		.amdhsa_user_sgpr_queue_ptr 0
		.amdhsa_user_sgpr_kernarg_segment_ptr 1
		.amdhsa_user_sgpr_dispatch_id 0
		.amdhsa_user_sgpr_kernarg_preload_length 0
		.amdhsa_user_sgpr_kernarg_preload_offset 0
		.amdhsa_user_sgpr_private_segment_size 0
		.amdhsa_uses_dynamic_stack 0
		.amdhsa_enable_private_segment 1
		.amdhsa_system_sgpr_workgroup_id_x 1
		.amdhsa_system_sgpr_workgroup_id_y 0
		.amdhsa_system_sgpr_workgroup_id_z 0
		.amdhsa_system_sgpr_workgroup_info 0
		.amdhsa_system_vgpr_workitem_id 2
		.amdhsa_next_free_vgpr 53
		.amdhsa_next_free_sgpr 59
		.amdhsa_accum_offset 56
		.amdhsa_reserve_vcc 1
		.amdhsa_float_round_mode_32 0
		.amdhsa_float_round_mode_16_64 0
		.amdhsa_float_denorm_mode_32 3
		.amdhsa_float_denorm_mode_16_64 3
		.amdhsa_dx10_clamp 1
		.amdhsa_ieee_mode 1
		.amdhsa_fp16_overflow 0
		.amdhsa_tg_split 0
		.amdhsa_exception_fp_ieee_invalid_op 0
		.amdhsa_exception_fp_denorm_src 0
		.amdhsa_exception_fp_ieee_div_zero 0
		.amdhsa_exception_fp_ieee_overflow 0
		.amdhsa_exception_fp_ieee_underflow 0
		.amdhsa_exception_fp_ieee_inexact 0
		.amdhsa_exception_int_div_zero 0
	.end_amdhsa_kernel
	.section	.text._ZN7rocprim17ROCPRIM_400000_NS6detail17trampoline_kernelINS0_14default_configENS1_35radix_sort_onesweep_config_selectorIisEEZZNS1_29radix_sort_onesweep_iterationIS3_Lb0EN6thrust23THRUST_200600_302600_NS10device_ptrIiEESA_NS9_IsEESB_jNS0_19identity_decomposerENS1_16block_id_wrapperIjLb1EEEEE10hipError_tT1_PNSt15iterator_traitsISG_E10value_typeET2_T3_PNSH_ISM_E10value_typeET4_T5_PSR_SS_PNS1_23onesweep_lookback_stateEbbT6_jjT7_P12ihipStream_tbENKUlT_T0_SG_SL_E_clIPiSA_PsSB_EEDaSZ_S10_SG_SL_EUlSZ_E_NS1_11comp_targetILNS1_3genE6ELNS1_11target_archE950ELNS1_3gpuE13ELNS1_3repE0EEENS1_47radix_sort_onesweep_sort_config_static_selectorELNS0_4arch9wavefront6targetE1EEEvSG_,"axG",@progbits,_ZN7rocprim17ROCPRIM_400000_NS6detail17trampoline_kernelINS0_14default_configENS1_35radix_sort_onesweep_config_selectorIisEEZZNS1_29radix_sort_onesweep_iterationIS3_Lb0EN6thrust23THRUST_200600_302600_NS10device_ptrIiEESA_NS9_IsEESB_jNS0_19identity_decomposerENS1_16block_id_wrapperIjLb1EEEEE10hipError_tT1_PNSt15iterator_traitsISG_E10value_typeET2_T3_PNSH_ISM_E10value_typeET4_T5_PSR_SS_PNS1_23onesweep_lookback_stateEbbT6_jjT7_P12ihipStream_tbENKUlT_T0_SG_SL_E_clIPiSA_PsSB_EEDaSZ_S10_SG_SL_EUlSZ_E_NS1_11comp_targetILNS1_3genE6ELNS1_11target_archE950ELNS1_3gpuE13ELNS1_3repE0EEENS1_47radix_sort_onesweep_sort_config_static_selectorELNS0_4arch9wavefront6targetE1EEEvSG_,comdat
.Lfunc_end2459:
	.size	_ZN7rocprim17ROCPRIM_400000_NS6detail17trampoline_kernelINS0_14default_configENS1_35radix_sort_onesweep_config_selectorIisEEZZNS1_29radix_sort_onesweep_iterationIS3_Lb0EN6thrust23THRUST_200600_302600_NS10device_ptrIiEESA_NS9_IsEESB_jNS0_19identity_decomposerENS1_16block_id_wrapperIjLb1EEEEE10hipError_tT1_PNSt15iterator_traitsISG_E10value_typeET2_T3_PNSH_ISM_E10value_typeET4_T5_PSR_SS_PNS1_23onesweep_lookback_stateEbbT6_jjT7_P12ihipStream_tbENKUlT_T0_SG_SL_E_clIPiSA_PsSB_EEDaSZ_S10_SG_SL_EUlSZ_E_NS1_11comp_targetILNS1_3genE6ELNS1_11target_archE950ELNS1_3gpuE13ELNS1_3repE0EEENS1_47radix_sort_onesweep_sort_config_static_selectorELNS0_4arch9wavefront6targetE1EEEvSG_, .Lfunc_end2459-_ZN7rocprim17ROCPRIM_400000_NS6detail17trampoline_kernelINS0_14default_configENS1_35radix_sort_onesweep_config_selectorIisEEZZNS1_29radix_sort_onesweep_iterationIS3_Lb0EN6thrust23THRUST_200600_302600_NS10device_ptrIiEESA_NS9_IsEESB_jNS0_19identity_decomposerENS1_16block_id_wrapperIjLb1EEEEE10hipError_tT1_PNSt15iterator_traitsISG_E10value_typeET2_T3_PNSH_ISM_E10value_typeET4_T5_PSR_SS_PNS1_23onesweep_lookback_stateEbbT6_jjT7_P12ihipStream_tbENKUlT_T0_SG_SL_E_clIPiSA_PsSB_EEDaSZ_S10_SG_SL_EUlSZ_E_NS1_11comp_targetILNS1_3genE6ELNS1_11target_archE950ELNS1_3gpuE13ELNS1_3repE0EEENS1_47radix_sort_onesweep_sort_config_static_selectorELNS0_4arch9wavefront6targetE1EEEvSG_
                                        ; -- End function
	.set _ZN7rocprim17ROCPRIM_400000_NS6detail17trampoline_kernelINS0_14default_configENS1_35radix_sort_onesweep_config_selectorIisEEZZNS1_29radix_sort_onesweep_iterationIS3_Lb0EN6thrust23THRUST_200600_302600_NS10device_ptrIiEESA_NS9_IsEESB_jNS0_19identity_decomposerENS1_16block_id_wrapperIjLb1EEEEE10hipError_tT1_PNSt15iterator_traitsISG_E10value_typeET2_T3_PNSH_ISM_E10value_typeET4_T5_PSR_SS_PNS1_23onesweep_lookback_stateEbbT6_jjT7_P12ihipStream_tbENKUlT_T0_SG_SL_E_clIPiSA_PsSB_EEDaSZ_S10_SG_SL_EUlSZ_E_NS1_11comp_targetILNS1_3genE6ELNS1_11target_archE950ELNS1_3gpuE13ELNS1_3repE0EEENS1_47radix_sort_onesweep_sort_config_static_selectorELNS0_4arch9wavefront6targetE1EEEvSG_.num_vgpr, 53
	.set _ZN7rocprim17ROCPRIM_400000_NS6detail17trampoline_kernelINS0_14default_configENS1_35radix_sort_onesweep_config_selectorIisEEZZNS1_29radix_sort_onesweep_iterationIS3_Lb0EN6thrust23THRUST_200600_302600_NS10device_ptrIiEESA_NS9_IsEESB_jNS0_19identity_decomposerENS1_16block_id_wrapperIjLb1EEEEE10hipError_tT1_PNSt15iterator_traitsISG_E10value_typeET2_T3_PNSH_ISM_E10value_typeET4_T5_PSR_SS_PNS1_23onesweep_lookback_stateEbbT6_jjT7_P12ihipStream_tbENKUlT_T0_SG_SL_E_clIPiSA_PsSB_EEDaSZ_S10_SG_SL_EUlSZ_E_NS1_11comp_targetILNS1_3genE6ELNS1_11target_archE950ELNS1_3gpuE13ELNS1_3repE0EEENS1_47radix_sort_onesweep_sort_config_static_selectorELNS0_4arch9wavefront6targetE1EEEvSG_.num_agpr, 0
	.set _ZN7rocprim17ROCPRIM_400000_NS6detail17trampoline_kernelINS0_14default_configENS1_35radix_sort_onesweep_config_selectorIisEEZZNS1_29radix_sort_onesweep_iterationIS3_Lb0EN6thrust23THRUST_200600_302600_NS10device_ptrIiEESA_NS9_IsEESB_jNS0_19identity_decomposerENS1_16block_id_wrapperIjLb1EEEEE10hipError_tT1_PNSt15iterator_traitsISG_E10value_typeET2_T3_PNSH_ISM_E10value_typeET4_T5_PSR_SS_PNS1_23onesweep_lookback_stateEbbT6_jjT7_P12ihipStream_tbENKUlT_T0_SG_SL_E_clIPiSA_PsSB_EEDaSZ_S10_SG_SL_EUlSZ_E_NS1_11comp_targetILNS1_3genE6ELNS1_11target_archE950ELNS1_3gpuE13ELNS1_3repE0EEENS1_47radix_sort_onesweep_sort_config_static_selectorELNS0_4arch9wavefront6targetE1EEEvSG_.numbered_sgpr, 59
	.set _ZN7rocprim17ROCPRIM_400000_NS6detail17trampoline_kernelINS0_14default_configENS1_35radix_sort_onesweep_config_selectorIisEEZZNS1_29radix_sort_onesweep_iterationIS3_Lb0EN6thrust23THRUST_200600_302600_NS10device_ptrIiEESA_NS9_IsEESB_jNS0_19identity_decomposerENS1_16block_id_wrapperIjLb1EEEEE10hipError_tT1_PNSt15iterator_traitsISG_E10value_typeET2_T3_PNSH_ISM_E10value_typeET4_T5_PSR_SS_PNS1_23onesweep_lookback_stateEbbT6_jjT7_P12ihipStream_tbENKUlT_T0_SG_SL_E_clIPiSA_PsSB_EEDaSZ_S10_SG_SL_EUlSZ_E_NS1_11comp_targetILNS1_3genE6ELNS1_11target_archE950ELNS1_3gpuE13ELNS1_3repE0EEENS1_47radix_sort_onesweep_sort_config_static_selectorELNS0_4arch9wavefront6targetE1EEEvSG_.num_named_barrier, 0
	.set _ZN7rocprim17ROCPRIM_400000_NS6detail17trampoline_kernelINS0_14default_configENS1_35radix_sort_onesweep_config_selectorIisEEZZNS1_29radix_sort_onesweep_iterationIS3_Lb0EN6thrust23THRUST_200600_302600_NS10device_ptrIiEESA_NS9_IsEESB_jNS0_19identity_decomposerENS1_16block_id_wrapperIjLb1EEEEE10hipError_tT1_PNSt15iterator_traitsISG_E10value_typeET2_T3_PNSH_ISM_E10value_typeET4_T5_PSR_SS_PNS1_23onesweep_lookback_stateEbbT6_jjT7_P12ihipStream_tbENKUlT_T0_SG_SL_E_clIPiSA_PsSB_EEDaSZ_S10_SG_SL_EUlSZ_E_NS1_11comp_targetILNS1_3genE6ELNS1_11target_archE950ELNS1_3gpuE13ELNS1_3repE0EEENS1_47radix_sort_onesweep_sort_config_static_selectorELNS0_4arch9wavefront6targetE1EEEvSG_.private_seg_size, 48
	.set _ZN7rocprim17ROCPRIM_400000_NS6detail17trampoline_kernelINS0_14default_configENS1_35radix_sort_onesweep_config_selectorIisEEZZNS1_29radix_sort_onesweep_iterationIS3_Lb0EN6thrust23THRUST_200600_302600_NS10device_ptrIiEESA_NS9_IsEESB_jNS0_19identity_decomposerENS1_16block_id_wrapperIjLb1EEEEE10hipError_tT1_PNSt15iterator_traitsISG_E10value_typeET2_T3_PNSH_ISM_E10value_typeET4_T5_PSR_SS_PNS1_23onesweep_lookback_stateEbbT6_jjT7_P12ihipStream_tbENKUlT_T0_SG_SL_E_clIPiSA_PsSB_EEDaSZ_S10_SG_SL_EUlSZ_E_NS1_11comp_targetILNS1_3genE6ELNS1_11target_archE950ELNS1_3gpuE13ELNS1_3repE0EEENS1_47radix_sort_onesweep_sort_config_static_selectorELNS0_4arch9wavefront6targetE1EEEvSG_.uses_vcc, 1
	.set _ZN7rocprim17ROCPRIM_400000_NS6detail17trampoline_kernelINS0_14default_configENS1_35radix_sort_onesweep_config_selectorIisEEZZNS1_29radix_sort_onesweep_iterationIS3_Lb0EN6thrust23THRUST_200600_302600_NS10device_ptrIiEESA_NS9_IsEESB_jNS0_19identity_decomposerENS1_16block_id_wrapperIjLb1EEEEE10hipError_tT1_PNSt15iterator_traitsISG_E10value_typeET2_T3_PNSH_ISM_E10value_typeET4_T5_PSR_SS_PNS1_23onesweep_lookback_stateEbbT6_jjT7_P12ihipStream_tbENKUlT_T0_SG_SL_E_clIPiSA_PsSB_EEDaSZ_S10_SG_SL_EUlSZ_E_NS1_11comp_targetILNS1_3genE6ELNS1_11target_archE950ELNS1_3gpuE13ELNS1_3repE0EEENS1_47radix_sort_onesweep_sort_config_static_selectorELNS0_4arch9wavefront6targetE1EEEvSG_.uses_flat_scratch, 0
	.set _ZN7rocprim17ROCPRIM_400000_NS6detail17trampoline_kernelINS0_14default_configENS1_35radix_sort_onesweep_config_selectorIisEEZZNS1_29radix_sort_onesweep_iterationIS3_Lb0EN6thrust23THRUST_200600_302600_NS10device_ptrIiEESA_NS9_IsEESB_jNS0_19identity_decomposerENS1_16block_id_wrapperIjLb1EEEEE10hipError_tT1_PNSt15iterator_traitsISG_E10value_typeET2_T3_PNSH_ISM_E10value_typeET4_T5_PSR_SS_PNS1_23onesweep_lookback_stateEbbT6_jjT7_P12ihipStream_tbENKUlT_T0_SG_SL_E_clIPiSA_PsSB_EEDaSZ_S10_SG_SL_EUlSZ_E_NS1_11comp_targetILNS1_3genE6ELNS1_11target_archE950ELNS1_3gpuE13ELNS1_3repE0EEENS1_47radix_sort_onesweep_sort_config_static_selectorELNS0_4arch9wavefront6targetE1EEEvSG_.has_dyn_sized_stack, 0
	.set _ZN7rocprim17ROCPRIM_400000_NS6detail17trampoline_kernelINS0_14default_configENS1_35radix_sort_onesweep_config_selectorIisEEZZNS1_29radix_sort_onesweep_iterationIS3_Lb0EN6thrust23THRUST_200600_302600_NS10device_ptrIiEESA_NS9_IsEESB_jNS0_19identity_decomposerENS1_16block_id_wrapperIjLb1EEEEE10hipError_tT1_PNSt15iterator_traitsISG_E10value_typeET2_T3_PNSH_ISM_E10value_typeET4_T5_PSR_SS_PNS1_23onesweep_lookback_stateEbbT6_jjT7_P12ihipStream_tbENKUlT_T0_SG_SL_E_clIPiSA_PsSB_EEDaSZ_S10_SG_SL_EUlSZ_E_NS1_11comp_targetILNS1_3genE6ELNS1_11target_archE950ELNS1_3gpuE13ELNS1_3repE0EEENS1_47radix_sort_onesweep_sort_config_static_selectorELNS0_4arch9wavefront6targetE1EEEvSG_.has_recursion, 0
	.set _ZN7rocprim17ROCPRIM_400000_NS6detail17trampoline_kernelINS0_14default_configENS1_35radix_sort_onesweep_config_selectorIisEEZZNS1_29radix_sort_onesweep_iterationIS3_Lb0EN6thrust23THRUST_200600_302600_NS10device_ptrIiEESA_NS9_IsEESB_jNS0_19identity_decomposerENS1_16block_id_wrapperIjLb1EEEEE10hipError_tT1_PNSt15iterator_traitsISG_E10value_typeET2_T3_PNSH_ISM_E10value_typeET4_T5_PSR_SS_PNS1_23onesweep_lookback_stateEbbT6_jjT7_P12ihipStream_tbENKUlT_T0_SG_SL_E_clIPiSA_PsSB_EEDaSZ_S10_SG_SL_EUlSZ_E_NS1_11comp_targetILNS1_3genE6ELNS1_11target_archE950ELNS1_3gpuE13ELNS1_3repE0EEENS1_47radix_sort_onesweep_sort_config_static_selectorELNS0_4arch9wavefront6targetE1EEEvSG_.has_indirect_call, 0
	.section	.AMDGPU.csdata,"",@progbits
; Kernel info:
; codeLenInByte = 13840
; TotalNumSgprs: 65
; NumVgprs: 53
; NumAgprs: 0
; TotalNumVgprs: 53
; ScratchSize: 48
; MemoryBound: 0
; FloatMode: 240
; IeeeMode: 1
; LDSByteSize: 53328 bytes/workgroup (compile time only)
; SGPRBlocks: 8
; VGPRBlocks: 6
; NumSGPRsForWavesPerEU: 65
; NumVGPRsForWavesPerEU: 53
; AccumOffset: 56
; Occupancy: 8
; WaveLimiterHint : 1
; COMPUTE_PGM_RSRC2:SCRATCH_EN: 1
; COMPUTE_PGM_RSRC2:USER_SGPR: 4
; COMPUTE_PGM_RSRC2:TRAP_HANDLER: 0
; COMPUTE_PGM_RSRC2:TGID_X_EN: 1
; COMPUTE_PGM_RSRC2:TGID_Y_EN: 0
; COMPUTE_PGM_RSRC2:TGID_Z_EN: 0
; COMPUTE_PGM_RSRC2:TIDIG_COMP_CNT: 2
; COMPUTE_PGM_RSRC3_GFX90A:ACCUM_OFFSET: 13
; COMPUTE_PGM_RSRC3_GFX90A:TG_SPLIT: 0
	.section	.text._ZN7rocprim17ROCPRIM_400000_NS6detail17trampoline_kernelINS0_14default_configENS1_35radix_sort_onesweep_config_selectorIisEEZZNS1_29radix_sort_onesweep_iterationIS3_Lb0EN6thrust23THRUST_200600_302600_NS10device_ptrIiEESA_NS9_IsEESB_jNS0_19identity_decomposerENS1_16block_id_wrapperIjLb1EEEEE10hipError_tT1_PNSt15iterator_traitsISG_E10value_typeET2_T3_PNSH_ISM_E10value_typeET4_T5_PSR_SS_PNS1_23onesweep_lookback_stateEbbT6_jjT7_P12ihipStream_tbENKUlT_T0_SG_SL_E_clIPiSA_PsSB_EEDaSZ_S10_SG_SL_EUlSZ_E_NS1_11comp_targetILNS1_3genE5ELNS1_11target_archE942ELNS1_3gpuE9ELNS1_3repE0EEENS1_47radix_sort_onesweep_sort_config_static_selectorELNS0_4arch9wavefront6targetE1EEEvSG_,"axG",@progbits,_ZN7rocprim17ROCPRIM_400000_NS6detail17trampoline_kernelINS0_14default_configENS1_35radix_sort_onesweep_config_selectorIisEEZZNS1_29radix_sort_onesweep_iterationIS3_Lb0EN6thrust23THRUST_200600_302600_NS10device_ptrIiEESA_NS9_IsEESB_jNS0_19identity_decomposerENS1_16block_id_wrapperIjLb1EEEEE10hipError_tT1_PNSt15iterator_traitsISG_E10value_typeET2_T3_PNSH_ISM_E10value_typeET4_T5_PSR_SS_PNS1_23onesweep_lookback_stateEbbT6_jjT7_P12ihipStream_tbENKUlT_T0_SG_SL_E_clIPiSA_PsSB_EEDaSZ_S10_SG_SL_EUlSZ_E_NS1_11comp_targetILNS1_3genE5ELNS1_11target_archE942ELNS1_3gpuE9ELNS1_3repE0EEENS1_47radix_sort_onesweep_sort_config_static_selectorELNS0_4arch9wavefront6targetE1EEEvSG_,comdat
	.protected	_ZN7rocprim17ROCPRIM_400000_NS6detail17trampoline_kernelINS0_14default_configENS1_35radix_sort_onesweep_config_selectorIisEEZZNS1_29radix_sort_onesweep_iterationIS3_Lb0EN6thrust23THRUST_200600_302600_NS10device_ptrIiEESA_NS9_IsEESB_jNS0_19identity_decomposerENS1_16block_id_wrapperIjLb1EEEEE10hipError_tT1_PNSt15iterator_traitsISG_E10value_typeET2_T3_PNSH_ISM_E10value_typeET4_T5_PSR_SS_PNS1_23onesweep_lookback_stateEbbT6_jjT7_P12ihipStream_tbENKUlT_T0_SG_SL_E_clIPiSA_PsSB_EEDaSZ_S10_SG_SL_EUlSZ_E_NS1_11comp_targetILNS1_3genE5ELNS1_11target_archE942ELNS1_3gpuE9ELNS1_3repE0EEENS1_47radix_sort_onesweep_sort_config_static_selectorELNS0_4arch9wavefront6targetE1EEEvSG_ ; -- Begin function _ZN7rocprim17ROCPRIM_400000_NS6detail17trampoline_kernelINS0_14default_configENS1_35radix_sort_onesweep_config_selectorIisEEZZNS1_29radix_sort_onesweep_iterationIS3_Lb0EN6thrust23THRUST_200600_302600_NS10device_ptrIiEESA_NS9_IsEESB_jNS0_19identity_decomposerENS1_16block_id_wrapperIjLb1EEEEE10hipError_tT1_PNSt15iterator_traitsISG_E10value_typeET2_T3_PNSH_ISM_E10value_typeET4_T5_PSR_SS_PNS1_23onesweep_lookback_stateEbbT6_jjT7_P12ihipStream_tbENKUlT_T0_SG_SL_E_clIPiSA_PsSB_EEDaSZ_S10_SG_SL_EUlSZ_E_NS1_11comp_targetILNS1_3genE5ELNS1_11target_archE942ELNS1_3gpuE9ELNS1_3repE0EEENS1_47radix_sort_onesweep_sort_config_static_selectorELNS0_4arch9wavefront6targetE1EEEvSG_
	.globl	_ZN7rocprim17ROCPRIM_400000_NS6detail17trampoline_kernelINS0_14default_configENS1_35radix_sort_onesweep_config_selectorIisEEZZNS1_29radix_sort_onesweep_iterationIS3_Lb0EN6thrust23THRUST_200600_302600_NS10device_ptrIiEESA_NS9_IsEESB_jNS0_19identity_decomposerENS1_16block_id_wrapperIjLb1EEEEE10hipError_tT1_PNSt15iterator_traitsISG_E10value_typeET2_T3_PNSH_ISM_E10value_typeET4_T5_PSR_SS_PNS1_23onesweep_lookback_stateEbbT6_jjT7_P12ihipStream_tbENKUlT_T0_SG_SL_E_clIPiSA_PsSB_EEDaSZ_S10_SG_SL_EUlSZ_E_NS1_11comp_targetILNS1_3genE5ELNS1_11target_archE942ELNS1_3gpuE9ELNS1_3repE0EEENS1_47radix_sort_onesweep_sort_config_static_selectorELNS0_4arch9wavefront6targetE1EEEvSG_
	.p2align	8
	.type	_ZN7rocprim17ROCPRIM_400000_NS6detail17trampoline_kernelINS0_14default_configENS1_35radix_sort_onesweep_config_selectorIisEEZZNS1_29radix_sort_onesweep_iterationIS3_Lb0EN6thrust23THRUST_200600_302600_NS10device_ptrIiEESA_NS9_IsEESB_jNS0_19identity_decomposerENS1_16block_id_wrapperIjLb1EEEEE10hipError_tT1_PNSt15iterator_traitsISG_E10value_typeET2_T3_PNSH_ISM_E10value_typeET4_T5_PSR_SS_PNS1_23onesweep_lookback_stateEbbT6_jjT7_P12ihipStream_tbENKUlT_T0_SG_SL_E_clIPiSA_PsSB_EEDaSZ_S10_SG_SL_EUlSZ_E_NS1_11comp_targetILNS1_3genE5ELNS1_11target_archE942ELNS1_3gpuE9ELNS1_3repE0EEENS1_47radix_sort_onesweep_sort_config_static_selectorELNS0_4arch9wavefront6targetE1EEEvSG_,@function
_ZN7rocprim17ROCPRIM_400000_NS6detail17trampoline_kernelINS0_14default_configENS1_35radix_sort_onesweep_config_selectorIisEEZZNS1_29radix_sort_onesweep_iterationIS3_Lb0EN6thrust23THRUST_200600_302600_NS10device_ptrIiEESA_NS9_IsEESB_jNS0_19identity_decomposerENS1_16block_id_wrapperIjLb1EEEEE10hipError_tT1_PNSt15iterator_traitsISG_E10value_typeET2_T3_PNSH_ISM_E10value_typeET4_T5_PSR_SS_PNS1_23onesweep_lookback_stateEbbT6_jjT7_P12ihipStream_tbENKUlT_T0_SG_SL_E_clIPiSA_PsSB_EEDaSZ_S10_SG_SL_EUlSZ_E_NS1_11comp_targetILNS1_3genE5ELNS1_11target_archE942ELNS1_3gpuE9ELNS1_3repE0EEENS1_47radix_sort_onesweep_sort_config_static_selectorELNS0_4arch9wavefront6targetE1EEEvSG_: ; @_ZN7rocprim17ROCPRIM_400000_NS6detail17trampoline_kernelINS0_14default_configENS1_35radix_sort_onesweep_config_selectorIisEEZZNS1_29radix_sort_onesweep_iterationIS3_Lb0EN6thrust23THRUST_200600_302600_NS10device_ptrIiEESA_NS9_IsEESB_jNS0_19identity_decomposerENS1_16block_id_wrapperIjLb1EEEEE10hipError_tT1_PNSt15iterator_traitsISG_E10value_typeET2_T3_PNSH_ISM_E10value_typeET4_T5_PSR_SS_PNS1_23onesweep_lookback_stateEbbT6_jjT7_P12ihipStream_tbENKUlT_T0_SG_SL_E_clIPiSA_PsSB_EEDaSZ_S10_SG_SL_EUlSZ_E_NS1_11comp_targetILNS1_3genE5ELNS1_11target_archE942ELNS1_3gpuE9ELNS1_3repE0EEENS1_47radix_sort_onesweep_sort_config_static_selectorELNS0_4arch9wavefront6targetE1EEEvSG_
; %bb.0:
	.section	.rodata,"a",@progbits
	.p2align	6, 0x0
	.amdhsa_kernel _ZN7rocprim17ROCPRIM_400000_NS6detail17trampoline_kernelINS0_14default_configENS1_35radix_sort_onesweep_config_selectorIisEEZZNS1_29radix_sort_onesweep_iterationIS3_Lb0EN6thrust23THRUST_200600_302600_NS10device_ptrIiEESA_NS9_IsEESB_jNS0_19identity_decomposerENS1_16block_id_wrapperIjLb1EEEEE10hipError_tT1_PNSt15iterator_traitsISG_E10value_typeET2_T3_PNSH_ISM_E10value_typeET4_T5_PSR_SS_PNS1_23onesweep_lookback_stateEbbT6_jjT7_P12ihipStream_tbENKUlT_T0_SG_SL_E_clIPiSA_PsSB_EEDaSZ_S10_SG_SL_EUlSZ_E_NS1_11comp_targetILNS1_3genE5ELNS1_11target_archE942ELNS1_3gpuE9ELNS1_3repE0EEENS1_47radix_sort_onesweep_sort_config_static_selectorELNS0_4arch9wavefront6targetE1EEEvSG_
		.amdhsa_group_segment_fixed_size 0
		.amdhsa_private_segment_fixed_size 0
		.amdhsa_kernarg_size 88
		.amdhsa_user_sgpr_count 2
		.amdhsa_user_sgpr_dispatch_ptr 0
		.amdhsa_user_sgpr_queue_ptr 0
		.amdhsa_user_sgpr_kernarg_segment_ptr 1
		.amdhsa_user_sgpr_dispatch_id 0
		.amdhsa_user_sgpr_kernarg_preload_length 0
		.amdhsa_user_sgpr_kernarg_preload_offset 0
		.amdhsa_user_sgpr_private_segment_size 0
		.amdhsa_uses_dynamic_stack 0
		.amdhsa_enable_private_segment 0
		.amdhsa_system_sgpr_workgroup_id_x 1
		.amdhsa_system_sgpr_workgroup_id_y 0
		.amdhsa_system_sgpr_workgroup_id_z 0
		.amdhsa_system_sgpr_workgroup_info 0
		.amdhsa_system_vgpr_workitem_id 0
		.amdhsa_next_free_vgpr 1
		.amdhsa_next_free_sgpr 0
		.amdhsa_accum_offset 4
		.amdhsa_reserve_vcc 0
		.amdhsa_float_round_mode_32 0
		.amdhsa_float_round_mode_16_64 0
		.amdhsa_float_denorm_mode_32 3
		.amdhsa_float_denorm_mode_16_64 3
		.amdhsa_dx10_clamp 1
		.amdhsa_ieee_mode 1
		.amdhsa_fp16_overflow 0
		.amdhsa_tg_split 0
		.amdhsa_exception_fp_ieee_invalid_op 0
		.amdhsa_exception_fp_denorm_src 0
		.amdhsa_exception_fp_ieee_div_zero 0
		.amdhsa_exception_fp_ieee_overflow 0
		.amdhsa_exception_fp_ieee_underflow 0
		.amdhsa_exception_fp_ieee_inexact 0
		.amdhsa_exception_int_div_zero 0
	.end_amdhsa_kernel
	.section	.text._ZN7rocprim17ROCPRIM_400000_NS6detail17trampoline_kernelINS0_14default_configENS1_35radix_sort_onesweep_config_selectorIisEEZZNS1_29radix_sort_onesweep_iterationIS3_Lb0EN6thrust23THRUST_200600_302600_NS10device_ptrIiEESA_NS9_IsEESB_jNS0_19identity_decomposerENS1_16block_id_wrapperIjLb1EEEEE10hipError_tT1_PNSt15iterator_traitsISG_E10value_typeET2_T3_PNSH_ISM_E10value_typeET4_T5_PSR_SS_PNS1_23onesweep_lookback_stateEbbT6_jjT7_P12ihipStream_tbENKUlT_T0_SG_SL_E_clIPiSA_PsSB_EEDaSZ_S10_SG_SL_EUlSZ_E_NS1_11comp_targetILNS1_3genE5ELNS1_11target_archE942ELNS1_3gpuE9ELNS1_3repE0EEENS1_47radix_sort_onesweep_sort_config_static_selectorELNS0_4arch9wavefront6targetE1EEEvSG_,"axG",@progbits,_ZN7rocprim17ROCPRIM_400000_NS6detail17trampoline_kernelINS0_14default_configENS1_35radix_sort_onesweep_config_selectorIisEEZZNS1_29radix_sort_onesweep_iterationIS3_Lb0EN6thrust23THRUST_200600_302600_NS10device_ptrIiEESA_NS9_IsEESB_jNS0_19identity_decomposerENS1_16block_id_wrapperIjLb1EEEEE10hipError_tT1_PNSt15iterator_traitsISG_E10value_typeET2_T3_PNSH_ISM_E10value_typeET4_T5_PSR_SS_PNS1_23onesweep_lookback_stateEbbT6_jjT7_P12ihipStream_tbENKUlT_T0_SG_SL_E_clIPiSA_PsSB_EEDaSZ_S10_SG_SL_EUlSZ_E_NS1_11comp_targetILNS1_3genE5ELNS1_11target_archE942ELNS1_3gpuE9ELNS1_3repE0EEENS1_47radix_sort_onesweep_sort_config_static_selectorELNS0_4arch9wavefront6targetE1EEEvSG_,comdat
.Lfunc_end2460:
	.size	_ZN7rocprim17ROCPRIM_400000_NS6detail17trampoline_kernelINS0_14default_configENS1_35radix_sort_onesweep_config_selectorIisEEZZNS1_29radix_sort_onesweep_iterationIS3_Lb0EN6thrust23THRUST_200600_302600_NS10device_ptrIiEESA_NS9_IsEESB_jNS0_19identity_decomposerENS1_16block_id_wrapperIjLb1EEEEE10hipError_tT1_PNSt15iterator_traitsISG_E10value_typeET2_T3_PNSH_ISM_E10value_typeET4_T5_PSR_SS_PNS1_23onesweep_lookback_stateEbbT6_jjT7_P12ihipStream_tbENKUlT_T0_SG_SL_E_clIPiSA_PsSB_EEDaSZ_S10_SG_SL_EUlSZ_E_NS1_11comp_targetILNS1_3genE5ELNS1_11target_archE942ELNS1_3gpuE9ELNS1_3repE0EEENS1_47radix_sort_onesweep_sort_config_static_selectorELNS0_4arch9wavefront6targetE1EEEvSG_, .Lfunc_end2460-_ZN7rocprim17ROCPRIM_400000_NS6detail17trampoline_kernelINS0_14default_configENS1_35radix_sort_onesweep_config_selectorIisEEZZNS1_29radix_sort_onesweep_iterationIS3_Lb0EN6thrust23THRUST_200600_302600_NS10device_ptrIiEESA_NS9_IsEESB_jNS0_19identity_decomposerENS1_16block_id_wrapperIjLb1EEEEE10hipError_tT1_PNSt15iterator_traitsISG_E10value_typeET2_T3_PNSH_ISM_E10value_typeET4_T5_PSR_SS_PNS1_23onesweep_lookback_stateEbbT6_jjT7_P12ihipStream_tbENKUlT_T0_SG_SL_E_clIPiSA_PsSB_EEDaSZ_S10_SG_SL_EUlSZ_E_NS1_11comp_targetILNS1_3genE5ELNS1_11target_archE942ELNS1_3gpuE9ELNS1_3repE0EEENS1_47radix_sort_onesweep_sort_config_static_selectorELNS0_4arch9wavefront6targetE1EEEvSG_
                                        ; -- End function
	.set _ZN7rocprim17ROCPRIM_400000_NS6detail17trampoline_kernelINS0_14default_configENS1_35radix_sort_onesweep_config_selectorIisEEZZNS1_29radix_sort_onesweep_iterationIS3_Lb0EN6thrust23THRUST_200600_302600_NS10device_ptrIiEESA_NS9_IsEESB_jNS0_19identity_decomposerENS1_16block_id_wrapperIjLb1EEEEE10hipError_tT1_PNSt15iterator_traitsISG_E10value_typeET2_T3_PNSH_ISM_E10value_typeET4_T5_PSR_SS_PNS1_23onesweep_lookback_stateEbbT6_jjT7_P12ihipStream_tbENKUlT_T0_SG_SL_E_clIPiSA_PsSB_EEDaSZ_S10_SG_SL_EUlSZ_E_NS1_11comp_targetILNS1_3genE5ELNS1_11target_archE942ELNS1_3gpuE9ELNS1_3repE0EEENS1_47radix_sort_onesweep_sort_config_static_selectorELNS0_4arch9wavefront6targetE1EEEvSG_.num_vgpr, 0
	.set _ZN7rocprim17ROCPRIM_400000_NS6detail17trampoline_kernelINS0_14default_configENS1_35radix_sort_onesweep_config_selectorIisEEZZNS1_29radix_sort_onesweep_iterationIS3_Lb0EN6thrust23THRUST_200600_302600_NS10device_ptrIiEESA_NS9_IsEESB_jNS0_19identity_decomposerENS1_16block_id_wrapperIjLb1EEEEE10hipError_tT1_PNSt15iterator_traitsISG_E10value_typeET2_T3_PNSH_ISM_E10value_typeET4_T5_PSR_SS_PNS1_23onesweep_lookback_stateEbbT6_jjT7_P12ihipStream_tbENKUlT_T0_SG_SL_E_clIPiSA_PsSB_EEDaSZ_S10_SG_SL_EUlSZ_E_NS1_11comp_targetILNS1_3genE5ELNS1_11target_archE942ELNS1_3gpuE9ELNS1_3repE0EEENS1_47radix_sort_onesweep_sort_config_static_selectorELNS0_4arch9wavefront6targetE1EEEvSG_.num_agpr, 0
	.set _ZN7rocprim17ROCPRIM_400000_NS6detail17trampoline_kernelINS0_14default_configENS1_35radix_sort_onesweep_config_selectorIisEEZZNS1_29radix_sort_onesweep_iterationIS3_Lb0EN6thrust23THRUST_200600_302600_NS10device_ptrIiEESA_NS9_IsEESB_jNS0_19identity_decomposerENS1_16block_id_wrapperIjLb1EEEEE10hipError_tT1_PNSt15iterator_traitsISG_E10value_typeET2_T3_PNSH_ISM_E10value_typeET4_T5_PSR_SS_PNS1_23onesweep_lookback_stateEbbT6_jjT7_P12ihipStream_tbENKUlT_T0_SG_SL_E_clIPiSA_PsSB_EEDaSZ_S10_SG_SL_EUlSZ_E_NS1_11comp_targetILNS1_3genE5ELNS1_11target_archE942ELNS1_3gpuE9ELNS1_3repE0EEENS1_47radix_sort_onesweep_sort_config_static_selectorELNS0_4arch9wavefront6targetE1EEEvSG_.numbered_sgpr, 0
	.set _ZN7rocprim17ROCPRIM_400000_NS6detail17trampoline_kernelINS0_14default_configENS1_35radix_sort_onesweep_config_selectorIisEEZZNS1_29radix_sort_onesweep_iterationIS3_Lb0EN6thrust23THRUST_200600_302600_NS10device_ptrIiEESA_NS9_IsEESB_jNS0_19identity_decomposerENS1_16block_id_wrapperIjLb1EEEEE10hipError_tT1_PNSt15iterator_traitsISG_E10value_typeET2_T3_PNSH_ISM_E10value_typeET4_T5_PSR_SS_PNS1_23onesweep_lookback_stateEbbT6_jjT7_P12ihipStream_tbENKUlT_T0_SG_SL_E_clIPiSA_PsSB_EEDaSZ_S10_SG_SL_EUlSZ_E_NS1_11comp_targetILNS1_3genE5ELNS1_11target_archE942ELNS1_3gpuE9ELNS1_3repE0EEENS1_47radix_sort_onesweep_sort_config_static_selectorELNS0_4arch9wavefront6targetE1EEEvSG_.num_named_barrier, 0
	.set _ZN7rocprim17ROCPRIM_400000_NS6detail17trampoline_kernelINS0_14default_configENS1_35radix_sort_onesweep_config_selectorIisEEZZNS1_29radix_sort_onesweep_iterationIS3_Lb0EN6thrust23THRUST_200600_302600_NS10device_ptrIiEESA_NS9_IsEESB_jNS0_19identity_decomposerENS1_16block_id_wrapperIjLb1EEEEE10hipError_tT1_PNSt15iterator_traitsISG_E10value_typeET2_T3_PNSH_ISM_E10value_typeET4_T5_PSR_SS_PNS1_23onesweep_lookback_stateEbbT6_jjT7_P12ihipStream_tbENKUlT_T0_SG_SL_E_clIPiSA_PsSB_EEDaSZ_S10_SG_SL_EUlSZ_E_NS1_11comp_targetILNS1_3genE5ELNS1_11target_archE942ELNS1_3gpuE9ELNS1_3repE0EEENS1_47radix_sort_onesweep_sort_config_static_selectorELNS0_4arch9wavefront6targetE1EEEvSG_.private_seg_size, 0
	.set _ZN7rocprim17ROCPRIM_400000_NS6detail17trampoline_kernelINS0_14default_configENS1_35radix_sort_onesweep_config_selectorIisEEZZNS1_29radix_sort_onesweep_iterationIS3_Lb0EN6thrust23THRUST_200600_302600_NS10device_ptrIiEESA_NS9_IsEESB_jNS0_19identity_decomposerENS1_16block_id_wrapperIjLb1EEEEE10hipError_tT1_PNSt15iterator_traitsISG_E10value_typeET2_T3_PNSH_ISM_E10value_typeET4_T5_PSR_SS_PNS1_23onesweep_lookback_stateEbbT6_jjT7_P12ihipStream_tbENKUlT_T0_SG_SL_E_clIPiSA_PsSB_EEDaSZ_S10_SG_SL_EUlSZ_E_NS1_11comp_targetILNS1_3genE5ELNS1_11target_archE942ELNS1_3gpuE9ELNS1_3repE0EEENS1_47radix_sort_onesweep_sort_config_static_selectorELNS0_4arch9wavefront6targetE1EEEvSG_.uses_vcc, 0
	.set _ZN7rocprim17ROCPRIM_400000_NS6detail17trampoline_kernelINS0_14default_configENS1_35radix_sort_onesweep_config_selectorIisEEZZNS1_29radix_sort_onesweep_iterationIS3_Lb0EN6thrust23THRUST_200600_302600_NS10device_ptrIiEESA_NS9_IsEESB_jNS0_19identity_decomposerENS1_16block_id_wrapperIjLb1EEEEE10hipError_tT1_PNSt15iterator_traitsISG_E10value_typeET2_T3_PNSH_ISM_E10value_typeET4_T5_PSR_SS_PNS1_23onesweep_lookback_stateEbbT6_jjT7_P12ihipStream_tbENKUlT_T0_SG_SL_E_clIPiSA_PsSB_EEDaSZ_S10_SG_SL_EUlSZ_E_NS1_11comp_targetILNS1_3genE5ELNS1_11target_archE942ELNS1_3gpuE9ELNS1_3repE0EEENS1_47radix_sort_onesweep_sort_config_static_selectorELNS0_4arch9wavefront6targetE1EEEvSG_.uses_flat_scratch, 0
	.set _ZN7rocprim17ROCPRIM_400000_NS6detail17trampoline_kernelINS0_14default_configENS1_35radix_sort_onesweep_config_selectorIisEEZZNS1_29radix_sort_onesweep_iterationIS3_Lb0EN6thrust23THRUST_200600_302600_NS10device_ptrIiEESA_NS9_IsEESB_jNS0_19identity_decomposerENS1_16block_id_wrapperIjLb1EEEEE10hipError_tT1_PNSt15iterator_traitsISG_E10value_typeET2_T3_PNSH_ISM_E10value_typeET4_T5_PSR_SS_PNS1_23onesweep_lookback_stateEbbT6_jjT7_P12ihipStream_tbENKUlT_T0_SG_SL_E_clIPiSA_PsSB_EEDaSZ_S10_SG_SL_EUlSZ_E_NS1_11comp_targetILNS1_3genE5ELNS1_11target_archE942ELNS1_3gpuE9ELNS1_3repE0EEENS1_47radix_sort_onesweep_sort_config_static_selectorELNS0_4arch9wavefront6targetE1EEEvSG_.has_dyn_sized_stack, 0
	.set _ZN7rocprim17ROCPRIM_400000_NS6detail17trampoline_kernelINS0_14default_configENS1_35radix_sort_onesweep_config_selectorIisEEZZNS1_29radix_sort_onesweep_iterationIS3_Lb0EN6thrust23THRUST_200600_302600_NS10device_ptrIiEESA_NS9_IsEESB_jNS0_19identity_decomposerENS1_16block_id_wrapperIjLb1EEEEE10hipError_tT1_PNSt15iterator_traitsISG_E10value_typeET2_T3_PNSH_ISM_E10value_typeET4_T5_PSR_SS_PNS1_23onesweep_lookback_stateEbbT6_jjT7_P12ihipStream_tbENKUlT_T0_SG_SL_E_clIPiSA_PsSB_EEDaSZ_S10_SG_SL_EUlSZ_E_NS1_11comp_targetILNS1_3genE5ELNS1_11target_archE942ELNS1_3gpuE9ELNS1_3repE0EEENS1_47radix_sort_onesweep_sort_config_static_selectorELNS0_4arch9wavefront6targetE1EEEvSG_.has_recursion, 0
	.set _ZN7rocprim17ROCPRIM_400000_NS6detail17trampoline_kernelINS0_14default_configENS1_35radix_sort_onesweep_config_selectorIisEEZZNS1_29radix_sort_onesweep_iterationIS3_Lb0EN6thrust23THRUST_200600_302600_NS10device_ptrIiEESA_NS9_IsEESB_jNS0_19identity_decomposerENS1_16block_id_wrapperIjLb1EEEEE10hipError_tT1_PNSt15iterator_traitsISG_E10value_typeET2_T3_PNSH_ISM_E10value_typeET4_T5_PSR_SS_PNS1_23onesweep_lookback_stateEbbT6_jjT7_P12ihipStream_tbENKUlT_T0_SG_SL_E_clIPiSA_PsSB_EEDaSZ_S10_SG_SL_EUlSZ_E_NS1_11comp_targetILNS1_3genE5ELNS1_11target_archE942ELNS1_3gpuE9ELNS1_3repE0EEENS1_47radix_sort_onesweep_sort_config_static_selectorELNS0_4arch9wavefront6targetE1EEEvSG_.has_indirect_call, 0
	.section	.AMDGPU.csdata,"",@progbits
; Kernel info:
; codeLenInByte = 0
; TotalNumSgprs: 6
; NumVgprs: 0
; NumAgprs: 0
; TotalNumVgprs: 0
; ScratchSize: 0
; MemoryBound: 0
; FloatMode: 240
; IeeeMode: 1
; LDSByteSize: 0 bytes/workgroup (compile time only)
; SGPRBlocks: 0
; VGPRBlocks: 0
; NumSGPRsForWavesPerEU: 6
; NumVGPRsForWavesPerEU: 1
; AccumOffset: 4
; Occupancy: 8
; WaveLimiterHint : 0
; COMPUTE_PGM_RSRC2:SCRATCH_EN: 0
; COMPUTE_PGM_RSRC2:USER_SGPR: 2
; COMPUTE_PGM_RSRC2:TRAP_HANDLER: 0
; COMPUTE_PGM_RSRC2:TGID_X_EN: 1
; COMPUTE_PGM_RSRC2:TGID_Y_EN: 0
; COMPUTE_PGM_RSRC2:TGID_Z_EN: 0
; COMPUTE_PGM_RSRC2:TIDIG_COMP_CNT: 0
; COMPUTE_PGM_RSRC3_GFX90A:ACCUM_OFFSET: 0
; COMPUTE_PGM_RSRC3_GFX90A:TG_SPLIT: 0
	.section	.text._ZN7rocprim17ROCPRIM_400000_NS6detail17trampoline_kernelINS0_14default_configENS1_35radix_sort_onesweep_config_selectorIisEEZZNS1_29radix_sort_onesweep_iterationIS3_Lb0EN6thrust23THRUST_200600_302600_NS10device_ptrIiEESA_NS9_IsEESB_jNS0_19identity_decomposerENS1_16block_id_wrapperIjLb1EEEEE10hipError_tT1_PNSt15iterator_traitsISG_E10value_typeET2_T3_PNSH_ISM_E10value_typeET4_T5_PSR_SS_PNS1_23onesweep_lookback_stateEbbT6_jjT7_P12ihipStream_tbENKUlT_T0_SG_SL_E_clIPiSA_PsSB_EEDaSZ_S10_SG_SL_EUlSZ_E_NS1_11comp_targetILNS1_3genE2ELNS1_11target_archE906ELNS1_3gpuE6ELNS1_3repE0EEENS1_47radix_sort_onesweep_sort_config_static_selectorELNS0_4arch9wavefront6targetE1EEEvSG_,"axG",@progbits,_ZN7rocprim17ROCPRIM_400000_NS6detail17trampoline_kernelINS0_14default_configENS1_35radix_sort_onesweep_config_selectorIisEEZZNS1_29radix_sort_onesweep_iterationIS3_Lb0EN6thrust23THRUST_200600_302600_NS10device_ptrIiEESA_NS9_IsEESB_jNS0_19identity_decomposerENS1_16block_id_wrapperIjLb1EEEEE10hipError_tT1_PNSt15iterator_traitsISG_E10value_typeET2_T3_PNSH_ISM_E10value_typeET4_T5_PSR_SS_PNS1_23onesweep_lookback_stateEbbT6_jjT7_P12ihipStream_tbENKUlT_T0_SG_SL_E_clIPiSA_PsSB_EEDaSZ_S10_SG_SL_EUlSZ_E_NS1_11comp_targetILNS1_3genE2ELNS1_11target_archE906ELNS1_3gpuE6ELNS1_3repE0EEENS1_47radix_sort_onesweep_sort_config_static_selectorELNS0_4arch9wavefront6targetE1EEEvSG_,comdat
	.protected	_ZN7rocprim17ROCPRIM_400000_NS6detail17trampoline_kernelINS0_14default_configENS1_35radix_sort_onesweep_config_selectorIisEEZZNS1_29radix_sort_onesweep_iterationIS3_Lb0EN6thrust23THRUST_200600_302600_NS10device_ptrIiEESA_NS9_IsEESB_jNS0_19identity_decomposerENS1_16block_id_wrapperIjLb1EEEEE10hipError_tT1_PNSt15iterator_traitsISG_E10value_typeET2_T3_PNSH_ISM_E10value_typeET4_T5_PSR_SS_PNS1_23onesweep_lookback_stateEbbT6_jjT7_P12ihipStream_tbENKUlT_T0_SG_SL_E_clIPiSA_PsSB_EEDaSZ_S10_SG_SL_EUlSZ_E_NS1_11comp_targetILNS1_3genE2ELNS1_11target_archE906ELNS1_3gpuE6ELNS1_3repE0EEENS1_47radix_sort_onesweep_sort_config_static_selectorELNS0_4arch9wavefront6targetE1EEEvSG_ ; -- Begin function _ZN7rocprim17ROCPRIM_400000_NS6detail17trampoline_kernelINS0_14default_configENS1_35radix_sort_onesweep_config_selectorIisEEZZNS1_29radix_sort_onesweep_iterationIS3_Lb0EN6thrust23THRUST_200600_302600_NS10device_ptrIiEESA_NS9_IsEESB_jNS0_19identity_decomposerENS1_16block_id_wrapperIjLb1EEEEE10hipError_tT1_PNSt15iterator_traitsISG_E10value_typeET2_T3_PNSH_ISM_E10value_typeET4_T5_PSR_SS_PNS1_23onesweep_lookback_stateEbbT6_jjT7_P12ihipStream_tbENKUlT_T0_SG_SL_E_clIPiSA_PsSB_EEDaSZ_S10_SG_SL_EUlSZ_E_NS1_11comp_targetILNS1_3genE2ELNS1_11target_archE906ELNS1_3gpuE6ELNS1_3repE0EEENS1_47radix_sort_onesweep_sort_config_static_selectorELNS0_4arch9wavefront6targetE1EEEvSG_
	.globl	_ZN7rocprim17ROCPRIM_400000_NS6detail17trampoline_kernelINS0_14default_configENS1_35radix_sort_onesweep_config_selectorIisEEZZNS1_29radix_sort_onesweep_iterationIS3_Lb0EN6thrust23THRUST_200600_302600_NS10device_ptrIiEESA_NS9_IsEESB_jNS0_19identity_decomposerENS1_16block_id_wrapperIjLb1EEEEE10hipError_tT1_PNSt15iterator_traitsISG_E10value_typeET2_T3_PNSH_ISM_E10value_typeET4_T5_PSR_SS_PNS1_23onesweep_lookback_stateEbbT6_jjT7_P12ihipStream_tbENKUlT_T0_SG_SL_E_clIPiSA_PsSB_EEDaSZ_S10_SG_SL_EUlSZ_E_NS1_11comp_targetILNS1_3genE2ELNS1_11target_archE906ELNS1_3gpuE6ELNS1_3repE0EEENS1_47radix_sort_onesweep_sort_config_static_selectorELNS0_4arch9wavefront6targetE1EEEvSG_
	.p2align	8
	.type	_ZN7rocprim17ROCPRIM_400000_NS6detail17trampoline_kernelINS0_14default_configENS1_35radix_sort_onesweep_config_selectorIisEEZZNS1_29radix_sort_onesweep_iterationIS3_Lb0EN6thrust23THRUST_200600_302600_NS10device_ptrIiEESA_NS9_IsEESB_jNS0_19identity_decomposerENS1_16block_id_wrapperIjLb1EEEEE10hipError_tT1_PNSt15iterator_traitsISG_E10value_typeET2_T3_PNSH_ISM_E10value_typeET4_T5_PSR_SS_PNS1_23onesweep_lookback_stateEbbT6_jjT7_P12ihipStream_tbENKUlT_T0_SG_SL_E_clIPiSA_PsSB_EEDaSZ_S10_SG_SL_EUlSZ_E_NS1_11comp_targetILNS1_3genE2ELNS1_11target_archE906ELNS1_3gpuE6ELNS1_3repE0EEENS1_47radix_sort_onesweep_sort_config_static_selectorELNS0_4arch9wavefront6targetE1EEEvSG_,@function
_ZN7rocprim17ROCPRIM_400000_NS6detail17trampoline_kernelINS0_14default_configENS1_35radix_sort_onesweep_config_selectorIisEEZZNS1_29radix_sort_onesweep_iterationIS3_Lb0EN6thrust23THRUST_200600_302600_NS10device_ptrIiEESA_NS9_IsEESB_jNS0_19identity_decomposerENS1_16block_id_wrapperIjLb1EEEEE10hipError_tT1_PNSt15iterator_traitsISG_E10value_typeET2_T3_PNSH_ISM_E10value_typeET4_T5_PSR_SS_PNS1_23onesweep_lookback_stateEbbT6_jjT7_P12ihipStream_tbENKUlT_T0_SG_SL_E_clIPiSA_PsSB_EEDaSZ_S10_SG_SL_EUlSZ_E_NS1_11comp_targetILNS1_3genE2ELNS1_11target_archE906ELNS1_3gpuE6ELNS1_3repE0EEENS1_47radix_sort_onesweep_sort_config_static_selectorELNS0_4arch9wavefront6targetE1EEEvSG_: ; @_ZN7rocprim17ROCPRIM_400000_NS6detail17trampoline_kernelINS0_14default_configENS1_35radix_sort_onesweep_config_selectorIisEEZZNS1_29radix_sort_onesweep_iterationIS3_Lb0EN6thrust23THRUST_200600_302600_NS10device_ptrIiEESA_NS9_IsEESB_jNS0_19identity_decomposerENS1_16block_id_wrapperIjLb1EEEEE10hipError_tT1_PNSt15iterator_traitsISG_E10value_typeET2_T3_PNSH_ISM_E10value_typeET4_T5_PSR_SS_PNS1_23onesweep_lookback_stateEbbT6_jjT7_P12ihipStream_tbENKUlT_T0_SG_SL_E_clIPiSA_PsSB_EEDaSZ_S10_SG_SL_EUlSZ_E_NS1_11comp_targetILNS1_3genE2ELNS1_11target_archE906ELNS1_3gpuE6ELNS1_3repE0EEENS1_47radix_sort_onesweep_sort_config_static_selectorELNS0_4arch9wavefront6targetE1EEEvSG_
; %bb.0:
	.section	.rodata,"a",@progbits
	.p2align	6, 0x0
	.amdhsa_kernel _ZN7rocprim17ROCPRIM_400000_NS6detail17trampoline_kernelINS0_14default_configENS1_35radix_sort_onesweep_config_selectorIisEEZZNS1_29radix_sort_onesweep_iterationIS3_Lb0EN6thrust23THRUST_200600_302600_NS10device_ptrIiEESA_NS9_IsEESB_jNS0_19identity_decomposerENS1_16block_id_wrapperIjLb1EEEEE10hipError_tT1_PNSt15iterator_traitsISG_E10value_typeET2_T3_PNSH_ISM_E10value_typeET4_T5_PSR_SS_PNS1_23onesweep_lookback_stateEbbT6_jjT7_P12ihipStream_tbENKUlT_T0_SG_SL_E_clIPiSA_PsSB_EEDaSZ_S10_SG_SL_EUlSZ_E_NS1_11comp_targetILNS1_3genE2ELNS1_11target_archE906ELNS1_3gpuE6ELNS1_3repE0EEENS1_47radix_sort_onesweep_sort_config_static_selectorELNS0_4arch9wavefront6targetE1EEEvSG_
		.amdhsa_group_segment_fixed_size 0
		.amdhsa_private_segment_fixed_size 0
		.amdhsa_kernarg_size 88
		.amdhsa_user_sgpr_count 2
		.amdhsa_user_sgpr_dispatch_ptr 0
		.amdhsa_user_sgpr_queue_ptr 0
		.amdhsa_user_sgpr_kernarg_segment_ptr 1
		.amdhsa_user_sgpr_dispatch_id 0
		.amdhsa_user_sgpr_kernarg_preload_length 0
		.amdhsa_user_sgpr_kernarg_preload_offset 0
		.amdhsa_user_sgpr_private_segment_size 0
		.amdhsa_uses_dynamic_stack 0
		.amdhsa_enable_private_segment 0
		.amdhsa_system_sgpr_workgroup_id_x 1
		.amdhsa_system_sgpr_workgroup_id_y 0
		.amdhsa_system_sgpr_workgroup_id_z 0
		.amdhsa_system_sgpr_workgroup_info 0
		.amdhsa_system_vgpr_workitem_id 0
		.amdhsa_next_free_vgpr 1
		.amdhsa_next_free_sgpr 0
		.amdhsa_accum_offset 4
		.amdhsa_reserve_vcc 0
		.amdhsa_float_round_mode_32 0
		.amdhsa_float_round_mode_16_64 0
		.amdhsa_float_denorm_mode_32 3
		.amdhsa_float_denorm_mode_16_64 3
		.amdhsa_dx10_clamp 1
		.amdhsa_ieee_mode 1
		.amdhsa_fp16_overflow 0
		.amdhsa_tg_split 0
		.amdhsa_exception_fp_ieee_invalid_op 0
		.amdhsa_exception_fp_denorm_src 0
		.amdhsa_exception_fp_ieee_div_zero 0
		.amdhsa_exception_fp_ieee_overflow 0
		.amdhsa_exception_fp_ieee_underflow 0
		.amdhsa_exception_fp_ieee_inexact 0
		.amdhsa_exception_int_div_zero 0
	.end_amdhsa_kernel
	.section	.text._ZN7rocprim17ROCPRIM_400000_NS6detail17trampoline_kernelINS0_14default_configENS1_35radix_sort_onesweep_config_selectorIisEEZZNS1_29radix_sort_onesweep_iterationIS3_Lb0EN6thrust23THRUST_200600_302600_NS10device_ptrIiEESA_NS9_IsEESB_jNS0_19identity_decomposerENS1_16block_id_wrapperIjLb1EEEEE10hipError_tT1_PNSt15iterator_traitsISG_E10value_typeET2_T3_PNSH_ISM_E10value_typeET4_T5_PSR_SS_PNS1_23onesweep_lookback_stateEbbT6_jjT7_P12ihipStream_tbENKUlT_T0_SG_SL_E_clIPiSA_PsSB_EEDaSZ_S10_SG_SL_EUlSZ_E_NS1_11comp_targetILNS1_3genE2ELNS1_11target_archE906ELNS1_3gpuE6ELNS1_3repE0EEENS1_47radix_sort_onesweep_sort_config_static_selectorELNS0_4arch9wavefront6targetE1EEEvSG_,"axG",@progbits,_ZN7rocprim17ROCPRIM_400000_NS6detail17trampoline_kernelINS0_14default_configENS1_35radix_sort_onesweep_config_selectorIisEEZZNS1_29radix_sort_onesweep_iterationIS3_Lb0EN6thrust23THRUST_200600_302600_NS10device_ptrIiEESA_NS9_IsEESB_jNS0_19identity_decomposerENS1_16block_id_wrapperIjLb1EEEEE10hipError_tT1_PNSt15iterator_traitsISG_E10value_typeET2_T3_PNSH_ISM_E10value_typeET4_T5_PSR_SS_PNS1_23onesweep_lookback_stateEbbT6_jjT7_P12ihipStream_tbENKUlT_T0_SG_SL_E_clIPiSA_PsSB_EEDaSZ_S10_SG_SL_EUlSZ_E_NS1_11comp_targetILNS1_3genE2ELNS1_11target_archE906ELNS1_3gpuE6ELNS1_3repE0EEENS1_47radix_sort_onesweep_sort_config_static_selectorELNS0_4arch9wavefront6targetE1EEEvSG_,comdat
.Lfunc_end2461:
	.size	_ZN7rocprim17ROCPRIM_400000_NS6detail17trampoline_kernelINS0_14default_configENS1_35radix_sort_onesweep_config_selectorIisEEZZNS1_29radix_sort_onesweep_iterationIS3_Lb0EN6thrust23THRUST_200600_302600_NS10device_ptrIiEESA_NS9_IsEESB_jNS0_19identity_decomposerENS1_16block_id_wrapperIjLb1EEEEE10hipError_tT1_PNSt15iterator_traitsISG_E10value_typeET2_T3_PNSH_ISM_E10value_typeET4_T5_PSR_SS_PNS1_23onesweep_lookback_stateEbbT6_jjT7_P12ihipStream_tbENKUlT_T0_SG_SL_E_clIPiSA_PsSB_EEDaSZ_S10_SG_SL_EUlSZ_E_NS1_11comp_targetILNS1_3genE2ELNS1_11target_archE906ELNS1_3gpuE6ELNS1_3repE0EEENS1_47radix_sort_onesweep_sort_config_static_selectorELNS0_4arch9wavefront6targetE1EEEvSG_, .Lfunc_end2461-_ZN7rocprim17ROCPRIM_400000_NS6detail17trampoline_kernelINS0_14default_configENS1_35radix_sort_onesweep_config_selectorIisEEZZNS1_29radix_sort_onesweep_iterationIS3_Lb0EN6thrust23THRUST_200600_302600_NS10device_ptrIiEESA_NS9_IsEESB_jNS0_19identity_decomposerENS1_16block_id_wrapperIjLb1EEEEE10hipError_tT1_PNSt15iterator_traitsISG_E10value_typeET2_T3_PNSH_ISM_E10value_typeET4_T5_PSR_SS_PNS1_23onesweep_lookback_stateEbbT6_jjT7_P12ihipStream_tbENKUlT_T0_SG_SL_E_clIPiSA_PsSB_EEDaSZ_S10_SG_SL_EUlSZ_E_NS1_11comp_targetILNS1_3genE2ELNS1_11target_archE906ELNS1_3gpuE6ELNS1_3repE0EEENS1_47radix_sort_onesweep_sort_config_static_selectorELNS0_4arch9wavefront6targetE1EEEvSG_
                                        ; -- End function
	.set _ZN7rocprim17ROCPRIM_400000_NS6detail17trampoline_kernelINS0_14default_configENS1_35radix_sort_onesweep_config_selectorIisEEZZNS1_29radix_sort_onesweep_iterationIS3_Lb0EN6thrust23THRUST_200600_302600_NS10device_ptrIiEESA_NS9_IsEESB_jNS0_19identity_decomposerENS1_16block_id_wrapperIjLb1EEEEE10hipError_tT1_PNSt15iterator_traitsISG_E10value_typeET2_T3_PNSH_ISM_E10value_typeET4_T5_PSR_SS_PNS1_23onesweep_lookback_stateEbbT6_jjT7_P12ihipStream_tbENKUlT_T0_SG_SL_E_clIPiSA_PsSB_EEDaSZ_S10_SG_SL_EUlSZ_E_NS1_11comp_targetILNS1_3genE2ELNS1_11target_archE906ELNS1_3gpuE6ELNS1_3repE0EEENS1_47radix_sort_onesweep_sort_config_static_selectorELNS0_4arch9wavefront6targetE1EEEvSG_.num_vgpr, 0
	.set _ZN7rocprim17ROCPRIM_400000_NS6detail17trampoline_kernelINS0_14default_configENS1_35radix_sort_onesweep_config_selectorIisEEZZNS1_29radix_sort_onesweep_iterationIS3_Lb0EN6thrust23THRUST_200600_302600_NS10device_ptrIiEESA_NS9_IsEESB_jNS0_19identity_decomposerENS1_16block_id_wrapperIjLb1EEEEE10hipError_tT1_PNSt15iterator_traitsISG_E10value_typeET2_T3_PNSH_ISM_E10value_typeET4_T5_PSR_SS_PNS1_23onesweep_lookback_stateEbbT6_jjT7_P12ihipStream_tbENKUlT_T0_SG_SL_E_clIPiSA_PsSB_EEDaSZ_S10_SG_SL_EUlSZ_E_NS1_11comp_targetILNS1_3genE2ELNS1_11target_archE906ELNS1_3gpuE6ELNS1_3repE0EEENS1_47radix_sort_onesweep_sort_config_static_selectorELNS0_4arch9wavefront6targetE1EEEvSG_.num_agpr, 0
	.set _ZN7rocprim17ROCPRIM_400000_NS6detail17trampoline_kernelINS0_14default_configENS1_35radix_sort_onesweep_config_selectorIisEEZZNS1_29radix_sort_onesweep_iterationIS3_Lb0EN6thrust23THRUST_200600_302600_NS10device_ptrIiEESA_NS9_IsEESB_jNS0_19identity_decomposerENS1_16block_id_wrapperIjLb1EEEEE10hipError_tT1_PNSt15iterator_traitsISG_E10value_typeET2_T3_PNSH_ISM_E10value_typeET4_T5_PSR_SS_PNS1_23onesweep_lookback_stateEbbT6_jjT7_P12ihipStream_tbENKUlT_T0_SG_SL_E_clIPiSA_PsSB_EEDaSZ_S10_SG_SL_EUlSZ_E_NS1_11comp_targetILNS1_3genE2ELNS1_11target_archE906ELNS1_3gpuE6ELNS1_3repE0EEENS1_47radix_sort_onesweep_sort_config_static_selectorELNS0_4arch9wavefront6targetE1EEEvSG_.numbered_sgpr, 0
	.set _ZN7rocprim17ROCPRIM_400000_NS6detail17trampoline_kernelINS0_14default_configENS1_35radix_sort_onesweep_config_selectorIisEEZZNS1_29radix_sort_onesweep_iterationIS3_Lb0EN6thrust23THRUST_200600_302600_NS10device_ptrIiEESA_NS9_IsEESB_jNS0_19identity_decomposerENS1_16block_id_wrapperIjLb1EEEEE10hipError_tT1_PNSt15iterator_traitsISG_E10value_typeET2_T3_PNSH_ISM_E10value_typeET4_T5_PSR_SS_PNS1_23onesweep_lookback_stateEbbT6_jjT7_P12ihipStream_tbENKUlT_T0_SG_SL_E_clIPiSA_PsSB_EEDaSZ_S10_SG_SL_EUlSZ_E_NS1_11comp_targetILNS1_3genE2ELNS1_11target_archE906ELNS1_3gpuE6ELNS1_3repE0EEENS1_47radix_sort_onesweep_sort_config_static_selectorELNS0_4arch9wavefront6targetE1EEEvSG_.num_named_barrier, 0
	.set _ZN7rocprim17ROCPRIM_400000_NS6detail17trampoline_kernelINS0_14default_configENS1_35radix_sort_onesweep_config_selectorIisEEZZNS1_29radix_sort_onesweep_iterationIS3_Lb0EN6thrust23THRUST_200600_302600_NS10device_ptrIiEESA_NS9_IsEESB_jNS0_19identity_decomposerENS1_16block_id_wrapperIjLb1EEEEE10hipError_tT1_PNSt15iterator_traitsISG_E10value_typeET2_T3_PNSH_ISM_E10value_typeET4_T5_PSR_SS_PNS1_23onesweep_lookback_stateEbbT6_jjT7_P12ihipStream_tbENKUlT_T0_SG_SL_E_clIPiSA_PsSB_EEDaSZ_S10_SG_SL_EUlSZ_E_NS1_11comp_targetILNS1_3genE2ELNS1_11target_archE906ELNS1_3gpuE6ELNS1_3repE0EEENS1_47radix_sort_onesweep_sort_config_static_selectorELNS0_4arch9wavefront6targetE1EEEvSG_.private_seg_size, 0
	.set _ZN7rocprim17ROCPRIM_400000_NS6detail17trampoline_kernelINS0_14default_configENS1_35radix_sort_onesweep_config_selectorIisEEZZNS1_29radix_sort_onesweep_iterationIS3_Lb0EN6thrust23THRUST_200600_302600_NS10device_ptrIiEESA_NS9_IsEESB_jNS0_19identity_decomposerENS1_16block_id_wrapperIjLb1EEEEE10hipError_tT1_PNSt15iterator_traitsISG_E10value_typeET2_T3_PNSH_ISM_E10value_typeET4_T5_PSR_SS_PNS1_23onesweep_lookback_stateEbbT6_jjT7_P12ihipStream_tbENKUlT_T0_SG_SL_E_clIPiSA_PsSB_EEDaSZ_S10_SG_SL_EUlSZ_E_NS1_11comp_targetILNS1_3genE2ELNS1_11target_archE906ELNS1_3gpuE6ELNS1_3repE0EEENS1_47radix_sort_onesweep_sort_config_static_selectorELNS0_4arch9wavefront6targetE1EEEvSG_.uses_vcc, 0
	.set _ZN7rocprim17ROCPRIM_400000_NS6detail17trampoline_kernelINS0_14default_configENS1_35radix_sort_onesweep_config_selectorIisEEZZNS1_29radix_sort_onesweep_iterationIS3_Lb0EN6thrust23THRUST_200600_302600_NS10device_ptrIiEESA_NS9_IsEESB_jNS0_19identity_decomposerENS1_16block_id_wrapperIjLb1EEEEE10hipError_tT1_PNSt15iterator_traitsISG_E10value_typeET2_T3_PNSH_ISM_E10value_typeET4_T5_PSR_SS_PNS1_23onesweep_lookback_stateEbbT6_jjT7_P12ihipStream_tbENKUlT_T0_SG_SL_E_clIPiSA_PsSB_EEDaSZ_S10_SG_SL_EUlSZ_E_NS1_11comp_targetILNS1_3genE2ELNS1_11target_archE906ELNS1_3gpuE6ELNS1_3repE0EEENS1_47radix_sort_onesweep_sort_config_static_selectorELNS0_4arch9wavefront6targetE1EEEvSG_.uses_flat_scratch, 0
	.set _ZN7rocprim17ROCPRIM_400000_NS6detail17trampoline_kernelINS0_14default_configENS1_35radix_sort_onesweep_config_selectorIisEEZZNS1_29radix_sort_onesweep_iterationIS3_Lb0EN6thrust23THRUST_200600_302600_NS10device_ptrIiEESA_NS9_IsEESB_jNS0_19identity_decomposerENS1_16block_id_wrapperIjLb1EEEEE10hipError_tT1_PNSt15iterator_traitsISG_E10value_typeET2_T3_PNSH_ISM_E10value_typeET4_T5_PSR_SS_PNS1_23onesweep_lookback_stateEbbT6_jjT7_P12ihipStream_tbENKUlT_T0_SG_SL_E_clIPiSA_PsSB_EEDaSZ_S10_SG_SL_EUlSZ_E_NS1_11comp_targetILNS1_3genE2ELNS1_11target_archE906ELNS1_3gpuE6ELNS1_3repE0EEENS1_47radix_sort_onesweep_sort_config_static_selectorELNS0_4arch9wavefront6targetE1EEEvSG_.has_dyn_sized_stack, 0
	.set _ZN7rocprim17ROCPRIM_400000_NS6detail17trampoline_kernelINS0_14default_configENS1_35radix_sort_onesweep_config_selectorIisEEZZNS1_29radix_sort_onesweep_iterationIS3_Lb0EN6thrust23THRUST_200600_302600_NS10device_ptrIiEESA_NS9_IsEESB_jNS0_19identity_decomposerENS1_16block_id_wrapperIjLb1EEEEE10hipError_tT1_PNSt15iterator_traitsISG_E10value_typeET2_T3_PNSH_ISM_E10value_typeET4_T5_PSR_SS_PNS1_23onesweep_lookback_stateEbbT6_jjT7_P12ihipStream_tbENKUlT_T0_SG_SL_E_clIPiSA_PsSB_EEDaSZ_S10_SG_SL_EUlSZ_E_NS1_11comp_targetILNS1_3genE2ELNS1_11target_archE906ELNS1_3gpuE6ELNS1_3repE0EEENS1_47radix_sort_onesweep_sort_config_static_selectorELNS0_4arch9wavefront6targetE1EEEvSG_.has_recursion, 0
	.set _ZN7rocprim17ROCPRIM_400000_NS6detail17trampoline_kernelINS0_14default_configENS1_35radix_sort_onesweep_config_selectorIisEEZZNS1_29radix_sort_onesweep_iterationIS3_Lb0EN6thrust23THRUST_200600_302600_NS10device_ptrIiEESA_NS9_IsEESB_jNS0_19identity_decomposerENS1_16block_id_wrapperIjLb1EEEEE10hipError_tT1_PNSt15iterator_traitsISG_E10value_typeET2_T3_PNSH_ISM_E10value_typeET4_T5_PSR_SS_PNS1_23onesweep_lookback_stateEbbT6_jjT7_P12ihipStream_tbENKUlT_T0_SG_SL_E_clIPiSA_PsSB_EEDaSZ_S10_SG_SL_EUlSZ_E_NS1_11comp_targetILNS1_3genE2ELNS1_11target_archE906ELNS1_3gpuE6ELNS1_3repE0EEENS1_47radix_sort_onesweep_sort_config_static_selectorELNS0_4arch9wavefront6targetE1EEEvSG_.has_indirect_call, 0
	.section	.AMDGPU.csdata,"",@progbits
; Kernel info:
; codeLenInByte = 0
; TotalNumSgprs: 6
; NumVgprs: 0
; NumAgprs: 0
; TotalNumVgprs: 0
; ScratchSize: 0
; MemoryBound: 0
; FloatMode: 240
; IeeeMode: 1
; LDSByteSize: 0 bytes/workgroup (compile time only)
; SGPRBlocks: 0
; VGPRBlocks: 0
; NumSGPRsForWavesPerEU: 6
; NumVGPRsForWavesPerEU: 1
; AccumOffset: 4
; Occupancy: 8
; WaveLimiterHint : 0
; COMPUTE_PGM_RSRC2:SCRATCH_EN: 0
; COMPUTE_PGM_RSRC2:USER_SGPR: 2
; COMPUTE_PGM_RSRC2:TRAP_HANDLER: 0
; COMPUTE_PGM_RSRC2:TGID_X_EN: 1
; COMPUTE_PGM_RSRC2:TGID_Y_EN: 0
; COMPUTE_PGM_RSRC2:TGID_Z_EN: 0
; COMPUTE_PGM_RSRC2:TIDIG_COMP_CNT: 0
; COMPUTE_PGM_RSRC3_GFX90A:ACCUM_OFFSET: 0
; COMPUTE_PGM_RSRC3_GFX90A:TG_SPLIT: 0
	.section	.text._ZN7rocprim17ROCPRIM_400000_NS6detail17trampoline_kernelINS0_14default_configENS1_35radix_sort_onesweep_config_selectorIisEEZZNS1_29radix_sort_onesweep_iterationIS3_Lb0EN6thrust23THRUST_200600_302600_NS10device_ptrIiEESA_NS9_IsEESB_jNS0_19identity_decomposerENS1_16block_id_wrapperIjLb1EEEEE10hipError_tT1_PNSt15iterator_traitsISG_E10value_typeET2_T3_PNSH_ISM_E10value_typeET4_T5_PSR_SS_PNS1_23onesweep_lookback_stateEbbT6_jjT7_P12ihipStream_tbENKUlT_T0_SG_SL_E_clIPiSA_PsSB_EEDaSZ_S10_SG_SL_EUlSZ_E_NS1_11comp_targetILNS1_3genE4ELNS1_11target_archE910ELNS1_3gpuE8ELNS1_3repE0EEENS1_47radix_sort_onesweep_sort_config_static_selectorELNS0_4arch9wavefront6targetE1EEEvSG_,"axG",@progbits,_ZN7rocprim17ROCPRIM_400000_NS6detail17trampoline_kernelINS0_14default_configENS1_35radix_sort_onesweep_config_selectorIisEEZZNS1_29radix_sort_onesweep_iterationIS3_Lb0EN6thrust23THRUST_200600_302600_NS10device_ptrIiEESA_NS9_IsEESB_jNS0_19identity_decomposerENS1_16block_id_wrapperIjLb1EEEEE10hipError_tT1_PNSt15iterator_traitsISG_E10value_typeET2_T3_PNSH_ISM_E10value_typeET4_T5_PSR_SS_PNS1_23onesweep_lookback_stateEbbT6_jjT7_P12ihipStream_tbENKUlT_T0_SG_SL_E_clIPiSA_PsSB_EEDaSZ_S10_SG_SL_EUlSZ_E_NS1_11comp_targetILNS1_3genE4ELNS1_11target_archE910ELNS1_3gpuE8ELNS1_3repE0EEENS1_47radix_sort_onesweep_sort_config_static_selectorELNS0_4arch9wavefront6targetE1EEEvSG_,comdat
	.protected	_ZN7rocprim17ROCPRIM_400000_NS6detail17trampoline_kernelINS0_14default_configENS1_35radix_sort_onesweep_config_selectorIisEEZZNS1_29radix_sort_onesweep_iterationIS3_Lb0EN6thrust23THRUST_200600_302600_NS10device_ptrIiEESA_NS9_IsEESB_jNS0_19identity_decomposerENS1_16block_id_wrapperIjLb1EEEEE10hipError_tT1_PNSt15iterator_traitsISG_E10value_typeET2_T3_PNSH_ISM_E10value_typeET4_T5_PSR_SS_PNS1_23onesweep_lookback_stateEbbT6_jjT7_P12ihipStream_tbENKUlT_T0_SG_SL_E_clIPiSA_PsSB_EEDaSZ_S10_SG_SL_EUlSZ_E_NS1_11comp_targetILNS1_3genE4ELNS1_11target_archE910ELNS1_3gpuE8ELNS1_3repE0EEENS1_47radix_sort_onesweep_sort_config_static_selectorELNS0_4arch9wavefront6targetE1EEEvSG_ ; -- Begin function _ZN7rocprim17ROCPRIM_400000_NS6detail17trampoline_kernelINS0_14default_configENS1_35radix_sort_onesweep_config_selectorIisEEZZNS1_29radix_sort_onesweep_iterationIS3_Lb0EN6thrust23THRUST_200600_302600_NS10device_ptrIiEESA_NS9_IsEESB_jNS0_19identity_decomposerENS1_16block_id_wrapperIjLb1EEEEE10hipError_tT1_PNSt15iterator_traitsISG_E10value_typeET2_T3_PNSH_ISM_E10value_typeET4_T5_PSR_SS_PNS1_23onesweep_lookback_stateEbbT6_jjT7_P12ihipStream_tbENKUlT_T0_SG_SL_E_clIPiSA_PsSB_EEDaSZ_S10_SG_SL_EUlSZ_E_NS1_11comp_targetILNS1_3genE4ELNS1_11target_archE910ELNS1_3gpuE8ELNS1_3repE0EEENS1_47radix_sort_onesweep_sort_config_static_selectorELNS0_4arch9wavefront6targetE1EEEvSG_
	.globl	_ZN7rocprim17ROCPRIM_400000_NS6detail17trampoline_kernelINS0_14default_configENS1_35radix_sort_onesweep_config_selectorIisEEZZNS1_29radix_sort_onesweep_iterationIS3_Lb0EN6thrust23THRUST_200600_302600_NS10device_ptrIiEESA_NS9_IsEESB_jNS0_19identity_decomposerENS1_16block_id_wrapperIjLb1EEEEE10hipError_tT1_PNSt15iterator_traitsISG_E10value_typeET2_T3_PNSH_ISM_E10value_typeET4_T5_PSR_SS_PNS1_23onesweep_lookback_stateEbbT6_jjT7_P12ihipStream_tbENKUlT_T0_SG_SL_E_clIPiSA_PsSB_EEDaSZ_S10_SG_SL_EUlSZ_E_NS1_11comp_targetILNS1_3genE4ELNS1_11target_archE910ELNS1_3gpuE8ELNS1_3repE0EEENS1_47radix_sort_onesweep_sort_config_static_selectorELNS0_4arch9wavefront6targetE1EEEvSG_
	.p2align	8
	.type	_ZN7rocprim17ROCPRIM_400000_NS6detail17trampoline_kernelINS0_14default_configENS1_35radix_sort_onesweep_config_selectorIisEEZZNS1_29radix_sort_onesweep_iterationIS3_Lb0EN6thrust23THRUST_200600_302600_NS10device_ptrIiEESA_NS9_IsEESB_jNS0_19identity_decomposerENS1_16block_id_wrapperIjLb1EEEEE10hipError_tT1_PNSt15iterator_traitsISG_E10value_typeET2_T3_PNSH_ISM_E10value_typeET4_T5_PSR_SS_PNS1_23onesweep_lookback_stateEbbT6_jjT7_P12ihipStream_tbENKUlT_T0_SG_SL_E_clIPiSA_PsSB_EEDaSZ_S10_SG_SL_EUlSZ_E_NS1_11comp_targetILNS1_3genE4ELNS1_11target_archE910ELNS1_3gpuE8ELNS1_3repE0EEENS1_47radix_sort_onesweep_sort_config_static_selectorELNS0_4arch9wavefront6targetE1EEEvSG_,@function
_ZN7rocprim17ROCPRIM_400000_NS6detail17trampoline_kernelINS0_14default_configENS1_35radix_sort_onesweep_config_selectorIisEEZZNS1_29radix_sort_onesweep_iterationIS3_Lb0EN6thrust23THRUST_200600_302600_NS10device_ptrIiEESA_NS9_IsEESB_jNS0_19identity_decomposerENS1_16block_id_wrapperIjLb1EEEEE10hipError_tT1_PNSt15iterator_traitsISG_E10value_typeET2_T3_PNSH_ISM_E10value_typeET4_T5_PSR_SS_PNS1_23onesweep_lookback_stateEbbT6_jjT7_P12ihipStream_tbENKUlT_T0_SG_SL_E_clIPiSA_PsSB_EEDaSZ_S10_SG_SL_EUlSZ_E_NS1_11comp_targetILNS1_3genE4ELNS1_11target_archE910ELNS1_3gpuE8ELNS1_3repE0EEENS1_47radix_sort_onesweep_sort_config_static_selectorELNS0_4arch9wavefront6targetE1EEEvSG_: ; @_ZN7rocprim17ROCPRIM_400000_NS6detail17trampoline_kernelINS0_14default_configENS1_35radix_sort_onesweep_config_selectorIisEEZZNS1_29radix_sort_onesweep_iterationIS3_Lb0EN6thrust23THRUST_200600_302600_NS10device_ptrIiEESA_NS9_IsEESB_jNS0_19identity_decomposerENS1_16block_id_wrapperIjLb1EEEEE10hipError_tT1_PNSt15iterator_traitsISG_E10value_typeET2_T3_PNSH_ISM_E10value_typeET4_T5_PSR_SS_PNS1_23onesweep_lookback_stateEbbT6_jjT7_P12ihipStream_tbENKUlT_T0_SG_SL_E_clIPiSA_PsSB_EEDaSZ_S10_SG_SL_EUlSZ_E_NS1_11comp_targetILNS1_3genE4ELNS1_11target_archE910ELNS1_3gpuE8ELNS1_3repE0EEENS1_47radix_sort_onesweep_sort_config_static_selectorELNS0_4arch9wavefront6targetE1EEEvSG_
; %bb.0:
	.section	.rodata,"a",@progbits
	.p2align	6, 0x0
	.amdhsa_kernel _ZN7rocprim17ROCPRIM_400000_NS6detail17trampoline_kernelINS0_14default_configENS1_35radix_sort_onesweep_config_selectorIisEEZZNS1_29radix_sort_onesweep_iterationIS3_Lb0EN6thrust23THRUST_200600_302600_NS10device_ptrIiEESA_NS9_IsEESB_jNS0_19identity_decomposerENS1_16block_id_wrapperIjLb1EEEEE10hipError_tT1_PNSt15iterator_traitsISG_E10value_typeET2_T3_PNSH_ISM_E10value_typeET4_T5_PSR_SS_PNS1_23onesweep_lookback_stateEbbT6_jjT7_P12ihipStream_tbENKUlT_T0_SG_SL_E_clIPiSA_PsSB_EEDaSZ_S10_SG_SL_EUlSZ_E_NS1_11comp_targetILNS1_3genE4ELNS1_11target_archE910ELNS1_3gpuE8ELNS1_3repE0EEENS1_47radix_sort_onesweep_sort_config_static_selectorELNS0_4arch9wavefront6targetE1EEEvSG_
		.amdhsa_group_segment_fixed_size 0
		.amdhsa_private_segment_fixed_size 0
		.amdhsa_kernarg_size 88
		.amdhsa_user_sgpr_count 2
		.amdhsa_user_sgpr_dispatch_ptr 0
		.amdhsa_user_sgpr_queue_ptr 0
		.amdhsa_user_sgpr_kernarg_segment_ptr 1
		.amdhsa_user_sgpr_dispatch_id 0
		.amdhsa_user_sgpr_kernarg_preload_length 0
		.amdhsa_user_sgpr_kernarg_preload_offset 0
		.amdhsa_user_sgpr_private_segment_size 0
		.amdhsa_uses_dynamic_stack 0
		.amdhsa_enable_private_segment 0
		.amdhsa_system_sgpr_workgroup_id_x 1
		.amdhsa_system_sgpr_workgroup_id_y 0
		.amdhsa_system_sgpr_workgroup_id_z 0
		.amdhsa_system_sgpr_workgroup_info 0
		.amdhsa_system_vgpr_workitem_id 0
		.amdhsa_next_free_vgpr 1
		.amdhsa_next_free_sgpr 0
		.amdhsa_accum_offset 4
		.amdhsa_reserve_vcc 0
		.amdhsa_float_round_mode_32 0
		.amdhsa_float_round_mode_16_64 0
		.amdhsa_float_denorm_mode_32 3
		.amdhsa_float_denorm_mode_16_64 3
		.amdhsa_dx10_clamp 1
		.amdhsa_ieee_mode 1
		.amdhsa_fp16_overflow 0
		.amdhsa_tg_split 0
		.amdhsa_exception_fp_ieee_invalid_op 0
		.amdhsa_exception_fp_denorm_src 0
		.amdhsa_exception_fp_ieee_div_zero 0
		.amdhsa_exception_fp_ieee_overflow 0
		.amdhsa_exception_fp_ieee_underflow 0
		.amdhsa_exception_fp_ieee_inexact 0
		.amdhsa_exception_int_div_zero 0
	.end_amdhsa_kernel
	.section	.text._ZN7rocprim17ROCPRIM_400000_NS6detail17trampoline_kernelINS0_14default_configENS1_35radix_sort_onesweep_config_selectorIisEEZZNS1_29radix_sort_onesweep_iterationIS3_Lb0EN6thrust23THRUST_200600_302600_NS10device_ptrIiEESA_NS9_IsEESB_jNS0_19identity_decomposerENS1_16block_id_wrapperIjLb1EEEEE10hipError_tT1_PNSt15iterator_traitsISG_E10value_typeET2_T3_PNSH_ISM_E10value_typeET4_T5_PSR_SS_PNS1_23onesweep_lookback_stateEbbT6_jjT7_P12ihipStream_tbENKUlT_T0_SG_SL_E_clIPiSA_PsSB_EEDaSZ_S10_SG_SL_EUlSZ_E_NS1_11comp_targetILNS1_3genE4ELNS1_11target_archE910ELNS1_3gpuE8ELNS1_3repE0EEENS1_47radix_sort_onesweep_sort_config_static_selectorELNS0_4arch9wavefront6targetE1EEEvSG_,"axG",@progbits,_ZN7rocprim17ROCPRIM_400000_NS6detail17trampoline_kernelINS0_14default_configENS1_35radix_sort_onesweep_config_selectorIisEEZZNS1_29radix_sort_onesweep_iterationIS3_Lb0EN6thrust23THRUST_200600_302600_NS10device_ptrIiEESA_NS9_IsEESB_jNS0_19identity_decomposerENS1_16block_id_wrapperIjLb1EEEEE10hipError_tT1_PNSt15iterator_traitsISG_E10value_typeET2_T3_PNSH_ISM_E10value_typeET4_T5_PSR_SS_PNS1_23onesweep_lookback_stateEbbT6_jjT7_P12ihipStream_tbENKUlT_T0_SG_SL_E_clIPiSA_PsSB_EEDaSZ_S10_SG_SL_EUlSZ_E_NS1_11comp_targetILNS1_3genE4ELNS1_11target_archE910ELNS1_3gpuE8ELNS1_3repE0EEENS1_47radix_sort_onesweep_sort_config_static_selectorELNS0_4arch9wavefront6targetE1EEEvSG_,comdat
.Lfunc_end2462:
	.size	_ZN7rocprim17ROCPRIM_400000_NS6detail17trampoline_kernelINS0_14default_configENS1_35radix_sort_onesweep_config_selectorIisEEZZNS1_29radix_sort_onesweep_iterationIS3_Lb0EN6thrust23THRUST_200600_302600_NS10device_ptrIiEESA_NS9_IsEESB_jNS0_19identity_decomposerENS1_16block_id_wrapperIjLb1EEEEE10hipError_tT1_PNSt15iterator_traitsISG_E10value_typeET2_T3_PNSH_ISM_E10value_typeET4_T5_PSR_SS_PNS1_23onesweep_lookback_stateEbbT6_jjT7_P12ihipStream_tbENKUlT_T0_SG_SL_E_clIPiSA_PsSB_EEDaSZ_S10_SG_SL_EUlSZ_E_NS1_11comp_targetILNS1_3genE4ELNS1_11target_archE910ELNS1_3gpuE8ELNS1_3repE0EEENS1_47radix_sort_onesweep_sort_config_static_selectorELNS0_4arch9wavefront6targetE1EEEvSG_, .Lfunc_end2462-_ZN7rocprim17ROCPRIM_400000_NS6detail17trampoline_kernelINS0_14default_configENS1_35radix_sort_onesweep_config_selectorIisEEZZNS1_29radix_sort_onesweep_iterationIS3_Lb0EN6thrust23THRUST_200600_302600_NS10device_ptrIiEESA_NS9_IsEESB_jNS0_19identity_decomposerENS1_16block_id_wrapperIjLb1EEEEE10hipError_tT1_PNSt15iterator_traitsISG_E10value_typeET2_T3_PNSH_ISM_E10value_typeET4_T5_PSR_SS_PNS1_23onesweep_lookback_stateEbbT6_jjT7_P12ihipStream_tbENKUlT_T0_SG_SL_E_clIPiSA_PsSB_EEDaSZ_S10_SG_SL_EUlSZ_E_NS1_11comp_targetILNS1_3genE4ELNS1_11target_archE910ELNS1_3gpuE8ELNS1_3repE0EEENS1_47radix_sort_onesweep_sort_config_static_selectorELNS0_4arch9wavefront6targetE1EEEvSG_
                                        ; -- End function
	.set _ZN7rocprim17ROCPRIM_400000_NS6detail17trampoline_kernelINS0_14default_configENS1_35radix_sort_onesweep_config_selectorIisEEZZNS1_29radix_sort_onesweep_iterationIS3_Lb0EN6thrust23THRUST_200600_302600_NS10device_ptrIiEESA_NS9_IsEESB_jNS0_19identity_decomposerENS1_16block_id_wrapperIjLb1EEEEE10hipError_tT1_PNSt15iterator_traitsISG_E10value_typeET2_T3_PNSH_ISM_E10value_typeET4_T5_PSR_SS_PNS1_23onesweep_lookback_stateEbbT6_jjT7_P12ihipStream_tbENKUlT_T0_SG_SL_E_clIPiSA_PsSB_EEDaSZ_S10_SG_SL_EUlSZ_E_NS1_11comp_targetILNS1_3genE4ELNS1_11target_archE910ELNS1_3gpuE8ELNS1_3repE0EEENS1_47radix_sort_onesweep_sort_config_static_selectorELNS0_4arch9wavefront6targetE1EEEvSG_.num_vgpr, 0
	.set _ZN7rocprim17ROCPRIM_400000_NS6detail17trampoline_kernelINS0_14default_configENS1_35radix_sort_onesweep_config_selectorIisEEZZNS1_29radix_sort_onesweep_iterationIS3_Lb0EN6thrust23THRUST_200600_302600_NS10device_ptrIiEESA_NS9_IsEESB_jNS0_19identity_decomposerENS1_16block_id_wrapperIjLb1EEEEE10hipError_tT1_PNSt15iterator_traitsISG_E10value_typeET2_T3_PNSH_ISM_E10value_typeET4_T5_PSR_SS_PNS1_23onesweep_lookback_stateEbbT6_jjT7_P12ihipStream_tbENKUlT_T0_SG_SL_E_clIPiSA_PsSB_EEDaSZ_S10_SG_SL_EUlSZ_E_NS1_11comp_targetILNS1_3genE4ELNS1_11target_archE910ELNS1_3gpuE8ELNS1_3repE0EEENS1_47radix_sort_onesweep_sort_config_static_selectorELNS0_4arch9wavefront6targetE1EEEvSG_.num_agpr, 0
	.set _ZN7rocprim17ROCPRIM_400000_NS6detail17trampoline_kernelINS0_14default_configENS1_35radix_sort_onesweep_config_selectorIisEEZZNS1_29radix_sort_onesweep_iterationIS3_Lb0EN6thrust23THRUST_200600_302600_NS10device_ptrIiEESA_NS9_IsEESB_jNS0_19identity_decomposerENS1_16block_id_wrapperIjLb1EEEEE10hipError_tT1_PNSt15iterator_traitsISG_E10value_typeET2_T3_PNSH_ISM_E10value_typeET4_T5_PSR_SS_PNS1_23onesweep_lookback_stateEbbT6_jjT7_P12ihipStream_tbENKUlT_T0_SG_SL_E_clIPiSA_PsSB_EEDaSZ_S10_SG_SL_EUlSZ_E_NS1_11comp_targetILNS1_3genE4ELNS1_11target_archE910ELNS1_3gpuE8ELNS1_3repE0EEENS1_47radix_sort_onesweep_sort_config_static_selectorELNS0_4arch9wavefront6targetE1EEEvSG_.numbered_sgpr, 0
	.set _ZN7rocprim17ROCPRIM_400000_NS6detail17trampoline_kernelINS0_14default_configENS1_35radix_sort_onesweep_config_selectorIisEEZZNS1_29radix_sort_onesweep_iterationIS3_Lb0EN6thrust23THRUST_200600_302600_NS10device_ptrIiEESA_NS9_IsEESB_jNS0_19identity_decomposerENS1_16block_id_wrapperIjLb1EEEEE10hipError_tT1_PNSt15iterator_traitsISG_E10value_typeET2_T3_PNSH_ISM_E10value_typeET4_T5_PSR_SS_PNS1_23onesweep_lookback_stateEbbT6_jjT7_P12ihipStream_tbENKUlT_T0_SG_SL_E_clIPiSA_PsSB_EEDaSZ_S10_SG_SL_EUlSZ_E_NS1_11comp_targetILNS1_3genE4ELNS1_11target_archE910ELNS1_3gpuE8ELNS1_3repE0EEENS1_47radix_sort_onesweep_sort_config_static_selectorELNS0_4arch9wavefront6targetE1EEEvSG_.num_named_barrier, 0
	.set _ZN7rocprim17ROCPRIM_400000_NS6detail17trampoline_kernelINS0_14default_configENS1_35radix_sort_onesweep_config_selectorIisEEZZNS1_29radix_sort_onesweep_iterationIS3_Lb0EN6thrust23THRUST_200600_302600_NS10device_ptrIiEESA_NS9_IsEESB_jNS0_19identity_decomposerENS1_16block_id_wrapperIjLb1EEEEE10hipError_tT1_PNSt15iterator_traitsISG_E10value_typeET2_T3_PNSH_ISM_E10value_typeET4_T5_PSR_SS_PNS1_23onesweep_lookback_stateEbbT6_jjT7_P12ihipStream_tbENKUlT_T0_SG_SL_E_clIPiSA_PsSB_EEDaSZ_S10_SG_SL_EUlSZ_E_NS1_11comp_targetILNS1_3genE4ELNS1_11target_archE910ELNS1_3gpuE8ELNS1_3repE0EEENS1_47radix_sort_onesweep_sort_config_static_selectorELNS0_4arch9wavefront6targetE1EEEvSG_.private_seg_size, 0
	.set _ZN7rocprim17ROCPRIM_400000_NS6detail17trampoline_kernelINS0_14default_configENS1_35radix_sort_onesweep_config_selectorIisEEZZNS1_29radix_sort_onesweep_iterationIS3_Lb0EN6thrust23THRUST_200600_302600_NS10device_ptrIiEESA_NS9_IsEESB_jNS0_19identity_decomposerENS1_16block_id_wrapperIjLb1EEEEE10hipError_tT1_PNSt15iterator_traitsISG_E10value_typeET2_T3_PNSH_ISM_E10value_typeET4_T5_PSR_SS_PNS1_23onesweep_lookback_stateEbbT6_jjT7_P12ihipStream_tbENKUlT_T0_SG_SL_E_clIPiSA_PsSB_EEDaSZ_S10_SG_SL_EUlSZ_E_NS1_11comp_targetILNS1_3genE4ELNS1_11target_archE910ELNS1_3gpuE8ELNS1_3repE0EEENS1_47radix_sort_onesweep_sort_config_static_selectorELNS0_4arch9wavefront6targetE1EEEvSG_.uses_vcc, 0
	.set _ZN7rocprim17ROCPRIM_400000_NS6detail17trampoline_kernelINS0_14default_configENS1_35radix_sort_onesweep_config_selectorIisEEZZNS1_29radix_sort_onesweep_iterationIS3_Lb0EN6thrust23THRUST_200600_302600_NS10device_ptrIiEESA_NS9_IsEESB_jNS0_19identity_decomposerENS1_16block_id_wrapperIjLb1EEEEE10hipError_tT1_PNSt15iterator_traitsISG_E10value_typeET2_T3_PNSH_ISM_E10value_typeET4_T5_PSR_SS_PNS1_23onesweep_lookback_stateEbbT6_jjT7_P12ihipStream_tbENKUlT_T0_SG_SL_E_clIPiSA_PsSB_EEDaSZ_S10_SG_SL_EUlSZ_E_NS1_11comp_targetILNS1_3genE4ELNS1_11target_archE910ELNS1_3gpuE8ELNS1_3repE0EEENS1_47radix_sort_onesweep_sort_config_static_selectorELNS0_4arch9wavefront6targetE1EEEvSG_.uses_flat_scratch, 0
	.set _ZN7rocprim17ROCPRIM_400000_NS6detail17trampoline_kernelINS0_14default_configENS1_35radix_sort_onesweep_config_selectorIisEEZZNS1_29radix_sort_onesweep_iterationIS3_Lb0EN6thrust23THRUST_200600_302600_NS10device_ptrIiEESA_NS9_IsEESB_jNS0_19identity_decomposerENS1_16block_id_wrapperIjLb1EEEEE10hipError_tT1_PNSt15iterator_traitsISG_E10value_typeET2_T3_PNSH_ISM_E10value_typeET4_T5_PSR_SS_PNS1_23onesweep_lookback_stateEbbT6_jjT7_P12ihipStream_tbENKUlT_T0_SG_SL_E_clIPiSA_PsSB_EEDaSZ_S10_SG_SL_EUlSZ_E_NS1_11comp_targetILNS1_3genE4ELNS1_11target_archE910ELNS1_3gpuE8ELNS1_3repE0EEENS1_47radix_sort_onesweep_sort_config_static_selectorELNS0_4arch9wavefront6targetE1EEEvSG_.has_dyn_sized_stack, 0
	.set _ZN7rocprim17ROCPRIM_400000_NS6detail17trampoline_kernelINS0_14default_configENS1_35radix_sort_onesweep_config_selectorIisEEZZNS1_29radix_sort_onesweep_iterationIS3_Lb0EN6thrust23THRUST_200600_302600_NS10device_ptrIiEESA_NS9_IsEESB_jNS0_19identity_decomposerENS1_16block_id_wrapperIjLb1EEEEE10hipError_tT1_PNSt15iterator_traitsISG_E10value_typeET2_T3_PNSH_ISM_E10value_typeET4_T5_PSR_SS_PNS1_23onesweep_lookback_stateEbbT6_jjT7_P12ihipStream_tbENKUlT_T0_SG_SL_E_clIPiSA_PsSB_EEDaSZ_S10_SG_SL_EUlSZ_E_NS1_11comp_targetILNS1_3genE4ELNS1_11target_archE910ELNS1_3gpuE8ELNS1_3repE0EEENS1_47radix_sort_onesweep_sort_config_static_selectorELNS0_4arch9wavefront6targetE1EEEvSG_.has_recursion, 0
	.set _ZN7rocprim17ROCPRIM_400000_NS6detail17trampoline_kernelINS0_14default_configENS1_35radix_sort_onesweep_config_selectorIisEEZZNS1_29radix_sort_onesweep_iterationIS3_Lb0EN6thrust23THRUST_200600_302600_NS10device_ptrIiEESA_NS9_IsEESB_jNS0_19identity_decomposerENS1_16block_id_wrapperIjLb1EEEEE10hipError_tT1_PNSt15iterator_traitsISG_E10value_typeET2_T3_PNSH_ISM_E10value_typeET4_T5_PSR_SS_PNS1_23onesweep_lookback_stateEbbT6_jjT7_P12ihipStream_tbENKUlT_T0_SG_SL_E_clIPiSA_PsSB_EEDaSZ_S10_SG_SL_EUlSZ_E_NS1_11comp_targetILNS1_3genE4ELNS1_11target_archE910ELNS1_3gpuE8ELNS1_3repE0EEENS1_47radix_sort_onesweep_sort_config_static_selectorELNS0_4arch9wavefront6targetE1EEEvSG_.has_indirect_call, 0
	.section	.AMDGPU.csdata,"",@progbits
; Kernel info:
; codeLenInByte = 0
; TotalNumSgprs: 6
; NumVgprs: 0
; NumAgprs: 0
; TotalNumVgprs: 0
; ScratchSize: 0
; MemoryBound: 0
; FloatMode: 240
; IeeeMode: 1
; LDSByteSize: 0 bytes/workgroup (compile time only)
; SGPRBlocks: 0
; VGPRBlocks: 0
; NumSGPRsForWavesPerEU: 6
; NumVGPRsForWavesPerEU: 1
; AccumOffset: 4
; Occupancy: 8
; WaveLimiterHint : 0
; COMPUTE_PGM_RSRC2:SCRATCH_EN: 0
; COMPUTE_PGM_RSRC2:USER_SGPR: 2
; COMPUTE_PGM_RSRC2:TRAP_HANDLER: 0
; COMPUTE_PGM_RSRC2:TGID_X_EN: 1
; COMPUTE_PGM_RSRC2:TGID_Y_EN: 0
; COMPUTE_PGM_RSRC2:TGID_Z_EN: 0
; COMPUTE_PGM_RSRC2:TIDIG_COMP_CNT: 0
; COMPUTE_PGM_RSRC3_GFX90A:ACCUM_OFFSET: 0
; COMPUTE_PGM_RSRC3_GFX90A:TG_SPLIT: 0
	.section	.text._ZN7rocprim17ROCPRIM_400000_NS6detail17trampoline_kernelINS0_14default_configENS1_35radix_sort_onesweep_config_selectorIisEEZZNS1_29radix_sort_onesweep_iterationIS3_Lb0EN6thrust23THRUST_200600_302600_NS10device_ptrIiEESA_NS9_IsEESB_jNS0_19identity_decomposerENS1_16block_id_wrapperIjLb1EEEEE10hipError_tT1_PNSt15iterator_traitsISG_E10value_typeET2_T3_PNSH_ISM_E10value_typeET4_T5_PSR_SS_PNS1_23onesweep_lookback_stateEbbT6_jjT7_P12ihipStream_tbENKUlT_T0_SG_SL_E_clIPiSA_PsSB_EEDaSZ_S10_SG_SL_EUlSZ_E_NS1_11comp_targetILNS1_3genE3ELNS1_11target_archE908ELNS1_3gpuE7ELNS1_3repE0EEENS1_47radix_sort_onesweep_sort_config_static_selectorELNS0_4arch9wavefront6targetE1EEEvSG_,"axG",@progbits,_ZN7rocprim17ROCPRIM_400000_NS6detail17trampoline_kernelINS0_14default_configENS1_35radix_sort_onesweep_config_selectorIisEEZZNS1_29radix_sort_onesweep_iterationIS3_Lb0EN6thrust23THRUST_200600_302600_NS10device_ptrIiEESA_NS9_IsEESB_jNS0_19identity_decomposerENS1_16block_id_wrapperIjLb1EEEEE10hipError_tT1_PNSt15iterator_traitsISG_E10value_typeET2_T3_PNSH_ISM_E10value_typeET4_T5_PSR_SS_PNS1_23onesweep_lookback_stateEbbT6_jjT7_P12ihipStream_tbENKUlT_T0_SG_SL_E_clIPiSA_PsSB_EEDaSZ_S10_SG_SL_EUlSZ_E_NS1_11comp_targetILNS1_3genE3ELNS1_11target_archE908ELNS1_3gpuE7ELNS1_3repE0EEENS1_47radix_sort_onesweep_sort_config_static_selectorELNS0_4arch9wavefront6targetE1EEEvSG_,comdat
	.protected	_ZN7rocprim17ROCPRIM_400000_NS6detail17trampoline_kernelINS0_14default_configENS1_35radix_sort_onesweep_config_selectorIisEEZZNS1_29radix_sort_onesweep_iterationIS3_Lb0EN6thrust23THRUST_200600_302600_NS10device_ptrIiEESA_NS9_IsEESB_jNS0_19identity_decomposerENS1_16block_id_wrapperIjLb1EEEEE10hipError_tT1_PNSt15iterator_traitsISG_E10value_typeET2_T3_PNSH_ISM_E10value_typeET4_T5_PSR_SS_PNS1_23onesweep_lookback_stateEbbT6_jjT7_P12ihipStream_tbENKUlT_T0_SG_SL_E_clIPiSA_PsSB_EEDaSZ_S10_SG_SL_EUlSZ_E_NS1_11comp_targetILNS1_3genE3ELNS1_11target_archE908ELNS1_3gpuE7ELNS1_3repE0EEENS1_47radix_sort_onesweep_sort_config_static_selectorELNS0_4arch9wavefront6targetE1EEEvSG_ ; -- Begin function _ZN7rocprim17ROCPRIM_400000_NS6detail17trampoline_kernelINS0_14default_configENS1_35radix_sort_onesweep_config_selectorIisEEZZNS1_29radix_sort_onesweep_iterationIS3_Lb0EN6thrust23THRUST_200600_302600_NS10device_ptrIiEESA_NS9_IsEESB_jNS0_19identity_decomposerENS1_16block_id_wrapperIjLb1EEEEE10hipError_tT1_PNSt15iterator_traitsISG_E10value_typeET2_T3_PNSH_ISM_E10value_typeET4_T5_PSR_SS_PNS1_23onesweep_lookback_stateEbbT6_jjT7_P12ihipStream_tbENKUlT_T0_SG_SL_E_clIPiSA_PsSB_EEDaSZ_S10_SG_SL_EUlSZ_E_NS1_11comp_targetILNS1_3genE3ELNS1_11target_archE908ELNS1_3gpuE7ELNS1_3repE0EEENS1_47radix_sort_onesweep_sort_config_static_selectorELNS0_4arch9wavefront6targetE1EEEvSG_
	.globl	_ZN7rocprim17ROCPRIM_400000_NS6detail17trampoline_kernelINS0_14default_configENS1_35radix_sort_onesweep_config_selectorIisEEZZNS1_29radix_sort_onesweep_iterationIS3_Lb0EN6thrust23THRUST_200600_302600_NS10device_ptrIiEESA_NS9_IsEESB_jNS0_19identity_decomposerENS1_16block_id_wrapperIjLb1EEEEE10hipError_tT1_PNSt15iterator_traitsISG_E10value_typeET2_T3_PNSH_ISM_E10value_typeET4_T5_PSR_SS_PNS1_23onesweep_lookback_stateEbbT6_jjT7_P12ihipStream_tbENKUlT_T0_SG_SL_E_clIPiSA_PsSB_EEDaSZ_S10_SG_SL_EUlSZ_E_NS1_11comp_targetILNS1_3genE3ELNS1_11target_archE908ELNS1_3gpuE7ELNS1_3repE0EEENS1_47radix_sort_onesweep_sort_config_static_selectorELNS0_4arch9wavefront6targetE1EEEvSG_
	.p2align	8
	.type	_ZN7rocprim17ROCPRIM_400000_NS6detail17trampoline_kernelINS0_14default_configENS1_35radix_sort_onesweep_config_selectorIisEEZZNS1_29radix_sort_onesweep_iterationIS3_Lb0EN6thrust23THRUST_200600_302600_NS10device_ptrIiEESA_NS9_IsEESB_jNS0_19identity_decomposerENS1_16block_id_wrapperIjLb1EEEEE10hipError_tT1_PNSt15iterator_traitsISG_E10value_typeET2_T3_PNSH_ISM_E10value_typeET4_T5_PSR_SS_PNS1_23onesweep_lookback_stateEbbT6_jjT7_P12ihipStream_tbENKUlT_T0_SG_SL_E_clIPiSA_PsSB_EEDaSZ_S10_SG_SL_EUlSZ_E_NS1_11comp_targetILNS1_3genE3ELNS1_11target_archE908ELNS1_3gpuE7ELNS1_3repE0EEENS1_47radix_sort_onesweep_sort_config_static_selectorELNS0_4arch9wavefront6targetE1EEEvSG_,@function
_ZN7rocprim17ROCPRIM_400000_NS6detail17trampoline_kernelINS0_14default_configENS1_35radix_sort_onesweep_config_selectorIisEEZZNS1_29radix_sort_onesweep_iterationIS3_Lb0EN6thrust23THRUST_200600_302600_NS10device_ptrIiEESA_NS9_IsEESB_jNS0_19identity_decomposerENS1_16block_id_wrapperIjLb1EEEEE10hipError_tT1_PNSt15iterator_traitsISG_E10value_typeET2_T3_PNSH_ISM_E10value_typeET4_T5_PSR_SS_PNS1_23onesweep_lookback_stateEbbT6_jjT7_P12ihipStream_tbENKUlT_T0_SG_SL_E_clIPiSA_PsSB_EEDaSZ_S10_SG_SL_EUlSZ_E_NS1_11comp_targetILNS1_3genE3ELNS1_11target_archE908ELNS1_3gpuE7ELNS1_3repE0EEENS1_47radix_sort_onesweep_sort_config_static_selectorELNS0_4arch9wavefront6targetE1EEEvSG_: ; @_ZN7rocprim17ROCPRIM_400000_NS6detail17trampoline_kernelINS0_14default_configENS1_35radix_sort_onesweep_config_selectorIisEEZZNS1_29radix_sort_onesweep_iterationIS3_Lb0EN6thrust23THRUST_200600_302600_NS10device_ptrIiEESA_NS9_IsEESB_jNS0_19identity_decomposerENS1_16block_id_wrapperIjLb1EEEEE10hipError_tT1_PNSt15iterator_traitsISG_E10value_typeET2_T3_PNSH_ISM_E10value_typeET4_T5_PSR_SS_PNS1_23onesweep_lookback_stateEbbT6_jjT7_P12ihipStream_tbENKUlT_T0_SG_SL_E_clIPiSA_PsSB_EEDaSZ_S10_SG_SL_EUlSZ_E_NS1_11comp_targetILNS1_3genE3ELNS1_11target_archE908ELNS1_3gpuE7ELNS1_3repE0EEENS1_47radix_sort_onesweep_sort_config_static_selectorELNS0_4arch9wavefront6targetE1EEEvSG_
; %bb.0:
	.section	.rodata,"a",@progbits
	.p2align	6, 0x0
	.amdhsa_kernel _ZN7rocprim17ROCPRIM_400000_NS6detail17trampoline_kernelINS0_14default_configENS1_35radix_sort_onesweep_config_selectorIisEEZZNS1_29radix_sort_onesweep_iterationIS3_Lb0EN6thrust23THRUST_200600_302600_NS10device_ptrIiEESA_NS9_IsEESB_jNS0_19identity_decomposerENS1_16block_id_wrapperIjLb1EEEEE10hipError_tT1_PNSt15iterator_traitsISG_E10value_typeET2_T3_PNSH_ISM_E10value_typeET4_T5_PSR_SS_PNS1_23onesweep_lookback_stateEbbT6_jjT7_P12ihipStream_tbENKUlT_T0_SG_SL_E_clIPiSA_PsSB_EEDaSZ_S10_SG_SL_EUlSZ_E_NS1_11comp_targetILNS1_3genE3ELNS1_11target_archE908ELNS1_3gpuE7ELNS1_3repE0EEENS1_47radix_sort_onesweep_sort_config_static_selectorELNS0_4arch9wavefront6targetE1EEEvSG_
		.amdhsa_group_segment_fixed_size 0
		.amdhsa_private_segment_fixed_size 0
		.amdhsa_kernarg_size 88
		.amdhsa_user_sgpr_count 2
		.amdhsa_user_sgpr_dispatch_ptr 0
		.amdhsa_user_sgpr_queue_ptr 0
		.amdhsa_user_sgpr_kernarg_segment_ptr 1
		.amdhsa_user_sgpr_dispatch_id 0
		.amdhsa_user_sgpr_kernarg_preload_length 0
		.amdhsa_user_sgpr_kernarg_preload_offset 0
		.amdhsa_user_sgpr_private_segment_size 0
		.amdhsa_uses_dynamic_stack 0
		.amdhsa_enable_private_segment 0
		.amdhsa_system_sgpr_workgroup_id_x 1
		.amdhsa_system_sgpr_workgroup_id_y 0
		.amdhsa_system_sgpr_workgroup_id_z 0
		.amdhsa_system_sgpr_workgroup_info 0
		.amdhsa_system_vgpr_workitem_id 0
		.amdhsa_next_free_vgpr 1
		.amdhsa_next_free_sgpr 0
		.amdhsa_accum_offset 4
		.amdhsa_reserve_vcc 0
		.amdhsa_float_round_mode_32 0
		.amdhsa_float_round_mode_16_64 0
		.amdhsa_float_denorm_mode_32 3
		.amdhsa_float_denorm_mode_16_64 3
		.amdhsa_dx10_clamp 1
		.amdhsa_ieee_mode 1
		.amdhsa_fp16_overflow 0
		.amdhsa_tg_split 0
		.amdhsa_exception_fp_ieee_invalid_op 0
		.amdhsa_exception_fp_denorm_src 0
		.amdhsa_exception_fp_ieee_div_zero 0
		.amdhsa_exception_fp_ieee_overflow 0
		.amdhsa_exception_fp_ieee_underflow 0
		.amdhsa_exception_fp_ieee_inexact 0
		.amdhsa_exception_int_div_zero 0
	.end_amdhsa_kernel
	.section	.text._ZN7rocprim17ROCPRIM_400000_NS6detail17trampoline_kernelINS0_14default_configENS1_35radix_sort_onesweep_config_selectorIisEEZZNS1_29radix_sort_onesweep_iterationIS3_Lb0EN6thrust23THRUST_200600_302600_NS10device_ptrIiEESA_NS9_IsEESB_jNS0_19identity_decomposerENS1_16block_id_wrapperIjLb1EEEEE10hipError_tT1_PNSt15iterator_traitsISG_E10value_typeET2_T3_PNSH_ISM_E10value_typeET4_T5_PSR_SS_PNS1_23onesweep_lookback_stateEbbT6_jjT7_P12ihipStream_tbENKUlT_T0_SG_SL_E_clIPiSA_PsSB_EEDaSZ_S10_SG_SL_EUlSZ_E_NS1_11comp_targetILNS1_3genE3ELNS1_11target_archE908ELNS1_3gpuE7ELNS1_3repE0EEENS1_47radix_sort_onesweep_sort_config_static_selectorELNS0_4arch9wavefront6targetE1EEEvSG_,"axG",@progbits,_ZN7rocprim17ROCPRIM_400000_NS6detail17trampoline_kernelINS0_14default_configENS1_35radix_sort_onesweep_config_selectorIisEEZZNS1_29radix_sort_onesweep_iterationIS3_Lb0EN6thrust23THRUST_200600_302600_NS10device_ptrIiEESA_NS9_IsEESB_jNS0_19identity_decomposerENS1_16block_id_wrapperIjLb1EEEEE10hipError_tT1_PNSt15iterator_traitsISG_E10value_typeET2_T3_PNSH_ISM_E10value_typeET4_T5_PSR_SS_PNS1_23onesweep_lookback_stateEbbT6_jjT7_P12ihipStream_tbENKUlT_T0_SG_SL_E_clIPiSA_PsSB_EEDaSZ_S10_SG_SL_EUlSZ_E_NS1_11comp_targetILNS1_3genE3ELNS1_11target_archE908ELNS1_3gpuE7ELNS1_3repE0EEENS1_47radix_sort_onesweep_sort_config_static_selectorELNS0_4arch9wavefront6targetE1EEEvSG_,comdat
.Lfunc_end2463:
	.size	_ZN7rocprim17ROCPRIM_400000_NS6detail17trampoline_kernelINS0_14default_configENS1_35radix_sort_onesweep_config_selectorIisEEZZNS1_29radix_sort_onesweep_iterationIS3_Lb0EN6thrust23THRUST_200600_302600_NS10device_ptrIiEESA_NS9_IsEESB_jNS0_19identity_decomposerENS1_16block_id_wrapperIjLb1EEEEE10hipError_tT1_PNSt15iterator_traitsISG_E10value_typeET2_T3_PNSH_ISM_E10value_typeET4_T5_PSR_SS_PNS1_23onesweep_lookback_stateEbbT6_jjT7_P12ihipStream_tbENKUlT_T0_SG_SL_E_clIPiSA_PsSB_EEDaSZ_S10_SG_SL_EUlSZ_E_NS1_11comp_targetILNS1_3genE3ELNS1_11target_archE908ELNS1_3gpuE7ELNS1_3repE0EEENS1_47radix_sort_onesweep_sort_config_static_selectorELNS0_4arch9wavefront6targetE1EEEvSG_, .Lfunc_end2463-_ZN7rocprim17ROCPRIM_400000_NS6detail17trampoline_kernelINS0_14default_configENS1_35radix_sort_onesweep_config_selectorIisEEZZNS1_29radix_sort_onesweep_iterationIS3_Lb0EN6thrust23THRUST_200600_302600_NS10device_ptrIiEESA_NS9_IsEESB_jNS0_19identity_decomposerENS1_16block_id_wrapperIjLb1EEEEE10hipError_tT1_PNSt15iterator_traitsISG_E10value_typeET2_T3_PNSH_ISM_E10value_typeET4_T5_PSR_SS_PNS1_23onesweep_lookback_stateEbbT6_jjT7_P12ihipStream_tbENKUlT_T0_SG_SL_E_clIPiSA_PsSB_EEDaSZ_S10_SG_SL_EUlSZ_E_NS1_11comp_targetILNS1_3genE3ELNS1_11target_archE908ELNS1_3gpuE7ELNS1_3repE0EEENS1_47radix_sort_onesweep_sort_config_static_selectorELNS0_4arch9wavefront6targetE1EEEvSG_
                                        ; -- End function
	.set _ZN7rocprim17ROCPRIM_400000_NS6detail17trampoline_kernelINS0_14default_configENS1_35radix_sort_onesweep_config_selectorIisEEZZNS1_29radix_sort_onesweep_iterationIS3_Lb0EN6thrust23THRUST_200600_302600_NS10device_ptrIiEESA_NS9_IsEESB_jNS0_19identity_decomposerENS1_16block_id_wrapperIjLb1EEEEE10hipError_tT1_PNSt15iterator_traitsISG_E10value_typeET2_T3_PNSH_ISM_E10value_typeET4_T5_PSR_SS_PNS1_23onesweep_lookback_stateEbbT6_jjT7_P12ihipStream_tbENKUlT_T0_SG_SL_E_clIPiSA_PsSB_EEDaSZ_S10_SG_SL_EUlSZ_E_NS1_11comp_targetILNS1_3genE3ELNS1_11target_archE908ELNS1_3gpuE7ELNS1_3repE0EEENS1_47radix_sort_onesweep_sort_config_static_selectorELNS0_4arch9wavefront6targetE1EEEvSG_.num_vgpr, 0
	.set _ZN7rocprim17ROCPRIM_400000_NS6detail17trampoline_kernelINS0_14default_configENS1_35radix_sort_onesweep_config_selectorIisEEZZNS1_29radix_sort_onesweep_iterationIS3_Lb0EN6thrust23THRUST_200600_302600_NS10device_ptrIiEESA_NS9_IsEESB_jNS0_19identity_decomposerENS1_16block_id_wrapperIjLb1EEEEE10hipError_tT1_PNSt15iterator_traitsISG_E10value_typeET2_T3_PNSH_ISM_E10value_typeET4_T5_PSR_SS_PNS1_23onesweep_lookback_stateEbbT6_jjT7_P12ihipStream_tbENKUlT_T0_SG_SL_E_clIPiSA_PsSB_EEDaSZ_S10_SG_SL_EUlSZ_E_NS1_11comp_targetILNS1_3genE3ELNS1_11target_archE908ELNS1_3gpuE7ELNS1_3repE0EEENS1_47radix_sort_onesweep_sort_config_static_selectorELNS0_4arch9wavefront6targetE1EEEvSG_.num_agpr, 0
	.set _ZN7rocprim17ROCPRIM_400000_NS6detail17trampoline_kernelINS0_14default_configENS1_35radix_sort_onesweep_config_selectorIisEEZZNS1_29radix_sort_onesweep_iterationIS3_Lb0EN6thrust23THRUST_200600_302600_NS10device_ptrIiEESA_NS9_IsEESB_jNS0_19identity_decomposerENS1_16block_id_wrapperIjLb1EEEEE10hipError_tT1_PNSt15iterator_traitsISG_E10value_typeET2_T3_PNSH_ISM_E10value_typeET4_T5_PSR_SS_PNS1_23onesweep_lookback_stateEbbT6_jjT7_P12ihipStream_tbENKUlT_T0_SG_SL_E_clIPiSA_PsSB_EEDaSZ_S10_SG_SL_EUlSZ_E_NS1_11comp_targetILNS1_3genE3ELNS1_11target_archE908ELNS1_3gpuE7ELNS1_3repE0EEENS1_47radix_sort_onesweep_sort_config_static_selectorELNS0_4arch9wavefront6targetE1EEEvSG_.numbered_sgpr, 0
	.set _ZN7rocprim17ROCPRIM_400000_NS6detail17trampoline_kernelINS0_14default_configENS1_35radix_sort_onesweep_config_selectorIisEEZZNS1_29radix_sort_onesweep_iterationIS3_Lb0EN6thrust23THRUST_200600_302600_NS10device_ptrIiEESA_NS9_IsEESB_jNS0_19identity_decomposerENS1_16block_id_wrapperIjLb1EEEEE10hipError_tT1_PNSt15iterator_traitsISG_E10value_typeET2_T3_PNSH_ISM_E10value_typeET4_T5_PSR_SS_PNS1_23onesweep_lookback_stateEbbT6_jjT7_P12ihipStream_tbENKUlT_T0_SG_SL_E_clIPiSA_PsSB_EEDaSZ_S10_SG_SL_EUlSZ_E_NS1_11comp_targetILNS1_3genE3ELNS1_11target_archE908ELNS1_3gpuE7ELNS1_3repE0EEENS1_47radix_sort_onesweep_sort_config_static_selectorELNS0_4arch9wavefront6targetE1EEEvSG_.num_named_barrier, 0
	.set _ZN7rocprim17ROCPRIM_400000_NS6detail17trampoline_kernelINS0_14default_configENS1_35radix_sort_onesweep_config_selectorIisEEZZNS1_29radix_sort_onesweep_iterationIS3_Lb0EN6thrust23THRUST_200600_302600_NS10device_ptrIiEESA_NS9_IsEESB_jNS0_19identity_decomposerENS1_16block_id_wrapperIjLb1EEEEE10hipError_tT1_PNSt15iterator_traitsISG_E10value_typeET2_T3_PNSH_ISM_E10value_typeET4_T5_PSR_SS_PNS1_23onesweep_lookback_stateEbbT6_jjT7_P12ihipStream_tbENKUlT_T0_SG_SL_E_clIPiSA_PsSB_EEDaSZ_S10_SG_SL_EUlSZ_E_NS1_11comp_targetILNS1_3genE3ELNS1_11target_archE908ELNS1_3gpuE7ELNS1_3repE0EEENS1_47radix_sort_onesweep_sort_config_static_selectorELNS0_4arch9wavefront6targetE1EEEvSG_.private_seg_size, 0
	.set _ZN7rocprim17ROCPRIM_400000_NS6detail17trampoline_kernelINS0_14default_configENS1_35radix_sort_onesweep_config_selectorIisEEZZNS1_29radix_sort_onesweep_iterationIS3_Lb0EN6thrust23THRUST_200600_302600_NS10device_ptrIiEESA_NS9_IsEESB_jNS0_19identity_decomposerENS1_16block_id_wrapperIjLb1EEEEE10hipError_tT1_PNSt15iterator_traitsISG_E10value_typeET2_T3_PNSH_ISM_E10value_typeET4_T5_PSR_SS_PNS1_23onesweep_lookback_stateEbbT6_jjT7_P12ihipStream_tbENKUlT_T0_SG_SL_E_clIPiSA_PsSB_EEDaSZ_S10_SG_SL_EUlSZ_E_NS1_11comp_targetILNS1_3genE3ELNS1_11target_archE908ELNS1_3gpuE7ELNS1_3repE0EEENS1_47radix_sort_onesweep_sort_config_static_selectorELNS0_4arch9wavefront6targetE1EEEvSG_.uses_vcc, 0
	.set _ZN7rocprim17ROCPRIM_400000_NS6detail17trampoline_kernelINS0_14default_configENS1_35radix_sort_onesweep_config_selectorIisEEZZNS1_29radix_sort_onesweep_iterationIS3_Lb0EN6thrust23THRUST_200600_302600_NS10device_ptrIiEESA_NS9_IsEESB_jNS0_19identity_decomposerENS1_16block_id_wrapperIjLb1EEEEE10hipError_tT1_PNSt15iterator_traitsISG_E10value_typeET2_T3_PNSH_ISM_E10value_typeET4_T5_PSR_SS_PNS1_23onesweep_lookback_stateEbbT6_jjT7_P12ihipStream_tbENKUlT_T0_SG_SL_E_clIPiSA_PsSB_EEDaSZ_S10_SG_SL_EUlSZ_E_NS1_11comp_targetILNS1_3genE3ELNS1_11target_archE908ELNS1_3gpuE7ELNS1_3repE0EEENS1_47radix_sort_onesweep_sort_config_static_selectorELNS0_4arch9wavefront6targetE1EEEvSG_.uses_flat_scratch, 0
	.set _ZN7rocprim17ROCPRIM_400000_NS6detail17trampoline_kernelINS0_14default_configENS1_35radix_sort_onesweep_config_selectorIisEEZZNS1_29radix_sort_onesweep_iterationIS3_Lb0EN6thrust23THRUST_200600_302600_NS10device_ptrIiEESA_NS9_IsEESB_jNS0_19identity_decomposerENS1_16block_id_wrapperIjLb1EEEEE10hipError_tT1_PNSt15iterator_traitsISG_E10value_typeET2_T3_PNSH_ISM_E10value_typeET4_T5_PSR_SS_PNS1_23onesweep_lookback_stateEbbT6_jjT7_P12ihipStream_tbENKUlT_T0_SG_SL_E_clIPiSA_PsSB_EEDaSZ_S10_SG_SL_EUlSZ_E_NS1_11comp_targetILNS1_3genE3ELNS1_11target_archE908ELNS1_3gpuE7ELNS1_3repE0EEENS1_47radix_sort_onesweep_sort_config_static_selectorELNS0_4arch9wavefront6targetE1EEEvSG_.has_dyn_sized_stack, 0
	.set _ZN7rocprim17ROCPRIM_400000_NS6detail17trampoline_kernelINS0_14default_configENS1_35radix_sort_onesweep_config_selectorIisEEZZNS1_29radix_sort_onesweep_iterationIS3_Lb0EN6thrust23THRUST_200600_302600_NS10device_ptrIiEESA_NS9_IsEESB_jNS0_19identity_decomposerENS1_16block_id_wrapperIjLb1EEEEE10hipError_tT1_PNSt15iterator_traitsISG_E10value_typeET2_T3_PNSH_ISM_E10value_typeET4_T5_PSR_SS_PNS1_23onesweep_lookback_stateEbbT6_jjT7_P12ihipStream_tbENKUlT_T0_SG_SL_E_clIPiSA_PsSB_EEDaSZ_S10_SG_SL_EUlSZ_E_NS1_11comp_targetILNS1_3genE3ELNS1_11target_archE908ELNS1_3gpuE7ELNS1_3repE0EEENS1_47radix_sort_onesweep_sort_config_static_selectorELNS0_4arch9wavefront6targetE1EEEvSG_.has_recursion, 0
	.set _ZN7rocprim17ROCPRIM_400000_NS6detail17trampoline_kernelINS0_14default_configENS1_35radix_sort_onesweep_config_selectorIisEEZZNS1_29radix_sort_onesweep_iterationIS3_Lb0EN6thrust23THRUST_200600_302600_NS10device_ptrIiEESA_NS9_IsEESB_jNS0_19identity_decomposerENS1_16block_id_wrapperIjLb1EEEEE10hipError_tT1_PNSt15iterator_traitsISG_E10value_typeET2_T3_PNSH_ISM_E10value_typeET4_T5_PSR_SS_PNS1_23onesweep_lookback_stateEbbT6_jjT7_P12ihipStream_tbENKUlT_T0_SG_SL_E_clIPiSA_PsSB_EEDaSZ_S10_SG_SL_EUlSZ_E_NS1_11comp_targetILNS1_3genE3ELNS1_11target_archE908ELNS1_3gpuE7ELNS1_3repE0EEENS1_47radix_sort_onesweep_sort_config_static_selectorELNS0_4arch9wavefront6targetE1EEEvSG_.has_indirect_call, 0
	.section	.AMDGPU.csdata,"",@progbits
; Kernel info:
; codeLenInByte = 0
; TotalNumSgprs: 6
; NumVgprs: 0
; NumAgprs: 0
; TotalNumVgprs: 0
; ScratchSize: 0
; MemoryBound: 0
; FloatMode: 240
; IeeeMode: 1
; LDSByteSize: 0 bytes/workgroup (compile time only)
; SGPRBlocks: 0
; VGPRBlocks: 0
; NumSGPRsForWavesPerEU: 6
; NumVGPRsForWavesPerEU: 1
; AccumOffset: 4
; Occupancy: 8
; WaveLimiterHint : 0
; COMPUTE_PGM_RSRC2:SCRATCH_EN: 0
; COMPUTE_PGM_RSRC2:USER_SGPR: 2
; COMPUTE_PGM_RSRC2:TRAP_HANDLER: 0
; COMPUTE_PGM_RSRC2:TGID_X_EN: 1
; COMPUTE_PGM_RSRC2:TGID_Y_EN: 0
; COMPUTE_PGM_RSRC2:TGID_Z_EN: 0
; COMPUTE_PGM_RSRC2:TIDIG_COMP_CNT: 0
; COMPUTE_PGM_RSRC3_GFX90A:ACCUM_OFFSET: 0
; COMPUTE_PGM_RSRC3_GFX90A:TG_SPLIT: 0
	.section	.text._ZN7rocprim17ROCPRIM_400000_NS6detail17trampoline_kernelINS0_14default_configENS1_35radix_sort_onesweep_config_selectorIisEEZZNS1_29radix_sort_onesweep_iterationIS3_Lb0EN6thrust23THRUST_200600_302600_NS10device_ptrIiEESA_NS9_IsEESB_jNS0_19identity_decomposerENS1_16block_id_wrapperIjLb1EEEEE10hipError_tT1_PNSt15iterator_traitsISG_E10value_typeET2_T3_PNSH_ISM_E10value_typeET4_T5_PSR_SS_PNS1_23onesweep_lookback_stateEbbT6_jjT7_P12ihipStream_tbENKUlT_T0_SG_SL_E_clIPiSA_PsSB_EEDaSZ_S10_SG_SL_EUlSZ_E_NS1_11comp_targetILNS1_3genE10ELNS1_11target_archE1201ELNS1_3gpuE5ELNS1_3repE0EEENS1_47radix_sort_onesweep_sort_config_static_selectorELNS0_4arch9wavefront6targetE1EEEvSG_,"axG",@progbits,_ZN7rocprim17ROCPRIM_400000_NS6detail17trampoline_kernelINS0_14default_configENS1_35radix_sort_onesweep_config_selectorIisEEZZNS1_29radix_sort_onesweep_iterationIS3_Lb0EN6thrust23THRUST_200600_302600_NS10device_ptrIiEESA_NS9_IsEESB_jNS0_19identity_decomposerENS1_16block_id_wrapperIjLb1EEEEE10hipError_tT1_PNSt15iterator_traitsISG_E10value_typeET2_T3_PNSH_ISM_E10value_typeET4_T5_PSR_SS_PNS1_23onesweep_lookback_stateEbbT6_jjT7_P12ihipStream_tbENKUlT_T0_SG_SL_E_clIPiSA_PsSB_EEDaSZ_S10_SG_SL_EUlSZ_E_NS1_11comp_targetILNS1_3genE10ELNS1_11target_archE1201ELNS1_3gpuE5ELNS1_3repE0EEENS1_47radix_sort_onesweep_sort_config_static_selectorELNS0_4arch9wavefront6targetE1EEEvSG_,comdat
	.protected	_ZN7rocprim17ROCPRIM_400000_NS6detail17trampoline_kernelINS0_14default_configENS1_35radix_sort_onesweep_config_selectorIisEEZZNS1_29radix_sort_onesweep_iterationIS3_Lb0EN6thrust23THRUST_200600_302600_NS10device_ptrIiEESA_NS9_IsEESB_jNS0_19identity_decomposerENS1_16block_id_wrapperIjLb1EEEEE10hipError_tT1_PNSt15iterator_traitsISG_E10value_typeET2_T3_PNSH_ISM_E10value_typeET4_T5_PSR_SS_PNS1_23onesweep_lookback_stateEbbT6_jjT7_P12ihipStream_tbENKUlT_T0_SG_SL_E_clIPiSA_PsSB_EEDaSZ_S10_SG_SL_EUlSZ_E_NS1_11comp_targetILNS1_3genE10ELNS1_11target_archE1201ELNS1_3gpuE5ELNS1_3repE0EEENS1_47radix_sort_onesweep_sort_config_static_selectorELNS0_4arch9wavefront6targetE1EEEvSG_ ; -- Begin function _ZN7rocprim17ROCPRIM_400000_NS6detail17trampoline_kernelINS0_14default_configENS1_35radix_sort_onesweep_config_selectorIisEEZZNS1_29radix_sort_onesweep_iterationIS3_Lb0EN6thrust23THRUST_200600_302600_NS10device_ptrIiEESA_NS9_IsEESB_jNS0_19identity_decomposerENS1_16block_id_wrapperIjLb1EEEEE10hipError_tT1_PNSt15iterator_traitsISG_E10value_typeET2_T3_PNSH_ISM_E10value_typeET4_T5_PSR_SS_PNS1_23onesweep_lookback_stateEbbT6_jjT7_P12ihipStream_tbENKUlT_T0_SG_SL_E_clIPiSA_PsSB_EEDaSZ_S10_SG_SL_EUlSZ_E_NS1_11comp_targetILNS1_3genE10ELNS1_11target_archE1201ELNS1_3gpuE5ELNS1_3repE0EEENS1_47radix_sort_onesweep_sort_config_static_selectorELNS0_4arch9wavefront6targetE1EEEvSG_
	.globl	_ZN7rocprim17ROCPRIM_400000_NS6detail17trampoline_kernelINS0_14default_configENS1_35radix_sort_onesweep_config_selectorIisEEZZNS1_29radix_sort_onesweep_iterationIS3_Lb0EN6thrust23THRUST_200600_302600_NS10device_ptrIiEESA_NS9_IsEESB_jNS0_19identity_decomposerENS1_16block_id_wrapperIjLb1EEEEE10hipError_tT1_PNSt15iterator_traitsISG_E10value_typeET2_T3_PNSH_ISM_E10value_typeET4_T5_PSR_SS_PNS1_23onesweep_lookback_stateEbbT6_jjT7_P12ihipStream_tbENKUlT_T0_SG_SL_E_clIPiSA_PsSB_EEDaSZ_S10_SG_SL_EUlSZ_E_NS1_11comp_targetILNS1_3genE10ELNS1_11target_archE1201ELNS1_3gpuE5ELNS1_3repE0EEENS1_47radix_sort_onesweep_sort_config_static_selectorELNS0_4arch9wavefront6targetE1EEEvSG_
	.p2align	8
	.type	_ZN7rocprim17ROCPRIM_400000_NS6detail17trampoline_kernelINS0_14default_configENS1_35radix_sort_onesweep_config_selectorIisEEZZNS1_29radix_sort_onesweep_iterationIS3_Lb0EN6thrust23THRUST_200600_302600_NS10device_ptrIiEESA_NS9_IsEESB_jNS0_19identity_decomposerENS1_16block_id_wrapperIjLb1EEEEE10hipError_tT1_PNSt15iterator_traitsISG_E10value_typeET2_T3_PNSH_ISM_E10value_typeET4_T5_PSR_SS_PNS1_23onesweep_lookback_stateEbbT6_jjT7_P12ihipStream_tbENKUlT_T0_SG_SL_E_clIPiSA_PsSB_EEDaSZ_S10_SG_SL_EUlSZ_E_NS1_11comp_targetILNS1_3genE10ELNS1_11target_archE1201ELNS1_3gpuE5ELNS1_3repE0EEENS1_47radix_sort_onesweep_sort_config_static_selectorELNS0_4arch9wavefront6targetE1EEEvSG_,@function
_ZN7rocprim17ROCPRIM_400000_NS6detail17trampoline_kernelINS0_14default_configENS1_35radix_sort_onesweep_config_selectorIisEEZZNS1_29radix_sort_onesweep_iterationIS3_Lb0EN6thrust23THRUST_200600_302600_NS10device_ptrIiEESA_NS9_IsEESB_jNS0_19identity_decomposerENS1_16block_id_wrapperIjLb1EEEEE10hipError_tT1_PNSt15iterator_traitsISG_E10value_typeET2_T3_PNSH_ISM_E10value_typeET4_T5_PSR_SS_PNS1_23onesweep_lookback_stateEbbT6_jjT7_P12ihipStream_tbENKUlT_T0_SG_SL_E_clIPiSA_PsSB_EEDaSZ_S10_SG_SL_EUlSZ_E_NS1_11comp_targetILNS1_3genE10ELNS1_11target_archE1201ELNS1_3gpuE5ELNS1_3repE0EEENS1_47radix_sort_onesweep_sort_config_static_selectorELNS0_4arch9wavefront6targetE1EEEvSG_: ; @_ZN7rocprim17ROCPRIM_400000_NS6detail17trampoline_kernelINS0_14default_configENS1_35radix_sort_onesweep_config_selectorIisEEZZNS1_29radix_sort_onesweep_iterationIS3_Lb0EN6thrust23THRUST_200600_302600_NS10device_ptrIiEESA_NS9_IsEESB_jNS0_19identity_decomposerENS1_16block_id_wrapperIjLb1EEEEE10hipError_tT1_PNSt15iterator_traitsISG_E10value_typeET2_T3_PNSH_ISM_E10value_typeET4_T5_PSR_SS_PNS1_23onesweep_lookback_stateEbbT6_jjT7_P12ihipStream_tbENKUlT_T0_SG_SL_E_clIPiSA_PsSB_EEDaSZ_S10_SG_SL_EUlSZ_E_NS1_11comp_targetILNS1_3genE10ELNS1_11target_archE1201ELNS1_3gpuE5ELNS1_3repE0EEENS1_47radix_sort_onesweep_sort_config_static_selectorELNS0_4arch9wavefront6targetE1EEEvSG_
; %bb.0:
	.section	.rodata,"a",@progbits
	.p2align	6, 0x0
	.amdhsa_kernel _ZN7rocprim17ROCPRIM_400000_NS6detail17trampoline_kernelINS0_14default_configENS1_35radix_sort_onesweep_config_selectorIisEEZZNS1_29radix_sort_onesweep_iterationIS3_Lb0EN6thrust23THRUST_200600_302600_NS10device_ptrIiEESA_NS9_IsEESB_jNS0_19identity_decomposerENS1_16block_id_wrapperIjLb1EEEEE10hipError_tT1_PNSt15iterator_traitsISG_E10value_typeET2_T3_PNSH_ISM_E10value_typeET4_T5_PSR_SS_PNS1_23onesweep_lookback_stateEbbT6_jjT7_P12ihipStream_tbENKUlT_T0_SG_SL_E_clIPiSA_PsSB_EEDaSZ_S10_SG_SL_EUlSZ_E_NS1_11comp_targetILNS1_3genE10ELNS1_11target_archE1201ELNS1_3gpuE5ELNS1_3repE0EEENS1_47radix_sort_onesweep_sort_config_static_selectorELNS0_4arch9wavefront6targetE1EEEvSG_
		.amdhsa_group_segment_fixed_size 0
		.amdhsa_private_segment_fixed_size 0
		.amdhsa_kernarg_size 88
		.amdhsa_user_sgpr_count 2
		.amdhsa_user_sgpr_dispatch_ptr 0
		.amdhsa_user_sgpr_queue_ptr 0
		.amdhsa_user_sgpr_kernarg_segment_ptr 1
		.amdhsa_user_sgpr_dispatch_id 0
		.amdhsa_user_sgpr_kernarg_preload_length 0
		.amdhsa_user_sgpr_kernarg_preload_offset 0
		.amdhsa_user_sgpr_private_segment_size 0
		.amdhsa_uses_dynamic_stack 0
		.amdhsa_enable_private_segment 0
		.amdhsa_system_sgpr_workgroup_id_x 1
		.amdhsa_system_sgpr_workgroup_id_y 0
		.amdhsa_system_sgpr_workgroup_id_z 0
		.amdhsa_system_sgpr_workgroup_info 0
		.amdhsa_system_vgpr_workitem_id 0
		.amdhsa_next_free_vgpr 1
		.amdhsa_next_free_sgpr 0
		.amdhsa_accum_offset 4
		.amdhsa_reserve_vcc 0
		.amdhsa_float_round_mode_32 0
		.amdhsa_float_round_mode_16_64 0
		.amdhsa_float_denorm_mode_32 3
		.amdhsa_float_denorm_mode_16_64 3
		.amdhsa_dx10_clamp 1
		.amdhsa_ieee_mode 1
		.amdhsa_fp16_overflow 0
		.amdhsa_tg_split 0
		.amdhsa_exception_fp_ieee_invalid_op 0
		.amdhsa_exception_fp_denorm_src 0
		.amdhsa_exception_fp_ieee_div_zero 0
		.amdhsa_exception_fp_ieee_overflow 0
		.amdhsa_exception_fp_ieee_underflow 0
		.amdhsa_exception_fp_ieee_inexact 0
		.amdhsa_exception_int_div_zero 0
	.end_amdhsa_kernel
	.section	.text._ZN7rocprim17ROCPRIM_400000_NS6detail17trampoline_kernelINS0_14default_configENS1_35radix_sort_onesweep_config_selectorIisEEZZNS1_29radix_sort_onesweep_iterationIS3_Lb0EN6thrust23THRUST_200600_302600_NS10device_ptrIiEESA_NS9_IsEESB_jNS0_19identity_decomposerENS1_16block_id_wrapperIjLb1EEEEE10hipError_tT1_PNSt15iterator_traitsISG_E10value_typeET2_T3_PNSH_ISM_E10value_typeET4_T5_PSR_SS_PNS1_23onesweep_lookback_stateEbbT6_jjT7_P12ihipStream_tbENKUlT_T0_SG_SL_E_clIPiSA_PsSB_EEDaSZ_S10_SG_SL_EUlSZ_E_NS1_11comp_targetILNS1_3genE10ELNS1_11target_archE1201ELNS1_3gpuE5ELNS1_3repE0EEENS1_47radix_sort_onesweep_sort_config_static_selectorELNS0_4arch9wavefront6targetE1EEEvSG_,"axG",@progbits,_ZN7rocprim17ROCPRIM_400000_NS6detail17trampoline_kernelINS0_14default_configENS1_35radix_sort_onesweep_config_selectorIisEEZZNS1_29radix_sort_onesweep_iterationIS3_Lb0EN6thrust23THRUST_200600_302600_NS10device_ptrIiEESA_NS9_IsEESB_jNS0_19identity_decomposerENS1_16block_id_wrapperIjLb1EEEEE10hipError_tT1_PNSt15iterator_traitsISG_E10value_typeET2_T3_PNSH_ISM_E10value_typeET4_T5_PSR_SS_PNS1_23onesweep_lookback_stateEbbT6_jjT7_P12ihipStream_tbENKUlT_T0_SG_SL_E_clIPiSA_PsSB_EEDaSZ_S10_SG_SL_EUlSZ_E_NS1_11comp_targetILNS1_3genE10ELNS1_11target_archE1201ELNS1_3gpuE5ELNS1_3repE0EEENS1_47radix_sort_onesweep_sort_config_static_selectorELNS0_4arch9wavefront6targetE1EEEvSG_,comdat
.Lfunc_end2464:
	.size	_ZN7rocprim17ROCPRIM_400000_NS6detail17trampoline_kernelINS0_14default_configENS1_35radix_sort_onesweep_config_selectorIisEEZZNS1_29radix_sort_onesweep_iterationIS3_Lb0EN6thrust23THRUST_200600_302600_NS10device_ptrIiEESA_NS9_IsEESB_jNS0_19identity_decomposerENS1_16block_id_wrapperIjLb1EEEEE10hipError_tT1_PNSt15iterator_traitsISG_E10value_typeET2_T3_PNSH_ISM_E10value_typeET4_T5_PSR_SS_PNS1_23onesweep_lookback_stateEbbT6_jjT7_P12ihipStream_tbENKUlT_T0_SG_SL_E_clIPiSA_PsSB_EEDaSZ_S10_SG_SL_EUlSZ_E_NS1_11comp_targetILNS1_3genE10ELNS1_11target_archE1201ELNS1_3gpuE5ELNS1_3repE0EEENS1_47radix_sort_onesweep_sort_config_static_selectorELNS0_4arch9wavefront6targetE1EEEvSG_, .Lfunc_end2464-_ZN7rocprim17ROCPRIM_400000_NS6detail17trampoline_kernelINS0_14default_configENS1_35radix_sort_onesweep_config_selectorIisEEZZNS1_29radix_sort_onesweep_iterationIS3_Lb0EN6thrust23THRUST_200600_302600_NS10device_ptrIiEESA_NS9_IsEESB_jNS0_19identity_decomposerENS1_16block_id_wrapperIjLb1EEEEE10hipError_tT1_PNSt15iterator_traitsISG_E10value_typeET2_T3_PNSH_ISM_E10value_typeET4_T5_PSR_SS_PNS1_23onesweep_lookback_stateEbbT6_jjT7_P12ihipStream_tbENKUlT_T0_SG_SL_E_clIPiSA_PsSB_EEDaSZ_S10_SG_SL_EUlSZ_E_NS1_11comp_targetILNS1_3genE10ELNS1_11target_archE1201ELNS1_3gpuE5ELNS1_3repE0EEENS1_47radix_sort_onesweep_sort_config_static_selectorELNS0_4arch9wavefront6targetE1EEEvSG_
                                        ; -- End function
	.set _ZN7rocprim17ROCPRIM_400000_NS6detail17trampoline_kernelINS0_14default_configENS1_35radix_sort_onesweep_config_selectorIisEEZZNS1_29radix_sort_onesweep_iterationIS3_Lb0EN6thrust23THRUST_200600_302600_NS10device_ptrIiEESA_NS9_IsEESB_jNS0_19identity_decomposerENS1_16block_id_wrapperIjLb1EEEEE10hipError_tT1_PNSt15iterator_traitsISG_E10value_typeET2_T3_PNSH_ISM_E10value_typeET4_T5_PSR_SS_PNS1_23onesweep_lookback_stateEbbT6_jjT7_P12ihipStream_tbENKUlT_T0_SG_SL_E_clIPiSA_PsSB_EEDaSZ_S10_SG_SL_EUlSZ_E_NS1_11comp_targetILNS1_3genE10ELNS1_11target_archE1201ELNS1_3gpuE5ELNS1_3repE0EEENS1_47radix_sort_onesweep_sort_config_static_selectorELNS0_4arch9wavefront6targetE1EEEvSG_.num_vgpr, 0
	.set _ZN7rocprim17ROCPRIM_400000_NS6detail17trampoline_kernelINS0_14default_configENS1_35radix_sort_onesweep_config_selectorIisEEZZNS1_29radix_sort_onesweep_iterationIS3_Lb0EN6thrust23THRUST_200600_302600_NS10device_ptrIiEESA_NS9_IsEESB_jNS0_19identity_decomposerENS1_16block_id_wrapperIjLb1EEEEE10hipError_tT1_PNSt15iterator_traitsISG_E10value_typeET2_T3_PNSH_ISM_E10value_typeET4_T5_PSR_SS_PNS1_23onesweep_lookback_stateEbbT6_jjT7_P12ihipStream_tbENKUlT_T0_SG_SL_E_clIPiSA_PsSB_EEDaSZ_S10_SG_SL_EUlSZ_E_NS1_11comp_targetILNS1_3genE10ELNS1_11target_archE1201ELNS1_3gpuE5ELNS1_3repE0EEENS1_47radix_sort_onesweep_sort_config_static_selectorELNS0_4arch9wavefront6targetE1EEEvSG_.num_agpr, 0
	.set _ZN7rocprim17ROCPRIM_400000_NS6detail17trampoline_kernelINS0_14default_configENS1_35radix_sort_onesweep_config_selectorIisEEZZNS1_29radix_sort_onesweep_iterationIS3_Lb0EN6thrust23THRUST_200600_302600_NS10device_ptrIiEESA_NS9_IsEESB_jNS0_19identity_decomposerENS1_16block_id_wrapperIjLb1EEEEE10hipError_tT1_PNSt15iterator_traitsISG_E10value_typeET2_T3_PNSH_ISM_E10value_typeET4_T5_PSR_SS_PNS1_23onesweep_lookback_stateEbbT6_jjT7_P12ihipStream_tbENKUlT_T0_SG_SL_E_clIPiSA_PsSB_EEDaSZ_S10_SG_SL_EUlSZ_E_NS1_11comp_targetILNS1_3genE10ELNS1_11target_archE1201ELNS1_3gpuE5ELNS1_3repE0EEENS1_47radix_sort_onesweep_sort_config_static_selectorELNS0_4arch9wavefront6targetE1EEEvSG_.numbered_sgpr, 0
	.set _ZN7rocprim17ROCPRIM_400000_NS6detail17trampoline_kernelINS0_14default_configENS1_35radix_sort_onesweep_config_selectorIisEEZZNS1_29radix_sort_onesweep_iterationIS3_Lb0EN6thrust23THRUST_200600_302600_NS10device_ptrIiEESA_NS9_IsEESB_jNS0_19identity_decomposerENS1_16block_id_wrapperIjLb1EEEEE10hipError_tT1_PNSt15iterator_traitsISG_E10value_typeET2_T3_PNSH_ISM_E10value_typeET4_T5_PSR_SS_PNS1_23onesweep_lookback_stateEbbT6_jjT7_P12ihipStream_tbENKUlT_T0_SG_SL_E_clIPiSA_PsSB_EEDaSZ_S10_SG_SL_EUlSZ_E_NS1_11comp_targetILNS1_3genE10ELNS1_11target_archE1201ELNS1_3gpuE5ELNS1_3repE0EEENS1_47radix_sort_onesweep_sort_config_static_selectorELNS0_4arch9wavefront6targetE1EEEvSG_.num_named_barrier, 0
	.set _ZN7rocprim17ROCPRIM_400000_NS6detail17trampoline_kernelINS0_14default_configENS1_35radix_sort_onesweep_config_selectorIisEEZZNS1_29radix_sort_onesweep_iterationIS3_Lb0EN6thrust23THRUST_200600_302600_NS10device_ptrIiEESA_NS9_IsEESB_jNS0_19identity_decomposerENS1_16block_id_wrapperIjLb1EEEEE10hipError_tT1_PNSt15iterator_traitsISG_E10value_typeET2_T3_PNSH_ISM_E10value_typeET4_T5_PSR_SS_PNS1_23onesweep_lookback_stateEbbT6_jjT7_P12ihipStream_tbENKUlT_T0_SG_SL_E_clIPiSA_PsSB_EEDaSZ_S10_SG_SL_EUlSZ_E_NS1_11comp_targetILNS1_3genE10ELNS1_11target_archE1201ELNS1_3gpuE5ELNS1_3repE0EEENS1_47radix_sort_onesweep_sort_config_static_selectorELNS0_4arch9wavefront6targetE1EEEvSG_.private_seg_size, 0
	.set _ZN7rocprim17ROCPRIM_400000_NS6detail17trampoline_kernelINS0_14default_configENS1_35radix_sort_onesweep_config_selectorIisEEZZNS1_29radix_sort_onesweep_iterationIS3_Lb0EN6thrust23THRUST_200600_302600_NS10device_ptrIiEESA_NS9_IsEESB_jNS0_19identity_decomposerENS1_16block_id_wrapperIjLb1EEEEE10hipError_tT1_PNSt15iterator_traitsISG_E10value_typeET2_T3_PNSH_ISM_E10value_typeET4_T5_PSR_SS_PNS1_23onesweep_lookback_stateEbbT6_jjT7_P12ihipStream_tbENKUlT_T0_SG_SL_E_clIPiSA_PsSB_EEDaSZ_S10_SG_SL_EUlSZ_E_NS1_11comp_targetILNS1_3genE10ELNS1_11target_archE1201ELNS1_3gpuE5ELNS1_3repE0EEENS1_47radix_sort_onesweep_sort_config_static_selectorELNS0_4arch9wavefront6targetE1EEEvSG_.uses_vcc, 0
	.set _ZN7rocprim17ROCPRIM_400000_NS6detail17trampoline_kernelINS0_14default_configENS1_35radix_sort_onesweep_config_selectorIisEEZZNS1_29radix_sort_onesweep_iterationIS3_Lb0EN6thrust23THRUST_200600_302600_NS10device_ptrIiEESA_NS9_IsEESB_jNS0_19identity_decomposerENS1_16block_id_wrapperIjLb1EEEEE10hipError_tT1_PNSt15iterator_traitsISG_E10value_typeET2_T3_PNSH_ISM_E10value_typeET4_T5_PSR_SS_PNS1_23onesweep_lookback_stateEbbT6_jjT7_P12ihipStream_tbENKUlT_T0_SG_SL_E_clIPiSA_PsSB_EEDaSZ_S10_SG_SL_EUlSZ_E_NS1_11comp_targetILNS1_3genE10ELNS1_11target_archE1201ELNS1_3gpuE5ELNS1_3repE0EEENS1_47radix_sort_onesweep_sort_config_static_selectorELNS0_4arch9wavefront6targetE1EEEvSG_.uses_flat_scratch, 0
	.set _ZN7rocprim17ROCPRIM_400000_NS6detail17trampoline_kernelINS0_14default_configENS1_35radix_sort_onesweep_config_selectorIisEEZZNS1_29radix_sort_onesweep_iterationIS3_Lb0EN6thrust23THRUST_200600_302600_NS10device_ptrIiEESA_NS9_IsEESB_jNS0_19identity_decomposerENS1_16block_id_wrapperIjLb1EEEEE10hipError_tT1_PNSt15iterator_traitsISG_E10value_typeET2_T3_PNSH_ISM_E10value_typeET4_T5_PSR_SS_PNS1_23onesweep_lookback_stateEbbT6_jjT7_P12ihipStream_tbENKUlT_T0_SG_SL_E_clIPiSA_PsSB_EEDaSZ_S10_SG_SL_EUlSZ_E_NS1_11comp_targetILNS1_3genE10ELNS1_11target_archE1201ELNS1_3gpuE5ELNS1_3repE0EEENS1_47radix_sort_onesweep_sort_config_static_selectorELNS0_4arch9wavefront6targetE1EEEvSG_.has_dyn_sized_stack, 0
	.set _ZN7rocprim17ROCPRIM_400000_NS6detail17trampoline_kernelINS0_14default_configENS1_35radix_sort_onesweep_config_selectorIisEEZZNS1_29radix_sort_onesweep_iterationIS3_Lb0EN6thrust23THRUST_200600_302600_NS10device_ptrIiEESA_NS9_IsEESB_jNS0_19identity_decomposerENS1_16block_id_wrapperIjLb1EEEEE10hipError_tT1_PNSt15iterator_traitsISG_E10value_typeET2_T3_PNSH_ISM_E10value_typeET4_T5_PSR_SS_PNS1_23onesweep_lookback_stateEbbT6_jjT7_P12ihipStream_tbENKUlT_T0_SG_SL_E_clIPiSA_PsSB_EEDaSZ_S10_SG_SL_EUlSZ_E_NS1_11comp_targetILNS1_3genE10ELNS1_11target_archE1201ELNS1_3gpuE5ELNS1_3repE0EEENS1_47radix_sort_onesweep_sort_config_static_selectorELNS0_4arch9wavefront6targetE1EEEvSG_.has_recursion, 0
	.set _ZN7rocprim17ROCPRIM_400000_NS6detail17trampoline_kernelINS0_14default_configENS1_35radix_sort_onesweep_config_selectorIisEEZZNS1_29radix_sort_onesweep_iterationIS3_Lb0EN6thrust23THRUST_200600_302600_NS10device_ptrIiEESA_NS9_IsEESB_jNS0_19identity_decomposerENS1_16block_id_wrapperIjLb1EEEEE10hipError_tT1_PNSt15iterator_traitsISG_E10value_typeET2_T3_PNSH_ISM_E10value_typeET4_T5_PSR_SS_PNS1_23onesweep_lookback_stateEbbT6_jjT7_P12ihipStream_tbENKUlT_T0_SG_SL_E_clIPiSA_PsSB_EEDaSZ_S10_SG_SL_EUlSZ_E_NS1_11comp_targetILNS1_3genE10ELNS1_11target_archE1201ELNS1_3gpuE5ELNS1_3repE0EEENS1_47radix_sort_onesweep_sort_config_static_selectorELNS0_4arch9wavefront6targetE1EEEvSG_.has_indirect_call, 0
	.section	.AMDGPU.csdata,"",@progbits
; Kernel info:
; codeLenInByte = 0
; TotalNumSgprs: 6
; NumVgprs: 0
; NumAgprs: 0
; TotalNumVgprs: 0
; ScratchSize: 0
; MemoryBound: 0
; FloatMode: 240
; IeeeMode: 1
; LDSByteSize: 0 bytes/workgroup (compile time only)
; SGPRBlocks: 0
; VGPRBlocks: 0
; NumSGPRsForWavesPerEU: 6
; NumVGPRsForWavesPerEU: 1
; AccumOffset: 4
; Occupancy: 8
; WaveLimiterHint : 0
; COMPUTE_PGM_RSRC2:SCRATCH_EN: 0
; COMPUTE_PGM_RSRC2:USER_SGPR: 2
; COMPUTE_PGM_RSRC2:TRAP_HANDLER: 0
; COMPUTE_PGM_RSRC2:TGID_X_EN: 1
; COMPUTE_PGM_RSRC2:TGID_Y_EN: 0
; COMPUTE_PGM_RSRC2:TGID_Z_EN: 0
; COMPUTE_PGM_RSRC2:TIDIG_COMP_CNT: 0
; COMPUTE_PGM_RSRC3_GFX90A:ACCUM_OFFSET: 0
; COMPUTE_PGM_RSRC3_GFX90A:TG_SPLIT: 0
	.section	.text._ZN7rocprim17ROCPRIM_400000_NS6detail17trampoline_kernelINS0_14default_configENS1_35radix_sort_onesweep_config_selectorIisEEZZNS1_29radix_sort_onesweep_iterationIS3_Lb0EN6thrust23THRUST_200600_302600_NS10device_ptrIiEESA_NS9_IsEESB_jNS0_19identity_decomposerENS1_16block_id_wrapperIjLb1EEEEE10hipError_tT1_PNSt15iterator_traitsISG_E10value_typeET2_T3_PNSH_ISM_E10value_typeET4_T5_PSR_SS_PNS1_23onesweep_lookback_stateEbbT6_jjT7_P12ihipStream_tbENKUlT_T0_SG_SL_E_clIPiSA_PsSB_EEDaSZ_S10_SG_SL_EUlSZ_E_NS1_11comp_targetILNS1_3genE9ELNS1_11target_archE1100ELNS1_3gpuE3ELNS1_3repE0EEENS1_47radix_sort_onesweep_sort_config_static_selectorELNS0_4arch9wavefront6targetE1EEEvSG_,"axG",@progbits,_ZN7rocprim17ROCPRIM_400000_NS6detail17trampoline_kernelINS0_14default_configENS1_35radix_sort_onesweep_config_selectorIisEEZZNS1_29radix_sort_onesweep_iterationIS3_Lb0EN6thrust23THRUST_200600_302600_NS10device_ptrIiEESA_NS9_IsEESB_jNS0_19identity_decomposerENS1_16block_id_wrapperIjLb1EEEEE10hipError_tT1_PNSt15iterator_traitsISG_E10value_typeET2_T3_PNSH_ISM_E10value_typeET4_T5_PSR_SS_PNS1_23onesweep_lookback_stateEbbT6_jjT7_P12ihipStream_tbENKUlT_T0_SG_SL_E_clIPiSA_PsSB_EEDaSZ_S10_SG_SL_EUlSZ_E_NS1_11comp_targetILNS1_3genE9ELNS1_11target_archE1100ELNS1_3gpuE3ELNS1_3repE0EEENS1_47radix_sort_onesweep_sort_config_static_selectorELNS0_4arch9wavefront6targetE1EEEvSG_,comdat
	.protected	_ZN7rocprim17ROCPRIM_400000_NS6detail17trampoline_kernelINS0_14default_configENS1_35radix_sort_onesweep_config_selectorIisEEZZNS1_29radix_sort_onesweep_iterationIS3_Lb0EN6thrust23THRUST_200600_302600_NS10device_ptrIiEESA_NS9_IsEESB_jNS0_19identity_decomposerENS1_16block_id_wrapperIjLb1EEEEE10hipError_tT1_PNSt15iterator_traitsISG_E10value_typeET2_T3_PNSH_ISM_E10value_typeET4_T5_PSR_SS_PNS1_23onesweep_lookback_stateEbbT6_jjT7_P12ihipStream_tbENKUlT_T0_SG_SL_E_clIPiSA_PsSB_EEDaSZ_S10_SG_SL_EUlSZ_E_NS1_11comp_targetILNS1_3genE9ELNS1_11target_archE1100ELNS1_3gpuE3ELNS1_3repE0EEENS1_47radix_sort_onesweep_sort_config_static_selectorELNS0_4arch9wavefront6targetE1EEEvSG_ ; -- Begin function _ZN7rocprim17ROCPRIM_400000_NS6detail17trampoline_kernelINS0_14default_configENS1_35radix_sort_onesweep_config_selectorIisEEZZNS1_29radix_sort_onesweep_iterationIS3_Lb0EN6thrust23THRUST_200600_302600_NS10device_ptrIiEESA_NS9_IsEESB_jNS0_19identity_decomposerENS1_16block_id_wrapperIjLb1EEEEE10hipError_tT1_PNSt15iterator_traitsISG_E10value_typeET2_T3_PNSH_ISM_E10value_typeET4_T5_PSR_SS_PNS1_23onesweep_lookback_stateEbbT6_jjT7_P12ihipStream_tbENKUlT_T0_SG_SL_E_clIPiSA_PsSB_EEDaSZ_S10_SG_SL_EUlSZ_E_NS1_11comp_targetILNS1_3genE9ELNS1_11target_archE1100ELNS1_3gpuE3ELNS1_3repE0EEENS1_47radix_sort_onesweep_sort_config_static_selectorELNS0_4arch9wavefront6targetE1EEEvSG_
	.globl	_ZN7rocprim17ROCPRIM_400000_NS6detail17trampoline_kernelINS0_14default_configENS1_35radix_sort_onesweep_config_selectorIisEEZZNS1_29radix_sort_onesweep_iterationIS3_Lb0EN6thrust23THRUST_200600_302600_NS10device_ptrIiEESA_NS9_IsEESB_jNS0_19identity_decomposerENS1_16block_id_wrapperIjLb1EEEEE10hipError_tT1_PNSt15iterator_traitsISG_E10value_typeET2_T3_PNSH_ISM_E10value_typeET4_T5_PSR_SS_PNS1_23onesweep_lookback_stateEbbT6_jjT7_P12ihipStream_tbENKUlT_T0_SG_SL_E_clIPiSA_PsSB_EEDaSZ_S10_SG_SL_EUlSZ_E_NS1_11comp_targetILNS1_3genE9ELNS1_11target_archE1100ELNS1_3gpuE3ELNS1_3repE0EEENS1_47radix_sort_onesweep_sort_config_static_selectorELNS0_4arch9wavefront6targetE1EEEvSG_
	.p2align	8
	.type	_ZN7rocprim17ROCPRIM_400000_NS6detail17trampoline_kernelINS0_14default_configENS1_35radix_sort_onesweep_config_selectorIisEEZZNS1_29radix_sort_onesweep_iterationIS3_Lb0EN6thrust23THRUST_200600_302600_NS10device_ptrIiEESA_NS9_IsEESB_jNS0_19identity_decomposerENS1_16block_id_wrapperIjLb1EEEEE10hipError_tT1_PNSt15iterator_traitsISG_E10value_typeET2_T3_PNSH_ISM_E10value_typeET4_T5_PSR_SS_PNS1_23onesweep_lookback_stateEbbT6_jjT7_P12ihipStream_tbENKUlT_T0_SG_SL_E_clIPiSA_PsSB_EEDaSZ_S10_SG_SL_EUlSZ_E_NS1_11comp_targetILNS1_3genE9ELNS1_11target_archE1100ELNS1_3gpuE3ELNS1_3repE0EEENS1_47radix_sort_onesweep_sort_config_static_selectorELNS0_4arch9wavefront6targetE1EEEvSG_,@function
_ZN7rocprim17ROCPRIM_400000_NS6detail17trampoline_kernelINS0_14default_configENS1_35radix_sort_onesweep_config_selectorIisEEZZNS1_29radix_sort_onesweep_iterationIS3_Lb0EN6thrust23THRUST_200600_302600_NS10device_ptrIiEESA_NS9_IsEESB_jNS0_19identity_decomposerENS1_16block_id_wrapperIjLb1EEEEE10hipError_tT1_PNSt15iterator_traitsISG_E10value_typeET2_T3_PNSH_ISM_E10value_typeET4_T5_PSR_SS_PNS1_23onesweep_lookback_stateEbbT6_jjT7_P12ihipStream_tbENKUlT_T0_SG_SL_E_clIPiSA_PsSB_EEDaSZ_S10_SG_SL_EUlSZ_E_NS1_11comp_targetILNS1_3genE9ELNS1_11target_archE1100ELNS1_3gpuE3ELNS1_3repE0EEENS1_47radix_sort_onesweep_sort_config_static_selectorELNS0_4arch9wavefront6targetE1EEEvSG_: ; @_ZN7rocprim17ROCPRIM_400000_NS6detail17trampoline_kernelINS0_14default_configENS1_35radix_sort_onesweep_config_selectorIisEEZZNS1_29radix_sort_onesweep_iterationIS3_Lb0EN6thrust23THRUST_200600_302600_NS10device_ptrIiEESA_NS9_IsEESB_jNS0_19identity_decomposerENS1_16block_id_wrapperIjLb1EEEEE10hipError_tT1_PNSt15iterator_traitsISG_E10value_typeET2_T3_PNSH_ISM_E10value_typeET4_T5_PSR_SS_PNS1_23onesweep_lookback_stateEbbT6_jjT7_P12ihipStream_tbENKUlT_T0_SG_SL_E_clIPiSA_PsSB_EEDaSZ_S10_SG_SL_EUlSZ_E_NS1_11comp_targetILNS1_3genE9ELNS1_11target_archE1100ELNS1_3gpuE3ELNS1_3repE0EEENS1_47radix_sort_onesweep_sort_config_static_selectorELNS0_4arch9wavefront6targetE1EEEvSG_
; %bb.0:
	.section	.rodata,"a",@progbits
	.p2align	6, 0x0
	.amdhsa_kernel _ZN7rocprim17ROCPRIM_400000_NS6detail17trampoline_kernelINS0_14default_configENS1_35radix_sort_onesweep_config_selectorIisEEZZNS1_29radix_sort_onesweep_iterationIS3_Lb0EN6thrust23THRUST_200600_302600_NS10device_ptrIiEESA_NS9_IsEESB_jNS0_19identity_decomposerENS1_16block_id_wrapperIjLb1EEEEE10hipError_tT1_PNSt15iterator_traitsISG_E10value_typeET2_T3_PNSH_ISM_E10value_typeET4_T5_PSR_SS_PNS1_23onesweep_lookback_stateEbbT6_jjT7_P12ihipStream_tbENKUlT_T0_SG_SL_E_clIPiSA_PsSB_EEDaSZ_S10_SG_SL_EUlSZ_E_NS1_11comp_targetILNS1_3genE9ELNS1_11target_archE1100ELNS1_3gpuE3ELNS1_3repE0EEENS1_47radix_sort_onesweep_sort_config_static_selectorELNS0_4arch9wavefront6targetE1EEEvSG_
		.amdhsa_group_segment_fixed_size 0
		.amdhsa_private_segment_fixed_size 0
		.amdhsa_kernarg_size 88
		.amdhsa_user_sgpr_count 2
		.amdhsa_user_sgpr_dispatch_ptr 0
		.amdhsa_user_sgpr_queue_ptr 0
		.amdhsa_user_sgpr_kernarg_segment_ptr 1
		.amdhsa_user_sgpr_dispatch_id 0
		.amdhsa_user_sgpr_kernarg_preload_length 0
		.amdhsa_user_sgpr_kernarg_preload_offset 0
		.amdhsa_user_sgpr_private_segment_size 0
		.amdhsa_uses_dynamic_stack 0
		.amdhsa_enable_private_segment 0
		.amdhsa_system_sgpr_workgroup_id_x 1
		.amdhsa_system_sgpr_workgroup_id_y 0
		.amdhsa_system_sgpr_workgroup_id_z 0
		.amdhsa_system_sgpr_workgroup_info 0
		.amdhsa_system_vgpr_workitem_id 0
		.amdhsa_next_free_vgpr 1
		.amdhsa_next_free_sgpr 0
		.amdhsa_accum_offset 4
		.amdhsa_reserve_vcc 0
		.amdhsa_float_round_mode_32 0
		.amdhsa_float_round_mode_16_64 0
		.amdhsa_float_denorm_mode_32 3
		.amdhsa_float_denorm_mode_16_64 3
		.amdhsa_dx10_clamp 1
		.amdhsa_ieee_mode 1
		.amdhsa_fp16_overflow 0
		.amdhsa_tg_split 0
		.amdhsa_exception_fp_ieee_invalid_op 0
		.amdhsa_exception_fp_denorm_src 0
		.amdhsa_exception_fp_ieee_div_zero 0
		.amdhsa_exception_fp_ieee_overflow 0
		.amdhsa_exception_fp_ieee_underflow 0
		.amdhsa_exception_fp_ieee_inexact 0
		.amdhsa_exception_int_div_zero 0
	.end_amdhsa_kernel
	.section	.text._ZN7rocprim17ROCPRIM_400000_NS6detail17trampoline_kernelINS0_14default_configENS1_35radix_sort_onesweep_config_selectorIisEEZZNS1_29radix_sort_onesweep_iterationIS3_Lb0EN6thrust23THRUST_200600_302600_NS10device_ptrIiEESA_NS9_IsEESB_jNS0_19identity_decomposerENS1_16block_id_wrapperIjLb1EEEEE10hipError_tT1_PNSt15iterator_traitsISG_E10value_typeET2_T3_PNSH_ISM_E10value_typeET4_T5_PSR_SS_PNS1_23onesweep_lookback_stateEbbT6_jjT7_P12ihipStream_tbENKUlT_T0_SG_SL_E_clIPiSA_PsSB_EEDaSZ_S10_SG_SL_EUlSZ_E_NS1_11comp_targetILNS1_3genE9ELNS1_11target_archE1100ELNS1_3gpuE3ELNS1_3repE0EEENS1_47radix_sort_onesweep_sort_config_static_selectorELNS0_4arch9wavefront6targetE1EEEvSG_,"axG",@progbits,_ZN7rocprim17ROCPRIM_400000_NS6detail17trampoline_kernelINS0_14default_configENS1_35radix_sort_onesweep_config_selectorIisEEZZNS1_29radix_sort_onesweep_iterationIS3_Lb0EN6thrust23THRUST_200600_302600_NS10device_ptrIiEESA_NS9_IsEESB_jNS0_19identity_decomposerENS1_16block_id_wrapperIjLb1EEEEE10hipError_tT1_PNSt15iterator_traitsISG_E10value_typeET2_T3_PNSH_ISM_E10value_typeET4_T5_PSR_SS_PNS1_23onesweep_lookback_stateEbbT6_jjT7_P12ihipStream_tbENKUlT_T0_SG_SL_E_clIPiSA_PsSB_EEDaSZ_S10_SG_SL_EUlSZ_E_NS1_11comp_targetILNS1_3genE9ELNS1_11target_archE1100ELNS1_3gpuE3ELNS1_3repE0EEENS1_47radix_sort_onesweep_sort_config_static_selectorELNS0_4arch9wavefront6targetE1EEEvSG_,comdat
.Lfunc_end2465:
	.size	_ZN7rocprim17ROCPRIM_400000_NS6detail17trampoline_kernelINS0_14default_configENS1_35radix_sort_onesweep_config_selectorIisEEZZNS1_29radix_sort_onesweep_iterationIS3_Lb0EN6thrust23THRUST_200600_302600_NS10device_ptrIiEESA_NS9_IsEESB_jNS0_19identity_decomposerENS1_16block_id_wrapperIjLb1EEEEE10hipError_tT1_PNSt15iterator_traitsISG_E10value_typeET2_T3_PNSH_ISM_E10value_typeET4_T5_PSR_SS_PNS1_23onesweep_lookback_stateEbbT6_jjT7_P12ihipStream_tbENKUlT_T0_SG_SL_E_clIPiSA_PsSB_EEDaSZ_S10_SG_SL_EUlSZ_E_NS1_11comp_targetILNS1_3genE9ELNS1_11target_archE1100ELNS1_3gpuE3ELNS1_3repE0EEENS1_47radix_sort_onesweep_sort_config_static_selectorELNS0_4arch9wavefront6targetE1EEEvSG_, .Lfunc_end2465-_ZN7rocprim17ROCPRIM_400000_NS6detail17trampoline_kernelINS0_14default_configENS1_35radix_sort_onesweep_config_selectorIisEEZZNS1_29radix_sort_onesweep_iterationIS3_Lb0EN6thrust23THRUST_200600_302600_NS10device_ptrIiEESA_NS9_IsEESB_jNS0_19identity_decomposerENS1_16block_id_wrapperIjLb1EEEEE10hipError_tT1_PNSt15iterator_traitsISG_E10value_typeET2_T3_PNSH_ISM_E10value_typeET4_T5_PSR_SS_PNS1_23onesweep_lookback_stateEbbT6_jjT7_P12ihipStream_tbENKUlT_T0_SG_SL_E_clIPiSA_PsSB_EEDaSZ_S10_SG_SL_EUlSZ_E_NS1_11comp_targetILNS1_3genE9ELNS1_11target_archE1100ELNS1_3gpuE3ELNS1_3repE0EEENS1_47radix_sort_onesweep_sort_config_static_selectorELNS0_4arch9wavefront6targetE1EEEvSG_
                                        ; -- End function
	.set _ZN7rocprim17ROCPRIM_400000_NS6detail17trampoline_kernelINS0_14default_configENS1_35radix_sort_onesweep_config_selectorIisEEZZNS1_29radix_sort_onesweep_iterationIS3_Lb0EN6thrust23THRUST_200600_302600_NS10device_ptrIiEESA_NS9_IsEESB_jNS0_19identity_decomposerENS1_16block_id_wrapperIjLb1EEEEE10hipError_tT1_PNSt15iterator_traitsISG_E10value_typeET2_T3_PNSH_ISM_E10value_typeET4_T5_PSR_SS_PNS1_23onesweep_lookback_stateEbbT6_jjT7_P12ihipStream_tbENKUlT_T0_SG_SL_E_clIPiSA_PsSB_EEDaSZ_S10_SG_SL_EUlSZ_E_NS1_11comp_targetILNS1_3genE9ELNS1_11target_archE1100ELNS1_3gpuE3ELNS1_3repE0EEENS1_47radix_sort_onesweep_sort_config_static_selectorELNS0_4arch9wavefront6targetE1EEEvSG_.num_vgpr, 0
	.set _ZN7rocprim17ROCPRIM_400000_NS6detail17trampoline_kernelINS0_14default_configENS1_35radix_sort_onesweep_config_selectorIisEEZZNS1_29radix_sort_onesweep_iterationIS3_Lb0EN6thrust23THRUST_200600_302600_NS10device_ptrIiEESA_NS9_IsEESB_jNS0_19identity_decomposerENS1_16block_id_wrapperIjLb1EEEEE10hipError_tT1_PNSt15iterator_traitsISG_E10value_typeET2_T3_PNSH_ISM_E10value_typeET4_T5_PSR_SS_PNS1_23onesweep_lookback_stateEbbT6_jjT7_P12ihipStream_tbENKUlT_T0_SG_SL_E_clIPiSA_PsSB_EEDaSZ_S10_SG_SL_EUlSZ_E_NS1_11comp_targetILNS1_3genE9ELNS1_11target_archE1100ELNS1_3gpuE3ELNS1_3repE0EEENS1_47radix_sort_onesweep_sort_config_static_selectorELNS0_4arch9wavefront6targetE1EEEvSG_.num_agpr, 0
	.set _ZN7rocprim17ROCPRIM_400000_NS6detail17trampoline_kernelINS0_14default_configENS1_35radix_sort_onesweep_config_selectorIisEEZZNS1_29radix_sort_onesweep_iterationIS3_Lb0EN6thrust23THRUST_200600_302600_NS10device_ptrIiEESA_NS9_IsEESB_jNS0_19identity_decomposerENS1_16block_id_wrapperIjLb1EEEEE10hipError_tT1_PNSt15iterator_traitsISG_E10value_typeET2_T3_PNSH_ISM_E10value_typeET4_T5_PSR_SS_PNS1_23onesweep_lookback_stateEbbT6_jjT7_P12ihipStream_tbENKUlT_T0_SG_SL_E_clIPiSA_PsSB_EEDaSZ_S10_SG_SL_EUlSZ_E_NS1_11comp_targetILNS1_3genE9ELNS1_11target_archE1100ELNS1_3gpuE3ELNS1_3repE0EEENS1_47radix_sort_onesweep_sort_config_static_selectorELNS0_4arch9wavefront6targetE1EEEvSG_.numbered_sgpr, 0
	.set _ZN7rocprim17ROCPRIM_400000_NS6detail17trampoline_kernelINS0_14default_configENS1_35radix_sort_onesweep_config_selectorIisEEZZNS1_29radix_sort_onesweep_iterationIS3_Lb0EN6thrust23THRUST_200600_302600_NS10device_ptrIiEESA_NS9_IsEESB_jNS0_19identity_decomposerENS1_16block_id_wrapperIjLb1EEEEE10hipError_tT1_PNSt15iterator_traitsISG_E10value_typeET2_T3_PNSH_ISM_E10value_typeET4_T5_PSR_SS_PNS1_23onesweep_lookback_stateEbbT6_jjT7_P12ihipStream_tbENKUlT_T0_SG_SL_E_clIPiSA_PsSB_EEDaSZ_S10_SG_SL_EUlSZ_E_NS1_11comp_targetILNS1_3genE9ELNS1_11target_archE1100ELNS1_3gpuE3ELNS1_3repE0EEENS1_47radix_sort_onesweep_sort_config_static_selectorELNS0_4arch9wavefront6targetE1EEEvSG_.num_named_barrier, 0
	.set _ZN7rocprim17ROCPRIM_400000_NS6detail17trampoline_kernelINS0_14default_configENS1_35radix_sort_onesweep_config_selectorIisEEZZNS1_29radix_sort_onesweep_iterationIS3_Lb0EN6thrust23THRUST_200600_302600_NS10device_ptrIiEESA_NS9_IsEESB_jNS0_19identity_decomposerENS1_16block_id_wrapperIjLb1EEEEE10hipError_tT1_PNSt15iterator_traitsISG_E10value_typeET2_T3_PNSH_ISM_E10value_typeET4_T5_PSR_SS_PNS1_23onesweep_lookback_stateEbbT6_jjT7_P12ihipStream_tbENKUlT_T0_SG_SL_E_clIPiSA_PsSB_EEDaSZ_S10_SG_SL_EUlSZ_E_NS1_11comp_targetILNS1_3genE9ELNS1_11target_archE1100ELNS1_3gpuE3ELNS1_3repE0EEENS1_47radix_sort_onesweep_sort_config_static_selectorELNS0_4arch9wavefront6targetE1EEEvSG_.private_seg_size, 0
	.set _ZN7rocprim17ROCPRIM_400000_NS6detail17trampoline_kernelINS0_14default_configENS1_35radix_sort_onesweep_config_selectorIisEEZZNS1_29radix_sort_onesweep_iterationIS3_Lb0EN6thrust23THRUST_200600_302600_NS10device_ptrIiEESA_NS9_IsEESB_jNS0_19identity_decomposerENS1_16block_id_wrapperIjLb1EEEEE10hipError_tT1_PNSt15iterator_traitsISG_E10value_typeET2_T3_PNSH_ISM_E10value_typeET4_T5_PSR_SS_PNS1_23onesweep_lookback_stateEbbT6_jjT7_P12ihipStream_tbENKUlT_T0_SG_SL_E_clIPiSA_PsSB_EEDaSZ_S10_SG_SL_EUlSZ_E_NS1_11comp_targetILNS1_3genE9ELNS1_11target_archE1100ELNS1_3gpuE3ELNS1_3repE0EEENS1_47radix_sort_onesweep_sort_config_static_selectorELNS0_4arch9wavefront6targetE1EEEvSG_.uses_vcc, 0
	.set _ZN7rocprim17ROCPRIM_400000_NS6detail17trampoline_kernelINS0_14default_configENS1_35radix_sort_onesweep_config_selectorIisEEZZNS1_29radix_sort_onesweep_iterationIS3_Lb0EN6thrust23THRUST_200600_302600_NS10device_ptrIiEESA_NS9_IsEESB_jNS0_19identity_decomposerENS1_16block_id_wrapperIjLb1EEEEE10hipError_tT1_PNSt15iterator_traitsISG_E10value_typeET2_T3_PNSH_ISM_E10value_typeET4_T5_PSR_SS_PNS1_23onesweep_lookback_stateEbbT6_jjT7_P12ihipStream_tbENKUlT_T0_SG_SL_E_clIPiSA_PsSB_EEDaSZ_S10_SG_SL_EUlSZ_E_NS1_11comp_targetILNS1_3genE9ELNS1_11target_archE1100ELNS1_3gpuE3ELNS1_3repE0EEENS1_47radix_sort_onesweep_sort_config_static_selectorELNS0_4arch9wavefront6targetE1EEEvSG_.uses_flat_scratch, 0
	.set _ZN7rocprim17ROCPRIM_400000_NS6detail17trampoline_kernelINS0_14default_configENS1_35radix_sort_onesweep_config_selectorIisEEZZNS1_29radix_sort_onesweep_iterationIS3_Lb0EN6thrust23THRUST_200600_302600_NS10device_ptrIiEESA_NS9_IsEESB_jNS0_19identity_decomposerENS1_16block_id_wrapperIjLb1EEEEE10hipError_tT1_PNSt15iterator_traitsISG_E10value_typeET2_T3_PNSH_ISM_E10value_typeET4_T5_PSR_SS_PNS1_23onesweep_lookback_stateEbbT6_jjT7_P12ihipStream_tbENKUlT_T0_SG_SL_E_clIPiSA_PsSB_EEDaSZ_S10_SG_SL_EUlSZ_E_NS1_11comp_targetILNS1_3genE9ELNS1_11target_archE1100ELNS1_3gpuE3ELNS1_3repE0EEENS1_47radix_sort_onesweep_sort_config_static_selectorELNS0_4arch9wavefront6targetE1EEEvSG_.has_dyn_sized_stack, 0
	.set _ZN7rocprim17ROCPRIM_400000_NS6detail17trampoline_kernelINS0_14default_configENS1_35radix_sort_onesweep_config_selectorIisEEZZNS1_29radix_sort_onesweep_iterationIS3_Lb0EN6thrust23THRUST_200600_302600_NS10device_ptrIiEESA_NS9_IsEESB_jNS0_19identity_decomposerENS1_16block_id_wrapperIjLb1EEEEE10hipError_tT1_PNSt15iterator_traitsISG_E10value_typeET2_T3_PNSH_ISM_E10value_typeET4_T5_PSR_SS_PNS1_23onesweep_lookback_stateEbbT6_jjT7_P12ihipStream_tbENKUlT_T0_SG_SL_E_clIPiSA_PsSB_EEDaSZ_S10_SG_SL_EUlSZ_E_NS1_11comp_targetILNS1_3genE9ELNS1_11target_archE1100ELNS1_3gpuE3ELNS1_3repE0EEENS1_47radix_sort_onesweep_sort_config_static_selectorELNS0_4arch9wavefront6targetE1EEEvSG_.has_recursion, 0
	.set _ZN7rocprim17ROCPRIM_400000_NS6detail17trampoline_kernelINS0_14default_configENS1_35radix_sort_onesweep_config_selectorIisEEZZNS1_29radix_sort_onesweep_iterationIS3_Lb0EN6thrust23THRUST_200600_302600_NS10device_ptrIiEESA_NS9_IsEESB_jNS0_19identity_decomposerENS1_16block_id_wrapperIjLb1EEEEE10hipError_tT1_PNSt15iterator_traitsISG_E10value_typeET2_T3_PNSH_ISM_E10value_typeET4_T5_PSR_SS_PNS1_23onesweep_lookback_stateEbbT6_jjT7_P12ihipStream_tbENKUlT_T0_SG_SL_E_clIPiSA_PsSB_EEDaSZ_S10_SG_SL_EUlSZ_E_NS1_11comp_targetILNS1_3genE9ELNS1_11target_archE1100ELNS1_3gpuE3ELNS1_3repE0EEENS1_47radix_sort_onesweep_sort_config_static_selectorELNS0_4arch9wavefront6targetE1EEEvSG_.has_indirect_call, 0
	.section	.AMDGPU.csdata,"",@progbits
; Kernel info:
; codeLenInByte = 0
; TotalNumSgprs: 6
; NumVgprs: 0
; NumAgprs: 0
; TotalNumVgprs: 0
; ScratchSize: 0
; MemoryBound: 0
; FloatMode: 240
; IeeeMode: 1
; LDSByteSize: 0 bytes/workgroup (compile time only)
; SGPRBlocks: 0
; VGPRBlocks: 0
; NumSGPRsForWavesPerEU: 6
; NumVGPRsForWavesPerEU: 1
; AccumOffset: 4
; Occupancy: 8
; WaveLimiterHint : 0
; COMPUTE_PGM_RSRC2:SCRATCH_EN: 0
; COMPUTE_PGM_RSRC2:USER_SGPR: 2
; COMPUTE_PGM_RSRC2:TRAP_HANDLER: 0
; COMPUTE_PGM_RSRC2:TGID_X_EN: 1
; COMPUTE_PGM_RSRC2:TGID_Y_EN: 0
; COMPUTE_PGM_RSRC2:TGID_Z_EN: 0
; COMPUTE_PGM_RSRC2:TIDIG_COMP_CNT: 0
; COMPUTE_PGM_RSRC3_GFX90A:ACCUM_OFFSET: 0
; COMPUTE_PGM_RSRC3_GFX90A:TG_SPLIT: 0
	.section	.text._ZN7rocprim17ROCPRIM_400000_NS6detail17trampoline_kernelINS0_14default_configENS1_35radix_sort_onesweep_config_selectorIisEEZZNS1_29radix_sort_onesweep_iterationIS3_Lb0EN6thrust23THRUST_200600_302600_NS10device_ptrIiEESA_NS9_IsEESB_jNS0_19identity_decomposerENS1_16block_id_wrapperIjLb1EEEEE10hipError_tT1_PNSt15iterator_traitsISG_E10value_typeET2_T3_PNSH_ISM_E10value_typeET4_T5_PSR_SS_PNS1_23onesweep_lookback_stateEbbT6_jjT7_P12ihipStream_tbENKUlT_T0_SG_SL_E_clIPiSA_PsSB_EEDaSZ_S10_SG_SL_EUlSZ_E_NS1_11comp_targetILNS1_3genE8ELNS1_11target_archE1030ELNS1_3gpuE2ELNS1_3repE0EEENS1_47radix_sort_onesweep_sort_config_static_selectorELNS0_4arch9wavefront6targetE1EEEvSG_,"axG",@progbits,_ZN7rocprim17ROCPRIM_400000_NS6detail17trampoline_kernelINS0_14default_configENS1_35radix_sort_onesweep_config_selectorIisEEZZNS1_29radix_sort_onesweep_iterationIS3_Lb0EN6thrust23THRUST_200600_302600_NS10device_ptrIiEESA_NS9_IsEESB_jNS0_19identity_decomposerENS1_16block_id_wrapperIjLb1EEEEE10hipError_tT1_PNSt15iterator_traitsISG_E10value_typeET2_T3_PNSH_ISM_E10value_typeET4_T5_PSR_SS_PNS1_23onesweep_lookback_stateEbbT6_jjT7_P12ihipStream_tbENKUlT_T0_SG_SL_E_clIPiSA_PsSB_EEDaSZ_S10_SG_SL_EUlSZ_E_NS1_11comp_targetILNS1_3genE8ELNS1_11target_archE1030ELNS1_3gpuE2ELNS1_3repE0EEENS1_47radix_sort_onesweep_sort_config_static_selectorELNS0_4arch9wavefront6targetE1EEEvSG_,comdat
	.protected	_ZN7rocprim17ROCPRIM_400000_NS6detail17trampoline_kernelINS0_14default_configENS1_35radix_sort_onesweep_config_selectorIisEEZZNS1_29radix_sort_onesweep_iterationIS3_Lb0EN6thrust23THRUST_200600_302600_NS10device_ptrIiEESA_NS9_IsEESB_jNS0_19identity_decomposerENS1_16block_id_wrapperIjLb1EEEEE10hipError_tT1_PNSt15iterator_traitsISG_E10value_typeET2_T3_PNSH_ISM_E10value_typeET4_T5_PSR_SS_PNS1_23onesweep_lookback_stateEbbT6_jjT7_P12ihipStream_tbENKUlT_T0_SG_SL_E_clIPiSA_PsSB_EEDaSZ_S10_SG_SL_EUlSZ_E_NS1_11comp_targetILNS1_3genE8ELNS1_11target_archE1030ELNS1_3gpuE2ELNS1_3repE0EEENS1_47radix_sort_onesweep_sort_config_static_selectorELNS0_4arch9wavefront6targetE1EEEvSG_ ; -- Begin function _ZN7rocprim17ROCPRIM_400000_NS6detail17trampoline_kernelINS0_14default_configENS1_35radix_sort_onesweep_config_selectorIisEEZZNS1_29radix_sort_onesweep_iterationIS3_Lb0EN6thrust23THRUST_200600_302600_NS10device_ptrIiEESA_NS9_IsEESB_jNS0_19identity_decomposerENS1_16block_id_wrapperIjLb1EEEEE10hipError_tT1_PNSt15iterator_traitsISG_E10value_typeET2_T3_PNSH_ISM_E10value_typeET4_T5_PSR_SS_PNS1_23onesweep_lookback_stateEbbT6_jjT7_P12ihipStream_tbENKUlT_T0_SG_SL_E_clIPiSA_PsSB_EEDaSZ_S10_SG_SL_EUlSZ_E_NS1_11comp_targetILNS1_3genE8ELNS1_11target_archE1030ELNS1_3gpuE2ELNS1_3repE0EEENS1_47radix_sort_onesweep_sort_config_static_selectorELNS0_4arch9wavefront6targetE1EEEvSG_
	.globl	_ZN7rocprim17ROCPRIM_400000_NS6detail17trampoline_kernelINS0_14default_configENS1_35radix_sort_onesweep_config_selectorIisEEZZNS1_29radix_sort_onesweep_iterationIS3_Lb0EN6thrust23THRUST_200600_302600_NS10device_ptrIiEESA_NS9_IsEESB_jNS0_19identity_decomposerENS1_16block_id_wrapperIjLb1EEEEE10hipError_tT1_PNSt15iterator_traitsISG_E10value_typeET2_T3_PNSH_ISM_E10value_typeET4_T5_PSR_SS_PNS1_23onesweep_lookback_stateEbbT6_jjT7_P12ihipStream_tbENKUlT_T0_SG_SL_E_clIPiSA_PsSB_EEDaSZ_S10_SG_SL_EUlSZ_E_NS1_11comp_targetILNS1_3genE8ELNS1_11target_archE1030ELNS1_3gpuE2ELNS1_3repE0EEENS1_47radix_sort_onesweep_sort_config_static_selectorELNS0_4arch9wavefront6targetE1EEEvSG_
	.p2align	8
	.type	_ZN7rocprim17ROCPRIM_400000_NS6detail17trampoline_kernelINS0_14default_configENS1_35radix_sort_onesweep_config_selectorIisEEZZNS1_29radix_sort_onesweep_iterationIS3_Lb0EN6thrust23THRUST_200600_302600_NS10device_ptrIiEESA_NS9_IsEESB_jNS0_19identity_decomposerENS1_16block_id_wrapperIjLb1EEEEE10hipError_tT1_PNSt15iterator_traitsISG_E10value_typeET2_T3_PNSH_ISM_E10value_typeET4_T5_PSR_SS_PNS1_23onesweep_lookback_stateEbbT6_jjT7_P12ihipStream_tbENKUlT_T0_SG_SL_E_clIPiSA_PsSB_EEDaSZ_S10_SG_SL_EUlSZ_E_NS1_11comp_targetILNS1_3genE8ELNS1_11target_archE1030ELNS1_3gpuE2ELNS1_3repE0EEENS1_47radix_sort_onesweep_sort_config_static_selectorELNS0_4arch9wavefront6targetE1EEEvSG_,@function
_ZN7rocprim17ROCPRIM_400000_NS6detail17trampoline_kernelINS0_14default_configENS1_35radix_sort_onesweep_config_selectorIisEEZZNS1_29radix_sort_onesweep_iterationIS3_Lb0EN6thrust23THRUST_200600_302600_NS10device_ptrIiEESA_NS9_IsEESB_jNS0_19identity_decomposerENS1_16block_id_wrapperIjLb1EEEEE10hipError_tT1_PNSt15iterator_traitsISG_E10value_typeET2_T3_PNSH_ISM_E10value_typeET4_T5_PSR_SS_PNS1_23onesweep_lookback_stateEbbT6_jjT7_P12ihipStream_tbENKUlT_T0_SG_SL_E_clIPiSA_PsSB_EEDaSZ_S10_SG_SL_EUlSZ_E_NS1_11comp_targetILNS1_3genE8ELNS1_11target_archE1030ELNS1_3gpuE2ELNS1_3repE0EEENS1_47radix_sort_onesweep_sort_config_static_selectorELNS0_4arch9wavefront6targetE1EEEvSG_: ; @_ZN7rocprim17ROCPRIM_400000_NS6detail17trampoline_kernelINS0_14default_configENS1_35radix_sort_onesweep_config_selectorIisEEZZNS1_29radix_sort_onesweep_iterationIS3_Lb0EN6thrust23THRUST_200600_302600_NS10device_ptrIiEESA_NS9_IsEESB_jNS0_19identity_decomposerENS1_16block_id_wrapperIjLb1EEEEE10hipError_tT1_PNSt15iterator_traitsISG_E10value_typeET2_T3_PNSH_ISM_E10value_typeET4_T5_PSR_SS_PNS1_23onesweep_lookback_stateEbbT6_jjT7_P12ihipStream_tbENKUlT_T0_SG_SL_E_clIPiSA_PsSB_EEDaSZ_S10_SG_SL_EUlSZ_E_NS1_11comp_targetILNS1_3genE8ELNS1_11target_archE1030ELNS1_3gpuE2ELNS1_3repE0EEENS1_47radix_sort_onesweep_sort_config_static_selectorELNS0_4arch9wavefront6targetE1EEEvSG_
; %bb.0:
	.section	.rodata,"a",@progbits
	.p2align	6, 0x0
	.amdhsa_kernel _ZN7rocprim17ROCPRIM_400000_NS6detail17trampoline_kernelINS0_14default_configENS1_35radix_sort_onesweep_config_selectorIisEEZZNS1_29radix_sort_onesweep_iterationIS3_Lb0EN6thrust23THRUST_200600_302600_NS10device_ptrIiEESA_NS9_IsEESB_jNS0_19identity_decomposerENS1_16block_id_wrapperIjLb1EEEEE10hipError_tT1_PNSt15iterator_traitsISG_E10value_typeET2_T3_PNSH_ISM_E10value_typeET4_T5_PSR_SS_PNS1_23onesweep_lookback_stateEbbT6_jjT7_P12ihipStream_tbENKUlT_T0_SG_SL_E_clIPiSA_PsSB_EEDaSZ_S10_SG_SL_EUlSZ_E_NS1_11comp_targetILNS1_3genE8ELNS1_11target_archE1030ELNS1_3gpuE2ELNS1_3repE0EEENS1_47radix_sort_onesweep_sort_config_static_selectorELNS0_4arch9wavefront6targetE1EEEvSG_
		.amdhsa_group_segment_fixed_size 0
		.amdhsa_private_segment_fixed_size 0
		.amdhsa_kernarg_size 88
		.amdhsa_user_sgpr_count 2
		.amdhsa_user_sgpr_dispatch_ptr 0
		.amdhsa_user_sgpr_queue_ptr 0
		.amdhsa_user_sgpr_kernarg_segment_ptr 1
		.amdhsa_user_sgpr_dispatch_id 0
		.amdhsa_user_sgpr_kernarg_preload_length 0
		.amdhsa_user_sgpr_kernarg_preload_offset 0
		.amdhsa_user_sgpr_private_segment_size 0
		.amdhsa_uses_dynamic_stack 0
		.amdhsa_enable_private_segment 0
		.amdhsa_system_sgpr_workgroup_id_x 1
		.amdhsa_system_sgpr_workgroup_id_y 0
		.amdhsa_system_sgpr_workgroup_id_z 0
		.amdhsa_system_sgpr_workgroup_info 0
		.amdhsa_system_vgpr_workitem_id 0
		.amdhsa_next_free_vgpr 1
		.amdhsa_next_free_sgpr 0
		.amdhsa_accum_offset 4
		.amdhsa_reserve_vcc 0
		.amdhsa_float_round_mode_32 0
		.amdhsa_float_round_mode_16_64 0
		.amdhsa_float_denorm_mode_32 3
		.amdhsa_float_denorm_mode_16_64 3
		.amdhsa_dx10_clamp 1
		.amdhsa_ieee_mode 1
		.amdhsa_fp16_overflow 0
		.amdhsa_tg_split 0
		.amdhsa_exception_fp_ieee_invalid_op 0
		.amdhsa_exception_fp_denorm_src 0
		.amdhsa_exception_fp_ieee_div_zero 0
		.amdhsa_exception_fp_ieee_overflow 0
		.amdhsa_exception_fp_ieee_underflow 0
		.amdhsa_exception_fp_ieee_inexact 0
		.amdhsa_exception_int_div_zero 0
	.end_amdhsa_kernel
	.section	.text._ZN7rocprim17ROCPRIM_400000_NS6detail17trampoline_kernelINS0_14default_configENS1_35radix_sort_onesweep_config_selectorIisEEZZNS1_29radix_sort_onesweep_iterationIS3_Lb0EN6thrust23THRUST_200600_302600_NS10device_ptrIiEESA_NS9_IsEESB_jNS0_19identity_decomposerENS1_16block_id_wrapperIjLb1EEEEE10hipError_tT1_PNSt15iterator_traitsISG_E10value_typeET2_T3_PNSH_ISM_E10value_typeET4_T5_PSR_SS_PNS1_23onesweep_lookback_stateEbbT6_jjT7_P12ihipStream_tbENKUlT_T0_SG_SL_E_clIPiSA_PsSB_EEDaSZ_S10_SG_SL_EUlSZ_E_NS1_11comp_targetILNS1_3genE8ELNS1_11target_archE1030ELNS1_3gpuE2ELNS1_3repE0EEENS1_47radix_sort_onesweep_sort_config_static_selectorELNS0_4arch9wavefront6targetE1EEEvSG_,"axG",@progbits,_ZN7rocprim17ROCPRIM_400000_NS6detail17trampoline_kernelINS0_14default_configENS1_35radix_sort_onesweep_config_selectorIisEEZZNS1_29radix_sort_onesweep_iterationIS3_Lb0EN6thrust23THRUST_200600_302600_NS10device_ptrIiEESA_NS9_IsEESB_jNS0_19identity_decomposerENS1_16block_id_wrapperIjLb1EEEEE10hipError_tT1_PNSt15iterator_traitsISG_E10value_typeET2_T3_PNSH_ISM_E10value_typeET4_T5_PSR_SS_PNS1_23onesweep_lookback_stateEbbT6_jjT7_P12ihipStream_tbENKUlT_T0_SG_SL_E_clIPiSA_PsSB_EEDaSZ_S10_SG_SL_EUlSZ_E_NS1_11comp_targetILNS1_3genE8ELNS1_11target_archE1030ELNS1_3gpuE2ELNS1_3repE0EEENS1_47radix_sort_onesweep_sort_config_static_selectorELNS0_4arch9wavefront6targetE1EEEvSG_,comdat
.Lfunc_end2466:
	.size	_ZN7rocprim17ROCPRIM_400000_NS6detail17trampoline_kernelINS0_14default_configENS1_35radix_sort_onesweep_config_selectorIisEEZZNS1_29radix_sort_onesweep_iterationIS3_Lb0EN6thrust23THRUST_200600_302600_NS10device_ptrIiEESA_NS9_IsEESB_jNS0_19identity_decomposerENS1_16block_id_wrapperIjLb1EEEEE10hipError_tT1_PNSt15iterator_traitsISG_E10value_typeET2_T3_PNSH_ISM_E10value_typeET4_T5_PSR_SS_PNS1_23onesweep_lookback_stateEbbT6_jjT7_P12ihipStream_tbENKUlT_T0_SG_SL_E_clIPiSA_PsSB_EEDaSZ_S10_SG_SL_EUlSZ_E_NS1_11comp_targetILNS1_3genE8ELNS1_11target_archE1030ELNS1_3gpuE2ELNS1_3repE0EEENS1_47radix_sort_onesweep_sort_config_static_selectorELNS0_4arch9wavefront6targetE1EEEvSG_, .Lfunc_end2466-_ZN7rocprim17ROCPRIM_400000_NS6detail17trampoline_kernelINS0_14default_configENS1_35radix_sort_onesweep_config_selectorIisEEZZNS1_29radix_sort_onesweep_iterationIS3_Lb0EN6thrust23THRUST_200600_302600_NS10device_ptrIiEESA_NS9_IsEESB_jNS0_19identity_decomposerENS1_16block_id_wrapperIjLb1EEEEE10hipError_tT1_PNSt15iterator_traitsISG_E10value_typeET2_T3_PNSH_ISM_E10value_typeET4_T5_PSR_SS_PNS1_23onesweep_lookback_stateEbbT6_jjT7_P12ihipStream_tbENKUlT_T0_SG_SL_E_clIPiSA_PsSB_EEDaSZ_S10_SG_SL_EUlSZ_E_NS1_11comp_targetILNS1_3genE8ELNS1_11target_archE1030ELNS1_3gpuE2ELNS1_3repE0EEENS1_47radix_sort_onesweep_sort_config_static_selectorELNS0_4arch9wavefront6targetE1EEEvSG_
                                        ; -- End function
	.set _ZN7rocprim17ROCPRIM_400000_NS6detail17trampoline_kernelINS0_14default_configENS1_35radix_sort_onesweep_config_selectorIisEEZZNS1_29radix_sort_onesweep_iterationIS3_Lb0EN6thrust23THRUST_200600_302600_NS10device_ptrIiEESA_NS9_IsEESB_jNS0_19identity_decomposerENS1_16block_id_wrapperIjLb1EEEEE10hipError_tT1_PNSt15iterator_traitsISG_E10value_typeET2_T3_PNSH_ISM_E10value_typeET4_T5_PSR_SS_PNS1_23onesweep_lookback_stateEbbT6_jjT7_P12ihipStream_tbENKUlT_T0_SG_SL_E_clIPiSA_PsSB_EEDaSZ_S10_SG_SL_EUlSZ_E_NS1_11comp_targetILNS1_3genE8ELNS1_11target_archE1030ELNS1_3gpuE2ELNS1_3repE0EEENS1_47radix_sort_onesweep_sort_config_static_selectorELNS0_4arch9wavefront6targetE1EEEvSG_.num_vgpr, 0
	.set _ZN7rocprim17ROCPRIM_400000_NS6detail17trampoline_kernelINS0_14default_configENS1_35radix_sort_onesweep_config_selectorIisEEZZNS1_29radix_sort_onesweep_iterationIS3_Lb0EN6thrust23THRUST_200600_302600_NS10device_ptrIiEESA_NS9_IsEESB_jNS0_19identity_decomposerENS1_16block_id_wrapperIjLb1EEEEE10hipError_tT1_PNSt15iterator_traitsISG_E10value_typeET2_T3_PNSH_ISM_E10value_typeET4_T5_PSR_SS_PNS1_23onesweep_lookback_stateEbbT6_jjT7_P12ihipStream_tbENKUlT_T0_SG_SL_E_clIPiSA_PsSB_EEDaSZ_S10_SG_SL_EUlSZ_E_NS1_11comp_targetILNS1_3genE8ELNS1_11target_archE1030ELNS1_3gpuE2ELNS1_3repE0EEENS1_47radix_sort_onesweep_sort_config_static_selectorELNS0_4arch9wavefront6targetE1EEEvSG_.num_agpr, 0
	.set _ZN7rocprim17ROCPRIM_400000_NS6detail17trampoline_kernelINS0_14default_configENS1_35radix_sort_onesweep_config_selectorIisEEZZNS1_29radix_sort_onesweep_iterationIS3_Lb0EN6thrust23THRUST_200600_302600_NS10device_ptrIiEESA_NS9_IsEESB_jNS0_19identity_decomposerENS1_16block_id_wrapperIjLb1EEEEE10hipError_tT1_PNSt15iterator_traitsISG_E10value_typeET2_T3_PNSH_ISM_E10value_typeET4_T5_PSR_SS_PNS1_23onesweep_lookback_stateEbbT6_jjT7_P12ihipStream_tbENKUlT_T0_SG_SL_E_clIPiSA_PsSB_EEDaSZ_S10_SG_SL_EUlSZ_E_NS1_11comp_targetILNS1_3genE8ELNS1_11target_archE1030ELNS1_3gpuE2ELNS1_3repE0EEENS1_47radix_sort_onesweep_sort_config_static_selectorELNS0_4arch9wavefront6targetE1EEEvSG_.numbered_sgpr, 0
	.set _ZN7rocprim17ROCPRIM_400000_NS6detail17trampoline_kernelINS0_14default_configENS1_35radix_sort_onesweep_config_selectorIisEEZZNS1_29radix_sort_onesweep_iterationIS3_Lb0EN6thrust23THRUST_200600_302600_NS10device_ptrIiEESA_NS9_IsEESB_jNS0_19identity_decomposerENS1_16block_id_wrapperIjLb1EEEEE10hipError_tT1_PNSt15iterator_traitsISG_E10value_typeET2_T3_PNSH_ISM_E10value_typeET4_T5_PSR_SS_PNS1_23onesweep_lookback_stateEbbT6_jjT7_P12ihipStream_tbENKUlT_T0_SG_SL_E_clIPiSA_PsSB_EEDaSZ_S10_SG_SL_EUlSZ_E_NS1_11comp_targetILNS1_3genE8ELNS1_11target_archE1030ELNS1_3gpuE2ELNS1_3repE0EEENS1_47radix_sort_onesweep_sort_config_static_selectorELNS0_4arch9wavefront6targetE1EEEvSG_.num_named_barrier, 0
	.set _ZN7rocprim17ROCPRIM_400000_NS6detail17trampoline_kernelINS0_14default_configENS1_35radix_sort_onesweep_config_selectorIisEEZZNS1_29radix_sort_onesweep_iterationIS3_Lb0EN6thrust23THRUST_200600_302600_NS10device_ptrIiEESA_NS9_IsEESB_jNS0_19identity_decomposerENS1_16block_id_wrapperIjLb1EEEEE10hipError_tT1_PNSt15iterator_traitsISG_E10value_typeET2_T3_PNSH_ISM_E10value_typeET4_T5_PSR_SS_PNS1_23onesweep_lookback_stateEbbT6_jjT7_P12ihipStream_tbENKUlT_T0_SG_SL_E_clIPiSA_PsSB_EEDaSZ_S10_SG_SL_EUlSZ_E_NS1_11comp_targetILNS1_3genE8ELNS1_11target_archE1030ELNS1_3gpuE2ELNS1_3repE0EEENS1_47radix_sort_onesweep_sort_config_static_selectorELNS0_4arch9wavefront6targetE1EEEvSG_.private_seg_size, 0
	.set _ZN7rocprim17ROCPRIM_400000_NS6detail17trampoline_kernelINS0_14default_configENS1_35radix_sort_onesweep_config_selectorIisEEZZNS1_29radix_sort_onesweep_iterationIS3_Lb0EN6thrust23THRUST_200600_302600_NS10device_ptrIiEESA_NS9_IsEESB_jNS0_19identity_decomposerENS1_16block_id_wrapperIjLb1EEEEE10hipError_tT1_PNSt15iterator_traitsISG_E10value_typeET2_T3_PNSH_ISM_E10value_typeET4_T5_PSR_SS_PNS1_23onesweep_lookback_stateEbbT6_jjT7_P12ihipStream_tbENKUlT_T0_SG_SL_E_clIPiSA_PsSB_EEDaSZ_S10_SG_SL_EUlSZ_E_NS1_11comp_targetILNS1_3genE8ELNS1_11target_archE1030ELNS1_3gpuE2ELNS1_3repE0EEENS1_47radix_sort_onesweep_sort_config_static_selectorELNS0_4arch9wavefront6targetE1EEEvSG_.uses_vcc, 0
	.set _ZN7rocprim17ROCPRIM_400000_NS6detail17trampoline_kernelINS0_14default_configENS1_35radix_sort_onesweep_config_selectorIisEEZZNS1_29radix_sort_onesweep_iterationIS3_Lb0EN6thrust23THRUST_200600_302600_NS10device_ptrIiEESA_NS9_IsEESB_jNS0_19identity_decomposerENS1_16block_id_wrapperIjLb1EEEEE10hipError_tT1_PNSt15iterator_traitsISG_E10value_typeET2_T3_PNSH_ISM_E10value_typeET4_T5_PSR_SS_PNS1_23onesweep_lookback_stateEbbT6_jjT7_P12ihipStream_tbENKUlT_T0_SG_SL_E_clIPiSA_PsSB_EEDaSZ_S10_SG_SL_EUlSZ_E_NS1_11comp_targetILNS1_3genE8ELNS1_11target_archE1030ELNS1_3gpuE2ELNS1_3repE0EEENS1_47radix_sort_onesweep_sort_config_static_selectorELNS0_4arch9wavefront6targetE1EEEvSG_.uses_flat_scratch, 0
	.set _ZN7rocprim17ROCPRIM_400000_NS6detail17trampoline_kernelINS0_14default_configENS1_35radix_sort_onesweep_config_selectorIisEEZZNS1_29radix_sort_onesweep_iterationIS3_Lb0EN6thrust23THRUST_200600_302600_NS10device_ptrIiEESA_NS9_IsEESB_jNS0_19identity_decomposerENS1_16block_id_wrapperIjLb1EEEEE10hipError_tT1_PNSt15iterator_traitsISG_E10value_typeET2_T3_PNSH_ISM_E10value_typeET4_T5_PSR_SS_PNS1_23onesweep_lookback_stateEbbT6_jjT7_P12ihipStream_tbENKUlT_T0_SG_SL_E_clIPiSA_PsSB_EEDaSZ_S10_SG_SL_EUlSZ_E_NS1_11comp_targetILNS1_3genE8ELNS1_11target_archE1030ELNS1_3gpuE2ELNS1_3repE0EEENS1_47radix_sort_onesweep_sort_config_static_selectorELNS0_4arch9wavefront6targetE1EEEvSG_.has_dyn_sized_stack, 0
	.set _ZN7rocprim17ROCPRIM_400000_NS6detail17trampoline_kernelINS0_14default_configENS1_35radix_sort_onesweep_config_selectorIisEEZZNS1_29radix_sort_onesweep_iterationIS3_Lb0EN6thrust23THRUST_200600_302600_NS10device_ptrIiEESA_NS9_IsEESB_jNS0_19identity_decomposerENS1_16block_id_wrapperIjLb1EEEEE10hipError_tT1_PNSt15iterator_traitsISG_E10value_typeET2_T3_PNSH_ISM_E10value_typeET4_T5_PSR_SS_PNS1_23onesweep_lookback_stateEbbT6_jjT7_P12ihipStream_tbENKUlT_T0_SG_SL_E_clIPiSA_PsSB_EEDaSZ_S10_SG_SL_EUlSZ_E_NS1_11comp_targetILNS1_3genE8ELNS1_11target_archE1030ELNS1_3gpuE2ELNS1_3repE0EEENS1_47radix_sort_onesweep_sort_config_static_selectorELNS0_4arch9wavefront6targetE1EEEvSG_.has_recursion, 0
	.set _ZN7rocprim17ROCPRIM_400000_NS6detail17trampoline_kernelINS0_14default_configENS1_35radix_sort_onesweep_config_selectorIisEEZZNS1_29radix_sort_onesweep_iterationIS3_Lb0EN6thrust23THRUST_200600_302600_NS10device_ptrIiEESA_NS9_IsEESB_jNS0_19identity_decomposerENS1_16block_id_wrapperIjLb1EEEEE10hipError_tT1_PNSt15iterator_traitsISG_E10value_typeET2_T3_PNSH_ISM_E10value_typeET4_T5_PSR_SS_PNS1_23onesweep_lookback_stateEbbT6_jjT7_P12ihipStream_tbENKUlT_T0_SG_SL_E_clIPiSA_PsSB_EEDaSZ_S10_SG_SL_EUlSZ_E_NS1_11comp_targetILNS1_3genE8ELNS1_11target_archE1030ELNS1_3gpuE2ELNS1_3repE0EEENS1_47radix_sort_onesweep_sort_config_static_selectorELNS0_4arch9wavefront6targetE1EEEvSG_.has_indirect_call, 0
	.section	.AMDGPU.csdata,"",@progbits
; Kernel info:
; codeLenInByte = 0
; TotalNumSgprs: 6
; NumVgprs: 0
; NumAgprs: 0
; TotalNumVgprs: 0
; ScratchSize: 0
; MemoryBound: 0
; FloatMode: 240
; IeeeMode: 1
; LDSByteSize: 0 bytes/workgroup (compile time only)
; SGPRBlocks: 0
; VGPRBlocks: 0
; NumSGPRsForWavesPerEU: 6
; NumVGPRsForWavesPerEU: 1
; AccumOffset: 4
; Occupancy: 8
; WaveLimiterHint : 0
; COMPUTE_PGM_RSRC2:SCRATCH_EN: 0
; COMPUTE_PGM_RSRC2:USER_SGPR: 2
; COMPUTE_PGM_RSRC2:TRAP_HANDLER: 0
; COMPUTE_PGM_RSRC2:TGID_X_EN: 1
; COMPUTE_PGM_RSRC2:TGID_Y_EN: 0
; COMPUTE_PGM_RSRC2:TGID_Z_EN: 0
; COMPUTE_PGM_RSRC2:TIDIG_COMP_CNT: 0
; COMPUTE_PGM_RSRC3_GFX90A:ACCUM_OFFSET: 0
; COMPUTE_PGM_RSRC3_GFX90A:TG_SPLIT: 0
	.section	.text._ZN7rocprim17ROCPRIM_400000_NS6detail17trampoline_kernelINS0_14default_configENS1_35radix_sort_onesweep_config_selectorIisEEZZNS1_29radix_sort_onesweep_iterationIS3_Lb0EN6thrust23THRUST_200600_302600_NS10device_ptrIiEESA_NS9_IsEESB_jNS0_19identity_decomposerENS1_16block_id_wrapperIjLb0EEEEE10hipError_tT1_PNSt15iterator_traitsISG_E10value_typeET2_T3_PNSH_ISM_E10value_typeET4_T5_PSR_SS_PNS1_23onesweep_lookback_stateEbbT6_jjT7_P12ihipStream_tbENKUlT_T0_SG_SL_E_clISA_SA_SB_SB_EEDaSZ_S10_SG_SL_EUlSZ_E_NS1_11comp_targetILNS1_3genE0ELNS1_11target_archE4294967295ELNS1_3gpuE0ELNS1_3repE0EEENS1_47radix_sort_onesweep_sort_config_static_selectorELNS0_4arch9wavefront6targetE1EEEvSG_,"axG",@progbits,_ZN7rocprim17ROCPRIM_400000_NS6detail17trampoline_kernelINS0_14default_configENS1_35radix_sort_onesweep_config_selectorIisEEZZNS1_29radix_sort_onesweep_iterationIS3_Lb0EN6thrust23THRUST_200600_302600_NS10device_ptrIiEESA_NS9_IsEESB_jNS0_19identity_decomposerENS1_16block_id_wrapperIjLb0EEEEE10hipError_tT1_PNSt15iterator_traitsISG_E10value_typeET2_T3_PNSH_ISM_E10value_typeET4_T5_PSR_SS_PNS1_23onesweep_lookback_stateEbbT6_jjT7_P12ihipStream_tbENKUlT_T0_SG_SL_E_clISA_SA_SB_SB_EEDaSZ_S10_SG_SL_EUlSZ_E_NS1_11comp_targetILNS1_3genE0ELNS1_11target_archE4294967295ELNS1_3gpuE0ELNS1_3repE0EEENS1_47radix_sort_onesweep_sort_config_static_selectorELNS0_4arch9wavefront6targetE1EEEvSG_,comdat
	.protected	_ZN7rocprim17ROCPRIM_400000_NS6detail17trampoline_kernelINS0_14default_configENS1_35radix_sort_onesweep_config_selectorIisEEZZNS1_29radix_sort_onesweep_iterationIS3_Lb0EN6thrust23THRUST_200600_302600_NS10device_ptrIiEESA_NS9_IsEESB_jNS0_19identity_decomposerENS1_16block_id_wrapperIjLb0EEEEE10hipError_tT1_PNSt15iterator_traitsISG_E10value_typeET2_T3_PNSH_ISM_E10value_typeET4_T5_PSR_SS_PNS1_23onesweep_lookback_stateEbbT6_jjT7_P12ihipStream_tbENKUlT_T0_SG_SL_E_clISA_SA_SB_SB_EEDaSZ_S10_SG_SL_EUlSZ_E_NS1_11comp_targetILNS1_3genE0ELNS1_11target_archE4294967295ELNS1_3gpuE0ELNS1_3repE0EEENS1_47radix_sort_onesweep_sort_config_static_selectorELNS0_4arch9wavefront6targetE1EEEvSG_ ; -- Begin function _ZN7rocprim17ROCPRIM_400000_NS6detail17trampoline_kernelINS0_14default_configENS1_35radix_sort_onesweep_config_selectorIisEEZZNS1_29radix_sort_onesweep_iterationIS3_Lb0EN6thrust23THRUST_200600_302600_NS10device_ptrIiEESA_NS9_IsEESB_jNS0_19identity_decomposerENS1_16block_id_wrapperIjLb0EEEEE10hipError_tT1_PNSt15iterator_traitsISG_E10value_typeET2_T3_PNSH_ISM_E10value_typeET4_T5_PSR_SS_PNS1_23onesweep_lookback_stateEbbT6_jjT7_P12ihipStream_tbENKUlT_T0_SG_SL_E_clISA_SA_SB_SB_EEDaSZ_S10_SG_SL_EUlSZ_E_NS1_11comp_targetILNS1_3genE0ELNS1_11target_archE4294967295ELNS1_3gpuE0ELNS1_3repE0EEENS1_47radix_sort_onesweep_sort_config_static_selectorELNS0_4arch9wavefront6targetE1EEEvSG_
	.globl	_ZN7rocprim17ROCPRIM_400000_NS6detail17trampoline_kernelINS0_14default_configENS1_35radix_sort_onesweep_config_selectorIisEEZZNS1_29radix_sort_onesweep_iterationIS3_Lb0EN6thrust23THRUST_200600_302600_NS10device_ptrIiEESA_NS9_IsEESB_jNS0_19identity_decomposerENS1_16block_id_wrapperIjLb0EEEEE10hipError_tT1_PNSt15iterator_traitsISG_E10value_typeET2_T3_PNSH_ISM_E10value_typeET4_T5_PSR_SS_PNS1_23onesweep_lookback_stateEbbT6_jjT7_P12ihipStream_tbENKUlT_T0_SG_SL_E_clISA_SA_SB_SB_EEDaSZ_S10_SG_SL_EUlSZ_E_NS1_11comp_targetILNS1_3genE0ELNS1_11target_archE4294967295ELNS1_3gpuE0ELNS1_3repE0EEENS1_47radix_sort_onesweep_sort_config_static_selectorELNS0_4arch9wavefront6targetE1EEEvSG_
	.p2align	8
	.type	_ZN7rocprim17ROCPRIM_400000_NS6detail17trampoline_kernelINS0_14default_configENS1_35radix_sort_onesweep_config_selectorIisEEZZNS1_29radix_sort_onesweep_iterationIS3_Lb0EN6thrust23THRUST_200600_302600_NS10device_ptrIiEESA_NS9_IsEESB_jNS0_19identity_decomposerENS1_16block_id_wrapperIjLb0EEEEE10hipError_tT1_PNSt15iterator_traitsISG_E10value_typeET2_T3_PNSH_ISM_E10value_typeET4_T5_PSR_SS_PNS1_23onesweep_lookback_stateEbbT6_jjT7_P12ihipStream_tbENKUlT_T0_SG_SL_E_clISA_SA_SB_SB_EEDaSZ_S10_SG_SL_EUlSZ_E_NS1_11comp_targetILNS1_3genE0ELNS1_11target_archE4294967295ELNS1_3gpuE0ELNS1_3repE0EEENS1_47radix_sort_onesweep_sort_config_static_selectorELNS0_4arch9wavefront6targetE1EEEvSG_,@function
_ZN7rocprim17ROCPRIM_400000_NS6detail17trampoline_kernelINS0_14default_configENS1_35radix_sort_onesweep_config_selectorIisEEZZNS1_29radix_sort_onesweep_iterationIS3_Lb0EN6thrust23THRUST_200600_302600_NS10device_ptrIiEESA_NS9_IsEESB_jNS0_19identity_decomposerENS1_16block_id_wrapperIjLb0EEEEE10hipError_tT1_PNSt15iterator_traitsISG_E10value_typeET2_T3_PNSH_ISM_E10value_typeET4_T5_PSR_SS_PNS1_23onesweep_lookback_stateEbbT6_jjT7_P12ihipStream_tbENKUlT_T0_SG_SL_E_clISA_SA_SB_SB_EEDaSZ_S10_SG_SL_EUlSZ_E_NS1_11comp_targetILNS1_3genE0ELNS1_11target_archE4294967295ELNS1_3gpuE0ELNS1_3repE0EEENS1_47radix_sort_onesweep_sort_config_static_selectorELNS0_4arch9wavefront6targetE1EEEvSG_: ; @_ZN7rocprim17ROCPRIM_400000_NS6detail17trampoline_kernelINS0_14default_configENS1_35radix_sort_onesweep_config_selectorIisEEZZNS1_29radix_sort_onesweep_iterationIS3_Lb0EN6thrust23THRUST_200600_302600_NS10device_ptrIiEESA_NS9_IsEESB_jNS0_19identity_decomposerENS1_16block_id_wrapperIjLb0EEEEE10hipError_tT1_PNSt15iterator_traitsISG_E10value_typeET2_T3_PNSH_ISM_E10value_typeET4_T5_PSR_SS_PNS1_23onesweep_lookback_stateEbbT6_jjT7_P12ihipStream_tbENKUlT_T0_SG_SL_E_clISA_SA_SB_SB_EEDaSZ_S10_SG_SL_EUlSZ_E_NS1_11comp_targetILNS1_3genE0ELNS1_11target_archE4294967295ELNS1_3gpuE0ELNS1_3repE0EEENS1_47radix_sort_onesweep_sort_config_static_selectorELNS0_4arch9wavefront6targetE1EEEvSG_
; %bb.0:
	.section	.rodata,"a",@progbits
	.p2align	6, 0x0
	.amdhsa_kernel _ZN7rocprim17ROCPRIM_400000_NS6detail17trampoline_kernelINS0_14default_configENS1_35radix_sort_onesweep_config_selectorIisEEZZNS1_29radix_sort_onesweep_iterationIS3_Lb0EN6thrust23THRUST_200600_302600_NS10device_ptrIiEESA_NS9_IsEESB_jNS0_19identity_decomposerENS1_16block_id_wrapperIjLb0EEEEE10hipError_tT1_PNSt15iterator_traitsISG_E10value_typeET2_T3_PNSH_ISM_E10value_typeET4_T5_PSR_SS_PNS1_23onesweep_lookback_stateEbbT6_jjT7_P12ihipStream_tbENKUlT_T0_SG_SL_E_clISA_SA_SB_SB_EEDaSZ_S10_SG_SL_EUlSZ_E_NS1_11comp_targetILNS1_3genE0ELNS1_11target_archE4294967295ELNS1_3gpuE0ELNS1_3repE0EEENS1_47radix_sort_onesweep_sort_config_static_selectorELNS0_4arch9wavefront6targetE1EEEvSG_
		.amdhsa_group_segment_fixed_size 0
		.amdhsa_private_segment_fixed_size 0
		.amdhsa_kernarg_size 88
		.amdhsa_user_sgpr_count 2
		.amdhsa_user_sgpr_dispatch_ptr 0
		.amdhsa_user_sgpr_queue_ptr 0
		.amdhsa_user_sgpr_kernarg_segment_ptr 1
		.amdhsa_user_sgpr_dispatch_id 0
		.amdhsa_user_sgpr_kernarg_preload_length 0
		.amdhsa_user_sgpr_kernarg_preload_offset 0
		.amdhsa_user_sgpr_private_segment_size 0
		.amdhsa_uses_dynamic_stack 0
		.amdhsa_enable_private_segment 0
		.amdhsa_system_sgpr_workgroup_id_x 1
		.amdhsa_system_sgpr_workgroup_id_y 0
		.amdhsa_system_sgpr_workgroup_id_z 0
		.amdhsa_system_sgpr_workgroup_info 0
		.amdhsa_system_vgpr_workitem_id 0
		.amdhsa_next_free_vgpr 1
		.amdhsa_next_free_sgpr 0
		.amdhsa_accum_offset 4
		.amdhsa_reserve_vcc 0
		.amdhsa_float_round_mode_32 0
		.amdhsa_float_round_mode_16_64 0
		.amdhsa_float_denorm_mode_32 3
		.amdhsa_float_denorm_mode_16_64 3
		.amdhsa_dx10_clamp 1
		.amdhsa_ieee_mode 1
		.amdhsa_fp16_overflow 0
		.amdhsa_tg_split 0
		.amdhsa_exception_fp_ieee_invalid_op 0
		.amdhsa_exception_fp_denorm_src 0
		.amdhsa_exception_fp_ieee_div_zero 0
		.amdhsa_exception_fp_ieee_overflow 0
		.amdhsa_exception_fp_ieee_underflow 0
		.amdhsa_exception_fp_ieee_inexact 0
		.amdhsa_exception_int_div_zero 0
	.end_amdhsa_kernel
	.section	.text._ZN7rocprim17ROCPRIM_400000_NS6detail17trampoline_kernelINS0_14default_configENS1_35radix_sort_onesweep_config_selectorIisEEZZNS1_29radix_sort_onesweep_iterationIS3_Lb0EN6thrust23THRUST_200600_302600_NS10device_ptrIiEESA_NS9_IsEESB_jNS0_19identity_decomposerENS1_16block_id_wrapperIjLb0EEEEE10hipError_tT1_PNSt15iterator_traitsISG_E10value_typeET2_T3_PNSH_ISM_E10value_typeET4_T5_PSR_SS_PNS1_23onesweep_lookback_stateEbbT6_jjT7_P12ihipStream_tbENKUlT_T0_SG_SL_E_clISA_SA_SB_SB_EEDaSZ_S10_SG_SL_EUlSZ_E_NS1_11comp_targetILNS1_3genE0ELNS1_11target_archE4294967295ELNS1_3gpuE0ELNS1_3repE0EEENS1_47radix_sort_onesweep_sort_config_static_selectorELNS0_4arch9wavefront6targetE1EEEvSG_,"axG",@progbits,_ZN7rocprim17ROCPRIM_400000_NS6detail17trampoline_kernelINS0_14default_configENS1_35radix_sort_onesweep_config_selectorIisEEZZNS1_29radix_sort_onesweep_iterationIS3_Lb0EN6thrust23THRUST_200600_302600_NS10device_ptrIiEESA_NS9_IsEESB_jNS0_19identity_decomposerENS1_16block_id_wrapperIjLb0EEEEE10hipError_tT1_PNSt15iterator_traitsISG_E10value_typeET2_T3_PNSH_ISM_E10value_typeET4_T5_PSR_SS_PNS1_23onesweep_lookback_stateEbbT6_jjT7_P12ihipStream_tbENKUlT_T0_SG_SL_E_clISA_SA_SB_SB_EEDaSZ_S10_SG_SL_EUlSZ_E_NS1_11comp_targetILNS1_3genE0ELNS1_11target_archE4294967295ELNS1_3gpuE0ELNS1_3repE0EEENS1_47radix_sort_onesweep_sort_config_static_selectorELNS0_4arch9wavefront6targetE1EEEvSG_,comdat
.Lfunc_end2467:
	.size	_ZN7rocprim17ROCPRIM_400000_NS6detail17trampoline_kernelINS0_14default_configENS1_35radix_sort_onesweep_config_selectorIisEEZZNS1_29radix_sort_onesweep_iterationIS3_Lb0EN6thrust23THRUST_200600_302600_NS10device_ptrIiEESA_NS9_IsEESB_jNS0_19identity_decomposerENS1_16block_id_wrapperIjLb0EEEEE10hipError_tT1_PNSt15iterator_traitsISG_E10value_typeET2_T3_PNSH_ISM_E10value_typeET4_T5_PSR_SS_PNS1_23onesweep_lookback_stateEbbT6_jjT7_P12ihipStream_tbENKUlT_T0_SG_SL_E_clISA_SA_SB_SB_EEDaSZ_S10_SG_SL_EUlSZ_E_NS1_11comp_targetILNS1_3genE0ELNS1_11target_archE4294967295ELNS1_3gpuE0ELNS1_3repE0EEENS1_47radix_sort_onesweep_sort_config_static_selectorELNS0_4arch9wavefront6targetE1EEEvSG_, .Lfunc_end2467-_ZN7rocprim17ROCPRIM_400000_NS6detail17trampoline_kernelINS0_14default_configENS1_35radix_sort_onesweep_config_selectorIisEEZZNS1_29radix_sort_onesweep_iterationIS3_Lb0EN6thrust23THRUST_200600_302600_NS10device_ptrIiEESA_NS9_IsEESB_jNS0_19identity_decomposerENS1_16block_id_wrapperIjLb0EEEEE10hipError_tT1_PNSt15iterator_traitsISG_E10value_typeET2_T3_PNSH_ISM_E10value_typeET4_T5_PSR_SS_PNS1_23onesweep_lookback_stateEbbT6_jjT7_P12ihipStream_tbENKUlT_T0_SG_SL_E_clISA_SA_SB_SB_EEDaSZ_S10_SG_SL_EUlSZ_E_NS1_11comp_targetILNS1_3genE0ELNS1_11target_archE4294967295ELNS1_3gpuE0ELNS1_3repE0EEENS1_47radix_sort_onesweep_sort_config_static_selectorELNS0_4arch9wavefront6targetE1EEEvSG_
                                        ; -- End function
	.set _ZN7rocprim17ROCPRIM_400000_NS6detail17trampoline_kernelINS0_14default_configENS1_35radix_sort_onesweep_config_selectorIisEEZZNS1_29radix_sort_onesweep_iterationIS3_Lb0EN6thrust23THRUST_200600_302600_NS10device_ptrIiEESA_NS9_IsEESB_jNS0_19identity_decomposerENS1_16block_id_wrapperIjLb0EEEEE10hipError_tT1_PNSt15iterator_traitsISG_E10value_typeET2_T3_PNSH_ISM_E10value_typeET4_T5_PSR_SS_PNS1_23onesweep_lookback_stateEbbT6_jjT7_P12ihipStream_tbENKUlT_T0_SG_SL_E_clISA_SA_SB_SB_EEDaSZ_S10_SG_SL_EUlSZ_E_NS1_11comp_targetILNS1_3genE0ELNS1_11target_archE4294967295ELNS1_3gpuE0ELNS1_3repE0EEENS1_47radix_sort_onesweep_sort_config_static_selectorELNS0_4arch9wavefront6targetE1EEEvSG_.num_vgpr, 0
	.set _ZN7rocprim17ROCPRIM_400000_NS6detail17trampoline_kernelINS0_14default_configENS1_35radix_sort_onesweep_config_selectorIisEEZZNS1_29radix_sort_onesweep_iterationIS3_Lb0EN6thrust23THRUST_200600_302600_NS10device_ptrIiEESA_NS9_IsEESB_jNS0_19identity_decomposerENS1_16block_id_wrapperIjLb0EEEEE10hipError_tT1_PNSt15iterator_traitsISG_E10value_typeET2_T3_PNSH_ISM_E10value_typeET4_T5_PSR_SS_PNS1_23onesweep_lookback_stateEbbT6_jjT7_P12ihipStream_tbENKUlT_T0_SG_SL_E_clISA_SA_SB_SB_EEDaSZ_S10_SG_SL_EUlSZ_E_NS1_11comp_targetILNS1_3genE0ELNS1_11target_archE4294967295ELNS1_3gpuE0ELNS1_3repE0EEENS1_47radix_sort_onesweep_sort_config_static_selectorELNS0_4arch9wavefront6targetE1EEEvSG_.num_agpr, 0
	.set _ZN7rocprim17ROCPRIM_400000_NS6detail17trampoline_kernelINS0_14default_configENS1_35radix_sort_onesweep_config_selectorIisEEZZNS1_29radix_sort_onesweep_iterationIS3_Lb0EN6thrust23THRUST_200600_302600_NS10device_ptrIiEESA_NS9_IsEESB_jNS0_19identity_decomposerENS1_16block_id_wrapperIjLb0EEEEE10hipError_tT1_PNSt15iterator_traitsISG_E10value_typeET2_T3_PNSH_ISM_E10value_typeET4_T5_PSR_SS_PNS1_23onesweep_lookback_stateEbbT6_jjT7_P12ihipStream_tbENKUlT_T0_SG_SL_E_clISA_SA_SB_SB_EEDaSZ_S10_SG_SL_EUlSZ_E_NS1_11comp_targetILNS1_3genE0ELNS1_11target_archE4294967295ELNS1_3gpuE0ELNS1_3repE0EEENS1_47radix_sort_onesweep_sort_config_static_selectorELNS0_4arch9wavefront6targetE1EEEvSG_.numbered_sgpr, 0
	.set _ZN7rocprim17ROCPRIM_400000_NS6detail17trampoline_kernelINS0_14default_configENS1_35radix_sort_onesweep_config_selectorIisEEZZNS1_29radix_sort_onesweep_iterationIS3_Lb0EN6thrust23THRUST_200600_302600_NS10device_ptrIiEESA_NS9_IsEESB_jNS0_19identity_decomposerENS1_16block_id_wrapperIjLb0EEEEE10hipError_tT1_PNSt15iterator_traitsISG_E10value_typeET2_T3_PNSH_ISM_E10value_typeET4_T5_PSR_SS_PNS1_23onesweep_lookback_stateEbbT6_jjT7_P12ihipStream_tbENKUlT_T0_SG_SL_E_clISA_SA_SB_SB_EEDaSZ_S10_SG_SL_EUlSZ_E_NS1_11comp_targetILNS1_3genE0ELNS1_11target_archE4294967295ELNS1_3gpuE0ELNS1_3repE0EEENS1_47radix_sort_onesweep_sort_config_static_selectorELNS0_4arch9wavefront6targetE1EEEvSG_.num_named_barrier, 0
	.set _ZN7rocprim17ROCPRIM_400000_NS6detail17trampoline_kernelINS0_14default_configENS1_35radix_sort_onesweep_config_selectorIisEEZZNS1_29radix_sort_onesweep_iterationIS3_Lb0EN6thrust23THRUST_200600_302600_NS10device_ptrIiEESA_NS9_IsEESB_jNS0_19identity_decomposerENS1_16block_id_wrapperIjLb0EEEEE10hipError_tT1_PNSt15iterator_traitsISG_E10value_typeET2_T3_PNSH_ISM_E10value_typeET4_T5_PSR_SS_PNS1_23onesweep_lookback_stateEbbT6_jjT7_P12ihipStream_tbENKUlT_T0_SG_SL_E_clISA_SA_SB_SB_EEDaSZ_S10_SG_SL_EUlSZ_E_NS1_11comp_targetILNS1_3genE0ELNS1_11target_archE4294967295ELNS1_3gpuE0ELNS1_3repE0EEENS1_47radix_sort_onesweep_sort_config_static_selectorELNS0_4arch9wavefront6targetE1EEEvSG_.private_seg_size, 0
	.set _ZN7rocprim17ROCPRIM_400000_NS6detail17trampoline_kernelINS0_14default_configENS1_35radix_sort_onesweep_config_selectorIisEEZZNS1_29radix_sort_onesweep_iterationIS3_Lb0EN6thrust23THRUST_200600_302600_NS10device_ptrIiEESA_NS9_IsEESB_jNS0_19identity_decomposerENS1_16block_id_wrapperIjLb0EEEEE10hipError_tT1_PNSt15iterator_traitsISG_E10value_typeET2_T3_PNSH_ISM_E10value_typeET4_T5_PSR_SS_PNS1_23onesweep_lookback_stateEbbT6_jjT7_P12ihipStream_tbENKUlT_T0_SG_SL_E_clISA_SA_SB_SB_EEDaSZ_S10_SG_SL_EUlSZ_E_NS1_11comp_targetILNS1_3genE0ELNS1_11target_archE4294967295ELNS1_3gpuE0ELNS1_3repE0EEENS1_47radix_sort_onesweep_sort_config_static_selectorELNS0_4arch9wavefront6targetE1EEEvSG_.uses_vcc, 0
	.set _ZN7rocprim17ROCPRIM_400000_NS6detail17trampoline_kernelINS0_14default_configENS1_35radix_sort_onesweep_config_selectorIisEEZZNS1_29radix_sort_onesweep_iterationIS3_Lb0EN6thrust23THRUST_200600_302600_NS10device_ptrIiEESA_NS9_IsEESB_jNS0_19identity_decomposerENS1_16block_id_wrapperIjLb0EEEEE10hipError_tT1_PNSt15iterator_traitsISG_E10value_typeET2_T3_PNSH_ISM_E10value_typeET4_T5_PSR_SS_PNS1_23onesweep_lookback_stateEbbT6_jjT7_P12ihipStream_tbENKUlT_T0_SG_SL_E_clISA_SA_SB_SB_EEDaSZ_S10_SG_SL_EUlSZ_E_NS1_11comp_targetILNS1_3genE0ELNS1_11target_archE4294967295ELNS1_3gpuE0ELNS1_3repE0EEENS1_47radix_sort_onesweep_sort_config_static_selectorELNS0_4arch9wavefront6targetE1EEEvSG_.uses_flat_scratch, 0
	.set _ZN7rocprim17ROCPRIM_400000_NS6detail17trampoline_kernelINS0_14default_configENS1_35radix_sort_onesweep_config_selectorIisEEZZNS1_29radix_sort_onesweep_iterationIS3_Lb0EN6thrust23THRUST_200600_302600_NS10device_ptrIiEESA_NS9_IsEESB_jNS0_19identity_decomposerENS1_16block_id_wrapperIjLb0EEEEE10hipError_tT1_PNSt15iterator_traitsISG_E10value_typeET2_T3_PNSH_ISM_E10value_typeET4_T5_PSR_SS_PNS1_23onesweep_lookback_stateEbbT6_jjT7_P12ihipStream_tbENKUlT_T0_SG_SL_E_clISA_SA_SB_SB_EEDaSZ_S10_SG_SL_EUlSZ_E_NS1_11comp_targetILNS1_3genE0ELNS1_11target_archE4294967295ELNS1_3gpuE0ELNS1_3repE0EEENS1_47radix_sort_onesweep_sort_config_static_selectorELNS0_4arch9wavefront6targetE1EEEvSG_.has_dyn_sized_stack, 0
	.set _ZN7rocprim17ROCPRIM_400000_NS6detail17trampoline_kernelINS0_14default_configENS1_35radix_sort_onesweep_config_selectorIisEEZZNS1_29radix_sort_onesweep_iterationIS3_Lb0EN6thrust23THRUST_200600_302600_NS10device_ptrIiEESA_NS9_IsEESB_jNS0_19identity_decomposerENS1_16block_id_wrapperIjLb0EEEEE10hipError_tT1_PNSt15iterator_traitsISG_E10value_typeET2_T3_PNSH_ISM_E10value_typeET4_T5_PSR_SS_PNS1_23onesweep_lookback_stateEbbT6_jjT7_P12ihipStream_tbENKUlT_T0_SG_SL_E_clISA_SA_SB_SB_EEDaSZ_S10_SG_SL_EUlSZ_E_NS1_11comp_targetILNS1_3genE0ELNS1_11target_archE4294967295ELNS1_3gpuE0ELNS1_3repE0EEENS1_47radix_sort_onesweep_sort_config_static_selectorELNS0_4arch9wavefront6targetE1EEEvSG_.has_recursion, 0
	.set _ZN7rocprim17ROCPRIM_400000_NS6detail17trampoline_kernelINS0_14default_configENS1_35radix_sort_onesweep_config_selectorIisEEZZNS1_29radix_sort_onesweep_iterationIS3_Lb0EN6thrust23THRUST_200600_302600_NS10device_ptrIiEESA_NS9_IsEESB_jNS0_19identity_decomposerENS1_16block_id_wrapperIjLb0EEEEE10hipError_tT1_PNSt15iterator_traitsISG_E10value_typeET2_T3_PNSH_ISM_E10value_typeET4_T5_PSR_SS_PNS1_23onesweep_lookback_stateEbbT6_jjT7_P12ihipStream_tbENKUlT_T0_SG_SL_E_clISA_SA_SB_SB_EEDaSZ_S10_SG_SL_EUlSZ_E_NS1_11comp_targetILNS1_3genE0ELNS1_11target_archE4294967295ELNS1_3gpuE0ELNS1_3repE0EEENS1_47radix_sort_onesweep_sort_config_static_selectorELNS0_4arch9wavefront6targetE1EEEvSG_.has_indirect_call, 0
	.section	.AMDGPU.csdata,"",@progbits
; Kernel info:
; codeLenInByte = 0
; TotalNumSgprs: 6
; NumVgprs: 0
; NumAgprs: 0
; TotalNumVgprs: 0
; ScratchSize: 0
; MemoryBound: 0
; FloatMode: 240
; IeeeMode: 1
; LDSByteSize: 0 bytes/workgroup (compile time only)
; SGPRBlocks: 0
; VGPRBlocks: 0
; NumSGPRsForWavesPerEU: 6
; NumVGPRsForWavesPerEU: 1
; AccumOffset: 4
; Occupancy: 8
; WaveLimiterHint : 0
; COMPUTE_PGM_RSRC2:SCRATCH_EN: 0
; COMPUTE_PGM_RSRC2:USER_SGPR: 2
; COMPUTE_PGM_RSRC2:TRAP_HANDLER: 0
; COMPUTE_PGM_RSRC2:TGID_X_EN: 1
; COMPUTE_PGM_RSRC2:TGID_Y_EN: 0
; COMPUTE_PGM_RSRC2:TGID_Z_EN: 0
; COMPUTE_PGM_RSRC2:TIDIG_COMP_CNT: 0
; COMPUTE_PGM_RSRC3_GFX90A:ACCUM_OFFSET: 0
; COMPUTE_PGM_RSRC3_GFX90A:TG_SPLIT: 0
	.section	.text._ZN7rocprim17ROCPRIM_400000_NS6detail17trampoline_kernelINS0_14default_configENS1_35radix_sort_onesweep_config_selectorIisEEZZNS1_29radix_sort_onesweep_iterationIS3_Lb0EN6thrust23THRUST_200600_302600_NS10device_ptrIiEESA_NS9_IsEESB_jNS0_19identity_decomposerENS1_16block_id_wrapperIjLb0EEEEE10hipError_tT1_PNSt15iterator_traitsISG_E10value_typeET2_T3_PNSH_ISM_E10value_typeET4_T5_PSR_SS_PNS1_23onesweep_lookback_stateEbbT6_jjT7_P12ihipStream_tbENKUlT_T0_SG_SL_E_clISA_SA_SB_SB_EEDaSZ_S10_SG_SL_EUlSZ_E_NS1_11comp_targetILNS1_3genE6ELNS1_11target_archE950ELNS1_3gpuE13ELNS1_3repE0EEENS1_47radix_sort_onesweep_sort_config_static_selectorELNS0_4arch9wavefront6targetE1EEEvSG_,"axG",@progbits,_ZN7rocprim17ROCPRIM_400000_NS6detail17trampoline_kernelINS0_14default_configENS1_35radix_sort_onesweep_config_selectorIisEEZZNS1_29radix_sort_onesweep_iterationIS3_Lb0EN6thrust23THRUST_200600_302600_NS10device_ptrIiEESA_NS9_IsEESB_jNS0_19identity_decomposerENS1_16block_id_wrapperIjLb0EEEEE10hipError_tT1_PNSt15iterator_traitsISG_E10value_typeET2_T3_PNSH_ISM_E10value_typeET4_T5_PSR_SS_PNS1_23onesweep_lookback_stateEbbT6_jjT7_P12ihipStream_tbENKUlT_T0_SG_SL_E_clISA_SA_SB_SB_EEDaSZ_S10_SG_SL_EUlSZ_E_NS1_11comp_targetILNS1_3genE6ELNS1_11target_archE950ELNS1_3gpuE13ELNS1_3repE0EEENS1_47radix_sort_onesweep_sort_config_static_selectorELNS0_4arch9wavefront6targetE1EEEvSG_,comdat
	.protected	_ZN7rocprim17ROCPRIM_400000_NS6detail17trampoline_kernelINS0_14default_configENS1_35radix_sort_onesweep_config_selectorIisEEZZNS1_29radix_sort_onesweep_iterationIS3_Lb0EN6thrust23THRUST_200600_302600_NS10device_ptrIiEESA_NS9_IsEESB_jNS0_19identity_decomposerENS1_16block_id_wrapperIjLb0EEEEE10hipError_tT1_PNSt15iterator_traitsISG_E10value_typeET2_T3_PNSH_ISM_E10value_typeET4_T5_PSR_SS_PNS1_23onesweep_lookback_stateEbbT6_jjT7_P12ihipStream_tbENKUlT_T0_SG_SL_E_clISA_SA_SB_SB_EEDaSZ_S10_SG_SL_EUlSZ_E_NS1_11comp_targetILNS1_3genE6ELNS1_11target_archE950ELNS1_3gpuE13ELNS1_3repE0EEENS1_47radix_sort_onesweep_sort_config_static_selectorELNS0_4arch9wavefront6targetE1EEEvSG_ ; -- Begin function _ZN7rocprim17ROCPRIM_400000_NS6detail17trampoline_kernelINS0_14default_configENS1_35radix_sort_onesweep_config_selectorIisEEZZNS1_29radix_sort_onesweep_iterationIS3_Lb0EN6thrust23THRUST_200600_302600_NS10device_ptrIiEESA_NS9_IsEESB_jNS0_19identity_decomposerENS1_16block_id_wrapperIjLb0EEEEE10hipError_tT1_PNSt15iterator_traitsISG_E10value_typeET2_T3_PNSH_ISM_E10value_typeET4_T5_PSR_SS_PNS1_23onesweep_lookback_stateEbbT6_jjT7_P12ihipStream_tbENKUlT_T0_SG_SL_E_clISA_SA_SB_SB_EEDaSZ_S10_SG_SL_EUlSZ_E_NS1_11comp_targetILNS1_3genE6ELNS1_11target_archE950ELNS1_3gpuE13ELNS1_3repE0EEENS1_47radix_sort_onesweep_sort_config_static_selectorELNS0_4arch9wavefront6targetE1EEEvSG_
	.globl	_ZN7rocprim17ROCPRIM_400000_NS6detail17trampoline_kernelINS0_14default_configENS1_35radix_sort_onesweep_config_selectorIisEEZZNS1_29radix_sort_onesweep_iterationIS3_Lb0EN6thrust23THRUST_200600_302600_NS10device_ptrIiEESA_NS9_IsEESB_jNS0_19identity_decomposerENS1_16block_id_wrapperIjLb0EEEEE10hipError_tT1_PNSt15iterator_traitsISG_E10value_typeET2_T3_PNSH_ISM_E10value_typeET4_T5_PSR_SS_PNS1_23onesweep_lookback_stateEbbT6_jjT7_P12ihipStream_tbENKUlT_T0_SG_SL_E_clISA_SA_SB_SB_EEDaSZ_S10_SG_SL_EUlSZ_E_NS1_11comp_targetILNS1_3genE6ELNS1_11target_archE950ELNS1_3gpuE13ELNS1_3repE0EEENS1_47radix_sort_onesweep_sort_config_static_selectorELNS0_4arch9wavefront6targetE1EEEvSG_
	.p2align	8
	.type	_ZN7rocprim17ROCPRIM_400000_NS6detail17trampoline_kernelINS0_14default_configENS1_35radix_sort_onesweep_config_selectorIisEEZZNS1_29radix_sort_onesweep_iterationIS3_Lb0EN6thrust23THRUST_200600_302600_NS10device_ptrIiEESA_NS9_IsEESB_jNS0_19identity_decomposerENS1_16block_id_wrapperIjLb0EEEEE10hipError_tT1_PNSt15iterator_traitsISG_E10value_typeET2_T3_PNSH_ISM_E10value_typeET4_T5_PSR_SS_PNS1_23onesweep_lookback_stateEbbT6_jjT7_P12ihipStream_tbENKUlT_T0_SG_SL_E_clISA_SA_SB_SB_EEDaSZ_S10_SG_SL_EUlSZ_E_NS1_11comp_targetILNS1_3genE6ELNS1_11target_archE950ELNS1_3gpuE13ELNS1_3repE0EEENS1_47radix_sort_onesweep_sort_config_static_selectorELNS0_4arch9wavefront6targetE1EEEvSG_,@function
_ZN7rocprim17ROCPRIM_400000_NS6detail17trampoline_kernelINS0_14default_configENS1_35radix_sort_onesweep_config_selectorIisEEZZNS1_29radix_sort_onesweep_iterationIS3_Lb0EN6thrust23THRUST_200600_302600_NS10device_ptrIiEESA_NS9_IsEESB_jNS0_19identity_decomposerENS1_16block_id_wrapperIjLb0EEEEE10hipError_tT1_PNSt15iterator_traitsISG_E10value_typeET2_T3_PNSH_ISM_E10value_typeET4_T5_PSR_SS_PNS1_23onesweep_lookback_stateEbbT6_jjT7_P12ihipStream_tbENKUlT_T0_SG_SL_E_clISA_SA_SB_SB_EEDaSZ_S10_SG_SL_EUlSZ_E_NS1_11comp_targetILNS1_3genE6ELNS1_11target_archE950ELNS1_3gpuE13ELNS1_3repE0EEENS1_47radix_sort_onesweep_sort_config_static_selectorELNS0_4arch9wavefront6targetE1EEEvSG_: ; @_ZN7rocprim17ROCPRIM_400000_NS6detail17trampoline_kernelINS0_14default_configENS1_35radix_sort_onesweep_config_selectorIisEEZZNS1_29radix_sort_onesweep_iterationIS3_Lb0EN6thrust23THRUST_200600_302600_NS10device_ptrIiEESA_NS9_IsEESB_jNS0_19identity_decomposerENS1_16block_id_wrapperIjLb0EEEEE10hipError_tT1_PNSt15iterator_traitsISG_E10value_typeET2_T3_PNSH_ISM_E10value_typeET4_T5_PSR_SS_PNS1_23onesweep_lookback_stateEbbT6_jjT7_P12ihipStream_tbENKUlT_T0_SG_SL_E_clISA_SA_SB_SB_EEDaSZ_S10_SG_SL_EUlSZ_E_NS1_11comp_targetILNS1_3genE6ELNS1_11target_archE950ELNS1_3gpuE13ELNS1_3repE0EEENS1_47radix_sort_onesweep_sort_config_static_selectorELNS0_4arch9wavefront6targetE1EEEvSG_
; %bb.0:
	s_load_dwordx4 s[48:51], s[2:3], 0x44
	s_load_dwordx8 s[36:43], s[2:3], 0x0
	s_load_dwordx4 s[44:47], s[2:3], 0x28
	s_load_dwordx2 s[52:53], s[2:3], 0x38
	v_and_b32_e32 v8, 0x3ff, v0
	v_bfe_u32 v9, v0, 10, 10
	v_bfe_u32 v14, v0, 20, 10
	s_mov_b64 s[6:7], -1
	s_waitcnt lgkmcnt(0)
	s_cmp_ge_u32 s4, s50
	v_mbcnt_lo_u32_b32 v16, -1, 0
	v_lshlrev_b32_e32 v15, 3, v8
	s_cbranch_scc0 .LBB2468_130
; %bb.1:
	s_load_dword s5, s[2:3], 0x20
	s_lshl_b32 s8, s50, 13
	s_lshl_b32 s50, s4, 13
	s_mov_b32 s51, 0
	s_lshl_b64 s[6:7], s[50:51], 2
	s_waitcnt lgkmcnt(0)
	s_sub_i32 s5, s5, s8
	v_mbcnt_hi_u32_b32 v20, -1, v16
	s_add_u32 s6, s36, s6
	v_and_b32_e32 v18, 63, v20
	s_addc_u32 s7, s37, s7
	v_and_b32_e32 v17, 0x1e00, v15
	v_mov_b32_e32 v1, 0
	v_lshlrev_b32_e32 v0, 2, v18
	v_lshl_add_u64 v[2:3], s[6:7], 0, v[0:1]
	v_lshlrev_b32_e32 v0, 2, v17
	v_lshl_add_u64 v[10:11], v[2:3], 0, v[0:1]
	v_or_b32_e32 v12, v18, v17
	v_bfrev_b32_e32 v0, -2
	v_cmp_gt_u32_e64 s[18:19], s5, v12
	v_mov_b32_e32 v1, v0
	v_mov_b32_e32 v2, v0
	;; [unrolled: 1-line block ×7, first 2 shown]
	s_and_saveexec_b64 s[6:7], s[18:19]
	s_cbranch_execz .LBB2468_3
; %bb.2:
	global_load_dword v22, v[10:11], off
	v_mov_b32_e32 v23, v0
	v_mov_b32_e32 v24, v0
	;; [unrolled: 1-line block ×7, first 2 shown]
	s_waitcnt vmcnt(0)
	v_mov_b64_e32 v[0:1], v[22:23]
	v_mov_b64_e32 v[2:3], v[24:25]
	;; [unrolled: 1-line block ×4, first 2 shown]
.LBB2468_3:
	s_or_b64 exec, exec, s[6:7]
	v_or_b32_e32 v13, 64, v12
	v_cmp_gt_u32_e64 s[26:27], s5, v13
	s_and_saveexec_b64 s[6:7], s[26:27]
	s_cbranch_execz .LBB2468_5
; %bb.4:
	global_load_dword v1, v[10:11], off offset:256
.LBB2468_5:
	s_or_b64 exec, exec, s[6:7]
	v_or_b32_e32 v13, 0x80, v12
	v_cmp_gt_u32_e64 s[6:7], s5, v13
	s_and_saveexec_b64 s[8:9], s[6:7]
	s_cbranch_execz .LBB2468_7
; %bb.6:
	global_load_dword v2, v[10:11], off offset:512
.LBB2468_7:
	;; [unrolled: 8-line block ×7, first 2 shown]
	s_or_b64 exec, exec, s[20:21]
	s_load_dword s20, s[2:3], 0x64
	s_load_dword s33, s[2:3], 0x58
	s_add_u32 s21, s2, 0x58
	s_addc_u32 s22, s3, 0
	v_mov_b32_e32 v11, 0
	s_waitcnt lgkmcnt(0)
	s_lshr_b32 s23, s20, 16
	s_cmp_lt_u32 s4, s33
	s_cselect_b32 s20, 12, 18
	s_add_u32 s20, s21, s20
	s_addc_u32 s21, s22, 0
	global_load_ushort v36, v11, s[20:21]
	v_xor_b32_e32 v19, 0x80000000, v0
	v_lshrrev_b32_e32 v0, s48, v19
	s_lshl_b32 s20, -1, s49
	v_bitop3_b32 v0, v0, s20, v0 bitop3:0x30
	s_movk_i32 s55, 0x44
	v_and_b32_e32 v10, 1, v0
	v_lshlrev_b32_e32 v13, 30, v0
	v_mov_b32_e32 v12, v11
	v_mov_b32_e32 v24, v11
	v_mul_lo_u32 v38, v0, s55
	v_lshlrev_b32_e32 v23, 29, v0
	v_lshlrev_b32_e32 v25, 28, v0
	;; [unrolled: 1-line block ×6, first 2 shown]
	v_lshl_add_u64 v[34:35], v[10:11], 0, -1
	v_cmp_ne_u32_e32 vcc, 0, v10
	v_not_b32_e32 v0, v13
	v_mov_b32_e32 v22, v11
	v_mov_b32_e32 v26, v11
	s_not_b32 s54, s20
	v_cmp_gt_i64_e64 s[20:21], 0, v[12:13]
	v_not_b32_e32 v10, v23
	v_cmp_gt_i64_e64 s[24:25], 0, v[24:25]
	v_not_b32_e32 v12, v25
	v_xor_b32_e32 v25, vcc_lo, v34
	v_ashrrev_i32_e32 v0, 31, v0
	v_mad_u32_u24 v37, v14, s23, v9
	v_cmp_gt_i64_e64 s[22:23], 0, v[22:23]
	v_cmp_gt_i64_e64 s[28:29], 0, v[26:27]
	v_ashrrev_i32_e32 v10, 31, v10
	v_and_b32_e32 v25, exec_lo, v25
	v_xor_b32_e32 v26, s21, v0
	v_xor_b32_e32 v0, s20, v0
	v_mov_b32_e32 v28, v11
	v_not_b32_e32 v13, v27
	v_ashrrev_i32_e32 v12, 31, v12
	v_xor_b32_e32 v27, s23, v10
	v_xor_b32_e32 v10, s22, v10
	v_and_b32_e32 v0, v25, v0
	v_cmp_gt_i64_e64 s[30:31], 0, v[28:29]
	v_xor_b32_e32 v24, vcc_hi, v35
	v_ashrrev_i32_e32 v13, 31, v13
	v_xor_b32_e32 v28, s25, v12
	v_xor_b32_e32 v12, s24, v12
	v_and_b32_e32 v0, v0, v10
	v_not_b32_e32 v22, v29
	v_and_b32_e32 v24, exec_hi, v24
	v_xor_b32_e32 v29, s29, v13
	v_xor_b32_e32 v13, s28, v13
	v_and_b32_e32 v0, v0, v12
	v_and_b32_e32 v24, v24, v26
	;; [unrolled: 1-line block ×3, first 2 shown]
	v_mov_b32_e32 v30, v11
	v_not_b32_e32 v23, v31
	v_ashrrev_i32_e32 v22, 31, v22
	v_and_b32_e32 v24, v24, v27
	v_mov_b32_e32 v32, v11
	v_cmp_gt_i64_e64 s[34:35], 0, v[30:31]
	v_ashrrev_i32_e32 v23, 31, v23
	v_xor_b32_e32 v30, s31, v22
	v_xor_b32_e32 v22, s30, v22
	v_and_b32_e32 v10, v24, v28
	v_xor_b32_e32 v31, s35, v23
	v_xor_b32_e32 v23, s34, v23
	v_and_b32_e32 v10, v10, v29
	v_and_b32_e32 v0, v0, v22
	v_cmp_gt_i64_e32 vcc, 0, v[32:33]
	v_and_b32_e32 v10, v10, v30
	v_and_b32_e32 v0, v0, v23
	;; [unrolled: 1-line block ×3, first 2 shown]
	v_mul_u32_u24_e32 v21, 20, v8
	ds_write2_b32 v21, v11, v11 offset0:16 offset1:17
	ds_write2_b32 v21, v11, v11 offset0:18 offset1:19
	ds_write_b32 v21, v11 offset:80
	s_waitcnt lgkmcnt(0)
	s_barrier
	s_waitcnt vmcnt(0)
	; wave barrier
	v_mad_u64_u32 v[12:13], s[20:21], v37, v36, v[8:9]
	v_lshrrev_b32_e32 v12, 4, v12
	v_and_b32_e32 v35, 0xffffffc, v12
	v_not_b32_e32 v12, v33
	v_ashrrev_i32_e32 v12, 31, v12
	v_xor_b32_e32 v13, vcc_hi, v12
	v_xor_b32_e32 v12, vcc_lo, v12
	v_and_b32_e32 v12, v0, v12
	v_and_b32_e32 v13, v10, v13
	v_mbcnt_lo_u32_b32 v0, v12, 0
	v_mbcnt_hi_u32_b32 v22, v13, v0
	v_cmp_eq_u32_e32 vcc, 0, v22
	v_cmp_ne_u64_e64 s[20:21], 0, v[12:13]
	s_and_b64 s[22:23], s[20:21], vcc
	v_add_u32_e32 v26, v35, v38
	s_and_saveexec_b64 s[20:21], s[22:23]
; %bb.18:
	v_bcnt_u32_b32 v0, v12, 0
	v_bcnt_u32_b32 v0, v13, v0
	ds_write_b32 v26, v0 offset:64
; %bb.19:
	s_or_b64 exec, exec, s[20:21]
	v_xor_b32_e32 v12, 0x80000000, v1
	v_lshrrev_b32_e32 v0, s48, v12
	v_and_b32_e32 v13, s54, v0
	v_mul_lo_u32 v0, v13, s55
	v_and_b32_e32 v10, 1, v13
	v_add_u32_e32 v27, v35, v0
	v_lshl_add_u64 v[0:1], v[10:11], 0, -1
	v_cmp_ne_u32_e32 vcc, 0, v10
	; wave barrier
	s_nop 1
	v_xor_b32_e32 v1, vcc_hi, v1
	v_xor_b32_e32 v0, vcc_lo, v0
	v_and_b32_e32 v10, exec_hi, v1
	v_and_b32_e32 v24, exec_lo, v0
	v_lshlrev_b32_e32 v1, 30, v13
	v_mov_b32_e32 v0, v11
	v_cmp_gt_i64_e32 vcc, 0, v[0:1]
	v_not_b32_e32 v0, v1
	v_ashrrev_i32_e32 v0, 31, v0
	v_xor_b32_e32 v1, vcc_hi, v0
	v_xor_b32_e32 v0, vcc_lo, v0
	v_and_b32_e32 v10, v10, v1
	v_and_b32_e32 v24, v24, v0
	v_lshlrev_b32_e32 v1, 29, v13
	v_mov_b32_e32 v0, v11
	v_cmp_gt_i64_e32 vcc, 0, v[0:1]
	v_not_b32_e32 v0, v1
	v_ashrrev_i32_e32 v0, 31, v0
	v_xor_b32_e32 v1, vcc_hi, v0
	v_xor_b32_e32 v0, vcc_lo, v0
	v_and_b32_e32 v10, v10, v1
	v_and_b32_e32 v24, v24, v0
	;; [unrolled: 9-line block ×6, first 2 shown]
	v_lshlrev_b32_e32 v1, 24, v13
	v_mov_b32_e32 v0, v11
	v_cmp_gt_i64_e32 vcc, 0, v[0:1]
	v_not_b32_e32 v0, v1
	v_ashrrev_i32_e32 v0, 31, v0
	v_xor_b32_e32 v1, vcc_hi, v0
	v_xor_b32_e32 v0, vcc_lo, v0
	ds_read_b32 v23, v27 offset:64
	v_and_b32_e32 v0, v24, v0
	v_and_b32_e32 v1, v10, v1
	v_mbcnt_lo_u32_b32 v10, v0, 0
	v_mbcnt_hi_u32_b32 v24, v1, v10
	v_cmp_eq_u32_e32 vcc, 0, v24
	v_cmp_ne_u64_e64 s[20:21], 0, v[0:1]
	s_and_b64 s[22:23], s[20:21], vcc
	; wave barrier
	s_and_saveexec_b64 s[20:21], s[22:23]
	s_cbranch_execz .LBB2468_21
; %bb.20:
	v_bcnt_u32_b32 v0, v0, 0
	v_bcnt_u32_b32 v0, v1, v0
	s_waitcnt lgkmcnt(0)
	v_add_u32_e32 v0, v23, v0
	ds_write_b32 v27, v0 offset:64
.LBB2468_21:
	s_or_b64 exec, exec, s[20:21]
	v_xor_b32_e32 v13, 0x80000000, v2
	v_lshrrev_b32_e32 v0, s48, v13
	v_and_b32_e32 v2, s54, v0
	s_movk_i32 s22, 0x44
	v_mul_lo_u32 v0, v2, s22
	v_add_u32_e32 v31, v35, v0
	v_and_b32_e32 v0, 1, v2
	v_mov_b32_e32 v1, 0
	v_lshl_add_u64 v[10:11], v[0:1], 0, -1
	v_cmp_ne_u32_e32 vcc, 0, v0
	; wave barrier
	s_nop 1
	v_xor_b32_e32 v10, vcc_lo, v10
	v_xor_b32_e32 v0, vcc_hi, v11
	v_and_b32_e32 v28, exec_lo, v10
	v_lshlrev_b32_e32 v11, 30, v2
	v_mov_b32_e32 v10, v1
	v_cmp_gt_i64_e32 vcc, 0, v[10:11]
	v_not_b32_e32 v10, v11
	v_ashrrev_i32_e32 v10, 31, v10
	v_and_b32_e32 v0, exec_hi, v0
	v_xor_b32_e32 v11, vcc_hi, v10
	v_xor_b32_e32 v10, vcc_lo, v10
	v_and_b32_e32 v0, v0, v11
	v_and_b32_e32 v28, v28, v10
	v_lshlrev_b32_e32 v11, 29, v2
	v_mov_b32_e32 v10, v1
	v_cmp_gt_i64_e32 vcc, 0, v[10:11]
	v_not_b32_e32 v10, v11
	v_ashrrev_i32_e32 v10, 31, v10
	v_xor_b32_e32 v11, vcc_hi, v10
	v_xor_b32_e32 v10, vcc_lo, v10
	v_and_b32_e32 v0, v0, v11
	v_and_b32_e32 v28, v28, v10
	v_lshlrev_b32_e32 v11, 28, v2
	v_mov_b32_e32 v10, v1
	v_cmp_gt_i64_e32 vcc, 0, v[10:11]
	v_not_b32_e32 v10, v11
	v_ashrrev_i32_e32 v10, 31, v10
	;; [unrolled: 9-line block ×5, first 2 shown]
	v_xor_b32_e32 v11, vcc_hi, v10
	v_xor_b32_e32 v10, vcc_lo, v10
	v_and_b32_e32 v0, v0, v11
	v_lshlrev_b32_e32 v11, 24, v2
	v_and_b32_e32 v28, v28, v10
	v_mov_b32_e32 v10, v1
	v_not_b32_e32 v2, v11
	v_cmp_gt_i64_e32 vcc, 0, v[10:11]
	v_ashrrev_i32_e32 v2, 31, v2
	ds_read_b32 v25, v31 offset:64
	v_xor_b32_e32 v10, vcc_hi, v2
	v_xor_b32_e32 v2, vcc_lo, v2
	v_and_b32_e32 v11, v0, v10
	v_and_b32_e32 v10, v28, v2
	v_mbcnt_lo_u32_b32 v0, v10, 0
	v_mbcnt_hi_u32_b32 v29, v11, v0
	v_cmp_eq_u32_e32 vcc, 0, v29
	v_cmp_ne_u64_e64 s[20:21], 0, v[10:11]
	s_and_b64 s[24:25], s[20:21], vcc
	; wave barrier
	s_and_saveexec_b64 s[20:21], s[24:25]
	s_cbranch_execz .LBB2468_23
; %bb.22:
	v_bcnt_u32_b32 v0, v10, 0
	v_bcnt_u32_b32 v0, v11, v0
	s_waitcnt lgkmcnt(0)
	v_add_u32_e32 v0, v25, v0
	ds_write_b32 v31, v0 offset:64
.LBB2468_23:
	s_or_b64 exec, exec, s[20:21]
	v_xor_b32_e32 v10, 0x80000000, v3
	v_lshrrev_b32_e32 v0, s48, v10
	v_and_b32_e32 v11, s54, v0
	v_mul_lo_u32 v0, v11, s22
	v_add_u32_e32 v36, v35, v0
	v_and_b32_e32 v0, 1, v11
	v_lshl_add_u64 v[2:3], v[0:1], 0, -1
	v_cmp_ne_u32_e32 vcc, 0, v0
	; wave barrier
	s_nop 1
	v_xor_b32_e32 v2, vcc_lo, v2
	v_xor_b32_e32 v0, vcc_hi, v3
	v_and_b32_e32 v28, exec_lo, v2
	v_lshlrev_b32_e32 v3, 30, v11
	v_mov_b32_e32 v2, v1
	v_cmp_gt_i64_e32 vcc, 0, v[2:3]
	v_not_b32_e32 v2, v3
	v_ashrrev_i32_e32 v2, 31, v2
	v_and_b32_e32 v0, exec_hi, v0
	v_xor_b32_e32 v3, vcc_hi, v2
	v_xor_b32_e32 v2, vcc_lo, v2
	v_and_b32_e32 v0, v0, v3
	v_and_b32_e32 v28, v28, v2
	v_lshlrev_b32_e32 v3, 29, v11
	v_mov_b32_e32 v2, v1
	v_cmp_gt_i64_e32 vcc, 0, v[2:3]
	v_not_b32_e32 v2, v3
	v_ashrrev_i32_e32 v2, 31, v2
	v_xor_b32_e32 v3, vcc_hi, v2
	v_xor_b32_e32 v2, vcc_lo, v2
	v_and_b32_e32 v0, v0, v3
	v_and_b32_e32 v28, v28, v2
	v_lshlrev_b32_e32 v3, 28, v11
	v_mov_b32_e32 v2, v1
	v_cmp_gt_i64_e32 vcc, 0, v[2:3]
	v_not_b32_e32 v2, v3
	v_ashrrev_i32_e32 v2, 31, v2
	;; [unrolled: 9-line block ×5, first 2 shown]
	v_xor_b32_e32 v3, vcc_hi, v2
	v_xor_b32_e32 v2, vcc_lo, v2
	v_and_b32_e32 v0, v0, v3
	v_lshlrev_b32_e32 v3, 24, v11
	v_and_b32_e32 v28, v28, v2
	v_mov_b32_e32 v2, v1
	v_not_b32_e32 v1, v3
	v_cmp_gt_i64_e32 vcc, 0, v[2:3]
	v_ashrrev_i32_e32 v1, 31, v1
	ds_read_b32 v30, v36 offset:64
	v_xor_b32_e32 v2, vcc_hi, v1
	v_xor_b32_e32 v3, vcc_lo, v1
	v_and_b32_e32 v1, v0, v2
	v_and_b32_e32 v0, v28, v3
	v_mbcnt_lo_u32_b32 v2, v0, 0
	v_mbcnt_hi_u32_b32 v33, v1, v2
	v_cmp_eq_u32_e32 vcc, 0, v33
	v_cmp_ne_u64_e64 s[20:21], 0, v[0:1]
	s_and_b64 s[22:23], s[20:21], vcc
	; wave barrier
	s_and_saveexec_b64 s[20:21], s[22:23]
	s_cbranch_execz .LBB2468_25
; %bb.24:
	v_bcnt_u32_b32 v0, v0, 0
	v_bcnt_u32_b32 v0, v1, v0
	s_waitcnt lgkmcnt(0)
	v_add_u32_e32 v0, v30, v0
	ds_write_b32 v36, v0 offset:64
.LBB2468_25:
	s_or_b64 exec, exec, s[20:21]
	v_xor_b32_e32 v11, 0x80000000, v4
	v_lshrrev_b32_e32 v0, s48, v11
	v_and_b32_e32 v28, s54, v0
	s_movk_i32 s22, 0x44
	v_mul_lo_u32 v0, v28, s22
	v_add_u32_e32 v4, v35, v0
	v_and_b32_e32 v0, 1, v28
	v_mov_b32_e32 v1, 0
	v_lshl_add_u64 v[2:3], v[0:1], 0, -1
	v_cmp_ne_u32_e32 vcc, 0, v0
	; wave barrier
	s_nop 1
	v_xor_b32_e32 v2, vcc_lo, v2
	v_xor_b32_e32 v0, vcc_hi, v3
	v_and_b32_e32 v32, exec_lo, v2
	v_lshlrev_b32_e32 v3, 30, v28
	v_mov_b32_e32 v2, v1
	v_cmp_gt_i64_e32 vcc, 0, v[2:3]
	v_not_b32_e32 v2, v3
	v_ashrrev_i32_e32 v2, 31, v2
	v_and_b32_e32 v0, exec_hi, v0
	v_xor_b32_e32 v3, vcc_hi, v2
	v_xor_b32_e32 v2, vcc_lo, v2
	v_and_b32_e32 v0, v0, v3
	v_and_b32_e32 v32, v32, v2
	v_lshlrev_b32_e32 v3, 29, v28
	v_mov_b32_e32 v2, v1
	v_cmp_gt_i64_e32 vcc, 0, v[2:3]
	v_not_b32_e32 v2, v3
	v_ashrrev_i32_e32 v2, 31, v2
	v_xor_b32_e32 v3, vcc_hi, v2
	v_xor_b32_e32 v2, vcc_lo, v2
	v_and_b32_e32 v0, v0, v3
	v_and_b32_e32 v32, v32, v2
	v_lshlrev_b32_e32 v3, 28, v28
	v_mov_b32_e32 v2, v1
	v_cmp_gt_i64_e32 vcc, 0, v[2:3]
	v_not_b32_e32 v2, v3
	v_ashrrev_i32_e32 v2, 31, v2
	;; [unrolled: 9-line block ×6, first 2 shown]
	v_xor_b32_e32 v3, vcc_hi, v2
	v_xor_b32_e32 v2, vcc_lo, v2
	ds_read_b32 v34, v4 offset:64
	v_and_b32_e32 v2, v32, v2
	v_and_b32_e32 v3, v0, v3
	v_mbcnt_lo_u32_b32 v0, v2, 0
	v_mbcnt_hi_u32_b32 v38, v3, v0
	v_cmp_eq_u32_e32 vcc, 0, v38
	v_cmp_ne_u64_e64 s[20:21], 0, v[2:3]
	s_and_b64 s[24:25], s[20:21], vcc
	; wave barrier
	s_and_saveexec_b64 s[20:21], s[24:25]
	s_cbranch_execz .LBB2468_27
; %bb.26:
	v_bcnt_u32_b32 v0, v2, 0
	v_bcnt_u32_b32 v0, v3, v0
	s_waitcnt lgkmcnt(0)
	v_add_u32_e32 v0, v34, v0
	ds_write_b32 v4, v0 offset:64
.LBB2468_27:
	s_or_b64 exec, exec, s[20:21]
	v_xor_b32_e32 v28, 0x80000000, v5
	v_lshrrev_b32_e32 v0, s48, v28
	v_and_b32_e32 v32, s54, v0
	v_mul_lo_u32 v0, v32, s22
	v_add_u32_e32 v5, v35, v0
	v_and_b32_e32 v0, 1, v32
	v_lshl_add_u64 v[2:3], v[0:1], 0, -1
	v_cmp_ne_u32_e32 vcc, 0, v0
	; wave barrier
	s_nop 1
	v_xor_b32_e32 v2, vcc_lo, v2
	v_xor_b32_e32 v0, vcc_hi, v3
	v_and_b32_e32 v37, exec_lo, v2
	v_lshlrev_b32_e32 v3, 30, v32
	v_mov_b32_e32 v2, v1
	v_cmp_gt_i64_e32 vcc, 0, v[2:3]
	v_not_b32_e32 v2, v3
	v_ashrrev_i32_e32 v2, 31, v2
	v_and_b32_e32 v0, exec_hi, v0
	v_xor_b32_e32 v3, vcc_hi, v2
	v_xor_b32_e32 v2, vcc_lo, v2
	v_and_b32_e32 v0, v0, v3
	v_and_b32_e32 v37, v37, v2
	v_lshlrev_b32_e32 v3, 29, v32
	v_mov_b32_e32 v2, v1
	v_cmp_gt_i64_e32 vcc, 0, v[2:3]
	v_not_b32_e32 v2, v3
	v_ashrrev_i32_e32 v2, 31, v2
	v_xor_b32_e32 v3, vcc_hi, v2
	v_xor_b32_e32 v2, vcc_lo, v2
	v_and_b32_e32 v0, v0, v3
	v_and_b32_e32 v37, v37, v2
	v_lshlrev_b32_e32 v3, 28, v32
	v_mov_b32_e32 v2, v1
	v_cmp_gt_i64_e32 vcc, 0, v[2:3]
	v_not_b32_e32 v2, v3
	v_ashrrev_i32_e32 v2, 31, v2
	;; [unrolled: 9-line block ×5, first 2 shown]
	v_xor_b32_e32 v3, vcc_hi, v2
	v_xor_b32_e32 v2, vcc_lo, v2
	v_and_b32_e32 v0, v0, v3
	v_lshlrev_b32_e32 v3, 24, v32
	v_and_b32_e32 v37, v37, v2
	v_mov_b32_e32 v2, v1
	v_not_b32_e32 v1, v3
	v_cmp_gt_i64_e32 vcc, 0, v[2:3]
	v_ashrrev_i32_e32 v1, 31, v1
	ds_read_b32 v39, v5 offset:64
	v_xor_b32_e32 v2, vcc_hi, v1
	v_xor_b32_e32 v3, vcc_lo, v1
	v_and_b32_e32 v1, v0, v2
	v_and_b32_e32 v0, v37, v3
	v_mbcnt_lo_u32_b32 v2, v0, 0
	v_mbcnt_hi_u32_b32 v40, v1, v2
	v_cmp_eq_u32_e32 vcc, 0, v40
	v_cmp_ne_u64_e64 s[20:21], 0, v[0:1]
	s_and_b64 s[22:23], s[20:21], vcc
	; wave barrier
	s_and_saveexec_b64 s[20:21], s[22:23]
	s_cbranch_execz .LBB2468_29
; %bb.28:
	v_bcnt_u32_b32 v0, v0, 0
	v_bcnt_u32_b32 v0, v1, v0
	s_waitcnt lgkmcnt(0)
	v_add_u32_e32 v0, v39, v0
	ds_write_b32 v5, v0 offset:64
.LBB2468_29:
	s_or_b64 exec, exec, s[20:21]
	v_xor_b32_e32 v32, 0x80000000, v6
	v_lshrrev_b32_e32 v0, s48, v32
	v_and_b32_e32 v37, s54, v0
	s_movk_i32 s22, 0x44
	v_mul_lo_u32 v0, v37, s22
	v_add_u32_e32 v6, v35, v0
	v_and_b32_e32 v0, 1, v37
	v_mov_b32_e32 v1, 0
	v_lshl_add_u64 v[2:3], v[0:1], 0, -1
	v_cmp_ne_u32_e32 vcc, 0, v0
	; wave barrier
	s_nop 1
	v_xor_b32_e32 v2, vcc_lo, v2
	v_xor_b32_e32 v0, vcc_hi, v3
	v_and_b32_e32 v42, exec_lo, v2
	v_lshlrev_b32_e32 v3, 30, v37
	v_mov_b32_e32 v2, v1
	v_cmp_gt_i64_e32 vcc, 0, v[2:3]
	v_not_b32_e32 v2, v3
	v_ashrrev_i32_e32 v2, 31, v2
	v_and_b32_e32 v0, exec_hi, v0
	v_xor_b32_e32 v3, vcc_hi, v2
	v_xor_b32_e32 v2, vcc_lo, v2
	v_and_b32_e32 v0, v0, v3
	v_and_b32_e32 v42, v42, v2
	v_lshlrev_b32_e32 v3, 29, v37
	v_mov_b32_e32 v2, v1
	v_cmp_gt_i64_e32 vcc, 0, v[2:3]
	v_not_b32_e32 v2, v3
	v_ashrrev_i32_e32 v2, 31, v2
	v_xor_b32_e32 v3, vcc_hi, v2
	v_xor_b32_e32 v2, vcc_lo, v2
	v_and_b32_e32 v0, v0, v3
	v_and_b32_e32 v42, v42, v2
	v_lshlrev_b32_e32 v3, 28, v37
	v_mov_b32_e32 v2, v1
	v_cmp_gt_i64_e32 vcc, 0, v[2:3]
	v_not_b32_e32 v2, v3
	v_ashrrev_i32_e32 v2, 31, v2
	;; [unrolled: 9-line block ×6, first 2 shown]
	v_xor_b32_e32 v3, vcc_hi, v2
	v_xor_b32_e32 v2, vcc_lo, v2
	ds_read_b32 v41, v6 offset:64
	v_and_b32_e32 v2, v42, v2
	v_and_b32_e32 v3, v0, v3
	v_mbcnt_lo_u32_b32 v0, v2, 0
	v_mbcnt_hi_u32_b32 v42, v3, v0
	v_cmp_eq_u32_e32 vcc, 0, v42
	v_cmp_ne_u64_e64 s[20:21], 0, v[2:3]
	s_and_b64 s[24:25], s[20:21], vcc
	; wave barrier
	s_and_saveexec_b64 s[20:21], s[24:25]
	s_cbranch_execz .LBB2468_31
; %bb.30:
	v_bcnt_u32_b32 v0, v2, 0
	v_bcnt_u32_b32 v0, v3, v0
	s_waitcnt lgkmcnt(0)
	v_add_u32_e32 v0, v41, v0
	ds_write_b32 v6, v0 offset:64
.LBB2468_31:
	s_or_b64 exec, exec, s[20:21]
	v_xor_b32_e32 v37, 0x80000000, v7
	v_lshrrev_b32_e32 v0, s48, v37
	v_and_b32_e32 v43, s54, v0
	v_mul_lo_u32 v0, v43, s22
	v_add_u32_e32 v7, v35, v0
	v_and_b32_e32 v0, 1, v43
	v_lshl_add_u64 v[2:3], v[0:1], 0, -1
	v_cmp_ne_u32_e32 vcc, 0, v0
	; wave barrier
	s_nop 1
	v_xor_b32_e32 v2, vcc_lo, v2
	v_xor_b32_e32 v0, vcc_hi, v3
	v_and_b32_e32 v44, exec_lo, v2
	v_lshlrev_b32_e32 v3, 30, v43
	v_mov_b32_e32 v2, v1
	v_cmp_gt_i64_e32 vcc, 0, v[2:3]
	v_not_b32_e32 v2, v3
	v_ashrrev_i32_e32 v2, 31, v2
	v_and_b32_e32 v0, exec_hi, v0
	v_xor_b32_e32 v3, vcc_hi, v2
	v_xor_b32_e32 v2, vcc_lo, v2
	v_and_b32_e32 v0, v0, v3
	v_and_b32_e32 v44, v44, v2
	v_lshlrev_b32_e32 v3, 29, v43
	v_mov_b32_e32 v2, v1
	v_cmp_gt_i64_e32 vcc, 0, v[2:3]
	v_not_b32_e32 v2, v3
	v_ashrrev_i32_e32 v2, 31, v2
	v_xor_b32_e32 v3, vcc_hi, v2
	v_xor_b32_e32 v2, vcc_lo, v2
	v_and_b32_e32 v0, v0, v3
	v_and_b32_e32 v44, v44, v2
	v_lshlrev_b32_e32 v3, 28, v43
	v_mov_b32_e32 v2, v1
	v_cmp_gt_i64_e32 vcc, 0, v[2:3]
	v_not_b32_e32 v2, v3
	v_ashrrev_i32_e32 v2, 31, v2
	;; [unrolled: 9-line block ×5, first 2 shown]
	v_xor_b32_e32 v3, vcc_hi, v2
	v_xor_b32_e32 v2, vcc_lo, v2
	v_and_b32_e32 v0, v0, v3
	v_lshlrev_b32_e32 v3, 24, v43
	v_and_b32_e32 v44, v44, v2
	v_mov_b32_e32 v2, v1
	v_not_b32_e32 v1, v3
	v_cmp_gt_i64_e32 vcc, 0, v[2:3]
	v_ashrrev_i32_e32 v1, 31, v1
	ds_read_b32 v35, v7 offset:64
	v_xor_b32_e32 v2, vcc_hi, v1
	v_xor_b32_e32 v3, vcc_lo, v1
	v_and_b32_e32 v1, v0, v2
	v_and_b32_e32 v0, v44, v3
	v_mbcnt_lo_u32_b32 v2, v0, 0
	v_mbcnt_hi_u32_b32 v43, v1, v2
	v_cmp_eq_u32_e32 vcc, 0, v43
	v_cmp_ne_u64_e64 s[20:21], 0, v[0:1]
	s_and_b64 s[22:23], s[20:21], vcc
	; wave barrier
	s_and_saveexec_b64 s[20:21], s[22:23]
	s_cbranch_execz .LBB2468_33
; %bb.32:
	v_bcnt_u32_b32 v0, v0, 0
	v_bcnt_u32_b32 v0, v1, v0
	s_waitcnt lgkmcnt(0)
	v_add_u32_e32 v0, v35, v0
	ds_write_b32 v7, v0 offset:64
.LBB2468_33:
	s_or_b64 exec, exec, s[20:21]
	; wave barrier
	s_waitcnt lgkmcnt(0)
	s_barrier
	ds_read2_b32 v[2:3], v21 offset0:16 offset1:17
	ds_read2_b32 v[0:1], v21 offset0:18 offset1:19
	ds_read_b32 v44, v21 offset:80
	v_cmp_lt_u32_e64 s[28:29], 31, v20
	s_waitcnt lgkmcnt(1)
	v_add3_u32 v45, v3, v2, v0
	s_waitcnt lgkmcnt(0)
	v_add3_u32 v44, v45, v1, v44
	v_and_b32_e32 v45, 15, v20
	v_cmp_eq_u32_e32 vcc, 0, v45
	v_mov_b32_dpp v46, v44 row_shr:1 row_mask:0xf bank_mask:0xf
	v_cmp_lt_u32_e64 s[20:21], 1, v45
	v_cndmask_b32_e64 v46, v46, 0, vcc
	v_add_u32_e32 v44, v46, v44
	v_cmp_lt_u32_e64 s[22:23], 3, v45
	v_cmp_lt_u32_e64 s[24:25], 7, v45
	v_mov_b32_dpp v46, v44 row_shr:2 row_mask:0xf bank_mask:0xf
	v_cndmask_b32_e64 v46, 0, v46, s[20:21]
	v_add_u32_e32 v44, v44, v46
	s_nop 1
	v_mov_b32_dpp v46, v44 row_shr:4 row_mask:0xf bank_mask:0xf
	v_cndmask_b32_e64 v46, 0, v46, s[22:23]
	v_add_u32_e32 v44, v44, v46
	s_nop 1
	v_mov_b32_dpp v46, v44 row_shr:8 row_mask:0xf bank_mask:0xf
	v_cndmask_b32_e64 v45, 0, v46, s[24:25]
	v_add_u32_e32 v44, v44, v45
	v_bfe_i32 v46, v20, 4, 1
	s_nop 0
	v_mov_b32_dpp v45, v44 row_bcast:15 row_mask:0xf bank_mask:0xf
	v_and_b32_e32 v45, v46, v45
	v_add_u32_e32 v44, v44, v45
	v_and_b32_e32 v46, 63, v8
	s_nop 0
	v_mov_b32_dpp v45, v44 row_bcast:31 row_mask:0xf bank_mask:0xf
	v_cndmask_b32_e64 v45, 0, v45, s[28:29]
	v_add_u32_e32 v44, v44, v45
	v_lshrrev_b32_e32 v45, 6, v8
	v_cmp_eq_u32_e64 s[28:29], 63, v46
	s_and_saveexec_b64 s[30:31], s[28:29]
; %bb.34:
	v_lshlrev_b32_e32 v46, 2, v45
	ds_write_b32 v46, v44
; %bb.35:
	s_or_b64 exec, exec, s[30:31]
	v_cmp_gt_u32_e64 s[28:29], 16, v8
	s_waitcnt lgkmcnt(0)
	s_barrier
	s_and_saveexec_b64 s[30:31], s[28:29]
	s_cbranch_execz .LBB2468_37
; %bb.36:
	v_lshlrev_b32_e32 v46, 2, v8
	ds_read_b32 v47, v46
	s_waitcnt lgkmcnt(0)
	s_nop 0
	v_mov_b32_dpp v48, v47 row_shr:1 row_mask:0xf bank_mask:0xf
	v_cndmask_b32_e64 v48, v48, 0, vcc
	v_add_u32_e32 v47, v48, v47
	s_nop 1
	v_mov_b32_dpp v48, v47 row_shr:2 row_mask:0xf bank_mask:0xf
	v_cndmask_b32_e64 v48, 0, v48, s[20:21]
	v_add_u32_e32 v47, v47, v48
	s_nop 1
	v_mov_b32_dpp v48, v47 row_shr:4 row_mask:0xf bank_mask:0xf
	v_cndmask_b32_e64 v48, 0, v48, s[22:23]
	;; [unrolled: 4-line block ×3, first 2 shown]
	v_add_u32_e32 v47, v47, v48
	ds_write_b32 v46, v47
.LBB2468_37:
	s_or_b64 exec, exec, s[30:31]
	v_cmp_lt_u32_e32 vcc, 63, v8
	v_mov_b32_e32 v46, 0
	s_waitcnt lgkmcnt(0)
	s_barrier
	s_and_saveexec_b64 s[20:21], vcc
; %bb.38:
	v_lshl_add_u32 v45, v45, 2, -4
	ds_read_b32 v46, v45
; %bb.39:
	s_or_b64 exec, exec, s[20:21]
	v_subrev_co_u32_e32 v45, vcc, 1, v20
	v_and_b32_e32 v47, 64, v20
	v_cmp_lt_i32_e64 s[20:21], v45, v47
	s_waitcnt lgkmcnt(0)
	v_add_u32_e32 v44, v46, v44
	s_movk_i32 s22, 0x100
	v_cndmask_b32_e64 v20, v45, v20, s[20:21]
	v_lshlrev_b32_e32 v20, 2, v20
	ds_bpermute_b32 v20, v20, v44
	s_movk_i32 s20, 0xff
	v_cmp_lt_u32_e64 s[20:21], s20, v8
	s_waitcnt lgkmcnt(0)
	v_cndmask_b32_e32 v20, v20, v46, vcc
	v_cmp_ne_u32_e32 vcc, 0, v8
	s_nop 1
	v_cndmask_b32_e32 v20, 0, v20, vcc
	v_add_u32_e32 v2, v20, v2
	v_add_u32_e32 v3, v2, v3
	v_add_u32_e32 v0, v3, v0
	v_add_u32_e32 v1, v0, v1
	ds_write2_b32 v21, v20, v2 offset0:16 offset1:17
	ds_write2_b32 v21, v3, v0 offset0:18 offset1:19
	ds_write_b32 v21, v1 offset:80
	s_waitcnt lgkmcnt(0)
	s_barrier
	ds_read_b32 v26, v26 offset:64
	ds_read_b32 v45, v27 offset:64
	;; [unrolled: 1-line block ×8, first 2 shown]
	v_cmp_gt_u32_e32 vcc, s22, v8
                                        ; implicit-def: $vgpr6
                                        ; implicit-def: $vgpr7
	s_and_saveexec_b64 s[24:25], vcc
	s_cbranch_execz .LBB2468_43
; %bb.40:
	v_mul_u32_u24_e32 v0, 0x44, v8
	ds_read_b32 v6, v0 offset:64
	v_add_u32_e32 v1, 1, v8
	v_cmp_ne_u32_e64 s[22:23], s22, v1
	v_mov_b32_e32 v0, 0x2000
	s_and_saveexec_b64 s[28:29], s[22:23]
; %bb.41:
	v_mul_u32_u24_e32 v0, 0x44, v1
	ds_read_b32 v0, v0 offset:64
; %bb.42:
	s_or_b64 exec, exec, s[28:29]
	s_waitcnt lgkmcnt(0)
	v_sub_u32_e32 v7, v0, v6
.LBB2468_43:
	s_or_b64 exec, exec, s[24:25]
	v_mov_b32_e32 v1, 0
	v_lshlrev_b32_e32 v20, 2, v8
	s_waitcnt lgkmcnt(0)
	s_barrier
	s_and_saveexec_b64 s[22:23], vcc
	s_cbranch_execz .LBB2468_53
; %bb.44:
	v_lshl_add_u32 v0, s4, 8, v8
	v_lshl_add_u64 v[2:3], v[0:1], 2, s[52:53]
	v_or_b32_e32 v0, 2.0, v7
	s_mov_b64 s[24:25], 0
	s_brev_b32 s34, -4
	s_mov_b32 s35, s4
	v_mov_b32_e32 v27, 0
	global_store_dword v[2:3], v0, off sc1
                                        ; implicit-def: $sgpr28_sgpr29
	s_branch .LBB2468_47
.LBB2468_45:                            ;   in Loop: Header=BB2468_47 Depth=1
	s_or_b64 exec, exec, s[30:31]
.LBB2468_46:                            ;   in Loop: Header=BB2468_47 Depth=1
	s_or_b64 exec, exec, s[28:29]
	v_and_b32_e32 v4, 0x3fffffff, v0
	v_add_u32_e32 v27, v4, v27
	v_cmp_gt_i32_e64 s[28:29], -2.0, v0
	s_and_b64 s[30:31], exec, s[28:29]
	s_or_b64 s[24:25], s[30:31], s[24:25]
	s_andn2_b64 exec, exec, s[24:25]
	s_cbranch_execz .LBB2468_52
.LBB2468_47:                            ; =>This Loop Header: Depth=1
                                        ;     Child Loop BB2468_50 Depth 2
	s_or_b64 s[28:29], s[28:29], exec
	s_cmp_eq_u32 s35, 0
	s_cbranch_scc1 .LBB2468_51
; %bb.48:                               ;   in Loop: Header=BB2468_47 Depth=1
	s_add_i32 s35, s35, -1
	v_lshl_or_b32 v0, s35, 8, v8
	v_lshl_add_u64 v[4:5], v[0:1], 2, s[52:53]
	global_load_dword v0, v[4:5], off sc1
	s_waitcnt vmcnt(0)
	v_cmp_gt_u32_e32 vcc, 2.0, v0
	s_and_saveexec_b64 s[28:29], vcc
	s_cbranch_execz .LBB2468_46
; %bb.49:                               ;   in Loop: Header=BB2468_47 Depth=1
	s_mov_b64 s[30:31], 0
.LBB2468_50:                            ;   Parent Loop BB2468_47 Depth=1
                                        ; =>  This Inner Loop Header: Depth=2
	global_load_dword v0, v[4:5], off sc1
	s_waitcnt vmcnt(0)
	v_cmp_lt_u32_e32 vcc, s34, v0
	s_or_b64 s[30:31], vcc, s[30:31]
	s_andn2_b64 exec, exec, s[30:31]
	s_cbranch_execnz .LBB2468_50
	s_branch .LBB2468_45
.LBB2468_51:                            ;   in Loop: Header=BB2468_47 Depth=1
                                        ; implicit-def: $sgpr35
	s_and_b64 s[30:31], exec, s[28:29]
	s_or_b64 s[24:25], s[30:31], s[24:25]
	s_andn2_b64 exec, exec, s[24:25]
	s_cbranch_execnz .LBB2468_47
.LBB2468_52:
	s_or_b64 exec, exec, s[24:25]
	v_add_u32_e32 v0, v27, v7
	v_or_b32_e32 v0, 0x80000000, v0
	global_store_dword v[2:3], v0, off sc1
	global_load_dword v0, v20, s[44:45]
	v_sub_u32_e32 v1, v27, v6
	s_waitcnt vmcnt(0)
	v_add_u32_e32 v0, v1, v0
	ds_write_b32 v20, v0
.LBB2468_53:
	s_or_b64 exec, exec, s[22:23]
	s_load_dwordx2 s[22:23], s[0:1], 0x4
	v_add_u32_e32 v27, v26, v22
	v_add3_u32 v26, v24, v23, v45
	v_add3_u32 v24, v29, v25, v46
	v_add3_u32 v23, v33, v30, v47
	s_waitcnt lgkmcnt(0)
	s_lshr_b32 s0, s22, 16
	s_mul_i32 s0, s0, s23
	v_mul_lo_u32 v0, s0, v8
	v_mad_u32_u24 v0, v9, s23, v0
	v_add_lshl_u32 v0, v0, v14, 5
	v_add3_u32 v22, v38, v34, v21
	v_add3_u32 v21, v40, v39, v31
	v_add3_u32 v5, v42, v41, v36
	v_add3_u32 v4, v43, v35, v44
	v_add_u32_e32 v2, 0x5050, v0
	v_add_u32_e32 v3, 0x5060, v0
	v_lshlrev_b32_e32 v25, 2, v4
	v_lshlrev_b32_e32 v29, 2, v5
	;; [unrolled: 1-line block ×8, first 2 shown]
	s_mov_b32 s24, 0
	s_mov_b64 s[0:1], -1
	v_mov_b32_e32 v1, 0
	s_movk_i32 s25, 0x400
	s_movk_i32 s28, 0x800
	;; [unrolled: 1-line block ×3, first 2 shown]
	v_mov_b32_e32 v38, v27
	v_mov_b32_e32 v39, v26
	;; [unrolled: 1-line block ×9, first 2 shown]
	s_mov_b32 s30, 0
	s_branch .LBB2468_55
.LBB2468_54:                            ;   in Loop: Header=BB2468_55 Depth=1
	s_or_b64 exec, exec, s[22:23]
	s_xor_b64 s[22:23], s[0:1], -1
	s_addk_i32 s30, 0x1000
	s_addk_i32 s24, 0xc000
	s_mov_b64 s[0:1], 0
	s_and_b64 vcc, exec, s[22:23]
	v_mov_b32_e32 v46, v3
	s_waitcnt lgkmcnt(0)
	s_barrier
	s_cbranch_vccnz .LBB2468_79
.LBB2468_55:                            ; =>This Inner Loop Header: Depth=1
	v_subrev_co_u32_e32 v38, vcc, 0x1000, v38
	s_and_saveexec_b64 s[22:23], vcc
	s_cbranch_execz .LBB2468_63
; %bb.56:                               ;   in Loop: Header=BB2468_55 Depth=1
	v_add_u32_e32 v0, s24, v36
	ds_write_b32 v0, v19 offset:1024
	s_or_b64 exec, exec, s[22:23]
	v_subrev_co_u32_e32 v39, vcc, 0x1000, v39
	s_and_saveexec_b64 s[22:23], vcc
	s_cbranch_execnz .LBB2468_64
.LBB2468_57:                            ;   in Loop: Header=BB2468_55 Depth=1
	s_or_b64 exec, exec, s[22:23]
	v_subrev_co_u32_e32 v40, vcc, 0x1000, v40
	s_and_saveexec_b64 s[22:23], vcc
	s_cbranch_execz .LBB2468_65
.LBB2468_58:                            ;   in Loop: Header=BB2468_55 Depth=1
	v_add_u32_e32 v0, s24, v34
	ds_write_b32 v0, v13 offset:1024
	s_or_b64 exec, exec, s[22:23]
	v_subrev_co_u32_e32 v41, vcc, 0x1000, v41
	s_and_saveexec_b64 s[22:23], vcc
	s_cbranch_execnz .LBB2468_66
.LBB2468_59:                            ;   in Loop: Header=BB2468_55 Depth=1
	s_or_b64 exec, exec, s[22:23]
	v_subrev_co_u32_e32 v42, vcc, 0x1000, v42
	s_and_saveexec_b64 s[22:23], vcc
	s_cbranch_execz .LBB2468_67
.LBB2468_60:                            ;   in Loop: Header=BB2468_55 Depth=1
	v_add_u32_e32 v0, s24, v31
	ds_write_b32 v0, v11 offset:1024
	s_or_b64 exec, exec, s[22:23]
	v_subrev_co_u32_e32 v43, vcc, 0x1000, v43
	s_and_saveexec_b64 s[22:23], vcc
	s_cbranch_execnz .LBB2468_68
.LBB2468_61:                            ;   in Loop: Header=BB2468_55 Depth=1
	s_or_b64 exec, exec, s[22:23]
	v_subrev_co_u32_e32 v44, vcc, 0x1000, v44
	s_and_saveexec_b64 s[22:23], vcc
	s_cbranch_execz .LBB2468_69
.LBB2468_62:                            ;   in Loop: Header=BB2468_55 Depth=1
	v_add_u32_e32 v0, s24, v29
	ds_write_b32 v0, v32 offset:1024
	s_or_b64 exec, exec, s[22:23]
	v_subrev_co_u32_e32 v45, vcc, 0x1000, v45
	s_and_saveexec_b64 s[22:23], vcc
	s_cbranch_execnz .LBB2468_70
	s_branch .LBB2468_71
.LBB2468_63:                            ;   in Loop: Header=BB2468_55 Depth=1
	s_or_b64 exec, exec, s[22:23]
	v_subrev_co_u32_e32 v39, vcc, 0x1000, v39
	s_and_saveexec_b64 s[22:23], vcc
	s_cbranch_execz .LBB2468_57
.LBB2468_64:                            ;   in Loop: Header=BB2468_55 Depth=1
	v_add_u32_e32 v0, s24, v35
	ds_write_b32 v0, v12 offset:1024
	s_or_b64 exec, exec, s[22:23]
	v_subrev_co_u32_e32 v40, vcc, 0x1000, v40
	s_and_saveexec_b64 s[22:23], vcc
	s_cbranch_execnz .LBB2468_58
.LBB2468_65:                            ;   in Loop: Header=BB2468_55 Depth=1
	s_or_b64 exec, exec, s[22:23]
	v_subrev_co_u32_e32 v41, vcc, 0x1000, v41
	s_and_saveexec_b64 s[22:23], vcc
	s_cbranch_execz .LBB2468_59
.LBB2468_66:                            ;   in Loop: Header=BB2468_55 Depth=1
	v_add_u32_e32 v0, s24, v33
	ds_write_b32 v0, v10 offset:1024
	s_or_b64 exec, exec, s[22:23]
	v_subrev_co_u32_e32 v42, vcc, 0x1000, v42
	s_and_saveexec_b64 s[22:23], vcc
	s_cbranch_execnz .LBB2468_60
.LBB2468_67:                            ;   in Loop: Header=BB2468_55 Depth=1
	s_or_b64 exec, exec, s[22:23]
	v_subrev_co_u32_e32 v43, vcc, 0x1000, v43
	s_and_saveexec_b64 s[22:23], vcc
	s_cbranch_execz .LBB2468_61
.LBB2468_68:                            ;   in Loop: Header=BB2468_55 Depth=1
	v_add_u32_e32 v0, s24, v30
	ds_write_b32 v0, v28 offset:1024
	s_or_b64 exec, exec, s[22:23]
	v_subrev_co_u32_e32 v44, vcc, 0x1000, v44
	s_and_saveexec_b64 s[22:23], vcc
	s_cbranch_execnz .LBB2468_62
.LBB2468_69:                            ;   in Loop: Header=BB2468_55 Depth=1
	s_or_b64 exec, exec, s[22:23]
	v_subrev_co_u32_e32 v45, vcc, 0x1000, v45
	s_and_saveexec_b64 s[22:23], vcc
.LBB2468_70:                            ;   in Loop: Header=BB2468_55 Depth=1
	v_add_u32_e32 v0, s24, v25
	ds_write_b32 v0, v37 offset:1024
.LBB2468_71:                            ;   in Loop: Header=BB2468_55 Depth=1
	s_or_b64 exec, exec, s[22:23]
	v_add_u32_e32 v47, s30, v8
	v_cmp_gt_u32_e32 vcc, s5, v47
	s_waitcnt lgkmcnt(0)
	s_barrier
	s_and_saveexec_b64 s[22:23], vcc
	s_cbranch_execz .LBB2468_73
; %bb.72:                               ;   in Loop: Header=BB2468_55 Depth=1
	ds_read_b32 v0, v20 offset:1024
	s_waitcnt lgkmcnt(0)
	v_lshrrev_b32_e32 v48, s48, v0
	v_and_b32_e32 v50, s54, v48
	v_lshlrev_b32_e32 v48, 2, v50
	ds_read_b32 v48, v48
	v_xor_b32_e32 v51, 0x80000000, v0
	ds_write_b32 v46, v50
	s_waitcnt lgkmcnt(1)
	v_add_u32_e32 v0, v47, v48
	v_lshl_add_u64 v[48:49], v[0:1], 2, s[38:39]
	global_store_dword v[48:49], v51, off
.LBB2468_73:                            ;   in Loop: Header=BB2468_55 Depth=1
	s_or_b64 exec, exec, s[22:23]
	v_add_u32_e32 v0, 0x400, v47
	v_cmp_gt_u32_e32 vcc, s5, v0
	s_and_saveexec_b64 s[22:23], vcc
	s_cbranch_execz .LBB2468_75
; %bb.74:                               ;   in Loop: Header=BB2468_55 Depth=1
	ds_read_b32 v0, v20 offset:5120
	s_waitcnt lgkmcnt(0)
	v_lshrrev_b32_e32 v48, s48, v0
	v_and_b32_e32 v50, s54, v48
	v_lshlrev_b32_e32 v48, 2, v50
	ds_read_b32 v48, v48
	v_xor_b32_e32 v51, 0x80000000, v0
	ds_write_b32 v46, v50 offset:4
	s_waitcnt lgkmcnt(1)
	v_add3_u32 v0, v47, v48, s25
	v_lshl_add_u64 v[48:49], v[0:1], 2, s[38:39]
	global_store_dword v[48:49], v51, off
.LBB2468_75:                            ;   in Loop: Header=BB2468_55 Depth=1
	s_or_b64 exec, exec, s[22:23]
	v_add_u32_e32 v0, 0x800, v47
	v_cmp_gt_u32_e32 vcc, s5, v0
	s_and_saveexec_b64 s[22:23], vcc
	s_cbranch_execz .LBB2468_77
; %bb.76:                               ;   in Loop: Header=BB2468_55 Depth=1
	ds_read_b32 v0, v20 offset:9216
	s_waitcnt lgkmcnt(0)
	v_lshrrev_b32_e32 v48, s48, v0
	v_and_b32_e32 v50, s54, v48
	v_lshlrev_b32_e32 v48, 2, v50
	ds_read_b32 v48, v48
	v_xor_b32_e32 v51, 0x80000000, v0
	ds_write_b32 v46, v50 offset:8
	s_waitcnt lgkmcnt(1)
	v_add3_u32 v0, v47, v48, s28
	v_lshl_add_u64 v[48:49], v[0:1], 2, s[38:39]
	global_store_dword v[48:49], v51, off
.LBB2468_77:                            ;   in Loop: Header=BB2468_55 Depth=1
	s_or_b64 exec, exec, s[22:23]
	v_add_u32_e32 v0, 0xc00, v47
	v_cmp_gt_u32_e32 vcc, s5, v0
	s_and_saveexec_b64 s[22:23], vcc
	s_cbranch_execz .LBB2468_54
; %bb.78:                               ;   in Loop: Header=BB2468_55 Depth=1
	ds_read_b32 v0, v20 offset:13312
	s_waitcnt lgkmcnt(0)
	v_lshrrev_b32_e32 v48, s48, v0
	v_and_b32_e32 v50, s54, v48
	v_lshlrev_b32_e32 v48, 2, v50
	ds_read_b32 v48, v48
	v_xor_b32_e32 v51, 0x80000000, v0
	ds_write_b32 v46, v50 offset:12
	s_waitcnt lgkmcnt(1)
	v_add3_u32 v0, v47, v48, s29
	v_lshl_add_u64 v[48:49], v[0:1], 2, s[38:39]
	global_store_dword v[48:49], v51, off
	s_branch .LBB2468_54
.LBB2468_79:
	s_lshl_b64 s[0:1], s[50:51], 1
	s_add_u32 s0, s40, s0
	s_addc_u32 s1, s41, s1
	v_lshlrev_b32_e32 v0, 1, v18
	v_mov_b32_e32 v1, 0
	v_lshl_add_u64 v[10:11], s[0:1], 0, v[0:1]
	v_lshlrev_b32_e32 v0, 1, v17
	v_lshl_add_u64 v[0:1], v[10:11], 0, v[0:1]
                                        ; implicit-def: $vgpr10
	s_and_saveexec_b64 s[0:1], s[18:19]
	s_cbranch_execz .LBB2468_87
; %bb.80:
	global_load_ushort v10, v[0:1], off
	s_or_b64 exec, exec, s[0:1]
                                        ; implicit-def: $vgpr11
	s_and_saveexec_b64 s[0:1], s[26:27]
	s_cbranch_execnz .LBB2468_88
.LBB2468_81:
	s_or_b64 exec, exec, s[0:1]
                                        ; implicit-def: $vgpr12
	s_and_saveexec_b64 s[0:1], s[6:7]
	s_cbranch_execz .LBB2468_89
.LBB2468_82:
	global_load_ushort v12, v[0:1], off offset:256
	s_or_b64 exec, exec, s[0:1]
                                        ; implicit-def: $vgpr13
	s_and_saveexec_b64 s[0:1], s[8:9]
	s_cbranch_execnz .LBB2468_90
.LBB2468_83:
	s_or_b64 exec, exec, s[0:1]
                                        ; implicit-def: $vgpr17
	s_and_saveexec_b64 s[0:1], s[10:11]
	s_cbranch_execz .LBB2468_91
.LBB2468_84:
	global_load_ushort v17, v[0:1], off offset:512
	s_or_b64 exec, exec, s[0:1]
                                        ; implicit-def: $vgpr18
	s_and_saveexec_b64 s[0:1], s[12:13]
	s_cbranch_execnz .LBB2468_92
.LBB2468_85:
	s_or_b64 exec, exec, s[0:1]
                                        ; implicit-def: $vgpr19
	s_and_saveexec_b64 s[0:1], s[14:15]
	s_cbranch_execz .LBB2468_93
.LBB2468_86:
	global_load_ushort v19, v[0:1], off offset:768
	s_or_b64 exec, exec, s[0:1]
                                        ; implicit-def: $vgpr25
	s_and_saveexec_b64 s[0:1], s[16:17]
	s_cbranch_execnz .LBB2468_94
	s_branch .LBB2468_95
.LBB2468_87:
	s_or_b64 exec, exec, s[0:1]
                                        ; implicit-def: $vgpr11
	s_and_saveexec_b64 s[0:1], s[26:27]
	s_cbranch_execz .LBB2468_81
.LBB2468_88:
	global_load_ushort v11, v[0:1], off offset:128
	s_or_b64 exec, exec, s[0:1]
                                        ; implicit-def: $vgpr12
	s_and_saveexec_b64 s[0:1], s[6:7]
	s_cbranch_execnz .LBB2468_82
.LBB2468_89:
	s_or_b64 exec, exec, s[0:1]
                                        ; implicit-def: $vgpr13
	s_and_saveexec_b64 s[0:1], s[8:9]
	s_cbranch_execz .LBB2468_83
.LBB2468_90:
	global_load_ushort v13, v[0:1], off offset:384
	s_or_b64 exec, exec, s[0:1]
                                        ; implicit-def: $vgpr17
	s_and_saveexec_b64 s[0:1], s[10:11]
	s_cbranch_execnz .LBB2468_84
.LBB2468_91:
	s_or_b64 exec, exec, s[0:1]
                                        ; implicit-def: $vgpr18
	s_and_saveexec_b64 s[0:1], s[12:13]
	s_cbranch_execz .LBB2468_85
.LBB2468_92:
	global_load_ushort v18, v[0:1], off offset:640
	s_or_b64 exec, exec, s[0:1]
                                        ; implicit-def: $vgpr19
	s_and_saveexec_b64 s[0:1], s[14:15]
	s_cbranch_execnz .LBB2468_86
.LBB2468_93:
	s_or_b64 exec, exec, s[0:1]
                                        ; implicit-def: $vgpr25
	s_and_saveexec_b64 s[0:1], s[16:17]
	s_cbranch_execz .LBB2468_95
.LBB2468_94:
	global_load_ushort v25, v[0:1], off offset:896
.LBB2468_95:
	s_or_b64 exec, exec, s[0:1]
	s_movk_i32 s6, 0x2000
	v_cmp_gt_u32_e32 vcc, s6, v27
	s_and_saveexec_b64 s[0:1], vcc
	s_cbranch_execz .LBB2468_103
; %bb.96:
	v_lshlrev_b32_e32 v0, 1, v27
	s_waitcnt vmcnt(0)
	ds_write_b16 v0, v10 offset:1024
	s_or_b64 exec, exec, s[0:1]
	v_cmp_gt_u32_e32 vcc, s6, v26
	s_and_saveexec_b64 s[0:1], vcc
	s_cbranch_execnz .LBB2468_104
.LBB2468_97:
	s_or_b64 exec, exec, s[0:1]
	v_cmp_gt_u32_e32 vcc, s6, v24
	s_and_saveexec_b64 s[0:1], vcc
	s_cbranch_execz .LBB2468_105
.LBB2468_98:
	v_lshlrev_b32_e32 v0, 1, v24
	s_waitcnt vmcnt(0)
	ds_write_b16 v0, v12 offset:1024
	s_or_b64 exec, exec, s[0:1]
	v_cmp_gt_u32_e32 vcc, s6, v23
	s_and_saveexec_b64 s[0:1], vcc
	s_cbranch_execnz .LBB2468_106
.LBB2468_99:
	s_or_b64 exec, exec, s[0:1]
	v_cmp_gt_u32_e32 vcc, s6, v22
	s_and_saveexec_b64 s[0:1], vcc
	s_cbranch_execz .LBB2468_107
.LBB2468_100:
	v_lshlrev_b32_e32 v0, 1, v22
	s_waitcnt vmcnt(0)
	ds_write_b16 v0, v17 offset:1024
	s_or_b64 exec, exec, s[0:1]
	v_cmp_gt_u32_e32 vcc, s6, v21
	s_and_saveexec_b64 s[0:1], vcc
	s_cbranch_execnz .LBB2468_108
.LBB2468_101:
	s_or_b64 exec, exec, s[0:1]
	v_cmp_gt_u32_e32 vcc, s6, v5
	s_and_saveexec_b64 s[0:1], vcc
	s_cbranch_execz .LBB2468_109
.LBB2468_102:
	v_lshlrev_b32_e32 v0, 1, v5
	s_waitcnt vmcnt(0)
	ds_write_b16 v0, v19 offset:1024
	s_or_b64 exec, exec, s[0:1]
	v_cmp_gt_u32_e32 vcc, s6, v4
	s_and_saveexec_b64 s[0:1], vcc
	s_cbranch_execnz .LBB2468_110
	s_branch .LBB2468_111
.LBB2468_103:
	s_or_b64 exec, exec, s[0:1]
	v_cmp_gt_u32_e32 vcc, s6, v26
	s_and_saveexec_b64 s[0:1], vcc
	s_cbranch_execz .LBB2468_97
.LBB2468_104:
	v_lshlrev_b32_e32 v0, 1, v26
	s_waitcnt vmcnt(0)
	ds_write_b16 v0, v11 offset:1024
	s_or_b64 exec, exec, s[0:1]
	v_cmp_gt_u32_e32 vcc, s6, v24
	s_and_saveexec_b64 s[0:1], vcc
	s_cbranch_execnz .LBB2468_98
.LBB2468_105:
	s_or_b64 exec, exec, s[0:1]
	v_cmp_gt_u32_e32 vcc, s6, v23
	s_and_saveexec_b64 s[0:1], vcc
	s_cbranch_execz .LBB2468_99
.LBB2468_106:
	v_lshlrev_b32_e32 v0, 1, v23
	s_waitcnt vmcnt(0)
	ds_write_b16 v0, v13 offset:1024
	s_or_b64 exec, exec, s[0:1]
	v_cmp_gt_u32_e32 vcc, s6, v22
	s_and_saveexec_b64 s[0:1], vcc
	s_cbranch_execnz .LBB2468_100
.LBB2468_107:
	s_or_b64 exec, exec, s[0:1]
	v_cmp_gt_u32_e32 vcc, s6, v21
	s_and_saveexec_b64 s[0:1], vcc
	s_cbranch_execz .LBB2468_101
.LBB2468_108:
	v_lshlrev_b32_e32 v0, 1, v21
	s_waitcnt vmcnt(0)
	ds_write_b16 v0, v18 offset:1024
	s_or_b64 exec, exec, s[0:1]
	v_cmp_gt_u32_e32 vcc, s6, v5
	s_and_saveexec_b64 s[0:1], vcc
	s_cbranch_execnz .LBB2468_102
.LBB2468_109:
	s_or_b64 exec, exec, s[0:1]
	v_cmp_gt_u32_e32 vcc, s6, v4
	s_and_saveexec_b64 s[0:1], vcc
	s_cbranch_execz .LBB2468_111
.LBB2468_110:
	v_lshlrev_b32_e32 v0, 1, v4
	s_waitcnt vmcnt(0)
	ds_write_b16 v0, v25 offset:1024
.LBB2468_111:
	s_or_b64 exec, exec, s[0:1]
	v_cmp_gt_u32_e32 vcc, s5, v8
	s_waitcnt lgkmcnt(0)
	s_barrier
	s_and_saveexec_b64 s[0:1], vcc
	s_cbranch_execz .LBB2468_113
; %bb.112:
	ds_read_b32 v0, v2
	v_lshlrev_b32_e32 v1, 1, v8
	ds_read_u16 v4, v1 offset:1024
	v_mov_b32_e32 v1, 0
	s_waitcnt lgkmcnt(1)
	v_lshlrev_b32_e32 v0, 2, v0
	ds_read_b32 v0, v0
	s_waitcnt lgkmcnt(0)
	v_add_u32_e32 v0, v0, v8
	v_lshl_add_u64 v[0:1], v[0:1], 1, s[42:43]
	global_store_short v[0:1], v4, off
.LBB2468_113:
	s_or_b64 exec, exec, s[0:1]
	v_or_b32_e32 v0, 0x400, v8
	v_cmp_gt_u32_e32 vcc, s5, v0
	s_and_saveexec_b64 s[0:1], vcc
	s_cbranch_execz .LBB2468_115
; %bb.114:
	ds_read_b32 v1, v2 offset:4
	v_lshlrev_b32_e32 v4, 1, v8
	ds_read_u16 v4, v4 offset:3072
	s_waitcnt lgkmcnt(1)
	v_lshlrev_b32_e32 v1, 2, v1
	ds_read_b32 v1, v1
	s_waitcnt lgkmcnt(0)
	v_add_u32_e32 v0, v1, v0
	v_mov_b32_e32 v1, 0
	v_lshl_add_u64 v[0:1], v[0:1], 1, s[42:43]
	global_store_short v[0:1], v4, off
.LBB2468_115:
	s_or_b64 exec, exec, s[0:1]
	v_or_b32_e32 v0, 0x800, v8
	v_cmp_gt_u32_e32 vcc, s5, v0
	s_and_saveexec_b64 s[0:1], vcc
	s_cbranch_execz .LBB2468_117
; %bb.116:
	ds_read_b32 v1, v2 offset:8
	v_lshlrev_b32_e32 v4, 1, v8
	ds_read_u16 v4, v4 offset:5120
	s_waitcnt lgkmcnt(1)
	v_lshlrev_b32_e32 v1, 2, v1
	ds_read_b32 v1, v1
	s_waitcnt lgkmcnt(0)
	v_add_u32_e32 v0, v1, v0
	v_mov_b32_e32 v1, 0
	v_lshl_add_u64 v[0:1], v[0:1], 1, s[42:43]
	global_store_short v[0:1], v4, off
.LBB2468_117:
	s_or_b64 exec, exec, s[0:1]
	v_or_b32_e32 v0, 0xc00, v8
	v_cmp_gt_u32_e32 vcc, s5, v0
	s_and_saveexec_b64 s[0:1], vcc
	s_cbranch_execz .LBB2468_119
; %bb.118:
	ds_read_b32 v1, v2 offset:12
	v_lshlrev_b32_e32 v4, 1, v8
	ds_read_u16 v4, v4 offset:7168
	s_waitcnt lgkmcnt(1)
	v_lshlrev_b32_e32 v1, 2, v1
	ds_read_b32 v1, v1
	s_waitcnt lgkmcnt(0)
	v_add_u32_e32 v0, v1, v0
	v_mov_b32_e32 v1, 0
	v_lshl_add_u64 v[0:1], v[0:1], 1, s[42:43]
	global_store_short v[0:1], v4, off
.LBB2468_119:
	s_or_b64 exec, exec, s[0:1]
	v_or_b32_e32 v0, 0x1000, v8
	v_cmp_gt_u32_e32 vcc, s5, v0
	s_and_saveexec_b64 s[0:1], vcc
	s_cbranch_execz .LBB2468_121
; %bb.120:
	ds_read_b32 v1, v3
	v_lshlrev_b32_e32 v3, 1, v8
	ds_read_u16 v3, v3 offset:9216
	s_waitcnt lgkmcnt(1)
	v_lshlrev_b32_e32 v1, 2, v1
	ds_read_b32 v1, v1
	s_waitcnt lgkmcnt(0)
	v_add_u32_e32 v0, v1, v0
	v_mov_b32_e32 v1, 0
	v_lshl_add_u64 v[0:1], v[0:1], 1, s[42:43]
	global_store_short v[0:1], v3, off
.LBB2468_121:
	s_or_b64 exec, exec, s[0:1]
	v_or_b32_e32 v0, 0x1400, v8
	v_cmp_gt_u32_e32 vcc, s5, v0
	s_and_saveexec_b64 s[0:1], vcc
	s_cbranch_execz .LBB2468_123
; %bb.122:
	ds_read_b32 v1, v2 offset:20
	v_lshlrev_b32_e32 v3, 1, v8
	ds_read_u16 v3, v3 offset:11264
	s_waitcnt lgkmcnt(1)
	v_lshlrev_b32_e32 v1, 2, v1
	ds_read_b32 v1, v1
	s_waitcnt lgkmcnt(0)
	v_add_u32_e32 v0, v1, v0
	v_mov_b32_e32 v1, 0
	v_lshl_add_u64 v[0:1], v[0:1], 1, s[42:43]
	global_store_short v[0:1], v3, off
.LBB2468_123:
	s_or_b64 exec, exec, s[0:1]
	v_or_b32_e32 v0, 0x1800, v8
	v_cmp_gt_u32_e32 vcc, s5, v0
	s_and_saveexec_b64 s[0:1], vcc
	s_cbranch_execz .LBB2468_125
; %bb.124:
	ds_read_b32 v1, v2 offset:24
	v_lshlrev_b32_e32 v3, 1, v8
	ds_read_u16 v3, v3 offset:13312
	s_waitcnt lgkmcnt(1)
	v_lshlrev_b32_e32 v1, 2, v1
	ds_read_b32 v1, v1
	s_waitcnt lgkmcnt(0)
	v_add_u32_e32 v0, v1, v0
	v_mov_b32_e32 v1, 0
	v_lshl_add_u64 v[0:1], v[0:1], 1, s[42:43]
	global_store_short v[0:1], v3, off
.LBB2468_125:
	;; [unrolled: 18-line block ×3, first 2 shown]
	s_or_b64 exec, exec, s[0:1]
	s_add_i32 s33, s33, -1
	s_cmp_eq_u32 s4, s33
	s_cselect_b64 s[0:1], -1, 0
	s_xor_b64 s[6:7], s[20:21], -1
	s_and_b64 s[6:7], s[6:7], s[0:1]
	s_and_saveexec_b64 s[0:1], s[6:7]
	s_cbranch_execz .LBB2468_129
; %bb.128:
	ds_read_b32 v0, v20
	s_waitcnt lgkmcnt(0)
	v_add3_u32 v0, v6, v7, v0
	global_store_dword v20, v0, s[46:47]
.LBB2468_129:
	s_or_b64 exec, exec, s[0:1]
	s_mov_b64 s[6:7], 0
.LBB2468_130:
	s_and_b64 vcc, exec, s[6:7]
	s_cbranch_vccz .LBB2468_203
; %bb.131:
	s_lshl_b32 s12, s4, 13
	s_mov_b32 s13, 0
	s_lshl_b64 s[0:1], s[12:13], 2
	v_mbcnt_hi_u32_b32 v4, -1, v16
	s_add_u32 s0, s36, s0
	v_and_b32_e32 v7, 63, v4
	s_addc_u32 s1, s37, s1
	v_and_b32_e32 v6, 0x1e00, v15
	v_mov_b32_e32 v1, 0
	v_lshlrev_b32_e32 v0, 2, v7
	v_lshl_add_u64 v[2:3], s[0:1], 0, v[0:1]
	v_lshlrev_b32_e32 v0, 2, v6
	v_lshl_add_u64 v[2:3], v[2:3], 0, v[0:1]
	global_load_dword v0, v[2:3], off
	s_load_dword s0, s[2:3], 0x64
	s_load_dword s5, s[2:3], 0x58
	s_add_u32 s1, s2, 0x58
	s_addc_u32 s2, s3, 0
	v_mul_u32_u24_e32 v5, 20, v8
	s_waitcnt lgkmcnt(0)
	s_lshr_b32 s3, s0, 16
	s_cmp_lt_u32 s4, s5
	s_cselect_b32 s0, 12, 18
	s_add_u32 s0, s1, s0
	s_addc_u32 s1, s2, 0
	global_load_ushort v15, v1, s[0:1]
	ds_write2_b32 v5, v1, v1 offset0:16 offset1:17
	ds_write2_b32 v5, v1, v1 offset0:18 offset1:19
	ds_write_b32 v5, v1 offset:80
	global_load_dword v10, v[2:3], off offset:256
	global_load_dword v11, v[2:3], off offset:512
	;; [unrolled: 1-line block ×7, first 2 shown]
	v_mad_u32_u24 v2, v14, s3, v9
	s_lshl_b32 s0, -1, s49
	s_waitcnt vmcnt(9)
	v_mov_b32_e32 v12, v1
	v_mov_b32_e32 v26, v1
	s_not_b32 s14, s0
	s_movk_i32 s15, 0x44
	v_mov_b32_e32 v16, v1
	v_mov_b32_e32 v30, v1
	;; [unrolled: 1-line block ×3, first 2 shown]
	s_waitcnt lgkmcnt(0)
	s_barrier
	s_waitcnt vmcnt(8)
	; wave barrier
	v_xor_b32_e32 v9, 0x80000000, v0
	v_lshrrev_b32_e32 v0, s48, v9
	v_bitop3_b32 v19, v0, s0, v0 bitop3:0x30
	v_and_b32_e32 v0, 1, v19
	v_lshlrev_b32_e32 v13, 30, v19
	v_lshlrev_b32_e32 v17, 29, v19
	;; [unrolled: 1-line block ×3, first 2 shown]
	v_cmp_ne_u32_e32 vcc, 0, v0
	v_cmp_gt_i64_e64 s[6:7], 0, v[26:27]
	v_mul_lo_u32 v20, v19, s15
	s_waitcnt vmcnt(7)
	v_mad_u64_u32 v[2:3], s[0:1], v2, v15, v[8:9]
	v_lshl_add_u64 v[14:15], v[0:1], 0, -1
	v_not_b32_e32 v0, v13
	v_cmp_gt_i64_e64 s[0:1], 0, v[12:13]
	v_not_b32_e32 v3, v17
	v_lshrrev_b32_e32 v26, 6, v2
	v_xor_b32_e32 v2, vcc_hi, v15
	v_xor_b32_e32 v14, vcc_lo, v14
	v_ashrrev_i32_e32 v0, 31, v0
	v_lshlrev_b32_e32 v31, 27, v19
	v_cmp_gt_i64_e64 s[2:3], 0, v[16:17]
	v_not_b32_e32 v12, v27
	v_ashrrev_i32_e32 v3, 31, v3
	v_and_b32_e32 v2, exec_hi, v2
	v_and_b32_e32 v14, exec_lo, v14
	v_xor_b32_e32 v15, s1, v0
	v_xor_b32_e32 v0, s0, v0
	v_lshlrev_b32_e32 v33, 26, v19
	v_not_b32_e32 v13, v31
	v_ashrrev_i32_e32 v12, 31, v12
	v_lshl_add_u32 v16, v26, 2, v20
	v_xor_b32_e32 v20, s3, v3
	v_xor_b32_e32 v3, s2, v3
	v_and_b32_e32 v2, v2, v15
	v_and_b32_e32 v0, v14, v0
	v_cmp_gt_i64_e64 s[8:9], 0, v[30:31]
	v_not_b32_e32 v17, v33
	v_ashrrev_i32_e32 v13, 31, v13
	v_xor_b32_e32 v23, s7, v12
	v_xor_b32_e32 v12, s6, v12
	v_and_b32_e32 v2, v2, v20
	v_and_b32_e32 v0, v0, v3
	v_cmp_gt_i64_e64 s[10:11], 0, v[32:33]
	v_xor_b32_e32 v25, s9, v13
	v_xor_b32_e32 v13, s8, v13
	v_and_b32_e32 v2, v2, v23
	v_and_b32_e32 v0, v0, v12
	v_ashrrev_i32_e32 v3, 31, v17
	v_and_b32_e32 v2, v2, v25
	v_and_b32_e32 v0, v0, v13
	v_xor_b32_e32 v12, s11, v3
	v_xor_b32_e32 v3, s10, v3
	v_and_b32_e32 v12, v2, v12
	v_and_b32_e32 v0, v0, v3
	v_lshlrev_b32_e32 v3, 25, v19
	v_mov_b32_e32 v2, v1
	v_cmp_gt_i64_e32 vcc, 0, v[2:3]
	v_not_b32_e32 v2, v3
	v_ashrrev_i32_e32 v2, 31, v2
	v_xor_b32_e32 v3, vcc_hi, v2
	v_xor_b32_e32 v2, vcc_lo, v2
	v_and_b32_e32 v12, v12, v3
	v_and_b32_e32 v0, v0, v2
	v_lshlrev_b32_e32 v3, 24, v19
	v_mov_b32_e32 v2, v1
	v_cmp_gt_i64_e32 vcc, 0, v[2:3]
	v_not_b32_e32 v2, v3
	v_ashrrev_i32_e32 v2, 31, v2
	v_xor_b32_e32 v3, vcc_hi, v2
	v_xor_b32_e32 v2, vcc_lo, v2
	v_and_b32_e32 v2, v0, v2
	v_and_b32_e32 v3, v12, v3
	v_mbcnt_lo_u32_b32 v0, v2, 0
	v_mbcnt_hi_u32_b32 v13, v3, v0
	v_cmp_eq_u32_e32 vcc, 0, v13
	v_cmp_ne_u64_e64 s[0:1], 0, v[2:3]
	s_and_b64 s[2:3], s[0:1], vcc
	s_and_saveexec_b64 s[0:1], s[2:3]
; %bb.132:
	v_bcnt_u32_b32 v0, v2, 0
	v_bcnt_u32_b32 v0, v3, v0
	ds_write_b32 v16, v0 offset:64
; %bb.133:
	s_or_b64 exec, exec, s[0:1]
	s_waitcnt vmcnt(6)
	v_xor_b32_e32 v10, 0x80000000, v10
	v_lshrrev_b32_e32 v0, s48, v10
	v_and_b32_e32 v14, s14, v0
	v_mul_lo_u32 v0, v14, s15
	v_lshl_add_u32 v19, v26, 2, v0
	v_and_b32_e32 v0, 1, v14
	v_lshl_add_u64 v[2:3], v[0:1], 0, -1
	v_cmp_ne_u32_e32 vcc, 0, v0
	; wave barrier
	s_nop 1
	v_xor_b32_e32 v2, vcc_lo, v2
	v_xor_b32_e32 v0, vcc_hi, v3
	v_and_b32_e32 v15, exec_lo, v2
	v_lshlrev_b32_e32 v3, 30, v14
	v_mov_b32_e32 v2, v1
	v_cmp_gt_i64_e32 vcc, 0, v[2:3]
	v_not_b32_e32 v2, v3
	v_ashrrev_i32_e32 v2, 31, v2
	v_and_b32_e32 v0, exec_hi, v0
	v_xor_b32_e32 v3, vcc_hi, v2
	v_xor_b32_e32 v2, vcc_lo, v2
	v_and_b32_e32 v0, v0, v3
	v_and_b32_e32 v15, v15, v2
	v_lshlrev_b32_e32 v3, 29, v14
	v_mov_b32_e32 v2, v1
	v_cmp_gt_i64_e32 vcc, 0, v[2:3]
	v_not_b32_e32 v2, v3
	v_ashrrev_i32_e32 v2, 31, v2
	v_xor_b32_e32 v3, vcc_hi, v2
	v_xor_b32_e32 v2, vcc_lo, v2
	v_and_b32_e32 v0, v0, v3
	v_and_b32_e32 v15, v15, v2
	v_lshlrev_b32_e32 v3, 28, v14
	v_mov_b32_e32 v2, v1
	v_cmp_gt_i64_e32 vcc, 0, v[2:3]
	v_not_b32_e32 v2, v3
	v_ashrrev_i32_e32 v2, 31, v2
	;; [unrolled: 9-line block ×5, first 2 shown]
	v_xor_b32_e32 v3, vcc_hi, v2
	v_xor_b32_e32 v2, vcc_lo, v2
	v_and_b32_e32 v0, v0, v3
	v_lshlrev_b32_e32 v3, 24, v14
	v_and_b32_e32 v15, v15, v2
	v_mov_b32_e32 v2, v1
	v_not_b32_e32 v1, v3
	v_cmp_gt_i64_e32 vcc, 0, v[2:3]
	v_ashrrev_i32_e32 v1, 31, v1
	ds_read_b32 v12, v19 offset:64
	v_xor_b32_e32 v2, vcc_hi, v1
	v_xor_b32_e32 v3, vcc_lo, v1
	v_and_b32_e32 v1, v0, v2
	v_and_b32_e32 v0, v15, v3
	v_mbcnt_lo_u32_b32 v2, v0, 0
	v_mbcnt_hi_u32_b32 v15, v1, v2
	v_cmp_eq_u32_e32 vcc, 0, v15
	v_cmp_ne_u64_e64 s[0:1], 0, v[0:1]
	s_and_b64 s[2:3], s[0:1], vcc
	; wave barrier
	s_and_saveexec_b64 s[0:1], s[2:3]
	s_cbranch_execz .LBB2468_135
; %bb.134:
	v_bcnt_u32_b32 v0, v0, 0
	v_bcnt_u32_b32 v0, v1, v0
	s_waitcnt lgkmcnt(0)
	v_add_u32_e32 v0, v12, v0
	ds_write_b32 v19, v0 offset:64
.LBB2468_135:
	s_or_b64 exec, exec, s[0:1]
	s_waitcnt vmcnt(5)
	v_xor_b32_e32 v11, 0x80000000, v11
	v_lshrrev_b32_e32 v0, s48, v11
	v_and_b32_e32 v14, s14, v0
	s_movk_i32 s2, 0x44
	v_mul_lo_u32 v0, v14, s2
	v_lshl_add_u32 v23, v26, 2, v0
	v_and_b32_e32 v0, 1, v14
	v_mov_b32_e32 v1, 0
	v_lshl_add_u64 v[2:3], v[0:1], 0, -1
	v_cmp_ne_u32_e32 vcc, 0, v0
	; wave barrier
	s_nop 1
	v_xor_b32_e32 v2, vcc_lo, v2
	v_xor_b32_e32 v0, vcc_hi, v3
	v_and_b32_e32 v20, exec_lo, v2
	v_lshlrev_b32_e32 v3, 30, v14
	v_mov_b32_e32 v2, v1
	v_cmp_gt_i64_e32 vcc, 0, v[2:3]
	v_not_b32_e32 v2, v3
	v_ashrrev_i32_e32 v2, 31, v2
	v_and_b32_e32 v0, exec_hi, v0
	v_xor_b32_e32 v3, vcc_hi, v2
	v_xor_b32_e32 v2, vcc_lo, v2
	v_and_b32_e32 v0, v0, v3
	v_and_b32_e32 v20, v20, v2
	v_lshlrev_b32_e32 v3, 29, v14
	v_mov_b32_e32 v2, v1
	v_cmp_gt_i64_e32 vcc, 0, v[2:3]
	v_not_b32_e32 v2, v3
	v_ashrrev_i32_e32 v2, 31, v2
	v_xor_b32_e32 v3, vcc_hi, v2
	v_xor_b32_e32 v2, vcc_lo, v2
	v_and_b32_e32 v0, v0, v3
	v_and_b32_e32 v20, v20, v2
	v_lshlrev_b32_e32 v3, 28, v14
	v_mov_b32_e32 v2, v1
	v_cmp_gt_i64_e32 vcc, 0, v[2:3]
	v_not_b32_e32 v2, v3
	v_ashrrev_i32_e32 v2, 31, v2
	;; [unrolled: 9-line block ×6, first 2 shown]
	v_xor_b32_e32 v3, vcc_hi, v2
	v_xor_b32_e32 v2, vcc_lo, v2
	ds_read_b32 v17, v23 offset:64
	v_and_b32_e32 v2, v20, v2
	v_and_b32_e32 v3, v0, v3
	v_mbcnt_lo_u32_b32 v0, v2, 0
	v_mbcnt_hi_u32_b32 v20, v3, v0
	v_cmp_eq_u32_e32 vcc, 0, v20
	v_cmp_ne_u64_e64 s[0:1], 0, v[2:3]
	s_and_b64 s[6:7], s[0:1], vcc
	; wave barrier
	s_and_saveexec_b64 s[0:1], s[6:7]
	s_cbranch_execz .LBB2468_137
; %bb.136:
	v_bcnt_u32_b32 v0, v2, 0
	v_bcnt_u32_b32 v0, v3, v0
	s_waitcnt lgkmcnt(0)
	v_add_u32_e32 v0, v17, v0
	ds_write_b32 v23, v0 offset:64
.LBB2468_137:
	s_or_b64 exec, exec, s[0:1]
	s_waitcnt vmcnt(4)
	v_xor_b32_e32 v14, 0x80000000, v21
	v_lshrrev_b32_e32 v0, s48, v14
	v_and_b32_e32 v25, s14, v0
	v_mul_lo_u32 v0, v25, s2
	v_lshl_add_u32 v29, v26, 2, v0
	v_and_b32_e32 v0, 1, v25
	v_lshl_add_u64 v[2:3], v[0:1], 0, -1
	v_cmp_ne_u32_e32 vcc, 0, v0
	; wave barrier
	s_nop 1
	v_xor_b32_e32 v2, vcc_lo, v2
	v_xor_b32_e32 v0, vcc_hi, v3
	v_and_b32_e32 v27, exec_lo, v2
	v_lshlrev_b32_e32 v3, 30, v25
	v_mov_b32_e32 v2, v1
	v_cmp_gt_i64_e32 vcc, 0, v[2:3]
	v_not_b32_e32 v2, v3
	v_ashrrev_i32_e32 v2, 31, v2
	v_and_b32_e32 v0, exec_hi, v0
	v_xor_b32_e32 v3, vcc_hi, v2
	v_xor_b32_e32 v2, vcc_lo, v2
	v_and_b32_e32 v0, v0, v3
	v_and_b32_e32 v27, v27, v2
	v_lshlrev_b32_e32 v3, 29, v25
	v_mov_b32_e32 v2, v1
	v_cmp_gt_i64_e32 vcc, 0, v[2:3]
	v_not_b32_e32 v2, v3
	v_ashrrev_i32_e32 v2, 31, v2
	v_xor_b32_e32 v3, vcc_hi, v2
	v_xor_b32_e32 v2, vcc_lo, v2
	v_and_b32_e32 v0, v0, v3
	v_and_b32_e32 v27, v27, v2
	v_lshlrev_b32_e32 v3, 28, v25
	v_mov_b32_e32 v2, v1
	v_cmp_gt_i64_e32 vcc, 0, v[2:3]
	v_not_b32_e32 v2, v3
	v_ashrrev_i32_e32 v2, 31, v2
	;; [unrolled: 9-line block ×5, first 2 shown]
	v_xor_b32_e32 v3, vcc_hi, v2
	v_xor_b32_e32 v2, vcc_lo, v2
	v_and_b32_e32 v0, v0, v3
	v_lshlrev_b32_e32 v3, 24, v25
	v_and_b32_e32 v27, v27, v2
	v_mov_b32_e32 v2, v1
	v_not_b32_e32 v1, v3
	v_cmp_gt_i64_e32 vcc, 0, v[2:3]
	v_ashrrev_i32_e32 v1, 31, v1
	ds_read_b32 v21, v29 offset:64
	v_xor_b32_e32 v2, vcc_hi, v1
	v_xor_b32_e32 v3, vcc_lo, v1
	v_and_b32_e32 v1, v0, v2
	v_and_b32_e32 v0, v27, v3
	v_mbcnt_lo_u32_b32 v2, v0, 0
	v_mbcnt_hi_u32_b32 v25, v1, v2
	v_cmp_eq_u32_e32 vcc, 0, v25
	v_cmp_ne_u64_e64 s[0:1], 0, v[0:1]
	s_and_b64 s[2:3], s[0:1], vcc
	; wave barrier
	s_and_saveexec_b64 s[0:1], s[2:3]
	s_cbranch_execz .LBB2468_139
; %bb.138:
	v_bcnt_u32_b32 v0, v0, 0
	v_bcnt_u32_b32 v0, v1, v0
	s_waitcnt lgkmcnt(0)
	v_add_u32_e32 v0, v21, v0
	ds_write_b32 v29, v0 offset:64
.LBB2468_139:
	s_or_b64 exec, exec, s[0:1]
	s_waitcnt vmcnt(3)
	v_xor_b32_e32 v18, 0x80000000, v18
	v_lshrrev_b32_e32 v0, s48, v18
	v_and_b32_e32 v30, s14, v0
	s_movk_i32 s2, 0x44
	v_mul_lo_u32 v0, v30, s2
	v_lshl_add_u32 v33, v26, 2, v0
	v_and_b32_e32 v0, 1, v30
	v_mov_b32_e32 v1, 0
	v_lshl_add_u64 v[2:3], v[0:1], 0, -1
	v_cmp_ne_u32_e32 vcc, 0, v0
	; wave barrier
	s_nop 1
	v_xor_b32_e32 v2, vcc_lo, v2
	v_xor_b32_e32 v0, vcc_hi, v3
	v_and_b32_e32 v31, exec_lo, v2
	v_lshlrev_b32_e32 v3, 30, v30
	v_mov_b32_e32 v2, v1
	v_cmp_gt_i64_e32 vcc, 0, v[2:3]
	v_not_b32_e32 v2, v3
	v_ashrrev_i32_e32 v2, 31, v2
	v_and_b32_e32 v0, exec_hi, v0
	v_xor_b32_e32 v3, vcc_hi, v2
	v_xor_b32_e32 v2, vcc_lo, v2
	v_and_b32_e32 v0, v0, v3
	v_and_b32_e32 v31, v31, v2
	v_lshlrev_b32_e32 v3, 29, v30
	v_mov_b32_e32 v2, v1
	v_cmp_gt_i64_e32 vcc, 0, v[2:3]
	v_not_b32_e32 v2, v3
	v_ashrrev_i32_e32 v2, 31, v2
	v_xor_b32_e32 v3, vcc_hi, v2
	v_xor_b32_e32 v2, vcc_lo, v2
	v_and_b32_e32 v0, v0, v3
	v_and_b32_e32 v31, v31, v2
	v_lshlrev_b32_e32 v3, 28, v30
	v_mov_b32_e32 v2, v1
	v_cmp_gt_i64_e32 vcc, 0, v[2:3]
	v_not_b32_e32 v2, v3
	v_ashrrev_i32_e32 v2, 31, v2
	;; [unrolled: 9-line block ×6, first 2 shown]
	v_xor_b32_e32 v3, vcc_hi, v2
	v_xor_b32_e32 v2, vcc_lo, v2
	ds_read_b32 v27, v33 offset:64
	v_and_b32_e32 v2, v31, v2
	v_and_b32_e32 v3, v0, v3
	v_mbcnt_lo_u32_b32 v0, v2, 0
	v_mbcnt_hi_u32_b32 v30, v3, v0
	v_cmp_eq_u32_e32 vcc, 0, v30
	v_cmp_ne_u64_e64 s[0:1], 0, v[2:3]
	s_and_b64 s[6:7], s[0:1], vcc
	; wave barrier
	s_and_saveexec_b64 s[0:1], s[6:7]
	s_cbranch_execz .LBB2468_141
; %bb.140:
	v_bcnt_u32_b32 v0, v2, 0
	v_bcnt_u32_b32 v0, v3, v0
	s_waitcnt lgkmcnt(0)
	v_add_u32_e32 v0, v27, v0
	ds_write_b32 v33, v0 offset:64
.LBB2468_141:
	s_or_b64 exec, exec, s[0:1]
	s_waitcnt vmcnt(2)
	v_xor_b32_e32 v22, 0x80000000, v22
	v_lshrrev_b32_e32 v0, s48, v22
	v_and_b32_e32 v32, s14, v0
	v_mul_lo_u32 v0, v32, s2
	v_lshl_add_u32 v36, v26, 2, v0
	v_and_b32_e32 v0, 1, v32
	v_lshl_add_u64 v[2:3], v[0:1], 0, -1
	v_cmp_ne_u32_e32 vcc, 0, v0
	; wave barrier
	s_nop 1
	v_xor_b32_e32 v2, vcc_lo, v2
	v_xor_b32_e32 v0, vcc_hi, v3
	v_and_b32_e32 v34, exec_lo, v2
	v_lshlrev_b32_e32 v3, 30, v32
	v_mov_b32_e32 v2, v1
	v_cmp_gt_i64_e32 vcc, 0, v[2:3]
	v_not_b32_e32 v2, v3
	v_ashrrev_i32_e32 v2, 31, v2
	v_and_b32_e32 v0, exec_hi, v0
	v_xor_b32_e32 v3, vcc_hi, v2
	v_xor_b32_e32 v2, vcc_lo, v2
	v_and_b32_e32 v0, v0, v3
	v_and_b32_e32 v34, v34, v2
	v_lshlrev_b32_e32 v3, 29, v32
	v_mov_b32_e32 v2, v1
	v_cmp_gt_i64_e32 vcc, 0, v[2:3]
	v_not_b32_e32 v2, v3
	v_ashrrev_i32_e32 v2, 31, v2
	v_xor_b32_e32 v3, vcc_hi, v2
	v_xor_b32_e32 v2, vcc_lo, v2
	v_and_b32_e32 v0, v0, v3
	v_and_b32_e32 v34, v34, v2
	v_lshlrev_b32_e32 v3, 28, v32
	v_mov_b32_e32 v2, v1
	v_cmp_gt_i64_e32 vcc, 0, v[2:3]
	v_not_b32_e32 v2, v3
	v_ashrrev_i32_e32 v2, 31, v2
	;; [unrolled: 9-line block ×5, first 2 shown]
	v_xor_b32_e32 v3, vcc_hi, v2
	v_xor_b32_e32 v2, vcc_lo, v2
	v_and_b32_e32 v0, v0, v3
	v_lshlrev_b32_e32 v3, 24, v32
	v_and_b32_e32 v34, v34, v2
	v_mov_b32_e32 v2, v1
	v_not_b32_e32 v1, v3
	v_cmp_gt_i64_e32 vcc, 0, v[2:3]
	v_ashrrev_i32_e32 v1, 31, v1
	ds_read_b32 v31, v36 offset:64
	v_xor_b32_e32 v2, vcc_hi, v1
	v_xor_b32_e32 v3, vcc_lo, v1
	v_and_b32_e32 v1, v0, v2
	v_and_b32_e32 v0, v34, v3
	v_mbcnt_lo_u32_b32 v2, v0, 0
	v_mbcnt_hi_u32_b32 v34, v1, v2
	v_cmp_eq_u32_e32 vcc, 0, v34
	v_cmp_ne_u64_e64 s[0:1], 0, v[0:1]
	s_and_b64 s[2:3], s[0:1], vcc
	; wave barrier
	s_and_saveexec_b64 s[0:1], s[2:3]
	s_cbranch_execz .LBB2468_143
; %bb.142:
	v_bcnt_u32_b32 v0, v0, 0
	v_bcnt_u32_b32 v0, v1, v0
	s_waitcnt lgkmcnt(0)
	v_add_u32_e32 v0, v31, v0
	ds_write_b32 v36, v0 offset:64
.LBB2468_143:
	s_or_b64 exec, exec, s[0:1]
	s_waitcnt vmcnt(1)
	v_xor_b32_e32 v28, 0x80000000, v28
	v_lshrrev_b32_e32 v0, s48, v28
	v_and_b32_e32 v32, s14, v0
	s_movk_i32 s2, 0x44
	v_mul_lo_u32 v0, v32, s2
	v_lshl_add_u32 v38, v26, 2, v0
	v_and_b32_e32 v0, 1, v32
	v_mov_b32_e32 v1, 0
	v_lshl_add_u64 v[2:3], v[0:1], 0, -1
	v_cmp_ne_u32_e32 vcc, 0, v0
	; wave barrier
	s_nop 1
	v_xor_b32_e32 v2, vcc_lo, v2
	v_xor_b32_e32 v0, vcc_hi, v3
	v_and_b32_e32 v37, exec_lo, v2
	v_lshlrev_b32_e32 v3, 30, v32
	v_mov_b32_e32 v2, v1
	v_cmp_gt_i64_e32 vcc, 0, v[2:3]
	v_not_b32_e32 v2, v3
	v_ashrrev_i32_e32 v2, 31, v2
	v_and_b32_e32 v0, exec_hi, v0
	v_xor_b32_e32 v3, vcc_hi, v2
	v_xor_b32_e32 v2, vcc_lo, v2
	v_and_b32_e32 v0, v0, v3
	v_and_b32_e32 v37, v37, v2
	v_lshlrev_b32_e32 v3, 29, v32
	v_mov_b32_e32 v2, v1
	v_cmp_gt_i64_e32 vcc, 0, v[2:3]
	v_not_b32_e32 v2, v3
	v_ashrrev_i32_e32 v2, 31, v2
	v_xor_b32_e32 v3, vcc_hi, v2
	v_xor_b32_e32 v2, vcc_lo, v2
	v_and_b32_e32 v0, v0, v3
	v_and_b32_e32 v37, v37, v2
	v_lshlrev_b32_e32 v3, 28, v32
	v_mov_b32_e32 v2, v1
	v_cmp_gt_i64_e32 vcc, 0, v[2:3]
	v_not_b32_e32 v2, v3
	v_ashrrev_i32_e32 v2, 31, v2
	;; [unrolled: 9-line block ×6, first 2 shown]
	v_xor_b32_e32 v3, vcc_hi, v2
	v_xor_b32_e32 v2, vcc_lo, v2
	ds_read_b32 v35, v38 offset:64
	v_and_b32_e32 v2, v37, v2
	v_and_b32_e32 v3, v0, v3
	v_mbcnt_lo_u32_b32 v0, v2, 0
	v_mbcnt_hi_u32_b32 v37, v3, v0
	v_cmp_eq_u32_e32 vcc, 0, v37
	v_cmp_ne_u64_e64 s[0:1], 0, v[2:3]
	s_and_b64 s[6:7], s[0:1], vcc
	; wave barrier
	s_and_saveexec_b64 s[0:1], s[6:7]
	s_cbranch_execz .LBB2468_145
; %bb.144:
	v_bcnt_u32_b32 v0, v2, 0
	v_bcnt_u32_b32 v0, v3, v0
	s_waitcnt lgkmcnt(0)
	v_add_u32_e32 v0, v35, v0
	ds_write_b32 v38, v0 offset:64
.LBB2468_145:
	s_or_b64 exec, exec, s[0:1]
	s_waitcnt vmcnt(0)
	v_xor_b32_e32 v32, 0x80000000, v24
	v_lshrrev_b32_e32 v0, s48, v32
	v_and_b32_e32 v24, s14, v0
	v_mul_lo_u32 v0, v24, s2
	v_lshl_add_u32 v40, v26, 2, v0
	v_and_b32_e32 v0, 1, v24
	v_lshl_add_u64 v[2:3], v[0:1], 0, -1
	v_cmp_ne_u32_e32 vcc, 0, v0
	; wave barrier
	s_nop 1
	v_xor_b32_e32 v2, vcc_lo, v2
	v_xor_b32_e32 v0, vcc_hi, v3
	v_and_b32_e32 v39, exec_lo, v2
	v_lshlrev_b32_e32 v3, 30, v24
	v_mov_b32_e32 v2, v1
	v_cmp_gt_i64_e32 vcc, 0, v[2:3]
	v_not_b32_e32 v2, v3
	v_ashrrev_i32_e32 v2, 31, v2
	v_and_b32_e32 v0, exec_hi, v0
	v_xor_b32_e32 v3, vcc_hi, v2
	v_xor_b32_e32 v2, vcc_lo, v2
	v_and_b32_e32 v0, v0, v3
	v_and_b32_e32 v39, v39, v2
	v_lshlrev_b32_e32 v3, 29, v24
	v_mov_b32_e32 v2, v1
	v_cmp_gt_i64_e32 vcc, 0, v[2:3]
	v_not_b32_e32 v2, v3
	v_ashrrev_i32_e32 v2, 31, v2
	v_xor_b32_e32 v3, vcc_hi, v2
	v_xor_b32_e32 v2, vcc_lo, v2
	v_and_b32_e32 v0, v0, v3
	v_and_b32_e32 v39, v39, v2
	v_lshlrev_b32_e32 v3, 28, v24
	v_mov_b32_e32 v2, v1
	v_cmp_gt_i64_e32 vcc, 0, v[2:3]
	v_not_b32_e32 v2, v3
	v_ashrrev_i32_e32 v2, 31, v2
	;; [unrolled: 9-line block ×5, first 2 shown]
	v_xor_b32_e32 v3, vcc_hi, v2
	v_xor_b32_e32 v2, vcc_lo, v2
	v_and_b32_e32 v0, v0, v3
	v_lshlrev_b32_e32 v3, 24, v24
	v_and_b32_e32 v39, v39, v2
	v_mov_b32_e32 v2, v1
	v_not_b32_e32 v1, v3
	v_cmp_gt_i64_e32 vcc, 0, v[2:3]
	v_ashrrev_i32_e32 v1, 31, v1
	ds_read_b32 v26, v40 offset:64
	v_xor_b32_e32 v2, vcc_hi, v1
	v_xor_b32_e32 v3, vcc_lo, v1
	v_and_b32_e32 v1, v0, v2
	v_and_b32_e32 v0, v39, v3
	v_mbcnt_lo_u32_b32 v2, v0, 0
	v_mbcnt_hi_u32_b32 v39, v1, v2
	v_cmp_eq_u32_e32 vcc, 0, v39
	v_cmp_ne_u64_e64 s[0:1], 0, v[0:1]
	s_and_b64 s[2:3], s[0:1], vcc
	; wave barrier
	s_and_saveexec_b64 s[0:1], s[2:3]
	s_cbranch_execz .LBB2468_147
; %bb.146:
	v_bcnt_u32_b32 v0, v0, 0
	v_bcnt_u32_b32 v0, v1, v0
	s_waitcnt lgkmcnt(0)
	v_add_u32_e32 v0, v26, v0
	ds_write_b32 v40, v0 offset:64
.LBB2468_147:
	s_or_b64 exec, exec, s[0:1]
	; wave barrier
	s_waitcnt lgkmcnt(0)
	s_barrier
	ds_read2_b32 v[2:3], v5 offset0:16 offset1:17
	ds_read2_b32 v[0:1], v5 offset0:18 offset1:19
	ds_read_b32 v24, v5 offset:80
	v_cmp_lt_u32_e64 s[8:9], 31, v4
	s_waitcnt lgkmcnt(1)
	v_add3_u32 v41, v3, v2, v0
	s_waitcnt lgkmcnt(0)
	v_add3_u32 v24, v41, v1, v24
	v_and_b32_e32 v41, 15, v4
	v_cmp_eq_u32_e32 vcc, 0, v41
	v_mov_b32_dpp v42, v24 row_shr:1 row_mask:0xf bank_mask:0xf
	v_cmp_lt_u32_e64 s[0:1], 1, v41
	v_cndmask_b32_e64 v42, v42, 0, vcc
	v_add_u32_e32 v24, v42, v24
	v_cmp_lt_u32_e64 s[2:3], 3, v41
	v_cmp_lt_u32_e64 s[6:7], 7, v41
	v_mov_b32_dpp v42, v24 row_shr:2 row_mask:0xf bank_mask:0xf
	v_cndmask_b32_e64 v42, 0, v42, s[0:1]
	v_add_u32_e32 v24, v24, v42
	s_nop 1
	v_mov_b32_dpp v42, v24 row_shr:4 row_mask:0xf bank_mask:0xf
	v_cndmask_b32_e64 v42, 0, v42, s[2:3]
	v_add_u32_e32 v24, v24, v42
	s_nop 1
	v_mov_b32_dpp v42, v24 row_shr:8 row_mask:0xf bank_mask:0xf
	v_cndmask_b32_e64 v41, 0, v42, s[6:7]
	v_add_u32_e32 v24, v24, v41
	v_bfe_i32 v42, v4, 4, 1
	s_nop 0
	v_mov_b32_dpp v41, v24 row_bcast:15 row_mask:0xf bank_mask:0xf
	v_and_b32_e32 v41, v42, v41
	v_add_u32_e32 v24, v24, v41
	v_lshrrev_b32_e32 v42, 6, v8
	s_nop 0
	v_mov_b32_dpp v41, v24 row_bcast:31 row_mask:0xf bank_mask:0xf
	v_cndmask_b32_e64 v41, 0, v41, s[8:9]
	v_add_u32_e32 v41, v24, v41
	v_and_b32_e32 v24, 63, v8
	v_cmp_eq_u32_e64 s[8:9], 63, v24
	s_and_saveexec_b64 s[10:11], s[8:9]
; %bb.148:
	v_lshlrev_b32_e32 v24, 2, v42
	ds_write_b32 v24, v41
; %bb.149:
	s_or_b64 exec, exec, s[10:11]
	v_cmp_gt_u32_e64 s[8:9], 16, v8
	v_lshlrev_b32_e32 v24, 2, v8
	s_waitcnt lgkmcnt(0)
	s_barrier
	s_and_saveexec_b64 s[10:11], s[8:9]
	s_cbranch_execz .LBB2468_151
; %bb.150:
	ds_read_b32 v43, v24
	s_waitcnt lgkmcnt(0)
	s_nop 0
	v_mov_b32_dpp v44, v43 row_shr:1 row_mask:0xf bank_mask:0xf
	v_cndmask_b32_e64 v44, v44, 0, vcc
	v_add_u32_e32 v43, v44, v43
	s_nop 1
	v_mov_b32_dpp v44, v43 row_shr:2 row_mask:0xf bank_mask:0xf
	v_cndmask_b32_e64 v44, 0, v44, s[0:1]
	v_add_u32_e32 v43, v43, v44
	s_nop 1
	v_mov_b32_dpp v44, v43 row_shr:4 row_mask:0xf bank_mask:0xf
	v_cndmask_b32_e64 v44, 0, v44, s[2:3]
	;; [unrolled: 4-line block ×3, first 2 shown]
	v_add_u32_e32 v43, v43, v44
	ds_write_b32 v24, v43
.LBB2468_151:
	s_or_b64 exec, exec, s[10:11]
	v_cmp_lt_u32_e32 vcc, 63, v8
	v_mov_b32_e32 v43, 0
	s_waitcnt lgkmcnt(0)
	s_barrier
	s_and_saveexec_b64 s[0:1], vcc
; %bb.152:
	v_lshl_add_u32 v42, v42, 2, -4
	ds_read_b32 v43, v42
; %bb.153:
	s_or_b64 exec, exec, s[0:1]
	v_subrev_co_u32_e32 v42, vcc, 1, v4
	v_and_b32_e32 v44, 64, v4
	v_cmp_lt_i32_e64 s[0:1], v42, v44
	s_waitcnt lgkmcnt(0)
	v_add_u32_e32 v41, v43, v41
	s_movk_i32 s2, 0x100
	v_cndmask_b32_e64 v4, v42, v4, s[0:1]
	v_lshlrev_b32_e32 v4, 2, v4
	ds_bpermute_b32 v4, v4, v41
	s_movk_i32 s0, 0xff
	v_cmp_lt_u32_e64 s[0:1], s0, v8
	s_waitcnt lgkmcnt(0)
	v_cndmask_b32_e32 v4, v4, v43, vcc
	v_cmp_ne_u32_e32 vcc, 0, v8
	s_nop 1
	v_cndmask_b32_e32 v4, 0, v4, vcc
	v_add_u32_e32 v2, v4, v2
	v_add_u32_e32 v3, v2, v3
	;; [unrolled: 1-line block ×4, first 2 shown]
	ds_write2_b32 v5, v4, v2 offset0:16 offset1:17
	ds_write2_b32 v5, v3, v0 offset0:18 offset1:19
	ds_write_b32 v5, v1 offset:80
	s_waitcnt lgkmcnt(0)
	s_barrier
	ds_read_b32 v47, v16 offset:64
	ds_read_b32 v41, v19 offset:64
	;; [unrolled: 1-line block ×8, first 2 shown]
	v_cmp_gt_u32_e32 vcc, s2, v8
                                        ; implicit-def: $vgpr16
                                        ; implicit-def: $vgpr19
	s_and_saveexec_b64 s[6:7], vcc
	s_cbranch_execz .LBB2468_157
; %bb.154:
	v_mul_u32_u24_e32 v0, 0x44, v8
	ds_read_b32 v16, v0 offset:64
	v_add_u32_e32 v1, 1, v8
	v_cmp_ne_u32_e64 s[2:3], s2, v1
	v_mov_b32_e32 v0, 0x2000
	s_and_saveexec_b64 s[8:9], s[2:3]
; %bb.155:
	v_mul_u32_u24_e32 v0, 0x44, v1
	ds_read_b32 v0, v0 offset:64
; %bb.156:
	s_or_b64 exec, exec, s[8:9]
	s_waitcnt lgkmcnt(0)
	v_sub_u32_e32 v19, v0, v16
.LBB2468_157:
	s_or_b64 exec, exec, s[6:7]
	v_mov_b32_e32 v1, 0
	s_waitcnt lgkmcnt(0)
	s_barrier
	s_and_saveexec_b64 s[2:3], vcc
	s_cbranch_execz .LBB2468_167
; %bb.158:
	v_lshl_add_u32 v0, s4, 8, v8
	v_lshl_add_u64 v[2:3], v[0:1], 2, s[52:53]
	v_or_b32_e32 v0, 2.0, v19
	s_mov_b64 s[6:7], 0
	s_brev_b32 s15, -4
	s_mov_b32 s16, s4
	v_mov_b32_e32 v23, 0
	global_store_dword v[2:3], v0, off sc1
                                        ; implicit-def: $sgpr8_sgpr9
	s_branch .LBB2468_161
.LBB2468_159:                           ;   in Loop: Header=BB2468_161 Depth=1
	s_or_b64 exec, exec, s[10:11]
.LBB2468_160:                           ;   in Loop: Header=BB2468_161 Depth=1
	s_or_b64 exec, exec, s[8:9]
	v_and_b32_e32 v4, 0x3fffffff, v0
	v_add_u32_e32 v23, v4, v23
	v_cmp_gt_i32_e64 s[8:9], -2.0, v0
	s_and_b64 s[10:11], exec, s[8:9]
	s_or_b64 s[6:7], s[10:11], s[6:7]
	s_andn2_b64 exec, exec, s[6:7]
	s_cbranch_execz .LBB2468_166
.LBB2468_161:                           ; =>This Loop Header: Depth=1
                                        ;     Child Loop BB2468_164 Depth 2
	s_or_b64 s[8:9], s[8:9], exec
	s_cmp_eq_u32 s16, 0
	s_cbranch_scc1 .LBB2468_165
; %bb.162:                              ;   in Loop: Header=BB2468_161 Depth=1
	s_add_i32 s16, s16, -1
	v_lshl_or_b32 v0, s16, 8, v8
	v_lshl_add_u64 v[4:5], v[0:1], 2, s[52:53]
	global_load_dword v0, v[4:5], off sc1
	s_waitcnt vmcnt(0)
	v_cmp_gt_u32_e32 vcc, 2.0, v0
	s_and_saveexec_b64 s[8:9], vcc
	s_cbranch_execz .LBB2468_160
; %bb.163:                              ;   in Loop: Header=BB2468_161 Depth=1
	s_mov_b64 s[10:11], 0
.LBB2468_164:                           ;   Parent Loop BB2468_161 Depth=1
                                        ; =>  This Inner Loop Header: Depth=2
	global_load_dword v0, v[4:5], off sc1
	s_waitcnt vmcnt(0)
	v_cmp_lt_u32_e32 vcc, s15, v0
	s_or_b64 s[10:11], vcc, s[10:11]
	s_andn2_b64 exec, exec, s[10:11]
	s_cbranch_execnz .LBB2468_164
	s_branch .LBB2468_159
.LBB2468_165:                           ;   in Loop: Header=BB2468_161 Depth=1
                                        ; implicit-def: $sgpr16
	s_and_b64 s[10:11], exec, s[8:9]
	s_or_b64 s[6:7], s[10:11], s[6:7]
	s_andn2_b64 exec, exec, s[6:7]
	s_cbranch_execnz .LBB2468_161
.LBB2468_166:
	s_or_b64 exec, exec, s[6:7]
	v_add_u32_e32 v0, v23, v19
	v_or_b32_e32 v0, 0x80000000, v0
	global_store_dword v[2:3], v0, off sc1
	global_load_dword v0, v24, s[44:45]
	v_sub_u32_e32 v1, v23, v16
	s_waitcnt vmcnt(0)
	v_add_u32_e32 v0, v1, v0
	ds_write_b32 v24, v0
.LBB2468_167:
	s_or_b64 exec, exec, s[2:3]
	v_add_u32_e32 v33, v47, v13
	v_add3_u32 v29, v15, v12, v41
	v_add3_u32 v23, v20, v17, v42
	;; [unrolled: 1-line block ×7, first 2 shown]
	s_mov_b32 s8, 16
	s_mov_b32 s9, s48
	;; [unrolled: 1-line block ×3, first 2 shown]
	v_lshlrev_b32_e32 v36, 2, v2
	v_add3_u32 v26, v39, v38, v26
	v_lshlrev_b32_e32 v38, 2, v3
	v_add3_u32 v35, v37, v46, v35
	;; [unrolled: 2-line block ×7, first 2 shown]
	v_lshlrev_b32_e32 v15, 2, v33
	s_mov_b32 s20, 0
	s_mov_b64 s[2:3], -1
	s_mov_b32 s11, 0
	s_movk_i32 s15, 0x1000
	v_mov_b32_e32 v1, 0
	s_movk_i32 s16, 0x400
	s_movk_i32 s17, 0x800
	;; [unrolled: 1-line block ×3, first 2 shown]
	s_mov_b32 s19, 0
	v_mov_b32_e32 v39, v8
	s_branch .LBB2468_169
.LBB2468_168:                           ;   in Loop: Header=BB2468_169 Depth=1
	s_or_b64 exec, exec, s[6:7]
	s_waitcnt lgkmcnt(0)
	s_barrier
	ds_read2st64_b32 v[40:41], v24 offset0:4 offset1:20
	ds_read2st64_b32 v[44:45], v24 offset0:36 offset1:52
	s_xor_b64 s[6:7], s[2:3], -1
	s_addk_i32 s19, 0xc000
	s_addk_i32 s11, 0xf000
	s_waitcnt lgkmcnt(1)
	v_xor_b32_e32 v48, 0x80000000, v40
	v_lshrrev_b32_e32 v40, s48, v40
	v_lshrrev_b32_e32 v0, s9, v41
	v_and_b32_e32 v40, s14, v40
	v_xor_b32_e32 v49, 0x80000000, v41
	v_and_b32_e32 v41, s10, v0
	v_lshlrev_b32_e32 v0, 2, v40
	ds_read_b32 v0, v0
	s_waitcnt lgkmcnt(1)
	v_lshrrev_b32_e32 v42, s9, v45
	v_lshrrev_b32_e32 v47, s48, v44
	v_and_b32_e32 v43, s10, v42
	v_lshlrev_b32_e32 v46, 2, v41
	v_and_b32_e32 v42, s14, v47
	v_lshlrev_b32_e32 v50, 2, v43
	v_lshlrev_b32_e32 v47, 2, v42
	ds_read_b32 v51, v46
	ds_read_b32 v52, v47
	;; [unrolled: 1-line block ×3, first 2 shown]
	s_waitcnt lgkmcnt(3)
	v_add_u32_e32 v0, v39, v0
	v_lshl_add_u64 v[46:47], v[0:1], 2, s[38:39]
	s_waitcnt lgkmcnt(2)
	v_add3_u32 v0, v39, v51, s16
	global_store_dword v[46:47], v48, off
	v_lshl_add_u64 v[46:47], v[0:1], 2, s[38:39]
	s_waitcnt lgkmcnt(1)
	v_add3_u32 v0, v39, v52, s17
	global_store_dword v[46:47], v49, off
	v_xor_b32_e32 v46, 0x80000000, v44
	v_xor_b32_e32 v47, 0x80000000, v45
	v_lshl_add_u64 v[44:45], v[0:1], 2, s[38:39]
	s_waitcnt lgkmcnt(0)
	v_add3_u32 v0, v39, v50, s18
	global_store_dword v[44:45], v46, off
	v_lshl_add_u64 v[44:45], v[0:1], 2, s[38:39]
	global_store_dword v[44:45], v47, off
	scratch_store_dwordx4 off, v[40:43], s20
	v_add_u32_e32 v39, 0x1000, v39
	s_mov_b64 s[2:3], 0
	s_and_b64 vcc, exec, s[6:7]
	s_mov_b32 s20, s8
	s_barrier
	s_cbranch_vccnz .LBB2468_185
.LBB2468_169:                           ; =>This Inner Loop Header: Depth=1
	v_add_u32_e32 v0, s11, v33
	v_cmp_gt_u32_e32 vcc, s15, v0
	s_and_saveexec_b64 s[6:7], vcc
; %bb.170:                              ;   in Loop: Header=BB2468_169 Depth=1
	v_add_u32_e32 v0, s19, v15
	ds_write_b32 v0, v9 offset:1024
; %bb.171:                              ;   in Loop: Header=BB2468_169 Depth=1
	s_or_b64 exec, exec, s[6:7]
	v_add_u32_e32 v0, s11, v12
	v_cmp_gt_u32_e32 vcc, s15, v0
	s_and_saveexec_b64 s[6:7], vcc
; %bb.172:                              ;   in Loop: Header=BB2468_169 Depth=1
	v_add_u32_e32 v0, s19, v20
	ds_write_b32 v0, v10 offset:1024
; %bb.173:                              ;   in Loop: Header=BB2468_169 Depth=1
	s_or_b64 exec, exec, s[6:7]
	;; [unrolled: 8-line block ×7, first 2 shown]
	v_add_u32_e32 v0, s11, v26
	v_cmp_gt_u32_e32 vcc, s15, v0
	s_and_saveexec_b64 s[6:7], vcc
	s_cbranch_execz .LBB2468_168
; %bb.184:                              ;   in Loop: Header=BB2468_169 Depth=1
	v_add_u32_e32 v0, s19, v36
	ds_write_b32 v0, v32 offset:1024
	s_branch .LBB2468_168
.LBB2468_185:
	s_lshl_b64 s[2:3], s[12:13], 1
	s_add_u32 s2, s40, s2
	s_addc_u32 s3, s41, s3
	v_lshlrev_b32_e32 v0, 1, v7
	v_mov_b32_e32 v1, 0
	v_lshl_add_u64 v[10:11], s[2:3], 0, v[0:1]
	v_lshlrev_b32_e32 v0, 1, v6
	v_lshl_add_u64 v[0:1], v[10:11], 0, v[0:1]
	global_load_ushort v14, v[0:1], off offset:128
	global_load_ushort v12, v[0:1], off offset:256
	;; [unrolled: 1-line block ×7, first 2 shown]
	s_movk_i32 s6, 0x2000
	v_cmp_gt_u32_e32 vcc, s6, v33
	s_and_saveexec_b64 s[2:3], vcc
	s_cbranch_execz .LBB2468_193
; %bb.186:
	global_load_ushort v0, v[0:1], off
	v_lshlrev_b32_e32 v1, 1, v33
	s_waitcnt vmcnt(0)
	ds_write_b16 v1, v0 offset:1024
	s_or_b64 exec, exec, s[2:3]
	v_cmp_gt_u32_e32 vcc, s6, v29
	s_and_saveexec_b64 s[2:3], vcc
	s_cbranch_execnz .LBB2468_194
.LBB2468_187:
	s_or_b64 exec, exec, s[2:3]
	v_cmp_gt_u32_e32 vcc, s6, v23
	s_and_saveexec_b64 s[2:3], vcc
	s_cbranch_execz .LBB2468_195
.LBB2468_188:
	v_lshlrev_b32_e32 v0, 1, v23
	s_waitcnt vmcnt(5)
	ds_write_b16 v0, v12 offset:1024
	s_or_b64 exec, exec, s[2:3]
	v_cmp_gt_u32_e32 vcc, s6, v13
	s_and_saveexec_b64 s[2:3], vcc
	s_cbranch_execnz .LBB2468_196
.LBB2468_189:
	s_or_b64 exec, exec, s[2:3]
	v_cmp_gt_u32_e32 vcc, s6, v5
	s_and_saveexec_b64 s[2:3], vcc
	s_cbranch_execz .LBB2468_197
.LBB2468_190:
	v_lshlrev_b32_e32 v0, 1, v5
	s_waitcnt vmcnt(3)
	ds_write_b16 v0, v10 offset:1024
	s_or_b64 exec, exec, s[2:3]
	v_cmp_gt_u32_e32 vcc, s6, v4
	s_and_saveexec_b64 s[2:3], vcc
	s_cbranch_execnz .LBB2468_198
.LBB2468_191:
	s_or_b64 exec, exec, s[2:3]
	v_cmp_gt_u32_e32 vcc, s6, v3
	s_and_saveexec_b64 s[2:3], vcc
	s_cbranch_execz .LBB2468_199
.LBB2468_192:
	v_lshlrev_b32_e32 v0, 1, v3
	s_waitcnt vmcnt(1)
	ds_write_b16 v0, v7 offset:1024
	s_or_b64 exec, exec, s[2:3]
	v_cmp_gt_u32_e32 vcc, s6, v2
	s_and_saveexec_b64 s[2:3], vcc
	s_cbranch_execnz .LBB2468_200
	s_branch .LBB2468_201
.LBB2468_193:
	s_or_b64 exec, exec, s[2:3]
	v_cmp_gt_u32_e32 vcc, s6, v29
	s_and_saveexec_b64 s[2:3], vcc
	s_cbranch_execz .LBB2468_187
.LBB2468_194:
	v_lshlrev_b32_e32 v0, 1, v29
	s_waitcnt vmcnt(6)
	ds_write_b16 v0, v14 offset:1024
	s_or_b64 exec, exec, s[2:3]
	v_cmp_gt_u32_e32 vcc, s6, v23
	s_and_saveexec_b64 s[2:3], vcc
	s_cbranch_execnz .LBB2468_188
.LBB2468_195:
	s_or_b64 exec, exec, s[2:3]
	v_cmp_gt_u32_e32 vcc, s6, v13
	s_and_saveexec_b64 s[2:3], vcc
	s_cbranch_execz .LBB2468_189
.LBB2468_196:
	v_lshlrev_b32_e32 v0, 1, v13
	s_waitcnt vmcnt(4)
	ds_write_b16 v0, v11 offset:1024
	s_or_b64 exec, exec, s[2:3]
	v_cmp_gt_u32_e32 vcc, s6, v5
	s_and_saveexec_b64 s[2:3], vcc
	s_cbranch_execnz .LBB2468_190
.LBB2468_197:
	s_or_b64 exec, exec, s[2:3]
	v_cmp_gt_u32_e32 vcc, s6, v4
	s_and_saveexec_b64 s[2:3], vcc
	s_cbranch_execz .LBB2468_191
.LBB2468_198:
	v_lshlrev_b32_e32 v0, 1, v4
	s_waitcnt vmcnt(2)
	ds_write_b16 v0, v9 offset:1024
	s_or_b64 exec, exec, s[2:3]
	v_cmp_gt_u32_e32 vcc, s6, v3
	s_and_saveexec_b64 s[2:3], vcc
	s_cbranch_execnz .LBB2468_192
.LBB2468_199:
	s_or_b64 exec, exec, s[2:3]
	v_cmp_gt_u32_e32 vcc, s6, v2
	s_and_saveexec_b64 s[2:3], vcc
	s_cbranch_execz .LBB2468_201
.LBB2468_200:
	v_lshlrev_b32_e32 v0, 1, v2
	s_waitcnt vmcnt(0)
	ds_write_b16 v0, v6 offset:1024
.LBB2468_201:
	s_or_b64 exec, exec, s[2:3]
	s_waitcnt lgkmcnt(0)
	s_barrier
	scratch_load_dwordx4 v[0:3], off, off
	scratch_load_dwordx4 v[4:7], off, off offset:16
	s_waitcnt vmcnt(4)
	v_lshlrev_b32_e32 v9, 1, v8
	v_mov_b32_e32 v11, 0
	s_movk_i32 s6, 0x400
	ds_read_u16 v12, v9 offset:1024
	ds_read_u16 v13, v9 offset:3072
	;; [unrolled: 1-line block ×8, first 2 shown]
	s_movk_i32 s7, 0x800
	s_movk_i32 s8, 0xc00
	;; [unrolled: 1-line block ×5, first 2 shown]
	s_add_i32 s5, s5, -1
	s_movk_i32 s12, 0x1c00
	s_cmp_eq_u32 s4, s5
	s_cselect_b64 s[2:3], -1, 0
	s_xor_b64 s[0:1], s[0:1], -1
	s_and_b64 s[0:1], s[0:1], s[2:3]
	s_waitcnt vmcnt(1)
	v_lshlrev_b32_e32 v0, 2, v0
	v_lshlrev_b32_e32 v2, 2, v2
	;; [unrolled: 1-line block ×3, first 2 shown]
	s_waitcnt vmcnt(0)
	v_lshlrev_b32_e32 v4, 2, v4
	v_lshlrev_b32_e32 v5, 2, v5
	;; [unrolled: 1-line block ×5, first 2 shown]
	ds_read_b32 v0, v0
	ds_read_b32 v21, v1
	;; [unrolled: 1-line block ×8, first 2 shown]
	s_waitcnt lgkmcnt(7)
	v_add_u32_e32 v10, v0, v8
	v_lshl_add_u64 v[0:1], v[10:11], 1, s[42:43]
	s_waitcnt lgkmcnt(6)
	v_add3_u32 v10, v21, v8, s6
	global_store_short v[0:1], v12, off
	v_lshl_add_u64 v[0:1], v[10:11], 1, s[42:43]
	s_waitcnt lgkmcnt(5)
	v_add3_u32 v10, v2, v8, s7
	global_store_short v[0:1], v13, off
	;; [unrolled: 4-line block ×7, first 2 shown]
	v_lshl_add_u64 v[0:1], v[10:11], 1, s[42:43]
	global_store_short v[0:1], v9, off
	s_and_saveexec_b64 s[2:3], s[0:1]
	s_cbranch_execz .LBB2468_203
; %bb.202:
	ds_read_b32 v0, v24
	s_waitcnt lgkmcnt(0)
	v_add3_u32 v0, v16, v19, v0
	global_store_dword v24, v0, s[46:47]
.LBB2468_203:
	s_endpgm
	.section	.rodata,"a",@progbits
	.p2align	6, 0x0
	.amdhsa_kernel _ZN7rocprim17ROCPRIM_400000_NS6detail17trampoline_kernelINS0_14default_configENS1_35radix_sort_onesweep_config_selectorIisEEZZNS1_29radix_sort_onesweep_iterationIS3_Lb0EN6thrust23THRUST_200600_302600_NS10device_ptrIiEESA_NS9_IsEESB_jNS0_19identity_decomposerENS1_16block_id_wrapperIjLb0EEEEE10hipError_tT1_PNSt15iterator_traitsISG_E10value_typeET2_T3_PNSH_ISM_E10value_typeET4_T5_PSR_SS_PNS1_23onesweep_lookback_stateEbbT6_jjT7_P12ihipStream_tbENKUlT_T0_SG_SL_E_clISA_SA_SB_SB_EEDaSZ_S10_SG_SL_EUlSZ_E_NS1_11comp_targetILNS1_3genE6ELNS1_11target_archE950ELNS1_3gpuE13ELNS1_3repE0EEENS1_47radix_sort_onesweep_sort_config_static_selectorELNS0_4arch9wavefront6targetE1EEEvSG_
		.amdhsa_group_segment_fixed_size 53328
		.amdhsa_private_segment_fixed_size 48
		.amdhsa_kernarg_size 344
		.amdhsa_user_sgpr_count 4
		.amdhsa_user_sgpr_dispatch_ptr 1
		.amdhsa_user_sgpr_queue_ptr 0
		.amdhsa_user_sgpr_kernarg_segment_ptr 1
		.amdhsa_user_sgpr_dispatch_id 0
		.amdhsa_user_sgpr_kernarg_preload_length 0
		.amdhsa_user_sgpr_kernarg_preload_offset 0
		.amdhsa_user_sgpr_private_segment_size 0
		.amdhsa_uses_dynamic_stack 0
		.amdhsa_enable_private_segment 1
		.amdhsa_system_sgpr_workgroup_id_x 1
		.amdhsa_system_sgpr_workgroup_id_y 0
		.amdhsa_system_sgpr_workgroup_id_z 0
		.amdhsa_system_sgpr_workgroup_info 0
		.amdhsa_system_vgpr_workitem_id 2
		.amdhsa_next_free_vgpr 53
		.amdhsa_next_free_sgpr 56
		.amdhsa_accum_offset 56
		.amdhsa_reserve_vcc 1
		.amdhsa_float_round_mode_32 0
		.amdhsa_float_round_mode_16_64 0
		.amdhsa_float_denorm_mode_32 3
		.amdhsa_float_denorm_mode_16_64 3
		.amdhsa_dx10_clamp 1
		.amdhsa_ieee_mode 1
		.amdhsa_fp16_overflow 0
		.amdhsa_tg_split 0
		.amdhsa_exception_fp_ieee_invalid_op 0
		.amdhsa_exception_fp_denorm_src 0
		.amdhsa_exception_fp_ieee_div_zero 0
		.amdhsa_exception_fp_ieee_overflow 0
		.amdhsa_exception_fp_ieee_underflow 0
		.amdhsa_exception_fp_ieee_inexact 0
		.amdhsa_exception_int_div_zero 0
	.end_amdhsa_kernel
	.section	.text._ZN7rocprim17ROCPRIM_400000_NS6detail17trampoline_kernelINS0_14default_configENS1_35radix_sort_onesweep_config_selectorIisEEZZNS1_29radix_sort_onesweep_iterationIS3_Lb0EN6thrust23THRUST_200600_302600_NS10device_ptrIiEESA_NS9_IsEESB_jNS0_19identity_decomposerENS1_16block_id_wrapperIjLb0EEEEE10hipError_tT1_PNSt15iterator_traitsISG_E10value_typeET2_T3_PNSH_ISM_E10value_typeET4_T5_PSR_SS_PNS1_23onesweep_lookback_stateEbbT6_jjT7_P12ihipStream_tbENKUlT_T0_SG_SL_E_clISA_SA_SB_SB_EEDaSZ_S10_SG_SL_EUlSZ_E_NS1_11comp_targetILNS1_3genE6ELNS1_11target_archE950ELNS1_3gpuE13ELNS1_3repE0EEENS1_47radix_sort_onesweep_sort_config_static_selectorELNS0_4arch9wavefront6targetE1EEEvSG_,"axG",@progbits,_ZN7rocprim17ROCPRIM_400000_NS6detail17trampoline_kernelINS0_14default_configENS1_35radix_sort_onesweep_config_selectorIisEEZZNS1_29radix_sort_onesweep_iterationIS3_Lb0EN6thrust23THRUST_200600_302600_NS10device_ptrIiEESA_NS9_IsEESB_jNS0_19identity_decomposerENS1_16block_id_wrapperIjLb0EEEEE10hipError_tT1_PNSt15iterator_traitsISG_E10value_typeET2_T3_PNSH_ISM_E10value_typeET4_T5_PSR_SS_PNS1_23onesweep_lookback_stateEbbT6_jjT7_P12ihipStream_tbENKUlT_T0_SG_SL_E_clISA_SA_SB_SB_EEDaSZ_S10_SG_SL_EUlSZ_E_NS1_11comp_targetILNS1_3genE6ELNS1_11target_archE950ELNS1_3gpuE13ELNS1_3repE0EEENS1_47radix_sort_onesweep_sort_config_static_selectorELNS0_4arch9wavefront6targetE1EEEvSG_,comdat
.Lfunc_end2468:
	.size	_ZN7rocprim17ROCPRIM_400000_NS6detail17trampoline_kernelINS0_14default_configENS1_35radix_sort_onesweep_config_selectorIisEEZZNS1_29radix_sort_onesweep_iterationIS3_Lb0EN6thrust23THRUST_200600_302600_NS10device_ptrIiEESA_NS9_IsEESB_jNS0_19identity_decomposerENS1_16block_id_wrapperIjLb0EEEEE10hipError_tT1_PNSt15iterator_traitsISG_E10value_typeET2_T3_PNSH_ISM_E10value_typeET4_T5_PSR_SS_PNS1_23onesweep_lookback_stateEbbT6_jjT7_P12ihipStream_tbENKUlT_T0_SG_SL_E_clISA_SA_SB_SB_EEDaSZ_S10_SG_SL_EUlSZ_E_NS1_11comp_targetILNS1_3genE6ELNS1_11target_archE950ELNS1_3gpuE13ELNS1_3repE0EEENS1_47radix_sort_onesweep_sort_config_static_selectorELNS0_4arch9wavefront6targetE1EEEvSG_, .Lfunc_end2468-_ZN7rocprim17ROCPRIM_400000_NS6detail17trampoline_kernelINS0_14default_configENS1_35radix_sort_onesweep_config_selectorIisEEZZNS1_29radix_sort_onesweep_iterationIS3_Lb0EN6thrust23THRUST_200600_302600_NS10device_ptrIiEESA_NS9_IsEESB_jNS0_19identity_decomposerENS1_16block_id_wrapperIjLb0EEEEE10hipError_tT1_PNSt15iterator_traitsISG_E10value_typeET2_T3_PNSH_ISM_E10value_typeET4_T5_PSR_SS_PNS1_23onesweep_lookback_stateEbbT6_jjT7_P12ihipStream_tbENKUlT_T0_SG_SL_E_clISA_SA_SB_SB_EEDaSZ_S10_SG_SL_EUlSZ_E_NS1_11comp_targetILNS1_3genE6ELNS1_11target_archE950ELNS1_3gpuE13ELNS1_3repE0EEENS1_47radix_sort_onesweep_sort_config_static_selectorELNS0_4arch9wavefront6targetE1EEEvSG_
                                        ; -- End function
	.set _ZN7rocprim17ROCPRIM_400000_NS6detail17trampoline_kernelINS0_14default_configENS1_35radix_sort_onesweep_config_selectorIisEEZZNS1_29radix_sort_onesweep_iterationIS3_Lb0EN6thrust23THRUST_200600_302600_NS10device_ptrIiEESA_NS9_IsEESB_jNS0_19identity_decomposerENS1_16block_id_wrapperIjLb0EEEEE10hipError_tT1_PNSt15iterator_traitsISG_E10value_typeET2_T3_PNSH_ISM_E10value_typeET4_T5_PSR_SS_PNS1_23onesweep_lookback_stateEbbT6_jjT7_P12ihipStream_tbENKUlT_T0_SG_SL_E_clISA_SA_SB_SB_EEDaSZ_S10_SG_SL_EUlSZ_E_NS1_11comp_targetILNS1_3genE6ELNS1_11target_archE950ELNS1_3gpuE13ELNS1_3repE0EEENS1_47radix_sort_onesweep_sort_config_static_selectorELNS0_4arch9wavefront6targetE1EEEvSG_.num_vgpr, 53
	.set _ZN7rocprim17ROCPRIM_400000_NS6detail17trampoline_kernelINS0_14default_configENS1_35radix_sort_onesweep_config_selectorIisEEZZNS1_29radix_sort_onesweep_iterationIS3_Lb0EN6thrust23THRUST_200600_302600_NS10device_ptrIiEESA_NS9_IsEESB_jNS0_19identity_decomposerENS1_16block_id_wrapperIjLb0EEEEE10hipError_tT1_PNSt15iterator_traitsISG_E10value_typeET2_T3_PNSH_ISM_E10value_typeET4_T5_PSR_SS_PNS1_23onesweep_lookback_stateEbbT6_jjT7_P12ihipStream_tbENKUlT_T0_SG_SL_E_clISA_SA_SB_SB_EEDaSZ_S10_SG_SL_EUlSZ_E_NS1_11comp_targetILNS1_3genE6ELNS1_11target_archE950ELNS1_3gpuE13ELNS1_3repE0EEENS1_47radix_sort_onesweep_sort_config_static_selectorELNS0_4arch9wavefront6targetE1EEEvSG_.num_agpr, 0
	.set _ZN7rocprim17ROCPRIM_400000_NS6detail17trampoline_kernelINS0_14default_configENS1_35radix_sort_onesweep_config_selectorIisEEZZNS1_29radix_sort_onesweep_iterationIS3_Lb0EN6thrust23THRUST_200600_302600_NS10device_ptrIiEESA_NS9_IsEESB_jNS0_19identity_decomposerENS1_16block_id_wrapperIjLb0EEEEE10hipError_tT1_PNSt15iterator_traitsISG_E10value_typeET2_T3_PNSH_ISM_E10value_typeET4_T5_PSR_SS_PNS1_23onesweep_lookback_stateEbbT6_jjT7_P12ihipStream_tbENKUlT_T0_SG_SL_E_clISA_SA_SB_SB_EEDaSZ_S10_SG_SL_EUlSZ_E_NS1_11comp_targetILNS1_3genE6ELNS1_11target_archE950ELNS1_3gpuE13ELNS1_3repE0EEENS1_47radix_sort_onesweep_sort_config_static_selectorELNS0_4arch9wavefront6targetE1EEEvSG_.numbered_sgpr, 56
	.set _ZN7rocprim17ROCPRIM_400000_NS6detail17trampoline_kernelINS0_14default_configENS1_35radix_sort_onesweep_config_selectorIisEEZZNS1_29radix_sort_onesweep_iterationIS3_Lb0EN6thrust23THRUST_200600_302600_NS10device_ptrIiEESA_NS9_IsEESB_jNS0_19identity_decomposerENS1_16block_id_wrapperIjLb0EEEEE10hipError_tT1_PNSt15iterator_traitsISG_E10value_typeET2_T3_PNSH_ISM_E10value_typeET4_T5_PSR_SS_PNS1_23onesweep_lookback_stateEbbT6_jjT7_P12ihipStream_tbENKUlT_T0_SG_SL_E_clISA_SA_SB_SB_EEDaSZ_S10_SG_SL_EUlSZ_E_NS1_11comp_targetILNS1_3genE6ELNS1_11target_archE950ELNS1_3gpuE13ELNS1_3repE0EEENS1_47radix_sort_onesweep_sort_config_static_selectorELNS0_4arch9wavefront6targetE1EEEvSG_.num_named_barrier, 0
	.set _ZN7rocprim17ROCPRIM_400000_NS6detail17trampoline_kernelINS0_14default_configENS1_35radix_sort_onesweep_config_selectorIisEEZZNS1_29radix_sort_onesweep_iterationIS3_Lb0EN6thrust23THRUST_200600_302600_NS10device_ptrIiEESA_NS9_IsEESB_jNS0_19identity_decomposerENS1_16block_id_wrapperIjLb0EEEEE10hipError_tT1_PNSt15iterator_traitsISG_E10value_typeET2_T3_PNSH_ISM_E10value_typeET4_T5_PSR_SS_PNS1_23onesweep_lookback_stateEbbT6_jjT7_P12ihipStream_tbENKUlT_T0_SG_SL_E_clISA_SA_SB_SB_EEDaSZ_S10_SG_SL_EUlSZ_E_NS1_11comp_targetILNS1_3genE6ELNS1_11target_archE950ELNS1_3gpuE13ELNS1_3repE0EEENS1_47radix_sort_onesweep_sort_config_static_selectorELNS0_4arch9wavefront6targetE1EEEvSG_.private_seg_size, 48
	.set _ZN7rocprim17ROCPRIM_400000_NS6detail17trampoline_kernelINS0_14default_configENS1_35radix_sort_onesweep_config_selectorIisEEZZNS1_29radix_sort_onesweep_iterationIS3_Lb0EN6thrust23THRUST_200600_302600_NS10device_ptrIiEESA_NS9_IsEESB_jNS0_19identity_decomposerENS1_16block_id_wrapperIjLb0EEEEE10hipError_tT1_PNSt15iterator_traitsISG_E10value_typeET2_T3_PNSH_ISM_E10value_typeET4_T5_PSR_SS_PNS1_23onesweep_lookback_stateEbbT6_jjT7_P12ihipStream_tbENKUlT_T0_SG_SL_E_clISA_SA_SB_SB_EEDaSZ_S10_SG_SL_EUlSZ_E_NS1_11comp_targetILNS1_3genE6ELNS1_11target_archE950ELNS1_3gpuE13ELNS1_3repE0EEENS1_47radix_sort_onesweep_sort_config_static_selectorELNS0_4arch9wavefront6targetE1EEEvSG_.uses_vcc, 1
	.set _ZN7rocprim17ROCPRIM_400000_NS6detail17trampoline_kernelINS0_14default_configENS1_35radix_sort_onesweep_config_selectorIisEEZZNS1_29radix_sort_onesweep_iterationIS3_Lb0EN6thrust23THRUST_200600_302600_NS10device_ptrIiEESA_NS9_IsEESB_jNS0_19identity_decomposerENS1_16block_id_wrapperIjLb0EEEEE10hipError_tT1_PNSt15iterator_traitsISG_E10value_typeET2_T3_PNSH_ISM_E10value_typeET4_T5_PSR_SS_PNS1_23onesweep_lookback_stateEbbT6_jjT7_P12ihipStream_tbENKUlT_T0_SG_SL_E_clISA_SA_SB_SB_EEDaSZ_S10_SG_SL_EUlSZ_E_NS1_11comp_targetILNS1_3genE6ELNS1_11target_archE950ELNS1_3gpuE13ELNS1_3repE0EEENS1_47radix_sort_onesweep_sort_config_static_selectorELNS0_4arch9wavefront6targetE1EEEvSG_.uses_flat_scratch, 0
	.set _ZN7rocprim17ROCPRIM_400000_NS6detail17trampoline_kernelINS0_14default_configENS1_35radix_sort_onesweep_config_selectorIisEEZZNS1_29radix_sort_onesweep_iterationIS3_Lb0EN6thrust23THRUST_200600_302600_NS10device_ptrIiEESA_NS9_IsEESB_jNS0_19identity_decomposerENS1_16block_id_wrapperIjLb0EEEEE10hipError_tT1_PNSt15iterator_traitsISG_E10value_typeET2_T3_PNSH_ISM_E10value_typeET4_T5_PSR_SS_PNS1_23onesweep_lookback_stateEbbT6_jjT7_P12ihipStream_tbENKUlT_T0_SG_SL_E_clISA_SA_SB_SB_EEDaSZ_S10_SG_SL_EUlSZ_E_NS1_11comp_targetILNS1_3genE6ELNS1_11target_archE950ELNS1_3gpuE13ELNS1_3repE0EEENS1_47radix_sort_onesweep_sort_config_static_selectorELNS0_4arch9wavefront6targetE1EEEvSG_.has_dyn_sized_stack, 0
	.set _ZN7rocprim17ROCPRIM_400000_NS6detail17trampoline_kernelINS0_14default_configENS1_35radix_sort_onesweep_config_selectorIisEEZZNS1_29radix_sort_onesweep_iterationIS3_Lb0EN6thrust23THRUST_200600_302600_NS10device_ptrIiEESA_NS9_IsEESB_jNS0_19identity_decomposerENS1_16block_id_wrapperIjLb0EEEEE10hipError_tT1_PNSt15iterator_traitsISG_E10value_typeET2_T3_PNSH_ISM_E10value_typeET4_T5_PSR_SS_PNS1_23onesweep_lookback_stateEbbT6_jjT7_P12ihipStream_tbENKUlT_T0_SG_SL_E_clISA_SA_SB_SB_EEDaSZ_S10_SG_SL_EUlSZ_E_NS1_11comp_targetILNS1_3genE6ELNS1_11target_archE950ELNS1_3gpuE13ELNS1_3repE0EEENS1_47radix_sort_onesweep_sort_config_static_selectorELNS0_4arch9wavefront6targetE1EEEvSG_.has_recursion, 0
	.set _ZN7rocprim17ROCPRIM_400000_NS6detail17trampoline_kernelINS0_14default_configENS1_35radix_sort_onesweep_config_selectorIisEEZZNS1_29radix_sort_onesweep_iterationIS3_Lb0EN6thrust23THRUST_200600_302600_NS10device_ptrIiEESA_NS9_IsEESB_jNS0_19identity_decomposerENS1_16block_id_wrapperIjLb0EEEEE10hipError_tT1_PNSt15iterator_traitsISG_E10value_typeET2_T3_PNSH_ISM_E10value_typeET4_T5_PSR_SS_PNS1_23onesweep_lookback_stateEbbT6_jjT7_P12ihipStream_tbENKUlT_T0_SG_SL_E_clISA_SA_SB_SB_EEDaSZ_S10_SG_SL_EUlSZ_E_NS1_11comp_targetILNS1_3genE6ELNS1_11target_archE950ELNS1_3gpuE13ELNS1_3repE0EEENS1_47radix_sort_onesweep_sort_config_static_selectorELNS0_4arch9wavefront6targetE1EEEvSG_.has_indirect_call, 0
	.section	.AMDGPU.csdata,"",@progbits
; Kernel info:
; codeLenInByte = 13712
; TotalNumSgprs: 62
; NumVgprs: 53
; NumAgprs: 0
; TotalNumVgprs: 53
; ScratchSize: 48
; MemoryBound: 0
; FloatMode: 240
; IeeeMode: 1
; LDSByteSize: 53328 bytes/workgroup (compile time only)
; SGPRBlocks: 7
; VGPRBlocks: 6
; NumSGPRsForWavesPerEU: 62
; NumVGPRsForWavesPerEU: 53
; AccumOffset: 56
; Occupancy: 8
; WaveLimiterHint : 1
; COMPUTE_PGM_RSRC2:SCRATCH_EN: 1
; COMPUTE_PGM_RSRC2:USER_SGPR: 4
; COMPUTE_PGM_RSRC2:TRAP_HANDLER: 0
; COMPUTE_PGM_RSRC2:TGID_X_EN: 1
; COMPUTE_PGM_RSRC2:TGID_Y_EN: 0
; COMPUTE_PGM_RSRC2:TGID_Z_EN: 0
; COMPUTE_PGM_RSRC2:TIDIG_COMP_CNT: 2
; COMPUTE_PGM_RSRC3_GFX90A:ACCUM_OFFSET: 13
; COMPUTE_PGM_RSRC3_GFX90A:TG_SPLIT: 0
	.section	.text._ZN7rocprim17ROCPRIM_400000_NS6detail17trampoline_kernelINS0_14default_configENS1_35radix_sort_onesweep_config_selectorIisEEZZNS1_29radix_sort_onesweep_iterationIS3_Lb0EN6thrust23THRUST_200600_302600_NS10device_ptrIiEESA_NS9_IsEESB_jNS0_19identity_decomposerENS1_16block_id_wrapperIjLb0EEEEE10hipError_tT1_PNSt15iterator_traitsISG_E10value_typeET2_T3_PNSH_ISM_E10value_typeET4_T5_PSR_SS_PNS1_23onesweep_lookback_stateEbbT6_jjT7_P12ihipStream_tbENKUlT_T0_SG_SL_E_clISA_SA_SB_SB_EEDaSZ_S10_SG_SL_EUlSZ_E_NS1_11comp_targetILNS1_3genE5ELNS1_11target_archE942ELNS1_3gpuE9ELNS1_3repE0EEENS1_47radix_sort_onesweep_sort_config_static_selectorELNS0_4arch9wavefront6targetE1EEEvSG_,"axG",@progbits,_ZN7rocprim17ROCPRIM_400000_NS6detail17trampoline_kernelINS0_14default_configENS1_35radix_sort_onesweep_config_selectorIisEEZZNS1_29radix_sort_onesweep_iterationIS3_Lb0EN6thrust23THRUST_200600_302600_NS10device_ptrIiEESA_NS9_IsEESB_jNS0_19identity_decomposerENS1_16block_id_wrapperIjLb0EEEEE10hipError_tT1_PNSt15iterator_traitsISG_E10value_typeET2_T3_PNSH_ISM_E10value_typeET4_T5_PSR_SS_PNS1_23onesweep_lookback_stateEbbT6_jjT7_P12ihipStream_tbENKUlT_T0_SG_SL_E_clISA_SA_SB_SB_EEDaSZ_S10_SG_SL_EUlSZ_E_NS1_11comp_targetILNS1_3genE5ELNS1_11target_archE942ELNS1_3gpuE9ELNS1_3repE0EEENS1_47radix_sort_onesweep_sort_config_static_selectorELNS0_4arch9wavefront6targetE1EEEvSG_,comdat
	.protected	_ZN7rocprim17ROCPRIM_400000_NS6detail17trampoline_kernelINS0_14default_configENS1_35radix_sort_onesweep_config_selectorIisEEZZNS1_29radix_sort_onesweep_iterationIS3_Lb0EN6thrust23THRUST_200600_302600_NS10device_ptrIiEESA_NS9_IsEESB_jNS0_19identity_decomposerENS1_16block_id_wrapperIjLb0EEEEE10hipError_tT1_PNSt15iterator_traitsISG_E10value_typeET2_T3_PNSH_ISM_E10value_typeET4_T5_PSR_SS_PNS1_23onesweep_lookback_stateEbbT6_jjT7_P12ihipStream_tbENKUlT_T0_SG_SL_E_clISA_SA_SB_SB_EEDaSZ_S10_SG_SL_EUlSZ_E_NS1_11comp_targetILNS1_3genE5ELNS1_11target_archE942ELNS1_3gpuE9ELNS1_3repE0EEENS1_47radix_sort_onesweep_sort_config_static_selectorELNS0_4arch9wavefront6targetE1EEEvSG_ ; -- Begin function _ZN7rocprim17ROCPRIM_400000_NS6detail17trampoline_kernelINS0_14default_configENS1_35radix_sort_onesweep_config_selectorIisEEZZNS1_29radix_sort_onesweep_iterationIS3_Lb0EN6thrust23THRUST_200600_302600_NS10device_ptrIiEESA_NS9_IsEESB_jNS0_19identity_decomposerENS1_16block_id_wrapperIjLb0EEEEE10hipError_tT1_PNSt15iterator_traitsISG_E10value_typeET2_T3_PNSH_ISM_E10value_typeET4_T5_PSR_SS_PNS1_23onesweep_lookback_stateEbbT6_jjT7_P12ihipStream_tbENKUlT_T0_SG_SL_E_clISA_SA_SB_SB_EEDaSZ_S10_SG_SL_EUlSZ_E_NS1_11comp_targetILNS1_3genE5ELNS1_11target_archE942ELNS1_3gpuE9ELNS1_3repE0EEENS1_47radix_sort_onesweep_sort_config_static_selectorELNS0_4arch9wavefront6targetE1EEEvSG_
	.globl	_ZN7rocprim17ROCPRIM_400000_NS6detail17trampoline_kernelINS0_14default_configENS1_35radix_sort_onesweep_config_selectorIisEEZZNS1_29radix_sort_onesweep_iterationIS3_Lb0EN6thrust23THRUST_200600_302600_NS10device_ptrIiEESA_NS9_IsEESB_jNS0_19identity_decomposerENS1_16block_id_wrapperIjLb0EEEEE10hipError_tT1_PNSt15iterator_traitsISG_E10value_typeET2_T3_PNSH_ISM_E10value_typeET4_T5_PSR_SS_PNS1_23onesweep_lookback_stateEbbT6_jjT7_P12ihipStream_tbENKUlT_T0_SG_SL_E_clISA_SA_SB_SB_EEDaSZ_S10_SG_SL_EUlSZ_E_NS1_11comp_targetILNS1_3genE5ELNS1_11target_archE942ELNS1_3gpuE9ELNS1_3repE0EEENS1_47radix_sort_onesweep_sort_config_static_selectorELNS0_4arch9wavefront6targetE1EEEvSG_
	.p2align	8
	.type	_ZN7rocprim17ROCPRIM_400000_NS6detail17trampoline_kernelINS0_14default_configENS1_35radix_sort_onesweep_config_selectorIisEEZZNS1_29radix_sort_onesweep_iterationIS3_Lb0EN6thrust23THRUST_200600_302600_NS10device_ptrIiEESA_NS9_IsEESB_jNS0_19identity_decomposerENS1_16block_id_wrapperIjLb0EEEEE10hipError_tT1_PNSt15iterator_traitsISG_E10value_typeET2_T3_PNSH_ISM_E10value_typeET4_T5_PSR_SS_PNS1_23onesweep_lookback_stateEbbT6_jjT7_P12ihipStream_tbENKUlT_T0_SG_SL_E_clISA_SA_SB_SB_EEDaSZ_S10_SG_SL_EUlSZ_E_NS1_11comp_targetILNS1_3genE5ELNS1_11target_archE942ELNS1_3gpuE9ELNS1_3repE0EEENS1_47radix_sort_onesweep_sort_config_static_selectorELNS0_4arch9wavefront6targetE1EEEvSG_,@function
_ZN7rocprim17ROCPRIM_400000_NS6detail17trampoline_kernelINS0_14default_configENS1_35radix_sort_onesweep_config_selectorIisEEZZNS1_29radix_sort_onesweep_iterationIS3_Lb0EN6thrust23THRUST_200600_302600_NS10device_ptrIiEESA_NS9_IsEESB_jNS0_19identity_decomposerENS1_16block_id_wrapperIjLb0EEEEE10hipError_tT1_PNSt15iterator_traitsISG_E10value_typeET2_T3_PNSH_ISM_E10value_typeET4_T5_PSR_SS_PNS1_23onesweep_lookback_stateEbbT6_jjT7_P12ihipStream_tbENKUlT_T0_SG_SL_E_clISA_SA_SB_SB_EEDaSZ_S10_SG_SL_EUlSZ_E_NS1_11comp_targetILNS1_3genE5ELNS1_11target_archE942ELNS1_3gpuE9ELNS1_3repE0EEENS1_47radix_sort_onesweep_sort_config_static_selectorELNS0_4arch9wavefront6targetE1EEEvSG_: ; @_ZN7rocprim17ROCPRIM_400000_NS6detail17trampoline_kernelINS0_14default_configENS1_35radix_sort_onesweep_config_selectorIisEEZZNS1_29radix_sort_onesweep_iterationIS3_Lb0EN6thrust23THRUST_200600_302600_NS10device_ptrIiEESA_NS9_IsEESB_jNS0_19identity_decomposerENS1_16block_id_wrapperIjLb0EEEEE10hipError_tT1_PNSt15iterator_traitsISG_E10value_typeET2_T3_PNSH_ISM_E10value_typeET4_T5_PSR_SS_PNS1_23onesweep_lookback_stateEbbT6_jjT7_P12ihipStream_tbENKUlT_T0_SG_SL_E_clISA_SA_SB_SB_EEDaSZ_S10_SG_SL_EUlSZ_E_NS1_11comp_targetILNS1_3genE5ELNS1_11target_archE942ELNS1_3gpuE9ELNS1_3repE0EEENS1_47radix_sort_onesweep_sort_config_static_selectorELNS0_4arch9wavefront6targetE1EEEvSG_
; %bb.0:
	.section	.rodata,"a",@progbits
	.p2align	6, 0x0
	.amdhsa_kernel _ZN7rocprim17ROCPRIM_400000_NS6detail17trampoline_kernelINS0_14default_configENS1_35radix_sort_onesweep_config_selectorIisEEZZNS1_29radix_sort_onesweep_iterationIS3_Lb0EN6thrust23THRUST_200600_302600_NS10device_ptrIiEESA_NS9_IsEESB_jNS0_19identity_decomposerENS1_16block_id_wrapperIjLb0EEEEE10hipError_tT1_PNSt15iterator_traitsISG_E10value_typeET2_T3_PNSH_ISM_E10value_typeET4_T5_PSR_SS_PNS1_23onesweep_lookback_stateEbbT6_jjT7_P12ihipStream_tbENKUlT_T0_SG_SL_E_clISA_SA_SB_SB_EEDaSZ_S10_SG_SL_EUlSZ_E_NS1_11comp_targetILNS1_3genE5ELNS1_11target_archE942ELNS1_3gpuE9ELNS1_3repE0EEENS1_47radix_sort_onesweep_sort_config_static_selectorELNS0_4arch9wavefront6targetE1EEEvSG_
		.amdhsa_group_segment_fixed_size 0
		.amdhsa_private_segment_fixed_size 0
		.amdhsa_kernarg_size 88
		.amdhsa_user_sgpr_count 2
		.amdhsa_user_sgpr_dispatch_ptr 0
		.amdhsa_user_sgpr_queue_ptr 0
		.amdhsa_user_sgpr_kernarg_segment_ptr 1
		.amdhsa_user_sgpr_dispatch_id 0
		.amdhsa_user_sgpr_kernarg_preload_length 0
		.amdhsa_user_sgpr_kernarg_preload_offset 0
		.amdhsa_user_sgpr_private_segment_size 0
		.amdhsa_uses_dynamic_stack 0
		.amdhsa_enable_private_segment 0
		.amdhsa_system_sgpr_workgroup_id_x 1
		.amdhsa_system_sgpr_workgroup_id_y 0
		.amdhsa_system_sgpr_workgroup_id_z 0
		.amdhsa_system_sgpr_workgroup_info 0
		.amdhsa_system_vgpr_workitem_id 0
		.amdhsa_next_free_vgpr 1
		.amdhsa_next_free_sgpr 0
		.amdhsa_accum_offset 4
		.amdhsa_reserve_vcc 0
		.amdhsa_float_round_mode_32 0
		.amdhsa_float_round_mode_16_64 0
		.amdhsa_float_denorm_mode_32 3
		.amdhsa_float_denorm_mode_16_64 3
		.amdhsa_dx10_clamp 1
		.amdhsa_ieee_mode 1
		.amdhsa_fp16_overflow 0
		.amdhsa_tg_split 0
		.amdhsa_exception_fp_ieee_invalid_op 0
		.amdhsa_exception_fp_denorm_src 0
		.amdhsa_exception_fp_ieee_div_zero 0
		.amdhsa_exception_fp_ieee_overflow 0
		.amdhsa_exception_fp_ieee_underflow 0
		.amdhsa_exception_fp_ieee_inexact 0
		.amdhsa_exception_int_div_zero 0
	.end_amdhsa_kernel
	.section	.text._ZN7rocprim17ROCPRIM_400000_NS6detail17trampoline_kernelINS0_14default_configENS1_35radix_sort_onesweep_config_selectorIisEEZZNS1_29radix_sort_onesweep_iterationIS3_Lb0EN6thrust23THRUST_200600_302600_NS10device_ptrIiEESA_NS9_IsEESB_jNS0_19identity_decomposerENS1_16block_id_wrapperIjLb0EEEEE10hipError_tT1_PNSt15iterator_traitsISG_E10value_typeET2_T3_PNSH_ISM_E10value_typeET4_T5_PSR_SS_PNS1_23onesweep_lookback_stateEbbT6_jjT7_P12ihipStream_tbENKUlT_T0_SG_SL_E_clISA_SA_SB_SB_EEDaSZ_S10_SG_SL_EUlSZ_E_NS1_11comp_targetILNS1_3genE5ELNS1_11target_archE942ELNS1_3gpuE9ELNS1_3repE0EEENS1_47radix_sort_onesweep_sort_config_static_selectorELNS0_4arch9wavefront6targetE1EEEvSG_,"axG",@progbits,_ZN7rocprim17ROCPRIM_400000_NS6detail17trampoline_kernelINS0_14default_configENS1_35radix_sort_onesweep_config_selectorIisEEZZNS1_29radix_sort_onesweep_iterationIS3_Lb0EN6thrust23THRUST_200600_302600_NS10device_ptrIiEESA_NS9_IsEESB_jNS0_19identity_decomposerENS1_16block_id_wrapperIjLb0EEEEE10hipError_tT1_PNSt15iterator_traitsISG_E10value_typeET2_T3_PNSH_ISM_E10value_typeET4_T5_PSR_SS_PNS1_23onesweep_lookback_stateEbbT6_jjT7_P12ihipStream_tbENKUlT_T0_SG_SL_E_clISA_SA_SB_SB_EEDaSZ_S10_SG_SL_EUlSZ_E_NS1_11comp_targetILNS1_3genE5ELNS1_11target_archE942ELNS1_3gpuE9ELNS1_3repE0EEENS1_47radix_sort_onesweep_sort_config_static_selectorELNS0_4arch9wavefront6targetE1EEEvSG_,comdat
.Lfunc_end2469:
	.size	_ZN7rocprim17ROCPRIM_400000_NS6detail17trampoline_kernelINS0_14default_configENS1_35radix_sort_onesweep_config_selectorIisEEZZNS1_29radix_sort_onesweep_iterationIS3_Lb0EN6thrust23THRUST_200600_302600_NS10device_ptrIiEESA_NS9_IsEESB_jNS0_19identity_decomposerENS1_16block_id_wrapperIjLb0EEEEE10hipError_tT1_PNSt15iterator_traitsISG_E10value_typeET2_T3_PNSH_ISM_E10value_typeET4_T5_PSR_SS_PNS1_23onesweep_lookback_stateEbbT6_jjT7_P12ihipStream_tbENKUlT_T0_SG_SL_E_clISA_SA_SB_SB_EEDaSZ_S10_SG_SL_EUlSZ_E_NS1_11comp_targetILNS1_3genE5ELNS1_11target_archE942ELNS1_3gpuE9ELNS1_3repE0EEENS1_47radix_sort_onesweep_sort_config_static_selectorELNS0_4arch9wavefront6targetE1EEEvSG_, .Lfunc_end2469-_ZN7rocprim17ROCPRIM_400000_NS6detail17trampoline_kernelINS0_14default_configENS1_35radix_sort_onesweep_config_selectorIisEEZZNS1_29radix_sort_onesweep_iterationIS3_Lb0EN6thrust23THRUST_200600_302600_NS10device_ptrIiEESA_NS9_IsEESB_jNS0_19identity_decomposerENS1_16block_id_wrapperIjLb0EEEEE10hipError_tT1_PNSt15iterator_traitsISG_E10value_typeET2_T3_PNSH_ISM_E10value_typeET4_T5_PSR_SS_PNS1_23onesweep_lookback_stateEbbT6_jjT7_P12ihipStream_tbENKUlT_T0_SG_SL_E_clISA_SA_SB_SB_EEDaSZ_S10_SG_SL_EUlSZ_E_NS1_11comp_targetILNS1_3genE5ELNS1_11target_archE942ELNS1_3gpuE9ELNS1_3repE0EEENS1_47radix_sort_onesweep_sort_config_static_selectorELNS0_4arch9wavefront6targetE1EEEvSG_
                                        ; -- End function
	.set _ZN7rocprim17ROCPRIM_400000_NS6detail17trampoline_kernelINS0_14default_configENS1_35radix_sort_onesweep_config_selectorIisEEZZNS1_29radix_sort_onesweep_iterationIS3_Lb0EN6thrust23THRUST_200600_302600_NS10device_ptrIiEESA_NS9_IsEESB_jNS0_19identity_decomposerENS1_16block_id_wrapperIjLb0EEEEE10hipError_tT1_PNSt15iterator_traitsISG_E10value_typeET2_T3_PNSH_ISM_E10value_typeET4_T5_PSR_SS_PNS1_23onesweep_lookback_stateEbbT6_jjT7_P12ihipStream_tbENKUlT_T0_SG_SL_E_clISA_SA_SB_SB_EEDaSZ_S10_SG_SL_EUlSZ_E_NS1_11comp_targetILNS1_3genE5ELNS1_11target_archE942ELNS1_3gpuE9ELNS1_3repE0EEENS1_47radix_sort_onesweep_sort_config_static_selectorELNS0_4arch9wavefront6targetE1EEEvSG_.num_vgpr, 0
	.set _ZN7rocprim17ROCPRIM_400000_NS6detail17trampoline_kernelINS0_14default_configENS1_35radix_sort_onesweep_config_selectorIisEEZZNS1_29radix_sort_onesweep_iterationIS3_Lb0EN6thrust23THRUST_200600_302600_NS10device_ptrIiEESA_NS9_IsEESB_jNS0_19identity_decomposerENS1_16block_id_wrapperIjLb0EEEEE10hipError_tT1_PNSt15iterator_traitsISG_E10value_typeET2_T3_PNSH_ISM_E10value_typeET4_T5_PSR_SS_PNS1_23onesweep_lookback_stateEbbT6_jjT7_P12ihipStream_tbENKUlT_T0_SG_SL_E_clISA_SA_SB_SB_EEDaSZ_S10_SG_SL_EUlSZ_E_NS1_11comp_targetILNS1_3genE5ELNS1_11target_archE942ELNS1_3gpuE9ELNS1_3repE0EEENS1_47radix_sort_onesweep_sort_config_static_selectorELNS0_4arch9wavefront6targetE1EEEvSG_.num_agpr, 0
	.set _ZN7rocprim17ROCPRIM_400000_NS6detail17trampoline_kernelINS0_14default_configENS1_35radix_sort_onesweep_config_selectorIisEEZZNS1_29radix_sort_onesweep_iterationIS3_Lb0EN6thrust23THRUST_200600_302600_NS10device_ptrIiEESA_NS9_IsEESB_jNS0_19identity_decomposerENS1_16block_id_wrapperIjLb0EEEEE10hipError_tT1_PNSt15iterator_traitsISG_E10value_typeET2_T3_PNSH_ISM_E10value_typeET4_T5_PSR_SS_PNS1_23onesweep_lookback_stateEbbT6_jjT7_P12ihipStream_tbENKUlT_T0_SG_SL_E_clISA_SA_SB_SB_EEDaSZ_S10_SG_SL_EUlSZ_E_NS1_11comp_targetILNS1_3genE5ELNS1_11target_archE942ELNS1_3gpuE9ELNS1_3repE0EEENS1_47radix_sort_onesweep_sort_config_static_selectorELNS0_4arch9wavefront6targetE1EEEvSG_.numbered_sgpr, 0
	.set _ZN7rocprim17ROCPRIM_400000_NS6detail17trampoline_kernelINS0_14default_configENS1_35radix_sort_onesweep_config_selectorIisEEZZNS1_29radix_sort_onesweep_iterationIS3_Lb0EN6thrust23THRUST_200600_302600_NS10device_ptrIiEESA_NS9_IsEESB_jNS0_19identity_decomposerENS1_16block_id_wrapperIjLb0EEEEE10hipError_tT1_PNSt15iterator_traitsISG_E10value_typeET2_T3_PNSH_ISM_E10value_typeET4_T5_PSR_SS_PNS1_23onesweep_lookback_stateEbbT6_jjT7_P12ihipStream_tbENKUlT_T0_SG_SL_E_clISA_SA_SB_SB_EEDaSZ_S10_SG_SL_EUlSZ_E_NS1_11comp_targetILNS1_3genE5ELNS1_11target_archE942ELNS1_3gpuE9ELNS1_3repE0EEENS1_47radix_sort_onesweep_sort_config_static_selectorELNS0_4arch9wavefront6targetE1EEEvSG_.num_named_barrier, 0
	.set _ZN7rocprim17ROCPRIM_400000_NS6detail17trampoline_kernelINS0_14default_configENS1_35radix_sort_onesweep_config_selectorIisEEZZNS1_29radix_sort_onesweep_iterationIS3_Lb0EN6thrust23THRUST_200600_302600_NS10device_ptrIiEESA_NS9_IsEESB_jNS0_19identity_decomposerENS1_16block_id_wrapperIjLb0EEEEE10hipError_tT1_PNSt15iterator_traitsISG_E10value_typeET2_T3_PNSH_ISM_E10value_typeET4_T5_PSR_SS_PNS1_23onesweep_lookback_stateEbbT6_jjT7_P12ihipStream_tbENKUlT_T0_SG_SL_E_clISA_SA_SB_SB_EEDaSZ_S10_SG_SL_EUlSZ_E_NS1_11comp_targetILNS1_3genE5ELNS1_11target_archE942ELNS1_3gpuE9ELNS1_3repE0EEENS1_47radix_sort_onesweep_sort_config_static_selectorELNS0_4arch9wavefront6targetE1EEEvSG_.private_seg_size, 0
	.set _ZN7rocprim17ROCPRIM_400000_NS6detail17trampoline_kernelINS0_14default_configENS1_35radix_sort_onesweep_config_selectorIisEEZZNS1_29radix_sort_onesweep_iterationIS3_Lb0EN6thrust23THRUST_200600_302600_NS10device_ptrIiEESA_NS9_IsEESB_jNS0_19identity_decomposerENS1_16block_id_wrapperIjLb0EEEEE10hipError_tT1_PNSt15iterator_traitsISG_E10value_typeET2_T3_PNSH_ISM_E10value_typeET4_T5_PSR_SS_PNS1_23onesweep_lookback_stateEbbT6_jjT7_P12ihipStream_tbENKUlT_T0_SG_SL_E_clISA_SA_SB_SB_EEDaSZ_S10_SG_SL_EUlSZ_E_NS1_11comp_targetILNS1_3genE5ELNS1_11target_archE942ELNS1_3gpuE9ELNS1_3repE0EEENS1_47radix_sort_onesweep_sort_config_static_selectorELNS0_4arch9wavefront6targetE1EEEvSG_.uses_vcc, 0
	.set _ZN7rocprim17ROCPRIM_400000_NS6detail17trampoline_kernelINS0_14default_configENS1_35radix_sort_onesweep_config_selectorIisEEZZNS1_29radix_sort_onesweep_iterationIS3_Lb0EN6thrust23THRUST_200600_302600_NS10device_ptrIiEESA_NS9_IsEESB_jNS0_19identity_decomposerENS1_16block_id_wrapperIjLb0EEEEE10hipError_tT1_PNSt15iterator_traitsISG_E10value_typeET2_T3_PNSH_ISM_E10value_typeET4_T5_PSR_SS_PNS1_23onesweep_lookback_stateEbbT6_jjT7_P12ihipStream_tbENKUlT_T0_SG_SL_E_clISA_SA_SB_SB_EEDaSZ_S10_SG_SL_EUlSZ_E_NS1_11comp_targetILNS1_3genE5ELNS1_11target_archE942ELNS1_3gpuE9ELNS1_3repE0EEENS1_47radix_sort_onesweep_sort_config_static_selectorELNS0_4arch9wavefront6targetE1EEEvSG_.uses_flat_scratch, 0
	.set _ZN7rocprim17ROCPRIM_400000_NS6detail17trampoline_kernelINS0_14default_configENS1_35radix_sort_onesweep_config_selectorIisEEZZNS1_29radix_sort_onesweep_iterationIS3_Lb0EN6thrust23THRUST_200600_302600_NS10device_ptrIiEESA_NS9_IsEESB_jNS0_19identity_decomposerENS1_16block_id_wrapperIjLb0EEEEE10hipError_tT1_PNSt15iterator_traitsISG_E10value_typeET2_T3_PNSH_ISM_E10value_typeET4_T5_PSR_SS_PNS1_23onesweep_lookback_stateEbbT6_jjT7_P12ihipStream_tbENKUlT_T0_SG_SL_E_clISA_SA_SB_SB_EEDaSZ_S10_SG_SL_EUlSZ_E_NS1_11comp_targetILNS1_3genE5ELNS1_11target_archE942ELNS1_3gpuE9ELNS1_3repE0EEENS1_47radix_sort_onesweep_sort_config_static_selectorELNS0_4arch9wavefront6targetE1EEEvSG_.has_dyn_sized_stack, 0
	.set _ZN7rocprim17ROCPRIM_400000_NS6detail17trampoline_kernelINS0_14default_configENS1_35radix_sort_onesweep_config_selectorIisEEZZNS1_29radix_sort_onesweep_iterationIS3_Lb0EN6thrust23THRUST_200600_302600_NS10device_ptrIiEESA_NS9_IsEESB_jNS0_19identity_decomposerENS1_16block_id_wrapperIjLb0EEEEE10hipError_tT1_PNSt15iterator_traitsISG_E10value_typeET2_T3_PNSH_ISM_E10value_typeET4_T5_PSR_SS_PNS1_23onesweep_lookback_stateEbbT6_jjT7_P12ihipStream_tbENKUlT_T0_SG_SL_E_clISA_SA_SB_SB_EEDaSZ_S10_SG_SL_EUlSZ_E_NS1_11comp_targetILNS1_3genE5ELNS1_11target_archE942ELNS1_3gpuE9ELNS1_3repE0EEENS1_47radix_sort_onesweep_sort_config_static_selectorELNS0_4arch9wavefront6targetE1EEEvSG_.has_recursion, 0
	.set _ZN7rocprim17ROCPRIM_400000_NS6detail17trampoline_kernelINS0_14default_configENS1_35radix_sort_onesweep_config_selectorIisEEZZNS1_29radix_sort_onesweep_iterationIS3_Lb0EN6thrust23THRUST_200600_302600_NS10device_ptrIiEESA_NS9_IsEESB_jNS0_19identity_decomposerENS1_16block_id_wrapperIjLb0EEEEE10hipError_tT1_PNSt15iterator_traitsISG_E10value_typeET2_T3_PNSH_ISM_E10value_typeET4_T5_PSR_SS_PNS1_23onesweep_lookback_stateEbbT6_jjT7_P12ihipStream_tbENKUlT_T0_SG_SL_E_clISA_SA_SB_SB_EEDaSZ_S10_SG_SL_EUlSZ_E_NS1_11comp_targetILNS1_3genE5ELNS1_11target_archE942ELNS1_3gpuE9ELNS1_3repE0EEENS1_47radix_sort_onesweep_sort_config_static_selectorELNS0_4arch9wavefront6targetE1EEEvSG_.has_indirect_call, 0
	.section	.AMDGPU.csdata,"",@progbits
; Kernel info:
; codeLenInByte = 0
; TotalNumSgprs: 6
; NumVgprs: 0
; NumAgprs: 0
; TotalNumVgprs: 0
; ScratchSize: 0
; MemoryBound: 0
; FloatMode: 240
; IeeeMode: 1
; LDSByteSize: 0 bytes/workgroup (compile time only)
; SGPRBlocks: 0
; VGPRBlocks: 0
; NumSGPRsForWavesPerEU: 6
; NumVGPRsForWavesPerEU: 1
; AccumOffset: 4
; Occupancy: 8
; WaveLimiterHint : 0
; COMPUTE_PGM_RSRC2:SCRATCH_EN: 0
; COMPUTE_PGM_RSRC2:USER_SGPR: 2
; COMPUTE_PGM_RSRC2:TRAP_HANDLER: 0
; COMPUTE_PGM_RSRC2:TGID_X_EN: 1
; COMPUTE_PGM_RSRC2:TGID_Y_EN: 0
; COMPUTE_PGM_RSRC2:TGID_Z_EN: 0
; COMPUTE_PGM_RSRC2:TIDIG_COMP_CNT: 0
; COMPUTE_PGM_RSRC3_GFX90A:ACCUM_OFFSET: 0
; COMPUTE_PGM_RSRC3_GFX90A:TG_SPLIT: 0
	.section	.text._ZN7rocprim17ROCPRIM_400000_NS6detail17trampoline_kernelINS0_14default_configENS1_35radix_sort_onesweep_config_selectorIisEEZZNS1_29radix_sort_onesweep_iterationIS3_Lb0EN6thrust23THRUST_200600_302600_NS10device_ptrIiEESA_NS9_IsEESB_jNS0_19identity_decomposerENS1_16block_id_wrapperIjLb0EEEEE10hipError_tT1_PNSt15iterator_traitsISG_E10value_typeET2_T3_PNSH_ISM_E10value_typeET4_T5_PSR_SS_PNS1_23onesweep_lookback_stateEbbT6_jjT7_P12ihipStream_tbENKUlT_T0_SG_SL_E_clISA_SA_SB_SB_EEDaSZ_S10_SG_SL_EUlSZ_E_NS1_11comp_targetILNS1_3genE2ELNS1_11target_archE906ELNS1_3gpuE6ELNS1_3repE0EEENS1_47radix_sort_onesweep_sort_config_static_selectorELNS0_4arch9wavefront6targetE1EEEvSG_,"axG",@progbits,_ZN7rocprim17ROCPRIM_400000_NS6detail17trampoline_kernelINS0_14default_configENS1_35radix_sort_onesweep_config_selectorIisEEZZNS1_29radix_sort_onesweep_iterationIS3_Lb0EN6thrust23THRUST_200600_302600_NS10device_ptrIiEESA_NS9_IsEESB_jNS0_19identity_decomposerENS1_16block_id_wrapperIjLb0EEEEE10hipError_tT1_PNSt15iterator_traitsISG_E10value_typeET2_T3_PNSH_ISM_E10value_typeET4_T5_PSR_SS_PNS1_23onesweep_lookback_stateEbbT6_jjT7_P12ihipStream_tbENKUlT_T0_SG_SL_E_clISA_SA_SB_SB_EEDaSZ_S10_SG_SL_EUlSZ_E_NS1_11comp_targetILNS1_3genE2ELNS1_11target_archE906ELNS1_3gpuE6ELNS1_3repE0EEENS1_47radix_sort_onesweep_sort_config_static_selectorELNS0_4arch9wavefront6targetE1EEEvSG_,comdat
	.protected	_ZN7rocprim17ROCPRIM_400000_NS6detail17trampoline_kernelINS0_14default_configENS1_35radix_sort_onesweep_config_selectorIisEEZZNS1_29radix_sort_onesweep_iterationIS3_Lb0EN6thrust23THRUST_200600_302600_NS10device_ptrIiEESA_NS9_IsEESB_jNS0_19identity_decomposerENS1_16block_id_wrapperIjLb0EEEEE10hipError_tT1_PNSt15iterator_traitsISG_E10value_typeET2_T3_PNSH_ISM_E10value_typeET4_T5_PSR_SS_PNS1_23onesweep_lookback_stateEbbT6_jjT7_P12ihipStream_tbENKUlT_T0_SG_SL_E_clISA_SA_SB_SB_EEDaSZ_S10_SG_SL_EUlSZ_E_NS1_11comp_targetILNS1_3genE2ELNS1_11target_archE906ELNS1_3gpuE6ELNS1_3repE0EEENS1_47radix_sort_onesweep_sort_config_static_selectorELNS0_4arch9wavefront6targetE1EEEvSG_ ; -- Begin function _ZN7rocprim17ROCPRIM_400000_NS6detail17trampoline_kernelINS0_14default_configENS1_35radix_sort_onesweep_config_selectorIisEEZZNS1_29radix_sort_onesweep_iterationIS3_Lb0EN6thrust23THRUST_200600_302600_NS10device_ptrIiEESA_NS9_IsEESB_jNS0_19identity_decomposerENS1_16block_id_wrapperIjLb0EEEEE10hipError_tT1_PNSt15iterator_traitsISG_E10value_typeET2_T3_PNSH_ISM_E10value_typeET4_T5_PSR_SS_PNS1_23onesweep_lookback_stateEbbT6_jjT7_P12ihipStream_tbENKUlT_T0_SG_SL_E_clISA_SA_SB_SB_EEDaSZ_S10_SG_SL_EUlSZ_E_NS1_11comp_targetILNS1_3genE2ELNS1_11target_archE906ELNS1_3gpuE6ELNS1_3repE0EEENS1_47radix_sort_onesweep_sort_config_static_selectorELNS0_4arch9wavefront6targetE1EEEvSG_
	.globl	_ZN7rocprim17ROCPRIM_400000_NS6detail17trampoline_kernelINS0_14default_configENS1_35radix_sort_onesweep_config_selectorIisEEZZNS1_29radix_sort_onesweep_iterationIS3_Lb0EN6thrust23THRUST_200600_302600_NS10device_ptrIiEESA_NS9_IsEESB_jNS0_19identity_decomposerENS1_16block_id_wrapperIjLb0EEEEE10hipError_tT1_PNSt15iterator_traitsISG_E10value_typeET2_T3_PNSH_ISM_E10value_typeET4_T5_PSR_SS_PNS1_23onesweep_lookback_stateEbbT6_jjT7_P12ihipStream_tbENKUlT_T0_SG_SL_E_clISA_SA_SB_SB_EEDaSZ_S10_SG_SL_EUlSZ_E_NS1_11comp_targetILNS1_3genE2ELNS1_11target_archE906ELNS1_3gpuE6ELNS1_3repE0EEENS1_47radix_sort_onesweep_sort_config_static_selectorELNS0_4arch9wavefront6targetE1EEEvSG_
	.p2align	8
	.type	_ZN7rocprim17ROCPRIM_400000_NS6detail17trampoline_kernelINS0_14default_configENS1_35radix_sort_onesweep_config_selectorIisEEZZNS1_29radix_sort_onesweep_iterationIS3_Lb0EN6thrust23THRUST_200600_302600_NS10device_ptrIiEESA_NS9_IsEESB_jNS0_19identity_decomposerENS1_16block_id_wrapperIjLb0EEEEE10hipError_tT1_PNSt15iterator_traitsISG_E10value_typeET2_T3_PNSH_ISM_E10value_typeET4_T5_PSR_SS_PNS1_23onesweep_lookback_stateEbbT6_jjT7_P12ihipStream_tbENKUlT_T0_SG_SL_E_clISA_SA_SB_SB_EEDaSZ_S10_SG_SL_EUlSZ_E_NS1_11comp_targetILNS1_3genE2ELNS1_11target_archE906ELNS1_3gpuE6ELNS1_3repE0EEENS1_47radix_sort_onesweep_sort_config_static_selectorELNS0_4arch9wavefront6targetE1EEEvSG_,@function
_ZN7rocprim17ROCPRIM_400000_NS6detail17trampoline_kernelINS0_14default_configENS1_35radix_sort_onesweep_config_selectorIisEEZZNS1_29radix_sort_onesweep_iterationIS3_Lb0EN6thrust23THRUST_200600_302600_NS10device_ptrIiEESA_NS9_IsEESB_jNS0_19identity_decomposerENS1_16block_id_wrapperIjLb0EEEEE10hipError_tT1_PNSt15iterator_traitsISG_E10value_typeET2_T3_PNSH_ISM_E10value_typeET4_T5_PSR_SS_PNS1_23onesweep_lookback_stateEbbT6_jjT7_P12ihipStream_tbENKUlT_T0_SG_SL_E_clISA_SA_SB_SB_EEDaSZ_S10_SG_SL_EUlSZ_E_NS1_11comp_targetILNS1_3genE2ELNS1_11target_archE906ELNS1_3gpuE6ELNS1_3repE0EEENS1_47radix_sort_onesweep_sort_config_static_selectorELNS0_4arch9wavefront6targetE1EEEvSG_: ; @_ZN7rocprim17ROCPRIM_400000_NS6detail17trampoline_kernelINS0_14default_configENS1_35radix_sort_onesweep_config_selectorIisEEZZNS1_29radix_sort_onesweep_iterationIS3_Lb0EN6thrust23THRUST_200600_302600_NS10device_ptrIiEESA_NS9_IsEESB_jNS0_19identity_decomposerENS1_16block_id_wrapperIjLb0EEEEE10hipError_tT1_PNSt15iterator_traitsISG_E10value_typeET2_T3_PNSH_ISM_E10value_typeET4_T5_PSR_SS_PNS1_23onesweep_lookback_stateEbbT6_jjT7_P12ihipStream_tbENKUlT_T0_SG_SL_E_clISA_SA_SB_SB_EEDaSZ_S10_SG_SL_EUlSZ_E_NS1_11comp_targetILNS1_3genE2ELNS1_11target_archE906ELNS1_3gpuE6ELNS1_3repE0EEENS1_47radix_sort_onesweep_sort_config_static_selectorELNS0_4arch9wavefront6targetE1EEEvSG_
; %bb.0:
	.section	.rodata,"a",@progbits
	.p2align	6, 0x0
	.amdhsa_kernel _ZN7rocprim17ROCPRIM_400000_NS6detail17trampoline_kernelINS0_14default_configENS1_35radix_sort_onesweep_config_selectorIisEEZZNS1_29radix_sort_onesweep_iterationIS3_Lb0EN6thrust23THRUST_200600_302600_NS10device_ptrIiEESA_NS9_IsEESB_jNS0_19identity_decomposerENS1_16block_id_wrapperIjLb0EEEEE10hipError_tT1_PNSt15iterator_traitsISG_E10value_typeET2_T3_PNSH_ISM_E10value_typeET4_T5_PSR_SS_PNS1_23onesweep_lookback_stateEbbT6_jjT7_P12ihipStream_tbENKUlT_T0_SG_SL_E_clISA_SA_SB_SB_EEDaSZ_S10_SG_SL_EUlSZ_E_NS1_11comp_targetILNS1_3genE2ELNS1_11target_archE906ELNS1_3gpuE6ELNS1_3repE0EEENS1_47radix_sort_onesweep_sort_config_static_selectorELNS0_4arch9wavefront6targetE1EEEvSG_
		.amdhsa_group_segment_fixed_size 0
		.amdhsa_private_segment_fixed_size 0
		.amdhsa_kernarg_size 88
		.amdhsa_user_sgpr_count 2
		.amdhsa_user_sgpr_dispatch_ptr 0
		.amdhsa_user_sgpr_queue_ptr 0
		.amdhsa_user_sgpr_kernarg_segment_ptr 1
		.amdhsa_user_sgpr_dispatch_id 0
		.amdhsa_user_sgpr_kernarg_preload_length 0
		.amdhsa_user_sgpr_kernarg_preload_offset 0
		.amdhsa_user_sgpr_private_segment_size 0
		.amdhsa_uses_dynamic_stack 0
		.amdhsa_enable_private_segment 0
		.amdhsa_system_sgpr_workgroup_id_x 1
		.amdhsa_system_sgpr_workgroup_id_y 0
		.amdhsa_system_sgpr_workgroup_id_z 0
		.amdhsa_system_sgpr_workgroup_info 0
		.amdhsa_system_vgpr_workitem_id 0
		.amdhsa_next_free_vgpr 1
		.amdhsa_next_free_sgpr 0
		.amdhsa_accum_offset 4
		.amdhsa_reserve_vcc 0
		.amdhsa_float_round_mode_32 0
		.amdhsa_float_round_mode_16_64 0
		.amdhsa_float_denorm_mode_32 3
		.amdhsa_float_denorm_mode_16_64 3
		.amdhsa_dx10_clamp 1
		.amdhsa_ieee_mode 1
		.amdhsa_fp16_overflow 0
		.amdhsa_tg_split 0
		.amdhsa_exception_fp_ieee_invalid_op 0
		.amdhsa_exception_fp_denorm_src 0
		.amdhsa_exception_fp_ieee_div_zero 0
		.amdhsa_exception_fp_ieee_overflow 0
		.amdhsa_exception_fp_ieee_underflow 0
		.amdhsa_exception_fp_ieee_inexact 0
		.amdhsa_exception_int_div_zero 0
	.end_amdhsa_kernel
	.section	.text._ZN7rocprim17ROCPRIM_400000_NS6detail17trampoline_kernelINS0_14default_configENS1_35radix_sort_onesweep_config_selectorIisEEZZNS1_29radix_sort_onesweep_iterationIS3_Lb0EN6thrust23THRUST_200600_302600_NS10device_ptrIiEESA_NS9_IsEESB_jNS0_19identity_decomposerENS1_16block_id_wrapperIjLb0EEEEE10hipError_tT1_PNSt15iterator_traitsISG_E10value_typeET2_T3_PNSH_ISM_E10value_typeET4_T5_PSR_SS_PNS1_23onesweep_lookback_stateEbbT6_jjT7_P12ihipStream_tbENKUlT_T0_SG_SL_E_clISA_SA_SB_SB_EEDaSZ_S10_SG_SL_EUlSZ_E_NS1_11comp_targetILNS1_3genE2ELNS1_11target_archE906ELNS1_3gpuE6ELNS1_3repE0EEENS1_47radix_sort_onesweep_sort_config_static_selectorELNS0_4arch9wavefront6targetE1EEEvSG_,"axG",@progbits,_ZN7rocprim17ROCPRIM_400000_NS6detail17trampoline_kernelINS0_14default_configENS1_35radix_sort_onesweep_config_selectorIisEEZZNS1_29radix_sort_onesweep_iterationIS3_Lb0EN6thrust23THRUST_200600_302600_NS10device_ptrIiEESA_NS9_IsEESB_jNS0_19identity_decomposerENS1_16block_id_wrapperIjLb0EEEEE10hipError_tT1_PNSt15iterator_traitsISG_E10value_typeET2_T3_PNSH_ISM_E10value_typeET4_T5_PSR_SS_PNS1_23onesweep_lookback_stateEbbT6_jjT7_P12ihipStream_tbENKUlT_T0_SG_SL_E_clISA_SA_SB_SB_EEDaSZ_S10_SG_SL_EUlSZ_E_NS1_11comp_targetILNS1_3genE2ELNS1_11target_archE906ELNS1_3gpuE6ELNS1_3repE0EEENS1_47radix_sort_onesweep_sort_config_static_selectorELNS0_4arch9wavefront6targetE1EEEvSG_,comdat
.Lfunc_end2470:
	.size	_ZN7rocprim17ROCPRIM_400000_NS6detail17trampoline_kernelINS0_14default_configENS1_35radix_sort_onesweep_config_selectorIisEEZZNS1_29radix_sort_onesweep_iterationIS3_Lb0EN6thrust23THRUST_200600_302600_NS10device_ptrIiEESA_NS9_IsEESB_jNS0_19identity_decomposerENS1_16block_id_wrapperIjLb0EEEEE10hipError_tT1_PNSt15iterator_traitsISG_E10value_typeET2_T3_PNSH_ISM_E10value_typeET4_T5_PSR_SS_PNS1_23onesweep_lookback_stateEbbT6_jjT7_P12ihipStream_tbENKUlT_T0_SG_SL_E_clISA_SA_SB_SB_EEDaSZ_S10_SG_SL_EUlSZ_E_NS1_11comp_targetILNS1_3genE2ELNS1_11target_archE906ELNS1_3gpuE6ELNS1_3repE0EEENS1_47radix_sort_onesweep_sort_config_static_selectorELNS0_4arch9wavefront6targetE1EEEvSG_, .Lfunc_end2470-_ZN7rocprim17ROCPRIM_400000_NS6detail17trampoline_kernelINS0_14default_configENS1_35radix_sort_onesweep_config_selectorIisEEZZNS1_29radix_sort_onesweep_iterationIS3_Lb0EN6thrust23THRUST_200600_302600_NS10device_ptrIiEESA_NS9_IsEESB_jNS0_19identity_decomposerENS1_16block_id_wrapperIjLb0EEEEE10hipError_tT1_PNSt15iterator_traitsISG_E10value_typeET2_T3_PNSH_ISM_E10value_typeET4_T5_PSR_SS_PNS1_23onesweep_lookback_stateEbbT6_jjT7_P12ihipStream_tbENKUlT_T0_SG_SL_E_clISA_SA_SB_SB_EEDaSZ_S10_SG_SL_EUlSZ_E_NS1_11comp_targetILNS1_3genE2ELNS1_11target_archE906ELNS1_3gpuE6ELNS1_3repE0EEENS1_47radix_sort_onesweep_sort_config_static_selectorELNS0_4arch9wavefront6targetE1EEEvSG_
                                        ; -- End function
	.set _ZN7rocprim17ROCPRIM_400000_NS6detail17trampoline_kernelINS0_14default_configENS1_35radix_sort_onesweep_config_selectorIisEEZZNS1_29radix_sort_onesweep_iterationIS3_Lb0EN6thrust23THRUST_200600_302600_NS10device_ptrIiEESA_NS9_IsEESB_jNS0_19identity_decomposerENS1_16block_id_wrapperIjLb0EEEEE10hipError_tT1_PNSt15iterator_traitsISG_E10value_typeET2_T3_PNSH_ISM_E10value_typeET4_T5_PSR_SS_PNS1_23onesweep_lookback_stateEbbT6_jjT7_P12ihipStream_tbENKUlT_T0_SG_SL_E_clISA_SA_SB_SB_EEDaSZ_S10_SG_SL_EUlSZ_E_NS1_11comp_targetILNS1_3genE2ELNS1_11target_archE906ELNS1_3gpuE6ELNS1_3repE0EEENS1_47radix_sort_onesweep_sort_config_static_selectorELNS0_4arch9wavefront6targetE1EEEvSG_.num_vgpr, 0
	.set _ZN7rocprim17ROCPRIM_400000_NS6detail17trampoline_kernelINS0_14default_configENS1_35radix_sort_onesweep_config_selectorIisEEZZNS1_29radix_sort_onesweep_iterationIS3_Lb0EN6thrust23THRUST_200600_302600_NS10device_ptrIiEESA_NS9_IsEESB_jNS0_19identity_decomposerENS1_16block_id_wrapperIjLb0EEEEE10hipError_tT1_PNSt15iterator_traitsISG_E10value_typeET2_T3_PNSH_ISM_E10value_typeET4_T5_PSR_SS_PNS1_23onesweep_lookback_stateEbbT6_jjT7_P12ihipStream_tbENKUlT_T0_SG_SL_E_clISA_SA_SB_SB_EEDaSZ_S10_SG_SL_EUlSZ_E_NS1_11comp_targetILNS1_3genE2ELNS1_11target_archE906ELNS1_3gpuE6ELNS1_3repE0EEENS1_47radix_sort_onesweep_sort_config_static_selectorELNS0_4arch9wavefront6targetE1EEEvSG_.num_agpr, 0
	.set _ZN7rocprim17ROCPRIM_400000_NS6detail17trampoline_kernelINS0_14default_configENS1_35radix_sort_onesweep_config_selectorIisEEZZNS1_29radix_sort_onesweep_iterationIS3_Lb0EN6thrust23THRUST_200600_302600_NS10device_ptrIiEESA_NS9_IsEESB_jNS0_19identity_decomposerENS1_16block_id_wrapperIjLb0EEEEE10hipError_tT1_PNSt15iterator_traitsISG_E10value_typeET2_T3_PNSH_ISM_E10value_typeET4_T5_PSR_SS_PNS1_23onesweep_lookback_stateEbbT6_jjT7_P12ihipStream_tbENKUlT_T0_SG_SL_E_clISA_SA_SB_SB_EEDaSZ_S10_SG_SL_EUlSZ_E_NS1_11comp_targetILNS1_3genE2ELNS1_11target_archE906ELNS1_3gpuE6ELNS1_3repE0EEENS1_47radix_sort_onesweep_sort_config_static_selectorELNS0_4arch9wavefront6targetE1EEEvSG_.numbered_sgpr, 0
	.set _ZN7rocprim17ROCPRIM_400000_NS6detail17trampoline_kernelINS0_14default_configENS1_35radix_sort_onesweep_config_selectorIisEEZZNS1_29radix_sort_onesweep_iterationIS3_Lb0EN6thrust23THRUST_200600_302600_NS10device_ptrIiEESA_NS9_IsEESB_jNS0_19identity_decomposerENS1_16block_id_wrapperIjLb0EEEEE10hipError_tT1_PNSt15iterator_traitsISG_E10value_typeET2_T3_PNSH_ISM_E10value_typeET4_T5_PSR_SS_PNS1_23onesweep_lookback_stateEbbT6_jjT7_P12ihipStream_tbENKUlT_T0_SG_SL_E_clISA_SA_SB_SB_EEDaSZ_S10_SG_SL_EUlSZ_E_NS1_11comp_targetILNS1_3genE2ELNS1_11target_archE906ELNS1_3gpuE6ELNS1_3repE0EEENS1_47radix_sort_onesweep_sort_config_static_selectorELNS0_4arch9wavefront6targetE1EEEvSG_.num_named_barrier, 0
	.set _ZN7rocprim17ROCPRIM_400000_NS6detail17trampoline_kernelINS0_14default_configENS1_35radix_sort_onesweep_config_selectorIisEEZZNS1_29radix_sort_onesweep_iterationIS3_Lb0EN6thrust23THRUST_200600_302600_NS10device_ptrIiEESA_NS9_IsEESB_jNS0_19identity_decomposerENS1_16block_id_wrapperIjLb0EEEEE10hipError_tT1_PNSt15iterator_traitsISG_E10value_typeET2_T3_PNSH_ISM_E10value_typeET4_T5_PSR_SS_PNS1_23onesweep_lookback_stateEbbT6_jjT7_P12ihipStream_tbENKUlT_T0_SG_SL_E_clISA_SA_SB_SB_EEDaSZ_S10_SG_SL_EUlSZ_E_NS1_11comp_targetILNS1_3genE2ELNS1_11target_archE906ELNS1_3gpuE6ELNS1_3repE0EEENS1_47radix_sort_onesweep_sort_config_static_selectorELNS0_4arch9wavefront6targetE1EEEvSG_.private_seg_size, 0
	.set _ZN7rocprim17ROCPRIM_400000_NS6detail17trampoline_kernelINS0_14default_configENS1_35radix_sort_onesweep_config_selectorIisEEZZNS1_29radix_sort_onesweep_iterationIS3_Lb0EN6thrust23THRUST_200600_302600_NS10device_ptrIiEESA_NS9_IsEESB_jNS0_19identity_decomposerENS1_16block_id_wrapperIjLb0EEEEE10hipError_tT1_PNSt15iterator_traitsISG_E10value_typeET2_T3_PNSH_ISM_E10value_typeET4_T5_PSR_SS_PNS1_23onesweep_lookback_stateEbbT6_jjT7_P12ihipStream_tbENKUlT_T0_SG_SL_E_clISA_SA_SB_SB_EEDaSZ_S10_SG_SL_EUlSZ_E_NS1_11comp_targetILNS1_3genE2ELNS1_11target_archE906ELNS1_3gpuE6ELNS1_3repE0EEENS1_47radix_sort_onesweep_sort_config_static_selectorELNS0_4arch9wavefront6targetE1EEEvSG_.uses_vcc, 0
	.set _ZN7rocprim17ROCPRIM_400000_NS6detail17trampoline_kernelINS0_14default_configENS1_35radix_sort_onesweep_config_selectorIisEEZZNS1_29radix_sort_onesweep_iterationIS3_Lb0EN6thrust23THRUST_200600_302600_NS10device_ptrIiEESA_NS9_IsEESB_jNS0_19identity_decomposerENS1_16block_id_wrapperIjLb0EEEEE10hipError_tT1_PNSt15iterator_traitsISG_E10value_typeET2_T3_PNSH_ISM_E10value_typeET4_T5_PSR_SS_PNS1_23onesweep_lookback_stateEbbT6_jjT7_P12ihipStream_tbENKUlT_T0_SG_SL_E_clISA_SA_SB_SB_EEDaSZ_S10_SG_SL_EUlSZ_E_NS1_11comp_targetILNS1_3genE2ELNS1_11target_archE906ELNS1_3gpuE6ELNS1_3repE0EEENS1_47radix_sort_onesweep_sort_config_static_selectorELNS0_4arch9wavefront6targetE1EEEvSG_.uses_flat_scratch, 0
	.set _ZN7rocprim17ROCPRIM_400000_NS6detail17trampoline_kernelINS0_14default_configENS1_35radix_sort_onesweep_config_selectorIisEEZZNS1_29radix_sort_onesweep_iterationIS3_Lb0EN6thrust23THRUST_200600_302600_NS10device_ptrIiEESA_NS9_IsEESB_jNS0_19identity_decomposerENS1_16block_id_wrapperIjLb0EEEEE10hipError_tT1_PNSt15iterator_traitsISG_E10value_typeET2_T3_PNSH_ISM_E10value_typeET4_T5_PSR_SS_PNS1_23onesweep_lookback_stateEbbT6_jjT7_P12ihipStream_tbENKUlT_T0_SG_SL_E_clISA_SA_SB_SB_EEDaSZ_S10_SG_SL_EUlSZ_E_NS1_11comp_targetILNS1_3genE2ELNS1_11target_archE906ELNS1_3gpuE6ELNS1_3repE0EEENS1_47radix_sort_onesweep_sort_config_static_selectorELNS0_4arch9wavefront6targetE1EEEvSG_.has_dyn_sized_stack, 0
	.set _ZN7rocprim17ROCPRIM_400000_NS6detail17trampoline_kernelINS0_14default_configENS1_35radix_sort_onesweep_config_selectorIisEEZZNS1_29radix_sort_onesweep_iterationIS3_Lb0EN6thrust23THRUST_200600_302600_NS10device_ptrIiEESA_NS9_IsEESB_jNS0_19identity_decomposerENS1_16block_id_wrapperIjLb0EEEEE10hipError_tT1_PNSt15iterator_traitsISG_E10value_typeET2_T3_PNSH_ISM_E10value_typeET4_T5_PSR_SS_PNS1_23onesweep_lookback_stateEbbT6_jjT7_P12ihipStream_tbENKUlT_T0_SG_SL_E_clISA_SA_SB_SB_EEDaSZ_S10_SG_SL_EUlSZ_E_NS1_11comp_targetILNS1_3genE2ELNS1_11target_archE906ELNS1_3gpuE6ELNS1_3repE0EEENS1_47radix_sort_onesweep_sort_config_static_selectorELNS0_4arch9wavefront6targetE1EEEvSG_.has_recursion, 0
	.set _ZN7rocprim17ROCPRIM_400000_NS6detail17trampoline_kernelINS0_14default_configENS1_35radix_sort_onesweep_config_selectorIisEEZZNS1_29radix_sort_onesweep_iterationIS3_Lb0EN6thrust23THRUST_200600_302600_NS10device_ptrIiEESA_NS9_IsEESB_jNS0_19identity_decomposerENS1_16block_id_wrapperIjLb0EEEEE10hipError_tT1_PNSt15iterator_traitsISG_E10value_typeET2_T3_PNSH_ISM_E10value_typeET4_T5_PSR_SS_PNS1_23onesweep_lookback_stateEbbT6_jjT7_P12ihipStream_tbENKUlT_T0_SG_SL_E_clISA_SA_SB_SB_EEDaSZ_S10_SG_SL_EUlSZ_E_NS1_11comp_targetILNS1_3genE2ELNS1_11target_archE906ELNS1_3gpuE6ELNS1_3repE0EEENS1_47radix_sort_onesweep_sort_config_static_selectorELNS0_4arch9wavefront6targetE1EEEvSG_.has_indirect_call, 0
	.section	.AMDGPU.csdata,"",@progbits
; Kernel info:
; codeLenInByte = 0
; TotalNumSgprs: 6
; NumVgprs: 0
; NumAgprs: 0
; TotalNumVgprs: 0
; ScratchSize: 0
; MemoryBound: 0
; FloatMode: 240
; IeeeMode: 1
; LDSByteSize: 0 bytes/workgroup (compile time only)
; SGPRBlocks: 0
; VGPRBlocks: 0
; NumSGPRsForWavesPerEU: 6
; NumVGPRsForWavesPerEU: 1
; AccumOffset: 4
; Occupancy: 8
; WaveLimiterHint : 0
; COMPUTE_PGM_RSRC2:SCRATCH_EN: 0
; COMPUTE_PGM_RSRC2:USER_SGPR: 2
; COMPUTE_PGM_RSRC2:TRAP_HANDLER: 0
; COMPUTE_PGM_RSRC2:TGID_X_EN: 1
; COMPUTE_PGM_RSRC2:TGID_Y_EN: 0
; COMPUTE_PGM_RSRC2:TGID_Z_EN: 0
; COMPUTE_PGM_RSRC2:TIDIG_COMP_CNT: 0
; COMPUTE_PGM_RSRC3_GFX90A:ACCUM_OFFSET: 0
; COMPUTE_PGM_RSRC3_GFX90A:TG_SPLIT: 0
	.section	.text._ZN7rocprim17ROCPRIM_400000_NS6detail17trampoline_kernelINS0_14default_configENS1_35radix_sort_onesweep_config_selectorIisEEZZNS1_29radix_sort_onesweep_iterationIS3_Lb0EN6thrust23THRUST_200600_302600_NS10device_ptrIiEESA_NS9_IsEESB_jNS0_19identity_decomposerENS1_16block_id_wrapperIjLb0EEEEE10hipError_tT1_PNSt15iterator_traitsISG_E10value_typeET2_T3_PNSH_ISM_E10value_typeET4_T5_PSR_SS_PNS1_23onesweep_lookback_stateEbbT6_jjT7_P12ihipStream_tbENKUlT_T0_SG_SL_E_clISA_SA_SB_SB_EEDaSZ_S10_SG_SL_EUlSZ_E_NS1_11comp_targetILNS1_3genE4ELNS1_11target_archE910ELNS1_3gpuE8ELNS1_3repE0EEENS1_47radix_sort_onesweep_sort_config_static_selectorELNS0_4arch9wavefront6targetE1EEEvSG_,"axG",@progbits,_ZN7rocprim17ROCPRIM_400000_NS6detail17trampoline_kernelINS0_14default_configENS1_35radix_sort_onesweep_config_selectorIisEEZZNS1_29radix_sort_onesweep_iterationIS3_Lb0EN6thrust23THRUST_200600_302600_NS10device_ptrIiEESA_NS9_IsEESB_jNS0_19identity_decomposerENS1_16block_id_wrapperIjLb0EEEEE10hipError_tT1_PNSt15iterator_traitsISG_E10value_typeET2_T3_PNSH_ISM_E10value_typeET4_T5_PSR_SS_PNS1_23onesweep_lookback_stateEbbT6_jjT7_P12ihipStream_tbENKUlT_T0_SG_SL_E_clISA_SA_SB_SB_EEDaSZ_S10_SG_SL_EUlSZ_E_NS1_11comp_targetILNS1_3genE4ELNS1_11target_archE910ELNS1_3gpuE8ELNS1_3repE0EEENS1_47radix_sort_onesweep_sort_config_static_selectorELNS0_4arch9wavefront6targetE1EEEvSG_,comdat
	.protected	_ZN7rocprim17ROCPRIM_400000_NS6detail17trampoline_kernelINS0_14default_configENS1_35radix_sort_onesweep_config_selectorIisEEZZNS1_29radix_sort_onesweep_iterationIS3_Lb0EN6thrust23THRUST_200600_302600_NS10device_ptrIiEESA_NS9_IsEESB_jNS0_19identity_decomposerENS1_16block_id_wrapperIjLb0EEEEE10hipError_tT1_PNSt15iterator_traitsISG_E10value_typeET2_T3_PNSH_ISM_E10value_typeET4_T5_PSR_SS_PNS1_23onesweep_lookback_stateEbbT6_jjT7_P12ihipStream_tbENKUlT_T0_SG_SL_E_clISA_SA_SB_SB_EEDaSZ_S10_SG_SL_EUlSZ_E_NS1_11comp_targetILNS1_3genE4ELNS1_11target_archE910ELNS1_3gpuE8ELNS1_3repE0EEENS1_47radix_sort_onesweep_sort_config_static_selectorELNS0_4arch9wavefront6targetE1EEEvSG_ ; -- Begin function _ZN7rocprim17ROCPRIM_400000_NS6detail17trampoline_kernelINS0_14default_configENS1_35radix_sort_onesweep_config_selectorIisEEZZNS1_29radix_sort_onesweep_iterationIS3_Lb0EN6thrust23THRUST_200600_302600_NS10device_ptrIiEESA_NS9_IsEESB_jNS0_19identity_decomposerENS1_16block_id_wrapperIjLb0EEEEE10hipError_tT1_PNSt15iterator_traitsISG_E10value_typeET2_T3_PNSH_ISM_E10value_typeET4_T5_PSR_SS_PNS1_23onesweep_lookback_stateEbbT6_jjT7_P12ihipStream_tbENKUlT_T0_SG_SL_E_clISA_SA_SB_SB_EEDaSZ_S10_SG_SL_EUlSZ_E_NS1_11comp_targetILNS1_3genE4ELNS1_11target_archE910ELNS1_3gpuE8ELNS1_3repE0EEENS1_47radix_sort_onesweep_sort_config_static_selectorELNS0_4arch9wavefront6targetE1EEEvSG_
	.globl	_ZN7rocprim17ROCPRIM_400000_NS6detail17trampoline_kernelINS0_14default_configENS1_35radix_sort_onesweep_config_selectorIisEEZZNS1_29radix_sort_onesweep_iterationIS3_Lb0EN6thrust23THRUST_200600_302600_NS10device_ptrIiEESA_NS9_IsEESB_jNS0_19identity_decomposerENS1_16block_id_wrapperIjLb0EEEEE10hipError_tT1_PNSt15iterator_traitsISG_E10value_typeET2_T3_PNSH_ISM_E10value_typeET4_T5_PSR_SS_PNS1_23onesweep_lookback_stateEbbT6_jjT7_P12ihipStream_tbENKUlT_T0_SG_SL_E_clISA_SA_SB_SB_EEDaSZ_S10_SG_SL_EUlSZ_E_NS1_11comp_targetILNS1_3genE4ELNS1_11target_archE910ELNS1_3gpuE8ELNS1_3repE0EEENS1_47radix_sort_onesweep_sort_config_static_selectorELNS0_4arch9wavefront6targetE1EEEvSG_
	.p2align	8
	.type	_ZN7rocprim17ROCPRIM_400000_NS6detail17trampoline_kernelINS0_14default_configENS1_35radix_sort_onesweep_config_selectorIisEEZZNS1_29radix_sort_onesweep_iterationIS3_Lb0EN6thrust23THRUST_200600_302600_NS10device_ptrIiEESA_NS9_IsEESB_jNS0_19identity_decomposerENS1_16block_id_wrapperIjLb0EEEEE10hipError_tT1_PNSt15iterator_traitsISG_E10value_typeET2_T3_PNSH_ISM_E10value_typeET4_T5_PSR_SS_PNS1_23onesweep_lookback_stateEbbT6_jjT7_P12ihipStream_tbENKUlT_T0_SG_SL_E_clISA_SA_SB_SB_EEDaSZ_S10_SG_SL_EUlSZ_E_NS1_11comp_targetILNS1_3genE4ELNS1_11target_archE910ELNS1_3gpuE8ELNS1_3repE0EEENS1_47radix_sort_onesweep_sort_config_static_selectorELNS0_4arch9wavefront6targetE1EEEvSG_,@function
_ZN7rocprim17ROCPRIM_400000_NS6detail17trampoline_kernelINS0_14default_configENS1_35radix_sort_onesweep_config_selectorIisEEZZNS1_29radix_sort_onesweep_iterationIS3_Lb0EN6thrust23THRUST_200600_302600_NS10device_ptrIiEESA_NS9_IsEESB_jNS0_19identity_decomposerENS1_16block_id_wrapperIjLb0EEEEE10hipError_tT1_PNSt15iterator_traitsISG_E10value_typeET2_T3_PNSH_ISM_E10value_typeET4_T5_PSR_SS_PNS1_23onesweep_lookback_stateEbbT6_jjT7_P12ihipStream_tbENKUlT_T0_SG_SL_E_clISA_SA_SB_SB_EEDaSZ_S10_SG_SL_EUlSZ_E_NS1_11comp_targetILNS1_3genE4ELNS1_11target_archE910ELNS1_3gpuE8ELNS1_3repE0EEENS1_47radix_sort_onesweep_sort_config_static_selectorELNS0_4arch9wavefront6targetE1EEEvSG_: ; @_ZN7rocprim17ROCPRIM_400000_NS6detail17trampoline_kernelINS0_14default_configENS1_35radix_sort_onesweep_config_selectorIisEEZZNS1_29radix_sort_onesweep_iterationIS3_Lb0EN6thrust23THRUST_200600_302600_NS10device_ptrIiEESA_NS9_IsEESB_jNS0_19identity_decomposerENS1_16block_id_wrapperIjLb0EEEEE10hipError_tT1_PNSt15iterator_traitsISG_E10value_typeET2_T3_PNSH_ISM_E10value_typeET4_T5_PSR_SS_PNS1_23onesweep_lookback_stateEbbT6_jjT7_P12ihipStream_tbENKUlT_T0_SG_SL_E_clISA_SA_SB_SB_EEDaSZ_S10_SG_SL_EUlSZ_E_NS1_11comp_targetILNS1_3genE4ELNS1_11target_archE910ELNS1_3gpuE8ELNS1_3repE0EEENS1_47radix_sort_onesweep_sort_config_static_selectorELNS0_4arch9wavefront6targetE1EEEvSG_
; %bb.0:
	.section	.rodata,"a",@progbits
	.p2align	6, 0x0
	.amdhsa_kernel _ZN7rocprim17ROCPRIM_400000_NS6detail17trampoline_kernelINS0_14default_configENS1_35radix_sort_onesweep_config_selectorIisEEZZNS1_29radix_sort_onesweep_iterationIS3_Lb0EN6thrust23THRUST_200600_302600_NS10device_ptrIiEESA_NS9_IsEESB_jNS0_19identity_decomposerENS1_16block_id_wrapperIjLb0EEEEE10hipError_tT1_PNSt15iterator_traitsISG_E10value_typeET2_T3_PNSH_ISM_E10value_typeET4_T5_PSR_SS_PNS1_23onesweep_lookback_stateEbbT6_jjT7_P12ihipStream_tbENKUlT_T0_SG_SL_E_clISA_SA_SB_SB_EEDaSZ_S10_SG_SL_EUlSZ_E_NS1_11comp_targetILNS1_3genE4ELNS1_11target_archE910ELNS1_3gpuE8ELNS1_3repE0EEENS1_47radix_sort_onesweep_sort_config_static_selectorELNS0_4arch9wavefront6targetE1EEEvSG_
		.amdhsa_group_segment_fixed_size 0
		.amdhsa_private_segment_fixed_size 0
		.amdhsa_kernarg_size 88
		.amdhsa_user_sgpr_count 2
		.amdhsa_user_sgpr_dispatch_ptr 0
		.amdhsa_user_sgpr_queue_ptr 0
		.amdhsa_user_sgpr_kernarg_segment_ptr 1
		.amdhsa_user_sgpr_dispatch_id 0
		.amdhsa_user_sgpr_kernarg_preload_length 0
		.amdhsa_user_sgpr_kernarg_preload_offset 0
		.amdhsa_user_sgpr_private_segment_size 0
		.amdhsa_uses_dynamic_stack 0
		.amdhsa_enable_private_segment 0
		.amdhsa_system_sgpr_workgroup_id_x 1
		.amdhsa_system_sgpr_workgroup_id_y 0
		.amdhsa_system_sgpr_workgroup_id_z 0
		.amdhsa_system_sgpr_workgroup_info 0
		.amdhsa_system_vgpr_workitem_id 0
		.amdhsa_next_free_vgpr 1
		.amdhsa_next_free_sgpr 0
		.amdhsa_accum_offset 4
		.amdhsa_reserve_vcc 0
		.amdhsa_float_round_mode_32 0
		.amdhsa_float_round_mode_16_64 0
		.amdhsa_float_denorm_mode_32 3
		.amdhsa_float_denorm_mode_16_64 3
		.amdhsa_dx10_clamp 1
		.amdhsa_ieee_mode 1
		.amdhsa_fp16_overflow 0
		.amdhsa_tg_split 0
		.amdhsa_exception_fp_ieee_invalid_op 0
		.amdhsa_exception_fp_denorm_src 0
		.amdhsa_exception_fp_ieee_div_zero 0
		.amdhsa_exception_fp_ieee_overflow 0
		.amdhsa_exception_fp_ieee_underflow 0
		.amdhsa_exception_fp_ieee_inexact 0
		.amdhsa_exception_int_div_zero 0
	.end_amdhsa_kernel
	.section	.text._ZN7rocprim17ROCPRIM_400000_NS6detail17trampoline_kernelINS0_14default_configENS1_35radix_sort_onesweep_config_selectorIisEEZZNS1_29radix_sort_onesweep_iterationIS3_Lb0EN6thrust23THRUST_200600_302600_NS10device_ptrIiEESA_NS9_IsEESB_jNS0_19identity_decomposerENS1_16block_id_wrapperIjLb0EEEEE10hipError_tT1_PNSt15iterator_traitsISG_E10value_typeET2_T3_PNSH_ISM_E10value_typeET4_T5_PSR_SS_PNS1_23onesweep_lookback_stateEbbT6_jjT7_P12ihipStream_tbENKUlT_T0_SG_SL_E_clISA_SA_SB_SB_EEDaSZ_S10_SG_SL_EUlSZ_E_NS1_11comp_targetILNS1_3genE4ELNS1_11target_archE910ELNS1_3gpuE8ELNS1_3repE0EEENS1_47radix_sort_onesweep_sort_config_static_selectorELNS0_4arch9wavefront6targetE1EEEvSG_,"axG",@progbits,_ZN7rocprim17ROCPRIM_400000_NS6detail17trampoline_kernelINS0_14default_configENS1_35radix_sort_onesweep_config_selectorIisEEZZNS1_29radix_sort_onesweep_iterationIS3_Lb0EN6thrust23THRUST_200600_302600_NS10device_ptrIiEESA_NS9_IsEESB_jNS0_19identity_decomposerENS1_16block_id_wrapperIjLb0EEEEE10hipError_tT1_PNSt15iterator_traitsISG_E10value_typeET2_T3_PNSH_ISM_E10value_typeET4_T5_PSR_SS_PNS1_23onesweep_lookback_stateEbbT6_jjT7_P12ihipStream_tbENKUlT_T0_SG_SL_E_clISA_SA_SB_SB_EEDaSZ_S10_SG_SL_EUlSZ_E_NS1_11comp_targetILNS1_3genE4ELNS1_11target_archE910ELNS1_3gpuE8ELNS1_3repE0EEENS1_47radix_sort_onesweep_sort_config_static_selectorELNS0_4arch9wavefront6targetE1EEEvSG_,comdat
.Lfunc_end2471:
	.size	_ZN7rocprim17ROCPRIM_400000_NS6detail17trampoline_kernelINS0_14default_configENS1_35radix_sort_onesweep_config_selectorIisEEZZNS1_29radix_sort_onesweep_iterationIS3_Lb0EN6thrust23THRUST_200600_302600_NS10device_ptrIiEESA_NS9_IsEESB_jNS0_19identity_decomposerENS1_16block_id_wrapperIjLb0EEEEE10hipError_tT1_PNSt15iterator_traitsISG_E10value_typeET2_T3_PNSH_ISM_E10value_typeET4_T5_PSR_SS_PNS1_23onesweep_lookback_stateEbbT6_jjT7_P12ihipStream_tbENKUlT_T0_SG_SL_E_clISA_SA_SB_SB_EEDaSZ_S10_SG_SL_EUlSZ_E_NS1_11comp_targetILNS1_3genE4ELNS1_11target_archE910ELNS1_3gpuE8ELNS1_3repE0EEENS1_47radix_sort_onesweep_sort_config_static_selectorELNS0_4arch9wavefront6targetE1EEEvSG_, .Lfunc_end2471-_ZN7rocprim17ROCPRIM_400000_NS6detail17trampoline_kernelINS0_14default_configENS1_35radix_sort_onesweep_config_selectorIisEEZZNS1_29radix_sort_onesweep_iterationIS3_Lb0EN6thrust23THRUST_200600_302600_NS10device_ptrIiEESA_NS9_IsEESB_jNS0_19identity_decomposerENS1_16block_id_wrapperIjLb0EEEEE10hipError_tT1_PNSt15iterator_traitsISG_E10value_typeET2_T3_PNSH_ISM_E10value_typeET4_T5_PSR_SS_PNS1_23onesweep_lookback_stateEbbT6_jjT7_P12ihipStream_tbENKUlT_T0_SG_SL_E_clISA_SA_SB_SB_EEDaSZ_S10_SG_SL_EUlSZ_E_NS1_11comp_targetILNS1_3genE4ELNS1_11target_archE910ELNS1_3gpuE8ELNS1_3repE0EEENS1_47radix_sort_onesweep_sort_config_static_selectorELNS0_4arch9wavefront6targetE1EEEvSG_
                                        ; -- End function
	.set _ZN7rocprim17ROCPRIM_400000_NS6detail17trampoline_kernelINS0_14default_configENS1_35radix_sort_onesweep_config_selectorIisEEZZNS1_29radix_sort_onesweep_iterationIS3_Lb0EN6thrust23THRUST_200600_302600_NS10device_ptrIiEESA_NS9_IsEESB_jNS0_19identity_decomposerENS1_16block_id_wrapperIjLb0EEEEE10hipError_tT1_PNSt15iterator_traitsISG_E10value_typeET2_T3_PNSH_ISM_E10value_typeET4_T5_PSR_SS_PNS1_23onesweep_lookback_stateEbbT6_jjT7_P12ihipStream_tbENKUlT_T0_SG_SL_E_clISA_SA_SB_SB_EEDaSZ_S10_SG_SL_EUlSZ_E_NS1_11comp_targetILNS1_3genE4ELNS1_11target_archE910ELNS1_3gpuE8ELNS1_3repE0EEENS1_47radix_sort_onesweep_sort_config_static_selectorELNS0_4arch9wavefront6targetE1EEEvSG_.num_vgpr, 0
	.set _ZN7rocprim17ROCPRIM_400000_NS6detail17trampoline_kernelINS0_14default_configENS1_35radix_sort_onesweep_config_selectorIisEEZZNS1_29radix_sort_onesweep_iterationIS3_Lb0EN6thrust23THRUST_200600_302600_NS10device_ptrIiEESA_NS9_IsEESB_jNS0_19identity_decomposerENS1_16block_id_wrapperIjLb0EEEEE10hipError_tT1_PNSt15iterator_traitsISG_E10value_typeET2_T3_PNSH_ISM_E10value_typeET4_T5_PSR_SS_PNS1_23onesweep_lookback_stateEbbT6_jjT7_P12ihipStream_tbENKUlT_T0_SG_SL_E_clISA_SA_SB_SB_EEDaSZ_S10_SG_SL_EUlSZ_E_NS1_11comp_targetILNS1_3genE4ELNS1_11target_archE910ELNS1_3gpuE8ELNS1_3repE0EEENS1_47radix_sort_onesweep_sort_config_static_selectorELNS0_4arch9wavefront6targetE1EEEvSG_.num_agpr, 0
	.set _ZN7rocprim17ROCPRIM_400000_NS6detail17trampoline_kernelINS0_14default_configENS1_35radix_sort_onesweep_config_selectorIisEEZZNS1_29radix_sort_onesweep_iterationIS3_Lb0EN6thrust23THRUST_200600_302600_NS10device_ptrIiEESA_NS9_IsEESB_jNS0_19identity_decomposerENS1_16block_id_wrapperIjLb0EEEEE10hipError_tT1_PNSt15iterator_traitsISG_E10value_typeET2_T3_PNSH_ISM_E10value_typeET4_T5_PSR_SS_PNS1_23onesweep_lookback_stateEbbT6_jjT7_P12ihipStream_tbENKUlT_T0_SG_SL_E_clISA_SA_SB_SB_EEDaSZ_S10_SG_SL_EUlSZ_E_NS1_11comp_targetILNS1_3genE4ELNS1_11target_archE910ELNS1_3gpuE8ELNS1_3repE0EEENS1_47radix_sort_onesweep_sort_config_static_selectorELNS0_4arch9wavefront6targetE1EEEvSG_.numbered_sgpr, 0
	.set _ZN7rocprim17ROCPRIM_400000_NS6detail17trampoline_kernelINS0_14default_configENS1_35radix_sort_onesweep_config_selectorIisEEZZNS1_29radix_sort_onesweep_iterationIS3_Lb0EN6thrust23THRUST_200600_302600_NS10device_ptrIiEESA_NS9_IsEESB_jNS0_19identity_decomposerENS1_16block_id_wrapperIjLb0EEEEE10hipError_tT1_PNSt15iterator_traitsISG_E10value_typeET2_T3_PNSH_ISM_E10value_typeET4_T5_PSR_SS_PNS1_23onesweep_lookback_stateEbbT6_jjT7_P12ihipStream_tbENKUlT_T0_SG_SL_E_clISA_SA_SB_SB_EEDaSZ_S10_SG_SL_EUlSZ_E_NS1_11comp_targetILNS1_3genE4ELNS1_11target_archE910ELNS1_3gpuE8ELNS1_3repE0EEENS1_47radix_sort_onesweep_sort_config_static_selectorELNS0_4arch9wavefront6targetE1EEEvSG_.num_named_barrier, 0
	.set _ZN7rocprim17ROCPRIM_400000_NS6detail17trampoline_kernelINS0_14default_configENS1_35radix_sort_onesweep_config_selectorIisEEZZNS1_29radix_sort_onesweep_iterationIS3_Lb0EN6thrust23THRUST_200600_302600_NS10device_ptrIiEESA_NS9_IsEESB_jNS0_19identity_decomposerENS1_16block_id_wrapperIjLb0EEEEE10hipError_tT1_PNSt15iterator_traitsISG_E10value_typeET2_T3_PNSH_ISM_E10value_typeET4_T5_PSR_SS_PNS1_23onesweep_lookback_stateEbbT6_jjT7_P12ihipStream_tbENKUlT_T0_SG_SL_E_clISA_SA_SB_SB_EEDaSZ_S10_SG_SL_EUlSZ_E_NS1_11comp_targetILNS1_3genE4ELNS1_11target_archE910ELNS1_3gpuE8ELNS1_3repE0EEENS1_47radix_sort_onesweep_sort_config_static_selectorELNS0_4arch9wavefront6targetE1EEEvSG_.private_seg_size, 0
	.set _ZN7rocprim17ROCPRIM_400000_NS6detail17trampoline_kernelINS0_14default_configENS1_35radix_sort_onesweep_config_selectorIisEEZZNS1_29radix_sort_onesweep_iterationIS3_Lb0EN6thrust23THRUST_200600_302600_NS10device_ptrIiEESA_NS9_IsEESB_jNS0_19identity_decomposerENS1_16block_id_wrapperIjLb0EEEEE10hipError_tT1_PNSt15iterator_traitsISG_E10value_typeET2_T3_PNSH_ISM_E10value_typeET4_T5_PSR_SS_PNS1_23onesweep_lookback_stateEbbT6_jjT7_P12ihipStream_tbENKUlT_T0_SG_SL_E_clISA_SA_SB_SB_EEDaSZ_S10_SG_SL_EUlSZ_E_NS1_11comp_targetILNS1_3genE4ELNS1_11target_archE910ELNS1_3gpuE8ELNS1_3repE0EEENS1_47radix_sort_onesweep_sort_config_static_selectorELNS0_4arch9wavefront6targetE1EEEvSG_.uses_vcc, 0
	.set _ZN7rocprim17ROCPRIM_400000_NS6detail17trampoline_kernelINS0_14default_configENS1_35radix_sort_onesweep_config_selectorIisEEZZNS1_29radix_sort_onesweep_iterationIS3_Lb0EN6thrust23THRUST_200600_302600_NS10device_ptrIiEESA_NS9_IsEESB_jNS0_19identity_decomposerENS1_16block_id_wrapperIjLb0EEEEE10hipError_tT1_PNSt15iterator_traitsISG_E10value_typeET2_T3_PNSH_ISM_E10value_typeET4_T5_PSR_SS_PNS1_23onesweep_lookback_stateEbbT6_jjT7_P12ihipStream_tbENKUlT_T0_SG_SL_E_clISA_SA_SB_SB_EEDaSZ_S10_SG_SL_EUlSZ_E_NS1_11comp_targetILNS1_3genE4ELNS1_11target_archE910ELNS1_3gpuE8ELNS1_3repE0EEENS1_47radix_sort_onesweep_sort_config_static_selectorELNS0_4arch9wavefront6targetE1EEEvSG_.uses_flat_scratch, 0
	.set _ZN7rocprim17ROCPRIM_400000_NS6detail17trampoline_kernelINS0_14default_configENS1_35radix_sort_onesweep_config_selectorIisEEZZNS1_29radix_sort_onesweep_iterationIS3_Lb0EN6thrust23THRUST_200600_302600_NS10device_ptrIiEESA_NS9_IsEESB_jNS0_19identity_decomposerENS1_16block_id_wrapperIjLb0EEEEE10hipError_tT1_PNSt15iterator_traitsISG_E10value_typeET2_T3_PNSH_ISM_E10value_typeET4_T5_PSR_SS_PNS1_23onesweep_lookback_stateEbbT6_jjT7_P12ihipStream_tbENKUlT_T0_SG_SL_E_clISA_SA_SB_SB_EEDaSZ_S10_SG_SL_EUlSZ_E_NS1_11comp_targetILNS1_3genE4ELNS1_11target_archE910ELNS1_3gpuE8ELNS1_3repE0EEENS1_47radix_sort_onesweep_sort_config_static_selectorELNS0_4arch9wavefront6targetE1EEEvSG_.has_dyn_sized_stack, 0
	.set _ZN7rocprim17ROCPRIM_400000_NS6detail17trampoline_kernelINS0_14default_configENS1_35radix_sort_onesweep_config_selectorIisEEZZNS1_29radix_sort_onesweep_iterationIS3_Lb0EN6thrust23THRUST_200600_302600_NS10device_ptrIiEESA_NS9_IsEESB_jNS0_19identity_decomposerENS1_16block_id_wrapperIjLb0EEEEE10hipError_tT1_PNSt15iterator_traitsISG_E10value_typeET2_T3_PNSH_ISM_E10value_typeET4_T5_PSR_SS_PNS1_23onesweep_lookback_stateEbbT6_jjT7_P12ihipStream_tbENKUlT_T0_SG_SL_E_clISA_SA_SB_SB_EEDaSZ_S10_SG_SL_EUlSZ_E_NS1_11comp_targetILNS1_3genE4ELNS1_11target_archE910ELNS1_3gpuE8ELNS1_3repE0EEENS1_47radix_sort_onesweep_sort_config_static_selectorELNS0_4arch9wavefront6targetE1EEEvSG_.has_recursion, 0
	.set _ZN7rocprim17ROCPRIM_400000_NS6detail17trampoline_kernelINS0_14default_configENS1_35radix_sort_onesweep_config_selectorIisEEZZNS1_29radix_sort_onesweep_iterationIS3_Lb0EN6thrust23THRUST_200600_302600_NS10device_ptrIiEESA_NS9_IsEESB_jNS0_19identity_decomposerENS1_16block_id_wrapperIjLb0EEEEE10hipError_tT1_PNSt15iterator_traitsISG_E10value_typeET2_T3_PNSH_ISM_E10value_typeET4_T5_PSR_SS_PNS1_23onesweep_lookback_stateEbbT6_jjT7_P12ihipStream_tbENKUlT_T0_SG_SL_E_clISA_SA_SB_SB_EEDaSZ_S10_SG_SL_EUlSZ_E_NS1_11comp_targetILNS1_3genE4ELNS1_11target_archE910ELNS1_3gpuE8ELNS1_3repE0EEENS1_47radix_sort_onesweep_sort_config_static_selectorELNS0_4arch9wavefront6targetE1EEEvSG_.has_indirect_call, 0
	.section	.AMDGPU.csdata,"",@progbits
; Kernel info:
; codeLenInByte = 0
; TotalNumSgprs: 6
; NumVgprs: 0
; NumAgprs: 0
; TotalNumVgprs: 0
; ScratchSize: 0
; MemoryBound: 0
; FloatMode: 240
; IeeeMode: 1
; LDSByteSize: 0 bytes/workgroup (compile time only)
; SGPRBlocks: 0
; VGPRBlocks: 0
; NumSGPRsForWavesPerEU: 6
; NumVGPRsForWavesPerEU: 1
; AccumOffset: 4
; Occupancy: 8
; WaveLimiterHint : 0
; COMPUTE_PGM_RSRC2:SCRATCH_EN: 0
; COMPUTE_PGM_RSRC2:USER_SGPR: 2
; COMPUTE_PGM_RSRC2:TRAP_HANDLER: 0
; COMPUTE_PGM_RSRC2:TGID_X_EN: 1
; COMPUTE_PGM_RSRC2:TGID_Y_EN: 0
; COMPUTE_PGM_RSRC2:TGID_Z_EN: 0
; COMPUTE_PGM_RSRC2:TIDIG_COMP_CNT: 0
; COMPUTE_PGM_RSRC3_GFX90A:ACCUM_OFFSET: 0
; COMPUTE_PGM_RSRC3_GFX90A:TG_SPLIT: 0
	.section	.text._ZN7rocprim17ROCPRIM_400000_NS6detail17trampoline_kernelINS0_14default_configENS1_35radix_sort_onesweep_config_selectorIisEEZZNS1_29radix_sort_onesweep_iterationIS3_Lb0EN6thrust23THRUST_200600_302600_NS10device_ptrIiEESA_NS9_IsEESB_jNS0_19identity_decomposerENS1_16block_id_wrapperIjLb0EEEEE10hipError_tT1_PNSt15iterator_traitsISG_E10value_typeET2_T3_PNSH_ISM_E10value_typeET4_T5_PSR_SS_PNS1_23onesweep_lookback_stateEbbT6_jjT7_P12ihipStream_tbENKUlT_T0_SG_SL_E_clISA_SA_SB_SB_EEDaSZ_S10_SG_SL_EUlSZ_E_NS1_11comp_targetILNS1_3genE3ELNS1_11target_archE908ELNS1_3gpuE7ELNS1_3repE0EEENS1_47radix_sort_onesweep_sort_config_static_selectorELNS0_4arch9wavefront6targetE1EEEvSG_,"axG",@progbits,_ZN7rocprim17ROCPRIM_400000_NS6detail17trampoline_kernelINS0_14default_configENS1_35radix_sort_onesweep_config_selectorIisEEZZNS1_29radix_sort_onesweep_iterationIS3_Lb0EN6thrust23THRUST_200600_302600_NS10device_ptrIiEESA_NS9_IsEESB_jNS0_19identity_decomposerENS1_16block_id_wrapperIjLb0EEEEE10hipError_tT1_PNSt15iterator_traitsISG_E10value_typeET2_T3_PNSH_ISM_E10value_typeET4_T5_PSR_SS_PNS1_23onesweep_lookback_stateEbbT6_jjT7_P12ihipStream_tbENKUlT_T0_SG_SL_E_clISA_SA_SB_SB_EEDaSZ_S10_SG_SL_EUlSZ_E_NS1_11comp_targetILNS1_3genE3ELNS1_11target_archE908ELNS1_3gpuE7ELNS1_3repE0EEENS1_47radix_sort_onesweep_sort_config_static_selectorELNS0_4arch9wavefront6targetE1EEEvSG_,comdat
	.protected	_ZN7rocprim17ROCPRIM_400000_NS6detail17trampoline_kernelINS0_14default_configENS1_35radix_sort_onesweep_config_selectorIisEEZZNS1_29radix_sort_onesweep_iterationIS3_Lb0EN6thrust23THRUST_200600_302600_NS10device_ptrIiEESA_NS9_IsEESB_jNS0_19identity_decomposerENS1_16block_id_wrapperIjLb0EEEEE10hipError_tT1_PNSt15iterator_traitsISG_E10value_typeET2_T3_PNSH_ISM_E10value_typeET4_T5_PSR_SS_PNS1_23onesweep_lookback_stateEbbT6_jjT7_P12ihipStream_tbENKUlT_T0_SG_SL_E_clISA_SA_SB_SB_EEDaSZ_S10_SG_SL_EUlSZ_E_NS1_11comp_targetILNS1_3genE3ELNS1_11target_archE908ELNS1_3gpuE7ELNS1_3repE0EEENS1_47radix_sort_onesweep_sort_config_static_selectorELNS0_4arch9wavefront6targetE1EEEvSG_ ; -- Begin function _ZN7rocprim17ROCPRIM_400000_NS6detail17trampoline_kernelINS0_14default_configENS1_35radix_sort_onesweep_config_selectorIisEEZZNS1_29radix_sort_onesweep_iterationIS3_Lb0EN6thrust23THRUST_200600_302600_NS10device_ptrIiEESA_NS9_IsEESB_jNS0_19identity_decomposerENS1_16block_id_wrapperIjLb0EEEEE10hipError_tT1_PNSt15iterator_traitsISG_E10value_typeET2_T3_PNSH_ISM_E10value_typeET4_T5_PSR_SS_PNS1_23onesweep_lookback_stateEbbT6_jjT7_P12ihipStream_tbENKUlT_T0_SG_SL_E_clISA_SA_SB_SB_EEDaSZ_S10_SG_SL_EUlSZ_E_NS1_11comp_targetILNS1_3genE3ELNS1_11target_archE908ELNS1_3gpuE7ELNS1_3repE0EEENS1_47radix_sort_onesweep_sort_config_static_selectorELNS0_4arch9wavefront6targetE1EEEvSG_
	.globl	_ZN7rocprim17ROCPRIM_400000_NS6detail17trampoline_kernelINS0_14default_configENS1_35radix_sort_onesweep_config_selectorIisEEZZNS1_29radix_sort_onesweep_iterationIS3_Lb0EN6thrust23THRUST_200600_302600_NS10device_ptrIiEESA_NS9_IsEESB_jNS0_19identity_decomposerENS1_16block_id_wrapperIjLb0EEEEE10hipError_tT1_PNSt15iterator_traitsISG_E10value_typeET2_T3_PNSH_ISM_E10value_typeET4_T5_PSR_SS_PNS1_23onesweep_lookback_stateEbbT6_jjT7_P12ihipStream_tbENKUlT_T0_SG_SL_E_clISA_SA_SB_SB_EEDaSZ_S10_SG_SL_EUlSZ_E_NS1_11comp_targetILNS1_3genE3ELNS1_11target_archE908ELNS1_3gpuE7ELNS1_3repE0EEENS1_47radix_sort_onesweep_sort_config_static_selectorELNS0_4arch9wavefront6targetE1EEEvSG_
	.p2align	8
	.type	_ZN7rocprim17ROCPRIM_400000_NS6detail17trampoline_kernelINS0_14default_configENS1_35radix_sort_onesweep_config_selectorIisEEZZNS1_29radix_sort_onesweep_iterationIS3_Lb0EN6thrust23THRUST_200600_302600_NS10device_ptrIiEESA_NS9_IsEESB_jNS0_19identity_decomposerENS1_16block_id_wrapperIjLb0EEEEE10hipError_tT1_PNSt15iterator_traitsISG_E10value_typeET2_T3_PNSH_ISM_E10value_typeET4_T5_PSR_SS_PNS1_23onesweep_lookback_stateEbbT6_jjT7_P12ihipStream_tbENKUlT_T0_SG_SL_E_clISA_SA_SB_SB_EEDaSZ_S10_SG_SL_EUlSZ_E_NS1_11comp_targetILNS1_3genE3ELNS1_11target_archE908ELNS1_3gpuE7ELNS1_3repE0EEENS1_47radix_sort_onesweep_sort_config_static_selectorELNS0_4arch9wavefront6targetE1EEEvSG_,@function
_ZN7rocprim17ROCPRIM_400000_NS6detail17trampoline_kernelINS0_14default_configENS1_35radix_sort_onesweep_config_selectorIisEEZZNS1_29radix_sort_onesweep_iterationIS3_Lb0EN6thrust23THRUST_200600_302600_NS10device_ptrIiEESA_NS9_IsEESB_jNS0_19identity_decomposerENS1_16block_id_wrapperIjLb0EEEEE10hipError_tT1_PNSt15iterator_traitsISG_E10value_typeET2_T3_PNSH_ISM_E10value_typeET4_T5_PSR_SS_PNS1_23onesweep_lookback_stateEbbT6_jjT7_P12ihipStream_tbENKUlT_T0_SG_SL_E_clISA_SA_SB_SB_EEDaSZ_S10_SG_SL_EUlSZ_E_NS1_11comp_targetILNS1_3genE3ELNS1_11target_archE908ELNS1_3gpuE7ELNS1_3repE0EEENS1_47radix_sort_onesweep_sort_config_static_selectorELNS0_4arch9wavefront6targetE1EEEvSG_: ; @_ZN7rocprim17ROCPRIM_400000_NS6detail17trampoline_kernelINS0_14default_configENS1_35radix_sort_onesweep_config_selectorIisEEZZNS1_29radix_sort_onesweep_iterationIS3_Lb0EN6thrust23THRUST_200600_302600_NS10device_ptrIiEESA_NS9_IsEESB_jNS0_19identity_decomposerENS1_16block_id_wrapperIjLb0EEEEE10hipError_tT1_PNSt15iterator_traitsISG_E10value_typeET2_T3_PNSH_ISM_E10value_typeET4_T5_PSR_SS_PNS1_23onesweep_lookback_stateEbbT6_jjT7_P12ihipStream_tbENKUlT_T0_SG_SL_E_clISA_SA_SB_SB_EEDaSZ_S10_SG_SL_EUlSZ_E_NS1_11comp_targetILNS1_3genE3ELNS1_11target_archE908ELNS1_3gpuE7ELNS1_3repE0EEENS1_47radix_sort_onesweep_sort_config_static_selectorELNS0_4arch9wavefront6targetE1EEEvSG_
; %bb.0:
	.section	.rodata,"a",@progbits
	.p2align	6, 0x0
	.amdhsa_kernel _ZN7rocprim17ROCPRIM_400000_NS6detail17trampoline_kernelINS0_14default_configENS1_35radix_sort_onesweep_config_selectorIisEEZZNS1_29radix_sort_onesweep_iterationIS3_Lb0EN6thrust23THRUST_200600_302600_NS10device_ptrIiEESA_NS9_IsEESB_jNS0_19identity_decomposerENS1_16block_id_wrapperIjLb0EEEEE10hipError_tT1_PNSt15iterator_traitsISG_E10value_typeET2_T3_PNSH_ISM_E10value_typeET4_T5_PSR_SS_PNS1_23onesweep_lookback_stateEbbT6_jjT7_P12ihipStream_tbENKUlT_T0_SG_SL_E_clISA_SA_SB_SB_EEDaSZ_S10_SG_SL_EUlSZ_E_NS1_11comp_targetILNS1_3genE3ELNS1_11target_archE908ELNS1_3gpuE7ELNS1_3repE0EEENS1_47radix_sort_onesweep_sort_config_static_selectorELNS0_4arch9wavefront6targetE1EEEvSG_
		.amdhsa_group_segment_fixed_size 0
		.amdhsa_private_segment_fixed_size 0
		.amdhsa_kernarg_size 88
		.amdhsa_user_sgpr_count 2
		.amdhsa_user_sgpr_dispatch_ptr 0
		.amdhsa_user_sgpr_queue_ptr 0
		.amdhsa_user_sgpr_kernarg_segment_ptr 1
		.amdhsa_user_sgpr_dispatch_id 0
		.amdhsa_user_sgpr_kernarg_preload_length 0
		.amdhsa_user_sgpr_kernarg_preload_offset 0
		.amdhsa_user_sgpr_private_segment_size 0
		.amdhsa_uses_dynamic_stack 0
		.amdhsa_enable_private_segment 0
		.amdhsa_system_sgpr_workgroup_id_x 1
		.amdhsa_system_sgpr_workgroup_id_y 0
		.amdhsa_system_sgpr_workgroup_id_z 0
		.amdhsa_system_sgpr_workgroup_info 0
		.amdhsa_system_vgpr_workitem_id 0
		.amdhsa_next_free_vgpr 1
		.amdhsa_next_free_sgpr 0
		.amdhsa_accum_offset 4
		.amdhsa_reserve_vcc 0
		.amdhsa_float_round_mode_32 0
		.amdhsa_float_round_mode_16_64 0
		.amdhsa_float_denorm_mode_32 3
		.amdhsa_float_denorm_mode_16_64 3
		.amdhsa_dx10_clamp 1
		.amdhsa_ieee_mode 1
		.amdhsa_fp16_overflow 0
		.amdhsa_tg_split 0
		.amdhsa_exception_fp_ieee_invalid_op 0
		.amdhsa_exception_fp_denorm_src 0
		.amdhsa_exception_fp_ieee_div_zero 0
		.amdhsa_exception_fp_ieee_overflow 0
		.amdhsa_exception_fp_ieee_underflow 0
		.amdhsa_exception_fp_ieee_inexact 0
		.amdhsa_exception_int_div_zero 0
	.end_amdhsa_kernel
	.section	.text._ZN7rocprim17ROCPRIM_400000_NS6detail17trampoline_kernelINS0_14default_configENS1_35radix_sort_onesweep_config_selectorIisEEZZNS1_29radix_sort_onesweep_iterationIS3_Lb0EN6thrust23THRUST_200600_302600_NS10device_ptrIiEESA_NS9_IsEESB_jNS0_19identity_decomposerENS1_16block_id_wrapperIjLb0EEEEE10hipError_tT1_PNSt15iterator_traitsISG_E10value_typeET2_T3_PNSH_ISM_E10value_typeET4_T5_PSR_SS_PNS1_23onesweep_lookback_stateEbbT6_jjT7_P12ihipStream_tbENKUlT_T0_SG_SL_E_clISA_SA_SB_SB_EEDaSZ_S10_SG_SL_EUlSZ_E_NS1_11comp_targetILNS1_3genE3ELNS1_11target_archE908ELNS1_3gpuE7ELNS1_3repE0EEENS1_47radix_sort_onesweep_sort_config_static_selectorELNS0_4arch9wavefront6targetE1EEEvSG_,"axG",@progbits,_ZN7rocprim17ROCPRIM_400000_NS6detail17trampoline_kernelINS0_14default_configENS1_35radix_sort_onesweep_config_selectorIisEEZZNS1_29radix_sort_onesweep_iterationIS3_Lb0EN6thrust23THRUST_200600_302600_NS10device_ptrIiEESA_NS9_IsEESB_jNS0_19identity_decomposerENS1_16block_id_wrapperIjLb0EEEEE10hipError_tT1_PNSt15iterator_traitsISG_E10value_typeET2_T3_PNSH_ISM_E10value_typeET4_T5_PSR_SS_PNS1_23onesweep_lookback_stateEbbT6_jjT7_P12ihipStream_tbENKUlT_T0_SG_SL_E_clISA_SA_SB_SB_EEDaSZ_S10_SG_SL_EUlSZ_E_NS1_11comp_targetILNS1_3genE3ELNS1_11target_archE908ELNS1_3gpuE7ELNS1_3repE0EEENS1_47radix_sort_onesweep_sort_config_static_selectorELNS0_4arch9wavefront6targetE1EEEvSG_,comdat
.Lfunc_end2472:
	.size	_ZN7rocprim17ROCPRIM_400000_NS6detail17trampoline_kernelINS0_14default_configENS1_35radix_sort_onesweep_config_selectorIisEEZZNS1_29radix_sort_onesweep_iterationIS3_Lb0EN6thrust23THRUST_200600_302600_NS10device_ptrIiEESA_NS9_IsEESB_jNS0_19identity_decomposerENS1_16block_id_wrapperIjLb0EEEEE10hipError_tT1_PNSt15iterator_traitsISG_E10value_typeET2_T3_PNSH_ISM_E10value_typeET4_T5_PSR_SS_PNS1_23onesweep_lookback_stateEbbT6_jjT7_P12ihipStream_tbENKUlT_T0_SG_SL_E_clISA_SA_SB_SB_EEDaSZ_S10_SG_SL_EUlSZ_E_NS1_11comp_targetILNS1_3genE3ELNS1_11target_archE908ELNS1_3gpuE7ELNS1_3repE0EEENS1_47radix_sort_onesweep_sort_config_static_selectorELNS0_4arch9wavefront6targetE1EEEvSG_, .Lfunc_end2472-_ZN7rocprim17ROCPRIM_400000_NS6detail17trampoline_kernelINS0_14default_configENS1_35radix_sort_onesweep_config_selectorIisEEZZNS1_29radix_sort_onesweep_iterationIS3_Lb0EN6thrust23THRUST_200600_302600_NS10device_ptrIiEESA_NS9_IsEESB_jNS0_19identity_decomposerENS1_16block_id_wrapperIjLb0EEEEE10hipError_tT1_PNSt15iterator_traitsISG_E10value_typeET2_T3_PNSH_ISM_E10value_typeET4_T5_PSR_SS_PNS1_23onesweep_lookback_stateEbbT6_jjT7_P12ihipStream_tbENKUlT_T0_SG_SL_E_clISA_SA_SB_SB_EEDaSZ_S10_SG_SL_EUlSZ_E_NS1_11comp_targetILNS1_3genE3ELNS1_11target_archE908ELNS1_3gpuE7ELNS1_3repE0EEENS1_47radix_sort_onesweep_sort_config_static_selectorELNS0_4arch9wavefront6targetE1EEEvSG_
                                        ; -- End function
	.set _ZN7rocprim17ROCPRIM_400000_NS6detail17trampoline_kernelINS0_14default_configENS1_35radix_sort_onesweep_config_selectorIisEEZZNS1_29radix_sort_onesweep_iterationIS3_Lb0EN6thrust23THRUST_200600_302600_NS10device_ptrIiEESA_NS9_IsEESB_jNS0_19identity_decomposerENS1_16block_id_wrapperIjLb0EEEEE10hipError_tT1_PNSt15iterator_traitsISG_E10value_typeET2_T3_PNSH_ISM_E10value_typeET4_T5_PSR_SS_PNS1_23onesweep_lookback_stateEbbT6_jjT7_P12ihipStream_tbENKUlT_T0_SG_SL_E_clISA_SA_SB_SB_EEDaSZ_S10_SG_SL_EUlSZ_E_NS1_11comp_targetILNS1_3genE3ELNS1_11target_archE908ELNS1_3gpuE7ELNS1_3repE0EEENS1_47radix_sort_onesweep_sort_config_static_selectorELNS0_4arch9wavefront6targetE1EEEvSG_.num_vgpr, 0
	.set _ZN7rocprim17ROCPRIM_400000_NS6detail17trampoline_kernelINS0_14default_configENS1_35radix_sort_onesweep_config_selectorIisEEZZNS1_29radix_sort_onesweep_iterationIS3_Lb0EN6thrust23THRUST_200600_302600_NS10device_ptrIiEESA_NS9_IsEESB_jNS0_19identity_decomposerENS1_16block_id_wrapperIjLb0EEEEE10hipError_tT1_PNSt15iterator_traitsISG_E10value_typeET2_T3_PNSH_ISM_E10value_typeET4_T5_PSR_SS_PNS1_23onesweep_lookback_stateEbbT6_jjT7_P12ihipStream_tbENKUlT_T0_SG_SL_E_clISA_SA_SB_SB_EEDaSZ_S10_SG_SL_EUlSZ_E_NS1_11comp_targetILNS1_3genE3ELNS1_11target_archE908ELNS1_3gpuE7ELNS1_3repE0EEENS1_47radix_sort_onesweep_sort_config_static_selectorELNS0_4arch9wavefront6targetE1EEEvSG_.num_agpr, 0
	.set _ZN7rocprim17ROCPRIM_400000_NS6detail17trampoline_kernelINS0_14default_configENS1_35radix_sort_onesweep_config_selectorIisEEZZNS1_29radix_sort_onesweep_iterationIS3_Lb0EN6thrust23THRUST_200600_302600_NS10device_ptrIiEESA_NS9_IsEESB_jNS0_19identity_decomposerENS1_16block_id_wrapperIjLb0EEEEE10hipError_tT1_PNSt15iterator_traitsISG_E10value_typeET2_T3_PNSH_ISM_E10value_typeET4_T5_PSR_SS_PNS1_23onesweep_lookback_stateEbbT6_jjT7_P12ihipStream_tbENKUlT_T0_SG_SL_E_clISA_SA_SB_SB_EEDaSZ_S10_SG_SL_EUlSZ_E_NS1_11comp_targetILNS1_3genE3ELNS1_11target_archE908ELNS1_3gpuE7ELNS1_3repE0EEENS1_47radix_sort_onesweep_sort_config_static_selectorELNS0_4arch9wavefront6targetE1EEEvSG_.numbered_sgpr, 0
	.set _ZN7rocprim17ROCPRIM_400000_NS6detail17trampoline_kernelINS0_14default_configENS1_35radix_sort_onesweep_config_selectorIisEEZZNS1_29radix_sort_onesweep_iterationIS3_Lb0EN6thrust23THRUST_200600_302600_NS10device_ptrIiEESA_NS9_IsEESB_jNS0_19identity_decomposerENS1_16block_id_wrapperIjLb0EEEEE10hipError_tT1_PNSt15iterator_traitsISG_E10value_typeET2_T3_PNSH_ISM_E10value_typeET4_T5_PSR_SS_PNS1_23onesweep_lookback_stateEbbT6_jjT7_P12ihipStream_tbENKUlT_T0_SG_SL_E_clISA_SA_SB_SB_EEDaSZ_S10_SG_SL_EUlSZ_E_NS1_11comp_targetILNS1_3genE3ELNS1_11target_archE908ELNS1_3gpuE7ELNS1_3repE0EEENS1_47radix_sort_onesweep_sort_config_static_selectorELNS0_4arch9wavefront6targetE1EEEvSG_.num_named_barrier, 0
	.set _ZN7rocprim17ROCPRIM_400000_NS6detail17trampoline_kernelINS0_14default_configENS1_35radix_sort_onesweep_config_selectorIisEEZZNS1_29radix_sort_onesweep_iterationIS3_Lb0EN6thrust23THRUST_200600_302600_NS10device_ptrIiEESA_NS9_IsEESB_jNS0_19identity_decomposerENS1_16block_id_wrapperIjLb0EEEEE10hipError_tT1_PNSt15iterator_traitsISG_E10value_typeET2_T3_PNSH_ISM_E10value_typeET4_T5_PSR_SS_PNS1_23onesweep_lookback_stateEbbT6_jjT7_P12ihipStream_tbENKUlT_T0_SG_SL_E_clISA_SA_SB_SB_EEDaSZ_S10_SG_SL_EUlSZ_E_NS1_11comp_targetILNS1_3genE3ELNS1_11target_archE908ELNS1_3gpuE7ELNS1_3repE0EEENS1_47radix_sort_onesweep_sort_config_static_selectorELNS0_4arch9wavefront6targetE1EEEvSG_.private_seg_size, 0
	.set _ZN7rocprim17ROCPRIM_400000_NS6detail17trampoline_kernelINS0_14default_configENS1_35radix_sort_onesweep_config_selectorIisEEZZNS1_29radix_sort_onesweep_iterationIS3_Lb0EN6thrust23THRUST_200600_302600_NS10device_ptrIiEESA_NS9_IsEESB_jNS0_19identity_decomposerENS1_16block_id_wrapperIjLb0EEEEE10hipError_tT1_PNSt15iterator_traitsISG_E10value_typeET2_T3_PNSH_ISM_E10value_typeET4_T5_PSR_SS_PNS1_23onesweep_lookback_stateEbbT6_jjT7_P12ihipStream_tbENKUlT_T0_SG_SL_E_clISA_SA_SB_SB_EEDaSZ_S10_SG_SL_EUlSZ_E_NS1_11comp_targetILNS1_3genE3ELNS1_11target_archE908ELNS1_3gpuE7ELNS1_3repE0EEENS1_47radix_sort_onesweep_sort_config_static_selectorELNS0_4arch9wavefront6targetE1EEEvSG_.uses_vcc, 0
	.set _ZN7rocprim17ROCPRIM_400000_NS6detail17trampoline_kernelINS0_14default_configENS1_35radix_sort_onesweep_config_selectorIisEEZZNS1_29radix_sort_onesweep_iterationIS3_Lb0EN6thrust23THRUST_200600_302600_NS10device_ptrIiEESA_NS9_IsEESB_jNS0_19identity_decomposerENS1_16block_id_wrapperIjLb0EEEEE10hipError_tT1_PNSt15iterator_traitsISG_E10value_typeET2_T3_PNSH_ISM_E10value_typeET4_T5_PSR_SS_PNS1_23onesweep_lookback_stateEbbT6_jjT7_P12ihipStream_tbENKUlT_T0_SG_SL_E_clISA_SA_SB_SB_EEDaSZ_S10_SG_SL_EUlSZ_E_NS1_11comp_targetILNS1_3genE3ELNS1_11target_archE908ELNS1_3gpuE7ELNS1_3repE0EEENS1_47radix_sort_onesweep_sort_config_static_selectorELNS0_4arch9wavefront6targetE1EEEvSG_.uses_flat_scratch, 0
	.set _ZN7rocprim17ROCPRIM_400000_NS6detail17trampoline_kernelINS0_14default_configENS1_35radix_sort_onesweep_config_selectorIisEEZZNS1_29radix_sort_onesweep_iterationIS3_Lb0EN6thrust23THRUST_200600_302600_NS10device_ptrIiEESA_NS9_IsEESB_jNS0_19identity_decomposerENS1_16block_id_wrapperIjLb0EEEEE10hipError_tT1_PNSt15iterator_traitsISG_E10value_typeET2_T3_PNSH_ISM_E10value_typeET4_T5_PSR_SS_PNS1_23onesweep_lookback_stateEbbT6_jjT7_P12ihipStream_tbENKUlT_T0_SG_SL_E_clISA_SA_SB_SB_EEDaSZ_S10_SG_SL_EUlSZ_E_NS1_11comp_targetILNS1_3genE3ELNS1_11target_archE908ELNS1_3gpuE7ELNS1_3repE0EEENS1_47radix_sort_onesweep_sort_config_static_selectorELNS0_4arch9wavefront6targetE1EEEvSG_.has_dyn_sized_stack, 0
	.set _ZN7rocprim17ROCPRIM_400000_NS6detail17trampoline_kernelINS0_14default_configENS1_35radix_sort_onesweep_config_selectorIisEEZZNS1_29radix_sort_onesweep_iterationIS3_Lb0EN6thrust23THRUST_200600_302600_NS10device_ptrIiEESA_NS9_IsEESB_jNS0_19identity_decomposerENS1_16block_id_wrapperIjLb0EEEEE10hipError_tT1_PNSt15iterator_traitsISG_E10value_typeET2_T3_PNSH_ISM_E10value_typeET4_T5_PSR_SS_PNS1_23onesweep_lookback_stateEbbT6_jjT7_P12ihipStream_tbENKUlT_T0_SG_SL_E_clISA_SA_SB_SB_EEDaSZ_S10_SG_SL_EUlSZ_E_NS1_11comp_targetILNS1_3genE3ELNS1_11target_archE908ELNS1_3gpuE7ELNS1_3repE0EEENS1_47radix_sort_onesweep_sort_config_static_selectorELNS0_4arch9wavefront6targetE1EEEvSG_.has_recursion, 0
	.set _ZN7rocprim17ROCPRIM_400000_NS6detail17trampoline_kernelINS0_14default_configENS1_35radix_sort_onesweep_config_selectorIisEEZZNS1_29radix_sort_onesweep_iterationIS3_Lb0EN6thrust23THRUST_200600_302600_NS10device_ptrIiEESA_NS9_IsEESB_jNS0_19identity_decomposerENS1_16block_id_wrapperIjLb0EEEEE10hipError_tT1_PNSt15iterator_traitsISG_E10value_typeET2_T3_PNSH_ISM_E10value_typeET4_T5_PSR_SS_PNS1_23onesweep_lookback_stateEbbT6_jjT7_P12ihipStream_tbENKUlT_T0_SG_SL_E_clISA_SA_SB_SB_EEDaSZ_S10_SG_SL_EUlSZ_E_NS1_11comp_targetILNS1_3genE3ELNS1_11target_archE908ELNS1_3gpuE7ELNS1_3repE0EEENS1_47radix_sort_onesweep_sort_config_static_selectorELNS0_4arch9wavefront6targetE1EEEvSG_.has_indirect_call, 0
	.section	.AMDGPU.csdata,"",@progbits
; Kernel info:
; codeLenInByte = 0
; TotalNumSgprs: 6
; NumVgprs: 0
; NumAgprs: 0
; TotalNumVgprs: 0
; ScratchSize: 0
; MemoryBound: 0
; FloatMode: 240
; IeeeMode: 1
; LDSByteSize: 0 bytes/workgroup (compile time only)
; SGPRBlocks: 0
; VGPRBlocks: 0
; NumSGPRsForWavesPerEU: 6
; NumVGPRsForWavesPerEU: 1
; AccumOffset: 4
; Occupancy: 8
; WaveLimiterHint : 0
; COMPUTE_PGM_RSRC2:SCRATCH_EN: 0
; COMPUTE_PGM_RSRC2:USER_SGPR: 2
; COMPUTE_PGM_RSRC2:TRAP_HANDLER: 0
; COMPUTE_PGM_RSRC2:TGID_X_EN: 1
; COMPUTE_PGM_RSRC2:TGID_Y_EN: 0
; COMPUTE_PGM_RSRC2:TGID_Z_EN: 0
; COMPUTE_PGM_RSRC2:TIDIG_COMP_CNT: 0
; COMPUTE_PGM_RSRC3_GFX90A:ACCUM_OFFSET: 0
; COMPUTE_PGM_RSRC3_GFX90A:TG_SPLIT: 0
	.section	.text._ZN7rocprim17ROCPRIM_400000_NS6detail17trampoline_kernelINS0_14default_configENS1_35radix_sort_onesweep_config_selectorIisEEZZNS1_29radix_sort_onesweep_iterationIS3_Lb0EN6thrust23THRUST_200600_302600_NS10device_ptrIiEESA_NS9_IsEESB_jNS0_19identity_decomposerENS1_16block_id_wrapperIjLb0EEEEE10hipError_tT1_PNSt15iterator_traitsISG_E10value_typeET2_T3_PNSH_ISM_E10value_typeET4_T5_PSR_SS_PNS1_23onesweep_lookback_stateEbbT6_jjT7_P12ihipStream_tbENKUlT_T0_SG_SL_E_clISA_SA_SB_SB_EEDaSZ_S10_SG_SL_EUlSZ_E_NS1_11comp_targetILNS1_3genE10ELNS1_11target_archE1201ELNS1_3gpuE5ELNS1_3repE0EEENS1_47radix_sort_onesweep_sort_config_static_selectorELNS0_4arch9wavefront6targetE1EEEvSG_,"axG",@progbits,_ZN7rocprim17ROCPRIM_400000_NS6detail17trampoline_kernelINS0_14default_configENS1_35radix_sort_onesweep_config_selectorIisEEZZNS1_29radix_sort_onesweep_iterationIS3_Lb0EN6thrust23THRUST_200600_302600_NS10device_ptrIiEESA_NS9_IsEESB_jNS0_19identity_decomposerENS1_16block_id_wrapperIjLb0EEEEE10hipError_tT1_PNSt15iterator_traitsISG_E10value_typeET2_T3_PNSH_ISM_E10value_typeET4_T5_PSR_SS_PNS1_23onesweep_lookback_stateEbbT6_jjT7_P12ihipStream_tbENKUlT_T0_SG_SL_E_clISA_SA_SB_SB_EEDaSZ_S10_SG_SL_EUlSZ_E_NS1_11comp_targetILNS1_3genE10ELNS1_11target_archE1201ELNS1_3gpuE5ELNS1_3repE0EEENS1_47radix_sort_onesweep_sort_config_static_selectorELNS0_4arch9wavefront6targetE1EEEvSG_,comdat
	.protected	_ZN7rocprim17ROCPRIM_400000_NS6detail17trampoline_kernelINS0_14default_configENS1_35radix_sort_onesweep_config_selectorIisEEZZNS1_29radix_sort_onesweep_iterationIS3_Lb0EN6thrust23THRUST_200600_302600_NS10device_ptrIiEESA_NS9_IsEESB_jNS0_19identity_decomposerENS1_16block_id_wrapperIjLb0EEEEE10hipError_tT1_PNSt15iterator_traitsISG_E10value_typeET2_T3_PNSH_ISM_E10value_typeET4_T5_PSR_SS_PNS1_23onesweep_lookback_stateEbbT6_jjT7_P12ihipStream_tbENKUlT_T0_SG_SL_E_clISA_SA_SB_SB_EEDaSZ_S10_SG_SL_EUlSZ_E_NS1_11comp_targetILNS1_3genE10ELNS1_11target_archE1201ELNS1_3gpuE5ELNS1_3repE0EEENS1_47radix_sort_onesweep_sort_config_static_selectorELNS0_4arch9wavefront6targetE1EEEvSG_ ; -- Begin function _ZN7rocprim17ROCPRIM_400000_NS6detail17trampoline_kernelINS0_14default_configENS1_35radix_sort_onesweep_config_selectorIisEEZZNS1_29radix_sort_onesweep_iterationIS3_Lb0EN6thrust23THRUST_200600_302600_NS10device_ptrIiEESA_NS9_IsEESB_jNS0_19identity_decomposerENS1_16block_id_wrapperIjLb0EEEEE10hipError_tT1_PNSt15iterator_traitsISG_E10value_typeET2_T3_PNSH_ISM_E10value_typeET4_T5_PSR_SS_PNS1_23onesweep_lookback_stateEbbT6_jjT7_P12ihipStream_tbENKUlT_T0_SG_SL_E_clISA_SA_SB_SB_EEDaSZ_S10_SG_SL_EUlSZ_E_NS1_11comp_targetILNS1_3genE10ELNS1_11target_archE1201ELNS1_3gpuE5ELNS1_3repE0EEENS1_47radix_sort_onesweep_sort_config_static_selectorELNS0_4arch9wavefront6targetE1EEEvSG_
	.globl	_ZN7rocprim17ROCPRIM_400000_NS6detail17trampoline_kernelINS0_14default_configENS1_35radix_sort_onesweep_config_selectorIisEEZZNS1_29radix_sort_onesweep_iterationIS3_Lb0EN6thrust23THRUST_200600_302600_NS10device_ptrIiEESA_NS9_IsEESB_jNS0_19identity_decomposerENS1_16block_id_wrapperIjLb0EEEEE10hipError_tT1_PNSt15iterator_traitsISG_E10value_typeET2_T3_PNSH_ISM_E10value_typeET4_T5_PSR_SS_PNS1_23onesweep_lookback_stateEbbT6_jjT7_P12ihipStream_tbENKUlT_T0_SG_SL_E_clISA_SA_SB_SB_EEDaSZ_S10_SG_SL_EUlSZ_E_NS1_11comp_targetILNS1_3genE10ELNS1_11target_archE1201ELNS1_3gpuE5ELNS1_3repE0EEENS1_47radix_sort_onesweep_sort_config_static_selectorELNS0_4arch9wavefront6targetE1EEEvSG_
	.p2align	8
	.type	_ZN7rocprim17ROCPRIM_400000_NS6detail17trampoline_kernelINS0_14default_configENS1_35radix_sort_onesweep_config_selectorIisEEZZNS1_29radix_sort_onesweep_iterationIS3_Lb0EN6thrust23THRUST_200600_302600_NS10device_ptrIiEESA_NS9_IsEESB_jNS0_19identity_decomposerENS1_16block_id_wrapperIjLb0EEEEE10hipError_tT1_PNSt15iterator_traitsISG_E10value_typeET2_T3_PNSH_ISM_E10value_typeET4_T5_PSR_SS_PNS1_23onesweep_lookback_stateEbbT6_jjT7_P12ihipStream_tbENKUlT_T0_SG_SL_E_clISA_SA_SB_SB_EEDaSZ_S10_SG_SL_EUlSZ_E_NS1_11comp_targetILNS1_3genE10ELNS1_11target_archE1201ELNS1_3gpuE5ELNS1_3repE0EEENS1_47radix_sort_onesweep_sort_config_static_selectorELNS0_4arch9wavefront6targetE1EEEvSG_,@function
_ZN7rocprim17ROCPRIM_400000_NS6detail17trampoline_kernelINS0_14default_configENS1_35radix_sort_onesweep_config_selectorIisEEZZNS1_29radix_sort_onesweep_iterationIS3_Lb0EN6thrust23THRUST_200600_302600_NS10device_ptrIiEESA_NS9_IsEESB_jNS0_19identity_decomposerENS1_16block_id_wrapperIjLb0EEEEE10hipError_tT1_PNSt15iterator_traitsISG_E10value_typeET2_T3_PNSH_ISM_E10value_typeET4_T5_PSR_SS_PNS1_23onesweep_lookback_stateEbbT6_jjT7_P12ihipStream_tbENKUlT_T0_SG_SL_E_clISA_SA_SB_SB_EEDaSZ_S10_SG_SL_EUlSZ_E_NS1_11comp_targetILNS1_3genE10ELNS1_11target_archE1201ELNS1_3gpuE5ELNS1_3repE0EEENS1_47radix_sort_onesweep_sort_config_static_selectorELNS0_4arch9wavefront6targetE1EEEvSG_: ; @_ZN7rocprim17ROCPRIM_400000_NS6detail17trampoline_kernelINS0_14default_configENS1_35radix_sort_onesweep_config_selectorIisEEZZNS1_29radix_sort_onesweep_iterationIS3_Lb0EN6thrust23THRUST_200600_302600_NS10device_ptrIiEESA_NS9_IsEESB_jNS0_19identity_decomposerENS1_16block_id_wrapperIjLb0EEEEE10hipError_tT1_PNSt15iterator_traitsISG_E10value_typeET2_T3_PNSH_ISM_E10value_typeET4_T5_PSR_SS_PNS1_23onesweep_lookback_stateEbbT6_jjT7_P12ihipStream_tbENKUlT_T0_SG_SL_E_clISA_SA_SB_SB_EEDaSZ_S10_SG_SL_EUlSZ_E_NS1_11comp_targetILNS1_3genE10ELNS1_11target_archE1201ELNS1_3gpuE5ELNS1_3repE0EEENS1_47radix_sort_onesweep_sort_config_static_selectorELNS0_4arch9wavefront6targetE1EEEvSG_
; %bb.0:
	.section	.rodata,"a",@progbits
	.p2align	6, 0x0
	.amdhsa_kernel _ZN7rocprim17ROCPRIM_400000_NS6detail17trampoline_kernelINS0_14default_configENS1_35radix_sort_onesweep_config_selectorIisEEZZNS1_29radix_sort_onesweep_iterationIS3_Lb0EN6thrust23THRUST_200600_302600_NS10device_ptrIiEESA_NS9_IsEESB_jNS0_19identity_decomposerENS1_16block_id_wrapperIjLb0EEEEE10hipError_tT1_PNSt15iterator_traitsISG_E10value_typeET2_T3_PNSH_ISM_E10value_typeET4_T5_PSR_SS_PNS1_23onesweep_lookback_stateEbbT6_jjT7_P12ihipStream_tbENKUlT_T0_SG_SL_E_clISA_SA_SB_SB_EEDaSZ_S10_SG_SL_EUlSZ_E_NS1_11comp_targetILNS1_3genE10ELNS1_11target_archE1201ELNS1_3gpuE5ELNS1_3repE0EEENS1_47radix_sort_onesweep_sort_config_static_selectorELNS0_4arch9wavefront6targetE1EEEvSG_
		.amdhsa_group_segment_fixed_size 0
		.amdhsa_private_segment_fixed_size 0
		.amdhsa_kernarg_size 88
		.amdhsa_user_sgpr_count 2
		.amdhsa_user_sgpr_dispatch_ptr 0
		.amdhsa_user_sgpr_queue_ptr 0
		.amdhsa_user_sgpr_kernarg_segment_ptr 1
		.amdhsa_user_sgpr_dispatch_id 0
		.amdhsa_user_sgpr_kernarg_preload_length 0
		.amdhsa_user_sgpr_kernarg_preload_offset 0
		.amdhsa_user_sgpr_private_segment_size 0
		.amdhsa_uses_dynamic_stack 0
		.amdhsa_enable_private_segment 0
		.amdhsa_system_sgpr_workgroup_id_x 1
		.amdhsa_system_sgpr_workgroup_id_y 0
		.amdhsa_system_sgpr_workgroup_id_z 0
		.amdhsa_system_sgpr_workgroup_info 0
		.amdhsa_system_vgpr_workitem_id 0
		.amdhsa_next_free_vgpr 1
		.amdhsa_next_free_sgpr 0
		.amdhsa_accum_offset 4
		.amdhsa_reserve_vcc 0
		.amdhsa_float_round_mode_32 0
		.amdhsa_float_round_mode_16_64 0
		.amdhsa_float_denorm_mode_32 3
		.amdhsa_float_denorm_mode_16_64 3
		.amdhsa_dx10_clamp 1
		.amdhsa_ieee_mode 1
		.amdhsa_fp16_overflow 0
		.amdhsa_tg_split 0
		.amdhsa_exception_fp_ieee_invalid_op 0
		.amdhsa_exception_fp_denorm_src 0
		.amdhsa_exception_fp_ieee_div_zero 0
		.amdhsa_exception_fp_ieee_overflow 0
		.amdhsa_exception_fp_ieee_underflow 0
		.amdhsa_exception_fp_ieee_inexact 0
		.amdhsa_exception_int_div_zero 0
	.end_amdhsa_kernel
	.section	.text._ZN7rocprim17ROCPRIM_400000_NS6detail17trampoline_kernelINS0_14default_configENS1_35radix_sort_onesweep_config_selectorIisEEZZNS1_29radix_sort_onesweep_iterationIS3_Lb0EN6thrust23THRUST_200600_302600_NS10device_ptrIiEESA_NS9_IsEESB_jNS0_19identity_decomposerENS1_16block_id_wrapperIjLb0EEEEE10hipError_tT1_PNSt15iterator_traitsISG_E10value_typeET2_T3_PNSH_ISM_E10value_typeET4_T5_PSR_SS_PNS1_23onesweep_lookback_stateEbbT6_jjT7_P12ihipStream_tbENKUlT_T0_SG_SL_E_clISA_SA_SB_SB_EEDaSZ_S10_SG_SL_EUlSZ_E_NS1_11comp_targetILNS1_3genE10ELNS1_11target_archE1201ELNS1_3gpuE5ELNS1_3repE0EEENS1_47radix_sort_onesweep_sort_config_static_selectorELNS0_4arch9wavefront6targetE1EEEvSG_,"axG",@progbits,_ZN7rocprim17ROCPRIM_400000_NS6detail17trampoline_kernelINS0_14default_configENS1_35radix_sort_onesweep_config_selectorIisEEZZNS1_29radix_sort_onesweep_iterationIS3_Lb0EN6thrust23THRUST_200600_302600_NS10device_ptrIiEESA_NS9_IsEESB_jNS0_19identity_decomposerENS1_16block_id_wrapperIjLb0EEEEE10hipError_tT1_PNSt15iterator_traitsISG_E10value_typeET2_T3_PNSH_ISM_E10value_typeET4_T5_PSR_SS_PNS1_23onesweep_lookback_stateEbbT6_jjT7_P12ihipStream_tbENKUlT_T0_SG_SL_E_clISA_SA_SB_SB_EEDaSZ_S10_SG_SL_EUlSZ_E_NS1_11comp_targetILNS1_3genE10ELNS1_11target_archE1201ELNS1_3gpuE5ELNS1_3repE0EEENS1_47radix_sort_onesweep_sort_config_static_selectorELNS0_4arch9wavefront6targetE1EEEvSG_,comdat
.Lfunc_end2473:
	.size	_ZN7rocprim17ROCPRIM_400000_NS6detail17trampoline_kernelINS0_14default_configENS1_35radix_sort_onesweep_config_selectorIisEEZZNS1_29radix_sort_onesweep_iterationIS3_Lb0EN6thrust23THRUST_200600_302600_NS10device_ptrIiEESA_NS9_IsEESB_jNS0_19identity_decomposerENS1_16block_id_wrapperIjLb0EEEEE10hipError_tT1_PNSt15iterator_traitsISG_E10value_typeET2_T3_PNSH_ISM_E10value_typeET4_T5_PSR_SS_PNS1_23onesweep_lookback_stateEbbT6_jjT7_P12ihipStream_tbENKUlT_T0_SG_SL_E_clISA_SA_SB_SB_EEDaSZ_S10_SG_SL_EUlSZ_E_NS1_11comp_targetILNS1_3genE10ELNS1_11target_archE1201ELNS1_3gpuE5ELNS1_3repE0EEENS1_47radix_sort_onesweep_sort_config_static_selectorELNS0_4arch9wavefront6targetE1EEEvSG_, .Lfunc_end2473-_ZN7rocprim17ROCPRIM_400000_NS6detail17trampoline_kernelINS0_14default_configENS1_35radix_sort_onesweep_config_selectorIisEEZZNS1_29radix_sort_onesweep_iterationIS3_Lb0EN6thrust23THRUST_200600_302600_NS10device_ptrIiEESA_NS9_IsEESB_jNS0_19identity_decomposerENS1_16block_id_wrapperIjLb0EEEEE10hipError_tT1_PNSt15iterator_traitsISG_E10value_typeET2_T3_PNSH_ISM_E10value_typeET4_T5_PSR_SS_PNS1_23onesweep_lookback_stateEbbT6_jjT7_P12ihipStream_tbENKUlT_T0_SG_SL_E_clISA_SA_SB_SB_EEDaSZ_S10_SG_SL_EUlSZ_E_NS1_11comp_targetILNS1_3genE10ELNS1_11target_archE1201ELNS1_3gpuE5ELNS1_3repE0EEENS1_47radix_sort_onesweep_sort_config_static_selectorELNS0_4arch9wavefront6targetE1EEEvSG_
                                        ; -- End function
	.set _ZN7rocprim17ROCPRIM_400000_NS6detail17trampoline_kernelINS0_14default_configENS1_35radix_sort_onesweep_config_selectorIisEEZZNS1_29radix_sort_onesweep_iterationIS3_Lb0EN6thrust23THRUST_200600_302600_NS10device_ptrIiEESA_NS9_IsEESB_jNS0_19identity_decomposerENS1_16block_id_wrapperIjLb0EEEEE10hipError_tT1_PNSt15iterator_traitsISG_E10value_typeET2_T3_PNSH_ISM_E10value_typeET4_T5_PSR_SS_PNS1_23onesweep_lookback_stateEbbT6_jjT7_P12ihipStream_tbENKUlT_T0_SG_SL_E_clISA_SA_SB_SB_EEDaSZ_S10_SG_SL_EUlSZ_E_NS1_11comp_targetILNS1_3genE10ELNS1_11target_archE1201ELNS1_3gpuE5ELNS1_3repE0EEENS1_47radix_sort_onesweep_sort_config_static_selectorELNS0_4arch9wavefront6targetE1EEEvSG_.num_vgpr, 0
	.set _ZN7rocprim17ROCPRIM_400000_NS6detail17trampoline_kernelINS0_14default_configENS1_35radix_sort_onesweep_config_selectorIisEEZZNS1_29radix_sort_onesweep_iterationIS3_Lb0EN6thrust23THRUST_200600_302600_NS10device_ptrIiEESA_NS9_IsEESB_jNS0_19identity_decomposerENS1_16block_id_wrapperIjLb0EEEEE10hipError_tT1_PNSt15iterator_traitsISG_E10value_typeET2_T3_PNSH_ISM_E10value_typeET4_T5_PSR_SS_PNS1_23onesweep_lookback_stateEbbT6_jjT7_P12ihipStream_tbENKUlT_T0_SG_SL_E_clISA_SA_SB_SB_EEDaSZ_S10_SG_SL_EUlSZ_E_NS1_11comp_targetILNS1_3genE10ELNS1_11target_archE1201ELNS1_3gpuE5ELNS1_3repE0EEENS1_47radix_sort_onesweep_sort_config_static_selectorELNS0_4arch9wavefront6targetE1EEEvSG_.num_agpr, 0
	.set _ZN7rocprim17ROCPRIM_400000_NS6detail17trampoline_kernelINS0_14default_configENS1_35radix_sort_onesweep_config_selectorIisEEZZNS1_29radix_sort_onesweep_iterationIS3_Lb0EN6thrust23THRUST_200600_302600_NS10device_ptrIiEESA_NS9_IsEESB_jNS0_19identity_decomposerENS1_16block_id_wrapperIjLb0EEEEE10hipError_tT1_PNSt15iterator_traitsISG_E10value_typeET2_T3_PNSH_ISM_E10value_typeET4_T5_PSR_SS_PNS1_23onesweep_lookback_stateEbbT6_jjT7_P12ihipStream_tbENKUlT_T0_SG_SL_E_clISA_SA_SB_SB_EEDaSZ_S10_SG_SL_EUlSZ_E_NS1_11comp_targetILNS1_3genE10ELNS1_11target_archE1201ELNS1_3gpuE5ELNS1_3repE0EEENS1_47radix_sort_onesweep_sort_config_static_selectorELNS0_4arch9wavefront6targetE1EEEvSG_.numbered_sgpr, 0
	.set _ZN7rocprim17ROCPRIM_400000_NS6detail17trampoline_kernelINS0_14default_configENS1_35radix_sort_onesweep_config_selectorIisEEZZNS1_29radix_sort_onesweep_iterationIS3_Lb0EN6thrust23THRUST_200600_302600_NS10device_ptrIiEESA_NS9_IsEESB_jNS0_19identity_decomposerENS1_16block_id_wrapperIjLb0EEEEE10hipError_tT1_PNSt15iterator_traitsISG_E10value_typeET2_T3_PNSH_ISM_E10value_typeET4_T5_PSR_SS_PNS1_23onesweep_lookback_stateEbbT6_jjT7_P12ihipStream_tbENKUlT_T0_SG_SL_E_clISA_SA_SB_SB_EEDaSZ_S10_SG_SL_EUlSZ_E_NS1_11comp_targetILNS1_3genE10ELNS1_11target_archE1201ELNS1_3gpuE5ELNS1_3repE0EEENS1_47radix_sort_onesweep_sort_config_static_selectorELNS0_4arch9wavefront6targetE1EEEvSG_.num_named_barrier, 0
	.set _ZN7rocprim17ROCPRIM_400000_NS6detail17trampoline_kernelINS0_14default_configENS1_35radix_sort_onesweep_config_selectorIisEEZZNS1_29radix_sort_onesweep_iterationIS3_Lb0EN6thrust23THRUST_200600_302600_NS10device_ptrIiEESA_NS9_IsEESB_jNS0_19identity_decomposerENS1_16block_id_wrapperIjLb0EEEEE10hipError_tT1_PNSt15iterator_traitsISG_E10value_typeET2_T3_PNSH_ISM_E10value_typeET4_T5_PSR_SS_PNS1_23onesweep_lookback_stateEbbT6_jjT7_P12ihipStream_tbENKUlT_T0_SG_SL_E_clISA_SA_SB_SB_EEDaSZ_S10_SG_SL_EUlSZ_E_NS1_11comp_targetILNS1_3genE10ELNS1_11target_archE1201ELNS1_3gpuE5ELNS1_3repE0EEENS1_47radix_sort_onesweep_sort_config_static_selectorELNS0_4arch9wavefront6targetE1EEEvSG_.private_seg_size, 0
	.set _ZN7rocprim17ROCPRIM_400000_NS6detail17trampoline_kernelINS0_14default_configENS1_35radix_sort_onesweep_config_selectorIisEEZZNS1_29radix_sort_onesweep_iterationIS3_Lb0EN6thrust23THRUST_200600_302600_NS10device_ptrIiEESA_NS9_IsEESB_jNS0_19identity_decomposerENS1_16block_id_wrapperIjLb0EEEEE10hipError_tT1_PNSt15iterator_traitsISG_E10value_typeET2_T3_PNSH_ISM_E10value_typeET4_T5_PSR_SS_PNS1_23onesweep_lookback_stateEbbT6_jjT7_P12ihipStream_tbENKUlT_T0_SG_SL_E_clISA_SA_SB_SB_EEDaSZ_S10_SG_SL_EUlSZ_E_NS1_11comp_targetILNS1_3genE10ELNS1_11target_archE1201ELNS1_3gpuE5ELNS1_3repE0EEENS1_47radix_sort_onesweep_sort_config_static_selectorELNS0_4arch9wavefront6targetE1EEEvSG_.uses_vcc, 0
	.set _ZN7rocprim17ROCPRIM_400000_NS6detail17trampoline_kernelINS0_14default_configENS1_35radix_sort_onesweep_config_selectorIisEEZZNS1_29radix_sort_onesweep_iterationIS3_Lb0EN6thrust23THRUST_200600_302600_NS10device_ptrIiEESA_NS9_IsEESB_jNS0_19identity_decomposerENS1_16block_id_wrapperIjLb0EEEEE10hipError_tT1_PNSt15iterator_traitsISG_E10value_typeET2_T3_PNSH_ISM_E10value_typeET4_T5_PSR_SS_PNS1_23onesweep_lookback_stateEbbT6_jjT7_P12ihipStream_tbENKUlT_T0_SG_SL_E_clISA_SA_SB_SB_EEDaSZ_S10_SG_SL_EUlSZ_E_NS1_11comp_targetILNS1_3genE10ELNS1_11target_archE1201ELNS1_3gpuE5ELNS1_3repE0EEENS1_47radix_sort_onesweep_sort_config_static_selectorELNS0_4arch9wavefront6targetE1EEEvSG_.uses_flat_scratch, 0
	.set _ZN7rocprim17ROCPRIM_400000_NS6detail17trampoline_kernelINS0_14default_configENS1_35radix_sort_onesweep_config_selectorIisEEZZNS1_29radix_sort_onesweep_iterationIS3_Lb0EN6thrust23THRUST_200600_302600_NS10device_ptrIiEESA_NS9_IsEESB_jNS0_19identity_decomposerENS1_16block_id_wrapperIjLb0EEEEE10hipError_tT1_PNSt15iterator_traitsISG_E10value_typeET2_T3_PNSH_ISM_E10value_typeET4_T5_PSR_SS_PNS1_23onesweep_lookback_stateEbbT6_jjT7_P12ihipStream_tbENKUlT_T0_SG_SL_E_clISA_SA_SB_SB_EEDaSZ_S10_SG_SL_EUlSZ_E_NS1_11comp_targetILNS1_3genE10ELNS1_11target_archE1201ELNS1_3gpuE5ELNS1_3repE0EEENS1_47radix_sort_onesweep_sort_config_static_selectorELNS0_4arch9wavefront6targetE1EEEvSG_.has_dyn_sized_stack, 0
	.set _ZN7rocprim17ROCPRIM_400000_NS6detail17trampoline_kernelINS0_14default_configENS1_35radix_sort_onesweep_config_selectorIisEEZZNS1_29radix_sort_onesweep_iterationIS3_Lb0EN6thrust23THRUST_200600_302600_NS10device_ptrIiEESA_NS9_IsEESB_jNS0_19identity_decomposerENS1_16block_id_wrapperIjLb0EEEEE10hipError_tT1_PNSt15iterator_traitsISG_E10value_typeET2_T3_PNSH_ISM_E10value_typeET4_T5_PSR_SS_PNS1_23onesweep_lookback_stateEbbT6_jjT7_P12ihipStream_tbENKUlT_T0_SG_SL_E_clISA_SA_SB_SB_EEDaSZ_S10_SG_SL_EUlSZ_E_NS1_11comp_targetILNS1_3genE10ELNS1_11target_archE1201ELNS1_3gpuE5ELNS1_3repE0EEENS1_47radix_sort_onesweep_sort_config_static_selectorELNS0_4arch9wavefront6targetE1EEEvSG_.has_recursion, 0
	.set _ZN7rocprim17ROCPRIM_400000_NS6detail17trampoline_kernelINS0_14default_configENS1_35radix_sort_onesweep_config_selectorIisEEZZNS1_29radix_sort_onesweep_iterationIS3_Lb0EN6thrust23THRUST_200600_302600_NS10device_ptrIiEESA_NS9_IsEESB_jNS0_19identity_decomposerENS1_16block_id_wrapperIjLb0EEEEE10hipError_tT1_PNSt15iterator_traitsISG_E10value_typeET2_T3_PNSH_ISM_E10value_typeET4_T5_PSR_SS_PNS1_23onesweep_lookback_stateEbbT6_jjT7_P12ihipStream_tbENKUlT_T0_SG_SL_E_clISA_SA_SB_SB_EEDaSZ_S10_SG_SL_EUlSZ_E_NS1_11comp_targetILNS1_3genE10ELNS1_11target_archE1201ELNS1_3gpuE5ELNS1_3repE0EEENS1_47radix_sort_onesweep_sort_config_static_selectorELNS0_4arch9wavefront6targetE1EEEvSG_.has_indirect_call, 0
	.section	.AMDGPU.csdata,"",@progbits
; Kernel info:
; codeLenInByte = 0
; TotalNumSgprs: 6
; NumVgprs: 0
; NumAgprs: 0
; TotalNumVgprs: 0
; ScratchSize: 0
; MemoryBound: 0
; FloatMode: 240
; IeeeMode: 1
; LDSByteSize: 0 bytes/workgroup (compile time only)
; SGPRBlocks: 0
; VGPRBlocks: 0
; NumSGPRsForWavesPerEU: 6
; NumVGPRsForWavesPerEU: 1
; AccumOffset: 4
; Occupancy: 8
; WaveLimiterHint : 0
; COMPUTE_PGM_RSRC2:SCRATCH_EN: 0
; COMPUTE_PGM_RSRC2:USER_SGPR: 2
; COMPUTE_PGM_RSRC2:TRAP_HANDLER: 0
; COMPUTE_PGM_RSRC2:TGID_X_EN: 1
; COMPUTE_PGM_RSRC2:TGID_Y_EN: 0
; COMPUTE_PGM_RSRC2:TGID_Z_EN: 0
; COMPUTE_PGM_RSRC2:TIDIG_COMP_CNT: 0
; COMPUTE_PGM_RSRC3_GFX90A:ACCUM_OFFSET: 0
; COMPUTE_PGM_RSRC3_GFX90A:TG_SPLIT: 0
	.section	.text._ZN7rocprim17ROCPRIM_400000_NS6detail17trampoline_kernelINS0_14default_configENS1_35radix_sort_onesweep_config_selectorIisEEZZNS1_29radix_sort_onesweep_iterationIS3_Lb0EN6thrust23THRUST_200600_302600_NS10device_ptrIiEESA_NS9_IsEESB_jNS0_19identity_decomposerENS1_16block_id_wrapperIjLb0EEEEE10hipError_tT1_PNSt15iterator_traitsISG_E10value_typeET2_T3_PNSH_ISM_E10value_typeET4_T5_PSR_SS_PNS1_23onesweep_lookback_stateEbbT6_jjT7_P12ihipStream_tbENKUlT_T0_SG_SL_E_clISA_SA_SB_SB_EEDaSZ_S10_SG_SL_EUlSZ_E_NS1_11comp_targetILNS1_3genE9ELNS1_11target_archE1100ELNS1_3gpuE3ELNS1_3repE0EEENS1_47radix_sort_onesweep_sort_config_static_selectorELNS0_4arch9wavefront6targetE1EEEvSG_,"axG",@progbits,_ZN7rocprim17ROCPRIM_400000_NS6detail17trampoline_kernelINS0_14default_configENS1_35radix_sort_onesweep_config_selectorIisEEZZNS1_29radix_sort_onesweep_iterationIS3_Lb0EN6thrust23THRUST_200600_302600_NS10device_ptrIiEESA_NS9_IsEESB_jNS0_19identity_decomposerENS1_16block_id_wrapperIjLb0EEEEE10hipError_tT1_PNSt15iterator_traitsISG_E10value_typeET2_T3_PNSH_ISM_E10value_typeET4_T5_PSR_SS_PNS1_23onesweep_lookback_stateEbbT6_jjT7_P12ihipStream_tbENKUlT_T0_SG_SL_E_clISA_SA_SB_SB_EEDaSZ_S10_SG_SL_EUlSZ_E_NS1_11comp_targetILNS1_3genE9ELNS1_11target_archE1100ELNS1_3gpuE3ELNS1_3repE0EEENS1_47radix_sort_onesweep_sort_config_static_selectorELNS0_4arch9wavefront6targetE1EEEvSG_,comdat
	.protected	_ZN7rocprim17ROCPRIM_400000_NS6detail17trampoline_kernelINS0_14default_configENS1_35radix_sort_onesweep_config_selectorIisEEZZNS1_29radix_sort_onesweep_iterationIS3_Lb0EN6thrust23THRUST_200600_302600_NS10device_ptrIiEESA_NS9_IsEESB_jNS0_19identity_decomposerENS1_16block_id_wrapperIjLb0EEEEE10hipError_tT1_PNSt15iterator_traitsISG_E10value_typeET2_T3_PNSH_ISM_E10value_typeET4_T5_PSR_SS_PNS1_23onesweep_lookback_stateEbbT6_jjT7_P12ihipStream_tbENKUlT_T0_SG_SL_E_clISA_SA_SB_SB_EEDaSZ_S10_SG_SL_EUlSZ_E_NS1_11comp_targetILNS1_3genE9ELNS1_11target_archE1100ELNS1_3gpuE3ELNS1_3repE0EEENS1_47radix_sort_onesweep_sort_config_static_selectorELNS0_4arch9wavefront6targetE1EEEvSG_ ; -- Begin function _ZN7rocprim17ROCPRIM_400000_NS6detail17trampoline_kernelINS0_14default_configENS1_35radix_sort_onesweep_config_selectorIisEEZZNS1_29radix_sort_onesweep_iterationIS3_Lb0EN6thrust23THRUST_200600_302600_NS10device_ptrIiEESA_NS9_IsEESB_jNS0_19identity_decomposerENS1_16block_id_wrapperIjLb0EEEEE10hipError_tT1_PNSt15iterator_traitsISG_E10value_typeET2_T3_PNSH_ISM_E10value_typeET4_T5_PSR_SS_PNS1_23onesweep_lookback_stateEbbT6_jjT7_P12ihipStream_tbENKUlT_T0_SG_SL_E_clISA_SA_SB_SB_EEDaSZ_S10_SG_SL_EUlSZ_E_NS1_11comp_targetILNS1_3genE9ELNS1_11target_archE1100ELNS1_3gpuE3ELNS1_3repE0EEENS1_47radix_sort_onesweep_sort_config_static_selectorELNS0_4arch9wavefront6targetE1EEEvSG_
	.globl	_ZN7rocprim17ROCPRIM_400000_NS6detail17trampoline_kernelINS0_14default_configENS1_35radix_sort_onesweep_config_selectorIisEEZZNS1_29radix_sort_onesweep_iterationIS3_Lb0EN6thrust23THRUST_200600_302600_NS10device_ptrIiEESA_NS9_IsEESB_jNS0_19identity_decomposerENS1_16block_id_wrapperIjLb0EEEEE10hipError_tT1_PNSt15iterator_traitsISG_E10value_typeET2_T3_PNSH_ISM_E10value_typeET4_T5_PSR_SS_PNS1_23onesweep_lookback_stateEbbT6_jjT7_P12ihipStream_tbENKUlT_T0_SG_SL_E_clISA_SA_SB_SB_EEDaSZ_S10_SG_SL_EUlSZ_E_NS1_11comp_targetILNS1_3genE9ELNS1_11target_archE1100ELNS1_3gpuE3ELNS1_3repE0EEENS1_47radix_sort_onesweep_sort_config_static_selectorELNS0_4arch9wavefront6targetE1EEEvSG_
	.p2align	8
	.type	_ZN7rocprim17ROCPRIM_400000_NS6detail17trampoline_kernelINS0_14default_configENS1_35radix_sort_onesweep_config_selectorIisEEZZNS1_29radix_sort_onesweep_iterationIS3_Lb0EN6thrust23THRUST_200600_302600_NS10device_ptrIiEESA_NS9_IsEESB_jNS0_19identity_decomposerENS1_16block_id_wrapperIjLb0EEEEE10hipError_tT1_PNSt15iterator_traitsISG_E10value_typeET2_T3_PNSH_ISM_E10value_typeET4_T5_PSR_SS_PNS1_23onesweep_lookback_stateEbbT6_jjT7_P12ihipStream_tbENKUlT_T0_SG_SL_E_clISA_SA_SB_SB_EEDaSZ_S10_SG_SL_EUlSZ_E_NS1_11comp_targetILNS1_3genE9ELNS1_11target_archE1100ELNS1_3gpuE3ELNS1_3repE0EEENS1_47radix_sort_onesweep_sort_config_static_selectorELNS0_4arch9wavefront6targetE1EEEvSG_,@function
_ZN7rocprim17ROCPRIM_400000_NS6detail17trampoline_kernelINS0_14default_configENS1_35radix_sort_onesweep_config_selectorIisEEZZNS1_29radix_sort_onesweep_iterationIS3_Lb0EN6thrust23THRUST_200600_302600_NS10device_ptrIiEESA_NS9_IsEESB_jNS0_19identity_decomposerENS1_16block_id_wrapperIjLb0EEEEE10hipError_tT1_PNSt15iterator_traitsISG_E10value_typeET2_T3_PNSH_ISM_E10value_typeET4_T5_PSR_SS_PNS1_23onesweep_lookback_stateEbbT6_jjT7_P12ihipStream_tbENKUlT_T0_SG_SL_E_clISA_SA_SB_SB_EEDaSZ_S10_SG_SL_EUlSZ_E_NS1_11comp_targetILNS1_3genE9ELNS1_11target_archE1100ELNS1_3gpuE3ELNS1_3repE0EEENS1_47radix_sort_onesweep_sort_config_static_selectorELNS0_4arch9wavefront6targetE1EEEvSG_: ; @_ZN7rocprim17ROCPRIM_400000_NS6detail17trampoline_kernelINS0_14default_configENS1_35radix_sort_onesweep_config_selectorIisEEZZNS1_29radix_sort_onesweep_iterationIS3_Lb0EN6thrust23THRUST_200600_302600_NS10device_ptrIiEESA_NS9_IsEESB_jNS0_19identity_decomposerENS1_16block_id_wrapperIjLb0EEEEE10hipError_tT1_PNSt15iterator_traitsISG_E10value_typeET2_T3_PNSH_ISM_E10value_typeET4_T5_PSR_SS_PNS1_23onesweep_lookback_stateEbbT6_jjT7_P12ihipStream_tbENKUlT_T0_SG_SL_E_clISA_SA_SB_SB_EEDaSZ_S10_SG_SL_EUlSZ_E_NS1_11comp_targetILNS1_3genE9ELNS1_11target_archE1100ELNS1_3gpuE3ELNS1_3repE0EEENS1_47radix_sort_onesweep_sort_config_static_selectorELNS0_4arch9wavefront6targetE1EEEvSG_
; %bb.0:
	.section	.rodata,"a",@progbits
	.p2align	6, 0x0
	.amdhsa_kernel _ZN7rocprim17ROCPRIM_400000_NS6detail17trampoline_kernelINS0_14default_configENS1_35radix_sort_onesweep_config_selectorIisEEZZNS1_29radix_sort_onesweep_iterationIS3_Lb0EN6thrust23THRUST_200600_302600_NS10device_ptrIiEESA_NS9_IsEESB_jNS0_19identity_decomposerENS1_16block_id_wrapperIjLb0EEEEE10hipError_tT1_PNSt15iterator_traitsISG_E10value_typeET2_T3_PNSH_ISM_E10value_typeET4_T5_PSR_SS_PNS1_23onesweep_lookback_stateEbbT6_jjT7_P12ihipStream_tbENKUlT_T0_SG_SL_E_clISA_SA_SB_SB_EEDaSZ_S10_SG_SL_EUlSZ_E_NS1_11comp_targetILNS1_3genE9ELNS1_11target_archE1100ELNS1_3gpuE3ELNS1_3repE0EEENS1_47radix_sort_onesweep_sort_config_static_selectorELNS0_4arch9wavefront6targetE1EEEvSG_
		.amdhsa_group_segment_fixed_size 0
		.amdhsa_private_segment_fixed_size 0
		.amdhsa_kernarg_size 88
		.amdhsa_user_sgpr_count 2
		.amdhsa_user_sgpr_dispatch_ptr 0
		.amdhsa_user_sgpr_queue_ptr 0
		.amdhsa_user_sgpr_kernarg_segment_ptr 1
		.amdhsa_user_sgpr_dispatch_id 0
		.amdhsa_user_sgpr_kernarg_preload_length 0
		.amdhsa_user_sgpr_kernarg_preload_offset 0
		.amdhsa_user_sgpr_private_segment_size 0
		.amdhsa_uses_dynamic_stack 0
		.amdhsa_enable_private_segment 0
		.amdhsa_system_sgpr_workgroup_id_x 1
		.amdhsa_system_sgpr_workgroup_id_y 0
		.amdhsa_system_sgpr_workgroup_id_z 0
		.amdhsa_system_sgpr_workgroup_info 0
		.amdhsa_system_vgpr_workitem_id 0
		.amdhsa_next_free_vgpr 1
		.amdhsa_next_free_sgpr 0
		.amdhsa_accum_offset 4
		.amdhsa_reserve_vcc 0
		.amdhsa_float_round_mode_32 0
		.amdhsa_float_round_mode_16_64 0
		.amdhsa_float_denorm_mode_32 3
		.amdhsa_float_denorm_mode_16_64 3
		.amdhsa_dx10_clamp 1
		.amdhsa_ieee_mode 1
		.amdhsa_fp16_overflow 0
		.amdhsa_tg_split 0
		.amdhsa_exception_fp_ieee_invalid_op 0
		.amdhsa_exception_fp_denorm_src 0
		.amdhsa_exception_fp_ieee_div_zero 0
		.amdhsa_exception_fp_ieee_overflow 0
		.amdhsa_exception_fp_ieee_underflow 0
		.amdhsa_exception_fp_ieee_inexact 0
		.amdhsa_exception_int_div_zero 0
	.end_amdhsa_kernel
	.section	.text._ZN7rocprim17ROCPRIM_400000_NS6detail17trampoline_kernelINS0_14default_configENS1_35radix_sort_onesweep_config_selectorIisEEZZNS1_29radix_sort_onesweep_iterationIS3_Lb0EN6thrust23THRUST_200600_302600_NS10device_ptrIiEESA_NS9_IsEESB_jNS0_19identity_decomposerENS1_16block_id_wrapperIjLb0EEEEE10hipError_tT1_PNSt15iterator_traitsISG_E10value_typeET2_T3_PNSH_ISM_E10value_typeET4_T5_PSR_SS_PNS1_23onesweep_lookback_stateEbbT6_jjT7_P12ihipStream_tbENKUlT_T0_SG_SL_E_clISA_SA_SB_SB_EEDaSZ_S10_SG_SL_EUlSZ_E_NS1_11comp_targetILNS1_3genE9ELNS1_11target_archE1100ELNS1_3gpuE3ELNS1_3repE0EEENS1_47radix_sort_onesweep_sort_config_static_selectorELNS0_4arch9wavefront6targetE1EEEvSG_,"axG",@progbits,_ZN7rocprim17ROCPRIM_400000_NS6detail17trampoline_kernelINS0_14default_configENS1_35radix_sort_onesweep_config_selectorIisEEZZNS1_29radix_sort_onesweep_iterationIS3_Lb0EN6thrust23THRUST_200600_302600_NS10device_ptrIiEESA_NS9_IsEESB_jNS0_19identity_decomposerENS1_16block_id_wrapperIjLb0EEEEE10hipError_tT1_PNSt15iterator_traitsISG_E10value_typeET2_T3_PNSH_ISM_E10value_typeET4_T5_PSR_SS_PNS1_23onesweep_lookback_stateEbbT6_jjT7_P12ihipStream_tbENKUlT_T0_SG_SL_E_clISA_SA_SB_SB_EEDaSZ_S10_SG_SL_EUlSZ_E_NS1_11comp_targetILNS1_3genE9ELNS1_11target_archE1100ELNS1_3gpuE3ELNS1_3repE0EEENS1_47radix_sort_onesweep_sort_config_static_selectorELNS0_4arch9wavefront6targetE1EEEvSG_,comdat
.Lfunc_end2474:
	.size	_ZN7rocprim17ROCPRIM_400000_NS6detail17trampoline_kernelINS0_14default_configENS1_35radix_sort_onesweep_config_selectorIisEEZZNS1_29radix_sort_onesweep_iterationIS3_Lb0EN6thrust23THRUST_200600_302600_NS10device_ptrIiEESA_NS9_IsEESB_jNS0_19identity_decomposerENS1_16block_id_wrapperIjLb0EEEEE10hipError_tT1_PNSt15iterator_traitsISG_E10value_typeET2_T3_PNSH_ISM_E10value_typeET4_T5_PSR_SS_PNS1_23onesweep_lookback_stateEbbT6_jjT7_P12ihipStream_tbENKUlT_T0_SG_SL_E_clISA_SA_SB_SB_EEDaSZ_S10_SG_SL_EUlSZ_E_NS1_11comp_targetILNS1_3genE9ELNS1_11target_archE1100ELNS1_3gpuE3ELNS1_3repE0EEENS1_47radix_sort_onesweep_sort_config_static_selectorELNS0_4arch9wavefront6targetE1EEEvSG_, .Lfunc_end2474-_ZN7rocprim17ROCPRIM_400000_NS6detail17trampoline_kernelINS0_14default_configENS1_35radix_sort_onesweep_config_selectorIisEEZZNS1_29radix_sort_onesweep_iterationIS3_Lb0EN6thrust23THRUST_200600_302600_NS10device_ptrIiEESA_NS9_IsEESB_jNS0_19identity_decomposerENS1_16block_id_wrapperIjLb0EEEEE10hipError_tT1_PNSt15iterator_traitsISG_E10value_typeET2_T3_PNSH_ISM_E10value_typeET4_T5_PSR_SS_PNS1_23onesweep_lookback_stateEbbT6_jjT7_P12ihipStream_tbENKUlT_T0_SG_SL_E_clISA_SA_SB_SB_EEDaSZ_S10_SG_SL_EUlSZ_E_NS1_11comp_targetILNS1_3genE9ELNS1_11target_archE1100ELNS1_3gpuE3ELNS1_3repE0EEENS1_47radix_sort_onesweep_sort_config_static_selectorELNS0_4arch9wavefront6targetE1EEEvSG_
                                        ; -- End function
	.set _ZN7rocprim17ROCPRIM_400000_NS6detail17trampoline_kernelINS0_14default_configENS1_35radix_sort_onesweep_config_selectorIisEEZZNS1_29radix_sort_onesweep_iterationIS3_Lb0EN6thrust23THRUST_200600_302600_NS10device_ptrIiEESA_NS9_IsEESB_jNS0_19identity_decomposerENS1_16block_id_wrapperIjLb0EEEEE10hipError_tT1_PNSt15iterator_traitsISG_E10value_typeET2_T3_PNSH_ISM_E10value_typeET4_T5_PSR_SS_PNS1_23onesweep_lookback_stateEbbT6_jjT7_P12ihipStream_tbENKUlT_T0_SG_SL_E_clISA_SA_SB_SB_EEDaSZ_S10_SG_SL_EUlSZ_E_NS1_11comp_targetILNS1_3genE9ELNS1_11target_archE1100ELNS1_3gpuE3ELNS1_3repE0EEENS1_47radix_sort_onesweep_sort_config_static_selectorELNS0_4arch9wavefront6targetE1EEEvSG_.num_vgpr, 0
	.set _ZN7rocprim17ROCPRIM_400000_NS6detail17trampoline_kernelINS0_14default_configENS1_35radix_sort_onesweep_config_selectorIisEEZZNS1_29radix_sort_onesweep_iterationIS3_Lb0EN6thrust23THRUST_200600_302600_NS10device_ptrIiEESA_NS9_IsEESB_jNS0_19identity_decomposerENS1_16block_id_wrapperIjLb0EEEEE10hipError_tT1_PNSt15iterator_traitsISG_E10value_typeET2_T3_PNSH_ISM_E10value_typeET4_T5_PSR_SS_PNS1_23onesweep_lookback_stateEbbT6_jjT7_P12ihipStream_tbENKUlT_T0_SG_SL_E_clISA_SA_SB_SB_EEDaSZ_S10_SG_SL_EUlSZ_E_NS1_11comp_targetILNS1_3genE9ELNS1_11target_archE1100ELNS1_3gpuE3ELNS1_3repE0EEENS1_47radix_sort_onesweep_sort_config_static_selectorELNS0_4arch9wavefront6targetE1EEEvSG_.num_agpr, 0
	.set _ZN7rocprim17ROCPRIM_400000_NS6detail17trampoline_kernelINS0_14default_configENS1_35radix_sort_onesweep_config_selectorIisEEZZNS1_29radix_sort_onesweep_iterationIS3_Lb0EN6thrust23THRUST_200600_302600_NS10device_ptrIiEESA_NS9_IsEESB_jNS0_19identity_decomposerENS1_16block_id_wrapperIjLb0EEEEE10hipError_tT1_PNSt15iterator_traitsISG_E10value_typeET2_T3_PNSH_ISM_E10value_typeET4_T5_PSR_SS_PNS1_23onesweep_lookback_stateEbbT6_jjT7_P12ihipStream_tbENKUlT_T0_SG_SL_E_clISA_SA_SB_SB_EEDaSZ_S10_SG_SL_EUlSZ_E_NS1_11comp_targetILNS1_3genE9ELNS1_11target_archE1100ELNS1_3gpuE3ELNS1_3repE0EEENS1_47radix_sort_onesweep_sort_config_static_selectorELNS0_4arch9wavefront6targetE1EEEvSG_.numbered_sgpr, 0
	.set _ZN7rocprim17ROCPRIM_400000_NS6detail17trampoline_kernelINS0_14default_configENS1_35radix_sort_onesweep_config_selectorIisEEZZNS1_29radix_sort_onesweep_iterationIS3_Lb0EN6thrust23THRUST_200600_302600_NS10device_ptrIiEESA_NS9_IsEESB_jNS0_19identity_decomposerENS1_16block_id_wrapperIjLb0EEEEE10hipError_tT1_PNSt15iterator_traitsISG_E10value_typeET2_T3_PNSH_ISM_E10value_typeET4_T5_PSR_SS_PNS1_23onesweep_lookback_stateEbbT6_jjT7_P12ihipStream_tbENKUlT_T0_SG_SL_E_clISA_SA_SB_SB_EEDaSZ_S10_SG_SL_EUlSZ_E_NS1_11comp_targetILNS1_3genE9ELNS1_11target_archE1100ELNS1_3gpuE3ELNS1_3repE0EEENS1_47radix_sort_onesweep_sort_config_static_selectorELNS0_4arch9wavefront6targetE1EEEvSG_.num_named_barrier, 0
	.set _ZN7rocprim17ROCPRIM_400000_NS6detail17trampoline_kernelINS0_14default_configENS1_35radix_sort_onesweep_config_selectorIisEEZZNS1_29radix_sort_onesweep_iterationIS3_Lb0EN6thrust23THRUST_200600_302600_NS10device_ptrIiEESA_NS9_IsEESB_jNS0_19identity_decomposerENS1_16block_id_wrapperIjLb0EEEEE10hipError_tT1_PNSt15iterator_traitsISG_E10value_typeET2_T3_PNSH_ISM_E10value_typeET4_T5_PSR_SS_PNS1_23onesweep_lookback_stateEbbT6_jjT7_P12ihipStream_tbENKUlT_T0_SG_SL_E_clISA_SA_SB_SB_EEDaSZ_S10_SG_SL_EUlSZ_E_NS1_11comp_targetILNS1_3genE9ELNS1_11target_archE1100ELNS1_3gpuE3ELNS1_3repE0EEENS1_47radix_sort_onesweep_sort_config_static_selectorELNS0_4arch9wavefront6targetE1EEEvSG_.private_seg_size, 0
	.set _ZN7rocprim17ROCPRIM_400000_NS6detail17trampoline_kernelINS0_14default_configENS1_35radix_sort_onesweep_config_selectorIisEEZZNS1_29radix_sort_onesweep_iterationIS3_Lb0EN6thrust23THRUST_200600_302600_NS10device_ptrIiEESA_NS9_IsEESB_jNS0_19identity_decomposerENS1_16block_id_wrapperIjLb0EEEEE10hipError_tT1_PNSt15iterator_traitsISG_E10value_typeET2_T3_PNSH_ISM_E10value_typeET4_T5_PSR_SS_PNS1_23onesweep_lookback_stateEbbT6_jjT7_P12ihipStream_tbENKUlT_T0_SG_SL_E_clISA_SA_SB_SB_EEDaSZ_S10_SG_SL_EUlSZ_E_NS1_11comp_targetILNS1_3genE9ELNS1_11target_archE1100ELNS1_3gpuE3ELNS1_3repE0EEENS1_47radix_sort_onesweep_sort_config_static_selectorELNS0_4arch9wavefront6targetE1EEEvSG_.uses_vcc, 0
	.set _ZN7rocprim17ROCPRIM_400000_NS6detail17trampoline_kernelINS0_14default_configENS1_35radix_sort_onesweep_config_selectorIisEEZZNS1_29radix_sort_onesweep_iterationIS3_Lb0EN6thrust23THRUST_200600_302600_NS10device_ptrIiEESA_NS9_IsEESB_jNS0_19identity_decomposerENS1_16block_id_wrapperIjLb0EEEEE10hipError_tT1_PNSt15iterator_traitsISG_E10value_typeET2_T3_PNSH_ISM_E10value_typeET4_T5_PSR_SS_PNS1_23onesweep_lookback_stateEbbT6_jjT7_P12ihipStream_tbENKUlT_T0_SG_SL_E_clISA_SA_SB_SB_EEDaSZ_S10_SG_SL_EUlSZ_E_NS1_11comp_targetILNS1_3genE9ELNS1_11target_archE1100ELNS1_3gpuE3ELNS1_3repE0EEENS1_47radix_sort_onesweep_sort_config_static_selectorELNS0_4arch9wavefront6targetE1EEEvSG_.uses_flat_scratch, 0
	.set _ZN7rocprim17ROCPRIM_400000_NS6detail17trampoline_kernelINS0_14default_configENS1_35radix_sort_onesweep_config_selectorIisEEZZNS1_29radix_sort_onesweep_iterationIS3_Lb0EN6thrust23THRUST_200600_302600_NS10device_ptrIiEESA_NS9_IsEESB_jNS0_19identity_decomposerENS1_16block_id_wrapperIjLb0EEEEE10hipError_tT1_PNSt15iterator_traitsISG_E10value_typeET2_T3_PNSH_ISM_E10value_typeET4_T5_PSR_SS_PNS1_23onesweep_lookback_stateEbbT6_jjT7_P12ihipStream_tbENKUlT_T0_SG_SL_E_clISA_SA_SB_SB_EEDaSZ_S10_SG_SL_EUlSZ_E_NS1_11comp_targetILNS1_3genE9ELNS1_11target_archE1100ELNS1_3gpuE3ELNS1_3repE0EEENS1_47radix_sort_onesweep_sort_config_static_selectorELNS0_4arch9wavefront6targetE1EEEvSG_.has_dyn_sized_stack, 0
	.set _ZN7rocprim17ROCPRIM_400000_NS6detail17trampoline_kernelINS0_14default_configENS1_35radix_sort_onesweep_config_selectorIisEEZZNS1_29radix_sort_onesweep_iterationIS3_Lb0EN6thrust23THRUST_200600_302600_NS10device_ptrIiEESA_NS9_IsEESB_jNS0_19identity_decomposerENS1_16block_id_wrapperIjLb0EEEEE10hipError_tT1_PNSt15iterator_traitsISG_E10value_typeET2_T3_PNSH_ISM_E10value_typeET4_T5_PSR_SS_PNS1_23onesweep_lookback_stateEbbT6_jjT7_P12ihipStream_tbENKUlT_T0_SG_SL_E_clISA_SA_SB_SB_EEDaSZ_S10_SG_SL_EUlSZ_E_NS1_11comp_targetILNS1_3genE9ELNS1_11target_archE1100ELNS1_3gpuE3ELNS1_3repE0EEENS1_47radix_sort_onesweep_sort_config_static_selectorELNS0_4arch9wavefront6targetE1EEEvSG_.has_recursion, 0
	.set _ZN7rocprim17ROCPRIM_400000_NS6detail17trampoline_kernelINS0_14default_configENS1_35radix_sort_onesweep_config_selectorIisEEZZNS1_29radix_sort_onesweep_iterationIS3_Lb0EN6thrust23THRUST_200600_302600_NS10device_ptrIiEESA_NS9_IsEESB_jNS0_19identity_decomposerENS1_16block_id_wrapperIjLb0EEEEE10hipError_tT1_PNSt15iterator_traitsISG_E10value_typeET2_T3_PNSH_ISM_E10value_typeET4_T5_PSR_SS_PNS1_23onesweep_lookback_stateEbbT6_jjT7_P12ihipStream_tbENKUlT_T0_SG_SL_E_clISA_SA_SB_SB_EEDaSZ_S10_SG_SL_EUlSZ_E_NS1_11comp_targetILNS1_3genE9ELNS1_11target_archE1100ELNS1_3gpuE3ELNS1_3repE0EEENS1_47radix_sort_onesweep_sort_config_static_selectorELNS0_4arch9wavefront6targetE1EEEvSG_.has_indirect_call, 0
	.section	.AMDGPU.csdata,"",@progbits
; Kernel info:
; codeLenInByte = 0
; TotalNumSgprs: 6
; NumVgprs: 0
; NumAgprs: 0
; TotalNumVgprs: 0
; ScratchSize: 0
; MemoryBound: 0
; FloatMode: 240
; IeeeMode: 1
; LDSByteSize: 0 bytes/workgroup (compile time only)
; SGPRBlocks: 0
; VGPRBlocks: 0
; NumSGPRsForWavesPerEU: 6
; NumVGPRsForWavesPerEU: 1
; AccumOffset: 4
; Occupancy: 8
; WaveLimiterHint : 0
; COMPUTE_PGM_RSRC2:SCRATCH_EN: 0
; COMPUTE_PGM_RSRC2:USER_SGPR: 2
; COMPUTE_PGM_RSRC2:TRAP_HANDLER: 0
; COMPUTE_PGM_RSRC2:TGID_X_EN: 1
; COMPUTE_PGM_RSRC2:TGID_Y_EN: 0
; COMPUTE_PGM_RSRC2:TGID_Z_EN: 0
; COMPUTE_PGM_RSRC2:TIDIG_COMP_CNT: 0
; COMPUTE_PGM_RSRC3_GFX90A:ACCUM_OFFSET: 0
; COMPUTE_PGM_RSRC3_GFX90A:TG_SPLIT: 0
	.section	.text._ZN7rocprim17ROCPRIM_400000_NS6detail17trampoline_kernelINS0_14default_configENS1_35radix_sort_onesweep_config_selectorIisEEZZNS1_29radix_sort_onesweep_iterationIS3_Lb0EN6thrust23THRUST_200600_302600_NS10device_ptrIiEESA_NS9_IsEESB_jNS0_19identity_decomposerENS1_16block_id_wrapperIjLb0EEEEE10hipError_tT1_PNSt15iterator_traitsISG_E10value_typeET2_T3_PNSH_ISM_E10value_typeET4_T5_PSR_SS_PNS1_23onesweep_lookback_stateEbbT6_jjT7_P12ihipStream_tbENKUlT_T0_SG_SL_E_clISA_SA_SB_SB_EEDaSZ_S10_SG_SL_EUlSZ_E_NS1_11comp_targetILNS1_3genE8ELNS1_11target_archE1030ELNS1_3gpuE2ELNS1_3repE0EEENS1_47radix_sort_onesweep_sort_config_static_selectorELNS0_4arch9wavefront6targetE1EEEvSG_,"axG",@progbits,_ZN7rocprim17ROCPRIM_400000_NS6detail17trampoline_kernelINS0_14default_configENS1_35radix_sort_onesweep_config_selectorIisEEZZNS1_29radix_sort_onesweep_iterationIS3_Lb0EN6thrust23THRUST_200600_302600_NS10device_ptrIiEESA_NS9_IsEESB_jNS0_19identity_decomposerENS1_16block_id_wrapperIjLb0EEEEE10hipError_tT1_PNSt15iterator_traitsISG_E10value_typeET2_T3_PNSH_ISM_E10value_typeET4_T5_PSR_SS_PNS1_23onesweep_lookback_stateEbbT6_jjT7_P12ihipStream_tbENKUlT_T0_SG_SL_E_clISA_SA_SB_SB_EEDaSZ_S10_SG_SL_EUlSZ_E_NS1_11comp_targetILNS1_3genE8ELNS1_11target_archE1030ELNS1_3gpuE2ELNS1_3repE0EEENS1_47radix_sort_onesweep_sort_config_static_selectorELNS0_4arch9wavefront6targetE1EEEvSG_,comdat
	.protected	_ZN7rocprim17ROCPRIM_400000_NS6detail17trampoline_kernelINS0_14default_configENS1_35radix_sort_onesweep_config_selectorIisEEZZNS1_29radix_sort_onesweep_iterationIS3_Lb0EN6thrust23THRUST_200600_302600_NS10device_ptrIiEESA_NS9_IsEESB_jNS0_19identity_decomposerENS1_16block_id_wrapperIjLb0EEEEE10hipError_tT1_PNSt15iterator_traitsISG_E10value_typeET2_T3_PNSH_ISM_E10value_typeET4_T5_PSR_SS_PNS1_23onesweep_lookback_stateEbbT6_jjT7_P12ihipStream_tbENKUlT_T0_SG_SL_E_clISA_SA_SB_SB_EEDaSZ_S10_SG_SL_EUlSZ_E_NS1_11comp_targetILNS1_3genE8ELNS1_11target_archE1030ELNS1_3gpuE2ELNS1_3repE0EEENS1_47radix_sort_onesweep_sort_config_static_selectorELNS0_4arch9wavefront6targetE1EEEvSG_ ; -- Begin function _ZN7rocprim17ROCPRIM_400000_NS6detail17trampoline_kernelINS0_14default_configENS1_35radix_sort_onesweep_config_selectorIisEEZZNS1_29radix_sort_onesweep_iterationIS3_Lb0EN6thrust23THRUST_200600_302600_NS10device_ptrIiEESA_NS9_IsEESB_jNS0_19identity_decomposerENS1_16block_id_wrapperIjLb0EEEEE10hipError_tT1_PNSt15iterator_traitsISG_E10value_typeET2_T3_PNSH_ISM_E10value_typeET4_T5_PSR_SS_PNS1_23onesweep_lookback_stateEbbT6_jjT7_P12ihipStream_tbENKUlT_T0_SG_SL_E_clISA_SA_SB_SB_EEDaSZ_S10_SG_SL_EUlSZ_E_NS1_11comp_targetILNS1_3genE8ELNS1_11target_archE1030ELNS1_3gpuE2ELNS1_3repE0EEENS1_47radix_sort_onesweep_sort_config_static_selectorELNS0_4arch9wavefront6targetE1EEEvSG_
	.globl	_ZN7rocprim17ROCPRIM_400000_NS6detail17trampoline_kernelINS0_14default_configENS1_35radix_sort_onesweep_config_selectorIisEEZZNS1_29radix_sort_onesweep_iterationIS3_Lb0EN6thrust23THRUST_200600_302600_NS10device_ptrIiEESA_NS9_IsEESB_jNS0_19identity_decomposerENS1_16block_id_wrapperIjLb0EEEEE10hipError_tT1_PNSt15iterator_traitsISG_E10value_typeET2_T3_PNSH_ISM_E10value_typeET4_T5_PSR_SS_PNS1_23onesweep_lookback_stateEbbT6_jjT7_P12ihipStream_tbENKUlT_T0_SG_SL_E_clISA_SA_SB_SB_EEDaSZ_S10_SG_SL_EUlSZ_E_NS1_11comp_targetILNS1_3genE8ELNS1_11target_archE1030ELNS1_3gpuE2ELNS1_3repE0EEENS1_47radix_sort_onesweep_sort_config_static_selectorELNS0_4arch9wavefront6targetE1EEEvSG_
	.p2align	8
	.type	_ZN7rocprim17ROCPRIM_400000_NS6detail17trampoline_kernelINS0_14default_configENS1_35radix_sort_onesweep_config_selectorIisEEZZNS1_29radix_sort_onesweep_iterationIS3_Lb0EN6thrust23THRUST_200600_302600_NS10device_ptrIiEESA_NS9_IsEESB_jNS0_19identity_decomposerENS1_16block_id_wrapperIjLb0EEEEE10hipError_tT1_PNSt15iterator_traitsISG_E10value_typeET2_T3_PNSH_ISM_E10value_typeET4_T5_PSR_SS_PNS1_23onesweep_lookback_stateEbbT6_jjT7_P12ihipStream_tbENKUlT_T0_SG_SL_E_clISA_SA_SB_SB_EEDaSZ_S10_SG_SL_EUlSZ_E_NS1_11comp_targetILNS1_3genE8ELNS1_11target_archE1030ELNS1_3gpuE2ELNS1_3repE0EEENS1_47radix_sort_onesweep_sort_config_static_selectorELNS0_4arch9wavefront6targetE1EEEvSG_,@function
_ZN7rocprim17ROCPRIM_400000_NS6detail17trampoline_kernelINS0_14default_configENS1_35radix_sort_onesweep_config_selectorIisEEZZNS1_29radix_sort_onesweep_iterationIS3_Lb0EN6thrust23THRUST_200600_302600_NS10device_ptrIiEESA_NS9_IsEESB_jNS0_19identity_decomposerENS1_16block_id_wrapperIjLb0EEEEE10hipError_tT1_PNSt15iterator_traitsISG_E10value_typeET2_T3_PNSH_ISM_E10value_typeET4_T5_PSR_SS_PNS1_23onesweep_lookback_stateEbbT6_jjT7_P12ihipStream_tbENKUlT_T0_SG_SL_E_clISA_SA_SB_SB_EEDaSZ_S10_SG_SL_EUlSZ_E_NS1_11comp_targetILNS1_3genE8ELNS1_11target_archE1030ELNS1_3gpuE2ELNS1_3repE0EEENS1_47radix_sort_onesweep_sort_config_static_selectorELNS0_4arch9wavefront6targetE1EEEvSG_: ; @_ZN7rocprim17ROCPRIM_400000_NS6detail17trampoline_kernelINS0_14default_configENS1_35radix_sort_onesweep_config_selectorIisEEZZNS1_29radix_sort_onesweep_iterationIS3_Lb0EN6thrust23THRUST_200600_302600_NS10device_ptrIiEESA_NS9_IsEESB_jNS0_19identity_decomposerENS1_16block_id_wrapperIjLb0EEEEE10hipError_tT1_PNSt15iterator_traitsISG_E10value_typeET2_T3_PNSH_ISM_E10value_typeET4_T5_PSR_SS_PNS1_23onesweep_lookback_stateEbbT6_jjT7_P12ihipStream_tbENKUlT_T0_SG_SL_E_clISA_SA_SB_SB_EEDaSZ_S10_SG_SL_EUlSZ_E_NS1_11comp_targetILNS1_3genE8ELNS1_11target_archE1030ELNS1_3gpuE2ELNS1_3repE0EEENS1_47radix_sort_onesweep_sort_config_static_selectorELNS0_4arch9wavefront6targetE1EEEvSG_
; %bb.0:
	.section	.rodata,"a",@progbits
	.p2align	6, 0x0
	.amdhsa_kernel _ZN7rocprim17ROCPRIM_400000_NS6detail17trampoline_kernelINS0_14default_configENS1_35radix_sort_onesweep_config_selectorIisEEZZNS1_29radix_sort_onesweep_iterationIS3_Lb0EN6thrust23THRUST_200600_302600_NS10device_ptrIiEESA_NS9_IsEESB_jNS0_19identity_decomposerENS1_16block_id_wrapperIjLb0EEEEE10hipError_tT1_PNSt15iterator_traitsISG_E10value_typeET2_T3_PNSH_ISM_E10value_typeET4_T5_PSR_SS_PNS1_23onesweep_lookback_stateEbbT6_jjT7_P12ihipStream_tbENKUlT_T0_SG_SL_E_clISA_SA_SB_SB_EEDaSZ_S10_SG_SL_EUlSZ_E_NS1_11comp_targetILNS1_3genE8ELNS1_11target_archE1030ELNS1_3gpuE2ELNS1_3repE0EEENS1_47radix_sort_onesweep_sort_config_static_selectorELNS0_4arch9wavefront6targetE1EEEvSG_
		.amdhsa_group_segment_fixed_size 0
		.amdhsa_private_segment_fixed_size 0
		.amdhsa_kernarg_size 88
		.amdhsa_user_sgpr_count 2
		.amdhsa_user_sgpr_dispatch_ptr 0
		.amdhsa_user_sgpr_queue_ptr 0
		.amdhsa_user_sgpr_kernarg_segment_ptr 1
		.amdhsa_user_sgpr_dispatch_id 0
		.amdhsa_user_sgpr_kernarg_preload_length 0
		.amdhsa_user_sgpr_kernarg_preload_offset 0
		.amdhsa_user_sgpr_private_segment_size 0
		.amdhsa_uses_dynamic_stack 0
		.amdhsa_enable_private_segment 0
		.amdhsa_system_sgpr_workgroup_id_x 1
		.amdhsa_system_sgpr_workgroup_id_y 0
		.amdhsa_system_sgpr_workgroup_id_z 0
		.amdhsa_system_sgpr_workgroup_info 0
		.amdhsa_system_vgpr_workitem_id 0
		.amdhsa_next_free_vgpr 1
		.amdhsa_next_free_sgpr 0
		.amdhsa_accum_offset 4
		.amdhsa_reserve_vcc 0
		.amdhsa_float_round_mode_32 0
		.amdhsa_float_round_mode_16_64 0
		.amdhsa_float_denorm_mode_32 3
		.amdhsa_float_denorm_mode_16_64 3
		.amdhsa_dx10_clamp 1
		.amdhsa_ieee_mode 1
		.amdhsa_fp16_overflow 0
		.amdhsa_tg_split 0
		.amdhsa_exception_fp_ieee_invalid_op 0
		.amdhsa_exception_fp_denorm_src 0
		.amdhsa_exception_fp_ieee_div_zero 0
		.amdhsa_exception_fp_ieee_overflow 0
		.amdhsa_exception_fp_ieee_underflow 0
		.amdhsa_exception_fp_ieee_inexact 0
		.amdhsa_exception_int_div_zero 0
	.end_amdhsa_kernel
	.section	.text._ZN7rocprim17ROCPRIM_400000_NS6detail17trampoline_kernelINS0_14default_configENS1_35radix_sort_onesweep_config_selectorIisEEZZNS1_29radix_sort_onesweep_iterationIS3_Lb0EN6thrust23THRUST_200600_302600_NS10device_ptrIiEESA_NS9_IsEESB_jNS0_19identity_decomposerENS1_16block_id_wrapperIjLb0EEEEE10hipError_tT1_PNSt15iterator_traitsISG_E10value_typeET2_T3_PNSH_ISM_E10value_typeET4_T5_PSR_SS_PNS1_23onesweep_lookback_stateEbbT6_jjT7_P12ihipStream_tbENKUlT_T0_SG_SL_E_clISA_SA_SB_SB_EEDaSZ_S10_SG_SL_EUlSZ_E_NS1_11comp_targetILNS1_3genE8ELNS1_11target_archE1030ELNS1_3gpuE2ELNS1_3repE0EEENS1_47radix_sort_onesweep_sort_config_static_selectorELNS0_4arch9wavefront6targetE1EEEvSG_,"axG",@progbits,_ZN7rocprim17ROCPRIM_400000_NS6detail17trampoline_kernelINS0_14default_configENS1_35radix_sort_onesweep_config_selectorIisEEZZNS1_29radix_sort_onesweep_iterationIS3_Lb0EN6thrust23THRUST_200600_302600_NS10device_ptrIiEESA_NS9_IsEESB_jNS0_19identity_decomposerENS1_16block_id_wrapperIjLb0EEEEE10hipError_tT1_PNSt15iterator_traitsISG_E10value_typeET2_T3_PNSH_ISM_E10value_typeET4_T5_PSR_SS_PNS1_23onesweep_lookback_stateEbbT6_jjT7_P12ihipStream_tbENKUlT_T0_SG_SL_E_clISA_SA_SB_SB_EEDaSZ_S10_SG_SL_EUlSZ_E_NS1_11comp_targetILNS1_3genE8ELNS1_11target_archE1030ELNS1_3gpuE2ELNS1_3repE0EEENS1_47radix_sort_onesweep_sort_config_static_selectorELNS0_4arch9wavefront6targetE1EEEvSG_,comdat
.Lfunc_end2475:
	.size	_ZN7rocprim17ROCPRIM_400000_NS6detail17trampoline_kernelINS0_14default_configENS1_35radix_sort_onesweep_config_selectorIisEEZZNS1_29radix_sort_onesweep_iterationIS3_Lb0EN6thrust23THRUST_200600_302600_NS10device_ptrIiEESA_NS9_IsEESB_jNS0_19identity_decomposerENS1_16block_id_wrapperIjLb0EEEEE10hipError_tT1_PNSt15iterator_traitsISG_E10value_typeET2_T3_PNSH_ISM_E10value_typeET4_T5_PSR_SS_PNS1_23onesweep_lookback_stateEbbT6_jjT7_P12ihipStream_tbENKUlT_T0_SG_SL_E_clISA_SA_SB_SB_EEDaSZ_S10_SG_SL_EUlSZ_E_NS1_11comp_targetILNS1_3genE8ELNS1_11target_archE1030ELNS1_3gpuE2ELNS1_3repE0EEENS1_47radix_sort_onesweep_sort_config_static_selectorELNS0_4arch9wavefront6targetE1EEEvSG_, .Lfunc_end2475-_ZN7rocprim17ROCPRIM_400000_NS6detail17trampoline_kernelINS0_14default_configENS1_35radix_sort_onesweep_config_selectorIisEEZZNS1_29radix_sort_onesweep_iterationIS3_Lb0EN6thrust23THRUST_200600_302600_NS10device_ptrIiEESA_NS9_IsEESB_jNS0_19identity_decomposerENS1_16block_id_wrapperIjLb0EEEEE10hipError_tT1_PNSt15iterator_traitsISG_E10value_typeET2_T3_PNSH_ISM_E10value_typeET4_T5_PSR_SS_PNS1_23onesweep_lookback_stateEbbT6_jjT7_P12ihipStream_tbENKUlT_T0_SG_SL_E_clISA_SA_SB_SB_EEDaSZ_S10_SG_SL_EUlSZ_E_NS1_11comp_targetILNS1_3genE8ELNS1_11target_archE1030ELNS1_3gpuE2ELNS1_3repE0EEENS1_47radix_sort_onesweep_sort_config_static_selectorELNS0_4arch9wavefront6targetE1EEEvSG_
                                        ; -- End function
	.set _ZN7rocprim17ROCPRIM_400000_NS6detail17trampoline_kernelINS0_14default_configENS1_35radix_sort_onesweep_config_selectorIisEEZZNS1_29radix_sort_onesweep_iterationIS3_Lb0EN6thrust23THRUST_200600_302600_NS10device_ptrIiEESA_NS9_IsEESB_jNS0_19identity_decomposerENS1_16block_id_wrapperIjLb0EEEEE10hipError_tT1_PNSt15iterator_traitsISG_E10value_typeET2_T3_PNSH_ISM_E10value_typeET4_T5_PSR_SS_PNS1_23onesweep_lookback_stateEbbT6_jjT7_P12ihipStream_tbENKUlT_T0_SG_SL_E_clISA_SA_SB_SB_EEDaSZ_S10_SG_SL_EUlSZ_E_NS1_11comp_targetILNS1_3genE8ELNS1_11target_archE1030ELNS1_3gpuE2ELNS1_3repE0EEENS1_47radix_sort_onesweep_sort_config_static_selectorELNS0_4arch9wavefront6targetE1EEEvSG_.num_vgpr, 0
	.set _ZN7rocprim17ROCPRIM_400000_NS6detail17trampoline_kernelINS0_14default_configENS1_35radix_sort_onesweep_config_selectorIisEEZZNS1_29radix_sort_onesweep_iterationIS3_Lb0EN6thrust23THRUST_200600_302600_NS10device_ptrIiEESA_NS9_IsEESB_jNS0_19identity_decomposerENS1_16block_id_wrapperIjLb0EEEEE10hipError_tT1_PNSt15iterator_traitsISG_E10value_typeET2_T3_PNSH_ISM_E10value_typeET4_T5_PSR_SS_PNS1_23onesweep_lookback_stateEbbT6_jjT7_P12ihipStream_tbENKUlT_T0_SG_SL_E_clISA_SA_SB_SB_EEDaSZ_S10_SG_SL_EUlSZ_E_NS1_11comp_targetILNS1_3genE8ELNS1_11target_archE1030ELNS1_3gpuE2ELNS1_3repE0EEENS1_47radix_sort_onesweep_sort_config_static_selectorELNS0_4arch9wavefront6targetE1EEEvSG_.num_agpr, 0
	.set _ZN7rocprim17ROCPRIM_400000_NS6detail17trampoline_kernelINS0_14default_configENS1_35radix_sort_onesweep_config_selectorIisEEZZNS1_29radix_sort_onesweep_iterationIS3_Lb0EN6thrust23THRUST_200600_302600_NS10device_ptrIiEESA_NS9_IsEESB_jNS0_19identity_decomposerENS1_16block_id_wrapperIjLb0EEEEE10hipError_tT1_PNSt15iterator_traitsISG_E10value_typeET2_T3_PNSH_ISM_E10value_typeET4_T5_PSR_SS_PNS1_23onesweep_lookback_stateEbbT6_jjT7_P12ihipStream_tbENKUlT_T0_SG_SL_E_clISA_SA_SB_SB_EEDaSZ_S10_SG_SL_EUlSZ_E_NS1_11comp_targetILNS1_3genE8ELNS1_11target_archE1030ELNS1_3gpuE2ELNS1_3repE0EEENS1_47radix_sort_onesweep_sort_config_static_selectorELNS0_4arch9wavefront6targetE1EEEvSG_.numbered_sgpr, 0
	.set _ZN7rocprim17ROCPRIM_400000_NS6detail17trampoline_kernelINS0_14default_configENS1_35radix_sort_onesweep_config_selectorIisEEZZNS1_29radix_sort_onesweep_iterationIS3_Lb0EN6thrust23THRUST_200600_302600_NS10device_ptrIiEESA_NS9_IsEESB_jNS0_19identity_decomposerENS1_16block_id_wrapperIjLb0EEEEE10hipError_tT1_PNSt15iterator_traitsISG_E10value_typeET2_T3_PNSH_ISM_E10value_typeET4_T5_PSR_SS_PNS1_23onesweep_lookback_stateEbbT6_jjT7_P12ihipStream_tbENKUlT_T0_SG_SL_E_clISA_SA_SB_SB_EEDaSZ_S10_SG_SL_EUlSZ_E_NS1_11comp_targetILNS1_3genE8ELNS1_11target_archE1030ELNS1_3gpuE2ELNS1_3repE0EEENS1_47radix_sort_onesweep_sort_config_static_selectorELNS0_4arch9wavefront6targetE1EEEvSG_.num_named_barrier, 0
	.set _ZN7rocprim17ROCPRIM_400000_NS6detail17trampoline_kernelINS0_14default_configENS1_35radix_sort_onesweep_config_selectorIisEEZZNS1_29radix_sort_onesweep_iterationIS3_Lb0EN6thrust23THRUST_200600_302600_NS10device_ptrIiEESA_NS9_IsEESB_jNS0_19identity_decomposerENS1_16block_id_wrapperIjLb0EEEEE10hipError_tT1_PNSt15iterator_traitsISG_E10value_typeET2_T3_PNSH_ISM_E10value_typeET4_T5_PSR_SS_PNS1_23onesweep_lookback_stateEbbT6_jjT7_P12ihipStream_tbENKUlT_T0_SG_SL_E_clISA_SA_SB_SB_EEDaSZ_S10_SG_SL_EUlSZ_E_NS1_11comp_targetILNS1_3genE8ELNS1_11target_archE1030ELNS1_3gpuE2ELNS1_3repE0EEENS1_47radix_sort_onesweep_sort_config_static_selectorELNS0_4arch9wavefront6targetE1EEEvSG_.private_seg_size, 0
	.set _ZN7rocprim17ROCPRIM_400000_NS6detail17trampoline_kernelINS0_14default_configENS1_35radix_sort_onesweep_config_selectorIisEEZZNS1_29radix_sort_onesweep_iterationIS3_Lb0EN6thrust23THRUST_200600_302600_NS10device_ptrIiEESA_NS9_IsEESB_jNS0_19identity_decomposerENS1_16block_id_wrapperIjLb0EEEEE10hipError_tT1_PNSt15iterator_traitsISG_E10value_typeET2_T3_PNSH_ISM_E10value_typeET4_T5_PSR_SS_PNS1_23onesweep_lookback_stateEbbT6_jjT7_P12ihipStream_tbENKUlT_T0_SG_SL_E_clISA_SA_SB_SB_EEDaSZ_S10_SG_SL_EUlSZ_E_NS1_11comp_targetILNS1_3genE8ELNS1_11target_archE1030ELNS1_3gpuE2ELNS1_3repE0EEENS1_47radix_sort_onesweep_sort_config_static_selectorELNS0_4arch9wavefront6targetE1EEEvSG_.uses_vcc, 0
	.set _ZN7rocprim17ROCPRIM_400000_NS6detail17trampoline_kernelINS0_14default_configENS1_35radix_sort_onesweep_config_selectorIisEEZZNS1_29radix_sort_onesweep_iterationIS3_Lb0EN6thrust23THRUST_200600_302600_NS10device_ptrIiEESA_NS9_IsEESB_jNS0_19identity_decomposerENS1_16block_id_wrapperIjLb0EEEEE10hipError_tT1_PNSt15iterator_traitsISG_E10value_typeET2_T3_PNSH_ISM_E10value_typeET4_T5_PSR_SS_PNS1_23onesweep_lookback_stateEbbT6_jjT7_P12ihipStream_tbENKUlT_T0_SG_SL_E_clISA_SA_SB_SB_EEDaSZ_S10_SG_SL_EUlSZ_E_NS1_11comp_targetILNS1_3genE8ELNS1_11target_archE1030ELNS1_3gpuE2ELNS1_3repE0EEENS1_47radix_sort_onesweep_sort_config_static_selectorELNS0_4arch9wavefront6targetE1EEEvSG_.uses_flat_scratch, 0
	.set _ZN7rocprim17ROCPRIM_400000_NS6detail17trampoline_kernelINS0_14default_configENS1_35radix_sort_onesweep_config_selectorIisEEZZNS1_29radix_sort_onesweep_iterationIS3_Lb0EN6thrust23THRUST_200600_302600_NS10device_ptrIiEESA_NS9_IsEESB_jNS0_19identity_decomposerENS1_16block_id_wrapperIjLb0EEEEE10hipError_tT1_PNSt15iterator_traitsISG_E10value_typeET2_T3_PNSH_ISM_E10value_typeET4_T5_PSR_SS_PNS1_23onesweep_lookback_stateEbbT6_jjT7_P12ihipStream_tbENKUlT_T0_SG_SL_E_clISA_SA_SB_SB_EEDaSZ_S10_SG_SL_EUlSZ_E_NS1_11comp_targetILNS1_3genE8ELNS1_11target_archE1030ELNS1_3gpuE2ELNS1_3repE0EEENS1_47radix_sort_onesweep_sort_config_static_selectorELNS0_4arch9wavefront6targetE1EEEvSG_.has_dyn_sized_stack, 0
	.set _ZN7rocprim17ROCPRIM_400000_NS6detail17trampoline_kernelINS0_14default_configENS1_35radix_sort_onesweep_config_selectorIisEEZZNS1_29radix_sort_onesweep_iterationIS3_Lb0EN6thrust23THRUST_200600_302600_NS10device_ptrIiEESA_NS9_IsEESB_jNS0_19identity_decomposerENS1_16block_id_wrapperIjLb0EEEEE10hipError_tT1_PNSt15iterator_traitsISG_E10value_typeET2_T3_PNSH_ISM_E10value_typeET4_T5_PSR_SS_PNS1_23onesweep_lookback_stateEbbT6_jjT7_P12ihipStream_tbENKUlT_T0_SG_SL_E_clISA_SA_SB_SB_EEDaSZ_S10_SG_SL_EUlSZ_E_NS1_11comp_targetILNS1_3genE8ELNS1_11target_archE1030ELNS1_3gpuE2ELNS1_3repE0EEENS1_47radix_sort_onesweep_sort_config_static_selectorELNS0_4arch9wavefront6targetE1EEEvSG_.has_recursion, 0
	.set _ZN7rocprim17ROCPRIM_400000_NS6detail17trampoline_kernelINS0_14default_configENS1_35radix_sort_onesweep_config_selectorIisEEZZNS1_29radix_sort_onesweep_iterationIS3_Lb0EN6thrust23THRUST_200600_302600_NS10device_ptrIiEESA_NS9_IsEESB_jNS0_19identity_decomposerENS1_16block_id_wrapperIjLb0EEEEE10hipError_tT1_PNSt15iterator_traitsISG_E10value_typeET2_T3_PNSH_ISM_E10value_typeET4_T5_PSR_SS_PNS1_23onesweep_lookback_stateEbbT6_jjT7_P12ihipStream_tbENKUlT_T0_SG_SL_E_clISA_SA_SB_SB_EEDaSZ_S10_SG_SL_EUlSZ_E_NS1_11comp_targetILNS1_3genE8ELNS1_11target_archE1030ELNS1_3gpuE2ELNS1_3repE0EEENS1_47radix_sort_onesweep_sort_config_static_selectorELNS0_4arch9wavefront6targetE1EEEvSG_.has_indirect_call, 0
	.section	.AMDGPU.csdata,"",@progbits
; Kernel info:
; codeLenInByte = 0
; TotalNumSgprs: 6
; NumVgprs: 0
; NumAgprs: 0
; TotalNumVgprs: 0
; ScratchSize: 0
; MemoryBound: 0
; FloatMode: 240
; IeeeMode: 1
; LDSByteSize: 0 bytes/workgroup (compile time only)
; SGPRBlocks: 0
; VGPRBlocks: 0
; NumSGPRsForWavesPerEU: 6
; NumVGPRsForWavesPerEU: 1
; AccumOffset: 4
; Occupancy: 8
; WaveLimiterHint : 0
; COMPUTE_PGM_RSRC2:SCRATCH_EN: 0
; COMPUTE_PGM_RSRC2:USER_SGPR: 2
; COMPUTE_PGM_RSRC2:TRAP_HANDLER: 0
; COMPUTE_PGM_RSRC2:TGID_X_EN: 1
; COMPUTE_PGM_RSRC2:TGID_Y_EN: 0
; COMPUTE_PGM_RSRC2:TGID_Z_EN: 0
; COMPUTE_PGM_RSRC2:TIDIG_COMP_CNT: 0
; COMPUTE_PGM_RSRC3_GFX90A:ACCUM_OFFSET: 0
; COMPUTE_PGM_RSRC3_GFX90A:TG_SPLIT: 0
	.section	.text._ZN7rocprim17ROCPRIM_400000_NS6detail17trampoline_kernelINS0_14default_configENS1_35radix_sort_onesweep_config_selectorIisEEZZNS1_29radix_sort_onesweep_iterationIS3_Lb0EN6thrust23THRUST_200600_302600_NS10device_ptrIiEESA_NS9_IsEESB_jNS0_19identity_decomposerENS1_16block_id_wrapperIjLb0EEEEE10hipError_tT1_PNSt15iterator_traitsISG_E10value_typeET2_T3_PNSH_ISM_E10value_typeET4_T5_PSR_SS_PNS1_23onesweep_lookback_stateEbbT6_jjT7_P12ihipStream_tbENKUlT_T0_SG_SL_E_clISA_PiSB_PsEEDaSZ_S10_SG_SL_EUlSZ_E_NS1_11comp_targetILNS1_3genE0ELNS1_11target_archE4294967295ELNS1_3gpuE0ELNS1_3repE0EEENS1_47radix_sort_onesweep_sort_config_static_selectorELNS0_4arch9wavefront6targetE1EEEvSG_,"axG",@progbits,_ZN7rocprim17ROCPRIM_400000_NS6detail17trampoline_kernelINS0_14default_configENS1_35radix_sort_onesweep_config_selectorIisEEZZNS1_29radix_sort_onesweep_iterationIS3_Lb0EN6thrust23THRUST_200600_302600_NS10device_ptrIiEESA_NS9_IsEESB_jNS0_19identity_decomposerENS1_16block_id_wrapperIjLb0EEEEE10hipError_tT1_PNSt15iterator_traitsISG_E10value_typeET2_T3_PNSH_ISM_E10value_typeET4_T5_PSR_SS_PNS1_23onesweep_lookback_stateEbbT6_jjT7_P12ihipStream_tbENKUlT_T0_SG_SL_E_clISA_PiSB_PsEEDaSZ_S10_SG_SL_EUlSZ_E_NS1_11comp_targetILNS1_3genE0ELNS1_11target_archE4294967295ELNS1_3gpuE0ELNS1_3repE0EEENS1_47radix_sort_onesweep_sort_config_static_selectorELNS0_4arch9wavefront6targetE1EEEvSG_,comdat
	.protected	_ZN7rocprim17ROCPRIM_400000_NS6detail17trampoline_kernelINS0_14default_configENS1_35radix_sort_onesweep_config_selectorIisEEZZNS1_29radix_sort_onesweep_iterationIS3_Lb0EN6thrust23THRUST_200600_302600_NS10device_ptrIiEESA_NS9_IsEESB_jNS0_19identity_decomposerENS1_16block_id_wrapperIjLb0EEEEE10hipError_tT1_PNSt15iterator_traitsISG_E10value_typeET2_T3_PNSH_ISM_E10value_typeET4_T5_PSR_SS_PNS1_23onesweep_lookback_stateEbbT6_jjT7_P12ihipStream_tbENKUlT_T0_SG_SL_E_clISA_PiSB_PsEEDaSZ_S10_SG_SL_EUlSZ_E_NS1_11comp_targetILNS1_3genE0ELNS1_11target_archE4294967295ELNS1_3gpuE0ELNS1_3repE0EEENS1_47radix_sort_onesweep_sort_config_static_selectorELNS0_4arch9wavefront6targetE1EEEvSG_ ; -- Begin function _ZN7rocprim17ROCPRIM_400000_NS6detail17trampoline_kernelINS0_14default_configENS1_35radix_sort_onesweep_config_selectorIisEEZZNS1_29radix_sort_onesweep_iterationIS3_Lb0EN6thrust23THRUST_200600_302600_NS10device_ptrIiEESA_NS9_IsEESB_jNS0_19identity_decomposerENS1_16block_id_wrapperIjLb0EEEEE10hipError_tT1_PNSt15iterator_traitsISG_E10value_typeET2_T3_PNSH_ISM_E10value_typeET4_T5_PSR_SS_PNS1_23onesweep_lookback_stateEbbT6_jjT7_P12ihipStream_tbENKUlT_T0_SG_SL_E_clISA_PiSB_PsEEDaSZ_S10_SG_SL_EUlSZ_E_NS1_11comp_targetILNS1_3genE0ELNS1_11target_archE4294967295ELNS1_3gpuE0ELNS1_3repE0EEENS1_47radix_sort_onesweep_sort_config_static_selectorELNS0_4arch9wavefront6targetE1EEEvSG_
	.globl	_ZN7rocprim17ROCPRIM_400000_NS6detail17trampoline_kernelINS0_14default_configENS1_35radix_sort_onesweep_config_selectorIisEEZZNS1_29radix_sort_onesweep_iterationIS3_Lb0EN6thrust23THRUST_200600_302600_NS10device_ptrIiEESA_NS9_IsEESB_jNS0_19identity_decomposerENS1_16block_id_wrapperIjLb0EEEEE10hipError_tT1_PNSt15iterator_traitsISG_E10value_typeET2_T3_PNSH_ISM_E10value_typeET4_T5_PSR_SS_PNS1_23onesweep_lookback_stateEbbT6_jjT7_P12ihipStream_tbENKUlT_T0_SG_SL_E_clISA_PiSB_PsEEDaSZ_S10_SG_SL_EUlSZ_E_NS1_11comp_targetILNS1_3genE0ELNS1_11target_archE4294967295ELNS1_3gpuE0ELNS1_3repE0EEENS1_47radix_sort_onesweep_sort_config_static_selectorELNS0_4arch9wavefront6targetE1EEEvSG_
	.p2align	8
	.type	_ZN7rocprim17ROCPRIM_400000_NS6detail17trampoline_kernelINS0_14default_configENS1_35radix_sort_onesweep_config_selectorIisEEZZNS1_29radix_sort_onesweep_iterationIS3_Lb0EN6thrust23THRUST_200600_302600_NS10device_ptrIiEESA_NS9_IsEESB_jNS0_19identity_decomposerENS1_16block_id_wrapperIjLb0EEEEE10hipError_tT1_PNSt15iterator_traitsISG_E10value_typeET2_T3_PNSH_ISM_E10value_typeET4_T5_PSR_SS_PNS1_23onesweep_lookback_stateEbbT6_jjT7_P12ihipStream_tbENKUlT_T0_SG_SL_E_clISA_PiSB_PsEEDaSZ_S10_SG_SL_EUlSZ_E_NS1_11comp_targetILNS1_3genE0ELNS1_11target_archE4294967295ELNS1_3gpuE0ELNS1_3repE0EEENS1_47radix_sort_onesweep_sort_config_static_selectorELNS0_4arch9wavefront6targetE1EEEvSG_,@function
_ZN7rocprim17ROCPRIM_400000_NS6detail17trampoline_kernelINS0_14default_configENS1_35radix_sort_onesweep_config_selectorIisEEZZNS1_29radix_sort_onesweep_iterationIS3_Lb0EN6thrust23THRUST_200600_302600_NS10device_ptrIiEESA_NS9_IsEESB_jNS0_19identity_decomposerENS1_16block_id_wrapperIjLb0EEEEE10hipError_tT1_PNSt15iterator_traitsISG_E10value_typeET2_T3_PNSH_ISM_E10value_typeET4_T5_PSR_SS_PNS1_23onesweep_lookback_stateEbbT6_jjT7_P12ihipStream_tbENKUlT_T0_SG_SL_E_clISA_PiSB_PsEEDaSZ_S10_SG_SL_EUlSZ_E_NS1_11comp_targetILNS1_3genE0ELNS1_11target_archE4294967295ELNS1_3gpuE0ELNS1_3repE0EEENS1_47radix_sort_onesweep_sort_config_static_selectorELNS0_4arch9wavefront6targetE1EEEvSG_: ; @_ZN7rocprim17ROCPRIM_400000_NS6detail17trampoline_kernelINS0_14default_configENS1_35radix_sort_onesweep_config_selectorIisEEZZNS1_29radix_sort_onesweep_iterationIS3_Lb0EN6thrust23THRUST_200600_302600_NS10device_ptrIiEESA_NS9_IsEESB_jNS0_19identity_decomposerENS1_16block_id_wrapperIjLb0EEEEE10hipError_tT1_PNSt15iterator_traitsISG_E10value_typeET2_T3_PNSH_ISM_E10value_typeET4_T5_PSR_SS_PNS1_23onesweep_lookback_stateEbbT6_jjT7_P12ihipStream_tbENKUlT_T0_SG_SL_E_clISA_PiSB_PsEEDaSZ_S10_SG_SL_EUlSZ_E_NS1_11comp_targetILNS1_3genE0ELNS1_11target_archE4294967295ELNS1_3gpuE0ELNS1_3repE0EEENS1_47radix_sort_onesweep_sort_config_static_selectorELNS0_4arch9wavefront6targetE1EEEvSG_
; %bb.0:
	.section	.rodata,"a",@progbits
	.p2align	6, 0x0
	.amdhsa_kernel _ZN7rocprim17ROCPRIM_400000_NS6detail17trampoline_kernelINS0_14default_configENS1_35radix_sort_onesweep_config_selectorIisEEZZNS1_29radix_sort_onesweep_iterationIS3_Lb0EN6thrust23THRUST_200600_302600_NS10device_ptrIiEESA_NS9_IsEESB_jNS0_19identity_decomposerENS1_16block_id_wrapperIjLb0EEEEE10hipError_tT1_PNSt15iterator_traitsISG_E10value_typeET2_T3_PNSH_ISM_E10value_typeET4_T5_PSR_SS_PNS1_23onesweep_lookback_stateEbbT6_jjT7_P12ihipStream_tbENKUlT_T0_SG_SL_E_clISA_PiSB_PsEEDaSZ_S10_SG_SL_EUlSZ_E_NS1_11comp_targetILNS1_3genE0ELNS1_11target_archE4294967295ELNS1_3gpuE0ELNS1_3repE0EEENS1_47radix_sort_onesweep_sort_config_static_selectorELNS0_4arch9wavefront6targetE1EEEvSG_
		.amdhsa_group_segment_fixed_size 0
		.amdhsa_private_segment_fixed_size 0
		.amdhsa_kernarg_size 88
		.amdhsa_user_sgpr_count 2
		.amdhsa_user_sgpr_dispatch_ptr 0
		.amdhsa_user_sgpr_queue_ptr 0
		.amdhsa_user_sgpr_kernarg_segment_ptr 1
		.amdhsa_user_sgpr_dispatch_id 0
		.amdhsa_user_sgpr_kernarg_preload_length 0
		.amdhsa_user_sgpr_kernarg_preload_offset 0
		.amdhsa_user_sgpr_private_segment_size 0
		.amdhsa_uses_dynamic_stack 0
		.amdhsa_enable_private_segment 0
		.amdhsa_system_sgpr_workgroup_id_x 1
		.amdhsa_system_sgpr_workgroup_id_y 0
		.amdhsa_system_sgpr_workgroup_id_z 0
		.amdhsa_system_sgpr_workgroup_info 0
		.amdhsa_system_vgpr_workitem_id 0
		.amdhsa_next_free_vgpr 1
		.amdhsa_next_free_sgpr 0
		.amdhsa_accum_offset 4
		.amdhsa_reserve_vcc 0
		.amdhsa_float_round_mode_32 0
		.amdhsa_float_round_mode_16_64 0
		.amdhsa_float_denorm_mode_32 3
		.amdhsa_float_denorm_mode_16_64 3
		.amdhsa_dx10_clamp 1
		.amdhsa_ieee_mode 1
		.amdhsa_fp16_overflow 0
		.amdhsa_tg_split 0
		.amdhsa_exception_fp_ieee_invalid_op 0
		.amdhsa_exception_fp_denorm_src 0
		.amdhsa_exception_fp_ieee_div_zero 0
		.amdhsa_exception_fp_ieee_overflow 0
		.amdhsa_exception_fp_ieee_underflow 0
		.amdhsa_exception_fp_ieee_inexact 0
		.amdhsa_exception_int_div_zero 0
	.end_amdhsa_kernel
	.section	.text._ZN7rocprim17ROCPRIM_400000_NS6detail17trampoline_kernelINS0_14default_configENS1_35radix_sort_onesweep_config_selectorIisEEZZNS1_29radix_sort_onesweep_iterationIS3_Lb0EN6thrust23THRUST_200600_302600_NS10device_ptrIiEESA_NS9_IsEESB_jNS0_19identity_decomposerENS1_16block_id_wrapperIjLb0EEEEE10hipError_tT1_PNSt15iterator_traitsISG_E10value_typeET2_T3_PNSH_ISM_E10value_typeET4_T5_PSR_SS_PNS1_23onesweep_lookback_stateEbbT6_jjT7_P12ihipStream_tbENKUlT_T0_SG_SL_E_clISA_PiSB_PsEEDaSZ_S10_SG_SL_EUlSZ_E_NS1_11comp_targetILNS1_3genE0ELNS1_11target_archE4294967295ELNS1_3gpuE0ELNS1_3repE0EEENS1_47radix_sort_onesweep_sort_config_static_selectorELNS0_4arch9wavefront6targetE1EEEvSG_,"axG",@progbits,_ZN7rocprim17ROCPRIM_400000_NS6detail17trampoline_kernelINS0_14default_configENS1_35radix_sort_onesweep_config_selectorIisEEZZNS1_29radix_sort_onesweep_iterationIS3_Lb0EN6thrust23THRUST_200600_302600_NS10device_ptrIiEESA_NS9_IsEESB_jNS0_19identity_decomposerENS1_16block_id_wrapperIjLb0EEEEE10hipError_tT1_PNSt15iterator_traitsISG_E10value_typeET2_T3_PNSH_ISM_E10value_typeET4_T5_PSR_SS_PNS1_23onesweep_lookback_stateEbbT6_jjT7_P12ihipStream_tbENKUlT_T0_SG_SL_E_clISA_PiSB_PsEEDaSZ_S10_SG_SL_EUlSZ_E_NS1_11comp_targetILNS1_3genE0ELNS1_11target_archE4294967295ELNS1_3gpuE0ELNS1_3repE0EEENS1_47radix_sort_onesweep_sort_config_static_selectorELNS0_4arch9wavefront6targetE1EEEvSG_,comdat
.Lfunc_end2476:
	.size	_ZN7rocprim17ROCPRIM_400000_NS6detail17trampoline_kernelINS0_14default_configENS1_35radix_sort_onesweep_config_selectorIisEEZZNS1_29radix_sort_onesweep_iterationIS3_Lb0EN6thrust23THRUST_200600_302600_NS10device_ptrIiEESA_NS9_IsEESB_jNS0_19identity_decomposerENS1_16block_id_wrapperIjLb0EEEEE10hipError_tT1_PNSt15iterator_traitsISG_E10value_typeET2_T3_PNSH_ISM_E10value_typeET4_T5_PSR_SS_PNS1_23onesweep_lookback_stateEbbT6_jjT7_P12ihipStream_tbENKUlT_T0_SG_SL_E_clISA_PiSB_PsEEDaSZ_S10_SG_SL_EUlSZ_E_NS1_11comp_targetILNS1_3genE0ELNS1_11target_archE4294967295ELNS1_3gpuE0ELNS1_3repE0EEENS1_47radix_sort_onesweep_sort_config_static_selectorELNS0_4arch9wavefront6targetE1EEEvSG_, .Lfunc_end2476-_ZN7rocprim17ROCPRIM_400000_NS6detail17trampoline_kernelINS0_14default_configENS1_35radix_sort_onesweep_config_selectorIisEEZZNS1_29radix_sort_onesweep_iterationIS3_Lb0EN6thrust23THRUST_200600_302600_NS10device_ptrIiEESA_NS9_IsEESB_jNS0_19identity_decomposerENS1_16block_id_wrapperIjLb0EEEEE10hipError_tT1_PNSt15iterator_traitsISG_E10value_typeET2_T3_PNSH_ISM_E10value_typeET4_T5_PSR_SS_PNS1_23onesweep_lookback_stateEbbT6_jjT7_P12ihipStream_tbENKUlT_T0_SG_SL_E_clISA_PiSB_PsEEDaSZ_S10_SG_SL_EUlSZ_E_NS1_11comp_targetILNS1_3genE0ELNS1_11target_archE4294967295ELNS1_3gpuE0ELNS1_3repE0EEENS1_47radix_sort_onesweep_sort_config_static_selectorELNS0_4arch9wavefront6targetE1EEEvSG_
                                        ; -- End function
	.set _ZN7rocprim17ROCPRIM_400000_NS6detail17trampoline_kernelINS0_14default_configENS1_35radix_sort_onesweep_config_selectorIisEEZZNS1_29radix_sort_onesweep_iterationIS3_Lb0EN6thrust23THRUST_200600_302600_NS10device_ptrIiEESA_NS9_IsEESB_jNS0_19identity_decomposerENS1_16block_id_wrapperIjLb0EEEEE10hipError_tT1_PNSt15iterator_traitsISG_E10value_typeET2_T3_PNSH_ISM_E10value_typeET4_T5_PSR_SS_PNS1_23onesweep_lookback_stateEbbT6_jjT7_P12ihipStream_tbENKUlT_T0_SG_SL_E_clISA_PiSB_PsEEDaSZ_S10_SG_SL_EUlSZ_E_NS1_11comp_targetILNS1_3genE0ELNS1_11target_archE4294967295ELNS1_3gpuE0ELNS1_3repE0EEENS1_47radix_sort_onesweep_sort_config_static_selectorELNS0_4arch9wavefront6targetE1EEEvSG_.num_vgpr, 0
	.set _ZN7rocprim17ROCPRIM_400000_NS6detail17trampoline_kernelINS0_14default_configENS1_35radix_sort_onesweep_config_selectorIisEEZZNS1_29radix_sort_onesweep_iterationIS3_Lb0EN6thrust23THRUST_200600_302600_NS10device_ptrIiEESA_NS9_IsEESB_jNS0_19identity_decomposerENS1_16block_id_wrapperIjLb0EEEEE10hipError_tT1_PNSt15iterator_traitsISG_E10value_typeET2_T3_PNSH_ISM_E10value_typeET4_T5_PSR_SS_PNS1_23onesweep_lookback_stateEbbT6_jjT7_P12ihipStream_tbENKUlT_T0_SG_SL_E_clISA_PiSB_PsEEDaSZ_S10_SG_SL_EUlSZ_E_NS1_11comp_targetILNS1_3genE0ELNS1_11target_archE4294967295ELNS1_3gpuE0ELNS1_3repE0EEENS1_47radix_sort_onesweep_sort_config_static_selectorELNS0_4arch9wavefront6targetE1EEEvSG_.num_agpr, 0
	.set _ZN7rocprim17ROCPRIM_400000_NS6detail17trampoline_kernelINS0_14default_configENS1_35radix_sort_onesweep_config_selectorIisEEZZNS1_29radix_sort_onesweep_iterationIS3_Lb0EN6thrust23THRUST_200600_302600_NS10device_ptrIiEESA_NS9_IsEESB_jNS0_19identity_decomposerENS1_16block_id_wrapperIjLb0EEEEE10hipError_tT1_PNSt15iterator_traitsISG_E10value_typeET2_T3_PNSH_ISM_E10value_typeET4_T5_PSR_SS_PNS1_23onesweep_lookback_stateEbbT6_jjT7_P12ihipStream_tbENKUlT_T0_SG_SL_E_clISA_PiSB_PsEEDaSZ_S10_SG_SL_EUlSZ_E_NS1_11comp_targetILNS1_3genE0ELNS1_11target_archE4294967295ELNS1_3gpuE0ELNS1_3repE0EEENS1_47radix_sort_onesweep_sort_config_static_selectorELNS0_4arch9wavefront6targetE1EEEvSG_.numbered_sgpr, 0
	.set _ZN7rocprim17ROCPRIM_400000_NS6detail17trampoline_kernelINS0_14default_configENS1_35radix_sort_onesweep_config_selectorIisEEZZNS1_29radix_sort_onesweep_iterationIS3_Lb0EN6thrust23THRUST_200600_302600_NS10device_ptrIiEESA_NS9_IsEESB_jNS0_19identity_decomposerENS1_16block_id_wrapperIjLb0EEEEE10hipError_tT1_PNSt15iterator_traitsISG_E10value_typeET2_T3_PNSH_ISM_E10value_typeET4_T5_PSR_SS_PNS1_23onesweep_lookback_stateEbbT6_jjT7_P12ihipStream_tbENKUlT_T0_SG_SL_E_clISA_PiSB_PsEEDaSZ_S10_SG_SL_EUlSZ_E_NS1_11comp_targetILNS1_3genE0ELNS1_11target_archE4294967295ELNS1_3gpuE0ELNS1_3repE0EEENS1_47radix_sort_onesweep_sort_config_static_selectorELNS0_4arch9wavefront6targetE1EEEvSG_.num_named_barrier, 0
	.set _ZN7rocprim17ROCPRIM_400000_NS6detail17trampoline_kernelINS0_14default_configENS1_35radix_sort_onesweep_config_selectorIisEEZZNS1_29radix_sort_onesweep_iterationIS3_Lb0EN6thrust23THRUST_200600_302600_NS10device_ptrIiEESA_NS9_IsEESB_jNS0_19identity_decomposerENS1_16block_id_wrapperIjLb0EEEEE10hipError_tT1_PNSt15iterator_traitsISG_E10value_typeET2_T3_PNSH_ISM_E10value_typeET4_T5_PSR_SS_PNS1_23onesweep_lookback_stateEbbT6_jjT7_P12ihipStream_tbENKUlT_T0_SG_SL_E_clISA_PiSB_PsEEDaSZ_S10_SG_SL_EUlSZ_E_NS1_11comp_targetILNS1_3genE0ELNS1_11target_archE4294967295ELNS1_3gpuE0ELNS1_3repE0EEENS1_47radix_sort_onesweep_sort_config_static_selectorELNS0_4arch9wavefront6targetE1EEEvSG_.private_seg_size, 0
	.set _ZN7rocprim17ROCPRIM_400000_NS6detail17trampoline_kernelINS0_14default_configENS1_35radix_sort_onesweep_config_selectorIisEEZZNS1_29radix_sort_onesweep_iterationIS3_Lb0EN6thrust23THRUST_200600_302600_NS10device_ptrIiEESA_NS9_IsEESB_jNS0_19identity_decomposerENS1_16block_id_wrapperIjLb0EEEEE10hipError_tT1_PNSt15iterator_traitsISG_E10value_typeET2_T3_PNSH_ISM_E10value_typeET4_T5_PSR_SS_PNS1_23onesweep_lookback_stateEbbT6_jjT7_P12ihipStream_tbENKUlT_T0_SG_SL_E_clISA_PiSB_PsEEDaSZ_S10_SG_SL_EUlSZ_E_NS1_11comp_targetILNS1_3genE0ELNS1_11target_archE4294967295ELNS1_3gpuE0ELNS1_3repE0EEENS1_47radix_sort_onesweep_sort_config_static_selectorELNS0_4arch9wavefront6targetE1EEEvSG_.uses_vcc, 0
	.set _ZN7rocprim17ROCPRIM_400000_NS6detail17trampoline_kernelINS0_14default_configENS1_35radix_sort_onesweep_config_selectorIisEEZZNS1_29radix_sort_onesweep_iterationIS3_Lb0EN6thrust23THRUST_200600_302600_NS10device_ptrIiEESA_NS9_IsEESB_jNS0_19identity_decomposerENS1_16block_id_wrapperIjLb0EEEEE10hipError_tT1_PNSt15iterator_traitsISG_E10value_typeET2_T3_PNSH_ISM_E10value_typeET4_T5_PSR_SS_PNS1_23onesweep_lookback_stateEbbT6_jjT7_P12ihipStream_tbENKUlT_T0_SG_SL_E_clISA_PiSB_PsEEDaSZ_S10_SG_SL_EUlSZ_E_NS1_11comp_targetILNS1_3genE0ELNS1_11target_archE4294967295ELNS1_3gpuE0ELNS1_3repE0EEENS1_47radix_sort_onesweep_sort_config_static_selectorELNS0_4arch9wavefront6targetE1EEEvSG_.uses_flat_scratch, 0
	.set _ZN7rocprim17ROCPRIM_400000_NS6detail17trampoline_kernelINS0_14default_configENS1_35radix_sort_onesweep_config_selectorIisEEZZNS1_29radix_sort_onesweep_iterationIS3_Lb0EN6thrust23THRUST_200600_302600_NS10device_ptrIiEESA_NS9_IsEESB_jNS0_19identity_decomposerENS1_16block_id_wrapperIjLb0EEEEE10hipError_tT1_PNSt15iterator_traitsISG_E10value_typeET2_T3_PNSH_ISM_E10value_typeET4_T5_PSR_SS_PNS1_23onesweep_lookback_stateEbbT6_jjT7_P12ihipStream_tbENKUlT_T0_SG_SL_E_clISA_PiSB_PsEEDaSZ_S10_SG_SL_EUlSZ_E_NS1_11comp_targetILNS1_3genE0ELNS1_11target_archE4294967295ELNS1_3gpuE0ELNS1_3repE0EEENS1_47radix_sort_onesweep_sort_config_static_selectorELNS0_4arch9wavefront6targetE1EEEvSG_.has_dyn_sized_stack, 0
	.set _ZN7rocprim17ROCPRIM_400000_NS6detail17trampoline_kernelINS0_14default_configENS1_35radix_sort_onesweep_config_selectorIisEEZZNS1_29radix_sort_onesweep_iterationIS3_Lb0EN6thrust23THRUST_200600_302600_NS10device_ptrIiEESA_NS9_IsEESB_jNS0_19identity_decomposerENS1_16block_id_wrapperIjLb0EEEEE10hipError_tT1_PNSt15iterator_traitsISG_E10value_typeET2_T3_PNSH_ISM_E10value_typeET4_T5_PSR_SS_PNS1_23onesweep_lookback_stateEbbT6_jjT7_P12ihipStream_tbENKUlT_T0_SG_SL_E_clISA_PiSB_PsEEDaSZ_S10_SG_SL_EUlSZ_E_NS1_11comp_targetILNS1_3genE0ELNS1_11target_archE4294967295ELNS1_3gpuE0ELNS1_3repE0EEENS1_47radix_sort_onesweep_sort_config_static_selectorELNS0_4arch9wavefront6targetE1EEEvSG_.has_recursion, 0
	.set _ZN7rocprim17ROCPRIM_400000_NS6detail17trampoline_kernelINS0_14default_configENS1_35radix_sort_onesweep_config_selectorIisEEZZNS1_29radix_sort_onesweep_iterationIS3_Lb0EN6thrust23THRUST_200600_302600_NS10device_ptrIiEESA_NS9_IsEESB_jNS0_19identity_decomposerENS1_16block_id_wrapperIjLb0EEEEE10hipError_tT1_PNSt15iterator_traitsISG_E10value_typeET2_T3_PNSH_ISM_E10value_typeET4_T5_PSR_SS_PNS1_23onesweep_lookback_stateEbbT6_jjT7_P12ihipStream_tbENKUlT_T0_SG_SL_E_clISA_PiSB_PsEEDaSZ_S10_SG_SL_EUlSZ_E_NS1_11comp_targetILNS1_3genE0ELNS1_11target_archE4294967295ELNS1_3gpuE0ELNS1_3repE0EEENS1_47radix_sort_onesweep_sort_config_static_selectorELNS0_4arch9wavefront6targetE1EEEvSG_.has_indirect_call, 0
	.section	.AMDGPU.csdata,"",@progbits
; Kernel info:
; codeLenInByte = 0
; TotalNumSgprs: 6
; NumVgprs: 0
; NumAgprs: 0
; TotalNumVgprs: 0
; ScratchSize: 0
; MemoryBound: 0
; FloatMode: 240
; IeeeMode: 1
; LDSByteSize: 0 bytes/workgroup (compile time only)
; SGPRBlocks: 0
; VGPRBlocks: 0
; NumSGPRsForWavesPerEU: 6
; NumVGPRsForWavesPerEU: 1
; AccumOffset: 4
; Occupancy: 8
; WaveLimiterHint : 0
; COMPUTE_PGM_RSRC2:SCRATCH_EN: 0
; COMPUTE_PGM_RSRC2:USER_SGPR: 2
; COMPUTE_PGM_RSRC2:TRAP_HANDLER: 0
; COMPUTE_PGM_RSRC2:TGID_X_EN: 1
; COMPUTE_PGM_RSRC2:TGID_Y_EN: 0
; COMPUTE_PGM_RSRC2:TGID_Z_EN: 0
; COMPUTE_PGM_RSRC2:TIDIG_COMP_CNT: 0
; COMPUTE_PGM_RSRC3_GFX90A:ACCUM_OFFSET: 0
; COMPUTE_PGM_RSRC3_GFX90A:TG_SPLIT: 0
	.section	.text._ZN7rocprim17ROCPRIM_400000_NS6detail17trampoline_kernelINS0_14default_configENS1_35radix_sort_onesweep_config_selectorIisEEZZNS1_29radix_sort_onesweep_iterationIS3_Lb0EN6thrust23THRUST_200600_302600_NS10device_ptrIiEESA_NS9_IsEESB_jNS0_19identity_decomposerENS1_16block_id_wrapperIjLb0EEEEE10hipError_tT1_PNSt15iterator_traitsISG_E10value_typeET2_T3_PNSH_ISM_E10value_typeET4_T5_PSR_SS_PNS1_23onesweep_lookback_stateEbbT6_jjT7_P12ihipStream_tbENKUlT_T0_SG_SL_E_clISA_PiSB_PsEEDaSZ_S10_SG_SL_EUlSZ_E_NS1_11comp_targetILNS1_3genE6ELNS1_11target_archE950ELNS1_3gpuE13ELNS1_3repE0EEENS1_47radix_sort_onesweep_sort_config_static_selectorELNS0_4arch9wavefront6targetE1EEEvSG_,"axG",@progbits,_ZN7rocprim17ROCPRIM_400000_NS6detail17trampoline_kernelINS0_14default_configENS1_35radix_sort_onesweep_config_selectorIisEEZZNS1_29radix_sort_onesweep_iterationIS3_Lb0EN6thrust23THRUST_200600_302600_NS10device_ptrIiEESA_NS9_IsEESB_jNS0_19identity_decomposerENS1_16block_id_wrapperIjLb0EEEEE10hipError_tT1_PNSt15iterator_traitsISG_E10value_typeET2_T3_PNSH_ISM_E10value_typeET4_T5_PSR_SS_PNS1_23onesweep_lookback_stateEbbT6_jjT7_P12ihipStream_tbENKUlT_T0_SG_SL_E_clISA_PiSB_PsEEDaSZ_S10_SG_SL_EUlSZ_E_NS1_11comp_targetILNS1_3genE6ELNS1_11target_archE950ELNS1_3gpuE13ELNS1_3repE0EEENS1_47radix_sort_onesweep_sort_config_static_selectorELNS0_4arch9wavefront6targetE1EEEvSG_,comdat
	.protected	_ZN7rocprim17ROCPRIM_400000_NS6detail17trampoline_kernelINS0_14default_configENS1_35radix_sort_onesweep_config_selectorIisEEZZNS1_29radix_sort_onesweep_iterationIS3_Lb0EN6thrust23THRUST_200600_302600_NS10device_ptrIiEESA_NS9_IsEESB_jNS0_19identity_decomposerENS1_16block_id_wrapperIjLb0EEEEE10hipError_tT1_PNSt15iterator_traitsISG_E10value_typeET2_T3_PNSH_ISM_E10value_typeET4_T5_PSR_SS_PNS1_23onesweep_lookback_stateEbbT6_jjT7_P12ihipStream_tbENKUlT_T0_SG_SL_E_clISA_PiSB_PsEEDaSZ_S10_SG_SL_EUlSZ_E_NS1_11comp_targetILNS1_3genE6ELNS1_11target_archE950ELNS1_3gpuE13ELNS1_3repE0EEENS1_47radix_sort_onesweep_sort_config_static_selectorELNS0_4arch9wavefront6targetE1EEEvSG_ ; -- Begin function _ZN7rocprim17ROCPRIM_400000_NS6detail17trampoline_kernelINS0_14default_configENS1_35radix_sort_onesweep_config_selectorIisEEZZNS1_29radix_sort_onesweep_iterationIS3_Lb0EN6thrust23THRUST_200600_302600_NS10device_ptrIiEESA_NS9_IsEESB_jNS0_19identity_decomposerENS1_16block_id_wrapperIjLb0EEEEE10hipError_tT1_PNSt15iterator_traitsISG_E10value_typeET2_T3_PNSH_ISM_E10value_typeET4_T5_PSR_SS_PNS1_23onesweep_lookback_stateEbbT6_jjT7_P12ihipStream_tbENKUlT_T0_SG_SL_E_clISA_PiSB_PsEEDaSZ_S10_SG_SL_EUlSZ_E_NS1_11comp_targetILNS1_3genE6ELNS1_11target_archE950ELNS1_3gpuE13ELNS1_3repE0EEENS1_47radix_sort_onesweep_sort_config_static_selectorELNS0_4arch9wavefront6targetE1EEEvSG_
	.globl	_ZN7rocprim17ROCPRIM_400000_NS6detail17trampoline_kernelINS0_14default_configENS1_35radix_sort_onesweep_config_selectorIisEEZZNS1_29radix_sort_onesweep_iterationIS3_Lb0EN6thrust23THRUST_200600_302600_NS10device_ptrIiEESA_NS9_IsEESB_jNS0_19identity_decomposerENS1_16block_id_wrapperIjLb0EEEEE10hipError_tT1_PNSt15iterator_traitsISG_E10value_typeET2_T3_PNSH_ISM_E10value_typeET4_T5_PSR_SS_PNS1_23onesweep_lookback_stateEbbT6_jjT7_P12ihipStream_tbENKUlT_T0_SG_SL_E_clISA_PiSB_PsEEDaSZ_S10_SG_SL_EUlSZ_E_NS1_11comp_targetILNS1_3genE6ELNS1_11target_archE950ELNS1_3gpuE13ELNS1_3repE0EEENS1_47radix_sort_onesweep_sort_config_static_selectorELNS0_4arch9wavefront6targetE1EEEvSG_
	.p2align	8
	.type	_ZN7rocprim17ROCPRIM_400000_NS6detail17trampoline_kernelINS0_14default_configENS1_35radix_sort_onesweep_config_selectorIisEEZZNS1_29radix_sort_onesweep_iterationIS3_Lb0EN6thrust23THRUST_200600_302600_NS10device_ptrIiEESA_NS9_IsEESB_jNS0_19identity_decomposerENS1_16block_id_wrapperIjLb0EEEEE10hipError_tT1_PNSt15iterator_traitsISG_E10value_typeET2_T3_PNSH_ISM_E10value_typeET4_T5_PSR_SS_PNS1_23onesweep_lookback_stateEbbT6_jjT7_P12ihipStream_tbENKUlT_T0_SG_SL_E_clISA_PiSB_PsEEDaSZ_S10_SG_SL_EUlSZ_E_NS1_11comp_targetILNS1_3genE6ELNS1_11target_archE950ELNS1_3gpuE13ELNS1_3repE0EEENS1_47radix_sort_onesweep_sort_config_static_selectorELNS0_4arch9wavefront6targetE1EEEvSG_,@function
_ZN7rocprim17ROCPRIM_400000_NS6detail17trampoline_kernelINS0_14default_configENS1_35radix_sort_onesweep_config_selectorIisEEZZNS1_29radix_sort_onesweep_iterationIS3_Lb0EN6thrust23THRUST_200600_302600_NS10device_ptrIiEESA_NS9_IsEESB_jNS0_19identity_decomposerENS1_16block_id_wrapperIjLb0EEEEE10hipError_tT1_PNSt15iterator_traitsISG_E10value_typeET2_T3_PNSH_ISM_E10value_typeET4_T5_PSR_SS_PNS1_23onesweep_lookback_stateEbbT6_jjT7_P12ihipStream_tbENKUlT_T0_SG_SL_E_clISA_PiSB_PsEEDaSZ_S10_SG_SL_EUlSZ_E_NS1_11comp_targetILNS1_3genE6ELNS1_11target_archE950ELNS1_3gpuE13ELNS1_3repE0EEENS1_47radix_sort_onesweep_sort_config_static_selectorELNS0_4arch9wavefront6targetE1EEEvSG_: ; @_ZN7rocprim17ROCPRIM_400000_NS6detail17trampoline_kernelINS0_14default_configENS1_35radix_sort_onesweep_config_selectorIisEEZZNS1_29radix_sort_onesweep_iterationIS3_Lb0EN6thrust23THRUST_200600_302600_NS10device_ptrIiEESA_NS9_IsEESB_jNS0_19identity_decomposerENS1_16block_id_wrapperIjLb0EEEEE10hipError_tT1_PNSt15iterator_traitsISG_E10value_typeET2_T3_PNSH_ISM_E10value_typeET4_T5_PSR_SS_PNS1_23onesweep_lookback_stateEbbT6_jjT7_P12ihipStream_tbENKUlT_T0_SG_SL_E_clISA_PiSB_PsEEDaSZ_S10_SG_SL_EUlSZ_E_NS1_11comp_targetILNS1_3genE6ELNS1_11target_archE950ELNS1_3gpuE13ELNS1_3repE0EEENS1_47radix_sort_onesweep_sort_config_static_selectorELNS0_4arch9wavefront6targetE1EEEvSG_
; %bb.0:
	s_load_dwordx4 s[48:51], s[2:3], 0x44
	s_load_dwordx8 s[36:43], s[2:3], 0x0
	s_load_dwordx4 s[44:47], s[2:3], 0x28
	s_load_dwordx2 s[52:53], s[2:3], 0x38
	v_and_b32_e32 v8, 0x3ff, v0
	v_bfe_u32 v9, v0, 10, 10
	v_bfe_u32 v14, v0, 20, 10
	s_mov_b64 s[6:7], -1
	s_waitcnt lgkmcnt(0)
	s_cmp_ge_u32 s4, s50
	v_mbcnt_lo_u32_b32 v16, -1, 0
	v_lshlrev_b32_e32 v15, 3, v8
	s_cbranch_scc0 .LBB2477_130
; %bb.1:
	s_load_dword s5, s[2:3], 0x20
	s_lshl_b32 s8, s50, 13
	s_lshl_b32 s50, s4, 13
	s_mov_b32 s51, 0
	s_lshl_b64 s[6:7], s[50:51], 2
	s_waitcnt lgkmcnt(0)
	s_sub_i32 s5, s5, s8
	v_mbcnt_hi_u32_b32 v20, -1, v16
	s_add_u32 s6, s36, s6
	v_and_b32_e32 v18, 63, v20
	s_addc_u32 s7, s37, s7
	v_and_b32_e32 v17, 0x1e00, v15
	v_mov_b32_e32 v1, 0
	v_lshlrev_b32_e32 v0, 2, v18
	v_lshl_add_u64 v[2:3], s[6:7], 0, v[0:1]
	v_lshlrev_b32_e32 v0, 2, v17
	v_lshl_add_u64 v[10:11], v[2:3], 0, v[0:1]
	v_or_b32_e32 v12, v18, v17
	v_bfrev_b32_e32 v0, -2
	v_cmp_gt_u32_e64 s[18:19], s5, v12
	v_mov_b32_e32 v1, v0
	v_mov_b32_e32 v2, v0
	v_mov_b32_e32 v3, v0
	v_mov_b32_e32 v4, v0
	v_mov_b32_e32 v5, v0
	v_mov_b32_e32 v6, v0
	v_mov_b32_e32 v7, v0
	s_and_saveexec_b64 s[6:7], s[18:19]
	s_cbranch_execz .LBB2477_3
; %bb.2:
	global_load_dword v22, v[10:11], off
	v_mov_b32_e32 v23, v0
	v_mov_b32_e32 v24, v0
	;; [unrolled: 1-line block ×7, first 2 shown]
	s_waitcnt vmcnt(0)
	v_mov_b64_e32 v[0:1], v[22:23]
	v_mov_b64_e32 v[2:3], v[24:25]
	;; [unrolled: 1-line block ×4, first 2 shown]
.LBB2477_3:
	s_or_b64 exec, exec, s[6:7]
	v_or_b32_e32 v13, 64, v12
	v_cmp_gt_u32_e64 s[26:27], s5, v13
	s_and_saveexec_b64 s[6:7], s[26:27]
	s_cbranch_execz .LBB2477_5
; %bb.4:
	global_load_dword v1, v[10:11], off offset:256
.LBB2477_5:
	s_or_b64 exec, exec, s[6:7]
	v_or_b32_e32 v13, 0x80, v12
	v_cmp_gt_u32_e64 s[6:7], s5, v13
	s_and_saveexec_b64 s[8:9], s[6:7]
	s_cbranch_execz .LBB2477_7
; %bb.6:
	global_load_dword v2, v[10:11], off offset:512
.LBB2477_7:
	;; [unrolled: 8-line block ×7, first 2 shown]
	s_or_b64 exec, exec, s[20:21]
	s_load_dword s20, s[2:3], 0x64
	s_load_dword s33, s[2:3], 0x58
	s_add_u32 s21, s2, 0x58
	s_addc_u32 s22, s3, 0
	v_mov_b32_e32 v11, 0
	s_waitcnt lgkmcnt(0)
	s_lshr_b32 s23, s20, 16
	s_cmp_lt_u32 s4, s33
	s_cselect_b32 s20, 12, 18
	s_add_u32 s20, s21, s20
	s_addc_u32 s21, s22, 0
	global_load_ushort v36, v11, s[20:21]
	v_xor_b32_e32 v19, 0x80000000, v0
	v_lshrrev_b32_e32 v0, s48, v19
	s_lshl_b32 s20, -1, s49
	v_bitop3_b32 v0, v0, s20, v0 bitop3:0x30
	s_movk_i32 s55, 0x44
	v_and_b32_e32 v10, 1, v0
	v_lshlrev_b32_e32 v13, 30, v0
	v_mov_b32_e32 v12, v11
	v_mov_b32_e32 v24, v11
	v_mul_lo_u32 v38, v0, s55
	v_lshlrev_b32_e32 v23, 29, v0
	v_lshlrev_b32_e32 v25, 28, v0
	;; [unrolled: 1-line block ×6, first 2 shown]
	v_lshl_add_u64 v[34:35], v[10:11], 0, -1
	v_cmp_ne_u32_e32 vcc, 0, v10
	v_not_b32_e32 v0, v13
	v_mov_b32_e32 v22, v11
	v_mov_b32_e32 v26, v11
	s_not_b32 s54, s20
	v_cmp_gt_i64_e64 s[20:21], 0, v[12:13]
	v_not_b32_e32 v10, v23
	v_cmp_gt_i64_e64 s[24:25], 0, v[24:25]
	v_not_b32_e32 v12, v25
	v_xor_b32_e32 v25, vcc_lo, v34
	v_ashrrev_i32_e32 v0, 31, v0
	v_mad_u32_u24 v37, v14, s23, v9
	v_cmp_gt_i64_e64 s[22:23], 0, v[22:23]
	v_cmp_gt_i64_e64 s[28:29], 0, v[26:27]
	v_ashrrev_i32_e32 v10, 31, v10
	v_and_b32_e32 v25, exec_lo, v25
	v_xor_b32_e32 v26, s21, v0
	v_xor_b32_e32 v0, s20, v0
	v_mov_b32_e32 v28, v11
	v_not_b32_e32 v13, v27
	v_ashrrev_i32_e32 v12, 31, v12
	v_xor_b32_e32 v27, s23, v10
	v_xor_b32_e32 v10, s22, v10
	v_and_b32_e32 v0, v25, v0
	v_cmp_gt_i64_e64 s[30:31], 0, v[28:29]
	v_xor_b32_e32 v24, vcc_hi, v35
	v_ashrrev_i32_e32 v13, 31, v13
	v_xor_b32_e32 v28, s25, v12
	v_xor_b32_e32 v12, s24, v12
	v_and_b32_e32 v0, v0, v10
	v_not_b32_e32 v22, v29
	v_and_b32_e32 v24, exec_hi, v24
	v_xor_b32_e32 v29, s29, v13
	v_xor_b32_e32 v13, s28, v13
	v_and_b32_e32 v0, v0, v12
	v_and_b32_e32 v24, v24, v26
	;; [unrolled: 1-line block ×3, first 2 shown]
	v_mov_b32_e32 v30, v11
	v_not_b32_e32 v23, v31
	v_ashrrev_i32_e32 v22, 31, v22
	v_and_b32_e32 v24, v24, v27
	v_mov_b32_e32 v32, v11
	v_cmp_gt_i64_e64 s[34:35], 0, v[30:31]
	v_ashrrev_i32_e32 v23, 31, v23
	v_xor_b32_e32 v30, s31, v22
	v_xor_b32_e32 v22, s30, v22
	v_and_b32_e32 v10, v24, v28
	v_xor_b32_e32 v31, s35, v23
	v_xor_b32_e32 v23, s34, v23
	v_and_b32_e32 v10, v10, v29
	v_and_b32_e32 v0, v0, v22
	v_cmp_gt_i64_e32 vcc, 0, v[32:33]
	v_and_b32_e32 v10, v10, v30
	v_and_b32_e32 v0, v0, v23
	v_and_b32_e32 v10, v10, v31
	v_mul_u32_u24_e32 v21, 20, v8
	ds_write2_b32 v21, v11, v11 offset0:16 offset1:17
	ds_write2_b32 v21, v11, v11 offset0:18 offset1:19
	ds_write_b32 v21, v11 offset:80
	s_waitcnt lgkmcnt(0)
	s_barrier
	s_waitcnt vmcnt(0)
	; wave barrier
	v_mad_u64_u32 v[12:13], s[20:21], v37, v36, v[8:9]
	v_lshrrev_b32_e32 v12, 4, v12
	v_and_b32_e32 v35, 0xffffffc, v12
	v_not_b32_e32 v12, v33
	v_ashrrev_i32_e32 v12, 31, v12
	v_xor_b32_e32 v13, vcc_hi, v12
	v_xor_b32_e32 v12, vcc_lo, v12
	v_and_b32_e32 v12, v0, v12
	v_and_b32_e32 v13, v10, v13
	v_mbcnt_lo_u32_b32 v0, v12, 0
	v_mbcnt_hi_u32_b32 v22, v13, v0
	v_cmp_eq_u32_e32 vcc, 0, v22
	v_cmp_ne_u64_e64 s[20:21], 0, v[12:13]
	s_and_b64 s[22:23], s[20:21], vcc
	v_add_u32_e32 v26, v35, v38
	s_and_saveexec_b64 s[20:21], s[22:23]
; %bb.18:
	v_bcnt_u32_b32 v0, v12, 0
	v_bcnt_u32_b32 v0, v13, v0
	ds_write_b32 v26, v0 offset:64
; %bb.19:
	s_or_b64 exec, exec, s[20:21]
	v_xor_b32_e32 v12, 0x80000000, v1
	v_lshrrev_b32_e32 v0, s48, v12
	v_and_b32_e32 v13, s54, v0
	v_mul_lo_u32 v0, v13, s55
	v_and_b32_e32 v10, 1, v13
	v_add_u32_e32 v27, v35, v0
	v_lshl_add_u64 v[0:1], v[10:11], 0, -1
	v_cmp_ne_u32_e32 vcc, 0, v10
	; wave barrier
	s_nop 1
	v_xor_b32_e32 v1, vcc_hi, v1
	v_xor_b32_e32 v0, vcc_lo, v0
	v_and_b32_e32 v10, exec_hi, v1
	v_and_b32_e32 v24, exec_lo, v0
	v_lshlrev_b32_e32 v1, 30, v13
	v_mov_b32_e32 v0, v11
	v_cmp_gt_i64_e32 vcc, 0, v[0:1]
	v_not_b32_e32 v0, v1
	v_ashrrev_i32_e32 v0, 31, v0
	v_xor_b32_e32 v1, vcc_hi, v0
	v_xor_b32_e32 v0, vcc_lo, v0
	v_and_b32_e32 v10, v10, v1
	v_and_b32_e32 v24, v24, v0
	v_lshlrev_b32_e32 v1, 29, v13
	v_mov_b32_e32 v0, v11
	v_cmp_gt_i64_e32 vcc, 0, v[0:1]
	v_not_b32_e32 v0, v1
	v_ashrrev_i32_e32 v0, 31, v0
	v_xor_b32_e32 v1, vcc_hi, v0
	v_xor_b32_e32 v0, vcc_lo, v0
	v_and_b32_e32 v10, v10, v1
	v_and_b32_e32 v24, v24, v0
	;; [unrolled: 9-line block ×6, first 2 shown]
	v_lshlrev_b32_e32 v1, 24, v13
	v_mov_b32_e32 v0, v11
	v_cmp_gt_i64_e32 vcc, 0, v[0:1]
	v_not_b32_e32 v0, v1
	v_ashrrev_i32_e32 v0, 31, v0
	v_xor_b32_e32 v1, vcc_hi, v0
	v_xor_b32_e32 v0, vcc_lo, v0
	ds_read_b32 v23, v27 offset:64
	v_and_b32_e32 v0, v24, v0
	v_and_b32_e32 v1, v10, v1
	v_mbcnt_lo_u32_b32 v10, v0, 0
	v_mbcnt_hi_u32_b32 v24, v1, v10
	v_cmp_eq_u32_e32 vcc, 0, v24
	v_cmp_ne_u64_e64 s[20:21], 0, v[0:1]
	s_and_b64 s[22:23], s[20:21], vcc
	; wave barrier
	s_and_saveexec_b64 s[20:21], s[22:23]
	s_cbranch_execz .LBB2477_21
; %bb.20:
	v_bcnt_u32_b32 v0, v0, 0
	v_bcnt_u32_b32 v0, v1, v0
	s_waitcnt lgkmcnt(0)
	v_add_u32_e32 v0, v23, v0
	ds_write_b32 v27, v0 offset:64
.LBB2477_21:
	s_or_b64 exec, exec, s[20:21]
	v_xor_b32_e32 v13, 0x80000000, v2
	v_lshrrev_b32_e32 v0, s48, v13
	v_and_b32_e32 v2, s54, v0
	s_movk_i32 s22, 0x44
	v_mul_lo_u32 v0, v2, s22
	v_add_u32_e32 v31, v35, v0
	v_and_b32_e32 v0, 1, v2
	v_mov_b32_e32 v1, 0
	v_lshl_add_u64 v[10:11], v[0:1], 0, -1
	v_cmp_ne_u32_e32 vcc, 0, v0
	; wave barrier
	s_nop 1
	v_xor_b32_e32 v10, vcc_lo, v10
	v_xor_b32_e32 v0, vcc_hi, v11
	v_and_b32_e32 v28, exec_lo, v10
	v_lshlrev_b32_e32 v11, 30, v2
	v_mov_b32_e32 v10, v1
	v_cmp_gt_i64_e32 vcc, 0, v[10:11]
	v_not_b32_e32 v10, v11
	v_ashrrev_i32_e32 v10, 31, v10
	v_and_b32_e32 v0, exec_hi, v0
	v_xor_b32_e32 v11, vcc_hi, v10
	v_xor_b32_e32 v10, vcc_lo, v10
	v_and_b32_e32 v0, v0, v11
	v_and_b32_e32 v28, v28, v10
	v_lshlrev_b32_e32 v11, 29, v2
	v_mov_b32_e32 v10, v1
	v_cmp_gt_i64_e32 vcc, 0, v[10:11]
	v_not_b32_e32 v10, v11
	v_ashrrev_i32_e32 v10, 31, v10
	v_xor_b32_e32 v11, vcc_hi, v10
	v_xor_b32_e32 v10, vcc_lo, v10
	v_and_b32_e32 v0, v0, v11
	v_and_b32_e32 v28, v28, v10
	v_lshlrev_b32_e32 v11, 28, v2
	v_mov_b32_e32 v10, v1
	v_cmp_gt_i64_e32 vcc, 0, v[10:11]
	v_not_b32_e32 v10, v11
	v_ashrrev_i32_e32 v10, 31, v10
	;; [unrolled: 9-line block ×5, first 2 shown]
	v_xor_b32_e32 v11, vcc_hi, v10
	v_xor_b32_e32 v10, vcc_lo, v10
	v_and_b32_e32 v0, v0, v11
	v_lshlrev_b32_e32 v11, 24, v2
	v_and_b32_e32 v28, v28, v10
	v_mov_b32_e32 v10, v1
	v_not_b32_e32 v2, v11
	v_cmp_gt_i64_e32 vcc, 0, v[10:11]
	v_ashrrev_i32_e32 v2, 31, v2
	ds_read_b32 v25, v31 offset:64
	v_xor_b32_e32 v10, vcc_hi, v2
	v_xor_b32_e32 v2, vcc_lo, v2
	v_and_b32_e32 v11, v0, v10
	v_and_b32_e32 v10, v28, v2
	v_mbcnt_lo_u32_b32 v0, v10, 0
	v_mbcnt_hi_u32_b32 v29, v11, v0
	v_cmp_eq_u32_e32 vcc, 0, v29
	v_cmp_ne_u64_e64 s[20:21], 0, v[10:11]
	s_and_b64 s[24:25], s[20:21], vcc
	; wave barrier
	s_and_saveexec_b64 s[20:21], s[24:25]
	s_cbranch_execz .LBB2477_23
; %bb.22:
	v_bcnt_u32_b32 v0, v10, 0
	v_bcnt_u32_b32 v0, v11, v0
	s_waitcnt lgkmcnt(0)
	v_add_u32_e32 v0, v25, v0
	ds_write_b32 v31, v0 offset:64
.LBB2477_23:
	s_or_b64 exec, exec, s[20:21]
	v_xor_b32_e32 v10, 0x80000000, v3
	v_lshrrev_b32_e32 v0, s48, v10
	v_and_b32_e32 v11, s54, v0
	v_mul_lo_u32 v0, v11, s22
	v_add_u32_e32 v36, v35, v0
	v_and_b32_e32 v0, 1, v11
	v_lshl_add_u64 v[2:3], v[0:1], 0, -1
	v_cmp_ne_u32_e32 vcc, 0, v0
	; wave barrier
	s_nop 1
	v_xor_b32_e32 v2, vcc_lo, v2
	v_xor_b32_e32 v0, vcc_hi, v3
	v_and_b32_e32 v28, exec_lo, v2
	v_lshlrev_b32_e32 v3, 30, v11
	v_mov_b32_e32 v2, v1
	v_cmp_gt_i64_e32 vcc, 0, v[2:3]
	v_not_b32_e32 v2, v3
	v_ashrrev_i32_e32 v2, 31, v2
	v_and_b32_e32 v0, exec_hi, v0
	v_xor_b32_e32 v3, vcc_hi, v2
	v_xor_b32_e32 v2, vcc_lo, v2
	v_and_b32_e32 v0, v0, v3
	v_and_b32_e32 v28, v28, v2
	v_lshlrev_b32_e32 v3, 29, v11
	v_mov_b32_e32 v2, v1
	v_cmp_gt_i64_e32 vcc, 0, v[2:3]
	v_not_b32_e32 v2, v3
	v_ashrrev_i32_e32 v2, 31, v2
	v_xor_b32_e32 v3, vcc_hi, v2
	v_xor_b32_e32 v2, vcc_lo, v2
	v_and_b32_e32 v0, v0, v3
	v_and_b32_e32 v28, v28, v2
	v_lshlrev_b32_e32 v3, 28, v11
	v_mov_b32_e32 v2, v1
	v_cmp_gt_i64_e32 vcc, 0, v[2:3]
	v_not_b32_e32 v2, v3
	v_ashrrev_i32_e32 v2, 31, v2
	v_xor_b32_e32 v3, vcc_hi, v2
	v_xor_b32_e32 v2, vcc_lo, v2
	v_and_b32_e32 v0, v0, v3
	v_and_b32_e32 v28, v28, v2
	v_lshlrev_b32_e32 v3, 27, v11
	v_mov_b32_e32 v2, v1
	v_cmp_gt_i64_e32 vcc, 0, v[2:3]
	v_not_b32_e32 v2, v3
	v_ashrrev_i32_e32 v2, 31, v2
	v_xor_b32_e32 v3, vcc_hi, v2
	v_xor_b32_e32 v2, vcc_lo, v2
	v_and_b32_e32 v0, v0, v3
	v_and_b32_e32 v28, v28, v2
	v_lshlrev_b32_e32 v3, 26, v11
	v_mov_b32_e32 v2, v1
	v_cmp_gt_i64_e32 vcc, 0, v[2:3]
	v_not_b32_e32 v2, v3
	v_ashrrev_i32_e32 v2, 31, v2
	v_xor_b32_e32 v3, vcc_hi, v2
	v_xor_b32_e32 v2, vcc_lo, v2
	v_and_b32_e32 v0, v0, v3
	v_and_b32_e32 v28, v28, v2
	v_lshlrev_b32_e32 v3, 25, v11
	v_mov_b32_e32 v2, v1
	v_cmp_gt_i64_e32 vcc, 0, v[2:3]
	v_not_b32_e32 v2, v3
	v_ashrrev_i32_e32 v2, 31, v2
	v_xor_b32_e32 v3, vcc_hi, v2
	v_xor_b32_e32 v2, vcc_lo, v2
	v_and_b32_e32 v0, v0, v3
	v_lshlrev_b32_e32 v3, 24, v11
	v_and_b32_e32 v28, v28, v2
	v_mov_b32_e32 v2, v1
	v_not_b32_e32 v1, v3
	v_cmp_gt_i64_e32 vcc, 0, v[2:3]
	v_ashrrev_i32_e32 v1, 31, v1
	ds_read_b32 v30, v36 offset:64
	v_xor_b32_e32 v2, vcc_hi, v1
	v_xor_b32_e32 v3, vcc_lo, v1
	v_and_b32_e32 v1, v0, v2
	v_and_b32_e32 v0, v28, v3
	v_mbcnt_lo_u32_b32 v2, v0, 0
	v_mbcnt_hi_u32_b32 v33, v1, v2
	v_cmp_eq_u32_e32 vcc, 0, v33
	v_cmp_ne_u64_e64 s[20:21], 0, v[0:1]
	s_and_b64 s[22:23], s[20:21], vcc
	; wave barrier
	s_and_saveexec_b64 s[20:21], s[22:23]
	s_cbranch_execz .LBB2477_25
; %bb.24:
	v_bcnt_u32_b32 v0, v0, 0
	v_bcnt_u32_b32 v0, v1, v0
	s_waitcnt lgkmcnt(0)
	v_add_u32_e32 v0, v30, v0
	ds_write_b32 v36, v0 offset:64
.LBB2477_25:
	s_or_b64 exec, exec, s[20:21]
	v_xor_b32_e32 v11, 0x80000000, v4
	v_lshrrev_b32_e32 v0, s48, v11
	v_and_b32_e32 v28, s54, v0
	s_movk_i32 s22, 0x44
	v_mul_lo_u32 v0, v28, s22
	v_add_u32_e32 v4, v35, v0
	v_and_b32_e32 v0, 1, v28
	v_mov_b32_e32 v1, 0
	v_lshl_add_u64 v[2:3], v[0:1], 0, -1
	v_cmp_ne_u32_e32 vcc, 0, v0
	; wave barrier
	s_nop 1
	v_xor_b32_e32 v2, vcc_lo, v2
	v_xor_b32_e32 v0, vcc_hi, v3
	v_and_b32_e32 v32, exec_lo, v2
	v_lshlrev_b32_e32 v3, 30, v28
	v_mov_b32_e32 v2, v1
	v_cmp_gt_i64_e32 vcc, 0, v[2:3]
	v_not_b32_e32 v2, v3
	v_ashrrev_i32_e32 v2, 31, v2
	v_and_b32_e32 v0, exec_hi, v0
	v_xor_b32_e32 v3, vcc_hi, v2
	v_xor_b32_e32 v2, vcc_lo, v2
	v_and_b32_e32 v0, v0, v3
	v_and_b32_e32 v32, v32, v2
	v_lshlrev_b32_e32 v3, 29, v28
	v_mov_b32_e32 v2, v1
	v_cmp_gt_i64_e32 vcc, 0, v[2:3]
	v_not_b32_e32 v2, v3
	v_ashrrev_i32_e32 v2, 31, v2
	v_xor_b32_e32 v3, vcc_hi, v2
	v_xor_b32_e32 v2, vcc_lo, v2
	v_and_b32_e32 v0, v0, v3
	v_and_b32_e32 v32, v32, v2
	v_lshlrev_b32_e32 v3, 28, v28
	v_mov_b32_e32 v2, v1
	v_cmp_gt_i64_e32 vcc, 0, v[2:3]
	v_not_b32_e32 v2, v3
	v_ashrrev_i32_e32 v2, 31, v2
	;; [unrolled: 9-line block ×6, first 2 shown]
	v_xor_b32_e32 v3, vcc_hi, v2
	v_xor_b32_e32 v2, vcc_lo, v2
	ds_read_b32 v34, v4 offset:64
	v_and_b32_e32 v2, v32, v2
	v_and_b32_e32 v3, v0, v3
	v_mbcnt_lo_u32_b32 v0, v2, 0
	v_mbcnt_hi_u32_b32 v38, v3, v0
	v_cmp_eq_u32_e32 vcc, 0, v38
	v_cmp_ne_u64_e64 s[20:21], 0, v[2:3]
	s_and_b64 s[24:25], s[20:21], vcc
	; wave barrier
	s_and_saveexec_b64 s[20:21], s[24:25]
	s_cbranch_execz .LBB2477_27
; %bb.26:
	v_bcnt_u32_b32 v0, v2, 0
	v_bcnt_u32_b32 v0, v3, v0
	s_waitcnt lgkmcnt(0)
	v_add_u32_e32 v0, v34, v0
	ds_write_b32 v4, v0 offset:64
.LBB2477_27:
	s_or_b64 exec, exec, s[20:21]
	v_xor_b32_e32 v28, 0x80000000, v5
	v_lshrrev_b32_e32 v0, s48, v28
	v_and_b32_e32 v32, s54, v0
	v_mul_lo_u32 v0, v32, s22
	v_add_u32_e32 v5, v35, v0
	v_and_b32_e32 v0, 1, v32
	v_lshl_add_u64 v[2:3], v[0:1], 0, -1
	v_cmp_ne_u32_e32 vcc, 0, v0
	; wave barrier
	s_nop 1
	v_xor_b32_e32 v2, vcc_lo, v2
	v_xor_b32_e32 v0, vcc_hi, v3
	v_and_b32_e32 v37, exec_lo, v2
	v_lshlrev_b32_e32 v3, 30, v32
	v_mov_b32_e32 v2, v1
	v_cmp_gt_i64_e32 vcc, 0, v[2:3]
	v_not_b32_e32 v2, v3
	v_ashrrev_i32_e32 v2, 31, v2
	v_and_b32_e32 v0, exec_hi, v0
	v_xor_b32_e32 v3, vcc_hi, v2
	v_xor_b32_e32 v2, vcc_lo, v2
	v_and_b32_e32 v0, v0, v3
	v_and_b32_e32 v37, v37, v2
	v_lshlrev_b32_e32 v3, 29, v32
	v_mov_b32_e32 v2, v1
	v_cmp_gt_i64_e32 vcc, 0, v[2:3]
	v_not_b32_e32 v2, v3
	v_ashrrev_i32_e32 v2, 31, v2
	v_xor_b32_e32 v3, vcc_hi, v2
	v_xor_b32_e32 v2, vcc_lo, v2
	v_and_b32_e32 v0, v0, v3
	v_and_b32_e32 v37, v37, v2
	v_lshlrev_b32_e32 v3, 28, v32
	v_mov_b32_e32 v2, v1
	v_cmp_gt_i64_e32 vcc, 0, v[2:3]
	v_not_b32_e32 v2, v3
	v_ashrrev_i32_e32 v2, 31, v2
	;; [unrolled: 9-line block ×5, first 2 shown]
	v_xor_b32_e32 v3, vcc_hi, v2
	v_xor_b32_e32 v2, vcc_lo, v2
	v_and_b32_e32 v0, v0, v3
	v_lshlrev_b32_e32 v3, 24, v32
	v_and_b32_e32 v37, v37, v2
	v_mov_b32_e32 v2, v1
	v_not_b32_e32 v1, v3
	v_cmp_gt_i64_e32 vcc, 0, v[2:3]
	v_ashrrev_i32_e32 v1, 31, v1
	ds_read_b32 v39, v5 offset:64
	v_xor_b32_e32 v2, vcc_hi, v1
	v_xor_b32_e32 v3, vcc_lo, v1
	v_and_b32_e32 v1, v0, v2
	v_and_b32_e32 v0, v37, v3
	v_mbcnt_lo_u32_b32 v2, v0, 0
	v_mbcnt_hi_u32_b32 v40, v1, v2
	v_cmp_eq_u32_e32 vcc, 0, v40
	v_cmp_ne_u64_e64 s[20:21], 0, v[0:1]
	s_and_b64 s[22:23], s[20:21], vcc
	; wave barrier
	s_and_saveexec_b64 s[20:21], s[22:23]
	s_cbranch_execz .LBB2477_29
; %bb.28:
	v_bcnt_u32_b32 v0, v0, 0
	v_bcnt_u32_b32 v0, v1, v0
	s_waitcnt lgkmcnt(0)
	v_add_u32_e32 v0, v39, v0
	ds_write_b32 v5, v0 offset:64
.LBB2477_29:
	s_or_b64 exec, exec, s[20:21]
	v_xor_b32_e32 v32, 0x80000000, v6
	v_lshrrev_b32_e32 v0, s48, v32
	v_and_b32_e32 v37, s54, v0
	s_movk_i32 s22, 0x44
	v_mul_lo_u32 v0, v37, s22
	v_add_u32_e32 v6, v35, v0
	v_and_b32_e32 v0, 1, v37
	v_mov_b32_e32 v1, 0
	v_lshl_add_u64 v[2:3], v[0:1], 0, -1
	v_cmp_ne_u32_e32 vcc, 0, v0
	; wave barrier
	s_nop 1
	v_xor_b32_e32 v2, vcc_lo, v2
	v_xor_b32_e32 v0, vcc_hi, v3
	v_and_b32_e32 v42, exec_lo, v2
	v_lshlrev_b32_e32 v3, 30, v37
	v_mov_b32_e32 v2, v1
	v_cmp_gt_i64_e32 vcc, 0, v[2:3]
	v_not_b32_e32 v2, v3
	v_ashrrev_i32_e32 v2, 31, v2
	v_and_b32_e32 v0, exec_hi, v0
	v_xor_b32_e32 v3, vcc_hi, v2
	v_xor_b32_e32 v2, vcc_lo, v2
	v_and_b32_e32 v0, v0, v3
	v_and_b32_e32 v42, v42, v2
	v_lshlrev_b32_e32 v3, 29, v37
	v_mov_b32_e32 v2, v1
	v_cmp_gt_i64_e32 vcc, 0, v[2:3]
	v_not_b32_e32 v2, v3
	v_ashrrev_i32_e32 v2, 31, v2
	v_xor_b32_e32 v3, vcc_hi, v2
	v_xor_b32_e32 v2, vcc_lo, v2
	v_and_b32_e32 v0, v0, v3
	v_and_b32_e32 v42, v42, v2
	v_lshlrev_b32_e32 v3, 28, v37
	v_mov_b32_e32 v2, v1
	v_cmp_gt_i64_e32 vcc, 0, v[2:3]
	v_not_b32_e32 v2, v3
	v_ashrrev_i32_e32 v2, 31, v2
	v_xor_b32_e32 v3, vcc_hi, v2
	v_xor_b32_e32 v2, vcc_lo, v2
	v_and_b32_e32 v0, v0, v3
	v_and_b32_e32 v42, v42, v2
	v_lshlrev_b32_e32 v3, 27, v37
	v_mov_b32_e32 v2, v1
	v_cmp_gt_i64_e32 vcc, 0, v[2:3]
	v_not_b32_e32 v2, v3
	v_ashrrev_i32_e32 v2, 31, v2
	v_xor_b32_e32 v3, vcc_hi, v2
	v_xor_b32_e32 v2, vcc_lo, v2
	v_and_b32_e32 v0, v0, v3
	v_and_b32_e32 v42, v42, v2
	v_lshlrev_b32_e32 v3, 26, v37
	v_mov_b32_e32 v2, v1
	v_cmp_gt_i64_e32 vcc, 0, v[2:3]
	v_not_b32_e32 v2, v3
	v_ashrrev_i32_e32 v2, 31, v2
	v_xor_b32_e32 v3, vcc_hi, v2
	v_xor_b32_e32 v2, vcc_lo, v2
	v_and_b32_e32 v0, v0, v3
	v_and_b32_e32 v42, v42, v2
	v_lshlrev_b32_e32 v3, 25, v37
	v_mov_b32_e32 v2, v1
	v_cmp_gt_i64_e32 vcc, 0, v[2:3]
	v_not_b32_e32 v2, v3
	v_ashrrev_i32_e32 v2, 31, v2
	v_xor_b32_e32 v3, vcc_hi, v2
	v_xor_b32_e32 v2, vcc_lo, v2
	v_and_b32_e32 v0, v0, v3
	v_and_b32_e32 v42, v42, v2
	v_lshlrev_b32_e32 v3, 24, v37
	v_mov_b32_e32 v2, v1
	v_cmp_gt_i64_e32 vcc, 0, v[2:3]
	v_not_b32_e32 v2, v3
	v_ashrrev_i32_e32 v2, 31, v2
	v_xor_b32_e32 v3, vcc_hi, v2
	v_xor_b32_e32 v2, vcc_lo, v2
	ds_read_b32 v41, v6 offset:64
	v_and_b32_e32 v2, v42, v2
	v_and_b32_e32 v3, v0, v3
	v_mbcnt_lo_u32_b32 v0, v2, 0
	v_mbcnt_hi_u32_b32 v42, v3, v0
	v_cmp_eq_u32_e32 vcc, 0, v42
	v_cmp_ne_u64_e64 s[20:21], 0, v[2:3]
	s_and_b64 s[24:25], s[20:21], vcc
	; wave barrier
	s_and_saveexec_b64 s[20:21], s[24:25]
	s_cbranch_execz .LBB2477_31
; %bb.30:
	v_bcnt_u32_b32 v0, v2, 0
	v_bcnt_u32_b32 v0, v3, v0
	s_waitcnt lgkmcnt(0)
	v_add_u32_e32 v0, v41, v0
	ds_write_b32 v6, v0 offset:64
.LBB2477_31:
	s_or_b64 exec, exec, s[20:21]
	v_xor_b32_e32 v37, 0x80000000, v7
	v_lshrrev_b32_e32 v0, s48, v37
	v_and_b32_e32 v43, s54, v0
	v_mul_lo_u32 v0, v43, s22
	v_add_u32_e32 v7, v35, v0
	v_and_b32_e32 v0, 1, v43
	v_lshl_add_u64 v[2:3], v[0:1], 0, -1
	v_cmp_ne_u32_e32 vcc, 0, v0
	; wave barrier
	s_nop 1
	v_xor_b32_e32 v2, vcc_lo, v2
	v_xor_b32_e32 v0, vcc_hi, v3
	v_and_b32_e32 v44, exec_lo, v2
	v_lshlrev_b32_e32 v3, 30, v43
	v_mov_b32_e32 v2, v1
	v_cmp_gt_i64_e32 vcc, 0, v[2:3]
	v_not_b32_e32 v2, v3
	v_ashrrev_i32_e32 v2, 31, v2
	v_and_b32_e32 v0, exec_hi, v0
	v_xor_b32_e32 v3, vcc_hi, v2
	v_xor_b32_e32 v2, vcc_lo, v2
	v_and_b32_e32 v0, v0, v3
	v_and_b32_e32 v44, v44, v2
	v_lshlrev_b32_e32 v3, 29, v43
	v_mov_b32_e32 v2, v1
	v_cmp_gt_i64_e32 vcc, 0, v[2:3]
	v_not_b32_e32 v2, v3
	v_ashrrev_i32_e32 v2, 31, v2
	v_xor_b32_e32 v3, vcc_hi, v2
	v_xor_b32_e32 v2, vcc_lo, v2
	v_and_b32_e32 v0, v0, v3
	v_and_b32_e32 v44, v44, v2
	v_lshlrev_b32_e32 v3, 28, v43
	v_mov_b32_e32 v2, v1
	v_cmp_gt_i64_e32 vcc, 0, v[2:3]
	v_not_b32_e32 v2, v3
	v_ashrrev_i32_e32 v2, 31, v2
	;; [unrolled: 9-line block ×5, first 2 shown]
	v_xor_b32_e32 v3, vcc_hi, v2
	v_xor_b32_e32 v2, vcc_lo, v2
	v_and_b32_e32 v0, v0, v3
	v_lshlrev_b32_e32 v3, 24, v43
	v_and_b32_e32 v44, v44, v2
	v_mov_b32_e32 v2, v1
	v_not_b32_e32 v1, v3
	v_cmp_gt_i64_e32 vcc, 0, v[2:3]
	v_ashrrev_i32_e32 v1, 31, v1
	ds_read_b32 v35, v7 offset:64
	v_xor_b32_e32 v2, vcc_hi, v1
	v_xor_b32_e32 v3, vcc_lo, v1
	v_and_b32_e32 v1, v0, v2
	v_and_b32_e32 v0, v44, v3
	v_mbcnt_lo_u32_b32 v2, v0, 0
	v_mbcnt_hi_u32_b32 v43, v1, v2
	v_cmp_eq_u32_e32 vcc, 0, v43
	v_cmp_ne_u64_e64 s[20:21], 0, v[0:1]
	s_and_b64 s[22:23], s[20:21], vcc
	; wave barrier
	s_and_saveexec_b64 s[20:21], s[22:23]
	s_cbranch_execz .LBB2477_33
; %bb.32:
	v_bcnt_u32_b32 v0, v0, 0
	v_bcnt_u32_b32 v0, v1, v0
	s_waitcnt lgkmcnt(0)
	v_add_u32_e32 v0, v35, v0
	ds_write_b32 v7, v0 offset:64
.LBB2477_33:
	s_or_b64 exec, exec, s[20:21]
	; wave barrier
	s_waitcnt lgkmcnt(0)
	s_barrier
	ds_read2_b32 v[2:3], v21 offset0:16 offset1:17
	ds_read2_b32 v[0:1], v21 offset0:18 offset1:19
	ds_read_b32 v44, v21 offset:80
	v_cmp_lt_u32_e64 s[28:29], 31, v20
	s_waitcnt lgkmcnt(1)
	v_add3_u32 v45, v3, v2, v0
	s_waitcnt lgkmcnt(0)
	v_add3_u32 v44, v45, v1, v44
	v_and_b32_e32 v45, 15, v20
	v_cmp_eq_u32_e32 vcc, 0, v45
	v_mov_b32_dpp v46, v44 row_shr:1 row_mask:0xf bank_mask:0xf
	v_cmp_lt_u32_e64 s[20:21], 1, v45
	v_cndmask_b32_e64 v46, v46, 0, vcc
	v_add_u32_e32 v44, v46, v44
	v_cmp_lt_u32_e64 s[22:23], 3, v45
	v_cmp_lt_u32_e64 s[24:25], 7, v45
	v_mov_b32_dpp v46, v44 row_shr:2 row_mask:0xf bank_mask:0xf
	v_cndmask_b32_e64 v46, 0, v46, s[20:21]
	v_add_u32_e32 v44, v44, v46
	s_nop 1
	v_mov_b32_dpp v46, v44 row_shr:4 row_mask:0xf bank_mask:0xf
	v_cndmask_b32_e64 v46, 0, v46, s[22:23]
	v_add_u32_e32 v44, v44, v46
	s_nop 1
	v_mov_b32_dpp v46, v44 row_shr:8 row_mask:0xf bank_mask:0xf
	v_cndmask_b32_e64 v45, 0, v46, s[24:25]
	v_add_u32_e32 v44, v44, v45
	v_bfe_i32 v46, v20, 4, 1
	s_nop 0
	v_mov_b32_dpp v45, v44 row_bcast:15 row_mask:0xf bank_mask:0xf
	v_and_b32_e32 v45, v46, v45
	v_add_u32_e32 v44, v44, v45
	v_and_b32_e32 v46, 63, v8
	s_nop 0
	v_mov_b32_dpp v45, v44 row_bcast:31 row_mask:0xf bank_mask:0xf
	v_cndmask_b32_e64 v45, 0, v45, s[28:29]
	v_add_u32_e32 v44, v44, v45
	v_lshrrev_b32_e32 v45, 6, v8
	v_cmp_eq_u32_e64 s[28:29], 63, v46
	s_and_saveexec_b64 s[30:31], s[28:29]
; %bb.34:
	v_lshlrev_b32_e32 v46, 2, v45
	ds_write_b32 v46, v44
; %bb.35:
	s_or_b64 exec, exec, s[30:31]
	v_cmp_gt_u32_e64 s[28:29], 16, v8
	s_waitcnt lgkmcnt(0)
	s_barrier
	s_and_saveexec_b64 s[30:31], s[28:29]
	s_cbranch_execz .LBB2477_37
; %bb.36:
	v_lshlrev_b32_e32 v46, 2, v8
	ds_read_b32 v47, v46
	s_waitcnt lgkmcnt(0)
	s_nop 0
	v_mov_b32_dpp v48, v47 row_shr:1 row_mask:0xf bank_mask:0xf
	v_cndmask_b32_e64 v48, v48, 0, vcc
	v_add_u32_e32 v47, v48, v47
	s_nop 1
	v_mov_b32_dpp v48, v47 row_shr:2 row_mask:0xf bank_mask:0xf
	v_cndmask_b32_e64 v48, 0, v48, s[20:21]
	v_add_u32_e32 v47, v47, v48
	s_nop 1
	v_mov_b32_dpp v48, v47 row_shr:4 row_mask:0xf bank_mask:0xf
	v_cndmask_b32_e64 v48, 0, v48, s[22:23]
	;; [unrolled: 4-line block ×3, first 2 shown]
	v_add_u32_e32 v47, v47, v48
	ds_write_b32 v46, v47
.LBB2477_37:
	s_or_b64 exec, exec, s[30:31]
	v_cmp_lt_u32_e32 vcc, 63, v8
	v_mov_b32_e32 v46, 0
	s_waitcnt lgkmcnt(0)
	s_barrier
	s_and_saveexec_b64 s[20:21], vcc
; %bb.38:
	v_lshl_add_u32 v45, v45, 2, -4
	ds_read_b32 v46, v45
; %bb.39:
	s_or_b64 exec, exec, s[20:21]
	v_subrev_co_u32_e32 v45, vcc, 1, v20
	v_and_b32_e32 v47, 64, v20
	v_cmp_lt_i32_e64 s[20:21], v45, v47
	s_waitcnt lgkmcnt(0)
	v_add_u32_e32 v44, v46, v44
	s_movk_i32 s22, 0x100
	v_cndmask_b32_e64 v20, v45, v20, s[20:21]
	v_lshlrev_b32_e32 v20, 2, v20
	ds_bpermute_b32 v20, v20, v44
	s_movk_i32 s20, 0xff
	v_cmp_lt_u32_e64 s[20:21], s20, v8
	s_waitcnt lgkmcnt(0)
	v_cndmask_b32_e32 v20, v20, v46, vcc
	v_cmp_ne_u32_e32 vcc, 0, v8
	s_nop 1
	v_cndmask_b32_e32 v20, 0, v20, vcc
	v_add_u32_e32 v2, v20, v2
	v_add_u32_e32 v3, v2, v3
	;; [unrolled: 1-line block ×4, first 2 shown]
	ds_write2_b32 v21, v20, v2 offset0:16 offset1:17
	ds_write2_b32 v21, v3, v0 offset0:18 offset1:19
	ds_write_b32 v21, v1 offset:80
	s_waitcnt lgkmcnt(0)
	s_barrier
	ds_read_b32 v26, v26 offset:64
	ds_read_b32 v45, v27 offset:64
	;; [unrolled: 1-line block ×8, first 2 shown]
	v_cmp_gt_u32_e32 vcc, s22, v8
                                        ; implicit-def: $vgpr6
                                        ; implicit-def: $vgpr7
	s_and_saveexec_b64 s[24:25], vcc
	s_cbranch_execz .LBB2477_43
; %bb.40:
	v_mul_u32_u24_e32 v0, 0x44, v8
	ds_read_b32 v6, v0 offset:64
	v_add_u32_e32 v1, 1, v8
	v_cmp_ne_u32_e64 s[22:23], s22, v1
	v_mov_b32_e32 v0, 0x2000
	s_and_saveexec_b64 s[28:29], s[22:23]
; %bb.41:
	v_mul_u32_u24_e32 v0, 0x44, v1
	ds_read_b32 v0, v0 offset:64
; %bb.42:
	s_or_b64 exec, exec, s[28:29]
	s_waitcnt lgkmcnt(0)
	v_sub_u32_e32 v7, v0, v6
.LBB2477_43:
	s_or_b64 exec, exec, s[24:25]
	v_mov_b32_e32 v1, 0
	v_lshlrev_b32_e32 v20, 2, v8
	s_waitcnt lgkmcnt(0)
	s_barrier
	s_and_saveexec_b64 s[22:23], vcc
	s_cbranch_execz .LBB2477_53
; %bb.44:
	v_lshl_add_u32 v0, s4, 8, v8
	v_lshl_add_u64 v[2:3], v[0:1], 2, s[52:53]
	v_or_b32_e32 v0, 2.0, v7
	s_mov_b64 s[24:25], 0
	s_brev_b32 s34, -4
	s_mov_b32 s35, s4
	v_mov_b32_e32 v27, 0
	global_store_dword v[2:3], v0, off sc1
                                        ; implicit-def: $sgpr28_sgpr29
	s_branch .LBB2477_47
.LBB2477_45:                            ;   in Loop: Header=BB2477_47 Depth=1
	s_or_b64 exec, exec, s[30:31]
.LBB2477_46:                            ;   in Loop: Header=BB2477_47 Depth=1
	s_or_b64 exec, exec, s[28:29]
	v_and_b32_e32 v4, 0x3fffffff, v0
	v_add_u32_e32 v27, v4, v27
	v_cmp_gt_i32_e64 s[28:29], -2.0, v0
	s_and_b64 s[30:31], exec, s[28:29]
	s_or_b64 s[24:25], s[30:31], s[24:25]
	s_andn2_b64 exec, exec, s[24:25]
	s_cbranch_execz .LBB2477_52
.LBB2477_47:                            ; =>This Loop Header: Depth=1
                                        ;     Child Loop BB2477_50 Depth 2
	s_or_b64 s[28:29], s[28:29], exec
	s_cmp_eq_u32 s35, 0
	s_cbranch_scc1 .LBB2477_51
; %bb.48:                               ;   in Loop: Header=BB2477_47 Depth=1
	s_add_i32 s35, s35, -1
	v_lshl_or_b32 v0, s35, 8, v8
	v_lshl_add_u64 v[4:5], v[0:1], 2, s[52:53]
	global_load_dword v0, v[4:5], off sc1
	s_waitcnt vmcnt(0)
	v_cmp_gt_u32_e32 vcc, 2.0, v0
	s_and_saveexec_b64 s[28:29], vcc
	s_cbranch_execz .LBB2477_46
; %bb.49:                               ;   in Loop: Header=BB2477_47 Depth=1
	s_mov_b64 s[30:31], 0
.LBB2477_50:                            ;   Parent Loop BB2477_47 Depth=1
                                        ; =>  This Inner Loop Header: Depth=2
	global_load_dword v0, v[4:5], off sc1
	s_waitcnt vmcnt(0)
	v_cmp_lt_u32_e32 vcc, s34, v0
	s_or_b64 s[30:31], vcc, s[30:31]
	s_andn2_b64 exec, exec, s[30:31]
	s_cbranch_execnz .LBB2477_50
	s_branch .LBB2477_45
.LBB2477_51:                            ;   in Loop: Header=BB2477_47 Depth=1
                                        ; implicit-def: $sgpr35
	s_and_b64 s[30:31], exec, s[28:29]
	s_or_b64 s[24:25], s[30:31], s[24:25]
	s_andn2_b64 exec, exec, s[24:25]
	s_cbranch_execnz .LBB2477_47
.LBB2477_52:
	s_or_b64 exec, exec, s[24:25]
	v_add_u32_e32 v0, v27, v7
	v_or_b32_e32 v0, 0x80000000, v0
	global_store_dword v[2:3], v0, off sc1
	global_load_dword v0, v20, s[44:45]
	v_sub_u32_e32 v1, v27, v6
	s_waitcnt vmcnt(0)
	v_add_u32_e32 v0, v1, v0
	ds_write_b32 v20, v0
.LBB2477_53:
	s_or_b64 exec, exec, s[22:23]
	s_load_dwordx2 s[22:23], s[0:1], 0x4
	v_add_u32_e32 v27, v26, v22
	v_add3_u32 v26, v24, v23, v45
	v_add3_u32 v24, v29, v25, v46
	;; [unrolled: 1-line block ×3, first 2 shown]
	s_waitcnt lgkmcnt(0)
	s_lshr_b32 s0, s22, 16
	s_mul_i32 s0, s0, s23
	v_mul_lo_u32 v0, s0, v8
	v_mad_u32_u24 v0, v9, s23, v0
	v_add_lshl_u32 v0, v0, v14, 5
	v_add3_u32 v22, v38, v34, v21
	v_add3_u32 v21, v40, v39, v31
	;; [unrolled: 1-line block ×4, first 2 shown]
	v_add_u32_e32 v2, 0x5050, v0
	v_add_u32_e32 v3, 0x5060, v0
	v_lshlrev_b32_e32 v25, 2, v4
	v_lshlrev_b32_e32 v29, 2, v5
	;; [unrolled: 1-line block ×8, first 2 shown]
	s_mov_b32 s24, 0
	s_mov_b64 s[0:1], -1
	v_mov_b32_e32 v1, 0
	s_movk_i32 s25, 0x400
	s_movk_i32 s28, 0x800
	;; [unrolled: 1-line block ×3, first 2 shown]
	v_mov_b32_e32 v38, v27
	v_mov_b32_e32 v39, v26
	v_mov_b32_e32 v40, v24
	v_mov_b32_e32 v41, v23
	v_mov_b32_e32 v42, v22
	v_mov_b32_e32 v43, v21
	v_mov_b32_e32 v44, v5
	v_mov_b32_e32 v45, v4
	v_mov_b32_e32 v46, v2
	s_mov_b32 s30, 0
	s_branch .LBB2477_55
.LBB2477_54:                            ;   in Loop: Header=BB2477_55 Depth=1
	s_or_b64 exec, exec, s[22:23]
	s_xor_b64 s[22:23], s[0:1], -1
	s_addk_i32 s30, 0x1000
	s_addk_i32 s24, 0xc000
	s_mov_b64 s[0:1], 0
	s_and_b64 vcc, exec, s[22:23]
	v_mov_b32_e32 v46, v3
	s_waitcnt lgkmcnt(0)
	s_barrier
	s_cbranch_vccnz .LBB2477_79
.LBB2477_55:                            ; =>This Inner Loop Header: Depth=1
	v_subrev_co_u32_e32 v38, vcc, 0x1000, v38
	s_and_saveexec_b64 s[22:23], vcc
	s_cbranch_execz .LBB2477_63
; %bb.56:                               ;   in Loop: Header=BB2477_55 Depth=1
	v_add_u32_e32 v0, s24, v36
	ds_write_b32 v0, v19 offset:1024
	s_or_b64 exec, exec, s[22:23]
	v_subrev_co_u32_e32 v39, vcc, 0x1000, v39
	s_and_saveexec_b64 s[22:23], vcc
	s_cbranch_execnz .LBB2477_64
.LBB2477_57:                            ;   in Loop: Header=BB2477_55 Depth=1
	s_or_b64 exec, exec, s[22:23]
	v_subrev_co_u32_e32 v40, vcc, 0x1000, v40
	s_and_saveexec_b64 s[22:23], vcc
	s_cbranch_execz .LBB2477_65
.LBB2477_58:                            ;   in Loop: Header=BB2477_55 Depth=1
	v_add_u32_e32 v0, s24, v34
	ds_write_b32 v0, v13 offset:1024
	s_or_b64 exec, exec, s[22:23]
	v_subrev_co_u32_e32 v41, vcc, 0x1000, v41
	s_and_saveexec_b64 s[22:23], vcc
	s_cbranch_execnz .LBB2477_66
.LBB2477_59:                            ;   in Loop: Header=BB2477_55 Depth=1
	s_or_b64 exec, exec, s[22:23]
	v_subrev_co_u32_e32 v42, vcc, 0x1000, v42
	s_and_saveexec_b64 s[22:23], vcc
	s_cbranch_execz .LBB2477_67
.LBB2477_60:                            ;   in Loop: Header=BB2477_55 Depth=1
	v_add_u32_e32 v0, s24, v31
	ds_write_b32 v0, v11 offset:1024
	s_or_b64 exec, exec, s[22:23]
	v_subrev_co_u32_e32 v43, vcc, 0x1000, v43
	s_and_saveexec_b64 s[22:23], vcc
	s_cbranch_execnz .LBB2477_68
.LBB2477_61:                            ;   in Loop: Header=BB2477_55 Depth=1
	s_or_b64 exec, exec, s[22:23]
	v_subrev_co_u32_e32 v44, vcc, 0x1000, v44
	s_and_saveexec_b64 s[22:23], vcc
	s_cbranch_execz .LBB2477_69
.LBB2477_62:                            ;   in Loop: Header=BB2477_55 Depth=1
	v_add_u32_e32 v0, s24, v29
	ds_write_b32 v0, v32 offset:1024
	s_or_b64 exec, exec, s[22:23]
	v_subrev_co_u32_e32 v45, vcc, 0x1000, v45
	s_and_saveexec_b64 s[22:23], vcc
	s_cbranch_execnz .LBB2477_70
	s_branch .LBB2477_71
.LBB2477_63:                            ;   in Loop: Header=BB2477_55 Depth=1
	s_or_b64 exec, exec, s[22:23]
	v_subrev_co_u32_e32 v39, vcc, 0x1000, v39
	s_and_saveexec_b64 s[22:23], vcc
	s_cbranch_execz .LBB2477_57
.LBB2477_64:                            ;   in Loop: Header=BB2477_55 Depth=1
	v_add_u32_e32 v0, s24, v35
	ds_write_b32 v0, v12 offset:1024
	s_or_b64 exec, exec, s[22:23]
	v_subrev_co_u32_e32 v40, vcc, 0x1000, v40
	s_and_saveexec_b64 s[22:23], vcc
	s_cbranch_execnz .LBB2477_58
.LBB2477_65:                            ;   in Loop: Header=BB2477_55 Depth=1
	s_or_b64 exec, exec, s[22:23]
	v_subrev_co_u32_e32 v41, vcc, 0x1000, v41
	s_and_saveexec_b64 s[22:23], vcc
	s_cbranch_execz .LBB2477_59
.LBB2477_66:                            ;   in Loop: Header=BB2477_55 Depth=1
	v_add_u32_e32 v0, s24, v33
	ds_write_b32 v0, v10 offset:1024
	s_or_b64 exec, exec, s[22:23]
	v_subrev_co_u32_e32 v42, vcc, 0x1000, v42
	s_and_saveexec_b64 s[22:23], vcc
	s_cbranch_execnz .LBB2477_60
.LBB2477_67:                            ;   in Loop: Header=BB2477_55 Depth=1
	s_or_b64 exec, exec, s[22:23]
	v_subrev_co_u32_e32 v43, vcc, 0x1000, v43
	s_and_saveexec_b64 s[22:23], vcc
	s_cbranch_execz .LBB2477_61
.LBB2477_68:                            ;   in Loop: Header=BB2477_55 Depth=1
	v_add_u32_e32 v0, s24, v30
	ds_write_b32 v0, v28 offset:1024
	s_or_b64 exec, exec, s[22:23]
	v_subrev_co_u32_e32 v44, vcc, 0x1000, v44
	s_and_saveexec_b64 s[22:23], vcc
	s_cbranch_execnz .LBB2477_62
.LBB2477_69:                            ;   in Loop: Header=BB2477_55 Depth=1
	s_or_b64 exec, exec, s[22:23]
	v_subrev_co_u32_e32 v45, vcc, 0x1000, v45
	s_and_saveexec_b64 s[22:23], vcc
.LBB2477_70:                            ;   in Loop: Header=BB2477_55 Depth=1
	v_add_u32_e32 v0, s24, v25
	ds_write_b32 v0, v37 offset:1024
.LBB2477_71:                            ;   in Loop: Header=BB2477_55 Depth=1
	s_or_b64 exec, exec, s[22:23]
	v_add_u32_e32 v47, s30, v8
	v_cmp_gt_u32_e32 vcc, s5, v47
	s_waitcnt lgkmcnt(0)
	s_barrier
	s_and_saveexec_b64 s[22:23], vcc
	s_cbranch_execz .LBB2477_73
; %bb.72:                               ;   in Loop: Header=BB2477_55 Depth=1
	ds_read_b32 v0, v20 offset:1024
	s_waitcnt lgkmcnt(0)
	v_lshrrev_b32_e32 v48, s48, v0
	v_and_b32_e32 v50, s54, v48
	v_lshlrev_b32_e32 v48, 2, v50
	ds_read_b32 v48, v48
	v_xor_b32_e32 v51, 0x80000000, v0
	ds_write_b32 v46, v50
	s_waitcnt lgkmcnt(1)
	v_add_u32_e32 v0, v47, v48
	v_lshl_add_u64 v[48:49], v[0:1], 2, s[38:39]
	global_store_dword v[48:49], v51, off
.LBB2477_73:                            ;   in Loop: Header=BB2477_55 Depth=1
	s_or_b64 exec, exec, s[22:23]
	v_add_u32_e32 v0, 0x400, v47
	v_cmp_gt_u32_e32 vcc, s5, v0
	s_and_saveexec_b64 s[22:23], vcc
	s_cbranch_execz .LBB2477_75
; %bb.74:                               ;   in Loop: Header=BB2477_55 Depth=1
	ds_read_b32 v0, v20 offset:5120
	s_waitcnt lgkmcnt(0)
	v_lshrrev_b32_e32 v48, s48, v0
	v_and_b32_e32 v50, s54, v48
	v_lshlrev_b32_e32 v48, 2, v50
	ds_read_b32 v48, v48
	v_xor_b32_e32 v51, 0x80000000, v0
	ds_write_b32 v46, v50 offset:4
	s_waitcnt lgkmcnt(1)
	v_add3_u32 v0, v47, v48, s25
	v_lshl_add_u64 v[48:49], v[0:1], 2, s[38:39]
	global_store_dword v[48:49], v51, off
.LBB2477_75:                            ;   in Loop: Header=BB2477_55 Depth=1
	s_or_b64 exec, exec, s[22:23]
	v_add_u32_e32 v0, 0x800, v47
	v_cmp_gt_u32_e32 vcc, s5, v0
	s_and_saveexec_b64 s[22:23], vcc
	s_cbranch_execz .LBB2477_77
; %bb.76:                               ;   in Loop: Header=BB2477_55 Depth=1
	ds_read_b32 v0, v20 offset:9216
	s_waitcnt lgkmcnt(0)
	v_lshrrev_b32_e32 v48, s48, v0
	v_and_b32_e32 v50, s54, v48
	v_lshlrev_b32_e32 v48, 2, v50
	ds_read_b32 v48, v48
	v_xor_b32_e32 v51, 0x80000000, v0
	ds_write_b32 v46, v50 offset:8
	s_waitcnt lgkmcnt(1)
	v_add3_u32 v0, v47, v48, s28
	v_lshl_add_u64 v[48:49], v[0:1], 2, s[38:39]
	global_store_dword v[48:49], v51, off
.LBB2477_77:                            ;   in Loop: Header=BB2477_55 Depth=1
	s_or_b64 exec, exec, s[22:23]
	v_add_u32_e32 v0, 0xc00, v47
	v_cmp_gt_u32_e32 vcc, s5, v0
	s_and_saveexec_b64 s[22:23], vcc
	s_cbranch_execz .LBB2477_54
; %bb.78:                               ;   in Loop: Header=BB2477_55 Depth=1
	ds_read_b32 v0, v20 offset:13312
	s_waitcnt lgkmcnt(0)
	v_lshrrev_b32_e32 v48, s48, v0
	v_and_b32_e32 v50, s54, v48
	v_lshlrev_b32_e32 v48, 2, v50
	ds_read_b32 v48, v48
	v_xor_b32_e32 v51, 0x80000000, v0
	ds_write_b32 v46, v50 offset:12
	s_waitcnt lgkmcnt(1)
	v_add3_u32 v0, v47, v48, s29
	v_lshl_add_u64 v[48:49], v[0:1], 2, s[38:39]
	global_store_dword v[48:49], v51, off
	s_branch .LBB2477_54
.LBB2477_79:
	s_lshl_b64 s[0:1], s[50:51], 1
	s_add_u32 s0, s40, s0
	s_addc_u32 s1, s41, s1
	v_lshlrev_b32_e32 v0, 1, v18
	v_mov_b32_e32 v1, 0
	v_lshl_add_u64 v[10:11], s[0:1], 0, v[0:1]
	v_lshlrev_b32_e32 v0, 1, v17
	v_lshl_add_u64 v[0:1], v[10:11], 0, v[0:1]
                                        ; implicit-def: $vgpr10
	s_and_saveexec_b64 s[0:1], s[18:19]
	s_cbranch_execz .LBB2477_87
; %bb.80:
	global_load_ushort v10, v[0:1], off
	s_or_b64 exec, exec, s[0:1]
                                        ; implicit-def: $vgpr11
	s_and_saveexec_b64 s[0:1], s[26:27]
	s_cbranch_execnz .LBB2477_88
.LBB2477_81:
	s_or_b64 exec, exec, s[0:1]
                                        ; implicit-def: $vgpr12
	s_and_saveexec_b64 s[0:1], s[6:7]
	s_cbranch_execz .LBB2477_89
.LBB2477_82:
	global_load_ushort v12, v[0:1], off offset:256
	s_or_b64 exec, exec, s[0:1]
                                        ; implicit-def: $vgpr13
	s_and_saveexec_b64 s[0:1], s[8:9]
	s_cbranch_execnz .LBB2477_90
.LBB2477_83:
	s_or_b64 exec, exec, s[0:1]
                                        ; implicit-def: $vgpr17
	s_and_saveexec_b64 s[0:1], s[10:11]
	s_cbranch_execz .LBB2477_91
.LBB2477_84:
	global_load_ushort v17, v[0:1], off offset:512
	s_or_b64 exec, exec, s[0:1]
                                        ; implicit-def: $vgpr18
	s_and_saveexec_b64 s[0:1], s[12:13]
	s_cbranch_execnz .LBB2477_92
.LBB2477_85:
	s_or_b64 exec, exec, s[0:1]
                                        ; implicit-def: $vgpr19
	s_and_saveexec_b64 s[0:1], s[14:15]
	s_cbranch_execz .LBB2477_93
.LBB2477_86:
	global_load_ushort v19, v[0:1], off offset:768
	s_or_b64 exec, exec, s[0:1]
                                        ; implicit-def: $vgpr25
	s_and_saveexec_b64 s[0:1], s[16:17]
	s_cbranch_execnz .LBB2477_94
	s_branch .LBB2477_95
.LBB2477_87:
	s_or_b64 exec, exec, s[0:1]
                                        ; implicit-def: $vgpr11
	s_and_saveexec_b64 s[0:1], s[26:27]
	s_cbranch_execz .LBB2477_81
.LBB2477_88:
	global_load_ushort v11, v[0:1], off offset:128
	s_or_b64 exec, exec, s[0:1]
                                        ; implicit-def: $vgpr12
	s_and_saveexec_b64 s[0:1], s[6:7]
	s_cbranch_execnz .LBB2477_82
.LBB2477_89:
	s_or_b64 exec, exec, s[0:1]
                                        ; implicit-def: $vgpr13
	s_and_saveexec_b64 s[0:1], s[8:9]
	s_cbranch_execz .LBB2477_83
.LBB2477_90:
	global_load_ushort v13, v[0:1], off offset:384
	s_or_b64 exec, exec, s[0:1]
                                        ; implicit-def: $vgpr17
	s_and_saveexec_b64 s[0:1], s[10:11]
	s_cbranch_execnz .LBB2477_84
.LBB2477_91:
	s_or_b64 exec, exec, s[0:1]
                                        ; implicit-def: $vgpr18
	s_and_saveexec_b64 s[0:1], s[12:13]
	s_cbranch_execz .LBB2477_85
.LBB2477_92:
	global_load_ushort v18, v[0:1], off offset:640
	s_or_b64 exec, exec, s[0:1]
                                        ; implicit-def: $vgpr19
	s_and_saveexec_b64 s[0:1], s[14:15]
	s_cbranch_execnz .LBB2477_86
.LBB2477_93:
	s_or_b64 exec, exec, s[0:1]
                                        ; implicit-def: $vgpr25
	s_and_saveexec_b64 s[0:1], s[16:17]
	s_cbranch_execz .LBB2477_95
.LBB2477_94:
	global_load_ushort v25, v[0:1], off offset:896
.LBB2477_95:
	s_or_b64 exec, exec, s[0:1]
	s_movk_i32 s6, 0x2000
	v_cmp_gt_u32_e32 vcc, s6, v27
	s_and_saveexec_b64 s[0:1], vcc
	s_cbranch_execz .LBB2477_103
; %bb.96:
	v_lshlrev_b32_e32 v0, 1, v27
	s_waitcnt vmcnt(0)
	ds_write_b16 v0, v10 offset:1024
	s_or_b64 exec, exec, s[0:1]
	v_cmp_gt_u32_e32 vcc, s6, v26
	s_and_saveexec_b64 s[0:1], vcc
	s_cbranch_execnz .LBB2477_104
.LBB2477_97:
	s_or_b64 exec, exec, s[0:1]
	v_cmp_gt_u32_e32 vcc, s6, v24
	s_and_saveexec_b64 s[0:1], vcc
	s_cbranch_execz .LBB2477_105
.LBB2477_98:
	v_lshlrev_b32_e32 v0, 1, v24
	s_waitcnt vmcnt(0)
	ds_write_b16 v0, v12 offset:1024
	s_or_b64 exec, exec, s[0:1]
	v_cmp_gt_u32_e32 vcc, s6, v23
	s_and_saveexec_b64 s[0:1], vcc
	s_cbranch_execnz .LBB2477_106
.LBB2477_99:
	s_or_b64 exec, exec, s[0:1]
	v_cmp_gt_u32_e32 vcc, s6, v22
	s_and_saveexec_b64 s[0:1], vcc
	s_cbranch_execz .LBB2477_107
.LBB2477_100:
	v_lshlrev_b32_e32 v0, 1, v22
	s_waitcnt vmcnt(0)
	ds_write_b16 v0, v17 offset:1024
	s_or_b64 exec, exec, s[0:1]
	v_cmp_gt_u32_e32 vcc, s6, v21
	s_and_saveexec_b64 s[0:1], vcc
	s_cbranch_execnz .LBB2477_108
.LBB2477_101:
	s_or_b64 exec, exec, s[0:1]
	v_cmp_gt_u32_e32 vcc, s6, v5
	s_and_saveexec_b64 s[0:1], vcc
	s_cbranch_execz .LBB2477_109
.LBB2477_102:
	v_lshlrev_b32_e32 v0, 1, v5
	s_waitcnt vmcnt(0)
	ds_write_b16 v0, v19 offset:1024
	s_or_b64 exec, exec, s[0:1]
	v_cmp_gt_u32_e32 vcc, s6, v4
	s_and_saveexec_b64 s[0:1], vcc
	s_cbranch_execnz .LBB2477_110
	s_branch .LBB2477_111
.LBB2477_103:
	s_or_b64 exec, exec, s[0:1]
	v_cmp_gt_u32_e32 vcc, s6, v26
	s_and_saveexec_b64 s[0:1], vcc
	s_cbranch_execz .LBB2477_97
.LBB2477_104:
	v_lshlrev_b32_e32 v0, 1, v26
	s_waitcnt vmcnt(0)
	ds_write_b16 v0, v11 offset:1024
	s_or_b64 exec, exec, s[0:1]
	v_cmp_gt_u32_e32 vcc, s6, v24
	s_and_saveexec_b64 s[0:1], vcc
	s_cbranch_execnz .LBB2477_98
.LBB2477_105:
	s_or_b64 exec, exec, s[0:1]
	v_cmp_gt_u32_e32 vcc, s6, v23
	s_and_saveexec_b64 s[0:1], vcc
	s_cbranch_execz .LBB2477_99
.LBB2477_106:
	v_lshlrev_b32_e32 v0, 1, v23
	s_waitcnt vmcnt(0)
	ds_write_b16 v0, v13 offset:1024
	s_or_b64 exec, exec, s[0:1]
	v_cmp_gt_u32_e32 vcc, s6, v22
	s_and_saveexec_b64 s[0:1], vcc
	s_cbranch_execnz .LBB2477_100
.LBB2477_107:
	s_or_b64 exec, exec, s[0:1]
	v_cmp_gt_u32_e32 vcc, s6, v21
	s_and_saveexec_b64 s[0:1], vcc
	s_cbranch_execz .LBB2477_101
.LBB2477_108:
	v_lshlrev_b32_e32 v0, 1, v21
	s_waitcnt vmcnt(0)
	ds_write_b16 v0, v18 offset:1024
	s_or_b64 exec, exec, s[0:1]
	v_cmp_gt_u32_e32 vcc, s6, v5
	s_and_saveexec_b64 s[0:1], vcc
	s_cbranch_execnz .LBB2477_102
.LBB2477_109:
	s_or_b64 exec, exec, s[0:1]
	v_cmp_gt_u32_e32 vcc, s6, v4
	s_and_saveexec_b64 s[0:1], vcc
	s_cbranch_execz .LBB2477_111
.LBB2477_110:
	v_lshlrev_b32_e32 v0, 1, v4
	s_waitcnt vmcnt(0)
	ds_write_b16 v0, v25 offset:1024
.LBB2477_111:
	s_or_b64 exec, exec, s[0:1]
	v_cmp_gt_u32_e32 vcc, s5, v8
	s_waitcnt lgkmcnt(0)
	s_barrier
	s_and_saveexec_b64 s[0:1], vcc
	s_cbranch_execz .LBB2477_113
; %bb.112:
	ds_read_b32 v0, v2
	v_lshlrev_b32_e32 v1, 1, v8
	ds_read_u16 v4, v1 offset:1024
	v_mov_b32_e32 v1, 0
	s_waitcnt lgkmcnt(1)
	v_lshlrev_b32_e32 v0, 2, v0
	ds_read_b32 v0, v0
	s_waitcnt lgkmcnt(0)
	v_add_u32_e32 v0, v0, v8
	v_lshl_add_u64 v[0:1], v[0:1], 1, s[42:43]
	global_store_short v[0:1], v4, off
.LBB2477_113:
	s_or_b64 exec, exec, s[0:1]
	v_or_b32_e32 v0, 0x400, v8
	v_cmp_gt_u32_e32 vcc, s5, v0
	s_and_saveexec_b64 s[0:1], vcc
	s_cbranch_execz .LBB2477_115
; %bb.114:
	ds_read_b32 v1, v2 offset:4
	v_lshlrev_b32_e32 v4, 1, v8
	ds_read_u16 v4, v4 offset:3072
	s_waitcnt lgkmcnt(1)
	v_lshlrev_b32_e32 v1, 2, v1
	ds_read_b32 v1, v1
	s_waitcnt lgkmcnt(0)
	v_add_u32_e32 v0, v1, v0
	v_mov_b32_e32 v1, 0
	v_lshl_add_u64 v[0:1], v[0:1], 1, s[42:43]
	global_store_short v[0:1], v4, off
.LBB2477_115:
	s_or_b64 exec, exec, s[0:1]
	v_or_b32_e32 v0, 0x800, v8
	v_cmp_gt_u32_e32 vcc, s5, v0
	s_and_saveexec_b64 s[0:1], vcc
	s_cbranch_execz .LBB2477_117
; %bb.116:
	ds_read_b32 v1, v2 offset:8
	v_lshlrev_b32_e32 v4, 1, v8
	ds_read_u16 v4, v4 offset:5120
	s_waitcnt lgkmcnt(1)
	v_lshlrev_b32_e32 v1, 2, v1
	ds_read_b32 v1, v1
	s_waitcnt lgkmcnt(0)
	v_add_u32_e32 v0, v1, v0
	v_mov_b32_e32 v1, 0
	v_lshl_add_u64 v[0:1], v[0:1], 1, s[42:43]
	global_store_short v[0:1], v4, off
.LBB2477_117:
	;; [unrolled: 18-line block ×3, first 2 shown]
	s_or_b64 exec, exec, s[0:1]
	v_or_b32_e32 v0, 0x1000, v8
	v_cmp_gt_u32_e32 vcc, s5, v0
	s_and_saveexec_b64 s[0:1], vcc
	s_cbranch_execz .LBB2477_121
; %bb.120:
	ds_read_b32 v1, v3
	v_lshlrev_b32_e32 v3, 1, v8
	ds_read_u16 v3, v3 offset:9216
	s_waitcnt lgkmcnt(1)
	v_lshlrev_b32_e32 v1, 2, v1
	ds_read_b32 v1, v1
	s_waitcnt lgkmcnt(0)
	v_add_u32_e32 v0, v1, v0
	v_mov_b32_e32 v1, 0
	v_lshl_add_u64 v[0:1], v[0:1], 1, s[42:43]
	global_store_short v[0:1], v3, off
.LBB2477_121:
	s_or_b64 exec, exec, s[0:1]
	v_or_b32_e32 v0, 0x1400, v8
	v_cmp_gt_u32_e32 vcc, s5, v0
	s_and_saveexec_b64 s[0:1], vcc
	s_cbranch_execz .LBB2477_123
; %bb.122:
	ds_read_b32 v1, v2 offset:20
	v_lshlrev_b32_e32 v3, 1, v8
	ds_read_u16 v3, v3 offset:11264
	s_waitcnt lgkmcnt(1)
	v_lshlrev_b32_e32 v1, 2, v1
	ds_read_b32 v1, v1
	s_waitcnt lgkmcnt(0)
	v_add_u32_e32 v0, v1, v0
	v_mov_b32_e32 v1, 0
	v_lshl_add_u64 v[0:1], v[0:1], 1, s[42:43]
	global_store_short v[0:1], v3, off
.LBB2477_123:
	s_or_b64 exec, exec, s[0:1]
	v_or_b32_e32 v0, 0x1800, v8
	v_cmp_gt_u32_e32 vcc, s5, v0
	s_and_saveexec_b64 s[0:1], vcc
	s_cbranch_execz .LBB2477_125
; %bb.124:
	ds_read_b32 v1, v2 offset:24
	v_lshlrev_b32_e32 v3, 1, v8
	ds_read_u16 v3, v3 offset:13312
	s_waitcnt lgkmcnt(1)
	v_lshlrev_b32_e32 v1, 2, v1
	ds_read_b32 v1, v1
	s_waitcnt lgkmcnt(0)
	v_add_u32_e32 v0, v1, v0
	v_mov_b32_e32 v1, 0
	v_lshl_add_u64 v[0:1], v[0:1], 1, s[42:43]
	global_store_short v[0:1], v3, off
.LBB2477_125:
	;; [unrolled: 18-line block ×3, first 2 shown]
	s_or_b64 exec, exec, s[0:1]
	s_add_i32 s33, s33, -1
	s_cmp_eq_u32 s4, s33
	s_cselect_b64 s[0:1], -1, 0
	s_xor_b64 s[6:7], s[20:21], -1
	s_and_b64 s[6:7], s[6:7], s[0:1]
	s_and_saveexec_b64 s[0:1], s[6:7]
	s_cbranch_execz .LBB2477_129
; %bb.128:
	ds_read_b32 v0, v20
	s_waitcnt lgkmcnt(0)
	v_add3_u32 v0, v6, v7, v0
	global_store_dword v20, v0, s[46:47]
.LBB2477_129:
	s_or_b64 exec, exec, s[0:1]
	s_mov_b64 s[6:7], 0
.LBB2477_130:
	s_and_b64 vcc, exec, s[6:7]
	s_cbranch_vccz .LBB2477_203
; %bb.131:
	s_lshl_b32 s12, s4, 13
	s_mov_b32 s13, 0
	s_lshl_b64 s[0:1], s[12:13], 2
	v_mbcnt_hi_u32_b32 v4, -1, v16
	s_add_u32 s0, s36, s0
	v_and_b32_e32 v7, 63, v4
	s_addc_u32 s1, s37, s1
	v_and_b32_e32 v6, 0x1e00, v15
	v_mov_b32_e32 v1, 0
	v_lshlrev_b32_e32 v0, 2, v7
	v_lshl_add_u64 v[2:3], s[0:1], 0, v[0:1]
	v_lshlrev_b32_e32 v0, 2, v6
	v_lshl_add_u64 v[2:3], v[2:3], 0, v[0:1]
	global_load_dword v0, v[2:3], off
	s_load_dword s0, s[2:3], 0x64
	s_load_dword s5, s[2:3], 0x58
	s_add_u32 s1, s2, 0x58
	s_addc_u32 s2, s3, 0
	v_mul_u32_u24_e32 v5, 20, v8
	s_waitcnt lgkmcnt(0)
	s_lshr_b32 s3, s0, 16
	s_cmp_lt_u32 s4, s5
	s_cselect_b32 s0, 12, 18
	s_add_u32 s0, s1, s0
	s_addc_u32 s1, s2, 0
	global_load_ushort v15, v1, s[0:1]
	ds_write2_b32 v5, v1, v1 offset0:16 offset1:17
	ds_write2_b32 v5, v1, v1 offset0:18 offset1:19
	ds_write_b32 v5, v1 offset:80
	global_load_dword v10, v[2:3], off offset:256
	global_load_dword v11, v[2:3], off offset:512
	;; [unrolled: 1-line block ×7, first 2 shown]
	v_mad_u32_u24 v2, v14, s3, v9
	s_lshl_b32 s0, -1, s49
	s_waitcnt vmcnt(9)
	v_mov_b32_e32 v12, v1
	v_mov_b32_e32 v26, v1
	s_not_b32 s14, s0
	s_movk_i32 s15, 0x44
	v_mov_b32_e32 v16, v1
	v_mov_b32_e32 v30, v1
	;; [unrolled: 1-line block ×3, first 2 shown]
	s_waitcnt lgkmcnt(0)
	s_barrier
	s_waitcnt vmcnt(8)
	; wave barrier
	v_xor_b32_e32 v9, 0x80000000, v0
	v_lshrrev_b32_e32 v0, s48, v9
	v_bitop3_b32 v19, v0, s0, v0 bitop3:0x30
	v_and_b32_e32 v0, 1, v19
	v_lshlrev_b32_e32 v13, 30, v19
	v_lshlrev_b32_e32 v17, 29, v19
	;; [unrolled: 1-line block ×3, first 2 shown]
	v_cmp_ne_u32_e32 vcc, 0, v0
	v_cmp_gt_i64_e64 s[6:7], 0, v[26:27]
	v_mul_lo_u32 v20, v19, s15
	s_waitcnt vmcnt(7)
	v_mad_u64_u32 v[2:3], s[0:1], v2, v15, v[8:9]
	v_lshl_add_u64 v[14:15], v[0:1], 0, -1
	v_not_b32_e32 v0, v13
	v_cmp_gt_i64_e64 s[0:1], 0, v[12:13]
	v_not_b32_e32 v3, v17
	v_lshrrev_b32_e32 v26, 6, v2
	v_xor_b32_e32 v2, vcc_hi, v15
	v_xor_b32_e32 v14, vcc_lo, v14
	v_ashrrev_i32_e32 v0, 31, v0
	v_lshlrev_b32_e32 v31, 27, v19
	v_cmp_gt_i64_e64 s[2:3], 0, v[16:17]
	v_not_b32_e32 v12, v27
	v_ashrrev_i32_e32 v3, 31, v3
	v_and_b32_e32 v2, exec_hi, v2
	v_and_b32_e32 v14, exec_lo, v14
	v_xor_b32_e32 v15, s1, v0
	v_xor_b32_e32 v0, s0, v0
	v_lshlrev_b32_e32 v33, 26, v19
	v_not_b32_e32 v13, v31
	v_ashrrev_i32_e32 v12, 31, v12
	v_lshl_add_u32 v16, v26, 2, v20
	v_xor_b32_e32 v20, s3, v3
	v_xor_b32_e32 v3, s2, v3
	v_and_b32_e32 v2, v2, v15
	v_and_b32_e32 v0, v14, v0
	v_cmp_gt_i64_e64 s[8:9], 0, v[30:31]
	v_not_b32_e32 v17, v33
	v_ashrrev_i32_e32 v13, 31, v13
	v_xor_b32_e32 v23, s7, v12
	v_xor_b32_e32 v12, s6, v12
	v_and_b32_e32 v2, v2, v20
	v_and_b32_e32 v0, v0, v3
	v_cmp_gt_i64_e64 s[10:11], 0, v[32:33]
	v_xor_b32_e32 v25, s9, v13
	v_xor_b32_e32 v13, s8, v13
	v_and_b32_e32 v2, v2, v23
	v_and_b32_e32 v0, v0, v12
	v_ashrrev_i32_e32 v3, 31, v17
	v_and_b32_e32 v2, v2, v25
	v_and_b32_e32 v0, v0, v13
	v_xor_b32_e32 v12, s11, v3
	v_xor_b32_e32 v3, s10, v3
	v_and_b32_e32 v12, v2, v12
	v_and_b32_e32 v0, v0, v3
	v_lshlrev_b32_e32 v3, 25, v19
	v_mov_b32_e32 v2, v1
	v_cmp_gt_i64_e32 vcc, 0, v[2:3]
	v_not_b32_e32 v2, v3
	v_ashrrev_i32_e32 v2, 31, v2
	v_xor_b32_e32 v3, vcc_hi, v2
	v_xor_b32_e32 v2, vcc_lo, v2
	v_and_b32_e32 v12, v12, v3
	v_and_b32_e32 v0, v0, v2
	v_lshlrev_b32_e32 v3, 24, v19
	v_mov_b32_e32 v2, v1
	v_cmp_gt_i64_e32 vcc, 0, v[2:3]
	v_not_b32_e32 v2, v3
	v_ashrrev_i32_e32 v2, 31, v2
	v_xor_b32_e32 v3, vcc_hi, v2
	v_xor_b32_e32 v2, vcc_lo, v2
	v_and_b32_e32 v2, v0, v2
	v_and_b32_e32 v3, v12, v3
	v_mbcnt_lo_u32_b32 v0, v2, 0
	v_mbcnt_hi_u32_b32 v13, v3, v0
	v_cmp_eq_u32_e32 vcc, 0, v13
	v_cmp_ne_u64_e64 s[0:1], 0, v[2:3]
	s_and_b64 s[2:3], s[0:1], vcc
	s_and_saveexec_b64 s[0:1], s[2:3]
; %bb.132:
	v_bcnt_u32_b32 v0, v2, 0
	v_bcnt_u32_b32 v0, v3, v0
	ds_write_b32 v16, v0 offset:64
; %bb.133:
	s_or_b64 exec, exec, s[0:1]
	s_waitcnt vmcnt(6)
	v_xor_b32_e32 v10, 0x80000000, v10
	v_lshrrev_b32_e32 v0, s48, v10
	v_and_b32_e32 v14, s14, v0
	v_mul_lo_u32 v0, v14, s15
	v_lshl_add_u32 v19, v26, 2, v0
	v_and_b32_e32 v0, 1, v14
	v_lshl_add_u64 v[2:3], v[0:1], 0, -1
	v_cmp_ne_u32_e32 vcc, 0, v0
	; wave barrier
	s_nop 1
	v_xor_b32_e32 v2, vcc_lo, v2
	v_xor_b32_e32 v0, vcc_hi, v3
	v_and_b32_e32 v15, exec_lo, v2
	v_lshlrev_b32_e32 v3, 30, v14
	v_mov_b32_e32 v2, v1
	v_cmp_gt_i64_e32 vcc, 0, v[2:3]
	v_not_b32_e32 v2, v3
	v_ashrrev_i32_e32 v2, 31, v2
	v_and_b32_e32 v0, exec_hi, v0
	v_xor_b32_e32 v3, vcc_hi, v2
	v_xor_b32_e32 v2, vcc_lo, v2
	v_and_b32_e32 v0, v0, v3
	v_and_b32_e32 v15, v15, v2
	v_lshlrev_b32_e32 v3, 29, v14
	v_mov_b32_e32 v2, v1
	v_cmp_gt_i64_e32 vcc, 0, v[2:3]
	v_not_b32_e32 v2, v3
	v_ashrrev_i32_e32 v2, 31, v2
	v_xor_b32_e32 v3, vcc_hi, v2
	v_xor_b32_e32 v2, vcc_lo, v2
	v_and_b32_e32 v0, v0, v3
	v_and_b32_e32 v15, v15, v2
	v_lshlrev_b32_e32 v3, 28, v14
	v_mov_b32_e32 v2, v1
	v_cmp_gt_i64_e32 vcc, 0, v[2:3]
	v_not_b32_e32 v2, v3
	v_ashrrev_i32_e32 v2, 31, v2
	;; [unrolled: 9-line block ×5, first 2 shown]
	v_xor_b32_e32 v3, vcc_hi, v2
	v_xor_b32_e32 v2, vcc_lo, v2
	v_and_b32_e32 v0, v0, v3
	v_lshlrev_b32_e32 v3, 24, v14
	v_and_b32_e32 v15, v15, v2
	v_mov_b32_e32 v2, v1
	v_not_b32_e32 v1, v3
	v_cmp_gt_i64_e32 vcc, 0, v[2:3]
	v_ashrrev_i32_e32 v1, 31, v1
	ds_read_b32 v12, v19 offset:64
	v_xor_b32_e32 v2, vcc_hi, v1
	v_xor_b32_e32 v3, vcc_lo, v1
	v_and_b32_e32 v1, v0, v2
	v_and_b32_e32 v0, v15, v3
	v_mbcnt_lo_u32_b32 v2, v0, 0
	v_mbcnt_hi_u32_b32 v15, v1, v2
	v_cmp_eq_u32_e32 vcc, 0, v15
	v_cmp_ne_u64_e64 s[0:1], 0, v[0:1]
	s_and_b64 s[2:3], s[0:1], vcc
	; wave barrier
	s_and_saveexec_b64 s[0:1], s[2:3]
	s_cbranch_execz .LBB2477_135
; %bb.134:
	v_bcnt_u32_b32 v0, v0, 0
	v_bcnt_u32_b32 v0, v1, v0
	s_waitcnt lgkmcnt(0)
	v_add_u32_e32 v0, v12, v0
	ds_write_b32 v19, v0 offset:64
.LBB2477_135:
	s_or_b64 exec, exec, s[0:1]
	s_waitcnt vmcnt(5)
	v_xor_b32_e32 v11, 0x80000000, v11
	v_lshrrev_b32_e32 v0, s48, v11
	v_and_b32_e32 v14, s14, v0
	s_movk_i32 s2, 0x44
	v_mul_lo_u32 v0, v14, s2
	v_lshl_add_u32 v23, v26, 2, v0
	v_and_b32_e32 v0, 1, v14
	v_mov_b32_e32 v1, 0
	v_lshl_add_u64 v[2:3], v[0:1], 0, -1
	v_cmp_ne_u32_e32 vcc, 0, v0
	; wave barrier
	s_nop 1
	v_xor_b32_e32 v2, vcc_lo, v2
	v_xor_b32_e32 v0, vcc_hi, v3
	v_and_b32_e32 v20, exec_lo, v2
	v_lshlrev_b32_e32 v3, 30, v14
	v_mov_b32_e32 v2, v1
	v_cmp_gt_i64_e32 vcc, 0, v[2:3]
	v_not_b32_e32 v2, v3
	v_ashrrev_i32_e32 v2, 31, v2
	v_and_b32_e32 v0, exec_hi, v0
	v_xor_b32_e32 v3, vcc_hi, v2
	v_xor_b32_e32 v2, vcc_lo, v2
	v_and_b32_e32 v0, v0, v3
	v_and_b32_e32 v20, v20, v2
	v_lshlrev_b32_e32 v3, 29, v14
	v_mov_b32_e32 v2, v1
	v_cmp_gt_i64_e32 vcc, 0, v[2:3]
	v_not_b32_e32 v2, v3
	v_ashrrev_i32_e32 v2, 31, v2
	v_xor_b32_e32 v3, vcc_hi, v2
	v_xor_b32_e32 v2, vcc_lo, v2
	v_and_b32_e32 v0, v0, v3
	v_and_b32_e32 v20, v20, v2
	v_lshlrev_b32_e32 v3, 28, v14
	v_mov_b32_e32 v2, v1
	v_cmp_gt_i64_e32 vcc, 0, v[2:3]
	v_not_b32_e32 v2, v3
	v_ashrrev_i32_e32 v2, 31, v2
	v_xor_b32_e32 v3, vcc_hi, v2
	v_xor_b32_e32 v2, vcc_lo, v2
	v_and_b32_e32 v0, v0, v3
	v_and_b32_e32 v20, v20, v2
	v_lshlrev_b32_e32 v3, 27, v14
	v_mov_b32_e32 v2, v1
	v_cmp_gt_i64_e32 vcc, 0, v[2:3]
	v_not_b32_e32 v2, v3
	v_ashrrev_i32_e32 v2, 31, v2
	v_xor_b32_e32 v3, vcc_hi, v2
	v_xor_b32_e32 v2, vcc_lo, v2
	v_and_b32_e32 v0, v0, v3
	v_and_b32_e32 v20, v20, v2
	v_lshlrev_b32_e32 v3, 26, v14
	v_mov_b32_e32 v2, v1
	v_cmp_gt_i64_e32 vcc, 0, v[2:3]
	v_not_b32_e32 v2, v3
	v_ashrrev_i32_e32 v2, 31, v2
	v_xor_b32_e32 v3, vcc_hi, v2
	v_xor_b32_e32 v2, vcc_lo, v2
	v_and_b32_e32 v0, v0, v3
	v_and_b32_e32 v20, v20, v2
	v_lshlrev_b32_e32 v3, 25, v14
	v_mov_b32_e32 v2, v1
	v_cmp_gt_i64_e32 vcc, 0, v[2:3]
	v_not_b32_e32 v2, v3
	v_ashrrev_i32_e32 v2, 31, v2
	v_xor_b32_e32 v3, vcc_hi, v2
	v_xor_b32_e32 v2, vcc_lo, v2
	v_and_b32_e32 v0, v0, v3
	v_and_b32_e32 v20, v20, v2
	v_lshlrev_b32_e32 v3, 24, v14
	v_mov_b32_e32 v2, v1
	v_cmp_gt_i64_e32 vcc, 0, v[2:3]
	v_not_b32_e32 v2, v3
	v_ashrrev_i32_e32 v2, 31, v2
	v_xor_b32_e32 v3, vcc_hi, v2
	v_xor_b32_e32 v2, vcc_lo, v2
	ds_read_b32 v17, v23 offset:64
	v_and_b32_e32 v2, v20, v2
	v_and_b32_e32 v3, v0, v3
	v_mbcnt_lo_u32_b32 v0, v2, 0
	v_mbcnt_hi_u32_b32 v20, v3, v0
	v_cmp_eq_u32_e32 vcc, 0, v20
	v_cmp_ne_u64_e64 s[0:1], 0, v[2:3]
	s_and_b64 s[6:7], s[0:1], vcc
	; wave barrier
	s_and_saveexec_b64 s[0:1], s[6:7]
	s_cbranch_execz .LBB2477_137
; %bb.136:
	v_bcnt_u32_b32 v0, v2, 0
	v_bcnt_u32_b32 v0, v3, v0
	s_waitcnt lgkmcnt(0)
	v_add_u32_e32 v0, v17, v0
	ds_write_b32 v23, v0 offset:64
.LBB2477_137:
	s_or_b64 exec, exec, s[0:1]
	s_waitcnt vmcnt(4)
	v_xor_b32_e32 v14, 0x80000000, v21
	v_lshrrev_b32_e32 v0, s48, v14
	v_and_b32_e32 v25, s14, v0
	v_mul_lo_u32 v0, v25, s2
	v_lshl_add_u32 v29, v26, 2, v0
	v_and_b32_e32 v0, 1, v25
	v_lshl_add_u64 v[2:3], v[0:1], 0, -1
	v_cmp_ne_u32_e32 vcc, 0, v0
	; wave barrier
	s_nop 1
	v_xor_b32_e32 v2, vcc_lo, v2
	v_xor_b32_e32 v0, vcc_hi, v3
	v_and_b32_e32 v27, exec_lo, v2
	v_lshlrev_b32_e32 v3, 30, v25
	v_mov_b32_e32 v2, v1
	v_cmp_gt_i64_e32 vcc, 0, v[2:3]
	v_not_b32_e32 v2, v3
	v_ashrrev_i32_e32 v2, 31, v2
	v_and_b32_e32 v0, exec_hi, v0
	v_xor_b32_e32 v3, vcc_hi, v2
	v_xor_b32_e32 v2, vcc_lo, v2
	v_and_b32_e32 v0, v0, v3
	v_and_b32_e32 v27, v27, v2
	v_lshlrev_b32_e32 v3, 29, v25
	v_mov_b32_e32 v2, v1
	v_cmp_gt_i64_e32 vcc, 0, v[2:3]
	v_not_b32_e32 v2, v3
	v_ashrrev_i32_e32 v2, 31, v2
	v_xor_b32_e32 v3, vcc_hi, v2
	v_xor_b32_e32 v2, vcc_lo, v2
	v_and_b32_e32 v0, v0, v3
	v_and_b32_e32 v27, v27, v2
	v_lshlrev_b32_e32 v3, 28, v25
	v_mov_b32_e32 v2, v1
	v_cmp_gt_i64_e32 vcc, 0, v[2:3]
	v_not_b32_e32 v2, v3
	v_ashrrev_i32_e32 v2, 31, v2
	;; [unrolled: 9-line block ×5, first 2 shown]
	v_xor_b32_e32 v3, vcc_hi, v2
	v_xor_b32_e32 v2, vcc_lo, v2
	v_and_b32_e32 v0, v0, v3
	v_lshlrev_b32_e32 v3, 24, v25
	v_and_b32_e32 v27, v27, v2
	v_mov_b32_e32 v2, v1
	v_not_b32_e32 v1, v3
	v_cmp_gt_i64_e32 vcc, 0, v[2:3]
	v_ashrrev_i32_e32 v1, 31, v1
	ds_read_b32 v21, v29 offset:64
	v_xor_b32_e32 v2, vcc_hi, v1
	v_xor_b32_e32 v3, vcc_lo, v1
	v_and_b32_e32 v1, v0, v2
	v_and_b32_e32 v0, v27, v3
	v_mbcnt_lo_u32_b32 v2, v0, 0
	v_mbcnt_hi_u32_b32 v25, v1, v2
	v_cmp_eq_u32_e32 vcc, 0, v25
	v_cmp_ne_u64_e64 s[0:1], 0, v[0:1]
	s_and_b64 s[2:3], s[0:1], vcc
	; wave barrier
	s_and_saveexec_b64 s[0:1], s[2:3]
	s_cbranch_execz .LBB2477_139
; %bb.138:
	v_bcnt_u32_b32 v0, v0, 0
	v_bcnt_u32_b32 v0, v1, v0
	s_waitcnt lgkmcnt(0)
	v_add_u32_e32 v0, v21, v0
	ds_write_b32 v29, v0 offset:64
.LBB2477_139:
	s_or_b64 exec, exec, s[0:1]
	s_waitcnt vmcnt(3)
	v_xor_b32_e32 v18, 0x80000000, v18
	v_lshrrev_b32_e32 v0, s48, v18
	v_and_b32_e32 v30, s14, v0
	s_movk_i32 s2, 0x44
	v_mul_lo_u32 v0, v30, s2
	v_lshl_add_u32 v33, v26, 2, v0
	v_and_b32_e32 v0, 1, v30
	v_mov_b32_e32 v1, 0
	v_lshl_add_u64 v[2:3], v[0:1], 0, -1
	v_cmp_ne_u32_e32 vcc, 0, v0
	; wave barrier
	s_nop 1
	v_xor_b32_e32 v2, vcc_lo, v2
	v_xor_b32_e32 v0, vcc_hi, v3
	v_and_b32_e32 v31, exec_lo, v2
	v_lshlrev_b32_e32 v3, 30, v30
	v_mov_b32_e32 v2, v1
	v_cmp_gt_i64_e32 vcc, 0, v[2:3]
	v_not_b32_e32 v2, v3
	v_ashrrev_i32_e32 v2, 31, v2
	v_and_b32_e32 v0, exec_hi, v0
	v_xor_b32_e32 v3, vcc_hi, v2
	v_xor_b32_e32 v2, vcc_lo, v2
	v_and_b32_e32 v0, v0, v3
	v_and_b32_e32 v31, v31, v2
	v_lshlrev_b32_e32 v3, 29, v30
	v_mov_b32_e32 v2, v1
	v_cmp_gt_i64_e32 vcc, 0, v[2:3]
	v_not_b32_e32 v2, v3
	v_ashrrev_i32_e32 v2, 31, v2
	v_xor_b32_e32 v3, vcc_hi, v2
	v_xor_b32_e32 v2, vcc_lo, v2
	v_and_b32_e32 v0, v0, v3
	v_and_b32_e32 v31, v31, v2
	v_lshlrev_b32_e32 v3, 28, v30
	v_mov_b32_e32 v2, v1
	v_cmp_gt_i64_e32 vcc, 0, v[2:3]
	v_not_b32_e32 v2, v3
	v_ashrrev_i32_e32 v2, 31, v2
	;; [unrolled: 9-line block ×6, first 2 shown]
	v_xor_b32_e32 v3, vcc_hi, v2
	v_xor_b32_e32 v2, vcc_lo, v2
	ds_read_b32 v27, v33 offset:64
	v_and_b32_e32 v2, v31, v2
	v_and_b32_e32 v3, v0, v3
	v_mbcnt_lo_u32_b32 v0, v2, 0
	v_mbcnt_hi_u32_b32 v30, v3, v0
	v_cmp_eq_u32_e32 vcc, 0, v30
	v_cmp_ne_u64_e64 s[0:1], 0, v[2:3]
	s_and_b64 s[6:7], s[0:1], vcc
	; wave barrier
	s_and_saveexec_b64 s[0:1], s[6:7]
	s_cbranch_execz .LBB2477_141
; %bb.140:
	v_bcnt_u32_b32 v0, v2, 0
	v_bcnt_u32_b32 v0, v3, v0
	s_waitcnt lgkmcnt(0)
	v_add_u32_e32 v0, v27, v0
	ds_write_b32 v33, v0 offset:64
.LBB2477_141:
	s_or_b64 exec, exec, s[0:1]
	s_waitcnt vmcnt(2)
	v_xor_b32_e32 v22, 0x80000000, v22
	v_lshrrev_b32_e32 v0, s48, v22
	v_and_b32_e32 v32, s14, v0
	v_mul_lo_u32 v0, v32, s2
	v_lshl_add_u32 v36, v26, 2, v0
	v_and_b32_e32 v0, 1, v32
	v_lshl_add_u64 v[2:3], v[0:1], 0, -1
	v_cmp_ne_u32_e32 vcc, 0, v0
	; wave barrier
	s_nop 1
	v_xor_b32_e32 v2, vcc_lo, v2
	v_xor_b32_e32 v0, vcc_hi, v3
	v_and_b32_e32 v34, exec_lo, v2
	v_lshlrev_b32_e32 v3, 30, v32
	v_mov_b32_e32 v2, v1
	v_cmp_gt_i64_e32 vcc, 0, v[2:3]
	v_not_b32_e32 v2, v3
	v_ashrrev_i32_e32 v2, 31, v2
	v_and_b32_e32 v0, exec_hi, v0
	v_xor_b32_e32 v3, vcc_hi, v2
	v_xor_b32_e32 v2, vcc_lo, v2
	v_and_b32_e32 v0, v0, v3
	v_and_b32_e32 v34, v34, v2
	v_lshlrev_b32_e32 v3, 29, v32
	v_mov_b32_e32 v2, v1
	v_cmp_gt_i64_e32 vcc, 0, v[2:3]
	v_not_b32_e32 v2, v3
	v_ashrrev_i32_e32 v2, 31, v2
	v_xor_b32_e32 v3, vcc_hi, v2
	v_xor_b32_e32 v2, vcc_lo, v2
	v_and_b32_e32 v0, v0, v3
	v_and_b32_e32 v34, v34, v2
	v_lshlrev_b32_e32 v3, 28, v32
	v_mov_b32_e32 v2, v1
	v_cmp_gt_i64_e32 vcc, 0, v[2:3]
	v_not_b32_e32 v2, v3
	v_ashrrev_i32_e32 v2, 31, v2
	v_xor_b32_e32 v3, vcc_hi, v2
	v_xor_b32_e32 v2, vcc_lo, v2
	v_and_b32_e32 v0, v0, v3
	v_and_b32_e32 v34, v34, v2
	v_lshlrev_b32_e32 v3, 27, v32
	v_mov_b32_e32 v2, v1
	v_cmp_gt_i64_e32 vcc, 0, v[2:3]
	v_not_b32_e32 v2, v3
	v_ashrrev_i32_e32 v2, 31, v2
	v_xor_b32_e32 v3, vcc_hi, v2
	v_xor_b32_e32 v2, vcc_lo, v2
	v_and_b32_e32 v0, v0, v3
	v_and_b32_e32 v34, v34, v2
	v_lshlrev_b32_e32 v3, 26, v32
	v_mov_b32_e32 v2, v1
	v_cmp_gt_i64_e32 vcc, 0, v[2:3]
	v_not_b32_e32 v2, v3
	v_ashrrev_i32_e32 v2, 31, v2
	v_xor_b32_e32 v3, vcc_hi, v2
	v_xor_b32_e32 v2, vcc_lo, v2
	v_and_b32_e32 v0, v0, v3
	v_and_b32_e32 v34, v34, v2
	v_lshlrev_b32_e32 v3, 25, v32
	v_mov_b32_e32 v2, v1
	v_cmp_gt_i64_e32 vcc, 0, v[2:3]
	v_not_b32_e32 v2, v3
	v_ashrrev_i32_e32 v2, 31, v2
	v_xor_b32_e32 v3, vcc_hi, v2
	v_xor_b32_e32 v2, vcc_lo, v2
	v_and_b32_e32 v0, v0, v3
	v_lshlrev_b32_e32 v3, 24, v32
	v_and_b32_e32 v34, v34, v2
	v_mov_b32_e32 v2, v1
	v_not_b32_e32 v1, v3
	v_cmp_gt_i64_e32 vcc, 0, v[2:3]
	v_ashrrev_i32_e32 v1, 31, v1
	ds_read_b32 v31, v36 offset:64
	v_xor_b32_e32 v2, vcc_hi, v1
	v_xor_b32_e32 v3, vcc_lo, v1
	v_and_b32_e32 v1, v0, v2
	v_and_b32_e32 v0, v34, v3
	v_mbcnt_lo_u32_b32 v2, v0, 0
	v_mbcnt_hi_u32_b32 v34, v1, v2
	v_cmp_eq_u32_e32 vcc, 0, v34
	v_cmp_ne_u64_e64 s[0:1], 0, v[0:1]
	s_and_b64 s[2:3], s[0:1], vcc
	; wave barrier
	s_and_saveexec_b64 s[0:1], s[2:3]
	s_cbranch_execz .LBB2477_143
; %bb.142:
	v_bcnt_u32_b32 v0, v0, 0
	v_bcnt_u32_b32 v0, v1, v0
	s_waitcnt lgkmcnt(0)
	v_add_u32_e32 v0, v31, v0
	ds_write_b32 v36, v0 offset:64
.LBB2477_143:
	s_or_b64 exec, exec, s[0:1]
	s_waitcnt vmcnt(1)
	v_xor_b32_e32 v28, 0x80000000, v28
	v_lshrrev_b32_e32 v0, s48, v28
	v_and_b32_e32 v32, s14, v0
	s_movk_i32 s2, 0x44
	v_mul_lo_u32 v0, v32, s2
	v_lshl_add_u32 v38, v26, 2, v0
	v_and_b32_e32 v0, 1, v32
	v_mov_b32_e32 v1, 0
	v_lshl_add_u64 v[2:3], v[0:1], 0, -1
	v_cmp_ne_u32_e32 vcc, 0, v0
	; wave barrier
	s_nop 1
	v_xor_b32_e32 v2, vcc_lo, v2
	v_xor_b32_e32 v0, vcc_hi, v3
	v_and_b32_e32 v37, exec_lo, v2
	v_lshlrev_b32_e32 v3, 30, v32
	v_mov_b32_e32 v2, v1
	v_cmp_gt_i64_e32 vcc, 0, v[2:3]
	v_not_b32_e32 v2, v3
	v_ashrrev_i32_e32 v2, 31, v2
	v_and_b32_e32 v0, exec_hi, v0
	v_xor_b32_e32 v3, vcc_hi, v2
	v_xor_b32_e32 v2, vcc_lo, v2
	v_and_b32_e32 v0, v0, v3
	v_and_b32_e32 v37, v37, v2
	v_lshlrev_b32_e32 v3, 29, v32
	v_mov_b32_e32 v2, v1
	v_cmp_gt_i64_e32 vcc, 0, v[2:3]
	v_not_b32_e32 v2, v3
	v_ashrrev_i32_e32 v2, 31, v2
	v_xor_b32_e32 v3, vcc_hi, v2
	v_xor_b32_e32 v2, vcc_lo, v2
	v_and_b32_e32 v0, v0, v3
	v_and_b32_e32 v37, v37, v2
	v_lshlrev_b32_e32 v3, 28, v32
	v_mov_b32_e32 v2, v1
	v_cmp_gt_i64_e32 vcc, 0, v[2:3]
	v_not_b32_e32 v2, v3
	v_ashrrev_i32_e32 v2, 31, v2
	;; [unrolled: 9-line block ×6, first 2 shown]
	v_xor_b32_e32 v3, vcc_hi, v2
	v_xor_b32_e32 v2, vcc_lo, v2
	ds_read_b32 v35, v38 offset:64
	v_and_b32_e32 v2, v37, v2
	v_and_b32_e32 v3, v0, v3
	v_mbcnt_lo_u32_b32 v0, v2, 0
	v_mbcnt_hi_u32_b32 v37, v3, v0
	v_cmp_eq_u32_e32 vcc, 0, v37
	v_cmp_ne_u64_e64 s[0:1], 0, v[2:3]
	s_and_b64 s[6:7], s[0:1], vcc
	; wave barrier
	s_and_saveexec_b64 s[0:1], s[6:7]
	s_cbranch_execz .LBB2477_145
; %bb.144:
	v_bcnt_u32_b32 v0, v2, 0
	v_bcnt_u32_b32 v0, v3, v0
	s_waitcnt lgkmcnt(0)
	v_add_u32_e32 v0, v35, v0
	ds_write_b32 v38, v0 offset:64
.LBB2477_145:
	s_or_b64 exec, exec, s[0:1]
	s_waitcnt vmcnt(0)
	v_xor_b32_e32 v32, 0x80000000, v24
	v_lshrrev_b32_e32 v0, s48, v32
	v_and_b32_e32 v24, s14, v0
	v_mul_lo_u32 v0, v24, s2
	v_lshl_add_u32 v40, v26, 2, v0
	v_and_b32_e32 v0, 1, v24
	v_lshl_add_u64 v[2:3], v[0:1], 0, -1
	v_cmp_ne_u32_e32 vcc, 0, v0
	; wave barrier
	s_nop 1
	v_xor_b32_e32 v2, vcc_lo, v2
	v_xor_b32_e32 v0, vcc_hi, v3
	v_and_b32_e32 v39, exec_lo, v2
	v_lshlrev_b32_e32 v3, 30, v24
	v_mov_b32_e32 v2, v1
	v_cmp_gt_i64_e32 vcc, 0, v[2:3]
	v_not_b32_e32 v2, v3
	v_ashrrev_i32_e32 v2, 31, v2
	v_and_b32_e32 v0, exec_hi, v0
	v_xor_b32_e32 v3, vcc_hi, v2
	v_xor_b32_e32 v2, vcc_lo, v2
	v_and_b32_e32 v0, v0, v3
	v_and_b32_e32 v39, v39, v2
	v_lshlrev_b32_e32 v3, 29, v24
	v_mov_b32_e32 v2, v1
	v_cmp_gt_i64_e32 vcc, 0, v[2:3]
	v_not_b32_e32 v2, v3
	v_ashrrev_i32_e32 v2, 31, v2
	v_xor_b32_e32 v3, vcc_hi, v2
	v_xor_b32_e32 v2, vcc_lo, v2
	v_and_b32_e32 v0, v0, v3
	v_and_b32_e32 v39, v39, v2
	v_lshlrev_b32_e32 v3, 28, v24
	v_mov_b32_e32 v2, v1
	v_cmp_gt_i64_e32 vcc, 0, v[2:3]
	v_not_b32_e32 v2, v3
	v_ashrrev_i32_e32 v2, 31, v2
	;; [unrolled: 9-line block ×5, first 2 shown]
	v_xor_b32_e32 v3, vcc_hi, v2
	v_xor_b32_e32 v2, vcc_lo, v2
	v_and_b32_e32 v0, v0, v3
	v_lshlrev_b32_e32 v3, 24, v24
	v_and_b32_e32 v39, v39, v2
	v_mov_b32_e32 v2, v1
	v_not_b32_e32 v1, v3
	v_cmp_gt_i64_e32 vcc, 0, v[2:3]
	v_ashrrev_i32_e32 v1, 31, v1
	ds_read_b32 v26, v40 offset:64
	v_xor_b32_e32 v2, vcc_hi, v1
	v_xor_b32_e32 v3, vcc_lo, v1
	v_and_b32_e32 v1, v0, v2
	v_and_b32_e32 v0, v39, v3
	v_mbcnt_lo_u32_b32 v2, v0, 0
	v_mbcnt_hi_u32_b32 v39, v1, v2
	v_cmp_eq_u32_e32 vcc, 0, v39
	v_cmp_ne_u64_e64 s[0:1], 0, v[0:1]
	s_and_b64 s[2:3], s[0:1], vcc
	; wave barrier
	s_and_saveexec_b64 s[0:1], s[2:3]
	s_cbranch_execz .LBB2477_147
; %bb.146:
	v_bcnt_u32_b32 v0, v0, 0
	v_bcnt_u32_b32 v0, v1, v0
	s_waitcnt lgkmcnt(0)
	v_add_u32_e32 v0, v26, v0
	ds_write_b32 v40, v0 offset:64
.LBB2477_147:
	s_or_b64 exec, exec, s[0:1]
	; wave barrier
	s_waitcnt lgkmcnt(0)
	s_barrier
	ds_read2_b32 v[2:3], v5 offset0:16 offset1:17
	ds_read2_b32 v[0:1], v5 offset0:18 offset1:19
	ds_read_b32 v24, v5 offset:80
	v_cmp_lt_u32_e64 s[8:9], 31, v4
	s_waitcnt lgkmcnt(1)
	v_add3_u32 v41, v3, v2, v0
	s_waitcnt lgkmcnt(0)
	v_add3_u32 v24, v41, v1, v24
	v_and_b32_e32 v41, 15, v4
	v_cmp_eq_u32_e32 vcc, 0, v41
	v_mov_b32_dpp v42, v24 row_shr:1 row_mask:0xf bank_mask:0xf
	v_cmp_lt_u32_e64 s[0:1], 1, v41
	v_cndmask_b32_e64 v42, v42, 0, vcc
	v_add_u32_e32 v24, v42, v24
	v_cmp_lt_u32_e64 s[2:3], 3, v41
	v_cmp_lt_u32_e64 s[6:7], 7, v41
	v_mov_b32_dpp v42, v24 row_shr:2 row_mask:0xf bank_mask:0xf
	v_cndmask_b32_e64 v42, 0, v42, s[0:1]
	v_add_u32_e32 v24, v24, v42
	s_nop 1
	v_mov_b32_dpp v42, v24 row_shr:4 row_mask:0xf bank_mask:0xf
	v_cndmask_b32_e64 v42, 0, v42, s[2:3]
	v_add_u32_e32 v24, v24, v42
	s_nop 1
	v_mov_b32_dpp v42, v24 row_shr:8 row_mask:0xf bank_mask:0xf
	v_cndmask_b32_e64 v41, 0, v42, s[6:7]
	v_add_u32_e32 v24, v24, v41
	v_bfe_i32 v42, v4, 4, 1
	s_nop 0
	v_mov_b32_dpp v41, v24 row_bcast:15 row_mask:0xf bank_mask:0xf
	v_and_b32_e32 v41, v42, v41
	v_add_u32_e32 v24, v24, v41
	v_lshrrev_b32_e32 v42, 6, v8
	s_nop 0
	v_mov_b32_dpp v41, v24 row_bcast:31 row_mask:0xf bank_mask:0xf
	v_cndmask_b32_e64 v41, 0, v41, s[8:9]
	v_add_u32_e32 v41, v24, v41
	v_and_b32_e32 v24, 63, v8
	v_cmp_eq_u32_e64 s[8:9], 63, v24
	s_and_saveexec_b64 s[10:11], s[8:9]
; %bb.148:
	v_lshlrev_b32_e32 v24, 2, v42
	ds_write_b32 v24, v41
; %bb.149:
	s_or_b64 exec, exec, s[10:11]
	v_cmp_gt_u32_e64 s[8:9], 16, v8
	v_lshlrev_b32_e32 v24, 2, v8
	s_waitcnt lgkmcnt(0)
	s_barrier
	s_and_saveexec_b64 s[10:11], s[8:9]
	s_cbranch_execz .LBB2477_151
; %bb.150:
	ds_read_b32 v43, v24
	s_waitcnt lgkmcnt(0)
	s_nop 0
	v_mov_b32_dpp v44, v43 row_shr:1 row_mask:0xf bank_mask:0xf
	v_cndmask_b32_e64 v44, v44, 0, vcc
	v_add_u32_e32 v43, v44, v43
	s_nop 1
	v_mov_b32_dpp v44, v43 row_shr:2 row_mask:0xf bank_mask:0xf
	v_cndmask_b32_e64 v44, 0, v44, s[0:1]
	v_add_u32_e32 v43, v43, v44
	s_nop 1
	v_mov_b32_dpp v44, v43 row_shr:4 row_mask:0xf bank_mask:0xf
	v_cndmask_b32_e64 v44, 0, v44, s[2:3]
	;; [unrolled: 4-line block ×3, first 2 shown]
	v_add_u32_e32 v43, v43, v44
	ds_write_b32 v24, v43
.LBB2477_151:
	s_or_b64 exec, exec, s[10:11]
	v_cmp_lt_u32_e32 vcc, 63, v8
	v_mov_b32_e32 v43, 0
	s_waitcnt lgkmcnt(0)
	s_barrier
	s_and_saveexec_b64 s[0:1], vcc
; %bb.152:
	v_lshl_add_u32 v42, v42, 2, -4
	ds_read_b32 v43, v42
; %bb.153:
	s_or_b64 exec, exec, s[0:1]
	v_subrev_co_u32_e32 v42, vcc, 1, v4
	v_and_b32_e32 v44, 64, v4
	v_cmp_lt_i32_e64 s[0:1], v42, v44
	s_waitcnt lgkmcnt(0)
	v_add_u32_e32 v41, v43, v41
	s_movk_i32 s2, 0x100
	v_cndmask_b32_e64 v4, v42, v4, s[0:1]
	v_lshlrev_b32_e32 v4, 2, v4
	ds_bpermute_b32 v4, v4, v41
	s_movk_i32 s0, 0xff
	v_cmp_lt_u32_e64 s[0:1], s0, v8
	s_waitcnt lgkmcnt(0)
	v_cndmask_b32_e32 v4, v4, v43, vcc
	v_cmp_ne_u32_e32 vcc, 0, v8
	s_nop 1
	v_cndmask_b32_e32 v4, 0, v4, vcc
	v_add_u32_e32 v2, v4, v2
	v_add_u32_e32 v3, v2, v3
	;; [unrolled: 1-line block ×4, first 2 shown]
	ds_write2_b32 v5, v4, v2 offset0:16 offset1:17
	ds_write2_b32 v5, v3, v0 offset0:18 offset1:19
	ds_write_b32 v5, v1 offset:80
	s_waitcnt lgkmcnt(0)
	s_barrier
	ds_read_b32 v47, v16 offset:64
	ds_read_b32 v41, v19 offset:64
	;; [unrolled: 1-line block ×8, first 2 shown]
	v_cmp_gt_u32_e32 vcc, s2, v8
                                        ; implicit-def: $vgpr16
                                        ; implicit-def: $vgpr19
	s_and_saveexec_b64 s[6:7], vcc
	s_cbranch_execz .LBB2477_157
; %bb.154:
	v_mul_u32_u24_e32 v0, 0x44, v8
	ds_read_b32 v16, v0 offset:64
	v_add_u32_e32 v1, 1, v8
	v_cmp_ne_u32_e64 s[2:3], s2, v1
	v_mov_b32_e32 v0, 0x2000
	s_and_saveexec_b64 s[8:9], s[2:3]
; %bb.155:
	v_mul_u32_u24_e32 v0, 0x44, v1
	ds_read_b32 v0, v0 offset:64
; %bb.156:
	s_or_b64 exec, exec, s[8:9]
	s_waitcnt lgkmcnt(0)
	v_sub_u32_e32 v19, v0, v16
.LBB2477_157:
	s_or_b64 exec, exec, s[6:7]
	v_mov_b32_e32 v1, 0
	s_waitcnt lgkmcnt(0)
	s_barrier
	s_and_saveexec_b64 s[2:3], vcc
	s_cbranch_execz .LBB2477_167
; %bb.158:
	v_lshl_add_u32 v0, s4, 8, v8
	v_lshl_add_u64 v[2:3], v[0:1], 2, s[52:53]
	v_or_b32_e32 v0, 2.0, v19
	s_mov_b64 s[6:7], 0
	s_brev_b32 s15, -4
	s_mov_b32 s16, s4
	v_mov_b32_e32 v23, 0
	global_store_dword v[2:3], v0, off sc1
                                        ; implicit-def: $sgpr8_sgpr9
	s_branch .LBB2477_161
.LBB2477_159:                           ;   in Loop: Header=BB2477_161 Depth=1
	s_or_b64 exec, exec, s[10:11]
.LBB2477_160:                           ;   in Loop: Header=BB2477_161 Depth=1
	s_or_b64 exec, exec, s[8:9]
	v_and_b32_e32 v4, 0x3fffffff, v0
	v_add_u32_e32 v23, v4, v23
	v_cmp_gt_i32_e64 s[8:9], -2.0, v0
	s_and_b64 s[10:11], exec, s[8:9]
	s_or_b64 s[6:7], s[10:11], s[6:7]
	s_andn2_b64 exec, exec, s[6:7]
	s_cbranch_execz .LBB2477_166
.LBB2477_161:                           ; =>This Loop Header: Depth=1
                                        ;     Child Loop BB2477_164 Depth 2
	s_or_b64 s[8:9], s[8:9], exec
	s_cmp_eq_u32 s16, 0
	s_cbranch_scc1 .LBB2477_165
; %bb.162:                              ;   in Loop: Header=BB2477_161 Depth=1
	s_add_i32 s16, s16, -1
	v_lshl_or_b32 v0, s16, 8, v8
	v_lshl_add_u64 v[4:5], v[0:1], 2, s[52:53]
	global_load_dword v0, v[4:5], off sc1
	s_waitcnt vmcnt(0)
	v_cmp_gt_u32_e32 vcc, 2.0, v0
	s_and_saveexec_b64 s[8:9], vcc
	s_cbranch_execz .LBB2477_160
; %bb.163:                              ;   in Loop: Header=BB2477_161 Depth=1
	s_mov_b64 s[10:11], 0
.LBB2477_164:                           ;   Parent Loop BB2477_161 Depth=1
                                        ; =>  This Inner Loop Header: Depth=2
	global_load_dword v0, v[4:5], off sc1
	s_waitcnt vmcnt(0)
	v_cmp_lt_u32_e32 vcc, s15, v0
	s_or_b64 s[10:11], vcc, s[10:11]
	s_andn2_b64 exec, exec, s[10:11]
	s_cbranch_execnz .LBB2477_164
	s_branch .LBB2477_159
.LBB2477_165:                           ;   in Loop: Header=BB2477_161 Depth=1
                                        ; implicit-def: $sgpr16
	s_and_b64 s[10:11], exec, s[8:9]
	s_or_b64 s[6:7], s[10:11], s[6:7]
	s_andn2_b64 exec, exec, s[6:7]
	s_cbranch_execnz .LBB2477_161
.LBB2477_166:
	s_or_b64 exec, exec, s[6:7]
	v_add_u32_e32 v0, v23, v19
	v_or_b32_e32 v0, 0x80000000, v0
	global_store_dword v[2:3], v0, off sc1
	global_load_dword v0, v24, s[44:45]
	v_sub_u32_e32 v1, v23, v16
	s_waitcnt vmcnt(0)
	v_add_u32_e32 v0, v1, v0
	ds_write_b32 v24, v0
.LBB2477_167:
	s_or_b64 exec, exec, s[2:3]
	v_add_u32_e32 v33, v47, v13
	v_add3_u32 v29, v15, v12, v41
	v_add3_u32 v23, v20, v17, v42
	;; [unrolled: 1-line block ×7, first 2 shown]
	s_mov_b32 s8, 16
	s_mov_b32 s9, s48
	;; [unrolled: 1-line block ×3, first 2 shown]
	v_lshlrev_b32_e32 v36, 2, v2
	v_add3_u32 v26, v39, v38, v26
	v_lshlrev_b32_e32 v38, 2, v3
	v_add3_u32 v35, v37, v46, v35
	;; [unrolled: 2-line block ×7, first 2 shown]
	v_lshlrev_b32_e32 v15, 2, v33
	s_mov_b32 s20, 0
	s_mov_b64 s[2:3], -1
	s_mov_b32 s11, 0
	s_movk_i32 s15, 0x1000
	v_mov_b32_e32 v1, 0
	s_movk_i32 s16, 0x400
	s_movk_i32 s17, 0x800
	;; [unrolled: 1-line block ×3, first 2 shown]
	s_mov_b32 s19, 0
	v_mov_b32_e32 v39, v8
	s_branch .LBB2477_169
.LBB2477_168:                           ;   in Loop: Header=BB2477_169 Depth=1
	s_or_b64 exec, exec, s[6:7]
	s_waitcnt lgkmcnt(0)
	s_barrier
	ds_read2st64_b32 v[40:41], v24 offset0:4 offset1:20
	ds_read2st64_b32 v[44:45], v24 offset0:36 offset1:52
	s_xor_b64 s[6:7], s[2:3], -1
	s_addk_i32 s19, 0xc000
	s_addk_i32 s11, 0xf000
	s_waitcnt lgkmcnt(1)
	v_xor_b32_e32 v48, 0x80000000, v40
	v_lshrrev_b32_e32 v40, s48, v40
	v_lshrrev_b32_e32 v0, s9, v41
	v_and_b32_e32 v40, s14, v40
	v_xor_b32_e32 v49, 0x80000000, v41
	v_and_b32_e32 v41, s10, v0
	v_lshlrev_b32_e32 v0, 2, v40
	ds_read_b32 v0, v0
	s_waitcnt lgkmcnt(1)
	v_lshrrev_b32_e32 v42, s9, v45
	v_lshrrev_b32_e32 v47, s48, v44
	v_and_b32_e32 v43, s10, v42
	v_lshlrev_b32_e32 v46, 2, v41
	v_and_b32_e32 v42, s14, v47
	v_lshlrev_b32_e32 v50, 2, v43
	v_lshlrev_b32_e32 v47, 2, v42
	ds_read_b32 v51, v46
	ds_read_b32 v52, v47
	;; [unrolled: 1-line block ×3, first 2 shown]
	s_waitcnt lgkmcnt(3)
	v_add_u32_e32 v0, v39, v0
	v_lshl_add_u64 v[46:47], v[0:1], 2, s[38:39]
	s_waitcnt lgkmcnt(2)
	v_add3_u32 v0, v39, v51, s16
	global_store_dword v[46:47], v48, off
	v_lshl_add_u64 v[46:47], v[0:1], 2, s[38:39]
	s_waitcnt lgkmcnt(1)
	v_add3_u32 v0, v39, v52, s17
	global_store_dword v[46:47], v49, off
	v_xor_b32_e32 v46, 0x80000000, v44
	v_xor_b32_e32 v47, 0x80000000, v45
	v_lshl_add_u64 v[44:45], v[0:1], 2, s[38:39]
	s_waitcnt lgkmcnt(0)
	v_add3_u32 v0, v39, v50, s18
	global_store_dword v[44:45], v46, off
	v_lshl_add_u64 v[44:45], v[0:1], 2, s[38:39]
	global_store_dword v[44:45], v47, off
	scratch_store_dwordx4 off, v[40:43], s20
	v_add_u32_e32 v39, 0x1000, v39
	s_mov_b64 s[2:3], 0
	s_and_b64 vcc, exec, s[6:7]
	s_mov_b32 s20, s8
	s_barrier
	s_cbranch_vccnz .LBB2477_185
.LBB2477_169:                           ; =>This Inner Loop Header: Depth=1
	v_add_u32_e32 v0, s11, v33
	v_cmp_gt_u32_e32 vcc, s15, v0
	s_and_saveexec_b64 s[6:7], vcc
; %bb.170:                              ;   in Loop: Header=BB2477_169 Depth=1
	v_add_u32_e32 v0, s19, v15
	ds_write_b32 v0, v9 offset:1024
; %bb.171:                              ;   in Loop: Header=BB2477_169 Depth=1
	s_or_b64 exec, exec, s[6:7]
	v_add_u32_e32 v0, s11, v12
	v_cmp_gt_u32_e32 vcc, s15, v0
	s_and_saveexec_b64 s[6:7], vcc
; %bb.172:                              ;   in Loop: Header=BB2477_169 Depth=1
	v_add_u32_e32 v0, s19, v20
	ds_write_b32 v0, v10 offset:1024
; %bb.173:                              ;   in Loop: Header=BB2477_169 Depth=1
	s_or_b64 exec, exec, s[6:7]
	;; [unrolled: 8-line block ×7, first 2 shown]
	v_add_u32_e32 v0, s11, v26
	v_cmp_gt_u32_e32 vcc, s15, v0
	s_and_saveexec_b64 s[6:7], vcc
	s_cbranch_execz .LBB2477_168
; %bb.184:                              ;   in Loop: Header=BB2477_169 Depth=1
	v_add_u32_e32 v0, s19, v36
	ds_write_b32 v0, v32 offset:1024
	s_branch .LBB2477_168
.LBB2477_185:
	s_lshl_b64 s[2:3], s[12:13], 1
	s_add_u32 s2, s40, s2
	s_addc_u32 s3, s41, s3
	v_lshlrev_b32_e32 v0, 1, v7
	v_mov_b32_e32 v1, 0
	v_lshl_add_u64 v[10:11], s[2:3], 0, v[0:1]
	v_lshlrev_b32_e32 v0, 1, v6
	v_lshl_add_u64 v[0:1], v[10:11], 0, v[0:1]
	global_load_ushort v14, v[0:1], off offset:128
	global_load_ushort v12, v[0:1], off offset:256
	;; [unrolled: 1-line block ×7, first 2 shown]
	s_movk_i32 s6, 0x2000
	v_cmp_gt_u32_e32 vcc, s6, v33
	s_and_saveexec_b64 s[2:3], vcc
	s_cbranch_execz .LBB2477_193
; %bb.186:
	global_load_ushort v0, v[0:1], off
	v_lshlrev_b32_e32 v1, 1, v33
	s_waitcnt vmcnt(0)
	ds_write_b16 v1, v0 offset:1024
	s_or_b64 exec, exec, s[2:3]
	v_cmp_gt_u32_e32 vcc, s6, v29
	s_and_saveexec_b64 s[2:3], vcc
	s_cbranch_execnz .LBB2477_194
.LBB2477_187:
	s_or_b64 exec, exec, s[2:3]
	v_cmp_gt_u32_e32 vcc, s6, v23
	s_and_saveexec_b64 s[2:3], vcc
	s_cbranch_execz .LBB2477_195
.LBB2477_188:
	v_lshlrev_b32_e32 v0, 1, v23
	s_waitcnt vmcnt(5)
	ds_write_b16 v0, v12 offset:1024
	s_or_b64 exec, exec, s[2:3]
	v_cmp_gt_u32_e32 vcc, s6, v13
	s_and_saveexec_b64 s[2:3], vcc
	s_cbranch_execnz .LBB2477_196
.LBB2477_189:
	s_or_b64 exec, exec, s[2:3]
	v_cmp_gt_u32_e32 vcc, s6, v5
	s_and_saveexec_b64 s[2:3], vcc
	s_cbranch_execz .LBB2477_197
.LBB2477_190:
	v_lshlrev_b32_e32 v0, 1, v5
	s_waitcnt vmcnt(3)
	ds_write_b16 v0, v10 offset:1024
	s_or_b64 exec, exec, s[2:3]
	v_cmp_gt_u32_e32 vcc, s6, v4
	s_and_saveexec_b64 s[2:3], vcc
	s_cbranch_execnz .LBB2477_198
.LBB2477_191:
	s_or_b64 exec, exec, s[2:3]
	v_cmp_gt_u32_e32 vcc, s6, v3
	s_and_saveexec_b64 s[2:3], vcc
	s_cbranch_execz .LBB2477_199
.LBB2477_192:
	v_lshlrev_b32_e32 v0, 1, v3
	s_waitcnt vmcnt(1)
	ds_write_b16 v0, v7 offset:1024
	s_or_b64 exec, exec, s[2:3]
	v_cmp_gt_u32_e32 vcc, s6, v2
	s_and_saveexec_b64 s[2:3], vcc
	s_cbranch_execnz .LBB2477_200
	s_branch .LBB2477_201
.LBB2477_193:
	s_or_b64 exec, exec, s[2:3]
	v_cmp_gt_u32_e32 vcc, s6, v29
	s_and_saveexec_b64 s[2:3], vcc
	s_cbranch_execz .LBB2477_187
.LBB2477_194:
	v_lshlrev_b32_e32 v0, 1, v29
	s_waitcnt vmcnt(6)
	ds_write_b16 v0, v14 offset:1024
	s_or_b64 exec, exec, s[2:3]
	v_cmp_gt_u32_e32 vcc, s6, v23
	s_and_saveexec_b64 s[2:3], vcc
	s_cbranch_execnz .LBB2477_188
.LBB2477_195:
	s_or_b64 exec, exec, s[2:3]
	v_cmp_gt_u32_e32 vcc, s6, v13
	s_and_saveexec_b64 s[2:3], vcc
	s_cbranch_execz .LBB2477_189
.LBB2477_196:
	v_lshlrev_b32_e32 v0, 1, v13
	s_waitcnt vmcnt(4)
	ds_write_b16 v0, v11 offset:1024
	s_or_b64 exec, exec, s[2:3]
	v_cmp_gt_u32_e32 vcc, s6, v5
	s_and_saveexec_b64 s[2:3], vcc
	s_cbranch_execnz .LBB2477_190
.LBB2477_197:
	s_or_b64 exec, exec, s[2:3]
	v_cmp_gt_u32_e32 vcc, s6, v4
	s_and_saveexec_b64 s[2:3], vcc
	s_cbranch_execz .LBB2477_191
.LBB2477_198:
	v_lshlrev_b32_e32 v0, 1, v4
	s_waitcnt vmcnt(2)
	ds_write_b16 v0, v9 offset:1024
	s_or_b64 exec, exec, s[2:3]
	v_cmp_gt_u32_e32 vcc, s6, v3
	s_and_saveexec_b64 s[2:3], vcc
	s_cbranch_execnz .LBB2477_192
.LBB2477_199:
	s_or_b64 exec, exec, s[2:3]
	v_cmp_gt_u32_e32 vcc, s6, v2
	s_and_saveexec_b64 s[2:3], vcc
	s_cbranch_execz .LBB2477_201
.LBB2477_200:
	v_lshlrev_b32_e32 v0, 1, v2
	s_waitcnt vmcnt(0)
	ds_write_b16 v0, v6 offset:1024
.LBB2477_201:
	s_or_b64 exec, exec, s[2:3]
	s_waitcnt lgkmcnt(0)
	s_barrier
	scratch_load_dwordx4 v[0:3], off, off
	scratch_load_dwordx4 v[4:7], off, off offset:16
	s_waitcnt vmcnt(4)
	v_lshlrev_b32_e32 v9, 1, v8
	v_mov_b32_e32 v11, 0
	s_movk_i32 s6, 0x400
	ds_read_u16 v12, v9 offset:1024
	ds_read_u16 v13, v9 offset:3072
	;; [unrolled: 1-line block ×8, first 2 shown]
	s_movk_i32 s7, 0x800
	s_movk_i32 s8, 0xc00
	;; [unrolled: 1-line block ×5, first 2 shown]
	s_add_i32 s5, s5, -1
	s_movk_i32 s12, 0x1c00
	s_cmp_eq_u32 s4, s5
	s_cselect_b64 s[2:3], -1, 0
	s_xor_b64 s[0:1], s[0:1], -1
	s_and_b64 s[0:1], s[0:1], s[2:3]
	s_waitcnt vmcnt(1)
	v_lshlrev_b32_e32 v0, 2, v0
	v_lshlrev_b32_e32 v2, 2, v2
	;; [unrolled: 1-line block ×3, first 2 shown]
	s_waitcnt vmcnt(0)
	v_lshlrev_b32_e32 v4, 2, v4
	v_lshlrev_b32_e32 v5, 2, v5
	;; [unrolled: 1-line block ×5, first 2 shown]
	ds_read_b32 v0, v0
	ds_read_b32 v21, v1
	;; [unrolled: 1-line block ×8, first 2 shown]
	s_waitcnt lgkmcnt(7)
	v_add_u32_e32 v10, v0, v8
	v_lshl_add_u64 v[0:1], v[10:11], 1, s[42:43]
	s_waitcnt lgkmcnt(6)
	v_add3_u32 v10, v21, v8, s6
	global_store_short v[0:1], v12, off
	v_lshl_add_u64 v[0:1], v[10:11], 1, s[42:43]
	s_waitcnt lgkmcnt(5)
	v_add3_u32 v10, v2, v8, s7
	global_store_short v[0:1], v13, off
	v_lshl_add_u64 v[0:1], v[10:11], 1, s[42:43]
	s_waitcnt lgkmcnt(4)
	v_add3_u32 v10, v3, v8, s8
	global_store_short v[0:1], v14, off
	v_lshl_add_u64 v[0:1], v[10:11], 1, s[42:43]
	s_waitcnt lgkmcnt(3)
	v_add3_u32 v10, v4, v8, s9
	global_store_short v[0:1], v15, off
	v_lshl_add_u64 v[0:1], v[10:11], 1, s[42:43]
	s_waitcnt lgkmcnt(2)
	v_add3_u32 v10, v5, v8, s10
	global_store_short v[0:1], v17, off
	v_lshl_add_u64 v[0:1], v[10:11], 1, s[42:43]
	s_waitcnt lgkmcnt(1)
	v_add3_u32 v10, v6, v8, s11
	global_store_short v[0:1], v18, off
	v_lshl_add_u64 v[0:1], v[10:11], 1, s[42:43]
	s_waitcnt lgkmcnt(0)
	v_add3_u32 v10, v7, v8, s12
	global_store_short v[0:1], v20, off
	v_lshl_add_u64 v[0:1], v[10:11], 1, s[42:43]
	global_store_short v[0:1], v9, off
	s_and_saveexec_b64 s[2:3], s[0:1]
	s_cbranch_execz .LBB2477_203
; %bb.202:
	ds_read_b32 v0, v24
	s_waitcnt lgkmcnt(0)
	v_add3_u32 v0, v16, v19, v0
	global_store_dword v24, v0, s[46:47]
.LBB2477_203:
	s_endpgm
	.section	.rodata,"a",@progbits
	.p2align	6, 0x0
	.amdhsa_kernel _ZN7rocprim17ROCPRIM_400000_NS6detail17trampoline_kernelINS0_14default_configENS1_35radix_sort_onesweep_config_selectorIisEEZZNS1_29radix_sort_onesweep_iterationIS3_Lb0EN6thrust23THRUST_200600_302600_NS10device_ptrIiEESA_NS9_IsEESB_jNS0_19identity_decomposerENS1_16block_id_wrapperIjLb0EEEEE10hipError_tT1_PNSt15iterator_traitsISG_E10value_typeET2_T3_PNSH_ISM_E10value_typeET4_T5_PSR_SS_PNS1_23onesweep_lookback_stateEbbT6_jjT7_P12ihipStream_tbENKUlT_T0_SG_SL_E_clISA_PiSB_PsEEDaSZ_S10_SG_SL_EUlSZ_E_NS1_11comp_targetILNS1_3genE6ELNS1_11target_archE950ELNS1_3gpuE13ELNS1_3repE0EEENS1_47radix_sort_onesweep_sort_config_static_selectorELNS0_4arch9wavefront6targetE1EEEvSG_
		.amdhsa_group_segment_fixed_size 53328
		.amdhsa_private_segment_fixed_size 48
		.amdhsa_kernarg_size 344
		.amdhsa_user_sgpr_count 4
		.amdhsa_user_sgpr_dispatch_ptr 1
		.amdhsa_user_sgpr_queue_ptr 0
		.amdhsa_user_sgpr_kernarg_segment_ptr 1
		.amdhsa_user_sgpr_dispatch_id 0
		.amdhsa_user_sgpr_kernarg_preload_length 0
		.amdhsa_user_sgpr_kernarg_preload_offset 0
		.amdhsa_user_sgpr_private_segment_size 0
		.amdhsa_uses_dynamic_stack 0
		.amdhsa_enable_private_segment 1
		.amdhsa_system_sgpr_workgroup_id_x 1
		.amdhsa_system_sgpr_workgroup_id_y 0
		.amdhsa_system_sgpr_workgroup_id_z 0
		.amdhsa_system_sgpr_workgroup_info 0
		.amdhsa_system_vgpr_workitem_id 2
		.amdhsa_next_free_vgpr 53
		.amdhsa_next_free_sgpr 56
		.amdhsa_accum_offset 56
		.amdhsa_reserve_vcc 1
		.amdhsa_float_round_mode_32 0
		.amdhsa_float_round_mode_16_64 0
		.amdhsa_float_denorm_mode_32 3
		.amdhsa_float_denorm_mode_16_64 3
		.amdhsa_dx10_clamp 1
		.amdhsa_ieee_mode 1
		.amdhsa_fp16_overflow 0
		.amdhsa_tg_split 0
		.amdhsa_exception_fp_ieee_invalid_op 0
		.amdhsa_exception_fp_denorm_src 0
		.amdhsa_exception_fp_ieee_div_zero 0
		.amdhsa_exception_fp_ieee_overflow 0
		.amdhsa_exception_fp_ieee_underflow 0
		.amdhsa_exception_fp_ieee_inexact 0
		.amdhsa_exception_int_div_zero 0
	.end_amdhsa_kernel
	.section	.text._ZN7rocprim17ROCPRIM_400000_NS6detail17trampoline_kernelINS0_14default_configENS1_35radix_sort_onesweep_config_selectorIisEEZZNS1_29radix_sort_onesweep_iterationIS3_Lb0EN6thrust23THRUST_200600_302600_NS10device_ptrIiEESA_NS9_IsEESB_jNS0_19identity_decomposerENS1_16block_id_wrapperIjLb0EEEEE10hipError_tT1_PNSt15iterator_traitsISG_E10value_typeET2_T3_PNSH_ISM_E10value_typeET4_T5_PSR_SS_PNS1_23onesweep_lookback_stateEbbT6_jjT7_P12ihipStream_tbENKUlT_T0_SG_SL_E_clISA_PiSB_PsEEDaSZ_S10_SG_SL_EUlSZ_E_NS1_11comp_targetILNS1_3genE6ELNS1_11target_archE950ELNS1_3gpuE13ELNS1_3repE0EEENS1_47radix_sort_onesweep_sort_config_static_selectorELNS0_4arch9wavefront6targetE1EEEvSG_,"axG",@progbits,_ZN7rocprim17ROCPRIM_400000_NS6detail17trampoline_kernelINS0_14default_configENS1_35radix_sort_onesweep_config_selectorIisEEZZNS1_29radix_sort_onesweep_iterationIS3_Lb0EN6thrust23THRUST_200600_302600_NS10device_ptrIiEESA_NS9_IsEESB_jNS0_19identity_decomposerENS1_16block_id_wrapperIjLb0EEEEE10hipError_tT1_PNSt15iterator_traitsISG_E10value_typeET2_T3_PNSH_ISM_E10value_typeET4_T5_PSR_SS_PNS1_23onesweep_lookback_stateEbbT6_jjT7_P12ihipStream_tbENKUlT_T0_SG_SL_E_clISA_PiSB_PsEEDaSZ_S10_SG_SL_EUlSZ_E_NS1_11comp_targetILNS1_3genE6ELNS1_11target_archE950ELNS1_3gpuE13ELNS1_3repE0EEENS1_47radix_sort_onesweep_sort_config_static_selectorELNS0_4arch9wavefront6targetE1EEEvSG_,comdat
.Lfunc_end2477:
	.size	_ZN7rocprim17ROCPRIM_400000_NS6detail17trampoline_kernelINS0_14default_configENS1_35radix_sort_onesweep_config_selectorIisEEZZNS1_29radix_sort_onesweep_iterationIS3_Lb0EN6thrust23THRUST_200600_302600_NS10device_ptrIiEESA_NS9_IsEESB_jNS0_19identity_decomposerENS1_16block_id_wrapperIjLb0EEEEE10hipError_tT1_PNSt15iterator_traitsISG_E10value_typeET2_T3_PNSH_ISM_E10value_typeET4_T5_PSR_SS_PNS1_23onesweep_lookback_stateEbbT6_jjT7_P12ihipStream_tbENKUlT_T0_SG_SL_E_clISA_PiSB_PsEEDaSZ_S10_SG_SL_EUlSZ_E_NS1_11comp_targetILNS1_3genE6ELNS1_11target_archE950ELNS1_3gpuE13ELNS1_3repE0EEENS1_47radix_sort_onesweep_sort_config_static_selectorELNS0_4arch9wavefront6targetE1EEEvSG_, .Lfunc_end2477-_ZN7rocprim17ROCPRIM_400000_NS6detail17trampoline_kernelINS0_14default_configENS1_35radix_sort_onesweep_config_selectorIisEEZZNS1_29radix_sort_onesweep_iterationIS3_Lb0EN6thrust23THRUST_200600_302600_NS10device_ptrIiEESA_NS9_IsEESB_jNS0_19identity_decomposerENS1_16block_id_wrapperIjLb0EEEEE10hipError_tT1_PNSt15iterator_traitsISG_E10value_typeET2_T3_PNSH_ISM_E10value_typeET4_T5_PSR_SS_PNS1_23onesweep_lookback_stateEbbT6_jjT7_P12ihipStream_tbENKUlT_T0_SG_SL_E_clISA_PiSB_PsEEDaSZ_S10_SG_SL_EUlSZ_E_NS1_11comp_targetILNS1_3genE6ELNS1_11target_archE950ELNS1_3gpuE13ELNS1_3repE0EEENS1_47radix_sort_onesweep_sort_config_static_selectorELNS0_4arch9wavefront6targetE1EEEvSG_
                                        ; -- End function
	.set _ZN7rocprim17ROCPRIM_400000_NS6detail17trampoline_kernelINS0_14default_configENS1_35radix_sort_onesweep_config_selectorIisEEZZNS1_29radix_sort_onesweep_iterationIS3_Lb0EN6thrust23THRUST_200600_302600_NS10device_ptrIiEESA_NS9_IsEESB_jNS0_19identity_decomposerENS1_16block_id_wrapperIjLb0EEEEE10hipError_tT1_PNSt15iterator_traitsISG_E10value_typeET2_T3_PNSH_ISM_E10value_typeET4_T5_PSR_SS_PNS1_23onesweep_lookback_stateEbbT6_jjT7_P12ihipStream_tbENKUlT_T0_SG_SL_E_clISA_PiSB_PsEEDaSZ_S10_SG_SL_EUlSZ_E_NS1_11comp_targetILNS1_3genE6ELNS1_11target_archE950ELNS1_3gpuE13ELNS1_3repE0EEENS1_47radix_sort_onesweep_sort_config_static_selectorELNS0_4arch9wavefront6targetE1EEEvSG_.num_vgpr, 53
	.set _ZN7rocprim17ROCPRIM_400000_NS6detail17trampoline_kernelINS0_14default_configENS1_35radix_sort_onesweep_config_selectorIisEEZZNS1_29radix_sort_onesweep_iterationIS3_Lb0EN6thrust23THRUST_200600_302600_NS10device_ptrIiEESA_NS9_IsEESB_jNS0_19identity_decomposerENS1_16block_id_wrapperIjLb0EEEEE10hipError_tT1_PNSt15iterator_traitsISG_E10value_typeET2_T3_PNSH_ISM_E10value_typeET4_T5_PSR_SS_PNS1_23onesweep_lookback_stateEbbT6_jjT7_P12ihipStream_tbENKUlT_T0_SG_SL_E_clISA_PiSB_PsEEDaSZ_S10_SG_SL_EUlSZ_E_NS1_11comp_targetILNS1_3genE6ELNS1_11target_archE950ELNS1_3gpuE13ELNS1_3repE0EEENS1_47radix_sort_onesweep_sort_config_static_selectorELNS0_4arch9wavefront6targetE1EEEvSG_.num_agpr, 0
	.set _ZN7rocprim17ROCPRIM_400000_NS6detail17trampoline_kernelINS0_14default_configENS1_35radix_sort_onesweep_config_selectorIisEEZZNS1_29radix_sort_onesweep_iterationIS3_Lb0EN6thrust23THRUST_200600_302600_NS10device_ptrIiEESA_NS9_IsEESB_jNS0_19identity_decomposerENS1_16block_id_wrapperIjLb0EEEEE10hipError_tT1_PNSt15iterator_traitsISG_E10value_typeET2_T3_PNSH_ISM_E10value_typeET4_T5_PSR_SS_PNS1_23onesweep_lookback_stateEbbT6_jjT7_P12ihipStream_tbENKUlT_T0_SG_SL_E_clISA_PiSB_PsEEDaSZ_S10_SG_SL_EUlSZ_E_NS1_11comp_targetILNS1_3genE6ELNS1_11target_archE950ELNS1_3gpuE13ELNS1_3repE0EEENS1_47radix_sort_onesweep_sort_config_static_selectorELNS0_4arch9wavefront6targetE1EEEvSG_.numbered_sgpr, 56
	.set _ZN7rocprim17ROCPRIM_400000_NS6detail17trampoline_kernelINS0_14default_configENS1_35radix_sort_onesweep_config_selectorIisEEZZNS1_29radix_sort_onesweep_iterationIS3_Lb0EN6thrust23THRUST_200600_302600_NS10device_ptrIiEESA_NS9_IsEESB_jNS0_19identity_decomposerENS1_16block_id_wrapperIjLb0EEEEE10hipError_tT1_PNSt15iterator_traitsISG_E10value_typeET2_T3_PNSH_ISM_E10value_typeET4_T5_PSR_SS_PNS1_23onesweep_lookback_stateEbbT6_jjT7_P12ihipStream_tbENKUlT_T0_SG_SL_E_clISA_PiSB_PsEEDaSZ_S10_SG_SL_EUlSZ_E_NS1_11comp_targetILNS1_3genE6ELNS1_11target_archE950ELNS1_3gpuE13ELNS1_3repE0EEENS1_47radix_sort_onesweep_sort_config_static_selectorELNS0_4arch9wavefront6targetE1EEEvSG_.num_named_barrier, 0
	.set _ZN7rocprim17ROCPRIM_400000_NS6detail17trampoline_kernelINS0_14default_configENS1_35radix_sort_onesweep_config_selectorIisEEZZNS1_29radix_sort_onesweep_iterationIS3_Lb0EN6thrust23THRUST_200600_302600_NS10device_ptrIiEESA_NS9_IsEESB_jNS0_19identity_decomposerENS1_16block_id_wrapperIjLb0EEEEE10hipError_tT1_PNSt15iterator_traitsISG_E10value_typeET2_T3_PNSH_ISM_E10value_typeET4_T5_PSR_SS_PNS1_23onesweep_lookback_stateEbbT6_jjT7_P12ihipStream_tbENKUlT_T0_SG_SL_E_clISA_PiSB_PsEEDaSZ_S10_SG_SL_EUlSZ_E_NS1_11comp_targetILNS1_3genE6ELNS1_11target_archE950ELNS1_3gpuE13ELNS1_3repE0EEENS1_47radix_sort_onesweep_sort_config_static_selectorELNS0_4arch9wavefront6targetE1EEEvSG_.private_seg_size, 48
	.set _ZN7rocprim17ROCPRIM_400000_NS6detail17trampoline_kernelINS0_14default_configENS1_35radix_sort_onesweep_config_selectorIisEEZZNS1_29radix_sort_onesweep_iterationIS3_Lb0EN6thrust23THRUST_200600_302600_NS10device_ptrIiEESA_NS9_IsEESB_jNS0_19identity_decomposerENS1_16block_id_wrapperIjLb0EEEEE10hipError_tT1_PNSt15iterator_traitsISG_E10value_typeET2_T3_PNSH_ISM_E10value_typeET4_T5_PSR_SS_PNS1_23onesweep_lookback_stateEbbT6_jjT7_P12ihipStream_tbENKUlT_T0_SG_SL_E_clISA_PiSB_PsEEDaSZ_S10_SG_SL_EUlSZ_E_NS1_11comp_targetILNS1_3genE6ELNS1_11target_archE950ELNS1_3gpuE13ELNS1_3repE0EEENS1_47radix_sort_onesweep_sort_config_static_selectorELNS0_4arch9wavefront6targetE1EEEvSG_.uses_vcc, 1
	.set _ZN7rocprim17ROCPRIM_400000_NS6detail17trampoline_kernelINS0_14default_configENS1_35radix_sort_onesweep_config_selectorIisEEZZNS1_29radix_sort_onesweep_iterationIS3_Lb0EN6thrust23THRUST_200600_302600_NS10device_ptrIiEESA_NS9_IsEESB_jNS0_19identity_decomposerENS1_16block_id_wrapperIjLb0EEEEE10hipError_tT1_PNSt15iterator_traitsISG_E10value_typeET2_T3_PNSH_ISM_E10value_typeET4_T5_PSR_SS_PNS1_23onesweep_lookback_stateEbbT6_jjT7_P12ihipStream_tbENKUlT_T0_SG_SL_E_clISA_PiSB_PsEEDaSZ_S10_SG_SL_EUlSZ_E_NS1_11comp_targetILNS1_3genE6ELNS1_11target_archE950ELNS1_3gpuE13ELNS1_3repE0EEENS1_47radix_sort_onesweep_sort_config_static_selectorELNS0_4arch9wavefront6targetE1EEEvSG_.uses_flat_scratch, 0
	.set _ZN7rocprim17ROCPRIM_400000_NS6detail17trampoline_kernelINS0_14default_configENS1_35radix_sort_onesweep_config_selectorIisEEZZNS1_29radix_sort_onesweep_iterationIS3_Lb0EN6thrust23THRUST_200600_302600_NS10device_ptrIiEESA_NS9_IsEESB_jNS0_19identity_decomposerENS1_16block_id_wrapperIjLb0EEEEE10hipError_tT1_PNSt15iterator_traitsISG_E10value_typeET2_T3_PNSH_ISM_E10value_typeET4_T5_PSR_SS_PNS1_23onesweep_lookback_stateEbbT6_jjT7_P12ihipStream_tbENKUlT_T0_SG_SL_E_clISA_PiSB_PsEEDaSZ_S10_SG_SL_EUlSZ_E_NS1_11comp_targetILNS1_3genE6ELNS1_11target_archE950ELNS1_3gpuE13ELNS1_3repE0EEENS1_47radix_sort_onesweep_sort_config_static_selectorELNS0_4arch9wavefront6targetE1EEEvSG_.has_dyn_sized_stack, 0
	.set _ZN7rocprim17ROCPRIM_400000_NS6detail17trampoline_kernelINS0_14default_configENS1_35radix_sort_onesweep_config_selectorIisEEZZNS1_29radix_sort_onesweep_iterationIS3_Lb0EN6thrust23THRUST_200600_302600_NS10device_ptrIiEESA_NS9_IsEESB_jNS0_19identity_decomposerENS1_16block_id_wrapperIjLb0EEEEE10hipError_tT1_PNSt15iterator_traitsISG_E10value_typeET2_T3_PNSH_ISM_E10value_typeET4_T5_PSR_SS_PNS1_23onesweep_lookback_stateEbbT6_jjT7_P12ihipStream_tbENKUlT_T0_SG_SL_E_clISA_PiSB_PsEEDaSZ_S10_SG_SL_EUlSZ_E_NS1_11comp_targetILNS1_3genE6ELNS1_11target_archE950ELNS1_3gpuE13ELNS1_3repE0EEENS1_47radix_sort_onesweep_sort_config_static_selectorELNS0_4arch9wavefront6targetE1EEEvSG_.has_recursion, 0
	.set _ZN7rocprim17ROCPRIM_400000_NS6detail17trampoline_kernelINS0_14default_configENS1_35radix_sort_onesweep_config_selectorIisEEZZNS1_29radix_sort_onesweep_iterationIS3_Lb0EN6thrust23THRUST_200600_302600_NS10device_ptrIiEESA_NS9_IsEESB_jNS0_19identity_decomposerENS1_16block_id_wrapperIjLb0EEEEE10hipError_tT1_PNSt15iterator_traitsISG_E10value_typeET2_T3_PNSH_ISM_E10value_typeET4_T5_PSR_SS_PNS1_23onesweep_lookback_stateEbbT6_jjT7_P12ihipStream_tbENKUlT_T0_SG_SL_E_clISA_PiSB_PsEEDaSZ_S10_SG_SL_EUlSZ_E_NS1_11comp_targetILNS1_3genE6ELNS1_11target_archE950ELNS1_3gpuE13ELNS1_3repE0EEENS1_47radix_sort_onesweep_sort_config_static_selectorELNS0_4arch9wavefront6targetE1EEEvSG_.has_indirect_call, 0
	.section	.AMDGPU.csdata,"",@progbits
; Kernel info:
; codeLenInByte = 13712
; TotalNumSgprs: 62
; NumVgprs: 53
; NumAgprs: 0
; TotalNumVgprs: 53
; ScratchSize: 48
; MemoryBound: 0
; FloatMode: 240
; IeeeMode: 1
; LDSByteSize: 53328 bytes/workgroup (compile time only)
; SGPRBlocks: 7
; VGPRBlocks: 6
; NumSGPRsForWavesPerEU: 62
; NumVGPRsForWavesPerEU: 53
; AccumOffset: 56
; Occupancy: 8
; WaveLimiterHint : 1
; COMPUTE_PGM_RSRC2:SCRATCH_EN: 1
; COMPUTE_PGM_RSRC2:USER_SGPR: 4
; COMPUTE_PGM_RSRC2:TRAP_HANDLER: 0
; COMPUTE_PGM_RSRC2:TGID_X_EN: 1
; COMPUTE_PGM_RSRC2:TGID_Y_EN: 0
; COMPUTE_PGM_RSRC2:TGID_Z_EN: 0
; COMPUTE_PGM_RSRC2:TIDIG_COMP_CNT: 2
; COMPUTE_PGM_RSRC3_GFX90A:ACCUM_OFFSET: 13
; COMPUTE_PGM_RSRC3_GFX90A:TG_SPLIT: 0
	.section	.text._ZN7rocprim17ROCPRIM_400000_NS6detail17trampoline_kernelINS0_14default_configENS1_35radix_sort_onesweep_config_selectorIisEEZZNS1_29radix_sort_onesweep_iterationIS3_Lb0EN6thrust23THRUST_200600_302600_NS10device_ptrIiEESA_NS9_IsEESB_jNS0_19identity_decomposerENS1_16block_id_wrapperIjLb0EEEEE10hipError_tT1_PNSt15iterator_traitsISG_E10value_typeET2_T3_PNSH_ISM_E10value_typeET4_T5_PSR_SS_PNS1_23onesweep_lookback_stateEbbT6_jjT7_P12ihipStream_tbENKUlT_T0_SG_SL_E_clISA_PiSB_PsEEDaSZ_S10_SG_SL_EUlSZ_E_NS1_11comp_targetILNS1_3genE5ELNS1_11target_archE942ELNS1_3gpuE9ELNS1_3repE0EEENS1_47radix_sort_onesweep_sort_config_static_selectorELNS0_4arch9wavefront6targetE1EEEvSG_,"axG",@progbits,_ZN7rocprim17ROCPRIM_400000_NS6detail17trampoline_kernelINS0_14default_configENS1_35radix_sort_onesweep_config_selectorIisEEZZNS1_29radix_sort_onesweep_iterationIS3_Lb0EN6thrust23THRUST_200600_302600_NS10device_ptrIiEESA_NS9_IsEESB_jNS0_19identity_decomposerENS1_16block_id_wrapperIjLb0EEEEE10hipError_tT1_PNSt15iterator_traitsISG_E10value_typeET2_T3_PNSH_ISM_E10value_typeET4_T5_PSR_SS_PNS1_23onesweep_lookback_stateEbbT6_jjT7_P12ihipStream_tbENKUlT_T0_SG_SL_E_clISA_PiSB_PsEEDaSZ_S10_SG_SL_EUlSZ_E_NS1_11comp_targetILNS1_3genE5ELNS1_11target_archE942ELNS1_3gpuE9ELNS1_3repE0EEENS1_47radix_sort_onesweep_sort_config_static_selectorELNS0_4arch9wavefront6targetE1EEEvSG_,comdat
	.protected	_ZN7rocprim17ROCPRIM_400000_NS6detail17trampoline_kernelINS0_14default_configENS1_35radix_sort_onesweep_config_selectorIisEEZZNS1_29radix_sort_onesweep_iterationIS3_Lb0EN6thrust23THRUST_200600_302600_NS10device_ptrIiEESA_NS9_IsEESB_jNS0_19identity_decomposerENS1_16block_id_wrapperIjLb0EEEEE10hipError_tT1_PNSt15iterator_traitsISG_E10value_typeET2_T3_PNSH_ISM_E10value_typeET4_T5_PSR_SS_PNS1_23onesweep_lookback_stateEbbT6_jjT7_P12ihipStream_tbENKUlT_T0_SG_SL_E_clISA_PiSB_PsEEDaSZ_S10_SG_SL_EUlSZ_E_NS1_11comp_targetILNS1_3genE5ELNS1_11target_archE942ELNS1_3gpuE9ELNS1_3repE0EEENS1_47radix_sort_onesweep_sort_config_static_selectorELNS0_4arch9wavefront6targetE1EEEvSG_ ; -- Begin function _ZN7rocprim17ROCPRIM_400000_NS6detail17trampoline_kernelINS0_14default_configENS1_35radix_sort_onesweep_config_selectorIisEEZZNS1_29radix_sort_onesweep_iterationIS3_Lb0EN6thrust23THRUST_200600_302600_NS10device_ptrIiEESA_NS9_IsEESB_jNS0_19identity_decomposerENS1_16block_id_wrapperIjLb0EEEEE10hipError_tT1_PNSt15iterator_traitsISG_E10value_typeET2_T3_PNSH_ISM_E10value_typeET4_T5_PSR_SS_PNS1_23onesweep_lookback_stateEbbT6_jjT7_P12ihipStream_tbENKUlT_T0_SG_SL_E_clISA_PiSB_PsEEDaSZ_S10_SG_SL_EUlSZ_E_NS1_11comp_targetILNS1_3genE5ELNS1_11target_archE942ELNS1_3gpuE9ELNS1_3repE0EEENS1_47radix_sort_onesweep_sort_config_static_selectorELNS0_4arch9wavefront6targetE1EEEvSG_
	.globl	_ZN7rocprim17ROCPRIM_400000_NS6detail17trampoline_kernelINS0_14default_configENS1_35radix_sort_onesweep_config_selectorIisEEZZNS1_29radix_sort_onesweep_iterationIS3_Lb0EN6thrust23THRUST_200600_302600_NS10device_ptrIiEESA_NS9_IsEESB_jNS0_19identity_decomposerENS1_16block_id_wrapperIjLb0EEEEE10hipError_tT1_PNSt15iterator_traitsISG_E10value_typeET2_T3_PNSH_ISM_E10value_typeET4_T5_PSR_SS_PNS1_23onesweep_lookback_stateEbbT6_jjT7_P12ihipStream_tbENKUlT_T0_SG_SL_E_clISA_PiSB_PsEEDaSZ_S10_SG_SL_EUlSZ_E_NS1_11comp_targetILNS1_3genE5ELNS1_11target_archE942ELNS1_3gpuE9ELNS1_3repE0EEENS1_47radix_sort_onesweep_sort_config_static_selectorELNS0_4arch9wavefront6targetE1EEEvSG_
	.p2align	8
	.type	_ZN7rocprim17ROCPRIM_400000_NS6detail17trampoline_kernelINS0_14default_configENS1_35radix_sort_onesweep_config_selectorIisEEZZNS1_29radix_sort_onesweep_iterationIS3_Lb0EN6thrust23THRUST_200600_302600_NS10device_ptrIiEESA_NS9_IsEESB_jNS0_19identity_decomposerENS1_16block_id_wrapperIjLb0EEEEE10hipError_tT1_PNSt15iterator_traitsISG_E10value_typeET2_T3_PNSH_ISM_E10value_typeET4_T5_PSR_SS_PNS1_23onesweep_lookback_stateEbbT6_jjT7_P12ihipStream_tbENKUlT_T0_SG_SL_E_clISA_PiSB_PsEEDaSZ_S10_SG_SL_EUlSZ_E_NS1_11comp_targetILNS1_3genE5ELNS1_11target_archE942ELNS1_3gpuE9ELNS1_3repE0EEENS1_47radix_sort_onesweep_sort_config_static_selectorELNS0_4arch9wavefront6targetE1EEEvSG_,@function
_ZN7rocprim17ROCPRIM_400000_NS6detail17trampoline_kernelINS0_14default_configENS1_35radix_sort_onesweep_config_selectorIisEEZZNS1_29radix_sort_onesweep_iterationIS3_Lb0EN6thrust23THRUST_200600_302600_NS10device_ptrIiEESA_NS9_IsEESB_jNS0_19identity_decomposerENS1_16block_id_wrapperIjLb0EEEEE10hipError_tT1_PNSt15iterator_traitsISG_E10value_typeET2_T3_PNSH_ISM_E10value_typeET4_T5_PSR_SS_PNS1_23onesweep_lookback_stateEbbT6_jjT7_P12ihipStream_tbENKUlT_T0_SG_SL_E_clISA_PiSB_PsEEDaSZ_S10_SG_SL_EUlSZ_E_NS1_11comp_targetILNS1_3genE5ELNS1_11target_archE942ELNS1_3gpuE9ELNS1_3repE0EEENS1_47radix_sort_onesweep_sort_config_static_selectorELNS0_4arch9wavefront6targetE1EEEvSG_: ; @_ZN7rocprim17ROCPRIM_400000_NS6detail17trampoline_kernelINS0_14default_configENS1_35radix_sort_onesweep_config_selectorIisEEZZNS1_29radix_sort_onesweep_iterationIS3_Lb0EN6thrust23THRUST_200600_302600_NS10device_ptrIiEESA_NS9_IsEESB_jNS0_19identity_decomposerENS1_16block_id_wrapperIjLb0EEEEE10hipError_tT1_PNSt15iterator_traitsISG_E10value_typeET2_T3_PNSH_ISM_E10value_typeET4_T5_PSR_SS_PNS1_23onesweep_lookback_stateEbbT6_jjT7_P12ihipStream_tbENKUlT_T0_SG_SL_E_clISA_PiSB_PsEEDaSZ_S10_SG_SL_EUlSZ_E_NS1_11comp_targetILNS1_3genE5ELNS1_11target_archE942ELNS1_3gpuE9ELNS1_3repE0EEENS1_47radix_sort_onesweep_sort_config_static_selectorELNS0_4arch9wavefront6targetE1EEEvSG_
; %bb.0:
	.section	.rodata,"a",@progbits
	.p2align	6, 0x0
	.amdhsa_kernel _ZN7rocprim17ROCPRIM_400000_NS6detail17trampoline_kernelINS0_14default_configENS1_35radix_sort_onesweep_config_selectorIisEEZZNS1_29radix_sort_onesweep_iterationIS3_Lb0EN6thrust23THRUST_200600_302600_NS10device_ptrIiEESA_NS9_IsEESB_jNS0_19identity_decomposerENS1_16block_id_wrapperIjLb0EEEEE10hipError_tT1_PNSt15iterator_traitsISG_E10value_typeET2_T3_PNSH_ISM_E10value_typeET4_T5_PSR_SS_PNS1_23onesweep_lookback_stateEbbT6_jjT7_P12ihipStream_tbENKUlT_T0_SG_SL_E_clISA_PiSB_PsEEDaSZ_S10_SG_SL_EUlSZ_E_NS1_11comp_targetILNS1_3genE5ELNS1_11target_archE942ELNS1_3gpuE9ELNS1_3repE0EEENS1_47radix_sort_onesweep_sort_config_static_selectorELNS0_4arch9wavefront6targetE1EEEvSG_
		.amdhsa_group_segment_fixed_size 0
		.amdhsa_private_segment_fixed_size 0
		.amdhsa_kernarg_size 88
		.amdhsa_user_sgpr_count 2
		.amdhsa_user_sgpr_dispatch_ptr 0
		.amdhsa_user_sgpr_queue_ptr 0
		.amdhsa_user_sgpr_kernarg_segment_ptr 1
		.amdhsa_user_sgpr_dispatch_id 0
		.amdhsa_user_sgpr_kernarg_preload_length 0
		.amdhsa_user_sgpr_kernarg_preload_offset 0
		.amdhsa_user_sgpr_private_segment_size 0
		.amdhsa_uses_dynamic_stack 0
		.amdhsa_enable_private_segment 0
		.amdhsa_system_sgpr_workgroup_id_x 1
		.amdhsa_system_sgpr_workgroup_id_y 0
		.amdhsa_system_sgpr_workgroup_id_z 0
		.amdhsa_system_sgpr_workgroup_info 0
		.amdhsa_system_vgpr_workitem_id 0
		.amdhsa_next_free_vgpr 1
		.amdhsa_next_free_sgpr 0
		.amdhsa_accum_offset 4
		.amdhsa_reserve_vcc 0
		.amdhsa_float_round_mode_32 0
		.amdhsa_float_round_mode_16_64 0
		.amdhsa_float_denorm_mode_32 3
		.amdhsa_float_denorm_mode_16_64 3
		.amdhsa_dx10_clamp 1
		.amdhsa_ieee_mode 1
		.amdhsa_fp16_overflow 0
		.amdhsa_tg_split 0
		.amdhsa_exception_fp_ieee_invalid_op 0
		.amdhsa_exception_fp_denorm_src 0
		.amdhsa_exception_fp_ieee_div_zero 0
		.amdhsa_exception_fp_ieee_overflow 0
		.amdhsa_exception_fp_ieee_underflow 0
		.amdhsa_exception_fp_ieee_inexact 0
		.amdhsa_exception_int_div_zero 0
	.end_amdhsa_kernel
	.section	.text._ZN7rocprim17ROCPRIM_400000_NS6detail17trampoline_kernelINS0_14default_configENS1_35radix_sort_onesweep_config_selectorIisEEZZNS1_29radix_sort_onesweep_iterationIS3_Lb0EN6thrust23THRUST_200600_302600_NS10device_ptrIiEESA_NS9_IsEESB_jNS0_19identity_decomposerENS1_16block_id_wrapperIjLb0EEEEE10hipError_tT1_PNSt15iterator_traitsISG_E10value_typeET2_T3_PNSH_ISM_E10value_typeET4_T5_PSR_SS_PNS1_23onesweep_lookback_stateEbbT6_jjT7_P12ihipStream_tbENKUlT_T0_SG_SL_E_clISA_PiSB_PsEEDaSZ_S10_SG_SL_EUlSZ_E_NS1_11comp_targetILNS1_3genE5ELNS1_11target_archE942ELNS1_3gpuE9ELNS1_3repE0EEENS1_47radix_sort_onesweep_sort_config_static_selectorELNS0_4arch9wavefront6targetE1EEEvSG_,"axG",@progbits,_ZN7rocprim17ROCPRIM_400000_NS6detail17trampoline_kernelINS0_14default_configENS1_35radix_sort_onesweep_config_selectorIisEEZZNS1_29radix_sort_onesweep_iterationIS3_Lb0EN6thrust23THRUST_200600_302600_NS10device_ptrIiEESA_NS9_IsEESB_jNS0_19identity_decomposerENS1_16block_id_wrapperIjLb0EEEEE10hipError_tT1_PNSt15iterator_traitsISG_E10value_typeET2_T3_PNSH_ISM_E10value_typeET4_T5_PSR_SS_PNS1_23onesweep_lookback_stateEbbT6_jjT7_P12ihipStream_tbENKUlT_T0_SG_SL_E_clISA_PiSB_PsEEDaSZ_S10_SG_SL_EUlSZ_E_NS1_11comp_targetILNS1_3genE5ELNS1_11target_archE942ELNS1_3gpuE9ELNS1_3repE0EEENS1_47radix_sort_onesweep_sort_config_static_selectorELNS0_4arch9wavefront6targetE1EEEvSG_,comdat
.Lfunc_end2478:
	.size	_ZN7rocprim17ROCPRIM_400000_NS6detail17trampoline_kernelINS0_14default_configENS1_35radix_sort_onesweep_config_selectorIisEEZZNS1_29radix_sort_onesweep_iterationIS3_Lb0EN6thrust23THRUST_200600_302600_NS10device_ptrIiEESA_NS9_IsEESB_jNS0_19identity_decomposerENS1_16block_id_wrapperIjLb0EEEEE10hipError_tT1_PNSt15iterator_traitsISG_E10value_typeET2_T3_PNSH_ISM_E10value_typeET4_T5_PSR_SS_PNS1_23onesweep_lookback_stateEbbT6_jjT7_P12ihipStream_tbENKUlT_T0_SG_SL_E_clISA_PiSB_PsEEDaSZ_S10_SG_SL_EUlSZ_E_NS1_11comp_targetILNS1_3genE5ELNS1_11target_archE942ELNS1_3gpuE9ELNS1_3repE0EEENS1_47radix_sort_onesweep_sort_config_static_selectorELNS0_4arch9wavefront6targetE1EEEvSG_, .Lfunc_end2478-_ZN7rocprim17ROCPRIM_400000_NS6detail17trampoline_kernelINS0_14default_configENS1_35radix_sort_onesweep_config_selectorIisEEZZNS1_29radix_sort_onesweep_iterationIS3_Lb0EN6thrust23THRUST_200600_302600_NS10device_ptrIiEESA_NS9_IsEESB_jNS0_19identity_decomposerENS1_16block_id_wrapperIjLb0EEEEE10hipError_tT1_PNSt15iterator_traitsISG_E10value_typeET2_T3_PNSH_ISM_E10value_typeET4_T5_PSR_SS_PNS1_23onesweep_lookback_stateEbbT6_jjT7_P12ihipStream_tbENKUlT_T0_SG_SL_E_clISA_PiSB_PsEEDaSZ_S10_SG_SL_EUlSZ_E_NS1_11comp_targetILNS1_3genE5ELNS1_11target_archE942ELNS1_3gpuE9ELNS1_3repE0EEENS1_47radix_sort_onesweep_sort_config_static_selectorELNS0_4arch9wavefront6targetE1EEEvSG_
                                        ; -- End function
	.set _ZN7rocprim17ROCPRIM_400000_NS6detail17trampoline_kernelINS0_14default_configENS1_35radix_sort_onesweep_config_selectorIisEEZZNS1_29radix_sort_onesweep_iterationIS3_Lb0EN6thrust23THRUST_200600_302600_NS10device_ptrIiEESA_NS9_IsEESB_jNS0_19identity_decomposerENS1_16block_id_wrapperIjLb0EEEEE10hipError_tT1_PNSt15iterator_traitsISG_E10value_typeET2_T3_PNSH_ISM_E10value_typeET4_T5_PSR_SS_PNS1_23onesweep_lookback_stateEbbT6_jjT7_P12ihipStream_tbENKUlT_T0_SG_SL_E_clISA_PiSB_PsEEDaSZ_S10_SG_SL_EUlSZ_E_NS1_11comp_targetILNS1_3genE5ELNS1_11target_archE942ELNS1_3gpuE9ELNS1_3repE0EEENS1_47radix_sort_onesweep_sort_config_static_selectorELNS0_4arch9wavefront6targetE1EEEvSG_.num_vgpr, 0
	.set _ZN7rocprim17ROCPRIM_400000_NS6detail17trampoline_kernelINS0_14default_configENS1_35radix_sort_onesweep_config_selectorIisEEZZNS1_29radix_sort_onesweep_iterationIS3_Lb0EN6thrust23THRUST_200600_302600_NS10device_ptrIiEESA_NS9_IsEESB_jNS0_19identity_decomposerENS1_16block_id_wrapperIjLb0EEEEE10hipError_tT1_PNSt15iterator_traitsISG_E10value_typeET2_T3_PNSH_ISM_E10value_typeET4_T5_PSR_SS_PNS1_23onesweep_lookback_stateEbbT6_jjT7_P12ihipStream_tbENKUlT_T0_SG_SL_E_clISA_PiSB_PsEEDaSZ_S10_SG_SL_EUlSZ_E_NS1_11comp_targetILNS1_3genE5ELNS1_11target_archE942ELNS1_3gpuE9ELNS1_3repE0EEENS1_47radix_sort_onesweep_sort_config_static_selectorELNS0_4arch9wavefront6targetE1EEEvSG_.num_agpr, 0
	.set _ZN7rocprim17ROCPRIM_400000_NS6detail17trampoline_kernelINS0_14default_configENS1_35radix_sort_onesweep_config_selectorIisEEZZNS1_29radix_sort_onesweep_iterationIS3_Lb0EN6thrust23THRUST_200600_302600_NS10device_ptrIiEESA_NS9_IsEESB_jNS0_19identity_decomposerENS1_16block_id_wrapperIjLb0EEEEE10hipError_tT1_PNSt15iterator_traitsISG_E10value_typeET2_T3_PNSH_ISM_E10value_typeET4_T5_PSR_SS_PNS1_23onesweep_lookback_stateEbbT6_jjT7_P12ihipStream_tbENKUlT_T0_SG_SL_E_clISA_PiSB_PsEEDaSZ_S10_SG_SL_EUlSZ_E_NS1_11comp_targetILNS1_3genE5ELNS1_11target_archE942ELNS1_3gpuE9ELNS1_3repE0EEENS1_47radix_sort_onesweep_sort_config_static_selectorELNS0_4arch9wavefront6targetE1EEEvSG_.numbered_sgpr, 0
	.set _ZN7rocprim17ROCPRIM_400000_NS6detail17trampoline_kernelINS0_14default_configENS1_35radix_sort_onesweep_config_selectorIisEEZZNS1_29radix_sort_onesweep_iterationIS3_Lb0EN6thrust23THRUST_200600_302600_NS10device_ptrIiEESA_NS9_IsEESB_jNS0_19identity_decomposerENS1_16block_id_wrapperIjLb0EEEEE10hipError_tT1_PNSt15iterator_traitsISG_E10value_typeET2_T3_PNSH_ISM_E10value_typeET4_T5_PSR_SS_PNS1_23onesweep_lookback_stateEbbT6_jjT7_P12ihipStream_tbENKUlT_T0_SG_SL_E_clISA_PiSB_PsEEDaSZ_S10_SG_SL_EUlSZ_E_NS1_11comp_targetILNS1_3genE5ELNS1_11target_archE942ELNS1_3gpuE9ELNS1_3repE0EEENS1_47radix_sort_onesweep_sort_config_static_selectorELNS0_4arch9wavefront6targetE1EEEvSG_.num_named_barrier, 0
	.set _ZN7rocprim17ROCPRIM_400000_NS6detail17trampoline_kernelINS0_14default_configENS1_35radix_sort_onesweep_config_selectorIisEEZZNS1_29radix_sort_onesweep_iterationIS3_Lb0EN6thrust23THRUST_200600_302600_NS10device_ptrIiEESA_NS9_IsEESB_jNS0_19identity_decomposerENS1_16block_id_wrapperIjLb0EEEEE10hipError_tT1_PNSt15iterator_traitsISG_E10value_typeET2_T3_PNSH_ISM_E10value_typeET4_T5_PSR_SS_PNS1_23onesweep_lookback_stateEbbT6_jjT7_P12ihipStream_tbENKUlT_T0_SG_SL_E_clISA_PiSB_PsEEDaSZ_S10_SG_SL_EUlSZ_E_NS1_11comp_targetILNS1_3genE5ELNS1_11target_archE942ELNS1_3gpuE9ELNS1_3repE0EEENS1_47radix_sort_onesweep_sort_config_static_selectorELNS0_4arch9wavefront6targetE1EEEvSG_.private_seg_size, 0
	.set _ZN7rocprim17ROCPRIM_400000_NS6detail17trampoline_kernelINS0_14default_configENS1_35radix_sort_onesweep_config_selectorIisEEZZNS1_29radix_sort_onesweep_iterationIS3_Lb0EN6thrust23THRUST_200600_302600_NS10device_ptrIiEESA_NS9_IsEESB_jNS0_19identity_decomposerENS1_16block_id_wrapperIjLb0EEEEE10hipError_tT1_PNSt15iterator_traitsISG_E10value_typeET2_T3_PNSH_ISM_E10value_typeET4_T5_PSR_SS_PNS1_23onesweep_lookback_stateEbbT6_jjT7_P12ihipStream_tbENKUlT_T0_SG_SL_E_clISA_PiSB_PsEEDaSZ_S10_SG_SL_EUlSZ_E_NS1_11comp_targetILNS1_3genE5ELNS1_11target_archE942ELNS1_3gpuE9ELNS1_3repE0EEENS1_47radix_sort_onesweep_sort_config_static_selectorELNS0_4arch9wavefront6targetE1EEEvSG_.uses_vcc, 0
	.set _ZN7rocprim17ROCPRIM_400000_NS6detail17trampoline_kernelINS0_14default_configENS1_35radix_sort_onesweep_config_selectorIisEEZZNS1_29radix_sort_onesweep_iterationIS3_Lb0EN6thrust23THRUST_200600_302600_NS10device_ptrIiEESA_NS9_IsEESB_jNS0_19identity_decomposerENS1_16block_id_wrapperIjLb0EEEEE10hipError_tT1_PNSt15iterator_traitsISG_E10value_typeET2_T3_PNSH_ISM_E10value_typeET4_T5_PSR_SS_PNS1_23onesweep_lookback_stateEbbT6_jjT7_P12ihipStream_tbENKUlT_T0_SG_SL_E_clISA_PiSB_PsEEDaSZ_S10_SG_SL_EUlSZ_E_NS1_11comp_targetILNS1_3genE5ELNS1_11target_archE942ELNS1_3gpuE9ELNS1_3repE0EEENS1_47radix_sort_onesweep_sort_config_static_selectorELNS0_4arch9wavefront6targetE1EEEvSG_.uses_flat_scratch, 0
	.set _ZN7rocprim17ROCPRIM_400000_NS6detail17trampoline_kernelINS0_14default_configENS1_35radix_sort_onesweep_config_selectorIisEEZZNS1_29radix_sort_onesweep_iterationIS3_Lb0EN6thrust23THRUST_200600_302600_NS10device_ptrIiEESA_NS9_IsEESB_jNS0_19identity_decomposerENS1_16block_id_wrapperIjLb0EEEEE10hipError_tT1_PNSt15iterator_traitsISG_E10value_typeET2_T3_PNSH_ISM_E10value_typeET4_T5_PSR_SS_PNS1_23onesweep_lookback_stateEbbT6_jjT7_P12ihipStream_tbENKUlT_T0_SG_SL_E_clISA_PiSB_PsEEDaSZ_S10_SG_SL_EUlSZ_E_NS1_11comp_targetILNS1_3genE5ELNS1_11target_archE942ELNS1_3gpuE9ELNS1_3repE0EEENS1_47radix_sort_onesweep_sort_config_static_selectorELNS0_4arch9wavefront6targetE1EEEvSG_.has_dyn_sized_stack, 0
	.set _ZN7rocprim17ROCPRIM_400000_NS6detail17trampoline_kernelINS0_14default_configENS1_35radix_sort_onesweep_config_selectorIisEEZZNS1_29radix_sort_onesweep_iterationIS3_Lb0EN6thrust23THRUST_200600_302600_NS10device_ptrIiEESA_NS9_IsEESB_jNS0_19identity_decomposerENS1_16block_id_wrapperIjLb0EEEEE10hipError_tT1_PNSt15iterator_traitsISG_E10value_typeET2_T3_PNSH_ISM_E10value_typeET4_T5_PSR_SS_PNS1_23onesweep_lookback_stateEbbT6_jjT7_P12ihipStream_tbENKUlT_T0_SG_SL_E_clISA_PiSB_PsEEDaSZ_S10_SG_SL_EUlSZ_E_NS1_11comp_targetILNS1_3genE5ELNS1_11target_archE942ELNS1_3gpuE9ELNS1_3repE0EEENS1_47radix_sort_onesweep_sort_config_static_selectorELNS0_4arch9wavefront6targetE1EEEvSG_.has_recursion, 0
	.set _ZN7rocprim17ROCPRIM_400000_NS6detail17trampoline_kernelINS0_14default_configENS1_35radix_sort_onesweep_config_selectorIisEEZZNS1_29radix_sort_onesweep_iterationIS3_Lb0EN6thrust23THRUST_200600_302600_NS10device_ptrIiEESA_NS9_IsEESB_jNS0_19identity_decomposerENS1_16block_id_wrapperIjLb0EEEEE10hipError_tT1_PNSt15iterator_traitsISG_E10value_typeET2_T3_PNSH_ISM_E10value_typeET4_T5_PSR_SS_PNS1_23onesweep_lookback_stateEbbT6_jjT7_P12ihipStream_tbENKUlT_T0_SG_SL_E_clISA_PiSB_PsEEDaSZ_S10_SG_SL_EUlSZ_E_NS1_11comp_targetILNS1_3genE5ELNS1_11target_archE942ELNS1_3gpuE9ELNS1_3repE0EEENS1_47radix_sort_onesweep_sort_config_static_selectorELNS0_4arch9wavefront6targetE1EEEvSG_.has_indirect_call, 0
	.section	.AMDGPU.csdata,"",@progbits
; Kernel info:
; codeLenInByte = 0
; TotalNumSgprs: 6
; NumVgprs: 0
; NumAgprs: 0
; TotalNumVgprs: 0
; ScratchSize: 0
; MemoryBound: 0
; FloatMode: 240
; IeeeMode: 1
; LDSByteSize: 0 bytes/workgroup (compile time only)
; SGPRBlocks: 0
; VGPRBlocks: 0
; NumSGPRsForWavesPerEU: 6
; NumVGPRsForWavesPerEU: 1
; AccumOffset: 4
; Occupancy: 8
; WaveLimiterHint : 0
; COMPUTE_PGM_RSRC2:SCRATCH_EN: 0
; COMPUTE_PGM_RSRC2:USER_SGPR: 2
; COMPUTE_PGM_RSRC2:TRAP_HANDLER: 0
; COMPUTE_PGM_RSRC2:TGID_X_EN: 1
; COMPUTE_PGM_RSRC2:TGID_Y_EN: 0
; COMPUTE_PGM_RSRC2:TGID_Z_EN: 0
; COMPUTE_PGM_RSRC2:TIDIG_COMP_CNT: 0
; COMPUTE_PGM_RSRC3_GFX90A:ACCUM_OFFSET: 0
; COMPUTE_PGM_RSRC3_GFX90A:TG_SPLIT: 0
	.section	.text._ZN7rocprim17ROCPRIM_400000_NS6detail17trampoline_kernelINS0_14default_configENS1_35radix_sort_onesweep_config_selectorIisEEZZNS1_29radix_sort_onesweep_iterationIS3_Lb0EN6thrust23THRUST_200600_302600_NS10device_ptrIiEESA_NS9_IsEESB_jNS0_19identity_decomposerENS1_16block_id_wrapperIjLb0EEEEE10hipError_tT1_PNSt15iterator_traitsISG_E10value_typeET2_T3_PNSH_ISM_E10value_typeET4_T5_PSR_SS_PNS1_23onesweep_lookback_stateEbbT6_jjT7_P12ihipStream_tbENKUlT_T0_SG_SL_E_clISA_PiSB_PsEEDaSZ_S10_SG_SL_EUlSZ_E_NS1_11comp_targetILNS1_3genE2ELNS1_11target_archE906ELNS1_3gpuE6ELNS1_3repE0EEENS1_47radix_sort_onesweep_sort_config_static_selectorELNS0_4arch9wavefront6targetE1EEEvSG_,"axG",@progbits,_ZN7rocprim17ROCPRIM_400000_NS6detail17trampoline_kernelINS0_14default_configENS1_35radix_sort_onesweep_config_selectorIisEEZZNS1_29radix_sort_onesweep_iterationIS3_Lb0EN6thrust23THRUST_200600_302600_NS10device_ptrIiEESA_NS9_IsEESB_jNS0_19identity_decomposerENS1_16block_id_wrapperIjLb0EEEEE10hipError_tT1_PNSt15iterator_traitsISG_E10value_typeET2_T3_PNSH_ISM_E10value_typeET4_T5_PSR_SS_PNS1_23onesweep_lookback_stateEbbT6_jjT7_P12ihipStream_tbENKUlT_T0_SG_SL_E_clISA_PiSB_PsEEDaSZ_S10_SG_SL_EUlSZ_E_NS1_11comp_targetILNS1_3genE2ELNS1_11target_archE906ELNS1_3gpuE6ELNS1_3repE0EEENS1_47radix_sort_onesweep_sort_config_static_selectorELNS0_4arch9wavefront6targetE1EEEvSG_,comdat
	.protected	_ZN7rocprim17ROCPRIM_400000_NS6detail17trampoline_kernelINS0_14default_configENS1_35radix_sort_onesweep_config_selectorIisEEZZNS1_29radix_sort_onesweep_iterationIS3_Lb0EN6thrust23THRUST_200600_302600_NS10device_ptrIiEESA_NS9_IsEESB_jNS0_19identity_decomposerENS1_16block_id_wrapperIjLb0EEEEE10hipError_tT1_PNSt15iterator_traitsISG_E10value_typeET2_T3_PNSH_ISM_E10value_typeET4_T5_PSR_SS_PNS1_23onesweep_lookback_stateEbbT6_jjT7_P12ihipStream_tbENKUlT_T0_SG_SL_E_clISA_PiSB_PsEEDaSZ_S10_SG_SL_EUlSZ_E_NS1_11comp_targetILNS1_3genE2ELNS1_11target_archE906ELNS1_3gpuE6ELNS1_3repE0EEENS1_47radix_sort_onesweep_sort_config_static_selectorELNS0_4arch9wavefront6targetE1EEEvSG_ ; -- Begin function _ZN7rocprim17ROCPRIM_400000_NS6detail17trampoline_kernelINS0_14default_configENS1_35radix_sort_onesweep_config_selectorIisEEZZNS1_29radix_sort_onesweep_iterationIS3_Lb0EN6thrust23THRUST_200600_302600_NS10device_ptrIiEESA_NS9_IsEESB_jNS0_19identity_decomposerENS1_16block_id_wrapperIjLb0EEEEE10hipError_tT1_PNSt15iterator_traitsISG_E10value_typeET2_T3_PNSH_ISM_E10value_typeET4_T5_PSR_SS_PNS1_23onesweep_lookback_stateEbbT6_jjT7_P12ihipStream_tbENKUlT_T0_SG_SL_E_clISA_PiSB_PsEEDaSZ_S10_SG_SL_EUlSZ_E_NS1_11comp_targetILNS1_3genE2ELNS1_11target_archE906ELNS1_3gpuE6ELNS1_3repE0EEENS1_47radix_sort_onesweep_sort_config_static_selectorELNS0_4arch9wavefront6targetE1EEEvSG_
	.globl	_ZN7rocprim17ROCPRIM_400000_NS6detail17trampoline_kernelINS0_14default_configENS1_35radix_sort_onesweep_config_selectorIisEEZZNS1_29radix_sort_onesweep_iterationIS3_Lb0EN6thrust23THRUST_200600_302600_NS10device_ptrIiEESA_NS9_IsEESB_jNS0_19identity_decomposerENS1_16block_id_wrapperIjLb0EEEEE10hipError_tT1_PNSt15iterator_traitsISG_E10value_typeET2_T3_PNSH_ISM_E10value_typeET4_T5_PSR_SS_PNS1_23onesweep_lookback_stateEbbT6_jjT7_P12ihipStream_tbENKUlT_T0_SG_SL_E_clISA_PiSB_PsEEDaSZ_S10_SG_SL_EUlSZ_E_NS1_11comp_targetILNS1_3genE2ELNS1_11target_archE906ELNS1_3gpuE6ELNS1_3repE0EEENS1_47radix_sort_onesweep_sort_config_static_selectorELNS0_4arch9wavefront6targetE1EEEvSG_
	.p2align	8
	.type	_ZN7rocprim17ROCPRIM_400000_NS6detail17trampoline_kernelINS0_14default_configENS1_35radix_sort_onesweep_config_selectorIisEEZZNS1_29radix_sort_onesweep_iterationIS3_Lb0EN6thrust23THRUST_200600_302600_NS10device_ptrIiEESA_NS9_IsEESB_jNS0_19identity_decomposerENS1_16block_id_wrapperIjLb0EEEEE10hipError_tT1_PNSt15iterator_traitsISG_E10value_typeET2_T3_PNSH_ISM_E10value_typeET4_T5_PSR_SS_PNS1_23onesweep_lookback_stateEbbT6_jjT7_P12ihipStream_tbENKUlT_T0_SG_SL_E_clISA_PiSB_PsEEDaSZ_S10_SG_SL_EUlSZ_E_NS1_11comp_targetILNS1_3genE2ELNS1_11target_archE906ELNS1_3gpuE6ELNS1_3repE0EEENS1_47radix_sort_onesweep_sort_config_static_selectorELNS0_4arch9wavefront6targetE1EEEvSG_,@function
_ZN7rocprim17ROCPRIM_400000_NS6detail17trampoline_kernelINS0_14default_configENS1_35radix_sort_onesweep_config_selectorIisEEZZNS1_29radix_sort_onesweep_iterationIS3_Lb0EN6thrust23THRUST_200600_302600_NS10device_ptrIiEESA_NS9_IsEESB_jNS0_19identity_decomposerENS1_16block_id_wrapperIjLb0EEEEE10hipError_tT1_PNSt15iterator_traitsISG_E10value_typeET2_T3_PNSH_ISM_E10value_typeET4_T5_PSR_SS_PNS1_23onesweep_lookback_stateEbbT6_jjT7_P12ihipStream_tbENKUlT_T0_SG_SL_E_clISA_PiSB_PsEEDaSZ_S10_SG_SL_EUlSZ_E_NS1_11comp_targetILNS1_3genE2ELNS1_11target_archE906ELNS1_3gpuE6ELNS1_3repE0EEENS1_47radix_sort_onesweep_sort_config_static_selectorELNS0_4arch9wavefront6targetE1EEEvSG_: ; @_ZN7rocprim17ROCPRIM_400000_NS6detail17trampoline_kernelINS0_14default_configENS1_35radix_sort_onesweep_config_selectorIisEEZZNS1_29radix_sort_onesweep_iterationIS3_Lb0EN6thrust23THRUST_200600_302600_NS10device_ptrIiEESA_NS9_IsEESB_jNS0_19identity_decomposerENS1_16block_id_wrapperIjLb0EEEEE10hipError_tT1_PNSt15iterator_traitsISG_E10value_typeET2_T3_PNSH_ISM_E10value_typeET4_T5_PSR_SS_PNS1_23onesweep_lookback_stateEbbT6_jjT7_P12ihipStream_tbENKUlT_T0_SG_SL_E_clISA_PiSB_PsEEDaSZ_S10_SG_SL_EUlSZ_E_NS1_11comp_targetILNS1_3genE2ELNS1_11target_archE906ELNS1_3gpuE6ELNS1_3repE0EEENS1_47radix_sort_onesweep_sort_config_static_selectorELNS0_4arch9wavefront6targetE1EEEvSG_
; %bb.0:
	.section	.rodata,"a",@progbits
	.p2align	6, 0x0
	.amdhsa_kernel _ZN7rocprim17ROCPRIM_400000_NS6detail17trampoline_kernelINS0_14default_configENS1_35radix_sort_onesweep_config_selectorIisEEZZNS1_29radix_sort_onesweep_iterationIS3_Lb0EN6thrust23THRUST_200600_302600_NS10device_ptrIiEESA_NS9_IsEESB_jNS0_19identity_decomposerENS1_16block_id_wrapperIjLb0EEEEE10hipError_tT1_PNSt15iterator_traitsISG_E10value_typeET2_T3_PNSH_ISM_E10value_typeET4_T5_PSR_SS_PNS1_23onesweep_lookback_stateEbbT6_jjT7_P12ihipStream_tbENKUlT_T0_SG_SL_E_clISA_PiSB_PsEEDaSZ_S10_SG_SL_EUlSZ_E_NS1_11comp_targetILNS1_3genE2ELNS1_11target_archE906ELNS1_3gpuE6ELNS1_3repE0EEENS1_47radix_sort_onesweep_sort_config_static_selectorELNS0_4arch9wavefront6targetE1EEEvSG_
		.amdhsa_group_segment_fixed_size 0
		.amdhsa_private_segment_fixed_size 0
		.amdhsa_kernarg_size 88
		.amdhsa_user_sgpr_count 2
		.amdhsa_user_sgpr_dispatch_ptr 0
		.amdhsa_user_sgpr_queue_ptr 0
		.amdhsa_user_sgpr_kernarg_segment_ptr 1
		.amdhsa_user_sgpr_dispatch_id 0
		.amdhsa_user_sgpr_kernarg_preload_length 0
		.amdhsa_user_sgpr_kernarg_preload_offset 0
		.amdhsa_user_sgpr_private_segment_size 0
		.amdhsa_uses_dynamic_stack 0
		.amdhsa_enable_private_segment 0
		.amdhsa_system_sgpr_workgroup_id_x 1
		.amdhsa_system_sgpr_workgroup_id_y 0
		.amdhsa_system_sgpr_workgroup_id_z 0
		.amdhsa_system_sgpr_workgroup_info 0
		.amdhsa_system_vgpr_workitem_id 0
		.amdhsa_next_free_vgpr 1
		.amdhsa_next_free_sgpr 0
		.amdhsa_accum_offset 4
		.amdhsa_reserve_vcc 0
		.amdhsa_float_round_mode_32 0
		.amdhsa_float_round_mode_16_64 0
		.amdhsa_float_denorm_mode_32 3
		.amdhsa_float_denorm_mode_16_64 3
		.amdhsa_dx10_clamp 1
		.amdhsa_ieee_mode 1
		.amdhsa_fp16_overflow 0
		.amdhsa_tg_split 0
		.amdhsa_exception_fp_ieee_invalid_op 0
		.amdhsa_exception_fp_denorm_src 0
		.amdhsa_exception_fp_ieee_div_zero 0
		.amdhsa_exception_fp_ieee_overflow 0
		.amdhsa_exception_fp_ieee_underflow 0
		.amdhsa_exception_fp_ieee_inexact 0
		.amdhsa_exception_int_div_zero 0
	.end_amdhsa_kernel
	.section	.text._ZN7rocprim17ROCPRIM_400000_NS6detail17trampoline_kernelINS0_14default_configENS1_35radix_sort_onesweep_config_selectorIisEEZZNS1_29radix_sort_onesweep_iterationIS3_Lb0EN6thrust23THRUST_200600_302600_NS10device_ptrIiEESA_NS9_IsEESB_jNS0_19identity_decomposerENS1_16block_id_wrapperIjLb0EEEEE10hipError_tT1_PNSt15iterator_traitsISG_E10value_typeET2_T3_PNSH_ISM_E10value_typeET4_T5_PSR_SS_PNS1_23onesweep_lookback_stateEbbT6_jjT7_P12ihipStream_tbENKUlT_T0_SG_SL_E_clISA_PiSB_PsEEDaSZ_S10_SG_SL_EUlSZ_E_NS1_11comp_targetILNS1_3genE2ELNS1_11target_archE906ELNS1_3gpuE6ELNS1_3repE0EEENS1_47radix_sort_onesweep_sort_config_static_selectorELNS0_4arch9wavefront6targetE1EEEvSG_,"axG",@progbits,_ZN7rocprim17ROCPRIM_400000_NS6detail17trampoline_kernelINS0_14default_configENS1_35radix_sort_onesweep_config_selectorIisEEZZNS1_29radix_sort_onesweep_iterationIS3_Lb0EN6thrust23THRUST_200600_302600_NS10device_ptrIiEESA_NS9_IsEESB_jNS0_19identity_decomposerENS1_16block_id_wrapperIjLb0EEEEE10hipError_tT1_PNSt15iterator_traitsISG_E10value_typeET2_T3_PNSH_ISM_E10value_typeET4_T5_PSR_SS_PNS1_23onesweep_lookback_stateEbbT6_jjT7_P12ihipStream_tbENKUlT_T0_SG_SL_E_clISA_PiSB_PsEEDaSZ_S10_SG_SL_EUlSZ_E_NS1_11comp_targetILNS1_3genE2ELNS1_11target_archE906ELNS1_3gpuE6ELNS1_3repE0EEENS1_47radix_sort_onesweep_sort_config_static_selectorELNS0_4arch9wavefront6targetE1EEEvSG_,comdat
.Lfunc_end2479:
	.size	_ZN7rocprim17ROCPRIM_400000_NS6detail17trampoline_kernelINS0_14default_configENS1_35radix_sort_onesweep_config_selectorIisEEZZNS1_29radix_sort_onesweep_iterationIS3_Lb0EN6thrust23THRUST_200600_302600_NS10device_ptrIiEESA_NS9_IsEESB_jNS0_19identity_decomposerENS1_16block_id_wrapperIjLb0EEEEE10hipError_tT1_PNSt15iterator_traitsISG_E10value_typeET2_T3_PNSH_ISM_E10value_typeET4_T5_PSR_SS_PNS1_23onesweep_lookback_stateEbbT6_jjT7_P12ihipStream_tbENKUlT_T0_SG_SL_E_clISA_PiSB_PsEEDaSZ_S10_SG_SL_EUlSZ_E_NS1_11comp_targetILNS1_3genE2ELNS1_11target_archE906ELNS1_3gpuE6ELNS1_3repE0EEENS1_47radix_sort_onesweep_sort_config_static_selectorELNS0_4arch9wavefront6targetE1EEEvSG_, .Lfunc_end2479-_ZN7rocprim17ROCPRIM_400000_NS6detail17trampoline_kernelINS0_14default_configENS1_35radix_sort_onesweep_config_selectorIisEEZZNS1_29radix_sort_onesweep_iterationIS3_Lb0EN6thrust23THRUST_200600_302600_NS10device_ptrIiEESA_NS9_IsEESB_jNS0_19identity_decomposerENS1_16block_id_wrapperIjLb0EEEEE10hipError_tT1_PNSt15iterator_traitsISG_E10value_typeET2_T3_PNSH_ISM_E10value_typeET4_T5_PSR_SS_PNS1_23onesweep_lookback_stateEbbT6_jjT7_P12ihipStream_tbENKUlT_T0_SG_SL_E_clISA_PiSB_PsEEDaSZ_S10_SG_SL_EUlSZ_E_NS1_11comp_targetILNS1_3genE2ELNS1_11target_archE906ELNS1_3gpuE6ELNS1_3repE0EEENS1_47radix_sort_onesweep_sort_config_static_selectorELNS0_4arch9wavefront6targetE1EEEvSG_
                                        ; -- End function
	.set _ZN7rocprim17ROCPRIM_400000_NS6detail17trampoline_kernelINS0_14default_configENS1_35radix_sort_onesweep_config_selectorIisEEZZNS1_29radix_sort_onesweep_iterationIS3_Lb0EN6thrust23THRUST_200600_302600_NS10device_ptrIiEESA_NS9_IsEESB_jNS0_19identity_decomposerENS1_16block_id_wrapperIjLb0EEEEE10hipError_tT1_PNSt15iterator_traitsISG_E10value_typeET2_T3_PNSH_ISM_E10value_typeET4_T5_PSR_SS_PNS1_23onesweep_lookback_stateEbbT6_jjT7_P12ihipStream_tbENKUlT_T0_SG_SL_E_clISA_PiSB_PsEEDaSZ_S10_SG_SL_EUlSZ_E_NS1_11comp_targetILNS1_3genE2ELNS1_11target_archE906ELNS1_3gpuE6ELNS1_3repE0EEENS1_47radix_sort_onesweep_sort_config_static_selectorELNS0_4arch9wavefront6targetE1EEEvSG_.num_vgpr, 0
	.set _ZN7rocprim17ROCPRIM_400000_NS6detail17trampoline_kernelINS0_14default_configENS1_35radix_sort_onesweep_config_selectorIisEEZZNS1_29radix_sort_onesweep_iterationIS3_Lb0EN6thrust23THRUST_200600_302600_NS10device_ptrIiEESA_NS9_IsEESB_jNS0_19identity_decomposerENS1_16block_id_wrapperIjLb0EEEEE10hipError_tT1_PNSt15iterator_traitsISG_E10value_typeET2_T3_PNSH_ISM_E10value_typeET4_T5_PSR_SS_PNS1_23onesweep_lookback_stateEbbT6_jjT7_P12ihipStream_tbENKUlT_T0_SG_SL_E_clISA_PiSB_PsEEDaSZ_S10_SG_SL_EUlSZ_E_NS1_11comp_targetILNS1_3genE2ELNS1_11target_archE906ELNS1_3gpuE6ELNS1_3repE0EEENS1_47radix_sort_onesweep_sort_config_static_selectorELNS0_4arch9wavefront6targetE1EEEvSG_.num_agpr, 0
	.set _ZN7rocprim17ROCPRIM_400000_NS6detail17trampoline_kernelINS0_14default_configENS1_35radix_sort_onesweep_config_selectorIisEEZZNS1_29radix_sort_onesweep_iterationIS3_Lb0EN6thrust23THRUST_200600_302600_NS10device_ptrIiEESA_NS9_IsEESB_jNS0_19identity_decomposerENS1_16block_id_wrapperIjLb0EEEEE10hipError_tT1_PNSt15iterator_traitsISG_E10value_typeET2_T3_PNSH_ISM_E10value_typeET4_T5_PSR_SS_PNS1_23onesweep_lookback_stateEbbT6_jjT7_P12ihipStream_tbENKUlT_T0_SG_SL_E_clISA_PiSB_PsEEDaSZ_S10_SG_SL_EUlSZ_E_NS1_11comp_targetILNS1_3genE2ELNS1_11target_archE906ELNS1_3gpuE6ELNS1_3repE0EEENS1_47radix_sort_onesweep_sort_config_static_selectorELNS0_4arch9wavefront6targetE1EEEvSG_.numbered_sgpr, 0
	.set _ZN7rocprim17ROCPRIM_400000_NS6detail17trampoline_kernelINS0_14default_configENS1_35radix_sort_onesweep_config_selectorIisEEZZNS1_29radix_sort_onesweep_iterationIS3_Lb0EN6thrust23THRUST_200600_302600_NS10device_ptrIiEESA_NS9_IsEESB_jNS0_19identity_decomposerENS1_16block_id_wrapperIjLb0EEEEE10hipError_tT1_PNSt15iterator_traitsISG_E10value_typeET2_T3_PNSH_ISM_E10value_typeET4_T5_PSR_SS_PNS1_23onesweep_lookback_stateEbbT6_jjT7_P12ihipStream_tbENKUlT_T0_SG_SL_E_clISA_PiSB_PsEEDaSZ_S10_SG_SL_EUlSZ_E_NS1_11comp_targetILNS1_3genE2ELNS1_11target_archE906ELNS1_3gpuE6ELNS1_3repE0EEENS1_47radix_sort_onesweep_sort_config_static_selectorELNS0_4arch9wavefront6targetE1EEEvSG_.num_named_barrier, 0
	.set _ZN7rocprim17ROCPRIM_400000_NS6detail17trampoline_kernelINS0_14default_configENS1_35radix_sort_onesweep_config_selectorIisEEZZNS1_29radix_sort_onesweep_iterationIS3_Lb0EN6thrust23THRUST_200600_302600_NS10device_ptrIiEESA_NS9_IsEESB_jNS0_19identity_decomposerENS1_16block_id_wrapperIjLb0EEEEE10hipError_tT1_PNSt15iterator_traitsISG_E10value_typeET2_T3_PNSH_ISM_E10value_typeET4_T5_PSR_SS_PNS1_23onesweep_lookback_stateEbbT6_jjT7_P12ihipStream_tbENKUlT_T0_SG_SL_E_clISA_PiSB_PsEEDaSZ_S10_SG_SL_EUlSZ_E_NS1_11comp_targetILNS1_3genE2ELNS1_11target_archE906ELNS1_3gpuE6ELNS1_3repE0EEENS1_47radix_sort_onesweep_sort_config_static_selectorELNS0_4arch9wavefront6targetE1EEEvSG_.private_seg_size, 0
	.set _ZN7rocprim17ROCPRIM_400000_NS6detail17trampoline_kernelINS0_14default_configENS1_35radix_sort_onesweep_config_selectorIisEEZZNS1_29radix_sort_onesweep_iterationIS3_Lb0EN6thrust23THRUST_200600_302600_NS10device_ptrIiEESA_NS9_IsEESB_jNS0_19identity_decomposerENS1_16block_id_wrapperIjLb0EEEEE10hipError_tT1_PNSt15iterator_traitsISG_E10value_typeET2_T3_PNSH_ISM_E10value_typeET4_T5_PSR_SS_PNS1_23onesweep_lookback_stateEbbT6_jjT7_P12ihipStream_tbENKUlT_T0_SG_SL_E_clISA_PiSB_PsEEDaSZ_S10_SG_SL_EUlSZ_E_NS1_11comp_targetILNS1_3genE2ELNS1_11target_archE906ELNS1_3gpuE6ELNS1_3repE0EEENS1_47radix_sort_onesweep_sort_config_static_selectorELNS0_4arch9wavefront6targetE1EEEvSG_.uses_vcc, 0
	.set _ZN7rocprim17ROCPRIM_400000_NS6detail17trampoline_kernelINS0_14default_configENS1_35radix_sort_onesweep_config_selectorIisEEZZNS1_29radix_sort_onesweep_iterationIS3_Lb0EN6thrust23THRUST_200600_302600_NS10device_ptrIiEESA_NS9_IsEESB_jNS0_19identity_decomposerENS1_16block_id_wrapperIjLb0EEEEE10hipError_tT1_PNSt15iterator_traitsISG_E10value_typeET2_T3_PNSH_ISM_E10value_typeET4_T5_PSR_SS_PNS1_23onesweep_lookback_stateEbbT6_jjT7_P12ihipStream_tbENKUlT_T0_SG_SL_E_clISA_PiSB_PsEEDaSZ_S10_SG_SL_EUlSZ_E_NS1_11comp_targetILNS1_3genE2ELNS1_11target_archE906ELNS1_3gpuE6ELNS1_3repE0EEENS1_47radix_sort_onesweep_sort_config_static_selectorELNS0_4arch9wavefront6targetE1EEEvSG_.uses_flat_scratch, 0
	.set _ZN7rocprim17ROCPRIM_400000_NS6detail17trampoline_kernelINS0_14default_configENS1_35radix_sort_onesweep_config_selectorIisEEZZNS1_29radix_sort_onesweep_iterationIS3_Lb0EN6thrust23THRUST_200600_302600_NS10device_ptrIiEESA_NS9_IsEESB_jNS0_19identity_decomposerENS1_16block_id_wrapperIjLb0EEEEE10hipError_tT1_PNSt15iterator_traitsISG_E10value_typeET2_T3_PNSH_ISM_E10value_typeET4_T5_PSR_SS_PNS1_23onesweep_lookback_stateEbbT6_jjT7_P12ihipStream_tbENKUlT_T0_SG_SL_E_clISA_PiSB_PsEEDaSZ_S10_SG_SL_EUlSZ_E_NS1_11comp_targetILNS1_3genE2ELNS1_11target_archE906ELNS1_3gpuE6ELNS1_3repE0EEENS1_47radix_sort_onesweep_sort_config_static_selectorELNS0_4arch9wavefront6targetE1EEEvSG_.has_dyn_sized_stack, 0
	.set _ZN7rocprim17ROCPRIM_400000_NS6detail17trampoline_kernelINS0_14default_configENS1_35radix_sort_onesweep_config_selectorIisEEZZNS1_29radix_sort_onesweep_iterationIS3_Lb0EN6thrust23THRUST_200600_302600_NS10device_ptrIiEESA_NS9_IsEESB_jNS0_19identity_decomposerENS1_16block_id_wrapperIjLb0EEEEE10hipError_tT1_PNSt15iterator_traitsISG_E10value_typeET2_T3_PNSH_ISM_E10value_typeET4_T5_PSR_SS_PNS1_23onesweep_lookback_stateEbbT6_jjT7_P12ihipStream_tbENKUlT_T0_SG_SL_E_clISA_PiSB_PsEEDaSZ_S10_SG_SL_EUlSZ_E_NS1_11comp_targetILNS1_3genE2ELNS1_11target_archE906ELNS1_3gpuE6ELNS1_3repE0EEENS1_47radix_sort_onesweep_sort_config_static_selectorELNS0_4arch9wavefront6targetE1EEEvSG_.has_recursion, 0
	.set _ZN7rocprim17ROCPRIM_400000_NS6detail17trampoline_kernelINS0_14default_configENS1_35radix_sort_onesweep_config_selectorIisEEZZNS1_29radix_sort_onesweep_iterationIS3_Lb0EN6thrust23THRUST_200600_302600_NS10device_ptrIiEESA_NS9_IsEESB_jNS0_19identity_decomposerENS1_16block_id_wrapperIjLb0EEEEE10hipError_tT1_PNSt15iterator_traitsISG_E10value_typeET2_T3_PNSH_ISM_E10value_typeET4_T5_PSR_SS_PNS1_23onesweep_lookback_stateEbbT6_jjT7_P12ihipStream_tbENKUlT_T0_SG_SL_E_clISA_PiSB_PsEEDaSZ_S10_SG_SL_EUlSZ_E_NS1_11comp_targetILNS1_3genE2ELNS1_11target_archE906ELNS1_3gpuE6ELNS1_3repE0EEENS1_47radix_sort_onesweep_sort_config_static_selectorELNS0_4arch9wavefront6targetE1EEEvSG_.has_indirect_call, 0
	.section	.AMDGPU.csdata,"",@progbits
; Kernel info:
; codeLenInByte = 0
; TotalNumSgprs: 6
; NumVgprs: 0
; NumAgprs: 0
; TotalNumVgprs: 0
; ScratchSize: 0
; MemoryBound: 0
; FloatMode: 240
; IeeeMode: 1
; LDSByteSize: 0 bytes/workgroup (compile time only)
; SGPRBlocks: 0
; VGPRBlocks: 0
; NumSGPRsForWavesPerEU: 6
; NumVGPRsForWavesPerEU: 1
; AccumOffset: 4
; Occupancy: 8
; WaveLimiterHint : 0
; COMPUTE_PGM_RSRC2:SCRATCH_EN: 0
; COMPUTE_PGM_RSRC2:USER_SGPR: 2
; COMPUTE_PGM_RSRC2:TRAP_HANDLER: 0
; COMPUTE_PGM_RSRC2:TGID_X_EN: 1
; COMPUTE_PGM_RSRC2:TGID_Y_EN: 0
; COMPUTE_PGM_RSRC2:TGID_Z_EN: 0
; COMPUTE_PGM_RSRC2:TIDIG_COMP_CNT: 0
; COMPUTE_PGM_RSRC3_GFX90A:ACCUM_OFFSET: 0
; COMPUTE_PGM_RSRC3_GFX90A:TG_SPLIT: 0
	.section	.text._ZN7rocprim17ROCPRIM_400000_NS6detail17trampoline_kernelINS0_14default_configENS1_35radix_sort_onesweep_config_selectorIisEEZZNS1_29radix_sort_onesweep_iterationIS3_Lb0EN6thrust23THRUST_200600_302600_NS10device_ptrIiEESA_NS9_IsEESB_jNS0_19identity_decomposerENS1_16block_id_wrapperIjLb0EEEEE10hipError_tT1_PNSt15iterator_traitsISG_E10value_typeET2_T3_PNSH_ISM_E10value_typeET4_T5_PSR_SS_PNS1_23onesweep_lookback_stateEbbT6_jjT7_P12ihipStream_tbENKUlT_T0_SG_SL_E_clISA_PiSB_PsEEDaSZ_S10_SG_SL_EUlSZ_E_NS1_11comp_targetILNS1_3genE4ELNS1_11target_archE910ELNS1_3gpuE8ELNS1_3repE0EEENS1_47radix_sort_onesweep_sort_config_static_selectorELNS0_4arch9wavefront6targetE1EEEvSG_,"axG",@progbits,_ZN7rocprim17ROCPRIM_400000_NS6detail17trampoline_kernelINS0_14default_configENS1_35radix_sort_onesweep_config_selectorIisEEZZNS1_29radix_sort_onesweep_iterationIS3_Lb0EN6thrust23THRUST_200600_302600_NS10device_ptrIiEESA_NS9_IsEESB_jNS0_19identity_decomposerENS1_16block_id_wrapperIjLb0EEEEE10hipError_tT1_PNSt15iterator_traitsISG_E10value_typeET2_T3_PNSH_ISM_E10value_typeET4_T5_PSR_SS_PNS1_23onesweep_lookback_stateEbbT6_jjT7_P12ihipStream_tbENKUlT_T0_SG_SL_E_clISA_PiSB_PsEEDaSZ_S10_SG_SL_EUlSZ_E_NS1_11comp_targetILNS1_3genE4ELNS1_11target_archE910ELNS1_3gpuE8ELNS1_3repE0EEENS1_47radix_sort_onesweep_sort_config_static_selectorELNS0_4arch9wavefront6targetE1EEEvSG_,comdat
	.protected	_ZN7rocprim17ROCPRIM_400000_NS6detail17trampoline_kernelINS0_14default_configENS1_35radix_sort_onesweep_config_selectorIisEEZZNS1_29radix_sort_onesweep_iterationIS3_Lb0EN6thrust23THRUST_200600_302600_NS10device_ptrIiEESA_NS9_IsEESB_jNS0_19identity_decomposerENS1_16block_id_wrapperIjLb0EEEEE10hipError_tT1_PNSt15iterator_traitsISG_E10value_typeET2_T3_PNSH_ISM_E10value_typeET4_T5_PSR_SS_PNS1_23onesweep_lookback_stateEbbT6_jjT7_P12ihipStream_tbENKUlT_T0_SG_SL_E_clISA_PiSB_PsEEDaSZ_S10_SG_SL_EUlSZ_E_NS1_11comp_targetILNS1_3genE4ELNS1_11target_archE910ELNS1_3gpuE8ELNS1_3repE0EEENS1_47radix_sort_onesweep_sort_config_static_selectorELNS0_4arch9wavefront6targetE1EEEvSG_ ; -- Begin function _ZN7rocprim17ROCPRIM_400000_NS6detail17trampoline_kernelINS0_14default_configENS1_35radix_sort_onesweep_config_selectorIisEEZZNS1_29radix_sort_onesweep_iterationIS3_Lb0EN6thrust23THRUST_200600_302600_NS10device_ptrIiEESA_NS9_IsEESB_jNS0_19identity_decomposerENS1_16block_id_wrapperIjLb0EEEEE10hipError_tT1_PNSt15iterator_traitsISG_E10value_typeET2_T3_PNSH_ISM_E10value_typeET4_T5_PSR_SS_PNS1_23onesweep_lookback_stateEbbT6_jjT7_P12ihipStream_tbENKUlT_T0_SG_SL_E_clISA_PiSB_PsEEDaSZ_S10_SG_SL_EUlSZ_E_NS1_11comp_targetILNS1_3genE4ELNS1_11target_archE910ELNS1_3gpuE8ELNS1_3repE0EEENS1_47radix_sort_onesweep_sort_config_static_selectorELNS0_4arch9wavefront6targetE1EEEvSG_
	.globl	_ZN7rocprim17ROCPRIM_400000_NS6detail17trampoline_kernelINS0_14default_configENS1_35radix_sort_onesweep_config_selectorIisEEZZNS1_29radix_sort_onesweep_iterationIS3_Lb0EN6thrust23THRUST_200600_302600_NS10device_ptrIiEESA_NS9_IsEESB_jNS0_19identity_decomposerENS1_16block_id_wrapperIjLb0EEEEE10hipError_tT1_PNSt15iterator_traitsISG_E10value_typeET2_T3_PNSH_ISM_E10value_typeET4_T5_PSR_SS_PNS1_23onesweep_lookback_stateEbbT6_jjT7_P12ihipStream_tbENKUlT_T0_SG_SL_E_clISA_PiSB_PsEEDaSZ_S10_SG_SL_EUlSZ_E_NS1_11comp_targetILNS1_3genE4ELNS1_11target_archE910ELNS1_3gpuE8ELNS1_3repE0EEENS1_47radix_sort_onesweep_sort_config_static_selectorELNS0_4arch9wavefront6targetE1EEEvSG_
	.p2align	8
	.type	_ZN7rocprim17ROCPRIM_400000_NS6detail17trampoline_kernelINS0_14default_configENS1_35radix_sort_onesweep_config_selectorIisEEZZNS1_29radix_sort_onesweep_iterationIS3_Lb0EN6thrust23THRUST_200600_302600_NS10device_ptrIiEESA_NS9_IsEESB_jNS0_19identity_decomposerENS1_16block_id_wrapperIjLb0EEEEE10hipError_tT1_PNSt15iterator_traitsISG_E10value_typeET2_T3_PNSH_ISM_E10value_typeET4_T5_PSR_SS_PNS1_23onesweep_lookback_stateEbbT6_jjT7_P12ihipStream_tbENKUlT_T0_SG_SL_E_clISA_PiSB_PsEEDaSZ_S10_SG_SL_EUlSZ_E_NS1_11comp_targetILNS1_3genE4ELNS1_11target_archE910ELNS1_3gpuE8ELNS1_3repE0EEENS1_47radix_sort_onesweep_sort_config_static_selectorELNS0_4arch9wavefront6targetE1EEEvSG_,@function
_ZN7rocprim17ROCPRIM_400000_NS6detail17trampoline_kernelINS0_14default_configENS1_35radix_sort_onesweep_config_selectorIisEEZZNS1_29radix_sort_onesweep_iterationIS3_Lb0EN6thrust23THRUST_200600_302600_NS10device_ptrIiEESA_NS9_IsEESB_jNS0_19identity_decomposerENS1_16block_id_wrapperIjLb0EEEEE10hipError_tT1_PNSt15iterator_traitsISG_E10value_typeET2_T3_PNSH_ISM_E10value_typeET4_T5_PSR_SS_PNS1_23onesweep_lookback_stateEbbT6_jjT7_P12ihipStream_tbENKUlT_T0_SG_SL_E_clISA_PiSB_PsEEDaSZ_S10_SG_SL_EUlSZ_E_NS1_11comp_targetILNS1_3genE4ELNS1_11target_archE910ELNS1_3gpuE8ELNS1_3repE0EEENS1_47radix_sort_onesweep_sort_config_static_selectorELNS0_4arch9wavefront6targetE1EEEvSG_: ; @_ZN7rocprim17ROCPRIM_400000_NS6detail17trampoline_kernelINS0_14default_configENS1_35radix_sort_onesweep_config_selectorIisEEZZNS1_29radix_sort_onesweep_iterationIS3_Lb0EN6thrust23THRUST_200600_302600_NS10device_ptrIiEESA_NS9_IsEESB_jNS0_19identity_decomposerENS1_16block_id_wrapperIjLb0EEEEE10hipError_tT1_PNSt15iterator_traitsISG_E10value_typeET2_T3_PNSH_ISM_E10value_typeET4_T5_PSR_SS_PNS1_23onesweep_lookback_stateEbbT6_jjT7_P12ihipStream_tbENKUlT_T0_SG_SL_E_clISA_PiSB_PsEEDaSZ_S10_SG_SL_EUlSZ_E_NS1_11comp_targetILNS1_3genE4ELNS1_11target_archE910ELNS1_3gpuE8ELNS1_3repE0EEENS1_47radix_sort_onesweep_sort_config_static_selectorELNS0_4arch9wavefront6targetE1EEEvSG_
; %bb.0:
	.section	.rodata,"a",@progbits
	.p2align	6, 0x0
	.amdhsa_kernel _ZN7rocprim17ROCPRIM_400000_NS6detail17trampoline_kernelINS0_14default_configENS1_35radix_sort_onesweep_config_selectorIisEEZZNS1_29radix_sort_onesweep_iterationIS3_Lb0EN6thrust23THRUST_200600_302600_NS10device_ptrIiEESA_NS9_IsEESB_jNS0_19identity_decomposerENS1_16block_id_wrapperIjLb0EEEEE10hipError_tT1_PNSt15iterator_traitsISG_E10value_typeET2_T3_PNSH_ISM_E10value_typeET4_T5_PSR_SS_PNS1_23onesweep_lookback_stateEbbT6_jjT7_P12ihipStream_tbENKUlT_T0_SG_SL_E_clISA_PiSB_PsEEDaSZ_S10_SG_SL_EUlSZ_E_NS1_11comp_targetILNS1_3genE4ELNS1_11target_archE910ELNS1_3gpuE8ELNS1_3repE0EEENS1_47radix_sort_onesweep_sort_config_static_selectorELNS0_4arch9wavefront6targetE1EEEvSG_
		.amdhsa_group_segment_fixed_size 0
		.amdhsa_private_segment_fixed_size 0
		.amdhsa_kernarg_size 88
		.amdhsa_user_sgpr_count 2
		.amdhsa_user_sgpr_dispatch_ptr 0
		.amdhsa_user_sgpr_queue_ptr 0
		.amdhsa_user_sgpr_kernarg_segment_ptr 1
		.amdhsa_user_sgpr_dispatch_id 0
		.amdhsa_user_sgpr_kernarg_preload_length 0
		.amdhsa_user_sgpr_kernarg_preload_offset 0
		.amdhsa_user_sgpr_private_segment_size 0
		.amdhsa_uses_dynamic_stack 0
		.amdhsa_enable_private_segment 0
		.amdhsa_system_sgpr_workgroup_id_x 1
		.amdhsa_system_sgpr_workgroup_id_y 0
		.amdhsa_system_sgpr_workgroup_id_z 0
		.amdhsa_system_sgpr_workgroup_info 0
		.amdhsa_system_vgpr_workitem_id 0
		.amdhsa_next_free_vgpr 1
		.amdhsa_next_free_sgpr 0
		.amdhsa_accum_offset 4
		.amdhsa_reserve_vcc 0
		.amdhsa_float_round_mode_32 0
		.amdhsa_float_round_mode_16_64 0
		.amdhsa_float_denorm_mode_32 3
		.amdhsa_float_denorm_mode_16_64 3
		.amdhsa_dx10_clamp 1
		.amdhsa_ieee_mode 1
		.amdhsa_fp16_overflow 0
		.amdhsa_tg_split 0
		.amdhsa_exception_fp_ieee_invalid_op 0
		.amdhsa_exception_fp_denorm_src 0
		.amdhsa_exception_fp_ieee_div_zero 0
		.amdhsa_exception_fp_ieee_overflow 0
		.amdhsa_exception_fp_ieee_underflow 0
		.amdhsa_exception_fp_ieee_inexact 0
		.amdhsa_exception_int_div_zero 0
	.end_amdhsa_kernel
	.section	.text._ZN7rocprim17ROCPRIM_400000_NS6detail17trampoline_kernelINS0_14default_configENS1_35radix_sort_onesweep_config_selectorIisEEZZNS1_29radix_sort_onesweep_iterationIS3_Lb0EN6thrust23THRUST_200600_302600_NS10device_ptrIiEESA_NS9_IsEESB_jNS0_19identity_decomposerENS1_16block_id_wrapperIjLb0EEEEE10hipError_tT1_PNSt15iterator_traitsISG_E10value_typeET2_T3_PNSH_ISM_E10value_typeET4_T5_PSR_SS_PNS1_23onesweep_lookback_stateEbbT6_jjT7_P12ihipStream_tbENKUlT_T0_SG_SL_E_clISA_PiSB_PsEEDaSZ_S10_SG_SL_EUlSZ_E_NS1_11comp_targetILNS1_3genE4ELNS1_11target_archE910ELNS1_3gpuE8ELNS1_3repE0EEENS1_47radix_sort_onesweep_sort_config_static_selectorELNS0_4arch9wavefront6targetE1EEEvSG_,"axG",@progbits,_ZN7rocprim17ROCPRIM_400000_NS6detail17trampoline_kernelINS0_14default_configENS1_35radix_sort_onesweep_config_selectorIisEEZZNS1_29radix_sort_onesweep_iterationIS3_Lb0EN6thrust23THRUST_200600_302600_NS10device_ptrIiEESA_NS9_IsEESB_jNS0_19identity_decomposerENS1_16block_id_wrapperIjLb0EEEEE10hipError_tT1_PNSt15iterator_traitsISG_E10value_typeET2_T3_PNSH_ISM_E10value_typeET4_T5_PSR_SS_PNS1_23onesweep_lookback_stateEbbT6_jjT7_P12ihipStream_tbENKUlT_T0_SG_SL_E_clISA_PiSB_PsEEDaSZ_S10_SG_SL_EUlSZ_E_NS1_11comp_targetILNS1_3genE4ELNS1_11target_archE910ELNS1_3gpuE8ELNS1_3repE0EEENS1_47radix_sort_onesweep_sort_config_static_selectorELNS0_4arch9wavefront6targetE1EEEvSG_,comdat
.Lfunc_end2480:
	.size	_ZN7rocprim17ROCPRIM_400000_NS6detail17trampoline_kernelINS0_14default_configENS1_35radix_sort_onesweep_config_selectorIisEEZZNS1_29radix_sort_onesweep_iterationIS3_Lb0EN6thrust23THRUST_200600_302600_NS10device_ptrIiEESA_NS9_IsEESB_jNS0_19identity_decomposerENS1_16block_id_wrapperIjLb0EEEEE10hipError_tT1_PNSt15iterator_traitsISG_E10value_typeET2_T3_PNSH_ISM_E10value_typeET4_T5_PSR_SS_PNS1_23onesweep_lookback_stateEbbT6_jjT7_P12ihipStream_tbENKUlT_T0_SG_SL_E_clISA_PiSB_PsEEDaSZ_S10_SG_SL_EUlSZ_E_NS1_11comp_targetILNS1_3genE4ELNS1_11target_archE910ELNS1_3gpuE8ELNS1_3repE0EEENS1_47radix_sort_onesweep_sort_config_static_selectorELNS0_4arch9wavefront6targetE1EEEvSG_, .Lfunc_end2480-_ZN7rocprim17ROCPRIM_400000_NS6detail17trampoline_kernelINS0_14default_configENS1_35radix_sort_onesweep_config_selectorIisEEZZNS1_29radix_sort_onesweep_iterationIS3_Lb0EN6thrust23THRUST_200600_302600_NS10device_ptrIiEESA_NS9_IsEESB_jNS0_19identity_decomposerENS1_16block_id_wrapperIjLb0EEEEE10hipError_tT1_PNSt15iterator_traitsISG_E10value_typeET2_T3_PNSH_ISM_E10value_typeET4_T5_PSR_SS_PNS1_23onesweep_lookback_stateEbbT6_jjT7_P12ihipStream_tbENKUlT_T0_SG_SL_E_clISA_PiSB_PsEEDaSZ_S10_SG_SL_EUlSZ_E_NS1_11comp_targetILNS1_3genE4ELNS1_11target_archE910ELNS1_3gpuE8ELNS1_3repE0EEENS1_47radix_sort_onesweep_sort_config_static_selectorELNS0_4arch9wavefront6targetE1EEEvSG_
                                        ; -- End function
	.set _ZN7rocprim17ROCPRIM_400000_NS6detail17trampoline_kernelINS0_14default_configENS1_35radix_sort_onesweep_config_selectorIisEEZZNS1_29radix_sort_onesweep_iterationIS3_Lb0EN6thrust23THRUST_200600_302600_NS10device_ptrIiEESA_NS9_IsEESB_jNS0_19identity_decomposerENS1_16block_id_wrapperIjLb0EEEEE10hipError_tT1_PNSt15iterator_traitsISG_E10value_typeET2_T3_PNSH_ISM_E10value_typeET4_T5_PSR_SS_PNS1_23onesweep_lookback_stateEbbT6_jjT7_P12ihipStream_tbENKUlT_T0_SG_SL_E_clISA_PiSB_PsEEDaSZ_S10_SG_SL_EUlSZ_E_NS1_11comp_targetILNS1_3genE4ELNS1_11target_archE910ELNS1_3gpuE8ELNS1_3repE0EEENS1_47radix_sort_onesweep_sort_config_static_selectorELNS0_4arch9wavefront6targetE1EEEvSG_.num_vgpr, 0
	.set _ZN7rocprim17ROCPRIM_400000_NS6detail17trampoline_kernelINS0_14default_configENS1_35radix_sort_onesweep_config_selectorIisEEZZNS1_29radix_sort_onesweep_iterationIS3_Lb0EN6thrust23THRUST_200600_302600_NS10device_ptrIiEESA_NS9_IsEESB_jNS0_19identity_decomposerENS1_16block_id_wrapperIjLb0EEEEE10hipError_tT1_PNSt15iterator_traitsISG_E10value_typeET2_T3_PNSH_ISM_E10value_typeET4_T5_PSR_SS_PNS1_23onesweep_lookback_stateEbbT6_jjT7_P12ihipStream_tbENKUlT_T0_SG_SL_E_clISA_PiSB_PsEEDaSZ_S10_SG_SL_EUlSZ_E_NS1_11comp_targetILNS1_3genE4ELNS1_11target_archE910ELNS1_3gpuE8ELNS1_3repE0EEENS1_47radix_sort_onesweep_sort_config_static_selectorELNS0_4arch9wavefront6targetE1EEEvSG_.num_agpr, 0
	.set _ZN7rocprim17ROCPRIM_400000_NS6detail17trampoline_kernelINS0_14default_configENS1_35radix_sort_onesweep_config_selectorIisEEZZNS1_29radix_sort_onesweep_iterationIS3_Lb0EN6thrust23THRUST_200600_302600_NS10device_ptrIiEESA_NS9_IsEESB_jNS0_19identity_decomposerENS1_16block_id_wrapperIjLb0EEEEE10hipError_tT1_PNSt15iterator_traitsISG_E10value_typeET2_T3_PNSH_ISM_E10value_typeET4_T5_PSR_SS_PNS1_23onesweep_lookback_stateEbbT6_jjT7_P12ihipStream_tbENKUlT_T0_SG_SL_E_clISA_PiSB_PsEEDaSZ_S10_SG_SL_EUlSZ_E_NS1_11comp_targetILNS1_3genE4ELNS1_11target_archE910ELNS1_3gpuE8ELNS1_3repE0EEENS1_47radix_sort_onesweep_sort_config_static_selectorELNS0_4arch9wavefront6targetE1EEEvSG_.numbered_sgpr, 0
	.set _ZN7rocprim17ROCPRIM_400000_NS6detail17trampoline_kernelINS0_14default_configENS1_35radix_sort_onesweep_config_selectorIisEEZZNS1_29radix_sort_onesweep_iterationIS3_Lb0EN6thrust23THRUST_200600_302600_NS10device_ptrIiEESA_NS9_IsEESB_jNS0_19identity_decomposerENS1_16block_id_wrapperIjLb0EEEEE10hipError_tT1_PNSt15iterator_traitsISG_E10value_typeET2_T3_PNSH_ISM_E10value_typeET4_T5_PSR_SS_PNS1_23onesweep_lookback_stateEbbT6_jjT7_P12ihipStream_tbENKUlT_T0_SG_SL_E_clISA_PiSB_PsEEDaSZ_S10_SG_SL_EUlSZ_E_NS1_11comp_targetILNS1_3genE4ELNS1_11target_archE910ELNS1_3gpuE8ELNS1_3repE0EEENS1_47radix_sort_onesweep_sort_config_static_selectorELNS0_4arch9wavefront6targetE1EEEvSG_.num_named_barrier, 0
	.set _ZN7rocprim17ROCPRIM_400000_NS6detail17trampoline_kernelINS0_14default_configENS1_35radix_sort_onesweep_config_selectorIisEEZZNS1_29radix_sort_onesweep_iterationIS3_Lb0EN6thrust23THRUST_200600_302600_NS10device_ptrIiEESA_NS9_IsEESB_jNS0_19identity_decomposerENS1_16block_id_wrapperIjLb0EEEEE10hipError_tT1_PNSt15iterator_traitsISG_E10value_typeET2_T3_PNSH_ISM_E10value_typeET4_T5_PSR_SS_PNS1_23onesweep_lookback_stateEbbT6_jjT7_P12ihipStream_tbENKUlT_T0_SG_SL_E_clISA_PiSB_PsEEDaSZ_S10_SG_SL_EUlSZ_E_NS1_11comp_targetILNS1_3genE4ELNS1_11target_archE910ELNS1_3gpuE8ELNS1_3repE0EEENS1_47radix_sort_onesweep_sort_config_static_selectorELNS0_4arch9wavefront6targetE1EEEvSG_.private_seg_size, 0
	.set _ZN7rocprim17ROCPRIM_400000_NS6detail17trampoline_kernelINS0_14default_configENS1_35radix_sort_onesweep_config_selectorIisEEZZNS1_29radix_sort_onesweep_iterationIS3_Lb0EN6thrust23THRUST_200600_302600_NS10device_ptrIiEESA_NS9_IsEESB_jNS0_19identity_decomposerENS1_16block_id_wrapperIjLb0EEEEE10hipError_tT1_PNSt15iterator_traitsISG_E10value_typeET2_T3_PNSH_ISM_E10value_typeET4_T5_PSR_SS_PNS1_23onesweep_lookback_stateEbbT6_jjT7_P12ihipStream_tbENKUlT_T0_SG_SL_E_clISA_PiSB_PsEEDaSZ_S10_SG_SL_EUlSZ_E_NS1_11comp_targetILNS1_3genE4ELNS1_11target_archE910ELNS1_3gpuE8ELNS1_3repE0EEENS1_47radix_sort_onesweep_sort_config_static_selectorELNS0_4arch9wavefront6targetE1EEEvSG_.uses_vcc, 0
	.set _ZN7rocprim17ROCPRIM_400000_NS6detail17trampoline_kernelINS0_14default_configENS1_35radix_sort_onesweep_config_selectorIisEEZZNS1_29radix_sort_onesweep_iterationIS3_Lb0EN6thrust23THRUST_200600_302600_NS10device_ptrIiEESA_NS9_IsEESB_jNS0_19identity_decomposerENS1_16block_id_wrapperIjLb0EEEEE10hipError_tT1_PNSt15iterator_traitsISG_E10value_typeET2_T3_PNSH_ISM_E10value_typeET4_T5_PSR_SS_PNS1_23onesweep_lookback_stateEbbT6_jjT7_P12ihipStream_tbENKUlT_T0_SG_SL_E_clISA_PiSB_PsEEDaSZ_S10_SG_SL_EUlSZ_E_NS1_11comp_targetILNS1_3genE4ELNS1_11target_archE910ELNS1_3gpuE8ELNS1_3repE0EEENS1_47radix_sort_onesweep_sort_config_static_selectorELNS0_4arch9wavefront6targetE1EEEvSG_.uses_flat_scratch, 0
	.set _ZN7rocprim17ROCPRIM_400000_NS6detail17trampoline_kernelINS0_14default_configENS1_35radix_sort_onesweep_config_selectorIisEEZZNS1_29radix_sort_onesweep_iterationIS3_Lb0EN6thrust23THRUST_200600_302600_NS10device_ptrIiEESA_NS9_IsEESB_jNS0_19identity_decomposerENS1_16block_id_wrapperIjLb0EEEEE10hipError_tT1_PNSt15iterator_traitsISG_E10value_typeET2_T3_PNSH_ISM_E10value_typeET4_T5_PSR_SS_PNS1_23onesweep_lookback_stateEbbT6_jjT7_P12ihipStream_tbENKUlT_T0_SG_SL_E_clISA_PiSB_PsEEDaSZ_S10_SG_SL_EUlSZ_E_NS1_11comp_targetILNS1_3genE4ELNS1_11target_archE910ELNS1_3gpuE8ELNS1_3repE0EEENS1_47radix_sort_onesweep_sort_config_static_selectorELNS0_4arch9wavefront6targetE1EEEvSG_.has_dyn_sized_stack, 0
	.set _ZN7rocprim17ROCPRIM_400000_NS6detail17trampoline_kernelINS0_14default_configENS1_35radix_sort_onesweep_config_selectorIisEEZZNS1_29radix_sort_onesweep_iterationIS3_Lb0EN6thrust23THRUST_200600_302600_NS10device_ptrIiEESA_NS9_IsEESB_jNS0_19identity_decomposerENS1_16block_id_wrapperIjLb0EEEEE10hipError_tT1_PNSt15iterator_traitsISG_E10value_typeET2_T3_PNSH_ISM_E10value_typeET4_T5_PSR_SS_PNS1_23onesweep_lookback_stateEbbT6_jjT7_P12ihipStream_tbENKUlT_T0_SG_SL_E_clISA_PiSB_PsEEDaSZ_S10_SG_SL_EUlSZ_E_NS1_11comp_targetILNS1_3genE4ELNS1_11target_archE910ELNS1_3gpuE8ELNS1_3repE0EEENS1_47radix_sort_onesweep_sort_config_static_selectorELNS0_4arch9wavefront6targetE1EEEvSG_.has_recursion, 0
	.set _ZN7rocprim17ROCPRIM_400000_NS6detail17trampoline_kernelINS0_14default_configENS1_35radix_sort_onesweep_config_selectorIisEEZZNS1_29radix_sort_onesweep_iterationIS3_Lb0EN6thrust23THRUST_200600_302600_NS10device_ptrIiEESA_NS9_IsEESB_jNS0_19identity_decomposerENS1_16block_id_wrapperIjLb0EEEEE10hipError_tT1_PNSt15iterator_traitsISG_E10value_typeET2_T3_PNSH_ISM_E10value_typeET4_T5_PSR_SS_PNS1_23onesweep_lookback_stateEbbT6_jjT7_P12ihipStream_tbENKUlT_T0_SG_SL_E_clISA_PiSB_PsEEDaSZ_S10_SG_SL_EUlSZ_E_NS1_11comp_targetILNS1_3genE4ELNS1_11target_archE910ELNS1_3gpuE8ELNS1_3repE0EEENS1_47radix_sort_onesweep_sort_config_static_selectorELNS0_4arch9wavefront6targetE1EEEvSG_.has_indirect_call, 0
	.section	.AMDGPU.csdata,"",@progbits
; Kernel info:
; codeLenInByte = 0
; TotalNumSgprs: 6
; NumVgprs: 0
; NumAgprs: 0
; TotalNumVgprs: 0
; ScratchSize: 0
; MemoryBound: 0
; FloatMode: 240
; IeeeMode: 1
; LDSByteSize: 0 bytes/workgroup (compile time only)
; SGPRBlocks: 0
; VGPRBlocks: 0
; NumSGPRsForWavesPerEU: 6
; NumVGPRsForWavesPerEU: 1
; AccumOffset: 4
; Occupancy: 8
; WaveLimiterHint : 0
; COMPUTE_PGM_RSRC2:SCRATCH_EN: 0
; COMPUTE_PGM_RSRC2:USER_SGPR: 2
; COMPUTE_PGM_RSRC2:TRAP_HANDLER: 0
; COMPUTE_PGM_RSRC2:TGID_X_EN: 1
; COMPUTE_PGM_RSRC2:TGID_Y_EN: 0
; COMPUTE_PGM_RSRC2:TGID_Z_EN: 0
; COMPUTE_PGM_RSRC2:TIDIG_COMP_CNT: 0
; COMPUTE_PGM_RSRC3_GFX90A:ACCUM_OFFSET: 0
; COMPUTE_PGM_RSRC3_GFX90A:TG_SPLIT: 0
	.section	.text._ZN7rocprim17ROCPRIM_400000_NS6detail17trampoline_kernelINS0_14default_configENS1_35radix_sort_onesweep_config_selectorIisEEZZNS1_29radix_sort_onesweep_iterationIS3_Lb0EN6thrust23THRUST_200600_302600_NS10device_ptrIiEESA_NS9_IsEESB_jNS0_19identity_decomposerENS1_16block_id_wrapperIjLb0EEEEE10hipError_tT1_PNSt15iterator_traitsISG_E10value_typeET2_T3_PNSH_ISM_E10value_typeET4_T5_PSR_SS_PNS1_23onesweep_lookback_stateEbbT6_jjT7_P12ihipStream_tbENKUlT_T0_SG_SL_E_clISA_PiSB_PsEEDaSZ_S10_SG_SL_EUlSZ_E_NS1_11comp_targetILNS1_3genE3ELNS1_11target_archE908ELNS1_3gpuE7ELNS1_3repE0EEENS1_47radix_sort_onesweep_sort_config_static_selectorELNS0_4arch9wavefront6targetE1EEEvSG_,"axG",@progbits,_ZN7rocprim17ROCPRIM_400000_NS6detail17trampoline_kernelINS0_14default_configENS1_35radix_sort_onesweep_config_selectorIisEEZZNS1_29radix_sort_onesweep_iterationIS3_Lb0EN6thrust23THRUST_200600_302600_NS10device_ptrIiEESA_NS9_IsEESB_jNS0_19identity_decomposerENS1_16block_id_wrapperIjLb0EEEEE10hipError_tT1_PNSt15iterator_traitsISG_E10value_typeET2_T3_PNSH_ISM_E10value_typeET4_T5_PSR_SS_PNS1_23onesweep_lookback_stateEbbT6_jjT7_P12ihipStream_tbENKUlT_T0_SG_SL_E_clISA_PiSB_PsEEDaSZ_S10_SG_SL_EUlSZ_E_NS1_11comp_targetILNS1_3genE3ELNS1_11target_archE908ELNS1_3gpuE7ELNS1_3repE0EEENS1_47radix_sort_onesweep_sort_config_static_selectorELNS0_4arch9wavefront6targetE1EEEvSG_,comdat
	.protected	_ZN7rocprim17ROCPRIM_400000_NS6detail17trampoline_kernelINS0_14default_configENS1_35radix_sort_onesweep_config_selectorIisEEZZNS1_29radix_sort_onesweep_iterationIS3_Lb0EN6thrust23THRUST_200600_302600_NS10device_ptrIiEESA_NS9_IsEESB_jNS0_19identity_decomposerENS1_16block_id_wrapperIjLb0EEEEE10hipError_tT1_PNSt15iterator_traitsISG_E10value_typeET2_T3_PNSH_ISM_E10value_typeET4_T5_PSR_SS_PNS1_23onesweep_lookback_stateEbbT6_jjT7_P12ihipStream_tbENKUlT_T0_SG_SL_E_clISA_PiSB_PsEEDaSZ_S10_SG_SL_EUlSZ_E_NS1_11comp_targetILNS1_3genE3ELNS1_11target_archE908ELNS1_3gpuE7ELNS1_3repE0EEENS1_47radix_sort_onesweep_sort_config_static_selectorELNS0_4arch9wavefront6targetE1EEEvSG_ ; -- Begin function _ZN7rocprim17ROCPRIM_400000_NS6detail17trampoline_kernelINS0_14default_configENS1_35radix_sort_onesweep_config_selectorIisEEZZNS1_29radix_sort_onesweep_iterationIS3_Lb0EN6thrust23THRUST_200600_302600_NS10device_ptrIiEESA_NS9_IsEESB_jNS0_19identity_decomposerENS1_16block_id_wrapperIjLb0EEEEE10hipError_tT1_PNSt15iterator_traitsISG_E10value_typeET2_T3_PNSH_ISM_E10value_typeET4_T5_PSR_SS_PNS1_23onesweep_lookback_stateEbbT6_jjT7_P12ihipStream_tbENKUlT_T0_SG_SL_E_clISA_PiSB_PsEEDaSZ_S10_SG_SL_EUlSZ_E_NS1_11comp_targetILNS1_3genE3ELNS1_11target_archE908ELNS1_3gpuE7ELNS1_3repE0EEENS1_47radix_sort_onesweep_sort_config_static_selectorELNS0_4arch9wavefront6targetE1EEEvSG_
	.globl	_ZN7rocprim17ROCPRIM_400000_NS6detail17trampoline_kernelINS0_14default_configENS1_35radix_sort_onesweep_config_selectorIisEEZZNS1_29radix_sort_onesweep_iterationIS3_Lb0EN6thrust23THRUST_200600_302600_NS10device_ptrIiEESA_NS9_IsEESB_jNS0_19identity_decomposerENS1_16block_id_wrapperIjLb0EEEEE10hipError_tT1_PNSt15iterator_traitsISG_E10value_typeET2_T3_PNSH_ISM_E10value_typeET4_T5_PSR_SS_PNS1_23onesweep_lookback_stateEbbT6_jjT7_P12ihipStream_tbENKUlT_T0_SG_SL_E_clISA_PiSB_PsEEDaSZ_S10_SG_SL_EUlSZ_E_NS1_11comp_targetILNS1_3genE3ELNS1_11target_archE908ELNS1_3gpuE7ELNS1_3repE0EEENS1_47radix_sort_onesweep_sort_config_static_selectorELNS0_4arch9wavefront6targetE1EEEvSG_
	.p2align	8
	.type	_ZN7rocprim17ROCPRIM_400000_NS6detail17trampoline_kernelINS0_14default_configENS1_35radix_sort_onesweep_config_selectorIisEEZZNS1_29radix_sort_onesweep_iterationIS3_Lb0EN6thrust23THRUST_200600_302600_NS10device_ptrIiEESA_NS9_IsEESB_jNS0_19identity_decomposerENS1_16block_id_wrapperIjLb0EEEEE10hipError_tT1_PNSt15iterator_traitsISG_E10value_typeET2_T3_PNSH_ISM_E10value_typeET4_T5_PSR_SS_PNS1_23onesweep_lookback_stateEbbT6_jjT7_P12ihipStream_tbENKUlT_T0_SG_SL_E_clISA_PiSB_PsEEDaSZ_S10_SG_SL_EUlSZ_E_NS1_11comp_targetILNS1_3genE3ELNS1_11target_archE908ELNS1_3gpuE7ELNS1_3repE0EEENS1_47radix_sort_onesweep_sort_config_static_selectorELNS0_4arch9wavefront6targetE1EEEvSG_,@function
_ZN7rocprim17ROCPRIM_400000_NS6detail17trampoline_kernelINS0_14default_configENS1_35radix_sort_onesweep_config_selectorIisEEZZNS1_29radix_sort_onesweep_iterationIS3_Lb0EN6thrust23THRUST_200600_302600_NS10device_ptrIiEESA_NS9_IsEESB_jNS0_19identity_decomposerENS1_16block_id_wrapperIjLb0EEEEE10hipError_tT1_PNSt15iterator_traitsISG_E10value_typeET2_T3_PNSH_ISM_E10value_typeET4_T5_PSR_SS_PNS1_23onesweep_lookback_stateEbbT6_jjT7_P12ihipStream_tbENKUlT_T0_SG_SL_E_clISA_PiSB_PsEEDaSZ_S10_SG_SL_EUlSZ_E_NS1_11comp_targetILNS1_3genE3ELNS1_11target_archE908ELNS1_3gpuE7ELNS1_3repE0EEENS1_47radix_sort_onesweep_sort_config_static_selectorELNS0_4arch9wavefront6targetE1EEEvSG_: ; @_ZN7rocprim17ROCPRIM_400000_NS6detail17trampoline_kernelINS0_14default_configENS1_35radix_sort_onesweep_config_selectorIisEEZZNS1_29radix_sort_onesweep_iterationIS3_Lb0EN6thrust23THRUST_200600_302600_NS10device_ptrIiEESA_NS9_IsEESB_jNS0_19identity_decomposerENS1_16block_id_wrapperIjLb0EEEEE10hipError_tT1_PNSt15iterator_traitsISG_E10value_typeET2_T3_PNSH_ISM_E10value_typeET4_T5_PSR_SS_PNS1_23onesweep_lookback_stateEbbT6_jjT7_P12ihipStream_tbENKUlT_T0_SG_SL_E_clISA_PiSB_PsEEDaSZ_S10_SG_SL_EUlSZ_E_NS1_11comp_targetILNS1_3genE3ELNS1_11target_archE908ELNS1_3gpuE7ELNS1_3repE0EEENS1_47radix_sort_onesweep_sort_config_static_selectorELNS0_4arch9wavefront6targetE1EEEvSG_
; %bb.0:
	.section	.rodata,"a",@progbits
	.p2align	6, 0x0
	.amdhsa_kernel _ZN7rocprim17ROCPRIM_400000_NS6detail17trampoline_kernelINS0_14default_configENS1_35radix_sort_onesweep_config_selectorIisEEZZNS1_29radix_sort_onesweep_iterationIS3_Lb0EN6thrust23THRUST_200600_302600_NS10device_ptrIiEESA_NS9_IsEESB_jNS0_19identity_decomposerENS1_16block_id_wrapperIjLb0EEEEE10hipError_tT1_PNSt15iterator_traitsISG_E10value_typeET2_T3_PNSH_ISM_E10value_typeET4_T5_PSR_SS_PNS1_23onesweep_lookback_stateEbbT6_jjT7_P12ihipStream_tbENKUlT_T0_SG_SL_E_clISA_PiSB_PsEEDaSZ_S10_SG_SL_EUlSZ_E_NS1_11comp_targetILNS1_3genE3ELNS1_11target_archE908ELNS1_3gpuE7ELNS1_3repE0EEENS1_47radix_sort_onesweep_sort_config_static_selectorELNS0_4arch9wavefront6targetE1EEEvSG_
		.amdhsa_group_segment_fixed_size 0
		.amdhsa_private_segment_fixed_size 0
		.amdhsa_kernarg_size 88
		.amdhsa_user_sgpr_count 2
		.amdhsa_user_sgpr_dispatch_ptr 0
		.amdhsa_user_sgpr_queue_ptr 0
		.amdhsa_user_sgpr_kernarg_segment_ptr 1
		.amdhsa_user_sgpr_dispatch_id 0
		.amdhsa_user_sgpr_kernarg_preload_length 0
		.amdhsa_user_sgpr_kernarg_preload_offset 0
		.amdhsa_user_sgpr_private_segment_size 0
		.amdhsa_uses_dynamic_stack 0
		.amdhsa_enable_private_segment 0
		.amdhsa_system_sgpr_workgroup_id_x 1
		.amdhsa_system_sgpr_workgroup_id_y 0
		.amdhsa_system_sgpr_workgroup_id_z 0
		.amdhsa_system_sgpr_workgroup_info 0
		.amdhsa_system_vgpr_workitem_id 0
		.amdhsa_next_free_vgpr 1
		.amdhsa_next_free_sgpr 0
		.amdhsa_accum_offset 4
		.amdhsa_reserve_vcc 0
		.amdhsa_float_round_mode_32 0
		.amdhsa_float_round_mode_16_64 0
		.amdhsa_float_denorm_mode_32 3
		.amdhsa_float_denorm_mode_16_64 3
		.amdhsa_dx10_clamp 1
		.amdhsa_ieee_mode 1
		.amdhsa_fp16_overflow 0
		.amdhsa_tg_split 0
		.amdhsa_exception_fp_ieee_invalid_op 0
		.amdhsa_exception_fp_denorm_src 0
		.amdhsa_exception_fp_ieee_div_zero 0
		.amdhsa_exception_fp_ieee_overflow 0
		.amdhsa_exception_fp_ieee_underflow 0
		.amdhsa_exception_fp_ieee_inexact 0
		.amdhsa_exception_int_div_zero 0
	.end_amdhsa_kernel
	.section	.text._ZN7rocprim17ROCPRIM_400000_NS6detail17trampoline_kernelINS0_14default_configENS1_35radix_sort_onesweep_config_selectorIisEEZZNS1_29radix_sort_onesweep_iterationIS3_Lb0EN6thrust23THRUST_200600_302600_NS10device_ptrIiEESA_NS9_IsEESB_jNS0_19identity_decomposerENS1_16block_id_wrapperIjLb0EEEEE10hipError_tT1_PNSt15iterator_traitsISG_E10value_typeET2_T3_PNSH_ISM_E10value_typeET4_T5_PSR_SS_PNS1_23onesweep_lookback_stateEbbT6_jjT7_P12ihipStream_tbENKUlT_T0_SG_SL_E_clISA_PiSB_PsEEDaSZ_S10_SG_SL_EUlSZ_E_NS1_11comp_targetILNS1_3genE3ELNS1_11target_archE908ELNS1_3gpuE7ELNS1_3repE0EEENS1_47radix_sort_onesweep_sort_config_static_selectorELNS0_4arch9wavefront6targetE1EEEvSG_,"axG",@progbits,_ZN7rocprim17ROCPRIM_400000_NS6detail17trampoline_kernelINS0_14default_configENS1_35radix_sort_onesweep_config_selectorIisEEZZNS1_29radix_sort_onesweep_iterationIS3_Lb0EN6thrust23THRUST_200600_302600_NS10device_ptrIiEESA_NS9_IsEESB_jNS0_19identity_decomposerENS1_16block_id_wrapperIjLb0EEEEE10hipError_tT1_PNSt15iterator_traitsISG_E10value_typeET2_T3_PNSH_ISM_E10value_typeET4_T5_PSR_SS_PNS1_23onesweep_lookback_stateEbbT6_jjT7_P12ihipStream_tbENKUlT_T0_SG_SL_E_clISA_PiSB_PsEEDaSZ_S10_SG_SL_EUlSZ_E_NS1_11comp_targetILNS1_3genE3ELNS1_11target_archE908ELNS1_3gpuE7ELNS1_3repE0EEENS1_47radix_sort_onesweep_sort_config_static_selectorELNS0_4arch9wavefront6targetE1EEEvSG_,comdat
.Lfunc_end2481:
	.size	_ZN7rocprim17ROCPRIM_400000_NS6detail17trampoline_kernelINS0_14default_configENS1_35radix_sort_onesweep_config_selectorIisEEZZNS1_29radix_sort_onesweep_iterationIS3_Lb0EN6thrust23THRUST_200600_302600_NS10device_ptrIiEESA_NS9_IsEESB_jNS0_19identity_decomposerENS1_16block_id_wrapperIjLb0EEEEE10hipError_tT1_PNSt15iterator_traitsISG_E10value_typeET2_T3_PNSH_ISM_E10value_typeET4_T5_PSR_SS_PNS1_23onesweep_lookback_stateEbbT6_jjT7_P12ihipStream_tbENKUlT_T0_SG_SL_E_clISA_PiSB_PsEEDaSZ_S10_SG_SL_EUlSZ_E_NS1_11comp_targetILNS1_3genE3ELNS1_11target_archE908ELNS1_3gpuE7ELNS1_3repE0EEENS1_47radix_sort_onesweep_sort_config_static_selectorELNS0_4arch9wavefront6targetE1EEEvSG_, .Lfunc_end2481-_ZN7rocprim17ROCPRIM_400000_NS6detail17trampoline_kernelINS0_14default_configENS1_35radix_sort_onesweep_config_selectorIisEEZZNS1_29radix_sort_onesweep_iterationIS3_Lb0EN6thrust23THRUST_200600_302600_NS10device_ptrIiEESA_NS9_IsEESB_jNS0_19identity_decomposerENS1_16block_id_wrapperIjLb0EEEEE10hipError_tT1_PNSt15iterator_traitsISG_E10value_typeET2_T3_PNSH_ISM_E10value_typeET4_T5_PSR_SS_PNS1_23onesweep_lookback_stateEbbT6_jjT7_P12ihipStream_tbENKUlT_T0_SG_SL_E_clISA_PiSB_PsEEDaSZ_S10_SG_SL_EUlSZ_E_NS1_11comp_targetILNS1_3genE3ELNS1_11target_archE908ELNS1_3gpuE7ELNS1_3repE0EEENS1_47radix_sort_onesweep_sort_config_static_selectorELNS0_4arch9wavefront6targetE1EEEvSG_
                                        ; -- End function
	.set _ZN7rocprim17ROCPRIM_400000_NS6detail17trampoline_kernelINS0_14default_configENS1_35radix_sort_onesweep_config_selectorIisEEZZNS1_29radix_sort_onesweep_iterationIS3_Lb0EN6thrust23THRUST_200600_302600_NS10device_ptrIiEESA_NS9_IsEESB_jNS0_19identity_decomposerENS1_16block_id_wrapperIjLb0EEEEE10hipError_tT1_PNSt15iterator_traitsISG_E10value_typeET2_T3_PNSH_ISM_E10value_typeET4_T5_PSR_SS_PNS1_23onesweep_lookback_stateEbbT6_jjT7_P12ihipStream_tbENKUlT_T0_SG_SL_E_clISA_PiSB_PsEEDaSZ_S10_SG_SL_EUlSZ_E_NS1_11comp_targetILNS1_3genE3ELNS1_11target_archE908ELNS1_3gpuE7ELNS1_3repE0EEENS1_47radix_sort_onesweep_sort_config_static_selectorELNS0_4arch9wavefront6targetE1EEEvSG_.num_vgpr, 0
	.set _ZN7rocprim17ROCPRIM_400000_NS6detail17trampoline_kernelINS0_14default_configENS1_35radix_sort_onesweep_config_selectorIisEEZZNS1_29radix_sort_onesweep_iterationIS3_Lb0EN6thrust23THRUST_200600_302600_NS10device_ptrIiEESA_NS9_IsEESB_jNS0_19identity_decomposerENS1_16block_id_wrapperIjLb0EEEEE10hipError_tT1_PNSt15iterator_traitsISG_E10value_typeET2_T3_PNSH_ISM_E10value_typeET4_T5_PSR_SS_PNS1_23onesweep_lookback_stateEbbT6_jjT7_P12ihipStream_tbENKUlT_T0_SG_SL_E_clISA_PiSB_PsEEDaSZ_S10_SG_SL_EUlSZ_E_NS1_11comp_targetILNS1_3genE3ELNS1_11target_archE908ELNS1_3gpuE7ELNS1_3repE0EEENS1_47radix_sort_onesweep_sort_config_static_selectorELNS0_4arch9wavefront6targetE1EEEvSG_.num_agpr, 0
	.set _ZN7rocprim17ROCPRIM_400000_NS6detail17trampoline_kernelINS0_14default_configENS1_35radix_sort_onesweep_config_selectorIisEEZZNS1_29radix_sort_onesweep_iterationIS3_Lb0EN6thrust23THRUST_200600_302600_NS10device_ptrIiEESA_NS9_IsEESB_jNS0_19identity_decomposerENS1_16block_id_wrapperIjLb0EEEEE10hipError_tT1_PNSt15iterator_traitsISG_E10value_typeET2_T3_PNSH_ISM_E10value_typeET4_T5_PSR_SS_PNS1_23onesweep_lookback_stateEbbT6_jjT7_P12ihipStream_tbENKUlT_T0_SG_SL_E_clISA_PiSB_PsEEDaSZ_S10_SG_SL_EUlSZ_E_NS1_11comp_targetILNS1_3genE3ELNS1_11target_archE908ELNS1_3gpuE7ELNS1_3repE0EEENS1_47radix_sort_onesweep_sort_config_static_selectorELNS0_4arch9wavefront6targetE1EEEvSG_.numbered_sgpr, 0
	.set _ZN7rocprim17ROCPRIM_400000_NS6detail17trampoline_kernelINS0_14default_configENS1_35radix_sort_onesweep_config_selectorIisEEZZNS1_29radix_sort_onesweep_iterationIS3_Lb0EN6thrust23THRUST_200600_302600_NS10device_ptrIiEESA_NS9_IsEESB_jNS0_19identity_decomposerENS1_16block_id_wrapperIjLb0EEEEE10hipError_tT1_PNSt15iterator_traitsISG_E10value_typeET2_T3_PNSH_ISM_E10value_typeET4_T5_PSR_SS_PNS1_23onesweep_lookback_stateEbbT6_jjT7_P12ihipStream_tbENKUlT_T0_SG_SL_E_clISA_PiSB_PsEEDaSZ_S10_SG_SL_EUlSZ_E_NS1_11comp_targetILNS1_3genE3ELNS1_11target_archE908ELNS1_3gpuE7ELNS1_3repE0EEENS1_47radix_sort_onesweep_sort_config_static_selectorELNS0_4arch9wavefront6targetE1EEEvSG_.num_named_barrier, 0
	.set _ZN7rocprim17ROCPRIM_400000_NS6detail17trampoline_kernelINS0_14default_configENS1_35radix_sort_onesweep_config_selectorIisEEZZNS1_29radix_sort_onesweep_iterationIS3_Lb0EN6thrust23THRUST_200600_302600_NS10device_ptrIiEESA_NS9_IsEESB_jNS0_19identity_decomposerENS1_16block_id_wrapperIjLb0EEEEE10hipError_tT1_PNSt15iterator_traitsISG_E10value_typeET2_T3_PNSH_ISM_E10value_typeET4_T5_PSR_SS_PNS1_23onesweep_lookback_stateEbbT6_jjT7_P12ihipStream_tbENKUlT_T0_SG_SL_E_clISA_PiSB_PsEEDaSZ_S10_SG_SL_EUlSZ_E_NS1_11comp_targetILNS1_3genE3ELNS1_11target_archE908ELNS1_3gpuE7ELNS1_3repE0EEENS1_47radix_sort_onesweep_sort_config_static_selectorELNS0_4arch9wavefront6targetE1EEEvSG_.private_seg_size, 0
	.set _ZN7rocprim17ROCPRIM_400000_NS6detail17trampoline_kernelINS0_14default_configENS1_35radix_sort_onesweep_config_selectorIisEEZZNS1_29radix_sort_onesweep_iterationIS3_Lb0EN6thrust23THRUST_200600_302600_NS10device_ptrIiEESA_NS9_IsEESB_jNS0_19identity_decomposerENS1_16block_id_wrapperIjLb0EEEEE10hipError_tT1_PNSt15iterator_traitsISG_E10value_typeET2_T3_PNSH_ISM_E10value_typeET4_T5_PSR_SS_PNS1_23onesweep_lookback_stateEbbT6_jjT7_P12ihipStream_tbENKUlT_T0_SG_SL_E_clISA_PiSB_PsEEDaSZ_S10_SG_SL_EUlSZ_E_NS1_11comp_targetILNS1_3genE3ELNS1_11target_archE908ELNS1_3gpuE7ELNS1_3repE0EEENS1_47radix_sort_onesweep_sort_config_static_selectorELNS0_4arch9wavefront6targetE1EEEvSG_.uses_vcc, 0
	.set _ZN7rocprim17ROCPRIM_400000_NS6detail17trampoline_kernelINS0_14default_configENS1_35radix_sort_onesweep_config_selectorIisEEZZNS1_29radix_sort_onesweep_iterationIS3_Lb0EN6thrust23THRUST_200600_302600_NS10device_ptrIiEESA_NS9_IsEESB_jNS0_19identity_decomposerENS1_16block_id_wrapperIjLb0EEEEE10hipError_tT1_PNSt15iterator_traitsISG_E10value_typeET2_T3_PNSH_ISM_E10value_typeET4_T5_PSR_SS_PNS1_23onesweep_lookback_stateEbbT6_jjT7_P12ihipStream_tbENKUlT_T0_SG_SL_E_clISA_PiSB_PsEEDaSZ_S10_SG_SL_EUlSZ_E_NS1_11comp_targetILNS1_3genE3ELNS1_11target_archE908ELNS1_3gpuE7ELNS1_3repE0EEENS1_47radix_sort_onesweep_sort_config_static_selectorELNS0_4arch9wavefront6targetE1EEEvSG_.uses_flat_scratch, 0
	.set _ZN7rocprim17ROCPRIM_400000_NS6detail17trampoline_kernelINS0_14default_configENS1_35radix_sort_onesweep_config_selectorIisEEZZNS1_29radix_sort_onesweep_iterationIS3_Lb0EN6thrust23THRUST_200600_302600_NS10device_ptrIiEESA_NS9_IsEESB_jNS0_19identity_decomposerENS1_16block_id_wrapperIjLb0EEEEE10hipError_tT1_PNSt15iterator_traitsISG_E10value_typeET2_T3_PNSH_ISM_E10value_typeET4_T5_PSR_SS_PNS1_23onesweep_lookback_stateEbbT6_jjT7_P12ihipStream_tbENKUlT_T0_SG_SL_E_clISA_PiSB_PsEEDaSZ_S10_SG_SL_EUlSZ_E_NS1_11comp_targetILNS1_3genE3ELNS1_11target_archE908ELNS1_3gpuE7ELNS1_3repE0EEENS1_47radix_sort_onesweep_sort_config_static_selectorELNS0_4arch9wavefront6targetE1EEEvSG_.has_dyn_sized_stack, 0
	.set _ZN7rocprim17ROCPRIM_400000_NS6detail17trampoline_kernelINS0_14default_configENS1_35radix_sort_onesweep_config_selectorIisEEZZNS1_29radix_sort_onesweep_iterationIS3_Lb0EN6thrust23THRUST_200600_302600_NS10device_ptrIiEESA_NS9_IsEESB_jNS0_19identity_decomposerENS1_16block_id_wrapperIjLb0EEEEE10hipError_tT1_PNSt15iterator_traitsISG_E10value_typeET2_T3_PNSH_ISM_E10value_typeET4_T5_PSR_SS_PNS1_23onesweep_lookback_stateEbbT6_jjT7_P12ihipStream_tbENKUlT_T0_SG_SL_E_clISA_PiSB_PsEEDaSZ_S10_SG_SL_EUlSZ_E_NS1_11comp_targetILNS1_3genE3ELNS1_11target_archE908ELNS1_3gpuE7ELNS1_3repE0EEENS1_47radix_sort_onesweep_sort_config_static_selectorELNS0_4arch9wavefront6targetE1EEEvSG_.has_recursion, 0
	.set _ZN7rocprim17ROCPRIM_400000_NS6detail17trampoline_kernelINS0_14default_configENS1_35radix_sort_onesweep_config_selectorIisEEZZNS1_29radix_sort_onesweep_iterationIS3_Lb0EN6thrust23THRUST_200600_302600_NS10device_ptrIiEESA_NS9_IsEESB_jNS0_19identity_decomposerENS1_16block_id_wrapperIjLb0EEEEE10hipError_tT1_PNSt15iterator_traitsISG_E10value_typeET2_T3_PNSH_ISM_E10value_typeET4_T5_PSR_SS_PNS1_23onesweep_lookback_stateEbbT6_jjT7_P12ihipStream_tbENKUlT_T0_SG_SL_E_clISA_PiSB_PsEEDaSZ_S10_SG_SL_EUlSZ_E_NS1_11comp_targetILNS1_3genE3ELNS1_11target_archE908ELNS1_3gpuE7ELNS1_3repE0EEENS1_47radix_sort_onesweep_sort_config_static_selectorELNS0_4arch9wavefront6targetE1EEEvSG_.has_indirect_call, 0
	.section	.AMDGPU.csdata,"",@progbits
; Kernel info:
; codeLenInByte = 0
; TotalNumSgprs: 6
; NumVgprs: 0
; NumAgprs: 0
; TotalNumVgprs: 0
; ScratchSize: 0
; MemoryBound: 0
; FloatMode: 240
; IeeeMode: 1
; LDSByteSize: 0 bytes/workgroup (compile time only)
; SGPRBlocks: 0
; VGPRBlocks: 0
; NumSGPRsForWavesPerEU: 6
; NumVGPRsForWavesPerEU: 1
; AccumOffset: 4
; Occupancy: 8
; WaveLimiterHint : 0
; COMPUTE_PGM_RSRC2:SCRATCH_EN: 0
; COMPUTE_PGM_RSRC2:USER_SGPR: 2
; COMPUTE_PGM_RSRC2:TRAP_HANDLER: 0
; COMPUTE_PGM_RSRC2:TGID_X_EN: 1
; COMPUTE_PGM_RSRC2:TGID_Y_EN: 0
; COMPUTE_PGM_RSRC2:TGID_Z_EN: 0
; COMPUTE_PGM_RSRC2:TIDIG_COMP_CNT: 0
; COMPUTE_PGM_RSRC3_GFX90A:ACCUM_OFFSET: 0
; COMPUTE_PGM_RSRC3_GFX90A:TG_SPLIT: 0
	.section	.text._ZN7rocprim17ROCPRIM_400000_NS6detail17trampoline_kernelINS0_14default_configENS1_35radix_sort_onesweep_config_selectorIisEEZZNS1_29radix_sort_onesweep_iterationIS3_Lb0EN6thrust23THRUST_200600_302600_NS10device_ptrIiEESA_NS9_IsEESB_jNS0_19identity_decomposerENS1_16block_id_wrapperIjLb0EEEEE10hipError_tT1_PNSt15iterator_traitsISG_E10value_typeET2_T3_PNSH_ISM_E10value_typeET4_T5_PSR_SS_PNS1_23onesweep_lookback_stateEbbT6_jjT7_P12ihipStream_tbENKUlT_T0_SG_SL_E_clISA_PiSB_PsEEDaSZ_S10_SG_SL_EUlSZ_E_NS1_11comp_targetILNS1_3genE10ELNS1_11target_archE1201ELNS1_3gpuE5ELNS1_3repE0EEENS1_47radix_sort_onesweep_sort_config_static_selectorELNS0_4arch9wavefront6targetE1EEEvSG_,"axG",@progbits,_ZN7rocprim17ROCPRIM_400000_NS6detail17trampoline_kernelINS0_14default_configENS1_35radix_sort_onesweep_config_selectorIisEEZZNS1_29radix_sort_onesweep_iterationIS3_Lb0EN6thrust23THRUST_200600_302600_NS10device_ptrIiEESA_NS9_IsEESB_jNS0_19identity_decomposerENS1_16block_id_wrapperIjLb0EEEEE10hipError_tT1_PNSt15iterator_traitsISG_E10value_typeET2_T3_PNSH_ISM_E10value_typeET4_T5_PSR_SS_PNS1_23onesweep_lookback_stateEbbT6_jjT7_P12ihipStream_tbENKUlT_T0_SG_SL_E_clISA_PiSB_PsEEDaSZ_S10_SG_SL_EUlSZ_E_NS1_11comp_targetILNS1_3genE10ELNS1_11target_archE1201ELNS1_3gpuE5ELNS1_3repE0EEENS1_47radix_sort_onesweep_sort_config_static_selectorELNS0_4arch9wavefront6targetE1EEEvSG_,comdat
	.protected	_ZN7rocprim17ROCPRIM_400000_NS6detail17trampoline_kernelINS0_14default_configENS1_35radix_sort_onesweep_config_selectorIisEEZZNS1_29radix_sort_onesweep_iterationIS3_Lb0EN6thrust23THRUST_200600_302600_NS10device_ptrIiEESA_NS9_IsEESB_jNS0_19identity_decomposerENS1_16block_id_wrapperIjLb0EEEEE10hipError_tT1_PNSt15iterator_traitsISG_E10value_typeET2_T3_PNSH_ISM_E10value_typeET4_T5_PSR_SS_PNS1_23onesweep_lookback_stateEbbT6_jjT7_P12ihipStream_tbENKUlT_T0_SG_SL_E_clISA_PiSB_PsEEDaSZ_S10_SG_SL_EUlSZ_E_NS1_11comp_targetILNS1_3genE10ELNS1_11target_archE1201ELNS1_3gpuE5ELNS1_3repE0EEENS1_47radix_sort_onesweep_sort_config_static_selectorELNS0_4arch9wavefront6targetE1EEEvSG_ ; -- Begin function _ZN7rocprim17ROCPRIM_400000_NS6detail17trampoline_kernelINS0_14default_configENS1_35radix_sort_onesweep_config_selectorIisEEZZNS1_29radix_sort_onesweep_iterationIS3_Lb0EN6thrust23THRUST_200600_302600_NS10device_ptrIiEESA_NS9_IsEESB_jNS0_19identity_decomposerENS1_16block_id_wrapperIjLb0EEEEE10hipError_tT1_PNSt15iterator_traitsISG_E10value_typeET2_T3_PNSH_ISM_E10value_typeET4_T5_PSR_SS_PNS1_23onesweep_lookback_stateEbbT6_jjT7_P12ihipStream_tbENKUlT_T0_SG_SL_E_clISA_PiSB_PsEEDaSZ_S10_SG_SL_EUlSZ_E_NS1_11comp_targetILNS1_3genE10ELNS1_11target_archE1201ELNS1_3gpuE5ELNS1_3repE0EEENS1_47radix_sort_onesweep_sort_config_static_selectorELNS0_4arch9wavefront6targetE1EEEvSG_
	.globl	_ZN7rocprim17ROCPRIM_400000_NS6detail17trampoline_kernelINS0_14default_configENS1_35radix_sort_onesweep_config_selectorIisEEZZNS1_29radix_sort_onesweep_iterationIS3_Lb0EN6thrust23THRUST_200600_302600_NS10device_ptrIiEESA_NS9_IsEESB_jNS0_19identity_decomposerENS1_16block_id_wrapperIjLb0EEEEE10hipError_tT1_PNSt15iterator_traitsISG_E10value_typeET2_T3_PNSH_ISM_E10value_typeET4_T5_PSR_SS_PNS1_23onesweep_lookback_stateEbbT6_jjT7_P12ihipStream_tbENKUlT_T0_SG_SL_E_clISA_PiSB_PsEEDaSZ_S10_SG_SL_EUlSZ_E_NS1_11comp_targetILNS1_3genE10ELNS1_11target_archE1201ELNS1_3gpuE5ELNS1_3repE0EEENS1_47radix_sort_onesweep_sort_config_static_selectorELNS0_4arch9wavefront6targetE1EEEvSG_
	.p2align	8
	.type	_ZN7rocprim17ROCPRIM_400000_NS6detail17trampoline_kernelINS0_14default_configENS1_35radix_sort_onesweep_config_selectorIisEEZZNS1_29radix_sort_onesweep_iterationIS3_Lb0EN6thrust23THRUST_200600_302600_NS10device_ptrIiEESA_NS9_IsEESB_jNS0_19identity_decomposerENS1_16block_id_wrapperIjLb0EEEEE10hipError_tT1_PNSt15iterator_traitsISG_E10value_typeET2_T3_PNSH_ISM_E10value_typeET4_T5_PSR_SS_PNS1_23onesweep_lookback_stateEbbT6_jjT7_P12ihipStream_tbENKUlT_T0_SG_SL_E_clISA_PiSB_PsEEDaSZ_S10_SG_SL_EUlSZ_E_NS1_11comp_targetILNS1_3genE10ELNS1_11target_archE1201ELNS1_3gpuE5ELNS1_3repE0EEENS1_47radix_sort_onesweep_sort_config_static_selectorELNS0_4arch9wavefront6targetE1EEEvSG_,@function
_ZN7rocprim17ROCPRIM_400000_NS6detail17trampoline_kernelINS0_14default_configENS1_35radix_sort_onesweep_config_selectorIisEEZZNS1_29radix_sort_onesweep_iterationIS3_Lb0EN6thrust23THRUST_200600_302600_NS10device_ptrIiEESA_NS9_IsEESB_jNS0_19identity_decomposerENS1_16block_id_wrapperIjLb0EEEEE10hipError_tT1_PNSt15iterator_traitsISG_E10value_typeET2_T3_PNSH_ISM_E10value_typeET4_T5_PSR_SS_PNS1_23onesweep_lookback_stateEbbT6_jjT7_P12ihipStream_tbENKUlT_T0_SG_SL_E_clISA_PiSB_PsEEDaSZ_S10_SG_SL_EUlSZ_E_NS1_11comp_targetILNS1_3genE10ELNS1_11target_archE1201ELNS1_3gpuE5ELNS1_3repE0EEENS1_47radix_sort_onesweep_sort_config_static_selectorELNS0_4arch9wavefront6targetE1EEEvSG_: ; @_ZN7rocprim17ROCPRIM_400000_NS6detail17trampoline_kernelINS0_14default_configENS1_35radix_sort_onesweep_config_selectorIisEEZZNS1_29radix_sort_onesweep_iterationIS3_Lb0EN6thrust23THRUST_200600_302600_NS10device_ptrIiEESA_NS9_IsEESB_jNS0_19identity_decomposerENS1_16block_id_wrapperIjLb0EEEEE10hipError_tT1_PNSt15iterator_traitsISG_E10value_typeET2_T3_PNSH_ISM_E10value_typeET4_T5_PSR_SS_PNS1_23onesweep_lookback_stateEbbT6_jjT7_P12ihipStream_tbENKUlT_T0_SG_SL_E_clISA_PiSB_PsEEDaSZ_S10_SG_SL_EUlSZ_E_NS1_11comp_targetILNS1_3genE10ELNS1_11target_archE1201ELNS1_3gpuE5ELNS1_3repE0EEENS1_47radix_sort_onesweep_sort_config_static_selectorELNS0_4arch9wavefront6targetE1EEEvSG_
; %bb.0:
	.section	.rodata,"a",@progbits
	.p2align	6, 0x0
	.amdhsa_kernel _ZN7rocprim17ROCPRIM_400000_NS6detail17trampoline_kernelINS0_14default_configENS1_35radix_sort_onesweep_config_selectorIisEEZZNS1_29radix_sort_onesweep_iterationIS3_Lb0EN6thrust23THRUST_200600_302600_NS10device_ptrIiEESA_NS9_IsEESB_jNS0_19identity_decomposerENS1_16block_id_wrapperIjLb0EEEEE10hipError_tT1_PNSt15iterator_traitsISG_E10value_typeET2_T3_PNSH_ISM_E10value_typeET4_T5_PSR_SS_PNS1_23onesweep_lookback_stateEbbT6_jjT7_P12ihipStream_tbENKUlT_T0_SG_SL_E_clISA_PiSB_PsEEDaSZ_S10_SG_SL_EUlSZ_E_NS1_11comp_targetILNS1_3genE10ELNS1_11target_archE1201ELNS1_3gpuE5ELNS1_3repE0EEENS1_47radix_sort_onesweep_sort_config_static_selectorELNS0_4arch9wavefront6targetE1EEEvSG_
		.amdhsa_group_segment_fixed_size 0
		.amdhsa_private_segment_fixed_size 0
		.amdhsa_kernarg_size 88
		.amdhsa_user_sgpr_count 2
		.amdhsa_user_sgpr_dispatch_ptr 0
		.amdhsa_user_sgpr_queue_ptr 0
		.amdhsa_user_sgpr_kernarg_segment_ptr 1
		.amdhsa_user_sgpr_dispatch_id 0
		.amdhsa_user_sgpr_kernarg_preload_length 0
		.amdhsa_user_sgpr_kernarg_preload_offset 0
		.amdhsa_user_sgpr_private_segment_size 0
		.amdhsa_uses_dynamic_stack 0
		.amdhsa_enable_private_segment 0
		.amdhsa_system_sgpr_workgroup_id_x 1
		.amdhsa_system_sgpr_workgroup_id_y 0
		.amdhsa_system_sgpr_workgroup_id_z 0
		.amdhsa_system_sgpr_workgroup_info 0
		.amdhsa_system_vgpr_workitem_id 0
		.amdhsa_next_free_vgpr 1
		.amdhsa_next_free_sgpr 0
		.amdhsa_accum_offset 4
		.amdhsa_reserve_vcc 0
		.amdhsa_float_round_mode_32 0
		.amdhsa_float_round_mode_16_64 0
		.amdhsa_float_denorm_mode_32 3
		.amdhsa_float_denorm_mode_16_64 3
		.amdhsa_dx10_clamp 1
		.amdhsa_ieee_mode 1
		.amdhsa_fp16_overflow 0
		.amdhsa_tg_split 0
		.amdhsa_exception_fp_ieee_invalid_op 0
		.amdhsa_exception_fp_denorm_src 0
		.amdhsa_exception_fp_ieee_div_zero 0
		.amdhsa_exception_fp_ieee_overflow 0
		.amdhsa_exception_fp_ieee_underflow 0
		.amdhsa_exception_fp_ieee_inexact 0
		.amdhsa_exception_int_div_zero 0
	.end_amdhsa_kernel
	.section	.text._ZN7rocprim17ROCPRIM_400000_NS6detail17trampoline_kernelINS0_14default_configENS1_35radix_sort_onesweep_config_selectorIisEEZZNS1_29radix_sort_onesweep_iterationIS3_Lb0EN6thrust23THRUST_200600_302600_NS10device_ptrIiEESA_NS9_IsEESB_jNS0_19identity_decomposerENS1_16block_id_wrapperIjLb0EEEEE10hipError_tT1_PNSt15iterator_traitsISG_E10value_typeET2_T3_PNSH_ISM_E10value_typeET4_T5_PSR_SS_PNS1_23onesweep_lookback_stateEbbT6_jjT7_P12ihipStream_tbENKUlT_T0_SG_SL_E_clISA_PiSB_PsEEDaSZ_S10_SG_SL_EUlSZ_E_NS1_11comp_targetILNS1_3genE10ELNS1_11target_archE1201ELNS1_3gpuE5ELNS1_3repE0EEENS1_47radix_sort_onesweep_sort_config_static_selectorELNS0_4arch9wavefront6targetE1EEEvSG_,"axG",@progbits,_ZN7rocprim17ROCPRIM_400000_NS6detail17trampoline_kernelINS0_14default_configENS1_35radix_sort_onesweep_config_selectorIisEEZZNS1_29radix_sort_onesweep_iterationIS3_Lb0EN6thrust23THRUST_200600_302600_NS10device_ptrIiEESA_NS9_IsEESB_jNS0_19identity_decomposerENS1_16block_id_wrapperIjLb0EEEEE10hipError_tT1_PNSt15iterator_traitsISG_E10value_typeET2_T3_PNSH_ISM_E10value_typeET4_T5_PSR_SS_PNS1_23onesweep_lookback_stateEbbT6_jjT7_P12ihipStream_tbENKUlT_T0_SG_SL_E_clISA_PiSB_PsEEDaSZ_S10_SG_SL_EUlSZ_E_NS1_11comp_targetILNS1_3genE10ELNS1_11target_archE1201ELNS1_3gpuE5ELNS1_3repE0EEENS1_47radix_sort_onesweep_sort_config_static_selectorELNS0_4arch9wavefront6targetE1EEEvSG_,comdat
.Lfunc_end2482:
	.size	_ZN7rocprim17ROCPRIM_400000_NS6detail17trampoline_kernelINS0_14default_configENS1_35radix_sort_onesweep_config_selectorIisEEZZNS1_29radix_sort_onesweep_iterationIS3_Lb0EN6thrust23THRUST_200600_302600_NS10device_ptrIiEESA_NS9_IsEESB_jNS0_19identity_decomposerENS1_16block_id_wrapperIjLb0EEEEE10hipError_tT1_PNSt15iterator_traitsISG_E10value_typeET2_T3_PNSH_ISM_E10value_typeET4_T5_PSR_SS_PNS1_23onesweep_lookback_stateEbbT6_jjT7_P12ihipStream_tbENKUlT_T0_SG_SL_E_clISA_PiSB_PsEEDaSZ_S10_SG_SL_EUlSZ_E_NS1_11comp_targetILNS1_3genE10ELNS1_11target_archE1201ELNS1_3gpuE5ELNS1_3repE0EEENS1_47radix_sort_onesweep_sort_config_static_selectorELNS0_4arch9wavefront6targetE1EEEvSG_, .Lfunc_end2482-_ZN7rocprim17ROCPRIM_400000_NS6detail17trampoline_kernelINS0_14default_configENS1_35radix_sort_onesweep_config_selectorIisEEZZNS1_29radix_sort_onesweep_iterationIS3_Lb0EN6thrust23THRUST_200600_302600_NS10device_ptrIiEESA_NS9_IsEESB_jNS0_19identity_decomposerENS1_16block_id_wrapperIjLb0EEEEE10hipError_tT1_PNSt15iterator_traitsISG_E10value_typeET2_T3_PNSH_ISM_E10value_typeET4_T5_PSR_SS_PNS1_23onesweep_lookback_stateEbbT6_jjT7_P12ihipStream_tbENKUlT_T0_SG_SL_E_clISA_PiSB_PsEEDaSZ_S10_SG_SL_EUlSZ_E_NS1_11comp_targetILNS1_3genE10ELNS1_11target_archE1201ELNS1_3gpuE5ELNS1_3repE0EEENS1_47radix_sort_onesweep_sort_config_static_selectorELNS0_4arch9wavefront6targetE1EEEvSG_
                                        ; -- End function
	.set _ZN7rocprim17ROCPRIM_400000_NS6detail17trampoline_kernelINS0_14default_configENS1_35radix_sort_onesweep_config_selectorIisEEZZNS1_29radix_sort_onesweep_iterationIS3_Lb0EN6thrust23THRUST_200600_302600_NS10device_ptrIiEESA_NS9_IsEESB_jNS0_19identity_decomposerENS1_16block_id_wrapperIjLb0EEEEE10hipError_tT1_PNSt15iterator_traitsISG_E10value_typeET2_T3_PNSH_ISM_E10value_typeET4_T5_PSR_SS_PNS1_23onesweep_lookback_stateEbbT6_jjT7_P12ihipStream_tbENKUlT_T0_SG_SL_E_clISA_PiSB_PsEEDaSZ_S10_SG_SL_EUlSZ_E_NS1_11comp_targetILNS1_3genE10ELNS1_11target_archE1201ELNS1_3gpuE5ELNS1_3repE0EEENS1_47radix_sort_onesweep_sort_config_static_selectorELNS0_4arch9wavefront6targetE1EEEvSG_.num_vgpr, 0
	.set _ZN7rocprim17ROCPRIM_400000_NS6detail17trampoline_kernelINS0_14default_configENS1_35radix_sort_onesweep_config_selectorIisEEZZNS1_29radix_sort_onesweep_iterationIS3_Lb0EN6thrust23THRUST_200600_302600_NS10device_ptrIiEESA_NS9_IsEESB_jNS0_19identity_decomposerENS1_16block_id_wrapperIjLb0EEEEE10hipError_tT1_PNSt15iterator_traitsISG_E10value_typeET2_T3_PNSH_ISM_E10value_typeET4_T5_PSR_SS_PNS1_23onesweep_lookback_stateEbbT6_jjT7_P12ihipStream_tbENKUlT_T0_SG_SL_E_clISA_PiSB_PsEEDaSZ_S10_SG_SL_EUlSZ_E_NS1_11comp_targetILNS1_3genE10ELNS1_11target_archE1201ELNS1_3gpuE5ELNS1_3repE0EEENS1_47radix_sort_onesweep_sort_config_static_selectorELNS0_4arch9wavefront6targetE1EEEvSG_.num_agpr, 0
	.set _ZN7rocprim17ROCPRIM_400000_NS6detail17trampoline_kernelINS0_14default_configENS1_35radix_sort_onesweep_config_selectorIisEEZZNS1_29radix_sort_onesweep_iterationIS3_Lb0EN6thrust23THRUST_200600_302600_NS10device_ptrIiEESA_NS9_IsEESB_jNS0_19identity_decomposerENS1_16block_id_wrapperIjLb0EEEEE10hipError_tT1_PNSt15iterator_traitsISG_E10value_typeET2_T3_PNSH_ISM_E10value_typeET4_T5_PSR_SS_PNS1_23onesweep_lookback_stateEbbT6_jjT7_P12ihipStream_tbENKUlT_T0_SG_SL_E_clISA_PiSB_PsEEDaSZ_S10_SG_SL_EUlSZ_E_NS1_11comp_targetILNS1_3genE10ELNS1_11target_archE1201ELNS1_3gpuE5ELNS1_3repE0EEENS1_47radix_sort_onesweep_sort_config_static_selectorELNS0_4arch9wavefront6targetE1EEEvSG_.numbered_sgpr, 0
	.set _ZN7rocprim17ROCPRIM_400000_NS6detail17trampoline_kernelINS0_14default_configENS1_35radix_sort_onesweep_config_selectorIisEEZZNS1_29radix_sort_onesweep_iterationIS3_Lb0EN6thrust23THRUST_200600_302600_NS10device_ptrIiEESA_NS9_IsEESB_jNS0_19identity_decomposerENS1_16block_id_wrapperIjLb0EEEEE10hipError_tT1_PNSt15iterator_traitsISG_E10value_typeET2_T3_PNSH_ISM_E10value_typeET4_T5_PSR_SS_PNS1_23onesweep_lookback_stateEbbT6_jjT7_P12ihipStream_tbENKUlT_T0_SG_SL_E_clISA_PiSB_PsEEDaSZ_S10_SG_SL_EUlSZ_E_NS1_11comp_targetILNS1_3genE10ELNS1_11target_archE1201ELNS1_3gpuE5ELNS1_3repE0EEENS1_47radix_sort_onesweep_sort_config_static_selectorELNS0_4arch9wavefront6targetE1EEEvSG_.num_named_barrier, 0
	.set _ZN7rocprim17ROCPRIM_400000_NS6detail17trampoline_kernelINS0_14default_configENS1_35radix_sort_onesweep_config_selectorIisEEZZNS1_29radix_sort_onesweep_iterationIS3_Lb0EN6thrust23THRUST_200600_302600_NS10device_ptrIiEESA_NS9_IsEESB_jNS0_19identity_decomposerENS1_16block_id_wrapperIjLb0EEEEE10hipError_tT1_PNSt15iterator_traitsISG_E10value_typeET2_T3_PNSH_ISM_E10value_typeET4_T5_PSR_SS_PNS1_23onesweep_lookback_stateEbbT6_jjT7_P12ihipStream_tbENKUlT_T0_SG_SL_E_clISA_PiSB_PsEEDaSZ_S10_SG_SL_EUlSZ_E_NS1_11comp_targetILNS1_3genE10ELNS1_11target_archE1201ELNS1_3gpuE5ELNS1_3repE0EEENS1_47radix_sort_onesweep_sort_config_static_selectorELNS0_4arch9wavefront6targetE1EEEvSG_.private_seg_size, 0
	.set _ZN7rocprim17ROCPRIM_400000_NS6detail17trampoline_kernelINS0_14default_configENS1_35radix_sort_onesweep_config_selectorIisEEZZNS1_29radix_sort_onesweep_iterationIS3_Lb0EN6thrust23THRUST_200600_302600_NS10device_ptrIiEESA_NS9_IsEESB_jNS0_19identity_decomposerENS1_16block_id_wrapperIjLb0EEEEE10hipError_tT1_PNSt15iterator_traitsISG_E10value_typeET2_T3_PNSH_ISM_E10value_typeET4_T5_PSR_SS_PNS1_23onesweep_lookback_stateEbbT6_jjT7_P12ihipStream_tbENKUlT_T0_SG_SL_E_clISA_PiSB_PsEEDaSZ_S10_SG_SL_EUlSZ_E_NS1_11comp_targetILNS1_3genE10ELNS1_11target_archE1201ELNS1_3gpuE5ELNS1_3repE0EEENS1_47radix_sort_onesweep_sort_config_static_selectorELNS0_4arch9wavefront6targetE1EEEvSG_.uses_vcc, 0
	.set _ZN7rocprim17ROCPRIM_400000_NS6detail17trampoline_kernelINS0_14default_configENS1_35radix_sort_onesweep_config_selectorIisEEZZNS1_29radix_sort_onesweep_iterationIS3_Lb0EN6thrust23THRUST_200600_302600_NS10device_ptrIiEESA_NS9_IsEESB_jNS0_19identity_decomposerENS1_16block_id_wrapperIjLb0EEEEE10hipError_tT1_PNSt15iterator_traitsISG_E10value_typeET2_T3_PNSH_ISM_E10value_typeET4_T5_PSR_SS_PNS1_23onesweep_lookback_stateEbbT6_jjT7_P12ihipStream_tbENKUlT_T0_SG_SL_E_clISA_PiSB_PsEEDaSZ_S10_SG_SL_EUlSZ_E_NS1_11comp_targetILNS1_3genE10ELNS1_11target_archE1201ELNS1_3gpuE5ELNS1_3repE0EEENS1_47radix_sort_onesweep_sort_config_static_selectorELNS0_4arch9wavefront6targetE1EEEvSG_.uses_flat_scratch, 0
	.set _ZN7rocprim17ROCPRIM_400000_NS6detail17trampoline_kernelINS0_14default_configENS1_35radix_sort_onesweep_config_selectorIisEEZZNS1_29radix_sort_onesweep_iterationIS3_Lb0EN6thrust23THRUST_200600_302600_NS10device_ptrIiEESA_NS9_IsEESB_jNS0_19identity_decomposerENS1_16block_id_wrapperIjLb0EEEEE10hipError_tT1_PNSt15iterator_traitsISG_E10value_typeET2_T3_PNSH_ISM_E10value_typeET4_T5_PSR_SS_PNS1_23onesweep_lookback_stateEbbT6_jjT7_P12ihipStream_tbENKUlT_T0_SG_SL_E_clISA_PiSB_PsEEDaSZ_S10_SG_SL_EUlSZ_E_NS1_11comp_targetILNS1_3genE10ELNS1_11target_archE1201ELNS1_3gpuE5ELNS1_3repE0EEENS1_47radix_sort_onesweep_sort_config_static_selectorELNS0_4arch9wavefront6targetE1EEEvSG_.has_dyn_sized_stack, 0
	.set _ZN7rocprim17ROCPRIM_400000_NS6detail17trampoline_kernelINS0_14default_configENS1_35radix_sort_onesweep_config_selectorIisEEZZNS1_29radix_sort_onesweep_iterationIS3_Lb0EN6thrust23THRUST_200600_302600_NS10device_ptrIiEESA_NS9_IsEESB_jNS0_19identity_decomposerENS1_16block_id_wrapperIjLb0EEEEE10hipError_tT1_PNSt15iterator_traitsISG_E10value_typeET2_T3_PNSH_ISM_E10value_typeET4_T5_PSR_SS_PNS1_23onesweep_lookback_stateEbbT6_jjT7_P12ihipStream_tbENKUlT_T0_SG_SL_E_clISA_PiSB_PsEEDaSZ_S10_SG_SL_EUlSZ_E_NS1_11comp_targetILNS1_3genE10ELNS1_11target_archE1201ELNS1_3gpuE5ELNS1_3repE0EEENS1_47radix_sort_onesweep_sort_config_static_selectorELNS0_4arch9wavefront6targetE1EEEvSG_.has_recursion, 0
	.set _ZN7rocprim17ROCPRIM_400000_NS6detail17trampoline_kernelINS0_14default_configENS1_35radix_sort_onesweep_config_selectorIisEEZZNS1_29radix_sort_onesweep_iterationIS3_Lb0EN6thrust23THRUST_200600_302600_NS10device_ptrIiEESA_NS9_IsEESB_jNS0_19identity_decomposerENS1_16block_id_wrapperIjLb0EEEEE10hipError_tT1_PNSt15iterator_traitsISG_E10value_typeET2_T3_PNSH_ISM_E10value_typeET4_T5_PSR_SS_PNS1_23onesweep_lookback_stateEbbT6_jjT7_P12ihipStream_tbENKUlT_T0_SG_SL_E_clISA_PiSB_PsEEDaSZ_S10_SG_SL_EUlSZ_E_NS1_11comp_targetILNS1_3genE10ELNS1_11target_archE1201ELNS1_3gpuE5ELNS1_3repE0EEENS1_47radix_sort_onesweep_sort_config_static_selectorELNS0_4arch9wavefront6targetE1EEEvSG_.has_indirect_call, 0
	.section	.AMDGPU.csdata,"",@progbits
; Kernel info:
; codeLenInByte = 0
; TotalNumSgprs: 6
; NumVgprs: 0
; NumAgprs: 0
; TotalNumVgprs: 0
; ScratchSize: 0
; MemoryBound: 0
; FloatMode: 240
; IeeeMode: 1
; LDSByteSize: 0 bytes/workgroup (compile time only)
; SGPRBlocks: 0
; VGPRBlocks: 0
; NumSGPRsForWavesPerEU: 6
; NumVGPRsForWavesPerEU: 1
; AccumOffset: 4
; Occupancy: 8
; WaveLimiterHint : 0
; COMPUTE_PGM_RSRC2:SCRATCH_EN: 0
; COMPUTE_PGM_RSRC2:USER_SGPR: 2
; COMPUTE_PGM_RSRC2:TRAP_HANDLER: 0
; COMPUTE_PGM_RSRC2:TGID_X_EN: 1
; COMPUTE_PGM_RSRC2:TGID_Y_EN: 0
; COMPUTE_PGM_RSRC2:TGID_Z_EN: 0
; COMPUTE_PGM_RSRC2:TIDIG_COMP_CNT: 0
; COMPUTE_PGM_RSRC3_GFX90A:ACCUM_OFFSET: 0
; COMPUTE_PGM_RSRC3_GFX90A:TG_SPLIT: 0
	.section	.text._ZN7rocprim17ROCPRIM_400000_NS6detail17trampoline_kernelINS0_14default_configENS1_35radix_sort_onesweep_config_selectorIisEEZZNS1_29radix_sort_onesweep_iterationIS3_Lb0EN6thrust23THRUST_200600_302600_NS10device_ptrIiEESA_NS9_IsEESB_jNS0_19identity_decomposerENS1_16block_id_wrapperIjLb0EEEEE10hipError_tT1_PNSt15iterator_traitsISG_E10value_typeET2_T3_PNSH_ISM_E10value_typeET4_T5_PSR_SS_PNS1_23onesweep_lookback_stateEbbT6_jjT7_P12ihipStream_tbENKUlT_T0_SG_SL_E_clISA_PiSB_PsEEDaSZ_S10_SG_SL_EUlSZ_E_NS1_11comp_targetILNS1_3genE9ELNS1_11target_archE1100ELNS1_3gpuE3ELNS1_3repE0EEENS1_47radix_sort_onesweep_sort_config_static_selectorELNS0_4arch9wavefront6targetE1EEEvSG_,"axG",@progbits,_ZN7rocprim17ROCPRIM_400000_NS6detail17trampoline_kernelINS0_14default_configENS1_35radix_sort_onesweep_config_selectorIisEEZZNS1_29radix_sort_onesweep_iterationIS3_Lb0EN6thrust23THRUST_200600_302600_NS10device_ptrIiEESA_NS9_IsEESB_jNS0_19identity_decomposerENS1_16block_id_wrapperIjLb0EEEEE10hipError_tT1_PNSt15iterator_traitsISG_E10value_typeET2_T3_PNSH_ISM_E10value_typeET4_T5_PSR_SS_PNS1_23onesweep_lookback_stateEbbT6_jjT7_P12ihipStream_tbENKUlT_T0_SG_SL_E_clISA_PiSB_PsEEDaSZ_S10_SG_SL_EUlSZ_E_NS1_11comp_targetILNS1_3genE9ELNS1_11target_archE1100ELNS1_3gpuE3ELNS1_3repE0EEENS1_47radix_sort_onesweep_sort_config_static_selectorELNS0_4arch9wavefront6targetE1EEEvSG_,comdat
	.protected	_ZN7rocprim17ROCPRIM_400000_NS6detail17trampoline_kernelINS0_14default_configENS1_35radix_sort_onesweep_config_selectorIisEEZZNS1_29radix_sort_onesweep_iterationIS3_Lb0EN6thrust23THRUST_200600_302600_NS10device_ptrIiEESA_NS9_IsEESB_jNS0_19identity_decomposerENS1_16block_id_wrapperIjLb0EEEEE10hipError_tT1_PNSt15iterator_traitsISG_E10value_typeET2_T3_PNSH_ISM_E10value_typeET4_T5_PSR_SS_PNS1_23onesweep_lookback_stateEbbT6_jjT7_P12ihipStream_tbENKUlT_T0_SG_SL_E_clISA_PiSB_PsEEDaSZ_S10_SG_SL_EUlSZ_E_NS1_11comp_targetILNS1_3genE9ELNS1_11target_archE1100ELNS1_3gpuE3ELNS1_3repE0EEENS1_47radix_sort_onesweep_sort_config_static_selectorELNS0_4arch9wavefront6targetE1EEEvSG_ ; -- Begin function _ZN7rocprim17ROCPRIM_400000_NS6detail17trampoline_kernelINS0_14default_configENS1_35radix_sort_onesweep_config_selectorIisEEZZNS1_29radix_sort_onesweep_iterationIS3_Lb0EN6thrust23THRUST_200600_302600_NS10device_ptrIiEESA_NS9_IsEESB_jNS0_19identity_decomposerENS1_16block_id_wrapperIjLb0EEEEE10hipError_tT1_PNSt15iterator_traitsISG_E10value_typeET2_T3_PNSH_ISM_E10value_typeET4_T5_PSR_SS_PNS1_23onesweep_lookback_stateEbbT6_jjT7_P12ihipStream_tbENKUlT_T0_SG_SL_E_clISA_PiSB_PsEEDaSZ_S10_SG_SL_EUlSZ_E_NS1_11comp_targetILNS1_3genE9ELNS1_11target_archE1100ELNS1_3gpuE3ELNS1_3repE0EEENS1_47radix_sort_onesweep_sort_config_static_selectorELNS0_4arch9wavefront6targetE1EEEvSG_
	.globl	_ZN7rocprim17ROCPRIM_400000_NS6detail17trampoline_kernelINS0_14default_configENS1_35radix_sort_onesweep_config_selectorIisEEZZNS1_29radix_sort_onesweep_iterationIS3_Lb0EN6thrust23THRUST_200600_302600_NS10device_ptrIiEESA_NS9_IsEESB_jNS0_19identity_decomposerENS1_16block_id_wrapperIjLb0EEEEE10hipError_tT1_PNSt15iterator_traitsISG_E10value_typeET2_T3_PNSH_ISM_E10value_typeET4_T5_PSR_SS_PNS1_23onesweep_lookback_stateEbbT6_jjT7_P12ihipStream_tbENKUlT_T0_SG_SL_E_clISA_PiSB_PsEEDaSZ_S10_SG_SL_EUlSZ_E_NS1_11comp_targetILNS1_3genE9ELNS1_11target_archE1100ELNS1_3gpuE3ELNS1_3repE0EEENS1_47radix_sort_onesweep_sort_config_static_selectorELNS0_4arch9wavefront6targetE1EEEvSG_
	.p2align	8
	.type	_ZN7rocprim17ROCPRIM_400000_NS6detail17trampoline_kernelINS0_14default_configENS1_35radix_sort_onesweep_config_selectorIisEEZZNS1_29radix_sort_onesweep_iterationIS3_Lb0EN6thrust23THRUST_200600_302600_NS10device_ptrIiEESA_NS9_IsEESB_jNS0_19identity_decomposerENS1_16block_id_wrapperIjLb0EEEEE10hipError_tT1_PNSt15iterator_traitsISG_E10value_typeET2_T3_PNSH_ISM_E10value_typeET4_T5_PSR_SS_PNS1_23onesweep_lookback_stateEbbT6_jjT7_P12ihipStream_tbENKUlT_T0_SG_SL_E_clISA_PiSB_PsEEDaSZ_S10_SG_SL_EUlSZ_E_NS1_11comp_targetILNS1_3genE9ELNS1_11target_archE1100ELNS1_3gpuE3ELNS1_3repE0EEENS1_47radix_sort_onesweep_sort_config_static_selectorELNS0_4arch9wavefront6targetE1EEEvSG_,@function
_ZN7rocprim17ROCPRIM_400000_NS6detail17trampoline_kernelINS0_14default_configENS1_35radix_sort_onesweep_config_selectorIisEEZZNS1_29radix_sort_onesweep_iterationIS3_Lb0EN6thrust23THRUST_200600_302600_NS10device_ptrIiEESA_NS9_IsEESB_jNS0_19identity_decomposerENS1_16block_id_wrapperIjLb0EEEEE10hipError_tT1_PNSt15iterator_traitsISG_E10value_typeET2_T3_PNSH_ISM_E10value_typeET4_T5_PSR_SS_PNS1_23onesweep_lookback_stateEbbT6_jjT7_P12ihipStream_tbENKUlT_T0_SG_SL_E_clISA_PiSB_PsEEDaSZ_S10_SG_SL_EUlSZ_E_NS1_11comp_targetILNS1_3genE9ELNS1_11target_archE1100ELNS1_3gpuE3ELNS1_3repE0EEENS1_47radix_sort_onesweep_sort_config_static_selectorELNS0_4arch9wavefront6targetE1EEEvSG_: ; @_ZN7rocprim17ROCPRIM_400000_NS6detail17trampoline_kernelINS0_14default_configENS1_35radix_sort_onesweep_config_selectorIisEEZZNS1_29radix_sort_onesweep_iterationIS3_Lb0EN6thrust23THRUST_200600_302600_NS10device_ptrIiEESA_NS9_IsEESB_jNS0_19identity_decomposerENS1_16block_id_wrapperIjLb0EEEEE10hipError_tT1_PNSt15iterator_traitsISG_E10value_typeET2_T3_PNSH_ISM_E10value_typeET4_T5_PSR_SS_PNS1_23onesweep_lookback_stateEbbT6_jjT7_P12ihipStream_tbENKUlT_T0_SG_SL_E_clISA_PiSB_PsEEDaSZ_S10_SG_SL_EUlSZ_E_NS1_11comp_targetILNS1_3genE9ELNS1_11target_archE1100ELNS1_3gpuE3ELNS1_3repE0EEENS1_47radix_sort_onesweep_sort_config_static_selectorELNS0_4arch9wavefront6targetE1EEEvSG_
; %bb.0:
	.section	.rodata,"a",@progbits
	.p2align	6, 0x0
	.amdhsa_kernel _ZN7rocprim17ROCPRIM_400000_NS6detail17trampoline_kernelINS0_14default_configENS1_35radix_sort_onesweep_config_selectorIisEEZZNS1_29radix_sort_onesweep_iterationIS3_Lb0EN6thrust23THRUST_200600_302600_NS10device_ptrIiEESA_NS9_IsEESB_jNS0_19identity_decomposerENS1_16block_id_wrapperIjLb0EEEEE10hipError_tT1_PNSt15iterator_traitsISG_E10value_typeET2_T3_PNSH_ISM_E10value_typeET4_T5_PSR_SS_PNS1_23onesweep_lookback_stateEbbT6_jjT7_P12ihipStream_tbENKUlT_T0_SG_SL_E_clISA_PiSB_PsEEDaSZ_S10_SG_SL_EUlSZ_E_NS1_11comp_targetILNS1_3genE9ELNS1_11target_archE1100ELNS1_3gpuE3ELNS1_3repE0EEENS1_47radix_sort_onesweep_sort_config_static_selectorELNS0_4arch9wavefront6targetE1EEEvSG_
		.amdhsa_group_segment_fixed_size 0
		.amdhsa_private_segment_fixed_size 0
		.amdhsa_kernarg_size 88
		.amdhsa_user_sgpr_count 2
		.amdhsa_user_sgpr_dispatch_ptr 0
		.amdhsa_user_sgpr_queue_ptr 0
		.amdhsa_user_sgpr_kernarg_segment_ptr 1
		.amdhsa_user_sgpr_dispatch_id 0
		.amdhsa_user_sgpr_kernarg_preload_length 0
		.amdhsa_user_sgpr_kernarg_preload_offset 0
		.amdhsa_user_sgpr_private_segment_size 0
		.amdhsa_uses_dynamic_stack 0
		.amdhsa_enable_private_segment 0
		.amdhsa_system_sgpr_workgroup_id_x 1
		.amdhsa_system_sgpr_workgroup_id_y 0
		.amdhsa_system_sgpr_workgroup_id_z 0
		.amdhsa_system_sgpr_workgroup_info 0
		.amdhsa_system_vgpr_workitem_id 0
		.amdhsa_next_free_vgpr 1
		.amdhsa_next_free_sgpr 0
		.amdhsa_accum_offset 4
		.amdhsa_reserve_vcc 0
		.amdhsa_float_round_mode_32 0
		.amdhsa_float_round_mode_16_64 0
		.amdhsa_float_denorm_mode_32 3
		.amdhsa_float_denorm_mode_16_64 3
		.amdhsa_dx10_clamp 1
		.amdhsa_ieee_mode 1
		.amdhsa_fp16_overflow 0
		.amdhsa_tg_split 0
		.amdhsa_exception_fp_ieee_invalid_op 0
		.amdhsa_exception_fp_denorm_src 0
		.amdhsa_exception_fp_ieee_div_zero 0
		.amdhsa_exception_fp_ieee_overflow 0
		.amdhsa_exception_fp_ieee_underflow 0
		.amdhsa_exception_fp_ieee_inexact 0
		.amdhsa_exception_int_div_zero 0
	.end_amdhsa_kernel
	.section	.text._ZN7rocprim17ROCPRIM_400000_NS6detail17trampoline_kernelINS0_14default_configENS1_35radix_sort_onesweep_config_selectorIisEEZZNS1_29radix_sort_onesweep_iterationIS3_Lb0EN6thrust23THRUST_200600_302600_NS10device_ptrIiEESA_NS9_IsEESB_jNS0_19identity_decomposerENS1_16block_id_wrapperIjLb0EEEEE10hipError_tT1_PNSt15iterator_traitsISG_E10value_typeET2_T3_PNSH_ISM_E10value_typeET4_T5_PSR_SS_PNS1_23onesweep_lookback_stateEbbT6_jjT7_P12ihipStream_tbENKUlT_T0_SG_SL_E_clISA_PiSB_PsEEDaSZ_S10_SG_SL_EUlSZ_E_NS1_11comp_targetILNS1_3genE9ELNS1_11target_archE1100ELNS1_3gpuE3ELNS1_3repE0EEENS1_47radix_sort_onesweep_sort_config_static_selectorELNS0_4arch9wavefront6targetE1EEEvSG_,"axG",@progbits,_ZN7rocprim17ROCPRIM_400000_NS6detail17trampoline_kernelINS0_14default_configENS1_35radix_sort_onesweep_config_selectorIisEEZZNS1_29radix_sort_onesweep_iterationIS3_Lb0EN6thrust23THRUST_200600_302600_NS10device_ptrIiEESA_NS9_IsEESB_jNS0_19identity_decomposerENS1_16block_id_wrapperIjLb0EEEEE10hipError_tT1_PNSt15iterator_traitsISG_E10value_typeET2_T3_PNSH_ISM_E10value_typeET4_T5_PSR_SS_PNS1_23onesweep_lookback_stateEbbT6_jjT7_P12ihipStream_tbENKUlT_T0_SG_SL_E_clISA_PiSB_PsEEDaSZ_S10_SG_SL_EUlSZ_E_NS1_11comp_targetILNS1_3genE9ELNS1_11target_archE1100ELNS1_3gpuE3ELNS1_3repE0EEENS1_47radix_sort_onesweep_sort_config_static_selectorELNS0_4arch9wavefront6targetE1EEEvSG_,comdat
.Lfunc_end2483:
	.size	_ZN7rocprim17ROCPRIM_400000_NS6detail17trampoline_kernelINS0_14default_configENS1_35radix_sort_onesweep_config_selectorIisEEZZNS1_29radix_sort_onesweep_iterationIS3_Lb0EN6thrust23THRUST_200600_302600_NS10device_ptrIiEESA_NS9_IsEESB_jNS0_19identity_decomposerENS1_16block_id_wrapperIjLb0EEEEE10hipError_tT1_PNSt15iterator_traitsISG_E10value_typeET2_T3_PNSH_ISM_E10value_typeET4_T5_PSR_SS_PNS1_23onesweep_lookback_stateEbbT6_jjT7_P12ihipStream_tbENKUlT_T0_SG_SL_E_clISA_PiSB_PsEEDaSZ_S10_SG_SL_EUlSZ_E_NS1_11comp_targetILNS1_3genE9ELNS1_11target_archE1100ELNS1_3gpuE3ELNS1_3repE0EEENS1_47radix_sort_onesweep_sort_config_static_selectorELNS0_4arch9wavefront6targetE1EEEvSG_, .Lfunc_end2483-_ZN7rocprim17ROCPRIM_400000_NS6detail17trampoline_kernelINS0_14default_configENS1_35radix_sort_onesweep_config_selectorIisEEZZNS1_29radix_sort_onesweep_iterationIS3_Lb0EN6thrust23THRUST_200600_302600_NS10device_ptrIiEESA_NS9_IsEESB_jNS0_19identity_decomposerENS1_16block_id_wrapperIjLb0EEEEE10hipError_tT1_PNSt15iterator_traitsISG_E10value_typeET2_T3_PNSH_ISM_E10value_typeET4_T5_PSR_SS_PNS1_23onesweep_lookback_stateEbbT6_jjT7_P12ihipStream_tbENKUlT_T0_SG_SL_E_clISA_PiSB_PsEEDaSZ_S10_SG_SL_EUlSZ_E_NS1_11comp_targetILNS1_3genE9ELNS1_11target_archE1100ELNS1_3gpuE3ELNS1_3repE0EEENS1_47radix_sort_onesweep_sort_config_static_selectorELNS0_4arch9wavefront6targetE1EEEvSG_
                                        ; -- End function
	.set _ZN7rocprim17ROCPRIM_400000_NS6detail17trampoline_kernelINS0_14default_configENS1_35radix_sort_onesweep_config_selectorIisEEZZNS1_29radix_sort_onesweep_iterationIS3_Lb0EN6thrust23THRUST_200600_302600_NS10device_ptrIiEESA_NS9_IsEESB_jNS0_19identity_decomposerENS1_16block_id_wrapperIjLb0EEEEE10hipError_tT1_PNSt15iterator_traitsISG_E10value_typeET2_T3_PNSH_ISM_E10value_typeET4_T5_PSR_SS_PNS1_23onesweep_lookback_stateEbbT6_jjT7_P12ihipStream_tbENKUlT_T0_SG_SL_E_clISA_PiSB_PsEEDaSZ_S10_SG_SL_EUlSZ_E_NS1_11comp_targetILNS1_3genE9ELNS1_11target_archE1100ELNS1_3gpuE3ELNS1_3repE0EEENS1_47radix_sort_onesweep_sort_config_static_selectorELNS0_4arch9wavefront6targetE1EEEvSG_.num_vgpr, 0
	.set _ZN7rocprim17ROCPRIM_400000_NS6detail17trampoline_kernelINS0_14default_configENS1_35radix_sort_onesweep_config_selectorIisEEZZNS1_29radix_sort_onesweep_iterationIS3_Lb0EN6thrust23THRUST_200600_302600_NS10device_ptrIiEESA_NS9_IsEESB_jNS0_19identity_decomposerENS1_16block_id_wrapperIjLb0EEEEE10hipError_tT1_PNSt15iterator_traitsISG_E10value_typeET2_T3_PNSH_ISM_E10value_typeET4_T5_PSR_SS_PNS1_23onesweep_lookback_stateEbbT6_jjT7_P12ihipStream_tbENKUlT_T0_SG_SL_E_clISA_PiSB_PsEEDaSZ_S10_SG_SL_EUlSZ_E_NS1_11comp_targetILNS1_3genE9ELNS1_11target_archE1100ELNS1_3gpuE3ELNS1_3repE0EEENS1_47radix_sort_onesweep_sort_config_static_selectorELNS0_4arch9wavefront6targetE1EEEvSG_.num_agpr, 0
	.set _ZN7rocprim17ROCPRIM_400000_NS6detail17trampoline_kernelINS0_14default_configENS1_35radix_sort_onesweep_config_selectorIisEEZZNS1_29radix_sort_onesweep_iterationIS3_Lb0EN6thrust23THRUST_200600_302600_NS10device_ptrIiEESA_NS9_IsEESB_jNS0_19identity_decomposerENS1_16block_id_wrapperIjLb0EEEEE10hipError_tT1_PNSt15iterator_traitsISG_E10value_typeET2_T3_PNSH_ISM_E10value_typeET4_T5_PSR_SS_PNS1_23onesweep_lookback_stateEbbT6_jjT7_P12ihipStream_tbENKUlT_T0_SG_SL_E_clISA_PiSB_PsEEDaSZ_S10_SG_SL_EUlSZ_E_NS1_11comp_targetILNS1_3genE9ELNS1_11target_archE1100ELNS1_3gpuE3ELNS1_3repE0EEENS1_47radix_sort_onesweep_sort_config_static_selectorELNS0_4arch9wavefront6targetE1EEEvSG_.numbered_sgpr, 0
	.set _ZN7rocprim17ROCPRIM_400000_NS6detail17trampoline_kernelINS0_14default_configENS1_35radix_sort_onesweep_config_selectorIisEEZZNS1_29radix_sort_onesweep_iterationIS3_Lb0EN6thrust23THRUST_200600_302600_NS10device_ptrIiEESA_NS9_IsEESB_jNS0_19identity_decomposerENS1_16block_id_wrapperIjLb0EEEEE10hipError_tT1_PNSt15iterator_traitsISG_E10value_typeET2_T3_PNSH_ISM_E10value_typeET4_T5_PSR_SS_PNS1_23onesweep_lookback_stateEbbT6_jjT7_P12ihipStream_tbENKUlT_T0_SG_SL_E_clISA_PiSB_PsEEDaSZ_S10_SG_SL_EUlSZ_E_NS1_11comp_targetILNS1_3genE9ELNS1_11target_archE1100ELNS1_3gpuE3ELNS1_3repE0EEENS1_47radix_sort_onesweep_sort_config_static_selectorELNS0_4arch9wavefront6targetE1EEEvSG_.num_named_barrier, 0
	.set _ZN7rocprim17ROCPRIM_400000_NS6detail17trampoline_kernelINS0_14default_configENS1_35radix_sort_onesweep_config_selectorIisEEZZNS1_29radix_sort_onesweep_iterationIS3_Lb0EN6thrust23THRUST_200600_302600_NS10device_ptrIiEESA_NS9_IsEESB_jNS0_19identity_decomposerENS1_16block_id_wrapperIjLb0EEEEE10hipError_tT1_PNSt15iterator_traitsISG_E10value_typeET2_T3_PNSH_ISM_E10value_typeET4_T5_PSR_SS_PNS1_23onesweep_lookback_stateEbbT6_jjT7_P12ihipStream_tbENKUlT_T0_SG_SL_E_clISA_PiSB_PsEEDaSZ_S10_SG_SL_EUlSZ_E_NS1_11comp_targetILNS1_3genE9ELNS1_11target_archE1100ELNS1_3gpuE3ELNS1_3repE0EEENS1_47radix_sort_onesweep_sort_config_static_selectorELNS0_4arch9wavefront6targetE1EEEvSG_.private_seg_size, 0
	.set _ZN7rocprim17ROCPRIM_400000_NS6detail17trampoline_kernelINS0_14default_configENS1_35radix_sort_onesweep_config_selectorIisEEZZNS1_29radix_sort_onesweep_iterationIS3_Lb0EN6thrust23THRUST_200600_302600_NS10device_ptrIiEESA_NS9_IsEESB_jNS0_19identity_decomposerENS1_16block_id_wrapperIjLb0EEEEE10hipError_tT1_PNSt15iterator_traitsISG_E10value_typeET2_T3_PNSH_ISM_E10value_typeET4_T5_PSR_SS_PNS1_23onesweep_lookback_stateEbbT6_jjT7_P12ihipStream_tbENKUlT_T0_SG_SL_E_clISA_PiSB_PsEEDaSZ_S10_SG_SL_EUlSZ_E_NS1_11comp_targetILNS1_3genE9ELNS1_11target_archE1100ELNS1_3gpuE3ELNS1_3repE0EEENS1_47radix_sort_onesweep_sort_config_static_selectorELNS0_4arch9wavefront6targetE1EEEvSG_.uses_vcc, 0
	.set _ZN7rocprim17ROCPRIM_400000_NS6detail17trampoline_kernelINS0_14default_configENS1_35radix_sort_onesweep_config_selectorIisEEZZNS1_29radix_sort_onesweep_iterationIS3_Lb0EN6thrust23THRUST_200600_302600_NS10device_ptrIiEESA_NS9_IsEESB_jNS0_19identity_decomposerENS1_16block_id_wrapperIjLb0EEEEE10hipError_tT1_PNSt15iterator_traitsISG_E10value_typeET2_T3_PNSH_ISM_E10value_typeET4_T5_PSR_SS_PNS1_23onesweep_lookback_stateEbbT6_jjT7_P12ihipStream_tbENKUlT_T0_SG_SL_E_clISA_PiSB_PsEEDaSZ_S10_SG_SL_EUlSZ_E_NS1_11comp_targetILNS1_3genE9ELNS1_11target_archE1100ELNS1_3gpuE3ELNS1_3repE0EEENS1_47radix_sort_onesweep_sort_config_static_selectorELNS0_4arch9wavefront6targetE1EEEvSG_.uses_flat_scratch, 0
	.set _ZN7rocprim17ROCPRIM_400000_NS6detail17trampoline_kernelINS0_14default_configENS1_35radix_sort_onesweep_config_selectorIisEEZZNS1_29radix_sort_onesweep_iterationIS3_Lb0EN6thrust23THRUST_200600_302600_NS10device_ptrIiEESA_NS9_IsEESB_jNS0_19identity_decomposerENS1_16block_id_wrapperIjLb0EEEEE10hipError_tT1_PNSt15iterator_traitsISG_E10value_typeET2_T3_PNSH_ISM_E10value_typeET4_T5_PSR_SS_PNS1_23onesweep_lookback_stateEbbT6_jjT7_P12ihipStream_tbENKUlT_T0_SG_SL_E_clISA_PiSB_PsEEDaSZ_S10_SG_SL_EUlSZ_E_NS1_11comp_targetILNS1_3genE9ELNS1_11target_archE1100ELNS1_3gpuE3ELNS1_3repE0EEENS1_47radix_sort_onesweep_sort_config_static_selectorELNS0_4arch9wavefront6targetE1EEEvSG_.has_dyn_sized_stack, 0
	.set _ZN7rocprim17ROCPRIM_400000_NS6detail17trampoline_kernelINS0_14default_configENS1_35radix_sort_onesweep_config_selectorIisEEZZNS1_29radix_sort_onesweep_iterationIS3_Lb0EN6thrust23THRUST_200600_302600_NS10device_ptrIiEESA_NS9_IsEESB_jNS0_19identity_decomposerENS1_16block_id_wrapperIjLb0EEEEE10hipError_tT1_PNSt15iterator_traitsISG_E10value_typeET2_T3_PNSH_ISM_E10value_typeET4_T5_PSR_SS_PNS1_23onesweep_lookback_stateEbbT6_jjT7_P12ihipStream_tbENKUlT_T0_SG_SL_E_clISA_PiSB_PsEEDaSZ_S10_SG_SL_EUlSZ_E_NS1_11comp_targetILNS1_3genE9ELNS1_11target_archE1100ELNS1_3gpuE3ELNS1_3repE0EEENS1_47radix_sort_onesweep_sort_config_static_selectorELNS0_4arch9wavefront6targetE1EEEvSG_.has_recursion, 0
	.set _ZN7rocprim17ROCPRIM_400000_NS6detail17trampoline_kernelINS0_14default_configENS1_35radix_sort_onesweep_config_selectorIisEEZZNS1_29radix_sort_onesweep_iterationIS3_Lb0EN6thrust23THRUST_200600_302600_NS10device_ptrIiEESA_NS9_IsEESB_jNS0_19identity_decomposerENS1_16block_id_wrapperIjLb0EEEEE10hipError_tT1_PNSt15iterator_traitsISG_E10value_typeET2_T3_PNSH_ISM_E10value_typeET4_T5_PSR_SS_PNS1_23onesweep_lookback_stateEbbT6_jjT7_P12ihipStream_tbENKUlT_T0_SG_SL_E_clISA_PiSB_PsEEDaSZ_S10_SG_SL_EUlSZ_E_NS1_11comp_targetILNS1_3genE9ELNS1_11target_archE1100ELNS1_3gpuE3ELNS1_3repE0EEENS1_47radix_sort_onesweep_sort_config_static_selectorELNS0_4arch9wavefront6targetE1EEEvSG_.has_indirect_call, 0
	.section	.AMDGPU.csdata,"",@progbits
; Kernel info:
; codeLenInByte = 0
; TotalNumSgprs: 6
; NumVgprs: 0
; NumAgprs: 0
; TotalNumVgprs: 0
; ScratchSize: 0
; MemoryBound: 0
; FloatMode: 240
; IeeeMode: 1
; LDSByteSize: 0 bytes/workgroup (compile time only)
; SGPRBlocks: 0
; VGPRBlocks: 0
; NumSGPRsForWavesPerEU: 6
; NumVGPRsForWavesPerEU: 1
; AccumOffset: 4
; Occupancy: 8
; WaveLimiterHint : 0
; COMPUTE_PGM_RSRC2:SCRATCH_EN: 0
; COMPUTE_PGM_RSRC2:USER_SGPR: 2
; COMPUTE_PGM_RSRC2:TRAP_HANDLER: 0
; COMPUTE_PGM_RSRC2:TGID_X_EN: 1
; COMPUTE_PGM_RSRC2:TGID_Y_EN: 0
; COMPUTE_PGM_RSRC2:TGID_Z_EN: 0
; COMPUTE_PGM_RSRC2:TIDIG_COMP_CNT: 0
; COMPUTE_PGM_RSRC3_GFX90A:ACCUM_OFFSET: 0
; COMPUTE_PGM_RSRC3_GFX90A:TG_SPLIT: 0
	.section	.text._ZN7rocprim17ROCPRIM_400000_NS6detail17trampoline_kernelINS0_14default_configENS1_35radix_sort_onesweep_config_selectorIisEEZZNS1_29radix_sort_onesweep_iterationIS3_Lb0EN6thrust23THRUST_200600_302600_NS10device_ptrIiEESA_NS9_IsEESB_jNS0_19identity_decomposerENS1_16block_id_wrapperIjLb0EEEEE10hipError_tT1_PNSt15iterator_traitsISG_E10value_typeET2_T3_PNSH_ISM_E10value_typeET4_T5_PSR_SS_PNS1_23onesweep_lookback_stateEbbT6_jjT7_P12ihipStream_tbENKUlT_T0_SG_SL_E_clISA_PiSB_PsEEDaSZ_S10_SG_SL_EUlSZ_E_NS1_11comp_targetILNS1_3genE8ELNS1_11target_archE1030ELNS1_3gpuE2ELNS1_3repE0EEENS1_47radix_sort_onesweep_sort_config_static_selectorELNS0_4arch9wavefront6targetE1EEEvSG_,"axG",@progbits,_ZN7rocprim17ROCPRIM_400000_NS6detail17trampoline_kernelINS0_14default_configENS1_35radix_sort_onesweep_config_selectorIisEEZZNS1_29radix_sort_onesweep_iterationIS3_Lb0EN6thrust23THRUST_200600_302600_NS10device_ptrIiEESA_NS9_IsEESB_jNS0_19identity_decomposerENS1_16block_id_wrapperIjLb0EEEEE10hipError_tT1_PNSt15iterator_traitsISG_E10value_typeET2_T3_PNSH_ISM_E10value_typeET4_T5_PSR_SS_PNS1_23onesweep_lookback_stateEbbT6_jjT7_P12ihipStream_tbENKUlT_T0_SG_SL_E_clISA_PiSB_PsEEDaSZ_S10_SG_SL_EUlSZ_E_NS1_11comp_targetILNS1_3genE8ELNS1_11target_archE1030ELNS1_3gpuE2ELNS1_3repE0EEENS1_47radix_sort_onesweep_sort_config_static_selectorELNS0_4arch9wavefront6targetE1EEEvSG_,comdat
	.protected	_ZN7rocprim17ROCPRIM_400000_NS6detail17trampoline_kernelINS0_14default_configENS1_35radix_sort_onesweep_config_selectorIisEEZZNS1_29radix_sort_onesweep_iterationIS3_Lb0EN6thrust23THRUST_200600_302600_NS10device_ptrIiEESA_NS9_IsEESB_jNS0_19identity_decomposerENS1_16block_id_wrapperIjLb0EEEEE10hipError_tT1_PNSt15iterator_traitsISG_E10value_typeET2_T3_PNSH_ISM_E10value_typeET4_T5_PSR_SS_PNS1_23onesweep_lookback_stateEbbT6_jjT7_P12ihipStream_tbENKUlT_T0_SG_SL_E_clISA_PiSB_PsEEDaSZ_S10_SG_SL_EUlSZ_E_NS1_11comp_targetILNS1_3genE8ELNS1_11target_archE1030ELNS1_3gpuE2ELNS1_3repE0EEENS1_47radix_sort_onesweep_sort_config_static_selectorELNS0_4arch9wavefront6targetE1EEEvSG_ ; -- Begin function _ZN7rocprim17ROCPRIM_400000_NS6detail17trampoline_kernelINS0_14default_configENS1_35radix_sort_onesweep_config_selectorIisEEZZNS1_29radix_sort_onesweep_iterationIS3_Lb0EN6thrust23THRUST_200600_302600_NS10device_ptrIiEESA_NS9_IsEESB_jNS0_19identity_decomposerENS1_16block_id_wrapperIjLb0EEEEE10hipError_tT1_PNSt15iterator_traitsISG_E10value_typeET2_T3_PNSH_ISM_E10value_typeET4_T5_PSR_SS_PNS1_23onesweep_lookback_stateEbbT6_jjT7_P12ihipStream_tbENKUlT_T0_SG_SL_E_clISA_PiSB_PsEEDaSZ_S10_SG_SL_EUlSZ_E_NS1_11comp_targetILNS1_3genE8ELNS1_11target_archE1030ELNS1_3gpuE2ELNS1_3repE0EEENS1_47radix_sort_onesweep_sort_config_static_selectorELNS0_4arch9wavefront6targetE1EEEvSG_
	.globl	_ZN7rocprim17ROCPRIM_400000_NS6detail17trampoline_kernelINS0_14default_configENS1_35radix_sort_onesweep_config_selectorIisEEZZNS1_29radix_sort_onesweep_iterationIS3_Lb0EN6thrust23THRUST_200600_302600_NS10device_ptrIiEESA_NS9_IsEESB_jNS0_19identity_decomposerENS1_16block_id_wrapperIjLb0EEEEE10hipError_tT1_PNSt15iterator_traitsISG_E10value_typeET2_T3_PNSH_ISM_E10value_typeET4_T5_PSR_SS_PNS1_23onesweep_lookback_stateEbbT6_jjT7_P12ihipStream_tbENKUlT_T0_SG_SL_E_clISA_PiSB_PsEEDaSZ_S10_SG_SL_EUlSZ_E_NS1_11comp_targetILNS1_3genE8ELNS1_11target_archE1030ELNS1_3gpuE2ELNS1_3repE0EEENS1_47radix_sort_onesweep_sort_config_static_selectorELNS0_4arch9wavefront6targetE1EEEvSG_
	.p2align	8
	.type	_ZN7rocprim17ROCPRIM_400000_NS6detail17trampoline_kernelINS0_14default_configENS1_35radix_sort_onesweep_config_selectorIisEEZZNS1_29radix_sort_onesweep_iterationIS3_Lb0EN6thrust23THRUST_200600_302600_NS10device_ptrIiEESA_NS9_IsEESB_jNS0_19identity_decomposerENS1_16block_id_wrapperIjLb0EEEEE10hipError_tT1_PNSt15iterator_traitsISG_E10value_typeET2_T3_PNSH_ISM_E10value_typeET4_T5_PSR_SS_PNS1_23onesweep_lookback_stateEbbT6_jjT7_P12ihipStream_tbENKUlT_T0_SG_SL_E_clISA_PiSB_PsEEDaSZ_S10_SG_SL_EUlSZ_E_NS1_11comp_targetILNS1_3genE8ELNS1_11target_archE1030ELNS1_3gpuE2ELNS1_3repE0EEENS1_47radix_sort_onesweep_sort_config_static_selectorELNS0_4arch9wavefront6targetE1EEEvSG_,@function
_ZN7rocprim17ROCPRIM_400000_NS6detail17trampoline_kernelINS0_14default_configENS1_35radix_sort_onesweep_config_selectorIisEEZZNS1_29radix_sort_onesweep_iterationIS3_Lb0EN6thrust23THRUST_200600_302600_NS10device_ptrIiEESA_NS9_IsEESB_jNS0_19identity_decomposerENS1_16block_id_wrapperIjLb0EEEEE10hipError_tT1_PNSt15iterator_traitsISG_E10value_typeET2_T3_PNSH_ISM_E10value_typeET4_T5_PSR_SS_PNS1_23onesweep_lookback_stateEbbT6_jjT7_P12ihipStream_tbENKUlT_T0_SG_SL_E_clISA_PiSB_PsEEDaSZ_S10_SG_SL_EUlSZ_E_NS1_11comp_targetILNS1_3genE8ELNS1_11target_archE1030ELNS1_3gpuE2ELNS1_3repE0EEENS1_47radix_sort_onesweep_sort_config_static_selectorELNS0_4arch9wavefront6targetE1EEEvSG_: ; @_ZN7rocprim17ROCPRIM_400000_NS6detail17trampoline_kernelINS0_14default_configENS1_35radix_sort_onesweep_config_selectorIisEEZZNS1_29radix_sort_onesweep_iterationIS3_Lb0EN6thrust23THRUST_200600_302600_NS10device_ptrIiEESA_NS9_IsEESB_jNS0_19identity_decomposerENS1_16block_id_wrapperIjLb0EEEEE10hipError_tT1_PNSt15iterator_traitsISG_E10value_typeET2_T3_PNSH_ISM_E10value_typeET4_T5_PSR_SS_PNS1_23onesweep_lookback_stateEbbT6_jjT7_P12ihipStream_tbENKUlT_T0_SG_SL_E_clISA_PiSB_PsEEDaSZ_S10_SG_SL_EUlSZ_E_NS1_11comp_targetILNS1_3genE8ELNS1_11target_archE1030ELNS1_3gpuE2ELNS1_3repE0EEENS1_47radix_sort_onesweep_sort_config_static_selectorELNS0_4arch9wavefront6targetE1EEEvSG_
; %bb.0:
	.section	.rodata,"a",@progbits
	.p2align	6, 0x0
	.amdhsa_kernel _ZN7rocprim17ROCPRIM_400000_NS6detail17trampoline_kernelINS0_14default_configENS1_35radix_sort_onesweep_config_selectorIisEEZZNS1_29radix_sort_onesweep_iterationIS3_Lb0EN6thrust23THRUST_200600_302600_NS10device_ptrIiEESA_NS9_IsEESB_jNS0_19identity_decomposerENS1_16block_id_wrapperIjLb0EEEEE10hipError_tT1_PNSt15iterator_traitsISG_E10value_typeET2_T3_PNSH_ISM_E10value_typeET4_T5_PSR_SS_PNS1_23onesweep_lookback_stateEbbT6_jjT7_P12ihipStream_tbENKUlT_T0_SG_SL_E_clISA_PiSB_PsEEDaSZ_S10_SG_SL_EUlSZ_E_NS1_11comp_targetILNS1_3genE8ELNS1_11target_archE1030ELNS1_3gpuE2ELNS1_3repE0EEENS1_47radix_sort_onesweep_sort_config_static_selectorELNS0_4arch9wavefront6targetE1EEEvSG_
		.amdhsa_group_segment_fixed_size 0
		.amdhsa_private_segment_fixed_size 0
		.amdhsa_kernarg_size 88
		.amdhsa_user_sgpr_count 2
		.amdhsa_user_sgpr_dispatch_ptr 0
		.amdhsa_user_sgpr_queue_ptr 0
		.amdhsa_user_sgpr_kernarg_segment_ptr 1
		.amdhsa_user_sgpr_dispatch_id 0
		.amdhsa_user_sgpr_kernarg_preload_length 0
		.amdhsa_user_sgpr_kernarg_preload_offset 0
		.amdhsa_user_sgpr_private_segment_size 0
		.amdhsa_uses_dynamic_stack 0
		.amdhsa_enable_private_segment 0
		.amdhsa_system_sgpr_workgroup_id_x 1
		.amdhsa_system_sgpr_workgroup_id_y 0
		.amdhsa_system_sgpr_workgroup_id_z 0
		.amdhsa_system_sgpr_workgroup_info 0
		.amdhsa_system_vgpr_workitem_id 0
		.amdhsa_next_free_vgpr 1
		.amdhsa_next_free_sgpr 0
		.amdhsa_accum_offset 4
		.amdhsa_reserve_vcc 0
		.amdhsa_float_round_mode_32 0
		.amdhsa_float_round_mode_16_64 0
		.amdhsa_float_denorm_mode_32 3
		.amdhsa_float_denorm_mode_16_64 3
		.amdhsa_dx10_clamp 1
		.amdhsa_ieee_mode 1
		.amdhsa_fp16_overflow 0
		.amdhsa_tg_split 0
		.amdhsa_exception_fp_ieee_invalid_op 0
		.amdhsa_exception_fp_denorm_src 0
		.amdhsa_exception_fp_ieee_div_zero 0
		.amdhsa_exception_fp_ieee_overflow 0
		.amdhsa_exception_fp_ieee_underflow 0
		.amdhsa_exception_fp_ieee_inexact 0
		.amdhsa_exception_int_div_zero 0
	.end_amdhsa_kernel
	.section	.text._ZN7rocprim17ROCPRIM_400000_NS6detail17trampoline_kernelINS0_14default_configENS1_35radix_sort_onesweep_config_selectorIisEEZZNS1_29radix_sort_onesweep_iterationIS3_Lb0EN6thrust23THRUST_200600_302600_NS10device_ptrIiEESA_NS9_IsEESB_jNS0_19identity_decomposerENS1_16block_id_wrapperIjLb0EEEEE10hipError_tT1_PNSt15iterator_traitsISG_E10value_typeET2_T3_PNSH_ISM_E10value_typeET4_T5_PSR_SS_PNS1_23onesweep_lookback_stateEbbT6_jjT7_P12ihipStream_tbENKUlT_T0_SG_SL_E_clISA_PiSB_PsEEDaSZ_S10_SG_SL_EUlSZ_E_NS1_11comp_targetILNS1_3genE8ELNS1_11target_archE1030ELNS1_3gpuE2ELNS1_3repE0EEENS1_47radix_sort_onesweep_sort_config_static_selectorELNS0_4arch9wavefront6targetE1EEEvSG_,"axG",@progbits,_ZN7rocprim17ROCPRIM_400000_NS6detail17trampoline_kernelINS0_14default_configENS1_35radix_sort_onesweep_config_selectorIisEEZZNS1_29radix_sort_onesweep_iterationIS3_Lb0EN6thrust23THRUST_200600_302600_NS10device_ptrIiEESA_NS9_IsEESB_jNS0_19identity_decomposerENS1_16block_id_wrapperIjLb0EEEEE10hipError_tT1_PNSt15iterator_traitsISG_E10value_typeET2_T3_PNSH_ISM_E10value_typeET4_T5_PSR_SS_PNS1_23onesweep_lookback_stateEbbT6_jjT7_P12ihipStream_tbENKUlT_T0_SG_SL_E_clISA_PiSB_PsEEDaSZ_S10_SG_SL_EUlSZ_E_NS1_11comp_targetILNS1_3genE8ELNS1_11target_archE1030ELNS1_3gpuE2ELNS1_3repE0EEENS1_47radix_sort_onesweep_sort_config_static_selectorELNS0_4arch9wavefront6targetE1EEEvSG_,comdat
.Lfunc_end2484:
	.size	_ZN7rocprim17ROCPRIM_400000_NS6detail17trampoline_kernelINS0_14default_configENS1_35radix_sort_onesweep_config_selectorIisEEZZNS1_29radix_sort_onesweep_iterationIS3_Lb0EN6thrust23THRUST_200600_302600_NS10device_ptrIiEESA_NS9_IsEESB_jNS0_19identity_decomposerENS1_16block_id_wrapperIjLb0EEEEE10hipError_tT1_PNSt15iterator_traitsISG_E10value_typeET2_T3_PNSH_ISM_E10value_typeET4_T5_PSR_SS_PNS1_23onesweep_lookback_stateEbbT6_jjT7_P12ihipStream_tbENKUlT_T0_SG_SL_E_clISA_PiSB_PsEEDaSZ_S10_SG_SL_EUlSZ_E_NS1_11comp_targetILNS1_3genE8ELNS1_11target_archE1030ELNS1_3gpuE2ELNS1_3repE0EEENS1_47radix_sort_onesweep_sort_config_static_selectorELNS0_4arch9wavefront6targetE1EEEvSG_, .Lfunc_end2484-_ZN7rocprim17ROCPRIM_400000_NS6detail17trampoline_kernelINS0_14default_configENS1_35radix_sort_onesweep_config_selectorIisEEZZNS1_29radix_sort_onesweep_iterationIS3_Lb0EN6thrust23THRUST_200600_302600_NS10device_ptrIiEESA_NS9_IsEESB_jNS0_19identity_decomposerENS1_16block_id_wrapperIjLb0EEEEE10hipError_tT1_PNSt15iterator_traitsISG_E10value_typeET2_T3_PNSH_ISM_E10value_typeET4_T5_PSR_SS_PNS1_23onesweep_lookback_stateEbbT6_jjT7_P12ihipStream_tbENKUlT_T0_SG_SL_E_clISA_PiSB_PsEEDaSZ_S10_SG_SL_EUlSZ_E_NS1_11comp_targetILNS1_3genE8ELNS1_11target_archE1030ELNS1_3gpuE2ELNS1_3repE0EEENS1_47radix_sort_onesweep_sort_config_static_selectorELNS0_4arch9wavefront6targetE1EEEvSG_
                                        ; -- End function
	.set _ZN7rocprim17ROCPRIM_400000_NS6detail17trampoline_kernelINS0_14default_configENS1_35radix_sort_onesweep_config_selectorIisEEZZNS1_29radix_sort_onesweep_iterationIS3_Lb0EN6thrust23THRUST_200600_302600_NS10device_ptrIiEESA_NS9_IsEESB_jNS0_19identity_decomposerENS1_16block_id_wrapperIjLb0EEEEE10hipError_tT1_PNSt15iterator_traitsISG_E10value_typeET2_T3_PNSH_ISM_E10value_typeET4_T5_PSR_SS_PNS1_23onesweep_lookback_stateEbbT6_jjT7_P12ihipStream_tbENKUlT_T0_SG_SL_E_clISA_PiSB_PsEEDaSZ_S10_SG_SL_EUlSZ_E_NS1_11comp_targetILNS1_3genE8ELNS1_11target_archE1030ELNS1_3gpuE2ELNS1_3repE0EEENS1_47radix_sort_onesweep_sort_config_static_selectorELNS0_4arch9wavefront6targetE1EEEvSG_.num_vgpr, 0
	.set _ZN7rocprim17ROCPRIM_400000_NS6detail17trampoline_kernelINS0_14default_configENS1_35radix_sort_onesweep_config_selectorIisEEZZNS1_29radix_sort_onesweep_iterationIS3_Lb0EN6thrust23THRUST_200600_302600_NS10device_ptrIiEESA_NS9_IsEESB_jNS0_19identity_decomposerENS1_16block_id_wrapperIjLb0EEEEE10hipError_tT1_PNSt15iterator_traitsISG_E10value_typeET2_T3_PNSH_ISM_E10value_typeET4_T5_PSR_SS_PNS1_23onesweep_lookback_stateEbbT6_jjT7_P12ihipStream_tbENKUlT_T0_SG_SL_E_clISA_PiSB_PsEEDaSZ_S10_SG_SL_EUlSZ_E_NS1_11comp_targetILNS1_3genE8ELNS1_11target_archE1030ELNS1_3gpuE2ELNS1_3repE0EEENS1_47radix_sort_onesweep_sort_config_static_selectorELNS0_4arch9wavefront6targetE1EEEvSG_.num_agpr, 0
	.set _ZN7rocprim17ROCPRIM_400000_NS6detail17trampoline_kernelINS0_14default_configENS1_35radix_sort_onesweep_config_selectorIisEEZZNS1_29radix_sort_onesweep_iterationIS3_Lb0EN6thrust23THRUST_200600_302600_NS10device_ptrIiEESA_NS9_IsEESB_jNS0_19identity_decomposerENS1_16block_id_wrapperIjLb0EEEEE10hipError_tT1_PNSt15iterator_traitsISG_E10value_typeET2_T3_PNSH_ISM_E10value_typeET4_T5_PSR_SS_PNS1_23onesweep_lookback_stateEbbT6_jjT7_P12ihipStream_tbENKUlT_T0_SG_SL_E_clISA_PiSB_PsEEDaSZ_S10_SG_SL_EUlSZ_E_NS1_11comp_targetILNS1_3genE8ELNS1_11target_archE1030ELNS1_3gpuE2ELNS1_3repE0EEENS1_47radix_sort_onesweep_sort_config_static_selectorELNS0_4arch9wavefront6targetE1EEEvSG_.numbered_sgpr, 0
	.set _ZN7rocprim17ROCPRIM_400000_NS6detail17trampoline_kernelINS0_14default_configENS1_35radix_sort_onesweep_config_selectorIisEEZZNS1_29radix_sort_onesweep_iterationIS3_Lb0EN6thrust23THRUST_200600_302600_NS10device_ptrIiEESA_NS9_IsEESB_jNS0_19identity_decomposerENS1_16block_id_wrapperIjLb0EEEEE10hipError_tT1_PNSt15iterator_traitsISG_E10value_typeET2_T3_PNSH_ISM_E10value_typeET4_T5_PSR_SS_PNS1_23onesweep_lookback_stateEbbT6_jjT7_P12ihipStream_tbENKUlT_T0_SG_SL_E_clISA_PiSB_PsEEDaSZ_S10_SG_SL_EUlSZ_E_NS1_11comp_targetILNS1_3genE8ELNS1_11target_archE1030ELNS1_3gpuE2ELNS1_3repE0EEENS1_47radix_sort_onesweep_sort_config_static_selectorELNS0_4arch9wavefront6targetE1EEEvSG_.num_named_barrier, 0
	.set _ZN7rocprim17ROCPRIM_400000_NS6detail17trampoline_kernelINS0_14default_configENS1_35radix_sort_onesweep_config_selectorIisEEZZNS1_29radix_sort_onesweep_iterationIS3_Lb0EN6thrust23THRUST_200600_302600_NS10device_ptrIiEESA_NS9_IsEESB_jNS0_19identity_decomposerENS1_16block_id_wrapperIjLb0EEEEE10hipError_tT1_PNSt15iterator_traitsISG_E10value_typeET2_T3_PNSH_ISM_E10value_typeET4_T5_PSR_SS_PNS1_23onesweep_lookback_stateEbbT6_jjT7_P12ihipStream_tbENKUlT_T0_SG_SL_E_clISA_PiSB_PsEEDaSZ_S10_SG_SL_EUlSZ_E_NS1_11comp_targetILNS1_3genE8ELNS1_11target_archE1030ELNS1_3gpuE2ELNS1_3repE0EEENS1_47radix_sort_onesweep_sort_config_static_selectorELNS0_4arch9wavefront6targetE1EEEvSG_.private_seg_size, 0
	.set _ZN7rocprim17ROCPRIM_400000_NS6detail17trampoline_kernelINS0_14default_configENS1_35radix_sort_onesweep_config_selectorIisEEZZNS1_29radix_sort_onesweep_iterationIS3_Lb0EN6thrust23THRUST_200600_302600_NS10device_ptrIiEESA_NS9_IsEESB_jNS0_19identity_decomposerENS1_16block_id_wrapperIjLb0EEEEE10hipError_tT1_PNSt15iterator_traitsISG_E10value_typeET2_T3_PNSH_ISM_E10value_typeET4_T5_PSR_SS_PNS1_23onesweep_lookback_stateEbbT6_jjT7_P12ihipStream_tbENKUlT_T0_SG_SL_E_clISA_PiSB_PsEEDaSZ_S10_SG_SL_EUlSZ_E_NS1_11comp_targetILNS1_3genE8ELNS1_11target_archE1030ELNS1_3gpuE2ELNS1_3repE0EEENS1_47radix_sort_onesweep_sort_config_static_selectorELNS0_4arch9wavefront6targetE1EEEvSG_.uses_vcc, 0
	.set _ZN7rocprim17ROCPRIM_400000_NS6detail17trampoline_kernelINS0_14default_configENS1_35radix_sort_onesweep_config_selectorIisEEZZNS1_29radix_sort_onesweep_iterationIS3_Lb0EN6thrust23THRUST_200600_302600_NS10device_ptrIiEESA_NS9_IsEESB_jNS0_19identity_decomposerENS1_16block_id_wrapperIjLb0EEEEE10hipError_tT1_PNSt15iterator_traitsISG_E10value_typeET2_T3_PNSH_ISM_E10value_typeET4_T5_PSR_SS_PNS1_23onesweep_lookback_stateEbbT6_jjT7_P12ihipStream_tbENKUlT_T0_SG_SL_E_clISA_PiSB_PsEEDaSZ_S10_SG_SL_EUlSZ_E_NS1_11comp_targetILNS1_3genE8ELNS1_11target_archE1030ELNS1_3gpuE2ELNS1_3repE0EEENS1_47radix_sort_onesweep_sort_config_static_selectorELNS0_4arch9wavefront6targetE1EEEvSG_.uses_flat_scratch, 0
	.set _ZN7rocprim17ROCPRIM_400000_NS6detail17trampoline_kernelINS0_14default_configENS1_35radix_sort_onesweep_config_selectorIisEEZZNS1_29radix_sort_onesweep_iterationIS3_Lb0EN6thrust23THRUST_200600_302600_NS10device_ptrIiEESA_NS9_IsEESB_jNS0_19identity_decomposerENS1_16block_id_wrapperIjLb0EEEEE10hipError_tT1_PNSt15iterator_traitsISG_E10value_typeET2_T3_PNSH_ISM_E10value_typeET4_T5_PSR_SS_PNS1_23onesweep_lookback_stateEbbT6_jjT7_P12ihipStream_tbENKUlT_T0_SG_SL_E_clISA_PiSB_PsEEDaSZ_S10_SG_SL_EUlSZ_E_NS1_11comp_targetILNS1_3genE8ELNS1_11target_archE1030ELNS1_3gpuE2ELNS1_3repE0EEENS1_47radix_sort_onesweep_sort_config_static_selectorELNS0_4arch9wavefront6targetE1EEEvSG_.has_dyn_sized_stack, 0
	.set _ZN7rocprim17ROCPRIM_400000_NS6detail17trampoline_kernelINS0_14default_configENS1_35radix_sort_onesweep_config_selectorIisEEZZNS1_29radix_sort_onesweep_iterationIS3_Lb0EN6thrust23THRUST_200600_302600_NS10device_ptrIiEESA_NS9_IsEESB_jNS0_19identity_decomposerENS1_16block_id_wrapperIjLb0EEEEE10hipError_tT1_PNSt15iterator_traitsISG_E10value_typeET2_T3_PNSH_ISM_E10value_typeET4_T5_PSR_SS_PNS1_23onesweep_lookback_stateEbbT6_jjT7_P12ihipStream_tbENKUlT_T0_SG_SL_E_clISA_PiSB_PsEEDaSZ_S10_SG_SL_EUlSZ_E_NS1_11comp_targetILNS1_3genE8ELNS1_11target_archE1030ELNS1_3gpuE2ELNS1_3repE0EEENS1_47radix_sort_onesweep_sort_config_static_selectorELNS0_4arch9wavefront6targetE1EEEvSG_.has_recursion, 0
	.set _ZN7rocprim17ROCPRIM_400000_NS6detail17trampoline_kernelINS0_14default_configENS1_35radix_sort_onesweep_config_selectorIisEEZZNS1_29radix_sort_onesweep_iterationIS3_Lb0EN6thrust23THRUST_200600_302600_NS10device_ptrIiEESA_NS9_IsEESB_jNS0_19identity_decomposerENS1_16block_id_wrapperIjLb0EEEEE10hipError_tT1_PNSt15iterator_traitsISG_E10value_typeET2_T3_PNSH_ISM_E10value_typeET4_T5_PSR_SS_PNS1_23onesweep_lookback_stateEbbT6_jjT7_P12ihipStream_tbENKUlT_T0_SG_SL_E_clISA_PiSB_PsEEDaSZ_S10_SG_SL_EUlSZ_E_NS1_11comp_targetILNS1_3genE8ELNS1_11target_archE1030ELNS1_3gpuE2ELNS1_3repE0EEENS1_47radix_sort_onesweep_sort_config_static_selectorELNS0_4arch9wavefront6targetE1EEEvSG_.has_indirect_call, 0
	.section	.AMDGPU.csdata,"",@progbits
; Kernel info:
; codeLenInByte = 0
; TotalNumSgprs: 6
; NumVgprs: 0
; NumAgprs: 0
; TotalNumVgprs: 0
; ScratchSize: 0
; MemoryBound: 0
; FloatMode: 240
; IeeeMode: 1
; LDSByteSize: 0 bytes/workgroup (compile time only)
; SGPRBlocks: 0
; VGPRBlocks: 0
; NumSGPRsForWavesPerEU: 6
; NumVGPRsForWavesPerEU: 1
; AccumOffset: 4
; Occupancy: 8
; WaveLimiterHint : 0
; COMPUTE_PGM_RSRC2:SCRATCH_EN: 0
; COMPUTE_PGM_RSRC2:USER_SGPR: 2
; COMPUTE_PGM_RSRC2:TRAP_HANDLER: 0
; COMPUTE_PGM_RSRC2:TGID_X_EN: 1
; COMPUTE_PGM_RSRC2:TGID_Y_EN: 0
; COMPUTE_PGM_RSRC2:TGID_Z_EN: 0
; COMPUTE_PGM_RSRC2:TIDIG_COMP_CNT: 0
; COMPUTE_PGM_RSRC3_GFX90A:ACCUM_OFFSET: 0
; COMPUTE_PGM_RSRC3_GFX90A:TG_SPLIT: 0
	.section	.text._ZN7rocprim17ROCPRIM_400000_NS6detail17trampoline_kernelINS0_14default_configENS1_35radix_sort_onesweep_config_selectorIisEEZZNS1_29radix_sort_onesweep_iterationIS3_Lb0EN6thrust23THRUST_200600_302600_NS10device_ptrIiEESA_NS9_IsEESB_jNS0_19identity_decomposerENS1_16block_id_wrapperIjLb0EEEEE10hipError_tT1_PNSt15iterator_traitsISG_E10value_typeET2_T3_PNSH_ISM_E10value_typeET4_T5_PSR_SS_PNS1_23onesweep_lookback_stateEbbT6_jjT7_P12ihipStream_tbENKUlT_T0_SG_SL_E_clIPiSA_PsSB_EEDaSZ_S10_SG_SL_EUlSZ_E_NS1_11comp_targetILNS1_3genE0ELNS1_11target_archE4294967295ELNS1_3gpuE0ELNS1_3repE0EEENS1_47radix_sort_onesweep_sort_config_static_selectorELNS0_4arch9wavefront6targetE1EEEvSG_,"axG",@progbits,_ZN7rocprim17ROCPRIM_400000_NS6detail17trampoline_kernelINS0_14default_configENS1_35radix_sort_onesweep_config_selectorIisEEZZNS1_29radix_sort_onesweep_iterationIS3_Lb0EN6thrust23THRUST_200600_302600_NS10device_ptrIiEESA_NS9_IsEESB_jNS0_19identity_decomposerENS1_16block_id_wrapperIjLb0EEEEE10hipError_tT1_PNSt15iterator_traitsISG_E10value_typeET2_T3_PNSH_ISM_E10value_typeET4_T5_PSR_SS_PNS1_23onesweep_lookback_stateEbbT6_jjT7_P12ihipStream_tbENKUlT_T0_SG_SL_E_clIPiSA_PsSB_EEDaSZ_S10_SG_SL_EUlSZ_E_NS1_11comp_targetILNS1_3genE0ELNS1_11target_archE4294967295ELNS1_3gpuE0ELNS1_3repE0EEENS1_47radix_sort_onesweep_sort_config_static_selectorELNS0_4arch9wavefront6targetE1EEEvSG_,comdat
	.protected	_ZN7rocprim17ROCPRIM_400000_NS6detail17trampoline_kernelINS0_14default_configENS1_35radix_sort_onesweep_config_selectorIisEEZZNS1_29radix_sort_onesweep_iterationIS3_Lb0EN6thrust23THRUST_200600_302600_NS10device_ptrIiEESA_NS9_IsEESB_jNS0_19identity_decomposerENS1_16block_id_wrapperIjLb0EEEEE10hipError_tT1_PNSt15iterator_traitsISG_E10value_typeET2_T3_PNSH_ISM_E10value_typeET4_T5_PSR_SS_PNS1_23onesweep_lookback_stateEbbT6_jjT7_P12ihipStream_tbENKUlT_T0_SG_SL_E_clIPiSA_PsSB_EEDaSZ_S10_SG_SL_EUlSZ_E_NS1_11comp_targetILNS1_3genE0ELNS1_11target_archE4294967295ELNS1_3gpuE0ELNS1_3repE0EEENS1_47radix_sort_onesweep_sort_config_static_selectorELNS0_4arch9wavefront6targetE1EEEvSG_ ; -- Begin function _ZN7rocprim17ROCPRIM_400000_NS6detail17trampoline_kernelINS0_14default_configENS1_35radix_sort_onesweep_config_selectorIisEEZZNS1_29radix_sort_onesweep_iterationIS3_Lb0EN6thrust23THRUST_200600_302600_NS10device_ptrIiEESA_NS9_IsEESB_jNS0_19identity_decomposerENS1_16block_id_wrapperIjLb0EEEEE10hipError_tT1_PNSt15iterator_traitsISG_E10value_typeET2_T3_PNSH_ISM_E10value_typeET4_T5_PSR_SS_PNS1_23onesweep_lookback_stateEbbT6_jjT7_P12ihipStream_tbENKUlT_T0_SG_SL_E_clIPiSA_PsSB_EEDaSZ_S10_SG_SL_EUlSZ_E_NS1_11comp_targetILNS1_3genE0ELNS1_11target_archE4294967295ELNS1_3gpuE0ELNS1_3repE0EEENS1_47radix_sort_onesweep_sort_config_static_selectorELNS0_4arch9wavefront6targetE1EEEvSG_
	.globl	_ZN7rocprim17ROCPRIM_400000_NS6detail17trampoline_kernelINS0_14default_configENS1_35radix_sort_onesweep_config_selectorIisEEZZNS1_29radix_sort_onesweep_iterationIS3_Lb0EN6thrust23THRUST_200600_302600_NS10device_ptrIiEESA_NS9_IsEESB_jNS0_19identity_decomposerENS1_16block_id_wrapperIjLb0EEEEE10hipError_tT1_PNSt15iterator_traitsISG_E10value_typeET2_T3_PNSH_ISM_E10value_typeET4_T5_PSR_SS_PNS1_23onesweep_lookback_stateEbbT6_jjT7_P12ihipStream_tbENKUlT_T0_SG_SL_E_clIPiSA_PsSB_EEDaSZ_S10_SG_SL_EUlSZ_E_NS1_11comp_targetILNS1_3genE0ELNS1_11target_archE4294967295ELNS1_3gpuE0ELNS1_3repE0EEENS1_47radix_sort_onesweep_sort_config_static_selectorELNS0_4arch9wavefront6targetE1EEEvSG_
	.p2align	8
	.type	_ZN7rocprim17ROCPRIM_400000_NS6detail17trampoline_kernelINS0_14default_configENS1_35radix_sort_onesweep_config_selectorIisEEZZNS1_29radix_sort_onesweep_iterationIS3_Lb0EN6thrust23THRUST_200600_302600_NS10device_ptrIiEESA_NS9_IsEESB_jNS0_19identity_decomposerENS1_16block_id_wrapperIjLb0EEEEE10hipError_tT1_PNSt15iterator_traitsISG_E10value_typeET2_T3_PNSH_ISM_E10value_typeET4_T5_PSR_SS_PNS1_23onesweep_lookback_stateEbbT6_jjT7_P12ihipStream_tbENKUlT_T0_SG_SL_E_clIPiSA_PsSB_EEDaSZ_S10_SG_SL_EUlSZ_E_NS1_11comp_targetILNS1_3genE0ELNS1_11target_archE4294967295ELNS1_3gpuE0ELNS1_3repE0EEENS1_47radix_sort_onesweep_sort_config_static_selectorELNS0_4arch9wavefront6targetE1EEEvSG_,@function
_ZN7rocprim17ROCPRIM_400000_NS6detail17trampoline_kernelINS0_14default_configENS1_35radix_sort_onesweep_config_selectorIisEEZZNS1_29radix_sort_onesweep_iterationIS3_Lb0EN6thrust23THRUST_200600_302600_NS10device_ptrIiEESA_NS9_IsEESB_jNS0_19identity_decomposerENS1_16block_id_wrapperIjLb0EEEEE10hipError_tT1_PNSt15iterator_traitsISG_E10value_typeET2_T3_PNSH_ISM_E10value_typeET4_T5_PSR_SS_PNS1_23onesweep_lookback_stateEbbT6_jjT7_P12ihipStream_tbENKUlT_T0_SG_SL_E_clIPiSA_PsSB_EEDaSZ_S10_SG_SL_EUlSZ_E_NS1_11comp_targetILNS1_3genE0ELNS1_11target_archE4294967295ELNS1_3gpuE0ELNS1_3repE0EEENS1_47radix_sort_onesweep_sort_config_static_selectorELNS0_4arch9wavefront6targetE1EEEvSG_: ; @_ZN7rocprim17ROCPRIM_400000_NS6detail17trampoline_kernelINS0_14default_configENS1_35radix_sort_onesweep_config_selectorIisEEZZNS1_29radix_sort_onesweep_iterationIS3_Lb0EN6thrust23THRUST_200600_302600_NS10device_ptrIiEESA_NS9_IsEESB_jNS0_19identity_decomposerENS1_16block_id_wrapperIjLb0EEEEE10hipError_tT1_PNSt15iterator_traitsISG_E10value_typeET2_T3_PNSH_ISM_E10value_typeET4_T5_PSR_SS_PNS1_23onesweep_lookback_stateEbbT6_jjT7_P12ihipStream_tbENKUlT_T0_SG_SL_E_clIPiSA_PsSB_EEDaSZ_S10_SG_SL_EUlSZ_E_NS1_11comp_targetILNS1_3genE0ELNS1_11target_archE4294967295ELNS1_3gpuE0ELNS1_3repE0EEENS1_47radix_sort_onesweep_sort_config_static_selectorELNS0_4arch9wavefront6targetE1EEEvSG_
; %bb.0:
	.section	.rodata,"a",@progbits
	.p2align	6, 0x0
	.amdhsa_kernel _ZN7rocprim17ROCPRIM_400000_NS6detail17trampoline_kernelINS0_14default_configENS1_35radix_sort_onesweep_config_selectorIisEEZZNS1_29radix_sort_onesweep_iterationIS3_Lb0EN6thrust23THRUST_200600_302600_NS10device_ptrIiEESA_NS9_IsEESB_jNS0_19identity_decomposerENS1_16block_id_wrapperIjLb0EEEEE10hipError_tT1_PNSt15iterator_traitsISG_E10value_typeET2_T3_PNSH_ISM_E10value_typeET4_T5_PSR_SS_PNS1_23onesweep_lookback_stateEbbT6_jjT7_P12ihipStream_tbENKUlT_T0_SG_SL_E_clIPiSA_PsSB_EEDaSZ_S10_SG_SL_EUlSZ_E_NS1_11comp_targetILNS1_3genE0ELNS1_11target_archE4294967295ELNS1_3gpuE0ELNS1_3repE0EEENS1_47radix_sort_onesweep_sort_config_static_selectorELNS0_4arch9wavefront6targetE1EEEvSG_
		.amdhsa_group_segment_fixed_size 0
		.amdhsa_private_segment_fixed_size 0
		.amdhsa_kernarg_size 88
		.amdhsa_user_sgpr_count 2
		.amdhsa_user_sgpr_dispatch_ptr 0
		.amdhsa_user_sgpr_queue_ptr 0
		.amdhsa_user_sgpr_kernarg_segment_ptr 1
		.amdhsa_user_sgpr_dispatch_id 0
		.amdhsa_user_sgpr_kernarg_preload_length 0
		.amdhsa_user_sgpr_kernarg_preload_offset 0
		.amdhsa_user_sgpr_private_segment_size 0
		.amdhsa_uses_dynamic_stack 0
		.amdhsa_enable_private_segment 0
		.amdhsa_system_sgpr_workgroup_id_x 1
		.amdhsa_system_sgpr_workgroup_id_y 0
		.amdhsa_system_sgpr_workgroup_id_z 0
		.amdhsa_system_sgpr_workgroup_info 0
		.amdhsa_system_vgpr_workitem_id 0
		.amdhsa_next_free_vgpr 1
		.amdhsa_next_free_sgpr 0
		.amdhsa_accum_offset 4
		.amdhsa_reserve_vcc 0
		.amdhsa_float_round_mode_32 0
		.amdhsa_float_round_mode_16_64 0
		.amdhsa_float_denorm_mode_32 3
		.amdhsa_float_denorm_mode_16_64 3
		.amdhsa_dx10_clamp 1
		.amdhsa_ieee_mode 1
		.amdhsa_fp16_overflow 0
		.amdhsa_tg_split 0
		.amdhsa_exception_fp_ieee_invalid_op 0
		.amdhsa_exception_fp_denorm_src 0
		.amdhsa_exception_fp_ieee_div_zero 0
		.amdhsa_exception_fp_ieee_overflow 0
		.amdhsa_exception_fp_ieee_underflow 0
		.amdhsa_exception_fp_ieee_inexact 0
		.amdhsa_exception_int_div_zero 0
	.end_amdhsa_kernel
	.section	.text._ZN7rocprim17ROCPRIM_400000_NS6detail17trampoline_kernelINS0_14default_configENS1_35radix_sort_onesweep_config_selectorIisEEZZNS1_29radix_sort_onesweep_iterationIS3_Lb0EN6thrust23THRUST_200600_302600_NS10device_ptrIiEESA_NS9_IsEESB_jNS0_19identity_decomposerENS1_16block_id_wrapperIjLb0EEEEE10hipError_tT1_PNSt15iterator_traitsISG_E10value_typeET2_T3_PNSH_ISM_E10value_typeET4_T5_PSR_SS_PNS1_23onesweep_lookback_stateEbbT6_jjT7_P12ihipStream_tbENKUlT_T0_SG_SL_E_clIPiSA_PsSB_EEDaSZ_S10_SG_SL_EUlSZ_E_NS1_11comp_targetILNS1_3genE0ELNS1_11target_archE4294967295ELNS1_3gpuE0ELNS1_3repE0EEENS1_47radix_sort_onesweep_sort_config_static_selectorELNS0_4arch9wavefront6targetE1EEEvSG_,"axG",@progbits,_ZN7rocprim17ROCPRIM_400000_NS6detail17trampoline_kernelINS0_14default_configENS1_35radix_sort_onesweep_config_selectorIisEEZZNS1_29radix_sort_onesweep_iterationIS3_Lb0EN6thrust23THRUST_200600_302600_NS10device_ptrIiEESA_NS9_IsEESB_jNS0_19identity_decomposerENS1_16block_id_wrapperIjLb0EEEEE10hipError_tT1_PNSt15iterator_traitsISG_E10value_typeET2_T3_PNSH_ISM_E10value_typeET4_T5_PSR_SS_PNS1_23onesweep_lookback_stateEbbT6_jjT7_P12ihipStream_tbENKUlT_T0_SG_SL_E_clIPiSA_PsSB_EEDaSZ_S10_SG_SL_EUlSZ_E_NS1_11comp_targetILNS1_3genE0ELNS1_11target_archE4294967295ELNS1_3gpuE0ELNS1_3repE0EEENS1_47radix_sort_onesweep_sort_config_static_selectorELNS0_4arch9wavefront6targetE1EEEvSG_,comdat
.Lfunc_end2485:
	.size	_ZN7rocprim17ROCPRIM_400000_NS6detail17trampoline_kernelINS0_14default_configENS1_35radix_sort_onesweep_config_selectorIisEEZZNS1_29radix_sort_onesweep_iterationIS3_Lb0EN6thrust23THRUST_200600_302600_NS10device_ptrIiEESA_NS9_IsEESB_jNS0_19identity_decomposerENS1_16block_id_wrapperIjLb0EEEEE10hipError_tT1_PNSt15iterator_traitsISG_E10value_typeET2_T3_PNSH_ISM_E10value_typeET4_T5_PSR_SS_PNS1_23onesweep_lookback_stateEbbT6_jjT7_P12ihipStream_tbENKUlT_T0_SG_SL_E_clIPiSA_PsSB_EEDaSZ_S10_SG_SL_EUlSZ_E_NS1_11comp_targetILNS1_3genE0ELNS1_11target_archE4294967295ELNS1_3gpuE0ELNS1_3repE0EEENS1_47radix_sort_onesweep_sort_config_static_selectorELNS0_4arch9wavefront6targetE1EEEvSG_, .Lfunc_end2485-_ZN7rocprim17ROCPRIM_400000_NS6detail17trampoline_kernelINS0_14default_configENS1_35radix_sort_onesweep_config_selectorIisEEZZNS1_29radix_sort_onesweep_iterationIS3_Lb0EN6thrust23THRUST_200600_302600_NS10device_ptrIiEESA_NS9_IsEESB_jNS0_19identity_decomposerENS1_16block_id_wrapperIjLb0EEEEE10hipError_tT1_PNSt15iterator_traitsISG_E10value_typeET2_T3_PNSH_ISM_E10value_typeET4_T5_PSR_SS_PNS1_23onesweep_lookback_stateEbbT6_jjT7_P12ihipStream_tbENKUlT_T0_SG_SL_E_clIPiSA_PsSB_EEDaSZ_S10_SG_SL_EUlSZ_E_NS1_11comp_targetILNS1_3genE0ELNS1_11target_archE4294967295ELNS1_3gpuE0ELNS1_3repE0EEENS1_47radix_sort_onesweep_sort_config_static_selectorELNS0_4arch9wavefront6targetE1EEEvSG_
                                        ; -- End function
	.set _ZN7rocprim17ROCPRIM_400000_NS6detail17trampoline_kernelINS0_14default_configENS1_35radix_sort_onesweep_config_selectorIisEEZZNS1_29radix_sort_onesweep_iterationIS3_Lb0EN6thrust23THRUST_200600_302600_NS10device_ptrIiEESA_NS9_IsEESB_jNS0_19identity_decomposerENS1_16block_id_wrapperIjLb0EEEEE10hipError_tT1_PNSt15iterator_traitsISG_E10value_typeET2_T3_PNSH_ISM_E10value_typeET4_T5_PSR_SS_PNS1_23onesweep_lookback_stateEbbT6_jjT7_P12ihipStream_tbENKUlT_T0_SG_SL_E_clIPiSA_PsSB_EEDaSZ_S10_SG_SL_EUlSZ_E_NS1_11comp_targetILNS1_3genE0ELNS1_11target_archE4294967295ELNS1_3gpuE0ELNS1_3repE0EEENS1_47radix_sort_onesweep_sort_config_static_selectorELNS0_4arch9wavefront6targetE1EEEvSG_.num_vgpr, 0
	.set _ZN7rocprim17ROCPRIM_400000_NS6detail17trampoline_kernelINS0_14default_configENS1_35radix_sort_onesweep_config_selectorIisEEZZNS1_29radix_sort_onesweep_iterationIS3_Lb0EN6thrust23THRUST_200600_302600_NS10device_ptrIiEESA_NS9_IsEESB_jNS0_19identity_decomposerENS1_16block_id_wrapperIjLb0EEEEE10hipError_tT1_PNSt15iterator_traitsISG_E10value_typeET2_T3_PNSH_ISM_E10value_typeET4_T5_PSR_SS_PNS1_23onesweep_lookback_stateEbbT6_jjT7_P12ihipStream_tbENKUlT_T0_SG_SL_E_clIPiSA_PsSB_EEDaSZ_S10_SG_SL_EUlSZ_E_NS1_11comp_targetILNS1_3genE0ELNS1_11target_archE4294967295ELNS1_3gpuE0ELNS1_3repE0EEENS1_47radix_sort_onesweep_sort_config_static_selectorELNS0_4arch9wavefront6targetE1EEEvSG_.num_agpr, 0
	.set _ZN7rocprim17ROCPRIM_400000_NS6detail17trampoline_kernelINS0_14default_configENS1_35radix_sort_onesweep_config_selectorIisEEZZNS1_29radix_sort_onesweep_iterationIS3_Lb0EN6thrust23THRUST_200600_302600_NS10device_ptrIiEESA_NS9_IsEESB_jNS0_19identity_decomposerENS1_16block_id_wrapperIjLb0EEEEE10hipError_tT1_PNSt15iterator_traitsISG_E10value_typeET2_T3_PNSH_ISM_E10value_typeET4_T5_PSR_SS_PNS1_23onesweep_lookback_stateEbbT6_jjT7_P12ihipStream_tbENKUlT_T0_SG_SL_E_clIPiSA_PsSB_EEDaSZ_S10_SG_SL_EUlSZ_E_NS1_11comp_targetILNS1_3genE0ELNS1_11target_archE4294967295ELNS1_3gpuE0ELNS1_3repE0EEENS1_47radix_sort_onesweep_sort_config_static_selectorELNS0_4arch9wavefront6targetE1EEEvSG_.numbered_sgpr, 0
	.set _ZN7rocprim17ROCPRIM_400000_NS6detail17trampoline_kernelINS0_14default_configENS1_35radix_sort_onesweep_config_selectorIisEEZZNS1_29radix_sort_onesweep_iterationIS3_Lb0EN6thrust23THRUST_200600_302600_NS10device_ptrIiEESA_NS9_IsEESB_jNS0_19identity_decomposerENS1_16block_id_wrapperIjLb0EEEEE10hipError_tT1_PNSt15iterator_traitsISG_E10value_typeET2_T3_PNSH_ISM_E10value_typeET4_T5_PSR_SS_PNS1_23onesweep_lookback_stateEbbT6_jjT7_P12ihipStream_tbENKUlT_T0_SG_SL_E_clIPiSA_PsSB_EEDaSZ_S10_SG_SL_EUlSZ_E_NS1_11comp_targetILNS1_3genE0ELNS1_11target_archE4294967295ELNS1_3gpuE0ELNS1_3repE0EEENS1_47radix_sort_onesweep_sort_config_static_selectorELNS0_4arch9wavefront6targetE1EEEvSG_.num_named_barrier, 0
	.set _ZN7rocprim17ROCPRIM_400000_NS6detail17trampoline_kernelINS0_14default_configENS1_35radix_sort_onesweep_config_selectorIisEEZZNS1_29radix_sort_onesweep_iterationIS3_Lb0EN6thrust23THRUST_200600_302600_NS10device_ptrIiEESA_NS9_IsEESB_jNS0_19identity_decomposerENS1_16block_id_wrapperIjLb0EEEEE10hipError_tT1_PNSt15iterator_traitsISG_E10value_typeET2_T3_PNSH_ISM_E10value_typeET4_T5_PSR_SS_PNS1_23onesweep_lookback_stateEbbT6_jjT7_P12ihipStream_tbENKUlT_T0_SG_SL_E_clIPiSA_PsSB_EEDaSZ_S10_SG_SL_EUlSZ_E_NS1_11comp_targetILNS1_3genE0ELNS1_11target_archE4294967295ELNS1_3gpuE0ELNS1_3repE0EEENS1_47radix_sort_onesweep_sort_config_static_selectorELNS0_4arch9wavefront6targetE1EEEvSG_.private_seg_size, 0
	.set _ZN7rocprim17ROCPRIM_400000_NS6detail17trampoline_kernelINS0_14default_configENS1_35radix_sort_onesweep_config_selectorIisEEZZNS1_29radix_sort_onesweep_iterationIS3_Lb0EN6thrust23THRUST_200600_302600_NS10device_ptrIiEESA_NS9_IsEESB_jNS0_19identity_decomposerENS1_16block_id_wrapperIjLb0EEEEE10hipError_tT1_PNSt15iterator_traitsISG_E10value_typeET2_T3_PNSH_ISM_E10value_typeET4_T5_PSR_SS_PNS1_23onesweep_lookback_stateEbbT6_jjT7_P12ihipStream_tbENKUlT_T0_SG_SL_E_clIPiSA_PsSB_EEDaSZ_S10_SG_SL_EUlSZ_E_NS1_11comp_targetILNS1_3genE0ELNS1_11target_archE4294967295ELNS1_3gpuE0ELNS1_3repE0EEENS1_47radix_sort_onesweep_sort_config_static_selectorELNS0_4arch9wavefront6targetE1EEEvSG_.uses_vcc, 0
	.set _ZN7rocprim17ROCPRIM_400000_NS6detail17trampoline_kernelINS0_14default_configENS1_35radix_sort_onesweep_config_selectorIisEEZZNS1_29radix_sort_onesweep_iterationIS3_Lb0EN6thrust23THRUST_200600_302600_NS10device_ptrIiEESA_NS9_IsEESB_jNS0_19identity_decomposerENS1_16block_id_wrapperIjLb0EEEEE10hipError_tT1_PNSt15iterator_traitsISG_E10value_typeET2_T3_PNSH_ISM_E10value_typeET4_T5_PSR_SS_PNS1_23onesweep_lookback_stateEbbT6_jjT7_P12ihipStream_tbENKUlT_T0_SG_SL_E_clIPiSA_PsSB_EEDaSZ_S10_SG_SL_EUlSZ_E_NS1_11comp_targetILNS1_3genE0ELNS1_11target_archE4294967295ELNS1_3gpuE0ELNS1_3repE0EEENS1_47radix_sort_onesweep_sort_config_static_selectorELNS0_4arch9wavefront6targetE1EEEvSG_.uses_flat_scratch, 0
	.set _ZN7rocprim17ROCPRIM_400000_NS6detail17trampoline_kernelINS0_14default_configENS1_35radix_sort_onesweep_config_selectorIisEEZZNS1_29radix_sort_onesweep_iterationIS3_Lb0EN6thrust23THRUST_200600_302600_NS10device_ptrIiEESA_NS9_IsEESB_jNS0_19identity_decomposerENS1_16block_id_wrapperIjLb0EEEEE10hipError_tT1_PNSt15iterator_traitsISG_E10value_typeET2_T3_PNSH_ISM_E10value_typeET4_T5_PSR_SS_PNS1_23onesweep_lookback_stateEbbT6_jjT7_P12ihipStream_tbENKUlT_T0_SG_SL_E_clIPiSA_PsSB_EEDaSZ_S10_SG_SL_EUlSZ_E_NS1_11comp_targetILNS1_3genE0ELNS1_11target_archE4294967295ELNS1_3gpuE0ELNS1_3repE0EEENS1_47radix_sort_onesweep_sort_config_static_selectorELNS0_4arch9wavefront6targetE1EEEvSG_.has_dyn_sized_stack, 0
	.set _ZN7rocprim17ROCPRIM_400000_NS6detail17trampoline_kernelINS0_14default_configENS1_35radix_sort_onesweep_config_selectorIisEEZZNS1_29radix_sort_onesweep_iterationIS3_Lb0EN6thrust23THRUST_200600_302600_NS10device_ptrIiEESA_NS9_IsEESB_jNS0_19identity_decomposerENS1_16block_id_wrapperIjLb0EEEEE10hipError_tT1_PNSt15iterator_traitsISG_E10value_typeET2_T3_PNSH_ISM_E10value_typeET4_T5_PSR_SS_PNS1_23onesweep_lookback_stateEbbT6_jjT7_P12ihipStream_tbENKUlT_T0_SG_SL_E_clIPiSA_PsSB_EEDaSZ_S10_SG_SL_EUlSZ_E_NS1_11comp_targetILNS1_3genE0ELNS1_11target_archE4294967295ELNS1_3gpuE0ELNS1_3repE0EEENS1_47radix_sort_onesweep_sort_config_static_selectorELNS0_4arch9wavefront6targetE1EEEvSG_.has_recursion, 0
	.set _ZN7rocprim17ROCPRIM_400000_NS6detail17trampoline_kernelINS0_14default_configENS1_35radix_sort_onesweep_config_selectorIisEEZZNS1_29radix_sort_onesweep_iterationIS3_Lb0EN6thrust23THRUST_200600_302600_NS10device_ptrIiEESA_NS9_IsEESB_jNS0_19identity_decomposerENS1_16block_id_wrapperIjLb0EEEEE10hipError_tT1_PNSt15iterator_traitsISG_E10value_typeET2_T3_PNSH_ISM_E10value_typeET4_T5_PSR_SS_PNS1_23onesweep_lookback_stateEbbT6_jjT7_P12ihipStream_tbENKUlT_T0_SG_SL_E_clIPiSA_PsSB_EEDaSZ_S10_SG_SL_EUlSZ_E_NS1_11comp_targetILNS1_3genE0ELNS1_11target_archE4294967295ELNS1_3gpuE0ELNS1_3repE0EEENS1_47radix_sort_onesweep_sort_config_static_selectorELNS0_4arch9wavefront6targetE1EEEvSG_.has_indirect_call, 0
	.section	.AMDGPU.csdata,"",@progbits
; Kernel info:
; codeLenInByte = 0
; TotalNumSgprs: 6
; NumVgprs: 0
; NumAgprs: 0
; TotalNumVgprs: 0
; ScratchSize: 0
; MemoryBound: 0
; FloatMode: 240
; IeeeMode: 1
; LDSByteSize: 0 bytes/workgroup (compile time only)
; SGPRBlocks: 0
; VGPRBlocks: 0
; NumSGPRsForWavesPerEU: 6
; NumVGPRsForWavesPerEU: 1
; AccumOffset: 4
; Occupancy: 8
; WaveLimiterHint : 0
; COMPUTE_PGM_RSRC2:SCRATCH_EN: 0
; COMPUTE_PGM_RSRC2:USER_SGPR: 2
; COMPUTE_PGM_RSRC2:TRAP_HANDLER: 0
; COMPUTE_PGM_RSRC2:TGID_X_EN: 1
; COMPUTE_PGM_RSRC2:TGID_Y_EN: 0
; COMPUTE_PGM_RSRC2:TGID_Z_EN: 0
; COMPUTE_PGM_RSRC2:TIDIG_COMP_CNT: 0
; COMPUTE_PGM_RSRC3_GFX90A:ACCUM_OFFSET: 0
; COMPUTE_PGM_RSRC3_GFX90A:TG_SPLIT: 0
	.section	.text._ZN7rocprim17ROCPRIM_400000_NS6detail17trampoline_kernelINS0_14default_configENS1_35radix_sort_onesweep_config_selectorIisEEZZNS1_29radix_sort_onesweep_iterationIS3_Lb0EN6thrust23THRUST_200600_302600_NS10device_ptrIiEESA_NS9_IsEESB_jNS0_19identity_decomposerENS1_16block_id_wrapperIjLb0EEEEE10hipError_tT1_PNSt15iterator_traitsISG_E10value_typeET2_T3_PNSH_ISM_E10value_typeET4_T5_PSR_SS_PNS1_23onesweep_lookback_stateEbbT6_jjT7_P12ihipStream_tbENKUlT_T0_SG_SL_E_clIPiSA_PsSB_EEDaSZ_S10_SG_SL_EUlSZ_E_NS1_11comp_targetILNS1_3genE6ELNS1_11target_archE950ELNS1_3gpuE13ELNS1_3repE0EEENS1_47radix_sort_onesweep_sort_config_static_selectorELNS0_4arch9wavefront6targetE1EEEvSG_,"axG",@progbits,_ZN7rocprim17ROCPRIM_400000_NS6detail17trampoline_kernelINS0_14default_configENS1_35radix_sort_onesweep_config_selectorIisEEZZNS1_29radix_sort_onesweep_iterationIS3_Lb0EN6thrust23THRUST_200600_302600_NS10device_ptrIiEESA_NS9_IsEESB_jNS0_19identity_decomposerENS1_16block_id_wrapperIjLb0EEEEE10hipError_tT1_PNSt15iterator_traitsISG_E10value_typeET2_T3_PNSH_ISM_E10value_typeET4_T5_PSR_SS_PNS1_23onesweep_lookback_stateEbbT6_jjT7_P12ihipStream_tbENKUlT_T0_SG_SL_E_clIPiSA_PsSB_EEDaSZ_S10_SG_SL_EUlSZ_E_NS1_11comp_targetILNS1_3genE6ELNS1_11target_archE950ELNS1_3gpuE13ELNS1_3repE0EEENS1_47radix_sort_onesweep_sort_config_static_selectorELNS0_4arch9wavefront6targetE1EEEvSG_,comdat
	.protected	_ZN7rocprim17ROCPRIM_400000_NS6detail17trampoline_kernelINS0_14default_configENS1_35radix_sort_onesweep_config_selectorIisEEZZNS1_29radix_sort_onesweep_iterationIS3_Lb0EN6thrust23THRUST_200600_302600_NS10device_ptrIiEESA_NS9_IsEESB_jNS0_19identity_decomposerENS1_16block_id_wrapperIjLb0EEEEE10hipError_tT1_PNSt15iterator_traitsISG_E10value_typeET2_T3_PNSH_ISM_E10value_typeET4_T5_PSR_SS_PNS1_23onesweep_lookback_stateEbbT6_jjT7_P12ihipStream_tbENKUlT_T0_SG_SL_E_clIPiSA_PsSB_EEDaSZ_S10_SG_SL_EUlSZ_E_NS1_11comp_targetILNS1_3genE6ELNS1_11target_archE950ELNS1_3gpuE13ELNS1_3repE0EEENS1_47radix_sort_onesweep_sort_config_static_selectorELNS0_4arch9wavefront6targetE1EEEvSG_ ; -- Begin function _ZN7rocprim17ROCPRIM_400000_NS6detail17trampoline_kernelINS0_14default_configENS1_35radix_sort_onesweep_config_selectorIisEEZZNS1_29radix_sort_onesweep_iterationIS3_Lb0EN6thrust23THRUST_200600_302600_NS10device_ptrIiEESA_NS9_IsEESB_jNS0_19identity_decomposerENS1_16block_id_wrapperIjLb0EEEEE10hipError_tT1_PNSt15iterator_traitsISG_E10value_typeET2_T3_PNSH_ISM_E10value_typeET4_T5_PSR_SS_PNS1_23onesweep_lookback_stateEbbT6_jjT7_P12ihipStream_tbENKUlT_T0_SG_SL_E_clIPiSA_PsSB_EEDaSZ_S10_SG_SL_EUlSZ_E_NS1_11comp_targetILNS1_3genE6ELNS1_11target_archE950ELNS1_3gpuE13ELNS1_3repE0EEENS1_47radix_sort_onesweep_sort_config_static_selectorELNS0_4arch9wavefront6targetE1EEEvSG_
	.globl	_ZN7rocprim17ROCPRIM_400000_NS6detail17trampoline_kernelINS0_14default_configENS1_35radix_sort_onesweep_config_selectorIisEEZZNS1_29radix_sort_onesweep_iterationIS3_Lb0EN6thrust23THRUST_200600_302600_NS10device_ptrIiEESA_NS9_IsEESB_jNS0_19identity_decomposerENS1_16block_id_wrapperIjLb0EEEEE10hipError_tT1_PNSt15iterator_traitsISG_E10value_typeET2_T3_PNSH_ISM_E10value_typeET4_T5_PSR_SS_PNS1_23onesweep_lookback_stateEbbT6_jjT7_P12ihipStream_tbENKUlT_T0_SG_SL_E_clIPiSA_PsSB_EEDaSZ_S10_SG_SL_EUlSZ_E_NS1_11comp_targetILNS1_3genE6ELNS1_11target_archE950ELNS1_3gpuE13ELNS1_3repE0EEENS1_47radix_sort_onesweep_sort_config_static_selectorELNS0_4arch9wavefront6targetE1EEEvSG_
	.p2align	8
	.type	_ZN7rocprim17ROCPRIM_400000_NS6detail17trampoline_kernelINS0_14default_configENS1_35radix_sort_onesweep_config_selectorIisEEZZNS1_29radix_sort_onesweep_iterationIS3_Lb0EN6thrust23THRUST_200600_302600_NS10device_ptrIiEESA_NS9_IsEESB_jNS0_19identity_decomposerENS1_16block_id_wrapperIjLb0EEEEE10hipError_tT1_PNSt15iterator_traitsISG_E10value_typeET2_T3_PNSH_ISM_E10value_typeET4_T5_PSR_SS_PNS1_23onesweep_lookback_stateEbbT6_jjT7_P12ihipStream_tbENKUlT_T0_SG_SL_E_clIPiSA_PsSB_EEDaSZ_S10_SG_SL_EUlSZ_E_NS1_11comp_targetILNS1_3genE6ELNS1_11target_archE950ELNS1_3gpuE13ELNS1_3repE0EEENS1_47radix_sort_onesweep_sort_config_static_selectorELNS0_4arch9wavefront6targetE1EEEvSG_,@function
_ZN7rocprim17ROCPRIM_400000_NS6detail17trampoline_kernelINS0_14default_configENS1_35radix_sort_onesweep_config_selectorIisEEZZNS1_29radix_sort_onesweep_iterationIS3_Lb0EN6thrust23THRUST_200600_302600_NS10device_ptrIiEESA_NS9_IsEESB_jNS0_19identity_decomposerENS1_16block_id_wrapperIjLb0EEEEE10hipError_tT1_PNSt15iterator_traitsISG_E10value_typeET2_T3_PNSH_ISM_E10value_typeET4_T5_PSR_SS_PNS1_23onesweep_lookback_stateEbbT6_jjT7_P12ihipStream_tbENKUlT_T0_SG_SL_E_clIPiSA_PsSB_EEDaSZ_S10_SG_SL_EUlSZ_E_NS1_11comp_targetILNS1_3genE6ELNS1_11target_archE950ELNS1_3gpuE13ELNS1_3repE0EEENS1_47radix_sort_onesweep_sort_config_static_selectorELNS0_4arch9wavefront6targetE1EEEvSG_: ; @_ZN7rocprim17ROCPRIM_400000_NS6detail17trampoline_kernelINS0_14default_configENS1_35radix_sort_onesweep_config_selectorIisEEZZNS1_29radix_sort_onesweep_iterationIS3_Lb0EN6thrust23THRUST_200600_302600_NS10device_ptrIiEESA_NS9_IsEESB_jNS0_19identity_decomposerENS1_16block_id_wrapperIjLb0EEEEE10hipError_tT1_PNSt15iterator_traitsISG_E10value_typeET2_T3_PNSH_ISM_E10value_typeET4_T5_PSR_SS_PNS1_23onesweep_lookback_stateEbbT6_jjT7_P12ihipStream_tbENKUlT_T0_SG_SL_E_clIPiSA_PsSB_EEDaSZ_S10_SG_SL_EUlSZ_E_NS1_11comp_targetILNS1_3genE6ELNS1_11target_archE950ELNS1_3gpuE13ELNS1_3repE0EEENS1_47radix_sort_onesweep_sort_config_static_selectorELNS0_4arch9wavefront6targetE1EEEvSG_
; %bb.0:
	s_load_dwordx4 s[48:51], s[2:3], 0x44
	s_load_dwordx8 s[36:43], s[2:3], 0x0
	s_load_dwordx4 s[44:47], s[2:3], 0x28
	s_load_dwordx2 s[52:53], s[2:3], 0x38
	v_and_b32_e32 v8, 0x3ff, v0
	v_bfe_u32 v9, v0, 10, 10
	v_bfe_u32 v14, v0, 20, 10
	s_mov_b64 s[6:7], -1
	s_waitcnt lgkmcnt(0)
	s_cmp_ge_u32 s4, s50
	v_mbcnt_lo_u32_b32 v16, -1, 0
	v_lshlrev_b32_e32 v15, 3, v8
	s_cbranch_scc0 .LBB2486_130
; %bb.1:
	s_load_dword s5, s[2:3], 0x20
	s_lshl_b32 s8, s50, 13
	s_lshl_b32 s50, s4, 13
	s_mov_b32 s51, 0
	s_lshl_b64 s[6:7], s[50:51], 2
	s_waitcnt lgkmcnt(0)
	s_sub_i32 s5, s5, s8
	v_mbcnt_hi_u32_b32 v20, -1, v16
	s_add_u32 s6, s36, s6
	v_and_b32_e32 v18, 63, v20
	s_addc_u32 s7, s37, s7
	v_and_b32_e32 v17, 0x1e00, v15
	v_mov_b32_e32 v1, 0
	v_lshlrev_b32_e32 v0, 2, v18
	v_lshl_add_u64 v[2:3], s[6:7], 0, v[0:1]
	v_lshlrev_b32_e32 v0, 2, v17
	v_lshl_add_u64 v[10:11], v[2:3], 0, v[0:1]
	v_or_b32_e32 v12, v18, v17
	v_bfrev_b32_e32 v0, -2
	v_cmp_gt_u32_e64 s[18:19], s5, v12
	v_mov_b32_e32 v1, v0
	v_mov_b32_e32 v2, v0
	;; [unrolled: 1-line block ×7, first 2 shown]
	s_and_saveexec_b64 s[6:7], s[18:19]
	s_cbranch_execz .LBB2486_3
; %bb.2:
	global_load_dword v22, v[10:11], off
	v_mov_b32_e32 v23, v0
	v_mov_b32_e32 v24, v0
	;; [unrolled: 1-line block ×7, first 2 shown]
	s_waitcnt vmcnt(0)
	v_mov_b64_e32 v[0:1], v[22:23]
	v_mov_b64_e32 v[2:3], v[24:25]
	v_mov_b64_e32 v[4:5], v[26:27]
	v_mov_b64_e32 v[6:7], v[28:29]
.LBB2486_3:
	s_or_b64 exec, exec, s[6:7]
	v_or_b32_e32 v13, 64, v12
	v_cmp_gt_u32_e64 s[26:27], s5, v13
	s_and_saveexec_b64 s[6:7], s[26:27]
	s_cbranch_execz .LBB2486_5
; %bb.4:
	global_load_dword v1, v[10:11], off offset:256
.LBB2486_5:
	s_or_b64 exec, exec, s[6:7]
	v_or_b32_e32 v13, 0x80, v12
	v_cmp_gt_u32_e64 s[6:7], s5, v13
	s_and_saveexec_b64 s[8:9], s[6:7]
	s_cbranch_execz .LBB2486_7
; %bb.6:
	global_load_dword v2, v[10:11], off offset:512
.LBB2486_7:
	;; [unrolled: 8-line block ×7, first 2 shown]
	s_or_b64 exec, exec, s[20:21]
	s_load_dword s20, s[2:3], 0x64
	s_load_dword s33, s[2:3], 0x58
	s_add_u32 s21, s2, 0x58
	s_addc_u32 s22, s3, 0
	v_mov_b32_e32 v11, 0
	s_waitcnt lgkmcnt(0)
	s_lshr_b32 s23, s20, 16
	s_cmp_lt_u32 s4, s33
	s_cselect_b32 s20, 12, 18
	s_add_u32 s20, s21, s20
	s_addc_u32 s21, s22, 0
	global_load_ushort v36, v11, s[20:21]
	v_xor_b32_e32 v19, 0x80000000, v0
	v_lshrrev_b32_e32 v0, s48, v19
	s_lshl_b32 s20, -1, s49
	v_bitop3_b32 v0, v0, s20, v0 bitop3:0x30
	s_movk_i32 s55, 0x44
	v_and_b32_e32 v10, 1, v0
	v_lshlrev_b32_e32 v13, 30, v0
	v_mov_b32_e32 v12, v11
	v_mov_b32_e32 v24, v11
	v_mul_lo_u32 v38, v0, s55
	v_lshlrev_b32_e32 v23, 29, v0
	v_lshlrev_b32_e32 v25, 28, v0
	;; [unrolled: 1-line block ×6, first 2 shown]
	v_lshl_add_u64 v[34:35], v[10:11], 0, -1
	v_cmp_ne_u32_e32 vcc, 0, v10
	v_not_b32_e32 v0, v13
	v_mov_b32_e32 v22, v11
	v_mov_b32_e32 v26, v11
	s_not_b32 s54, s20
	v_cmp_gt_i64_e64 s[20:21], 0, v[12:13]
	v_not_b32_e32 v10, v23
	v_cmp_gt_i64_e64 s[24:25], 0, v[24:25]
	v_not_b32_e32 v12, v25
	v_xor_b32_e32 v25, vcc_lo, v34
	v_ashrrev_i32_e32 v0, 31, v0
	v_mad_u32_u24 v37, v14, s23, v9
	v_cmp_gt_i64_e64 s[22:23], 0, v[22:23]
	v_cmp_gt_i64_e64 s[28:29], 0, v[26:27]
	v_ashrrev_i32_e32 v10, 31, v10
	v_and_b32_e32 v25, exec_lo, v25
	v_xor_b32_e32 v26, s21, v0
	v_xor_b32_e32 v0, s20, v0
	v_mov_b32_e32 v28, v11
	v_not_b32_e32 v13, v27
	v_ashrrev_i32_e32 v12, 31, v12
	v_xor_b32_e32 v27, s23, v10
	v_xor_b32_e32 v10, s22, v10
	v_and_b32_e32 v0, v25, v0
	v_cmp_gt_i64_e64 s[30:31], 0, v[28:29]
	v_xor_b32_e32 v24, vcc_hi, v35
	v_ashrrev_i32_e32 v13, 31, v13
	v_xor_b32_e32 v28, s25, v12
	v_xor_b32_e32 v12, s24, v12
	v_and_b32_e32 v0, v0, v10
	v_not_b32_e32 v22, v29
	v_and_b32_e32 v24, exec_hi, v24
	v_xor_b32_e32 v29, s29, v13
	v_xor_b32_e32 v13, s28, v13
	v_and_b32_e32 v0, v0, v12
	v_and_b32_e32 v24, v24, v26
	;; [unrolled: 1-line block ×3, first 2 shown]
	v_mov_b32_e32 v30, v11
	v_not_b32_e32 v23, v31
	v_ashrrev_i32_e32 v22, 31, v22
	v_and_b32_e32 v24, v24, v27
	v_mov_b32_e32 v32, v11
	v_cmp_gt_i64_e64 s[34:35], 0, v[30:31]
	v_ashrrev_i32_e32 v23, 31, v23
	v_xor_b32_e32 v30, s31, v22
	v_xor_b32_e32 v22, s30, v22
	v_and_b32_e32 v10, v24, v28
	v_xor_b32_e32 v31, s35, v23
	v_xor_b32_e32 v23, s34, v23
	v_and_b32_e32 v10, v10, v29
	v_and_b32_e32 v0, v0, v22
	v_cmp_gt_i64_e32 vcc, 0, v[32:33]
	v_and_b32_e32 v10, v10, v30
	v_and_b32_e32 v0, v0, v23
	;; [unrolled: 1-line block ×3, first 2 shown]
	v_mul_u32_u24_e32 v21, 20, v8
	ds_write2_b32 v21, v11, v11 offset0:16 offset1:17
	ds_write2_b32 v21, v11, v11 offset0:18 offset1:19
	ds_write_b32 v21, v11 offset:80
	s_waitcnt lgkmcnt(0)
	s_barrier
	s_waitcnt vmcnt(0)
	; wave barrier
	v_mad_u64_u32 v[12:13], s[20:21], v37, v36, v[8:9]
	v_lshrrev_b32_e32 v12, 4, v12
	v_and_b32_e32 v35, 0xffffffc, v12
	v_not_b32_e32 v12, v33
	v_ashrrev_i32_e32 v12, 31, v12
	v_xor_b32_e32 v13, vcc_hi, v12
	v_xor_b32_e32 v12, vcc_lo, v12
	v_and_b32_e32 v12, v0, v12
	v_and_b32_e32 v13, v10, v13
	v_mbcnt_lo_u32_b32 v0, v12, 0
	v_mbcnt_hi_u32_b32 v22, v13, v0
	v_cmp_eq_u32_e32 vcc, 0, v22
	v_cmp_ne_u64_e64 s[20:21], 0, v[12:13]
	s_and_b64 s[22:23], s[20:21], vcc
	v_add_u32_e32 v26, v35, v38
	s_and_saveexec_b64 s[20:21], s[22:23]
; %bb.18:
	v_bcnt_u32_b32 v0, v12, 0
	v_bcnt_u32_b32 v0, v13, v0
	ds_write_b32 v26, v0 offset:64
; %bb.19:
	s_or_b64 exec, exec, s[20:21]
	v_xor_b32_e32 v12, 0x80000000, v1
	v_lshrrev_b32_e32 v0, s48, v12
	v_and_b32_e32 v13, s54, v0
	v_mul_lo_u32 v0, v13, s55
	v_and_b32_e32 v10, 1, v13
	v_add_u32_e32 v27, v35, v0
	v_lshl_add_u64 v[0:1], v[10:11], 0, -1
	v_cmp_ne_u32_e32 vcc, 0, v10
	; wave barrier
	s_nop 1
	v_xor_b32_e32 v1, vcc_hi, v1
	v_xor_b32_e32 v0, vcc_lo, v0
	v_and_b32_e32 v10, exec_hi, v1
	v_and_b32_e32 v24, exec_lo, v0
	v_lshlrev_b32_e32 v1, 30, v13
	v_mov_b32_e32 v0, v11
	v_cmp_gt_i64_e32 vcc, 0, v[0:1]
	v_not_b32_e32 v0, v1
	v_ashrrev_i32_e32 v0, 31, v0
	v_xor_b32_e32 v1, vcc_hi, v0
	v_xor_b32_e32 v0, vcc_lo, v0
	v_and_b32_e32 v10, v10, v1
	v_and_b32_e32 v24, v24, v0
	v_lshlrev_b32_e32 v1, 29, v13
	v_mov_b32_e32 v0, v11
	v_cmp_gt_i64_e32 vcc, 0, v[0:1]
	v_not_b32_e32 v0, v1
	v_ashrrev_i32_e32 v0, 31, v0
	v_xor_b32_e32 v1, vcc_hi, v0
	v_xor_b32_e32 v0, vcc_lo, v0
	v_and_b32_e32 v10, v10, v1
	v_and_b32_e32 v24, v24, v0
	;; [unrolled: 9-line block ×6, first 2 shown]
	v_lshlrev_b32_e32 v1, 24, v13
	v_mov_b32_e32 v0, v11
	v_cmp_gt_i64_e32 vcc, 0, v[0:1]
	v_not_b32_e32 v0, v1
	v_ashrrev_i32_e32 v0, 31, v0
	v_xor_b32_e32 v1, vcc_hi, v0
	v_xor_b32_e32 v0, vcc_lo, v0
	ds_read_b32 v23, v27 offset:64
	v_and_b32_e32 v0, v24, v0
	v_and_b32_e32 v1, v10, v1
	v_mbcnt_lo_u32_b32 v10, v0, 0
	v_mbcnt_hi_u32_b32 v24, v1, v10
	v_cmp_eq_u32_e32 vcc, 0, v24
	v_cmp_ne_u64_e64 s[20:21], 0, v[0:1]
	s_and_b64 s[22:23], s[20:21], vcc
	; wave barrier
	s_and_saveexec_b64 s[20:21], s[22:23]
	s_cbranch_execz .LBB2486_21
; %bb.20:
	v_bcnt_u32_b32 v0, v0, 0
	v_bcnt_u32_b32 v0, v1, v0
	s_waitcnt lgkmcnt(0)
	v_add_u32_e32 v0, v23, v0
	ds_write_b32 v27, v0 offset:64
.LBB2486_21:
	s_or_b64 exec, exec, s[20:21]
	v_xor_b32_e32 v13, 0x80000000, v2
	v_lshrrev_b32_e32 v0, s48, v13
	v_and_b32_e32 v2, s54, v0
	s_movk_i32 s22, 0x44
	v_mul_lo_u32 v0, v2, s22
	v_add_u32_e32 v31, v35, v0
	v_and_b32_e32 v0, 1, v2
	v_mov_b32_e32 v1, 0
	v_lshl_add_u64 v[10:11], v[0:1], 0, -1
	v_cmp_ne_u32_e32 vcc, 0, v0
	; wave barrier
	s_nop 1
	v_xor_b32_e32 v10, vcc_lo, v10
	v_xor_b32_e32 v0, vcc_hi, v11
	v_and_b32_e32 v28, exec_lo, v10
	v_lshlrev_b32_e32 v11, 30, v2
	v_mov_b32_e32 v10, v1
	v_cmp_gt_i64_e32 vcc, 0, v[10:11]
	v_not_b32_e32 v10, v11
	v_ashrrev_i32_e32 v10, 31, v10
	v_and_b32_e32 v0, exec_hi, v0
	v_xor_b32_e32 v11, vcc_hi, v10
	v_xor_b32_e32 v10, vcc_lo, v10
	v_and_b32_e32 v0, v0, v11
	v_and_b32_e32 v28, v28, v10
	v_lshlrev_b32_e32 v11, 29, v2
	v_mov_b32_e32 v10, v1
	v_cmp_gt_i64_e32 vcc, 0, v[10:11]
	v_not_b32_e32 v10, v11
	v_ashrrev_i32_e32 v10, 31, v10
	v_xor_b32_e32 v11, vcc_hi, v10
	v_xor_b32_e32 v10, vcc_lo, v10
	v_and_b32_e32 v0, v0, v11
	v_and_b32_e32 v28, v28, v10
	v_lshlrev_b32_e32 v11, 28, v2
	v_mov_b32_e32 v10, v1
	v_cmp_gt_i64_e32 vcc, 0, v[10:11]
	v_not_b32_e32 v10, v11
	v_ashrrev_i32_e32 v10, 31, v10
	v_xor_b32_e32 v11, vcc_hi, v10
	v_xor_b32_e32 v10, vcc_lo, v10
	v_and_b32_e32 v0, v0, v11
	v_and_b32_e32 v28, v28, v10
	v_lshlrev_b32_e32 v11, 27, v2
	v_mov_b32_e32 v10, v1
	v_cmp_gt_i64_e32 vcc, 0, v[10:11]
	v_not_b32_e32 v10, v11
	v_ashrrev_i32_e32 v10, 31, v10
	v_xor_b32_e32 v11, vcc_hi, v10
	v_xor_b32_e32 v10, vcc_lo, v10
	v_and_b32_e32 v0, v0, v11
	v_and_b32_e32 v28, v28, v10
	v_lshlrev_b32_e32 v11, 26, v2
	v_mov_b32_e32 v10, v1
	v_cmp_gt_i64_e32 vcc, 0, v[10:11]
	v_not_b32_e32 v10, v11
	v_ashrrev_i32_e32 v10, 31, v10
	v_xor_b32_e32 v11, vcc_hi, v10
	v_xor_b32_e32 v10, vcc_lo, v10
	v_and_b32_e32 v0, v0, v11
	v_and_b32_e32 v28, v28, v10
	v_lshlrev_b32_e32 v11, 25, v2
	v_mov_b32_e32 v10, v1
	v_cmp_gt_i64_e32 vcc, 0, v[10:11]
	v_not_b32_e32 v10, v11
	v_ashrrev_i32_e32 v10, 31, v10
	v_xor_b32_e32 v11, vcc_hi, v10
	v_xor_b32_e32 v10, vcc_lo, v10
	v_and_b32_e32 v0, v0, v11
	v_lshlrev_b32_e32 v11, 24, v2
	v_and_b32_e32 v28, v28, v10
	v_mov_b32_e32 v10, v1
	v_not_b32_e32 v2, v11
	v_cmp_gt_i64_e32 vcc, 0, v[10:11]
	v_ashrrev_i32_e32 v2, 31, v2
	ds_read_b32 v25, v31 offset:64
	v_xor_b32_e32 v10, vcc_hi, v2
	v_xor_b32_e32 v2, vcc_lo, v2
	v_and_b32_e32 v11, v0, v10
	v_and_b32_e32 v10, v28, v2
	v_mbcnt_lo_u32_b32 v0, v10, 0
	v_mbcnt_hi_u32_b32 v29, v11, v0
	v_cmp_eq_u32_e32 vcc, 0, v29
	v_cmp_ne_u64_e64 s[20:21], 0, v[10:11]
	s_and_b64 s[24:25], s[20:21], vcc
	; wave barrier
	s_and_saveexec_b64 s[20:21], s[24:25]
	s_cbranch_execz .LBB2486_23
; %bb.22:
	v_bcnt_u32_b32 v0, v10, 0
	v_bcnt_u32_b32 v0, v11, v0
	s_waitcnt lgkmcnt(0)
	v_add_u32_e32 v0, v25, v0
	ds_write_b32 v31, v0 offset:64
.LBB2486_23:
	s_or_b64 exec, exec, s[20:21]
	v_xor_b32_e32 v10, 0x80000000, v3
	v_lshrrev_b32_e32 v0, s48, v10
	v_and_b32_e32 v11, s54, v0
	v_mul_lo_u32 v0, v11, s22
	v_add_u32_e32 v36, v35, v0
	v_and_b32_e32 v0, 1, v11
	v_lshl_add_u64 v[2:3], v[0:1], 0, -1
	v_cmp_ne_u32_e32 vcc, 0, v0
	; wave barrier
	s_nop 1
	v_xor_b32_e32 v2, vcc_lo, v2
	v_xor_b32_e32 v0, vcc_hi, v3
	v_and_b32_e32 v28, exec_lo, v2
	v_lshlrev_b32_e32 v3, 30, v11
	v_mov_b32_e32 v2, v1
	v_cmp_gt_i64_e32 vcc, 0, v[2:3]
	v_not_b32_e32 v2, v3
	v_ashrrev_i32_e32 v2, 31, v2
	v_and_b32_e32 v0, exec_hi, v0
	v_xor_b32_e32 v3, vcc_hi, v2
	v_xor_b32_e32 v2, vcc_lo, v2
	v_and_b32_e32 v0, v0, v3
	v_and_b32_e32 v28, v28, v2
	v_lshlrev_b32_e32 v3, 29, v11
	v_mov_b32_e32 v2, v1
	v_cmp_gt_i64_e32 vcc, 0, v[2:3]
	v_not_b32_e32 v2, v3
	v_ashrrev_i32_e32 v2, 31, v2
	v_xor_b32_e32 v3, vcc_hi, v2
	v_xor_b32_e32 v2, vcc_lo, v2
	v_and_b32_e32 v0, v0, v3
	v_and_b32_e32 v28, v28, v2
	v_lshlrev_b32_e32 v3, 28, v11
	v_mov_b32_e32 v2, v1
	v_cmp_gt_i64_e32 vcc, 0, v[2:3]
	v_not_b32_e32 v2, v3
	v_ashrrev_i32_e32 v2, 31, v2
	;; [unrolled: 9-line block ×5, first 2 shown]
	v_xor_b32_e32 v3, vcc_hi, v2
	v_xor_b32_e32 v2, vcc_lo, v2
	v_and_b32_e32 v0, v0, v3
	v_lshlrev_b32_e32 v3, 24, v11
	v_and_b32_e32 v28, v28, v2
	v_mov_b32_e32 v2, v1
	v_not_b32_e32 v1, v3
	v_cmp_gt_i64_e32 vcc, 0, v[2:3]
	v_ashrrev_i32_e32 v1, 31, v1
	ds_read_b32 v30, v36 offset:64
	v_xor_b32_e32 v2, vcc_hi, v1
	v_xor_b32_e32 v3, vcc_lo, v1
	v_and_b32_e32 v1, v0, v2
	v_and_b32_e32 v0, v28, v3
	v_mbcnt_lo_u32_b32 v2, v0, 0
	v_mbcnt_hi_u32_b32 v33, v1, v2
	v_cmp_eq_u32_e32 vcc, 0, v33
	v_cmp_ne_u64_e64 s[20:21], 0, v[0:1]
	s_and_b64 s[22:23], s[20:21], vcc
	; wave barrier
	s_and_saveexec_b64 s[20:21], s[22:23]
	s_cbranch_execz .LBB2486_25
; %bb.24:
	v_bcnt_u32_b32 v0, v0, 0
	v_bcnt_u32_b32 v0, v1, v0
	s_waitcnt lgkmcnt(0)
	v_add_u32_e32 v0, v30, v0
	ds_write_b32 v36, v0 offset:64
.LBB2486_25:
	s_or_b64 exec, exec, s[20:21]
	v_xor_b32_e32 v11, 0x80000000, v4
	v_lshrrev_b32_e32 v0, s48, v11
	v_and_b32_e32 v28, s54, v0
	s_movk_i32 s22, 0x44
	v_mul_lo_u32 v0, v28, s22
	v_add_u32_e32 v4, v35, v0
	v_and_b32_e32 v0, 1, v28
	v_mov_b32_e32 v1, 0
	v_lshl_add_u64 v[2:3], v[0:1], 0, -1
	v_cmp_ne_u32_e32 vcc, 0, v0
	; wave barrier
	s_nop 1
	v_xor_b32_e32 v2, vcc_lo, v2
	v_xor_b32_e32 v0, vcc_hi, v3
	v_and_b32_e32 v32, exec_lo, v2
	v_lshlrev_b32_e32 v3, 30, v28
	v_mov_b32_e32 v2, v1
	v_cmp_gt_i64_e32 vcc, 0, v[2:3]
	v_not_b32_e32 v2, v3
	v_ashrrev_i32_e32 v2, 31, v2
	v_and_b32_e32 v0, exec_hi, v0
	v_xor_b32_e32 v3, vcc_hi, v2
	v_xor_b32_e32 v2, vcc_lo, v2
	v_and_b32_e32 v0, v0, v3
	v_and_b32_e32 v32, v32, v2
	v_lshlrev_b32_e32 v3, 29, v28
	v_mov_b32_e32 v2, v1
	v_cmp_gt_i64_e32 vcc, 0, v[2:3]
	v_not_b32_e32 v2, v3
	v_ashrrev_i32_e32 v2, 31, v2
	v_xor_b32_e32 v3, vcc_hi, v2
	v_xor_b32_e32 v2, vcc_lo, v2
	v_and_b32_e32 v0, v0, v3
	v_and_b32_e32 v32, v32, v2
	v_lshlrev_b32_e32 v3, 28, v28
	v_mov_b32_e32 v2, v1
	v_cmp_gt_i64_e32 vcc, 0, v[2:3]
	v_not_b32_e32 v2, v3
	v_ashrrev_i32_e32 v2, 31, v2
	;; [unrolled: 9-line block ×6, first 2 shown]
	v_xor_b32_e32 v3, vcc_hi, v2
	v_xor_b32_e32 v2, vcc_lo, v2
	ds_read_b32 v34, v4 offset:64
	v_and_b32_e32 v2, v32, v2
	v_and_b32_e32 v3, v0, v3
	v_mbcnt_lo_u32_b32 v0, v2, 0
	v_mbcnt_hi_u32_b32 v38, v3, v0
	v_cmp_eq_u32_e32 vcc, 0, v38
	v_cmp_ne_u64_e64 s[20:21], 0, v[2:3]
	s_and_b64 s[24:25], s[20:21], vcc
	; wave barrier
	s_and_saveexec_b64 s[20:21], s[24:25]
	s_cbranch_execz .LBB2486_27
; %bb.26:
	v_bcnt_u32_b32 v0, v2, 0
	v_bcnt_u32_b32 v0, v3, v0
	s_waitcnt lgkmcnt(0)
	v_add_u32_e32 v0, v34, v0
	ds_write_b32 v4, v0 offset:64
.LBB2486_27:
	s_or_b64 exec, exec, s[20:21]
	v_xor_b32_e32 v28, 0x80000000, v5
	v_lshrrev_b32_e32 v0, s48, v28
	v_and_b32_e32 v32, s54, v0
	v_mul_lo_u32 v0, v32, s22
	v_add_u32_e32 v5, v35, v0
	v_and_b32_e32 v0, 1, v32
	v_lshl_add_u64 v[2:3], v[0:1], 0, -1
	v_cmp_ne_u32_e32 vcc, 0, v0
	; wave barrier
	s_nop 1
	v_xor_b32_e32 v2, vcc_lo, v2
	v_xor_b32_e32 v0, vcc_hi, v3
	v_and_b32_e32 v37, exec_lo, v2
	v_lshlrev_b32_e32 v3, 30, v32
	v_mov_b32_e32 v2, v1
	v_cmp_gt_i64_e32 vcc, 0, v[2:3]
	v_not_b32_e32 v2, v3
	v_ashrrev_i32_e32 v2, 31, v2
	v_and_b32_e32 v0, exec_hi, v0
	v_xor_b32_e32 v3, vcc_hi, v2
	v_xor_b32_e32 v2, vcc_lo, v2
	v_and_b32_e32 v0, v0, v3
	v_and_b32_e32 v37, v37, v2
	v_lshlrev_b32_e32 v3, 29, v32
	v_mov_b32_e32 v2, v1
	v_cmp_gt_i64_e32 vcc, 0, v[2:3]
	v_not_b32_e32 v2, v3
	v_ashrrev_i32_e32 v2, 31, v2
	v_xor_b32_e32 v3, vcc_hi, v2
	v_xor_b32_e32 v2, vcc_lo, v2
	v_and_b32_e32 v0, v0, v3
	v_and_b32_e32 v37, v37, v2
	v_lshlrev_b32_e32 v3, 28, v32
	v_mov_b32_e32 v2, v1
	v_cmp_gt_i64_e32 vcc, 0, v[2:3]
	v_not_b32_e32 v2, v3
	v_ashrrev_i32_e32 v2, 31, v2
	;; [unrolled: 9-line block ×5, first 2 shown]
	v_xor_b32_e32 v3, vcc_hi, v2
	v_xor_b32_e32 v2, vcc_lo, v2
	v_and_b32_e32 v0, v0, v3
	v_lshlrev_b32_e32 v3, 24, v32
	v_and_b32_e32 v37, v37, v2
	v_mov_b32_e32 v2, v1
	v_not_b32_e32 v1, v3
	v_cmp_gt_i64_e32 vcc, 0, v[2:3]
	v_ashrrev_i32_e32 v1, 31, v1
	ds_read_b32 v39, v5 offset:64
	v_xor_b32_e32 v2, vcc_hi, v1
	v_xor_b32_e32 v3, vcc_lo, v1
	v_and_b32_e32 v1, v0, v2
	v_and_b32_e32 v0, v37, v3
	v_mbcnt_lo_u32_b32 v2, v0, 0
	v_mbcnt_hi_u32_b32 v40, v1, v2
	v_cmp_eq_u32_e32 vcc, 0, v40
	v_cmp_ne_u64_e64 s[20:21], 0, v[0:1]
	s_and_b64 s[22:23], s[20:21], vcc
	; wave barrier
	s_and_saveexec_b64 s[20:21], s[22:23]
	s_cbranch_execz .LBB2486_29
; %bb.28:
	v_bcnt_u32_b32 v0, v0, 0
	v_bcnt_u32_b32 v0, v1, v0
	s_waitcnt lgkmcnt(0)
	v_add_u32_e32 v0, v39, v0
	ds_write_b32 v5, v0 offset:64
.LBB2486_29:
	s_or_b64 exec, exec, s[20:21]
	v_xor_b32_e32 v32, 0x80000000, v6
	v_lshrrev_b32_e32 v0, s48, v32
	v_and_b32_e32 v37, s54, v0
	s_movk_i32 s22, 0x44
	v_mul_lo_u32 v0, v37, s22
	v_add_u32_e32 v6, v35, v0
	v_and_b32_e32 v0, 1, v37
	v_mov_b32_e32 v1, 0
	v_lshl_add_u64 v[2:3], v[0:1], 0, -1
	v_cmp_ne_u32_e32 vcc, 0, v0
	; wave barrier
	s_nop 1
	v_xor_b32_e32 v2, vcc_lo, v2
	v_xor_b32_e32 v0, vcc_hi, v3
	v_and_b32_e32 v42, exec_lo, v2
	v_lshlrev_b32_e32 v3, 30, v37
	v_mov_b32_e32 v2, v1
	v_cmp_gt_i64_e32 vcc, 0, v[2:3]
	v_not_b32_e32 v2, v3
	v_ashrrev_i32_e32 v2, 31, v2
	v_and_b32_e32 v0, exec_hi, v0
	v_xor_b32_e32 v3, vcc_hi, v2
	v_xor_b32_e32 v2, vcc_lo, v2
	v_and_b32_e32 v0, v0, v3
	v_and_b32_e32 v42, v42, v2
	v_lshlrev_b32_e32 v3, 29, v37
	v_mov_b32_e32 v2, v1
	v_cmp_gt_i64_e32 vcc, 0, v[2:3]
	v_not_b32_e32 v2, v3
	v_ashrrev_i32_e32 v2, 31, v2
	v_xor_b32_e32 v3, vcc_hi, v2
	v_xor_b32_e32 v2, vcc_lo, v2
	v_and_b32_e32 v0, v0, v3
	v_and_b32_e32 v42, v42, v2
	v_lshlrev_b32_e32 v3, 28, v37
	v_mov_b32_e32 v2, v1
	v_cmp_gt_i64_e32 vcc, 0, v[2:3]
	v_not_b32_e32 v2, v3
	v_ashrrev_i32_e32 v2, 31, v2
	;; [unrolled: 9-line block ×6, first 2 shown]
	v_xor_b32_e32 v3, vcc_hi, v2
	v_xor_b32_e32 v2, vcc_lo, v2
	ds_read_b32 v41, v6 offset:64
	v_and_b32_e32 v2, v42, v2
	v_and_b32_e32 v3, v0, v3
	v_mbcnt_lo_u32_b32 v0, v2, 0
	v_mbcnt_hi_u32_b32 v42, v3, v0
	v_cmp_eq_u32_e32 vcc, 0, v42
	v_cmp_ne_u64_e64 s[20:21], 0, v[2:3]
	s_and_b64 s[24:25], s[20:21], vcc
	; wave barrier
	s_and_saveexec_b64 s[20:21], s[24:25]
	s_cbranch_execz .LBB2486_31
; %bb.30:
	v_bcnt_u32_b32 v0, v2, 0
	v_bcnt_u32_b32 v0, v3, v0
	s_waitcnt lgkmcnt(0)
	v_add_u32_e32 v0, v41, v0
	ds_write_b32 v6, v0 offset:64
.LBB2486_31:
	s_or_b64 exec, exec, s[20:21]
	v_xor_b32_e32 v37, 0x80000000, v7
	v_lshrrev_b32_e32 v0, s48, v37
	v_and_b32_e32 v43, s54, v0
	v_mul_lo_u32 v0, v43, s22
	v_add_u32_e32 v7, v35, v0
	v_and_b32_e32 v0, 1, v43
	v_lshl_add_u64 v[2:3], v[0:1], 0, -1
	v_cmp_ne_u32_e32 vcc, 0, v0
	; wave barrier
	s_nop 1
	v_xor_b32_e32 v2, vcc_lo, v2
	v_xor_b32_e32 v0, vcc_hi, v3
	v_and_b32_e32 v44, exec_lo, v2
	v_lshlrev_b32_e32 v3, 30, v43
	v_mov_b32_e32 v2, v1
	v_cmp_gt_i64_e32 vcc, 0, v[2:3]
	v_not_b32_e32 v2, v3
	v_ashrrev_i32_e32 v2, 31, v2
	v_and_b32_e32 v0, exec_hi, v0
	v_xor_b32_e32 v3, vcc_hi, v2
	v_xor_b32_e32 v2, vcc_lo, v2
	v_and_b32_e32 v0, v0, v3
	v_and_b32_e32 v44, v44, v2
	v_lshlrev_b32_e32 v3, 29, v43
	v_mov_b32_e32 v2, v1
	v_cmp_gt_i64_e32 vcc, 0, v[2:3]
	v_not_b32_e32 v2, v3
	v_ashrrev_i32_e32 v2, 31, v2
	v_xor_b32_e32 v3, vcc_hi, v2
	v_xor_b32_e32 v2, vcc_lo, v2
	v_and_b32_e32 v0, v0, v3
	v_and_b32_e32 v44, v44, v2
	v_lshlrev_b32_e32 v3, 28, v43
	v_mov_b32_e32 v2, v1
	v_cmp_gt_i64_e32 vcc, 0, v[2:3]
	v_not_b32_e32 v2, v3
	v_ashrrev_i32_e32 v2, 31, v2
	;; [unrolled: 9-line block ×5, first 2 shown]
	v_xor_b32_e32 v3, vcc_hi, v2
	v_xor_b32_e32 v2, vcc_lo, v2
	v_and_b32_e32 v0, v0, v3
	v_lshlrev_b32_e32 v3, 24, v43
	v_and_b32_e32 v44, v44, v2
	v_mov_b32_e32 v2, v1
	v_not_b32_e32 v1, v3
	v_cmp_gt_i64_e32 vcc, 0, v[2:3]
	v_ashrrev_i32_e32 v1, 31, v1
	ds_read_b32 v35, v7 offset:64
	v_xor_b32_e32 v2, vcc_hi, v1
	v_xor_b32_e32 v3, vcc_lo, v1
	v_and_b32_e32 v1, v0, v2
	v_and_b32_e32 v0, v44, v3
	v_mbcnt_lo_u32_b32 v2, v0, 0
	v_mbcnt_hi_u32_b32 v43, v1, v2
	v_cmp_eq_u32_e32 vcc, 0, v43
	v_cmp_ne_u64_e64 s[20:21], 0, v[0:1]
	s_and_b64 s[22:23], s[20:21], vcc
	; wave barrier
	s_and_saveexec_b64 s[20:21], s[22:23]
	s_cbranch_execz .LBB2486_33
; %bb.32:
	v_bcnt_u32_b32 v0, v0, 0
	v_bcnt_u32_b32 v0, v1, v0
	s_waitcnt lgkmcnt(0)
	v_add_u32_e32 v0, v35, v0
	ds_write_b32 v7, v0 offset:64
.LBB2486_33:
	s_or_b64 exec, exec, s[20:21]
	; wave barrier
	s_waitcnt lgkmcnt(0)
	s_barrier
	ds_read2_b32 v[2:3], v21 offset0:16 offset1:17
	ds_read2_b32 v[0:1], v21 offset0:18 offset1:19
	ds_read_b32 v44, v21 offset:80
	v_cmp_lt_u32_e64 s[28:29], 31, v20
	s_waitcnt lgkmcnt(1)
	v_add3_u32 v45, v3, v2, v0
	s_waitcnt lgkmcnt(0)
	v_add3_u32 v44, v45, v1, v44
	v_and_b32_e32 v45, 15, v20
	v_cmp_eq_u32_e32 vcc, 0, v45
	v_mov_b32_dpp v46, v44 row_shr:1 row_mask:0xf bank_mask:0xf
	v_cmp_lt_u32_e64 s[20:21], 1, v45
	v_cndmask_b32_e64 v46, v46, 0, vcc
	v_add_u32_e32 v44, v46, v44
	v_cmp_lt_u32_e64 s[22:23], 3, v45
	v_cmp_lt_u32_e64 s[24:25], 7, v45
	v_mov_b32_dpp v46, v44 row_shr:2 row_mask:0xf bank_mask:0xf
	v_cndmask_b32_e64 v46, 0, v46, s[20:21]
	v_add_u32_e32 v44, v44, v46
	s_nop 1
	v_mov_b32_dpp v46, v44 row_shr:4 row_mask:0xf bank_mask:0xf
	v_cndmask_b32_e64 v46, 0, v46, s[22:23]
	v_add_u32_e32 v44, v44, v46
	s_nop 1
	v_mov_b32_dpp v46, v44 row_shr:8 row_mask:0xf bank_mask:0xf
	v_cndmask_b32_e64 v45, 0, v46, s[24:25]
	v_add_u32_e32 v44, v44, v45
	v_bfe_i32 v46, v20, 4, 1
	s_nop 0
	v_mov_b32_dpp v45, v44 row_bcast:15 row_mask:0xf bank_mask:0xf
	v_and_b32_e32 v45, v46, v45
	v_add_u32_e32 v44, v44, v45
	v_and_b32_e32 v46, 63, v8
	s_nop 0
	v_mov_b32_dpp v45, v44 row_bcast:31 row_mask:0xf bank_mask:0xf
	v_cndmask_b32_e64 v45, 0, v45, s[28:29]
	v_add_u32_e32 v44, v44, v45
	v_lshrrev_b32_e32 v45, 6, v8
	v_cmp_eq_u32_e64 s[28:29], 63, v46
	s_and_saveexec_b64 s[30:31], s[28:29]
; %bb.34:
	v_lshlrev_b32_e32 v46, 2, v45
	ds_write_b32 v46, v44
; %bb.35:
	s_or_b64 exec, exec, s[30:31]
	v_cmp_gt_u32_e64 s[28:29], 16, v8
	s_waitcnt lgkmcnt(0)
	s_barrier
	s_and_saveexec_b64 s[30:31], s[28:29]
	s_cbranch_execz .LBB2486_37
; %bb.36:
	v_lshlrev_b32_e32 v46, 2, v8
	ds_read_b32 v47, v46
	s_waitcnt lgkmcnt(0)
	s_nop 0
	v_mov_b32_dpp v48, v47 row_shr:1 row_mask:0xf bank_mask:0xf
	v_cndmask_b32_e64 v48, v48, 0, vcc
	v_add_u32_e32 v47, v48, v47
	s_nop 1
	v_mov_b32_dpp v48, v47 row_shr:2 row_mask:0xf bank_mask:0xf
	v_cndmask_b32_e64 v48, 0, v48, s[20:21]
	v_add_u32_e32 v47, v47, v48
	s_nop 1
	v_mov_b32_dpp v48, v47 row_shr:4 row_mask:0xf bank_mask:0xf
	v_cndmask_b32_e64 v48, 0, v48, s[22:23]
	;; [unrolled: 4-line block ×3, first 2 shown]
	v_add_u32_e32 v47, v47, v48
	ds_write_b32 v46, v47
.LBB2486_37:
	s_or_b64 exec, exec, s[30:31]
	v_cmp_lt_u32_e32 vcc, 63, v8
	v_mov_b32_e32 v46, 0
	s_waitcnt lgkmcnt(0)
	s_barrier
	s_and_saveexec_b64 s[20:21], vcc
; %bb.38:
	v_lshl_add_u32 v45, v45, 2, -4
	ds_read_b32 v46, v45
; %bb.39:
	s_or_b64 exec, exec, s[20:21]
	v_subrev_co_u32_e32 v45, vcc, 1, v20
	v_and_b32_e32 v47, 64, v20
	v_cmp_lt_i32_e64 s[20:21], v45, v47
	s_waitcnt lgkmcnt(0)
	v_add_u32_e32 v44, v46, v44
	s_movk_i32 s22, 0x100
	v_cndmask_b32_e64 v20, v45, v20, s[20:21]
	v_lshlrev_b32_e32 v20, 2, v20
	ds_bpermute_b32 v20, v20, v44
	s_movk_i32 s20, 0xff
	v_cmp_lt_u32_e64 s[20:21], s20, v8
	s_waitcnt lgkmcnt(0)
	v_cndmask_b32_e32 v20, v20, v46, vcc
	v_cmp_ne_u32_e32 vcc, 0, v8
	s_nop 1
	v_cndmask_b32_e32 v20, 0, v20, vcc
	v_add_u32_e32 v2, v20, v2
	v_add_u32_e32 v3, v2, v3
	;; [unrolled: 1-line block ×4, first 2 shown]
	ds_write2_b32 v21, v20, v2 offset0:16 offset1:17
	ds_write2_b32 v21, v3, v0 offset0:18 offset1:19
	ds_write_b32 v21, v1 offset:80
	s_waitcnt lgkmcnt(0)
	s_barrier
	ds_read_b32 v26, v26 offset:64
	ds_read_b32 v45, v27 offset:64
	;; [unrolled: 1-line block ×8, first 2 shown]
	v_cmp_gt_u32_e32 vcc, s22, v8
                                        ; implicit-def: $vgpr6
                                        ; implicit-def: $vgpr7
	s_and_saveexec_b64 s[24:25], vcc
	s_cbranch_execz .LBB2486_43
; %bb.40:
	v_mul_u32_u24_e32 v0, 0x44, v8
	ds_read_b32 v6, v0 offset:64
	v_add_u32_e32 v1, 1, v8
	v_cmp_ne_u32_e64 s[22:23], s22, v1
	v_mov_b32_e32 v0, 0x2000
	s_and_saveexec_b64 s[28:29], s[22:23]
; %bb.41:
	v_mul_u32_u24_e32 v0, 0x44, v1
	ds_read_b32 v0, v0 offset:64
; %bb.42:
	s_or_b64 exec, exec, s[28:29]
	s_waitcnt lgkmcnt(0)
	v_sub_u32_e32 v7, v0, v6
.LBB2486_43:
	s_or_b64 exec, exec, s[24:25]
	v_mov_b32_e32 v1, 0
	v_lshlrev_b32_e32 v20, 2, v8
	s_waitcnt lgkmcnt(0)
	s_barrier
	s_and_saveexec_b64 s[22:23], vcc
	s_cbranch_execz .LBB2486_53
; %bb.44:
	v_lshl_add_u32 v0, s4, 8, v8
	v_lshl_add_u64 v[2:3], v[0:1], 2, s[52:53]
	v_or_b32_e32 v0, 2.0, v7
	s_mov_b64 s[24:25], 0
	s_brev_b32 s34, -4
	s_mov_b32 s35, s4
	v_mov_b32_e32 v27, 0
	global_store_dword v[2:3], v0, off sc1
                                        ; implicit-def: $sgpr28_sgpr29
	s_branch .LBB2486_47
.LBB2486_45:                            ;   in Loop: Header=BB2486_47 Depth=1
	s_or_b64 exec, exec, s[30:31]
.LBB2486_46:                            ;   in Loop: Header=BB2486_47 Depth=1
	s_or_b64 exec, exec, s[28:29]
	v_and_b32_e32 v4, 0x3fffffff, v0
	v_add_u32_e32 v27, v4, v27
	v_cmp_gt_i32_e64 s[28:29], -2.0, v0
	s_and_b64 s[30:31], exec, s[28:29]
	s_or_b64 s[24:25], s[30:31], s[24:25]
	s_andn2_b64 exec, exec, s[24:25]
	s_cbranch_execz .LBB2486_52
.LBB2486_47:                            ; =>This Loop Header: Depth=1
                                        ;     Child Loop BB2486_50 Depth 2
	s_or_b64 s[28:29], s[28:29], exec
	s_cmp_eq_u32 s35, 0
	s_cbranch_scc1 .LBB2486_51
; %bb.48:                               ;   in Loop: Header=BB2486_47 Depth=1
	s_add_i32 s35, s35, -1
	v_lshl_or_b32 v0, s35, 8, v8
	v_lshl_add_u64 v[4:5], v[0:1], 2, s[52:53]
	global_load_dword v0, v[4:5], off sc1
	s_waitcnt vmcnt(0)
	v_cmp_gt_u32_e32 vcc, 2.0, v0
	s_and_saveexec_b64 s[28:29], vcc
	s_cbranch_execz .LBB2486_46
; %bb.49:                               ;   in Loop: Header=BB2486_47 Depth=1
	s_mov_b64 s[30:31], 0
.LBB2486_50:                            ;   Parent Loop BB2486_47 Depth=1
                                        ; =>  This Inner Loop Header: Depth=2
	global_load_dword v0, v[4:5], off sc1
	s_waitcnt vmcnt(0)
	v_cmp_lt_u32_e32 vcc, s34, v0
	s_or_b64 s[30:31], vcc, s[30:31]
	s_andn2_b64 exec, exec, s[30:31]
	s_cbranch_execnz .LBB2486_50
	s_branch .LBB2486_45
.LBB2486_51:                            ;   in Loop: Header=BB2486_47 Depth=1
                                        ; implicit-def: $sgpr35
	s_and_b64 s[30:31], exec, s[28:29]
	s_or_b64 s[24:25], s[30:31], s[24:25]
	s_andn2_b64 exec, exec, s[24:25]
	s_cbranch_execnz .LBB2486_47
.LBB2486_52:
	s_or_b64 exec, exec, s[24:25]
	v_add_u32_e32 v0, v27, v7
	v_or_b32_e32 v0, 0x80000000, v0
	global_store_dword v[2:3], v0, off sc1
	global_load_dword v0, v20, s[44:45]
	v_sub_u32_e32 v1, v27, v6
	s_waitcnt vmcnt(0)
	v_add_u32_e32 v0, v1, v0
	ds_write_b32 v20, v0
.LBB2486_53:
	s_or_b64 exec, exec, s[22:23]
	s_load_dwordx2 s[22:23], s[0:1], 0x4
	v_add_u32_e32 v27, v26, v22
	v_add3_u32 v26, v24, v23, v45
	v_add3_u32 v24, v29, v25, v46
	;; [unrolled: 1-line block ×3, first 2 shown]
	s_waitcnt lgkmcnt(0)
	s_lshr_b32 s0, s22, 16
	s_mul_i32 s0, s0, s23
	v_mul_lo_u32 v0, s0, v8
	v_mad_u32_u24 v0, v9, s23, v0
	v_add_lshl_u32 v0, v0, v14, 5
	v_add3_u32 v22, v38, v34, v21
	v_add3_u32 v21, v40, v39, v31
	;; [unrolled: 1-line block ×4, first 2 shown]
	v_add_u32_e32 v2, 0x5050, v0
	v_add_u32_e32 v3, 0x5060, v0
	v_lshlrev_b32_e32 v25, 2, v4
	v_lshlrev_b32_e32 v29, 2, v5
	;; [unrolled: 1-line block ×8, first 2 shown]
	s_mov_b32 s24, 0
	s_mov_b64 s[0:1], -1
	v_mov_b32_e32 v1, 0
	s_movk_i32 s25, 0x400
	s_movk_i32 s28, 0x800
	;; [unrolled: 1-line block ×3, first 2 shown]
	v_mov_b32_e32 v38, v27
	v_mov_b32_e32 v39, v26
	;; [unrolled: 1-line block ×9, first 2 shown]
	s_mov_b32 s30, 0
	s_branch .LBB2486_55
.LBB2486_54:                            ;   in Loop: Header=BB2486_55 Depth=1
	s_or_b64 exec, exec, s[22:23]
	s_xor_b64 s[22:23], s[0:1], -1
	s_addk_i32 s30, 0x1000
	s_addk_i32 s24, 0xc000
	s_mov_b64 s[0:1], 0
	s_and_b64 vcc, exec, s[22:23]
	v_mov_b32_e32 v46, v3
	s_waitcnt lgkmcnt(0)
	s_barrier
	s_cbranch_vccnz .LBB2486_79
.LBB2486_55:                            ; =>This Inner Loop Header: Depth=1
	v_subrev_co_u32_e32 v38, vcc, 0x1000, v38
	s_and_saveexec_b64 s[22:23], vcc
	s_cbranch_execz .LBB2486_63
; %bb.56:                               ;   in Loop: Header=BB2486_55 Depth=1
	v_add_u32_e32 v0, s24, v36
	ds_write_b32 v0, v19 offset:1024
	s_or_b64 exec, exec, s[22:23]
	v_subrev_co_u32_e32 v39, vcc, 0x1000, v39
	s_and_saveexec_b64 s[22:23], vcc
	s_cbranch_execnz .LBB2486_64
.LBB2486_57:                            ;   in Loop: Header=BB2486_55 Depth=1
	s_or_b64 exec, exec, s[22:23]
	v_subrev_co_u32_e32 v40, vcc, 0x1000, v40
	s_and_saveexec_b64 s[22:23], vcc
	s_cbranch_execz .LBB2486_65
.LBB2486_58:                            ;   in Loop: Header=BB2486_55 Depth=1
	v_add_u32_e32 v0, s24, v34
	ds_write_b32 v0, v13 offset:1024
	s_or_b64 exec, exec, s[22:23]
	v_subrev_co_u32_e32 v41, vcc, 0x1000, v41
	s_and_saveexec_b64 s[22:23], vcc
	s_cbranch_execnz .LBB2486_66
.LBB2486_59:                            ;   in Loop: Header=BB2486_55 Depth=1
	s_or_b64 exec, exec, s[22:23]
	v_subrev_co_u32_e32 v42, vcc, 0x1000, v42
	s_and_saveexec_b64 s[22:23], vcc
	s_cbranch_execz .LBB2486_67
.LBB2486_60:                            ;   in Loop: Header=BB2486_55 Depth=1
	v_add_u32_e32 v0, s24, v31
	ds_write_b32 v0, v11 offset:1024
	s_or_b64 exec, exec, s[22:23]
	v_subrev_co_u32_e32 v43, vcc, 0x1000, v43
	s_and_saveexec_b64 s[22:23], vcc
	s_cbranch_execnz .LBB2486_68
.LBB2486_61:                            ;   in Loop: Header=BB2486_55 Depth=1
	s_or_b64 exec, exec, s[22:23]
	v_subrev_co_u32_e32 v44, vcc, 0x1000, v44
	s_and_saveexec_b64 s[22:23], vcc
	s_cbranch_execz .LBB2486_69
.LBB2486_62:                            ;   in Loop: Header=BB2486_55 Depth=1
	v_add_u32_e32 v0, s24, v29
	ds_write_b32 v0, v32 offset:1024
	s_or_b64 exec, exec, s[22:23]
	v_subrev_co_u32_e32 v45, vcc, 0x1000, v45
	s_and_saveexec_b64 s[22:23], vcc
	s_cbranch_execnz .LBB2486_70
	s_branch .LBB2486_71
.LBB2486_63:                            ;   in Loop: Header=BB2486_55 Depth=1
	s_or_b64 exec, exec, s[22:23]
	v_subrev_co_u32_e32 v39, vcc, 0x1000, v39
	s_and_saveexec_b64 s[22:23], vcc
	s_cbranch_execz .LBB2486_57
.LBB2486_64:                            ;   in Loop: Header=BB2486_55 Depth=1
	v_add_u32_e32 v0, s24, v35
	ds_write_b32 v0, v12 offset:1024
	s_or_b64 exec, exec, s[22:23]
	v_subrev_co_u32_e32 v40, vcc, 0x1000, v40
	s_and_saveexec_b64 s[22:23], vcc
	s_cbranch_execnz .LBB2486_58
.LBB2486_65:                            ;   in Loop: Header=BB2486_55 Depth=1
	s_or_b64 exec, exec, s[22:23]
	v_subrev_co_u32_e32 v41, vcc, 0x1000, v41
	s_and_saveexec_b64 s[22:23], vcc
	s_cbranch_execz .LBB2486_59
.LBB2486_66:                            ;   in Loop: Header=BB2486_55 Depth=1
	v_add_u32_e32 v0, s24, v33
	ds_write_b32 v0, v10 offset:1024
	s_or_b64 exec, exec, s[22:23]
	v_subrev_co_u32_e32 v42, vcc, 0x1000, v42
	s_and_saveexec_b64 s[22:23], vcc
	s_cbranch_execnz .LBB2486_60
.LBB2486_67:                            ;   in Loop: Header=BB2486_55 Depth=1
	s_or_b64 exec, exec, s[22:23]
	v_subrev_co_u32_e32 v43, vcc, 0x1000, v43
	s_and_saveexec_b64 s[22:23], vcc
	s_cbranch_execz .LBB2486_61
.LBB2486_68:                            ;   in Loop: Header=BB2486_55 Depth=1
	v_add_u32_e32 v0, s24, v30
	ds_write_b32 v0, v28 offset:1024
	s_or_b64 exec, exec, s[22:23]
	v_subrev_co_u32_e32 v44, vcc, 0x1000, v44
	s_and_saveexec_b64 s[22:23], vcc
	s_cbranch_execnz .LBB2486_62
.LBB2486_69:                            ;   in Loop: Header=BB2486_55 Depth=1
	s_or_b64 exec, exec, s[22:23]
	v_subrev_co_u32_e32 v45, vcc, 0x1000, v45
	s_and_saveexec_b64 s[22:23], vcc
.LBB2486_70:                            ;   in Loop: Header=BB2486_55 Depth=1
	v_add_u32_e32 v0, s24, v25
	ds_write_b32 v0, v37 offset:1024
.LBB2486_71:                            ;   in Loop: Header=BB2486_55 Depth=1
	s_or_b64 exec, exec, s[22:23]
	v_add_u32_e32 v47, s30, v8
	v_cmp_gt_u32_e32 vcc, s5, v47
	s_waitcnt lgkmcnt(0)
	s_barrier
	s_and_saveexec_b64 s[22:23], vcc
	s_cbranch_execz .LBB2486_73
; %bb.72:                               ;   in Loop: Header=BB2486_55 Depth=1
	ds_read_b32 v0, v20 offset:1024
	s_waitcnt lgkmcnt(0)
	v_lshrrev_b32_e32 v48, s48, v0
	v_and_b32_e32 v50, s54, v48
	v_lshlrev_b32_e32 v48, 2, v50
	ds_read_b32 v48, v48
	v_xor_b32_e32 v51, 0x80000000, v0
	ds_write_b32 v46, v50
	s_waitcnt lgkmcnt(1)
	v_add_u32_e32 v0, v47, v48
	v_lshl_add_u64 v[48:49], v[0:1], 2, s[38:39]
	global_store_dword v[48:49], v51, off
.LBB2486_73:                            ;   in Loop: Header=BB2486_55 Depth=1
	s_or_b64 exec, exec, s[22:23]
	v_add_u32_e32 v0, 0x400, v47
	v_cmp_gt_u32_e32 vcc, s5, v0
	s_and_saveexec_b64 s[22:23], vcc
	s_cbranch_execz .LBB2486_75
; %bb.74:                               ;   in Loop: Header=BB2486_55 Depth=1
	ds_read_b32 v0, v20 offset:5120
	s_waitcnt lgkmcnt(0)
	v_lshrrev_b32_e32 v48, s48, v0
	v_and_b32_e32 v50, s54, v48
	v_lshlrev_b32_e32 v48, 2, v50
	ds_read_b32 v48, v48
	v_xor_b32_e32 v51, 0x80000000, v0
	ds_write_b32 v46, v50 offset:4
	s_waitcnt lgkmcnt(1)
	v_add3_u32 v0, v47, v48, s25
	v_lshl_add_u64 v[48:49], v[0:1], 2, s[38:39]
	global_store_dword v[48:49], v51, off
.LBB2486_75:                            ;   in Loop: Header=BB2486_55 Depth=1
	s_or_b64 exec, exec, s[22:23]
	v_add_u32_e32 v0, 0x800, v47
	v_cmp_gt_u32_e32 vcc, s5, v0
	s_and_saveexec_b64 s[22:23], vcc
	s_cbranch_execz .LBB2486_77
; %bb.76:                               ;   in Loop: Header=BB2486_55 Depth=1
	ds_read_b32 v0, v20 offset:9216
	s_waitcnt lgkmcnt(0)
	v_lshrrev_b32_e32 v48, s48, v0
	v_and_b32_e32 v50, s54, v48
	v_lshlrev_b32_e32 v48, 2, v50
	ds_read_b32 v48, v48
	v_xor_b32_e32 v51, 0x80000000, v0
	ds_write_b32 v46, v50 offset:8
	s_waitcnt lgkmcnt(1)
	v_add3_u32 v0, v47, v48, s28
	v_lshl_add_u64 v[48:49], v[0:1], 2, s[38:39]
	global_store_dword v[48:49], v51, off
.LBB2486_77:                            ;   in Loop: Header=BB2486_55 Depth=1
	s_or_b64 exec, exec, s[22:23]
	v_add_u32_e32 v0, 0xc00, v47
	v_cmp_gt_u32_e32 vcc, s5, v0
	s_and_saveexec_b64 s[22:23], vcc
	s_cbranch_execz .LBB2486_54
; %bb.78:                               ;   in Loop: Header=BB2486_55 Depth=1
	ds_read_b32 v0, v20 offset:13312
	s_waitcnt lgkmcnt(0)
	v_lshrrev_b32_e32 v48, s48, v0
	v_and_b32_e32 v50, s54, v48
	v_lshlrev_b32_e32 v48, 2, v50
	ds_read_b32 v48, v48
	v_xor_b32_e32 v51, 0x80000000, v0
	ds_write_b32 v46, v50 offset:12
	s_waitcnt lgkmcnt(1)
	v_add3_u32 v0, v47, v48, s29
	v_lshl_add_u64 v[48:49], v[0:1], 2, s[38:39]
	global_store_dword v[48:49], v51, off
	s_branch .LBB2486_54
.LBB2486_79:
	s_lshl_b64 s[0:1], s[50:51], 1
	s_add_u32 s0, s40, s0
	s_addc_u32 s1, s41, s1
	v_lshlrev_b32_e32 v0, 1, v18
	v_mov_b32_e32 v1, 0
	v_lshl_add_u64 v[10:11], s[0:1], 0, v[0:1]
	v_lshlrev_b32_e32 v0, 1, v17
	v_lshl_add_u64 v[0:1], v[10:11], 0, v[0:1]
                                        ; implicit-def: $vgpr10
	s_and_saveexec_b64 s[0:1], s[18:19]
	s_cbranch_execz .LBB2486_87
; %bb.80:
	global_load_ushort v10, v[0:1], off
	s_or_b64 exec, exec, s[0:1]
                                        ; implicit-def: $vgpr11
	s_and_saveexec_b64 s[0:1], s[26:27]
	s_cbranch_execnz .LBB2486_88
.LBB2486_81:
	s_or_b64 exec, exec, s[0:1]
                                        ; implicit-def: $vgpr12
	s_and_saveexec_b64 s[0:1], s[6:7]
	s_cbranch_execz .LBB2486_89
.LBB2486_82:
	global_load_ushort v12, v[0:1], off offset:256
	s_or_b64 exec, exec, s[0:1]
                                        ; implicit-def: $vgpr13
	s_and_saveexec_b64 s[0:1], s[8:9]
	s_cbranch_execnz .LBB2486_90
.LBB2486_83:
	s_or_b64 exec, exec, s[0:1]
                                        ; implicit-def: $vgpr17
	s_and_saveexec_b64 s[0:1], s[10:11]
	s_cbranch_execz .LBB2486_91
.LBB2486_84:
	global_load_ushort v17, v[0:1], off offset:512
	s_or_b64 exec, exec, s[0:1]
                                        ; implicit-def: $vgpr18
	s_and_saveexec_b64 s[0:1], s[12:13]
	s_cbranch_execnz .LBB2486_92
.LBB2486_85:
	s_or_b64 exec, exec, s[0:1]
                                        ; implicit-def: $vgpr19
	s_and_saveexec_b64 s[0:1], s[14:15]
	s_cbranch_execz .LBB2486_93
.LBB2486_86:
	global_load_ushort v19, v[0:1], off offset:768
	s_or_b64 exec, exec, s[0:1]
                                        ; implicit-def: $vgpr25
	s_and_saveexec_b64 s[0:1], s[16:17]
	s_cbranch_execnz .LBB2486_94
	s_branch .LBB2486_95
.LBB2486_87:
	s_or_b64 exec, exec, s[0:1]
                                        ; implicit-def: $vgpr11
	s_and_saveexec_b64 s[0:1], s[26:27]
	s_cbranch_execz .LBB2486_81
.LBB2486_88:
	global_load_ushort v11, v[0:1], off offset:128
	s_or_b64 exec, exec, s[0:1]
                                        ; implicit-def: $vgpr12
	s_and_saveexec_b64 s[0:1], s[6:7]
	s_cbranch_execnz .LBB2486_82
.LBB2486_89:
	s_or_b64 exec, exec, s[0:1]
                                        ; implicit-def: $vgpr13
	s_and_saveexec_b64 s[0:1], s[8:9]
	s_cbranch_execz .LBB2486_83
.LBB2486_90:
	global_load_ushort v13, v[0:1], off offset:384
	s_or_b64 exec, exec, s[0:1]
                                        ; implicit-def: $vgpr17
	s_and_saveexec_b64 s[0:1], s[10:11]
	s_cbranch_execnz .LBB2486_84
.LBB2486_91:
	s_or_b64 exec, exec, s[0:1]
                                        ; implicit-def: $vgpr18
	s_and_saveexec_b64 s[0:1], s[12:13]
	s_cbranch_execz .LBB2486_85
.LBB2486_92:
	global_load_ushort v18, v[0:1], off offset:640
	s_or_b64 exec, exec, s[0:1]
                                        ; implicit-def: $vgpr19
	s_and_saveexec_b64 s[0:1], s[14:15]
	s_cbranch_execnz .LBB2486_86
.LBB2486_93:
	s_or_b64 exec, exec, s[0:1]
                                        ; implicit-def: $vgpr25
	s_and_saveexec_b64 s[0:1], s[16:17]
	s_cbranch_execz .LBB2486_95
.LBB2486_94:
	global_load_ushort v25, v[0:1], off offset:896
.LBB2486_95:
	s_or_b64 exec, exec, s[0:1]
	s_movk_i32 s6, 0x2000
	v_cmp_gt_u32_e32 vcc, s6, v27
	s_and_saveexec_b64 s[0:1], vcc
	s_cbranch_execz .LBB2486_103
; %bb.96:
	v_lshlrev_b32_e32 v0, 1, v27
	s_waitcnt vmcnt(0)
	ds_write_b16 v0, v10 offset:1024
	s_or_b64 exec, exec, s[0:1]
	v_cmp_gt_u32_e32 vcc, s6, v26
	s_and_saveexec_b64 s[0:1], vcc
	s_cbranch_execnz .LBB2486_104
.LBB2486_97:
	s_or_b64 exec, exec, s[0:1]
	v_cmp_gt_u32_e32 vcc, s6, v24
	s_and_saveexec_b64 s[0:1], vcc
	s_cbranch_execz .LBB2486_105
.LBB2486_98:
	v_lshlrev_b32_e32 v0, 1, v24
	s_waitcnt vmcnt(0)
	ds_write_b16 v0, v12 offset:1024
	s_or_b64 exec, exec, s[0:1]
	v_cmp_gt_u32_e32 vcc, s6, v23
	s_and_saveexec_b64 s[0:1], vcc
	s_cbranch_execnz .LBB2486_106
.LBB2486_99:
	s_or_b64 exec, exec, s[0:1]
	v_cmp_gt_u32_e32 vcc, s6, v22
	s_and_saveexec_b64 s[0:1], vcc
	s_cbranch_execz .LBB2486_107
.LBB2486_100:
	v_lshlrev_b32_e32 v0, 1, v22
	s_waitcnt vmcnt(0)
	ds_write_b16 v0, v17 offset:1024
	s_or_b64 exec, exec, s[0:1]
	v_cmp_gt_u32_e32 vcc, s6, v21
	s_and_saveexec_b64 s[0:1], vcc
	s_cbranch_execnz .LBB2486_108
.LBB2486_101:
	s_or_b64 exec, exec, s[0:1]
	v_cmp_gt_u32_e32 vcc, s6, v5
	s_and_saveexec_b64 s[0:1], vcc
	s_cbranch_execz .LBB2486_109
.LBB2486_102:
	v_lshlrev_b32_e32 v0, 1, v5
	s_waitcnt vmcnt(0)
	ds_write_b16 v0, v19 offset:1024
	s_or_b64 exec, exec, s[0:1]
	v_cmp_gt_u32_e32 vcc, s6, v4
	s_and_saveexec_b64 s[0:1], vcc
	s_cbranch_execnz .LBB2486_110
	s_branch .LBB2486_111
.LBB2486_103:
	s_or_b64 exec, exec, s[0:1]
	v_cmp_gt_u32_e32 vcc, s6, v26
	s_and_saveexec_b64 s[0:1], vcc
	s_cbranch_execz .LBB2486_97
.LBB2486_104:
	v_lshlrev_b32_e32 v0, 1, v26
	s_waitcnt vmcnt(0)
	ds_write_b16 v0, v11 offset:1024
	s_or_b64 exec, exec, s[0:1]
	v_cmp_gt_u32_e32 vcc, s6, v24
	s_and_saveexec_b64 s[0:1], vcc
	s_cbranch_execnz .LBB2486_98
.LBB2486_105:
	s_or_b64 exec, exec, s[0:1]
	v_cmp_gt_u32_e32 vcc, s6, v23
	s_and_saveexec_b64 s[0:1], vcc
	s_cbranch_execz .LBB2486_99
.LBB2486_106:
	v_lshlrev_b32_e32 v0, 1, v23
	s_waitcnt vmcnt(0)
	ds_write_b16 v0, v13 offset:1024
	s_or_b64 exec, exec, s[0:1]
	v_cmp_gt_u32_e32 vcc, s6, v22
	s_and_saveexec_b64 s[0:1], vcc
	s_cbranch_execnz .LBB2486_100
.LBB2486_107:
	s_or_b64 exec, exec, s[0:1]
	v_cmp_gt_u32_e32 vcc, s6, v21
	s_and_saveexec_b64 s[0:1], vcc
	s_cbranch_execz .LBB2486_101
.LBB2486_108:
	v_lshlrev_b32_e32 v0, 1, v21
	s_waitcnt vmcnt(0)
	ds_write_b16 v0, v18 offset:1024
	s_or_b64 exec, exec, s[0:1]
	v_cmp_gt_u32_e32 vcc, s6, v5
	s_and_saveexec_b64 s[0:1], vcc
	s_cbranch_execnz .LBB2486_102
.LBB2486_109:
	s_or_b64 exec, exec, s[0:1]
	v_cmp_gt_u32_e32 vcc, s6, v4
	s_and_saveexec_b64 s[0:1], vcc
	s_cbranch_execz .LBB2486_111
.LBB2486_110:
	v_lshlrev_b32_e32 v0, 1, v4
	s_waitcnt vmcnt(0)
	ds_write_b16 v0, v25 offset:1024
.LBB2486_111:
	s_or_b64 exec, exec, s[0:1]
	v_cmp_gt_u32_e32 vcc, s5, v8
	s_waitcnt lgkmcnt(0)
	s_barrier
	s_and_saveexec_b64 s[0:1], vcc
	s_cbranch_execz .LBB2486_113
; %bb.112:
	ds_read_b32 v0, v2
	v_lshlrev_b32_e32 v1, 1, v8
	ds_read_u16 v4, v1 offset:1024
	v_mov_b32_e32 v1, 0
	s_waitcnt lgkmcnt(1)
	v_lshlrev_b32_e32 v0, 2, v0
	ds_read_b32 v0, v0
	s_waitcnt lgkmcnt(0)
	v_add_u32_e32 v0, v0, v8
	v_lshl_add_u64 v[0:1], v[0:1], 1, s[42:43]
	global_store_short v[0:1], v4, off
.LBB2486_113:
	s_or_b64 exec, exec, s[0:1]
	v_or_b32_e32 v0, 0x400, v8
	v_cmp_gt_u32_e32 vcc, s5, v0
	s_and_saveexec_b64 s[0:1], vcc
	s_cbranch_execz .LBB2486_115
; %bb.114:
	ds_read_b32 v1, v2 offset:4
	v_lshlrev_b32_e32 v4, 1, v8
	ds_read_u16 v4, v4 offset:3072
	s_waitcnt lgkmcnt(1)
	v_lshlrev_b32_e32 v1, 2, v1
	ds_read_b32 v1, v1
	s_waitcnt lgkmcnt(0)
	v_add_u32_e32 v0, v1, v0
	v_mov_b32_e32 v1, 0
	v_lshl_add_u64 v[0:1], v[0:1], 1, s[42:43]
	global_store_short v[0:1], v4, off
.LBB2486_115:
	s_or_b64 exec, exec, s[0:1]
	v_or_b32_e32 v0, 0x800, v8
	v_cmp_gt_u32_e32 vcc, s5, v0
	s_and_saveexec_b64 s[0:1], vcc
	s_cbranch_execz .LBB2486_117
; %bb.116:
	ds_read_b32 v1, v2 offset:8
	v_lshlrev_b32_e32 v4, 1, v8
	ds_read_u16 v4, v4 offset:5120
	s_waitcnt lgkmcnt(1)
	v_lshlrev_b32_e32 v1, 2, v1
	ds_read_b32 v1, v1
	s_waitcnt lgkmcnt(0)
	v_add_u32_e32 v0, v1, v0
	v_mov_b32_e32 v1, 0
	v_lshl_add_u64 v[0:1], v[0:1], 1, s[42:43]
	global_store_short v[0:1], v4, off
.LBB2486_117:
	;; [unrolled: 18-line block ×3, first 2 shown]
	s_or_b64 exec, exec, s[0:1]
	v_or_b32_e32 v0, 0x1000, v8
	v_cmp_gt_u32_e32 vcc, s5, v0
	s_and_saveexec_b64 s[0:1], vcc
	s_cbranch_execz .LBB2486_121
; %bb.120:
	ds_read_b32 v1, v3
	v_lshlrev_b32_e32 v3, 1, v8
	ds_read_u16 v3, v3 offset:9216
	s_waitcnt lgkmcnt(1)
	v_lshlrev_b32_e32 v1, 2, v1
	ds_read_b32 v1, v1
	s_waitcnt lgkmcnt(0)
	v_add_u32_e32 v0, v1, v0
	v_mov_b32_e32 v1, 0
	v_lshl_add_u64 v[0:1], v[0:1], 1, s[42:43]
	global_store_short v[0:1], v3, off
.LBB2486_121:
	s_or_b64 exec, exec, s[0:1]
	v_or_b32_e32 v0, 0x1400, v8
	v_cmp_gt_u32_e32 vcc, s5, v0
	s_and_saveexec_b64 s[0:1], vcc
	s_cbranch_execz .LBB2486_123
; %bb.122:
	ds_read_b32 v1, v2 offset:20
	v_lshlrev_b32_e32 v3, 1, v8
	ds_read_u16 v3, v3 offset:11264
	s_waitcnt lgkmcnt(1)
	v_lshlrev_b32_e32 v1, 2, v1
	ds_read_b32 v1, v1
	s_waitcnt lgkmcnt(0)
	v_add_u32_e32 v0, v1, v0
	v_mov_b32_e32 v1, 0
	v_lshl_add_u64 v[0:1], v[0:1], 1, s[42:43]
	global_store_short v[0:1], v3, off
.LBB2486_123:
	s_or_b64 exec, exec, s[0:1]
	v_or_b32_e32 v0, 0x1800, v8
	v_cmp_gt_u32_e32 vcc, s5, v0
	s_and_saveexec_b64 s[0:1], vcc
	s_cbranch_execz .LBB2486_125
; %bb.124:
	ds_read_b32 v1, v2 offset:24
	v_lshlrev_b32_e32 v3, 1, v8
	ds_read_u16 v3, v3 offset:13312
	s_waitcnt lgkmcnt(1)
	v_lshlrev_b32_e32 v1, 2, v1
	ds_read_b32 v1, v1
	s_waitcnt lgkmcnt(0)
	v_add_u32_e32 v0, v1, v0
	v_mov_b32_e32 v1, 0
	v_lshl_add_u64 v[0:1], v[0:1], 1, s[42:43]
	global_store_short v[0:1], v3, off
.LBB2486_125:
	;; [unrolled: 18-line block ×3, first 2 shown]
	s_or_b64 exec, exec, s[0:1]
	s_add_i32 s33, s33, -1
	s_cmp_eq_u32 s4, s33
	s_cselect_b64 s[0:1], -1, 0
	s_xor_b64 s[6:7], s[20:21], -1
	s_and_b64 s[6:7], s[6:7], s[0:1]
	s_and_saveexec_b64 s[0:1], s[6:7]
	s_cbranch_execz .LBB2486_129
; %bb.128:
	ds_read_b32 v0, v20
	s_waitcnt lgkmcnt(0)
	v_add3_u32 v0, v6, v7, v0
	global_store_dword v20, v0, s[46:47]
.LBB2486_129:
	s_or_b64 exec, exec, s[0:1]
	s_mov_b64 s[6:7], 0
.LBB2486_130:
	s_and_b64 vcc, exec, s[6:7]
	s_cbranch_vccz .LBB2486_203
; %bb.131:
	s_lshl_b32 s12, s4, 13
	s_mov_b32 s13, 0
	s_lshl_b64 s[0:1], s[12:13], 2
	v_mbcnt_hi_u32_b32 v4, -1, v16
	s_add_u32 s0, s36, s0
	v_and_b32_e32 v7, 63, v4
	s_addc_u32 s1, s37, s1
	v_and_b32_e32 v6, 0x1e00, v15
	v_mov_b32_e32 v1, 0
	v_lshlrev_b32_e32 v0, 2, v7
	v_lshl_add_u64 v[2:3], s[0:1], 0, v[0:1]
	v_lshlrev_b32_e32 v0, 2, v6
	v_lshl_add_u64 v[2:3], v[2:3], 0, v[0:1]
	global_load_dword v0, v[2:3], off
	s_load_dword s0, s[2:3], 0x64
	s_load_dword s5, s[2:3], 0x58
	s_add_u32 s1, s2, 0x58
	s_addc_u32 s2, s3, 0
	v_mul_u32_u24_e32 v5, 20, v8
	s_waitcnt lgkmcnt(0)
	s_lshr_b32 s3, s0, 16
	s_cmp_lt_u32 s4, s5
	s_cselect_b32 s0, 12, 18
	s_add_u32 s0, s1, s0
	s_addc_u32 s1, s2, 0
	global_load_ushort v15, v1, s[0:1]
	ds_write2_b32 v5, v1, v1 offset0:16 offset1:17
	ds_write2_b32 v5, v1, v1 offset0:18 offset1:19
	ds_write_b32 v5, v1 offset:80
	global_load_dword v10, v[2:3], off offset:256
	global_load_dword v11, v[2:3], off offset:512
	;; [unrolled: 1-line block ×7, first 2 shown]
	v_mad_u32_u24 v2, v14, s3, v9
	s_lshl_b32 s0, -1, s49
	s_waitcnt vmcnt(9)
	v_mov_b32_e32 v12, v1
	v_mov_b32_e32 v26, v1
	s_not_b32 s14, s0
	s_movk_i32 s15, 0x44
	v_mov_b32_e32 v16, v1
	v_mov_b32_e32 v30, v1
	;; [unrolled: 1-line block ×3, first 2 shown]
	s_waitcnt lgkmcnt(0)
	s_barrier
	s_waitcnt vmcnt(8)
	; wave barrier
	v_xor_b32_e32 v9, 0x80000000, v0
	v_lshrrev_b32_e32 v0, s48, v9
	v_bitop3_b32 v19, v0, s0, v0 bitop3:0x30
	v_and_b32_e32 v0, 1, v19
	v_lshlrev_b32_e32 v13, 30, v19
	v_lshlrev_b32_e32 v17, 29, v19
	;; [unrolled: 1-line block ×3, first 2 shown]
	v_cmp_ne_u32_e32 vcc, 0, v0
	v_cmp_gt_i64_e64 s[6:7], 0, v[26:27]
	v_mul_lo_u32 v20, v19, s15
	s_waitcnt vmcnt(7)
	v_mad_u64_u32 v[2:3], s[0:1], v2, v15, v[8:9]
	v_lshl_add_u64 v[14:15], v[0:1], 0, -1
	v_not_b32_e32 v0, v13
	v_cmp_gt_i64_e64 s[0:1], 0, v[12:13]
	v_not_b32_e32 v3, v17
	v_lshrrev_b32_e32 v26, 6, v2
	v_xor_b32_e32 v2, vcc_hi, v15
	v_xor_b32_e32 v14, vcc_lo, v14
	v_ashrrev_i32_e32 v0, 31, v0
	v_lshlrev_b32_e32 v31, 27, v19
	v_cmp_gt_i64_e64 s[2:3], 0, v[16:17]
	v_not_b32_e32 v12, v27
	v_ashrrev_i32_e32 v3, 31, v3
	v_and_b32_e32 v2, exec_hi, v2
	v_and_b32_e32 v14, exec_lo, v14
	v_xor_b32_e32 v15, s1, v0
	v_xor_b32_e32 v0, s0, v0
	v_lshlrev_b32_e32 v33, 26, v19
	v_not_b32_e32 v13, v31
	v_ashrrev_i32_e32 v12, 31, v12
	v_lshl_add_u32 v16, v26, 2, v20
	v_xor_b32_e32 v20, s3, v3
	v_xor_b32_e32 v3, s2, v3
	v_and_b32_e32 v2, v2, v15
	v_and_b32_e32 v0, v14, v0
	v_cmp_gt_i64_e64 s[8:9], 0, v[30:31]
	v_not_b32_e32 v17, v33
	v_ashrrev_i32_e32 v13, 31, v13
	v_xor_b32_e32 v23, s7, v12
	v_xor_b32_e32 v12, s6, v12
	v_and_b32_e32 v2, v2, v20
	v_and_b32_e32 v0, v0, v3
	v_cmp_gt_i64_e64 s[10:11], 0, v[32:33]
	v_xor_b32_e32 v25, s9, v13
	v_xor_b32_e32 v13, s8, v13
	v_and_b32_e32 v2, v2, v23
	v_and_b32_e32 v0, v0, v12
	v_ashrrev_i32_e32 v3, 31, v17
	v_and_b32_e32 v2, v2, v25
	v_and_b32_e32 v0, v0, v13
	v_xor_b32_e32 v12, s11, v3
	v_xor_b32_e32 v3, s10, v3
	v_and_b32_e32 v12, v2, v12
	v_and_b32_e32 v0, v0, v3
	v_lshlrev_b32_e32 v3, 25, v19
	v_mov_b32_e32 v2, v1
	v_cmp_gt_i64_e32 vcc, 0, v[2:3]
	v_not_b32_e32 v2, v3
	v_ashrrev_i32_e32 v2, 31, v2
	v_xor_b32_e32 v3, vcc_hi, v2
	v_xor_b32_e32 v2, vcc_lo, v2
	v_and_b32_e32 v12, v12, v3
	v_and_b32_e32 v0, v0, v2
	v_lshlrev_b32_e32 v3, 24, v19
	v_mov_b32_e32 v2, v1
	v_cmp_gt_i64_e32 vcc, 0, v[2:3]
	v_not_b32_e32 v2, v3
	v_ashrrev_i32_e32 v2, 31, v2
	v_xor_b32_e32 v3, vcc_hi, v2
	v_xor_b32_e32 v2, vcc_lo, v2
	v_and_b32_e32 v2, v0, v2
	v_and_b32_e32 v3, v12, v3
	v_mbcnt_lo_u32_b32 v0, v2, 0
	v_mbcnt_hi_u32_b32 v13, v3, v0
	v_cmp_eq_u32_e32 vcc, 0, v13
	v_cmp_ne_u64_e64 s[0:1], 0, v[2:3]
	s_and_b64 s[2:3], s[0:1], vcc
	s_and_saveexec_b64 s[0:1], s[2:3]
; %bb.132:
	v_bcnt_u32_b32 v0, v2, 0
	v_bcnt_u32_b32 v0, v3, v0
	ds_write_b32 v16, v0 offset:64
; %bb.133:
	s_or_b64 exec, exec, s[0:1]
	s_waitcnt vmcnt(6)
	v_xor_b32_e32 v10, 0x80000000, v10
	v_lshrrev_b32_e32 v0, s48, v10
	v_and_b32_e32 v14, s14, v0
	v_mul_lo_u32 v0, v14, s15
	v_lshl_add_u32 v19, v26, 2, v0
	v_and_b32_e32 v0, 1, v14
	v_lshl_add_u64 v[2:3], v[0:1], 0, -1
	v_cmp_ne_u32_e32 vcc, 0, v0
	; wave barrier
	s_nop 1
	v_xor_b32_e32 v2, vcc_lo, v2
	v_xor_b32_e32 v0, vcc_hi, v3
	v_and_b32_e32 v15, exec_lo, v2
	v_lshlrev_b32_e32 v3, 30, v14
	v_mov_b32_e32 v2, v1
	v_cmp_gt_i64_e32 vcc, 0, v[2:3]
	v_not_b32_e32 v2, v3
	v_ashrrev_i32_e32 v2, 31, v2
	v_and_b32_e32 v0, exec_hi, v0
	v_xor_b32_e32 v3, vcc_hi, v2
	v_xor_b32_e32 v2, vcc_lo, v2
	v_and_b32_e32 v0, v0, v3
	v_and_b32_e32 v15, v15, v2
	v_lshlrev_b32_e32 v3, 29, v14
	v_mov_b32_e32 v2, v1
	v_cmp_gt_i64_e32 vcc, 0, v[2:3]
	v_not_b32_e32 v2, v3
	v_ashrrev_i32_e32 v2, 31, v2
	v_xor_b32_e32 v3, vcc_hi, v2
	v_xor_b32_e32 v2, vcc_lo, v2
	v_and_b32_e32 v0, v0, v3
	v_and_b32_e32 v15, v15, v2
	v_lshlrev_b32_e32 v3, 28, v14
	v_mov_b32_e32 v2, v1
	v_cmp_gt_i64_e32 vcc, 0, v[2:3]
	v_not_b32_e32 v2, v3
	v_ashrrev_i32_e32 v2, 31, v2
	;; [unrolled: 9-line block ×5, first 2 shown]
	v_xor_b32_e32 v3, vcc_hi, v2
	v_xor_b32_e32 v2, vcc_lo, v2
	v_and_b32_e32 v0, v0, v3
	v_lshlrev_b32_e32 v3, 24, v14
	v_and_b32_e32 v15, v15, v2
	v_mov_b32_e32 v2, v1
	v_not_b32_e32 v1, v3
	v_cmp_gt_i64_e32 vcc, 0, v[2:3]
	v_ashrrev_i32_e32 v1, 31, v1
	ds_read_b32 v12, v19 offset:64
	v_xor_b32_e32 v2, vcc_hi, v1
	v_xor_b32_e32 v3, vcc_lo, v1
	v_and_b32_e32 v1, v0, v2
	v_and_b32_e32 v0, v15, v3
	v_mbcnt_lo_u32_b32 v2, v0, 0
	v_mbcnt_hi_u32_b32 v15, v1, v2
	v_cmp_eq_u32_e32 vcc, 0, v15
	v_cmp_ne_u64_e64 s[0:1], 0, v[0:1]
	s_and_b64 s[2:3], s[0:1], vcc
	; wave barrier
	s_and_saveexec_b64 s[0:1], s[2:3]
	s_cbranch_execz .LBB2486_135
; %bb.134:
	v_bcnt_u32_b32 v0, v0, 0
	v_bcnt_u32_b32 v0, v1, v0
	s_waitcnt lgkmcnt(0)
	v_add_u32_e32 v0, v12, v0
	ds_write_b32 v19, v0 offset:64
.LBB2486_135:
	s_or_b64 exec, exec, s[0:1]
	s_waitcnt vmcnt(5)
	v_xor_b32_e32 v11, 0x80000000, v11
	v_lshrrev_b32_e32 v0, s48, v11
	v_and_b32_e32 v14, s14, v0
	s_movk_i32 s2, 0x44
	v_mul_lo_u32 v0, v14, s2
	v_lshl_add_u32 v23, v26, 2, v0
	v_and_b32_e32 v0, 1, v14
	v_mov_b32_e32 v1, 0
	v_lshl_add_u64 v[2:3], v[0:1], 0, -1
	v_cmp_ne_u32_e32 vcc, 0, v0
	; wave barrier
	s_nop 1
	v_xor_b32_e32 v2, vcc_lo, v2
	v_xor_b32_e32 v0, vcc_hi, v3
	v_and_b32_e32 v20, exec_lo, v2
	v_lshlrev_b32_e32 v3, 30, v14
	v_mov_b32_e32 v2, v1
	v_cmp_gt_i64_e32 vcc, 0, v[2:3]
	v_not_b32_e32 v2, v3
	v_ashrrev_i32_e32 v2, 31, v2
	v_and_b32_e32 v0, exec_hi, v0
	v_xor_b32_e32 v3, vcc_hi, v2
	v_xor_b32_e32 v2, vcc_lo, v2
	v_and_b32_e32 v0, v0, v3
	v_and_b32_e32 v20, v20, v2
	v_lshlrev_b32_e32 v3, 29, v14
	v_mov_b32_e32 v2, v1
	v_cmp_gt_i64_e32 vcc, 0, v[2:3]
	v_not_b32_e32 v2, v3
	v_ashrrev_i32_e32 v2, 31, v2
	v_xor_b32_e32 v3, vcc_hi, v2
	v_xor_b32_e32 v2, vcc_lo, v2
	v_and_b32_e32 v0, v0, v3
	v_and_b32_e32 v20, v20, v2
	v_lshlrev_b32_e32 v3, 28, v14
	v_mov_b32_e32 v2, v1
	v_cmp_gt_i64_e32 vcc, 0, v[2:3]
	v_not_b32_e32 v2, v3
	v_ashrrev_i32_e32 v2, 31, v2
	;; [unrolled: 9-line block ×6, first 2 shown]
	v_xor_b32_e32 v3, vcc_hi, v2
	v_xor_b32_e32 v2, vcc_lo, v2
	ds_read_b32 v17, v23 offset:64
	v_and_b32_e32 v2, v20, v2
	v_and_b32_e32 v3, v0, v3
	v_mbcnt_lo_u32_b32 v0, v2, 0
	v_mbcnt_hi_u32_b32 v20, v3, v0
	v_cmp_eq_u32_e32 vcc, 0, v20
	v_cmp_ne_u64_e64 s[0:1], 0, v[2:3]
	s_and_b64 s[6:7], s[0:1], vcc
	; wave barrier
	s_and_saveexec_b64 s[0:1], s[6:7]
	s_cbranch_execz .LBB2486_137
; %bb.136:
	v_bcnt_u32_b32 v0, v2, 0
	v_bcnt_u32_b32 v0, v3, v0
	s_waitcnt lgkmcnt(0)
	v_add_u32_e32 v0, v17, v0
	ds_write_b32 v23, v0 offset:64
.LBB2486_137:
	s_or_b64 exec, exec, s[0:1]
	s_waitcnt vmcnt(4)
	v_xor_b32_e32 v14, 0x80000000, v21
	v_lshrrev_b32_e32 v0, s48, v14
	v_and_b32_e32 v25, s14, v0
	v_mul_lo_u32 v0, v25, s2
	v_lshl_add_u32 v29, v26, 2, v0
	v_and_b32_e32 v0, 1, v25
	v_lshl_add_u64 v[2:3], v[0:1], 0, -1
	v_cmp_ne_u32_e32 vcc, 0, v0
	; wave barrier
	s_nop 1
	v_xor_b32_e32 v2, vcc_lo, v2
	v_xor_b32_e32 v0, vcc_hi, v3
	v_and_b32_e32 v27, exec_lo, v2
	v_lshlrev_b32_e32 v3, 30, v25
	v_mov_b32_e32 v2, v1
	v_cmp_gt_i64_e32 vcc, 0, v[2:3]
	v_not_b32_e32 v2, v3
	v_ashrrev_i32_e32 v2, 31, v2
	v_and_b32_e32 v0, exec_hi, v0
	v_xor_b32_e32 v3, vcc_hi, v2
	v_xor_b32_e32 v2, vcc_lo, v2
	v_and_b32_e32 v0, v0, v3
	v_and_b32_e32 v27, v27, v2
	v_lshlrev_b32_e32 v3, 29, v25
	v_mov_b32_e32 v2, v1
	v_cmp_gt_i64_e32 vcc, 0, v[2:3]
	v_not_b32_e32 v2, v3
	v_ashrrev_i32_e32 v2, 31, v2
	v_xor_b32_e32 v3, vcc_hi, v2
	v_xor_b32_e32 v2, vcc_lo, v2
	v_and_b32_e32 v0, v0, v3
	v_and_b32_e32 v27, v27, v2
	v_lshlrev_b32_e32 v3, 28, v25
	v_mov_b32_e32 v2, v1
	v_cmp_gt_i64_e32 vcc, 0, v[2:3]
	v_not_b32_e32 v2, v3
	v_ashrrev_i32_e32 v2, 31, v2
	v_xor_b32_e32 v3, vcc_hi, v2
	v_xor_b32_e32 v2, vcc_lo, v2
	v_and_b32_e32 v0, v0, v3
	v_and_b32_e32 v27, v27, v2
	v_lshlrev_b32_e32 v3, 27, v25
	v_mov_b32_e32 v2, v1
	v_cmp_gt_i64_e32 vcc, 0, v[2:3]
	v_not_b32_e32 v2, v3
	v_ashrrev_i32_e32 v2, 31, v2
	v_xor_b32_e32 v3, vcc_hi, v2
	v_xor_b32_e32 v2, vcc_lo, v2
	v_and_b32_e32 v0, v0, v3
	v_and_b32_e32 v27, v27, v2
	v_lshlrev_b32_e32 v3, 26, v25
	v_mov_b32_e32 v2, v1
	v_cmp_gt_i64_e32 vcc, 0, v[2:3]
	v_not_b32_e32 v2, v3
	v_ashrrev_i32_e32 v2, 31, v2
	v_xor_b32_e32 v3, vcc_hi, v2
	v_xor_b32_e32 v2, vcc_lo, v2
	v_and_b32_e32 v0, v0, v3
	v_and_b32_e32 v27, v27, v2
	v_lshlrev_b32_e32 v3, 25, v25
	v_mov_b32_e32 v2, v1
	v_cmp_gt_i64_e32 vcc, 0, v[2:3]
	v_not_b32_e32 v2, v3
	v_ashrrev_i32_e32 v2, 31, v2
	v_xor_b32_e32 v3, vcc_hi, v2
	v_xor_b32_e32 v2, vcc_lo, v2
	v_and_b32_e32 v0, v0, v3
	v_lshlrev_b32_e32 v3, 24, v25
	v_and_b32_e32 v27, v27, v2
	v_mov_b32_e32 v2, v1
	v_not_b32_e32 v1, v3
	v_cmp_gt_i64_e32 vcc, 0, v[2:3]
	v_ashrrev_i32_e32 v1, 31, v1
	ds_read_b32 v21, v29 offset:64
	v_xor_b32_e32 v2, vcc_hi, v1
	v_xor_b32_e32 v3, vcc_lo, v1
	v_and_b32_e32 v1, v0, v2
	v_and_b32_e32 v0, v27, v3
	v_mbcnt_lo_u32_b32 v2, v0, 0
	v_mbcnt_hi_u32_b32 v25, v1, v2
	v_cmp_eq_u32_e32 vcc, 0, v25
	v_cmp_ne_u64_e64 s[0:1], 0, v[0:1]
	s_and_b64 s[2:3], s[0:1], vcc
	; wave barrier
	s_and_saveexec_b64 s[0:1], s[2:3]
	s_cbranch_execz .LBB2486_139
; %bb.138:
	v_bcnt_u32_b32 v0, v0, 0
	v_bcnt_u32_b32 v0, v1, v0
	s_waitcnt lgkmcnt(0)
	v_add_u32_e32 v0, v21, v0
	ds_write_b32 v29, v0 offset:64
.LBB2486_139:
	s_or_b64 exec, exec, s[0:1]
	s_waitcnt vmcnt(3)
	v_xor_b32_e32 v18, 0x80000000, v18
	v_lshrrev_b32_e32 v0, s48, v18
	v_and_b32_e32 v30, s14, v0
	s_movk_i32 s2, 0x44
	v_mul_lo_u32 v0, v30, s2
	v_lshl_add_u32 v33, v26, 2, v0
	v_and_b32_e32 v0, 1, v30
	v_mov_b32_e32 v1, 0
	v_lshl_add_u64 v[2:3], v[0:1], 0, -1
	v_cmp_ne_u32_e32 vcc, 0, v0
	; wave barrier
	s_nop 1
	v_xor_b32_e32 v2, vcc_lo, v2
	v_xor_b32_e32 v0, vcc_hi, v3
	v_and_b32_e32 v31, exec_lo, v2
	v_lshlrev_b32_e32 v3, 30, v30
	v_mov_b32_e32 v2, v1
	v_cmp_gt_i64_e32 vcc, 0, v[2:3]
	v_not_b32_e32 v2, v3
	v_ashrrev_i32_e32 v2, 31, v2
	v_and_b32_e32 v0, exec_hi, v0
	v_xor_b32_e32 v3, vcc_hi, v2
	v_xor_b32_e32 v2, vcc_lo, v2
	v_and_b32_e32 v0, v0, v3
	v_and_b32_e32 v31, v31, v2
	v_lshlrev_b32_e32 v3, 29, v30
	v_mov_b32_e32 v2, v1
	v_cmp_gt_i64_e32 vcc, 0, v[2:3]
	v_not_b32_e32 v2, v3
	v_ashrrev_i32_e32 v2, 31, v2
	v_xor_b32_e32 v3, vcc_hi, v2
	v_xor_b32_e32 v2, vcc_lo, v2
	v_and_b32_e32 v0, v0, v3
	v_and_b32_e32 v31, v31, v2
	v_lshlrev_b32_e32 v3, 28, v30
	v_mov_b32_e32 v2, v1
	v_cmp_gt_i64_e32 vcc, 0, v[2:3]
	v_not_b32_e32 v2, v3
	v_ashrrev_i32_e32 v2, 31, v2
	;; [unrolled: 9-line block ×6, first 2 shown]
	v_xor_b32_e32 v3, vcc_hi, v2
	v_xor_b32_e32 v2, vcc_lo, v2
	ds_read_b32 v27, v33 offset:64
	v_and_b32_e32 v2, v31, v2
	v_and_b32_e32 v3, v0, v3
	v_mbcnt_lo_u32_b32 v0, v2, 0
	v_mbcnt_hi_u32_b32 v30, v3, v0
	v_cmp_eq_u32_e32 vcc, 0, v30
	v_cmp_ne_u64_e64 s[0:1], 0, v[2:3]
	s_and_b64 s[6:7], s[0:1], vcc
	; wave barrier
	s_and_saveexec_b64 s[0:1], s[6:7]
	s_cbranch_execz .LBB2486_141
; %bb.140:
	v_bcnt_u32_b32 v0, v2, 0
	v_bcnt_u32_b32 v0, v3, v0
	s_waitcnt lgkmcnt(0)
	v_add_u32_e32 v0, v27, v0
	ds_write_b32 v33, v0 offset:64
.LBB2486_141:
	s_or_b64 exec, exec, s[0:1]
	s_waitcnt vmcnt(2)
	v_xor_b32_e32 v22, 0x80000000, v22
	v_lshrrev_b32_e32 v0, s48, v22
	v_and_b32_e32 v32, s14, v0
	v_mul_lo_u32 v0, v32, s2
	v_lshl_add_u32 v36, v26, 2, v0
	v_and_b32_e32 v0, 1, v32
	v_lshl_add_u64 v[2:3], v[0:1], 0, -1
	v_cmp_ne_u32_e32 vcc, 0, v0
	; wave barrier
	s_nop 1
	v_xor_b32_e32 v2, vcc_lo, v2
	v_xor_b32_e32 v0, vcc_hi, v3
	v_and_b32_e32 v34, exec_lo, v2
	v_lshlrev_b32_e32 v3, 30, v32
	v_mov_b32_e32 v2, v1
	v_cmp_gt_i64_e32 vcc, 0, v[2:3]
	v_not_b32_e32 v2, v3
	v_ashrrev_i32_e32 v2, 31, v2
	v_and_b32_e32 v0, exec_hi, v0
	v_xor_b32_e32 v3, vcc_hi, v2
	v_xor_b32_e32 v2, vcc_lo, v2
	v_and_b32_e32 v0, v0, v3
	v_and_b32_e32 v34, v34, v2
	v_lshlrev_b32_e32 v3, 29, v32
	v_mov_b32_e32 v2, v1
	v_cmp_gt_i64_e32 vcc, 0, v[2:3]
	v_not_b32_e32 v2, v3
	v_ashrrev_i32_e32 v2, 31, v2
	v_xor_b32_e32 v3, vcc_hi, v2
	v_xor_b32_e32 v2, vcc_lo, v2
	v_and_b32_e32 v0, v0, v3
	v_and_b32_e32 v34, v34, v2
	v_lshlrev_b32_e32 v3, 28, v32
	v_mov_b32_e32 v2, v1
	v_cmp_gt_i64_e32 vcc, 0, v[2:3]
	v_not_b32_e32 v2, v3
	v_ashrrev_i32_e32 v2, 31, v2
	;; [unrolled: 9-line block ×5, first 2 shown]
	v_xor_b32_e32 v3, vcc_hi, v2
	v_xor_b32_e32 v2, vcc_lo, v2
	v_and_b32_e32 v0, v0, v3
	v_lshlrev_b32_e32 v3, 24, v32
	v_and_b32_e32 v34, v34, v2
	v_mov_b32_e32 v2, v1
	v_not_b32_e32 v1, v3
	v_cmp_gt_i64_e32 vcc, 0, v[2:3]
	v_ashrrev_i32_e32 v1, 31, v1
	ds_read_b32 v31, v36 offset:64
	v_xor_b32_e32 v2, vcc_hi, v1
	v_xor_b32_e32 v3, vcc_lo, v1
	v_and_b32_e32 v1, v0, v2
	v_and_b32_e32 v0, v34, v3
	v_mbcnt_lo_u32_b32 v2, v0, 0
	v_mbcnt_hi_u32_b32 v34, v1, v2
	v_cmp_eq_u32_e32 vcc, 0, v34
	v_cmp_ne_u64_e64 s[0:1], 0, v[0:1]
	s_and_b64 s[2:3], s[0:1], vcc
	; wave barrier
	s_and_saveexec_b64 s[0:1], s[2:3]
	s_cbranch_execz .LBB2486_143
; %bb.142:
	v_bcnt_u32_b32 v0, v0, 0
	v_bcnt_u32_b32 v0, v1, v0
	s_waitcnt lgkmcnt(0)
	v_add_u32_e32 v0, v31, v0
	ds_write_b32 v36, v0 offset:64
.LBB2486_143:
	s_or_b64 exec, exec, s[0:1]
	s_waitcnt vmcnt(1)
	v_xor_b32_e32 v28, 0x80000000, v28
	v_lshrrev_b32_e32 v0, s48, v28
	v_and_b32_e32 v32, s14, v0
	s_movk_i32 s2, 0x44
	v_mul_lo_u32 v0, v32, s2
	v_lshl_add_u32 v38, v26, 2, v0
	v_and_b32_e32 v0, 1, v32
	v_mov_b32_e32 v1, 0
	v_lshl_add_u64 v[2:3], v[0:1], 0, -1
	v_cmp_ne_u32_e32 vcc, 0, v0
	; wave barrier
	s_nop 1
	v_xor_b32_e32 v2, vcc_lo, v2
	v_xor_b32_e32 v0, vcc_hi, v3
	v_and_b32_e32 v37, exec_lo, v2
	v_lshlrev_b32_e32 v3, 30, v32
	v_mov_b32_e32 v2, v1
	v_cmp_gt_i64_e32 vcc, 0, v[2:3]
	v_not_b32_e32 v2, v3
	v_ashrrev_i32_e32 v2, 31, v2
	v_and_b32_e32 v0, exec_hi, v0
	v_xor_b32_e32 v3, vcc_hi, v2
	v_xor_b32_e32 v2, vcc_lo, v2
	v_and_b32_e32 v0, v0, v3
	v_and_b32_e32 v37, v37, v2
	v_lshlrev_b32_e32 v3, 29, v32
	v_mov_b32_e32 v2, v1
	v_cmp_gt_i64_e32 vcc, 0, v[2:3]
	v_not_b32_e32 v2, v3
	v_ashrrev_i32_e32 v2, 31, v2
	v_xor_b32_e32 v3, vcc_hi, v2
	v_xor_b32_e32 v2, vcc_lo, v2
	v_and_b32_e32 v0, v0, v3
	v_and_b32_e32 v37, v37, v2
	v_lshlrev_b32_e32 v3, 28, v32
	v_mov_b32_e32 v2, v1
	v_cmp_gt_i64_e32 vcc, 0, v[2:3]
	v_not_b32_e32 v2, v3
	v_ashrrev_i32_e32 v2, 31, v2
	v_xor_b32_e32 v3, vcc_hi, v2
	v_xor_b32_e32 v2, vcc_lo, v2
	v_and_b32_e32 v0, v0, v3
	v_and_b32_e32 v37, v37, v2
	v_lshlrev_b32_e32 v3, 27, v32
	v_mov_b32_e32 v2, v1
	v_cmp_gt_i64_e32 vcc, 0, v[2:3]
	v_not_b32_e32 v2, v3
	v_ashrrev_i32_e32 v2, 31, v2
	v_xor_b32_e32 v3, vcc_hi, v2
	v_xor_b32_e32 v2, vcc_lo, v2
	v_and_b32_e32 v0, v0, v3
	v_and_b32_e32 v37, v37, v2
	v_lshlrev_b32_e32 v3, 26, v32
	v_mov_b32_e32 v2, v1
	v_cmp_gt_i64_e32 vcc, 0, v[2:3]
	v_not_b32_e32 v2, v3
	v_ashrrev_i32_e32 v2, 31, v2
	v_xor_b32_e32 v3, vcc_hi, v2
	v_xor_b32_e32 v2, vcc_lo, v2
	v_and_b32_e32 v0, v0, v3
	v_and_b32_e32 v37, v37, v2
	v_lshlrev_b32_e32 v3, 25, v32
	v_mov_b32_e32 v2, v1
	v_cmp_gt_i64_e32 vcc, 0, v[2:3]
	v_not_b32_e32 v2, v3
	v_ashrrev_i32_e32 v2, 31, v2
	v_xor_b32_e32 v3, vcc_hi, v2
	v_xor_b32_e32 v2, vcc_lo, v2
	v_and_b32_e32 v0, v0, v3
	v_and_b32_e32 v37, v37, v2
	v_lshlrev_b32_e32 v3, 24, v32
	v_mov_b32_e32 v2, v1
	v_cmp_gt_i64_e32 vcc, 0, v[2:3]
	v_not_b32_e32 v2, v3
	v_ashrrev_i32_e32 v2, 31, v2
	v_xor_b32_e32 v3, vcc_hi, v2
	v_xor_b32_e32 v2, vcc_lo, v2
	ds_read_b32 v35, v38 offset:64
	v_and_b32_e32 v2, v37, v2
	v_and_b32_e32 v3, v0, v3
	v_mbcnt_lo_u32_b32 v0, v2, 0
	v_mbcnt_hi_u32_b32 v37, v3, v0
	v_cmp_eq_u32_e32 vcc, 0, v37
	v_cmp_ne_u64_e64 s[0:1], 0, v[2:3]
	s_and_b64 s[6:7], s[0:1], vcc
	; wave barrier
	s_and_saveexec_b64 s[0:1], s[6:7]
	s_cbranch_execz .LBB2486_145
; %bb.144:
	v_bcnt_u32_b32 v0, v2, 0
	v_bcnt_u32_b32 v0, v3, v0
	s_waitcnt lgkmcnt(0)
	v_add_u32_e32 v0, v35, v0
	ds_write_b32 v38, v0 offset:64
.LBB2486_145:
	s_or_b64 exec, exec, s[0:1]
	s_waitcnt vmcnt(0)
	v_xor_b32_e32 v32, 0x80000000, v24
	v_lshrrev_b32_e32 v0, s48, v32
	v_and_b32_e32 v24, s14, v0
	v_mul_lo_u32 v0, v24, s2
	v_lshl_add_u32 v40, v26, 2, v0
	v_and_b32_e32 v0, 1, v24
	v_lshl_add_u64 v[2:3], v[0:1], 0, -1
	v_cmp_ne_u32_e32 vcc, 0, v0
	; wave barrier
	s_nop 1
	v_xor_b32_e32 v2, vcc_lo, v2
	v_xor_b32_e32 v0, vcc_hi, v3
	v_and_b32_e32 v39, exec_lo, v2
	v_lshlrev_b32_e32 v3, 30, v24
	v_mov_b32_e32 v2, v1
	v_cmp_gt_i64_e32 vcc, 0, v[2:3]
	v_not_b32_e32 v2, v3
	v_ashrrev_i32_e32 v2, 31, v2
	v_and_b32_e32 v0, exec_hi, v0
	v_xor_b32_e32 v3, vcc_hi, v2
	v_xor_b32_e32 v2, vcc_lo, v2
	v_and_b32_e32 v0, v0, v3
	v_and_b32_e32 v39, v39, v2
	v_lshlrev_b32_e32 v3, 29, v24
	v_mov_b32_e32 v2, v1
	v_cmp_gt_i64_e32 vcc, 0, v[2:3]
	v_not_b32_e32 v2, v3
	v_ashrrev_i32_e32 v2, 31, v2
	v_xor_b32_e32 v3, vcc_hi, v2
	v_xor_b32_e32 v2, vcc_lo, v2
	v_and_b32_e32 v0, v0, v3
	v_and_b32_e32 v39, v39, v2
	v_lshlrev_b32_e32 v3, 28, v24
	v_mov_b32_e32 v2, v1
	v_cmp_gt_i64_e32 vcc, 0, v[2:3]
	v_not_b32_e32 v2, v3
	v_ashrrev_i32_e32 v2, 31, v2
	;; [unrolled: 9-line block ×5, first 2 shown]
	v_xor_b32_e32 v3, vcc_hi, v2
	v_xor_b32_e32 v2, vcc_lo, v2
	v_and_b32_e32 v0, v0, v3
	v_lshlrev_b32_e32 v3, 24, v24
	v_and_b32_e32 v39, v39, v2
	v_mov_b32_e32 v2, v1
	v_not_b32_e32 v1, v3
	v_cmp_gt_i64_e32 vcc, 0, v[2:3]
	v_ashrrev_i32_e32 v1, 31, v1
	ds_read_b32 v26, v40 offset:64
	v_xor_b32_e32 v2, vcc_hi, v1
	v_xor_b32_e32 v3, vcc_lo, v1
	v_and_b32_e32 v1, v0, v2
	v_and_b32_e32 v0, v39, v3
	v_mbcnt_lo_u32_b32 v2, v0, 0
	v_mbcnt_hi_u32_b32 v39, v1, v2
	v_cmp_eq_u32_e32 vcc, 0, v39
	v_cmp_ne_u64_e64 s[0:1], 0, v[0:1]
	s_and_b64 s[2:3], s[0:1], vcc
	; wave barrier
	s_and_saveexec_b64 s[0:1], s[2:3]
	s_cbranch_execz .LBB2486_147
; %bb.146:
	v_bcnt_u32_b32 v0, v0, 0
	v_bcnt_u32_b32 v0, v1, v0
	s_waitcnt lgkmcnt(0)
	v_add_u32_e32 v0, v26, v0
	ds_write_b32 v40, v0 offset:64
.LBB2486_147:
	s_or_b64 exec, exec, s[0:1]
	; wave barrier
	s_waitcnt lgkmcnt(0)
	s_barrier
	ds_read2_b32 v[2:3], v5 offset0:16 offset1:17
	ds_read2_b32 v[0:1], v5 offset0:18 offset1:19
	ds_read_b32 v24, v5 offset:80
	v_cmp_lt_u32_e64 s[8:9], 31, v4
	s_waitcnt lgkmcnt(1)
	v_add3_u32 v41, v3, v2, v0
	s_waitcnt lgkmcnt(0)
	v_add3_u32 v24, v41, v1, v24
	v_and_b32_e32 v41, 15, v4
	v_cmp_eq_u32_e32 vcc, 0, v41
	v_mov_b32_dpp v42, v24 row_shr:1 row_mask:0xf bank_mask:0xf
	v_cmp_lt_u32_e64 s[0:1], 1, v41
	v_cndmask_b32_e64 v42, v42, 0, vcc
	v_add_u32_e32 v24, v42, v24
	v_cmp_lt_u32_e64 s[2:3], 3, v41
	v_cmp_lt_u32_e64 s[6:7], 7, v41
	v_mov_b32_dpp v42, v24 row_shr:2 row_mask:0xf bank_mask:0xf
	v_cndmask_b32_e64 v42, 0, v42, s[0:1]
	v_add_u32_e32 v24, v24, v42
	s_nop 1
	v_mov_b32_dpp v42, v24 row_shr:4 row_mask:0xf bank_mask:0xf
	v_cndmask_b32_e64 v42, 0, v42, s[2:3]
	v_add_u32_e32 v24, v24, v42
	s_nop 1
	v_mov_b32_dpp v42, v24 row_shr:8 row_mask:0xf bank_mask:0xf
	v_cndmask_b32_e64 v41, 0, v42, s[6:7]
	v_add_u32_e32 v24, v24, v41
	v_bfe_i32 v42, v4, 4, 1
	s_nop 0
	v_mov_b32_dpp v41, v24 row_bcast:15 row_mask:0xf bank_mask:0xf
	v_and_b32_e32 v41, v42, v41
	v_add_u32_e32 v24, v24, v41
	v_lshrrev_b32_e32 v42, 6, v8
	s_nop 0
	v_mov_b32_dpp v41, v24 row_bcast:31 row_mask:0xf bank_mask:0xf
	v_cndmask_b32_e64 v41, 0, v41, s[8:9]
	v_add_u32_e32 v41, v24, v41
	v_and_b32_e32 v24, 63, v8
	v_cmp_eq_u32_e64 s[8:9], 63, v24
	s_and_saveexec_b64 s[10:11], s[8:9]
; %bb.148:
	v_lshlrev_b32_e32 v24, 2, v42
	ds_write_b32 v24, v41
; %bb.149:
	s_or_b64 exec, exec, s[10:11]
	v_cmp_gt_u32_e64 s[8:9], 16, v8
	v_lshlrev_b32_e32 v24, 2, v8
	s_waitcnt lgkmcnt(0)
	s_barrier
	s_and_saveexec_b64 s[10:11], s[8:9]
	s_cbranch_execz .LBB2486_151
; %bb.150:
	ds_read_b32 v43, v24
	s_waitcnt lgkmcnt(0)
	s_nop 0
	v_mov_b32_dpp v44, v43 row_shr:1 row_mask:0xf bank_mask:0xf
	v_cndmask_b32_e64 v44, v44, 0, vcc
	v_add_u32_e32 v43, v44, v43
	s_nop 1
	v_mov_b32_dpp v44, v43 row_shr:2 row_mask:0xf bank_mask:0xf
	v_cndmask_b32_e64 v44, 0, v44, s[0:1]
	v_add_u32_e32 v43, v43, v44
	s_nop 1
	v_mov_b32_dpp v44, v43 row_shr:4 row_mask:0xf bank_mask:0xf
	v_cndmask_b32_e64 v44, 0, v44, s[2:3]
	;; [unrolled: 4-line block ×3, first 2 shown]
	v_add_u32_e32 v43, v43, v44
	ds_write_b32 v24, v43
.LBB2486_151:
	s_or_b64 exec, exec, s[10:11]
	v_cmp_lt_u32_e32 vcc, 63, v8
	v_mov_b32_e32 v43, 0
	s_waitcnt lgkmcnt(0)
	s_barrier
	s_and_saveexec_b64 s[0:1], vcc
; %bb.152:
	v_lshl_add_u32 v42, v42, 2, -4
	ds_read_b32 v43, v42
; %bb.153:
	s_or_b64 exec, exec, s[0:1]
	v_subrev_co_u32_e32 v42, vcc, 1, v4
	v_and_b32_e32 v44, 64, v4
	v_cmp_lt_i32_e64 s[0:1], v42, v44
	s_waitcnt lgkmcnt(0)
	v_add_u32_e32 v41, v43, v41
	s_movk_i32 s2, 0x100
	v_cndmask_b32_e64 v4, v42, v4, s[0:1]
	v_lshlrev_b32_e32 v4, 2, v4
	ds_bpermute_b32 v4, v4, v41
	s_movk_i32 s0, 0xff
	v_cmp_lt_u32_e64 s[0:1], s0, v8
	s_waitcnt lgkmcnt(0)
	v_cndmask_b32_e32 v4, v4, v43, vcc
	v_cmp_ne_u32_e32 vcc, 0, v8
	s_nop 1
	v_cndmask_b32_e32 v4, 0, v4, vcc
	v_add_u32_e32 v2, v4, v2
	v_add_u32_e32 v3, v2, v3
	;; [unrolled: 1-line block ×4, first 2 shown]
	ds_write2_b32 v5, v4, v2 offset0:16 offset1:17
	ds_write2_b32 v5, v3, v0 offset0:18 offset1:19
	ds_write_b32 v5, v1 offset:80
	s_waitcnt lgkmcnt(0)
	s_barrier
	ds_read_b32 v47, v16 offset:64
	ds_read_b32 v41, v19 offset:64
	;; [unrolled: 1-line block ×8, first 2 shown]
	v_cmp_gt_u32_e32 vcc, s2, v8
                                        ; implicit-def: $vgpr16
                                        ; implicit-def: $vgpr19
	s_and_saveexec_b64 s[6:7], vcc
	s_cbranch_execz .LBB2486_157
; %bb.154:
	v_mul_u32_u24_e32 v0, 0x44, v8
	ds_read_b32 v16, v0 offset:64
	v_add_u32_e32 v1, 1, v8
	v_cmp_ne_u32_e64 s[2:3], s2, v1
	v_mov_b32_e32 v0, 0x2000
	s_and_saveexec_b64 s[8:9], s[2:3]
; %bb.155:
	v_mul_u32_u24_e32 v0, 0x44, v1
	ds_read_b32 v0, v0 offset:64
; %bb.156:
	s_or_b64 exec, exec, s[8:9]
	s_waitcnt lgkmcnt(0)
	v_sub_u32_e32 v19, v0, v16
.LBB2486_157:
	s_or_b64 exec, exec, s[6:7]
	v_mov_b32_e32 v1, 0
	s_waitcnt lgkmcnt(0)
	s_barrier
	s_and_saveexec_b64 s[2:3], vcc
	s_cbranch_execz .LBB2486_167
; %bb.158:
	v_lshl_add_u32 v0, s4, 8, v8
	v_lshl_add_u64 v[2:3], v[0:1], 2, s[52:53]
	v_or_b32_e32 v0, 2.0, v19
	s_mov_b64 s[6:7], 0
	s_brev_b32 s15, -4
	s_mov_b32 s16, s4
	v_mov_b32_e32 v23, 0
	global_store_dword v[2:3], v0, off sc1
                                        ; implicit-def: $sgpr8_sgpr9
	s_branch .LBB2486_161
.LBB2486_159:                           ;   in Loop: Header=BB2486_161 Depth=1
	s_or_b64 exec, exec, s[10:11]
.LBB2486_160:                           ;   in Loop: Header=BB2486_161 Depth=1
	s_or_b64 exec, exec, s[8:9]
	v_and_b32_e32 v4, 0x3fffffff, v0
	v_add_u32_e32 v23, v4, v23
	v_cmp_gt_i32_e64 s[8:9], -2.0, v0
	s_and_b64 s[10:11], exec, s[8:9]
	s_or_b64 s[6:7], s[10:11], s[6:7]
	s_andn2_b64 exec, exec, s[6:7]
	s_cbranch_execz .LBB2486_166
.LBB2486_161:                           ; =>This Loop Header: Depth=1
                                        ;     Child Loop BB2486_164 Depth 2
	s_or_b64 s[8:9], s[8:9], exec
	s_cmp_eq_u32 s16, 0
	s_cbranch_scc1 .LBB2486_165
; %bb.162:                              ;   in Loop: Header=BB2486_161 Depth=1
	s_add_i32 s16, s16, -1
	v_lshl_or_b32 v0, s16, 8, v8
	v_lshl_add_u64 v[4:5], v[0:1], 2, s[52:53]
	global_load_dword v0, v[4:5], off sc1
	s_waitcnt vmcnt(0)
	v_cmp_gt_u32_e32 vcc, 2.0, v0
	s_and_saveexec_b64 s[8:9], vcc
	s_cbranch_execz .LBB2486_160
; %bb.163:                              ;   in Loop: Header=BB2486_161 Depth=1
	s_mov_b64 s[10:11], 0
.LBB2486_164:                           ;   Parent Loop BB2486_161 Depth=1
                                        ; =>  This Inner Loop Header: Depth=2
	global_load_dword v0, v[4:5], off sc1
	s_waitcnt vmcnt(0)
	v_cmp_lt_u32_e32 vcc, s15, v0
	s_or_b64 s[10:11], vcc, s[10:11]
	s_andn2_b64 exec, exec, s[10:11]
	s_cbranch_execnz .LBB2486_164
	s_branch .LBB2486_159
.LBB2486_165:                           ;   in Loop: Header=BB2486_161 Depth=1
                                        ; implicit-def: $sgpr16
	s_and_b64 s[10:11], exec, s[8:9]
	s_or_b64 s[6:7], s[10:11], s[6:7]
	s_andn2_b64 exec, exec, s[6:7]
	s_cbranch_execnz .LBB2486_161
.LBB2486_166:
	s_or_b64 exec, exec, s[6:7]
	v_add_u32_e32 v0, v23, v19
	v_or_b32_e32 v0, 0x80000000, v0
	global_store_dword v[2:3], v0, off sc1
	global_load_dword v0, v24, s[44:45]
	v_sub_u32_e32 v1, v23, v16
	s_waitcnt vmcnt(0)
	v_add_u32_e32 v0, v1, v0
	ds_write_b32 v24, v0
.LBB2486_167:
	s_or_b64 exec, exec, s[2:3]
	v_add_u32_e32 v33, v47, v13
	v_add3_u32 v29, v15, v12, v41
	v_add3_u32 v23, v20, v17, v42
	;; [unrolled: 1-line block ×7, first 2 shown]
	s_mov_b32 s8, 16
	s_mov_b32 s9, s48
	;; [unrolled: 1-line block ×3, first 2 shown]
	v_lshlrev_b32_e32 v36, 2, v2
	v_add3_u32 v26, v39, v38, v26
	v_lshlrev_b32_e32 v38, 2, v3
	v_add3_u32 v35, v37, v46, v35
	;; [unrolled: 2-line block ×7, first 2 shown]
	v_lshlrev_b32_e32 v15, 2, v33
	s_mov_b32 s20, 0
	s_mov_b64 s[2:3], -1
	s_mov_b32 s11, 0
	s_movk_i32 s15, 0x1000
	v_mov_b32_e32 v1, 0
	s_movk_i32 s16, 0x400
	s_movk_i32 s17, 0x800
	;; [unrolled: 1-line block ×3, first 2 shown]
	s_mov_b32 s19, 0
	v_mov_b32_e32 v39, v8
	s_branch .LBB2486_169
.LBB2486_168:                           ;   in Loop: Header=BB2486_169 Depth=1
	s_or_b64 exec, exec, s[6:7]
	s_waitcnt lgkmcnt(0)
	s_barrier
	ds_read2st64_b32 v[40:41], v24 offset0:4 offset1:20
	ds_read2st64_b32 v[44:45], v24 offset0:36 offset1:52
	s_xor_b64 s[6:7], s[2:3], -1
	s_addk_i32 s19, 0xc000
	s_addk_i32 s11, 0xf000
	s_waitcnt lgkmcnt(1)
	v_xor_b32_e32 v48, 0x80000000, v40
	v_lshrrev_b32_e32 v40, s48, v40
	v_lshrrev_b32_e32 v0, s9, v41
	v_and_b32_e32 v40, s14, v40
	v_xor_b32_e32 v49, 0x80000000, v41
	v_and_b32_e32 v41, s10, v0
	v_lshlrev_b32_e32 v0, 2, v40
	ds_read_b32 v0, v0
	s_waitcnt lgkmcnt(1)
	v_lshrrev_b32_e32 v42, s9, v45
	v_lshrrev_b32_e32 v47, s48, v44
	v_and_b32_e32 v43, s10, v42
	v_lshlrev_b32_e32 v46, 2, v41
	v_and_b32_e32 v42, s14, v47
	v_lshlrev_b32_e32 v50, 2, v43
	v_lshlrev_b32_e32 v47, 2, v42
	ds_read_b32 v51, v46
	ds_read_b32 v52, v47
	;; [unrolled: 1-line block ×3, first 2 shown]
	s_waitcnt lgkmcnt(3)
	v_add_u32_e32 v0, v39, v0
	v_lshl_add_u64 v[46:47], v[0:1], 2, s[38:39]
	s_waitcnt lgkmcnt(2)
	v_add3_u32 v0, v39, v51, s16
	global_store_dword v[46:47], v48, off
	v_lshl_add_u64 v[46:47], v[0:1], 2, s[38:39]
	s_waitcnt lgkmcnt(1)
	v_add3_u32 v0, v39, v52, s17
	global_store_dword v[46:47], v49, off
	v_xor_b32_e32 v46, 0x80000000, v44
	v_xor_b32_e32 v47, 0x80000000, v45
	v_lshl_add_u64 v[44:45], v[0:1], 2, s[38:39]
	s_waitcnt lgkmcnt(0)
	v_add3_u32 v0, v39, v50, s18
	global_store_dword v[44:45], v46, off
	v_lshl_add_u64 v[44:45], v[0:1], 2, s[38:39]
	global_store_dword v[44:45], v47, off
	scratch_store_dwordx4 off, v[40:43], s20
	v_add_u32_e32 v39, 0x1000, v39
	s_mov_b64 s[2:3], 0
	s_and_b64 vcc, exec, s[6:7]
	s_mov_b32 s20, s8
	s_barrier
	s_cbranch_vccnz .LBB2486_185
.LBB2486_169:                           ; =>This Inner Loop Header: Depth=1
	v_add_u32_e32 v0, s11, v33
	v_cmp_gt_u32_e32 vcc, s15, v0
	s_and_saveexec_b64 s[6:7], vcc
; %bb.170:                              ;   in Loop: Header=BB2486_169 Depth=1
	v_add_u32_e32 v0, s19, v15
	ds_write_b32 v0, v9 offset:1024
; %bb.171:                              ;   in Loop: Header=BB2486_169 Depth=1
	s_or_b64 exec, exec, s[6:7]
	v_add_u32_e32 v0, s11, v12
	v_cmp_gt_u32_e32 vcc, s15, v0
	s_and_saveexec_b64 s[6:7], vcc
; %bb.172:                              ;   in Loop: Header=BB2486_169 Depth=1
	v_add_u32_e32 v0, s19, v20
	ds_write_b32 v0, v10 offset:1024
; %bb.173:                              ;   in Loop: Header=BB2486_169 Depth=1
	s_or_b64 exec, exec, s[6:7]
	;; [unrolled: 8-line block ×7, first 2 shown]
	v_add_u32_e32 v0, s11, v26
	v_cmp_gt_u32_e32 vcc, s15, v0
	s_and_saveexec_b64 s[6:7], vcc
	s_cbranch_execz .LBB2486_168
; %bb.184:                              ;   in Loop: Header=BB2486_169 Depth=1
	v_add_u32_e32 v0, s19, v36
	ds_write_b32 v0, v32 offset:1024
	s_branch .LBB2486_168
.LBB2486_185:
	s_lshl_b64 s[2:3], s[12:13], 1
	s_add_u32 s2, s40, s2
	s_addc_u32 s3, s41, s3
	v_lshlrev_b32_e32 v0, 1, v7
	v_mov_b32_e32 v1, 0
	v_lshl_add_u64 v[10:11], s[2:3], 0, v[0:1]
	v_lshlrev_b32_e32 v0, 1, v6
	v_lshl_add_u64 v[0:1], v[10:11], 0, v[0:1]
	global_load_ushort v14, v[0:1], off offset:128
	global_load_ushort v12, v[0:1], off offset:256
	;; [unrolled: 1-line block ×7, first 2 shown]
	s_movk_i32 s6, 0x2000
	v_cmp_gt_u32_e32 vcc, s6, v33
	s_and_saveexec_b64 s[2:3], vcc
	s_cbranch_execz .LBB2486_193
; %bb.186:
	global_load_ushort v0, v[0:1], off
	v_lshlrev_b32_e32 v1, 1, v33
	s_waitcnt vmcnt(0)
	ds_write_b16 v1, v0 offset:1024
	s_or_b64 exec, exec, s[2:3]
	v_cmp_gt_u32_e32 vcc, s6, v29
	s_and_saveexec_b64 s[2:3], vcc
	s_cbranch_execnz .LBB2486_194
.LBB2486_187:
	s_or_b64 exec, exec, s[2:3]
	v_cmp_gt_u32_e32 vcc, s6, v23
	s_and_saveexec_b64 s[2:3], vcc
	s_cbranch_execz .LBB2486_195
.LBB2486_188:
	v_lshlrev_b32_e32 v0, 1, v23
	s_waitcnt vmcnt(5)
	ds_write_b16 v0, v12 offset:1024
	s_or_b64 exec, exec, s[2:3]
	v_cmp_gt_u32_e32 vcc, s6, v13
	s_and_saveexec_b64 s[2:3], vcc
	s_cbranch_execnz .LBB2486_196
.LBB2486_189:
	s_or_b64 exec, exec, s[2:3]
	v_cmp_gt_u32_e32 vcc, s6, v5
	s_and_saveexec_b64 s[2:3], vcc
	s_cbranch_execz .LBB2486_197
.LBB2486_190:
	v_lshlrev_b32_e32 v0, 1, v5
	s_waitcnt vmcnt(3)
	ds_write_b16 v0, v10 offset:1024
	s_or_b64 exec, exec, s[2:3]
	v_cmp_gt_u32_e32 vcc, s6, v4
	s_and_saveexec_b64 s[2:3], vcc
	s_cbranch_execnz .LBB2486_198
.LBB2486_191:
	s_or_b64 exec, exec, s[2:3]
	v_cmp_gt_u32_e32 vcc, s6, v3
	s_and_saveexec_b64 s[2:3], vcc
	s_cbranch_execz .LBB2486_199
.LBB2486_192:
	v_lshlrev_b32_e32 v0, 1, v3
	s_waitcnt vmcnt(1)
	ds_write_b16 v0, v7 offset:1024
	s_or_b64 exec, exec, s[2:3]
	v_cmp_gt_u32_e32 vcc, s6, v2
	s_and_saveexec_b64 s[2:3], vcc
	s_cbranch_execnz .LBB2486_200
	s_branch .LBB2486_201
.LBB2486_193:
	s_or_b64 exec, exec, s[2:3]
	v_cmp_gt_u32_e32 vcc, s6, v29
	s_and_saveexec_b64 s[2:3], vcc
	s_cbranch_execz .LBB2486_187
.LBB2486_194:
	v_lshlrev_b32_e32 v0, 1, v29
	s_waitcnt vmcnt(6)
	ds_write_b16 v0, v14 offset:1024
	s_or_b64 exec, exec, s[2:3]
	v_cmp_gt_u32_e32 vcc, s6, v23
	s_and_saveexec_b64 s[2:3], vcc
	s_cbranch_execnz .LBB2486_188
.LBB2486_195:
	s_or_b64 exec, exec, s[2:3]
	v_cmp_gt_u32_e32 vcc, s6, v13
	s_and_saveexec_b64 s[2:3], vcc
	s_cbranch_execz .LBB2486_189
.LBB2486_196:
	v_lshlrev_b32_e32 v0, 1, v13
	s_waitcnt vmcnt(4)
	ds_write_b16 v0, v11 offset:1024
	s_or_b64 exec, exec, s[2:3]
	v_cmp_gt_u32_e32 vcc, s6, v5
	s_and_saveexec_b64 s[2:3], vcc
	s_cbranch_execnz .LBB2486_190
.LBB2486_197:
	s_or_b64 exec, exec, s[2:3]
	v_cmp_gt_u32_e32 vcc, s6, v4
	s_and_saveexec_b64 s[2:3], vcc
	s_cbranch_execz .LBB2486_191
.LBB2486_198:
	v_lshlrev_b32_e32 v0, 1, v4
	s_waitcnt vmcnt(2)
	ds_write_b16 v0, v9 offset:1024
	s_or_b64 exec, exec, s[2:3]
	v_cmp_gt_u32_e32 vcc, s6, v3
	s_and_saveexec_b64 s[2:3], vcc
	s_cbranch_execnz .LBB2486_192
.LBB2486_199:
	s_or_b64 exec, exec, s[2:3]
	v_cmp_gt_u32_e32 vcc, s6, v2
	s_and_saveexec_b64 s[2:3], vcc
	s_cbranch_execz .LBB2486_201
.LBB2486_200:
	v_lshlrev_b32_e32 v0, 1, v2
	s_waitcnt vmcnt(0)
	ds_write_b16 v0, v6 offset:1024
.LBB2486_201:
	s_or_b64 exec, exec, s[2:3]
	s_waitcnt lgkmcnt(0)
	s_barrier
	scratch_load_dwordx4 v[0:3], off, off
	scratch_load_dwordx4 v[4:7], off, off offset:16
	s_waitcnt vmcnt(4)
	v_lshlrev_b32_e32 v9, 1, v8
	v_mov_b32_e32 v11, 0
	s_movk_i32 s6, 0x400
	ds_read_u16 v12, v9 offset:1024
	ds_read_u16 v13, v9 offset:3072
	ds_read_u16 v14, v9 offset:5120
	ds_read_u16 v15, v9 offset:7168
	ds_read_u16 v17, v9 offset:9216
	ds_read_u16 v18, v9 offset:11264
	ds_read_u16 v20, v9 offset:13312
	ds_read_u16 v9, v9 offset:15360
	s_movk_i32 s7, 0x800
	s_movk_i32 s8, 0xc00
	;; [unrolled: 1-line block ×5, first 2 shown]
	s_add_i32 s5, s5, -1
	s_movk_i32 s12, 0x1c00
	s_cmp_eq_u32 s4, s5
	s_cselect_b64 s[2:3], -1, 0
	s_xor_b64 s[0:1], s[0:1], -1
	s_and_b64 s[0:1], s[0:1], s[2:3]
	s_waitcnt vmcnt(1)
	v_lshlrev_b32_e32 v0, 2, v0
	v_lshlrev_b32_e32 v2, 2, v2
	v_lshlrev_b32_e32 v3, 2, v3
	s_waitcnt vmcnt(0)
	v_lshlrev_b32_e32 v4, 2, v4
	v_lshlrev_b32_e32 v5, 2, v5
	;; [unrolled: 1-line block ×5, first 2 shown]
	ds_read_b32 v0, v0
	ds_read_b32 v21, v1
	;; [unrolled: 1-line block ×8, first 2 shown]
	s_waitcnt lgkmcnt(7)
	v_add_u32_e32 v10, v0, v8
	v_lshl_add_u64 v[0:1], v[10:11], 1, s[42:43]
	s_waitcnt lgkmcnt(6)
	v_add3_u32 v10, v21, v8, s6
	global_store_short v[0:1], v12, off
	v_lshl_add_u64 v[0:1], v[10:11], 1, s[42:43]
	s_waitcnt lgkmcnt(5)
	v_add3_u32 v10, v2, v8, s7
	global_store_short v[0:1], v13, off
	;; [unrolled: 4-line block ×7, first 2 shown]
	v_lshl_add_u64 v[0:1], v[10:11], 1, s[42:43]
	global_store_short v[0:1], v9, off
	s_and_saveexec_b64 s[2:3], s[0:1]
	s_cbranch_execz .LBB2486_203
; %bb.202:
	ds_read_b32 v0, v24
	s_waitcnt lgkmcnt(0)
	v_add3_u32 v0, v16, v19, v0
	global_store_dword v24, v0, s[46:47]
.LBB2486_203:
	s_endpgm
	.section	.rodata,"a",@progbits
	.p2align	6, 0x0
	.amdhsa_kernel _ZN7rocprim17ROCPRIM_400000_NS6detail17trampoline_kernelINS0_14default_configENS1_35radix_sort_onesweep_config_selectorIisEEZZNS1_29radix_sort_onesweep_iterationIS3_Lb0EN6thrust23THRUST_200600_302600_NS10device_ptrIiEESA_NS9_IsEESB_jNS0_19identity_decomposerENS1_16block_id_wrapperIjLb0EEEEE10hipError_tT1_PNSt15iterator_traitsISG_E10value_typeET2_T3_PNSH_ISM_E10value_typeET4_T5_PSR_SS_PNS1_23onesweep_lookback_stateEbbT6_jjT7_P12ihipStream_tbENKUlT_T0_SG_SL_E_clIPiSA_PsSB_EEDaSZ_S10_SG_SL_EUlSZ_E_NS1_11comp_targetILNS1_3genE6ELNS1_11target_archE950ELNS1_3gpuE13ELNS1_3repE0EEENS1_47radix_sort_onesweep_sort_config_static_selectorELNS0_4arch9wavefront6targetE1EEEvSG_
		.amdhsa_group_segment_fixed_size 53328
		.amdhsa_private_segment_fixed_size 48
		.amdhsa_kernarg_size 344
		.amdhsa_user_sgpr_count 4
		.amdhsa_user_sgpr_dispatch_ptr 1
		.amdhsa_user_sgpr_queue_ptr 0
		.amdhsa_user_sgpr_kernarg_segment_ptr 1
		.amdhsa_user_sgpr_dispatch_id 0
		.amdhsa_user_sgpr_kernarg_preload_length 0
		.amdhsa_user_sgpr_kernarg_preload_offset 0
		.amdhsa_user_sgpr_private_segment_size 0
		.amdhsa_uses_dynamic_stack 0
		.amdhsa_enable_private_segment 1
		.amdhsa_system_sgpr_workgroup_id_x 1
		.amdhsa_system_sgpr_workgroup_id_y 0
		.amdhsa_system_sgpr_workgroup_id_z 0
		.amdhsa_system_sgpr_workgroup_info 0
		.amdhsa_system_vgpr_workitem_id 2
		.amdhsa_next_free_vgpr 53
		.amdhsa_next_free_sgpr 56
		.amdhsa_accum_offset 56
		.amdhsa_reserve_vcc 1
		.amdhsa_float_round_mode_32 0
		.amdhsa_float_round_mode_16_64 0
		.amdhsa_float_denorm_mode_32 3
		.amdhsa_float_denorm_mode_16_64 3
		.amdhsa_dx10_clamp 1
		.amdhsa_ieee_mode 1
		.amdhsa_fp16_overflow 0
		.amdhsa_tg_split 0
		.amdhsa_exception_fp_ieee_invalid_op 0
		.amdhsa_exception_fp_denorm_src 0
		.amdhsa_exception_fp_ieee_div_zero 0
		.amdhsa_exception_fp_ieee_overflow 0
		.amdhsa_exception_fp_ieee_underflow 0
		.amdhsa_exception_fp_ieee_inexact 0
		.amdhsa_exception_int_div_zero 0
	.end_amdhsa_kernel
	.section	.text._ZN7rocprim17ROCPRIM_400000_NS6detail17trampoline_kernelINS0_14default_configENS1_35radix_sort_onesweep_config_selectorIisEEZZNS1_29radix_sort_onesweep_iterationIS3_Lb0EN6thrust23THRUST_200600_302600_NS10device_ptrIiEESA_NS9_IsEESB_jNS0_19identity_decomposerENS1_16block_id_wrapperIjLb0EEEEE10hipError_tT1_PNSt15iterator_traitsISG_E10value_typeET2_T3_PNSH_ISM_E10value_typeET4_T5_PSR_SS_PNS1_23onesweep_lookback_stateEbbT6_jjT7_P12ihipStream_tbENKUlT_T0_SG_SL_E_clIPiSA_PsSB_EEDaSZ_S10_SG_SL_EUlSZ_E_NS1_11comp_targetILNS1_3genE6ELNS1_11target_archE950ELNS1_3gpuE13ELNS1_3repE0EEENS1_47radix_sort_onesweep_sort_config_static_selectorELNS0_4arch9wavefront6targetE1EEEvSG_,"axG",@progbits,_ZN7rocprim17ROCPRIM_400000_NS6detail17trampoline_kernelINS0_14default_configENS1_35radix_sort_onesweep_config_selectorIisEEZZNS1_29radix_sort_onesweep_iterationIS3_Lb0EN6thrust23THRUST_200600_302600_NS10device_ptrIiEESA_NS9_IsEESB_jNS0_19identity_decomposerENS1_16block_id_wrapperIjLb0EEEEE10hipError_tT1_PNSt15iterator_traitsISG_E10value_typeET2_T3_PNSH_ISM_E10value_typeET4_T5_PSR_SS_PNS1_23onesweep_lookback_stateEbbT6_jjT7_P12ihipStream_tbENKUlT_T0_SG_SL_E_clIPiSA_PsSB_EEDaSZ_S10_SG_SL_EUlSZ_E_NS1_11comp_targetILNS1_3genE6ELNS1_11target_archE950ELNS1_3gpuE13ELNS1_3repE0EEENS1_47radix_sort_onesweep_sort_config_static_selectorELNS0_4arch9wavefront6targetE1EEEvSG_,comdat
.Lfunc_end2486:
	.size	_ZN7rocprim17ROCPRIM_400000_NS6detail17trampoline_kernelINS0_14default_configENS1_35radix_sort_onesweep_config_selectorIisEEZZNS1_29radix_sort_onesweep_iterationIS3_Lb0EN6thrust23THRUST_200600_302600_NS10device_ptrIiEESA_NS9_IsEESB_jNS0_19identity_decomposerENS1_16block_id_wrapperIjLb0EEEEE10hipError_tT1_PNSt15iterator_traitsISG_E10value_typeET2_T3_PNSH_ISM_E10value_typeET4_T5_PSR_SS_PNS1_23onesweep_lookback_stateEbbT6_jjT7_P12ihipStream_tbENKUlT_T0_SG_SL_E_clIPiSA_PsSB_EEDaSZ_S10_SG_SL_EUlSZ_E_NS1_11comp_targetILNS1_3genE6ELNS1_11target_archE950ELNS1_3gpuE13ELNS1_3repE0EEENS1_47radix_sort_onesweep_sort_config_static_selectorELNS0_4arch9wavefront6targetE1EEEvSG_, .Lfunc_end2486-_ZN7rocprim17ROCPRIM_400000_NS6detail17trampoline_kernelINS0_14default_configENS1_35radix_sort_onesweep_config_selectorIisEEZZNS1_29radix_sort_onesweep_iterationIS3_Lb0EN6thrust23THRUST_200600_302600_NS10device_ptrIiEESA_NS9_IsEESB_jNS0_19identity_decomposerENS1_16block_id_wrapperIjLb0EEEEE10hipError_tT1_PNSt15iterator_traitsISG_E10value_typeET2_T3_PNSH_ISM_E10value_typeET4_T5_PSR_SS_PNS1_23onesweep_lookback_stateEbbT6_jjT7_P12ihipStream_tbENKUlT_T0_SG_SL_E_clIPiSA_PsSB_EEDaSZ_S10_SG_SL_EUlSZ_E_NS1_11comp_targetILNS1_3genE6ELNS1_11target_archE950ELNS1_3gpuE13ELNS1_3repE0EEENS1_47radix_sort_onesweep_sort_config_static_selectorELNS0_4arch9wavefront6targetE1EEEvSG_
                                        ; -- End function
	.set _ZN7rocprim17ROCPRIM_400000_NS6detail17trampoline_kernelINS0_14default_configENS1_35radix_sort_onesweep_config_selectorIisEEZZNS1_29radix_sort_onesweep_iterationIS3_Lb0EN6thrust23THRUST_200600_302600_NS10device_ptrIiEESA_NS9_IsEESB_jNS0_19identity_decomposerENS1_16block_id_wrapperIjLb0EEEEE10hipError_tT1_PNSt15iterator_traitsISG_E10value_typeET2_T3_PNSH_ISM_E10value_typeET4_T5_PSR_SS_PNS1_23onesweep_lookback_stateEbbT6_jjT7_P12ihipStream_tbENKUlT_T0_SG_SL_E_clIPiSA_PsSB_EEDaSZ_S10_SG_SL_EUlSZ_E_NS1_11comp_targetILNS1_3genE6ELNS1_11target_archE950ELNS1_3gpuE13ELNS1_3repE0EEENS1_47radix_sort_onesweep_sort_config_static_selectorELNS0_4arch9wavefront6targetE1EEEvSG_.num_vgpr, 53
	.set _ZN7rocprim17ROCPRIM_400000_NS6detail17trampoline_kernelINS0_14default_configENS1_35radix_sort_onesweep_config_selectorIisEEZZNS1_29radix_sort_onesweep_iterationIS3_Lb0EN6thrust23THRUST_200600_302600_NS10device_ptrIiEESA_NS9_IsEESB_jNS0_19identity_decomposerENS1_16block_id_wrapperIjLb0EEEEE10hipError_tT1_PNSt15iterator_traitsISG_E10value_typeET2_T3_PNSH_ISM_E10value_typeET4_T5_PSR_SS_PNS1_23onesweep_lookback_stateEbbT6_jjT7_P12ihipStream_tbENKUlT_T0_SG_SL_E_clIPiSA_PsSB_EEDaSZ_S10_SG_SL_EUlSZ_E_NS1_11comp_targetILNS1_3genE6ELNS1_11target_archE950ELNS1_3gpuE13ELNS1_3repE0EEENS1_47radix_sort_onesweep_sort_config_static_selectorELNS0_4arch9wavefront6targetE1EEEvSG_.num_agpr, 0
	.set _ZN7rocprim17ROCPRIM_400000_NS6detail17trampoline_kernelINS0_14default_configENS1_35radix_sort_onesweep_config_selectorIisEEZZNS1_29radix_sort_onesweep_iterationIS3_Lb0EN6thrust23THRUST_200600_302600_NS10device_ptrIiEESA_NS9_IsEESB_jNS0_19identity_decomposerENS1_16block_id_wrapperIjLb0EEEEE10hipError_tT1_PNSt15iterator_traitsISG_E10value_typeET2_T3_PNSH_ISM_E10value_typeET4_T5_PSR_SS_PNS1_23onesweep_lookback_stateEbbT6_jjT7_P12ihipStream_tbENKUlT_T0_SG_SL_E_clIPiSA_PsSB_EEDaSZ_S10_SG_SL_EUlSZ_E_NS1_11comp_targetILNS1_3genE6ELNS1_11target_archE950ELNS1_3gpuE13ELNS1_3repE0EEENS1_47radix_sort_onesweep_sort_config_static_selectorELNS0_4arch9wavefront6targetE1EEEvSG_.numbered_sgpr, 56
	.set _ZN7rocprim17ROCPRIM_400000_NS6detail17trampoline_kernelINS0_14default_configENS1_35radix_sort_onesweep_config_selectorIisEEZZNS1_29radix_sort_onesweep_iterationIS3_Lb0EN6thrust23THRUST_200600_302600_NS10device_ptrIiEESA_NS9_IsEESB_jNS0_19identity_decomposerENS1_16block_id_wrapperIjLb0EEEEE10hipError_tT1_PNSt15iterator_traitsISG_E10value_typeET2_T3_PNSH_ISM_E10value_typeET4_T5_PSR_SS_PNS1_23onesweep_lookback_stateEbbT6_jjT7_P12ihipStream_tbENKUlT_T0_SG_SL_E_clIPiSA_PsSB_EEDaSZ_S10_SG_SL_EUlSZ_E_NS1_11comp_targetILNS1_3genE6ELNS1_11target_archE950ELNS1_3gpuE13ELNS1_3repE0EEENS1_47radix_sort_onesweep_sort_config_static_selectorELNS0_4arch9wavefront6targetE1EEEvSG_.num_named_barrier, 0
	.set _ZN7rocprim17ROCPRIM_400000_NS6detail17trampoline_kernelINS0_14default_configENS1_35radix_sort_onesweep_config_selectorIisEEZZNS1_29radix_sort_onesweep_iterationIS3_Lb0EN6thrust23THRUST_200600_302600_NS10device_ptrIiEESA_NS9_IsEESB_jNS0_19identity_decomposerENS1_16block_id_wrapperIjLb0EEEEE10hipError_tT1_PNSt15iterator_traitsISG_E10value_typeET2_T3_PNSH_ISM_E10value_typeET4_T5_PSR_SS_PNS1_23onesweep_lookback_stateEbbT6_jjT7_P12ihipStream_tbENKUlT_T0_SG_SL_E_clIPiSA_PsSB_EEDaSZ_S10_SG_SL_EUlSZ_E_NS1_11comp_targetILNS1_3genE6ELNS1_11target_archE950ELNS1_3gpuE13ELNS1_3repE0EEENS1_47radix_sort_onesweep_sort_config_static_selectorELNS0_4arch9wavefront6targetE1EEEvSG_.private_seg_size, 48
	.set _ZN7rocprim17ROCPRIM_400000_NS6detail17trampoline_kernelINS0_14default_configENS1_35radix_sort_onesweep_config_selectorIisEEZZNS1_29radix_sort_onesweep_iterationIS3_Lb0EN6thrust23THRUST_200600_302600_NS10device_ptrIiEESA_NS9_IsEESB_jNS0_19identity_decomposerENS1_16block_id_wrapperIjLb0EEEEE10hipError_tT1_PNSt15iterator_traitsISG_E10value_typeET2_T3_PNSH_ISM_E10value_typeET4_T5_PSR_SS_PNS1_23onesweep_lookback_stateEbbT6_jjT7_P12ihipStream_tbENKUlT_T0_SG_SL_E_clIPiSA_PsSB_EEDaSZ_S10_SG_SL_EUlSZ_E_NS1_11comp_targetILNS1_3genE6ELNS1_11target_archE950ELNS1_3gpuE13ELNS1_3repE0EEENS1_47radix_sort_onesweep_sort_config_static_selectorELNS0_4arch9wavefront6targetE1EEEvSG_.uses_vcc, 1
	.set _ZN7rocprim17ROCPRIM_400000_NS6detail17trampoline_kernelINS0_14default_configENS1_35radix_sort_onesweep_config_selectorIisEEZZNS1_29radix_sort_onesweep_iterationIS3_Lb0EN6thrust23THRUST_200600_302600_NS10device_ptrIiEESA_NS9_IsEESB_jNS0_19identity_decomposerENS1_16block_id_wrapperIjLb0EEEEE10hipError_tT1_PNSt15iterator_traitsISG_E10value_typeET2_T3_PNSH_ISM_E10value_typeET4_T5_PSR_SS_PNS1_23onesweep_lookback_stateEbbT6_jjT7_P12ihipStream_tbENKUlT_T0_SG_SL_E_clIPiSA_PsSB_EEDaSZ_S10_SG_SL_EUlSZ_E_NS1_11comp_targetILNS1_3genE6ELNS1_11target_archE950ELNS1_3gpuE13ELNS1_3repE0EEENS1_47radix_sort_onesweep_sort_config_static_selectorELNS0_4arch9wavefront6targetE1EEEvSG_.uses_flat_scratch, 0
	.set _ZN7rocprim17ROCPRIM_400000_NS6detail17trampoline_kernelINS0_14default_configENS1_35radix_sort_onesweep_config_selectorIisEEZZNS1_29radix_sort_onesweep_iterationIS3_Lb0EN6thrust23THRUST_200600_302600_NS10device_ptrIiEESA_NS9_IsEESB_jNS0_19identity_decomposerENS1_16block_id_wrapperIjLb0EEEEE10hipError_tT1_PNSt15iterator_traitsISG_E10value_typeET2_T3_PNSH_ISM_E10value_typeET4_T5_PSR_SS_PNS1_23onesweep_lookback_stateEbbT6_jjT7_P12ihipStream_tbENKUlT_T0_SG_SL_E_clIPiSA_PsSB_EEDaSZ_S10_SG_SL_EUlSZ_E_NS1_11comp_targetILNS1_3genE6ELNS1_11target_archE950ELNS1_3gpuE13ELNS1_3repE0EEENS1_47radix_sort_onesweep_sort_config_static_selectorELNS0_4arch9wavefront6targetE1EEEvSG_.has_dyn_sized_stack, 0
	.set _ZN7rocprim17ROCPRIM_400000_NS6detail17trampoline_kernelINS0_14default_configENS1_35radix_sort_onesweep_config_selectorIisEEZZNS1_29radix_sort_onesweep_iterationIS3_Lb0EN6thrust23THRUST_200600_302600_NS10device_ptrIiEESA_NS9_IsEESB_jNS0_19identity_decomposerENS1_16block_id_wrapperIjLb0EEEEE10hipError_tT1_PNSt15iterator_traitsISG_E10value_typeET2_T3_PNSH_ISM_E10value_typeET4_T5_PSR_SS_PNS1_23onesweep_lookback_stateEbbT6_jjT7_P12ihipStream_tbENKUlT_T0_SG_SL_E_clIPiSA_PsSB_EEDaSZ_S10_SG_SL_EUlSZ_E_NS1_11comp_targetILNS1_3genE6ELNS1_11target_archE950ELNS1_3gpuE13ELNS1_3repE0EEENS1_47radix_sort_onesweep_sort_config_static_selectorELNS0_4arch9wavefront6targetE1EEEvSG_.has_recursion, 0
	.set _ZN7rocprim17ROCPRIM_400000_NS6detail17trampoline_kernelINS0_14default_configENS1_35radix_sort_onesweep_config_selectorIisEEZZNS1_29radix_sort_onesweep_iterationIS3_Lb0EN6thrust23THRUST_200600_302600_NS10device_ptrIiEESA_NS9_IsEESB_jNS0_19identity_decomposerENS1_16block_id_wrapperIjLb0EEEEE10hipError_tT1_PNSt15iterator_traitsISG_E10value_typeET2_T3_PNSH_ISM_E10value_typeET4_T5_PSR_SS_PNS1_23onesweep_lookback_stateEbbT6_jjT7_P12ihipStream_tbENKUlT_T0_SG_SL_E_clIPiSA_PsSB_EEDaSZ_S10_SG_SL_EUlSZ_E_NS1_11comp_targetILNS1_3genE6ELNS1_11target_archE950ELNS1_3gpuE13ELNS1_3repE0EEENS1_47radix_sort_onesweep_sort_config_static_selectorELNS0_4arch9wavefront6targetE1EEEvSG_.has_indirect_call, 0
	.section	.AMDGPU.csdata,"",@progbits
; Kernel info:
; codeLenInByte = 13712
; TotalNumSgprs: 62
; NumVgprs: 53
; NumAgprs: 0
; TotalNumVgprs: 53
; ScratchSize: 48
; MemoryBound: 0
; FloatMode: 240
; IeeeMode: 1
; LDSByteSize: 53328 bytes/workgroup (compile time only)
; SGPRBlocks: 7
; VGPRBlocks: 6
; NumSGPRsForWavesPerEU: 62
; NumVGPRsForWavesPerEU: 53
; AccumOffset: 56
; Occupancy: 8
; WaveLimiterHint : 1
; COMPUTE_PGM_RSRC2:SCRATCH_EN: 1
; COMPUTE_PGM_RSRC2:USER_SGPR: 4
; COMPUTE_PGM_RSRC2:TRAP_HANDLER: 0
; COMPUTE_PGM_RSRC2:TGID_X_EN: 1
; COMPUTE_PGM_RSRC2:TGID_Y_EN: 0
; COMPUTE_PGM_RSRC2:TGID_Z_EN: 0
; COMPUTE_PGM_RSRC2:TIDIG_COMP_CNT: 2
; COMPUTE_PGM_RSRC3_GFX90A:ACCUM_OFFSET: 13
; COMPUTE_PGM_RSRC3_GFX90A:TG_SPLIT: 0
	.section	.text._ZN7rocprim17ROCPRIM_400000_NS6detail17trampoline_kernelINS0_14default_configENS1_35radix_sort_onesweep_config_selectorIisEEZZNS1_29radix_sort_onesweep_iterationIS3_Lb0EN6thrust23THRUST_200600_302600_NS10device_ptrIiEESA_NS9_IsEESB_jNS0_19identity_decomposerENS1_16block_id_wrapperIjLb0EEEEE10hipError_tT1_PNSt15iterator_traitsISG_E10value_typeET2_T3_PNSH_ISM_E10value_typeET4_T5_PSR_SS_PNS1_23onesweep_lookback_stateEbbT6_jjT7_P12ihipStream_tbENKUlT_T0_SG_SL_E_clIPiSA_PsSB_EEDaSZ_S10_SG_SL_EUlSZ_E_NS1_11comp_targetILNS1_3genE5ELNS1_11target_archE942ELNS1_3gpuE9ELNS1_3repE0EEENS1_47radix_sort_onesweep_sort_config_static_selectorELNS0_4arch9wavefront6targetE1EEEvSG_,"axG",@progbits,_ZN7rocprim17ROCPRIM_400000_NS6detail17trampoline_kernelINS0_14default_configENS1_35radix_sort_onesweep_config_selectorIisEEZZNS1_29radix_sort_onesweep_iterationIS3_Lb0EN6thrust23THRUST_200600_302600_NS10device_ptrIiEESA_NS9_IsEESB_jNS0_19identity_decomposerENS1_16block_id_wrapperIjLb0EEEEE10hipError_tT1_PNSt15iterator_traitsISG_E10value_typeET2_T3_PNSH_ISM_E10value_typeET4_T5_PSR_SS_PNS1_23onesweep_lookback_stateEbbT6_jjT7_P12ihipStream_tbENKUlT_T0_SG_SL_E_clIPiSA_PsSB_EEDaSZ_S10_SG_SL_EUlSZ_E_NS1_11comp_targetILNS1_3genE5ELNS1_11target_archE942ELNS1_3gpuE9ELNS1_3repE0EEENS1_47radix_sort_onesweep_sort_config_static_selectorELNS0_4arch9wavefront6targetE1EEEvSG_,comdat
	.protected	_ZN7rocprim17ROCPRIM_400000_NS6detail17trampoline_kernelINS0_14default_configENS1_35radix_sort_onesweep_config_selectorIisEEZZNS1_29radix_sort_onesweep_iterationIS3_Lb0EN6thrust23THRUST_200600_302600_NS10device_ptrIiEESA_NS9_IsEESB_jNS0_19identity_decomposerENS1_16block_id_wrapperIjLb0EEEEE10hipError_tT1_PNSt15iterator_traitsISG_E10value_typeET2_T3_PNSH_ISM_E10value_typeET4_T5_PSR_SS_PNS1_23onesweep_lookback_stateEbbT6_jjT7_P12ihipStream_tbENKUlT_T0_SG_SL_E_clIPiSA_PsSB_EEDaSZ_S10_SG_SL_EUlSZ_E_NS1_11comp_targetILNS1_3genE5ELNS1_11target_archE942ELNS1_3gpuE9ELNS1_3repE0EEENS1_47radix_sort_onesweep_sort_config_static_selectorELNS0_4arch9wavefront6targetE1EEEvSG_ ; -- Begin function _ZN7rocprim17ROCPRIM_400000_NS6detail17trampoline_kernelINS0_14default_configENS1_35radix_sort_onesweep_config_selectorIisEEZZNS1_29radix_sort_onesweep_iterationIS3_Lb0EN6thrust23THRUST_200600_302600_NS10device_ptrIiEESA_NS9_IsEESB_jNS0_19identity_decomposerENS1_16block_id_wrapperIjLb0EEEEE10hipError_tT1_PNSt15iterator_traitsISG_E10value_typeET2_T3_PNSH_ISM_E10value_typeET4_T5_PSR_SS_PNS1_23onesweep_lookback_stateEbbT6_jjT7_P12ihipStream_tbENKUlT_T0_SG_SL_E_clIPiSA_PsSB_EEDaSZ_S10_SG_SL_EUlSZ_E_NS1_11comp_targetILNS1_3genE5ELNS1_11target_archE942ELNS1_3gpuE9ELNS1_3repE0EEENS1_47radix_sort_onesweep_sort_config_static_selectorELNS0_4arch9wavefront6targetE1EEEvSG_
	.globl	_ZN7rocprim17ROCPRIM_400000_NS6detail17trampoline_kernelINS0_14default_configENS1_35radix_sort_onesweep_config_selectorIisEEZZNS1_29radix_sort_onesweep_iterationIS3_Lb0EN6thrust23THRUST_200600_302600_NS10device_ptrIiEESA_NS9_IsEESB_jNS0_19identity_decomposerENS1_16block_id_wrapperIjLb0EEEEE10hipError_tT1_PNSt15iterator_traitsISG_E10value_typeET2_T3_PNSH_ISM_E10value_typeET4_T5_PSR_SS_PNS1_23onesweep_lookback_stateEbbT6_jjT7_P12ihipStream_tbENKUlT_T0_SG_SL_E_clIPiSA_PsSB_EEDaSZ_S10_SG_SL_EUlSZ_E_NS1_11comp_targetILNS1_3genE5ELNS1_11target_archE942ELNS1_3gpuE9ELNS1_3repE0EEENS1_47radix_sort_onesweep_sort_config_static_selectorELNS0_4arch9wavefront6targetE1EEEvSG_
	.p2align	8
	.type	_ZN7rocprim17ROCPRIM_400000_NS6detail17trampoline_kernelINS0_14default_configENS1_35radix_sort_onesweep_config_selectorIisEEZZNS1_29radix_sort_onesweep_iterationIS3_Lb0EN6thrust23THRUST_200600_302600_NS10device_ptrIiEESA_NS9_IsEESB_jNS0_19identity_decomposerENS1_16block_id_wrapperIjLb0EEEEE10hipError_tT1_PNSt15iterator_traitsISG_E10value_typeET2_T3_PNSH_ISM_E10value_typeET4_T5_PSR_SS_PNS1_23onesweep_lookback_stateEbbT6_jjT7_P12ihipStream_tbENKUlT_T0_SG_SL_E_clIPiSA_PsSB_EEDaSZ_S10_SG_SL_EUlSZ_E_NS1_11comp_targetILNS1_3genE5ELNS1_11target_archE942ELNS1_3gpuE9ELNS1_3repE0EEENS1_47radix_sort_onesweep_sort_config_static_selectorELNS0_4arch9wavefront6targetE1EEEvSG_,@function
_ZN7rocprim17ROCPRIM_400000_NS6detail17trampoline_kernelINS0_14default_configENS1_35radix_sort_onesweep_config_selectorIisEEZZNS1_29radix_sort_onesweep_iterationIS3_Lb0EN6thrust23THRUST_200600_302600_NS10device_ptrIiEESA_NS9_IsEESB_jNS0_19identity_decomposerENS1_16block_id_wrapperIjLb0EEEEE10hipError_tT1_PNSt15iterator_traitsISG_E10value_typeET2_T3_PNSH_ISM_E10value_typeET4_T5_PSR_SS_PNS1_23onesweep_lookback_stateEbbT6_jjT7_P12ihipStream_tbENKUlT_T0_SG_SL_E_clIPiSA_PsSB_EEDaSZ_S10_SG_SL_EUlSZ_E_NS1_11comp_targetILNS1_3genE5ELNS1_11target_archE942ELNS1_3gpuE9ELNS1_3repE0EEENS1_47radix_sort_onesweep_sort_config_static_selectorELNS0_4arch9wavefront6targetE1EEEvSG_: ; @_ZN7rocprim17ROCPRIM_400000_NS6detail17trampoline_kernelINS0_14default_configENS1_35radix_sort_onesweep_config_selectorIisEEZZNS1_29radix_sort_onesweep_iterationIS3_Lb0EN6thrust23THRUST_200600_302600_NS10device_ptrIiEESA_NS9_IsEESB_jNS0_19identity_decomposerENS1_16block_id_wrapperIjLb0EEEEE10hipError_tT1_PNSt15iterator_traitsISG_E10value_typeET2_T3_PNSH_ISM_E10value_typeET4_T5_PSR_SS_PNS1_23onesweep_lookback_stateEbbT6_jjT7_P12ihipStream_tbENKUlT_T0_SG_SL_E_clIPiSA_PsSB_EEDaSZ_S10_SG_SL_EUlSZ_E_NS1_11comp_targetILNS1_3genE5ELNS1_11target_archE942ELNS1_3gpuE9ELNS1_3repE0EEENS1_47radix_sort_onesweep_sort_config_static_selectorELNS0_4arch9wavefront6targetE1EEEvSG_
; %bb.0:
	.section	.rodata,"a",@progbits
	.p2align	6, 0x0
	.amdhsa_kernel _ZN7rocprim17ROCPRIM_400000_NS6detail17trampoline_kernelINS0_14default_configENS1_35radix_sort_onesweep_config_selectorIisEEZZNS1_29radix_sort_onesweep_iterationIS3_Lb0EN6thrust23THRUST_200600_302600_NS10device_ptrIiEESA_NS9_IsEESB_jNS0_19identity_decomposerENS1_16block_id_wrapperIjLb0EEEEE10hipError_tT1_PNSt15iterator_traitsISG_E10value_typeET2_T3_PNSH_ISM_E10value_typeET4_T5_PSR_SS_PNS1_23onesweep_lookback_stateEbbT6_jjT7_P12ihipStream_tbENKUlT_T0_SG_SL_E_clIPiSA_PsSB_EEDaSZ_S10_SG_SL_EUlSZ_E_NS1_11comp_targetILNS1_3genE5ELNS1_11target_archE942ELNS1_3gpuE9ELNS1_3repE0EEENS1_47radix_sort_onesweep_sort_config_static_selectorELNS0_4arch9wavefront6targetE1EEEvSG_
		.amdhsa_group_segment_fixed_size 0
		.amdhsa_private_segment_fixed_size 0
		.amdhsa_kernarg_size 88
		.amdhsa_user_sgpr_count 2
		.amdhsa_user_sgpr_dispatch_ptr 0
		.amdhsa_user_sgpr_queue_ptr 0
		.amdhsa_user_sgpr_kernarg_segment_ptr 1
		.amdhsa_user_sgpr_dispatch_id 0
		.amdhsa_user_sgpr_kernarg_preload_length 0
		.amdhsa_user_sgpr_kernarg_preload_offset 0
		.amdhsa_user_sgpr_private_segment_size 0
		.amdhsa_uses_dynamic_stack 0
		.amdhsa_enable_private_segment 0
		.amdhsa_system_sgpr_workgroup_id_x 1
		.amdhsa_system_sgpr_workgroup_id_y 0
		.amdhsa_system_sgpr_workgroup_id_z 0
		.amdhsa_system_sgpr_workgroup_info 0
		.amdhsa_system_vgpr_workitem_id 0
		.amdhsa_next_free_vgpr 1
		.amdhsa_next_free_sgpr 0
		.amdhsa_accum_offset 4
		.amdhsa_reserve_vcc 0
		.amdhsa_float_round_mode_32 0
		.amdhsa_float_round_mode_16_64 0
		.amdhsa_float_denorm_mode_32 3
		.amdhsa_float_denorm_mode_16_64 3
		.amdhsa_dx10_clamp 1
		.amdhsa_ieee_mode 1
		.amdhsa_fp16_overflow 0
		.amdhsa_tg_split 0
		.amdhsa_exception_fp_ieee_invalid_op 0
		.amdhsa_exception_fp_denorm_src 0
		.amdhsa_exception_fp_ieee_div_zero 0
		.amdhsa_exception_fp_ieee_overflow 0
		.amdhsa_exception_fp_ieee_underflow 0
		.amdhsa_exception_fp_ieee_inexact 0
		.amdhsa_exception_int_div_zero 0
	.end_amdhsa_kernel
	.section	.text._ZN7rocprim17ROCPRIM_400000_NS6detail17trampoline_kernelINS0_14default_configENS1_35radix_sort_onesweep_config_selectorIisEEZZNS1_29radix_sort_onesweep_iterationIS3_Lb0EN6thrust23THRUST_200600_302600_NS10device_ptrIiEESA_NS9_IsEESB_jNS0_19identity_decomposerENS1_16block_id_wrapperIjLb0EEEEE10hipError_tT1_PNSt15iterator_traitsISG_E10value_typeET2_T3_PNSH_ISM_E10value_typeET4_T5_PSR_SS_PNS1_23onesweep_lookback_stateEbbT6_jjT7_P12ihipStream_tbENKUlT_T0_SG_SL_E_clIPiSA_PsSB_EEDaSZ_S10_SG_SL_EUlSZ_E_NS1_11comp_targetILNS1_3genE5ELNS1_11target_archE942ELNS1_3gpuE9ELNS1_3repE0EEENS1_47radix_sort_onesweep_sort_config_static_selectorELNS0_4arch9wavefront6targetE1EEEvSG_,"axG",@progbits,_ZN7rocprim17ROCPRIM_400000_NS6detail17trampoline_kernelINS0_14default_configENS1_35radix_sort_onesweep_config_selectorIisEEZZNS1_29radix_sort_onesweep_iterationIS3_Lb0EN6thrust23THRUST_200600_302600_NS10device_ptrIiEESA_NS9_IsEESB_jNS0_19identity_decomposerENS1_16block_id_wrapperIjLb0EEEEE10hipError_tT1_PNSt15iterator_traitsISG_E10value_typeET2_T3_PNSH_ISM_E10value_typeET4_T5_PSR_SS_PNS1_23onesweep_lookback_stateEbbT6_jjT7_P12ihipStream_tbENKUlT_T0_SG_SL_E_clIPiSA_PsSB_EEDaSZ_S10_SG_SL_EUlSZ_E_NS1_11comp_targetILNS1_3genE5ELNS1_11target_archE942ELNS1_3gpuE9ELNS1_3repE0EEENS1_47radix_sort_onesweep_sort_config_static_selectorELNS0_4arch9wavefront6targetE1EEEvSG_,comdat
.Lfunc_end2487:
	.size	_ZN7rocprim17ROCPRIM_400000_NS6detail17trampoline_kernelINS0_14default_configENS1_35radix_sort_onesweep_config_selectorIisEEZZNS1_29radix_sort_onesweep_iterationIS3_Lb0EN6thrust23THRUST_200600_302600_NS10device_ptrIiEESA_NS9_IsEESB_jNS0_19identity_decomposerENS1_16block_id_wrapperIjLb0EEEEE10hipError_tT1_PNSt15iterator_traitsISG_E10value_typeET2_T3_PNSH_ISM_E10value_typeET4_T5_PSR_SS_PNS1_23onesweep_lookback_stateEbbT6_jjT7_P12ihipStream_tbENKUlT_T0_SG_SL_E_clIPiSA_PsSB_EEDaSZ_S10_SG_SL_EUlSZ_E_NS1_11comp_targetILNS1_3genE5ELNS1_11target_archE942ELNS1_3gpuE9ELNS1_3repE0EEENS1_47radix_sort_onesweep_sort_config_static_selectorELNS0_4arch9wavefront6targetE1EEEvSG_, .Lfunc_end2487-_ZN7rocprim17ROCPRIM_400000_NS6detail17trampoline_kernelINS0_14default_configENS1_35radix_sort_onesweep_config_selectorIisEEZZNS1_29radix_sort_onesweep_iterationIS3_Lb0EN6thrust23THRUST_200600_302600_NS10device_ptrIiEESA_NS9_IsEESB_jNS0_19identity_decomposerENS1_16block_id_wrapperIjLb0EEEEE10hipError_tT1_PNSt15iterator_traitsISG_E10value_typeET2_T3_PNSH_ISM_E10value_typeET4_T5_PSR_SS_PNS1_23onesweep_lookback_stateEbbT6_jjT7_P12ihipStream_tbENKUlT_T0_SG_SL_E_clIPiSA_PsSB_EEDaSZ_S10_SG_SL_EUlSZ_E_NS1_11comp_targetILNS1_3genE5ELNS1_11target_archE942ELNS1_3gpuE9ELNS1_3repE0EEENS1_47radix_sort_onesweep_sort_config_static_selectorELNS0_4arch9wavefront6targetE1EEEvSG_
                                        ; -- End function
	.set _ZN7rocprim17ROCPRIM_400000_NS6detail17trampoline_kernelINS0_14default_configENS1_35radix_sort_onesweep_config_selectorIisEEZZNS1_29radix_sort_onesweep_iterationIS3_Lb0EN6thrust23THRUST_200600_302600_NS10device_ptrIiEESA_NS9_IsEESB_jNS0_19identity_decomposerENS1_16block_id_wrapperIjLb0EEEEE10hipError_tT1_PNSt15iterator_traitsISG_E10value_typeET2_T3_PNSH_ISM_E10value_typeET4_T5_PSR_SS_PNS1_23onesweep_lookback_stateEbbT6_jjT7_P12ihipStream_tbENKUlT_T0_SG_SL_E_clIPiSA_PsSB_EEDaSZ_S10_SG_SL_EUlSZ_E_NS1_11comp_targetILNS1_3genE5ELNS1_11target_archE942ELNS1_3gpuE9ELNS1_3repE0EEENS1_47radix_sort_onesweep_sort_config_static_selectorELNS0_4arch9wavefront6targetE1EEEvSG_.num_vgpr, 0
	.set _ZN7rocprim17ROCPRIM_400000_NS6detail17trampoline_kernelINS0_14default_configENS1_35radix_sort_onesweep_config_selectorIisEEZZNS1_29radix_sort_onesweep_iterationIS3_Lb0EN6thrust23THRUST_200600_302600_NS10device_ptrIiEESA_NS9_IsEESB_jNS0_19identity_decomposerENS1_16block_id_wrapperIjLb0EEEEE10hipError_tT1_PNSt15iterator_traitsISG_E10value_typeET2_T3_PNSH_ISM_E10value_typeET4_T5_PSR_SS_PNS1_23onesweep_lookback_stateEbbT6_jjT7_P12ihipStream_tbENKUlT_T0_SG_SL_E_clIPiSA_PsSB_EEDaSZ_S10_SG_SL_EUlSZ_E_NS1_11comp_targetILNS1_3genE5ELNS1_11target_archE942ELNS1_3gpuE9ELNS1_3repE0EEENS1_47radix_sort_onesweep_sort_config_static_selectorELNS0_4arch9wavefront6targetE1EEEvSG_.num_agpr, 0
	.set _ZN7rocprim17ROCPRIM_400000_NS6detail17trampoline_kernelINS0_14default_configENS1_35radix_sort_onesweep_config_selectorIisEEZZNS1_29radix_sort_onesweep_iterationIS3_Lb0EN6thrust23THRUST_200600_302600_NS10device_ptrIiEESA_NS9_IsEESB_jNS0_19identity_decomposerENS1_16block_id_wrapperIjLb0EEEEE10hipError_tT1_PNSt15iterator_traitsISG_E10value_typeET2_T3_PNSH_ISM_E10value_typeET4_T5_PSR_SS_PNS1_23onesweep_lookback_stateEbbT6_jjT7_P12ihipStream_tbENKUlT_T0_SG_SL_E_clIPiSA_PsSB_EEDaSZ_S10_SG_SL_EUlSZ_E_NS1_11comp_targetILNS1_3genE5ELNS1_11target_archE942ELNS1_3gpuE9ELNS1_3repE0EEENS1_47radix_sort_onesweep_sort_config_static_selectorELNS0_4arch9wavefront6targetE1EEEvSG_.numbered_sgpr, 0
	.set _ZN7rocprim17ROCPRIM_400000_NS6detail17trampoline_kernelINS0_14default_configENS1_35radix_sort_onesweep_config_selectorIisEEZZNS1_29radix_sort_onesweep_iterationIS3_Lb0EN6thrust23THRUST_200600_302600_NS10device_ptrIiEESA_NS9_IsEESB_jNS0_19identity_decomposerENS1_16block_id_wrapperIjLb0EEEEE10hipError_tT1_PNSt15iterator_traitsISG_E10value_typeET2_T3_PNSH_ISM_E10value_typeET4_T5_PSR_SS_PNS1_23onesweep_lookback_stateEbbT6_jjT7_P12ihipStream_tbENKUlT_T0_SG_SL_E_clIPiSA_PsSB_EEDaSZ_S10_SG_SL_EUlSZ_E_NS1_11comp_targetILNS1_3genE5ELNS1_11target_archE942ELNS1_3gpuE9ELNS1_3repE0EEENS1_47radix_sort_onesweep_sort_config_static_selectorELNS0_4arch9wavefront6targetE1EEEvSG_.num_named_barrier, 0
	.set _ZN7rocprim17ROCPRIM_400000_NS6detail17trampoline_kernelINS0_14default_configENS1_35radix_sort_onesweep_config_selectorIisEEZZNS1_29radix_sort_onesweep_iterationIS3_Lb0EN6thrust23THRUST_200600_302600_NS10device_ptrIiEESA_NS9_IsEESB_jNS0_19identity_decomposerENS1_16block_id_wrapperIjLb0EEEEE10hipError_tT1_PNSt15iterator_traitsISG_E10value_typeET2_T3_PNSH_ISM_E10value_typeET4_T5_PSR_SS_PNS1_23onesweep_lookback_stateEbbT6_jjT7_P12ihipStream_tbENKUlT_T0_SG_SL_E_clIPiSA_PsSB_EEDaSZ_S10_SG_SL_EUlSZ_E_NS1_11comp_targetILNS1_3genE5ELNS1_11target_archE942ELNS1_3gpuE9ELNS1_3repE0EEENS1_47radix_sort_onesweep_sort_config_static_selectorELNS0_4arch9wavefront6targetE1EEEvSG_.private_seg_size, 0
	.set _ZN7rocprim17ROCPRIM_400000_NS6detail17trampoline_kernelINS0_14default_configENS1_35radix_sort_onesweep_config_selectorIisEEZZNS1_29radix_sort_onesweep_iterationIS3_Lb0EN6thrust23THRUST_200600_302600_NS10device_ptrIiEESA_NS9_IsEESB_jNS0_19identity_decomposerENS1_16block_id_wrapperIjLb0EEEEE10hipError_tT1_PNSt15iterator_traitsISG_E10value_typeET2_T3_PNSH_ISM_E10value_typeET4_T5_PSR_SS_PNS1_23onesweep_lookback_stateEbbT6_jjT7_P12ihipStream_tbENKUlT_T0_SG_SL_E_clIPiSA_PsSB_EEDaSZ_S10_SG_SL_EUlSZ_E_NS1_11comp_targetILNS1_3genE5ELNS1_11target_archE942ELNS1_3gpuE9ELNS1_3repE0EEENS1_47radix_sort_onesweep_sort_config_static_selectorELNS0_4arch9wavefront6targetE1EEEvSG_.uses_vcc, 0
	.set _ZN7rocprim17ROCPRIM_400000_NS6detail17trampoline_kernelINS0_14default_configENS1_35radix_sort_onesweep_config_selectorIisEEZZNS1_29radix_sort_onesweep_iterationIS3_Lb0EN6thrust23THRUST_200600_302600_NS10device_ptrIiEESA_NS9_IsEESB_jNS0_19identity_decomposerENS1_16block_id_wrapperIjLb0EEEEE10hipError_tT1_PNSt15iterator_traitsISG_E10value_typeET2_T3_PNSH_ISM_E10value_typeET4_T5_PSR_SS_PNS1_23onesweep_lookback_stateEbbT6_jjT7_P12ihipStream_tbENKUlT_T0_SG_SL_E_clIPiSA_PsSB_EEDaSZ_S10_SG_SL_EUlSZ_E_NS1_11comp_targetILNS1_3genE5ELNS1_11target_archE942ELNS1_3gpuE9ELNS1_3repE0EEENS1_47radix_sort_onesweep_sort_config_static_selectorELNS0_4arch9wavefront6targetE1EEEvSG_.uses_flat_scratch, 0
	.set _ZN7rocprim17ROCPRIM_400000_NS6detail17trampoline_kernelINS0_14default_configENS1_35radix_sort_onesweep_config_selectorIisEEZZNS1_29radix_sort_onesweep_iterationIS3_Lb0EN6thrust23THRUST_200600_302600_NS10device_ptrIiEESA_NS9_IsEESB_jNS0_19identity_decomposerENS1_16block_id_wrapperIjLb0EEEEE10hipError_tT1_PNSt15iterator_traitsISG_E10value_typeET2_T3_PNSH_ISM_E10value_typeET4_T5_PSR_SS_PNS1_23onesweep_lookback_stateEbbT6_jjT7_P12ihipStream_tbENKUlT_T0_SG_SL_E_clIPiSA_PsSB_EEDaSZ_S10_SG_SL_EUlSZ_E_NS1_11comp_targetILNS1_3genE5ELNS1_11target_archE942ELNS1_3gpuE9ELNS1_3repE0EEENS1_47radix_sort_onesweep_sort_config_static_selectorELNS0_4arch9wavefront6targetE1EEEvSG_.has_dyn_sized_stack, 0
	.set _ZN7rocprim17ROCPRIM_400000_NS6detail17trampoline_kernelINS0_14default_configENS1_35radix_sort_onesweep_config_selectorIisEEZZNS1_29radix_sort_onesweep_iterationIS3_Lb0EN6thrust23THRUST_200600_302600_NS10device_ptrIiEESA_NS9_IsEESB_jNS0_19identity_decomposerENS1_16block_id_wrapperIjLb0EEEEE10hipError_tT1_PNSt15iterator_traitsISG_E10value_typeET2_T3_PNSH_ISM_E10value_typeET4_T5_PSR_SS_PNS1_23onesweep_lookback_stateEbbT6_jjT7_P12ihipStream_tbENKUlT_T0_SG_SL_E_clIPiSA_PsSB_EEDaSZ_S10_SG_SL_EUlSZ_E_NS1_11comp_targetILNS1_3genE5ELNS1_11target_archE942ELNS1_3gpuE9ELNS1_3repE0EEENS1_47radix_sort_onesweep_sort_config_static_selectorELNS0_4arch9wavefront6targetE1EEEvSG_.has_recursion, 0
	.set _ZN7rocprim17ROCPRIM_400000_NS6detail17trampoline_kernelINS0_14default_configENS1_35radix_sort_onesweep_config_selectorIisEEZZNS1_29radix_sort_onesweep_iterationIS3_Lb0EN6thrust23THRUST_200600_302600_NS10device_ptrIiEESA_NS9_IsEESB_jNS0_19identity_decomposerENS1_16block_id_wrapperIjLb0EEEEE10hipError_tT1_PNSt15iterator_traitsISG_E10value_typeET2_T3_PNSH_ISM_E10value_typeET4_T5_PSR_SS_PNS1_23onesweep_lookback_stateEbbT6_jjT7_P12ihipStream_tbENKUlT_T0_SG_SL_E_clIPiSA_PsSB_EEDaSZ_S10_SG_SL_EUlSZ_E_NS1_11comp_targetILNS1_3genE5ELNS1_11target_archE942ELNS1_3gpuE9ELNS1_3repE0EEENS1_47radix_sort_onesweep_sort_config_static_selectorELNS0_4arch9wavefront6targetE1EEEvSG_.has_indirect_call, 0
	.section	.AMDGPU.csdata,"",@progbits
; Kernel info:
; codeLenInByte = 0
; TotalNumSgprs: 6
; NumVgprs: 0
; NumAgprs: 0
; TotalNumVgprs: 0
; ScratchSize: 0
; MemoryBound: 0
; FloatMode: 240
; IeeeMode: 1
; LDSByteSize: 0 bytes/workgroup (compile time only)
; SGPRBlocks: 0
; VGPRBlocks: 0
; NumSGPRsForWavesPerEU: 6
; NumVGPRsForWavesPerEU: 1
; AccumOffset: 4
; Occupancy: 8
; WaveLimiterHint : 0
; COMPUTE_PGM_RSRC2:SCRATCH_EN: 0
; COMPUTE_PGM_RSRC2:USER_SGPR: 2
; COMPUTE_PGM_RSRC2:TRAP_HANDLER: 0
; COMPUTE_PGM_RSRC2:TGID_X_EN: 1
; COMPUTE_PGM_RSRC2:TGID_Y_EN: 0
; COMPUTE_PGM_RSRC2:TGID_Z_EN: 0
; COMPUTE_PGM_RSRC2:TIDIG_COMP_CNT: 0
; COMPUTE_PGM_RSRC3_GFX90A:ACCUM_OFFSET: 0
; COMPUTE_PGM_RSRC3_GFX90A:TG_SPLIT: 0
	.section	.text._ZN7rocprim17ROCPRIM_400000_NS6detail17trampoline_kernelINS0_14default_configENS1_35radix_sort_onesweep_config_selectorIisEEZZNS1_29radix_sort_onesweep_iterationIS3_Lb0EN6thrust23THRUST_200600_302600_NS10device_ptrIiEESA_NS9_IsEESB_jNS0_19identity_decomposerENS1_16block_id_wrapperIjLb0EEEEE10hipError_tT1_PNSt15iterator_traitsISG_E10value_typeET2_T3_PNSH_ISM_E10value_typeET4_T5_PSR_SS_PNS1_23onesweep_lookback_stateEbbT6_jjT7_P12ihipStream_tbENKUlT_T0_SG_SL_E_clIPiSA_PsSB_EEDaSZ_S10_SG_SL_EUlSZ_E_NS1_11comp_targetILNS1_3genE2ELNS1_11target_archE906ELNS1_3gpuE6ELNS1_3repE0EEENS1_47radix_sort_onesweep_sort_config_static_selectorELNS0_4arch9wavefront6targetE1EEEvSG_,"axG",@progbits,_ZN7rocprim17ROCPRIM_400000_NS6detail17trampoline_kernelINS0_14default_configENS1_35radix_sort_onesweep_config_selectorIisEEZZNS1_29radix_sort_onesweep_iterationIS3_Lb0EN6thrust23THRUST_200600_302600_NS10device_ptrIiEESA_NS9_IsEESB_jNS0_19identity_decomposerENS1_16block_id_wrapperIjLb0EEEEE10hipError_tT1_PNSt15iterator_traitsISG_E10value_typeET2_T3_PNSH_ISM_E10value_typeET4_T5_PSR_SS_PNS1_23onesweep_lookback_stateEbbT6_jjT7_P12ihipStream_tbENKUlT_T0_SG_SL_E_clIPiSA_PsSB_EEDaSZ_S10_SG_SL_EUlSZ_E_NS1_11comp_targetILNS1_3genE2ELNS1_11target_archE906ELNS1_3gpuE6ELNS1_3repE0EEENS1_47radix_sort_onesweep_sort_config_static_selectorELNS0_4arch9wavefront6targetE1EEEvSG_,comdat
	.protected	_ZN7rocprim17ROCPRIM_400000_NS6detail17trampoline_kernelINS0_14default_configENS1_35radix_sort_onesweep_config_selectorIisEEZZNS1_29radix_sort_onesweep_iterationIS3_Lb0EN6thrust23THRUST_200600_302600_NS10device_ptrIiEESA_NS9_IsEESB_jNS0_19identity_decomposerENS1_16block_id_wrapperIjLb0EEEEE10hipError_tT1_PNSt15iterator_traitsISG_E10value_typeET2_T3_PNSH_ISM_E10value_typeET4_T5_PSR_SS_PNS1_23onesweep_lookback_stateEbbT6_jjT7_P12ihipStream_tbENKUlT_T0_SG_SL_E_clIPiSA_PsSB_EEDaSZ_S10_SG_SL_EUlSZ_E_NS1_11comp_targetILNS1_3genE2ELNS1_11target_archE906ELNS1_3gpuE6ELNS1_3repE0EEENS1_47radix_sort_onesweep_sort_config_static_selectorELNS0_4arch9wavefront6targetE1EEEvSG_ ; -- Begin function _ZN7rocprim17ROCPRIM_400000_NS6detail17trampoline_kernelINS0_14default_configENS1_35radix_sort_onesweep_config_selectorIisEEZZNS1_29radix_sort_onesweep_iterationIS3_Lb0EN6thrust23THRUST_200600_302600_NS10device_ptrIiEESA_NS9_IsEESB_jNS0_19identity_decomposerENS1_16block_id_wrapperIjLb0EEEEE10hipError_tT1_PNSt15iterator_traitsISG_E10value_typeET2_T3_PNSH_ISM_E10value_typeET4_T5_PSR_SS_PNS1_23onesweep_lookback_stateEbbT6_jjT7_P12ihipStream_tbENKUlT_T0_SG_SL_E_clIPiSA_PsSB_EEDaSZ_S10_SG_SL_EUlSZ_E_NS1_11comp_targetILNS1_3genE2ELNS1_11target_archE906ELNS1_3gpuE6ELNS1_3repE0EEENS1_47radix_sort_onesweep_sort_config_static_selectorELNS0_4arch9wavefront6targetE1EEEvSG_
	.globl	_ZN7rocprim17ROCPRIM_400000_NS6detail17trampoline_kernelINS0_14default_configENS1_35radix_sort_onesweep_config_selectorIisEEZZNS1_29radix_sort_onesweep_iterationIS3_Lb0EN6thrust23THRUST_200600_302600_NS10device_ptrIiEESA_NS9_IsEESB_jNS0_19identity_decomposerENS1_16block_id_wrapperIjLb0EEEEE10hipError_tT1_PNSt15iterator_traitsISG_E10value_typeET2_T3_PNSH_ISM_E10value_typeET4_T5_PSR_SS_PNS1_23onesweep_lookback_stateEbbT6_jjT7_P12ihipStream_tbENKUlT_T0_SG_SL_E_clIPiSA_PsSB_EEDaSZ_S10_SG_SL_EUlSZ_E_NS1_11comp_targetILNS1_3genE2ELNS1_11target_archE906ELNS1_3gpuE6ELNS1_3repE0EEENS1_47radix_sort_onesweep_sort_config_static_selectorELNS0_4arch9wavefront6targetE1EEEvSG_
	.p2align	8
	.type	_ZN7rocprim17ROCPRIM_400000_NS6detail17trampoline_kernelINS0_14default_configENS1_35radix_sort_onesweep_config_selectorIisEEZZNS1_29radix_sort_onesweep_iterationIS3_Lb0EN6thrust23THRUST_200600_302600_NS10device_ptrIiEESA_NS9_IsEESB_jNS0_19identity_decomposerENS1_16block_id_wrapperIjLb0EEEEE10hipError_tT1_PNSt15iterator_traitsISG_E10value_typeET2_T3_PNSH_ISM_E10value_typeET4_T5_PSR_SS_PNS1_23onesweep_lookback_stateEbbT6_jjT7_P12ihipStream_tbENKUlT_T0_SG_SL_E_clIPiSA_PsSB_EEDaSZ_S10_SG_SL_EUlSZ_E_NS1_11comp_targetILNS1_3genE2ELNS1_11target_archE906ELNS1_3gpuE6ELNS1_3repE0EEENS1_47radix_sort_onesweep_sort_config_static_selectorELNS0_4arch9wavefront6targetE1EEEvSG_,@function
_ZN7rocprim17ROCPRIM_400000_NS6detail17trampoline_kernelINS0_14default_configENS1_35radix_sort_onesweep_config_selectorIisEEZZNS1_29radix_sort_onesweep_iterationIS3_Lb0EN6thrust23THRUST_200600_302600_NS10device_ptrIiEESA_NS9_IsEESB_jNS0_19identity_decomposerENS1_16block_id_wrapperIjLb0EEEEE10hipError_tT1_PNSt15iterator_traitsISG_E10value_typeET2_T3_PNSH_ISM_E10value_typeET4_T5_PSR_SS_PNS1_23onesweep_lookback_stateEbbT6_jjT7_P12ihipStream_tbENKUlT_T0_SG_SL_E_clIPiSA_PsSB_EEDaSZ_S10_SG_SL_EUlSZ_E_NS1_11comp_targetILNS1_3genE2ELNS1_11target_archE906ELNS1_3gpuE6ELNS1_3repE0EEENS1_47radix_sort_onesweep_sort_config_static_selectorELNS0_4arch9wavefront6targetE1EEEvSG_: ; @_ZN7rocprim17ROCPRIM_400000_NS6detail17trampoline_kernelINS0_14default_configENS1_35radix_sort_onesweep_config_selectorIisEEZZNS1_29radix_sort_onesweep_iterationIS3_Lb0EN6thrust23THRUST_200600_302600_NS10device_ptrIiEESA_NS9_IsEESB_jNS0_19identity_decomposerENS1_16block_id_wrapperIjLb0EEEEE10hipError_tT1_PNSt15iterator_traitsISG_E10value_typeET2_T3_PNSH_ISM_E10value_typeET4_T5_PSR_SS_PNS1_23onesweep_lookback_stateEbbT6_jjT7_P12ihipStream_tbENKUlT_T0_SG_SL_E_clIPiSA_PsSB_EEDaSZ_S10_SG_SL_EUlSZ_E_NS1_11comp_targetILNS1_3genE2ELNS1_11target_archE906ELNS1_3gpuE6ELNS1_3repE0EEENS1_47radix_sort_onesweep_sort_config_static_selectorELNS0_4arch9wavefront6targetE1EEEvSG_
; %bb.0:
	.section	.rodata,"a",@progbits
	.p2align	6, 0x0
	.amdhsa_kernel _ZN7rocprim17ROCPRIM_400000_NS6detail17trampoline_kernelINS0_14default_configENS1_35radix_sort_onesweep_config_selectorIisEEZZNS1_29radix_sort_onesweep_iterationIS3_Lb0EN6thrust23THRUST_200600_302600_NS10device_ptrIiEESA_NS9_IsEESB_jNS0_19identity_decomposerENS1_16block_id_wrapperIjLb0EEEEE10hipError_tT1_PNSt15iterator_traitsISG_E10value_typeET2_T3_PNSH_ISM_E10value_typeET4_T5_PSR_SS_PNS1_23onesweep_lookback_stateEbbT6_jjT7_P12ihipStream_tbENKUlT_T0_SG_SL_E_clIPiSA_PsSB_EEDaSZ_S10_SG_SL_EUlSZ_E_NS1_11comp_targetILNS1_3genE2ELNS1_11target_archE906ELNS1_3gpuE6ELNS1_3repE0EEENS1_47radix_sort_onesweep_sort_config_static_selectorELNS0_4arch9wavefront6targetE1EEEvSG_
		.amdhsa_group_segment_fixed_size 0
		.amdhsa_private_segment_fixed_size 0
		.amdhsa_kernarg_size 88
		.amdhsa_user_sgpr_count 2
		.amdhsa_user_sgpr_dispatch_ptr 0
		.amdhsa_user_sgpr_queue_ptr 0
		.amdhsa_user_sgpr_kernarg_segment_ptr 1
		.amdhsa_user_sgpr_dispatch_id 0
		.amdhsa_user_sgpr_kernarg_preload_length 0
		.amdhsa_user_sgpr_kernarg_preload_offset 0
		.amdhsa_user_sgpr_private_segment_size 0
		.amdhsa_uses_dynamic_stack 0
		.amdhsa_enable_private_segment 0
		.amdhsa_system_sgpr_workgroup_id_x 1
		.amdhsa_system_sgpr_workgroup_id_y 0
		.amdhsa_system_sgpr_workgroup_id_z 0
		.amdhsa_system_sgpr_workgroup_info 0
		.amdhsa_system_vgpr_workitem_id 0
		.amdhsa_next_free_vgpr 1
		.amdhsa_next_free_sgpr 0
		.amdhsa_accum_offset 4
		.amdhsa_reserve_vcc 0
		.amdhsa_float_round_mode_32 0
		.amdhsa_float_round_mode_16_64 0
		.amdhsa_float_denorm_mode_32 3
		.amdhsa_float_denorm_mode_16_64 3
		.amdhsa_dx10_clamp 1
		.amdhsa_ieee_mode 1
		.amdhsa_fp16_overflow 0
		.amdhsa_tg_split 0
		.amdhsa_exception_fp_ieee_invalid_op 0
		.amdhsa_exception_fp_denorm_src 0
		.amdhsa_exception_fp_ieee_div_zero 0
		.amdhsa_exception_fp_ieee_overflow 0
		.amdhsa_exception_fp_ieee_underflow 0
		.amdhsa_exception_fp_ieee_inexact 0
		.amdhsa_exception_int_div_zero 0
	.end_amdhsa_kernel
	.section	.text._ZN7rocprim17ROCPRIM_400000_NS6detail17trampoline_kernelINS0_14default_configENS1_35radix_sort_onesweep_config_selectorIisEEZZNS1_29radix_sort_onesweep_iterationIS3_Lb0EN6thrust23THRUST_200600_302600_NS10device_ptrIiEESA_NS9_IsEESB_jNS0_19identity_decomposerENS1_16block_id_wrapperIjLb0EEEEE10hipError_tT1_PNSt15iterator_traitsISG_E10value_typeET2_T3_PNSH_ISM_E10value_typeET4_T5_PSR_SS_PNS1_23onesweep_lookback_stateEbbT6_jjT7_P12ihipStream_tbENKUlT_T0_SG_SL_E_clIPiSA_PsSB_EEDaSZ_S10_SG_SL_EUlSZ_E_NS1_11comp_targetILNS1_3genE2ELNS1_11target_archE906ELNS1_3gpuE6ELNS1_3repE0EEENS1_47radix_sort_onesweep_sort_config_static_selectorELNS0_4arch9wavefront6targetE1EEEvSG_,"axG",@progbits,_ZN7rocprim17ROCPRIM_400000_NS6detail17trampoline_kernelINS0_14default_configENS1_35radix_sort_onesweep_config_selectorIisEEZZNS1_29radix_sort_onesweep_iterationIS3_Lb0EN6thrust23THRUST_200600_302600_NS10device_ptrIiEESA_NS9_IsEESB_jNS0_19identity_decomposerENS1_16block_id_wrapperIjLb0EEEEE10hipError_tT1_PNSt15iterator_traitsISG_E10value_typeET2_T3_PNSH_ISM_E10value_typeET4_T5_PSR_SS_PNS1_23onesweep_lookback_stateEbbT6_jjT7_P12ihipStream_tbENKUlT_T0_SG_SL_E_clIPiSA_PsSB_EEDaSZ_S10_SG_SL_EUlSZ_E_NS1_11comp_targetILNS1_3genE2ELNS1_11target_archE906ELNS1_3gpuE6ELNS1_3repE0EEENS1_47radix_sort_onesweep_sort_config_static_selectorELNS0_4arch9wavefront6targetE1EEEvSG_,comdat
.Lfunc_end2488:
	.size	_ZN7rocprim17ROCPRIM_400000_NS6detail17trampoline_kernelINS0_14default_configENS1_35radix_sort_onesweep_config_selectorIisEEZZNS1_29radix_sort_onesweep_iterationIS3_Lb0EN6thrust23THRUST_200600_302600_NS10device_ptrIiEESA_NS9_IsEESB_jNS0_19identity_decomposerENS1_16block_id_wrapperIjLb0EEEEE10hipError_tT1_PNSt15iterator_traitsISG_E10value_typeET2_T3_PNSH_ISM_E10value_typeET4_T5_PSR_SS_PNS1_23onesweep_lookback_stateEbbT6_jjT7_P12ihipStream_tbENKUlT_T0_SG_SL_E_clIPiSA_PsSB_EEDaSZ_S10_SG_SL_EUlSZ_E_NS1_11comp_targetILNS1_3genE2ELNS1_11target_archE906ELNS1_3gpuE6ELNS1_3repE0EEENS1_47radix_sort_onesweep_sort_config_static_selectorELNS0_4arch9wavefront6targetE1EEEvSG_, .Lfunc_end2488-_ZN7rocprim17ROCPRIM_400000_NS6detail17trampoline_kernelINS0_14default_configENS1_35radix_sort_onesweep_config_selectorIisEEZZNS1_29radix_sort_onesweep_iterationIS3_Lb0EN6thrust23THRUST_200600_302600_NS10device_ptrIiEESA_NS9_IsEESB_jNS0_19identity_decomposerENS1_16block_id_wrapperIjLb0EEEEE10hipError_tT1_PNSt15iterator_traitsISG_E10value_typeET2_T3_PNSH_ISM_E10value_typeET4_T5_PSR_SS_PNS1_23onesweep_lookback_stateEbbT6_jjT7_P12ihipStream_tbENKUlT_T0_SG_SL_E_clIPiSA_PsSB_EEDaSZ_S10_SG_SL_EUlSZ_E_NS1_11comp_targetILNS1_3genE2ELNS1_11target_archE906ELNS1_3gpuE6ELNS1_3repE0EEENS1_47radix_sort_onesweep_sort_config_static_selectorELNS0_4arch9wavefront6targetE1EEEvSG_
                                        ; -- End function
	.set _ZN7rocprim17ROCPRIM_400000_NS6detail17trampoline_kernelINS0_14default_configENS1_35radix_sort_onesweep_config_selectorIisEEZZNS1_29radix_sort_onesweep_iterationIS3_Lb0EN6thrust23THRUST_200600_302600_NS10device_ptrIiEESA_NS9_IsEESB_jNS0_19identity_decomposerENS1_16block_id_wrapperIjLb0EEEEE10hipError_tT1_PNSt15iterator_traitsISG_E10value_typeET2_T3_PNSH_ISM_E10value_typeET4_T5_PSR_SS_PNS1_23onesweep_lookback_stateEbbT6_jjT7_P12ihipStream_tbENKUlT_T0_SG_SL_E_clIPiSA_PsSB_EEDaSZ_S10_SG_SL_EUlSZ_E_NS1_11comp_targetILNS1_3genE2ELNS1_11target_archE906ELNS1_3gpuE6ELNS1_3repE0EEENS1_47radix_sort_onesweep_sort_config_static_selectorELNS0_4arch9wavefront6targetE1EEEvSG_.num_vgpr, 0
	.set _ZN7rocprim17ROCPRIM_400000_NS6detail17trampoline_kernelINS0_14default_configENS1_35radix_sort_onesweep_config_selectorIisEEZZNS1_29radix_sort_onesweep_iterationIS3_Lb0EN6thrust23THRUST_200600_302600_NS10device_ptrIiEESA_NS9_IsEESB_jNS0_19identity_decomposerENS1_16block_id_wrapperIjLb0EEEEE10hipError_tT1_PNSt15iterator_traitsISG_E10value_typeET2_T3_PNSH_ISM_E10value_typeET4_T5_PSR_SS_PNS1_23onesweep_lookback_stateEbbT6_jjT7_P12ihipStream_tbENKUlT_T0_SG_SL_E_clIPiSA_PsSB_EEDaSZ_S10_SG_SL_EUlSZ_E_NS1_11comp_targetILNS1_3genE2ELNS1_11target_archE906ELNS1_3gpuE6ELNS1_3repE0EEENS1_47radix_sort_onesweep_sort_config_static_selectorELNS0_4arch9wavefront6targetE1EEEvSG_.num_agpr, 0
	.set _ZN7rocprim17ROCPRIM_400000_NS6detail17trampoline_kernelINS0_14default_configENS1_35radix_sort_onesweep_config_selectorIisEEZZNS1_29radix_sort_onesweep_iterationIS3_Lb0EN6thrust23THRUST_200600_302600_NS10device_ptrIiEESA_NS9_IsEESB_jNS0_19identity_decomposerENS1_16block_id_wrapperIjLb0EEEEE10hipError_tT1_PNSt15iterator_traitsISG_E10value_typeET2_T3_PNSH_ISM_E10value_typeET4_T5_PSR_SS_PNS1_23onesweep_lookback_stateEbbT6_jjT7_P12ihipStream_tbENKUlT_T0_SG_SL_E_clIPiSA_PsSB_EEDaSZ_S10_SG_SL_EUlSZ_E_NS1_11comp_targetILNS1_3genE2ELNS1_11target_archE906ELNS1_3gpuE6ELNS1_3repE0EEENS1_47radix_sort_onesweep_sort_config_static_selectorELNS0_4arch9wavefront6targetE1EEEvSG_.numbered_sgpr, 0
	.set _ZN7rocprim17ROCPRIM_400000_NS6detail17trampoline_kernelINS0_14default_configENS1_35radix_sort_onesweep_config_selectorIisEEZZNS1_29radix_sort_onesweep_iterationIS3_Lb0EN6thrust23THRUST_200600_302600_NS10device_ptrIiEESA_NS9_IsEESB_jNS0_19identity_decomposerENS1_16block_id_wrapperIjLb0EEEEE10hipError_tT1_PNSt15iterator_traitsISG_E10value_typeET2_T3_PNSH_ISM_E10value_typeET4_T5_PSR_SS_PNS1_23onesweep_lookback_stateEbbT6_jjT7_P12ihipStream_tbENKUlT_T0_SG_SL_E_clIPiSA_PsSB_EEDaSZ_S10_SG_SL_EUlSZ_E_NS1_11comp_targetILNS1_3genE2ELNS1_11target_archE906ELNS1_3gpuE6ELNS1_3repE0EEENS1_47radix_sort_onesweep_sort_config_static_selectorELNS0_4arch9wavefront6targetE1EEEvSG_.num_named_barrier, 0
	.set _ZN7rocprim17ROCPRIM_400000_NS6detail17trampoline_kernelINS0_14default_configENS1_35radix_sort_onesweep_config_selectorIisEEZZNS1_29radix_sort_onesweep_iterationIS3_Lb0EN6thrust23THRUST_200600_302600_NS10device_ptrIiEESA_NS9_IsEESB_jNS0_19identity_decomposerENS1_16block_id_wrapperIjLb0EEEEE10hipError_tT1_PNSt15iterator_traitsISG_E10value_typeET2_T3_PNSH_ISM_E10value_typeET4_T5_PSR_SS_PNS1_23onesweep_lookback_stateEbbT6_jjT7_P12ihipStream_tbENKUlT_T0_SG_SL_E_clIPiSA_PsSB_EEDaSZ_S10_SG_SL_EUlSZ_E_NS1_11comp_targetILNS1_3genE2ELNS1_11target_archE906ELNS1_3gpuE6ELNS1_3repE0EEENS1_47radix_sort_onesweep_sort_config_static_selectorELNS0_4arch9wavefront6targetE1EEEvSG_.private_seg_size, 0
	.set _ZN7rocprim17ROCPRIM_400000_NS6detail17trampoline_kernelINS0_14default_configENS1_35radix_sort_onesweep_config_selectorIisEEZZNS1_29radix_sort_onesweep_iterationIS3_Lb0EN6thrust23THRUST_200600_302600_NS10device_ptrIiEESA_NS9_IsEESB_jNS0_19identity_decomposerENS1_16block_id_wrapperIjLb0EEEEE10hipError_tT1_PNSt15iterator_traitsISG_E10value_typeET2_T3_PNSH_ISM_E10value_typeET4_T5_PSR_SS_PNS1_23onesweep_lookback_stateEbbT6_jjT7_P12ihipStream_tbENKUlT_T0_SG_SL_E_clIPiSA_PsSB_EEDaSZ_S10_SG_SL_EUlSZ_E_NS1_11comp_targetILNS1_3genE2ELNS1_11target_archE906ELNS1_3gpuE6ELNS1_3repE0EEENS1_47radix_sort_onesweep_sort_config_static_selectorELNS0_4arch9wavefront6targetE1EEEvSG_.uses_vcc, 0
	.set _ZN7rocprim17ROCPRIM_400000_NS6detail17trampoline_kernelINS0_14default_configENS1_35radix_sort_onesweep_config_selectorIisEEZZNS1_29radix_sort_onesweep_iterationIS3_Lb0EN6thrust23THRUST_200600_302600_NS10device_ptrIiEESA_NS9_IsEESB_jNS0_19identity_decomposerENS1_16block_id_wrapperIjLb0EEEEE10hipError_tT1_PNSt15iterator_traitsISG_E10value_typeET2_T3_PNSH_ISM_E10value_typeET4_T5_PSR_SS_PNS1_23onesweep_lookback_stateEbbT6_jjT7_P12ihipStream_tbENKUlT_T0_SG_SL_E_clIPiSA_PsSB_EEDaSZ_S10_SG_SL_EUlSZ_E_NS1_11comp_targetILNS1_3genE2ELNS1_11target_archE906ELNS1_3gpuE6ELNS1_3repE0EEENS1_47radix_sort_onesweep_sort_config_static_selectorELNS0_4arch9wavefront6targetE1EEEvSG_.uses_flat_scratch, 0
	.set _ZN7rocprim17ROCPRIM_400000_NS6detail17trampoline_kernelINS0_14default_configENS1_35radix_sort_onesweep_config_selectorIisEEZZNS1_29radix_sort_onesweep_iterationIS3_Lb0EN6thrust23THRUST_200600_302600_NS10device_ptrIiEESA_NS9_IsEESB_jNS0_19identity_decomposerENS1_16block_id_wrapperIjLb0EEEEE10hipError_tT1_PNSt15iterator_traitsISG_E10value_typeET2_T3_PNSH_ISM_E10value_typeET4_T5_PSR_SS_PNS1_23onesweep_lookback_stateEbbT6_jjT7_P12ihipStream_tbENKUlT_T0_SG_SL_E_clIPiSA_PsSB_EEDaSZ_S10_SG_SL_EUlSZ_E_NS1_11comp_targetILNS1_3genE2ELNS1_11target_archE906ELNS1_3gpuE6ELNS1_3repE0EEENS1_47radix_sort_onesweep_sort_config_static_selectorELNS0_4arch9wavefront6targetE1EEEvSG_.has_dyn_sized_stack, 0
	.set _ZN7rocprim17ROCPRIM_400000_NS6detail17trampoline_kernelINS0_14default_configENS1_35radix_sort_onesweep_config_selectorIisEEZZNS1_29radix_sort_onesweep_iterationIS3_Lb0EN6thrust23THRUST_200600_302600_NS10device_ptrIiEESA_NS9_IsEESB_jNS0_19identity_decomposerENS1_16block_id_wrapperIjLb0EEEEE10hipError_tT1_PNSt15iterator_traitsISG_E10value_typeET2_T3_PNSH_ISM_E10value_typeET4_T5_PSR_SS_PNS1_23onesweep_lookback_stateEbbT6_jjT7_P12ihipStream_tbENKUlT_T0_SG_SL_E_clIPiSA_PsSB_EEDaSZ_S10_SG_SL_EUlSZ_E_NS1_11comp_targetILNS1_3genE2ELNS1_11target_archE906ELNS1_3gpuE6ELNS1_3repE0EEENS1_47radix_sort_onesweep_sort_config_static_selectorELNS0_4arch9wavefront6targetE1EEEvSG_.has_recursion, 0
	.set _ZN7rocprim17ROCPRIM_400000_NS6detail17trampoline_kernelINS0_14default_configENS1_35radix_sort_onesweep_config_selectorIisEEZZNS1_29radix_sort_onesweep_iterationIS3_Lb0EN6thrust23THRUST_200600_302600_NS10device_ptrIiEESA_NS9_IsEESB_jNS0_19identity_decomposerENS1_16block_id_wrapperIjLb0EEEEE10hipError_tT1_PNSt15iterator_traitsISG_E10value_typeET2_T3_PNSH_ISM_E10value_typeET4_T5_PSR_SS_PNS1_23onesweep_lookback_stateEbbT6_jjT7_P12ihipStream_tbENKUlT_T0_SG_SL_E_clIPiSA_PsSB_EEDaSZ_S10_SG_SL_EUlSZ_E_NS1_11comp_targetILNS1_3genE2ELNS1_11target_archE906ELNS1_3gpuE6ELNS1_3repE0EEENS1_47radix_sort_onesweep_sort_config_static_selectorELNS0_4arch9wavefront6targetE1EEEvSG_.has_indirect_call, 0
	.section	.AMDGPU.csdata,"",@progbits
; Kernel info:
; codeLenInByte = 0
; TotalNumSgprs: 6
; NumVgprs: 0
; NumAgprs: 0
; TotalNumVgprs: 0
; ScratchSize: 0
; MemoryBound: 0
; FloatMode: 240
; IeeeMode: 1
; LDSByteSize: 0 bytes/workgroup (compile time only)
; SGPRBlocks: 0
; VGPRBlocks: 0
; NumSGPRsForWavesPerEU: 6
; NumVGPRsForWavesPerEU: 1
; AccumOffset: 4
; Occupancy: 8
; WaveLimiterHint : 0
; COMPUTE_PGM_RSRC2:SCRATCH_EN: 0
; COMPUTE_PGM_RSRC2:USER_SGPR: 2
; COMPUTE_PGM_RSRC2:TRAP_HANDLER: 0
; COMPUTE_PGM_RSRC2:TGID_X_EN: 1
; COMPUTE_PGM_RSRC2:TGID_Y_EN: 0
; COMPUTE_PGM_RSRC2:TGID_Z_EN: 0
; COMPUTE_PGM_RSRC2:TIDIG_COMP_CNT: 0
; COMPUTE_PGM_RSRC3_GFX90A:ACCUM_OFFSET: 0
; COMPUTE_PGM_RSRC3_GFX90A:TG_SPLIT: 0
	.section	.text._ZN7rocprim17ROCPRIM_400000_NS6detail17trampoline_kernelINS0_14default_configENS1_35radix_sort_onesweep_config_selectorIisEEZZNS1_29radix_sort_onesweep_iterationIS3_Lb0EN6thrust23THRUST_200600_302600_NS10device_ptrIiEESA_NS9_IsEESB_jNS0_19identity_decomposerENS1_16block_id_wrapperIjLb0EEEEE10hipError_tT1_PNSt15iterator_traitsISG_E10value_typeET2_T3_PNSH_ISM_E10value_typeET4_T5_PSR_SS_PNS1_23onesweep_lookback_stateEbbT6_jjT7_P12ihipStream_tbENKUlT_T0_SG_SL_E_clIPiSA_PsSB_EEDaSZ_S10_SG_SL_EUlSZ_E_NS1_11comp_targetILNS1_3genE4ELNS1_11target_archE910ELNS1_3gpuE8ELNS1_3repE0EEENS1_47radix_sort_onesweep_sort_config_static_selectorELNS0_4arch9wavefront6targetE1EEEvSG_,"axG",@progbits,_ZN7rocprim17ROCPRIM_400000_NS6detail17trampoline_kernelINS0_14default_configENS1_35radix_sort_onesweep_config_selectorIisEEZZNS1_29radix_sort_onesweep_iterationIS3_Lb0EN6thrust23THRUST_200600_302600_NS10device_ptrIiEESA_NS9_IsEESB_jNS0_19identity_decomposerENS1_16block_id_wrapperIjLb0EEEEE10hipError_tT1_PNSt15iterator_traitsISG_E10value_typeET2_T3_PNSH_ISM_E10value_typeET4_T5_PSR_SS_PNS1_23onesweep_lookback_stateEbbT6_jjT7_P12ihipStream_tbENKUlT_T0_SG_SL_E_clIPiSA_PsSB_EEDaSZ_S10_SG_SL_EUlSZ_E_NS1_11comp_targetILNS1_3genE4ELNS1_11target_archE910ELNS1_3gpuE8ELNS1_3repE0EEENS1_47radix_sort_onesweep_sort_config_static_selectorELNS0_4arch9wavefront6targetE1EEEvSG_,comdat
	.protected	_ZN7rocprim17ROCPRIM_400000_NS6detail17trampoline_kernelINS0_14default_configENS1_35radix_sort_onesweep_config_selectorIisEEZZNS1_29radix_sort_onesweep_iterationIS3_Lb0EN6thrust23THRUST_200600_302600_NS10device_ptrIiEESA_NS9_IsEESB_jNS0_19identity_decomposerENS1_16block_id_wrapperIjLb0EEEEE10hipError_tT1_PNSt15iterator_traitsISG_E10value_typeET2_T3_PNSH_ISM_E10value_typeET4_T5_PSR_SS_PNS1_23onesweep_lookback_stateEbbT6_jjT7_P12ihipStream_tbENKUlT_T0_SG_SL_E_clIPiSA_PsSB_EEDaSZ_S10_SG_SL_EUlSZ_E_NS1_11comp_targetILNS1_3genE4ELNS1_11target_archE910ELNS1_3gpuE8ELNS1_3repE0EEENS1_47radix_sort_onesweep_sort_config_static_selectorELNS0_4arch9wavefront6targetE1EEEvSG_ ; -- Begin function _ZN7rocprim17ROCPRIM_400000_NS6detail17trampoline_kernelINS0_14default_configENS1_35radix_sort_onesweep_config_selectorIisEEZZNS1_29radix_sort_onesweep_iterationIS3_Lb0EN6thrust23THRUST_200600_302600_NS10device_ptrIiEESA_NS9_IsEESB_jNS0_19identity_decomposerENS1_16block_id_wrapperIjLb0EEEEE10hipError_tT1_PNSt15iterator_traitsISG_E10value_typeET2_T3_PNSH_ISM_E10value_typeET4_T5_PSR_SS_PNS1_23onesweep_lookback_stateEbbT6_jjT7_P12ihipStream_tbENKUlT_T0_SG_SL_E_clIPiSA_PsSB_EEDaSZ_S10_SG_SL_EUlSZ_E_NS1_11comp_targetILNS1_3genE4ELNS1_11target_archE910ELNS1_3gpuE8ELNS1_3repE0EEENS1_47radix_sort_onesweep_sort_config_static_selectorELNS0_4arch9wavefront6targetE1EEEvSG_
	.globl	_ZN7rocprim17ROCPRIM_400000_NS6detail17trampoline_kernelINS0_14default_configENS1_35radix_sort_onesweep_config_selectorIisEEZZNS1_29radix_sort_onesweep_iterationIS3_Lb0EN6thrust23THRUST_200600_302600_NS10device_ptrIiEESA_NS9_IsEESB_jNS0_19identity_decomposerENS1_16block_id_wrapperIjLb0EEEEE10hipError_tT1_PNSt15iterator_traitsISG_E10value_typeET2_T3_PNSH_ISM_E10value_typeET4_T5_PSR_SS_PNS1_23onesweep_lookback_stateEbbT6_jjT7_P12ihipStream_tbENKUlT_T0_SG_SL_E_clIPiSA_PsSB_EEDaSZ_S10_SG_SL_EUlSZ_E_NS1_11comp_targetILNS1_3genE4ELNS1_11target_archE910ELNS1_3gpuE8ELNS1_3repE0EEENS1_47radix_sort_onesweep_sort_config_static_selectorELNS0_4arch9wavefront6targetE1EEEvSG_
	.p2align	8
	.type	_ZN7rocprim17ROCPRIM_400000_NS6detail17trampoline_kernelINS0_14default_configENS1_35radix_sort_onesweep_config_selectorIisEEZZNS1_29radix_sort_onesweep_iterationIS3_Lb0EN6thrust23THRUST_200600_302600_NS10device_ptrIiEESA_NS9_IsEESB_jNS0_19identity_decomposerENS1_16block_id_wrapperIjLb0EEEEE10hipError_tT1_PNSt15iterator_traitsISG_E10value_typeET2_T3_PNSH_ISM_E10value_typeET4_T5_PSR_SS_PNS1_23onesweep_lookback_stateEbbT6_jjT7_P12ihipStream_tbENKUlT_T0_SG_SL_E_clIPiSA_PsSB_EEDaSZ_S10_SG_SL_EUlSZ_E_NS1_11comp_targetILNS1_3genE4ELNS1_11target_archE910ELNS1_3gpuE8ELNS1_3repE0EEENS1_47radix_sort_onesweep_sort_config_static_selectorELNS0_4arch9wavefront6targetE1EEEvSG_,@function
_ZN7rocprim17ROCPRIM_400000_NS6detail17trampoline_kernelINS0_14default_configENS1_35radix_sort_onesweep_config_selectorIisEEZZNS1_29radix_sort_onesweep_iterationIS3_Lb0EN6thrust23THRUST_200600_302600_NS10device_ptrIiEESA_NS9_IsEESB_jNS0_19identity_decomposerENS1_16block_id_wrapperIjLb0EEEEE10hipError_tT1_PNSt15iterator_traitsISG_E10value_typeET2_T3_PNSH_ISM_E10value_typeET4_T5_PSR_SS_PNS1_23onesweep_lookback_stateEbbT6_jjT7_P12ihipStream_tbENKUlT_T0_SG_SL_E_clIPiSA_PsSB_EEDaSZ_S10_SG_SL_EUlSZ_E_NS1_11comp_targetILNS1_3genE4ELNS1_11target_archE910ELNS1_3gpuE8ELNS1_3repE0EEENS1_47radix_sort_onesweep_sort_config_static_selectorELNS0_4arch9wavefront6targetE1EEEvSG_: ; @_ZN7rocprim17ROCPRIM_400000_NS6detail17trampoline_kernelINS0_14default_configENS1_35radix_sort_onesweep_config_selectorIisEEZZNS1_29radix_sort_onesweep_iterationIS3_Lb0EN6thrust23THRUST_200600_302600_NS10device_ptrIiEESA_NS9_IsEESB_jNS0_19identity_decomposerENS1_16block_id_wrapperIjLb0EEEEE10hipError_tT1_PNSt15iterator_traitsISG_E10value_typeET2_T3_PNSH_ISM_E10value_typeET4_T5_PSR_SS_PNS1_23onesweep_lookback_stateEbbT6_jjT7_P12ihipStream_tbENKUlT_T0_SG_SL_E_clIPiSA_PsSB_EEDaSZ_S10_SG_SL_EUlSZ_E_NS1_11comp_targetILNS1_3genE4ELNS1_11target_archE910ELNS1_3gpuE8ELNS1_3repE0EEENS1_47radix_sort_onesweep_sort_config_static_selectorELNS0_4arch9wavefront6targetE1EEEvSG_
; %bb.0:
	.section	.rodata,"a",@progbits
	.p2align	6, 0x0
	.amdhsa_kernel _ZN7rocprim17ROCPRIM_400000_NS6detail17trampoline_kernelINS0_14default_configENS1_35radix_sort_onesweep_config_selectorIisEEZZNS1_29radix_sort_onesweep_iterationIS3_Lb0EN6thrust23THRUST_200600_302600_NS10device_ptrIiEESA_NS9_IsEESB_jNS0_19identity_decomposerENS1_16block_id_wrapperIjLb0EEEEE10hipError_tT1_PNSt15iterator_traitsISG_E10value_typeET2_T3_PNSH_ISM_E10value_typeET4_T5_PSR_SS_PNS1_23onesweep_lookback_stateEbbT6_jjT7_P12ihipStream_tbENKUlT_T0_SG_SL_E_clIPiSA_PsSB_EEDaSZ_S10_SG_SL_EUlSZ_E_NS1_11comp_targetILNS1_3genE4ELNS1_11target_archE910ELNS1_3gpuE8ELNS1_3repE0EEENS1_47radix_sort_onesweep_sort_config_static_selectorELNS0_4arch9wavefront6targetE1EEEvSG_
		.amdhsa_group_segment_fixed_size 0
		.amdhsa_private_segment_fixed_size 0
		.amdhsa_kernarg_size 88
		.amdhsa_user_sgpr_count 2
		.amdhsa_user_sgpr_dispatch_ptr 0
		.amdhsa_user_sgpr_queue_ptr 0
		.amdhsa_user_sgpr_kernarg_segment_ptr 1
		.amdhsa_user_sgpr_dispatch_id 0
		.amdhsa_user_sgpr_kernarg_preload_length 0
		.amdhsa_user_sgpr_kernarg_preload_offset 0
		.amdhsa_user_sgpr_private_segment_size 0
		.amdhsa_uses_dynamic_stack 0
		.amdhsa_enable_private_segment 0
		.amdhsa_system_sgpr_workgroup_id_x 1
		.amdhsa_system_sgpr_workgroup_id_y 0
		.amdhsa_system_sgpr_workgroup_id_z 0
		.amdhsa_system_sgpr_workgroup_info 0
		.amdhsa_system_vgpr_workitem_id 0
		.amdhsa_next_free_vgpr 1
		.amdhsa_next_free_sgpr 0
		.amdhsa_accum_offset 4
		.amdhsa_reserve_vcc 0
		.amdhsa_float_round_mode_32 0
		.amdhsa_float_round_mode_16_64 0
		.amdhsa_float_denorm_mode_32 3
		.amdhsa_float_denorm_mode_16_64 3
		.amdhsa_dx10_clamp 1
		.amdhsa_ieee_mode 1
		.amdhsa_fp16_overflow 0
		.amdhsa_tg_split 0
		.amdhsa_exception_fp_ieee_invalid_op 0
		.amdhsa_exception_fp_denorm_src 0
		.amdhsa_exception_fp_ieee_div_zero 0
		.amdhsa_exception_fp_ieee_overflow 0
		.amdhsa_exception_fp_ieee_underflow 0
		.amdhsa_exception_fp_ieee_inexact 0
		.amdhsa_exception_int_div_zero 0
	.end_amdhsa_kernel
	.section	.text._ZN7rocprim17ROCPRIM_400000_NS6detail17trampoline_kernelINS0_14default_configENS1_35radix_sort_onesweep_config_selectorIisEEZZNS1_29radix_sort_onesweep_iterationIS3_Lb0EN6thrust23THRUST_200600_302600_NS10device_ptrIiEESA_NS9_IsEESB_jNS0_19identity_decomposerENS1_16block_id_wrapperIjLb0EEEEE10hipError_tT1_PNSt15iterator_traitsISG_E10value_typeET2_T3_PNSH_ISM_E10value_typeET4_T5_PSR_SS_PNS1_23onesweep_lookback_stateEbbT6_jjT7_P12ihipStream_tbENKUlT_T0_SG_SL_E_clIPiSA_PsSB_EEDaSZ_S10_SG_SL_EUlSZ_E_NS1_11comp_targetILNS1_3genE4ELNS1_11target_archE910ELNS1_3gpuE8ELNS1_3repE0EEENS1_47radix_sort_onesweep_sort_config_static_selectorELNS0_4arch9wavefront6targetE1EEEvSG_,"axG",@progbits,_ZN7rocprim17ROCPRIM_400000_NS6detail17trampoline_kernelINS0_14default_configENS1_35radix_sort_onesweep_config_selectorIisEEZZNS1_29radix_sort_onesweep_iterationIS3_Lb0EN6thrust23THRUST_200600_302600_NS10device_ptrIiEESA_NS9_IsEESB_jNS0_19identity_decomposerENS1_16block_id_wrapperIjLb0EEEEE10hipError_tT1_PNSt15iterator_traitsISG_E10value_typeET2_T3_PNSH_ISM_E10value_typeET4_T5_PSR_SS_PNS1_23onesweep_lookback_stateEbbT6_jjT7_P12ihipStream_tbENKUlT_T0_SG_SL_E_clIPiSA_PsSB_EEDaSZ_S10_SG_SL_EUlSZ_E_NS1_11comp_targetILNS1_3genE4ELNS1_11target_archE910ELNS1_3gpuE8ELNS1_3repE0EEENS1_47radix_sort_onesweep_sort_config_static_selectorELNS0_4arch9wavefront6targetE1EEEvSG_,comdat
.Lfunc_end2489:
	.size	_ZN7rocprim17ROCPRIM_400000_NS6detail17trampoline_kernelINS0_14default_configENS1_35radix_sort_onesweep_config_selectorIisEEZZNS1_29radix_sort_onesweep_iterationIS3_Lb0EN6thrust23THRUST_200600_302600_NS10device_ptrIiEESA_NS9_IsEESB_jNS0_19identity_decomposerENS1_16block_id_wrapperIjLb0EEEEE10hipError_tT1_PNSt15iterator_traitsISG_E10value_typeET2_T3_PNSH_ISM_E10value_typeET4_T5_PSR_SS_PNS1_23onesweep_lookback_stateEbbT6_jjT7_P12ihipStream_tbENKUlT_T0_SG_SL_E_clIPiSA_PsSB_EEDaSZ_S10_SG_SL_EUlSZ_E_NS1_11comp_targetILNS1_3genE4ELNS1_11target_archE910ELNS1_3gpuE8ELNS1_3repE0EEENS1_47radix_sort_onesweep_sort_config_static_selectorELNS0_4arch9wavefront6targetE1EEEvSG_, .Lfunc_end2489-_ZN7rocprim17ROCPRIM_400000_NS6detail17trampoline_kernelINS0_14default_configENS1_35radix_sort_onesweep_config_selectorIisEEZZNS1_29radix_sort_onesweep_iterationIS3_Lb0EN6thrust23THRUST_200600_302600_NS10device_ptrIiEESA_NS9_IsEESB_jNS0_19identity_decomposerENS1_16block_id_wrapperIjLb0EEEEE10hipError_tT1_PNSt15iterator_traitsISG_E10value_typeET2_T3_PNSH_ISM_E10value_typeET4_T5_PSR_SS_PNS1_23onesweep_lookback_stateEbbT6_jjT7_P12ihipStream_tbENKUlT_T0_SG_SL_E_clIPiSA_PsSB_EEDaSZ_S10_SG_SL_EUlSZ_E_NS1_11comp_targetILNS1_3genE4ELNS1_11target_archE910ELNS1_3gpuE8ELNS1_3repE0EEENS1_47radix_sort_onesweep_sort_config_static_selectorELNS0_4arch9wavefront6targetE1EEEvSG_
                                        ; -- End function
	.set _ZN7rocprim17ROCPRIM_400000_NS6detail17trampoline_kernelINS0_14default_configENS1_35radix_sort_onesweep_config_selectorIisEEZZNS1_29radix_sort_onesweep_iterationIS3_Lb0EN6thrust23THRUST_200600_302600_NS10device_ptrIiEESA_NS9_IsEESB_jNS0_19identity_decomposerENS1_16block_id_wrapperIjLb0EEEEE10hipError_tT1_PNSt15iterator_traitsISG_E10value_typeET2_T3_PNSH_ISM_E10value_typeET4_T5_PSR_SS_PNS1_23onesweep_lookback_stateEbbT6_jjT7_P12ihipStream_tbENKUlT_T0_SG_SL_E_clIPiSA_PsSB_EEDaSZ_S10_SG_SL_EUlSZ_E_NS1_11comp_targetILNS1_3genE4ELNS1_11target_archE910ELNS1_3gpuE8ELNS1_3repE0EEENS1_47radix_sort_onesweep_sort_config_static_selectorELNS0_4arch9wavefront6targetE1EEEvSG_.num_vgpr, 0
	.set _ZN7rocprim17ROCPRIM_400000_NS6detail17trampoline_kernelINS0_14default_configENS1_35radix_sort_onesweep_config_selectorIisEEZZNS1_29radix_sort_onesweep_iterationIS3_Lb0EN6thrust23THRUST_200600_302600_NS10device_ptrIiEESA_NS9_IsEESB_jNS0_19identity_decomposerENS1_16block_id_wrapperIjLb0EEEEE10hipError_tT1_PNSt15iterator_traitsISG_E10value_typeET2_T3_PNSH_ISM_E10value_typeET4_T5_PSR_SS_PNS1_23onesweep_lookback_stateEbbT6_jjT7_P12ihipStream_tbENKUlT_T0_SG_SL_E_clIPiSA_PsSB_EEDaSZ_S10_SG_SL_EUlSZ_E_NS1_11comp_targetILNS1_3genE4ELNS1_11target_archE910ELNS1_3gpuE8ELNS1_3repE0EEENS1_47radix_sort_onesweep_sort_config_static_selectorELNS0_4arch9wavefront6targetE1EEEvSG_.num_agpr, 0
	.set _ZN7rocprim17ROCPRIM_400000_NS6detail17trampoline_kernelINS0_14default_configENS1_35radix_sort_onesweep_config_selectorIisEEZZNS1_29radix_sort_onesweep_iterationIS3_Lb0EN6thrust23THRUST_200600_302600_NS10device_ptrIiEESA_NS9_IsEESB_jNS0_19identity_decomposerENS1_16block_id_wrapperIjLb0EEEEE10hipError_tT1_PNSt15iterator_traitsISG_E10value_typeET2_T3_PNSH_ISM_E10value_typeET4_T5_PSR_SS_PNS1_23onesweep_lookback_stateEbbT6_jjT7_P12ihipStream_tbENKUlT_T0_SG_SL_E_clIPiSA_PsSB_EEDaSZ_S10_SG_SL_EUlSZ_E_NS1_11comp_targetILNS1_3genE4ELNS1_11target_archE910ELNS1_3gpuE8ELNS1_3repE0EEENS1_47radix_sort_onesweep_sort_config_static_selectorELNS0_4arch9wavefront6targetE1EEEvSG_.numbered_sgpr, 0
	.set _ZN7rocprim17ROCPRIM_400000_NS6detail17trampoline_kernelINS0_14default_configENS1_35radix_sort_onesweep_config_selectorIisEEZZNS1_29radix_sort_onesweep_iterationIS3_Lb0EN6thrust23THRUST_200600_302600_NS10device_ptrIiEESA_NS9_IsEESB_jNS0_19identity_decomposerENS1_16block_id_wrapperIjLb0EEEEE10hipError_tT1_PNSt15iterator_traitsISG_E10value_typeET2_T3_PNSH_ISM_E10value_typeET4_T5_PSR_SS_PNS1_23onesweep_lookback_stateEbbT6_jjT7_P12ihipStream_tbENKUlT_T0_SG_SL_E_clIPiSA_PsSB_EEDaSZ_S10_SG_SL_EUlSZ_E_NS1_11comp_targetILNS1_3genE4ELNS1_11target_archE910ELNS1_3gpuE8ELNS1_3repE0EEENS1_47radix_sort_onesweep_sort_config_static_selectorELNS0_4arch9wavefront6targetE1EEEvSG_.num_named_barrier, 0
	.set _ZN7rocprim17ROCPRIM_400000_NS6detail17trampoline_kernelINS0_14default_configENS1_35radix_sort_onesweep_config_selectorIisEEZZNS1_29radix_sort_onesweep_iterationIS3_Lb0EN6thrust23THRUST_200600_302600_NS10device_ptrIiEESA_NS9_IsEESB_jNS0_19identity_decomposerENS1_16block_id_wrapperIjLb0EEEEE10hipError_tT1_PNSt15iterator_traitsISG_E10value_typeET2_T3_PNSH_ISM_E10value_typeET4_T5_PSR_SS_PNS1_23onesweep_lookback_stateEbbT6_jjT7_P12ihipStream_tbENKUlT_T0_SG_SL_E_clIPiSA_PsSB_EEDaSZ_S10_SG_SL_EUlSZ_E_NS1_11comp_targetILNS1_3genE4ELNS1_11target_archE910ELNS1_3gpuE8ELNS1_3repE0EEENS1_47radix_sort_onesweep_sort_config_static_selectorELNS0_4arch9wavefront6targetE1EEEvSG_.private_seg_size, 0
	.set _ZN7rocprim17ROCPRIM_400000_NS6detail17trampoline_kernelINS0_14default_configENS1_35radix_sort_onesweep_config_selectorIisEEZZNS1_29radix_sort_onesweep_iterationIS3_Lb0EN6thrust23THRUST_200600_302600_NS10device_ptrIiEESA_NS9_IsEESB_jNS0_19identity_decomposerENS1_16block_id_wrapperIjLb0EEEEE10hipError_tT1_PNSt15iterator_traitsISG_E10value_typeET2_T3_PNSH_ISM_E10value_typeET4_T5_PSR_SS_PNS1_23onesweep_lookback_stateEbbT6_jjT7_P12ihipStream_tbENKUlT_T0_SG_SL_E_clIPiSA_PsSB_EEDaSZ_S10_SG_SL_EUlSZ_E_NS1_11comp_targetILNS1_3genE4ELNS1_11target_archE910ELNS1_3gpuE8ELNS1_3repE0EEENS1_47radix_sort_onesweep_sort_config_static_selectorELNS0_4arch9wavefront6targetE1EEEvSG_.uses_vcc, 0
	.set _ZN7rocprim17ROCPRIM_400000_NS6detail17trampoline_kernelINS0_14default_configENS1_35radix_sort_onesweep_config_selectorIisEEZZNS1_29radix_sort_onesweep_iterationIS3_Lb0EN6thrust23THRUST_200600_302600_NS10device_ptrIiEESA_NS9_IsEESB_jNS0_19identity_decomposerENS1_16block_id_wrapperIjLb0EEEEE10hipError_tT1_PNSt15iterator_traitsISG_E10value_typeET2_T3_PNSH_ISM_E10value_typeET4_T5_PSR_SS_PNS1_23onesweep_lookback_stateEbbT6_jjT7_P12ihipStream_tbENKUlT_T0_SG_SL_E_clIPiSA_PsSB_EEDaSZ_S10_SG_SL_EUlSZ_E_NS1_11comp_targetILNS1_3genE4ELNS1_11target_archE910ELNS1_3gpuE8ELNS1_3repE0EEENS1_47radix_sort_onesweep_sort_config_static_selectorELNS0_4arch9wavefront6targetE1EEEvSG_.uses_flat_scratch, 0
	.set _ZN7rocprim17ROCPRIM_400000_NS6detail17trampoline_kernelINS0_14default_configENS1_35radix_sort_onesweep_config_selectorIisEEZZNS1_29radix_sort_onesweep_iterationIS3_Lb0EN6thrust23THRUST_200600_302600_NS10device_ptrIiEESA_NS9_IsEESB_jNS0_19identity_decomposerENS1_16block_id_wrapperIjLb0EEEEE10hipError_tT1_PNSt15iterator_traitsISG_E10value_typeET2_T3_PNSH_ISM_E10value_typeET4_T5_PSR_SS_PNS1_23onesweep_lookback_stateEbbT6_jjT7_P12ihipStream_tbENKUlT_T0_SG_SL_E_clIPiSA_PsSB_EEDaSZ_S10_SG_SL_EUlSZ_E_NS1_11comp_targetILNS1_3genE4ELNS1_11target_archE910ELNS1_3gpuE8ELNS1_3repE0EEENS1_47radix_sort_onesweep_sort_config_static_selectorELNS0_4arch9wavefront6targetE1EEEvSG_.has_dyn_sized_stack, 0
	.set _ZN7rocprim17ROCPRIM_400000_NS6detail17trampoline_kernelINS0_14default_configENS1_35radix_sort_onesweep_config_selectorIisEEZZNS1_29radix_sort_onesweep_iterationIS3_Lb0EN6thrust23THRUST_200600_302600_NS10device_ptrIiEESA_NS9_IsEESB_jNS0_19identity_decomposerENS1_16block_id_wrapperIjLb0EEEEE10hipError_tT1_PNSt15iterator_traitsISG_E10value_typeET2_T3_PNSH_ISM_E10value_typeET4_T5_PSR_SS_PNS1_23onesweep_lookback_stateEbbT6_jjT7_P12ihipStream_tbENKUlT_T0_SG_SL_E_clIPiSA_PsSB_EEDaSZ_S10_SG_SL_EUlSZ_E_NS1_11comp_targetILNS1_3genE4ELNS1_11target_archE910ELNS1_3gpuE8ELNS1_3repE0EEENS1_47radix_sort_onesweep_sort_config_static_selectorELNS0_4arch9wavefront6targetE1EEEvSG_.has_recursion, 0
	.set _ZN7rocprim17ROCPRIM_400000_NS6detail17trampoline_kernelINS0_14default_configENS1_35radix_sort_onesweep_config_selectorIisEEZZNS1_29radix_sort_onesweep_iterationIS3_Lb0EN6thrust23THRUST_200600_302600_NS10device_ptrIiEESA_NS9_IsEESB_jNS0_19identity_decomposerENS1_16block_id_wrapperIjLb0EEEEE10hipError_tT1_PNSt15iterator_traitsISG_E10value_typeET2_T3_PNSH_ISM_E10value_typeET4_T5_PSR_SS_PNS1_23onesweep_lookback_stateEbbT6_jjT7_P12ihipStream_tbENKUlT_T0_SG_SL_E_clIPiSA_PsSB_EEDaSZ_S10_SG_SL_EUlSZ_E_NS1_11comp_targetILNS1_3genE4ELNS1_11target_archE910ELNS1_3gpuE8ELNS1_3repE0EEENS1_47radix_sort_onesweep_sort_config_static_selectorELNS0_4arch9wavefront6targetE1EEEvSG_.has_indirect_call, 0
	.section	.AMDGPU.csdata,"",@progbits
; Kernel info:
; codeLenInByte = 0
; TotalNumSgprs: 6
; NumVgprs: 0
; NumAgprs: 0
; TotalNumVgprs: 0
; ScratchSize: 0
; MemoryBound: 0
; FloatMode: 240
; IeeeMode: 1
; LDSByteSize: 0 bytes/workgroup (compile time only)
; SGPRBlocks: 0
; VGPRBlocks: 0
; NumSGPRsForWavesPerEU: 6
; NumVGPRsForWavesPerEU: 1
; AccumOffset: 4
; Occupancy: 8
; WaveLimiterHint : 0
; COMPUTE_PGM_RSRC2:SCRATCH_EN: 0
; COMPUTE_PGM_RSRC2:USER_SGPR: 2
; COMPUTE_PGM_RSRC2:TRAP_HANDLER: 0
; COMPUTE_PGM_RSRC2:TGID_X_EN: 1
; COMPUTE_PGM_RSRC2:TGID_Y_EN: 0
; COMPUTE_PGM_RSRC2:TGID_Z_EN: 0
; COMPUTE_PGM_RSRC2:TIDIG_COMP_CNT: 0
; COMPUTE_PGM_RSRC3_GFX90A:ACCUM_OFFSET: 0
; COMPUTE_PGM_RSRC3_GFX90A:TG_SPLIT: 0
	.section	.text._ZN7rocprim17ROCPRIM_400000_NS6detail17trampoline_kernelINS0_14default_configENS1_35radix_sort_onesweep_config_selectorIisEEZZNS1_29radix_sort_onesweep_iterationIS3_Lb0EN6thrust23THRUST_200600_302600_NS10device_ptrIiEESA_NS9_IsEESB_jNS0_19identity_decomposerENS1_16block_id_wrapperIjLb0EEEEE10hipError_tT1_PNSt15iterator_traitsISG_E10value_typeET2_T3_PNSH_ISM_E10value_typeET4_T5_PSR_SS_PNS1_23onesweep_lookback_stateEbbT6_jjT7_P12ihipStream_tbENKUlT_T0_SG_SL_E_clIPiSA_PsSB_EEDaSZ_S10_SG_SL_EUlSZ_E_NS1_11comp_targetILNS1_3genE3ELNS1_11target_archE908ELNS1_3gpuE7ELNS1_3repE0EEENS1_47radix_sort_onesweep_sort_config_static_selectorELNS0_4arch9wavefront6targetE1EEEvSG_,"axG",@progbits,_ZN7rocprim17ROCPRIM_400000_NS6detail17trampoline_kernelINS0_14default_configENS1_35radix_sort_onesweep_config_selectorIisEEZZNS1_29radix_sort_onesweep_iterationIS3_Lb0EN6thrust23THRUST_200600_302600_NS10device_ptrIiEESA_NS9_IsEESB_jNS0_19identity_decomposerENS1_16block_id_wrapperIjLb0EEEEE10hipError_tT1_PNSt15iterator_traitsISG_E10value_typeET2_T3_PNSH_ISM_E10value_typeET4_T5_PSR_SS_PNS1_23onesweep_lookback_stateEbbT6_jjT7_P12ihipStream_tbENKUlT_T0_SG_SL_E_clIPiSA_PsSB_EEDaSZ_S10_SG_SL_EUlSZ_E_NS1_11comp_targetILNS1_3genE3ELNS1_11target_archE908ELNS1_3gpuE7ELNS1_3repE0EEENS1_47radix_sort_onesweep_sort_config_static_selectorELNS0_4arch9wavefront6targetE1EEEvSG_,comdat
	.protected	_ZN7rocprim17ROCPRIM_400000_NS6detail17trampoline_kernelINS0_14default_configENS1_35radix_sort_onesweep_config_selectorIisEEZZNS1_29radix_sort_onesweep_iterationIS3_Lb0EN6thrust23THRUST_200600_302600_NS10device_ptrIiEESA_NS9_IsEESB_jNS0_19identity_decomposerENS1_16block_id_wrapperIjLb0EEEEE10hipError_tT1_PNSt15iterator_traitsISG_E10value_typeET2_T3_PNSH_ISM_E10value_typeET4_T5_PSR_SS_PNS1_23onesweep_lookback_stateEbbT6_jjT7_P12ihipStream_tbENKUlT_T0_SG_SL_E_clIPiSA_PsSB_EEDaSZ_S10_SG_SL_EUlSZ_E_NS1_11comp_targetILNS1_3genE3ELNS1_11target_archE908ELNS1_3gpuE7ELNS1_3repE0EEENS1_47radix_sort_onesweep_sort_config_static_selectorELNS0_4arch9wavefront6targetE1EEEvSG_ ; -- Begin function _ZN7rocprim17ROCPRIM_400000_NS6detail17trampoline_kernelINS0_14default_configENS1_35radix_sort_onesweep_config_selectorIisEEZZNS1_29radix_sort_onesweep_iterationIS3_Lb0EN6thrust23THRUST_200600_302600_NS10device_ptrIiEESA_NS9_IsEESB_jNS0_19identity_decomposerENS1_16block_id_wrapperIjLb0EEEEE10hipError_tT1_PNSt15iterator_traitsISG_E10value_typeET2_T3_PNSH_ISM_E10value_typeET4_T5_PSR_SS_PNS1_23onesweep_lookback_stateEbbT6_jjT7_P12ihipStream_tbENKUlT_T0_SG_SL_E_clIPiSA_PsSB_EEDaSZ_S10_SG_SL_EUlSZ_E_NS1_11comp_targetILNS1_3genE3ELNS1_11target_archE908ELNS1_3gpuE7ELNS1_3repE0EEENS1_47radix_sort_onesweep_sort_config_static_selectorELNS0_4arch9wavefront6targetE1EEEvSG_
	.globl	_ZN7rocprim17ROCPRIM_400000_NS6detail17trampoline_kernelINS0_14default_configENS1_35radix_sort_onesweep_config_selectorIisEEZZNS1_29radix_sort_onesweep_iterationIS3_Lb0EN6thrust23THRUST_200600_302600_NS10device_ptrIiEESA_NS9_IsEESB_jNS0_19identity_decomposerENS1_16block_id_wrapperIjLb0EEEEE10hipError_tT1_PNSt15iterator_traitsISG_E10value_typeET2_T3_PNSH_ISM_E10value_typeET4_T5_PSR_SS_PNS1_23onesweep_lookback_stateEbbT6_jjT7_P12ihipStream_tbENKUlT_T0_SG_SL_E_clIPiSA_PsSB_EEDaSZ_S10_SG_SL_EUlSZ_E_NS1_11comp_targetILNS1_3genE3ELNS1_11target_archE908ELNS1_3gpuE7ELNS1_3repE0EEENS1_47radix_sort_onesweep_sort_config_static_selectorELNS0_4arch9wavefront6targetE1EEEvSG_
	.p2align	8
	.type	_ZN7rocprim17ROCPRIM_400000_NS6detail17trampoline_kernelINS0_14default_configENS1_35radix_sort_onesweep_config_selectorIisEEZZNS1_29radix_sort_onesweep_iterationIS3_Lb0EN6thrust23THRUST_200600_302600_NS10device_ptrIiEESA_NS9_IsEESB_jNS0_19identity_decomposerENS1_16block_id_wrapperIjLb0EEEEE10hipError_tT1_PNSt15iterator_traitsISG_E10value_typeET2_T3_PNSH_ISM_E10value_typeET4_T5_PSR_SS_PNS1_23onesweep_lookback_stateEbbT6_jjT7_P12ihipStream_tbENKUlT_T0_SG_SL_E_clIPiSA_PsSB_EEDaSZ_S10_SG_SL_EUlSZ_E_NS1_11comp_targetILNS1_3genE3ELNS1_11target_archE908ELNS1_3gpuE7ELNS1_3repE0EEENS1_47radix_sort_onesweep_sort_config_static_selectorELNS0_4arch9wavefront6targetE1EEEvSG_,@function
_ZN7rocprim17ROCPRIM_400000_NS6detail17trampoline_kernelINS0_14default_configENS1_35radix_sort_onesweep_config_selectorIisEEZZNS1_29radix_sort_onesweep_iterationIS3_Lb0EN6thrust23THRUST_200600_302600_NS10device_ptrIiEESA_NS9_IsEESB_jNS0_19identity_decomposerENS1_16block_id_wrapperIjLb0EEEEE10hipError_tT1_PNSt15iterator_traitsISG_E10value_typeET2_T3_PNSH_ISM_E10value_typeET4_T5_PSR_SS_PNS1_23onesweep_lookback_stateEbbT6_jjT7_P12ihipStream_tbENKUlT_T0_SG_SL_E_clIPiSA_PsSB_EEDaSZ_S10_SG_SL_EUlSZ_E_NS1_11comp_targetILNS1_3genE3ELNS1_11target_archE908ELNS1_3gpuE7ELNS1_3repE0EEENS1_47radix_sort_onesweep_sort_config_static_selectorELNS0_4arch9wavefront6targetE1EEEvSG_: ; @_ZN7rocprim17ROCPRIM_400000_NS6detail17trampoline_kernelINS0_14default_configENS1_35radix_sort_onesweep_config_selectorIisEEZZNS1_29radix_sort_onesweep_iterationIS3_Lb0EN6thrust23THRUST_200600_302600_NS10device_ptrIiEESA_NS9_IsEESB_jNS0_19identity_decomposerENS1_16block_id_wrapperIjLb0EEEEE10hipError_tT1_PNSt15iterator_traitsISG_E10value_typeET2_T3_PNSH_ISM_E10value_typeET4_T5_PSR_SS_PNS1_23onesweep_lookback_stateEbbT6_jjT7_P12ihipStream_tbENKUlT_T0_SG_SL_E_clIPiSA_PsSB_EEDaSZ_S10_SG_SL_EUlSZ_E_NS1_11comp_targetILNS1_3genE3ELNS1_11target_archE908ELNS1_3gpuE7ELNS1_3repE0EEENS1_47radix_sort_onesweep_sort_config_static_selectorELNS0_4arch9wavefront6targetE1EEEvSG_
; %bb.0:
	.section	.rodata,"a",@progbits
	.p2align	6, 0x0
	.amdhsa_kernel _ZN7rocprim17ROCPRIM_400000_NS6detail17trampoline_kernelINS0_14default_configENS1_35radix_sort_onesweep_config_selectorIisEEZZNS1_29radix_sort_onesweep_iterationIS3_Lb0EN6thrust23THRUST_200600_302600_NS10device_ptrIiEESA_NS9_IsEESB_jNS0_19identity_decomposerENS1_16block_id_wrapperIjLb0EEEEE10hipError_tT1_PNSt15iterator_traitsISG_E10value_typeET2_T3_PNSH_ISM_E10value_typeET4_T5_PSR_SS_PNS1_23onesweep_lookback_stateEbbT6_jjT7_P12ihipStream_tbENKUlT_T0_SG_SL_E_clIPiSA_PsSB_EEDaSZ_S10_SG_SL_EUlSZ_E_NS1_11comp_targetILNS1_3genE3ELNS1_11target_archE908ELNS1_3gpuE7ELNS1_3repE0EEENS1_47radix_sort_onesweep_sort_config_static_selectorELNS0_4arch9wavefront6targetE1EEEvSG_
		.amdhsa_group_segment_fixed_size 0
		.amdhsa_private_segment_fixed_size 0
		.amdhsa_kernarg_size 88
		.amdhsa_user_sgpr_count 2
		.amdhsa_user_sgpr_dispatch_ptr 0
		.amdhsa_user_sgpr_queue_ptr 0
		.amdhsa_user_sgpr_kernarg_segment_ptr 1
		.amdhsa_user_sgpr_dispatch_id 0
		.amdhsa_user_sgpr_kernarg_preload_length 0
		.amdhsa_user_sgpr_kernarg_preload_offset 0
		.amdhsa_user_sgpr_private_segment_size 0
		.amdhsa_uses_dynamic_stack 0
		.amdhsa_enable_private_segment 0
		.amdhsa_system_sgpr_workgroup_id_x 1
		.amdhsa_system_sgpr_workgroup_id_y 0
		.amdhsa_system_sgpr_workgroup_id_z 0
		.amdhsa_system_sgpr_workgroup_info 0
		.amdhsa_system_vgpr_workitem_id 0
		.amdhsa_next_free_vgpr 1
		.amdhsa_next_free_sgpr 0
		.amdhsa_accum_offset 4
		.amdhsa_reserve_vcc 0
		.amdhsa_float_round_mode_32 0
		.amdhsa_float_round_mode_16_64 0
		.amdhsa_float_denorm_mode_32 3
		.amdhsa_float_denorm_mode_16_64 3
		.amdhsa_dx10_clamp 1
		.amdhsa_ieee_mode 1
		.amdhsa_fp16_overflow 0
		.amdhsa_tg_split 0
		.amdhsa_exception_fp_ieee_invalid_op 0
		.amdhsa_exception_fp_denorm_src 0
		.amdhsa_exception_fp_ieee_div_zero 0
		.amdhsa_exception_fp_ieee_overflow 0
		.amdhsa_exception_fp_ieee_underflow 0
		.amdhsa_exception_fp_ieee_inexact 0
		.amdhsa_exception_int_div_zero 0
	.end_amdhsa_kernel
	.section	.text._ZN7rocprim17ROCPRIM_400000_NS6detail17trampoline_kernelINS0_14default_configENS1_35radix_sort_onesweep_config_selectorIisEEZZNS1_29radix_sort_onesweep_iterationIS3_Lb0EN6thrust23THRUST_200600_302600_NS10device_ptrIiEESA_NS9_IsEESB_jNS0_19identity_decomposerENS1_16block_id_wrapperIjLb0EEEEE10hipError_tT1_PNSt15iterator_traitsISG_E10value_typeET2_T3_PNSH_ISM_E10value_typeET4_T5_PSR_SS_PNS1_23onesweep_lookback_stateEbbT6_jjT7_P12ihipStream_tbENKUlT_T0_SG_SL_E_clIPiSA_PsSB_EEDaSZ_S10_SG_SL_EUlSZ_E_NS1_11comp_targetILNS1_3genE3ELNS1_11target_archE908ELNS1_3gpuE7ELNS1_3repE0EEENS1_47radix_sort_onesweep_sort_config_static_selectorELNS0_4arch9wavefront6targetE1EEEvSG_,"axG",@progbits,_ZN7rocprim17ROCPRIM_400000_NS6detail17trampoline_kernelINS0_14default_configENS1_35radix_sort_onesweep_config_selectorIisEEZZNS1_29radix_sort_onesweep_iterationIS3_Lb0EN6thrust23THRUST_200600_302600_NS10device_ptrIiEESA_NS9_IsEESB_jNS0_19identity_decomposerENS1_16block_id_wrapperIjLb0EEEEE10hipError_tT1_PNSt15iterator_traitsISG_E10value_typeET2_T3_PNSH_ISM_E10value_typeET4_T5_PSR_SS_PNS1_23onesweep_lookback_stateEbbT6_jjT7_P12ihipStream_tbENKUlT_T0_SG_SL_E_clIPiSA_PsSB_EEDaSZ_S10_SG_SL_EUlSZ_E_NS1_11comp_targetILNS1_3genE3ELNS1_11target_archE908ELNS1_3gpuE7ELNS1_3repE0EEENS1_47radix_sort_onesweep_sort_config_static_selectorELNS0_4arch9wavefront6targetE1EEEvSG_,comdat
.Lfunc_end2490:
	.size	_ZN7rocprim17ROCPRIM_400000_NS6detail17trampoline_kernelINS0_14default_configENS1_35radix_sort_onesweep_config_selectorIisEEZZNS1_29radix_sort_onesweep_iterationIS3_Lb0EN6thrust23THRUST_200600_302600_NS10device_ptrIiEESA_NS9_IsEESB_jNS0_19identity_decomposerENS1_16block_id_wrapperIjLb0EEEEE10hipError_tT1_PNSt15iterator_traitsISG_E10value_typeET2_T3_PNSH_ISM_E10value_typeET4_T5_PSR_SS_PNS1_23onesweep_lookback_stateEbbT6_jjT7_P12ihipStream_tbENKUlT_T0_SG_SL_E_clIPiSA_PsSB_EEDaSZ_S10_SG_SL_EUlSZ_E_NS1_11comp_targetILNS1_3genE3ELNS1_11target_archE908ELNS1_3gpuE7ELNS1_3repE0EEENS1_47radix_sort_onesweep_sort_config_static_selectorELNS0_4arch9wavefront6targetE1EEEvSG_, .Lfunc_end2490-_ZN7rocprim17ROCPRIM_400000_NS6detail17trampoline_kernelINS0_14default_configENS1_35radix_sort_onesweep_config_selectorIisEEZZNS1_29radix_sort_onesweep_iterationIS3_Lb0EN6thrust23THRUST_200600_302600_NS10device_ptrIiEESA_NS9_IsEESB_jNS0_19identity_decomposerENS1_16block_id_wrapperIjLb0EEEEE10hipError_tT1_PNSt15iterator_traitsISG_E10value_typeET2_T3_PNSH_ISM_E10value_typeET4_T5_PSR_SS_PNS1_23onesweep_lookback_stateEbbT6_jjT7_P12ihipStream_tbENKUlT_T0_SG_SL_E_clIPiSA_PsSB_EEDaSZ_S10_SG_SL_EUlSZ_E_NS1_11comp_targetILNS1_3genE3ELNS1_11target_archE908ELNS1_3gpuE7ELNS1_3repE0EEENS1_47radix_sort_onesweep_sort_config_static_selectorELNS0_4arch9wavefront6targetE1EEEvSG_
                                        ; -- End function
	.set _ZN7rocprim17ROCPRIM_400000_NS6detail17trampoline_kernelINS0_14default_configENS1_35radix_sort_onesweep_config_selectorIisEEZZNS1_29radix_sort_onesweep_iterationIS3_Lb0EN6thrust23THRUST_200600_302600_NS10device_ptrIiEESA_NS9_IsEESB_jNS0_19identity_decomposerENS1_16block_id_wrapperIjLb0EEEEE10hipError_tT1_PNSt15iterator_traitsISG_E10value_typeET2_T3_PNSH_ISM_E10value_typeET4_T5_PSR_SS_PNS1_23onesweep_lookback_stateEbbT6_jjT7_P12ihipStream_tbENKUlT_T0_SG_SL_E_clIPiSA_PsSB_EEDaSZ_S10_SG_SL_EUlSZ_E_NS1_11comp_targetILNS1_3genE3ELNS1_11target_archE908ELNS1_3gpuE7ELNS1_3repE0EEENS1_47radix_sort_onesweep_sort_config_static_selectorELNS0_4arch9wavefront6targetE1EEEvSG_.num_vgpr, 0
	.set _ZN7rocprim17ROCPRIM_400000_NS6detail17trampoline_kernelINS0_14default_configENS1_35radix_sort_onesweep_config_selectorIisEEZZNS1_29radix_sort_onesweep_iterationIS3_Lb0EN6thrust23THRUST_200600_302600_NS10device_ptrIiEESA_NS9_IsEESB_jNS0_19identity_decomposerENS1_16block_id_wrapperIjLb0EEEEE10hipError_tT1_PNSt15iterator_traitsISG_E10value_typeET2_T3_PNSH_ISM_E10value_typeET4_T5_PSR_SS_PNS1_23onesweep_lookback_stateEbbT6_jjT7_P12ihipStream_tbENKUlT_T0_SG_SL_E_clIPiSA_PsSB_EEDaSZ_S10_SG_SL_EUlSZ_E_NS1_11comp_targetILNS1_3genE3ELNS1_11target_archE908ELNS1_3gpuE7ELNS1_3repE0EEENS1_47radix_sort_onesweep_sort_config_static_selectorELNS0_4arch9wavefront6targetE1EEEvSG_.num_agpr, 0
	.set _ZN7rocprim17ROCPRIM_400000_NS6detail17trampoline_kernelINS0_14default_configENS1_35radix_sort_onesweep_config_selectorIisEEZZNS1_29radix_sort_onesweep_iterationIS3_Lb0EN6thrust23THRUST_200600_302600_NS10device_ptrIiEESA_NS9_IsEESB_jNS0_19identity_decomposerENS1_16block_id_wrapperIjLb0EEEEE10hipError_tT1_PNSt15iterator_traitsISG_E10value_typeET2_T3_PNSH_ISM_E10value_typeET4_T5_PSR_SS_PNS1_23onesweep_lookback_stateEbbT6_jjT7_P12ihipStream_tbENKUlT_T0_SG_SL_E_clIPiSA_PsSB_EEDaSZ_S10_SG_SL_EUlSZ_E_NS1_11comp_targetILNS1_3genE3ELNS1_11target_archE908ELNS1_3gpuE7ELNS1_3repE0EEENS1_47radix_sort_onesweep_sort_config_static_selectorELNS0_4arch9wavefront6targetE1EEEvSG_.numbered_sgpr, 0
	.set _ZN7rocprim17ROCPRIM_400000_NS6detail17trampoline_kernelINS0_14default_configENS1_35radix_sort_onesweep_config_selectorIisEEZZNS1_29radix_sort_onesweep_iterationIS3_Lb0EN6thrust23THRUST_200600_302600_NS10device_ptrIiEESA_NS9_IsEESB_jNS0_19identity_decomposerENS1_16block_id_wrapperIjLb0EEEEE10hipError_tT1_PNSt15iterator_traitsISG_E10value_typeET2_T3_PNSH_ISM_E10value_typeET4_T5_PSR_SS_PNS1_23onesweep_lookback_stateEbbT6_jjT7_P12ihipStream_tbENKUlT_T0_SG_SL_E_clIPiSA_PsSB_EEDaSZ_S10_SG_SL_EUlSZ_E_NS1_11comp_targetILNS1_3genE3ELNS1_11target_archE908ELNS1_3gpuE7ELNS1_3repE0EEENS1_47radix_sort_onesweep_sort_config_static_selectorELNS0_4arch9wavefront6targetE1EEEvSG_.num_named_barrier, 0
	.set _ZN7rocprim17ROCPRIM_400000_NS6detail17trampoline_kernelINS0_14default_configENS1_35radix_sort_onesweep_config_selectorIisEEZZNS1_29radix_sort_onesweep_iterationIS3_Lb0EN6thrust23THRUST_200600_302600_NS10device_ptrIiEESA_NS9_IsEESB_jNS0_19identity_decomposerENS1_16block_id_wrapperIjLb0EEEEE10hipError_tT1_PNSt15iterator_traitsISG_E10value_typeET2_T3_PNSH_ISM_E10value_typeET4_T5_PSR_SS_PNS1_23onesweep_lookback_stateEbbT6_jjT7_P12ihipStream_tbENKUlT_T0_SG_SL_E_clIPiSA_PsSB_EEDaSZ_S10_SG_SL_EUlSZ_E_NS1_11comp_targetILNS1_3genE3ELNS1_11target_archE908ELNS1_3gpuE7ELNS1_3repE0EEENS1_47radix_sort_onesweep_sort_config_static_selectorELNS0_4arch9wavefront6targetE1EEEvSG_.private_seg_size, 0
	.set _ZN7rocprim17ROCPRIM_400000_NS6detail17trampoline_kernelINS0_14default_configENS1_35radix_sort_onesweep_config_selectorIisEEZZNS1_29radix_sort_onesweep_iterationIS3_Lb0EN6thrust23THRUST_200600_302600_NS10device_ptrIiEESA_NS9_IsEESB_jNS0_19identity_decomposerENS1_16block_id_wrapperIjLb0EEEEE10hipError_tT1_PNSt15iterator_traitsISG_E10value_typeET2_T3_PNSH_ISM_E10value_typeET4_T5_PSR_SS_PNS1_23onesweep_lookback_stateEbbT6_jjT7_P12ihipStream_tbENKUlT_T0_SG_SL_E_clIPiSA_PsSB_EEDaSZ_S10_SG_SL_EUlSZ_E_NS1_11comp_targetILNS1_3genE3ELNS1_11target_archE908ELNS1_3gpuE7ELNS1_3repE0EEENS1_47radix_sort_onesweep_sort_config_static_selectorELNS0_4arch9wavefront6targetE1EEEvSG_.uses_vcc, 0
	.set _ZN7rocprim17ROCPRIM_400000_NS6detail17trampoline_kernelINS0_14default_configENS1_35radix_sort_onesweep_config_selectorIisEEZZNS1_29radix_sort_onesweep_iterationIS3_Lb0EN6thrust23THRUST_200600_302600_NS10device_ptrIiEESA_NS9_IsEESB_jNS0_19identity_decomposerENS1_16block_id_wrapperIjLb0EEEEE10hipError_tT1_PNSt15iterator_traitsISG_E10value_typeET2_T3_PNSH_ISM_E10value_typeET4_T5_PSR_SS_PNS1_23onesweep_lookback_stateEbbT6_jjT7_P12ihipStream_tbENKUlT_T0_SG_SL_E_clIPiSA_PsSB_EEDaSZ_S10_SG_SL_EUlSZ_E_NS1_11comp_targetILNS1_3genE3ELNS1_11target_archE908ELNS1_3gpuE7ELNS1_3repE0EEENS1_47radix_sort_onesweep_sort_config_static_selectorELNS0_4arch9wavefront6targetE1EEEvSG_.uses_flat_scratch, 0
	.set _ZN7rocprim17ROCPRIM_400000_NS6detail17trampoline_kernelINS0_14default_configENS1_35radix_sort_onesweep_config_selectorIisEEZZNS1_29radix_sort_onesweep_iterationIS3_Lb0EN6thrust23THRUST_200600_302600_NS10device_ptrIiEESA_NS9_IsEESB_jNS0_19identity_decomposerENS1_16block_id_wrapperIjLb0EEEEE10hipError_tT1_PNSt15iterator_traitsISG_E10value_typeET2_T3_PNSH_ISM_E10value_typeET4_T5_PSR_SS_PNS1_23onesweep_lookback_stateEbbT6_jjT7_P12ihipStream_tbENKUlT_T0_SG_SL_E_clIPiSA_PsSB_EEDaSZ_S10_SG_SL_EUlSZ_E_NS1_11comp_targetILNS1_3genE3ELNS1_11target_archE908ELNS1_3gpuE7ELNS1_3repE0EEENS1_47radix_sort_onesweep_sort_config_static_selectorELNS0_4arch9wavefront6targetE1EEEvSG_.has_dyn_sized_stack, 0
	.set _ZN7rocprim17ROCPRIM_400000_NS6detail17trampoline_kernelINS0_14default_configENS1_35radix_sort_onesweep_config_selectorIisEEZZNS1_29radix_sort_onesweep_iterationIS3_Lb0EN6thrust23THRUST_200600_302600_NS10device_ptrIiEESA_NS9_IsEESB_jNS0_19identity_decomposerENS1_16block_id_wrapperIjLb0EEEEE10hipError_tT1_PNSt15iterator_traitsISG_E10value_typeET2_T3_PNSH_ISM_E10value_typeET4_T5_PSR_SS_PNS1_23onesweep_lookback_stateEbbT6_jjT7_P12ihipStream_tbENKUlT_T0_SG_SL_E_clIPiSA_PsSB_EEDaSZ_S10_SG_SL_EUlSZ_E_NS1_11comp_targetILNS1_3genE3ELNS1_11target_archE908ELNS1_3gpuE7ELNS1_3repE0EEENS1_47radix_sort_onesweep_sort_config_static_selectorELNS0_4arch9wavefront6targetE1EEEvSG_.has_recursion, 0
	.set _ZN7rocprim17ROCPRIM_400000_NS6detail17trampoline_kernelINS0_14default_configENS1_35radix_sort_onesweep_config_selectorIisEEZZNS1_29radix_sort_onesweep_iterationIS3_Lb0EN6thrust23THRUST_200600_302600_NS10device_ptrIiEESA_NS9_IsEESB_jNS0_19identity_decomposerENS1_16block_id_wrapperIjLb0EEEEE10hipError_tT1_PNSt15iterator_traitsISG_E10value_typeET2_T3_PNSH_ISM_E10value_typeET4_T5_PSR_SS_PNS1_23onesweep_lookback_stateEbbT6_jjT7_P12ihipStream_tbENKUlT_T0_SG_SL_E_clIPiSA_PsSB_EEDaSZ_S10_SG_SL_EUlSZ_E_NS1_11comp_targetILNS1_3genE3ELNS1_11target_archE908ELNS1_3gpuE7ELNS1_3repE0EEENS1_47radix_sort_onesweep_sort_config_static_selectorELNS0_4arch9wavefront6targetE1EEEvSG_.has_indirect_call, 0
	.section	.AMDGPU.csdata,"",@progbits
; Kernel info:
; codeLenInByte = 0
; TotalNumSgprs: 6
; NumVgprs: 0
; NumAgprs: 0
; TotalNumVgprs: 0
; ScratchSize: 0
; MemoryBound: 0
; FloatMode: 240
; IeeeMode: 1
; LDSByteSize: 0 bytes/workgroup (compile time only)
; SGPRBlocks: 0
; VGPRBlocks: 0
; NumSGPRsForWavesPerEU: 6
; NumVGPRsForWavesPerEU: 1
; AccumOffset: 4
; Occupancy: 8
; WaveLimiterHint : 0
; COMPUTE_PGM_RSRC2:SCRATCH_EN: 0
; COMPUTE_PGM_RSRC2:USER_SGPR: 2
; COMPUTE_PGM_RSRC2:TRAP_HANDLER: 0
; COMPUTE_PGM_RSRC2:TGID_X_EN: 1
; COMPUTE_PGM_RSRC2:TGID_Y_EN: 0
; COMPUTE_PGM_RSRC2:TGID_Z_EN: 0
; COMPUTE_PGM_RSRC2:TIDIG_COMP_CNT: 0
; COMPUTE_PGM_RSRC3_GFX90A:ACCUM_OFFSET: 0
; COMPUTE_PGM_RSRC3_GFX90A:TG_SPLIT: 0
	.section	.text._ZN7rocprim17ROCPRIM_400000_NS6detail17trampoline_kernelINS0_14default_configENS1_35radix_sort_onesweep_config_selectorIisEEZZNS1_29radix_sort_onesweep_iterationIS3_Lb0EN6thrust23THRUST_200600_302600_NS10device_ptrIiEESA_NS9_IsEESB_jNS0_19identity_decomposerENS1_16block_id_wrapperIjLb0EEEEE10hipError_tT1_PNSt15iterator_traitsISG_E10value_typeET2_T3_PNSH_ISM_E10value_typeET4_T5_PSR_SS_PNS1_23onesweep_lookback_stateEbbT6_jjT7_P12ihipStream_tbENKUlT_T0_SG_SL_E_clIPiSA_PsSB_EEDaSZ_S10_SG_SL_EUlSZ_E_NS1_11comp_targetILNS1_3genE10ELNS1_11target_archE1201ELNS1_3gpuE5ELNS1_3repE0EEENS1_47radix_sort_onesweep_sort_config_static_selectorELNS0_4arch9wavefront6targetE1EEEvSG_,"axG",@progbits,_ZN7rocprim17ROCPRIM_400000_NS6detail17trampoline_kernelINS0_14default_configENS1_35radix_sort_onesweep_config_selectorIisEEZZNS1_29radix_sort_onesweep_iterationIS3_Lb0EN6thrust23THRUST_200600_302600_NS10device_ptrIiEESA_NS9_IsEESB_jNS0_19identity_decomposerENS1_16block_id_wrapperIjLb0EEEEE10hipError_tT1_PNSt15iterator_traitsISG_E10value_typeET2_T3_PNSH_ISM_E10value_typeET4_T5_PSR_SS_PNS1_23onesweep_lookback_stateEbbT6_jjT7_P12ihipStream_tbENKUlT_T0_SG_SL_E_clIPiSA_PsSB_EEDaSZ_S10_SG_SL_EUlSZ_E_NS1_11comp_targetILNS1_3genE10ELNS1_11target_archE1201ELNS1_3gpuE5ELNS1_3repE0EEENS1_47radix_sort_onesweep_sort_config_static_selectorELNS0_4arch9wavefront6targetE1EEEvSG_,comdat
	.protected	_ZN7rocprim17ROCPRIM_400000_NS6detail17trampoline_kernelINS0_14default_configENS1_35radix_sort_onesweep_config_selectorIisEEZZNS1_29radix_sort_onesweep_iterationIS3_Lb0EN6thrust23THRUST_200600_302600_NS10device_ptrIiEESA_NS9_IsEESB_jNS0_19identity_decomposerENS1_16block_id_wrapperIjLb0EEEEE10hipError_tT1_PNSt15iterator_traitsISG_E10value_typeET2_T3_PNSH_ISM_E10value_typeET4_T5_PSR_SS_PNS1_23onesweep_lookback_stateEbbT6_jjT7_P12ihipStream_tbENKUlT_T0_SG_SL_E_clIPiSA_PsSB_EEDaSZ_S10_SG_SL_EUlSZ_E_NS1_11comp_targetILNS1_3genE10ELNS1_11target_archE1201ELNS1_3gpuE5ELNS1_3repE0EEENS1_47radix_sort_onesweep_sort_config_static_selectorELNS0_4arch9wavefront6targetE1EEEvSG_ ; -- Begin function _ZN7rocprim17ROCPRIM_400000_NS6detail17trampoline_kernelINS0_14default_configENS1_35radix_sort_onesweep_config_selectorIisEEZZNS1_29radix_sort_onesweep_iterationIS3_Lb0EN6thrust23THRUST_200600_302600_NS10device_ptrIiEESA_NS9_IsEESB_jNS0_19identity_decomposerENS1_16block_id_wrapperIjLb0EEEEE10hipError_tT1_PNSt15iterator_traitsISG_E10value_typeET2_T3_PNSH_ISM_E10value_typeET4_T5_PSR_SS_PNS1_23onesweep_lookback_stateEbbT6_jjT7_P12ihipStream_tbENKUlT_T0_SG_SL_E_clIPiSA_PsSB_EEDaSZ_S10_SG_SL_EUlSZ_E_NS1_11comp_targetILNS1_3genE10ELNS1_11target_archE1201ELNS1_3gpuE5ELNS1_3repE0EEENS1_47radix_sort_onesweep_sort_config_static_selectorELNS0_4arch9wavefront6targetE1EEEvSG_
	.globl	_ZN7rocprim17ROCPRIM_400000_NS6detail17trampoline_kernelINS0_14default_configENS1_35radix_sort_onesweep_config_selectorIisEEZZNS1_29radix_sort_onesweep_iterationIS3_Lb0EN6thrust23THRUST_200600_302600_NS10device_ptrIiEESA_NS9_IsEESB_jNS0_19identity_decomposerENS1_16block_id_wrapperIjLb0EEEEE10hipError_tT1_PNSt15iterator_traitsISG_E10value_typeET2_T3_PNSH_ISM_E10value_typeET4_T5_PSR_SS_PNS1_23onesweep_lookback_stateEbbT6_jjT7_P12ihipStream_tbENKUlT_T0_SG_SL_E_clIPiSA_PsSB_EEDaSZ_S10_SG_SL_EUlSZ_E_NS1_11comp_targetILNS1_3genE10ELNS1_11target_archE1201ELNS1_3gpuE5ELNS1_3repE0EEENS1_47radix_sort_onesweep_sort_config_static_selectorELNS0_4arch9wavefront6targetE1EEEvSG_
	.p2align	8
	.type	_ZN7rocprim17ROCPRIM_400000_NS6detail17trampoline_kernelINS0_14default_configENS1_35radix_sort_onesweep_config_selectorIisEEZZNS1_29radix_sort_onesweep_iterationIS3_Lb0EN6thrust23THRUST_200600_302600_NS10device_ptrIiEESA_NS9_IsEESB_jNS0_19identity_decomposerENS1_16block_id_wrapperIjLb0EEEEE10hipError_tT1_PNSt15iterator_traitsISG_E10value_typeET2_T3_PNSH_ISM_E10value_typeET4_T5_PSR_SS_PNS1_23onesweep_lookback_stateEbbT6_jjT7_P12ihipStream_tbENKUlT_T0_SG_SL_E_clIPiSA_PsSB_EEDaSZ_S10_SG_SL_EUlSZ_E_NS1_11comp_targetILNS1_3genE10ELNS1_11target_archE1201ELNS1_3gpuE5ELNS1_3repE0EEENS1_47radix_sort_onesweep_sort_config_static_selectorELNS0_4arch9wavefront6targetE1EEEvSG_,@function
_ZN7rocprim17ROCPRIM_400000_NS6detail17trampoline_kernelINS0_14default_configENS1_35radix_sort_onesweep_config_selectorIisEEZZNS1_29radix_sort_onesweep_iterationIS3_Lb0EN6thrust23THRUST_200600_302600_NS10device_ptrIiEESA_NS9_IsEESB_jNS0_19identity_decomposerENS1_16block_id_wrapperIjLb0EEEEE10hipError_tT1_PNSt15iterator_traitsISG_E10value_typeET2_T3_PNSH_ISM_E10value_typeET4_T5_PSR_SS_PNS1_23onesweep_lookback_stateEbbT6_jjT7_P12ihipStream_tbENKUlT_T0_SG_SL_E_clIPiSA_PsSB_EEDaSZ_S10_SG_SL_EUlSZ_E_NS1_11comp_targetILNS1_3genE10ELNS1_11target_archE1201ELNS1_3gpuE5ELNS1_3repE0EEENS1_47radix_sort_onesweep_sort_config_static_selectorELNS0_4arch9wavefront6targetE1EEEvSG_: ; @_ZN7rocprim17ROCPRIM_400000_NS6detail17trampoline_kernelINS0_14default_configENS1_35radix_sort_onesweep_config_selectorIisEEZZNS1_29radix_sort_onesweep_iterationIS3_Lb0EN6thrust23THRUST_200600_302600_NS10device_ptrIiEESA_NS9_IsEESB_jNS0_19identity_decomposerENS1_16block_id_wrapperIjLb0EEEEE10hipError_tT1_PNSt15iterator_traitsISG_E10value_typeET2_T3_PNSH_ISM_E10value_typeET4_T5_PSR_SS_PNS1_23onesweep_lookback_stateEbbT6_jjT7_P12ihipStream_tbENKUlT_T0_SG_SL_E_clIPiSA_PsSB_EEDaSZ_S10_SG_SL_EUlSZ_E_NS1_11comp_targetILNS1_3genE10ELNS1_11target_archE1201ELNS1_3gpuE5ELNS1_3repE0EEENS1_47radix_sort_onesweep_sort_config_static_selectorELNS0_4arch9wavefront6targetE1EEEvSG_
; %bb.0:
	.section	.rodata,"a",@progbits
	.p2align	6, 0x0
	.amdhsa_kernel _ZN7rocprim17ROCPRIM_400000_NS6detail17trampoline_kernelINS0_14default_configENS1_35radix_sort_onesweep_config_selectorIisEEZZNS1_29radix_sort_onesweep_iterationIS3_Lb0EN6thrust23THRUST_200600_302600_NS10device_ptrIiEESA_NS9_IsEESB_jNS0_19identity_decomposerENS1_16block_id_wrapperIjLb0EEEEE10hipError_tT1_PNSt15iterator_traitsISG_E10value_typeET2_T3_PNSH_ISM_E10value_typeET4_T5_PSR_SS_PNS1_23onesweep_lookback_stateEbbT6_jjT7_P12ihipStream_tbENKUlT_T0_SG_SL_E_clIPiSA_PsSB_EEDaSZ_S10_SG_SL_EUlSZ_E_NS1_11comp_targetILNS1_3genE10ELNS1_11target_archE1201ELNS1_3gpuE5ELNS1_3repE0EEENS1_47radix_sort_onesweep_sort_config_static_selectorELNS0_4arch9wavefront6targetE1EEEvSG_
		.amdhsa_group_segment_fixed_size 0
		.amdhsa_private_segment_fixed_size 0
		.amdhsa_kernarg_size 88
		.amdhsa_user_sgpr_count 2
		.amdhsa_user_sgpr_dispatch_ptr 0
		.amdhsa_user_sgpr_queue_ptr 0
		.amdhsa_user_sgpr_kernarg_segment_ptr 1
		.amdhsa_user_sgpr_dispatch_id 0
		.amdhsa_user_sgpr_kernarg_preload_length 0
		.amdhsa_user_sgpr_kernarg_preload_offset 0
		.amdhsa_user_sgpr_private_segment_size 0
		.amdhsa_uses_dynamic_stack 0
		.amdhsa_enable_private_segment 0
		.amdhsa_system_sgpr_workgroup_id_x 1
		.amdhsa_system_sgpr_workgroup_id_y 0
		.amdhsa_system_sgpr_workgroup_id_z 0
		.amdhsa_system_sgpr_workgroup_info 0
		.amdhsa_system_vgpr_workitem_id 0
		.amdhsa_next_free_vgpr 1
		.amdhsa_next_free_sgpr 0
		.amdhsa_accum_offset 4
		.amdhsa_reserve_vcc 0
		.amdhsa_float_round_mode_32 0
		.amdhsa_float_round_mode_16_64 0
		.amdhsa_float_denorm_mode_32 3
		.amdhsa_float_denorm_mode_16_64 3
		.amdhsa_dx10_clamp 1
		.amdhsa_ieee_mode 1
		.amdhsa_fp16_overflow 0
		.amdhsa_tg_split 0
		.amdhsa_exception_fp_ieee_invalid_op 0
		.amdhsa_exception_fp_denorm_src 0
		.amdhsa_exception_fp_ieee_div_zero 0
		.amdhsa_exception_fp_ieee_overflow 0
		.amdhsa_exception_fp_ieee_underflow 0
		.amdhsa_exception_fp_ieee_inexact 0
		.amdhsa_exception_int_div_zero 0
	.end_amdhsa_kernel
	.section	.text._ZN7rocprim17ROCPRIM_400000_NS6detail17trampoline_kernelINS0_14default_configENS1_35radix_sort_onesweep_config_selectorIisEEZZNS1_29radix_sort_onesweep_iterationIS3_Lb0EN6thrust23THRUST_200600_302600_NS10device_ptrIiEESA_NS9_IsEESB_jNS0_19identity_decomposerENS1_16block_id_wrapperIjLb0EEEEE10hipError_tT1_PNSt15iterator_traitsISG_E10value_typeET2_T3_PNSH_ISM_E10value_typeET4_T5_PSR_SS_PNS1_23onesweep_lookback_stateEbbT6_jjT7_P12ihipStream_tbENKUlT_T0_SG_SL_E_clIPiSA_PsSB_EEDaSZ_S10_SG_SL_EUlSZ_E_NS1_11comp_targetILNS1_3genE10ELNS1_11target_archE1201ELNS1_3gpuE5ELNS1_3repE0EEENS1_47radix_sort_onesweep_sort_config_static_selectorELNS0_4arch9wavefront6targetE1EEEvSG_,"axG",@progbits,_ZN7rocprim17ROCPRIM_400000_NS6detail17trampoline_kernelINS0_14default_configENS1_35radix_sort_onesweep_config_selectorIisEEZZNS1_29radix_sort_onesweep_iterationIS3_Lb0EN6thrust23THRUST_200600_302600_NS10device_ptrIiEESA_NS9_IsEESB_jNS0_19identity_decomposerENS1_16block_id_wrapperIjLb0EEEEE10hipError_tT1_PNSt15iterator_traitsISG_E10value_typeET2_T3_PNSH_ISM_E10value_typeET4_T5_PSR_SS_PNS1_23onesweep_lookback_stateEbbT6_jjT7_P12ihipStream_tbENKUlT_T0_SG_SL_E_clIPiSA_PsSB_EEDaSZ_S10_SG_SL_EUlSZ_E_NS1_11comp_targetILNS1_3genE10ELNS1_11target_archE1201ELNS1_3gpuE5ELNS1_3repE0EEENS1_47radix_sort_onesweep_sort_config_static_selectorELNS0_4arch9wavefront6targetE1EEEvSG_,comdat
.Lfunc_end2491:
	.size	_ZN7rocprim17ROCPRIM_400000_NS6detail17trampoline_kernelINS0_14default_configENS1_35radix_sort_onesweep_config_selectorIisEEZZNS1_29radix_sort_onesweep_iterationIS3_Lb0EN6thrust23THRUST_200600_302600_NS10device_ptrIiEESA_NS9_IsEESB_jNS0_19identity_decomposerENS1_16block_id_wrapperIjLb0EEEEE10hipError_tT1_PNSt15iterator_traitsISG_E10value_typeET2_T3_PNSH_ISM_E10value_typeET4_T5_PSR_SS_PNS1_23onesweep_lookback_stateEbbT6_jjT7_P12ihipStream_tbENKUlT_T0_SG_SL_E_clIPiSA_PsSB_EEDaSZ_S10_SG_SL_EUlSZ_E_NS1_11comp_targetILNS1_3genE10ELNS1_11target_archE1201ELNS1_3gpuE5ELNS1_3repE0EEENS1_47radix_sort_onesweep_sort_config_static_selectorELNS0_4arch9wavefront6targetE1EEEvSG_, .Lfunc_end2491-_ZN7rocprim17ROCPRIM_400000_NS6detail17trampoline_kernelINS0_14default_configENS1_35radix_sort_onesweep_config_selectorIisEEZZNS1_29radix_sort_onesweep_iterationIS3_Lb0EN6thrust23THRUST_200600_302600_NS10device_ptrIiEESA_NS9_IsEESB_jNS0_19identity_decomposerENS1_16block_id_wrapperIjLb0EEEEE10hipError_tT1_PNSt15iterator_traitsISG_E10value_typeET2_T3_PNSH_ISM_E10value_typeET4_T5_PSR_SS_PNS1_23onesweep_lookback_stateEbbT6_jjT7_P12ihipStream_tbENKUlT_T0_SG_SL_E_clIPiSA_PsSB_EEDaSZ_S10_SG_SL_EUlSZ_E_NS1_11comp_targetILNS1_3genE10ELNS1_11target_archE1201ELNS1_3gpuE5ELNS1_3repE0EEENS1_47radix_sort_onesweep_sort_config_static_selectorELNS0_4arch9wavefront6targetE1EEEvSG_
                                        ; -- End function
	.set _ZN7rocprim17ROCPRIM_400000_NS6detail17trampoline_kernelINS0_14default_configENS1_35radix_sort_onesweep_config_selectorIisEEZZNS1_29radix_sort_onesweep_iterationIS3_Lb0EN6thrust23THRUST_200600_302600_NS10device_ptrIiEESA_NS9_IsEESB_jNS0_19identity_decomposerENS1_16block_id_wrapperIjLb0EEEEE10hipError_tT1_PNSt15iterator_traitsISG_E10value_typeET2_T3_PNSH_ISM_E10value_typeET4_T5_PSR_SS_PNS1_23onesweep_lookback_stateEbbT6_jjT7_P12ihipStream_tbENKUlT_T0_SG_SL_E_clIPiSA_PsSB_EEDaSZ_S10_SG_SL_EUlSZ_E_NS1_11comp_targetILNS1_3genE10ELNS1_11target_archE1201ELNS1_3gpuE5ELNS1_3repE0EEENS1_47radix_sort_onesweep_sort_config_static_selectorELNS0_4arch9wavefront6targetE1EEEvSG_.num_vgpr, 0
	.set _ZN7rocprim17ROCPRIM_400000_NS6detail17trampoline_kernelINS0_14default_configENS1_35radix_sort_onesweep_config_selectorIisEEZZNS1_29radix_sort_onesweep_iterationIS3_Lb0EN6thrust23THRUST_200600_302600_NS10device_ptrIiEESA_NS9_IsEESB_jNS0_19identity_decomposerENS1_16block_id_wrapperIjLb0EEEEE10hipError_tT1_PNSt15iterator_traitsISG_E10value_typeET2_T3_PNSH_ISM_E10value_typeET4_T5_PSR_SS_PNS1_23onesweep_lookback_stateEbbT6_jjT7_P12ihipStream_tbENKUlT_T0_SG_SL_E_clIPiSA_PsSB_EEDaSZ_S10_SG_SL_EUlSZ_E_NS1_11comp_targetILNS1_3genE10ELNS1_11target_archE1201ELNS1_3gpuE5ELNS1_3repE0EEENS1_47radix_sort_onesweep_sort_config_static_selectorELNS0_4arch9wavefront6targetE1EEEvSG_.num_agpr, 0
	.set _ZN7rocprim17ROCPRIM_400000_NS6detail17trampoline_kernelINS0_14default_configENS1_35radix_sort_onesweep_config_selectorIisEEZZNS1_29radix_sort_onesweep_iterationIS3_Lb0EN6thrust23THRUST_200600_302600_NS10device_ptrIiEESA_NS9_IsEESB_jNS0_19identity_decomposerENS1_16block_id_wrapperIjLb0EEEEE10hipError_tT1_PNSt15iterator_traitsISG_E10value_typeET2_T3_PNSH_ISM_E10value_typeET4_T5_PSR_SS_PNS1_23onesweep_lookback_stateEbbT6_jjT7_P12ihipStream_tbENKUlT_T0_SG_SL_E_clIPiSA_PsSB_EEDaSZ_S10_SG_SL_EUlSZ_E_NS1_11comp_targetILNS1_3genE10ELNS1_11target_archE1201ELNS1_3gpuE5ELNS1_3repE0EEENS1_47radix_sort_onesweep_sort_config_static_selectorELNS0_4arch9wavefront6targetE1EEEvSG_.numbered_sgpr, 0
	.set _ZN7rocprim17ROCPRIM_400000_NS6detail17trampoline_kernelINS0_14default_configENS1_35radix_sort_onesweep_config_selectorIisEEZZNS1_29radix_sort_onesweep_iterationIS3_Lb0EN6thrust23THRUST_200600_302600_NS10device_ptrIiEESA_NS9_IsEESB_jNS0_19identity_decomposerENS1_16block_id_wrapperIjLb0EEEEE10hipError_tT1_PNSt15iterator_traitsISG_E10value_typeET2_T3_PNSH_ISM_E10value_typeET4_T5_PSR_SS_PNS1_23onesweep_lookback_stateEbbT6_jjT7_P12ihipStream_tbENKUlT_T0_SG_SL_E_clIPiSA_PsSB_EEDaSZ_S10_SG_SL_EUlSZ_E_NS1_11comp_targetILNS1_3genE10ELNS1_11target_archE1201ELNS1_3gpuE5ELNS1_3repE0EEENS1_47radix_sort_onesweep_sort_config_static_selectorELNS0_4arch9wavefront6targetE1EEEvSG_.num_named_barrier, 0
	.set _ZN7rocprim17ROCPRIM_400000_NS6detail17trampoline_kernelINS0_14default_configENS1_35radix_sort_onesweep_config_selectorIisEEZZNS1_29radix_sort_onesweep_iterationIS3_Lb0EN6thrust23THRUST_200600_302600_NS10device_ptrIiEESA_NS9_IsEESB_jNS0_19identity_decomposerENS1_16block_id_wrapperIjLb0EEEEE10hipError_tT1_PNSt15iterator_traitsISG_E10value_typeET2_T3_PNSH_ISM_E10value_typeET4_T5_PSR_SS_PNS1_23onesweep_lookback_stateEbbT6_jjT7_P12ihipStream_tbENKUlT_T0_SG_SL_E_clIPiSA_PsSB_EEDaSZ_S10_SG_SL_EUlSZ_E_NS1_11comp_targetILNS1_3genE10ELNS1_11target_archE1201ELNS1_3gpuE5ELNS1_3repE0EEENS1_47radix_sort_onesweep_sort_config_static_selectorELNS0_4arch9wavefront6targetE1EEEvSG_.private_seg_size, 0
	.set _ZN7rocprim17ROCPRIM_400000_NS6detail17trampoline_kernelINS0_14default_configENS1_35radix_sort_onesweep_config_selectorIisEEZZNS1_29radix_sort_onesweep_iterationIS3_Lb0EN6thrust23THRUST_200600_302600_NS10device_ptrIiEESA_NS9_IsEESB_jNS0_19identity_decomposerENS1_16block_id_wrapperIjLb0EEEEE10hipError_tT1_PNSt15iterator_traitsISG_E10value_typeET2_T3_PNSH_ISM_E10value_typeET4_T5_PSR_SS_PNS1_23onesweep_lookback_stateEbbT6_jjT7_P12ihipStream_tbENKUlT_T0_SG_SL_E_clIPiSA_PsSB_EEDaSZ_S10_SG_SL_EUlSZ_E_NS1_11comp_targetILNS1_3genE10ELNS1_11target_archE1201ELNS1_3gpuE5ELNS1_3repE0EEENS1_47radix_sort_onesweep_sort_config_static_selectorELNS0_4arch9wavefront6targetE1EEEvSG_.uses_vcc, 0
	.set _ZN7rocprim17ROCPRIM_400000_NS6detail17trampoline_kernelINS0_14default_configENS1_35radix_sort_onesweep_config_selectorIisEEZZNS1_29radix_sort_onesweep_iterationIS3_Lb0EN6thrust23THRUST_200600_302600_NS10device_ptrIiEESA_NS9_IsEESB_jNS0_19identity_decomposerENS1_16block_id_wrapperIjLb0EEEEE10hipError_tT1_PNSt15iterator_traitsISG_E10value_typeET2_T3_PNSH_ISM_E10value_typeET4_T5_PSR_SS_PNS1_23onesweep_lookback_stateEbbT6_jjT7_P12ihipStream_tbENKUlT_T0_SG_SL_E_clIPiSA_PsSB_EEDaSZ_S10_SG_SL_EUlSZ_E_NS1_11comp_targetILNS1_3genE10ELNS1_11target_archE1201ELNS1_3gpuE5ELNS1_3repE0EEENS1_47radix_sort_onesweep_sort_config_static_selectorELNS0_4arch9wavefront6targetE1EEEvSG_.uses_flat_scratch, 0
	.set _ZN7rocprim17ROCPRIM_400000_NS6detail17trampoline_kernelINS0_14default_configENS1_35radix_sort_onesweep_config_selectorIisEEZZNS1_29radix_sort_onesweep_iterationIS3_Lb0EN6thrust23THRUST_200600_302600_NS10device_ptrIiEESA_NS9_IsEESB_jNS0_19identity_decomposerENS1_16block_id_wrapperIjLb0EEEEE10hipError_tT1_PNSt15iterator_traitsISG_E10value_typeET2_T3_PNSH_ISM_E10value_typeET4_T5_PSR_SS_PNS1_23onesweep_lookback_stateEbbT6_jjT7_P12ihipStream_tbENKUlT_T0_SG_SL_E_clIPiSA_PsSB_EEDaSZ_S10_SG_SL_EUlSZ_E_NS1_11comp_targetILNS1_3genE10ELNS1_11target_archE1201ELNS1_3gpuE5ELNS1_3repE0EEENS1_47radix_sort_onesweep_sort_config_static_selectorELNS0_4arch9wavefront6targetE1EEEvSG_.has_dyn_sized_stack, 0
	.set _ZN7rocprim17ROCPRIM_400000_NS6detail17trampoline_kernelINS0_14default_configENS1_35radix_sort_onesweep_config_selectorIisEEZZNS1_29radix_sort_onesweep_iterationIS3_Lb0EN6thrust23THRUST_200600_302600_NS10device_ptrIiEESA_NS9_IsEESB_jNS0_19identity_decomposerENS1_16block_id_wrapperIjLb0EEEEE10hipError_tT1_PNSt15iterator_traitsISG_E10value_typeET2_T3_PNSH_ISM_E10value_typeET4_T5_PSR_SS_PNS1_23onesweep_lookback_stateEbbT6_jjT7_P12ihipStream_tbENKUlT_T0_SG_SL_E_clIPiSA_PsSB_EEDaSZ_S10_SG_SL_EUlSZ_E_NS1_11comp_targetILNS1_3genE10ELNS1_11target_archE1201ELNS1_3gpuE5ELNS1_3repE0EEENS1_47radix_sort_onesweep_sort_config_static_selectorELNS0_4arch9wavefront6targetE1EEEvSG_.has_recursion, 0
	.set _ZN7rocprim17ROCPRIM_400000_NS6detail17trampoline_kernelINS0_14default_configENS1_35radix_sort_onesweep_config_selectorIisEEZZNS1_29radix_sort_onesweep_iterationIS3_Lb0EN6thrust23THRUST_200600_302600_NS10device_ptrIiEESA_NS9_IsEESB_jNS0_19identity_decomposerENS1_16block_id_wrapperIjLb0EEEEE10hipError_tT1_PNSt15iterator_traitsISG_E10value_typeET2_T3_PNSH_ISM_E10value_typeET4_T5_PSR_SS_PNS1_23onesweep_lookback_stateEbbT6_jjT7_P12ihipStream_tbENKUlT_T0_SG_SL_E_clIPiSA_PsSB_EEDaSZ_S10_SG_SL_EUlSZ_E_NS1_11comp_targetILNS1_3genE10ELNS1_11target_archE1201ELNS1_3gpuE5ELNS1_3repE0EEENS1_47radix_sort_onesweep_sort_config_static_selectorELNS0_4arch9wavefront6targetE1EEEvSG_.has_indirect_call, 0
	.section	.AMDGPU.csdata,"",@progbits
; Kernel info:
; codeLenInByte = 0
; TotalNumSgprs: 6
; NumVgprs: 0
; NumAgprs: 0
; TotalNumVgprs: 0
; ScratchSize: 0
; MemoryBound: 0
; FloatMode: 240
; IeeeMode: 1
; LDSByteSize: 0 bytes/workgroup (compile time only)
; SGPRBlocks: 0
; VGPRBlocks: 0
; NumSGPRsForWavesPerEU: 6
; NumVGPRsForWavesPerEU: 1
; AccumOffset: 4
; Occupancy: 8
; WaveLimiterHint : 0
; COMPUTE_PGM_RSRC2:SCRATCH_EN: 0
; COMPUTE_PGM_RSRC2:USER_SGPR: 2
; COMPUTE_PGM_RSRC2:TRAP_HANDLER: 0
; COMPUTE_PGM_RSRC2:TGID_X_EN: 1
; COMPUTE_PGM_RSRC2:TGID_Y_EN: 0
; COMPUTE_PGM_RSRC2:TGID_Z_EN: 0
; COMPUTE_PGM_RSRC2:TIDIG_COMP_CNT: 0
; COMPUTE_PGM_RSRC3_GFX90A:ACCUM_OFFSET: 0
; COMPUTE_PGM_RSRC3_GFX90A:TG_SPLIT: 0
	.section	.text._ZN7rocprim17ROCPRIM_400000_NS6detail17trampoline_kernelINS0_14default_configENS1_35radix_sort_onesweep_config_selectorIisEEZZNS1_29radix_sort_onesweep_iterationIS3_Lb0EN6thrust23THRUST_200600_302600_NS10device_ptrIiEESA_NS9_IsEESB_jNS0_19identity_decomposerENS1_16block_id_wrapperIjLb0EEEEE10hipError_tT1_PNSt15iterator_traitsISG_E10value_typeET2_T3_PNSH_ISM_E10value_typeET4_T5_PSR_SS_PNS1_23onesweep_lookback_stateEbbT6_jjT7_P12ihipStream_tbENKUlT_T0_SG_SL_E_clIPiSA_PsSB_EEDaSZ_S10_SG_SL_EUlSZ_E_NS1_11comp_targetILNS1_3genE9ELNS1_11target_archE1100ELNS1_3gpuE3ELNS1_3repE0EEENS1_47radix_sort_onesweep_sort_config_static_selectorELNS0_4arch9wavefront6targetE1EEEvSG_,"axG",@progbits,_ZN7rocprim17ROCPRIM_400000_NS6detail17trampoline_kernelINS0_14default_configENS1_35radix_sort_onesweep_config_selectorIisEEZZNS1_29radix_sort_onesweep_iterationIS3_Lb0EN6thrust23THRUST_200600_302600_NS10device_ptrIiEESA_NS9_IsEESB_jNS0_19identity_decomposerENS1_16block_id_wrapperIjLb0EEEEE10hipError_tT1_PNSt15iterator_traitsISG_E10value_typeET2_T3_PNSH_ISM_E10value_typeET4_T5_PSR_SS_PNS1_23onesweep_lookback_stateEbbT6_jjT7_P12ihipStream_tbENKUlT_T0_SG_SL_E_clIPiSA_PsSB_EEDaSZ_S10_SG_SL_EUlSZ_E_NS1_11comp_targetILNS1_3genE9ELNS1_11target_archE1100ELNS1_3gpuE3ELNS1_3repE0EEENS1_47radix_sort_onesweep_sort_config_static_selectorELNS0_4arch9wavefront6targetE1EEEvSG_,comdat
	.protected	_ZN7rocprim17ROCPRIM_400000_NS6detail17trampoline_kernelINS0_14default_configENS1_35radix_sort_onesweep_config_selectorIisEEZZNS1_29radix_sort_onesweep_iterationIS3_Lb0EN6thrust23THRUST_200600_302600_NS10device_ptrIiEESA_NS9_IsEESB_jNS0_19identity_decomposerENS1_16block_id_wrapperIjLb0EEEEE10hipError_tT1_PNSt15iterator_traitsISG_E10value_typeET2_T3_PNSH_ISM_E10value_typeET4_T5_PSR_SS_PNS1_23onesweep_lookback_stateEbbT6_jjT7_P12ihipStream_tbENKUlT_T0_SG_SL_E_clIPiSA_PsSB_EEDaSZ_S10_SG_SL_EUlSZ_E_NS1_11comp_targetILNS1_3genE9ELNS1_11target_archE1100ELNS1_3gpuE3ELNS1_3repE0EEENS1_47radix_sort_onesweep_sort_config_static_selectorELNS0_4arch9wavefront6targetE1EEEvSG_ ; -- Begin function _ZN7rocprim17ROCPRIM_400000_NS6detail17trampoline_kernelINS0_14default_configENS1_35radix_sort_onesweep_config_selectorIisEEZZNS1_29radix_sort_onesweep_iterationIS3_Lb0EN6thrust23THRUST_200600_302600_NS10device_ptrIiEESA_NS9_IsEESB_jNS0_19identity_decomposerENS1_16block_id_wrapperIjLb0EEEEE10hipError_tT1_PNSt15iterator_traitsISG_E10value_typeET2_T3_PNSH_ISM_E10value_typeET4_T5_PSR_SS_PNS1_23onesweep_lookback_stateEbbT6_jjT7_P12ihipStream_tbENKUlT_T0_SG_SL_E_clIPiSA_PsSB_EEDaSZ_S10_SG_SL_EUlSZ_E_NS1_11comp_targetILNS1_3genE9ELNS1_11target_archE1100ELNS1_3gpuE3ELNS1_3repE0EEENS1_47radix_sort_onesweep_sort_config_static_selectorELNS0_4arch9wavefront6targetE1EEEvSG_
	.globl	_ZN7rocprim17ROCPRIM_400000_NS6detail17trampoline_kernelINS0_14default_configENS1_35radix_sort_onesweep_config_selectorIisEEZZNS1_29radix_sort_onesweep_iterationIS3_Lb0EN6thrust23THRUST_200600_302600_NS10device_ptrIiEESA_NS9_IsEESB_jNS0_19identity_decomposerENS1_16block_id_wrapperIjLb0EEEEE10hipError_tT1_PNSt15iterator_traitsISG_E10value_typeET2_T3_PNSH_ISM_E10value_typeET4_T5_PSR_SS_PNS1_23onesweep_lookback_stateEbbT6_jjT7_P12ihipStream_tbENKUlT_T0_SG_SL_E_clIPiSA_PsSB_EEDaSZ_S10_SG_SL_EUlSZ_E_NS1_11comp_targetILNS1_3genE9ELNS1_11target_archE1100ELNS1_3gpuE3ELNS1_3repE0EEENS1_47radix_sort_onesweep_sort_config_static_selectorELNS0_4arch9wavefront6targetE1EEEvSG_
	.p2align	8
	.type	_ZN7rocprim17ROCPRIM_400000_NS6detail17trampoline_kernelINS0_14default_configENS1_35radix_sort_onesweep_config_selectorIisEEZZNS1_29radix_sort_onesweep_iterationIS3_Lb0EN6thrust23THRUST_200600_302600_NS10device_ptrIiEESA_NS9_IsEESB_jNS0_19identity_decomposerENS1_16block_id_wrapperIjLb0EEEEE10hipError_tT1_PNSt15iterator_traitsISG_E10value_typeET2_T3_PNSH_ISM_E10value_typeET4_T5_PSR_SS_PNS1_23onesweep_lookback_stateEbbT6_jjT7_P12ihipStream_tbENKUlT_T0_SG_SL_E_clIPiSA_PsSB_EEDaSZ_S10_SG_SL_EUlSZ_E_NS1_11comp_targetILNS1_3genE9ELNS1_11target_archE1100ELNS1_3gpuE3ELNS1_3repE0EEENS1_47radix_sort_onesweep_sort_config_static_selectorELNS0_4arch9wavefront6targetE1EEEvSG_,@function
_ZN7rocprim17ROCPRIM_400000_NS6detail17trampoline_kernelINS0_14default_configENS1_35radix_sort_onesweep_config_selectorIisEEZZNS1_29radix_sort_onesweep_iterationIS3_Lb0EN6thrust23THRUST_200600_302600_NS10device_ptrIiEESA_NS9_IsEESB_jNS0_19identity_decomposerENS1_16block_id_wrapperIjLb0EEEEE10hipError_tT1_PNSt15iterator_traitsISG_E10value_typeET2_T3_PNSH_ISM_E10value_typeET4_T5_PSR_SS_PNS1_23onesweep_lookback_stateEbbT6_jjT7_P12ihipStream_tbENKUlT_T0_SG_SL_E_clIPiSA_PsSB_EEDaSZ_S10_SG_SL_EUlSZ_E_NS1_11comp_targetILNS1_3genE9ELNS1_11target_archE1100ELNS1_3gpuE3ELNS1_3repE0EEENS1_47radix_sort_onesweep_sort_config_static_selectorELNS0_4arch9wavefront6targetE1EEEvSG_: ; @_ZN7rocprim17ROCPRIM_400000_NS6detail17trampoline_kernelINS0_14default_configENS1_35radix_sort_onesweep_config_selectorIisEEZZNS1_29radix_sort_onesweep_iterationIS3_Lb0EN6thrust23THRUST_200600_302600_NS10device_ptrIiEESA_NS9_IsEESB_jNS0_19identity_decomposerENS1_16block_id_wrapperIjLb0EEEEE10hipError_tT1_PNSt15iterator_traitsISG_E10value_typeET2_T3_PNSH_ISM_E10value_typeET4_T5_PSR_SS_PNS1_23onesweep_lookback_stateEbbT6_jjT7_P12ihipStream_tbENKUlT_T0_SG_SL_E_clIPiSA_PsSB_EEDaSZ_S10_SG_SL_EUlSZ_E_NS1_11comp_targetILNS1_3genE9ELNS1_11target_archE1100ELNS1_3gpuE3ELNS1_3repE0EEENS1_47radix_sort_onesweep_sort_config_static_selectorELNS0_4arch9wavefront6targetE1EEEvSG_
; %bb.0:
	.section	.rodata,"a",@progbits
	.p2align	6, 0x0
	.amdhsa_kernel _ZN7rocprim17ROCPRIM_400000_NS6detail17trampoline_kernelINS0_14default_configENS1_35radix_sort_onesweep_config_selectorIisEEZZNS1_29radix_sort_onesweep_iterationIS3_Lb0EN6thrust23THRUST_200600_302600_NS10device_ptrIiEESA_NS9_IsEESB_jNS0_19identity_decomposerENS1_16block_id_wrapperIjLb0EEEEE10hipError_tT1_PNSt15iterator_traitsISG_E10value_typeET2_T3_PNSH_ISM_E10value_typeET4_T5_PSR_SS_PNS1_23onesweep_lookback_stateEbbT6_jjT7_P12ihipStream_tbENKUlT_T0_SG_SL_E_clIPiSA_PsSB_EEDaSZ_S10_SG_SL_EUlSZ_E_NS1_11comp_targetILNS1_3genE9ELNS1_11target_archE1100ELNS1_3gpuE3ELNS1_3repE0EEENS1_47radix_sort_onesweep_sort_config_static_selectorELNS0_4arch9wavefront6targetE1EEEvSG_
		.amdhsa_group_segment_fixed_size 0
		.amdhsa_private_segment_fixed_size 0
		.amdhsa_kernarg_size 88
		.amdhsa_user_sgpr_count 2
		.amdhsa_user_sgpr_dispatch_ptr 0
		.amdhsa_user_sgpr_queue_ptr 0
		.amdhsa_user_sgpr_kernarg_segment_ptr 1
		.amdhsa_user_sgpr_dispatch_id 0
		.amdhsa_user_sgpr_kernarg_preload_length 0
		.amdhsa_user_sgpr_kernarg_preload_offset 0
		.amdhsa_user_sgpr_private_segment_size 0
		.amdhsa_uses_dynamic_stack 0
		.amdhsa_enable_private_segment 0
		.amdhsa_system_sgpr_workgroup_id_x 1
		.amdhsa_system_sgpr_workgroup_id_y 0
		.amdhsa_system_sgpr_workgroup_id_z 0
		.amdhsa_system_sgpr_workgroup_info 0
		.amdhsa_system_vgpr_workitem_id 0
		.amdhsa_next_free_vgpr 1
		.amdhsa_next_free_sgpr 0
		.amdhsa_accum_offset 4
		.amdhsa_reserve_vcc 0
		.amdhsa_float_round_mode_32 0
		.amdhsa_float_round_mode_16_64 0
		.amdhsa_float_denorm_mode_32 3
		.amdhsa_float_denorm_mode_16_64 3
		.amdhsa_dx10_clamp 1
		.amdhsa_ieee_mode 1
		.amdhsa_fp16_overflow 0
		.amdhsa_tg_split 0
		.amdhsa_exception_fp_ieee_invalid_op 0
		.amdhsa_exception_fp_denorm_src 0
		.amdhsa_exception_fp_ieee_div_zero 0
		.amdhsa_exception_fp_ieee_overflow 0
		.amdhsa_exception_fp_ieee_underflow 0
		.amdhsa_exception_fp_ieee_inexact 0
		.amdhsa_exception_int_div_zero 0
	.end_amdhsa_kernel
	.section	.text._ZN7rocprim17ROCPRIM_400000_NS6detail17trampoline_kernelINS0_14default_configENS1_35radix_sort_onesweep_config_selectorIisEEZZNS1_29radix_sort_onesweep_iterationIS3_Lb0EN6thrust23THRUST_200600_302600_NS10device_ptrIiEESA_NS9_IsEESB_jNS0_19identity_decomposerENS1_16block_id_wrapperIjLb0EEEEE10hipError_tT1_PNSt15iterator_traitsISG_E10value_typeET2_T3_PNSH_ISM_E10value_typeET4_T5_PSR_SS_PNS1_23onesweep_lookback_stateEbbT6_jjT7_P12ihipStream_tbENKUlT_T0_SG_SL_E_clIPiSA_PsSB_EEDaSZ_S10_SG_SL_EUlSZ_E_NS1_11comp_targetILNS1_3genE9ELNS1_11target_archE1100ELNS1_3gpuE3ELNS1_3repE0EEENS1_47radix_sort_onesweep_sort_config_static_selectorELNS0_4arch9wavefront6targetE1EEEvSG_,"axG",@progbits,_ZN7rocprim17ROCPRIM_400000_NS6detail17trampoline_kernelINS0_14default_configENS1_35radix_sort_onesweep_config_selectorIisEEZZNS1_29radix_sort_onesweep_iterationIS3_Lb0EN6thrust23THRUST_200600_302600_NS10device_ptrIiEESA_NS9_IsEESB_jNS0_19identity_decomposerENS1_16block_id_wrapperIjLb0EEEEE10hipError_tT1_PNSt15iterator_traitsISG_E10value_typeET2_T3_PNSH_ISM_E10value_typeET4_T5_PSR_SS_PNS1_23onesweep_lookback_stateEbbT6_jjT7_P12ihipStream_tbENKUlT_T0_SG_SL_E_clIPiSA_PsSB_EEDaSZ_S10_SG_SL_EUlSZ_E_NS1_11comp_targetILNS1_3genE9ELNS1_11target_archE1100ELNS1_3gpuE3ELNS1_3repE0EEENS1_47radix_sort_onesweep_sort_config_static_selectorELNS0_4arch9wavefront6targetE1EEEvSG_,comdat
.Lfunc_end2492:
	.size	_ZN7rocprim17ROCPRIM_400000_NS6detail17trampoline_kernelINS0_14default_configENS1_35radix_sort_onesweep_config_selectorIisEEZZNS1_29radix_sort_onesweep_iterationIS3_Lb0EN6thrust23THRUST_200600_302600_NS10device_ptrIiEESA_NS9_IsEESB_jNS0_19identity_decomposerENS1_16block_id_wrapperIjLb0EEEEE10hipError_tT1_PNSt15iterator_traitsISG_E10value_typeET2_T3_PNSH_ISM_E10value_typeET4_T5_PSR_SS_PNS1_23onesweep_lookback_stateEbbT6_jjT7_P12ihipStream_tbENKUlT_T0_SG_SL_E_clIPiSA_PsSB_EEDaSZ_S10_SG_SL_EUlSZ_E_NS1_11comp_targetILNS1_3genE9ELNS1_11target_archE1100ELNS1_3gpuE3ELNS1_3repE0EEENS1_47radix_sort_onesweep_sort_config_static_selectorELNS0_4arch9wavefront6targetE1EEEvSG_, .Lfunc_end2492-_ZN7rocprim17ROCPRIM_400000_NS6detail17trampoline_kernelINS0_14default_configENS1_35radix_sort_onesweep_config_selectorIisEEZZNS1_29radix_sort_onesweep_iterationIS3_Lb0EN6thrust23THRUST_200600_302600_NS10device_ptrIiEESA_NS9_IsEESB_jNS0_19identity_decomposerENS1_16block_id_wrapperIjLb0EEEEE10hipError_tT1_PNSt15iterator_traitsISG_E10value_typeET2_T3_PNSH_ISM_E10value_typeET4_T5_PSR_SS_PNS1_23onesweep_lookback_stateEbbT6_jjT7_P12ihipStream_tbENKUlT_T0_SG_SL_E_clIPiSA_PsSB_EEDaSZ_S10_SG_SL_EUlSZ_E_NS1_11comp_targetILNS1_3genE9ELNS1_11target_archE1100ELNS1_3gpuE3ELNS1_3repE0EEENS1_47radix_sort_onesweep_sort_config_static_selectorELNS0_4arch9wavefront6targetE1EEEvSG_
                                        ; -- End function
	.set _ZN7rocprim17ROCPRIM_400000_NS6detail17trampoline_kernelINS0_14default_configENS1_35radix_sort_onesweep_config_selectorIisEEZZNS1_29radix_sort_onesweep_iterationIS3_Lb0EN6thrust23THRUST_200600_302600_NS10device_ptrIiEESA_NS9_IsEESB_jNS0_19identity_decomposerENS1_16block_id_wrapperIjLb0EEEEE10hipError_tT1_PNSt15iterator_traitsISG_E10value_typeET2_T3_PNSH_ISM_E10value_typeET4_T5_PSR_SS_PNS1_23onesweep_lookback_stateEbbT6_jjT7_P12ihipStream_tbENKUlT_T0_SG_SL_E_clIPiSA_PsSB_EEDaSZ_S10_SG_SL_EUlSZ_E_NS1_11comp_targetILNS1_3genE9ELNS1_11target_archE1100ELNS1_3gpuE3ELNS1_3repE0EEENS1_47radix_sort_onesweep_sort_config_static_selectorELNS0_4arch9wavefront6targetE1EEEvSG_.num_vgpr, 0
	.set _ZN7rocprim17ROCPRIM_400000_NS6detail17trampoline_kernelINS0_14default_configENS1_35radix_sort_onesweep_config_selectorIisEEZZNS1_29radix_sort_onesweep_iterationIS3_Lb0EN6thrust23THRUST_200600_302600_NS10device_ptrIiEESA_NS9_IsEESB_jNS0_19identity_decomposerENS1_16block_id_wrapperIjLb0EEEEE10hipError_tT1_PNSt15iterator_traitsISG_E10value_typeET2_T3_PNSH_ISM_E10value_typeET4_T5_PSR_SS_PNS1_23onesweep_lookback_stateEbbT6_jjT7_P12ihipStream_tbENKUlT_T0_SG_SL_E_clIPiSA_PsSB_EEDaSZ_S10_SG_SL_EUlSZ_E_NS1_11comp_targetILNS1_3genE9ELNS1_11target_archE1100ELNS1_3gpuE3ELNS1_3repE0EEENS1_47radix_sort_onesweep_sort_config_static_selectorELNS0_4arch9wavefront6targetE1EEEvSG_.num_agpr, 0
	.set _ZN7rocprim17ROCPRIM_400000_NS6detail17trampoline_kernelINS0_14default_configENS1_35radix_sort_onesweep_config_selectorIisEEZZNS1_29radix_sort_onesweep_iterationIS3_Lb0EN6thrust23THRUST_200600_302600_NS10device_ptrIiEESA_NS9_IsEESB_jNS0_19identity_decomposerENS1_16block_id_wrapperIjLb0EEEEE10hipError_tT1_PNSt15iterator_traitsISG_E10value_typeET2_T3_PNSH_ISM_E10value_typeET4_T5_PSR_SS_PNS1_23onesweep_lookback_stateEbbT6_jjT7_P12ihipStream_tbENKUlT_T0_SG_SL_E_clIPiSA_PsSB_EEDaSZ_S10_SG_SL_EUlSZ_E_NS1_11comp_targetILNS1_3genE9ELNS1_11target_archE1100ELNS1_3gpuE3ELNS1_3repE0EEENS1_47radix_sort_onesweep_sort_config_static_selectorELNS0_4arch9wavefront6targetE1EEEvSG_.numbered_sgpr, 0
	.set _ZN7rocprim17ROCPRIM_400000_NS6detail17trampoline_kernelINS0_14default_configENS1_35radix_sort_onesweep_config_selectorIisEEZZNS1_29radix_sort_onesweep_iterationIS3_Lb0EN6thrust23THRUST_200600_302600_NS10device_ptrIiEESA_NS9_IsEESB_jNS0_19identity_decomposerENS1_16block_id_wrapperIjLb0EEEEE10hipError_tT1_PNSt15iterator_traitsISG_E10value_typeET2_T3_PNSH_ISM_E10value_typeET4_T5_PSR_SS_PNS1_23onesweep_lookback_stateEbbT6_jjT7_P12ihipStream_tbENKUlT_T0_SG_SL_E_clIPiSA_PsSB_EEDaSZ_S10_SG_SL_EUlSZ_E_NS1_11comp_targetILNS1_3genE9ELNS1_11target_archE1100ELNS1_3gpuE3ELNS1_3repE0EEENS1_47radix_sort_onesweep_sort_config_static_selectorELNS0_4arch9wavefront6targetE1EEEvSG_.num_named_barrier, 0
	.set _ZN7rocprim17ROCPRIM_400000_NS6detail17trampoline_kernelINS0_14default_configENS1_35radix_sort_onesweep_config_selectorIisEEZZNS1_29radix_sort_onesweep_iterationIS3_Lb0EN6thrust23THRUST_200600_302600_NS10device_ptrIiEESA_NS9_IsEESB_jNS0_19identity_decomposerENS1_16block_id_wrapperIjLb0EEEEE10hipError_tT1_PNSt15iterator_traitsISG_E10value_typeET2_T3_PNSH_ISM_E10value_typeET4_T5_PSR_SS_PNS1_23onesweep_lookback_stateEbbT6_jjT7_P12ihipStream_tbENKUlT_T0_SG_SL_E_clIPiSA_PsSB_EEDaSZ_S10_SG_SL_EUlSZ_E_NS1_11comp_targetILNS1_3genE9ELNS1_11target_archE1100ELNS1_3gpuE3ELNS1_3repE0EEENS1_47radix_sort_onesweep_sort_config_static_selectorELNS0_4arch9wavefront6targetE1EEEvSG_.private_seg_size, 0
	.set _ZN7rocprim17ROCPRIM_400000_NS6detail17trampoline_kernelINS0_14default_configENS1_35radix_sort_onesweep_config_selectorIisEEZZNS1_29radix_sort_onesweep_iterationIS3_Lb0EN6thrust23THRUST_200600_302600_NS10device_ptrIiEESA_NS9_IsEESB_jNS0_19identity_decomposerENS1_16block_id_wrapperIjLb0EEEEE10hipError_tT1_PNSt15iterator_traitsISG_E10value_typeET2_T3_PNSH_ISM_E10value_typeET4_T5_PSR_SS_PNS1_23onesweep_lookback_stateEbbT6_jjT7_P12ihipStream_tbENKUlT_T0_SG_SL_E_clIPiSA_PsSB_EEDaSZ_S10_SG_SL_EUlSZ_E_NS1_11comp_targetILNS1_3genE9ELNS1_11target_archE1100ELNS1_3gpuE3ELNS1_3repE0EEENS1_47radix_sort_onesweep_sort_config_static_selectorELNS0_4arch9wavefront6targetE1EEEvSG_.uses_vcc, 0
	.set _ZN7rocprim17ROCPRIM_400000_NS6detail17trampoline_kernelINS0_14default_configENS1_35radix_sort_onesweep_config_selectorIisEEZZNS1_29radix_sort_onesweep_iterationIS3_Lb0EN6thrust23THRUST_200600_302600_NS10device_ptrIiEESA_NS9_IsEESB_jNS0_19identity_decomposerENS1_16block_id_wrapperIjLb0EEEEE10hipError_tT1_PNSt15iterator_traitsISG_E10value_typeET2_T3_PNSH_ISM_E10value_typeET4_T5_PSR_SS_PNS1_23onesweep_lookback_stateEbbT6_jjT7_P12ihipStream_tbENKUlT_T0_SG_SL_E_clIPiSA_PsSB_EEDaSZ_S10_SG_SL_EUlSZ_E_NS1_11comp_targetILNS1_3genE9ELNS1_11target_archE1100ELNS1_3gpuE3ELNS1_3repE0EEENS1_47radix_sort_onesweep_sort_config_static_selectorELNS0_4arch9wavefront6targetE1EEEvSG_.uses_flat_scratch, 0
	.set _ZN7rocprim17ROCPRIM_400000_NS6detail17trampoline_kernelINS0_14default_configENS1_35radix_sort_onesweep_config_selectorIisEEZZNS1_29radix_sort_onesweep_iterationIS3_Lb0EN6thrust23THRUST_200600_302600_NS10device_ptrIiEESA_NS9_IsEESB_jNS0_19identity_decomposerENS1_16block_id_wrapperIjLb0EEEEE10hipError_tT1_PNSt15iterator_traitsISG_E10value_typeET2_T3_PNSH_ISM_E10value_typeET4_T5_PSR_SS_PNS1_23onesweep_lookback_stateEbbT6_jjT7_P12ihipStream_tbENKUlT_T0_SG_SL_E_clIPiSA_PsSB_EEDaSZ_S10_SG_SL_EUlSZ_E_NS1_11comp_targetILNS1_3genE9ELNS1_11target_archE1100ELNS1_3gpuE3ELNS1_3repE0EEENS1_47radix_sort_onesweep_sort_config_static_selectorELNS0_4arch9wavefront6targetE1EEEvSG_.has_dyn_sized_stack, 0
	.set _ZN7rocprim17ROCPRIM_400000_NS6detail17trampoline_kernelINS0_14default_configENS1_35radix_sort_onesweep_config_selectorIisEEZZNS1_29radix_sort_onesweep_iterationIS3_Lb0EN6thrust23THRUST_200600_302600_NS10device_ptrIiEESA_NS9_IsEESB_jNS0_19identity_decomposerENS1_16block_id_wrapperIjLb0EEEEE10hipError_tT1_PNSt15iterator_traitsISG_E10value_typeET2_T3_PNSH_ISM_E10value_typeET4_T5_PSR_SS_PNS1_23onesweep_lookback_stateEbbT6_jjT7_P12ihipStream_tbENKUlT_T0_SG_SL_E_clIPiSA_PsSB_EEDaSZ_S10_SG_SL_EUlSZ_E_NS1_11comp_targetILNS1_3genE9ELNS1_11target_archE1100ELNS1_3gpuE3ELNS1_3repE0EEENS1_47radix_sort_onesweep_sort_config_static_selectorELNS0_4arch9wavefront6targetE1EEEvSG_.has_recursion, 0
	.set _ZN7rocprim17ROCPRIM_400000_NS6detail17trampoline_kernelINS0_14default_configENS1_35radix_sort_onesweep_config_selectorIisEEZZNS1_29radix_sort_onesweep_iterationIS3_Lb0EN6thrust23THRUST_200600_302600_NS10device_ptrIiEESA_NS9_IsEESB_jNS0_19identity_decomposerENS1_16block_id_wrapperIjLb0EEEEE10hipError_tT1_PNSt15iterator_traitsISG_E10value_typeET2_T3_PNSH_ISM_E10value_typeET4_T5_PSR_SS_PNS1_23onesweep_lookback_stateEbbT6_jjT7_P12ihipStream_tbENKUlT_T0_SG_SL_E_clIPiSA_PsSB_EEDaSZ_S10_SG_SL_EUlSZ_E_NS1_11comp_targetILNS1_3genE9ELNS1_11target_archE1100ELNS1_3gpuE3ELNS1_3repE0EEENS1_47radix_sort_onesweep_sort_config_static_selectorELNS0_4arch9wavefront6targetE1EEEvSG_.has_indirect_call, 0
	.section	.AMDGPU.csdata,"",@progbits
; Kernel info:
; codeLenInByte = 0
; TotalNumSgprs: 6
; NumVgprs: 0
; NumAgprs: 0
; TotalNumVgprs: 0
; ScratchSize: 0
; MemoryBound: 0
; FloatMode: 240
; IeeeMode: 1
; LDSByteSize: 0 bytes/workgroup (compile time only)
; SGPRBlocks: 0
; VGPRBlocks: 0
; NumSGPRsForWavesPerEU: 6
; NumVGPRsForWavesPerEU: 1
; AccumOffset: 4
; Occupancy: 8
; WaveLimiterHint : 0
; COMPUTE_PGM_RSRC2:SCRATCH_EN: 0
; COMPUTE_PGM_RSRC2:USER_SGPR: 2
; COMPUTE_PGM_RSRC2:TRAP_HANDLER: 0
; COMPUTE_PGM_RSRC2:TGID_X_EN: 1
; COMPUTE_PGM_RSRC2:TGID_Y_EN: 0
; COMPUTE_PGM_RSRC2:TGID_Z_EN: 0
; COMPUTE_PGM_RSRC2:TIDIG_COMP_CNT: 0
; COMPUTE_PGM_RSRC3_GFX90A:ACCUM_OFFSET: 0
; COMPUTE_PGM_RSRC3_GFX90A:TG_SPLIT: 0
	.section	.text._ZN7rocprim17ROCPRIM_400000_NS6detail17trampoline_kernelINS0_14default_configENS1_35radix_sort_onesweep_config_selectorIisEEZZNS1_29radix_sort_onesweep_iterationIS3_Lb0EN6thrust23THRUST_200600_302600_NS10device_ptrIiEESA_NS9_IsEESB_jNS0_19identity_decomposerENS1_16block_id_wrapperIjLb0EEEEE10hipError_tT1_PNSt15iterator_traitsISG_E10value_typeET2_T3_PNSH_ISM_E10value_typeET4_T5_PSR_SS_PNS1_23onesweep_lookback_stateEbbT6_jjT7_P12ihipStream_tbENKUlT_T0_SG_SL_E_clIPiSA_PsSB_EEDaSZ_S10_SG_SL_EUlSZ_E_NS1_11comp_targetILNS1_3genE8ELNS1_11target_archE1030ELNS1_3gpuE2ELNS1_3repE0EEENS1_47radix_sort_onesweep_sort_config_static_selectorELNS0_4arch9wavefront6targetE1EEEvSG_,"axG",@progbits,_ZN7rocprim17ROCPRIM_400000_NS6detail17trampoline_kernelINS0_14default_configENS1_35radix_sort_onesweep_config_selectorIisEEZZNS1_29radix_sort_onesweep_iterationIS3_Lb0EN6thrust23THRUST_200600_302600_NS10device_ptrIiEESA_NS9_IsEESB_jNS0_19identity_decomposerENS1_16block_id_wrapperIjLb0EEEEE10hipError_tT1_PNSt15iterator_traitsISG_E10value_typeET2_T3_PNSH_ISM_E10value_typeET4_T5_PSR_SS_PNS1_23onesweep_lookback_stateEbbT6_jjT7_P12ihipStream_tbENKUlT_T0_SG_SL_E_clIPiSA_PsSB_EEDaSZ_S10_SG_SL_EUlSZ_E_NS1_11comp_targetILNS1_3genE8ELNS1_11target_archE1030ELNS1_3gpuE2ELNS1_3repE0EEENS1_47radix_sort_onesweep_sort_config_static_selectorELNS0_4arch9wavefront6targetE1EEEvSG_,comdat
	.protected	_ZN7rocprim17ROCPRIM_400000_NS6detail17trampoline_kernelINS0_14default_configENS1_35radix_sort_onesweep_config_selectorIisEEZZNS1_29radix_sort_onesweep_iterationIS3_Lb0EN6thrust23THRUST_200600_302600_NS10device_ptrIiEESA_NS9_IsEESB_jNS0_19identity_decomposerENS1_16block_id_wrapperIjLb0EEEEE10hipError_tT1_PNSt15iterator_traitsISG_E10value_typeET2_T3_PNSH_ISM_E10value_typeET4_T5_PSR_SS_PNS1_23onesweep_lookback_stateEbbT6_jjT7_P12ihipStream_tbENKUlT_T0_SG_SL_E_clIPiSA_PsSB_EEDaSZ_S10_SG_SL_EUlSZ_E_NS1_11comp_targetILNS1_3genE8ELNS1_11target_archE1030ELNS1_3gpuE2ELNS1_3repE0EEENS1_47radix_sort_onesweep_sort_config_static_selectorELNS0_4arch9wavefront6targetE1EEEvSG_ ; -- Begin function _ZN7rocprim17ROCPRIM_400000_NS6detail17trampoline_kernelINS0_14default_configENS1_35radix_sort_onesweep_config_selectorIisEEZZNS1_29radix_sort_onesweep_iterationIS3_Lb0EN6thrust23THRUST_200600_302600_NS10device_ptrIiEESA_NS9_IsEESB_jNS0_19identity_decomposerENS1_16block_id_wrapperIjLb0EEEEE10hipError_tT1_PNSt15iterator_traitsISG_E10value_typeET2_T3_PNSH_ISM_E10value_typeET4_T5_PSR_SS_PNS1_23onesweep_lookback_stateEbbT6_jjT7_P12ihipStream_tbENKUlT_T0_SG_SL_E_clIPiSA_PsSB_EEDaSZ_S10_SG_SL_EUlSZ_E_NS1_11comp_targetILNS1_3genE8ELNS1_11target_archE1030ELNS1_3gpuE2ELNS1_3repE0EEENS1_47radix_sort_onesweep_sort_config_static_selectorELNS0_4arch9wavefront6targetE1EEEvSG_
	.globl	_ZN7rocprim17ROCPRIM_400000_NS6detail17trampoline_kernelINS0_14default_configENS1_35radix_sort_onesweep_config_selectorIisEEZZNS1_29radix_sort_onesweep_iterationIS3_Lb0EN6thrust23THRUST_200600_302600_NS10device_ptrIiEESA_NS9_IsEESB_jNS0_19identity_decomposerENS1_16block_id_wrapperIjLb0EEEEE10hipError_tT1_PNSt15iterator_traitsISG_E10value_typeET2_T3_PNSH_ISM_E10value_typeET4_T5_PSR_SS_PNS1_23onesweep_lookback_stateEbbT6_jjT7_P12ihipStream_tbENKUlT_T0_SG_SL_E_clIPiSA_PsSB_EEDaSZ_S10_SG_SL_EUlSZ_E_NS1_11comp_targetILNS1_3genE8ELNS1_11target_archE1030ELNS1_3gpuE2ELNS1_3repE0EEENS1_47radix_sort_onesweep_sort_config_static_selectorELNS0_4arch9wavefront6targetE1EEEvSG_
	.p2align	8
	.type	_ZN7rocprim17ROCPRIM_400000_NS6detail17trampoline_kernelINS0_14default_configENS1_35radix_sort_onesweep_config_selectorIisEEZZNS1_29radix_sort_onesweep_iterationIS3_Lb0EN6thrust23THRUST_200600_302600_NS10device_ptrIiEESA_NS9_IsEESB_jNS0_19identity_decomposerENS1_16block_id_wrapperIjLb0EEEEE10hipError_tT1_PNSt15iterator_traitsISG_E10value_typeET2_T3_PNSH_ISM_E10value_typeET4_T5_PSR_SS_PNS1_23onesweep_lookback_stateEbbT6_jjT7_P12ihipStream_tbENKUlT_T0_SG_SL_E_clIPiSA_PsSB_EEDaSZ_S10_SG_SL_EUlSZ_E_NS1_11comp_targetILNS1_3genE8ELNS1_11target_archE1030ELNS1_3gpuE2ELNS1_3repE0EEENS1_47radix_sort_onesweep_sort_config_static_selectorELNS0_4arch9wavefront6targetE1EEEvSG_,@function
_ZN7rocprim17ROCPRIM_400000_NS6detail17trampoline_kernelINS0_14default_configENS1_35radix_sort_onesweep_config_selectorIisEEZZNS1_29radix_sort_onesweep_iterationIS3_Lb0EN6thrust23THRUST_200600_302600_NS10device_ptrIiEESA_NS9_IsEESB_jNS0_19identity_decomposerENS1_16block_id_wrapperIjLb0EEEEE10hipError_tT1_PNSt15iterator_traitsISG_E10value_typeET2_T3_PNSH_ISM_E10value_typeET4_T5_PSR_SS_PNS1_23onesweep_lookback_stateEbbT6_jjT7_P12ihipStream_tbENKUlT_T0_SG_SL_E_clIPiSA_PsSB_EEDaSZ_S10_SG_SL_EUlSZ_E_NS1_11comp_targetILNS1_3genE8ELNS1_11target_archE1030ELNS1_3gpuE2ELNS1_3repE0EEENS1_47radix_sort_onesweep_sort_config_static_selectorELNS0_4arch9wavefront6targetE1EEEvSG_: ; @_ZN7rocprim17ROCPRIM_400000_NS6detail17trampoline_kernelINS0_14default_configENS1_35radix_sort_onesweep_config_selectorIisEEZZNS1_29radix_sort_onesweep_iterationIS3_Lb0EN6thrust23THRUST_200600_302600_NS10device_ptrIiEESA_NS9_IsEESB_jNS0_19identity_decomposerENS1_16block_id_wrapperIjLb0EEEEE10hipError_tT1_PNSt15iterator_traitsISG_E10value_typeET2_T3_PNSH_ISM_E10value_typeET4_T5_PSR_SS_PNS1_23onesweep_lookback_stateEbbT6_jjT7_P12ihipStream_tbENKUlT_T0_SG_SL_E_clIPiSA_PsSB_EEDaSZ_S10_SG_SL_EUlSZ_E_NS1_11comp_targetILNS1_3genE8ELNS1_11target_archE1030ELNS1_3gpuE2ELNS1_3repE0EEENS1_47radix_sort_onesweep_sort_config_static_selectorELNS0_4arch9wavefront6targetE1EEEvSG_
; %bb.0:
	.section	.rodata,"a",@progbits
	.p2align	6, 0x0
	.amdhsa_kernel _ZN7rocprim17ROCPRIM_400000_NS6detail17trampoline_kernelINS0_14default_configENS1_35radix_sort_onesweep_config_selectorIisEEZZNS1_29radix_sort_onesweep_iterationIS3_Lb0EN6thrust23THRUST_200600_302600_NS10device_ptrIiEESA_NS9_IsEESB_jNS0_19identity_decomposerENS1_16block_id_wrapperIjLb0EEEEE10hipError_tT1_PNSt15iterator_traitsISG_E10value_typeET2_T3_PNSH_ISM_E10value_typeET4_T5_PSR_SS_PNS1_23onesweep_lookback_stateEbbT6_jjT7_P12ihipStream_tbENKUlT_T0_SG_SL_E_clIPiSA_PsSB_EEDaSZ_S10_SG_SL_EUlSZ_E_NS1_11comp_targetILNS1_3genE8ELNS1_11target_archE1030ELNS1_3gpuE2ELNS1_3repE0EEENS1_47radix_sort_onesweep_sort_config_static_selectorELNS0_4arch9wavefront6targetE1EEEvSG_
		.amdhsa_group_segment_fixed_size 0
		.amdhsa_private_segment_fixed_size 0
		.amdhsa_kernarg_size 88
		.amdhsa_user_sgpr_count 2
		.amdhsa_user_sgpr_dispatch_ptr 0
		.amdhsa_user_sgpr_queue_ptr 0
		.amdhsa_user_sgpr_kernarg_segment_ptr 1
		.amdhsa_user_sgpr_dispatch_id 0
		.amdhsa_user_sgpr_kernarg_preload_length 0
		.amdhsa_user_sgpr_kernarg_preload_offset 0
		.amdhsa_user_sgpr_private_segment_size 0
		.amdhsa_uses_dynamic_stack 0
		.amdhsa_enable_private_segment 0
		.amdhsa_system_sgpr_workgroup_id_x 1
		.amdhsa_system_sgpr_workgroup_id_y 0
		.amdhsa_system_sgpr_workgroup_id_z 0
		.amdhsa_system_sgpr_workgroup_info 0
		.amdhsa_system_vgpr_workitem_id 0
		.amdhsa_next_free_vgpr 1
		.amdhsa_next_free_sgpr 0
		.amdhsa_accum_offset 4
		.amdhsa_reserve_vcc 0
		.amdhsa_float_round_mode_32 0
		.amdhsa_float_round_mode_16_64 0
		.amdhsa_float_denorm_mode_32 3
		.amdhsa_float_denorm_mode_16_64 3
		.amdhsa_dx10_clamp 1
		.amdhsa_ieee_mode 1
		.amdhsa_fp16_overflow 0
		.amdhsa_tg_split 0
		.amdhsa_exception_fp_ieee_invalid_op 0
		.amdhsa_exception_fp_denorm_src 0
		.amdhsa_exception_fp_ieee_div_zero 0
		.amdhsa_exception_fp_ieee_overflow 0
		.amdhsa_exception_fp_ieee_underflow 0
		.amdhsa_exception_fp_ieee_inexact 0
		.amdhsa_exception_int_div_zero 0
	.end_amdhsa_kernel
	.section	.text._ZN7rocprim17ROCPRIM_400000_NS6detail17trampoline_kernelINS0_14default_configENS1_35radix_sort_onesweep_config_selectorIisEEZZNS1_29radix_sort_onesweep_iterationIS3_Lb0EN6thrust23THRUST_200600_302600_NS10device_ptrIiEESA_NS9_IsEESB_jNS0_19identity_decomposerENS1_16block_id_wrapperIjLb0EEEEE10hipError_tT1_PNSt15iterator_traitsISG_E10value_typeET2_T3_PNSH_ISM_E10value_typeET4_T5_PSR_SS_PNS1_23onesweep_lookback_stateEbbT6_jjT7_P12ihipStream_tbENKUlT_T0_SG_SL_E_clIPiSA_PsSB_EEDaSZ_S10_SG_SL_EUlSZ_E_NS1_11comp_targetILNS1_3genE8ELNS1_11target_archE1030ELNS1_3gpuE2ELNS1_3repE0EEENS1_47radix_sort_onesweep_sort_config_static_selectorELNS0_4arch9wavefront6targetE1EEEvSG_,"axG",@progbits,_ZN7rocprim17ROCPRIM_400000_NS6detail17trampoline_kernelINS0_14default_configENS1_35radix_sort_onesweep_config_selectorIisEEZZNS1_29radix_sort_onesweep_iterationIS3_Lb0EN6thrust23THRUST_200600_302600_NS10device_ptrIiEESA_NS9_IsEESB_jNS0_19identity_decomposerENS1_16block_id_wrapperIjLb0EEEEE10hipError_tT1_PNSt15iterator_traitsISG_E10value_typeET2_T3_PNSH_ISM_E10value_typeET4_T5_PSR_SS_PNS1_23onesweep_lookback_stateEbbT6_jjT7_P12ihipStream_tbENKUlT_T0_SG_SL_E_clIPiSA_PsSB_EEDaSZ_S10_SG_SL_EUlSZ_E_NS1_11comp_targetILNS1_3genE8ELNS1_11target_archE1030ELNS1_3gpuE2ELNS1_3repE0EEENS1_47radix_sort_onesweep_sort_config_static_selectorELNS0_4arch9wavefront6targetE1EEEvSG_,comdat
.Lfunc_end2493:
	.size	_ZN7rocprim17ROCPRIM_400000_NS6detail17trampoline_kernelINS0_14default_configENS1_35radix_sort_onesweep_config_selectorIisEEZZNS1_29radix_sort_onesweep_iterationIS3_Lb0EN6thrust23THRUST_200600_302600_NS10device_ptrIiEESA_NS9_IsEESB_jNS0_19identity_decomposerENS1_16block_id_wrapperIjLb0EEEEE10hipError_tT1_PNSt15iterator_traitsISG_E10value_typeET2_T3_PNSH_ISM_E10value_typeET4_T5_PSR_SS_PNS1_23onesweep_lookback_stateEbbT6_jjT7_P12ihipStream_tbENKUlT_T0_SG_SL_E_clIPiSA_PsSB_EEDaSZ_S10_SG_SL_EUlSZ_E_NS1_11comp_targetILNS1_3genE8ELNS1_11target_archE1030ELNS1_3gpuE2ELNS1_3repE0EEENS1_47radix_sort_onesweep_sort_config_static_selectorELNS0_4arch9wavefront6targetE1EEEvSG_, .Lfunc_end2493-_ZN7rocprim17ROCPRIM_400000_NS6detail17trampoline_kernelINS0_14default_configENS1_35radix_sort_onesweep_config_selectorIisEEZZNS1_29radix_sort_onesweep_iterationIS3_Lb0EN6thrust23THRUST_200600_302600_NS10device_ptrIiEESA_NS9_IsEESB_jNS0_19identity_decomposerENS1_16block_id_wrapperIjLb0EEEEE10hipError_tT1_PNSt15iterator_traitsISG_E10value_typeET2_T3_PNSH_ISM_E10value_typeET4_T5_PSR_SS_PNS1_23onesweep_lookback_stateEbbT6_jjT7_P12ihipStream_tbENKUlT_T0_SG_SL_E_clIPiSA_PsSB_EEDaSZ_S10_SG_SL_EUlSZ_E_NS1_11comp_targetILNS1_3genE8ELNS1_11target_archE1030ELNS1_3gpuE2ELNS1_3repE0EEENS1_47radix_sort_onesweep_sort_config_static_selectorELNS0_4arch9wavefront6targetE1EEEvSG_
                                        ; -- End function
	.set _ZN7rocprim17ROCPRIM_400000_NS6detail17trampoline_kernelINS0_14default_configENS1_35radix_sort_onesweep_config_selectorIisEEZZNS1_29radix_sort_onesweep_iterationIS3_Lb0EN6thrust23THRUST_200600_302600_NS10device_ptrIiEESA_NS9_IsEESB_jNS0_19identity_decomposerENS1_16block_id_wrapperIjLb0EEEEE10hipError_tT1_PNSt15iterator_traitsISG_E10value_typeET2_T3_PNSH_ISM_E10value_typeET4_T5_PSR_SS_PNS1_23onesweep_lookback_stateEbbT6_jjT7_P12ihipStream_tbENKUlT_T0_SG_SL_E_clIPiSA_PsSB_EEDaSZ_S10_SG_SL_EUlSZ_E_NS1_11comp_targetILNS1_3genE8ELNS1_11target_archE1030ELNS1_3gpuE2ELNS1_3repE0EEENS1_47radix_sort_onesweep_sort_config_static_selectorELNS0_4arch9wavefront6targetE1EEEvSG_.num_vgpr, 0
	.set _ZN7rocprim17ROCPRIM_400000_NS6detail17trampoline_kernelINS0_14default_configENS1_35radix_sort_onesweep_config_selectorIisEEZZNS1_29radix_sort_onesweep_iterationIS3_Lb0EN6thrust23THRUST_200600_302600_NS10device_ptrIiEESA_NS9_IsEESB_jNS0_19identity_decomposerENS1_16block_id_wrapperIjLb0EEEEE10hipError_tT1_PNSt15iterator_traitsISG_E10value_typeET2_T3_PNSH_ISM_E10value_typeET4_T5_PSR_SS_PNS1_23onesweep_lookback_stateEbbT6_jjT7_P12ihipStream_tbENKUlT_T0_SG_SL_E_clIPiSA_PsSB_EEDaSZ_S10_SG_SL_EUlSZ_E_NS1_11comp_targetILNS1_3genE8ELNS1_11target_archE1030ELNS1_3gpuE2ELNS1_3repE0EEENS1_47radix_sort_onesweep_sort_config_static_selectorELNS0_4arch9wavefront6targetE1EEEvSG_.num_agpr, 0
	.set _ZN7rocprim17ROCPRIM_400000_NS6detail17trampoline_kernelINS0_14default_configENS1_35radix_sort_onesweep_config_selectorIisEEZZNS1_29radix_sort_onesweep_iterationIS3_Lb0EN6thrust23THRUST_200600_302600_NS10device_ptrIiEESA_NS9_IsEESB_jNS0_19identity_decomposerENS1_16block_id_wrapperIjLb0EEEEE10hipError_tT1_PNSt15iterator_traitsISG_E10value_typeET2_T3_PNSH_ISM_E10value_typeET4_T5_PSR_SS_PNS1_23onesweep_lookback_stateEbbT6_jjT7_P12ihipStream_tbENKUlT_T0_SG_SL_E_clIPiSA_PsSB_EEDaSZ_S10_SG_SL_EUlSZ_E_NS1_11comp_targetILNS1_3genE8ELNS1_11target_archE1030ELNS1_3gpuE2ELNS1_3repE0EEENS1_47radix_sort_onesweep_sort_config_static_selectorELNS0_4arch9wavefront6targetE1EEEvSG_.numbered_sgpr, 0
	.set _ZN7rocprim17ROCPRIM_400000_NS6detail17trampoline_kernelINS0_14default_configENS1_35radix_sort_onesweep_config_selectorIisEEZZNS1_29radix_sort_onesweep_iterationIS3_Lb0EN6thrust23THRUST_200600_302600_NS10device_ptrIiEESA_NS9_IsEESB_jNS0_19identity_decomposerENS1_16block_id_wrapperIjLb0EEEEE10hipError_tT1_PNSt15iterator_traitsISG_E10value_typeET2_T3_PNSH_ISM_E10value_typeET4_T5_PSR_SS_PNS1_23onesweep_lookback_stateEbbT6_jjT7_P12ihipStream_tbENKUlT_T0_SG_SL_E_clIPiSA_PsSB_EEDaSZ_S10_SG_SL_EUlSZ_E_NS1_11comp_targetILNS1_3genE8ELNS1_11target_archE1030ELNS1_3gpuE2ELNS1_3repE0EEENS1_47radix_sort_onesweep_sort_config_static_selectorELNS0_4arch9wavefront6targetE1EEEvSG_.num_named_barrier, 0
	.set _ZN7rocprim17ROCPRIM_400000_NS6detail17trampoline_kernelINS0_14default_configENS1_35radix_sort_onesweep_config_selectorIisEEZZNS1_29radix_sort_onesweep_iterationIS3_Lb0EN6thrust23THRUST_200600_302600_NS10device_ptrIiEESA_NS9_IsEESB_jNS0_19identity_decomposerENS1_16block_id_wrapperIjLb0EEEEE10hipError_tT1_PNSt15iterator_traitsISG_E10value_typeET2_T3_PNSH_ISM_E10value_typeET4_T5_PSR_SS_PNS1_23onesweep_lookback_stateEbbT6_jjT7_P12ihipStream_tbENKUlT_T0_SG_SL_E_clIPiSA_PsSB_EEDaSZ_S10_SG_SL_EUlSZ_E_NS1_11comp_targetILNS1_3genE8ELNS1_11target_archE1030ELNS1_3gpuE2ELNS1_3repE0EEENS1_47radix_sort_onesweep_sort_config_static_selectorELNS0_4arch9wavefront6targetE1EEEvSG_.private_seg_size, 0
	.set _ZN7rocprim17ROCPRIM_400000_NS6detail17trampoline_kernelINS0_14default_configENS1_35radix_sort_onesweep_config_selectorIisEEZZNS1_29radix_sort_onesweep_iterationIS3_Lb0EN6thrust23THRUST_200600_302600_NS10device_ptrIiEESA_NS9_IsEESB_jNS0_19identity_decomposerENS1_16block_id_wrapperIjLb0EEEEE10hipError_tT1_PNSt15iterator_traitsISG_E10value_typeET2_T3_PNSH_ISM_E10value_typeET4_T5_PSR_SS_PNS1_23onesweep_lookback_stateEbbT6_jjT7_P12ihipStream_tbENKUlT_T0_SG_SL_E_clIPiSA_PsSB_EEDaSZ_S10_SG_SL_EUlSZ_E_NS1_11comp_targetILNS1_3genE8ELNS1_11target_archE1030ELNS1_3gpuE2ELNS1_3repE0EEENS1_47radix_sort_onesweep_sort_config_static_selectorELNS0_4arch9wavefront6targetE1EEEvSG_.uses_vcc, 0
	.set _ZN7rocprim17ROCPRIM_400000_NS6detail17trampoline_kernelINS0_14default_configENS1_35radix_sort_onesweep_config_selectorIisEEZZNS1_29radix_sort_onesweep_iterationIS3_Lb0EN6thrust23THRUST_200600_302600_NS10device_ptrIiEESA_NS9_IsEESB_jNS0_19identity_decomposerENS1_16block_id_wrapperIjLb0EEEEE10hipError_tT1_PNSt15iterator_traitsISG_E10value_typeET2_T3_PNSH_ISM_E10value_typeET4_T5_PSR_SS_PNS1_23onesweep_lookback_stateEbbT6_jjT7_P12ihipStream_tbENKUlT_T0_SG_SL_E_clIPiSA_PsSB_EEDaSZ_S10_SG_SL_EUlSZ_E_NS1_11comp_targetILNS1_3genE8ELNS1_11target_archE1030ELNS1_3gpuE2ELNS1_3repE0EEENS1_47radix_sort_onesweep_sort_config_static_selectorELNS0_4arch9wavefront6targetE1EEEvSG_.uses_flat_scratch, 0
	.set _ZN7rocprim17ROCPRIM_400000_NS6detail17trampoline_kernelINS0_14default_configENS1_35radix_sort_onesweep_config_selectorIisEEZZNS1_29radix_sort_onesweep_iterationIS3_Lb0EN6thrust23THRUST_200600_302600_NS10device_ptrIiEESA_NS9_IsEESB_jNS0_19identity_decomposerENS1_16block_id_wrapperIjLb0EEEEE10hipError_tT1_PNSt15iterator_traitsISG_E10value_typeET2_T3_PNSH_ISM_E10value_typeET4_T5_PSR_SS_PNS1_23onesweep_lookback_stateEbbT6_jjT7_P12ihipStream_tbENKUlT_T0_SG_SL_E_clIPiSA_PsSB_EEDaSZ_S10_SG_SL_EUlSZ_E_NS1_11comp_targetILNS1_3genE8ELNS1_11target_archE1030ELNS1_3gpuE2ELNS1_3repE0EEENS1_47radix_sort_onesweep_sort_config_static_selectorELNS0_4arch9wavefront6targetE1EEEvSG_.has_dyn_sized_stack, 0
	.set _ZN7rocprim17ROCPRIM_400000_NS6detail17trampoline_kernelINS0_14default_configENS1_35radix_sort_onesweep_config_selectorIisEEZZNS1_29radix_sort_onesweep_iterationIS3_Lb0EN6thrust23THRUST_200600_302600_NS10device_ptrIiEESA_NS9_IsEESB_jNS0_19identity_decomposerENS1_16block_id_wrapperIjLb0EEEEE10hipError_tT1_PNSt15iterator_traitsISG_E10value_typeET2_T3_PNSH_ISM_E10value_typeET4_T5_PSR_SS_PNS1_23onesweep_lookback_stateEbbT6_jjT7_P12ihipStream_tbENKUlT_T0_SG_SL_E_clIPiSA_PsSB_EEDaSZ_S10_SG_SL_EUlSZ_E_NS1_11comp_targetILNS1_3genE8ELNS1_11target_archE1030ELNS1_3gpuE2ELNS1_3repE0EEENS1_47radix_sort_onesweep_sort_config_static_selectorELNS0_4arch9wavefront6targetE1EEEvSG_.has_recursion, 0
	.set _ZN7rocprim17ROCPRIM_400000_NS6detail17trampoline_kernelINS0_14default_configENS1_35radix_sort_onesweep_config_selectorIisEEZZNS1_29radix_sort_onesweep_iterationIS3_Lb0EN6thrust23THRUST_200600_302600_NS10device_ptrIiEESA_NS9_IsEESB_jNS0_19identity_decomposerENS1_16block_id_wrapperIjLb0EEEEE10hipError_tT1_PNSt15iterator_traitsISG_E10value_typeET2_T3_PNSH_ISM_E10value_typeET4_T5_PSR_SS_PNS1_23onesweep_lookback_stateEbbT6_jjT7_P12ihipStream_tbENKUlT_T0_SG_SL_E_clIPiSA_PsSB_EEDaSZ_S10_SG_SL_EUlSZ_E_NS1_11comp_targetILNS1_3genE8ELNS1_11target_archE1030ELNS1_3gpuE2ELNS1_3repE0EEENS1_47radix_sort_onesweep_sort_config_static_selectorELNS0_4arch9wavefront6targetE1EEEvSG_.has_indirect_call, 0
	.section	.AMDGPU.csdata,"",@progbits
; Kernel info:
; codeLenInByte = 0
; TotalNumSgprs: 6
; NumVgprs: 0
; NumAgprs: 0
; TotalNumVgprs: 0
; ScratchSize: 0
; MemoryBound: 0
; FloatMode: 240
; IeeeMode: 1
; LDSByteSize: 0 bytes/workgroup (compile time only)
; SGPRBlocks: 0
; VGPRBlocks: 0
; NumSGPRsForWavesPerEU: 6
; NumVGPRsForWavesPerEU: 1
; AccumOffset: 4
; Occupancy: 8
; WaveLimiterHint : 0
; COMPUTE_PGM_RSRC2:SCRATCH_EN: 0
; COMPUTE_PGM_RSRC2:USER_SGPR: 2
; COMPUTE_PGM_RSRC2:TRAP_HANDLER: 0
; COMPUTE_PGM_RSRC2:TGID_X_EN: 1
; COMPUTE_PGM_RSRC2:TGID_Y_EN: 0
; COMPUTE_PGM_RSRC2:TGID_Z_EN: 0
; COMPUTE_PGM_RSRC2:TIDIG_COMP_CNT: 0
; COMPUTE_PGM_RSRC3_GFX90A:ACCUM_OFFSET: 0
; COMPUTE_PGM_RSRC3_GFX90A:TG_SPLIT: 0
	.text
	.p2alignl 6, 3212836864
	.fill 256, 4, 3212836864
	.section	.AMDGPU.gpr_maximums,"",@progbits
	.set amdgpu.max_num_vgpr, 120
	.set amdgpu.max_num_agpr, 1
	.set amdgpu.max_num_sgpr, 96
	.text
	.protected	_ZN7rocprim17ROCPRIM_400000_NS16block_radix_sortIdLj256ELj4EdLj1ELj1ELj0ELNS0_26block_radix_rank_algorithmE1ELNS0_18block_padding_hintE2ELNS0_4arch9wavefront6targetE1EE19radix_bits_per_passE ; @_ZN7rocprim17ROCPRIM_400000_NS16block_radix_sortIdLj256ELj4EdLj1ELj1ELj0ELNS0_26block_radix_rank_algorithmE1ELNS0_18block_padding_hintE2ELNS0_4arch9wavefront6targetE1EE19radix_bits_per_passE
	.type	_ZN7rocprim17ROCPRIM_400000_NS16block_radix_sortIdLj256ELj4EdLj1ELj1ELj0ELNS0_26block_radix_rank_algorithmE1ELNS0_18block_padding_hintE2ELNS0_4arch9wavefront6targetE1EE19radix_bits_per_passE,@object
	.section	.rodata._ZN7rocprim17ROCPRIM_400000_NS16block_radix_sortIdLj256ELj4EdLj1ELj1ELj0ELNS0_26block_radix_rank_algorithmE1ELNS0_18block_padding_hintE2ELNS0_4arch9wavefront6targetE1EE19radix_bits_per_passE,"aG",@progbits,_ZN7rocprim17ROCPRIM_400000_NS16block_radix_sortIdLj256ELj4EdLj1ELj1ELj0ELNS0_26block_radix_rank_algorithmE1ELNS0_18block_padding_hintE2ELNS0_4arch9wavefront6targetE1EE19radix_bits_per_passE,comdat
	.weak	_ZN7rocprim17ROCPRIM_400000_NS16block_radix_sortIdLj256ELj4EdLj1ELj1ELj0ELNS0_26block_radix_rank_algorithmE1ELNS0_18block_padding_hintE2ELNS0_4arch9wavefront6targetE1EE19radix_bits_per_passE
	.p2align	2, 0x0
_ZN7rocprim17ROCPRIM_400000_NS16block_radix_sortIdLj256ELj4EdLj1ELj1ELj0ELNS0_26block_radix_rank_algorithmE1ELNS0_18block_padding_hintE2ELNS0_4arch9wavefront6targetE1EE19radix_bits_per_passE:
	.long	8                               ; 0x8
	.size	_ZN7rocprim17ROCPRIM_400000_NS16block_radix_sortIdLj256ELj4EdLj1ELj1ELj0ELNS0_26block_radix_rank_algorithmE1ELNS0_18block_padding_hintE2ELNS0_4arch9wavefront6targetE1EE19radix_bits_per_passE, 4

	.protected	_ZN7rocprim17ROCPRIM_400000_NS16block_radix_sortIfLj256ELj4EfLj1ELj1ELj0ELNS0_26block_radix_rank_algorithmE1ELNS0_18block_padding_hintE2ELNS0_4arch9wavefront6targetE1EE19radix_bits_per_passE ; @_ZN7rocprim17ROCPRIM_400000_NS16block_radix_sortIfLj256ELj4EfLj1ELj1ELj0ELNS0_26block_radix_rank_algorithmE1ELNS0_18block_padding_hintE2ELNS0_4arch9wavefront6targetE1EE19radix_bits_per_passE
	.type	_ZN7rocprim17ROCPRIM_400000_NS16block_radix_sortIfLj256ELj4EfLj1ELj1ELj0ELNS0_26block_radix_rank_algorithmE1ELNS0_18block_padding_hintE2ELNS0_4arch9wavefront6targetE1EE19radix_bits_per_passE,@object
	.section	.rodata._ZN7rocprim17ROCPRIM_400000_NS16block_radix_sortIfLj256ELj4EfLj1ELj1ELj0ELNS0_26block_radix_rank_algorithmE1ELNS0_18block_padding_hintE2ELNS0_4arch9wavefront6targetE1EE19radix_bits_per_passE,"aG",@progbits,_ZN7rocprim17ROCPRIM_400000_NS16block_radix_sortIfLj256ELj4EfLj1ELj1ELj0ELNS0_26block_radix_rank_algorithmE1ELNS0_18block_padding_hintE2ELNS0_4arch9wavefront6targetE1EE19radix_bits_per_passE,comdat
	.weak	_ZN7rocprim17ROCPRIM_400000_NS16block_radix_sortIfLj256ELj4EfLj1ELj1ELj0ELNS0_26block_radix_rank_algorithmE1ELNS0_18block_padding_hintE2ELNS0_4arch9wavefront6targetE1EE19radix_bits_per_passE
	.p2align	2, 0x0
_ZN7rocprim17ROCPRIM_400000_NS16block_radix_sortIfLj256ELj4EfLj1ELj1ELj0ELNS0_26block_radix_rank_algorithmE1ELNS0_18block_padding_hintE2ELNS0_4arch9wavefront6targetE1EE19radix_bits_per_passE:
	.long	8                               ; 0x8
	.size	_ZN7rocprim17ROCPRIM_400000_NS16block_radix_sortIfLj256ELj4EfLj1ELj1ELj0ELNS0_26block_radix_rank_algorithmE1ELNS0_18block_padding_hintE2ELNS0_4arch9wavefront6targetE1EE19radix_bits_per_passE, 4

	.protected	_ZN7rocprim17ROCPRIM_400000_NS16block_radix_sortIyLj256ELj4EyLj1ELj1ELj0ELNS0_26block_radix_rank_algorithmE1ELNS0_18block_padding_hintE2ELNS0_4arch9wavefront6targetE1EE19radix_bits_per_passE ; @_ZN7rocprim17ROCPRIM_400000_NS16block_radix_sortIyLj256ELj4EyLj1ELj1ELj0ELNS0_26block_radix_rank_algorithmE1ELNS0_18block_padding_hintE2ELNS0_4arch9wavefront6targetE1EE19radix_bits_per_passE
	.type	_ZN7rocprim17ROCPRIM_400000_NS16block_radix_sortIyLj256ELj4EyLj1ELj1ELj0ELNS0_26block_radix_rank_algorithmE1ELNS0_18block_padding_hintE2ELNS0_4arch9wavefront6targetE1EE19radix_bits_per_passE,@object
	.section	.rodata._ZN7rocprim17ROCPRIM_400000_NS16block_radix_sortIyLj256ELj4EyLj1ELj1ELj0ELNS0_26block_radix_rank_algorithmE1ELNS0_18block_padding_hintE2ELNS0_4arch9wavefront6targetE1EE19radix_bits_per_passE,"aG",@progbits,_ZN7rocprim17ROCPRIM_400000_NS16block_radix_sortIyLj256ELj4EyLj1ELj1ELj0ELNS0_26block_radix_rank_algorithmE1ELNS0_18block_padding_hintE2ELNS0_4arch9wavefront6targetE1EE19radix_bits_per_passE,comdat
	.weak	_ZN7rocprim17ROCPRIM_400000_NS16block_radix_sortIyLj256ELj4EyLj1ELj1ELj0ELNS0_26block_radix_rank_algorithmE1ELNS0_18block_padding_hintE2ELNS0_4arch9wavefront6targetE1EE19radix_bits_per_passE
	.p2align	2, 0x0
_ZN7rocprim17ROCPRIM_400000_NS16block_radix_sortIyLj256ELj4EyLj1ELj1ELj0ELNS0_26block_radix_rank_algorithmE1ELNS0_18block_padding_hintE2ELNS0_4arch9wavefront6targetE1EE19radix_bits_per_passE:
	.long	8                               ; 0x8
	.size	_ZN7rocprim17ROCPRIM_400000_NS16block_radix_sortIyLj256ELj4EyLj1ELj1ELj0ELNS0_26block_radix_rank_algorithmE1ELNS0_18block_padding_hintE2ELNS0_4arch9wavefront6targetE1EE19radix_bits_per_passE, 4

	.protected	_ZN7rocprim17ROCPRIM_400000_NS16block_radix_sortIjLj256ELj4EjLj1ELj1ELj0ELNS0_26block_radix_rank_algorithmE1ELNS0_18block_padding_hintE2ELNS0_4arch9wavefront6targetE1EE19radix_bits_per_passE ; @_ZN7rocprim17ROCPRIM_400000_NS16block_radix_sortIjLj256ELj4EjLj1ELj1ELj0ELNS0_26block_radix_rank_algorithmE1ELNS0_18block_padding_hintE2ELNS0_4arch9wavefront6targetE1EE19radix_bits_per_passE
	.type	_ZN7rocprim17ROCPRIM_400000_NS16block_radix_sortIjLj256ELj4EjLj1ELj1ELj0ELNS0_26block_radix_rank_algorithmE1ELNS0_18block_padding_hintE2ELNS0_4arch9wavefront6targetE1EE19radix_bits_per_passE,@object
	.section	.rodata._ZN7rocprim17ROCPRIM_400000_NS16block_radix_sortIjLj256ELj4EjLj1ELj1ELj0ELNS0_26block_radix_rank_algorithmE1ELNS0_18block_padding_hintE2ELNS0_4arch9wavefront6targetE1EE19radix_bits_per_passE,"aG",@progbits,_ZN7rocprim17ROCPRIM_400000_NS16block_radix_sortIjLj256ELj4EjLj1ELj1ELj0ELNS0_26block_radix_rank_algorithmE1ELNS0_18block_padding_hintE2ELNS0_4arch9wavefront6targetE1EE19radix_bits_per_passE,comdat
	.weak	_ZN7rocprim17ROCPRIM_400000_NS16block_radix_sortIjLj256ELj4EjLj1ELj1ELj0ELNS0_26block_radix_rank_algorithmE1ELNS0_18block_padding_hintE2ELNS0_4arch9wavefront6targetE1EE19radix_bits_per_passE
	.p2align	2, 0x0
_ZN7rocprim17ROCPRIM_400000_NS16block_radix_sortIjLj256ELj4EjLj1ELj1ELj0ELNS0_26block_radix_rank_algorithmE1ELNS0_18block_padding_hintE2ELNS0_4arch9wavefront6targetE1EE19radix_bits_per_passE:
	.long	8                               ; 0x8
	.size	_ZN7rocprim17ROCPRIM_400000_NS16block_radix_sortIjLj256ELj4EjLj1ELj1ELj0ELNS0_26block_radix_rank_algorithmE1ELNS0_18block_padding_hintE2ELNS0_4arch9wavefront6targetE1EE19radix_bits_per_passE, 4

	.protected	_ZN7rocprim17ROCPRIM_400000_NS16block_radix_sortItLj256ELj4EtLj1ELj1ELj0ELNS0_26block_radix_rank_algorithmE1ELNS0_18block_padding_hintE2ELNS0_4arch9wavefront6targetE1EE19radix_bits_per_passE ; @_ZN7rocprim17ROCPRIM_400000_NS16block_radix_sortItLj256ELj4EtLj1ELj1ELj0ELNS0_26block_radix_rank_algorithmE1ELNS0_18block_padding_hintE2ELNS0_4arch9wavefront6targetE1EE19radix_bits_per_passE
	.type	_ZN7rocprim17ROCPRIM_400000_NS16block_radix_sortItLj256ELj4EtLj1ELj1ELj0ELNS0_26block_radix_rank_algorithmE1ELNS0_18block_padding_hintE2ELNS0_4arch9wavefront6targetE1EE19radix_bits_per_passE,@object
	.section	.rodata._ZN7rocprim17ROCPRIM_400000_NS16block_radix_sortItLj256ELj4EtLj1ELj1ELj0ELNS0_26block_radix_rank_algorithmE1ELNS0_18block_padding_hintE2ELNS0_4arch9wavefront6targetE1EE19radix_bits_per_passE,"aG",@progbits,_ZN7rocprim17ROCPRIM_400000_NS16block_radix_sortItLj256ELj4EtLj1ELj1ELj0ELNS0_26block_radix_rank_algorithmE1ELNS0_18block_padding_hintE2ELNS0_4arch9wavefront6targetE1EE19radix_bits_per_passE,comdat
	.weak	_ZN7rocprim17ROCPRIM_400000_NS16block_radix_sortItLj256ELj4EtLj1ELj1ELj0ELNS0_26block_radix_rank_algorithmE1ELNS0_18block_padding_hintE2ELNS0_4arch9wavefront6targetE1EE19radix_bits_per_passE
	.p2align	2, 0x0
_ZN7rocprim17ROCPRIM_400000_NS16block_radix_sortItLj256ELj4EtLj1ELj1ELj0ELNS0_26block_radix_rank_algorithmE1ELNS0_18block_padding_hintE2ELNS0_4arch9wavefront6targetE1EE19radix_bits_per_passE:
	.long	8                               ; 0x8
	.size	_ZN7rocprim17ROCPRIM_400000_NS16block_radix_sortItLj256ELj4EtLj1ELj1ELj0ELNS0_26block_radix_rank_algorithmE1ELNS0_18block_padding_hintE2ELNS0_4arch9wavefront6targetE1EE19radix_bits_per_passE, 4

	.protected	_ZN7rocprim17ROCPRIM_400000_NS16block_radix_sortIxLj256ELj4ExLj1ELj1ELj0ELNS0_26block_radix_rank_algorithmE1ELNS0_18block_padding_hintE2ELNS0_4arch9wavefront6targetE1EE19radix_bits_per_passE ; @_ZN7rocprim17ROCPRIM_400000_NS16block_radix_sortIxLj256ELj4ExLj1ELj1ELj0ELNS0_26block_radix_rank_algorithmE1ELNS0_18block_padding_hintE2ELNS0_4arch9wavefront6targetE1EE19radix_bits_per_passE
	.type	_ZN7rocprim17ROCPRIM_400000_NS16block_radix_sortIxLj256ELj4ExLj1ELj1ELj0ELNS0_26block_radix_rank_algorithmE1ELNS0_18block_padding_hintE2ELNS0_4arch9wavefront6targetE1EE19radix_bits_per_passE,@object
	.section	.rodata._ZN7rocprim17ROCPRIM_400000_NS16block_radix_sortIxLj256ELj4ExLj1ELj1ELj0ELNS0_26block_radix_rank_algorithmE1ELNS0_18block_padding_hintE2ELNS0_4arch9wavefront6targetE1EE19radix_bits_per_passE,"aG",@progbits,_ZN7rocprim17ROCPRIM_400000_NS16block_radix_sortIxLj256ELj4ExLj1ELj1ELj0ELNS0_26block_radix_rank_algorithmE1ELNS0_18block_padding_hintE2ELNS0_4arch9wavefront6targetE1EE19radix_bits_per_passE,comdat
	.weak	_ZN7rocprim17ROCPRIM_400000_NS16block_radix_sortIxLj256ELj4ExLj1ELj1ELj0ELNS0_26block_radix_rank_algorithmE1ELNS0_18block_padding_hintE2ELNS0_4arch9wavefront6targetE1EE19radix_bits_per_passE
	.p2align	2, 0x0
_ZN7rocprim17ROCPRIM_400000_NS16block_radix_sortIxLj256ELj4ExLj1ELj1ELj0ELNS0_26block_radix_rank_algorithmE1ELNS0_18block_padding_hintE2ELNS0_4arch9wavefront6targetE1EE19radix_bits_per_passE:
	.long	8                               ; 0x8
	.size	_ZN7rocprim17ROCPRIM_400000_NS16block_radix_sortIxLj256ELj4ExLj1ELj1ELj0ELNS0_26block_radix_rank_algorithmE1ELNS0_18block_padding_hintE2ELNS0_4arch9wavefront6targetE1EE19radix_bits_per_passE, 4

	.protected	_ZN7rocprim17ROCPRIM_400000_NS16block_radix_sortIiLj256ELj4EiLj1ELj1ELj0ELNS0_26block_radix_rank_algorithmE1ELNS0_18block_padding_hintE2ELNS0_4arch9wavefront6targetE1EE19radix_bits_per_passE ; @_ZN7rocprim17ROCPRIM_400000_NS16block_radix_sortIiLj256ELj4EiLj1ELj1ELj0ELNS0_26block_radix_rank_algorithmE1ELNS0_18block_padding_hintE2ELNS0_4arch9wavefront6targetE1EE19radix_bits_per_passE
	.type	_ZN7rocprim17ROCPRIM_400000_NS16block_radix_sortIiLj256ELj4EiLj1ELj1ELj0ELNS0_26block_radix_rank_algorithmE1ELNS0_18block_padding_hintE2ELNS0_4arch9wavefront6targetE1EE19radix_bits_per_passE,@object
	.section	.rodata._ZN7rocprim17ROCPRIM_400000_NS16block_radix_sortIiLj256ELj4EiLj1ELj1ELj0ELNS0_26block_radix_rank_algorithmE1ELNS0_18block_padding_hintE2ELNS0_4arch9wavefront6targetE1EE19radix_bits_per_passE,"aG",@progbits,_ZN7rocprim17ROCPRIM_400000_NS16block_radix_sortIiLj256ELj4EiLj1ELj1ELj0ELNS0_26block_radix_rank_algorithmE1ELNS0_18block_padding_hintE2ELNS0_4arch9wavefront6targetE1EE19radix_bits_per_passE,comdat
	.weak	_ZN7rocprim17ROCPRIM_400000_NS16block_radix_sortIiLj256ELj4EiLj1ELj1ELj0ELNS0_26block_radix_rank_algorithmE1ELNS0_18block_padding_hintE2ELNS0_4arch9wavefront6targetE1EE19radix_bits_per_passE
	.p2align	2, 0x0
_ZN7rocprim17ROCPRIM_400000_NS16block_radix_sortIiLj256ELj4EiLj1ELj1ELj0ELNS0_26block_radix_rank_algorithmE1ELNS0_18block_padding_hintE2ELNS0_4arch9wavefront6targetE1EE19radix_bits_per_passE:
	.long	8                               ; 0x8
	.size	_ZN7rocprim17ROCPRIM_400000_NS16block_radix_sortIiLj256ELj4EiLj1ELj1ELj0ELNS0_26block_radix_rank_algorithmE1ELNS0_18block_padding_hintE2ELNS0_4arch9wavefront6targetE1EE19radix_bits_per_passE, 4

	.protected	_ZN7rocprim17ROCPRIM_400000_NS16block_radix_sortIsLj256ELj4EsLj1ELj1ELj0ELNS0_26block_radix_rank_algorithmE1ELNS0_18block_padding_hintE2ELNS0_4arch9wavefront6targetE1EE19radix_bits_per_passE ; @_ZN7rocprim17ROCPRIM_400000_NS16block_radix_sortIsLj256ELj4EsLj1ELj1ELj0ELNS0_26block_radix_rank_algorithmE1ELNS0_18block_padding_hintE2ELNS0_4arch9wavefront6targetE1EE19radix_bits_per_passE
	.type	_ZN7rocprim17ROCPRIM_400000_NS16block_radix_sortIsLj256ELj4EsLj1ELj1ELj0ELNS0_26block_radix_rank_algorithmE1ELNS0_18block_padding_hintE2ELNS0_4arch9wavefront6targetE1EE19radix_bits_per_passE,@object
	.section	.rodata._ZN7rocprim17ROCPRIM_400000_NS16block_radix_sortIsLj256ELj4EsLj1ELj1ELj0ELNS0_26block_radix_rank_algorithmE1ELNS0_18block_padding_hintE2ELNS0_4arch9wavefront6targetE1EE19radix_bits_per_passE,"aG",@progbits,_ZN7rocprim17ROCPRIM_400000_NS16block_radix_sortIsLj256ELj4EsLj1ELj1ELj0ELNS0_26block_radix_rank_algorithmE1ELNS0_18block_padding_hintE2ELNS0_4arch9wavefront6targetE1EE19radix_bits_per_passE,comdat
	.weak	_ZN7rocprim17ROCPRIM_400000_NS16block_radix_sortIsLj256ELj4EsLj1ELj1ELj0ELNS0_26block_radix_rank_algorithmE1ELNS0_18block_padding_hintE2ELNS0_4arch9wavefront6targetE1EE19radix_bits_per_passE
	.p2align	2, 0x0
_ZN7rocprim17ROCPRIM_400000_NS16block_radix_sortIsLj256ELj4EsLj1ELj1ELj0ELNS0_26block_radix_rank_algorithmE1ELNS0_18block_padding_hintE2ELNS0_4arch9wavefront6targetE1EE19radix_bits_per_passE:
	.long	8                               ; 0x8
	.size	_ZN7rocprim17ROCPRIM_400000_NS16block_radix_sortIsLj256ELj4EsLj1ELj1ELj0ELNS0_26block_radix_rank_algorithmE1ELNS0_18block_padding_hintE2ELNS0_4arch9wavefront6targetE1EE19radix_bits_per_passE, 4

	.protected	_ZN7rocprim17ROCPRIM_400000_NS16block_radix_sortIbLj256ELj4EiLj1ELj1ELj0ELNS0_26block_radix_rank_algorithmE1ELNS0_18block_padding_hintE2ELNS0_4arch9wavefront6targetE1EE19radix_bits_per_passE ; @_ZN7rocprim17ROCPRIM_400000_NS16block_radix_sortIbLj256ELj4EiLj1ELj1ELj0ELNS0_26block_radix_rank_algorithmE1ELNS0_18block_padding_hintE2ELNS0_4arch9wavefront6targetE1EE19radix_bits_per_passE
	.type	_ZN7rocprim17ROCPRIM_400000_NS16block_radix_sortIbLj256ELj4EiLj1ELj1ELj0ELNS0_26block_radix_rank_algorithmE1ELNS0_18block_padding_hintE2ELNS0_4arch9wavefront6targetE1EE19radix_bits_per_passE,@object
	.section	.rodata._ZN7rocprim17ROCPRIM_400000_NS16block_radix_sortIbLj256ELj4EiLj1ELj1ELj0ELNS0_26block_radix_rank_algorithmE1ELNS0_18block_padding_hintE2ELNS0_4arch9wavefront6targetE1EE19radix_bits_per_passE,"aG",@progbits,_ZN7rocprim17ROCPRIM_400000_NS16block_radix_sortIbLj256ELj4EiLj1ELj1ELj0ELNS0_26block_radix_rank_algorithmE1ELNS0_18block_padding_hintE2ELNS0_4arch9wavefront6targetE1EE19radix_bits_per_passE,comdat
	.weak	_ZN7rocprim17ROCPRIM_400000_NS16block_radix_sortIbLj256ELj4EiLj1ELj1ELj0ELNS0_26block_radix_rank_algorithmE1ELNS0_18block_padding_hintE2ELNS0_4arch9wavefront6targetE1EE19radix_bits_per_passE
	.p2align	2, 0x0
_ZN7rocprim17ROCPRIM_400000_NS16block_radix_sortIbLj256ELj4EiLj1ELj1ELj0ELNS0_26block_radix_rank_algorithmE1ELNS0_18block_padding_hintE2ELNS0_4arch9wavefront6targetE1EE19radix_bits_per_passE:
	.long	8                               ; 0x8
	.size	_ZN7rocprim17ROCPRIM_400000_NS16block_radix_sortIbLj256ELj4EiLj1ELj1ELj0ELNS0_26block_radix_rank_algorithmE1ELNS0_18block_padding_hintE2ELNS0_4arch9wavefront6targetE1EE19radix_bits_per_passE, 4

	.type	.str.9,@object                  ; @.str.9
	.section	.rodata.str1.1,"aMS",@progbits,1
.str.9:
	.asciz	"temporary_buffer::allocate: get_temporary_buffer failed"
	.size	.str.9, 56

	.type	.str.10,@object                 ; @.str.10
.str.10:
	.asciz	"%s\n"
	.size	.str.10, 4

	.protected	_ZN7rocprim17ROCPRIM_400000_NS16block_radix_sortIiLj256ELj4EsLj1ELj1ELj0ELNS0_26block_radix_rank_algorithmE1ELNS0_18block_padding_hintE2ELNS0_4arch9wavefront6targetE1EE19radix_bits_per_passE ; @_ZN7rocprim17ROCPRIM_400000_NS16block_radix_sortIiLj256ELj4EsLj1ELj1ELj0ELNS0_26block_radix_rank_algorithmE1ELNS0_18block_padding_hintE2ELNS0_4arch9wavefront6targetE1EE19radix_bits_per_passE
	.type	_ZN7rocprim17ROCPRIM_400000_NS16block_radix_sortIiLj256ELj4EsLj1ELj1ELj0ELNS0_26block_radix_rank_algorithmE1ELNS0_18block_padding_hintE2ELNS0_4arch9wavefront6targetE1EE19radix_bits_per_passE,@object
	.section	.rodata._ZN7rocprim17ROCPRIM_400000_NS16block_radix_sortIiLj256ELj4EsLj1ELj1ELj0ELNS0_26block_radix_rank_algorithmE1ELNS0_18block_padding_hintE2ELNS0_4arch9wavefront6targetE1EE19radix_bits_per_passE,"aG",@progbits,_ZN7rocprim17ROCPRIM_400000_NS16block_radix_sortIiLj256ELj4EsLj1ELj1ELj0ELNS0_26block_radix_rank_algorithmE1ELNS0_18block_padding_hintE2ELNS0_4arch9wavefront6targetE1EE19radix_bits_per_passE,comdat
	.weak	_ZN7rocprim17ROCPRIM_400000_NS16block_radix_sortIiLj256ELj4EsLj1ELj1ELj0ELNS0_26block_radix_rank_algorithmE1ELNS0_18block_padding_hintE2ELNS0_4arch9wavefront6targetE1EE19radix_bits_per_passE
	.p2align	2, 0x0
_ZN7rocprim17ROCPRIM_400000_NS16block_radix_sortIiLj256ELj4EsLj1ELj1ELj0ELNS0_26block_radix_rank_algorithmE1ELNS0_18block_padding_hintE2ELNS0_4arch9wavefront6targetE1EE19radix_bits_per_passE:
	.long	8                               ; 0x8
	.size	_ZN7rocprim17ROCPRIM_400000_NS16block_radix_sortIiLj256ELj4EsLj1ELj1ELj0ELNS0_26block_radix_rank_algorithmE1ELNS0_18block_padding_hintE2ELNS0_4arch9wavefront6targetE1EE19radix_bits_per_passE, 4

	.type	__hip_cuid_abeefa30e6c559b9,@object ; @__hip_cuid_abeefa30e6c559b9
	.section	.bss,"aw",@nobits
	.globl	__hip_cuid_abeefa30e6c559b9
__hip_cuid_abeefa30e6c559b9:
	.byte	0                               ; 0x0
	.size	__hip_cuid_abeefa30e6c559b9, 1

	.type	kinfo,@object                   ; @kinfo
	.section	.rodata,"a",@progbits
	.p2align	2, 0x0
kinfo:
	.long	130054                          ; 0x1fc06
	.long	129546                          ; 0x1fa0a
	;; [unrolled: 1-line block ×3, first 2 shown]
	.long	16288                           ; 0x3fa0
	.long	6                               ; 0x6
	.long	256                             ; 0x100
	.long	0                               ; 0x0
	.long	86927                           ; 0x1538f
	.long	86758                           ; 0x152e6
	;; [unrolled: 1-line block ×4, first 2 shown]
	.long	399                             ; 0x18f
	.long	512                             ; 0x200
	.long	0                               ; 0x0
	.long	65280                           ; 0xff00
	.long	64770                           ; 0xfd02
	;; [unrolled: 1-line block ×3, first 2 shown]
	.long	8192                            ; 0x2000
	.long	0                               ; 0x0
	.long	128                             ; 0x80
	.long	0                               ; 0x0
	.long	43576                           ; 0xaa38
	.long	43406                           ; 0xa98e
	;; [unrolled: 1-line block ×3, first 2 shown]
	.long	5504                            ; 0x1580
	.long	56                              ; 0x38
	.long	256                             ; 0x100
	.long	0                               ; 0x0
	.long	32703                           ; 0x7fbf
	.long	32193                           ; 0x7dc1
	;; [unrolled: 1-line block ×3, first 2 shown]
	.long	4160                            ; 0x1040
	.long	63                              ; 0x3f
	.long	64                              ; 0x40
	.long	0                               ; 0x0
	.long	21816                           ; 0x5538
	.long	21646                           ; 0x548e
	;; [unrolled: 1-line block ×3, first 2 shown]
	.long	2816                            ; 0xb00
	.long	56                              ; 0x38
	.long	128                             ; 0x80
	.long	0                               ; 0x0
	.long	16367                           ; 0x3fef
	.long	15856                           ; 0x3df0
	;; [unrolled: 1-line block ×3, first 2 shown]
	.long	2176                            ; 0x880
	.long	15                              ; 0xf
	.long	32                              ; 0x20
	.long	32768                           ; 0x8000
	.long	10915                           ; 0x2aa3
	;; [unrolled: 1-line block ×3, first 2 shown]
	.long	9133                            ; 0x23ad
	.long	1472                            ; 0x5c0
	.long	35                              ; 0x23
	.long	64                              ; 0x40
	.long	0                               ; 0x0
	.long	8187                            ; 0x1ffb
	.long	7676                            ; 0x1dfc
	;; [unrolled: 1-line block ×4, first 2 shown]
	.long	11                              ; 0xb
	.long	16                              ; 0x10
	.long	134219776                       ; 0x8000800
	.long	5459                            ; 0x1553
	.long	5289                            ; 0x14a9
	.long	4495                            ; 0x118f
	.long	896                             ; 0x380
	.long	19                              ; 0x13
	.long	32                              ; 0x20
	.long	524288                          ; 0x80000
	.long	4094                            ; 0xffe
	.long	3583                            ; 0xdff
	;; [unrolled: 1-line block ×4, first 2 shown]
	.long	6                               ; 0x6
	.long	8                               ; 0x8
	.long	1077952576                      ; 0x40404040
	.long	2730                            ; 0xaaa
	.long	2560                            ; 0xa00
	;; [unrolled: 1-line block ×3, first 2 shown]
	.long	512                             ; 0x200
	.long	10                              ; 0xa
	.long	16                              ; 0x10
	.long	67109888                        ; 0x4000400
	.long	2047                            ; 0x7ff
	.long	1536                            ; 0x600
	;; [unrolled: 1-line block ×4, first 2 shown]
	.long	3                               ; 0x3
	.long	4                               ; 0x4
	.long	2290649224                      ; 0x88888888
	.long	1365                            ; 0x555
	.long	1195                            ; 0x4ab
	.long	1015                            ; 0x3f7
	.long	512                             ; 0x200
	.long	5                               ; 0x5
	.long	8                               ; 0x8
	.long	538976288                       ; 0x20202020
	.long	1023                            ; 0x3ff
	.long	512                             ; 0x200
	.long	435                             ; 0x1b3
	.long	2048                            ; 0x800
	.long	1                               ; 0x1
	.long	2                               ; 0x2
	.long	2863311530                      ; 0xaaaaaaaa
	.long	682                             ; 0x2aa
	.long	512                             ; 0x200
	;; [unrolled: 1-line block ×3, first 2 shown]
	.long	2048                            ; 0x800
	.long	2                               ; 0x2
	.long	4                               ; 0x4
	.long	1145324612                      ; 0x44444444
	.size	kinfo, 448

	.ident	"AMD clang version 22.0.0git (https://github.com/RadeonOpenCompute/llvm-project roc-7.2.4 26084 f58b06dce1f9c15707c5f808fd002e18c2accf7e)"
	.section	".note.GNU-stack","",@progbits
	.addrsig
	.addrsig_sym __hip_cuid_abeefa30e6c559b9
	.amdgpu_metadata
---
amdhsa.kernels:
  - .agpr_count:     1
    .args:
      - .offset:         0
        .size:           4
        .value_kind:     by_value
      - .address_space:  global
        .offset:         8
        .size:           8
        .value_kind:     global_buffer
      - .address_space:  global
        .offset:         16
        .size:           8
        .value_kind:     global_buffer
      - .offset:         24
        .size:           4
        .value_kind:     hidden_block_count_x
      - .offset:         28
        .size:           4
        .value_kind:     hidden_block_count_y
      - .offset:         32
        .size:           4
        .value_kind:     hidden_block_count_z
      - .offset:         36
        .size:           2
        .value_kind:     hidden_group_size_x
      - .offset:         38
        .size:           2
        .value_kind:     hidden_group_size_y
      - .offset:         40
        .size:           2
        .value_kind:     hidden_group_size_z
      - .offset:         42
        .size:           2
        .value_kind:     hidden_remainder_x
      - .offset:         44
        .size:           2
        .value_kind:     hidden_remainder_y
      - .offset:         46
        .size:           2
        .value_kind:     hidden_remainder_z
      - .offset:         64
        .size:           8
        .value_kind:     hidden_global_offset_x
      - .offset:         72
        .size:           8
        .value_kind:     hidden_global_offset_y
      - .offset:         80
        .size:           8
        .value_kind:     hidden_global_offset_z
      - .offset:         88
        .size:           2
        .value_kind:     hidden_grid_dims
      - .offset:         104
        .size:           8
        .value_kind:     hidden_hostcall_buffer
      - .offset:         120
        .size:           8
        .value_kind:     hidden_heap_v1
    .group_segment_fixed_size: 0
    .kernarg_segment_align: 8
    .kernarg_segment_size: 280
    .language:       OpenCL C
    .language_version:
      - 2
      - 0
    .max_flat_workgroup_size: 256
    .name:           _Z15SortByKeyKerneliPiPs
    .private_segment_fixed_size: 24
    .sgpr_count:     106
    .sgpr_spill_count: 2
    .symbol:         _Z15SortByKeyKerneliPiPs.kd
    .uniform_work_group_size: 1
    .uses_dynamic_stack: false
    .vgpr_count:     121
    .vgpr_spill_count: 0
    .wavefront_size: 64
  - .agpr_count:     0
    .args:
      - .offset:         0
        .size:           16
        .value_kind:     by_value
      - .offset:         16
        .size:           8
        .value_kind:     by_value
      - .offset:         24
        .size:           8
        .value_kind:     by_value
    .group_segment_fixed_size: 0
    .kernarg_segment_align: 8
    .kernarg_segment_size: 32
    .language:       OpenCL C
    .language_version:
      - 2
      - 0
    .max_flat_workgroup_size: 256
    .name:           _ZN6thrust23THRUST_200600_302600_NS11hip_rocprim14__parallel_for6kernelILj256ENS1_20__uninitialized_fill7functorINS0_10device_ptrIiEEiEEmLj1EEEvT0_T1_SA_
    .private_segment_fixed_size: 0
    .sgpr_count:     22
    .sgpr_spill_count: 0
    .symbol:         _ZN6thrust23THRUST_200600_302600_NS11hip_rocprim14__parallel_for6kernelILj256ENS1_20__uninitialized_fill7functorINS0_10device_ptrIiEEiEEmLj1EEEvT0_T1_SA_.kd
    .uniform_work_group_size: 1
    .uses_dynamic_stack: false
    .vgpr_count:     4
    .vgpr_spill_count: 0
    .wavefront_size: 64
  - .agpr_count:     0
    .args:
      - .offset:         0
        .size:           16
        .value_kind:     by_value
      - .offset:         16
        .size:           8
        .value_kind:     by_value
      - .offset:         24
        .size:           8
        .value_kind:     by_value
    .group_segment_fixed_size: 0
    .kernarg_segment_align: 8
    .kernarg_segment_size: 32
    .language:       OpenCL C
    .language_version:
      - 2
      - 0
    .max_flat_workgroup_size: 256
    .name:           _ZN6thrust23THRUST_200600_302600_NS11hip_rocprim14__parallel_for6kernelILj256ENS1_20__uninitialized_fill7functorINS0_10device_ptrIdEEdEEmLj1EEEvT0_T1_SA_
    .private_segment_fixed_size: 0
    .sgpr_count:     18
    .sgpr_spill_count: 0
    .symbol:         _ZN6thrust23THRUST_200600_302600_NS11hip_rocprim14__parallel_for6kernelILj256ENS1_20__uninitialized_fill7functorINS0_10device_ptrIdEEdEEmLj1EEEvT0_T1_SA_.kd
    .uniform_work_group_size: 1
    .uses_dynamic_stack: false
    .vgpr_count:     6
    .vgpr_spill_count: 0
    .wavefront_size: 64
  - .agpr_count:     0
    .args:
      - .offset:         0
        .size:           48
        .value_kind:     by_value
      - .offset:         48
        .size:           4
        .value_kind:     hidden_block_count_x
      - .offset:         52
        .size:           4
        .value_kind:     hidden_block_count_y
      - .offset:         56
        .size:           4
        .value_kind:     hidden_block_count_z
      - .offset:         60
        .size:           2
        .value_kind:     hidden_group_size_x
      - .offset:         62
        .size:           2
        .value_kind:     hidden_group_size_y
      - .offset:         64
        .size:           2
        .value_kind:     hidden_group_size_z
      - .offset:         66
        .size:           2
        .value_kind:     hidden_remainder_x
      - .offset:         68
        .size:           2
        .value_kind:     hidden_remainder_y
      - .offset:         70
        .size:           2
        .value_kind:     hidden_remainder_z
      - .offset:         88
        .size:           8
        .value_kind:     hidden_global_offset_x
      - .offset:         96
        .size:           8
        .value_kind:     hidden_global_offset_y
      - .offset:         104
        .size:           8
        .value_kind:     hidden_global_offset_z
      - .offset:         112
        .size:           2
        .value_kind:     hidden_grid_dims
    .group_segment_fixed_size: 8192
    .kernarg_segment_align: 8
    .kernarg_segment_size: 304
    .language:       OpenCL C
    .language_version:
      - 2
      - 0
    .max_flat_workgroup_size: 256
    .name:           _ZN7rocprim17ROCPRIM_400000_NS6detail17trampoline_kernelINS0_13kernel_configILj256ELj4ELj4294967295EEENS1_37radix_sort_block_sort_config_selectorIddEEZNS1_21radix_sort_block_sortIS4_Lb0EN6thrust23THRUST_200600_302600_NS6detail15normal_iteratorINS9_10device_ptrIdEEEESE_SE_SE_NS0_19identity_decomposerEEE10hipError_tT1_T2_T3_T4_jRjT5_jjP12ihipStream_tbEUlT_E_NS1_11comp_targetILNS1_3genE0ELNS1_11target_archE4294967295ELNS1_3gpuE0ELNS1_3repE0EEENS1_44radix_sort_block_sort_config_static_selectorELNS0_4arch9wavefront6targetE1EEEvSH_
    .private_segment_fixed_size: 0
    .sgpr_count:     54
    .sgpr_spill_count: 0
    .symbol:         _ZN7rocprim17ROCPRIM_400000_NS6detail17trampoline_kernelINS0_13kernel_configILj256ELj4ELj4294967295EEENS1_37radix_sort_block_sort_config_selectorIddEEZNS1_21radix_sort_block_sortIS4_Lb0EN6thrust23THRUST_200600_302600_NS6detail15normal_iteratorINS9_10device_ptrIdEEEESE_SE_SE_NS0_19identity_decomposerEEE10hipError_tT1_T2_T3_T4_jRjT5_jjP12ihipStream_tbEUlT_E_NS1_11comp_targetILNS1_3genE0ELNS1_11target_archE4294967295ELNS1_3gpuE0ELNS1_3repE0EEENS1_44radix_sort_block_sort_config_static_selectorELNS0_4arch9wavefront6targetE1EEEvSH_.kd
    .uniform_work_group_size: 1
    .uses_dynamic_stack: false
    .vgpr_count:     50
    .vgpr_spill_count: 0
    .wavefront_size: 64
  - .agpr_count:     0
    .args:
      - .offset:         0
        .size:           48
        .value_kind:     by_value
    .group_segment_fixed_size: 0
    .kernarg_segment_align: 8
    .kernarg_segment_size: 48
    .language:       OpenCL C
    .language_version:
      - 2
      - 0
    .max_flat_workgroup_size: 256
    .name:           _ZN7rocprim17ROCPRIM_400000_NS6detail17trampoline_kernelINS0_13kernel_configILj256ELj4ELj4294967295EEENS1_37radix_sort_block_sort_config_selectorIddEEZNS1_21radix_sort_block_sortIS4_Lb0EN6thrust23THRUST_200600_302600_NS6detail15normal_iteratorINS9_10device_ptrIdEEEESE_SE_SE_NS0_19identity_decomposerEEE10hipError_tT1_T2_T3_T4_jRjT5_jjP12ihipStream_tbEUlT_E_NS1_11comp_targetILNS1_3genE5ELNS1_11target_archE942ELNS1_3gpuE9ELNS1_3repE0EEENS1_44radix_sort_block_sort_config_static_selectorELNS0_4arch9wavefront6targetE1EEEvSH_
    .private_segment_fixed_size: 0
    .sgpr_count:     6
    .sgpr_spill_count: 0
    .symbol:         _ZN7rocprim17ROCPRIM_400000_NS6detail17trampoline_kernelINS0_13kernel_configILj256ELj4ELj4294967295EEENS1_37radix_sort_block_sort_config_selectorIddEEZNS1_21radix_sort_block_sortIS4_Lb0EN6thrust23THRUST_200600_302600_NS6detail15normal_iteratorINS9_10device_ptrIdEEEESE_SE_SE_NS0_19identity_decomposerEEE10hipError_tT1_T2_T3_T4_jRjT5_jjP12ihipStream_tbEUlT_E_NS1_11comp_targetILNS1_3genE5ELNS1_11target_archE942ELNS1_3gpuE9ELNS1_3repE0EEENS1_44radix_sort_block_sort_config_static_selectorELNS0_4arch9wavefront6targetE1EEEvSH_.kd
    .uniform_work_group_size: 1
    .uses_dynamic_stack: false
    .vgpr_count:     0
    .vgpr_spill_count: 0
    .wavefront_size: 64
  - .agpr_count:     0
    .args:
      - .offset:         0
        .size:           48
        .value_kind:     by_value
    .group_segment_fixed_size: 0
    .kernarg_segment_align: 8
    .kernarg_segment_size: 48
    .language:       OpenCL C
    .language_version:
      - 2
      - 0
    .max_flat_workgroup_size: 256
    .name:           _ZN7rocprim17ROCPRIM_400000_NS6detail17trampoline_kernelINS0_13kernel_configILj256ELj4ELj4294967295EEENS1_37radix_sort_block_sort_config_selectorIddEEZNS1_21radix_sort_block_sortIS4_Lb0EN6thrust23THRUST_200600_302600_NS6detail15normal_iteratorINS9_10device_ptrIdEEEESE_SE_SE_NS0_19identity_decomposerEEE10hipError_tT1_T2_T3_T4_jRjT5_jjP12ihipStream_tbEUlT_E_NS1_11comp_targetILNS1_3genE4ELNS1_11target_archE910ELNS1_3gpuE8ELNS1_3repE0EEENS1_44radix_sort_block_sort_config_static_selectorELNS0_4arch9wavefront6targetE1EEEvSH_
    .private_segment_fixed_size: 0
    .sgpr_count:     6
    .sgpr_spill_count: 0
    .symbol:         _ZN7rocprim17ROCPRIM_400000_NS6detail17trampoline_kernelINS0_13kernel_configILj256ELj4ELj4294967295EEENS1_37radix_sort_block_sort_config_selectorIddEEZNS1_21radix_sort_block_sortIS4_Lb0EN6thrust23THRUST_200600_302600_NS6detail15normal_iteratorINS9_10device_ptrIdEEEESE_SE_SE_NS0_19identity_decomposerEEE10hipError_tT1_T2_T3_T4_jRjT5_jjP12ihipStream_tbEUlT_E_NS1_11comp_targetILNS1_3genE4ELNS1_11target_archE910ELNS1_3gpuE8ELNS1_3repE0EEENS1_44radix_sort_block_sort_config_static_selectorELNS0_4arch9wavefront6targetE1EEEvSH_.kd
    .uniform_work_group_size: 1
    .uses_dynamic_stack: false
    .vgpr_count:     0
    .vgpr_spill_count: 0
    .wavefront_size: 64
  - .agpr_count:     0
    .args:
      - .offset:         0
        .size:           48
        .value_kind:     by_value
    .group_segment_fixed_size: 0
    .kernarg_segment_align: 8
    .kernarg_segment_size: 48
    .language:       OpenCL C
    .language_version:
      - 2
      - 0
    .max_flat_workgroup_size: 256
    .name:           _ZN7rocprim17ROCPRIM_400000_NS6detail17trampoline_kernelINS0_13kernel_configILj256ELj4ELj4294967295EEENS1_37radix_sort_block_sort_config_selectorIddEEZNS1_21radix_sort_block_sortIS4_Lb0EN6thrust23THRUST_200600_302600_NS6detail15normal_iteratorINS9_10device_ptrIdEEEESE_SE_SE_NS0_19identity_decomposerEEE10hipError_tT1_T2_T3_T4_jRjT5_jjP12ihipStream_tbEUlT_E_NS1_11comp_targetILNS1_3genE3ELNS1_11target_archE908ELNS1_3gpuE7ELNS1_3repE0EEENS1_44radix_sort_block_sort_config_static_selectorELNS0_4arch9wavefront6targetE1EEEvSH_
    .private_segment_fixed_size: 0
    .sgpr_count:     6
    .sgpr_spill_count: 0
    .symbol:         _ZN7rocprim17ROCPRIM_400000_NS6detail17trampoline_kernelINS0_13kernel_configILj256ELj4ELj4294967295EEENS1_37radix_sort_block_sort_config_selectorIddEEZNS1_21radix_sort_block_sortIS4_Lb0EN6thrust23THRUST_200600_302600_NS6detail15normal_iteratorINS9_10device_ptrIdEEEESE_SE_SE_NS0_19identity_decomposerEEE10hipError_tT1_T2_T3_T4_jRjT5_jjP12ihipStream_tbEUlT_E_NS1_11comp_targetILNS1_3genE3ELNS1_11target_archE908ELNS1_3gpuE7ELNS1_3repE0EEENS1_44radix_sort_block_sort_config_static_selectorELNS0_4arch9wavefront6targetE1EEEvSH_.kd
    .uniform_work_group_size: 1
    .uses_dynamic_stack: false
    .vgpr_count:     0
    .vgpr_spill_count: 0
    .wavefront_size: 64
  - .agpr_count:     0
    .args:
      - .offset:         0
        .size:           48
        .value_kind:     by_value
    .group_segment_fixed_size: 0
    .kernarg_segment_align: 8
    .kernarg_segment_size: 48
    .language:       OpenCL C
    .language_version:
      - 2
      - 0
    .max_flat_workgroup_size: 256
    .name:           _ZN7rocprim17ROCPRIM_400000_NS6detail17trampoline_kernelINS0_13kernel_configILj256ELj4ELj4294967295EEENS1_37radix_sort_block_sort_config_selectorIddEEZNS1_21radix_sort_block_sortIS4_Lb0EN6thrust23THRUST_200600_302600_NS6detail15normal_iteratorINS9_10device_ptrIdEEEESE_SE_SE_NS0_19identity_decomposerEEE10hipError_tT1_T2_T3_T4_jRjT5_jjP12ihipStream_tbEUlT_E_NS1_11comp_targetILNS1_3genE2ELNS1_11target_archE906ELNS1_3gpuE6ELNS1_3repE0EEENS1_44radix_sort_block_sort_config_static_selectorELNS0_4arch9wavefront6targetE1EEEvSH_
    .private_segment_fixed_size: 0
    .sgpr_count:     6
    .sgpr_spill_count: 0
    .symbol:         _ZN7rocprim17ROCPRIM_400000_NS6detail17trampoline_kernelINS0_13kernel_configILj256ELj4ELj4294967295EEENS1_37radix_sort_block_sort_config_selectorIddEEZNS1_21radix_sort_block_sortIS4_Lb0EN6thrust23THRUST_200600_302600_NS6detail15normal_iteratorINS9_10device_ptrIdEEEESE_SE_SE_NS0_19identity_decomposerEEE10hipError_tT1_T2_T3_T4_jRjT5_jjP12ihipStream_tbEUlT_E_NS1_11comp_targetILNS1_3genE2ELNS1_11target_archE906ELNS1_3gpuE6ELNS1_3repE0EEENS1_44radix_sort_block_sort_config_static_selectorELNS0_4arch9wavefront6targetE1EEEvSH_.kd
    .uniform_work_group_size: 1
    .uses_dynamic_stack: false
    .vgpr_count:     0
    .vgpr_spill_count: 0
    .wavefront_size: 64
  - .agpr_count:     0
    .args:
      - .offset:         0
        .size:           48
        .value_kind:     by_value
    .group_segment_fixed_size: 0
    .kernarg_segment_align: 8
    .kernarg_segment_size: 48
    .language:       OpenCL C
    .language_version:
      - 2
      - 0
    .max_flat_workgroup_size: 256
    .name:           _ZN7rocprim17ROCPRIM_400000_NS6detail17trampoline_kernelINS0_13kernel_configILj256ELj4ELj4294967295EEENS1_37radix_sort_block_sort_config_selectorIddEEZNS1_21radix_sort_block_sortIS4_Lb0EN6thrust23THRUST_200600_302600_NS6detail15normal_iteratorINS9_10device_ptrIdEEEESE_SE_SE_NS0_19identity_decomposerEEE10hipError_tT1_T2_T3_T4_jRjT5_jjP12ihipStream_tbEUlT_E_NS1_11comp_targetILNS1_3genE10ELNS1_11target_archE1201ELNS1_3gpuE5ELNS1_3repE0EEENS1_44radix_sort_block_sort_config_static_selectorELNS0_4arch9wavefront6targetE1EEEvSH_
    .private_segment_fixed_size: 0
    .sgpr_count:     6
    .sgpr_spill_count: 0
    .symbol:         _ZN7rocprim17ROCPRIM_400000_NS6detail17trampoline_kernelINS0_13kernel_configILj256ELj4ELj4294967295EEENS1_37radix_sort_block_sort_config_selectorIddEEZNS1_21radix_sort_block_sortIS4_Lb0EN6thrust23THRUST_200600_302600_NS6detail15normal_iteratorINS9_10device_ptrIdEEEESE_SE_SE_NS0_19identity_decomposerEEE10hipError_tT1_T2_T3_T4_jRjT5_jjP12ihipStream_tbEUlT_E_NS1_11comp_targetILNS1_3genE10ELNS1_11target_archE1201ELNS1_3gpuE5ELNS1_3repE0EEENS1_44radix_sort_block_sort_config_static_selectorELNS0_4arch9wavefront6targetE1EEEvSH_.kd
    .uniform_work_group_size: 1
    .uses_dynamic_stack: false
    .vgpr_count:     0
    .vgpr_spill_count: 0
    .wavefront_size: 64
  - .agpr_count:     0
    .args:
      - .offset:         0
        .size:           48
        .value_kind:     by_value
    .group_segment_fixed_size: 0
    .kernarg_segment_align: 8
    .kernarg_segment_size: 48
    .language:       OpenCL C
    .language_version:
      - 2
      - 0
    .max_flat_workgroup_size: 256
    .name:           _ZN7rocprim17ROCPRIM_400000_NS6detail17trampoline_kernelINS0_13kernel_configILj256ELj4ELj4294967295EEENS1_37radix_sort_block_sort_config_selectorIddEEZNS1_21radix_sort_block_sortIS4_Lb0EN6thrust23THRUST_200600_302600_NS6detail15normal_iteratorINS9_10device_ptrIdEEEESE_SE_SE_NS0_19identity_decomposerEEE10hipError_tT1_T2_T3_T4_jRjT5_jjP12ihipStream_tbEUlT_E_NS1_11comp_targetILNS1_3genE10ELNS1_11target_archE1200ELNS1_3gpuE4ELNS1_3repE0EEENS1_44radix_sort_block_sort_config_static_selectorELNS0_4arch9wavefront6targetE1EEEvSH_
    .private_segment_fixed_size: 0
    .sgpr_count:     6
    .sgpr_spill_count: 0
    .symbol:         _ZN7rocprim17ROCPRIM_400000_NS6detail17trampoline_kernelINS0_13kernel_configILj256ELj4ELj4294967295EEENS1_37radix_sort_block_sort_config_selectorIddEEZNS1_21radix_sort_block_sortIS4_Lb0EN6thrust23THRUST_200600_302600_NS6detail15normal_iteratorINS9_10device_ptrIdEEEESE_SE_SE_NS0_19identity_decomposerEEE10hipError_tT1_T2_T3_T4_jRjT5_jjP12ihipStream_tbEUlT_E_NS1_11comp_targetILNS1_3genE10ELNS1_11target_archE1200ELNS1_3gpuE4ELNS1_3repE0EEENS1_44radix_sort_block_sort_config_static_selectorELNS0_4arch9wavefront6targetE1EEEvSH_.kd
    .uniform_work_group_size: 1
    .uses_dynamic_stack: false
    .vgpr_count:     0
    .vgpr_spill_count: 0
    .wavefront_size: 64
  - .agpr_count:     0
    .args:
      - .offset:         0
        .size:           48
        .value_kind:     by_value
    .group_segment_fixed_size: 0
    .kernarg_segment_align: 8
    .kernarg_segment_size: 48
    .language:       OpenCL C
    .language_version:
      - 2
      - 0
    .max_flat_workgroup_size: 256
    .name:           _ZN7rocprim17ROCPRIM_400000_NS6detail17trampoline_kernelINS0_13kernel_configILj256ELj4ELj4294967295EEENS1_37radix_sort_block_sort_config_selectorIddEEZNS1_21radix_sort_block_sortIS4_Lb0EN6thrust23THRUST_200600_302600_NS6detail15normal_iteratorINS9_10device_ptrIdEEEESE_SE_SE_NS0_19identity_decomposerEEE10hipError_tT1_T2_T3_T4_jRjT5_jjP12ihipStream_tbEUlT_E_NS1_11comp_targetILNS1_3genE9ELNS1_11target_archE1100ELNS1_3gpuE3ELNS1_3repE0EEENS1_44radix_sort_block_sort_config_static_selectorELNS0_4arch9wavefront6targetE1EEEvSH_
    .private_segment_fixed_size: 0
    .sgpr_count:     6
    .sgpr_spill_count: 0
    .symbol:         _ZN7rocprim17ROCPRIM_400000_NS6detail17trampoline_kernelINS0_13kernel_configILj256ELj4ELj4294967295EEENS1_37radix_sort_block_sort_config_selectorIddEEZNS1_21radix_sort_block_sortIS4_Lb0EN6thrust23THRUST_200600_302600_NS6detail15normal_iteratorINS9_10device_ptrIdEEEESE_SE_SE_NS0_19identity_decomposerEEE10hipError_tT1_T2_T3_T4_jRjT5_jjP12ihipStream_tbEUlT_E_NS1_11comp_targetILNS1_3genE9ELNS1_11target_archE1100ELNS1_3gpuE3ELNS1_3repE0EEENS1_44radix_sort_block_sort_config_static_selectorELNS0_4arch9wavefront6targetE1EEEvSH_.kd
    .uniform_work_group_size: 1
    .uses_dynamic_stack: false
    .vgpr_count:     0
    .vgpr_spill_count: 0
    .wavefront_size: 64
  - .agpr_count:     0
    .args:
      - .offset:         0
        .size:           48
        .value_kind:     by_value
    .group_segment_fixed_size: 0
    .kernarg_segment_align: 8
    .kernarg_segment_size: 48
    .language:       OpenCL C
    .language_version:
      - 2
      - 0
    .max_flat_workgroup_size: 256
    .name:           _ZN7rocprim17ROCPRIM_400000_NS6detail17trampoline_kernelINS0_13kernel_configILj256ELj4ELj4294967295EEENS1_37radix_sort_block_sort_config_selectorIddEEZNS1_21radix_sort_block_sortIS4_Lb0EN6thrust23THRUST_200600_302600_NS6detail15normal_iteratorINS9_10device_ptrIdEEEESE_SE_SE_NS0_19identity_decomposerEEE10hipError_tT1_T2_T3_T4_jRjT5_jjP12ihipStream_tbEUlT_E_NS1_11comp_targetILNS1_3genE8ELNS1_11target_archE1030ELNS1_3gpuE2ELNS1_3repE0EEENS1_44radix_sort_block_sort_config_static_selectorELNS0_4arch9wavefront6targetE1EEEvSH_
    .private_segment_fixed_size: 0
    .sgpr_count:     6
    .sgpr_spill_count: 0
    .symbol:         _ZN7rocprim17ROCPRIM_400000_NS6detail17trampoline_kernelINS0_13kernel_configILj256ELj4ELj4294967295EEENS1_37radix_sort_block_sort_config_selectorIddEEZNS1_21radix_sort_block_sortIS4_Lb0EN6thrust23THRUST_200600_302600_NS6detail15normal_iteratorINS9_10device_ptrIdEEEESE_SE_SE_NS0_19identity_decomposerEEE10hipError_tT1_T2_T3_T4_jRjT5_jjP12ihipStream_tbEUlT_E_NS1_11comp_targetILNS1_3genE8ELNS1_11target_archE1030ELNS1_3gpuE2ELNS1_3repE0EEENS1_44radix_sort_block_sort_config_static_selectorELNS0_4arch9wavefront6targetE1EEEvSH_.kd
    .uniform_work_group_size: 1
    .uses_dynamic_stack: false
    .vgpr_count:     0
    .vgpr_spill_count: 0
    .wavefront_size: 64
  - .agpr_count:     0
    .args:           []
    .group_segment_fixed_size: 0
    .kernarg_segment_align: 4
    .kernarg_segment_size: 0
    .language:       OpenCL C
    .language_version:
      - 2
      - 0
    .max_flat_workgroup_size: 1024
    .name:           _ZN7rocprim17ROCPRIM_400000_NS6detail44device_merge_sort_compile_time_verifier_archINS1_11comp_targetILNS1_3genE0ELNS1_11target_archE4294967295ELNS1_3gpuE0ELNS1_3repE0EEES8_NS1_28merge_sort_block_sort_configILj256ELj4ELNS0_20block_sort_algorithmE0EEENS0_14default_configENS1_37merge_sort_block_sort_config_selectorIddEENS1_38merge_sort_block_merge_config_selectorIddEEEEvv
    .private_segment_fixed_size: 0
    .sgpr_count:     6
    .sgpr_spill_count: 0
    .symbol:         _ZN7rocprim17ROCPRIM_400000_NS6detail44device_merge_sort_compile_time_verifier_archINS1_11comp_targetILNS1_3genE0ELNS1_11target_archE4294967295ELNS1_3gpuE0ELNS1_3repE0EEES8_NS1_28merge_sort_block_sort_configILj256ELj4ELNS0_20block_sort_algorithmE0EEENS0_14default_configENS1_37merge_sort_block_sort_config_selectorIddEENS1_38merge_sort_block_merge_config_selectorIddEEEEvv.kd
    .uniform_work_group_size: 1
    .uses_dynamic_stack: false
    .vgpr_count:     0
    .vgpr_spill_count: 0
    .wavefront_size: 64
  - .agpr_count:     0
    .args:           []
    .group_segment_fixed_size: 0
    .kernarg_segment_align: 4
    .kernarg_segment_size: 0
    .language:       OpenCL C
    .language_version:
      - 2
      - 0
    .max_flat_workgroup_size: 1024
    .name:           _ZN7rocprim17ROCPRIM_400000_NS6detail44device_merge_sort_compile_time_verifier_archINS1_11comp_targetILNS1_3genE5ELNS1_11target_archE942ELNS1_3gpuE9ELNS1_3repE0EEES8_NS1_28merge_sort_block_sort_configILj256ELj4ELNS0_20block_sort_algorithmE0EEENS0_14default_configENS1_37merge_sort_block_sort_config_selectorIddEENS1_38merge_sort_block_merge_config_selectorIddEEEEvv
    .private_segment_fixed_size: 0
    .sgpr_count:     6
    .sgpr_spill_count: 0
    .symbol:         _ZN7rocprim17ROCPRIM_400000_NS6detail44device_merge_sort_compile_time_verifier_archINS1_11comp_targetILNS1_3genE5ELNS1_11target_archE942ELNS1_3gpuE9ELNS1_3repE0EEES8_NS1_28merge_sort_block_sort_configILj256ELj4ELNS0_20block_sort_algorithmE0EEENS0_14default_configENS1_37merge_sort_block_sort_config_selectorIddEENS1_38merge_sort_block_merge_config_selectorIddEEEEvv.kd
    .uniform_work_group_size: 1
    .uses_dynamic_stack: false
    .vgpr_count:     0
    .vgpr_spill_count: 0
    .wavefront_size: 64
  - .agpr_count:     0
    .args:           []
    .group_segment_fixed_size: 0
    .kernarg_segment_align: 4
    .kernarg_segment_size: 0
    .language:       OpenCL C
    .language_version:
      - 2
      - 0
    .max_flat_workgroup_size: 1024
    .name:           _ZN7rocprim17ROCPRIM_400000_NS6detail44device_merge_sort_compile_time_verifier_archINS1_11comp_targetILNS1_3genE4ELNS1_11target_archE910ELNS1_3gpuE8ELNS1_3repE0EEES8_NS1_28merge_sort_block_sort_configILj256ELj4ELNS0_20block_sort_algorithmE0EEENS0_14default_configENS1_37merge_sort_block_sort_config_selectorIddEENS1_38merge_sort_block_merge_config_selectorIddEEEEvv
    .private_segment_fixed_size: 0
    .sgpr_count:     6
    .sgpr_spill_count: 0
    .symbol:         _ZN7rocprim17ROCPRIM_400000_NS6detail44device_merge_sort_compile_time_verifier_archINS1_11comp_targetILNS1_3genE4ELNS1_11target_archE910ELNS1_3gpuE8ELNS1_3repE0EEES8_NS1_28merge_sort_block_sort_configILj256ELj4ELNS0_20block_sort_algorithmE0EEENS0_14default_configENS1_37merge_sort_block_sort_config_selectorIddEENS1_38merge_sort_block_merge_config_selectorIddEEEEvv.kd
    .uniform_work_group_size: 1
    .uses_dynamic_stack: false
    .vgpr_count:     0
    .vgpr_spill_count: 0
    .wavefront_size: 64
  - .agpr_count:     0
    .args:           []
    .group_segment_fixed_size: 0
    .kernarg_segment_align: 4
    .kernarg_segment_size: 0
    .language:       OpenCL C
    .language_version:
      - 2
      - 0
    .max_flat_workgroup_size: 1024
    .name:           _ZN7rocprim17ROCPRIM_400000_NS6detail44device_merge_sort_compile_time_verifier_archINS1_11comp_targetILNS1_3genE3ELNS1_11target_archE908ELNS1_3gpuE7ELNS1_3repE0EEES8_NS1_28merge_sort_block_sort_configILj256ELj4ELNS0_20block_sort_algorithmE0EEENS0_14default_configENS1_37merge_sort_block_sort_config_selectorIddEENS1_38merge_sort_block_merge_config_selectorIddEEEEvv
    .private_segment_fixed_size: 0
    .sgpr_count:     6
    .sgpr_spill_count: 0
    .symbol:         _ZN7rocprim17ROCPRIM_400000_NS6detail44device_merge_sort_compile_time_verifier_archINS1_11comp_targetILNS1_3genE3ELNS1_11target_archE908ELNS1_3gpuE7ELNS1_3repE0EEES8_NS1_28merge_sort_block_sort_configILj256ELj4ELNS0_20block_sort_algorithmE0EEENS0_14default_configENS1_37merge_sort_block_sort_config_selectorIddEENS1_38merge_sort_block_merge_config_selectorIddEEEEvv.kd
    .uniform_work_group_size: 1
    .uses_dynamic_stack: false
    .vgpr_count:     0
    .vgpr_spill_count: 0
    .wavefront_size: 64
  - .agpr_count:     0
    .args:           []
    .group_segment_fixed_size: 0
    .kernarg_segment_align: 4
    .kernarg_segment_size: 0
    .language:       OpenCL C
    .language_version:
      - 2
      - 0
    .max_flat_workgroup_size: 1024
    .name:           _ZN7rocprim17ROCPRIM_400000_NS6detail44device_merge_sort_compile_time_verifier_archINS1_11comp_targetILNS1_3genE2ELNS1_11target_archE906ELNS1_3gpuE6ELNS1_3repE0EEES8_NS1_28merge_sort_block_sort_configILj256ELj4ELNS0_20block_sort_algorithmE0EEENS0_14default_configENS1_37merge_sort_block_sort_config_selectorIddEENS1_38merge_sort_block_merge_config_selectorIddEEEEvv
    .private_segment_fixed_size: 0
    .sgpr_count:     6
    .sgpr_spill_count: 0
    .symbol:         _ZN7rocprim17ROCPRIM_400000_NS6detail44device_merge_sort_compile_time_verifier_archINS1_11comp_targetILNS1_3genE2ELNS1_11target_archE906ELNS1_3gpuE6ELNS1_3repE0EEES8_NS1_28merge_sort_block_sort_configILj256ELj4ELNS0_20block_sort_algorithmE0EEENS0_14default_configENS1_37merge_sort_block_sort_config_selectorIddEENS1_38merge_sort_block_merge_config_selectorIddEEEEvv.kd
    .uniform_work_group_size: 1
    .uses_dynamic_stack: false
    .vgpr_count:     0
    .vgpr_spill_count: 0
    .wavefront_size: 64
  - .agpr_count:     0
    .args:           []
    .group_segment_fixed_size: 0
    .kernarg_segment_align: 4
    .kernarg_segment_size: 0
    .language:       OpenCL C
    .language_version:
      - 2
      - 0
    .max_flat_workgroup_size: 1024
    .name:           _ZN7rocprim17ROCPRIM_400000_NS6detail44device_merge_sort_compile_time_verifier_archINS1_11comp_targetILNS1_3genE10ELNS1_11target_archE1201ELNS1_3gpuE5ELNS1_3repE0EEES8_NS1_28merge_sort_block_sort_configILj256ELj4ELNS0_20block_sort_algorithmE0EEENS0_14default_configENS1_37merge_sort_block_sort_config_selectorIddEENS1_38merge_sort_block_merge_config_selectorIddEEEEvv
    .private_segment_fixed_size: 0
    .sgpr_count:     6
    .sgpr_spill_count: 0
    .symbol:         _ZN7rocprim17ROCPRIM_400000_NS6detail44device_merge_sort_compile_time_verifier_archINS1_11comp_targetILNS1_3genE10ELNS1_11target_archE1201ELNS1_3gpuE5ELNS1_3repE0EEES8_NS1_28merge_sort_block_sort_configILj256ELj4ELNS0_20block_sort_algorithmE0EEENS0_14default_configENS1_37merge_sort_block_sort_config_selectorIddEENS1_38merge_sort_block_merge_config_selectorIddEEEEvv.kd
    .uniform_work_group_size: 1
    .uses_dynamic_stack: false
    .vgpr_count:     0
    .vgpr_spill_count: 0
    .wavefront_size: 64
  - .agpr_count:     0
    .args:           []
    .group_segment_fixed_size: 0
    .kernarg_segment_align: 4
    .kernarg_segment_size: 0
    .language:       OpenCL C
    .language_version:
      - 2
      - 0
    .max_flat_workgroup_size: 1024
    .name:           _ZN7rocprim17ROCPRIM_400000_NS6detail44device_merge_sort_compile_time_verifier_archINS1_11comp_targetILNS1_3genE10ELNS1_11target_archE1200ELNS1_3gpuE4ELNS1_3repE0EEENS3_ILS4_10ELS5_1201ELS6_5ELS7_0EEENS1_28merge_sort_block_sort_configILj256ELj4ELNS0_20block_sort_algorithmE0EEENS0_14default_configENS1_37merge_sort_block_sort_config_selectorIddEENS1_38merge_sort_block_merge_config_selectorIddEEEEvv
    .private_segment_fixed_size: 0
    .sgpr_count:     6
    .sgpr_spill_count: 0
    .symbol:         _ZN7rocprim17ROCPRIM_400000_NS6detail44device_merge_sort_compile_time_verifier_archINS1_11comp_targetILNS1_3genE10ELNS1_11target_archE1200ELNS1_3gpuE4ELNS1_3repE0EEENS3_ILS4_10ELS5_1201ELS6_5ELS7_0EEENS1_28merge_sort_block_sort_configILj256ELj4ELNS0_20block_sort_algorithmE0EEENS0_14default_configENS1_37merge_sort_block_sort_config_selectorIddEENS1_38merge_sort_block_merge_config_selectorIddEEEEvv.kd
    .uniform_work_group_size: 1
    .uses_dynamic_stack: false
    .vgpr_count:     0
    .vgpr_spill_count: 0
    .wavefront_size: 64
  - .agpr_count:     0
    .args:           []
    .group_segment_fixed_size: 0
    .kernarg_segment_align: 4
    .kernarg_segment_size: 0
    .language:       OpenCL C
    .language_version:
      - 2
      - 0
    .max_flat_workgroup_size: 1024
    .name:           _ZN7rocprim17ROCPRIM_400000_NS6detail44device_merge_sort_compile_time_verifier_archINS1_11comp_targetILNS1_3genE9ELNS1_11target_archE1100ELNS1_3gpuE3ELNS1_3repE0EEES8_NS1_28merge_sort_block_sort_configILj256ELj4ELNS0_20block_sort_algorithmE0EEENS0_14default_configENS1_37merge_sort_block_sort_config_selectorIddEENS1_38merge_sort_block_merge_config_selectorIddEEEEvv
    .private_segment_fixed_size: 0
    .sgpr_count:     6
    .sgpr_spill_count: 0
    .symbol:         _ZN7rocprim17ROCPRIM_400000_NS6detail44device_merge_sort_compile_time_verifier_archINS1_11comp_targetILNS1_3genE9ELNS1_11target_archE1100ELNS1_3gpuE3ELNS1_3repE0EEES8_NS1_28merge_sort_block_sort_configILj256ELj4ELNS0_20block_sort_algorithmE0EEENS0_14default_configENS1_37merge_sort_block_sort_config_selectorIddEENS1_38merge_sort_block_merge_config_selectorIddEEEEvv.kd
    .uniform_work_group_size: 1
    .uses_dynamic_stack: false
    .vgpr_count:     0
    .vgpr_spill_count: 0
    .wavefront_size: 64
  - .agpr_count:     0
    .args:           []
    .group_segment_fixed_size: 0
    .kernarg_segment_align: 4
    .kernarg_segment_size: 0
    .language:       OpenCL C
    .language_version:
      - 2
      - 0
    .max_flat_workgroup_size: 1024
    .name:           _ZN7rocprim17ROCPRIM_400000_NS6detail44device_merge_sort_compile_time_verifier_archINS1_11comp_targetILNS1_3genE8ELNS1_11target_archE1030ELNS1_3gpuE2ELNS1_3repE0EEES8_NS1_28merge_sort_block_sort_configILj256ELj4ELNS0_20block_sort_algorithmE0EEENS0_14default_configENS1_37merge_sort_block_sort_config_selectorIddEENS1_38merge_sort_block_merge_config_selectorIddEEEEvv
    .private_segment_fixed_size: 0
    .sgpr_count:     6
    .sgpr_spill_count: 0
    .symbol:         _ZN7rocprim17ROCPRIM_400000_NS6detail44device_merge_sort_compile_time_verifier_archINS1_11comp_targetILNS1_3genE8ELNS1_11target_archE1030ELNS1_3gpuE2ELNS1_3repE0EEES8_NS1_28merge_sort_block_sort_configILj256ELj4ELNS0_20block_sort_algorithmE0EEENS0_14default_configENS1_37merge_sort_block_sort_config_selectorIddEENS1_38merge_sort_block_merge_config_selectorIddEEEEvv.kd
    .uniform_work_group_size: 1
    .uses_dynamic_stack: false
    .vgpr_count:     0
    .vgpr_spill_count: 0
    .wavefront_size: 64
  - .agpr_count:     0
    .args:
      - .offset:         0
        .size:           40
        .value_kind:     by_value
    .group_segment_fixed_size: 0
    .kernarg_segment_align: 8
    .kernarg_segment_size: 40
    .language:       OpenCL C
    .language_version:
      - 2
      - 0
    .max_flat_workgroup_size: 128
    .name:           _ZN7rocprim17ROCPRIM_400000_NS6detail17trampoline_kernelINS0_14default_configENS1_38merge_sort_block_merge_config_selectorIddEEZZNS1_27merge_sort_block_merge_implIS3_N6thrust23THRUST_200600_302600_NS6detail15normal_iteratorINS8_10device_ptrIdEEEESD_jNS1_19radix_merge_compareILb0ELb0EdNS0_19identity_decomposerEEEEE10hipError_tT0_T1_T2_jT3_P12ihipStream_tbPNSt15iterator_traitsISI_E10value_typeEPNSO_ISJ_E10value_typeEPSK_NS1_7vsmem_tEENKUlT_SI_SJ_SK_E_clIPdSD_S10_SD_EESH_SX_SI_SJ_SK_EUlSX_E_NS1_11comp_targetILNS1_3genE0ELNS1_11target_archE4294967295ELNS1_3gpuE0ELNS1_3repE0EEENS1_48merge_mergepath_partition_config_static_selectorELNS0_4arch9wavefront6targetE1EEEvSJ_
    .private_segment_fixed_size: 0
    .sgpr_count:     14
    .sgpr_spill_count: 0
    .symbol:         _ZN7rocprim17ROCPRIM_400000_NS6detail17trampoline_kernelINS0_14default_configENS1_38merge_sort_block_merge_config_selectorIddEEZZNS1_27merge_sort_block_merge_implIS3_N6thrust23THRUST_200600_302600_NS6detail15normal_iteratorINS8_10device_ptrIdEEEESD_jNS1_19radix_merge_compareILb0ELb0EdNS0_19identity_decomposerEEEEE10hipError_tT0_T1_T2_jT3_P12ihipStream_tbPNSt15iterator_traitsISI_E10value_typeEPNSO_ISJ_E10value_typeEPSK_NS1_7vsmem_tEENKUlT_SI_SJ_SK_E_clIPdSD_S10_SD_EESH_SX_SI_SJ_SK_EUlSX_E_NS1_11comp_targetILNS1_3genE0ELNS1_11target_archE4294967295ELNS1_3gpuE0ELNS1_3repE0EEENS1_48merge_mergepath_partition_config_static_selectorELNS0_4arch9wavefront6targetE1EEEvSJ_.kd
    .uniform_work_group_size: 1
    .uses_dynamic_stack: false
    .vgpr_count:     20
    .vgpr_spill_count: 0
    .wavefront_size: 64
  - .agpr_count:     0
    .args:
      - .offset:         0
        .size:           40
        .value_kind:     by_value
    .group_segment_fixed_size: 0
    .kernarg_segment_align: 8
    .kernarg_segment_size: 40
    .language:       OpenCL C
    .language_version:
      - 2
      - 0
    .max_flat_workgroup_size: 128
    .name:           _ZN7rocprim17ROCPRIM_400000_NS6detail17trampoline_kernelINS0_14default_configENS1_38merge_sort_block_merge_config_selectorIddEEZZNS1_27merge_sort_block_merge_implIS3_N6thrust23THRUST_200600_302600_NS6detail15normal_iteratorINS8_10device_ptrIdEEEESD_jNS1_19radix_merge_compareILb0ELb0EdNS0_19identity_decomposerEEEEE10hipError_tT0_T1_T2_jT3_P12ihipStream_tbPNSt15iterator_traitsISI_E10value_typeEPNSO_ISJ_E10value_typeEPSK_NS1_7vsmem_tEENKUlT_SI_SJ_SK_E_clIPdSD_S10_SD_EESH_SX_SI_SJ_SK_EUlSX_E_NS1_11comp_targetILNS1_3genE10ELNS1_11target_archE1201ELNS1_3gpuE5ELNS1_3repE0EEENS1_48merge_mergepath_partition_config_static_selectorELNS0_4arch9wavefront6targetE1EEEvSJ_
    .private_segment_fixed_size: 0
    .sgpr_count:     6
    .sgpr_spill_count: 0
    .symbol:         _ZN7rocprim17ROCPRIM_400000_NS6detail17trampoline_kernelINS0_14default_configENS1_38merge_sort_block_merge_config_selectorIddEEZZNS1_27merge_sort_block_merge_implIS3_N6thrust23THRUST_200600_302600_NS6detail15normal_iteratorINS8_10device_ptrIdEEEESD_jNS1_19radix_merge_compareILb0ELb0EdNS0_19identity_decomposerEEEEE10hipError_tT0_T1_T2_jT3_P12ihipStream_tbPNSt15iterator_traitsISI_E10value_typeEPNSO_ISJ_E10value_typeEPSK_NS1_7vsmem_tEENKUlT_SI_SJ_SK_E_clIPdSD_S10_SD_EESH_SX_SI_SJ_SK_EUlSX_E_NS1_11comp_targetILNS1_3genE10ELNS1_11target_archE1201ELNS1_3gpuE5ELNS1_3repE0EEENS1_48merge_mergepath_partition_config_static_selectorELNS0_4arch9wavefront6targetE1EEEvSJ_.kd
    .uniform_work_group_size: 1
    .uses_dynamic_stack: false
    .vgpr_count:     0
    .vgpr_spill_count: 0
    .wavefront_size: 64
  - .agpr_count:     0
    .args:
      - .offset:         0
        .size:           40
        .value_kind:     by_value
    .group_segment_fixed_size: 0
    .kernarg_segment_align: 8
    .kernarg_segment_size: 40
    .language:       OpenCL C
    .language_version:
      - 2
      - 0
    .max_flat_workgroup_size: 128
    .name:           _ZN7rocprim17ROCPRIM_400000_NS6detail17trampoline_kernelINS0_14default_configENS1_38merge_sort_block_merge_config_selectorIddEEZZNS1_27merge_sort_block_merge_implIS3_N6thrust23THRUST_200600_302600_NS6detail15normal_iteratorINS8_10device_ptrIdEEEESD_jNS1_19radix_merge_compareILb0ELb0EdNS0_19identity_decomposerEEEEE10hipError_tT0_T1_T2_jT3_P12ihipStream_tbPNSt15iterator_traitsISI_E10value_typeEPNSO_ISJ_E10value_typeEPSK_NS1_7vsmem_tEENKUlT_SI_SJ_SK_E_clIPdSD_S10_SD_EESH_SX_SI_SJ_SK_EUlSX_E_NS1_11comp_targetILNS1_3genE5ELNS1_11target_archE942ELNS1_3gpuE9ELNS1_3repE0EEENS1_48merge_mergepath_partition_config_static_selectorELNS0_4arch9wavefront6targetE1EEEvSJ_
    .private_segment_fixed_size: 0
    .sgpr_count:     6
    .sgpr_spill_count: 0
    .symbol:         _ZN7rocprim17ROCPRIM_400000_NS6detail17trampoline_kernelINS0_14default_configENS1_38merge_sort_block_merge_config_selectorIddEEZZNS1_27merge_sort_block_merge_implIS3_N6thrust23THRUST_200600_302600_NS6detail15normal_iteratorINS8_10device_ptrIdEEEESD_jNS1_19radix_merge_compareILb0ELb0EdNS0_19identity_decomposerEEEEE10hipError_tT0_T1_T2_jT3_P12ihipStream_tbPNSt15iterator_traitsISI_E10value_typeEPNSO_ISJ_E10value_typeEPSK_NS1_7vsmem_tEENKUlT_SI_SJ_SK_E_clIPdSD_S10_SD_EESH_SX_SI_SJ_SK_EUlSX_E_NS1_11comp_targetILNS1_3genE5ELNS1_11target_archE942ELNS1_3gpuE9ELNS1_3repE0EEENS1_48merge_mergepath_partition_config_static_selectorELNS0_4arch9wavefront6targetE1EEEvSJ_.kd
    .uniform_work_group_size: 1
    .uses_dynamic_stack: false
    .vgpr_count:     0
    .vgpr_spill_count: 0
    .wavefront_size: 64
  - .agpr_count:     0
    .args:
      - .offset:         0
        .size:           40
        .value_kind:     by_value
    .group_segment_fixed_size: 0
    .kernarg_segment_align: 8
    .kernarg_segment_size: 40
    .language:       OpenCL C
    .language_version:
      - 2
      - 0
    .max_flat_workgroup_size: 128
    .name:           _ZN7rocprim17ROCPRIM_400000_NS6detail17trampoline_kernelINS0_14default_configENS1_38merge_sort_block_merge_config_selectorIddEEZZNS1_27merge_sort_block_merge_implIS3_N6thrust23THRUST_200600_302600_NS6detail15normal_iteratorINS8_10device_ptrIdEEEESD_jNS1_19radix_merge_compareILb0ELb0EdNS0_19identity_decomposerEEEEE10hipError_tT0_T1_T2_jT3_P12ihipStream_tbPNSt15iterator_traitsISI_E10value_typeEPNSO_ISJ_E10value_typeEPSK_NS1_7vsmem_tEENKUlT_SI_SJ_SK_E_clIPdSD_S10_SD_EESH_SX_SI_SJ_SK_EUlSX_E_NS1_11comp_targetILNS1_3genE4ELNS1_11target_archE910ELNS1_3gpuE8ELNS1_3repE0EEENS1_48merge_mergepath_partition_config_static_selectorELNS0_4arch9wavefront6targetE1EEEvSJ_
    .private_segment_fixed_size: 0
    .sgpr_count:     6
    .sgpr_spill_count: 0
    .symbol:         _ZN7rocprim17ROCPRIM_400000_NS6detail17trampoline_kernelINS0_14default_configENS1_38merge_sort_block_merge_config_selectorIddEEZZNS1_27merge_sort_block_merge_implIS3_N6thrust23THRUST_200600_302600_NS6detail15normal_iteratorINS8_10device_ptrIdEEEESD_jNS1_19radix_merge_compareILb0ELb0EdNS0_19identity_decomposerEEEEE10hipError_tT0_T1_T2_jT3_P12ihipStream_tbPNSt15iterator_traitsISI_E10value_typeEPNSO_ISJ_E10value_typeEPSK_NS1_7vsmem_tEENKUlT_SI_SJ_SK_E_clIPdSD_S10_SD_EESH_SX_SI_SJ_SK_EUlSX_E_NS1_11comp_targetILNS1_3genE4ELNS1_11target_archE910ELNS1_3gpuE8ELNS1_3repE0EEENS1_48merge_mergepath_partition_config_static_selectorELNS0_4arch9wavefront6targetE1EEEvSJ_.kd
    .uniform_work_group_size: 1
    .uses_dynamic_stack: false
    .vgpr_count:     0
    .vgpr_spill_count: 0
    .wavefront_size: 64
  - .agpr_count:     0
    .args:
      - .offset:         0
        .size:           40
        .value_kind:     by_value
    .group_segment_fixed_size: 0
    .kernarg_segment_align: 8
    .kernarg_segment_size: 40
    .language:       OpenCL C
    .language_version:
      - 2
      - 0
    .max_flat_workgroup_size: 128
    .name:           _ZN7rocprim17ROCPRIM_400000_NS6detail17trampoline_kernelINS0_14default_configENS1_38merge_sort_block_merge_config_selectorIddEEZZNS1_27merge_sort_block_merge_implIS3_N6thrust23THRUST_200600_302600_NS6detail15normal_iteratorINS8_10device_ptrIdEEEESD_jNS1_19radix_merge_compareILb0ELb0EdNS0_19identity_decomposerEEEEE10hipError_tT0_T1_T2_jT3_P12ihipStream_tbPNSt15iterator_traitsISI_E10value_typeEPNSO_ISJ_E10value_typeEPSK_NS1_7vsmem_tEENKUlT_SI_SJ_SK_E_clIPdSD_S10_SD_EESH_SX_SI_SJ_SK_EUlSX_E_NS1_11comp_targetILNS1_3genE3ELNS1_11target_archE908ELNS1_3gpuE7ELNS1_3repE0EEENS1_48merge_mergepath_partition_config_static_selectorELNS0_4arch9wavefront6targetE1EEEvSJ_
    .private_segment_fixed_size: 0
    .sgpr_count:     6
    .sgpr_spill_count: 0
    .symbol:         _ZN7rocprim17ROCPRIM_400000_NS6detail17trampoline_kernelINS0_14default_configENS1_38merge_sort_block_merge_config_selectorIddEEZZNS1_27merge_sort_block_merge_implIS3_N6thrust23THRUST_200600_302600_NS6detail15normal_iteratorINS8_10device_ptrIdEEEESD_jNS1_19radix_merge_compareILb0ELb0EdNS0_19identity_decomposerEEEEE10hipError_tT0_T1_T2_jT3_P12ihipStream_tbPNSt15iterator_traitsISI_E10value_typeEPNSO_ISJ_E10value_typeEPSK_NS1_7vsmem_tEENKUlT_SI_SJ_SK_E_clIPdSD_S10_SD_EESH_SX_SI_SJ_SK_EUlSX_E_NS1_11comp_targetILNS1_3genE3ELNS1_11target_archE908ELNS1_3gpuE7ELNS1_3repE0EEENS1_48merge_mergepath_partition_config_static_selectorELNS0_4arch9wavefront6targetE1EEEvSJ_.kd
    .uniform_work_group_size: 1
    .uses_dynamic_stack: false
    .vgpr_count:     0
    .vgpr_spill_count: 0
    .wavefront_size: 64
  - .agpr_count:     0
    .args:
      - .offset:         0
        .size:           40
        .value_kind:     by_value
    .group_segment_fixed_size: 0
    .kernarg_segment_align: 8
    .kernarg_segment_size: 40
    .language:       OpenCL C
    .language_version:
      - 2
      - 0
    .max_flat_workgroup_size: 128
    .name:           _ZN7rocprim17ROCPRIM_400000_NS6detail17trampoline_kernelINS0_14default_configENS1_38merge_sort_block_merge_config_selectorIddEEZZNS1_27merge_sort_block_merge_implIS3_N6thrust23THRUST_200600_302600_NS6detail15normal_iteratorINS8_10device_ptrIdEEEESD_jNS1_19radix_merge_compareILb0ELb0EdNS0_19identity_decomposerEEEEE10hipError_tT0_T1_T2_jT3_P12ihipStream_tbPNSt15iterator_traitsISI_E10value_typeEPNSO_ISJ_E10value_typeEPSK_NS1_7vsmem_tEENKUlT_SI_SJ_SK_E_clIPdSD_S10_SD_EESH_SX_SI_SJ_SK_EUlSX_E_NS1_11comp_targetILNS1_3genE2ELNS1_11target_archE906ELNS1_3gpuE6ELNS1_3repE0EEENS1_48merge_mergepath_partition_config_static_selectorELNS0_4arch9wavefront6targetE1EEEvSJ_
    .private_segment_fixed_size: 0
    .sgpr_count:     6
    .sgpr_spill_count: 0
    .symbol:         _ZN7rocprim17ROCPRIM_400000_NS6detail17trampoline_kernelINS0_14default_configENS1_38merge_sort_block_merge_config_selectorIddEEZZNS1_27merge_sort_block_merge_implIS3_N6thrust23THRUST_200600_302600_NS6detail15normal_iteratorINS8_10device_ptrIdEEEESD_jNS1_19radix_merge_compareILb0ELb0EdNS0_19identity_decomposerEEEEE10hipError_tT0_T1_T2_jT3_P12ihipStream_tbPNSt15iterator_traitsISI_E10value_typeEPNSO_ISJ_E10value_typeEPSK_NS1_7vsmem_tEENKUlT_SI_SJ_SK_E_clIPdSD_S10_SD_EESH_SX_SI_SJ_SK_EUlSX_E_NS1_11comp_targetILNS1_3genE2ELNS1_11target_archE906ELNS1_3gpuE6ELNS1_3repE0EEENS1_48merge_mergepath_partition_config_static_selectorELNS0_4arch9wavefront6targetE1EEEvSJ_.kd
    .uniform_work_group_size: 1
    .uses_dynamic_stack: false
    .vgpr_count:     0
    .vgpr_spill_count: 0
    .wavefront_size: 64
  - .agpr_count:     0
    .args:
      - .offset:         0
        .size:           40
        .value_kind:     by_value
    .group_segment_fixed_size: 0
    .kernarg_segment_align: 8
    .kernarg_segment_size: 40
    .language:       OpenCL C
    .language_version:
      - 2
      - 0
    .max_flat_workgroup_size: 128
    .name:           _ZN7rocprim17ROCPRIM_400000_NS6detail17trampoline_kernelINS0_14default_configENS1_38merge_sort_block_merge_config_selectorIddEEZZNS1_27merge_sort_block_merge_implIS3_N6thrust23THRUST_200600_302600_NS6detail15normal_iteratorINS8_10device_ptrIdEEEESD_jNS1_19radix_merge_compareILb0ELb0EdNS0_19identity_decomposerEEEEE10hipError_tT0_T1_T2_jT3_P12ihipStream_tbPNSt15iterator_traitsISI_E10value_typeEPNSO_ISJ_E10value_typeEPSK_NS1_7vsmem_tEENKUlT_SI_SJ_SK_E_clIPdSD_S10_SD_EESH_SX_SI_SJ_SK_EUlSX_E_NS1_11comp_targetILNS1_3genE9ELNS1_11target_archE1100ELNS1_3gpuE3ELNS1_3repE0EEENS1_48merge_mergepath_partition_config_static_selectorELNS0_4arch9wavefront6targetE1EEEvSJ_
    .private_segment_fixed_size: 0
    .sgpr_count:     6
    .sgpr_spill_count: 0
    .symbol:         _ZN7rocprim17ROCPRIM_400000_NS6detail17trampoline_kernelINS0_14default_configENS1_38merge_sort_block_merge_config_selectorIddEEZZNS1_27merge_sort_block_merge_implIS3_N6thrust23THRUST_200600_302600_NS6detail15normal_iteratorINS8_10device_ptrIdEEEESD_jNS1_19radix_merge_compareILb0ELb0EdNS0_19identity_decomposerEEEEE10hipError_tT0_T1_T2_jT3_P12ihipStream_tbPNSt15iterator_traitsISI_E10value_typeEPNSO_ISJ_E10value_typeEPSK_NS1_7vsmem_tEENKUlT_SI_SJ_SK_E_clIPdSD_S10_SD_EESH_SX_SI_SJ_SK_EUlSX_E_NS1_11comp_targetILNS1_3genE9ELNS1_11target_archE1100ELNS1_3gpuE3ELNS1_3repE0EEENS1_48merge_mergepath_partition_config_static_selectorELNS0_4arch9wavefront6targetE1EEEvSJ_.kd
    .uniform_work_group_size: 1
    .uses_dynamic_stack: false
    .vgpr_count:     0
    .vgpr_spill_count: 0
    .wavefront_size: 64
  - .agpr_count:     0
    .args:
      - .offset:         0
        .size:           40
        .value_kind:     by_value
    .group_segment_fixed_size: 0
    .kernarg_segment_align: 8
    .kernarg_segment_size: 40
    .language:       OpenCL C
    .language_version:
      - 2
      - 0
    .max_flat_workgroup_size: 128
    .name:           _ZN7rocprim17ROCPRIM_400000_NS6detail17trampoline_kernelINS0_14default_configENS1_38merge_sort_block_merge_config_selectorIddEEZZNS1_27merge_sort_block_merge_implIS3_N6thrust23THRUST_200600_302600_NS6detail15normal_iteratorINS8_10device_ptrIdEEEESD_jNS1_19radix_merge_compareILb0ELb0EdNS0_19identity_decomposerEEEEE10hipError_tT0_T1_T2_jT3_P12ihipStream_tbPNSt15iterator_traitsISI_E10value_typeEPNSO_ISJ_E10value_typeEPSK_NS1_7vsmem_tEENKUlT_SI_SJ_SK_E_clIPdSD_S10_SD_EESH_SX_SI_SJ_SK_EUlSX_E_NS1_11comp_targetILNS1_3genE8ELNS1_11target_archE1030ELNS1_3gpuE2ELNS1_3repE0EEENS1_48merge_mergepath_partition_config_static_selectorELNS0_4arch9wavefront6targetE1EEEvSJ_
    .private_segment_fixed_size: 0
    .sgpr_count:     6
    .sgpr_spill_count: 0
    .symbol:         _ZN7rocprim17ROCPRIM_400000_NS6detail17trampoline_kernelINS0_14default_configENS1_38merge_sort_block_merge_config_selectorIddEEZZNS1_27merge_sort_block_merge_implIS3_N6thrust23THRUST_200600_302600_NS6detail15normal_iteratorINS8_10device_ptrIdEEEESD_jNS1_19radix_merge_compareILb0ELb0EdNS0_19identity_decomposerEEEEE10hipError_tT0_T1_T2_jT3_P12ihipStream_tbPNSt15iterator_traitsISI_E10value_typeEPNSO_ISJ_E10value_typeEPSK_NS1_7vsmem_tEENKUlT_SI_SJ_SK_E_clIPdSD_S10_SD_EESH_SX_SI_SJ_SK_EUlSX_E_NS1_11comp_targetILNS1_3genE8ELNS1_11target_archE1030ELNS1_3gpuE2ELNS1_3repE0EEENS1_48merge_mergepath_partition_config_static_selectorELNS0_4arch9wavefront6targetE1EEEvSJ_.kd
    .uniform_work_group_size: 1
    .uses_dynamic_stack: false
    .vgpr_count:     0
    .vgpr_spill_count: 0
    .wavefront_size: 64
  - .agpr_count:     0
    .args:
      - .offset:         0
        .size:           64
        .value_kind:     by_value
      - .offset:         64
        .size:           4
        .value_kind:     hidden_block_count_x
      - .offset:         68
        .size:           4
        .value_kind:     hidden_block_count_y
      - .offset:         72
        .size:           4
        .value_kind:     hidden_block_count_z
      - .offset:         76
        .size:           2
        .value_kind:     hidden_group_size_x
      - .offset:         78
        .size:           2
        .value_kind:     hidden_group_size_y
      - .offset:         80
        .size:           2
        .value_kind:     hidden_group_size_z
      - .offset:         82
        .size:           2
        .value_kind:     hidden_remainder_x
      - .offset:         84
        .size:           2
        .value_kind:     hidden_remainder_y
      - .offset:         86
        .size:           2
        .value_kind:     hidden_remainder_z
      - .offset:         104
        .size:           8
        .value_kind:     hidden_global_offset_x
      - .offset:         112
        .size:           8
        .value_kind:     hidden_global_offset_y
      - .offset:         120
        .size:           8
        .value_kind:     hidden_global_offset_z
      - .offset:         128
        .size:           2
        .value_kind:     hidden_grid_dims
    .group_segment_fixed_size: 8208
    .kernarg_segment_align: 8
    .kernarg_segment_size: 320
    .language:       OpenCL C
    .language_version:
      - 2
      - 0
    .max_flat_workgroup_size: 1024
    .name:           _ZN7rocprim17ROCPRIM_400000_NS6detail17trampoline_kernelINS0_14default_configENS1_38merge_sort_block_merge_config_selectorIddEEZZNS1_27merge_sort_block_merge_implIS3_N6thrust23THRUST_200600_302600_NS6detail15normal_iteratorINS8_10device_ptrIdEEEESD_jNS1_19radix_merge_compareILb0ELb0EdNS0_19identity_decomposerEEEEE10hipError_tT0_T1_T2_jT3_P12ihipStream_tbPNSt15iterator_traitsISI_E10value_typeEPNSO_ISJ_E10value_typeEPSK_NS1_7vsmem_tEENKUlT_SI_SJ_SK_E_clIPdSD_S10_SD_EESH_SX_SI_SJ_SK_EUlSX_E0_NS1_11comp_targetILNS1_3genE0ELNS1_11target_archE4294967295ELNS1_3gpuE0ELNS1_3repE0EEENS1_38merge_mergepath_config_static_selectorELNS0_4arch9wavefront6targetE1EEEvSJ_
    .private_segment_fixed_size: 0
    .sgpr_count:     32
    .sgpr_spill_count: 0
    .symbol:         _ZN7rocprim17ROCPRIM_400000_NS6detail17trampoline_kernelINS0_14default_configENS1_38merge_sort_block_merge_config_selectorIddEEZZNS1_27merge_sort_block_merge_implIS3_N6thrust23THRUST_200600_302600_NS6detail15normal_iteratorINS8_10device_ptrIdEEEESD_jNS1_19radix_merge_compareILb0ELb0EdNS0_19identity_decomposerEEEEE10hipError_tT0_T1_T2_jT3_P12ihipStream_tbPNSt15iterator_traitsISI_E10value_typeEPNSO_ISJ_E10value_typeEPSK_NS1_7vsmem_tEENKUlT_SI_SJ_SK_E_clIPdSD_S10_SD_EESH_SX_SI_SJ_SK_EUlSX_E0_NS1_11comp_targetILNS1_3genE0ELNS1_11target_archE4294967295ELNS1_3gpuE0ELNS1_3repE0EEENS1_38merge_mergepath_config_static_selectorELNS0_4arch9wavefront6targetE1EEEvSJ_.kd
    .uniform_work_group_size: 1
    .uses_dynamic_stack: false
    .vgpr_count:     18
    .vgpr_spill_count: 0
    .wavefront_size: 64
  - .agpr_count:     0
    .args:
      - .offset:         0
        .size:           64
        .value_kind:     by_value
    .group_segment_fixed_size: 0
    .kernarg_segment_align: 8
    .kernarg_segment_size: 64
    .language:       OpenCL C
    .language_version:
      - 2
      - 0
    .max_flat_workgroup_size: 512
    .name:           _ZN7rocprim17ROCPRIM_400000_NS6detail17trampoline_kernelINS0_14default_configENS1_38merge_sort_block_merge_config_selectorIddEEZZNS1_27merge_sort_block_merge_implIS3_N6thrust23THRUST_200600_302600_NS6detail15normal_iteratorINS8_10device_ptrIdEEEESD_jNS1_19radix_merge_compareILb0ELb0EdNS0_19identity_decomposerEEEEE10hipError_tT0_T1_T2_jT3_P12ihipStream_tbPNSt15iterator_traitsISI_E10value_typeEPNSO_ISJ_E10value_typeEPSK_NS1_7vsmem_tEENKUlT_SI_SJ_SK_E_clIPdSD_S10_SD_EESH_SX_SI_SJ_SK_EUlSX_E0_NS1_11comp_targetILNS1_3genE10ELNS1_11target_archE1201ELNS1_3gpuE5ELNS1_3repE0EEENS1_38merge_mergepath_config_static_selectorELNS0_4arch9wavefront6targetE1EEEvSJ_
    .private_segment_fixed_size: 0
    .sgpr_count:     6
    .sgpr_spill_count: 0
    .symbol:         _ZN7rocprim17ROCPRIM_400000_NS6detail17trampoline_kernelINS0_14default_configENS1_38merge_sort_block_merge_config_selectorIddEEZZNS1_27merge_sort_block_merge_implIS3_N6thrust23THRUST_200600_302600_NS6detail15normal_iteratorINS8_10device_ptrIdEEEESD_jNS1_19radix_merge_compareILb0ELb0EdNS0_19identity_decomposerEEEEE10hipError_tT0_T1_T2_jT3_P12ihipStream_tbPNSt15iterator_traitsISI_E10value_typeEPNSO_ISJ_E10value_typeEPSK_NS1_7vsmem_tEENKUlT_SI_SJ_SK_E_clIPdSD_S10_SD_EESH_SX_SI_SJ_SK_EUlSX_E0_NS1_11comp_targetILNS1_3genE10ELNS1_11target_archE1201ELNS1_3gpuE5ELNS1_3repE0EEENS1_38merge_mergepath_config_static_selectorELNS0_4arch9wavefront6targetE1EEEvSJ_.kd
    .uniform_work_group_size: 1
    .uses_dynamic_stack: false
    .vgpr_count:     0
    .vgpr_spill_count: 0
    .wavefront_size: 64
  - .agpr_count:     0
    .args:
      - .offset:         0
        .size:           64
        .value_kind:     by_value
    .group_segment_fixed_size: 0
    .kernarg_segment_align: 8
    .kernarg_segment_size: 64
    .language:       OpenCL C
    .language_version:
      - 2
      - 0
    .max_flat_workgroup_size: 256
    .name:           _ZN7rocprim17ROCPRIM_400000_NS6detail17trampoline_kernelINS0_14default_configENS1_38merge_sort_block_merge_config_selectorIddEEZZNS1_27merge_sort_block_merge_implIS3_N6thrust23THRUST_200600_302600_NS6detail15normal_iteratorINS8_10device_ptrIdEEEESD_jNS1_19radix_merge_compareILb0ELb0EdNS0_19identity_decomposerEEEEE10hipError_tT0_T1_T2_jT3_P12ihipStream_tbPNSt15iterator_traitsISI_E10value_typeEPNSO_ISJ_E10value_typeEPSK_NS1_7vsmem_tEENKUlT_SI_SJ_SK_E_clIPdSD_S10_SD_EESH_SX_SI_SJ_SK_EUlSX_E0_NS1_11comp_targetILNS1_3genE5ELNS1_11target_archE942ELNS1_3gpuE9ELNS1_3repE0EEENS1_38merge_mergepath_config_static_selectorELNS0_4arch9wavefront6targetE1EEEvSJ_
    .private_segment_fixed_size: 0
    .sgpr_count:     6
    .sgpr_spill_count: 0
    .symbol:         _ZN7rocprim17ROCPRIM_400000_NS6detail17trampoline_kernelINS0_14default_configENS1_38merge_sort_block_merge_config_selectorIddEEZZNS1_27merge_sort_block_merge_implIS3_N6thrust23THRUST_200600_302600_NS6detail15normal_iteratorINS8_10device_ptrIdEEEESD_jNS1_19radix_merge_compareILb0ELb0EdNS0_19identity_decomposerEEEEE10hipError_tT0_T1_T2_jT3_P12ihipStream_tbPNSt15iterator_traitsISI_E10value_typeEPNSO_ISJ_E10value_typeEPSK_NS1_7vsmem_tEENKUlT_SI_SJ_SK_E_clIPdSD_S10_SD_EESH_SX_SI_SJ_SK_EUlSX_E0_NS1_11comp_targetILNS1_3genE5ELNS1_11target_archE942ELNS1_3gpuE9ELNS1_3repE0EEENS1_38merge_mergepath_config_static_selectorELNS0_4arch9wavefront6targetE1EEEvSJ_.kd
    .uniform_work_group_size: 1
    .uses_dynamic_stack: false
    .vgpr_count:     0
    .vgpr_spill_count: 0
    .wavefront_size: 64
  - .agpr_count:     0
    .args:
      - .offset:         0
        .size:           64
        .value_kind:     by_value
    .group_segment_fixed_size: 0
    .kernarg_segment_align: 8
    .kernarg_segment_size: 64
    .language:       OpenCL C
    .language_version:
      - 2
      - 0
    .max_flat_workgroup_size: 512
    .name:           _ZN7rocprim17ROCPRIM_400000_NS6detail17trampoline_kernelINS0_14default_configENS1_38merge_sort_block_merge_config_selectorIddEEZZNS1_27merge_sort_block_merge_implIS3_N6thrust23THRUST_200600_302600_NS6detail15normal_iteratorINS8_10device_ptrIdEEEESD_jNS1_19radix_merge_compareILb0ELb0EdNS0_19identity_decomposerEEEEE10hipError_tT0_T1_T2_jT3_P12ihipStream_tbPNSt15iterator_traitsISI_E10value_typeEPNSO_ISJ_E10value_typeEPSK_NS1_7vsmem_tEENKUlT_SI_SJ_SK_E_clIPdSD_S10_SD_EESH_SX_SI_SJ_SK_EUlSX_E0_NS1_11comp_targetILNS1_3genE4ELNS1_11target_archE910ELNS1_3gpuE8ELNS1_3repE0EEENS1_38merge_mergepath_config_static_selectorELNS0_4arch9wavefront6targetE1EEEvSJ_
    .private_segment_fixed_size: 0
    .sgpr_count:     6
    .sgpr_spill_count: 0
    .symbol:         _ZN7rocprim17ROCPRIM_400000_NS6detail17trampoline_kernelINS0_14default_configENS1_38merge_sort_block_merge_config_selectorIddEEZZNS1_27merge_sort_block_merge_implIS3_N6thrust23THRUST_200600_302600_NS6detail15normal_iteratorINS8_10device_ptrIdEEEESD_jNS1_19radix_merge_compareILb0ELb0EdNS0_19identity_decomposerEEEEE10hipError_tT0_T1_T2_jT3_P12ihipStream_tbPNSt15iterator_traitsISI_E10value_typeEPNSO_ISJ_E10value_typeEPSK_NS1_7vsmem_tEENKUlT_SI_SJ_SK_E_clIPdSD_S10_SD_EESH_SX_SI_SJ_SK_EUlSX_E0_NS1_11comp_targetILNS1_3genE4ELNS1_11target_archE910ELNS1_3gpuE8ELNS1_3repE0EEENS1_38merge_mergepath_config_static_selectorELNS0_4arch9wavefront6targetE1EEEvSJ_.kd
    .uniform_work_group_size: 1
    .uses_dynamic_stack: false
    .vgpr_count:     0
    .vgpr_spill_count: 0
    .wavefront_size: 64
  - .agpr_count:     0
    .args:
      - .offset:         0
        .size:           64
        .value_kind:     by_value
    .group_segment_fixed_size: 0
    .kernarg_segment_align: 8
    .kernarg_segment_size: 64
    .language:       OpenCL C
    .language_version:
      - 2
      - 0
    .max_flat_workgroup_size: 1024
    .name:           _ZN7rocprim17ROCPRIM_400000_NS6detail17trampoline_kernelINS0_14default_configENS1_38merge_sort_block_merge_config_selectorIddEEZZNS1_27merge_sort_block_merge_implIS3_N6thrust23THRUST_200600_302600_NS6detail15normal_iteratorINS8_10device_ptrIdEEEESD_jNS1_19radix_merge_compareILb0ELb0EdNS0_19identity_decomposerEEEEE10hipError_tT0_T1_T2_jT3_P12ihipStream_tbPNSt15iterator_traitsISI_E10value_typeEPNSO_ISJ_E10value_typeEPSK_NS1_7vsmem_tEENKUlT_SI_SJ_SK_E_clIPdSD_S10_SD_EESH_SX_SI_SJ_SK_EUlSX_E0_NS1_11comp_targetILNS1_3genE3ELNS1_11target_archE908ELNS1_3gpuE7ELNS1_3repE0EEENS1_38merge_mergepath_config_static_selectorELNS0_4arch9wavefront6targetE1EEEvSJ_
    .private_segment_fixed_size: 0
    .sgpr_count:     6
    .sgpr_spill_count: 0
    .symbol:         _ZN7rocprim17ROCPRIM_400000_NS6detail17trampoline_kernelINS0_14default_configENS1_38merge_sort_block_merge_config_selectorIddEEZZNS1_27merge_sort_block_merge_implIS3_N6thrust23THRUST_200600_302600_NS6detail15normal_iteratorINS8_10device_ptrIdEEEESD_jNS1_19radix_merge_compareILb0ELb0EdNS0_19identity_decomposerEEEEE10hipError_tT0_T1_T2_jT3_P12ihipStream_tbPNSt15iterator_traitsISI_E10value_typeEPNSO_ISJ_E10value_typeEPSK_NS1_7vsmem_tEENKUlT_SI_SJ_SK_E_clIPdSD_S10_SD_EESH_SX_SI_SJ_SK_EUlSX_E0_NS1_11comp_targetILNS1_3genE3ELNS1_11target_archE908ELNS1_3gpuE7ELNS1_3repE0EEENS1_38merge_mergepath_config_static_selectorELNS0_4arch9wavefront6targetE1EEEvSJ_.kd
    .uniform_work_group_size: 1
    .uses_dynamic_stack: false
    .vgpr_count:     0
    .vgpr_spill_count: 0
    .wavefront_size: 64
  - .agpr_count:     0
    .args:
      - .offset:         0
        .size:           64
        .value_kind:     by_value
    .group_segment_fixed_size: 0
    .kernarg_segment_align: 8
    .kernarg_segment_size: 64
    .language:       OpenCL C
    .language_version:
      - 2
      - 0
    .max_flat_workgroup_size: 256
    .name:           _ZN7rocprim17ROCPRIM_400000_NS6detail17trampoline_kernelINS0_14default_configENS1_38merge_sort_block_merge_config_selectorIddEEZZNS1_27merge_sort_block_merge_implIS3_N6thrust23THRUST_200600_302600_NS6detail15normal_iteratorINS8_10device_ptrIdEEEESD_jNS1_19radix_merge_compareILb0ELb0EdNS0_19identity_decomposerEEEEE10hipError_tT0_T1_T2_jT3_P12ihipStream_tbPNSt15iterator_traitsISI_E10value_typeEPNSO_ISJ_E10value_typeEPSK_NS1_7vsmem_tEENKUlT_SI_SJ_SK_E_clIPdSD_S10_SD_EESH_SX_SI_SJ_SK_EUlSX_E0_NS1_11comp_targetILNS1_3genE2ELNS1_11target_archE906ELNS1_3gpuE6ELNS1_3repE0EEENS1_38merge_mergepath_config_static_selectorELNS0_4arch9wavefront6targetE1EEEvSJ_
    .private_segment_fixed_size: 0
    .sgpr_count:     6
    .sgpr_spill_count: 0
    .symbol:         _ZN7rocprim17ROCPRIM_400000_NS6detail17trampoline_kernelINS0_14default_configENS1_38merge_sort_block_merge_config_selectorIddEEZZNS1_27merge_sort_block_merge_implIS3_N6thrust23THRUST_200600_302600_NS6detail15normal_iteratorINS8_10device_ptrIdEEEESD_jNS1_19radix_merge_compareILb0ELb0EdNS0_19identity_decomposerEEEEE10hipError_tT0_T1_T2_jT3_P12ihipStream_tbPNSt15iterator_traitsISI_E10value_typeEPNSO_ISJ_E10value_typeEPSK_NS1_7vsmem_tEENKUlT_SI_SJ_SK_E_clIPdSD_S10_SD_EESH_SX_SI_SJ_SK_EUlSX_E0_NS1_11comp_targetILNS1_3genE2ELNS1_11target_archE906ELNS1_3gpuE6ELNS1_3repE0EEENS1_38merge_mergepath_config_static_selectorELNS0_4arch9wavefront6targetE1EEEvSJ_.kd
    .uniform_work_group_size: 1
    .uses_dynamic_stack: false
    .vgpr_count:     0
    .vgpr_spill_count: 0
    .wavefront_size: 64
  - .agpr_count:     0
    .args:
      - .offset:         0
        .size:           64
        .value_kind:     by_value
    .group_segment_fixed_size: 0
    .kernarg_segment_align: 8
    .kernarg_segment_size: 64
    .language:       OpenCL C
    .language_version:
      - 2
      - 0
    .max_flat_workgroup_size: 1024
    .name:           _ZN7rocprim17ROCPRIM_400000_NS6detail17trampoline_kernelINS0_14default_configENS1_38merge_sort_block_merge_config_selectorIddEEZZNS1_27merge_sort_block_merge_implIS3_N6thrust23THRUST_200600_302600_NS6detail15normal_iteratorINS8_10device_ptrIdEEEESD_jNS1_19radix_merge_compareILb0ELb0EdNS0_19identity_decomposerEEEEE10hipError_tT0_T1_T2_jT3_P12ihipStream_tbPNSt15iterator_traitsISI_E10value_typeEPNSO_ISJ_E10value_typeEPSK_NS1_7vsmem_tEENKUlT_SI_SJ_SK_E_clIPdSD_S10_SD_EESH_SX_SI_SJ_SK_EUlSX_E0_NS1_11comp_targetILNS1_3genE9ELNS1_11target_archE1100ELNS1_3gpuE3ELNS1_3repE0EEENS1_38merge_mergepath_config_static_selectorELNS0_4arch9wavefront6targetE1EEEvSJ_
    .private_segment_fixed_size: 0
    .sgpr_count:     6
    .sgpr_spill_count: 0
    .symbol:         _ZN7rocprim17ROCPRIM_400000_NS6detail17trampoline_kernelINS0_14default_configENS1_38merge_sort_block_merge_config_selectorIddEEZZNS1_27merge_sort_block_merge_implIS3_N6thrust23THRUST_200600_302600_NS6detail15normal_iteratorINS8_10device_ptrIdEEEESD_jNS1_19radix_merge_compareILb0ELb0EdNS0_19identity_decomposerEEEEE10hipError_tT0_T1_T2_jT3_P12ihipStream_tbPNSt15iterator_traitsISI_E10value_typeEPNSO_ISJ_E10value_typeEPSK_NS1_7vsmem_tEENKUlT_SI_SJ_SK_E_clIPdSD_S10_SD_EESH_SX_SI_SJ_SK_EUlSX_E0_NS1_11comp_targetILNS1_3genE9ELNS1_11target_archE1100ELNS1_3gpuE3ELNS1_3repE0EEENS1_38merge_mergepath_config_static_selectorELNS0_4arch9wavefront6targetE1EEEvSJ_.kd
    .uniform_work_group_size: 1
    .uses_dynamic_stack: false
    .vgpr_count:     0
    .vgpr_spill_count: 0
    .wavefront_size: 64
  - .agpr_count:     0
    .args:
      - .offset:         0
        .size:           64
        .value_kind:     by_value
    .group_segment_fixed_size: 0
    .kernarg_segment_align: 8
    .kernarg_segment_size: 64
    .language:       OpenCL C
    .language_version:
      - 2
      - 0
    .max_flat_workgroup_size: 1024
    .name:           _ZN7rocprim17ROCPRIM_400000_NS6detail17trampoline_kernelINS0_14default_configENS1_38merge_sort_block_merge_config_selectorIddEEZZNS1_27merge_sort_block_merge_implIS3_N6thrust23THRUST_200600_302600_NS6detail15normal_iteratorINS8_10device_ptrIdEEEESD_jNS1_19radix_merge_compareILb0ELb0EdNS0_19identity_decomposerEEEEE10hipError_tT0_T1_T2_jT3_P12ihipStream_tbPNSt15iterator_traitsISI_E10value_typeEPNSO_ISJ_E10value_typeEPSK_NS1_7vsmem_tEENKUlT_SI_SJ_SK_E_clIPdSD_S10_SD_EESH_SX_SI_SJ_SK_EUlSX_E0_NS1_11comp_targetILNS1_3genE8ELNS1_11target_archE1030ELNS1_3gpuE2ELNS1_3repE0EEENS1_38merge_mergepath_config_static_selectorELNS0_4arch9wavefront6targetE1EEEvSJ_
    .private_segment_fixed_size: 0
    .sgpr_count:     6
    .sgpr_spill_count: 0
    .symbol:         _ZN7rocprim17ROCPRIM_400000_NS6detail17trampoline_kernelINS0_14default_configENS1_38merge_sort_block_merge_config_selectorIddEEZZNS1_27merge_sort_block_merge_implIS3_N6thrust23THRUST_200600_302600_NS6detail15normal_iteratorINS8_10device_ptrIdEEEESD_jNS1_19radix_merge_compareILb0ELb0EdNS0_19identity_decomposerEEEEE10hipError_tT0_T1_T2_jT3_P12ihipStream_tbPNSt15iterator_traitsISI_E10value_typeEPNSO_ISJ_E10value_typeEPSK_NS1_7vsmem_tEENKUlT_SI_SJ_SK_E_clIPdSD_S10_SD_EESH_SX_SI_SJ_SK_EUlSX_E0_NS1_11comp_targetILNS1_3genE8ELNS1_11target_archE1030ELNS1_3gpuE2ELNS1_3repE0EEENS1_38merge_mergepath_config_static_selectorELNS0_4arch9wavefront6targetE1EEEvSJ_.kd
    .uniform_work_group_size: 1
    .uses_dynamic_stack: false
    .vgpr_count:     0
    .vgpr_spill_count: 0
    .wavefront_size: 64
  - .agpr_count:     0
    .args:
      - .offset:         0
        .size:           48
        .value_kind:     by_value
    .group_segment_fixed_size: 0
    .kernarg_segment_align: 8
    .kernarg_segment_size: 48
    .language:       OpenCL C
    .language_version:
      - 2
      - 0
    .max_flat_workgroup_size: 256
    .name:           _ZN7rocprim17ROCPRIM_400000_NS6detail17trampoline_kernelINS0_14default_configENS1_38merge_sort_block_merge_config_selectorIddEEZZNS1_27merge_sort_block_merge_implIS3_N6thrust23THRUST_200600_302600_NS6detail15normal_iteratorINS8_10device_ptrIdEEEESD_jNS1_19radix_merge_compareILb0ELb0EdNS0_19identity_decomposerEEEEE10hipError_tT0_T1_T2_jT3_P12ihipStream_tbPNSt15iterator_traitsISI_E10value_typeEPNSO_ISJ_E10value_typeEPSK_NS1_7vsmem_tEENKUlT_SI_SJ_SK_E_clIPdSD_S10_SD_EESH_SX_SI_SJ_SK_EUlSX_E1_NS1_11comp_targetILNS1_3genE0ELNS1_11target_archE4294967295ELNS1_3gpuE0ELNS1_3repE0EEENS1_36merge_oddeven_config_static_selectorELNS0_4arch9wavefront6targetE1EEEvSJ_
    .private_segment_fixed_size: 0
    .sgpr_count:     30
    .sgpr_spill_count: 0
    .symbol:         _ZN7rocprim17ROCPRIM_400000_NS6detail17trampoline_kernelINS0_14default_configENS1_38merge_sort_block_merge_config_selectorIddEEZZNS1_27merge_sort_block_merge_implIS3_N6thrust23THRUST_200600_302600_NS6detail15normal_iteratorINS8_10device_ptrIdEEEESD_jNS1_19radix_merge_compareILb0ELb0EdNS0_19identity_decomposerEEEEE10hipError_tT0_T1_T2_jT3_P12ihipStream_tbPNSt15iterator_traitsISI_E10value_typeEPNSO_ISJ_E10value_typeEPSK_NS1_7vsmem_tEENKUlT_SI_SJ_SK_E_clIPdSD_S10_SD_EESH_SX_SI_SJ_SK_EUlSX_E1_NS1_11comp_targetILNS1_3genE0ELNS1_11target_archE4294967295ELNS1_3gpuE0ELNS1_3repE0EEENS1_36merge_oddeven_config_static_selectorELNS0_4arch9wavefront6targetE1EEEvSJ_.kd
    .uniform_work_group_size: 1
    .uses_dynamic_stack: false
    .vgpr_count:     16
    .vgpr_spill_count: 0
    .wavefront_size: 64
  - .agpr_count:     0
    .args:
      - .offset:         0
        .size:           48
        .value_kind:     by_value
    .group_segment_fixed_size: 0
    .kernarg_segment_align: 8
    .kernarg_segment_size: 48
    .language:       OpenCL C
    .language_version:
      - 2
      - 0
    .max_flat_workgroup_size: 256
    .name:           _ZN7rocprim17ROCPRIM_400000_NS6detail17trampoline_kernelINS0_14default_configENS1_38merge_sort_block_merge_config_selectorIddEEZZNS1_27merge_sort_block_merge_implIS3_N6thrust23THRUST_200600_302600_NS6detail15normal_iteratorINS8_10device_ptrIdEEEESD_jNS1_19radix_merge_compareILb0ELb0EdNS0_19identity_decomposerEEEEE10hipError_tT0_T1_T2_jT3_P12ihipStream_tbPNSt15iterator_traitsISI_E10value_typeEPNSO_ISJ_E10value_typeEPSK_NS1_7vsmem_tEENKUlT_SI_SJ_SK_E_clIPdSD_S10_SD_EESH_SX_SI_SJ_SK_EUlSX_E1_NS1_11comp_targetILNS1_3genE10ELNS1_11target_archE1201ELNS1_3gpuE5ELNS1_3repE0EEENS1_36merge_oddeven_config_static_selectorELNS0_4arch9wavefront6targetE1EEEvSJ_
    .private_segment_fixed_size: 0
    .sgpr_count:     6
    .sgpr_spill_count: 0
    .symbol:         _ZN7rocprim17ROCPRIM_400000_NS6detail17trampoline_kernelINS0_14default_configENS1_38merge_sort_block_merge_config_selectorIddEEZZNS1_27merge_sort_block_merge_implIS3_N6thrust23THRUST_200600_302600_NS6detail15normal_iteratorINS8_10device_ptrIdEEEESD_jNS1_19radix_merge_compareILb0ELb0EdNS0_19identity_decomposerEEEEE10hipError_tT0_T1_T2_jT3_P12ihipStream_tbPNSt15iterator_traitsISI_E10value_typeEPNSO_ISJ_E10value_typeEPSK_NS1_7vsmem_tEENKUlT_SI_SJ_SK_E_clIPdSD_S10_SD_EESH_SX_SI_SJ_SK_EUlSX_E1_NS1_11comp_targetILNS1_3genE10ELNS1_11target_archE1201ELNS1_3gpuE5ELNS1_3repE0EEENS1_36merge_oddeven_config_static_selectorELNS0_4arch9wavefront6targetE1EEEvSJ_.kd
    .uniform_work_group_size: 1
    .uses_dynamic_stack: false
    .vgpr_count:     0
    .vgpr_spill_count: 0
    .wavefront_size: 64
  - .agpr_count:     0
    .args:
      - .offset:         0
        .size:           48
        .value_kind:     by_value
    .group_segment_fixed_size: 0
    .kernarg_segment_align: 8
    .kernarg_segment_size: 48
    .language:       OpenCL C
    .language_version:
      - 2
      - 0
    .max_flat_workgroup_size: 256
    .name:           _ZN7rocprim17ROCPRIM_400000_NS6detail17trampoline_kernelINS0_14default_configENS1_38merge_sort_block_merge_config_selectorIddEEZZNS1_27merge_sort_block_merge_implIS3_N6thrust23THRUST_200600_302600_NS6detail15normal_iteratorINS8_10device_ptrIdEEEESD_jNS1_19radix_merge_compareILb0ELb0EdNS0_19identity_decomposerEEEEE10hipError_tT0_T1_T2_jT3_P12ihipStream_tbPNSt15iterator_traitsISI_E10value_typeEPNSO_ISJ_E10value_typeEPSK_NS1_7vsmem_tEENKUlT_SI_SJ_SK_E_clIPdSD_S10_SD_EESH_SX_SI_SJ_SK_EUlSX_E1_NS1_11comp_targetILNS1_3genE5ELNS1_11target_archE942ELNS1_3gpuE9ELNS1_3repE0EEENS1_36merge_oddeven_config_static_selectorELNS0_4arch9wavefront6targetE1EEEvSJ_
    .private_segment_fixed_size: 0
    .sgpr_count:     6
    .sgpr_spill_count: 0
    .symbol:         _ZN7rocprim17ROCPRIM_400000_NS6detail17trampoline_kernelINS0_14default_configENS1_38merge_sort_block_merge_config_selectorIddEEZZNS1_27merge_sort_block_merge_implIS3_N6thrust23THRUST_200600_302600_NS6detail15normal_iteratorINS8_10device_ptrIdEEEESD_jNS1_19radix_merge_compareILb0ELb0EdNS0_19identity_decomposerEEEEE10hipError_tT0_T1_T2_jT3_P12ihipStream_tbPNSt15iterator_traitsISI_E10value_typeEPNSO_ISJ_E10value_typeEPSK_NS1_7vsmem_tEENKUlT_SI_SJ_SK_E_clIPdSD_S10_SD_EESH_SX_SI_SJ_SK_EUlSX_E1_NS1_11comp_targetILNS1_3genE5ELNS1_11target_archE942ELNS1_3gpuE9ELNS1_3repE0EEENS1_36merge_oddeven_config_static_selectorELNS0_4arch9wavefront6targetE1EEEvSJ_.kd
    .uniform_work_group_size: 1
    .uses_dynamic_stack: false
    .vgpr_count:     0
    .vgpr_spill_count: 0
    .wavefront_size: 64
  - .agpr_count:     0
    .args:
      - .offset:         0
        .size:           48
        .value_kind:     by_value
    .group_segment_fixed_size: 0
    .kernarg_segment_align: 8
    .kernarg_segment_size: 48
    .language:       OpenCL C
    .language_version:
      - 2
      - 0
    .max_flat_workgroup_size: 256
    .name:           _ZN7rocprim17ROCPRIM_400000_NS6detail17trampoline_kernelINS0_14default_configENS1_38merge_sort_block_merge_config_selectorIddEEZZNS1_27merge_sort_block_merge_implIS3_N6thrust23THRUST_200600_302600_NS6detail15normal_iteratorINS8_10device_ptrIdEEEESD_jNS1_19radix_merge_compareILb0ELb0EdNS0_19identity_decomposerEEEEE10hipError_tT0_T1_T2_jT3_P12ihipStream_tbPNSt15iterator_traitsISI_E10value_typeEPNSO_ISJ_E10value_typeEPSK_NS1_7vsmem_tEENKUlT_SI_SJ_SK_E_clIPdSD_S10_SD_EESH_SX_SI_SJ_SK_EUlSX_E1_NS1_11comp_targetILNS1_3genE4ELNS1_11target_archE910ELNS1_3gpuE8ELNS1_3repE0EEENS1_36merge_oddeven_config_static_selectorELNS0_4arch9wavefront6targetE1EEEvSJ_
    .private_segment_fixed_size: 0
    .sgpr_count:     6
    .sgpr_spill_count: 0
    .symbol:         _ZN7rocprim17ROCPRIM_400000_NS6detail17trampoline_kernelINS0_14default_configENS1_38merge_sort_block_merge_config_selectorIddEEZZNS1_27merge_sort_block_merge_implIS3_N6thrust23THRUST_200600_302600_NS6detail15normal_iteratorINS8_10device_ptrIdEEEESD_jNS1_19radix_merge_compareILb0ELb0EdNS0_19identity_decomposerEEEEE10hipError_tT0_T1_T2_jT3_P12ihipStream_tbPNSt15iterator_traitsISI_E10value_typeEPNSO_ISJ_E10value_typeEPSK_NS1_7vsmem_tEENKUlT_SI_SJ_SK_E_clIPdSD_S10_SD_EESH_SX_SI_SJ_SK_EUlSX_E1_NS1_11comp_targetILNS1_3genE4ELNS1_11target_archE910ELNS1_3gpuE8ELNS1_3repE0EEENS1_36merge_oddeven_config_static_selectorELNS0_4arch9wavefront6targetE1EEEvSJ_.kd
    .uniform_work_group_size: 1
    .uses_dynamic_stack: false
    .vgpr_count:     0
    .vgpr_spill_count: 0
    .wavefront_size: 64
  - .agpr_count:     0
    .args:
      - .offset:         0
        .size:           48
        .value_kind:     by_value
    .group_segment_fixed_size: 0
    .kernarg_segment_align: 8
    .kernarg_segment_size: 48
    .language:       OpenCL C
    .language_version:
      - 2
      - 0
    .max_flat_workgroup_size: 256
    .name:           _ZN7rocprim17ROCPRIM_400000_NS6detail17trampoline_kernelINS0_14default_configENS1_38merge_sort_block_merge_config_selectorIddEEZZNS1_27merge_sort_block_merge_implIS3_N6thrust23THRUST_200600_302600_NS6detail15normal_iteratorINS8_10device_ptrIdEEEESD_jNS1_19radix_merge_compareILb0ELb0EdNS0_19identity_decomposerEEEEE10hipError_tT0_T1_T2_jT3_P12ihipStream_tbPNSt15iterator_traitsISI_E10value_typeEPNSO_ISJ_E10value_typeEPSK_NS1_7vsmem_tEENKUlT_SI_SJ_SK_E_clIPdSD_S10_SD_EESH_SX_SI_SJ_SK_EUlSX_E1_NS1_11comp_targetILNS1_3genE3ELNS1_11target_archE908ELNS1_3gpuE7ELNS1_3repE0EEENS1_36merge_oddeven_config_static_selectorELNS0_4arch9wavefront6targetE1EEEvSJ_
    .private_segment_fixed_size: 0
    .sgpr_count:     6
    .sgpr_spill_count: 0
    .symbol:         _ZN7rocprim17ROCPRIM_400000_NS6detail17trampoline_kernelINS0_14default_configENS1_38merge_sort_block_merge_config_selectorIddEEZZNS1_27merge_sort_block_merge_implIS3_N6thrust23THRUST_200600_302600_NS6detail15normal_iteratorINS8_10device_ptrIdEEEESD_jNS1_19radix_merge_compareILb0ELb0EdNS0_19identity_decomposerEEEEE10hipError_tT0_T1_T2_jT3_P12ihipStream_tbPNSt15iterator_traitsISI_E10value_typeEPNSO_ISJ_E10value_typeEPSK_NS1_7vsmem_tEENKUlT_SI_SJ_SK_E_clIPdSD_S10_SD_EESH_SX_SI_SJ_SK_EUlSX_E1_NS1_11comp_targetILNS1_3genE3ELNS1_11target_archE908ELNS1_3gpuE7ELNS1_3repE0EEENS1_36merge_oddeven_config_static_selectorELNS0_4arch9wavefront6targetE1EEEvSJ_.kd
    .uniform_work_group_size: 1
    .uses_dynamic_stack: false
    .vgpr_count:     0
    .vgpr_spill_count: 0
    .wavefront_size: 64
  - .agpr_count:     0
    .args:
      - .offset:         0
        .size:           48
        .value_kind:     by_value
    .group_segment_fixed_size: 0
    .kernarg_segment_align: 8
    .kernarg_segment_size: 48
    .language:       OpenCL C
    .language_version:
      - 2
      - 0
    .max_flat_workgroup_size: 256
    .name:           _ZN7rocprim17ROCPRIM_400000_NS6detail17trampoline_kernelINS0_14default_configENS1_38merge_sort_block_merge_config_selectorIddEEZZNS1_27merge_sort_block_merge_implIS3_N6thrust23THRUST_200600_302600_NS6detail15normal_iteratorINS8_10device_ptrIdEEEESD_jNS1_19radix_merge_compareILb0ELb0EdNS0_19identity_decomposerEEEEE10hipError_tT0_T1_T2_jT3_P12ihipStream_tbPNSt15iterator_traitsISI_E10value_typeEPNSO_ISJ_E10value_typeEPSK_NS1_7vsmem_tEENKUlT_SI_SJ_SK_E_clIPdSD_S10_SD_EESH_SX_SI_SJ_SK_EUlSX_E1_NS1_11comp_targetILNS1_3genE2ELNS1_11target_archE906ELNS1_3gpuE6ELNS1_3repE0EEENS1_36merge_oddeven_config_static_selectorELNS0_4arch9wavefront6targetE1EEEvSJ_
    .private_segment_fixed_size: 0
    .sgpr_count:     6
    .sgpr_spill_count: 0
    .symbol:         _ZN7rocprim17ROCPRIM_400000_NS6detail17trampoline_kernelINS0_14default_configENS1_38merge_sort_block_merge_config_selectorIddEEZZNS1_27merge_sort_block_merge_implIS3_N6thrust23THRUST_200600_302600_NS6detail15normal_iteratorINS8_10device_ptrIdEEEESD_jNS1_19radix_merge_compareILb0ELb0EdNS0_19identity_decomposerEEEEE10hipError_tT0_T1_T2_jT3_P12ihipStream_tbPNSt15iterator_traitsISI_E10value_typeEPNSO_ISJ_E10value_typeEPSK_NS1_7vsmem_tEENKUlT_SI_SJ_SK_E_clIPdSD_S10_SD_EESH_SX_SI_SJ_SK_EUlSX_E1_NS1_11comp_targetILNS1_3genE2ELNS1_11target_archE906ELNS1_3gpuE6ELNS1_3repE0EEENS1_36merge_oddeven_config_static_selectorELNS0_4arch9wavefront6targetE1EEEvSJ_.kd
    .uniform_work_group_size: 1
    .uses_dynamic_stack: false
    .vgpr_count:     0
    .vgpr_spill_count: 0
    .wavefront_size: 64
  - .agpr_count:     0
    .args:
      - .offset:         0
        .size:           48
        .value_kind:     by_value
    .group_segment_fixed_size: 0
    .kernarg_segment_align: 8
    .kernarg_segment_size: 48
    .language:       OpenCL C
    .language_version:
      - 2
      - 0
    .max_flat_workgroup_size: 256
    .name:           _ZN7rocprim17ROCPRIM_400000_NS6detail17trampoline_kernelINS0_14default_configENS1_38merge_sort_block_merge_config_selectorIddEEZZNS1_27merge_sort_block_merge_implIS3_N6thrust23THRUST_200600_302600_NS6detail15normal_iteratorINS8_10device_ptrIdEEEESD_jNS1_19radix_merge_compareILb0ELb0EdNS0_19identity_decomposerEEEEE10hipError_tT0_T1_T2_jT3_P12ihipStream_tbPNSt15iterator_traitsISI_E10value_typeEPNSO_ISJ_E10value_typeEPSK_NS1_7vsmem_tEENKUlT_SI_SJ_SK_E_clIPdSD_S10_SD_EESH_SX_SI_SJ_SK_EUlSX_E1_NS1_11comp_targetILNS1_3genE9ELNS1_11target_archE1100ELNS1_3gpuE3ELNS1_3repE0EEENS1_36merge_oddeven_config_static_selectorELNS0_4arch9wavefront6targetE1EEEvSJ_
    .private_segment_fixed_size: 0
    .sgpr_count:     6
    .sgpr_spill_count: 0
    .symbol:         _ZN7rocprim17ROCPRIM_400000_NS6detail17trampoline_kernelINS0_14default_configENS1_38merge_sort_block_merge_config_selectorIddEEZZNS1_27merge_sort_block_merge_implIS3_N6thrust23THRUST_200600_302600_NS6detail15normal_iteratorINS8_10device_ptrIdEEEESD_jNS1_19radix_merge_compareILb0ELb0EdNS0_19identity_decomposerEEEEE10hipError_tT0_T1_T2_jT3_P12ihipStream_tbPNSt15iterator_traitsISI_E10value_typeEPNSO_ISJ_E10value_typeEPSK_NS1_7vsmem_tEENKUlT_SI_SJ_SK_E_clIPdSD_S10_SD_EESH_SX_SI_SJ_SK_EUlSX_E1_NS1_11comp_targetILNS1_3genE9ELNS1_11target_archE1100ELNS1_3gpuE3ELNS1_3repE0EEENS1_36merge_oddeven_config_static_selectorELNS0_4arch9wavefront6targetE1EEEvSJ_.kd
    .uniform_work_group_size: 1
    .uses_dynamic_stack: false
    .vgpr_count:     0
    .vgpr_spill_count: 0
    .wavefront_size: 64
  - .agpr_count:     0
    .args:
      - .offset:         0
        .size:           48
        .value_kind:     by_value
    .group_segment_fixed_size: 0
    .kernarg_segment_align: 8
    .kernarg_segment_size: 48
    .language:       OpenCL C
    .language_version:
      - 2
      - 0
    .max_flat_workgroup_size: 256
    .name:           _ZN7rocprim17ROCPRIM_400000_NS6detail17trampoline_kernelINS0_14default_configENS1_38merge_sort_block_merge_config_selectorIddEEZZNS1_27merge_sort_block_merge_implIS3_N6thrust23THRUST_200600_302600_NS6detail15normal_iteratorINS8_10device_ptrIdEEEESD_jNS1_19radix_merge_compareILb0ELb0EdNS0_19identity_decomposerEEEEE10hipError_tT0_T1_T2_jT3_P12ihipStream_tbPNSt15iterator_traitsISI_E10value_typeEPNSO_ISJ_E10value_typeEPSK_NS1_7vsmem_tEENKUlT_SI_SJ_SK_E_clIPdSD_S10_SD_EESH_SX_SI_SJ_SK_EUlSX_E1_NS1_11comp_targetILNS1_3genE8ELNS1_11target_archE1030ELNS1_3gpuE2ELNS1_3repE0EEENS1_36merge_oddeven_config_static_selectorELNS0_4arch9wavefront6targetE1EEEvSJ_
    .private_segment_fixed_size: 0
    .sgpr_count:     6
    .sgpr_spill_count: 0
    .symbol:         _ZN7rocprim17ROCPRIM_400000_NS6detail17trampoline_kernelINS0_14default_configENS1_38merge_sort_block_merge_config_selectorIddEEZZNS1_27merge_sort_block_merge_implIS3_N6thrust23THRUST_200600_302600_NS6detail15normal_iteratorINS8_10device_ptrIdEEEESD_jNS1_19radix_merge_compareILb0ELb0EdNS0_19identity_decomposerEEEEE10hipError_tT0_T1_T2_jT3_P12ihipStream_tbPNSt15iterator_traitsISI_E10value_typeEPNSO_ISJ_E10value_typeEPSK_NS1_7vsmem_tEENKUlT_SI_SJ_SK_E_clIPdSD_S10_SD_EESH_SX_SI_SJ_SK_EUlSX_E1_NS1_11comp_targetILNS1_3genE8ELNS1_11target_archE1030ELNS1_3gpuE2ELNS1_3repE0EEENS1_36merge_oddeven_config_static_selectorELNS0_4arch9wavefront6targetE1EEEvSJ_.kd
    .uniform_work_group_size: 1
    .uses_dynamic_stack: false
    .vgpr_count:     0
    .vgpr_spill_count: 0
    .wavefront_size: 64
  - .agpr_count:     0
    .args:
      - .offset:         0
        .size:           40
        .value_kind:     by_value
    .group_segment_fixed_size: 0
    .kernarg_segment_align: 8
    .kernarg_segment_size: 40
    .language:       OpenCL C
    .language_version:
      - 2
      - 0
    .max_flat_workgroup_size: 128
    .name:           _ZN7rocprim17ROCPRIM_400000_NS6detail17trampoline_kernelINS0_14default_configENS1_38merge_sort_block_merge_config_selectorIddEEZZNS1_27merge_sort_block_merge_implIS3_N6thrust23THRUST_200600_302600_NS6detail15normal_iteratorINS8_10device_ptrIdEEEESD_jNS1_19radix_merge_compareILb0ELb0EdNS0_19identity_decomposerEEEEE10hipError_tT0_T1_T2_jT3_P12ihipStream_tbPNSt15iterator_traitsISI_E10value_typeEPNSO_ISJ_E10value_typeEPSK_NS1_7vsmem_tEENKUlT_SI_SJ_SK_E_clISD_PdSD_S10_EESH_SX_SI_SJ_SK_EUlSX_E_NS1_11comp_targetILNS1_3genE0ELNS1_11target_archE4294967295ELNS1_3gpuE0ELNS1_3repE0EEENS1_48merge_mergepath_partition_config_static_selectorELNS0_4arch9wavefront6targetE1EEEvSJ_
    .private_segment_fixed_size: 0
    .sgpr_count:     14
    .sgpr_spill_count: 0
    .symbol:         _ZN7rocprim17ROCPRIM_400000_NS6detail17trampoline_kernelINS0_14default_configENS1_38merge_sort_block_merge_config_selectorIddEEZZNS1_27merge_sort_block_merge_implIS3_N6thrust23THRUST_200600_302600_NS6detail15normal_iteratorINS8_10device_ptrIdEEEESD_jNS1_19radix_merge_compareILb0ELb0EdNS0_19identity_decomposerEEEEE10hipError_tT0_T1_T2_jT3_P12ihipStream_tbPNSt15iterator_traitsISI_E10value_typeEPNSO_ISJ_E10value_typeEPSK_NS1_7vsmem_tEENKUlT_SI_SJ_SK_E_clISD_PdSD_S10_EESH_SX_SI_SJ_SK_EUlSX_E_NS1_11comp_targetILNS1_3genE0ELNS1_11target_archE4294967295ELNS1_3gpuE0ELNS1_3repE0EEENS1_48merge_mergepath_partition_config_static_selectorELNS0_4arch9wavefront6targetE1EEEvSJ_.kd
    .uniform_work_group_size: 1
    .uses_dynamic_stack: false
    .vgpr_count:     20
    .vgpr_spill_count: 0
    .wavefront_size: 64
  - .agpr_count:     0
    .args:
      - .offset:         0
        .size:           40
        .value_kind:     by_value
    .group_segment_fixed_size: 0
    .kernarg_segment_align: 8
    .kernarg_segment_size: 40
    .language:       OpenCL C
    .language_version:
      - 2
      - 0
    .max_flat_workgroup_size: 128
    .name:           _ZN7rocprim17ROCPRIM_400000_NS6detail17trampoline_kernelINS0_14default_configENS1_38merge_sort_block_merge_config_selectorIddEEZZNS1_27merge_sort_block_merge_implIS3_N6thrust23THRUST_200600_302600_NS6detail15normal_iteratorINS8_10device_ptrIdEEEESD_jNS1_19radix_merge_compareILb0ELb0EdNS0_19identity_decomposerEEEEE10hipError_tT0_T1_T2_jT3_P12ihipStream_tbPNSt15iterator_traitsISI_E10value_typeEPNSO_ISJ_E10value_typeEPSK_NS1_7vsmem_tEENKUlT_SI_SJ_SK_E_clISD_PdSD_S10_EESH_SX_SI_SJ_SK_EUlSX_E_NS1_11comp_targetILNS1_3genE10ELNS1_11target_archE1201ELNS1_3gpuE5ELNS1_3repE0EEENS1_48merge_mergepath_partition_config_static_selectorELNS0_4arch9wavefront6targetE1EEEvSJ_
    .private_segment_fixed_size: 0
    .sgpr_count:     6
    .sgpr_spill_count: 0
    .symbol:         _ZN7rocprim17ROCPRIM_400000_NS6detail17trampoline_kernelINS0_14default_configENS1_38merge_sort_block_merge_config_selectorIddEEZZNS1_27merge_sort_block_merge_implIS3_N6thrust23THRUST_200600_302600_NS6detail15normal_iteratorINS8_10device_ptrIdEEEESD_jNS1_19radix_merge_compareILb0ELb0EdNS0_19identity_decomposerEEEEE10hipError_tT0_T1_T2_jT3_P12ihipStream_tbPNSt15iterator_traitsISI_E10value_typeEPNSO_ISJ_E10value_typeEPSK_NS1_7vsmem_tEENKUlT_SI_SJ_SK_E_clISD_PdSD_S10_EESH_SX_SI_SJ_SK_EUlSX_E_NS1_11comp_targetILNS1_3genE10ELNS1_11target_archE1201ELNS1_3gpuE5ELNS1_3repE0EEENS1_48merge_mergepath_partition_config_static_selectorELNS0_4arch9wavefront6targetE1EEEvSJ_.kd
    .uniform_work_group_size: 1
    .uses_dynamic_stack: false
    .vgpr_count:     0
    .vgpr_spill_count: 0
    .wavefront_size: 64
  - .agpr_count:     0
    .args:
      - .offset:         0
        .size:           40
        .value_kind:     by_value
    .group_segment_fixed_size: 0
    .kernarg_segment_align: 8
    .kernarg_segment_size: 40
    .language:       OpenCL C
    .language_version:
      - 2
      - 0
    .max_flat_workgroup_size: 128
    .name:           _ZN7rocprim17ROCPRIM_400000_NS6detail17trampoline_kernelINS0_14default_configENS1_38merge_sort_block_merge_config_selectorIddEEZZNS1_27merge_sort_block_merge_implIS3_N6thrust23THRUST_200600_302600_NS6detail15normal_iteratorINS8_10device_ptrIdEEEESD_jNS1_19radix_merge_compareILb0ELb0EdNS0_19identity_decomposerEEEEE10hipError_tT0_T1_T2_jT3_P12ihipStream_tbPNSt15iterator_traitsISI_E10value_typeEPNSO_ISJ_E10value_typeEPSK_NS1_7vsmem_tEENKUlT_SI_SJ_SK_E_clISD_PdSD_S10_EESH_SX_SI_SJ_SK_EUlSX_E_NS1_11comp_targetILNS1_3genE5ELNS1_11target_archE942ELNS1_3gpuE9ELNS1_3repE0EEENS1_48merge_mergepath_partition_config_static_selectorELNS0_4arch9wavefront6targetE1EEEvSJ_
    .private_segment_fixed_size: 0
    .sgpr_count:     6
    .sgpr_spill_count: 0
    .symbol:         _ZN7rocprim17ROCPRIM_400000_NS6detail17trampoline_kernelINS0_14default_configENS1_38merge_sort_block_merge_config_selectorIddEEZZNS1_27merge_sort_block_merge_implIS3_N6thrust23THRUST_200600_302600_NS6detail15normal_iteratorINS8_10device_ptrIdEEEESD_jNS1_19radix_merge_compareILb0ELb0EdNS0_19identity_decomposerEEEEE10hipError_tT0_T1_T2_jT3_P12ihipStream_tbPNSt15iterator_traitsISI_E10value_typeEPNSO_ISJ_E10value_typeEPSK_NS1_7vsmem_tEENKUlT_SI_SJ_SK_E_clISD_PdSD_S10_EESH_SX_SI_SJ_SK_EUlSX_E_NS1_11comp_targetILNS1_3genE5ELNS1_11target_archE942ELNS1_3gpuE9ELNS1_3repE0EEENS1_48merge_mergepath_partition_config_static_selectorELNS0_4arch9wavefront6targetE1EEEvSJ_.kd
    .uniform_work_group_size: 1
    .uses_dynamic_stack: false
    .vgpr_count:     0
    .vgpr_spill_count: 0
    .wavefront_size: 64
  - .agpr_count:     0
    .args:
      - .offset:         0
        .size:           40
        .value_kind:     by_value
    .group_segment_fixed_size: 0
    .kernarg_segment_align: 8
    .kernarg_segment_size: 40
    .language:       OpenCL C
    .language_version:
      - 2
      - 0
    .max_flat_workgroup_size: 128
    .name:           _ZN7rocprim17ROCPRIM_400000_NS6detail17trampoline_kernelINS0_14default_configENS1_38merge_sort_block_merge_config_selectorIddEEZZNS1_27merge_sort_block_merge_implIS3_N6thrust23THRUST_200600_302600_NS6detail15normal_iteratorINS8_10device_ptrIdEEEESD_jNS1_19radix_merge_compareILb0ELb0EdNS0_19identity_decomposerEEEEE10hipError_tT0_T1_T2_jT3_P12ihipStream_tbPNSt15iterator_traitsISI_E10value_typeEPNSO_ISJ_E10value_typeEPSK_NS1_7vsmem_tEENKUlT_SI_SJ_SK_E_clISD_PdSD_S10_EESH_SX_SI_SJ_SK_EUlSX_E_NS1_11comp_targetILNS1_3genE4ELNS1_11target_archE910ELNS1_3gpuE8ELNS1_3repE0EEENS1_48merge_mergepath_partition_config_static_selectorELNS0_4arch9wavefront6targetE1EEEvSJ_
    .private_segment_fixed_size: 0
    .sgpr_count:     6
    .sgpr_spill_count: 0
    .symbol:         _ZN7rocprim17ROCPRIM_400000_NS6detail17trampoline_kernelINS0_14default_configENS1_38merge_sort_block_merge_config_selectorIddEEZZNS1_27merge_sort_block_merge_implIS3_N6thrust23THRUST_200600_302600_NS6detail15normal_iteratorINS8_10device_ptrIdEEEESD_jNS1_19radix_merge_compareILb0ELb0EdNS0_19identity_decomposerEEEEE10hipError_tT0_T1_T2_jT3_P12ihipStream_tbPNSt15iterator_traitsISI_E10value_typeEPNSO_ISJ_E10value_typeEPSK_NS1_7vsmem_tEENKUlT_SI_SJ_SK_E_clISD_PdSD_S10_EESH_SX_SI_SJ_SK_EUlSX_E_NS1_11comp_targetILNS1_3genE4ELNS1_11target_archE910ELNS1_3gpuE8ELNS1_3repE0EEENS1_48merge_mergepath_partition_config_static_selectorELNS0_4arch9wavefront6targetE1EEEvSJ_.kd
    .uniform_work_group_size: 1
    .uses_dynamic_stack: false
    .vgpr_count:     0
    .vgpr_spill_count: 0
    .wavefront_size: 64
  - .agpr_count:     0
    .args:
      - .offset:         0
        .size:           40
        .value_kind:     by_value
    .group_segment_fixed_size: 0
    .kernarg_segment_align: 8
    .kernarg_segment_size: 40
    .language:       OpenCL C
    .language_version:
      - 2
      - 0
    .max_flat_workgroup_size: 128
    .name:           _ZN7rocprim17ROCPRIM_400000_NS6detail17trampoline_kernelINS0_14default_configENS1_38merge_sort_block_merge_config_selectorIddEEZZNS1_27merge_sort_block_merge_implIS3_N6thrust23THRUST_200600_302600_NS6detail15normal_iteratorINS8_10device_ptrIdEEEESD_jNS1_19radix_merge_compareILb0ELb0EdNS0_19identity_decomposerEEEEE10hipError_tT0_T1_T2_jT3_P12ihipStream_tbPNSt15iterator_traitsISI_E10value_typeEPNSO_ISJ_E10value_typeEPSK_NS1_7vsmem_tEENKUlT_SI_SJ_SK_E_clISD_PdSD_S10_EESH_SX_SI_SJ_SK_EUlSX_E_NS1_11comp_targetILNS1_3genE3ELNS1_11target_archE908ELNS1_3gpuE7ELNS1_3repE0EEENS1_48merge_mergepath_partition_config_static_selectorELNS0_4arch9wavefront6targetE1EEEvSJ_
    .private_segment_fixed_size: 0
    .sgpr_count:     6
    .sgpr_spill_count: 0
    .symbol:         _ZN7rocprim17ROCPRIM_400000_NS6detail17trampoline_kernelINS0_14default_configENS1_38merge_sort_block_merge_config_selectorIddEEZZNS1_27merge_sort_block_merge_implIS3_N6thrust23THRUST_200600_302600_NS6detail15normal_iteratorINS8_10device_ptrIdEEEESD_jNS1_19radix_merge_compareILb0ELb0EdNS0_19identity_decomposerEEEEE10hipError_tT0_T1_T2_jT3_P12ihipStream_tbPNSt15iterator_traitsISI_E10value_typeEPNSO_ISJ_E10value_typeEPSK_NS1_7vsmem_tEENKUlT_SI_SJ_SK_E_clISD_PdSD_S10_EESH_SX_SI_SJ_SK_EUlSX_E_NS1_11comp_targetILNS1_3genE3ELNS1_11target_archE908ELNS1_3gpuE7ELNS1_3repE0EEENS1_48merge_mergepath_partition_config_static_selectorELNS0_4arch9wavefront6targetE1EEEvSJ_.kd
    .uniform_work_group_size: 1
    .uses_dynamic_stack: false
    .vgpr_count:     0
    .vgpr_spill_count: 0
    .wavefront_size: 64
  - .agpr_count:     0
    .args:
      - .offset:         0
        .size:           40
        .value_kind:     by_value
    .group_segment_fixed_size: 0
    .kernarg_segment_align: 8
    .kernarg_segment_size: 40
    .language:       OpenCL C
    .language_version:
      - 2
      - 0
    .max_flat_workgroup_size: 128
    .name:           _ZN7rocprim17ROCPRIM_400000_NS6detail17trampoline_kernelINS0_14default_configENS1_38merge_sort_block_merge_config_selectorIddEEZZNS1_27merge_sort_block_merge_implIS3_N6thrust23THRUST_200600_302600_NS6detail15normal_iteratorINS8_10device_ptrIdEEEESD_jNS1_19radix_merge_compareILb0ELb0EdNS0_19identity_decomposerEEEEE10hipError_tT0_T1_T2_jT3_P12ihipStream_tbPNSt15iterator_traitsISI_E10value_typeEPNSO_ISJ_E10value_typeEPSK_NS1_7vsmem_tEENKUlT_SI_SJ_SK_E_clISD_PdSD_S10_EESH_SX_SI_SJ_SK_EUlSX_E_NS1_11comp_targetILNS1_3genE2ELNS1_11target_archE906ELNS1_3gpuE6ELNS1_3repE0EEENS1_48merge_mergepath_partition_config_static_selectorELNS0_4arch9wavefront6targetE1EEEvSJ_
    .private_segment_fixed_size: 0
    .sgpr_count:     6
    .sgpr_spill_count: 0
    .symbol:         _ZN7rocprim17ROCPRIM_400000_NS6detail17trampoline_kernelINS0_14default_configENS1_38merge_sort_block_merge_config_selectorIddEEZZNS1_27merge_sort_block_merge_implIS3_N6thrust23THRUST_200600_302600_NS6detail15normal_iteratorINS8_10device_ptrIdEEEESD_jNS1_19radix_merge_compareILb0ELb0EdNS0_19identity_decomposerEEEEE10hipError_tT0_T1_T2_jT3_P12ihipStream_tbPNSt15iterator_traitsISI_E10value_typeEPNSO_ISJ_E10value_typeEPSK_NS1_7vsmem_tEENKUlT_SI_SJ_SK_E_clISD_PdSD_S10_EESH_SX_SI_SJ_SK_EUlSX_E_NS1_11comp_targetILNS1_3genE2ELNS1_11target_archE906ELNS1_3gpuE6ELNS1_3repE0EEENS1_48merge_mergepath_partition_config_static_selectorELNS0_4arch9wavefront6targetE1EEEvSJ_.kd
    .uniform_work_group_size: 1
    .uses_dynamic_stack: false
    .vgpr_count:     0
    .vgpr_spill_count: 0
    .wavefront_size: 64
  - .agpr_count:     0
    .args:
      - .offset:         0
        .size:           40
        .value_kind:     by_value
    .group_segment_fixed_size: 0
    .kernarg_segment_align: 8
    .kernarg_segment_size: 40
    .language:       OpenCL C
    .language_version:
      - 2
      - 0
    .max_flat_workgroup_size: 128
    .name:           _ZN7rocprim17ROCPRIM_400000_NS6detail17trampoline_kernelINS0_14default_configENS1_38merge_sort_block_merge_config_selectorIddEEZZNS1_27merge_sort_block_merge_implIS3_N6thrust23THRUST_200600_302600_NS6detail15normal_iteratorINS8_10device_ptrIdEEEESD_jNS1_19radix_merge_compareILb0ELb0EdNS0_19identity_decomposerEEEEE10hipError_tT0_T1_T2_jT3_P12ihipStream_tbPNSt15iterator_traitsISI_E10value_typeEPNSO_ISJ_E10value_typeEPSK_NS1_7vsmem_tEENKUlT_SI_SJ_SK_E_clISD_PdSD_S10_EESH_SX_SI_SJ_SK_EUlSX_E_NS1_11comp_targetILNS1_3genE9ELNS1_11target_archE1100ELNS1_3gpuE3ELNS1_3repE0EEENS1_48merge_mergepath_partition_config_static_selectorELNS0_4arch9wavefront6targetE1EEEvSJ_
    .private_segment_fixed_size: 0
    .sgpr_count:     6
    .sgpr_spill_count: 0
    .symbol:         _ZN7rocprim17ROCPRIM_400000_NS6detail17trampoline_kernelINS0_14default_configENS1_38merge_sort_block_merge_config_selectorIddEEZZNS1_27merge_sort_block_merge_implIS3_N6thrust23THRUST_200600_302600_NS6detail15normal_iteratorINS8_10device_ptrIdEEEESD_jNS1_19radix_merge_compareILb0ELb0EdNS0_19identity_decomposerEEEEE10hipError_tT0_T1_T2_jT3_P12ihipStream_tbPNSt15iterator_traitsISI_E10value_typeEPNSO_ISJ_E10value_typeEPSK_NS1_7vsmem_tEENKUlT_SI_SJ_SK_E_clISD_PdSD_S10_EESH_SX_SI_SJ_SK_EUlSX_E_NS1_11comp_targetILNS1_3genE9ELNS1_11target_archE1100ELNS1_3gpuE3ELNS1_3repE0EEENS1_48merge_mergepath_partition_config_static_selectorELNS0_4arch9wavefront6targetE1EEEvSJ_.kd
    .uniform_work_group_size: 1
    .uses_dynamic_stack: false
    .vgpr_count:     0
    .vgpr_spill_count: 0
    .wavefront_size: 64
  - .agpr_count:     0
    .args:
      - .offset:         0
        .size:           40
        .value_kind:     by_value
    .group_segment_fixed_size: 0
    .kernarg_segment_align: 8
    .kernarg_segment_size: 40
    .language:       OpenCL C
    .language_version:
      - 2
      - 0
    .max_flat_workgroup_size: 128
    .name:           _ZN7rocprim17ROCPRIM_400000_NS6detail17trampoline_kernelINS0_14default_configENS1_38merge_sort_block_merge_config_selectorIddEEZZNS1_27merge_sort_block_merge_implIS3_N6thrust23THRUST_200600_302600_NS6detail15normal_iteratorINS8_10device_ptrIdEEEESD_jNS1_19radix_merge_compareILb0ELb0EdNS0_19identity_decomposerEEEEE10hipError_tT0_T1_T2_jT3_P12ihipStream_tbPNSt15iterator_traitsISI_E10value_typeEPNSO_ISJ_E10value_typeEPSK_NS1_7vsmem_tEENKUlT_SI_SJ_SK_E_clISD_PdSD_S10_EESH_SX_SI_SJ_SK_EUlSX_E_NS1_11comp_targetILNS1_3genE8ELNS1_11target_archE1030ELNS1_3gpuE2ELNS1_3repE0EEENS1_48merge_mergepath_partition_config_static_selectorELNS0_4arch9wavefront6targetE1EEEvSJ_
    .private_segment_fixed_size: 0
    .sgpr_count:     6
    .sgpr_spill_count: 0
    .symbol:         _ZN7rocprim17ROCPRIM_400000_NS6detail17trampoline_kernelINS0_14default_configENS1_38merge_sort_block_merge_config_selectorIddEEZZNS1_27merge_sort_block_merge_implIS3_N6thrust23THRUST_200600_302600_NS6detail15normal_iteratorINS8_10device_ptrIdEEEESD_jNS1_19radix_merge_compareILb0ELb0EdNS0_19identity_decomposerEEEEE10hipError_tT0_T1_T2_jT3_P12ihipStream_tbPNSt15iterator_traitsISI_E10value_typeEPNSO_ISJ_E10value_typeEPSK_NS1_7vsmem_tEENKUlT_SI_SJ_SK_E_clISD_PdSD_S10_EESH_SX_SI_SJ_SK_EUlSX_E_NS1_11comp_targetILNS1_3genE8ELNS1_11target_archE1030ELNS1_3gpuE2ELNS1_3repE0EEENS1_48merge_mergepath_partition_config_static_selectorELNS0_4arch9wavefront6targetE1EEEvSJ_.kd
    .uniform_work_group_size: 1
    .uses_dynamic_stack: false
    .vgpr_count:     0
    .vgpr_spill_count: 0
    .wavefront_size: 64
  - .agpr_count:     0
    .args:
      - .offset:         0
        .size:           64
        .value_kind:     by_value
      - .offset:         64
        .size:           4
        .value_kind:     hidden_block_count_x
      - .offset:         68
        .size:           4
        .value_kind:     hidden_block_count_y
      - .offset:         72
        .size:           4
        .value_kind:     hidden_block_count_z
      - .offset:         76
        .size:           2
        .value_kind:     hidden_group_size_x
      - .offset:         78
        .size:           2
        .value_kind:     hidden_group_size_y
      - .offset:         80
        .size:           2
        .value_kind:     hidden_group_size_z
      - .offset:         82
        .size:           2
        .value_kind:     hidden_remainder_x
      - .offset:         84
        .size:           2
        .value_kind:     hidden_remainder_y
      - .offset:         86
        .size:           2
        .value_kind:     hidden_remainder_z
      - .offset:         104
        .size:           8
        .value_kind:     hidden_global_offset_x
      - .offset:         112
        .size:           8
        .value_kind:     hidden_global_offset_y
      - .offset:         120
        .size:           8
        .value_kind:     hidden_global_offset_z
      - .offset:         128
        .size:           2
        .value_kind:     hidden_grid_dims
    .group_segment_fixed_size: 8208
    .kernarg_segment_align: 8
    .kernarg_segment_size: 320
    .language:       OpenCL C
    .language_version:
      - 2
      - 0
    .max_flat_workgroup_size: 1024
    .name:           _ZN7rocprim17ROCPRIM_400000_NS6detail17trampoline_kernelINS0_14default_configENS1_38merge_sort_block_merge_config_selectorIddEEZZNS1_27merge_sort_block_merge_implIS3_N6thrust23THRUST_200600_302600_NS6detail15normal_iteratorINS8_10device_ptrIdEEEESD_jNS1_19radix_merge_compareILb0ELb0EdNS0_19identity_decomposerEEEEE10hipError_tT0_T1_T2_jT3_P12ihipStream_tbPNSt15iterator_traitsISI_E10value_typeEPNSO_ISJ_E10value_typeEPSK_NS1_7vsmem_tEENKUlT_SI_SJ_SK_E_clISD_PdSD_S10_EESH_SX_SI_SJ_SK_EUlSX_E0_NS1_11comp_targetILNS1_3genE0ELNS1_11target_archE4294967295ELNS1_3gpuE0ELNS1_3repE0EEENS1_38merge_mergepath_config_static_selectorELNS0_4arch9wavefront6targetE1EEEvSJ_
    .private_segment_fixed_size: 0
    .sgpr_count:     31
    .sgpr_spill_count: 0
    .symbol:         _ZN7rocprim17ROCPRIM_400000_NS6detail17trampoline_kernelINS0_14default_configENS1_38merge_sort_block_merge_config_selectorIddEEZZNS1_27merge_sort_block_merge_implIS3_N6thrust23THRUST_200600_302600_NS6detail15normal_iteratorINS8_10device_ptrIdEEEESD_jNS1_19radix_merge_compareILb0ELb0EdNS0_19identity_decomposerEEEEE10hipError_tT0_T1_T2_jT3_P12ihipStream_tbPNSt15iterator_traitsISI_E10value_typeEPNSO_ISJ_E10value_typeEPSK_NS1_7vsmem_tEENKUlT_SI_SJ_SK_E_clISD_PdSD_S10_EESH_SX_SI_SJ_SK_EUlSX_E0_NS1_11comp_targetILNS1_3genE0ELNS1_11target_archE4294967295ELNS1_3gpuE0ELNS1_3repE0EEENS1_38merge_mergepath_config_static_selectorELNS0_4arch9wavefront6targetE1EEEvSJ_.kd
    .uniform_work_group_size: 1
    .uses_dynamic_stack: false
    .vgpr_count:     19
    .vgpr_spill_count: 0
    .wavefront_size: 64
  - .agpr_count:     0
    .args:
      - .offset:         0
        .size:           64
        .value_kind:     by_value
    .group_segment_fixed_size: 0
    .kernarg_segment_align: 8
    .kernarg_segment_size: 64
    .language:       OpenCL C
    .language_version:
      - 2
      - 0
    .max_flat_workgroup_size: 512
    .name:           _ZN7rocprim17ROCPRIM_400000_NS6detail17trampoline_kernelINS0_14default_configENS1_38merge_sort_block_merge_config_selectorIddEEZZNS1_27merge_sort_block_merge_implIS3_N6thrust23THRUST_200600_302600_NS6detail15normal_iteratorINS8_10device_ptrIdEEEESD_jNS1_19radix_merge_compareILb0ELb0EdNS0_19identity_decomposerEEEEE10hipError_tT0_T1_T2_jT3_P12ihipStream_tbPNSt15iterator_traitsISI_E10value_typeEPNSO_ISJ_E10value_typeEPSK_NS1_7vsmem_tEENKUlT_SI_SJ_SK_E_clISD_PdSD_S10_EESH_SX_SI_SJ_SK_EUlSX_E0_NS1_11comp_targetILNS1_3genE10ELNS1_11target_archE1201ELNS1_3gpuE5ELNS1_3repE0EEENS1_38merge_mergepath_config_static_selectorELNS0_4arch9wavefront6targetE1EEEvSJ_
    .private_segment_fixed_size: 0
    .sgpr_count:     6
    .sgpr_spill_count: 0
    .symbol:         _ZN7rocprim17ROCPRIM_400000_NS6detail17trampoline_kernelINS0_14default_configENS1_38merge_sort_block_merge_config_selectorIddEEZZNS1_27merge_sort_block_merge_implIS3_N6thrust23THRUST_200600_302600_NS6detail15normal_iteratorINS8_10device_ptrIdEEEESD_jNS1_19radix_merge_compareILb0ELb0EdNS0_19identity_decomposerEEEEE10hipError_tT0_T1_T2_jT3_P12ihipStream_tbPNSt15iterator_traitsISI_E10value_typeEPNSO_ISJ_E10value_typeEPSK_NS1_7vsmem_tEENKUlT_SI_SJ_SK_E_clISD_PdSD_S10_EESH_SX_SI_SJ_SK_EUlSX_E0_NS1_11comp_targetILNS1_3genE10ELNS1_11target_archE1201ELNS1_3gpuE5ELNS1_3repE0EEENS1_38merge_mergepath_config_static_selectorELNS0_4arch9wavefront6targetE1EEEvSJ_.kd
    .uniform_work_group_size: 1
    .uses_dynamic_stack: false
    .vgpr_count:     0
    .vgpr_spill_count: 0
    .wavefront_size: 64
  - .agpr_count:     0
    .args:
      - .offset:         0
        .size:           64
        .value_kind:     by_value
    .group_segment_fixed_size: 0
    .kernarg_segment_align: 8
    .kernarg_segment_size: 64
    .language:       OpenCL C
    .language_version:
      - 2
      - 0
    .max_flat_workgroup_size: 256
    .name:           _ZN7rocprim17ROCPRIM_400000_NS6detail17trampoline_kernelINS0_14default_configENS1_38merge_sort_block_merge_config_selectorIddEEZZNS1_27merge_sort_block_merge_implIS3_N6thrust23THRUST_200600_302600_NS6detail15normal_iteratorINS8_10device_ptrIdEEEESD_jNS1_19radix_merge_compareILb0ELb0EdNS0_19identity_decomposerEEEEE10hipError_tT0_T1_T2_jT3_P12ihipStream_tbPNSt15iterator_traitsISI_E10value_typeEPNSO_ISJ_E10value_typeEPSK_NS1_7vsmem_tEENKUlT_SI_SJ_SK_E_clISD_PdSD_S10_EESH_SX_SI_SJ_SK_EUlSX_E0_NS1_11comp_targetILNS1_3genE5ELNS1_11target_archE942ELNS1_3gpuE9ELNS1_3repE0EEENS1_38merge_mergepath_config_static_selectorELNS0_4arch9wavefront6targetE1EEEvSJ_
    .private_segment_fixed_size: 0
    .sgpr_count:     6
    .sgpr_spill_count: 0
    .symbol:         _ZN7rocprim17ROCPRIM_400000_NS6detail17trampoline_kernelINS0_14default_configENS1_38merge_sort_block_merge_config_selectorIddEEZZNS1_27merge_sort_block_merge_implIS3_N6thrust23THRUST_200600_302600_NS6detail15normal_iteratorINS8_10device_ptrIdEEEESD_jNS1_19radix_merge_compareILb0ELb0EdNS0_19identity_decomposerEEEEE10hipError_tT0_T1_T2_jT3_P12ihipStream_tbPNSt15iterator_traitsISI_E10value_typeEPNSO_ISJ_E10value_typeEPSK_NS1_7vsmem_tEENKUlT_SI_SJ_SK_E_clISD_PdSD_S10_EESH_SX_SI_SJ_SK_EUlSX_E0_NS1_11comp_targetILNS1_3genE5ELNS1_11target_archE942ELNS1_3gpuE9ELNS1_3repE0EEENS1_38merge_mergepath_config_static_selectorELNS0_4arch9wavefront6targetE1EEEvSJ_.kd
    .uniform_work_group_size: 1
    .uses_dynamic_stack: false
    .vgpr_count:     0
    .vgpr_spill_count: 0
    .wavefront_size: 64
  - .agpr_count:     0
    .args:
      - .offset:         0
        .size:           64
        .value_kind:     by_value
    .group_segment_fixed_size: 0
    .kernarg_segment_align: 8
    .kernarg_segment_size: 64
    .language:       OpenCL C
    .language_version:
      - 2
      - 0
    .max_flat_workgroup_size: 512
    .name:           _ZN7rocprim17ROCPRIM_400000_NS6detail17trampoline_kernelINS0_14default_configENS1_38merge_sort_block_merge_config_selectorIddEEZZNS1_27merge_sort_block_merge_implIS3_N6thrust23THRUST_200600_302600_NS6detail15normal_iteratorINS8_10device_ptrIdEEEESD_jNS1_19radix_merge_compareILb0ELb0EdNS0_19identity_decomposerEEEEE10hipError_tT0_T1_T2_jT3_P12ihipStream_tbPNSt15iterator_traitsISI_E10value_typeEPNSO_ISJ_E10value_typeEPSK_NS1_7vsmem_tEENKUlT_SI_SJ_SK_E_clISD_PdSD_S10_EESH_SX_SI_SJ_SK_EUlSX_E0_NS1_11comp_targetILNS1_3genE4ELNS1_11target_archE910ELNS1_3gpuE8ELNS1_3repE0EEENS1_38merge_mergepath_config_static_selectorELNS0_4arch9wavefront6targetE1EEEvSJ_
    .private_segment_fixed_size: 0
    .sgpr_count:     6
    .sgpr_spill_count: 0
    .symbol:         _ZN7rocprim17ROCPRIM_400000_NS6detail17trampoline_kernelINS0_14default_configENS1_38merge_sort_block_merge_config_selectorIddEEZZNS1_27merge_sort_block_merge_implIS3_N6thrust23THRUST_200600_302600_NS6detail15normal_iteratorINS8_10device_ptrIdEEEESD_jNS1_19radix_merge_compareILb0ELb0EdNS0_19identity_decomposerEEEEE10hipError_tT0_T1_T2_jT3_P12ihipStream_tbPNSt15iterator_traitsISI_E10value_typeEPNSO_ISJ_E10value_typeEPSK_NS1_7vsmem_tEENKUlT_SI_SJ_SK_E_clISD_PdSD_S10_EESH_SX_SI_SJ_SK_EUlSX_E0_NS1_11comp_targetILNS1_3genE4ELNS1_11target_archE910ELNS1_3gpuE8ELNS1_3repE0EEENS1_38merge_mergepath_config_static_selectorELNS0_4arch9wavefront6targetE1EEEvSJ_.kd
    .uniform_work_group_size: 1
    .uses_dynamic_stack: false
    .vgpr_count:     0
    .vgpr_spill_count: 0
    .wavefront_size: 64
  - .agpr_count:     0
    .args:
      - .offset:         0
        .size:           64
        .value_kind:     by_value
    .group_segment_fixed_size: 0
    .kernarg_segment_align: 8
    .kernarg_segment_size: 64
    .language:       OpenCL C
    .language_version:
      - 2
      - 0
    .max_flat_workgroup_size: 1024
    .name:           _ZN7rocprim17ROCPRIM_400000_NS6detail17trampoline_kernelINS0_14default_configENS1_38merge_sort_block_merge_config_selectorIddEEZZNS1_27merge_sort_block_merge_implIS3_N6thrust23THRUST_200600_302600_NS6detail15normal_iteratorINS8_10device_ptrIdEEEESD_jNS1_19radix_merge_compareILb0ELb0EdNS0_19identity_decomposerEEEEE10hipError_tT0_T1_T2_jT3_P12ihipStream_tbPNSt15iterator_traitsISI_E10value_typeEPNSO_ISJ_E10value_typeEPSK_NS1_7vsmem_tEENKUlT_SI_SJ_SK_E_clISD_PdSD_S10_EESH_SX_SI_SJ_SK_EUlSX_E0_NS1_11comp_targetILNS1_3genE3ELNS1_11target_archE908ELNS1_3gpuE7ELNS1_3repE0EEENS1_38merge_mergepath_config_static_selectorELNS0_4arch9wavefront6targetE1EEEvSJ_
    .private_segment_fixed_size: 0
    .sgpr_count:     6
    .sgpr_spill_count: 0
    .symbol:         _ZN7rocprim17ROCPRIM_400000_NS6detail17trampoline_kernelINS0_14default_configENS1_38merge_sort_block_merge_config_selectorIddEEZZNS1_27merge_sort_block_merge_implIS3_N6thrust23THRUST_200600_302600_NS6detail15normal_iteratorINS8_10device_ptrIdEEEESD_jNS1_19radix_merge_compareILb0ELb0EdNS0_19identity_decomposerEEEEE10hipError_tT0_T1_T2_jT3_P12ihipStream_tbPNSt15iterator_traitsISI_E10value_typeEPNSO_ISJ_E10value_typeEPSK_NS1_7vsmem_tEENKUlT_SI_SJ_SK_E_clISD_PdSD_S10_EESH_SX_SI_SJ_SK_EUlSX_E0_NS1_11comp_targetILNS1_3genE3ELNS1_11target_archE908ELNS1_3gpuE7ELNS1_3repE0EEENS1_38merge_mergepath_config_static_selectorELNS0_4arch9wavefront6targetE1EEEvSJ_.kd
    .uniform_work_group_size: 1
    .uses_dynamic_stack: false
    .vgpr_count:     0
    .vgpr_spill_count: 0
    .wavefront_size: 64
  - .agpr_count:     0
    .args:
      - .offset:         0
        .size:           64
        .value_kind:     by_value
    .group_segment_fixed_size: 0
    .kernarg_segment_align: 8
    .kernarg_segment_size: 64
    .language:       OpenCL C
    .language_version:
      - 2
      - 0
    .max_flat_workgroup_size: 256
    .name:           _ZN7rocprim17ROCPRIM_400000_NS6detail17trampoline_kernelINS0_14default_configENS1_38merge_sort_block_merge_config_selectorIddEEZZNS1_27merge_sort_block_merge_implIS3_N6thrust23THRUST_200600_302600_NS6detail15normal_iteratorINS8_10device_ptrIdEEEESD_jNS1_19radix_merge_compareILb0ELb0EdNS0_19identity_decomposerEEEEE10hipError_tT0_T1_T2_jT3_P12ihipStream_tbPNSt15iterator_traitsISI_E10value_typeEPNSO_ISJ_E10value_typeEPSK_NS1_7vsmem_tEENKUlT_SI_SJ_SK_E_clISD_PdSD_S10_EESH_SX_SI_SJ_SK_EUlSX_E0_NS1_11comp_targetILNS1_3genE2ELNS1_11target_archE906ELNS1_3gpuE6ELNS1_3repE0EEENS1_38merge_mergepath_config_static_selectorELNS0_4arch9wavefront6targetE1EEEvSJ_
    .private_segment_fixed_size: 0
    .sgpr_count:     6
    .sgpr_spill_count: 0
    .symbol:         _ZN7rocprim17ROCPRIM_400000_NS6detail17trampoline_kernelINS0_14default_configENS1_38merge_sort_block_merge_config_selectorIddEEZZNS1_27merge_sort_block_merge_implIS3_N6thrust23THRUST_200600_302600_NS6detail15normal_iteratorINS8_10device_ptrIdEEEESD_jNS1_19radix_merge_compareILb0ELb0EdNS0_19identity_decomposerEEEEE10hipError_tT0_T1_T2_jT3_P12ihipStream_tbPNSt15iterator_traitsISI_E10value_typeEPNSO_ISJ_E10value_typeEPSK_NS1_7vsmem_tEENKUlT_SI_SJ_SK_E_clISD_PdSD_S10_EESH_SX_SI_SJ_SK_EUlSX_E0_NS1_11comp_targetILNS1_3genE2ELNS1_11target_archE906ELNS1_3gpuE6ELNS1_3repE0EEENS1_38merge_mergepath_config_static_selectorELNS0_4arch9wavefront6targetE1EEEvSJ_.kd
    .uniform_work_group_size: 1
    .uses_dynamic_stack: false
    .vgpr_count:     0
    .vgpr_spill_count: 0
    .wavefront_size: 64
  - .agpr_count:     0
    .args:
      - .offset:         0
        .size:           64
        .value_kind:     by_value
    .group_segment_fixed_size: 0
    .kernarg_segment_align: 8
    .kernarg_segment_size: 64
    .language:       OpenCL C
    .language_version:
      - 2
      - 0
    .max_flat_workgroup_size: 1024
    .name:           _ZN7rocprim17ROCPRIM_400000_NS6detail17trampoline_kernelINS0_14default_configENS1_38merge_sort_block_merge_config_selectorIddEEZZNS1_27merge_sort_block_merge_implIS3_N6thrust23THRUST_200600_302600_NS6detail15normal_iteratorINS8_10device_ptrIdEEEESD_jNS1_19radix_merge_compareILb0ELb0EdNS0_19identity_decomposerEEEEE10hipError_tT0_T1_T2_jT3_P12ihipStream_tbPNSt15iterator_traitsISI_E10value_typeEPNSO_ISJ_E10value_typeEPSK_NS1_7vsmem_tEENKUlT_SI_SJ_SK_E_clISD_PdSD_S10_EESH_SX_SI_SJ_SK_EUlSX_E0_NS1_11comp_targetILNS1_3genE9ELNS1_11target_archE1100ELNS1_3gpuE3ELNS1_3repE0EEENS1_38merge_mergepath_config_static_selectorELNS0_4arch9wavefront6targetE1EEEvSJ_
    .private_segment_fixed_size: 0
    .sgpr_count:     6
    .sgpr_spill_count: 0
    .symbol:         _ZN7rocprim17ROCPRIM_400000_NS6detail17trampoline_kernelINS0_14default_configENS1_38merge_sort_block_merge_config_selectorIddEEZZNS1_27merge_sort_block_merge_implIS3_N6thrust23THRUST_200600_302600_NS6detail15normal_iteratorINS8_10device_ptrIdEEEESD_jNS1_19radix_merge_compareILb0ELb0EdNS0_19identity_decomposerEEEEE10hipError_tT0_T1_T2_jT3_P12ihipStream_tbPNSt15iterator_traitsISI_E10value_typeEPNSO_ISJ_E10value_typeEPSK_NS1_7vsmem_tEENKUlT_SI_SJ_SK_E_clISD_PdSD_S10_EESH_SX_SI_SJ_SK_EUlSX_E0_NS1_11comp_targetILNS1_3genE9ELNS1_11target_archE1100ELNS1_3gpuE3ELNS1_3repE0EEENS1_38merge_mergepath_config_static_selectorELNS0_4arch9wavefront6targetE1EEEvSJ_.kd
    .uniform_work_group_size: 1
    .uses_dynamic_stack: false
    .vgpr_count:     0
    .vgpr_spill_count: 0
    .wavefront_size: 64
  - .agpr_count:     0
    .args:
      - .offset:         0
        .size:           64
        .value_kind:     by_value
    .group_segment_fixed_size: 0
    .kernarg_segment_align: 8
    .kernarg_segment_size: 64
    .language:       OpenCL C
    .language_version:
      - 2
      - 0
    .max_flat_workgroup_size: 1024
    .name:           _ZN7rocprim17ROCPRIM_400000_NS6detail17trampoline_kernelINS0_14default_configENS1_38merge_sort_block_merge_config_selectorIddEEZZNS1_27merge_sort_block_merge_implIS3_N6thrust23THRUST_200600_302600_NS6detail15normal_iteratorINS8_10device_ptrIdEEEESD_jNS1_19radix_merge_compareILb0ELb0EdNS0_19identity_decomposerEEEEE10hipError_tT0_T1_T2_jT3_P12ihipStream_tbPNSt15iterator_traitsISI_E10value_typeEPNSO_ISJ_E10value_typeEPSK_NS1_7vsmem_tEENKUlT_SI_SJ_SK_E_clISD_PdSD_S10_EESH_SX_SI_SJ_SK_EUlSX_E0_NS1_11comp_targetILNS1_3genE8ELNS1_11target_archE1030ELNS1_3gpuE2ELNS1_3repE0EEENS1_38merge_mergepath_config_static_selectorELNS0_4arch9wavefront6targetE1EEEvSJ_
    .private_segment_fixed_size: 0
    .sgpr_count:     6
    .sgpr_spill_count: 0
    .symbol:         _ZN7rocprim17ROCPRIM_400000_NS6detail17trampoline_kernelINS0_14default_configENS1_38merge_sort_block_merge_config_selectorIddEEZZNS1_27merge_sort_block_merge_implIS3_N6thrust23THRUST_200600_302600_NS6detail15normal_iteratorINS8_10device_ptrIdEEEESD_jNS1_19radix_merge_compareILb0ELb0EdNS0_19identity_decomposerEEEEE10hipError_tT0_T1_T2_jT3_P12ihipStream_tbPNSt15iterator_traitsISI_E10value_typeEPNSO_ISJ_E10value_typeEPSK_NS1_7vsmem_tEENKUlT_SI_SJ_SK_E_clISD_PdSD_S10_EESH_SX_SI_SJ_SK_EUlSX_E0_NS1_11comp_targetILNS1_3genE8ELNS1_11target_archE1030ELNS1_3gpuE2ELNS1_3repE0EEENS1_38merge_mergepath_config_static_selectorELNS0_4arch9wavefront6targetE1EEEvSJ_.kd
    .uniform_work_group_size: 1
    .uses_dynamic_stack: false
    .vgpr_count:     0
    .vgpr_spill_count: 0
    .wavefront_size: 64
  - .agpr_count:     0
    .args:
      - .offset:         0
        .size:           48
        .value_kind:     by_value
    .group_segment_fixed_size: 0
    .kernarg_segment_align: 8
    .kernarg_segment_size: 48
    .language:       OpenCL C
    .language_version:
      - 2
      - 0
    .max_flat_workgroup_size: 256
    .name:           _ZN7rocprim17ROCPRIM_400000_NS6detail17trampoline_kernelINS0_14default_configENS1_38merge_sort_block_merge_config_selectorIddEEZZNS1_27merge_sort_block_merge_implIS3_N6thrust23THRUST_200600_302600_NS6detail15normal_iteratorINS8_10device_ptrIdEEEESD_jNS1_19radix_merge_compareILb0ELb0EdNS0_19identity_decomposerEEEEE10hipError_tT0_T1_T2_jT3_P12ihipStream_tbPNSt15iterator_traitsISI_E10value_typeEPNSO_ISJ_E10value_typeEPSK_NS1_7vsmem_tEENKUlT_SI_SJ_SK_E_clISD_PdSD_S10_EESH_SX_SI_SJ_SK_EUlSX_E1_NS1_11comp_targetILNS1_3genE0ELNS1_11target_archE4294967295ELNS1_3gpuE0ELNS1_3repE0EEENS1_36merge_oddeven_config_static_selectorELNS0_4arch9wavefront6targetE1EEEvSJ_
    .private_segment_fixed_size: 0
    .sgpr_count:     30
    .sgpr_spill_count: 0
    .symbol:         _ZN7rocprim17ROCPRIM_400000_NS6detail17trampoline_kernelINS0_14default_configENS1_38merge_sort_block_merge_config_selectorIddEEZZNS1_27merge_sort_block_merge_implIS3_N6thrust23THRUST_200600_302600_NS6detail15normal_iteratorINS8_10device_ptrIdEEEESD_jNS1_19radix_merge_compareILb0ELb0EdNS0_19identity_decomposerEEEEE10hipError_tT0_T1_T2_jT3_P12ihipStream_tbPNSt15iterator_traitsISI_E10value_typeEPNSO_ISJ_E10value_typeEPSK_NS1_7vsmem_tEENKUlT_SI_SJ_SK_E_clISD_PdSD_S10_EESH_SX_SI_SJ_SK_EUlSX_E1_NS1_11comp_targetILNS1_3genE0ELNS1_11target_archE4294967295ELNS1_3gpuE0ELNS1_3repE0EEENS1_36merge_oddeven_config_static_selectorELNS0_4arch9wavefront6targetE1EEEvSJ_.kd
    .uniform_work_group_size: 1
    .uses_dynamic_stack: false
    .vgpr_count:     16
    .vgpr_spill_count: 0
    .wavefront_size: 64
  - .agpr_count:     0
    .args:
      - .offset:         0
        .size:           48
        .value_kind:     by_value
    .group_segment_fixed_size: 0
    .kernarg_segment_align: 8
    .kernarg_segment_size: 48
    .language:       OpenCL C
    .language_version:
      - 2
      - 0
    .max_flat_workgroup_size: 256
    .name:           _ZN7rocprim17ROCPRIM_400000_NS6detail17trampoline_kernelINS0_14default_configENS1_38merge_sort_block_merge_config_selectorIddEEZZNS1_27merge_sort_block_merge_implIS3_N6thrust23THRUST_200600_302600_NS6detail15normal_iteratorINS8_10device_ptrIdEEEESD_jNS1_19radix_merge_compareILb0ELb0EdNS0_19identity_decomposerEEEEE10hipError_tT0_T1_T2_jT3_P12ihipStream_tbPNSt15iterator_traitsISI_E10value_typeEPNSO_ISJ_E10value_typeEPSK_NS1_7vsmem_tEENKUlT_SI_SJ_SK_E_clISD_PdSD_S10_EESH_SX_SI_SJ_SK_EUlSX_E1_NS1_11comp_targetILNS1_3genE10ELNS1_11target_archE1201ELNS1_3gpuE5ELNS1_3repE0EEENS1_36merge_oddeven_config_static_selectorELNS0_4arch9wavefront6targetE1EEEvSJ_
    .private_segment_fixed_size: 0
    .sgpr_count:     6
    .sgpr_spill_count: 0
    .symbol:         _ZN7rocprim17ROCPRIM_400000_NS6detail17trampoline_kernelINS0_14default_configENS1_38merge_sort_block_merge_config_selectorIddEEZZNS1_27merge_sort_block_merge_implIS3_N6thrust23THRUST_200600_302600_NS6detail15normal_iteratorINS8_10device_ptrIdEEEESD_jNS1_19radix_merge_compareILb0ELb0EdNS0_19identity_decomposerEEEEE10hipError_tT0_T1_T2_jT3_P12ihipStream_tbPNSt15iterator_traitsISI_E10value_typeEPNSO_ISJ_E10value_typeEPSK_NS1_7vsmem_tEENKUlT_SI_SJ_SK_E_clISD_PdSD_S10_EESH_SX_SI_SJ_SK_EUlSX_E1_NS1_11comp_targetILNS1_3genE10ELNS1_11target_archE1201ELNS1_3gpuE5ELNS1_3repE0EEENS1_36merge_oddeven_config_static_selectorELNS0_4arch9wavefront6targetE1EEEvSJ_.kd
    .uniform_work_group_size: 1
    .uses_dynamic_stack: false
    .vgpr_count:     0
    .vgpr_spill_count: 0
    .wavefront_size: 64
  - .agpr_count:     0
    .args:
      - .offset:         0
        .size:           48
        .value_kind:     by_value
    .group_segment_fixed_size: 0
    .kernarg_segment_align: 8
    .kernarg_segment_size: 48
    .language:       OpenCL C
    .language_version:
      - 2
      - 0
    .max_flat_workgroup_size: 256
    .name:           _ZN7rocprim17ROCPRIM_400000_NS6detail17trampoline_kernelINS0_14default_configENS1_38merge_sort_block_merge_config_selectorIddEEZZNS1_27merge_sort_block_merge_implIS3_N6thrust23THRUST_200600_302600_NS6detail15normal_iteratorINS8_10device_ptrIdEEEESD_jNS1_19radix_merge_compareILb0ELb0EdNS0_19identity_decomposerEEEEE10hipError_tT0_T1_T2_jT3_P12ihipStream_tbPNSt15iterator_traitsISI_E10value_typeEPNSO_ISJ_E10value_typeEPSK_NS1_7vsmem_tEENKUlT_SI_SJ_SK_E_clISD_PdSD_S10_EESH_SX_SI_SJ_SK_EUlSX_E1_NS1_11comp_targetILNS1_3genE5ELNS1_11target_archE942ELNS1_3gpuE9ELNS1_3repE0EEENS1_36merge_oddeven_config_static_selectorELNS0_4arch9wavefront6targetE1EEEvSJ_
    .private_segment_fixed_size: 0
    .sgpr_count:     6
    .sgpr_spill_count: 0
    .symbol:         _ZN7rocprim17ROCPRIM_400000_NS6detail17trampoline_kernelINS0_14default_configENS1_38merge_sort_block_merge_config_selectorIddEEZZNS1_27merge_sort_block_merge_implIS3_N6thrust23THRUST_200600_302600_NS6detail15normal_iteratorINS8_10device_ptrIdEEEESD_jNS1_19radix_merge_compareILb0ELb0EdNS0_19identity_decomposerEEEEE10hipError_tT0_T1_T2_jT3_P12ihipStream_tbPNSt15iterator_traitsISI_E10value_typeEPNSO_ISJ_E10value_typeEPSK_NS1_7vsmem_tEENKUlT_SI_SJ_SK_E_clISD_PdSD_S10_EESH_SX_SI_SJ_SK_EUlSX_E1_NS1_11comp_targetILNS1_3genE5ELNS1_11target_archE942ELNS1_3gpuE9ELNS1_3repE0EEENS1_36merge_oddeven_config_static_selectorELNS0_4arch9wavefront6targetE1EEEvSJ_.kd
    .uniform_work_group_size: 1
    .uses_dynamic_stack: false
    .vgpr_count:     0
    .vgpr_spill_count: 0
    .wavefront_size: 64
  - .agpr_count:     0
    .args:
      - .offset:         0
        .size:           48
        .value_kind:     by_value
    .group_segment_fixed_size: 0
    .kernarg_segment_align: 8
    .kernarg_segment_size: 48
    .language:       OpenCL C
    .language_version:
      - 2
      - 0
    .max_flat_workgroup_size: 256
    .name:           _ZN7rocprim17ROCPRIM_400000_NS6detail17trampoline_kernelINS0_14default_configENS1_38merge_sort_block_merge_config_selectorIddEEZZNS1_27merge_sort_block_merge_implIS3_N6thrust23THRUST_200600_302600_NS6detail15normal_iteratorINS8_10device_ptrIdEEEESD_jNS1_19radix_merge_compareILb0ELb0EdNS0_19identity_decomposerEEEEE10hipError_tT0_T1_T2_jT3_P12ihipStream_tbPNSt15iterator_traitsISI_E10value_typeEPNSO_ISJ_E10value_typeEPSK_NS1_7vsmem_tEENKUlT_SI_SJ_SK_E_clISD_PdSD_S10_EESH_SX_SI_SJ_SK_EUlSX_E1_NS1_11comp_targetILNS1_3genE4ELNS1_11target_archE910ELNS1_3gpuE8ELNS1_3repE0EEENS1_36merge_oddeven_config_static_selectorELNS0_4arch9wavefront6targetE1EEEvSJ_
    .private_segment_fixed_size: 0
    .sgpr_count:     6
    .sgpr_spill_count: 0
    .symbol:         _ZN7rocprim17ROCPRIM_400000_NS6detail17trampoline_kernelINS0_14default_configENS1_38merge_sort_block_merge_config_selectorIddEEZZNS1_27merge_sort_block_merge_implIS3_N6thrust23THRUST_200600_302600_NS6detail15normal_iteratorINS8_10device_ptrIdEEEESD_jNS1_19radix_merge_compareILb0ELb0EdNS0_19identity_decomposerEEEEE10hipError_tT0_T1_T2_jT3_P12ihipStream_tbPNSt15iterator_traitsISI_E10value_typeEPNSO_ISJ_E10value_typeEPSK_NS1_7vsmem_tEENKUlT_SI_SJ_SK_E_clISD_PdSD_S10_EESH_SX_SI_SJ_SK_EUlSX_E1_NS1_11comp_targetILNS1_3genE4ELNS1_11target_archE910ELNS1_3gpuE8ELNS1_3repE0EEENS1_36merge_oddeven_config_static_selectorELNS0_4arch9wavefront6targetE1EEEvSJ_.kd
    .uniform_work_group_size: 1
    .uses_dynamic_stack: false
    .vgpr_count:     0
    .vgpr_spill_count: 0
    .wavefront_size: 64
  - .agpr_count:     0
    .args:
      - .offset:         0
        .size:           48
        .value_kind:     by_value
    .group_segment_fixed_size: 0
    .kernarg_segment_align: 8
    .kernarg_segment_size: 48
    .language:       OpenCL C
    .language_version:
      - 2
      - 0
    .max_flat_workgroup_size: 256
    .name:           _ZN7rocprim17ROCPRIM_400000_NS6detail17trampoline_kernelINS0_14default_configENS1_38merge_sort_block_merge_config_selectorIddEEZZNS1_27merge_sort_block_merge_implIS3_N6thrust23THRUST_200600_302600_NS6detail15normal_iteratorINS8_10device_ptrIdEEEESD_jNS1_19radix_merge_compareILb0ELb0EdNS0_19identity_decomposerEEEEE10hipError_tT0_T1_T2_jT3_P12ihipStream_tbPNSt15iterator_traitsISI_E10value_typeEPNSO_ISJ_E10value_typeEPSK_NS1_7vsmem_tEENKUlT_SI_SJ_SK_E_clISD_PdSD_S10_EESH_SX_SI_SJ_SK_EUlSX_E1_NS1_11comp_targetILNS1_3genE3ELNS1_11target_archE908ELNS1_3gpuE7ELNS1_3repE0EEENS1_36merge_oddeven_config_static_selectorELNS0_4arch9wavefront6targetE1EEEvSJ_
    .private_segment_fixed_size: 0
    .sgpr_count:     6
    .sgpr_spill_count: 0
    .symbol:         _ZN7rocprim17ROCPRIM_400000_NS6detail17trampoline_kernelINS0_14default_configENS1_38merge_sort_block_merge_config_selectorIddEEZZNS1_27merge_sort_block_merge_implIS3_N6thrust23THRUST_200600_302600_NS6detail15normal_iteratorINS8_10device_ptrIdEEEESD_jNS1_19radix_merge_compareILb0ELb0EdNS0_19identity_decomposerEEEEE10hipError_tT0_T1_T2_jT3_P12ihipStream_tbPNSt15iterator_traitsISI_E10value_typeEPNSO_ISJ_E10value_typeEPSK_NS1_7vsmem_tEENKUlT_SI_SJ_SK_E_clISD_PdSD_S10_EESH_SX_SI_SJ_SK_EUlSX_E1_NS1_11comp_targetILNS1_3genE3ELNS1_11target_archE908ELNS1_3gpuE7ELNS1_3repE0EEENS1_36merge_oddeven_config_static_selectorELNS0_4arch9wavefront6targetE1EEEvSJ_.kd
    .uniform_work_group_size: 1
    .uses_dynamic_stack: false
    .vgpr_count:     0
    .vgpr_spill_count: 0
    .wavefront_size: 64
  - .agpr_count:     0
    .args:
      - .offset:         0
        .size:           48
        .value_kind:     by_value
    .group_segment_fixed_size: 0
    .kernarg_segment_align: 8
    .kernarg_segment_size: 48
    .language:       OpenCL C
    .language_version:
      - 2
      - 0
    .max_flat_workgroup_size: 256
    .name:           _ZN7rocprim17ROCPRIM_400000_NS6detail17trampoline_kernelINS0_14default_configENS1_38merge_sort_block_merge_config_selectorIddEEZZNS1_27merge_sort_block_merge_implIS3_N6thrust23THRUST_200600_302600_NS6detail15normal_iteratorINS8_10device_ptrIdEEEESD_jNS1_19radix_merge_compareILb0ELb0EdNS0_19identity_decomposerEEEEE10hipError_tT0_T1_T2_jT3_P12ihipStream_tbPNSt15iterator_traitsISI_E10value_typeEPNSO_ISJ_E10value_typeEPSK_NS1_7vsmem_tEENKUlT_SI_SJ_SK_E_clISD_PdSD_S10_EESH_SX_SI_SJ_SK_EUlSX_E1_NS1_11comp_targetILNS1_3genE2ELNS1_11target_archE906ELNS1_3gpuE6ELNS1_3repE0EEENS1_36merge_oddeven_config_static_selectorELNS0_4arch9wavefront6targetE1EEEvSJ_
    .private_segment_fixed_size: 0
    .sgpr_count:     6
    .sgpr_spill_count: 0
    .symbol:         _ZN7rocprim17ROCPRIM_400000_NS6detail17trampoline_kernelINS0_14default_configENS1_38merge_sort_block_merge_config_selectorIddEEZZNS1_27merge_sort_block_merge_implIS3_N6thrust23THRUST_200600_302600_NS6detail15normal_iteratorINS8_10device_ptrIdEEEESD_jNS1_19radix_merge_compareILb0ELb0EdNS0_19identity_decomposerEEEEE10hipError_tT0_T1_T2_jT3_P12ihipStream_tbPNSt15iterator_traitsISI_E10value_typeEPNSO_ISJ_E10value_typeEPSK_NS1_7vsmem_tEENKUlT_SI_SJ_SK_E_clISD_PdSD_S10_EESH_SX_SI_SJ_SK_EUlSX_E1_NS1_11comp_targetILNS1_3genE2ELNS1_11target_archE906ELNS1_3gpuE6ELNS1_3repE0EEENS1_36merge_oddeven_config_static_selectorELNS0_4arch9wavefront6targetE1EEEvSJ_.kd
    .uniform_work_group_size: 1
    .uses_dynamic_stack: false
    .vgpr_count:     0
    .vgpr_spill_count: 0
    .wavefront_size: 64
  - .agpr_count:     0
    .args:
      - .offset:         0
        .size:           48
        .value_kind:     by_value
    .group_segment_fixed_size: 0
    .kernarg_segment_align: 8
    .kernarg_segment_size: 48
    .language:       OpenCL C
    .language_version:
      - 2
      - 0
    .max_flat_workgroup_size: 256
    .name:           _ZN7rocprim17ROCPRIM_400000_NS6detail17trampoline_kernelINS0_14default_configENS1_38merge_sort_block_merge_config_selectorIddEEZZNS1_27merge_sort_block_merge_implIS3_N6thrust23THRUST_200600_302600_NS6detail15normal_iteratorINS8_10device_ptrIdEEEESD_jNS1_19radix_merge_compareILb0ELb0EdNS0_19identity_decomposerEEEEE10hipError_tT0_T1_T2_jT3_P12ihipStream_tbPNSt15iterator_traitsISI_E10value_typeEPNSO_ISJ_E10value_typeEPSK_NS1_7vsmem_tEENKUlT_SI_SJ_SK_E_clISD_PdSD_S10_EESH_SX_SI_SJ_SK_EUlSX_E1_NS1_11comp_targetILNS1_3genE9ELNS1_11target_archE1100ELNS1_3gpuE3ELNS1_3repE0EEENS1_36merge_oddeven_config_static_selectorELNS0_4arch9wavefront6targetE1EEEvSJ_
    .private_segment_fixed_size: 0
    .sgpr_count:     6
    .sgpr_spill_count: 0
    .symbol:         _ZN7rocprim17ROCPRIM_400000_NS6detail17trampoline_kernelINS0_14default_configENS1_38merge_sort_block_merge_config_selectorIddEEZZNS1_27merge_sort_block_merge_implIS3_N6thrust23THRUST_200600_302600_NS6detail15normal_iteratorINS8_10device_ptrIdEEEESD_jNS1_19radix_merge_compareILb0ELb0EdNS0_19identity_decomposerEEEEE10hipError_tT0_T1_T2_jT3_P12ihipStream_tbPNSt15iterator_traitsISI_E10value_typeEPNSO_ISJ_E10value_typeEPSK_NS1_7vsmem_tEENKUlT_SI_SJ_SK_E_clISD_PdSD_S10_EESH_SX_SI_SJ_SK_EUlSX_E1_NS1_11comp_targetILNS1_3genE9ELNS1_11target_archE1100ELNS1_3gpuE3ELNS1_3repE0EEENS1_36merge_oddeven_config_static_selectorELNS0_4arch9wavefront6targetE1EEEvSJ_.kd
    .uniform_work_group_size: 1
    .uses_dynamic_stack: false
    .vgpr_count:     0
    .vgpr_spill_count: 0
    .wavefront_size: 64
  - .agpr_count:     0
    .args:
      - .offset:         0
        .size:           48
        .value_kind:     by_value
    .group_segment_fixed_size: 0
    .kernarg_segment_align: 8
    .kernarg_segment_size: 48
    .language:       OpenCL C
    .language_version:
      - 2
      - 0
    .max_flat_workgroup_size: 256
    .name:           _ZN7rocprim17ROCPRIM_400000_NS6detail17trampoline_kernelINS0_14default_configENS1_38merge_sort_block_merge_config_selectorIddEEZZNS1_27merge_sort_block_merge_implIS3_N6thrust23THRUST_200600_302600_NS6detail15normal_iteratorINS8_10device_ptrIdEEEESD_jNS1_19radix_merge_compareILb0ELb0EdNS0_19identity_decomposerEEEEE10hipError_tT0_T1_T2_jT3_P12ihipStream_tbPNSt15iterator_traitsISI_E10value_typeEPNSO_ISJ_E10value_typeEPSK_NS1_7vsmem_tEENKUlT_SI_SJ_SK_E_clISD_PdSD_S10_EESH_SX_SI_SJ_SK_EUlSX_E1_NS1_11comp_targetILNS1_3genE8ELNS1_11target_archE1030ELNS1_3gpuE2ELNS1_3repE0EEENS1_36merge_oddeven_config_static_selectorELNS0_4arch9wavefront6targetE1EEEvSJ_
    .private_segment_fixed_size: 0
    .sgpr_count:     6
    .sgpr_spill_count: 0
    .symbol:         _ZN7rocprim17ROCPRIM_400000_NS6detail17trampoline_kernelINS0_14default_configENS1_38merge_sort_block_merge_config_selectorIddEEZZNS1_27merge_sort_block_merge_implIS3_N6thrust23THRUST_200600_302600_NS6detail15normal_iteratorINS8_10device_ptrIdEEEESD_jNS1_19radix_merge_compareILb0ELb0EdNS0_19identity_decomposerEEEEE10hipError_tT0_T1_T2_jT3_P12ihipStream_tbPNSt15iterator_traitsISI_E10value_typeEPNSO_ISJ_E10value_typeEPSK_NS1_7vsmem_tEENKUlT_SI_SJ_SK_E_clISD_PdSD_S10_EESH_SX_SI_SJ_SK_EUlSX_E1_NS1_11comp_targetILNS1_3genE8ELNS1_11target_archE1030ELNS1_3gpuE2ELNS1_3repE0EEENS1_36merge_oddeven_config_static_selectorELNS0_4arch9wavefront6targetE1EEEvSJ_.kd
    .uniform_work_group_size: 1
    .uses_dynamic_stack: false
    .vgpr_count:     0
    .vgpr_spill_count: 0
    .wavefront_size: 64
  - .agpr_count:     0
    .args:
      - .offset:         0
        .size:           40
        .value_kind:     by_value
      - .offset:         40
        .size:           4
        .value_kind:     hidden_block_count_x
      - .offset:         44
        .size:           4
        .value_kind:     hidden_block_count_y
      - .offset:         48
        .size:           4
        .value_kind:     hidden_block_count_z
      - .offset:         52
        .size:           2
        .value_kind:     hidden_group_size_x
      - .offset:         54
        .size:           2
        .value_kind:     hidden_group_size_y
      - .offset:         56
        .size:           2
        .value_kind:     hidden_group_size_z
      - .offset:         58
        .size:           2
        .value_kind:     hidden_remainder_x
      - .offset:         60
        .size:           2
        .value_kind:     hidden_remainder_y
      - .offset:         62
        .size:           2
        .value_kind:     hidden_remainder_z
      - .offset:         80
        .size:           8
        .value_kind:     hidden_global_offset_x
      - .offset:         88
        .size:           8
        .value_kind:     hidden_global_offset_y
      - .offset:         96
        .size:           8
        .value_kind:     hidden_global_offset_z
      - .offset:         104
        .size:           2
        .value_kind:     hidden_grid_dims
    .group_segment_fixed_size: 0
    .kernarg_segment_align: 8
    .kernarg_segment_size: 296
    .language:       OpenCL C
    .language_version:
      - 2
      - 0
    .max_flat_workgroup_size: 128
    .name:           _ZN7rocprim17ROCPRIM_400000_NS6detail17trampoline_kernelINS0_14default_configENS1_25transform_config_selectorIdLb0EEEZNS1_14transform_implILb0ES3_S5_PdN6thrust23THRUST_200600_302600_NS6detail15normal_iteratorINS9_10device_ptrIdEEEENS0_8identityIdEEEE10hipError_tT2_T3_mT4_P12ihipStream_tbEUlT_E_NS1_11comp_targetILNS1_3genE0ELNS1_11target_archE4294967295ELNS1_3gpuE0ELNS1_3repE0EEENS1_30default_config_static_selectorELNS0_4arch9wavefront6targetE1EEEvT1_
    .private_segment_fixed_size: 0
    .sgpr_count:     18
    .sgpr_spill_count: 0
    .symbol:         _ZN7rocprim17ROCPRIM_400000_NS6detail17trampoline_kernelINS0_14default_configENS1_25transform_config_selectorIdLb0EEEZNS1_14transform_implILb0ES3_S5_PdN6thrust23THRUST_200600_302600_NS6detail15normal_iteratorINS9_10device_ptrIdEEEENS0_8identityIdEEEE10hipError_tT2_T3_mT4_P12ihipStream_tbEUlT_E_NS1_11comp_targetILNS1_3genE0ELNS1_11target_archE4294967295ELNS1_3gpuE0ELNS1_3repE0EEENS1_30default_config_static_selectorELNS0_4arch9wavefront6targetE1EEEvT1_.kd
    .uniform_work_group_size: 1
    .uses_dynamic_stack: false
    .vgpr_count:     4
    .vgpr_spill_count: 0
    .wavefront_size: 64
  - .agpr_count:     0
    .args:
      - .offset:         0
        .size:           40
        .value_kind:     by_value
    .group_segment_fixed_size: 0
    .kernarg_segment_align: 8
    .kernarg_segment_size: 40
    .language:       OpenCL C
    .language_version:
      - 2
      - 0
    .max_flat_workgroup_size: 512
    .name:           _ZN7rocprim17ROCPRIM_400000_NS6detail17trampoline_kernelINS0_14default_configENS1_25transform_config_selectorIdLb0EEEZNS1_14transform_implILb0ES3_S5_PdN6thrust23THRUST_200600_302600_NS6detail15normal_iteratorINS9_10device_ptrIdEEEENS0_8identityIdEEEE10hipError_tT2_T3_mT4_P12ihipStream_tbEUlT_E_NS1_11comp_targetILNS1_3genE5ELNS1_11target_archE942ELNS1_3gpuE9ELNS1_3repE0EEENS1_30default_config_static_selectorELNS0_4arch9wavefront6targetE1EEEvT1_
    .private_segment_fixed_size: 0
    .sgpr_count:     6
    .sgpr_spill_count: 0
    .symbol:         _ZN7rocprim17ROCPRIM_400000_NS6detail17trampoline_kernelINS0_14default_configENS1_25transform_config_selectorIdLb0EEEZNS1_14transform_implILb0ES3_S5_PdN6thrust23THRUST_200600_302600_NS6detail15normal_iteratorINS9_10device_ptrIdEEEENS0_8identityIdEEEE10hipError_tT2_T3_mT4_P12ihipStream_tbEUlT_E_NS1_11comp_targetILNS1_3genE5ELNS1_11target_archE942ELNS1_3gpuE9ELNS1_3repE0EEENS1_30default_config_static_selectorELNS0_4arch9wavefront6targetE1EEEvT1_.kd
    .uniform_work_group_size: 1
    .uses_dynamic_stack: false
    .vgpr_count:     0
    .vgpr_spill_count: 0
    .wavefront_size: 64
  - .agpr_count:     0
    .args:
      - .offset:         0
        .size:           40
        .value_kind:     by_value
    .group_segment_fixed_size: 0
    .kernarg_segment_align: 8
    .kernarg_segment_size: 40
    .language:       OpenCL C
    .language_version:
      - 2
      - 0
    .max_flat_workgroup_size: 256
    .name:           _ZN7rocprim17ROCPRIM_400000_NS6detail17trampoline_kernelINS0_14default_configENS1_25transform_config_selectorIdLb0EEEZNS1_14transform_implILb0ES3_S5_PdN6thrust23THRUST_200600_302600_NS6detail15normal_iteratorINS9_10device_ptrIdEEEENS0_8identityIdEEEE10hipError_tT2_T3_mT4_P12ihipStream_tbEUlT_E_NS1_11comp_targetILNS1_3genE4ELNS1_11target_archE910ELNS1_3gpuE8ELNS1_3repE0EEENS1_30default_config_static_selectorELNS0_4arch9wavefront6targetE1EEEvT1_
    .private_segment_fixed_size: 0
    .sgpr_count:     6
    .sgpr_spill_count: 0
    .symbol:         _ZN7rocprim17ROCPRIM_400000_NS6detail17trampoline_kernelINS0_14default_configENS1_25transform_config_selectorIdLb0EEEZNS1_14transform_implILb0ES3_S5_PdN6thrust23THRUST_200600_302600_NS6detail15normal_iteratorINS9_10device_ptrIdEEEENS0_8identityIdEEEE10hipError_tT2_T3_mT4_P12ihipStream_tbEUlT_E_NS1_11comp_targetILNS1_3genE4ELNS1_11target_archE910ELNS1_3gpuE8ELNS1_3repE0EEENS1_30default_config_static_selectorELNS0_4arch9wavefront6targetE1EEEvT1_.kd
    .uniform_work_group_size: 1
    .uses_dynamic_stack: false
    .vgpr_count:     0
    .vgpr_spill_count: 0
    .wavefront_size: 64
  - .agpr_count:     0
    .args:
      - .offset:         0
        .size:           40
        .value_kind:     by_value
    .group_segment_fixed_size: 0
    .kernarg_segment_align: 8
    .kernarg_segment_size: 40
    .language:       OpenCL C
    .language_version:
      - 2
      - 0
    .max_flat_workgroup_size: 128
    .name:           _ZN7rocprim17ROCPRIM_400000_NS6detail17trampoline_kernelINS0_14default_configENS1_25transform_config_selectorIdLb0EEEZNS1_14transform_implILb0ES3_S5_PdN6thrust23THRUST_200600_302600_NS6detail15normal_iteratorINS9_10device_ptrIdEEEENS0_8identityIdEEEE10hipError_tT2_T3_mT4_P12ihipStream_tbEUlT_E_NS1_11comp_targetILNS1_3genE3ELNS1_11target_archE908ELNS1_3gpuE7ELNS1_3repE0EEENS1_30default_config_static_selectorELNS0_4arch9wavefront6targetE1EEEvT1_
    .private_segment_fixed_size: 0
    .sgpr_count:     6
    .sgpr_spill_count: 0
    .symbol:         _ZN7rocprim17ROCPRIM_400000_NS6detail17trampoline_kernelINS0_14default_configENS1_25transform_config_selectorIdLb0EEEZNS1_14transform_implILb0ES3_S5_PdN6thrust23THRUST_200600_302600_NS6detail15normal_iteratorINS9_10device_ptrIdEEEENS0_8identityIdEEEE10hipError_tT2_T3_mT4_P12ihipStream_tbEUlT_E_NS1_11comp_targetILNS1_3genE3ELNS1_11target_archE908ELNS1_3gpuE7ELNS1_3repE0EEENS1_30default_config_static_selectorELNS0_4arch9wavefront6targetE1EEEvT1_.kd
    .uniform_work_group_size: 1
    .uses_dynamic_stack: false
    .vgpr_count:     0
    .vgpr_spill_count: 0
    .wavefront_size: 64
  - .agpr_count:     0
    .args:
      - .offset:         0
        .size:           40
        .value_kind:     by_value
    .group_segment_fixed_size: 0
    .kernarg_segment_align: 8
    .kernarg_segment_size: 40
    .language:       OpenCL C
    .language_version:
      - 2
      - 0
    .max_flat_workgroup_size: 1024
    .name:           _ZN7rocprim17ROCPRIM_400000_NS6detail17trampoline_kernelINS0_14default_configENS1_25transform_config_selectorIdLb0EEEZNS1_14transform_implILb0ES3_S5_PdN6thrust23THRUST_200600_302600_NS6detail15normal_iteratorINS9_10device_ptrIdEEEENS0_8identityIdEEEE10hipError_tT2_T3_mT4_P12ihipStream_tbEUlT_E_NS1_11comp_targetILNS1_3genE2ELNS1_11target_archE906ELNS1_3gpuE6ELNS1_3repE0EEENS1_30default_config_static_selectorELNS0_4arch9wavefront6targetE1EEEvT1_
    .private_segment_fixed_size: 0
    .sgpr_count:     6
    .sgpr_spill_count: 0
    .symbol:         _ZN7rocprim17ROCPRIM_400000_NS6detail17trampoline_kernelINS0_14default_configENS1_25transform_config_selectorIdLb0EEEZNS1_14transform_implILb0ES3_S5_PdN6thrust23THRUST_200600_302600_NS6detail15normal_iteratorINS9_10device_ptrIdEEEENS0_8identityIdEEEE10hipError_tT2_T3_mT4_P12ihipStream_tbEUlT_E_NS1_11comp_targetILNS1_3genE2ELNS1_11target_archE906ELNS1_3gpuE6ELNS1_3repE0EEENS1_30default_config_static_selectorELNS0_4arch9wavefront6targetE1EEEvT1_.kd
    .uniform_work_group_size: 1
    .uses_dynamic_stack: false
    .vgpr_count:     0
    .vgpr_spill_count: 0
    .wavefront_size: 64
  - .agpr_count:     0
    .args:
      - .offset:         0
        .size:           40
        .value_kind:     by_value
    .group_segment_fixed_size: 0
    .kernarg_segment_align: 8
    .kernarg_segment_size: 40
    .language:       OpenCL C
    .language_version:
      - 2
      - 0
    .max_flat_workgroup_size: 64
    .name:           _ZN7rocprim17ROCPRIM_400000_NS6detail17trampoline_kernelINS0_14default_configENS1_25transform_config_selectorIdLb0EEEZNS1_14transform_implILb0ES3_S5_PdN6thrust23THRUST_200600_302600_NS6detail15normal_iteratorINS9_10device_ptrIdEEEENS0_8identityIdEEEE10hipError_tT2_T3_mT4_P12ihipStream_tbEUlT_E_NS1_11comp_targetILNS1_3genE10ELNS1_11target_archE1201ELNS1_3gpuE5ELNS1_3repE0EEENS1_30default_config_static_selectorELNS0_4arch9wavefront6targetE1EEEvT1_
    .private_segment_fixed_size: 0
    .sgpr_count:     6
    .sgpr_spill_count: 0
    .symbol:         _ZN7rocprim17ROCPRIM_400000_NS6detail17trampoline_kernelINS0_14default_configENS1_25transform_config_selectorIdLb0EEEZNS1_14transform_implILb0ES3_S5_PdN6thrust23THRUST_200600_302600_NS6detail15normal_iteratorINS9_10device_ptrIdEEEENS0_8identityIdEEEE10hipError_tT2_T3_mT4_P12ihipStream_tbEUlT_E_NS1_11comp_targetILNS1_3genE10ELNS1_11target_archE1201ELNS1_3gpuE5ELNS1_3repE0EEENS1_30default_config_static_selectorELNS0_4arch9wavefront6targetE1EEEvT1_.kd
    .uniform_work_group_size: 1
    .uses_dynamic_stack: false
    .vgpr_count:     0
    .vgpr_spill_count: 0
    .wavefront_size: 64
  - .agpr_count:     0
    .args:
      - .offset:         0
        .size:           40
        .value_kind:     by_value
    .group_segment_fixed_size: 0
    .kernarg_segment_align: 8
    .kernarg_segment_size: 40
    .language:       OpenCL C
    .language_version:
      - 2
      - 0
    .max_flat_workgroup_size: 512
    .name:           _ZN7rocprim17ROCPRIM_400000_NS6detail17trampoline_kernelINS0_14default_configENS1_25transform_config_selectorIdLb0EEEZNS1_14transform_implILb0ES3_S5_PdN6thrust23THRUST_200600_302600_NS6detail15normal_iteratorINS9_10device_ptrIdEEEENS0_8identityIdEEEE10hipError_tT2_T3_mT4_P12ihipStream_tbEUlT_E_NS1_11comp_targetILNS1_3genE10ELNS1_11target_archE1200ELNS1_3gpuE4ELNS1_3repE0EEENS1_30default_config_static_selectorELNS0_4arch9wavefront6targetE1EEEvT1_
    .private_segment_fixed_size: 0
    .sgpr_count:     6
    .sgpr_spill_count: 0
    .symbol:         _ZN7rocprim17ROCPRIM_400000_NS6detail17trampoline_kernelINS0_14default_configENS1_25transform_config_selectorIdLb0EEEZNS1_14transform_implILb0ES3_S5_PdN6thrust23THRUST_200600_302600_NS6detail15normal_iteratorINS9_10device_ptrIdEEEENS0_8identityIdEEEE10hipError_tT2_T3_mT4_P12ihipStream_tbEUlT_E_NS1_11comp_targetILNS1_3genE10ELNS1_11target_archE1200ELNS1_3gpuE4ELNS1_3repE0EEENS1_30default_config_static_selectorELNS0_4arch9wavefront6targetE1EEEvT1_.kd
    .uniform_work_group_size: 1
    .uses_dynamic_stack: false
    .vgpr_count:     0
    .vgpr_spill_count: 0
    .wavefront_size: 64
  - .agpr_count:     0
    .args:
      - .offset:         0
        .size:           40
        .value_kind:     by_value
    .group_segment_fixed_size: 0
    .kernarg_segment_align: 8
    .kernarg_segment_size: 40
    .language:       OpenCL C
    .language_version:
      - 2
      - 0
    .max_flat_workgroup_size: 512
    .name:           _ZN7rocprim17ROCPRIM_400000_NS6detail17trampoline_kernelINS0_14default_configENS1_25transform_config_selectorIdLb0EEEZNS1_14transform_implILb0ES3_S5_PdN6thrust23THRUST_200600_302600_NS6detail15normal_iteratorINS9_10device_ptrIdEEEENS0_8identityIdEEEE10hipError_tT2_T3_mT4_P12ihipStream_tbEUlT_E_NS1_11comp_targetILNS1_3genE9ELNS1_11target_archE1100ELNS1_3gpuE3ELNS1_3repE0EEENS1_30default_config_static_selectorELNS0_4arch9wavefront6targetE1EEEvT1_
    .private_segment_fixed_size: 0
    .sgpr_count:     6
    .sgpr_spill_count: 0
    .symbol:         _ZN7rocprim17ROCPRIM_400000_NS6detail17trampoline_kernelINS0_14default_configENS1_25transform_config_selectorIdLb0EEEZNS1_14transform_implILb0ES3_S5_PdN6thrust23THRUST_200600_302600_NS6detail15normal_iteratorINS9_10device_ptrIdEEEENS0_8identityIdEEEE10hipError_tT2_T3_mT4_P12ihipStream_tbEUlT_E_NS1_11comp_targetILNS1_3genE9ELNS1_11target_archE1100ELNS1_3gpuE3ELNS1_3repE0EEENS1_30default_config_static_selectorELNS0_4arch9wavefront6targetE1EEEvT1_.kd
    .uniform_work_group_size: 1
    .uses_dynamic_stack: false
    .vgpr_count:     0
    .vgpr_spill_count: 0
    .wavefront_size: 64
  - .agpr_count:     0
    .args:
      - .offset:         0
        .size:           40
        .value_kind:     by_value
    .group_segment_fixed_size: 0
    .kernarg_segment_align: 8
    .kernarg_segment_size: 40
    .language:       OpenCL C
    .language_version:
      - 2
      - 0
    .max_flat_workgroup_size: 512
    .name:           _ZN7rocprim17ROCPRIM_400000_NS6detail17trampoline_kernelINS0_14default_configENS1_25transform_config_selectorIdLb0EEEZNS1_14transform_implILb0ES3_S5_PdN6thrust23THRUST_200600_302600_NS6detail15normal_iteratorINS9_10device_ptrIdEEEENS0_8identityIdEEEE10hipError_tT2_T3_mT4_P12ihipStream_tbEUlT_E_NS1_11comp_targetILNS1_3genE8ELNS1_11target_archE1030ELNS1_3gpuE2ELNS1_3repE0EEENS1_30default_config_static_selectorELNS0_4arch9wavefront6targetE1EEEvT1_
    .private_segment_fixed_size: 0
    .sgpr_count:     6
    .sgpr_spill_count: 0
    .symbol:         _ZN7rocprim17ROCPRIM_400000_NS6detail17trampoline_kernelINS0_14default_configENS1_25transform_config_selectorIdLb0EEEZNS1_14transform_implILb0ES3_S5_PdN6thrust23THRUST_200600_302600_NS6detail15normal_iteratorINS9_10device_ptrIdEEEENS0_8identityIdEEEE10hipError_tT2_T3_mT4_P12ihipStream_tbEUlT_E_NS1_11comp_targetILNS1_3genE8ELNS1_11target_archE1030ELNS1_3gpuE2ELNS1_3repE0EEENS1_30default_config_static_selectorELNS0_4arch9wavefront6targetE1EEEvT1_.kd
    .uniform_work_group_size: 1
    .uses_dynamic_stack: false
    .vgpr_count:     0
    .vgpr_spill_count: 0
    .wavefront_size: 64
  - .agpr_count:     0
    .args:
      - .offset:         0
        .size:           40
        .value_kind:     by_value
    .group_segment_fixed_size: 0
    .kernarg_segment_align: 8
    .kernarg_segment_size: 40
    .language:       OpenCL C
    .language_version:
      - 2
      - 0
    .max_flat_workgroup_size: 512
    .name:           _ZN7rocprim17ROCPRIM_400000_NS6detail17trampoline_kernelINS0_14default_configENS1_35radix_sort_onesweep_config_selectorIddEEZNS1_34radix_sort_onesweep_global_offsetsIS3_Lb0EN6thrust23THRUST_200600_302600_NS6detail15normal_iteratorINS8_10device_ptrIdEEEESD_jNS0_19identity_decomposerEEE10hipError_tT1_T2_PT3_SI_jT4_jjP12ihipStream_tbEUlT_E_NS1_11comp_targetILNS1_3genE0ELNS1_11target_archE4294967295ELNS1_3gpuE0ELNS1_3repE0EEENS1_52radix_sort_onesweep_histogram_config_static_selectorELNS0_4arch9wavefront6targetE1EEEvSG_
    .private_segment_fixed_size: 0
    .sgpr_count:     6
    .sgpr_spill_count: 0
    .symbol:         _ZN7rocprim17ROCPRIM_400000_NS6detail17trampoline_kernelINS0_14default_configENS1_35radix_sort_onesweep_config_selectorIddEEZNS1_34radix_sort_onesweep_global_offsetsIS3_Lb0EN6thrust23THRUST_200600_302600_NS6detail15normal_iteratorINS8_10device_ptrIdEEEESD_jNS0_19identity_decomposerEEE10hipError_tT1_T2_PT3_SI_jT4_jjP12ihipStream_tbEUlT_E_NS1_11comp_targetILNS1_3genE0ELNS1_11target_archE4294967295ELNS1_3gpuE0ELNS1_3repE0EEENS1_52radix_sort_onesweep_histogram_config_static_selectorELNS0_4arch9wavefront6targetE1EEEvSG_.kd
    .uniform_work_group_size: 1
    .uses_dynamic_stack: false
    .vgpr_count:     0
    .vgpr_spill_count: 0
    .wavefront_size: 64
  - .agpr_count:     0
    .args:
      - .offset:         0
        .size:           40
        .value_kind:     by_value
    .group_segment_fixed_size: 32768
    .kernarg_segment_align: 8
    .kernarg_segment_size: 40
    .language:       OpenCL C
    .language_version:
      - 2
      - 0
    .max_flat_workgroup_size: 1024
    .name:           _ZN7rocprim17ROCPRIM_400000_NS6detail17trampoline_kernelINS0_14default_configENS1_35radix_sort_onesweep_config_selectorIddEEZNS1_34radix_sort_onesweep_global_offsetsIS3_Lb0EN6thrust23THRUST_200600_302600_NS6detail15normal_iteratorINS8_10device_ptrIdEEEESD_jNS0_19identity_decomposerEEE10hipError_tT1_T2_PT3_SI_jT4_jjP12ihipStream_tbEUlT_E_NS1_11comp_targetILNS1_3genE6ELNS1_11target_archE950ELNS1_3gpuE13ELNS1_3repE0EEENS1_52radix_sort_onesweep_histogram_config_static_selectorELNS0_4arch9wavefront6targetE1EEEvSG_
    .private_segment_fixed_size: 0
    .sgpr_count:     25
    .sgpr_spill_count: 0
    .symbol:         _ZN7rocprim17ROCPRIM_400000_NS6detail17trampoline_kernelINS0_14default_configENS1_35radix_sort_onesweep_config_selectorIddEEZNS1_34radix_sort_onesweep_global_offsetsIS3_Lb0EN6thrust23THRUST_200600_302600_NS6detail15normal_iteratorINS8_10device_ptrIdEEEESD_jNS0_19identity_decomposerEEE10hipError_tT1_T2_PT3_SI_jT4_jjP12ihipStream_tbEUlT_E_NS1_11comp_targetILNS1_3genE6ELNS1_11target_archE950ELNS1_3gpuE13ELNS1_3repE0EEENS1_52radix_sort_onesweep_histogram_config_static_selectorELNS0_4arch9wavefront6targetE1EEEvSG_.kd
    .uniform_work_group_size: 1
    .uses_dynamic_stack: false
    .vgpr_count:     29
    .vgpr_spill_count: 0
    .wavefront_size: 64
  - .agpr_count:     0
    .args:
      - .offset:         0
        .size:           40
        .value_kind:     by_value
    .group_segment_fixed_size: 0
    .kernarg_segment_align: 8
    .kernarg_segment_size: 40
    .language:       OpenCL C
    .language_version:
      - 2
      - 0
    .max_flat_workgroup_size: 1024
    .name:           _ZN7rocprim17ROCPRIM_400000_NS6detail17trampoline_kernelINS0_14default_configENS1_35radix_sort_onesweep_config_selectorIddEEZNS1_34radix_sort_onesweep_global_offsetsIS3_Lb0EN6thrust23THRUST_200600_302600_NS6detail15normal_iteratorINS8_10device_ptrIdEEEESD_jNS0_19identity_decomposerEEE10hipError_tT1_T2_PT3_SI_jT4_jjP12ihipStream_tbEUlT_E_NS1_11comp_targetILNS1_3genE5ELNS1_11target_archE942ELNS1_3gpuE9ELNS1_3repE0EEENS1_52radix_sort_onesweep_histogram_config_static_selectorELNS0_4arch9wavefront6targetE1EEEvSG_
    .private_segment_fixed_size: 0
    .sgpr_count:     6
    .sgpr_spill_count: 0
    .symbol:         _ZN7rocprim17ROCPRIM_400000_NS6detail17trampoline_kernelINS0_14default_configENS1_35radix_sort_onesweep_config_selectorIddEEZNS1_34radix_sort_onesweep_global_offsetsIS3_Lb0EN6thrust23THRUST_200600_302600_NS6detail15normal_iteratorINS8_10device_ptrIdEEEESD_jNS0_19identity_decomposerEEE10hipError_tT1_T2_PT3_SI_jT4_jjP12ihipStream_tbEUlT_E_NS1_11comp_targetILNS1_3genE5ELNS1_11target_archE942ELNS1_3gpuE9ELNS1_3repE0EEENS1_52radix_sort_onesweep_histogram_config_static_selectorELNS0_4arch9wavefront6targetE1EEEvSG_.kd
    .uniform_work_group_size: 1
    .uses_dynamic_stack: false
    .vgpr_count:     0
    .vgpr_spill_count: 0
    .wavefront_size: 64
  - .agpr_count:     0
    .args:
      - .offset:         0
        .size:           40
        .value_kind:     by_value
    .group_segment_fixed_size: 0
    .kernarg_segment_align: 8
    .kernarg_segment_size: 40
    .language:       OpenCL C
    .language_version:
      - 2
      - 0
    .max_flat_workgroup_size: 512
    .name:           _ZN7rocprim17ROCPRIM_400000_NS6detail17trampoline_kernelINS0_14default_configENS1_35radix_sort_onesweep_config_selectorIddEEZNS1_34radix_sort_onesweep_global_offsetsIS3_Lb0EN6thrust23THRUST_200600_302600_NS6detail15normal_iteratorINS8_10device_ptrIdEEEESD_jNS0_19identity_decomposerEEE10hipError_tT1_T2_PT3_SI_jT4_jjP12ihipStream_tbEUlT_E_NS1_11comp_targetILNS1_3genE2ELNS1_11target_archE906ELNS1_3gpuE6ELNS1_3repE0EEENS1_52radix_sort_onesweep_histogram_config_static_selectorELNS0_4arch9wavefront6targetE1EEEvSG_
    .private_segment_fixed_size: 0
    .sgpr_count:     6
    .sgpr_spill_count: 0
    .symbol:         _ZN7rocprim17ROCPRIM_400000_NS6detail17trampoline_kernelINS0_14default_configENS1_35radix_sort_onesweep_config_selectorIddEEZNS1_34radix_sort_onesweep_global_offsetsIS3_Lb0EN6thrust23THRUST_200600_302600_NS6detail15normal_iteratorINS8_10device_ptrIdEEEESD_jNS0_19identity_decomposerEEE10hipError_tT1_T2_PT3_SI_jT4_jjP12ihipStream_tbEUlT_E_NS1_11comp_targetILNS1_3genE2ELNS1_11target_archE906ELNS1_3gpuE6ELNS1_3repE0EEENS1_52radix_sort_onesweep_histogram_config_static_selectorELNS0_4arch9wavefront6targetE1EEEvSG_.kd
    .uniform_work_group_size: 1
    .uses_dynamic_stack: false
    .vgpr_count:     0
    .vgpr_spill_count: 0
    .wavefront_size: 64
  - .agpr_count:     0
    .args:
      - .offset:         0
        .size:           40
        .value_kind:     by_value
    .group_segment_fixed_size: 0
    .kernarg_segment_align: 8
    .kernarg_segment_size: 40
    .language:       OpenCL C
    .language_version:
      - 2
      - 0
    .max_flat_workgroup_size: 1024
    .name:           _ZN7rocprim17ROCPRIM_400000_NS6detail17trampoline_kernelINS0_14default_configENS1_35radix_sort_onesweep_config_selectorIddEEZNS1_34radix_sort_onesweep_global_offsetsIS3_Lb0EN6thrust23THRUST_200600_302600_NS6detail15normal_iteratorINS8_10device_ptrIdEEEESD_jNS0_19identity_decomposerEEE10hipError_tT1_T2_PT3_SI_jT4_jjP12ihipStream_tbEUlT_E_NS1_11comp_targetILNS1_3genE4ELNS1_11target_archE910ELNS1_3gpuE8ELNS1_3repE0EEENS1_52radix_sort_onesweep_histogram_config_static_selectorELNS0_4arch9wavefront6targetE1EEEvSG_
    .private_segment_fixed_size: 0
    .sgpr_count:     6
    .sgpr_spill_count: 0
    .symbol:         _ZN7rocprim17ROCPRIM_400000_NS6detail17trampoline_kernelINS0_14default_configENS1_35radix_sort_onesweep_config_selectorIddEEZNS1_34radix_sort_onesweep_global_offsetsIS3_Lb0EN6thrust23THRUST_200600_302600_NS6detail15normal_iteratorINS8_10device_ptrIdEEEESD_jNS0_19identity_decomposerEEE10hipError_tT1_T2_PT3_SI_jT4_jjP12ihipStream_tbEUlT_E_NS1_11comp_targetILNS1_3genE4ELNS1_11target_archE910ELNS1_3gpuE8ELNS1_3repE0EEENS1_52radix_sort_onesweep_histogram_config_static_selectorELNS0_4arch9wavefront6targetE1EEEvSG_.kd
    .uniform_work_group_size: 1
    .uses_dynamic_stack: false
    .vgpr_count:     0
    .vgpr_spill_count: 0
    .wavefront_size: 64
  - .agpr_count:     0
    .args:
      - .offset:         0
        .size:           40
        .value_kind:     by_value
    .group_segment_fixed_size: 0
    .kernarg_segment_align: 8
    .kernarg_segment_size: 40
    .language:       OpenCL C
    .language_version:
      - 2
      - 0
    .max_flat_workgroup_size: 512
    .name:           _ZN7rocprim17ROCPRIM_400000_NS6detail17trampoline_kernelINS0_14default_configENS1_35radix_sort_onesweep_config_selectorIddEEZNS1_34radix_sort_onesweep_global_offsetsIS3_Lb0EN6thrust23THRUST_200600_302600_NS6detail15normal_iteratorINS8_10device_ptrIdEEEESD_jNS0_19identity_decomposerEEE10hipError_tT1_T2_PT3_SI_jT4_jjP12ihipStream_tbEUlT_E_NS1_11comp_targetILNS1_3genE3ELNS1_11target_archE908ELNS1_3gpuE7ELNS1_3repE0EEENS1_52radix_sort_onesweep_histogram_config_static_selectorELNS0_4arch9wavefront6targetE1EEEvSG_
    .private_segment_fixed_size: 0
    .sgpr_count:     6
    .sgpr_spill_count: 0
    .symbol:         _ZN7rocprim17ROCPRIM_400000_NS6detail17trampoline_kernelINS0_14default_configENS1_35radix_sort_onesweep_config_selectorIddEEZNS1_34radix_sort_onesweep_global_offsetsIS3_Lb0EN6thrust23THRUST_200600_302600_NS6detail15normal_iteratorINS8_10device_ptrIdEEEESD_jNS0_19identity_decomposerEEE10hipError_tT1_T2_PT3_SI_jT4_jjP12ihipStream_tbEUlT_E_NS1_11comp_targetILNS1_3genE3ELNS1_11target_archE908ELNS1_3gpuE7ELNS1_3repE0EEENS1_52radix_sort_onesweep_histogram_config_static_selectorELNS0_4arch9wavefront6targetE1EEEvSG_.kd
    .uniform_work_group_size: 1
    .uses_dynamic_stack: false
    .vgpr_count:     0
    .vgpr_spill_count: 0
    .wavefront_size: 64
  - .agpr_count:     0
    .args:
      - .offset:         0
        .size:           40
        .value_kind:     by_value
    .group_segment_fixed_size: 0
    .kernarg_segment_align: 8
    .kernarg_segment_size: 40
    .language:       OpenCL C
    .language_version:
      - 2
      - 0
    .max_flat_workgroup_size: 1024
    .name:           _ZN7rocprim17ROCPRIM_400000_NS6detail17trampoline_kernelINS0_14default_configENS1_35radix_sort_onesweep_config_selectorIddEEZNS1_34radix_sort_onesweep_global_offsetsIS3_Lb0EN6thrust23THRUST_200600_302600_NS6detail15normal_iteratorINS8_10device_ptrIdEEEESD_jNS0_19identity_decomposerEEE10hipError_tT1_T2_PT3_SI_jT4_jjP12ihipStream_tbEUlT_E_NS1_11comp_targetILNS1_3genE10ELNS1_11target_archE1201ELNS1_3gpuE5ELNS1_3repE0EEENS1_52radix_sort_onesweep_histogram_config_static_selectorELNS0_4arch9wavefront6targetE1EEEvSG_
    .private_segment_fixed_size: 0
    .sgpr_count:     6
    .sgpr_spill_count: 0
    .symbol:         _ZN7rocprim17ROCPRIM_400000_NS6detail17trampoline_kernelINS0_14default_configENS1_35radix_sort_onesweep_config_selectorIddEEZNS1_34radix_sort_onesweep_global_offsetsIS3_Lb0EN6thrust23THRUST_200600_302600_NS6detail15normal_iteratorINS8_10device_ptrIdEEEESD_jNS0_19identity_decomposerEEE10hipError_tT1_T2_PT3_SI_jT4_jjP12ihipStream_tbEUlT_E_NS1_11comp_targetILNS1_3genE10ELNS1_11target_archE1201ELNS1_3gpuE5ELNS1_3repE0EEENS1_52radix_sort_onesweep_histogram_config_static_selectorELNS0_4arch9wavefront6targetE1EEEvSG_.kd
    .uniform_work_group_size: 1
    .uses_dynamic_stack: false
    .vgpr_count:     0
    .vgpr_spill_count: 0
    .wavefront_size: 64
  - .agpr_count:     0
    .args:
      - .offset:         0
        .size:           40
        .value_kind:     by_value
    .group_segment_fixed_size: 0
    .kernarg_segment_align: 8
    .kernarg_segment_size: 40
    .language:       OpenCL C
    .language_version:
      - 2
      - 0
    .max_flat_workgroup_size: 1024
    .name:           _ZN7rocprim17ROCPRIM_400000_NS6detail17trampoline_kernelINS0_14default_configENS1_35radix_sort_onesweep_config_selectorIddEEZNS1_34radix_sort_onesweep_global_offsetsIS3_Lb0EN6thrust23THRUST_200600_302600_NS6detail15normal_iteratorINS8_10device_ptrIdEEEESD_jNS0_19identity_decomposerEEE10hipError_tT1_T2_PT3_SI_jT4_jjP12ihipStream_tbEUlT_E_NS1_11comp_targetILNS1_3genE9ELNS1_11target_archE1100ELNS1_3gpuE3ELNS1_3repE0EEENS1_52radix_sort_onesweep_histogram_config_static_selectorELNS0_4arch9wavefront6targetE1EEEvSG_
    .private_segment_fixed_size: 0
    .sgpr_count:     6
    .sgpr_spill_count: 0
    .symbol:         _ZN7rocprim17ROCPRIM_400000_NS6detail17trampoline_kernelINS0_14default_configENS1_35radix_sort_onesweep_config_selectorIddEEZNS1_34radix_sort_onesweep_global_offsetsIS3_Lb0EN6thrust23THRUST_200600_302600_NS6detail15normal_iteratorINS8_10device_ptrIdEEEESD_jNS0_19identity_decomposerEEE10hipError_tT1_T2_PT3_SI_jT4_jjP12ihipStream_tbEUlT_E_NS1_11comp_targetILNS1_3genE9ELNS1_11target_archE1100ELNS1_3gpuE3ELNS1_3repE0EEENS1_52radix_sort_onesweep_histogram_config_static_selectorELNS0_4arch9wavefront6targetE1EEEvSG_.kd
    .uniform_work_group_size: 1
    .uses_dynamic_stack: false
    .vgpr_count:     0
    .vgpr_spill_count: 0
    .wavefront_size: 64
  - .agpr_count:     0
    .args:
      - .offset:         0
        .size:           40
        .value_kind:     by_value
    .group_segment_fixed_size: 0
    .kernarg_segment_align: 8
    .kernarg_segment_size: 40
    .language:       OpenCL C
    .language_version:
      - 2
      - 0
    .max_flat_workgroup_size: 1024
    .name:           _ZN7rocprim17ROCPRIM_400000_NS6detail17trampoline_kernelINS0_14default_configENS1_35radix_sort_onesweep_config_selectorIddEEZNS1_34radix_sort_onesweep_global_offsetsIS3_Lb0EN6thrust23THRUST_200600_302600_NS6detail15normal_iteratorINS8_10device_ptrIdEEEESD_jNS0_19identity_decomposerEEE10hipError_tT1_T2_PT3_SI_jT4_jjP12ihipStream_tbEUlT_E_NS1_11comp_targetILNS1_3genE8ELNS1_11target_archE1030ELNS1_3gpuE2ELNS1_3repE0EEENS1_52radix_sort_onesweep_histogram_config_static_selectorELNS0_4arch9wavefront6targetE1EEEvSG_
    .private_segment_fixed_size: 0
    .sgpr_count:     6
    .sgpr_spill_count: 0
    .symbol:         _ZN7rocprim17ROCPRIM_400000_NS6detail17trampoline_kernelINS0_14default_configENS1_35radix_sort_onesweep_config_selectorIddEEZNS1_34radix_sort_onesweep_global_offsetsIS3_Lb0EN6thrust23THRUST_200600_302600_NS6detail15normal_iteratorINS8_10device_ptrIdEEEESD_jNS0_19identity_decomposerEEE10hipError_tT1_T2_PT3_SI_jT4_jjP12ihipStream_tbEUlT_E_NS1_11comp_targetILNS1_3genE8ELNS1_11target_archE1030ELNS1_3gpuE2ELNS1_3repE0EEENS1_52radix_sort_onesweep_histogram_config_static_selectorELNS0_4arch9wavefront6targetE1EEEvSG_.kd
    .uniform_work_group_size: 1
    .uses_dynamic_stack: false
    .vgpr_count:     0
    .vgpr_spill_count: 0
    .wavefront_size: 64
  - .agpr_count:     0
    .args:
      - .address_space:  global
        .offset:         0
        .size:           8
        .value_kind:     global_buffer
    .group_segment_fixed_size: 0
    .kernarg_segment_align: 8
    .kernarg_segment_size: 8
    .language:       OpenCL C
    .language_version:
      - 2
      - 0
    .max_flat_workgroup_size: 512
    .name:           _ZN7rocprim17ROCPRIM_400000_NS6detail17trampoline_kernelINS0_14default_configENS1_35radix_sort_onesweep_config_selectorIddEEZNS1_34radix_sort_onesweep_global_offsetsIS3_Lb0EN6thrust23THRUST_200600_302600_NS6detail15normal_iteratorINS8_10device_ptrIdEEEESD_jNS0_19identity_decomposerEEE10hipError_tT1_T2_PT3_SI_jT4_jjP12ihipStream_tbEUlT_E0_NS1_11comp_targetILNS1_3genE0ELNS1_11target_archE4294967295ELNS1_3gpuE0ELNS1_3repE0EEENS1_52radix_sort_onesweep_histogram_config_static_selectorELNS0_4arch9wavefront6targetE1EEEvSG_
    .private_segment_fixed_size: 0
    .sgpr_count:     6
    .sgpr_spill_count: 0
    .symbol:         _ZN7rocprim17ROCPRIM_400000_NS6detail17trampoline_kernelINS0_14default_configENS1_35radix_sort_onesweep_config_selectorIddEEZNS1_34radix_sort_onesweep_global_offsetsIS3_Lb0EN6thrust23THRUST_200600_302600_NS6detail15normal_iteratorINS8_10device_ptrIdEEEESD_jNS0_19identity_decomposerEEE10hipError_tT1_T2_PT3_SI_jT4_jjP12ihipStream_tbEUlT_E0_NS1_11comp_targetILNS1_3genE0ELNS1_11target_archE4294967295ELNS1_3gpuE0ELNS1_3repE0EEENS1_52radix_sort_onesweep_histogram_config_static_selectorELNS0_4arch9wavefront6targetE1EEEvSG_.kd
    .uniform_work_group_size: 1
    .uses_dynamic_stack: false
    .vgpr_count:     0
    .vgpr_spill_count: 0
    .wavefront_size: 64
  - .agpr_count:     0
    .args:
      - .address_space:  global
        .offset:         0
        .size:           8
        .value_kind:     global_buffer
    .group_segment_fixed_size: 64
    .kernarg_segment_align: 8
    .kernarg_segment_size: 8
    .language:       OpenCL C
    .language_version:
      - 2
      - 0
    .max_flat_workgroup_size: 1024
    .name:           _ZN7rocprim17ROCPRIM_400000_NS6detail17trampoline_kernelINS0_14default_configENS1_35radix_sort_onesweep_config_selectorIddEEZNS1_34radix_sort_onesweep_global_offsetsIS3_Lb0EN6thrust23THRUST_200600_302600_NS6detail15normal_iteratorINS8_10device_ptrIdEEEESD_jNS0_19identity_decomposerEEE10hipError_tT1_T2_PT3_SI_jT4_jjP12ihipStream_tbEUlT_E0_NS1_11comp_targetILNS1_3genE6ELNS1_11target_archE950ELNS1_3gpuE13ELNS1_3repE0EEENS1_52radix_sort_onesweep_histogram_config_static_selectorELNS0_4arch9wavefront6targetE1EEEvSG_
    .private_segment_fixed_size: 0
    .sgpr_count:     20
    .sgpr_spill_count: 0
    .symbol:         _ZN7rocprim17ROCPRIM_400000_NS6detail17trampoline_kernelINS0_14default_configENS1_35radix_sort_onesweep_config_selectorIddEEZNS1_34radix_sort_onesweep_global_offsetsIS3_Lb0EN6thrust23THRUST_200600_302600_NS6detail15normal_iteratorINS8_10device_ptrIdEEEESD_jNS0_19identity_decomposerEEE10hipError_tT1_T2_PT3_SI_jT4_jjP12ihipStream_tbEUlT_E0_NS1_11comp_targetILNS1_3genE6ELNS1_11target_archE950ELNS1_3gpuE13ELNS1_3repE0EEENS1_52radix_sort_onesweep_histogram_config_static_selectorELNS0_4arch9wavefront6targetE1EEEvSG_.kd
    .uniform_work_group_size: 1
    .uses_dynamic_stack: false
    .vgpr_count:     7
    .vgpr_spill_count: 0
    .wavefront_size: 64
  - .agpr_count:     0
    .args:
      - .address_space:  global
        .offset:         0
        .size:           8
        .value_kind:     global_buffer
    .group_segment_fixed_size: 0
    .kernarg_segment_align: 8
    .kernarg_segment_size: 8
    .language:       OpenCL C
    .language_version:
      - 2
      - 0
    .max_flat_workgroup_size: 1024
    .name:           _ZN7rocprim17ROCPRIM_400000_NS6detail17trampoline_kernelINS0_14default_configENS1_35radix_sort_onesweep_config_selectorIddEEZNS1_34radix_sort_onesweep_global_offsetsIS3_Lb0EN6thrust23THRUST_200600_302600_NS6detail15normal_iteratorINS8_10device_ptrIdEEEESD_jNS0_19identity_decomposerEEE10hipError_tT1_T2_PT3_SI_jT4_jjP12ihipStream_tbEUlT_E0_NS1_11comp_targetILNS1_3genE5ELNS1_11target_archE942ELNS1_3gpuE9ELNS1_3repE0EEENS1_52radix_sort_onesweep_histogram_config_static_selectorELNS0_4arch9wavefront6targetE1EEEvSG_
    .private_segment_fixed_size: 0
    .sgpr_count:     6
    .sgpr_spill_count: 0
    .symbol:         _ZN7rocprim17ROCPRIM_400000_NS6detail17trampoline_kernelINS0_14default_configENS1_35radix_sort_onesweep_config_selectorIddEEZNS1_34radix_sort_onesweep_global_offsetsIS3_Lb0EN6thrust23THRUST_200600_302600_NS6detail15normal_iteratorINS8_10device_ptrIdEEEESD_jNS0_19identity_decomposerEEE10hipError_tT1_T2_PT3_SI_jT4_jjP12ihipStream_tbEUlT_E0_NS1_11comp_targetILNS1_3genE5ELNS1_11target_archE942ELNS1_3gpuE9ELNS1_3repE0EEENS1_52radix_sort_onesweep_histogram_config_static_selectorELNS0_4arch9wavefront6targetE1EEEvSG_.kd
    .uniform_work_group_size: 1
    .uses_dynamic_stack: false
    .vgpr_count:     0
    .vgpr_spill_count: 0
    .wavefront_size: 64
  - .agpr_count:     0
    .args:
      - .address_space:  global
        .offset:         0
        .size:           8
        .value_kind:     global_buffer
    .group_segment_fixed_size: 0
    .kernarg_segment_align: 8
    .kernarg_segment_size: 8
    .language:       OpenCL C
    .language_version:
      - 2
      - 0
    .max_flat_workgroup_size: 512
    .name:           _ZN7rocprim17ROCPRIM_400000_NS6detail17trampoline_kernelINS0_14default_configENS1_35radix_sort_onesweep_config_selectorIddEEZNS1_34radix_sort_onesweep_global_offsetsIS3_Lb0EN6thrust23THRUST_200600_302600_NS6detail15normal_iteratorINS8_10device_ptrIdEEEESD_jNS0_19identity_decomposerEEE10hipError_tT1_T2_PT3_SI_jT4_jjP12ihipStream_tbEUlT_E0_NS1_11comp_targetILNS1_3genE2ELNS1_11target_archE906ELNS1_3gpuE6ELNS1_3repE0EEENS1_52radix_sort_onesweep_histogram_config_static_selectorELNS0_4arch9wavefront6targetE1EEEvSG_
    .private_segment_fixed_size: 0
    .sgpr_count:     6
    .sgpr_spill_count: 0
    .symbol:         _ZN7rocprim17ROCPRIM_400000_NS6detail17trampoline_kernelINS0_14default_configENS1_35radix_sort_onesweep_config_selectorIddEEZNS1_34radix_sort_onesweep_global_offsetsIS3_Lb0EN6thrust23THRUST_200600_302600_NS6detail15normal_iteratorINS8_10device_ptrIdEEEESD_jNS0_19identity_decomposerEEE10hipError_tT1_T2_PT3_SI_jT4_jjP12ihipStream_tbEUlT_E0_NS1_11comp_targetILNS1_3genE2ELNS1_11target_archE906ELNS1_3gpuE6ELNS1_3repE0EEENS1_52radix_sort_onesweep_histogram_config_static_selectorELNS0_4arch9wavefront6targetE1EEEvSG_.kd
    .uniform_work_group_size: 1
    .uses_dynamic_stack: false
    .vgpr_count:     0
    .vgpr_spill_count: 0
    .wavefront_size: 64
  - .agpr_count:     0
    .args:
      - .address_space:  global
        .offset:         0
        .size:           8
        .value_kind:     global_buffer
    .group_segment_fixed_size: 0
    .kernarg_segment_align: 8
    .kernarg_segment_size: 8
    .language:       OpenCL C
    .language_version:
      - 2
      - 0
    .max_flat_workgroup_size: 1024
    .name:           _ZN7rocprim17ROCPRIM_400000_NS6detail17trampoline_kernelINS0_14default_configENS1_35radix_sort_onesweep_config_selectorIddEEZNS1_34radix_sort_onesweep_global_offsetsIS3_Lb0EN6thrust23THRUST_200600_302600_NS6detail15normal_iteratorINS8_10device_ptrIdEEEESD_jNS0_19identity_decomposerEEE10hipError_tT1_T2_PT3_SI_jT4_jjP12ihipStream_tbEUlT_E0_NS1_11comp_targetILNS1_3genE4ELNS1_11target_archE910ELNS1_3gpuE8ELNS1_3repE0EEENS1_52radix_sort_onesweep_histogram_config_static_selectorELNS0_4arch9wavefront6targetE1EEEvSG_
    .private_segment_fixed_size: 0
    .sgpr_count:     6
    .sgpr_spill_count: 0
    .symbol:         _ZN7rocprim17ROCPRIM_400000_NS6detail17trampoline_kernelINS0_14default_configENS1_35radix_sort_onesweep_config_selectorIddEEZNS1_34radix_sort_onesweep_global_offsetsIS3_Lb0EN6thrust23THRUST_200600_302600_NS6detail15normal_iteratorINS8_10device_ptrIdEEEESD_jNS0_19identity_decomposerEEE10hipError_tT1_T2_PT3_SI_jT4_jjP12ihipStream_tbEUlT_E0_NS1_11comp_targetILNS1_3genE4ELNS1_11target_archE910ELNS1_3gpuE8ELNS1_3repE0EEENS1_52radix_sort_onesweep_histogram_config_static_selectorELNS0_4arch9wavefront6targetE1EEEvSG_.kd
    .uniform_work_group_size: 1
    .uses_dynamic_stack: false
    .vgpr_count:     0
    .vgpr_spill_count: 0
    .wavefront_size: 64
  - .agpr_count:     0
    .args:
      - .address_space:  global
        .offset:         0
        .size:           8
        .value_kind:     global_buffer
    .group_segment_fixed_size: 0
    .kernarg_segment_align: 8
    .kernarg_segment_size: 8
    .language:       OpenCL C
    .language_version:
      - 2
      - 0
    .max_flat_workgroup_size: 512
    .name:           _ZN7rocprim17ROCPRIM_400000_NS6detail17trampoline_kernelINS0_14default_configENS1_35radix_sort_onesweep_config_selectorIddEEZNS1_34radix_sort_onesweep_global_offsetsIS3_Lb0EN6thrust23THRUST_200600_302600_NS6detail15normal_iteratorINS8_10device_ptrIdEEEESD_jNS0_19identity_decomposerEEE10hipError_tT1_T2_PT3_SI_jT4_jjP12ihipStream_tbEUlT_E0_NS1_11comp_targetILNS1_3genE3ELNS1_11target_archE908ELNS1_3gpuE7ELNS1_3repE0EEENS1_52radix_sort_onesweep_histogram_config_static_selectorELNS0_4arch9wavefront6targetE1EEEvSG_
    .private_segment_fixed_size: 0
    .sgpr_count:     6
    .sgpr_spill_count: 0
    .symbol:         _ZN7rocprim17ROCPRIM_400000_NS6detail17trampoline_kernelINS0_14default_configENS1_35radix_sort_onesweep_config_selectorIddEEZNS1_34radix_sort_onesweep_global_offsetsIS3_Lb0EN6thrust23THRUST_200600_302600_NS6detail15normal_iteratorINS8_10device_ptrIdEEEESD_jNS0_19identity_decomposerEEE10hipError_tT1_T2_PT3_SI_jT4_jjP12ihipStream_tbEUlT_E0_NS1_11comp_targetILNS1_3genE3ELNS1_11target_archE908ELNS1_3gpuE7ELNS1_3repE0EEENS1_52radix_sort_onesweep_histogram_config_static_selectorELNS0_4arch9wavefront6targetE1EEEvSG_.kd
    .uniform_work_group_size: 1
    .uses_dynamic_stack: false
    .vgpr_count:     0
    .vgpr_spill_count: 0
    .wavefront_size: 64
  - .agpr_count:     0
    .args:
      - .address_space:  global
        .offset:         0
        .size:           8
        .value_kind:     global_buffer
    .group_segment_fixed_size: 0
    .kernarg_segment_align: 8
    .kernarg_segment_size: 8
    .language:       OpenCL C
    .language_version:
      - 2
      - 0
    .max_flat_workgroup_size: 1024
    .name:           _ZN7rocprim17ROCPRIM_400000_NS6detail17trampoline_kernelINS0_14default_configENS1_35radix_sort_onesweep_config_selectorIddEEZNS1_34radix_sort_onesweep_global_offsetsIS3_Lb0EN6thrust23THRUST_200600_302600_NS6detail15normal_iteratorINS8_10device_ptrIdEEEESD_jNS0_19identity_decomposerEEE10hipError_tT1_T2_PT3_SI_jT4_jjP12ihipStream_tbEUlT_E0_NS1_11comp_targetILNS1_3genE10ELNS1_11target_archE1201ELNS1_3gpuE5ELNS1_3repE0EEENS1_52radix_sort_onesweep_histogram_config_static_selectorELNS0_4arch9wavefront6targetE1EEEvSG_
    .private_segment_fixed_size: 0
    .sgpr_count:     6
    .sgpr_spill_count: 0
    .symbol:         _ZN7rocprim17ROCPRIM_400000_NS6detail17trampoline_kernelINS0_14default_configENS1_35radix_sort_onesweep_config_selectorIddEEZNS1_34radix_sort_onesweep_global_offsetsIS3_Lb0EN6thrust23THRUST_200600_302600_NS6detail15normal_iteratorINS8_10device_ptrIdEEEESD_jNS0_19identity_decomposerEEE10hipError_tT1_T2_PT3_SI_jT4_jjP12ihipStream_tbEUlT_E0_NS1_11comp_targetILNS1_3genE10ELNS1_11target_archE1201ELNS1_3gpuE5ELNS1_3repE0EEENS1_52radix_sort_onesweep_histogram_config_static_selectorELNS0_4arch9wavefront6targetE1EEEvSG_.kd
    .uniform_work_group_size: 1
    .uses_dynamic_stack: false
    .vgpr_count:     0
    .vgpr_spill_count: 0
    .wavefront_size: 64
  - .agpr_count:     0
    .args:
      - .address_space:  global
        .offset:         0
        .size:           8
        .value_kind:     global_buffer
    .group_segment_fixed_size: 0
    .kernarg_segment_align: 8
    .kernarg_segment_size: 8
    .language:       OpenCL C
    .language_version:
      - 2
      - 0
    .max_flat_workgroup_size: 1024
    .name:           _ZN7rocprim17ROCPRIM_400000_NS6detail17trampoline_kernelINS0_14default_configENS1_35radix_sort_onesweep_config_selectorIddEEZNS1_34radix_sort_onesweep_global_offsetsIS3_Lb0EN6thrust23THRUST_200600_302600_NS6detail15normal_iteratorINS8_10device_ptrIdEEEESD_jNS0_19identity_decomposerEEE10hipError_tT1_T2_PT3_SI_jT4_jjP12ihipStream_tbEUlT_E0_NS1_11comp_targetILNS1_3genE9ELNS1_11target_archE1100ELNS1_3gpuE3ELNS1_3repE0EEENS1_52radix_sort_onesweep_histogram_config_static_selectorELNS0_4arch9wavefront6targetE1EEEvSG_
    .private_segment_fixed_size: 0
    .sgpr_count:     6
    .sgpr_spill_count: 0
    .symbol:         _ZN7rocprim17ROCPRIM_400000_NS6detail17trampoline_kernelINS0_14default_configENS1_35radix_sort_onesweep_config_selectorIddEEZNS1_34radix_sort_onesweep_global_offsetsIS3_Lb0EN6thrust23THRUST_200600_302600_NS6detail15normal_iteratorINS8_10device_ptrIdEEEESD_jNS0_19identity_decomposerEEE10hipError_tT1_T2_PT3_SI_jT4_jjP12ihipStream_tbEUlT_E0_NS1_11comp_targetILNS1_3genE9ELNS1_11target_archE1100ELNS1_3gpuE3ELNS1_3repE0EEENS1_52radix_sort_onesweep_histogram_config_static_selectorELNS0_4arch9wavefront6targetE1EEEvSG_.kd
    .uniform_work_group_size: 1
    .uses_dynamic_stack: false
    .vgpr_count:     0
    .vgpr_spill_count: 0
    .wavefront_size: 64
  - .agpr_count:     0
    .args:
      - .address_space:  global
        .offset:         0
        .size:           8
        .value_kind:     global_buffer
    .group_segment_fixed_size: 0
    .kernarg_segment_align: 8
    .kernarg_segment_size: 8
    .language:       OpenCL C
    .language_version:
      - 2
      - 0
    .max_flat_workgroup_size: 1024
    .name:           _ZN7rocprim17ROCPRIM_400000_NS6detail17trampoline_kernelINS0_14default_configENS1_35radix_sort_onesweep_config_selectorIddEEZNS1_34radix_sort_onesweep_global_offsetsIS3_Lb0EN6thrust23THRUST_200600_302600_NS6detail15normal_iteratorINS8_10device_ptrIdEEEESD_jNS0_19identity_decomposerEEE10hipError_tT1_T2_PT3_SI_jT4_jjP12ihipStream_tbEUlT_E0_NS1_11comp_targetILNS1_3genE8ELNS1_11target_archE1030ELNS1_3gpuE2ELNS1_3repE0EEENS1_52radix_sort_onesweep_histogram_config_static_selectorELNS0_4arch9wavefront6targetE1EEEvSG_
    .private_segment_fixed_size: 0
    .sgpr_count:     6
    .sgpr_spill_count: 0
    .symbol:         _ZN7rocprim17ROCPRIM_400000_NS6detail17trampoline_kernelINS0_14default_configENS1_35radix_sort_onesweep_config_selectorIddEEZNS1_34radix_sort_onesweep_global_offsetsIS3_Lb0EN6thrust23THRUST_200600_302600_NS6detail15normal_iteratorINS8_10device_ptrIdEEEESD_jNS0_19identity_decomposerEEE10hipError_tT1_T2_PT3_SI_jT4_jjP12ihipStream_tbEUlT_E0_NS1_11comp_targetILNS1_3genE8ELNS1_11target_archE1030ELNS1_3gpuE2ELNS1_3repE0EEENS1_52radix_sort_onesweep_histogram_config_static_selectorELNS0_4arch9wavefront6targetE1EEEvSG_.kd
    .uniform_work_group_size: 1
    .uses_dynamic_stack: false
    .vgpr_count:     0
    .vgpr_spill_count: 0
    .wavefront_size: 64
  - .agpr_count:     0
    .args:
      - .offset:         0
        .size:           40
        .value_kind:     by_value
      - .offset:         40
        .size:           4
        .value_kind:     hidden_block_count_x
      - .offset:         44
        .size:           4
        .value_kind:     hidden_block_count_y
      - .offset:         48
        .size:           4
        .value_kind:     hidden_block_count_z
      - .offset:         52
        .size:           2
        .value_kind:     hidden_group_size_x
      - .offset:         54
        .size:           2
        .value_kind:     hidden_group_size_y
      - .offset:         56
        .size:           2
        .value_kind:     hidden_group_size_z
      - .offset:         58
        .size:           2
        .value_kind:     hidden_remainder_x
      - .offset:         60
        .size:           2
        .value_kind:     hidden_remainder_y
      - .offset:         62
        .size:           2
        .value_kind:     hidden_remainder_z
      - .offset:         80
        .size:           8
        .value_kind:     hidden_global_offset_x
      - .offset:         88
        .size:           8
        .value_kind:     hidden_global_offset_y
      - .offset:         96
        .size:           8
        .value_kind:     hidden_global_offset_z
      - .offset:         104
        .size:           2
        .value_kind:     hidden_grid_dims
    .group_segment_fixed_size: 0
    .kernarg_segment_align: 8
    .kernarg_segment_size: 296
    .language:       OpenCL C
    .language_version:
      - 2
      - 0
    .max_flat_workgroup_size: 128
    .name:           _ZN7rocprim17ROCPRIM_400000_NS6detail17trampoline_kernelINS0_14default_configENS1_25transform_config_selectorIdLb0EEEZNS1_14transform_implILb0ES3_S5_N6thrust23THRUST_200600_302600_NS6detail15normal_iteratorINS8_10device_ptrIdEEEEPdNS0_8identityIdEEEE10hipError_tT2_T3_mT4_P12ihipStream_tbEUlT_E_NS1_11comp_targetILNS1_3genE0ELNS1_11target_archE4294967295ELNS1_3gpuE0ELNS1_3repE0EEENS1_30default_config_static_selectorELNS0_4arch9wavefront6targetE1EEEvT1_
    .private_segment_fixed_size: 0
    .sgpr_count:     18
    .sgpr_spill_count: 0
    .symbol:         _ZN7rocprim17ROCPRIM_400000_NS6detail17trampoline_kernelINS0_14default_configENS1_25transform_config_selectorIdLb0EEEZNS1_14transform_implILb0ES3_S5_N6thrust23THRUST_200600_302600_NS6detail15normal_iteratorINS8_10device_ptrIdEEEEPdNS0_8identityIdEEEE10hipError_tT2_T3_mT4_P12ihipStream_tbEUlT_E_NS1_11comp_targetILNS1_3genE0ELNS1_11target_archE4294967295ELNS1_3gpuE0ELNS1_3repE0EEENS1_30default_config_static_selectorELNS0_4arch9wavefront6targetE1EEEvT1_.kd
    .uniform_work_group_size: 1
    .uses_dynamic_stack: false
    .vgpr_count:     4
    .vgpr_spill_count: 0
    .wavefront_size: 64
  - .agpr_count:     0
    .args:
      - .offset:         0
        .size:           40
        .value_kind:     by_value
    .group_segment_fixed_size: 0
    .kernarg_segment_align: 8
    .kernarg_segment_size: 40
    .language:       OpenCL C
    .language_version:
      - 2
      - 0
    .max_flat_workgroup_size: 512
    .name:           _ZN7rocprim17ROCPRIM_400000_NS6detail17trampoline_kernelINS0_14default_configENS1_25transform_config_selectorIdLb0EEEZNS1_14transform_implILb0ES3_S5_N6thrust23THRUST_200600_302600_NS6detail15normal_iteratorINS8_10device_ptrIdEEEEPdNS0_8identityIdEEEE10hipError_tT2_T3_mT4_P12ihipStream_tbEUlT_E_NS1_11comp_targetILNS1_3genE5ELNS1_11target_archE942ELNS1_3gpuE9ELNS1_3repE0EEENS1_30default_config_static_selectorELNS0_4arch9wavefront6targetE1EEEvT1_
    .private_segment_fixed_size: 0
    .sgpr_count:     6
    .sgpr_spill_count: 0
    .symbol:         _ZN7rocprim17ROCPRIM_400000_NS6detail17trampoline_kernelINS0_14default_configENS1_25transform_config_selectorIdLb0EEEZNS1_14transform_implILb0ES3_S5_N6thrust23THRUST_200600_302600_NS6detail15normal_iteratorINS8_10device_ptrIdEEEEPdNS0_8identityIdEEEE10hipError_tT2_T3_mT4_P12ihipStream_tbEUlT_E_NS1_11comp_targetILNS1_3genE5ELNS1_11target_archE942ELNS1_3gpuE9ELNS1_3repE0EEENS1_30default_config_static_selectorELNS0_4arch9wavefront6targetE1EEEvT1_.kd
    .uniform_work_group_size: 1
    .uses_dynamic_stack: false
    .vgpr_count:     0
    .vgpr_spill_count: 0
    .wavefront_size: 64
  - .agpr_count:     0
    .args:
      - .offset:         0
        .size:           40
        .value_kind:     by_value
    .group_segment_fixed_size: 0
    .kernarg_segment_align: 8
    .kernarg_segment_size: 40
    .language:       OpenCL C
    .language_version:
      - 2
      - 0
    .max_flat_workgroup_size: 256
    .name:           _ZN7rocprim17ROCPRIM_400000_NS6detail17trampoline_kernelINS0_14default_configENS1_25transform_config_selectorIdLb0EEEZNS1_14transform_implILb0ES3_S5_N6thrust23THRUST_200600_302600_NS6detail15normal_iteratorINS8_10device_ptrIdEEEEPdNS0_8identityIdEEEE10hipError_tT2_T3_mT4_P12ihipStream_tbEUlT_E_NS1_11comp_targetILNS1_3genE4ELNS1_11target_archE910ELNS1_3gpuE8ELNS1_3repE0EEENS1_30default_config_static_selectorELNS0_4arch9wavefront6targetE1EEEvT1_
    .private_segment_fixed_size: 0
    .sgpr_count:     6
    .sgpr_spill_count: 0
    .symbol:         _ZN7rocprim17ROCPRIM_400000_NS6detail17trampoline_kernelINS0_14default_configENS1_25transform_config_selectorIdLb0EEEZNS1_14transform_implILb0ES3_S5_N6thrust23THRUST_200600_302600_NS6detail15normal_iteratorINS8_10device_ptrIdEEEEPdNS0_8identityIdEEEE10hipError_tT2_T3_mT4_P12ihipStream_tbEUlT_E_NS1_11comp_targetILNS1_3genE4ELNS1_11target_archE910ELNS1_3gpuE8ELNS1_3repE0EEENS1_30default_config_static_selectorELNS0_4arch9wavefront6targetE1EEEvT1_.kd
    .uniform_work_group_size: 1
    .uses_dynamic_stack: false
    .vgpr_count:     0
    .vgpr_spill_count: 0
    .wavefront_size: 64
  - .agpr_count:     0
    .args:
      - .offset:         0
        .size:           40
        .value_kind:     by_value
    .group_segment_fixed_size: 0
    .kernarg_segment_align: 8
    .kernarg_segment_size: 40
    .language:       OpenCL C
    .language_version:
      - 2
      - 0
    .max_flat_workgroup_size: 128
    .name:           _ZN7rocprim17ROCPRIM_400000_NS6detail17trampoline_kernelINS0_14default_configENS1_25transform_config_selectorIdLb0EEEZNS1_14transform_implILb0ES3_S5_N6thrust23THRUST_200600_302600_NS6detail15normal_iteratorINS8_10device_ptrIdEEEEPdNS0_8identityIdEEEE10hipError_tT2_T3_mT4_P12ihipStream_tbEUlT_E_NS1_11comp_targetILNS1_3genE3ELNS1_11target_archE908ELNS1_3gpuE7ELNS1_3repE0EEENS1_30default_config_static_selectorELNS0_4arch9wavefront6targetE1EEEvT1_
    .private_segment_fixed_size: 0
    .sgpr_count:     6
    .sgpr_spill_count: 0
    .symbol:         _ZN7rocprim17ROCPRIM_400000_NS6detail17trampoline_kernelINS0_14default_configENS1_25transform_config_selectorIdLb0EEEZNS1_14transform_implILb0ES3_S5_N6thrust23THRUST_200600_302600_NS6detail15normal_iteratorINS8_10device_ptrIdEEEEPdNS0_8identityIdEEEE10hipError_tT2_T3_mT4_P12ihipStream_tbEUlT_E_NS1_11comp_targetILNS1_3genE3ELNS1_11target_archE908ELNS1_3gpuE7ELNS1_3repE0EEENS1_30default_config_static_selectorELNS0_4arch9wavefront6targetE1EEEvT1_.kd
    .uniform_work_group_size: 1
    .uses_dynamic_stack: false
    .vgpr_count:     0
    .vgpr_spill_count: 0
    .wavefront_size: 64
  - .agpr_count:     0
    .args:
      - .offset:         0
        .size:           40
        .value_kind:     by_value
    .group_segment_fixed_size: 0
    .kernarg_segment_align: 8
    .kernarg_segment_size: 40
    .language:       OpenCL C
    .language_version:
      - 2
      - 0
    .max_flat_workgroup_size: 1024
    .name:           _ZN7rocprim17ROCPRIM_400000_NS6detail17trampoline_kernelINS0_14default_configENS1_25transform_config_selectorIdLb0EEEZNS1_14transform_implILb0ES3_S5_N6thrust23THRUST_200600_302600_NS6detail15normal_iteratorINS8_10device_ptrIdEEEEPdNS0_8identityIdEEEE10hipError_tT2_T3_mT4_P12ihipStream_tbEUlT_E_NS1_11comp_targetILNS1_3genE2ELNS1_11target_archE906ELNS1_3gpuE6ELNS1_3repE0EEENS1_30default_config_static_selectorELNS0_4arch9wavefront6targetE1EEEvT1_
    .private_segment_fixed_size: 0
    .sgpr_count:     6
    .sgpr_spill_count: 0
    .symbol:         _ZN7rocprim17ROCPRIM_400000_NS6detail17trampoline_kernelINS0_14default_configENS1_25transform_config_selectorIdLb0EEEZNS1_14transform_implILb0ES3_S5_N6thrust23THRUST_200600_302600_NS6detail15normal_iteratorINS8_10device_ptrIdEEEEPdNS0_8identityIdEEEE10hipError_tT2_T3_mT4_P12ihipStream_tbEUlT_E_NS1_11comp_targetILNS1_3genE2ELNS1_11target_archE906ELNS1_3gpuE6ELNS1_3repE0EEENS1_30default_config_static_selectorELNS0_4arch9wavefront6targetE1EEEvT1_.kd
    .uniform_work_group_size: 1
    .uses_dynamic_stack: false
    .vgpr_count:     0
    .vgpr_spill_count: 0
    .wavefront_size: 64
  - .agpr_count:     0
    .args:
      - .offset:         0
        .size:           40
        .value_kind:     by_value
    .group_segment_fixed_size: 0
    .kernarg_segment_align: 8
    .kernarg_segment_size: 40
    .language:       OpenCL C
    .language_version:
      - 2
      - 0
    .max_flat_workgroup_size: 64
    .name:           _ZN7rocprim17ROCPRIM_400000_NS6detail17trampoline_kernelINS0_14default_configENS1_25transform_config_selectorIdLb0EEEZNS1_14transform_implILb0ES3_S5_N6thrust23THRUST_200600_302600_NS6detail15normal_iteratorINS8_10device_ptrIdEEEEPdNS0_8identityIdEEEE10hipError_tT2_T3_mT4_P12ihipStream_tbEUlT_E_NS1_11comp_targetILNS1_3genE10ELNS1_11target_archE1201ELNS1_3gpuE5ELNS1_3repE0EEENS1_30default_config_static_selectorELNS0_4arch9wavefront6targetE1EEEvT1_
    .private_segment_fixed_size: 0
    .sgpr_count:     6
    .sgpr_spill_count: 0
    .symbol:         _ZN7rocprim17ROCPRIM_400000_NS6detail17trampoline_kernelINS0_14default_configENS1_25transform_config_selectorIdLb0EEEZNS1_14transform_implILb0ES3_S5_N6thrust23THRUST_200600_302600_NS6detail15normal_iteratorINS8_10device_ptrIdEEEEPdNS0_8identityIdEEEE10hipError_tT2_T3_mT4_P12ihipStream_tbEUlT_E_NS1_11comp_targetILNS1_3genE10ELNS1_11target_archE1201ELNS1_3gpuE5ELNS1_3repE0EEENS1_30default_config_static_selectorELNS0_4arch9wavefront6targetE1EEEvT1_.kd
    .uniform_work_group_size: 1
    .uses_dynamic_stack: false
    .vgpr_count:     0
    .vgpr_spill_count: 0
    .wavefront_size: 64
  - .agpr_count:     0
    .args:
      - .offset:         0
        .size:           40
        .value_kind:     by_value
    .group_segment_fixed_size: 0
    .kernarg_segment_align: 8
    .kernarg_segment_size: 40
    .language:       OpenCL C
    .language_version:
      - 2
      - 0
    .max_flat_workgroup_size: 512
    .name:           _ZN7rocprim17ROCPRIM_400000_NS6detail17trampoline_kernelINS0_14default_configENS1_25transform_config_selectorIdLb0EEEZNS1_14transform_implILb0ES3_S5_N6thrust23THRUST_200600_302600_NS6detail15normal_iteratorINS8_10device_ptrIdEEEEPdNS0_8identityIdEEEE10hipError_tT2_T3_mT4_P12ihipStream_tbEUlT_E_NS1_11comp_targetILNS1_3genE10ELNS1_11target_archE1200ELNS1_3gpuE4ELNS1_3repE0EEENS1_30default_config_static_selectorELNS0_4arch9wavefront6targetE1EEEvT1_
    .private_segment_fixed_size: 0
    .sgpr_count:     6
    .sgpr_spill_count: 0
    .symbol:         _ZN7rocprim17ROCPRIM_400000_NS6detail17trampoline_kernelINS0_14default_configENS1_25transform_config_selectorIdLb0EEEZNS1_14transform_implILb0ES3_S5_N6thrust23THRUST_200600_302600_NS6detail15normal_iteratorINS8_10device_ptrIdEEEEPdNS0_8identityIdEEEE10hipError_tT2_T3_mT4_P12ihipStream_tbEUlT_E_NS1_11comp_targetILNS1_3genE10ELNS1_11target_archE1200ELNS1_3gpuE4ELNS1_3repE0EEENS1_30default_config_static_selectorELNS0_4arch9wavefront6targetE1EEEvT1_.kd
    .uniform_work_group_size: 1
    .uses_dynamic_stack: false
    .vgpr_count:     0
    .vgpr_spill_count: 0
    .wavefront_size: 64
  - .agpr_count:     0
    .args:
      - .offset:         0
        .size:           40
        .value_kind:     by_value
    .group_segment_fixed_size: 0
    .kernarg_segment_align: 8
    .kernarg_segment_size: 40
    .language:       OpenCL C
    .language_version:
      - 2
      - 0
    .max_flat_workgroup_size: 512
    .name:           _ZN7rocprim17ROCPRIM_400000_NS6detail17trampoline_kernelINS0_14default_configENS1_25transform_config_selectorIdLb0EEEZNS1_14transform_implILb0ES3_S5_N6thrust23THRUST_200600_302600_NS6detail15normal_iteratorINS8_10device_ptrIdEEEEPdNS0_8identityIdEEEE10hipError_tT2_T3_mT4_P12ihipStream_tbEUlT_E_NS1_11comp_targetILNS1_3genE9ELNS1_11target_archE1100ELNS1_3gpuE3ELNS1_3repE0EEENS1_30default_config_static_selectorELNS0_4arch9wavefront6targetE1EEEvT1_
    .private_segment_fixed_size: 0
    .sgpr_count:     6
    .sgpr_spill_count: 0
    .symbol:         _ZN7rocprim17ROCPRIM_400000_NS6detail17trampoline_kernelINS0_14default_configENS1_25transform_config_selectorIdLb0EEEZNS1_14transform_implILb0ES3_S5_N6thrust23THRUST_200600_302600_NS6detail15normal_iteratorINS8_10device_ptrIdEEEEPdNS0_8identityIdEEEE10hipError_tT2_T3_mT4_P12ihipStream_tbEUlT_E_NS1_11comp_targetILNS1_3genE9ELNS1_11target_archE1100ELNS1_3gpuE3ELNS1_3repE0EEENS1_30default_config_static_selectorELNS0_4arch9wavefront6targetE1EEEvT1_.kd
    .uniform_work_group_size: 1
    .uses_dynamic_stack: false
    .vgpr_count:     0
    .vgpr_spill_count: 0
    .wavefront_size: 64
  - .agpr_count:     0
    .args:
      - .offset:         0
        .size:           40
        .value_kind:     by_value
    .group_segment_fixed_size: 0
    .kernarg_segment_align: 8
    .kernarg_segment_size: 40
    .language:       OpenCL C
    .language_version:
      - 2
      - 0
    .max_flat_workgroup_size: 512
    .name:           _ZN7rocprim17ROCPRIM_400000_NS6detail17trampoline_kernelINS0_14default_configENS1_25transform_config_selectorIdLb0EEEZNS1_14transform_implILb0ES3_S5_N6thrust23THRUST_200600_302600_NS6detail15normal_iteratorINS8_10device_ptrIdEEEEPdNS0_8identityIdEEEE10hipError_tT2_T3_mT4_P12ihipStream_tbEUlT_E_NS1_11comp_targetILNS1_3genE8ELNS1_11target_archE1030ELNS1_3gpuE2ELNS1_3repE0EEENS1_30default_config_static_selectorELNS0_4arch9wavefront6targetE1EEEvT1_
    .private_segment_fixed_size: 0
    .sgpr_count:     6
    .sgpr_spill_count: 0
    .symbol:         _ZN7rocprim17ROCPRIM_400000_NS6detail17trampoline_kernelINS0_14default_configENS1_25transform_config_selectorIdLb0EEEZNS1_14transform_implILb0ES3_S5_N6thrust23THRUST_200600_302600_NS6detail15normal_iteratorINS8_10device_ptrIdEEEEPdNS0_8identityIdEEEE10hipError_tT2_T3_mT4_P12ihipStream_tbEUlT_E_NS1_11comp_targetILNS1_3genE8ELNS1_11target_archE1030ELNS1_3gpuE2ELNS1_3repE0EEENS1_30default_config_static_selectorELNS0_4arch9wavefront6targetE1EEEvT1_.kd
    .uniform_work_group_size: 1
    .uses_dynamic_stack: false
    .vgpr_count:     0
    .vgpr_spill_count: 0
    .wavefront_size: 64
  - .agpr_count:     0
    .args:
      - .offset:         0
        .size:           88
        .value_kind:     by_value
    .group_segment_fixed_size: 0
    .kernarg_segment_align: 8
    .kernarg_segment_size: 88
    .language:       OpenCL C
    .language_version:
      - 2
      - 0
    .max_flat_workgroup_size: 512
    .name:           _ZN7rocprim17ROCPRIM_400000_NS6detail17trampoline_kernelINS0_14default_configENS1_35radix_sort_onesweep_config_selectorIddEEZZNS1_29radix_sort_onesweep_iterationIS3_Lb0EN6thrust23THRUST_200600_302600_NS6detail15normal_iteratorINS8_10device_ptrIdEEEESD_SD_SD_jNS0_19identity_decomposerENS1_16block_id_wrapperIjLb1EEEEE10hipError_tT1_PNSt15iterator_traitsISI_E10value_typeET2_T3_PNSJ_ISO_E10value_typeET4_T5_PST_SU_PNS1_23onesweep_lookback_stateEbbT6_jjT7_P12ihipStream_tbENKUlT_T0_SI_SN_E_clISD_SD_SD_SD_EEDaS11_S12_SI_SN_EUlS11_E_NS1_11comp_targetILNS1_3genE0ELNS1_11target_archE4294967295ELNS1_3gpuE0ELNS1_3repE0EEENS1_47radix_sort_onesweep_sort_config_static_selectorELNS0_4arch9wavefront6targetE1EEEvSI_
    .private_segment_fixed_size: 0
    .sgpr_count:     6
    .sgpr_spill_count: 0
    .symbol:         _ZN7rocprim17ROCPRIM_400000_NS6detail17trampoline_kernelINS0_14default_configENS1_35radix_sort_onesweep_config_selectorIddEEZZNS1_29radix_sort_onesweep_iterationIS3_Lb0EN6thrust23THRUST_200600_302600_NS6detail15normal_iteratorINS8_10device_ptrIdEEEESD_SD_SD_jNS0_19identity_decomposerENS1_16block_id_wrapperIjLb1EEEEE10hipError_tT1_PNSt15iterator_traitsISI_E10value_typeET2_T3_PNSJ_ISO_E10value_typeET4_T5_PST_SU_PNS1_23onesweep_lookback_stateEbbT6_jjT7_P12ihipStream_tbENKUlT_T0_SI_SN_E_clISD_SD_SD_SD_EEDaS11_S12_SI_SN_EUlS11_E_NS1_11comp_targetILNS1_3genE0ELNS1_11target_archE4294967295ELNS1_3gpuE0ELNS1_3repE0EEENS1_47radix_sort_onesweep_sort_config_static_selectorELNS0_4arch9wavefront6targetE1EEEvSI_.kd
    .uniform_work_group_size: 1
    .uses_dynamic_stack: false
    .vgpr_count:     0
    .vgpr_spill_count: 0
    .wavefront_size: 64
  - .agpr_count:     0
    .args:
      - .offset:         0
        .size:           88
        .value_kind:     by_value
      - .offset:         88
        .size:           4
        .value_kind:     hidden_block_count_x
      - .offset:         92
        .size:           4
        .value_kind:     hidden_block_count_y
      - .offset:         96
        .size:           4
        .value_kind:     hidden_block_count_z
      - .offset:         100
        .size:           2
        .value_kind:     hidden_group_size_x
      - .offset:         102
        .size:           2
        .value_kind:     hidden_group_size_y
      - .offset:         104
        .size:           2
        .value_kind:     hidden_group_size_z
      - .offset:         106
        .size:           2
        .value_kind:     hidden_remainder_x
      - .offset:         108
        .size:           2
        .value_kind:     hidden_remainder_y
      - .offset:         110
        .size:           2
        .value_kind:     hidden_remainder_z
      - .offset:         128
        .size:           8
        .value_kind:     hidden_global_offset_x
      - .offset:         136
        .size:           8
        .value_kind:     hidden_global_offset_y
      - .offset:         144
        .size:           8
        .value_kind:     hidden_global_offset_z
      - .offset:         152
        .size:           2
        .value_kind:     hidden_grid_dims
    .group_segment_fixed_size: 53328
    .kernarg_segment_align: 8
    .kernarg_segment_size: 344
    .language:       OpenCL C
    .language_version:
      - 2
      - 0
    .max_flat_workgroup_size: 1024
    .name:           _ZN7rocprim17ROCPRIM_400000_NS6detail17trampoline_kernelINS0_14default_configENS1_35radix_sort_onesweep_config_selectorIddEEZZNS1_29radix_sort_onesweep_iterationIS3_Lb0EN6thrust23THRUST_200600_302600_NS6detail15normal_iteratorINS8_10device_ptrIdEEEESD_SD_SD_jNS0_19identity_decomposerENS1_16block_id_wrapperIjLb1EEEEE10hipError_tT1_PNSt15iterator_traitsISI_E10value_typeET2_T3_PNSJ_ISO_E10value_typeET4_T5_PST_SU_PNS1_23onesweep_lookback_stateEbbT6_jjT7_P12ihipStream_tbENKUlT_T0_SI_SN_E_clISD_SD_SD_SD_EEDaS11_S12_SI_SN_EUlS11_E_NS1_11comp_targetILNS1_3genE6ELNS1_11target_archE950ELNS1_3gpuE13ELNS1_3repE0EEENS1_47radix_sort_onesweep_sort_config_static_selectorELNS0_4arch9wavefront6targetE1EEEvSI_
    .private_segment_fixed_size: 48
    .sgpr_count:     65
    .sgpr_spill_count: 0
    .symbol:         _ZN7rocprim17ROCPRIM_400000_NS6detail17trampoline_kernelINS0_14default_configENS1_35radix_sort_onesweep_config_selectorIddEEZZNS1_29radix_sort_onesweep_iterationIS3_Lb0EN6thrust23THRUST_200600_302600_NS6detail15normal_iteratorINS8_10device_ptrIdEEEESD_SD_SD_jNS0_19identity_decomposerENS1_16block_id_wrapperIjLb1EEEEE10hipError_tT1_PNSt15iterator_traitsISI_E10value_typeET2_T3_PNSJ_ISO_E10value_typeET4_T5_PST_SU_PNS1_23onesweep_lookback_stateEbbT6_jjT7_P12ihipStream_tbENKUlT_T0_SI_SN_E_clISD_SD_SD_SD_EEDaS11_S12_SI_SN_EUlS11_E_NS1_11comp_targetILNS1_3genE6ELNS1_11target_archE950ELNS1_3gpuE13ELNS1_3repE0EEENS1_47radix_sort_onesweep_sort_config_static_selectorELNS0_4arch9wavefront6targetE1EEEvSI_.kd
    .uniform_work_group_size: 1
    .uses_dynamic_stack: false
    .vgpr_count:     58
    .vgpr_spill_count: 0
    .wavefront_size: 64
  - .agpr_count:     0
    .args:
      - .offset:         0
        .size:           88
        .value_kind:     by_value
    .group_segment_fixed_size: 0
    .kernarg_segment_align: 8
    .kernarg_segment_size: 88
    .language:       OpenCL C
    .language_version:
      - 2
      - 0
    .max_flat_workgroup_size: 1024
    .name:           _ZN7rocprim17ROCPRIM_400000_NS6detail17trampoline_kernelINS0_14default_configENS1_35radix_sort_onesweep_config_selectorIddEEZZNS1_29radix_sort_onesweep_iterationIS3_Lb0EN6thrust23THRUST_200600_302600_NS6detail15normal_iteratorINS8_10device_ptrIdEEEESD_SD_SD_jNS0_19identity_decomposerENS1_16block_id_wrapperIjLb1EEEEE10hipError_tT1_PNSt15iterator_traitsISI_E10value_typeET2_T3_PNSJ_ISO_E10value_typeET4_T5_PST_SU_PNS1_23onesweep_lookback_stateEbbT6_jjT7_P12ihipStream_tbENKUlT_T0_SI_SN_E_clISD_SD_SD_SD_EEDaS11_S12_SI_SN_EUlS11_E_NS1_11comp_targetILNS1_3genE5ELNS1_11target_archE942ELNS1_3gpuE9ELNS1_3repE0EEENS1_47radix_sort_onesweep_sort_config_static_selectorELNS0_4arch9wavefront6targetE1EEEvSI_
    .private_segment_fixed_size: 0
    .sgpr_count:     6
    .sgpr_spill_count: 0
    .symbol:         _ZN7rocprim17ROCPRIM_400000_NS6detail17trampoline_kernelINS0_14default_configENS1_35radix_sort_onesweep_config_selectorIddEEZZNS1_29radix_sort_onesweep_iterationIS3_Lb0EN6thrust23THRUST_200600_302600_NS6detail15normal_iteratorINS8_10device_ptrIdEEEESD_SD_SD_jNS0_19identity_decomposerENS1_16block_id_wrapperIjLb1EEEEE10hipError_tT1_PNSt15iterator_traitsISI_E10value_typeET2_T3_PNSJ_ISO_E10value_typeET4_T5_PST_SU_PNS1_23onesweep_lookback_stateEbbT6_jjT7_P12ihipStream_tbENKUlT_T0_SI_SN_E_clISD_SD_SD_SD_EEDaS11_S12_SI_SN_EUlS11_E_NS1_11comp_targetILNS1_3genE5ELNS1_11target_archE942ELNS1_3gpuE9ELNS1_3repE0EEENS1_47radix_sort_onesweep_sort_config_static_selectorELNS0_4arch9wavefront6targetE1EEEvSI_.kd
    .uniform_work_group_size: 1
    .uses_dynamic_stack: false
    .vgpr_count:     0
    .vgpr_spill_count: 0
    .wavefront_size: 64
  - .agpr_count:     0
    .args:
      - .offset:         0
        .size:           88
        .value_kind:     by_value
    .group_segment_fixed_size: 0
    .kernarg_segment_align: 8
    .kernarg_segment_size: 88
    .language:       OpenCL C
    .language_version:
      - 2
      - 0
    .max_flat_workgroup_size: 512
    .name:           _ZN7rocprim17ROCPRIM_400000_NS6detail17trampoline_kernelINS0_14default_configENS1_35radix_sort_onesweep_config_selectorIddEEZZNS1_29radix_sort_onesweep_iterationIS3_Lb0EN6thrust23THRUST_200600_302600_NS6detail15normal_iteratorINS8_10device_ptrIdEEEESD_SD_SD_jNS0_19identity_decomposerENS1_16block_id_wrapperIjLb1EEEEE10hipError_tT1_PNSt15iterator_traitsISI_E10value_typeET2_T3_PNSJ_ISO_E10value_typeET4_T5_PST_SU_PNS1_23onesweep_lookback_stateEbbT6_jjT7_P12ihipStream_tbENKUlT_T0_SI_SN_E_clISD_SD_SD_SD_EEDaS11_S12_SI_SN_EUlS11_E_NS1_11comp_targetILNS1_3genE2ELNS1_11target_archE906ELNS1_3gpuE6ELNS1_3repE0EEENS1_47radix_sort_onesweep_sort_config_static_selectorELNS0_4arch9wavefront6targetE1EEEvSI_
    .private_segment_fixed_size: 0
    .sgpr_count:     6
    .sgpr_spill_count: 0
    .symbol:         _ZN7rocprim17ROCPRIM_400000_NS6detail17trampoline_kernelINS0_14default_configENS1_35radix_sort_onesweep_config_selectorIddEEZZNS1_29radix_sort_onesweep_iterationIS3_Lb0EN6thrust23THRUST_200600_302600_NS6detail15normal_iteratorINS8_10device_ptrIdEEEESD_SD_SD_jNS0_19identity_decomposerENS1_16block_id_wrapperIjLb1EEEEE10hipError_tT1_PNSt15iterator_traitsISI_E10value_typeET2_T3_PNSJ_ISO_E10value_typeET4_T5_PST_SU_PNS1_23onesweep_lookback_stateEbbT6_jjT7_P12ihipStream_tbENKUlT_T0_SI_SN_E_clISD_SD_SD_SD_EEDaS11_S12_SI_SN_EUlS11_E_NS1_11comp_targetILNS1_3genE2ELNS1_11target_archE906ELNS1_3gpuE6ELNS1_3repE0EEENS1_47radix_sort_onesweep_sort_config_static_selectorELNS0_4arch9wavefront6targetE1EEEvSI_.kd
    .uniform_work_group_size: 1
    .uses_dynamic_stack: false
    .vgpr_count:     0
    .vgpr_spill_count: 0
    .wavefront_size: 64
  - .agpr_count:     0
    .args:
      - .offset:         0
        .size:           88
        .value_kind:     by_value
    .group_segment_fixed_size: 0
    .kernarg_segment_align: 8
    .kernarg_segment_size: 88
    .language:       OpenCL C
    .language_version:
      - 2
      - 0
    .max_flat_workgroup_size: 1024
    .name:           _ZN7rocprim17ROCPRIM_400000_NS6detail17trampoline_kernelINS0_14default_configENS1_35radix_sort_onesweep_config_selectorIddEEZZNS1_29radix_sort_onesweep_iterationIS3_Lb0EN6thrust23THRUST_200600_302600_NS6detail15normal_iteratorINS8_10device_ptrIdEEEESD_SD_SD_jNS0_19identity_decomposerENS1_16block_id_wrapperIjLb1EEEEE10hipError_tT1_PNSt15iterator_traitsISI_E10value_typeET2_T3_PNSJ_ISO_E10value_typeET4_T5_PST_SU_PNS1_23onesweep_lookback_stateEbbT6_jjT7_P12ihipStream_tbENKUlT_T0_SI_SN_E_clISD_SD_SD_SD_EEDaS11_S12_SI_SN_EUlS11_E_NS1_11comp_targetILNS1_3genE4ELNS1_11target_archE910ELNS1_3gpuE8ELNS1_3repE0EEENS1_47radix_sort_onesweep_sort_config_static_selectorELNS0_4arch9wavefront6targetE1EEEvSI_
    .private_segment_fixed_size: 0
    .sgpr_count:     6
    .sgpr_spill_count: 0
    .symbol:         _ZN7rocprim17ROCPRIM_400000_NS6detail17trampoline_kernelINS0_14default_configENS1_35radix_sort_onesweep_config_selectorIddEEZZNS1_29radix_sort_onesweep_iterationIS3_Lb0EN6thrust23THRUST_200600_302600_NS6detail15normal_iteratorINS8_10device_ptrIdEEEESD_SD_SD_jNS0_19identity_decomposerENS1_16block_id_wrapperIjLb1EEEEE10hipError_tT1_PNSt15iterator_traitsISI_E10value_typeET2_T3_PNSJ_ISO_E10value_typeET4_T5_PST_SU_PNS1_23onesweep_lookback_stateEbbT6_jjT7_P12ihipStream_tbENKUlT_T0_SI_SN_E_clISD_SD_SD_SD_EEDaS11_S12_SI_SN_EUlS11_E_NS1_11comp_targetILNS1_3genE4ELNS1_11target_archE910ELNS1_3gpuE8ELNS1_3repE0EEENS1_47radix_sort_onesweep_sort_config_static_selectorELNS0_4arch9wavefront6targetE1EEEvSI_.kd
    .uniform_work_group_size: 1
    .uses_dynamic_stack: false
    .vgpr_count:     0
    .vgpr_spill_count: 0
    .wavefront_size: 64
  - .agpr_count:     0
    .args:
      - .offset:         0
        .size:           88
        .value_kind:     by_value
    .group_segment_fixed_size: 0
    .kernarg_segment_align: 8
    .kernarg_segment_size: 88
    .language:       OpenCL C
    .language_version:
      - 2
      - 0
    .max_flat_workgroup_size: 512
    .name:           _ZN7rocprim17ROCPRIM_400000_NS6detail17trampoline_kernelINS0_14default_configENS1_35radix_sort_onesweep_config_selectorIddEEZZNS1_29radix_sort_onesweep_iterationIS3_Lb0EN6thrust23THRUST_200600_302600_NS6detail15normal_iteratorINS8_10device_ptrIdEEEESD_SD_SD_jNS0_19identity_decomposerENS1_16block_id_wrapperIjLb1EEEEE10hipError_tT1_PNSt15iterator_traitsISI_E10value_typeET2_T3_PNSJ_ISO_E10value_typeET4_T5_PST_SU_PNS1_23onesweep_lookback_stateEbbT6_jjT7_P12ihipStream_tbENKUlT_T0_SI_SN_E_clISD_SD_SD_SD_EEDaS11_S12_SI_SN_EUlS11_E_NS1_11comp_targetILNS1_3genE3ELNS1_11target_archE908ELNS1_3gpuE7ELNS1_3repE0EEENS1_47radix_sort_onesweep_sort_config_static_selectorELNS0_4arch9wavefront6targetE1EEEvSI_
    .private_segment_fixed_size: 0
    .sgpr_count:     6
    .sgpr_spill_count: 0
    .symbol:         _ZN7rocprim17ROCPRIM_400000_NS6detail17trampoline_kernelINS0_14default_configENS1_35radix_sort_onesweep_config_selectorIddEEZZNS1_29radix_sort_onesweep_iterationIS3_Lb0EN6thrust23THRUST_200600_302600_NS6detail15normal_iteratorINS8_10device_ptrIdEEEESD_SD_SD_jNS0_19identity_decomposerENS1_16block_id_wrapperIjLb1EEEEE10hipError_tT1_PNSt15iterator_traitsISI_E10value_typeET2_T3_PNSJ_ISO_E10value_typeET4_T5_PST_SU_PNS1_23onesweep_lookback_stateEbbT6_jjT7_P12ihipStream_tbENKUlT_T0_SI_SN_E_clISD_SD_SD_SD_EEDaS11_S12_SI_SN_EUlS11_E_NS1_11comp_targetILNS1_3genE3ELNS1_11target_archE908ELNS1_3gpuE7ELNS1_3repE0EEENS1_47radix_sort_onesweep_sort_config_static_selectorELNS0_4arch9wavefront6targetE1EEEvSI_.kd
    .uniform_work_group_size: 1
    .uses_dynamic_stack: false
    .vgpr_count:     0
    .vgpr_spill_count: 0
    .wavefront_size: 64
  - .agpr_count:     0
    .args:
      - .offset:         0
        .size:           88
        .value_kind:     by_value
    .group_segment_fixed_size: 0
    .kernarg_segment_align: 8
    .kernarg_segment_size: 88
    .language:       OpenCL C
    .language_version:
      - 2
      - 0
    .max_flat_workgroup_size: 1024
    .name:           _ZN7rocprim17ROCPRIM_400000_NS6detail17trampoline_kernelINS0_14default_configENS1_35radix_sort_onesweep_config_selectorIddEEZZNS1_29radix_sort_onesweep_iterationIS3_Lb0EN6thrust23THRUST_200600_302600_NS6detail15normal_iteratorINS8_10device_ptrIdEEEESD_SD_SD_jNS0_19identity_decomposerENS1_16block_id_wrapperIjLb1EEEEE10hipError_tT1_PNSt15iterator_traitsISI_E10value_typeET2_T3_PNSJ_ISO_E10value_typeET4_T5_PST_SU_PNS1_23onesweep_lookback_stateEbbT6_jjT7_P12ihipStream_tbENKUlT_T0_SI_SN_E_clISD_SD_SD_SD_EEDaS11_S12_SI_SN_EUlS11_E_NS1_11comp_targetILNS1_3genE10ELNS1_11target_archE1201ELNS1_3gpuE5ELNS1_3repE0EEENS1_47radix_sort_onesweep_sort_config_static_selectorELNS0_4arch9wavefront6targetE1EEEvSI_
    .private_segment_fixed_size: 0
    .sgpr_count:     6
    .sgpr_spill_count: 0
    .symbol:         _ZN7rocprim17ROCPRIM_400000_NS6detail17trampoline_kernelINS0_14default_configENS1_35radix_sort_onesweep_config_selectorIddEEZZNS1_29radix_sort_onesweep_iterationIS3_Lb0EN6thrust23THRUST_200600_302600_NS6detail15normal_iteratorINS8_10device_ptrIdEEEESD_SD_SD_jNS0_19identity_decomposerENS1_16block_id_wrapperIjLb1EEEEE10hipError_tT1_PNSt15iterator_traitsISI_E10value_typeET2_T3_PNSJ_ISO_E10value_typeET4_T5_PST_SU_PNS1_23onesweep_lookback_stateEbbT6_jjT7_P12ihipStream_tbENKUlT_T0_SI_SN_E_clISD_SD_SD_SD_EEDaS11_S12_SI_SN_EUlS11_E_NS1_11comp_targetILNS1_3genE10ELNS1_11target_archE1201ELNS1_3gpuE5ELNS1_3repE0EEENS1_47radix_sort_onesweep_sort_config_static_selectorELNS0_4arch9wavefront6targetE1EEEvSI_.kd
    .uniform_work_group_size: 1
    .uses_dynamic_stack: false
    .vgpr_count:     0
    .vgpr_spill_count: 0
    .wavefront_size: 64
  - .agpr_count:     0
    .args:
      - .offset:         0
        .size:           88
        .value_kind:     by_value
    .group_segment_fixed_size: 0
    .kernarg_segment_align: 8
    .kernarg_segment_size: 88
    .language:       OpenCL C
    .language_version:
      - 2
      - 0
    .max_flat_workgroup_size: 1024
    .name:           _ZN7rocprim17ROCPRIM_400000_NS6detail17trampoline_kernelINS0_14default_configENS1_35radix_sort_onesweep_config_selectorIddEEZZNS1_29radix_sort_onesweep_iterationIS3_Lb0EN6thrust23THRUST_200600_302600_NS6detail15normal_iteratorINS8_10device_ptrIdEEEESD_SD_SD_jNS0_19identity_decomposerENS1_16block_id_wrapperIjLb1EEEEE10hipError_tT1_PNSt15iterator_traitsISI_E10value_typeET2_T3_PNSJ_ISO_E10value_typeET4_T5_PST_SU_PNS1_23onesweep_lookback_stateEbbT6_jjT7_P12ihipStream_tbENKUlT_T0_SI_SN_E_clISD_SD_SD_SD_EEDaS11_S12_SI_SN_EUlS11_E_NS1_11comp_targetILNS1_3genE9ELNS1_11target_archE1100ELNS1_3gpuE3ELNS1_3repE0EEENS1_47radix_sort_onesweep_sort_config_static_selectorELNS0_4arch9wavefront6targetE1EEEvSI_
    .private_segment_fixed_size: 0
    .sgpr_count:     6
    .sgpr_spill_count: 0
    .symbol:         _ZN7rocprim17ROCPRIM_400000_NS6detail17trampoline_kernelINS0_14default_configENS1_35radix_sort_onesweep_config_selectorIddEEZZNS1_29radix_sort_onesweep_iterationIS3_Lb0EN6thrust23THRUST_200600_302600_NS6detail15normal_iteratorINS8_10device_ptrIdEEEESD_SD_SD_jNS0_19identity_decomposerENS1_16block_id_wrapperIjLb1EEEEE10hipError_tT1_PNSt15iterator_traitsISI_E10value_typeET2_T3_PNSJ_ISO_E10value_typeET4_T5_PST_SU_PNS1_23onesweep_lookback_stateEbbT6_jjT7_P12ihipStream_tbENKUlT_T0_SI_SN_E_clISD_SD_SD_SD_EEDaS11_S12_SI_SN_EUlS11_E_NS1_11comp_targetILNS1_3genE9ELNS1_11target_archE1100ELNS1_3gpuE3ELNS1_3repE0EEENS1_47radix_sort_onesweep_sort_config_static_selectorELNS0_4arch9wavefront6targetE1EEEvSI_.kd
    .uniform_work_group_size: 1
    .uses_dynamic_stack: false
    .vgpr_count:     0
    .vgpr_spill_count: 0
    .wavefront_size: 64
  - .agpr_count:     0
    .args:
      - .offset:         0
        .size:           88
        .value_kind:     by_value
    .group_segment_fixed_size: 0
    .kernarg_segment_align: 8
    .kernarg_segment_size: 88
    .language:       OpenCL C
    .language_version:
      - 2
      - 0
    .max_flat_workgroup_size: 1024
    .name:           _ZN7rocprim17ROCPRIM_400000_NS6detail17trampoline_kernelINS0_14default_configENS1_35radix_sort_onesweep_config_selectorIddEEZZNS1_29radix_sort_onesweep_iterationIS3_Lb0EN6thrust23THRUST_200600_302600_NS6detail15normal_iteratorINS8_10device_ptrIdEEEESD_SD_SD_jNS0_19identity_decomposerENS1_16block_id_wrapperIjLb1EEEEE10hipError_tT1_PNSt15iterator_traitsISI_E10value_typeET2_T3_PNSJ_ISO_E10value_typeET4_T5_PST_SU_PNS1_23onesweep_lookback_stateEbbT6_jjT7_P12ihipStream_tbENKUlT_T0_SI_SN_E_clISD_SD_SD_SD_EEDaS11_S12_SI_SN_EUlS11_E_NS1_11comp_targetILNS1_3genE8ELNS1_11target_archE1030ELNS1_3gpuE2ELNS1_3repE0EEENS1_47radix_sort_onesweep_sort_config_static_selectorELNS0_4arch9wavefront6targetE1EEEvSI_
    .private_segment_fixed_size: 0
    .sgpr_count:     6
    .sgpr_spill_count: 0
    .symbol:         _ZN7rocprim17ROCPRIM_400000_NS6detail17trampoline_kernelINS0_14default_configENS1_35radix_sort_onesweep_config_selectorIddEEZZNS1_29radix_sort_onesweep_iterationIS3_Lb0EN6thrust23THRUST_200600_302600_NS6detail15normal_iteratorINS8_10device_ptrIdEEEESD_SD_SD_jNS0_19identity_decomposerENS1_16block_id_wrapperIjLb1EEEEE10hipError_tT1_PNSt15iterator_traitsISI_E10value_typeET2_T3_PNSJ_ISO_E10value_typeET4_T5_PST_SU_PNS1_23onesweep_lookback_stateEbbT6_jjT7_P12ihipStream_tbENKUlT_T0_SI_SN_E_clISD_SD_SD_SD_EEDaS11_S12_SI_SN_EUlS11_E_NS1_11comp_targetILNS1_3genE8ELNS1_11target_archE1030ELNS1_3gpuE2ELNS1_3repE0EEENS1_47radix_sort_onesweep_sort_config_static_selectorELNS0_4arch9wavefront6targetE1EEEvSI_.kd
    .uniform_work_group_size: 1
    .uses_dynamic_stack: false
    .vgpr_count:     0
    .vgpr_spill_count: 0
    .wavefront_size: 64
  - .agpr_count:     0
    .args:
      - .offset:         0
        .size:           88
        .value_kind:     by_value
    .group_segment_fixed_size: 0
    .kernarg_segment_align: 8
    .kernarg_segment_size: 88
    .language:       OpenCL C
    .language_version:
      - 2
      - 0
    .max_flat_workgroup_size: 512
    .name:           _ZN7rocprim17ROCPRIM_400000_NS6detail17trampoline_kernelINS0_14default_configENS1_35radix_sort_onesweep_config_selectorIddEEZZNS1_29radix_sort_onesweep_iterationIS3_Lb0EN6thrust23THRUST_200600_302600_NS6detail15normal_iteratorINS8_10device_ptrIdEEEESD_SD_SD_jNS0_19identity_decomposerENS1_16block_id_wrapperIjLb1EEEEE10hipError_tT1_PNSt15iterator_traitsISI_E10value_typeET2_T3_PNSJ_ISO_E10value_typeET4_T5_PST_SU_PNS1_23onesweep_lookback_stateEbbT6_jjT7_P12ihipStream_tbENKUlT_T0_SI_SN_E_clISD_PdSD_S15_EEDaS11_S12_SI_SN_EUlS11_E_NS1_11comp_targetILNS1_3genE0ELNS1_11target_archE4294967295ELNS1_3gpuE0ELNS1_3repE0EEENS1_47radix_sort_onesweep_sort_config_static_selectorELNS0_4arch9wavefront6targetE1EEEvSI_
    .private_segment_fixed_size: 0
    .sgpr_count:     6
    .sgpr_spill_count: 0
    .symbol:         _ZN7rocprim17ROCPRIM_400000_NS6detail17trampoline_kernelINS0_14default_configENS1_35radix_sort_onesweep_config_selectorIddEEZZNS1_29radix_sort_onesweep_iterationIS3_Lb0EN6thrust23THRUST_200600_302600_NS6detail15normal_iteratorINS8_10device_ptrIdEEEESD_SD_SD_jNS0_19identity_decomposerENS1_16block_id_wrapperIjLb1EEEEE10hipError_tT1_PNSt15iterator_traitsISI_E10value_typeET2_T3_PNSJ_ISO_E10value_typeET4_T5_PST_SU_PNS1_23onesweep_lookback_stateEbbT6_jjT7_P12ihipStream_tbENKUlT_T0_SI_SN_E_clISD_PdSD_S15_EEDaS11_S12_SI_SN_EUlS11_E_NS1_11comp_targetILNS1_3genE0ELNS1_11target_archE4294967295ELNS1_3gpuE0ELNS1_3repE0EEENS1_47radix_sort_onesweep_sort_config_static_selectorELNS0_4arch9wavefront6targetE1EEEvSI_.kd
    .uniform_work_group_size: 1
    .uses_dynamic_stack: false
    .vgpr_count:     0
    .vgpr_spill_count: 0
    .wavefront_size: 64
  - .agpr_count:     0
    .args:
      - .offset:         0
        .size:           88
        .value_kind:     by_value
      - .offset:         88
        .size:           4
        .value_kind:     hidden_block_count_x
      - .offset:         92
        .size:           4
        .value_kind:     hidden_block_count_y
      - .offset:         96
        .size:           4
        .value_kind:     hidden_block_count_z
      - .offset:         100
        .size:           2
        .value_kind:     hidden_group_size_x
      - .offset:         102
        .size:           2
        .value_kind:     hidden_group_size_y
      - .offset:         104
        .size:           2
        .value_kind:     hidden_group_size_z
      - .offset:         106
        .size:           2
        .value_kind:     hidden_remainder_x
      - .offset:         108
        .size:           2
        .value_kind:     hidden_remainder_y
      - .offset:         110
        .size:           2
        .value_kind:     hidden_remainder_z
      - .offset:         128
        .size:           8
        .value_kind:     hidden_global_offset_x
      - .offset:         136
        .size:           8
        .value_kind:     hidden_global_offset_y
      - .offset:         144
        .size:           8
        .value_kind:     hidden_global_offset_z
      - .offset:         152
        .size:           2
        .value_kind:     hidden_grid_dims
    .group_segment_fixed_size: 53328
    .kernarg_segment_align: 8
    .kernarg_segment_size: 344
    .language:       OpenCL C
    .language_version:
      - 2
      - 0
    .max_flat_workgroup_size: 1024
    .name:           _ZN7rocprim17ROCPRIM_400000_NS6detail17trampoline_kernelINS0_14default_configENS1_35radix_sort_onesweep_config_selectorIddEEZZNS1_29radix_sort_onesweep_iterationIS3_Lb0EN6thrust23THRUST_200600_302600_NS6detail15normal_iteratorINS8_10device_ptrIdEEEESD_SD_SD_jNS0_19identity_decomposerENS1_16block_id_wrapperIjLb1EEEEE10hipError_tT1_PNSt15iterator_traitsISI_E10value_typeET2_T3_PNSJ_ISO_E10value_typeET4_T5_PST_SU_PNS1_23onesweep_lookback_stateEbbT6_jjT7_P12ihipStream_tbENKUlT_T0_SI_SN_E_clISD_PdSD_S15_EEDaS11_S12_SI_SN_EUlS11_E_NS1_11comp_targetILNS1_3genE6ELNS1_11target_archE950ELNS1_3gpuE13ELNS1_3repE0EEENS1_47radix_sort_onesweep_sort_config_static_selectorELNS0_4arch9wavefront6targetE1EEEvSI_
    .private_segment_fixed_size: 48
    .sgpr_count:     65
    .sgpr_spill_count: 0
    .symbol:         _ZN7rocprim17ROCPRIM_400000_NS6detail17trampoline_kernelINS0_14default_configENS1_35radix_sort_onesweep_config_selectorIddEEZZNS1_29radix_sort_onesweep_iterationIS3_Lb0EN6thrust23THRUST_200600_302600_NS6detail15normal_iteratorINS8_10device_ptrIdEEEESD_SD_SD_jNS0_19identity_decomposerENS1_16block_id_wrapperIjLb1EEEEE10hipError_tT1_PNSt15iterator_traitsISI_E10value_typeET2_T3_PNSJ_ISO_E10value_typeET4_T5_PST_SU_PNS1_23onesweep_lookback_stateEbbT6_jjT7_P12ihipStream_tbENKUlT_T0_SI_SN_E_clISD_PdSD_S15_EEDaS11_S12_SI_SN_EUlS11_E_NS1_11comp_targetILNS1_3genE6ELNS1_11target_archE950ELNS1_3gpuE13ELNS1_3repE0EEENS1_47radix_sort_onesweep_sort_config_static_selectorELNS0_4arch9wavefront6targetE1EEEvSI_.kd
    .uniform_work_group_size: 1
    .uses_dynamic_stack: false
    .vgpr_count:     58
    .vgpr_spill_count: 0
    .wavefront_size: 64
  - .agpr_count:     0
    .args:
      - .offset:         0
        .size:           88
        .value_kind:     by_value
    .group_segment_fixed_size: 0
    .kernarg_segment_align: 8
    .kernarg_segment_size: 88
    .language:       OpenCL C
    .language_version:
      - 2
      - 0
    .max_flat_workgroup_size: 1024
    .name:           _ZN7rocprim17ROCPRIM_400000_NS6detail17trampoline_kernelINS0_14default_configENS1_35radix_sort_onesweep_config_selectorIddEEZZNS1_29radix_sort_onesweep_iterationIS3_Lb0EN6thrust23THRUST_200600_302600_NS6detail15normal_iteratorINS8_10device_ptrIdEEEESD_SD_SD_jNS0_19identity_decomposerENS1_16block_id_wrapperIjLb1EEEEE10hipError_tT1_PNSt15iterator_traitsISI_E10value_typeET2_T3_PNSJ_ISO_E10value_typeET4_T5_PST_SU_PNS1_23onesweep_lookback_stateEbbT6_jjT7_P12ihipStream_tbENKUlT_T0_SI_SN_E_clISD_PdSD_S15_EEDaS11_S12_SI_SN_EUlS11_E_NS1_11comp_targetILNS1_3genE5ELNS1_11target_archE942ELNS1_3gpuE9ELNS1_3repE0EEENS1_47radix_sort_onesweep_sort_config_static_selectorELNS0_4arch9wavefront6targetE1EEEvSI_
    .private_segment_fixed_size: 0
    .sgpr_count:     6
    .sgpr_spill_count: 0
    .symbol:         _ZN7rocprim17ROCPRIM_400000_NS6detail17trampoline_kernelINS0_14default_configENS1_35radix_sort_onesweep_config_selectorIddEEZZNS1_29radix_sort_onesweep_iterationIS3_Lb0EN6thrust23THRUST_200600_302600_NS6detail15normal_iteratorINS8_10device_ptrIdEEEESD_SD_SD_jNS0_19identity_decomposerENS1_16block_id_wrapperIjLb1EEEEE10hipError_tT1_PNSt15iterator_traitsISI_E10value_typeET2_T3_PNSJ_ISO_E10value_typeET4_T5_PST_SU_PNS1_23onesweep_lookback_stateEbbT6_jjT7_P12ihipStream_tbENKUlT_T0_SI_SN_E_clISD_PdSD_S15_EEDaS11_S12_SI_SN_EUlS11_E_NS1_11comp_targetILNS1_3genE5ELNS1_11target_archE942ELNS1_3gpuE9ELNS1_3repE0EEENS1_47radix_sort_onesweep_sort_config_static_selectorELNS0_4arch9wavefront6targetE1EEEvSI_.kd
    .uniform_work_group_size: 1
    .uses_dynamic_stack: false
    .vgpr_count:     0
    .vgpr_spill_count: 0
    .wavefront_size: 64
  - .agpr_count:     0
    .args:
      - .offset:         0
        .size:           88
        .value_kind:     by_value
    .group_segment_fixed_size: 0
    .kernarg_segment_align: 8
    .kernarg_segment_size: 88
    .language:       OpenCL C
    .language_version:
      - 2
      - 0
    .max_flat_workgroup_size: 512
    .name:           _ZN7rocprim17ROCPRIM_400000_NS6detail17trampoline_kernelINS0_14default_configENS1_35radix_sort_onesweep_config_selectorIddEEZZNS1_29radix_sort_onesweep_iterationIS3_Lb0EN6thrust23THRUST_200600_302600_NS6detail15normal_iteratorINS8_10device_ptrIdEEEESD_SD_SD_jNS0_19identity_decomposerENS1_16block_id_wrapperIjLb1EEEEE10hipError_tT1_PNSt15iterator_traitsISI_E10value_typeET2_T3_PNSJ_ISO_E10value_typeET4_T5_PST_SU_PNS1_23onesweep_lookback_stateEbbT6_jjT7_P12ihipStream_tbENKUlT_T0_SI_SN_E_clISD_PdSD_S15_EEDaS11_S12_SI_SN_EUlS11_E_NS1_11comp_targetILNS1_3genE2ELNS1_11target_archE906ELNS1_3gpuE6ELNS1_3repE0EEENS1_47radix_sort_onesweep_sort_config_static_selectorELNS0_4arch9wavefront6targetE1EEEvSI_
    .private_segment_fixed_size: 0
    .sgpr_count:     6
    .sgpr_spill_count: 0
    .symbol:         _ZN7rocprim17ROCPRIM_400000_NS6detail17trampoline_kernelINS0_14default_configENS1_35radix_sort_onesweep_config_selectorIddEEZZNS1_29radix_sort_onesweep_iterationIS3_Lb0EN6thrust23THRUST_200600_302600_NS6detail15normal_iteratorINS8_10device_ptrIdEEEESD_SD_SD_jNS0_19identity_decomposerENS1_16block_id_wrapperIjLb1EEEEE10hipError_tT1_PNSt15iterator_traitsISI_E10value_typeET2_T3_PNSJ_ISO_E10value_typeET4_T5_PST_SU_PNS1_23onesweep_lookback_stateEbbT6_jjT7_P12ihipStream_tbENKUlT_T0_SI_SN_E_clISD_PdSD_S15_EEDaS11_S12_SI_SN_EUlS11_E_NS1_11comp_targetILNS1_3genE2ELNS1_11target_archE906ELNS1_3gpuE6ELNS1_3repE0EEENS1_47radix_sort_onesweep_sort_config_static_selectorELNS0_4arch9wavefront6targetE1EEEvSI_.kd
    .uniform_work_group_size: 1
    .uses_dynamic_stack: false
    .vgpr_count:     0
    .vgpr_spill_count: 0
    .wavefront_size: 64
  - .agpr_count:     0
    .args:
      - .offset:         0
        .size:           88
        .value_kind:     by_value
    .group_segment_fixed_size: 0
    .kernarg_segment_align: 8
    .kernarg_segment_size: 88
    .language:       OpenCL C
    .language_version:
      - 2
      - 0
    .max_flat_workgroup_size: 1024
    .name:           _ZN7rocprim17ROCPRIM_400000_NS6detail17trampoline_kernelINS0_14default_configENS1_35radix_sort_onesweep_config_selectorIddEEZZNS1_29radix_sort_onesweep_iterationIS3_Lb0EN6thrust23THRUST_200600_302600_NS6detail15normal_iteratorINS8_10device_ptrIdEEEESD_SD_SD_jNS0_19identity_decomposerENS1_16block_id_wrapperIjLb1EEEEE10hipError_tT1_PNSt15iterator_traitsISI_E10value_typeET2_T3_PNSJ_ISO_E10value_typeET4_T5_PST_SU_PNS1_23onesweep_lookback_stateEbbT6_jjT7_P12ihipStream_tbENKUlT_T0_SI_SN_E_clISD_PdSD_S15_EEDaS11_S12_SI_SN_EUlS11_E_NS1_11comp_targetILNS1_3genE4ELNS1_11target_archE910ELNS1_3gpuE8ELNS1_3repE0EEENS1_47radix_sort_onesweep_sort_config_static_selectorELNS0_4arch9wavefront6targetE1EEEvSI_
    .private_segment_fixed_size: 0
    .sgpr_count:     6
    .sgpr_spill_count: 0
    .symbol:         _ZN7rocprim17ROCPRIM_400000_NS6detail17trampoline_kernelINS0_14default_configENS1_35radix_sort_onesweep_config_selectorIddEEZZNS1_29radix_sort_onesweep_iterationIS3_Lb0EN6thrust23THRUST_200600_302600_NS6detail15normal_iteratorINS8_10device_ptrIdEEEESD_SD_SD_jNS0_19identity_decomposerENS1_16block_id_wrapperIjLb1EEEEE10hipError_tT1_PNSt15iterator_traitsISI_E10value_typeET2_T3_PNSJ_ISO_E10value_typeET4_T5_PST_SU_PNS1_23onesweep_lookback_stateEbbT6_jjT7_P12ihipStream_tbENKUlT_T0_SI_SN_E_clISD_PdSD_S15_EEDaS11_S12_SI_SN_EUlS11_E_NS1_11comp_targetILNS1_3genE4ELNS1_11target_archE910ELNS1_3gpuE8ELNS1_3repE0EEENS1_47radix_sort_onesweep_sort_config_static_selectorELNS0_4arch9wavefront6targetE1EEEvSI_.kd
    .uniform_work_group_size: 1
    .uses_dynamic_stack: false
    .vgpr_count:     0
    .vgpr_spill_count: 0
    .wavefront_size: 64
  - .agpr_count:     0
    .args:
      - .offset:         0
        .size:           88
        .value_kind:     by_value
    .group_segment_fixed_size: 0
    .kernarg_segment_align: 8
    .kernarg_segment_size: 88
    .language:       OpenCL C
    .language_version:
      - 2
      - 0
    .max_flat_workgroup_size: 512
    .name:           _ZN7rocprim17ROCPRIM_400000_NS6detail17trampoline_kernelINS0_14default_configENS1_35radix_sort_onesweep_config_selectorIddEEZZNS1_29radix_sort_onesweep_iterationIS3_Lb0EN6thrust23THRUST_200600_302600_NS6detail15normal_iteratorINS8_10device_ptrIdEEEESD_SD_SD_jNS0_19identity_decomposerENS1_16block_id_wrapperIjLb1EEEEE10hipError_tT1_PNSt15iterator_traitsISI_E10value_typeET2_T3_PNSJ_ISO_E10value_typeET4_T5_PST_SU_PNS1_23onesweep_lookback_stateEbbT6_jjT7_P12ihipStream_tbENKUlT_T0_SI_SN_E_clISD_PdSD_S15_EEDaS11_S12_SI_SN_EUlS11_E_NS1_11comp_targetILNS1_3genE3ELNS1_11target_archE908ELNS1_3gpuE7ELNS1_3repE0EEENS1_47radix_sort_onesweep_sort_config_static_selectorELNS0_4arch9wavefront6targetE1EEEvSI_
    .private_segment_fixed_size: 0
    .sgpr_count:     6
    .sgpr_spill_count: 0
    .symbol:         _ZN7rocprim17ROCPRIM_400000_NS6detail17trampoline_kernelINS0_14default_configENS1_35radix_sort_onesweep_config_selectorIddEEZZNS1_29radix_sort_onesweep_iterationIS3_Lb0EN6thrust23THRUST_200600_302600_NS6detail15normal_iteratorINS8_10device_ptrIdEEEESD_SD_SD_jNS0_19identity_decomposerENS1_16block_id_wrapperIjLb1EEEEE10hipError_tT1_PNSt15iterator_traitsISI_E10value_typeET2_T3_PNSJ_ISO_E10value_typeET4_T5_PST_SU_PNS1_23onesweep_lookback_stateEbbT6_jjT7_P12ihipStream_tbENKUlT_T0_SI_SN_E_clISD_PdSD_S15_EEDaS11_S12_SI_SN_EUlS11_E_NS1_11comp_targetILNS1_3genE3ELNS1_11target_archE908ELNS1_3gpuE7ELNS1_3repE0EEENS1_47radix_sort_onesweep_sort_config_static_selectorELNS0_4arch9wavefront6targetE1EEEvSI_.kd
    .uniform_work_group_size: 1
    .uses_dynamic_stack: false
    .vgpr_count:     0
    .vgpr_spill_count: 0
    .wavefront_size: 64
  - .agpr_count:     0
    .args:
      - .offset:         0
        .size:           88
        .value_kind:     by_value
    .group_segment_fixed_size: 0
    .kernarg_segment_align: 8
    .kernarg_segment_size: 88
    .language:       OpenCL C
    .language_version:
      - 2
      - 0
    .max_flat_workgroup_size: 1024
    .name:           _ZN7rocprim17ROCPRIM_400000_NS6detail17trampoline_kernelINS0_14default_configENS1_35radix_sort_onesweep_config_selectorIddEEZZNS1_29radix_sort_onesweep_iterationIS3_Lb0EN6thrust23THRUST_200600_302600_NS6detail15normal_iteratorINS8_10device_ptrIdEEEESD_SD_SD_jNS0_19identity_decomposerENS1_16block_id_wrapperIjLb1EEEEE10hipError_tT1_PNSt15iterator_traitsISI_E10value_typeET2_T3_PNSJ_ISO_E10value_typeET4_T5_PST_SU_PNS1_23onesweep_lookback_stateEbbT6_jjT7_P12ihipStream_tbENKUlT_T0_SI_SN_E_clISD_PdSD_S15_EEDaS11_S12_SI_SN_EUlS11_E_NS1_11comp_targetILNS1_3genE10ELNS1_11target_archE1201ELNS1_3gpuE5ELNS1_3repE0EEENS1_47radix_sort_onesweep_sort_config_static_selectorELNS0_4arch9wavefront6targetE1EEEvSI_
    .private_segment_fixed_size: 0
    .sgpr_count:     6
    .sgpr_spill_count: 0
    .symbol:         _ZN7rocprim17ROCPRIM_400000_NS6detail17trampoline_kernelINS0_14default_configENS1_35radix_sort_onesweep_config_selectorIddEEZZNS1_29radix_sort_onesweep_iterationIS3_Lb0EN6thrust23THRUST_200600_302600_NS6detail15normal_iteratorINS8_10device_ptrIdEEEESD_SD_SD_jNS0_19identity_decomposerENS1_16block_id_wrapperIjLb1EEEEE10hipError_tT1_PNSt15iterator_traitsISI_E10value_typeET2_T3_PNSJ_ISO_E10value_typeET4_T5_PST_SU_PNS1_23onesweep_lookback_stateEbbT6_jjT7_P12ihipStream_tbENKUlT_T0_SI_SN_E_clISD_PdSD_S15_EEDaS11_S12_SI_SN_EUlS11_E_NS1_11comp_targetILNS1_3genE10ELNS1_11target_archE1201ELNS1_3gpuE5ELNS1_3repE0EEENS1_47radix_sort_onesweep_sort_config_static_selectorELNS0_4arch9wavefront6targetE1EEEvSI_.kd
    .uniform_work_group_size: 1
    .uses_dynamic_stack: false
    .vgpr_count:     0
    .vgpr_spill_count: 0
    .wavefront_size: 64
  - .agpr_count:     0
    .args:
      - .offset:         0
        .size:           88
        .value_kind:     by_value
    .group_segment_fixed_size: 0
    .kernarg_segment_align: 8
    .kernarg_segment_size: 88
    .language:       OpenCL C
    .language_version:
      - 2
      - 0
    .max_flat_workgroup_size: 1024
    .name:           _ZN7rocprim17ROCPRIM_400000_NS6detail17trampoline_kernelINS0_14default_configENS1_35radix_sort_onesweep_config_selectorIddEEZZNS1_29radix_sort_onesweep_iterationIS3_Lb0EN6thrust23THRUST_200600_302600_NS6detail15normal_iteratorINS8_10device_ptrIdEEEESD_SD_SD_jNS0_19identity_decomposerENS1_16block_id_wrapperIjLb1EEEEE10hipError_tT1_PNSt15iterator_traitsISI_E10value_typeET2_T3_PNSJ_ISO_E10value_typeET4_T5_PST_SU_PNS1_23onesweep_lookback_stateEbbT6_jjT7_P12ihipStream_tbENKUlT_T0_SI_SN_E_clISD_PdSD_S15_EEDaS11_S12_SI_SN_EUlS11_E_NS1_11comp_targetILNS1_3genE9ELNS1_11target_archE1100ELNS1_3gpuE3ELNS1_3repE0EEENS1_47radix_sort_onesweep_sort_config_static_selectorELNS0_4arch9wavefront6targetE1EEEvSI_
    .private_segment_fixed_size: 0
    .sgpr_count:     6
    .sgpr_spill_count: 0
    .symbol:         _ZN7rocprim17ROCPRIM_400000_NS6detail17trampoline_kernelINS0_14default_configENS1_35radix_sort_onesweep_config_selectorIddEEZZNS1_29radix_sort_onesweep_iterationIS3_Lb0EN6thrust23THRUST_200600_302600_NS6detail15normal_iteratorINS8_10device_ptrIdEEEESD_SD_SD_jNS0_19identity_decomposerENS1_16block_id_wrapperIjLb1EEEEE10hipError_tT1_PNSt15iterator_traitsISI_E10value_typeET2_T3_PNSJ_ISO_E10value_typeET4_T5_PST_SU_PNS1_23onesweep_lookback_stateEbbT6_jjT7_P12ihipStream_tbENKUlT_T0_SI_SN_E_clISD_PdSD_S15_EEDaS11_S12_SI_SN_EUlS11_E_NS1_11comp_targetILNS1_3genE9ELNS1_11target_archE1100ELNS1_3gpuE3ELNS1_3repE0EEENS1_47radix_sort_onesweep_sort_config_static_selectorELNS0_4arch9wavefront6targetE1EEEvSI_.kd
    .uniform_work_group_size: 1
    .uses_dynamic_stack: false
    .vgpr_count:     0
    .vgpr_spill_count: 0
    .wavefront_size: 64
  - .agpr_count:     0
    .args:
      - .offset:         0
        .size:           88
        .value_kind:     by_value
    .group_segment_fixed_size: 0
    .kernarg_segment_align: 8
    .kernarg_segment_size: 88
    .language:       OpenCL C
    .language_version:
      - 2
      - 0
    .max_flat_workgroup_size: 1024
    .name:           _ZN7rocprim17ROCPRIM_400000_NS6detail17trampoline_kernelINS0_14default_configENS1_35radix_sort_onesweep_config_selectorIddEEZZNS1_29radix_sort_onesweep_iterationIS3_Lb0EN6thrust23THRUST_200600_302600_NS6detail15normal_iteratorINS8_10device_ptrIdEEEESD_SD_SD_jNS0_19identity_decomposerENS1_16block_id_wrapperIjLb1EEEEE10hipError_tT1_PNSt15iterator_traitsISI_E10value_typeET2_T3_PNSJ_ISO_E10value_typeET4_T5_PST_SU_PNS1_23onesweep_lookback_stateEbbT6_jjT7_P12ihipStream_tbENKUlT_T0_SI_SN_E_clISD_PdSD_S15_EEDaS11_S12_SI_SN_EUlS11_E_NS1_11comp_targetILNS1_3genE8ELNS1_11target_archE1030ELNS1_3gpuE2ELNS1_3repE0EEENS1_47radix_sort_onesweep_sort_config_static_selectorELNS0_4arch9wavefront6targetE1EEEvSI_
    .private_segment_fixed_size: 0
    .sgpr_count:     6
    .sgpr_spill_count: 0
    .symbol:         _ZN7rocprim17ROCPRIM_400000_NS6detail17trampoline_kernelINS0_14default_configENS1_35radix_sort_onesweep_config_selectorIddEEZZNS1_29radix_sort_onesweep_iterationIS3_Lb0EN6thrust23THRUST_200600_302600_NS6detail15normal_iteratorINS8_10device_ptrIdEEEESD_SD_SD_jNS0_19identity_decomposerENS1_16block_id_wrapperIjLb1EEEEE10hipError_tT1_PNSt15iterator_traitsISI_E10value_typeET2_T3_PNSJ_ISO_E10value_typeET4_T5_PST_SU_PNS1_23onesweep_lookback_stateEbbT6_jjT7_P12ihipStream_tbENKUlT_T0_SI_SN_E_clISD_PdSD_S15_EEDaS11_S12_SI_SN_EUlS11_E_NS1_11comp_targetILNS1_3genE8ELNS1_11target_archE1030ELNS1_3gpuE2ELNS1_3repE0EEENS1_47radix_sort_onesweep_sort_config_static_selectorELNS0_4arch9wavefront6targetE1EEEvSI_.kd
    .uniform_work_group_size: 1
    .uses_dynamic_stack: false
    .vgpr_count:     0
    .vgpr_spill_count: 0
    .wavefront_size: 64
  - .agpr_count:     0
    .args:
      - .offset:         0
        .size:           88
        .value_kind:     by_value
    .group_segment_fixed_size: 0
    .kernarg_segment_align: 8
    .kernarg_segment_size: 88
    .language:       OpenCL C
    .language_version:
      - 2
      - 0
    .max_flat_workgroup_size: 512
    .name:           _ZN7rocprim17ROCPRIM_400000_NS6detail17trampoline_kernelINS0_14default_configENS1_35radix_sort_onesweep_config_selectorIddEEZZNS1_29radix_sort_onesweep_iterationIS3_Lb0EN6thrust23THRUST_200600_302600_NS6detail15normal_iteratorINS8_10device_ptrIdEEEESD_SD_SD_jNS0_19identity_decomposerENS1_16block_id_wrapperIjLb1EEEEE10hipError_tT1_PNSt15iterator_traitsISI_E10value_typeET2_T3_PNSJ_ISO_E10value_typeET4_T5_PST_SU_PNS1_23onesweep_lookback_stateEbbT6_jjT7_P12ihipStream_tbENKUlT_T0_SI_SN_E_clIPdSD_S15_SD_EEDaS11_S12_SI_SN_EUlS11_E_NS1_11comp_targetILNS1_3genE0ELNS1_11target_archE4294967295ELNS1_3gpuE0ELNS1_3repE0EEENS1_47radix_sort_onesweep_sort_config_static_selectorELNS0_4arch9wavefront6targetE1EEEvSI_
    .private_segment_fixed_size: 0
    .sgpr_count:     6
    .sgpr_spill_count: 0
    .symbol:         _ZN7rocprim17ROCPRIM_400000_NS6detail17trampoline_kernelINS0_14default_configENS1_35radix_sort_onesweep_config_selectorIddEEZZNS1_29radix_sort_onesweep_iterationIS3_Lb0EN6thrust23THRUST_200600_302600_NS6detail15normal_iteratorINS8_10device_ptrIdEEEESD_SD_SD_jNS0_19identity_decomposerENS1_16block_id_wrapperIjLb1EEEEE10hipError_tT1_PNSt15iterator_traitsISI_E10value_typeET2_T3_PNSJ_ISO_E10value_typeET4_T5_PST_SU_PNS1_23onesweep_lookback_stateEbbT6_jjT7_P12ihipStream_tbENKUlT_T0_SI_SN_E_clIPdSD_S15_SD_EEDaS11_S12_SI_SN_EUlS11_E_NS1_11comp_targetILNS1_3genE0ELNS1_11target_archE4294967295ELNS1_3gpuE0ELNS1_3repE0EEENS1_47radix_sort_onesweep_sort_config_static_selectorELNS0_4arch9wavefront6targetE1EEEvSI_.kd
    .uniform_work_group_size: 1
    .uses_dynamic_stack: false
    .vgpr_count:     0
    .vgpr_spill_count: 0
    .wavefront_size: 64
  - .agpr_count:     0
    .args:
      - .offset:         0
        .size:           88
        .value_kind:     by_value
      - .offset:         88
        .size:           4
        .value_kind:     hidden_block_count_x
      - .offset:         92
        .size:           4
        .value_kind:     hidden_block_count_y
      - .offset:         96
        .size:           4
        .value_kind:     hidden_block_count_z
      - .offset:         100
        .size:           2
        .value_kind:     hidden_group_size_x
      - .offset:         102
        .size:           2
        .value_kind:     hidden_group_size_y
      - .offset:         104
        .size:           2
        .value_kind:     hidden_group_size_z
      - .offset:         106
        .size:           2
        .value_kind:     hidden_remainder_x
      - .offset:         108
        .size:           2
        .value_kind:     hidden_remainder_y
      - .offset:         110
        .size:           2
        .value_kind:     hidden_remainder_z
      - .offset:         128
        .size:           8
        .value_kind:     hidden_global_offset_x
      - .offset:         136
        .size:           8
        .value_kind:     hidden_global_offset_y
      - .offset:         144
        .size:           8
        .value_kind:     hidden_global_offset_z
      - .offset:         152
        .size:           2
        .value_kind:     hidden_grid_dims
    .group_segment_fixed_size: 53328
    .kernarg_segment_align: 8
    .kernarg_segment_size: 344
    .language:       OpenCL C
    .language_version:
      - 2
      - 0
    .max_flat_workgroup_size: 1024
    .name:           _ZN7rocprim17ROCPRIM_400000_NS6detail17trampoline_kernelINS0_14default_configENS1_35radix_sort_onesweep_config_selectorIddEEZZNS1_29radix_sort_onesweep_iterationIS3_Lb0EN6thrust23THRUST_200600_302600_NS6detail15normal_iteratorINS8_10device_ptrIdEEEESD_SD_SD_jNS0_19identity_decomposerENS1_16block_id_wrapperIjLb1EEEEE10hipError_tT1_PNSt15iterator_traitsISI_E10value_typeET2_T3_PNSJ_ISO_E10value_typeET4_T5_PST_SU_PNS1_23onesweep_lookback_stateEbbT6_jjT7_P12ihipStream_tbENKUlT_T0_SI_SN_E_clIPdSD_S15_SD_EEDaS11_S12_SI_SN_EUlS11_E_NS1_11comp_targetILNS1_3genE6ELNS1_11target_archE950ELNS1_3gpuE13ELNS1_3repE0EEENS1_47radix_sort_onesweep_sort_config_static_selectorELNS0_4arch9wavefront6targetE1EEEvSI_
    .private_segment_fixed_size: 48
    .sgpr_count:     65
    .sgpr_spill_count: 0
    .symbol:         _ZN7rocprim17ROCPRIM_400000_NS6detail17trampoline_kernelINS0_14default_configENS1_35radix_sort_onesweep_config_selectorIddEEZZNS1_29radix_sort_onesweep_iterationIS3_Lb0EN6thrust23THRUST_200600_302600_NS6detail15normal_iteratorINS8_10device_ptrIdEEEESD_SD_SD_jNS0_19identity_decomposerENS1_16block_id_wrapperIjLb1EEEEE10hipError_tT1_PNSt15iterator_traitsISI_E10value_typeET2_T3_PNSJ_ISO_E10value_typeET4_T5_PST_SU_PNS1_23onesweep_lookback_stateEbbT6_jjT7_P12ihipStream_tbENKUlT_T0_SI_SN_E_clIPdSD_S15_SD_EEDaS11_S12_SI_SN_EUlS11_E_NS1_11comp_targetILNS1_3genE6ELNS1_11target_archE950ELNS1_3gpuE13ELNS1_3repE0EEENS1_47radix_sort_onesweep_sort_config_static_selectorELNS0_4arch9wavefront6targetE1EEEvSI_.kd
    .uniform_work_group_size: 1
    .uses_dynamic_stack: false
    .vgpr_count:     58
    .vgpr_spill_count: 0
    .wavefront_size: 64
  - .agpr_count:     0
    .args:
      - .offset:         0
        .size:           88
        .value_kind:     by_value
    .group_segment_fixed_size: 0
    .kernarg_segment_align: 8
    .kernarg_segment_size: 88
    .language:       OpenCL C
    .language_version:
      - 2
      - 0
    .max_flat_workgroup_size: 1024
    .name:           _ZN7rocprim17ROCPRIM_400000_NS6detail17trampoline_kernelINS0_14default_configENS1_35radix_sort_onesweep_config_selectorIddEEZZNS1_29radix_sort_onesweep_iterationIS3_Lb0EN6thrust23THRUST_200600_302600_NS6detail15normal_iteratorINS8_10device_ptrIdEEEESD_SD_SD_jNS0_19identity_decomposerENS1_16block_id_wrapperIjLb1EEEEE10hipError_tT1_PNSt15iterator_traitsISI_E10value_typeET2_T3_PNSJ_ISO_E10value_typeET4_T5_PST_SU_PNS1_23onesweep_lookback_stateEbbT6_jjT7_P12ihipStream_tbENKUlT_T0_SI_SN_E_clIPdSD_S15_SD_EEDaS11_S12_SI_SN_EUlS11_E_NS1_11comp_targetILNS1_3genE5ELNS1_11target_archE942ELNS1_3gpuE9ELNS1_3repE0EEENS1_47radix_sort_onesweep_sort_config_static_selectorELNS0_4arch9wavefront6targetE1EEEvSI_
    .private_segment_fixed_size: 0
    .sgpr_count:     6
    .sgpr_spill_count: 0
    .symbol:         _ZN7rocprim17ROCPRIM_400000_NS6detail17trampoline_kernelINS0_14default_configENS1_35radix_sort_onesweep_config_selectorIddEEZZNS1_29radix_sort_onesweep_iterationIS3_Lb0EN6thrust23THRUST_200600_302600_NS6detail15normal_iteratorINS8_10device_ptrIdEEEESD_SD_SD_jNS0_19identity_decomposerENS1_16block_id_wrapperIjLb1EEEEE10hipError_tT1_PNSt15iterator_traitsISI_E10value_typeET2_T3_PNSJ_ISO_E10value_typeET4_T5_PST_SU_PNS1_23onesweep_lookback_stateEbbT6_jjT7_P12ihipStream_tbENKUlT_T0_SI_SN_E_clIPdSD_S15_SD_EEDaS11_S12_SI_SN_EUlS11_E_NS1_11comp_targetILNS1_3genE5ELNS1_11target_archE942ELNS1_3gpuE9ELNS1_3repE0EEENS1_47radix_sort_onesweep_sort_config_static_selectorELNS0_4arch9wavefront6targetE1EEEvSI_.kd
    .uniform_work_group_size: 1
    .uses_dynamic_stack: false
    .vgpr_count:     0
    .vgpr_spill_count: 0
    .wavefront_size: 64
  - .agpr_count:     0
    .args:
      - .offset:         0
        .size:           88
        .value_kind:     by_value
    .group_segment_fixed_size: 0
    .kernarg_segment_align: 8
    .kernarg_segment_size: 88
    .language:       OpenCL C
    .language_version:
      - 2
      - 0
    .max_flat_workgroup_size: 512
    .name:           _ZN7rocprim17ROCPRIM_400000_NS6detail17trampoline_kernelINS0_14default_configENS1_35radix_sort_onesweep_config_selectorIddEEZZNS1_29radix_sort_onesweep_iterationIS3_Lb0EN6thrust23THRUST_200600_302600_NS6detail15normal_iteratorINS8_10device_ptrIdEEEESD_SD_SD_jNS0_19identity_decomposerENS1_16block_id_wrapperIjLb1EEEEE10hipError_tT1_PNSt15iterator_traitsISI_E10value_typeET2_T3_PNSJ_ISO_E10value_typeET4_T5_PST_SU_PNS1_23onesweep_lookback_stateEbbT6_jjT7_P12ihipStream_tbENKUlT_T0_SI_SN_E_clIPdSD_S15_SD_EEDaS11_S12_SI_SN_EUlS11_E_NS1_11comp_targetILNS1_3genE2ELNS1_11target_archE906ELNS1_3gpuE6ELNS1_3repE0EEENS1_47radix_sort_onesweep_sort_config_static_selectorELNS0_4arch9wavefront6targetE1EEEvSI_
    .private_segment_fixed_size: 0
    .sgpr_count:     6
    .sgpr_spill_count: 0
    .symbol:         _ZN7rocprim17ROCPRIM_400000_NS6detail17trampoline_kernelINS0_14default_configENS1_35radix_sort_onesweep_config_selectorIddEEZZNS1_29radix_sort_onesweep_iterationIS3_Lb0EN6thrust23THRUST_200600_302600_NS6detail15normal_iteratorINS8_10device_ptrIdEEEESD_SD_SD_jNS0_19identity_decomposerENS1_16block_id_wrapperIjLb1EEEEE10hipError_tT1_PNSt15iterator_traitsISI_E10value_typeET2_T3_PNSJ_ISO_E10value_typeET4_T5_PST_SU_PNS1_23onesweep_lookback_stateEbbT6_jjT7_P12ihipStream_tbENKUlT_T0_SI_SN_E_clIPdSD_S15_SD_EEDaS11_S12_SI_SN_EUlS11_E_NS1_11comp_targetILNS1_3genE2ELNS1_11target_archE906ELNS1_3gpuE6ELNS1_3repE0EEENS1_47radix_sort_onesweep_sort_config_static_selectorELNS0_4arch9wavefront6targetE1EEEvSI_.kd
    .uniform_work_group_size: 1
    .uses_dynamic_stack: false
    .vgpr_count:     0
    .vgpr_spill_count: 0
    .wavefront_size: 64
  - .agpr_count:     0
    .args:
      - .offset:         0
        .size:           88
        .value_kind:     by_value
    .group_segment_fixed_size: 0
    .kernarg_segment_align: 8
    .kernarg_segment_size: 88
    .language:       OpenCL C
    .language_version:
      - 2
      - 0
    .max_flat_workgroup_size: 1024
    .name:           _ZN7rocprim17ROCPRIM_400000_NS6detail17trampoline_kernelINS0_14default_configENS1_35radix_sort_onesweep_config_selectorIddEEZZNS1_29radix_sort_onesweep_iterationIS3_Lb0EN6thrust23THRUST_200600_302600_NS6detail15normal_iteratorINS8_10device_ptrIdEEEESD_SD_SD_jNS0_19identity_decomposerENS1_16block_id_wrapperIjLb1EEEEE10hipError_tT1_PNSt15iterator_traitsISI_E10value_typeET2_T3_PNSJ_ISO_E10value_typeET4_T5_PST_SU_PNS1_23onesweep_lookback_stateEbbT6_jjT7_P12ihipStream_tbENKUlT_T0_SI_SN_E_clIPdSD_S15_SD_EEDaS11_S12_SI_SN_EUlS11_E_NS1_11comp_targetILNS1_3genE4ELNS1_11target_archE910ELNS1_3gpuE8ELNS1_3repE0EEENS1_47radix_sort_onesweep_sort_config_static_selectorELNS0_4arch9wavefront6targetE1EEEvSI_
    .private_segment_fixed_size: 0
    .sgpr_count:     6
    .sgpr_spill_count: 0
    .symbol:         _ZN7rocprim17ROCPRIM_400000_NS6detail17trampoline_kernelINS0_14default_configENS1_35radix_sort_onesweep_config_selectorIddEEZZNS1_29radix_sort_onesweep_iterationIS3_Lb0EN6thrust23THRUST_200600_302600_NS6detail15normal_iteratorINS8_10device_ptrIdEEEESD_SD_SD_jNS0_19identity_decomposerENS1_16block_id_wrapperIjLb1EEEEE10hipError_tT1_PNSt15iterator_traitsISI_E10value_typeET2_T3_PNSJ_ISO_E10value_typeET4_T5_PST_SU_PNS1_23onesweep_lookback_stateEbbT6_jjT7_P12ihipStream_tbENKUlT_T0_SI_SN_E_clIPdSD_S15_SD_EEDaS11_S12_SI_SN_EUlS11_E_NS1_11comp_targetILNS1_3genE4ELNS1_11target_archE910ELNS1_3gpuE8ELNS1_3repE0EEENS1_47radix_sort_onesweep_sort_config_static_selectorELNS0_4arch9wavefront6targetE1EEEvSI_.kd
    .uniform_work_group_size: 1
    .uses_dynamic_stack: false
    .vgpr_count:     0
    .vgpr_spill_count: 0
    .wavefront_size: 64
  - .agpr_count:     0
    .args:
      - .offset:         0
        .size:           88
        .value_kind:     by_value
    .group_segment_fixed_size: 0
    .kernarg_segment_align: 8
    .kernarg_segment_size: 88
    .language:       OpenCL C
    .language_version:
      - 2
      - 0
    .max_flat_workgroup_size: 512
    .name:           _ZN7rocprim17ROCPRIM_400000_NS6detail17trampoline_kernelINS0_14default_configENS1_35radix_sort_onesweep_config_selectorIddEEZZNS1_29radix_sort_onesweep_iterationIS3_Lb0EN6thrust23THRUST_200600_302600_NS6detail15normal_iteratorINS8_10device_ptrIdEEEESD_SD_SD_jNS0_19identity_decomposerENS1_16block_id_wrapperIjLb1EEEEE10hipError_tT1_PNSt15iterator_traitsISI_E10value_typeET2_T3_PNSJ_ISO_E10value_typeET4_T5_PST_SU_PNS1_23onesweep_lookback_stateEbbT6_jjT7_P12ihipStream_tbENKUlT_T0_SI_SN_E_clIPdSD_S15_SD_EEDaS11_S12_SI_SN_EUlS11_E_NS1_11comp_targetILNS1_3genE3ELNS1_11target_archE908ELNS1_3gpuE7ELNS1_3repE0EEENS1_47radix_sort_onesweep_sort_config_static_selectorELNS0_4arch9wavefront6targetE1EEEvSI_
    .private_segment_fixed_size: 0
    .sgpr_count:     6
    .sgpr_spill_count: 0
    .symbol:         _ZN7rocprim17ROCPRIM_400000_NS6detail17trampoline_kernelINS0_14default_configENS1_35radix_sort_onesweep_config_selectorIddEEZZNS1_29radix_sort_onesweep_iterationIS3_Lb0EN6thrust23THRUST_200600_302600_NS6detail15normal_iteratorINS8_10device_ptrIdEEEESD_SD_SD_jNS0_19identity_decomposerENS1_16block_id_wrapperIjLb1EEEEE10hipError_tT1_PNSt15iterator_traitsISI_E10value_typeET2_T3_PNSJ_ISO_E10value_typeET4_T5_PST_SU_PNS1_23onesweep_lookback_stateEbbT6_jjT7_P12ihipStream_tbENKUlT_T0_SI_SN_E_clIPdSD_S15_SD_EEDaS11_S12_SI_SN_EUlS11_E_NS1_11comp_targetILNS1_3genE3ELNS1_11target_archE908ELNS1_3gpuE7ELNS1_3repE0EEENS1_47radix_sort_onesweep_sort_config_static_selectorELNS0_4arch9wavefront6targetE1EEEvSI_.kd
    .uniform_work_group_size: 1
    .uses_dynamic_stack: false
    .vgpr_count:     0
    .vgpr_spill_count: 0
    .wavefront_size: 64
  - .agpr_count:     0
    .args:
      - .offset:         0
        .size:           88
        .value_kind:     by_value
    .group_segment_fixed_size: 0
    .kernarg_segment_align: 8
    .kernarg_segment_size: 88
    .language:       OpenCL C
    .language_version:
      - 2
      - 0
    .max_flat_workgroup_size: 1024
    .name:           _ZN7rocprim17ROCPRIM_400000_NS6detail17trampoline_kernelINS0_14default_configENS1_35radix_sort_onesweep_config_selectorIddEEZZNS1_29radix_sort_onesweep_iterationIS3_Lb0EN6thrust23THRUST_200600_302600_NS6detail15normal_iteratorINS8_10device_ptrIdEEEESD_SD_SD_jNS0_19identity_decomposerENS1_16block_id_wrapperIjLb1EEEEE10hipError_tT1_PNSt15iterator_traitsISI_E10value_typeET2_T3_PNSJ_ISO_E10value_typeET4_T5_PST_SU_PNS1_23onesweep_lookback_stateEbbT6_jjT7_P12ihipStream_tbENKUlT_T0_SI_SN_E_clIPdSD_S15_SD_EEDaS11_S12_SI_SN_EUlS11_E_NS1_11comp_targetILNS1_3genE10ELNS1_11target_archE1201ELNS1_3gpuE5ELNS1_3repE0EEENS1_47radix_sort_onesweep_sort_config_static_selectorELNS0_4arch9wavefront6targetE1EEEvSI_
    .private_segment_fixed_size: 0
    .sgpr_count:     6
    .sgpr_spill_count: 0
    .symbol:         _ZN7rocprim17ROCPRIM_400000_NS6detail17trampoline_kernelINS0_14default_configENS1_35radix_sort_onesweep_config_selectorIddEEZZNS1_29radix_sort_onesweep_iterationIS3_Lb0EN6thrust23THRUST_200600_302600_NS6detail15normal_iteratorINS8_10device_ptrIdEEEESD_SD_SD_jNS0_19identity_decomposerENS1_16block_id_wrapperIjLb1EEEEE10hipError_tT1_PNSt15iterator_traitsISI_E10value_typeET2_T3_PNSJ_ISO_E10value_typeET4_T5_PST_SU_PNS1_23onesweep_lookback_stateEbbT6_jjT7_P12ihipStream_tbENKUlT_T0_SI_SN_E_clIPdSD_S15_SD_EEDaS11_S12_SI_SN_EUlS11_E_NS1_11comp_targetILNS1_3genE10ELNS1_11target_archE1201ELNS1_3gpuE5ELNS1_3repE0EEENS1_47radix_sort_onesweep_sort_config_static_selectorELNS0_4arch9wavefront6targetE1EEEvSI_.kd
    .uniform_work_group_size: 1
    .uses_dynamic_stack: false
    .vgpr_count:     0
    .vgpr_spill_count: 0
    .wavefront_size: 64
  - .agpr_count:     0
    .args:
      - .offset:         0
        .size:           88
        .value_kind:     by_value
    .group_segment_fixed_size: 0
    .kernarg_segment_align: 8
    .kernarg_segment_size: 88
    .language:       OpenCL C
    .language_version:
      - 2
      - 0
    .max_flat_workgroup_size: 1024
    .name:           _ZN7rocprim17ROCPRIM_400000_NS6detail17trampoline_kernelINS0_14default_configENS1_35radix_sort_onesweep_config_selectorIddEEZZNS1_29radix_sort_onesweep_iterationIS3_Lb0EN6thrust23THRUST_200600_302600_NS6detail15normal_iteratorINS8_10device_ptrIdEEEESD_SD_SD_jNS0_19identity_decomposerENS1_16block_id_wrapperIjLb1EEEEE10hipError_tT1_PNSt15iterator_traitsISI_E10value_typeET2_T3_PNSJ_ISO_E10value_typeET4_T5_PST_SU_PNS1_23onesweep_lookback_stateEbbT6_jjT7_P12ihipStream_tbENKUlT_T0_SI_SN_E_clIPdSD_S15_SD_EEDaS11_S12_SI_SN_EUlS11_E_NS1_11comp_targetILNS1_3genE9ELNS1_11target_archE1100ELNS1_3gpuE3ELNS1_3repE0EEENS1_47radix_sort_onesweep_sort_config_static_selectorELNS0_4arch9wavefront6targetE1EEEvSI_
    .private_segment_fixed_size: 0
    .sgpr_count:     6
    .sgpr_spill_count: 0
    .symbol:         _ZN7rocprim17ROCPRIM_400000_NS6detail17trampoline_kernelINS0_14default_configENS1_35radix_sort_onesweep_config_selectorIddEEZZNS1_29radix_sort_onesweep_iterationIS3_Lb0EN6thrust23THRUST_200600_302600_NS6detail15normal_iteratorINS8_10device_ptrIdEEEESD_SD_SD_jNS0_19identity_decomposerENS1_16block_id_wrapperIjLb1EEEEE10hipError_tT1_PNSt15iterator_traitsISI_E10value_typeET2_T3_PNSJ_ISO_E10value_typeET4_T5_PST_SU_PNS1_23onesweep_lookback_stateEbbT6_jjT7_P12ihipStream_tbENKUlT_T0_SI_SN_E_clIPdSD_S15_SD_EEDaS11_S12_SI_SN_EUlS11_E_NS1_11comp_targetILNS1_3genE9ELNS1_11target_archE1100ELNS1_3gpuE3ELNS1_3repE0EEENS1_47radix_sort_onesweep_sort_config_static_selectorELNS0_4arch9wavefront6targetE1EEEvSI_.kd
    .uniform_work_group_size: 1
    .uses_dynamic_stack: false
    .vgpr_count:     0
    .vgpr_spill_count: 0
    .wavefront_size: 64
  - .agpr_count:     0
    .args:
      - .offset:         0
        .size:           88
        .value_kind:     by_value
    .group_segment_fixed_size: 0
    .kernarg_segment_align: 8
    .kernarg_segment_size: 88
    .language:       OpenCL C
    .language_version:
      - 2
      - 0
    .max_flat_workgroup_size: 1024
    .name:           _ZN7rocprim17ROCPRIM_400000_NS6detail17trampoline_kernelINS0_14default_configENS1_35radix_sort_onesweep_config_selectorIddEEZZNS1_29radix_sort_onesweep_iterationIS3_Lb0EN6thrust23THRUST_200600_302600_NS6detail15normal_iteratorINS8_10device_ptrIdEEEESD_SD_SD_jNS0_19identity_decomposerENS1_16block_id_wrapperIjLb1EEEEE10hipError_tT1_PNSt15iterator_traitsISI_E10value_typeET2_T3_PNSJ_ISO_E10value_typeET4_T5_PST_SU_PNS1_23onesweep_lookback_stateEbbT6_jjT7_P12ihipStream_tbENKUlT_T0_SI_SN_E_clIPdSD_S15_SD_EEDaS11_S12_SI_SN_EUlS11_E_NS1_11comp_targetILNS1_3genE8ELNS1_11target_archE1030ELNS1_3gpuE2ELNS1_3repE0EEENS1_47radix_sort_onesweep_sort_config_static_selectorELNS0_4arch9wavefront6targetE1EEEvSI_
    .private_segment_fixed_size: 0
    .sgpr_count:     6
    .sgpr_spill_count: 0
    .symbol:         _ZN7rocprim17ROCPRIM_400000_NS6detail17trampoline_kernelINS0_14default_configENS1_35radix_sort_onesweep_config_selectorIddEEZZNS1_29radix_sort_onesweep_iterationIS3_Lb0EN6thrust23THRUST_200600_302600_NS6detail15normal_iteratorINS8_10device_ptrIdEEEESD_SD_SD_jNS0_19identity_decomposerENS1_16block_id_wrapperIjLb1EEEEE10hipError_tT1_PNSt15iterator_traitsISI_E10value_typeET2_T3_PNSJ_ISO_E10value_typeET4_T5_PST_SU_PNS1_23onesweep_lookback_stateEbbT6_jjT7_P12ihipStream_tbENKUlT_T0_SI_SN_E_clIPdSD_S15_SD_EEDaS11_S12_SI_SN_EUlS11_E_NS1_11comp_targetILNS1_3genE8ELNS1_11target_archE1030ELNS1_3gpuE2ELNS1_3repE0EEENS1_47radix_sort_onesweep_sort_config_static_selectorELNS0_4arch9wavefront6targetE1EEEvSI_.kd
    .uniform_work_group_size: 1
    .uses_dynamic_stack: false
    .vgpr_count:     0
    .vgpr_spill_count: 0
    .wavefront_size: 64
  - .agpr_count:     0
    .args:
      - .offset:         0
        .size:           88
        .value_kind:     by_value
    .group_segment_fixed_size: 0
    .kernarg_segment_align: 8
    .kernarg_segment_size: 88
    .language:       OpenCL C
    .language_version:
      - 2
      - 0
    .max_flat_workgroup_size: 512
    .name:           _ZN7rocprim17ROCPRIM_400000_NS6detail17trampoline_kernelINS0_14default_configENS1_35radix_sort_onesweep_config_selectorIddEEZZNS1_29radix_sort_onesweep_iterationIS3_Lb0EN6thrust23THRUST_200600_302600_NS6detail15normal_iteratorINS8_10device_ptrIdEEEESD_SD_SD_jNS0_19identity_decomposerENS1_16block_id_wrapperIjLb0EEEEE10hipError_tT1_PNSt15iterator_traitsISI_E10value_typeET2_T3_PNSJ_ISO_E10value_typeET4_T5_PST_SU_PNS1_23onesweep_lookback_stateEbbT6_jjT7_P12ihipStream_tbENKUlT_T0_SI_SN_E_clISD_SD_SD_SD_EEDaS11_S12_SI_SN_EUlS11_E_NS1_11comp_targetILNS1_3genE0ELNS1_11target_archE4294967295ELNS1_3gpuE0ELNS1_3repE0EEENS1_47radix_sort_onesweep_sort_config_static_selectorELNS0_4arch9wavefront6targetE1EEEvSI_
    .private_segment_fixed_size: 0
    .sgpr_count:     6
    .sgpr_spill_count: 0
    .symbol:         _ZN7rocprim17ROCPRIM_400000_NS6detail17trampoline_kernelINS0_14default_configENS1_35radix_sort_onesweep_config_selectorIddEEZZNS1_29radix_sort_onesweep_iterationIS3_Lb0EN6thrust23THRUST_200600_302600_NS6detail15normal_iteratorINS8_10device_ptrIdEEEESD_SD_SD_jNS0_19identity_decomposerENS1_16block_id_wrapperIjLb0EEEEE10hipError_tT1_PNSt15iterator_traitsISI_E10value_typeET2_T3_PNSJ_ISO_E10value_typeET4_T5_PST_SU_PNS1_23onesweep_lookback_stateEbbT6_jjT7_P12ihipStream_tbENKUlT_T0_SI_SN_E_clISD_SD_SD_SD_EEDaS11_S12_SI_SN_EUlS11_E_NS1_11comp_targetILNS1_3genE0ELNS1_11target_archE4294967295ELNS1_3gpuE0ELNS1_3repE0EEENS1_47radix_sort_onesweep_sort_config_static_selectorELNS0_4arch9wavefront6targetE1EEEvSI_.kd
    .uniform_work_group_size: 1
    .uses_dynamic_stack: false
    .vgpr_count:     0
    .vgpr_spill_count: 0
    .wavefront_size: 64
  - .agpr_count:     0
    .args:
      - .offset:         0
        .size:           88
        .value_kind:     by_value
      - .offset:         88
        .size:           4
        .value_kind:     hidden_block_count_x
      - .offset:         92
        .size:           4
        .value_kind:     hidden_block_count_y
      - .offset:         96
        .size:           4
        .value_kind:     hidden_block_count_z
      - .offset:         100
        .size:           2
        .value_kind:     hidden_group_size_x
      - .offset:         102
        .size:           2
        .value_kind:     hidden_group_size_y
      - .offset:         104
        .size:           2
        .value_kind:     hidden_group_size_z
      - .offset:         106
        .size:           2
        .value_kind:     hidden_remainder_x
      - .offset:         108
        .size:           2
        .value_kind:     hidden_remainder_y
      - .offset:         110
        .size:           2
        .value_kind:     hidden_remainder_z
      - .offset:         128
        .size:           8
        .value_kind:     hidden_global_offset_x
      - .offset:         136
        .size:           8
        .value_kind:     hidden_global_offset_y
      - .offset:         144
        .size:           8
        .value_kind:     hidden_global_offset_z
      - .offset:         152
        .size:           2
        .value_kind:     hidden_grid_dims
    .group_segment_fixed_size: 53328
    .kernarg_segment_align: 8
    .kernarg_segment_size: 344
    .language:       OpenCL C
    .language_version:
      - 2
      - 0
    .max_flat_workgroup_size: 1024
    .name:           _ZN7rocprim17ROCPRIM_400000_NS6detail17trampoline_kernelINS0_14default_configENS1_35radix_sort_onesweep_config_selectorIddEEZZNS1_29radix_sort_onesweep_iterationIS3_Lb0EN6thrust23THRUST_200600_302600_NS6detail15normal_iteratorINS8_10device_ptrIdEEEESD_SD_SD_jNS0_19identity_decomposerENS1_16block_id_wrapperIjLb0EEEEE10hipError_tT1_PNSt15iterator_traitsISI_E10value_typeET2_T3_PNSJ_ISO_E10value_typeET4_T5_PST_SU_PNS1_23onesweep_lookback_stateEbbT6_jjT7_P12ihipStream_tbENKUlT_T0_SI_SN_E_clISD_SD_SD_SD_EEDaS11_S12_SI_SN_EUlS11_E_NS1_11comp_targetILNS1_3genE6ELNS1_11target_archE950ELNS1_3gpuE13ELNS1_3repE0EEENS1_47radix_sort_onesweep_sort_config_static_selectorELNS0_4arch9wavefront6targetE1EEEvSI_
    .private_segment_fixed_size: 48
    .sgpr_count:     62
    .sgpr_spill_count: 0
    .symbol:         _ZN7rocprim17ROCPRIM_400000_NS6detail17trampoline_kernelINS0_14default_configENS1_35radix_sort_onesweep_config_selectorIddEEZZNS1_29radix_sort_onesweep_iterationIS3_Lb0EN6thrust23THRUST_200600_302600_NS6detail15normal_iteratorINS8_10device_ptrIdEEEESD_SD_SD_jNS0_19identity_decomposerENS1_16block_id_wrapperIjLb0EEEEE10hipError_tT1_PNSt15iterator_traitsISI_E10value_typeET2_T3_PNSJ_ISO_E10value_typeET4_T5_PST_SU_PNS1_23onesweep_lookback_stateEbbT6_jjT7_P12ihipStream_tbENKUlT_T0_SI_SN_E_clISD_SD_SD_SD_EEDaS11_S12_SI_SN_EUlS11_E_NS1_11comp_targetILNS1_3genE6ELNS1_11target_archE950ELNS1_3gpuE13ELNS1_3repE0EEENS1_47radix_sort_onesweep_sort_config_static_selectorELNS0_4arch9wavefront6targetE1EEEvSI_.kd
    .uniform_work_group_size: 1
    .uses_dynamic_stack: false
    .vgpr_count:     58
    .vgpr_spill_count: 0
    .wavefront_size: 64
  - .agpr_count:     0
    .args:
      - .offset:         0
        .size:           88
        .value_kind:     by_value
    .group_segment_fixed_size: 0
    .kernarg_segment_align: 8
    .kernarg_segment_size: 88
    .language:       OpenCL C
    .language_version:
      - 2
      - 0
    .max_flat_workgroup_size: 1024
    .name:           _ZN7rocprim17ROCPRIM_400000_NS6detail17trampoline_kernelINS0_14default_configENS1_35radix_sort_onesweep_config_selectorIddEEZZNS1_29radix_sort_onesweep_iterationIS3_Lb0EN6thrust23THRUST_200600_302600_NS6detail15normal_iteratorINS8_10device_ptrIdEEEESD_SD_SD_jNS0_19identity_decomposerENS1_16block_id_wrapperIjLb0EEEEE10hipError_tT1_PNSt15iterator_traitsISI_E10value_typeET2_T3_PNSJ_ISO_E10value_typeET4_T5_PST_SU_PNS1_23onesweep_lookback_stateEbbT6_jjT7_P12ihipStream_tbENKUlT_T0_SI_SN_E_clISD_SD_SD_SD_EEDaS11_S12_SI_SN_EUlS11_E_NS1_11comp_targetILNS1_3genE5ELNS1_11target_archE942ELNS1_3gpuE9ELNS1_3repE0EEENS1_47radix_sort_onesweep_sort_config_static_selectorELNS0_4arch9wavefront6targetE1EEEvSI_
    .private_segment_fixed_size: 0
    .sgpr_count:     6
    .sgpr_spill_count: 0
    .symbol:         _ZN7rocprim17ROCPRIM_400000_NS6detail17trampoline_kernelINS0_14default_configENS1_35radix_sort_onesweep_config_selectorIddEEZZNS1_29radix_sort_onesweep_iterationIS3_Lb0EN6thrust23THRUST_200600_302600_NS6detail15normal_iteratorINS8_10device_ptrIdEEEESD_SD_SD_jNS0_19identity_decomposerENS1_16block_id_wrapperIjLb0EEEEE10hipError_tT1_PNSt15iterator_traitsISI_E10value_typeET2_T3_PNSJ_ISO_E10value_typeET4_T5_PST_SU_PNS1_23onesweep_lookback_stateEbbT6_jjT7_P12ihipStream_tbENKUlT_T0_SI_SN_E_clISD_SD_SD_SD_EEDaS11_S12_SI_SN_EUlS11_E_NS1_11comp_targetILNS1_3genE5ELNS1_11target_archE942ELNS1_3gpuE9ELNS1_3repE0EEENS1_47radix_sort_onesweep_sort_config_static_selectorELNS0_4arch9wavefront6targetE1EEEvSI_.kd
    .uniform_work_group_size: 1
    .uses_dynamic_stack: false
    .vgpr_count:     0
    .vgpr_spill_count: 0
    .wavefront_size: 64
  - .agpr_count:     0
    .args:
      - .offset:         0
        .size:           88
        .value_kind:     by_value
    .group_segment_fixed_size: 0
    .kernarg_segment_align: 8
    .kernarg_segment_size: 88
    .language:       OpenCL C
    .language_version:
      - 2
      - 0
    .max_flat_workgroup_size: 512
    .name:           _ZN7rocprim17ROCPRIM_400000_NS6detail17trampoline_kernelINS0_14default_configENS1_35radix_sort_onesweep_config_selectorIddEEZZNS1_29radix_sort_onesweep_iterationIS3_Lb0EN6thrust23THRUST_200600_302600_NS6detail15normal_iteratorINS8_10device_ptrIdEEEESD_SD_SD_jNS0_19identity_decomposerENS1_16block_id_wrapperIjLb0EEEEE10hipError_tT1_PNSt15iterator_traitsISI_E10value_typeET2_T3_PNSJ_ISO_E10value_typeET4_T5_PST_SU_PNS1_23onesweep_lookback_stateEbbT6_jjT7_P12ihipStream_tbENKUlT_T0_SI_SN_E_clISD_SD_SD_SD_EEDaS11_S12_SI_SN_EUlS11_E_NS1_11comp_targetILNS1_3genE2ELNS1_11target_archE906ELNS1_3gpuE6ELNS1_3repE0EEENS1_47radix_sort_onesweep_sort_config_static_selectorELNS0_4arch9wavefront6targetE1EEEvSI_
    .private_segment_fixed_size: 0
    .sgpr_count:     6
    .sgpr_spill_count: 0
    .symbol:         _ZN7rocprim17ROCPRIM_400000_NS6detail17trampoline_kernelINS0_14default_configENS1_35radix_sort_onesweep_config_selectorIddEEZZNS1_29radix_sort_onesweep_iterationIS3_Lb0EN6thrust23THRUST_200600_302600_NS6detail15normal_iteratorINS8_10device_ptrIdEEEESD_SD_SD_jNS0_19identity_decomposerENS1_16block_id_wrapperIjLb0EEEEE10hipError_tT1_PNSt15iterator_traitsISI_E10value_typeET2_T3_PNSJ_ISO_E10value_typeET4_T5_PST_SU_PNS1_23onesweep_lookback_stateEbbT6_jjT7_P12ihipStream_tbENKUlT_T0_SI_SN_E_clISD_SD_SD_SD_EEDaS11_S12_SI_SN_EUlS11_E_NS1_11comp_targetILNS1_3genE2ELNS1_11target_archE906ELNS1_3gpuE6ELNS1_3repE0EEENS1_47radix_sort_onesweep_sort_config_static_selectorELNS0_4arch9wavefront6targetE1EEEvSI_.kd
    .uniform_work_group_size: 1
    .uses_dynamic_stack: false
    .vgpr_count:     0
    .vgpr_spill_count: 0
    .wavefront_size: 64
  - .agpr_count:     0
    .args:
      - .offset:         0
        .size:           88
        .value_kind:     by_value
    .group_segment_fixed_size: 0
    .kernarg_segment_align: 8
    .kernarg_segment_size: 88
    .language:       OpenCL C
    .language_version:
      - 2
      - 0
    .max_flat_workgroup_size: 1024
    .name:           _ZN7rocprim17ROCPRIM_400000_NS6detail17trampoline_kernelINS0_14default_configENS1_35radix_sort_onesweep_config_selectorIddEEZZNS1_29radix_sort_onesweep_iterationIS3_Lb0EN6thrust23THRUST_200600_302600_NS6detail15normal_iteratorINS8_10device_ptrIdEEEESD_SD_SD_jNS0_19identity_decomposerENS1_16block_id_wrapperIjLb0EEEEE10hipError_tT1_PNSt15iterator_traitsISI_E10value_typeET2_T3_PNSJ_ISO_E10value_typeET4_T5_PST_SU_PNS1_23onesweep_lookback_stateEbbT6_jjT7_P12ihipStream_tbENKUlT_T0_SI_SN_E_clISD_SD_SD_SD_EEDaS11_S12_SI_SN_EUlS11_E_NS1_11comp_targetILNS1_3genE4ELNS1_11target_archE910ELNS1_3gpuE8ELNS1_3repE0EEENS1_47radix_sort_onesweep_sort_config_static_selectorELNS0_4arch9wavefront6targetE1EEEvSI_
    .private_segment_fixed_size: 0
    .sgpr_count:     6
    .sgpr_spill_count: 0
    .symbol:         _ZN7rocprim17ROCPRIM_400000_NS6detail17trampoline_kernelINS0_14default_configENS1_35radix_sort_onesweep_config_selectorIddEEZZNS1_29radix_sort_onesweep_iterationIS3_Lb0EN6thrust23THRUST_200600_302600_NS6detail15normal_iteratorINS8_10device_ptrIdEEEESD_SD_SD_jNS0_19identity_decomposerENS1_16block_id_wrapperIjLb0EEEEE10hipError_tT1_PNSt15iterator_traitsISI_E10value_typeET2_T3_PNSJ_ISO_E10value_typeET4_T5_PST_SU_PNS1_23onesweep_lookback_stateEbbT6_jjT7_P12ihipStream_tbENKUlT_T0_SI_SN_E_clISD_SD_SD_SD_EEDaS11_S12_SI_SN_EUlS11_E_NS1_11comp_targetILNS1_3genE4ELNS1_11target_archE910ELNS1_3gpuE8ELNS1_3repE0EEENS1_47radix_sort_onesweep_sort_config_static_selectorELNS0_4arch9wavefront6targetE1EEEvSI_.kd
    .uniform_work_group_size: 1
    .uses_dynamic_stack: false
    .vgpr_count:     0
    .vgpr_spill_count: 0
    .wavefront_size: 64
  - .agpr_count:     0
    .args:
      - .offset:         0
        .size:           88
        .value_kind:     by_value
    .group_segment_fixed_size: 0
    .kernarg_segment_align: 8
    .kernarg_segment_size: 88
    .language:       OpenCL C
    .language_version:
      - 2
      - 0
    .max_flat_workgroup_size: 512
    .name:           _ZN7rocprim17ROCPRIM_400000_NS6detail17trampoline_kernelINS0_14default_configENS1_35radix_sort_onesweep_config_selectorIddEEZZNS1_29radix_sort_onesweep_iterationIS3_Lb0EN6thrust23THRUST_200600_302600_NS6detail15normal_iteratorINS8_10device_ptrIdEEEESD_SD_SD_jNS0_19identity_decomposerENS1_16block_id_wrapperIjLb0EEEEE10hipError_tT1_PNSt15iterator_traitsISI_E10value_typeET2_T3_PNSJ_ISO_E10value_typeET4_T5_PST_SU_PNS1_23onesweep_lookback_stateEbbT6_jjT7_P12ihipStream_tbENKUlT_T0_SI_SN_E_clISD_SD_SD_SD_EEDaS11_S12_SI_SN_EUlS11_E_NS1_11comp_targetILNS1_3genE3ELNS1_11target_archE908ELNS1_3gpuE7ELNS1_3repE0EEENS1_47radix_sort_onesweep_sort_config_static_selectorELNS0_4arch9wavefront6targetE1EEEvSI_
    .private_segment_fixed_size: 0
    .sgpr_count:     6
    .sgpr_spill_count: 0
    .symbol:         _ZN7rocprim17ROCPRIM_400000_NS6detail17trampoline_kernelINS0_14default_configENS1_35radix_sort_onesweep_config_selectorIddEEZZNS1_29radix_sort_onesweep_iterationIS3_Lb0EN6thrust23THRUST_200600_302600_NS6detail15normal_iteratorINS8_10device_ptrIdEEEESD_SD_SD_jNS0_19identity_decomposerENS1_16block_id_wrapperIjLb0EEEEE10hipError_tT1_PNSt15iterator_traitsISI_E10value_typeET2_T3_PNSJ_ISO_E10value_typeET4_T5_PST_SU_PNS1_23onesweep_lookback_stateEbbT6_jjT7_P12ihipStream_tbENKUlT_T0_SI_SN_E_clISD_SD_SD_SD_EEDaS11_S12_SI_SN_EUlS11_E_NS1_11comp_targetILNS1_3genE3ELNS1_11target_archE908ELNS1_3gpuE7ELNS1_3repE0EEENS1_47radix_sort_onesweep_sort_config_static_selectorELNS0_4arch9wavefront6targetE1EEEvSI_.kd
    .uniform_work_group_size: 1
    .uses_dynamic_stack: false
    .vgpr_count:     0
    .vgpr_spill_count: 0
    .wavefront_size: 64
  - .agpr_count:     0
    .args:
      - .offset:         0
        .size:           88
        .value_kind:     by_value
    .group_segment_fixed_size: 0
    .kernarg_segment_align: 8
    .kernarg_segment_size: 88
    .language:       OpenCL C
    .language_version:
      - 2
      - 0
    .max_flat_workgroup_size: 1024
    .name:           _ZN7rocprim17ROCPRIM_400000_NS6detail17trampoline_kernelINS0_14default_configENS1_35radix_sort_onesweep_config_selectorIddEEZZNS1_29radix_sort_onesweep_iterationIS3_Lb0EN6thrust23THRUST_200600_302600_NS6detail15normal_iteratorINS8_10device_ptrIdEEEESD_SD_SD_jNS0_19identity_decomposerENS1_16block_id_wrapperIjLb0EEEEE10hipError_tT1_PNSt15iterator_traitsISI_E10value_typeET2_T3_PNSJ_ISO_E10value_typeET4_T5_PST_SU_PNS1_23onesweep_lookback_stateEbbT6_jjT7_P12ihipStream_tbENKUlT_T0_SI_SN_E_clISD_SD_SD_SD_EEDaS11_S12_SI_SN_EUlS11_E_NS1_11comp_targetILNS1_3genE10ELNS1_11target_archE1201ELNS1_3gpuE5ELNS1_3repE0EEENS1_47radix_sort_onesweep_sort_config_static_selectorELNS0_4arch9wavefront6targetE1EEEvSI_
    .private_segment_fixed_size: 0
    .sgpr_count:     6
    .sgpr_spill_count: 0
    .symbol:         _ZN7rocprim17ROCPRIM_400000_NS6detail17trampoline_kernelINS0_14default_configENS1_35radix_sort_onesweep_config_selectorIddEEZZNS1_29radix_sort_onesweep_iterationIS3_Lb0EN6thrust23THRUST_200600_302600_NS6detail15normal_iteratorINS8_10device_ptrIdEEEESD_SD_SD_jNS0_19identity_decomposerENS1_16block_id_wrapperIjLb0EEEEE10hipError_tT1_PNSt15iterator_traitsISI_E10value_typeET2_T3_PNSJ_ISO_E10value_typeET4_T5_PST_SU_PNS1_23onesweep_lookback_stateEbbT6_jjT7_P12ihipStream_tbENKUlT_T0_SI_SN_E_clISD_SD_SD_SD_EEDaS11_S12_SI_SN_EUlS11_E_NS1_11comp_targetILNS1_3genE10ELNS1_11target_archE1201ELNS1_3gpuE5ELNS1_3repE0EEENS1_47radix_sort_onesweep_sort_config_static_selectorELNS0_4arch9wavefront6targetE1EEEvSI_.kd
    .uniform_work_group_size: 1
    .uses_dynamic_stack: false
    .vgpr_count:     0
    .vgpr_spill_count: 0
    .wavefront_size: 64
  - .agpr_count:     0
    .args:
      - .offset:         0
        .size:           88
        .value_kind:     by_value
    .group_segment_fixed_size: 0
    .kernarg_segment_align: 8
    .kernarg_segment_size: 88
    .language:       OpenCL C
    .language_version:
      - 2
      - 0
    .max_flat_workgroup_size: 1024
    .name:           _ZN7rocprim17ROCPRIM_400000_NS6detail17trampoline_kernelINS0_14default_configENS1_35radix_sort_onesweep_config_selectorIddEEZZNS1_29radix_sort_onesweep_iterationIS3_Lb0EN6thrust23THRUST_200600_302600_NS6detail15normal_iteratorINS8_10device_ptrIdEEEESD_SD_SD_jNS0_19identity_decomposerENS1_16block_id_wrapperIjLb0EEEEE10hipError_tT1_PNSt15iterator_traitsISI_E10value_typeET2_T3_PNSJ_ISO_E10value_typeET4_T5_PST_SU_PNS1_23onesweep_lookback_stateEbbT6_jjT7_P12ihipStream_tbENKUlT_T0_SI_SN_E_clISD_SD_SD_SD_EEDaS11_S12_SI_SN_EUlS11_E_NS1_11comp_targetILNS1_3genE9ELNS1_11target_archE1100ELNS1_3gpuE3ELNS1_3repE0EEENS1_47radix_sort_onesweep_sort_config_static_selectorELNS0_4arch9wavefront6targetE1EEEvSI_
    .private_segment_fixed_size: 0
    .sgpr_count:     6
    .sgpr_spill_count: 0
    .symbol:         _ZN7rocprim17ROCPRIM_400000_NS6detail17trampoline_kernelINS0_14default_configENS1_35radix_sort_onesweep_config_selectorIddEEZZNS1_29radix_sort_onesweep_iterationIS3_Lb0EN6thrust23THRUST_200600_302600_NS6detail15normal_iteratorINS8_10device_ptrIdEEEESD_SD_SD_jNS0_19identity_decomposerENS1_16block_id_wrapperIjLb0EEEEE10hipError_tT1_PNSt15iterator_traitsISI_E10value_typeET2_T3_PNSJ_ISO_E10value_typeET4_T5_PST_SU_PNS1_23onesweep_lookback_stateEbbT6_jjT7_P12ihipStream_tbENKUlT_T0_SI_SN_E_clISD_SD_SD_SD_EEDaS11_S12_SI_SN_EUlS11_E_NS1_11comp_targetILNS1_3genE9ELNS1_11target_archE1100ELNS1_3gpuE3ELNS1_3repE0EEENS1_47radix_sort_onesweep_sort_config_static_selectorELNS0_4arch9wavefront6targetE1EEEvSI_.kd
    .uniform_work_group_size: 1
    .uses_dynamic_stack: false
    .vgpr_count:     0
    .vgpr_spill_count: 0
    .wavefront_size: 64
  - .agpr_count:     0
    .args:
      - .offset:         0
        .size:           88
        .value_kind:     by_value
    .group_segment_fixed_size: 0
    .kernarg_segment_align: 8
    .kernarg_segment_size: 88
    .language:       OpenCL C
    .language_version:
      - 2
      - 0
    .max_flat_workgroup_size: 1024
    .name:           _ZN7rocprim17ROCPRIM_400000_NS6detail17trampoline_kernelINS0_14default_configENS1_35radix_sort_onesweep_config_selectorIddEEZZNS1_29radix_sort_onesweep_iterationIS3_Lb0EN6thrust23THRUST_200600_302600_NS6detail15normal_iteratorINS8_10device_ptrIdEEEESD_SD_SD_jNS0_19identity_decomposerENS1_16block_id_wrapperIjLb0EEEEE10hipError_tT1_PNSt15iterator_traitsISI_E10value_typeET2_T3_PNSJ_ISO_E10value_typeET4_T5_PST_SU_PNS1_23onesweep_lookback_stateEbbT6_jjT7_P12ihipStream_tbENKUlT_T0_SI_SN_E_clISD_SD_SD_SD_EEDaS11_S12_SI_SN_EUlS11_E_NS1_11comp_targetILNS1_3genE8ELNS1_11target_archE1030ELNS1_3gpuE2ELNS1_3repE0EEENS1_47radix_sort_onesweep_sort_config_static_selectorELNS0_4arch9wavefront6targetE1EEEvSI_
    .private_segment_fixed_size: 0
    .sgpr_count:     6
    .sgpr_spill_count: 0
    .symbol:         _ZN7rocprim17ROCPRIM_400000_NS6detail17trampoline_kernelINS0_14default_configENS1_35radix_sort_onesweep_config_selectorIddEEZZNS1_29radix_sort_onesweep_iterationIS3_Lb0EN6thrust23THRUST_200600_302600_NS6detail15normal_iteratorINS8_10device_ptrIdEEEESD_SD_SD_jNS0_19identity_decomposerENS1_16block_id_wrapperIjLb0EEEEE10hipError_tT1_PNSt15iterator_traitsISI_E10value_typeET2_T3_PNSJ_ISO_E10value_typeET4_T5_PST_SU_PNS1_23onesweep_lookback_stateEbbT6_jjT7_P12ihipStream_tbENKUlT_T0_SI_SN_E_clISD_SD_SD_SD_EEDaS11_S12_SI_SN_EUlS11_E_NS1_11comp_targetILNS1_3genE8ELNS1_11target_archE1030ELNS1_3gpuE2ELNS1_3repE0EEENS1_47radix_sort_onesweep_sort_config_static_selectorELNS0_4arch9wavefront6targetE1EEEvSI_.kd
    .uniform_work_group_size: 1
    .uses_dynamic_stack: false
    .vgpr_count:     0
    .vgpr_spill_count: 0
    .wavefront_size: 64
  - .agpr_count:     0
    .args:
      - .offset:         0
        .size:           88
        .value_kind:     by_value
    .group_segment_fixed_size: 0
    .kernarg_segment_align: 8
    .kernarg_segment_size: 88
    .language:       OpenCL C
    .language_version:
      - 2
      - 0
    .max_flat_workgroup_size: 512
    .name:           _ZN7rocprim17ROCPRIM_400000_NS6detail17trampoline_kernelINS0_14default_configENS1_35radix_sort_onesweep_config_selectorIddEEZZNS1_29radix_sort_onesweep_iterationIS3_Lb0EN6thrust23THRUST_200600_302600_NS6detail15normal_iteratorINS8_10device_ptrIdEEEESD_SD_SD_jNS0_19identity_decomposerENS1_16block_id_wrapperIjLb0EEEEE10hipError_tT1_PNSt15iterator_traitsISI_E10value_typeET2_T3_PNSJ_ISO_E10value_typeET4_T5_PST_SU_PNS1_23onesweep_lookback_stateEbbT6_jjT7_P12ihipStream_tbENKUlT_T0_SI_SN_E_clISD_PdSD_S15_EEDaS11_S12_SI_SN_EUlS11_E_NS1_11comp_targetILNS1_3genE0ELNS1_11target_archE4294967295ELNS1_3gpuE0ELNS1_3repE0EEENS1_47radix_sort_onesweep_sort_config_static_selectorELNS0_4arch9wavefront6targetE1EEEvSI_
    .private_segment_fixed_size: 0
    .sgpr_count:     6
    .sgpr_spill_count: 0
    .symbol:         _ZN7rocprim17ROCPRIM_400000_NS6detail17trampoline_kernelINS0_14default_configENS1_35radix_sort_onesweep_config_selectorIddEEZZNS1_29radix_sort_onesweep_iterationIS3_Lb0EN6thrust23THRUST_200600_302600_NS6detail15normal_iteratorINS8_10device_ptrIdEEEESD_SD_SD_jNS0_19identity_decomposerENS1_16block_id_wrapperIjLb0EEEEE10hipError_tT1_PNSt15iterator_traitsISI_E10value_typeET2_T3_PNSJ_ISO_E10value_typeET4_T5_PST_SU_PNS1_23onesweep_lookback_stateEbbT6_jjT7_P12ihipStream_tbENKUlT_T0_SI_SN_E_clISD_PdSD_S15_EEDaS11_S12_SI_SN_EUlS11_E_NS1_11comp_targetILNS1_3genE0ELNS1_11target_archE4294967295ELNS1_3gpuE0ELNS1_3repE0EEENS1_47radix_sort_onesweep_sort_config_static_selectorELNS0_4arch9wavefront6targetE1EEEvSI_.kd
    .uniform_work_group_size: 1
    .uses_dynamic_stack: false
    .vgpr_count:     0
    .vgpr_spill_count: 0
    .wavefront_size: 64
  - .agpr_count:     0
    .args:
      - .offset:         0
        .size:           88
        .value_kind:     by_value
      - .offset:         88
        .size:           4
        .value_kind:     hidden_block_count_x
      - .offset:         92
        .size:           4
        .value_kind:     hidden_block_count_y
      - .offset:         96
        .size:           4
        .value_kind:     hidden_block_count_z
      - .offset:         100
        .size:           2
        .value_kind:     hidden_group_size_x
      - .offset:         102
        .size:           2
        .value_kind:     hidden_group_size_y
      - .offset:         104
        .size:           2
        .value_kind:     hidden_group_size_z
      - .offset:         106
        .size:           2
        .value_kind:     hidden_remainder_x
      - .offset:         108
        .size:           2
        .value_kind:     hidden_remainder_y
      - .offset:         110
        .size:           2
        .value_kind:     hidden_remainder_z
      - .offset:         128
        .size:           8
        .value_kind:     hidden_global_offset_x
      - .offset:         136
        .size:           8
        .value_kind:     hidden_global_offset_y
      - .offset:         144
        .size:           8
        .value_kind:     hidden_global_offset_z
      - .offset:         152
        .size:           2
        .value_kind:     hidden_grid_dims
    .group_segment_fixed_size: 53328
    .kernarg_segment_align: 8
    .kernarg_segment_size: 344
    .language:       OpenCL C
    .language_version:
      - 2
      - 0
    .max_flat_workgroup_size: 1024
    .name:           _ZN7rocprim17ROCPRIM_400000_NS6detail17trampoline_kernelINS0_14default_configENS1_35radix_sort_onesweep_config_selectorIddEEZZNS1_29radix_sort_onesweep_iterationIS3_Lb0EN6thrust23THRUST_200600_302600_NS6detail15normal_iteratorINS8_10device_ptrIdEEEESD_SD_SD_jNS0_19identity_decomposerENS1_16block_id_wrapperIjLb0EEEEE10hipError_tT1_PNSt15iterator_traitsISI_E10value_typeET2_T3_PNSJ_ISO_E10value_typeET4_T5_PST_SU_PNS1_23onesweep_lookback_stateEbbT6_jjT7_P12ihipStream_tbENKUlT_T0_SI_SN_E_clISD_PdSD_S15_EEDaS11_S12_SI_SN_EUlS11_E_NS1_11comp_targetILNS1_3genE6ELNS1_11target_archE950ELNS1_3gpuE13ELNS1_3repE0EEENS1_47radix_sort_onesweep_sort_config_static_selectorELNS0_4arch9wavefront6targetE1EEEvSI_
    .private_segment_fixed_size: 48
    .sgpr_count:     62
    .sgpr_spill_count: 0
    .symbol:         _ZN7rocprim17ROCPRIM_400000_NS6detail17trampoline_kernelINS0_14default_configENS1_35radix_sort_onesweep_config_selectorIddEEZZNS1_29radix_sort_onesweep_iterationIS3_Lb0EN6thrust23THRUST_200600_302600_NS6detail15normal_iteratorINS8_10device_ptrIdEEEESD_SD_SD_jNS0_19identity_decomposerENS1_16block_id_wrapperIjLb0EEEEE10hipError_tT1_PNSt15iterator_traitsISI_E10value_typeET2_T3_PNSJ_ISO_E10value_typeET4_T5_PST_SU_PNS1_23onesweep_lookback_stateEbbT6_jjT7_P12ihipStream_tbENKUlT_T0_SI_SN_E_clISD_PdSD_S15_EEDaS11_S12_SI_SN_EUlS11_E_NS1_11comp_targetILNS1_3genE6ELNS1_11target_archE950ELNS1_3gpuE13ELNS1_3repE0EEENS1_47radix_sort_onesweep_sort_config_static_selectorELNS0_4arch9wavefront6targetE1EEEvSI_.kd
    .uniform_work_group_size: 1
    .uses_dynamic_stack: false
    .vgpr_count:     58
    .vgpr_spill_count: 0
    .wavefront_size: 64
  - .agpr_count:     0
    .args:
      - .offset:         0
        .size:           88
        .value_kind:     by_value
    .group_segment_fixed_size: 0
    .kernarg_segment_align: 8
    .kernarg_segment_size: 88
    .language:       OpenCL C
    .language_version:
      - 2
      - 0
    .max_flat_workgroup_size: 1024
    .name:           _ZN7rocprim17ROCPRIM_400000_NS6detail17trampoline_kernelINS0_14default_configENS1_35radix_sort_onesweep_config_selectorIddEEZZNS1_29radix_sort_onesweep_iterationIS3_Lb0EN6thrust23THRUST_200600_302600_NS6detail15normal_iteratorINS8_10device_ptrIdEEEESD_SD_SD_jNS0_19identity_decomposerENS1_16block_id_wrapperIjLb0EEEEE10hipError_tT1_PNSt15iterator_traitsISI_E10value_typeET2_T3_PNSJ_ISO_E10value_typeET4_T5_PST_SU_PNS1_23onesweep_lookback_stateEbbT6_jjT7_P12ihipStream_tbENKUlT_T0_SI_SN_E_clISD_PdSD_S15_EEDaS11_S12_SI_SN_EUlS11_E_NS1_11comp_targetILNS1_3genE5ELNS1_11target_archE942ELNS1_3gpuE9ELNS1_3repE0EEENS1_47radix_sort_onesweep_sort_config_static_selectorELNS0_4arch9wavefront6targetE1EEEvSI_
    .private_segment_fixed_size: 0
    .sgpr_count:     6
    .sgpr_spill_count: 0
    .symbol:         _ZN7rocprim17ROCPRIM_400000_NS6detail17trampoline_kernelINS0_14default_configENS1_35radix_sort_onesweep_config_selectorIddEEZZNS1_29radix_sort_onesweep_iterationIS3_Lb0EN6thrust23THRUST_200600_302600_NS6detail15normal_iteratorINS8_10device_ptrIdEEEESD_SD_SD_jNS0_19identity_decomposerENS1_16block_id_wrapperIjLb0EEEEE10hipError_tT1_PNSt15iterator_traitsISI_E10value_typeET2_T3_PNSJ_ISO_E10value_typeET4_T5_PST_SU_PNS1_23onesweep_lookback_stateEbbT6_jjT7_P12ihipStream_tbENKUlT_T0_SI_SN_E_clISD_PdSD_S15_EEDaS11_S12_SI_SN_EUlS11_E_NS1_11comp_targetILNS1_3genE5ELNS1_11target_archE942ELNS1_3gpuE9ELNS1_3repE0EEENS1_47radix_sort_onesweep_sort_config_static_selectorELNS0_4arch9wavefront6targetE1EEEvSI_.kd
    .uniform_work_group_size: 1
    .uses_dynamic_stack: false
    .vgpr_count:     0
    .vgpr_spill_count: 0
    .wavefront_size: 64
  - .agpr_count:     0
    .args:
      - .offset:         0
        .size:           88
        .value_kind:     by_value
    .group_segment_fixed_size: 0
    .kernarg_segment_align: 8
    .kernarg_segment_size: 88
    .language:       OpenCL C
    .language_version:
      - 2
      - 0
    .max_flat_workgroup_size: 512
    .name:           _ZN7rocprim17ROCPRIM_400000_NS6detail17trampoline_kernelINS0_14default_configENS1_35radix_sort_onesweep_config_selectorIddEEZZNS1_29radix_sort_onesweep_iterationIS3_Lb0EN6thrust23THRUST_200600_302600_NS6detail15normal_iteratorINS8_10device_ptrIdEEEESD_SD_SD_jNS0_19identity_decomposerENS1_16block_id_wrapperIjLb0EEEEE10hipError_tT1_PNSt15iterator_traitsISI_E10value_typeET2_T3_PNSJ_ISO_E10value_typeET4_T5_PST_SU_PNS1_23onesweep_lookback_stateEbbT6_jjT7_P12ihipStream_tbENKUlT_T0_SI_SN_E_clISD_PdSD_S15_EEDaS11_S12_SI_SN_EUlS11_E_NS1_11comp_targetILNS1_3genE2ELNS1_11target_archE906ELNS1_3gpuE6ELNS1_3repE0EEENS1_47radix_sort_onesweep_sort_config_static_selectorELNS0_4arch9wavefront6targetE1EEEvSI_
    .private_segment_fixed_size: 0
    .sgpr_count:     6
    .sgpr_spill_count: 0
    .symbol:         _ZN7rocprim17ROCPRIM_400000_NS6detail17trampoline_kernelINS0_14default_configENS1_35radix_sort_onesweep_config_selectorIddEEZZNS1_29radix_sort_onesweep_iterationIS3_Lb0EN6thrust23THRUST_200600_302600_NS6detail15normal_iteratorINS8_10device_ptrIdEEEESD_SD_SD_jNS0_19identity_decomposerENS1_16block_id_wrapperIjLb0EEEEE10hipError_tT1_PNSt15iterator_traitsISI_E10value_typeET2_T3_PNSJ_ISO_E10value_typeET4_T5_PST_SU_PNS1_23onesweep_lookback_stateEbbT6_jjT7_P12ihipStream_tbENKUlT_T0_SI_SN_E_clISD_PdSD_S15_EEDaS11_S12_SI_SN_EUlS11_E_NS1_11comp_targetILNS1_3genE2ELNS1_11target_archE906ELNS1_3gpuE6ELNS1_3repE0EEENS1_47radix_sort_onesweep_sort_config_static_selectorELNS0_4arch9wavefront6targetE1EEEvSI_.kd
    .uniform_work_group_size: 1
    .uses_dynamic_stack: false
    .vgpr_count:     0
    .vgpr_spill_count: 0
    .wavefront_size: 64
  - .agpr_count:     0
    .args:
      - .offset:         0
        .size:           88
        .value_kind:     by_value
    .group_segment_fixed_size: 0
    .kernarg_segment_align: 8
    .kernarg_segment_size: 88
    .language:       OpenCL C
    .language_version:
      - 2
      - 0
    .max_flat_workgroup_size: 1024
    .name:           _ZN7rocprim17ROCPRIM_400000_NS6detail17trampoline_kernelINS0_14default_configENS1_35radix_sort_onesweep_config_selectorIddEEZZNS1_29radix_sort_onesweep_iterationIS3_Lb0EN6thrust23THRUST_200600_302600_NS6detail15normal_iteratorINS8_10device_ptrIdEEEESD_SD_SD_jNS0_19identity_decomposerENS1_16block_id_wrapperIjLb0EEEEE10hipError_tT1_PNSt15iterator_traitsISI_E10value_typeET2_T3_PNSJ_ISO_E10value_typeET4_T5_PST_SU_PNS1_23onesweep_lookback_stateEbbT6_jjT7_P12ihipStream_tbENKUlT_T0_SI_SN_E_clISD_PdSD_S15_EEDaS11_S12_SI_SN_EUlS11_E_NS1_11comp_targetILNS1_3genE4ELNS1_11target_archE910ELNS1_3gpuE8ELNS1_3repE0EEENS1_47radix_sort_onesweep_sort_config_static_selectorELNS0_4arch9wavefront6targetE1EEEvSI_
    .private_segment_fixed_size: 0
    .sgpr_count:     6
    .sgpr_spill_count: 0
    .symbol:         _ZN7rocprim17ROCPRIM_400000_NS6detail17trampoline_kernelINS0_14default_configENS1_35radix_sort_onesweep_config_selectorIddEEZZNS1_29radix_sort_onesweep_iterationIS3_Lb0EN6thrust23THRUST_200600_302600_NS6detail15normal_iteratorINS8_10device_ptrIdEEEESD_SD_SD_jNS0_19identity_decomposerENS1_16block_id_wrapperIjLb0EEEEE10hipError_tT1_PNSt15iterator_traitsISI_E10value_typeET2_T3_PNSJ_ISO_E10value_typeET4_T5_PST_SU_PNS1_23onesweep_lookback_stateEbbT6_jjT7_P12ihipStream_tbENKUlT_T0_SI_SN_E_clISD_PdSD_S15_EEDaS11_S12_SI_SN_EUlS11_E_NS1_11comp_targetILNS1_3genE4ELNS1_11target_archE910ELNS1_3gpuE8ELNS1_3repE0EEENS1_47radix_sort_onesweep_sort_config_static_selectorELNS0_4arch9wavefront6targetE1EEEvSI_.kd
    .uniform_work_group_size: 1
    .uses_dynamic_stack: false
    .vgpr_count:     0
    .vgpr_spill_count: 0
    .wavefront_size: 64
  - .agpr_count:     0
    .args:
      - .offset:         0
        .size:           88
        .value_kind:     by_value
    .group_segment_fixed_size: 0
    .kernarg_segment_align: 8
    .kernarg_segment_size: 88
    .language:       OpenCL C
    .language_version:
      - 2
      - 0
    .max_flat_workgroup_size: 512
    .name:           _ZN7rocprim17ROCPRIM_400000_NS6detail17trampoline_kernelINS0_14default_configENS1_35radix_sort_onesweep_config_selectorIddEEZZNS1_29radix_sort_onesweep_iterationIS3_Lb0EN6thrust23THRUST_200600_302600_NS6detail15normal_iteratorINS8_10device_ptrIdEEEESD_SD_SD_jNS0_19identity_decomposerENS1_16block_id_wrapperIjLb0EEEEE10hipError_tT1_PNSt15iterator_traitsISI_E10value_typeET2_T3_PNSJ_ISO_E10value_typeET4_T5_PST_SU_PNS1_23onesweep_lookback_stateEbbT6_jjT7_P12ihipStream_tbENKUlT_T0_SI_SN_E_clISD_PdSD_S15_EEDaS11_S12_SI_SN_EUlS11_E_NS1_11comp_targetILNS1_3genE3ELNS1_11target_archE908ELNS1_3gpuE7ELNS1_3repE0EEENS1_47radix_sort_onesweep_sort_config_static_selectorELNS0_4arch9wavefront6targetE1EEEvSI_
    .private_segment_fixed_size: 0
    .sgpr_count:     6
    .sgpr_spill_count: 0
    .symbol:         _ZN7rocprim17ROCPRIM_400000_NS6detail17trampoline_kernelINS0_14default_configENS1_35radix_sort_onesweep_config_selectorIddEEZZNS1_29radix_sort_onesweep_iterationIS3_Lb0EN6thrust23THRUST_200600_302600_NS6detail15normal_iteratorINS8_10device_ptrIdEEEESD_SD_SD_jNS0_19identity_decomposerENS1_16block_id_wrapperIjLb0EEEEE10hipError_tT1_PNSt15iterator_traitsISI_E10value_typeET2_T3_PNSJ_ISO_E10value_typeET4_T5_PST_SU_PNS1_23onesweep_lookback_stateEbbT6_jjT7_P12ihipStream_tbENKUlT_T0_SI_SN_E_clISD_PdSD_S15_EEDaS11_S12_SI_SN_EUlS11_E_NS1_11comp_targetILNS1_3genE3ELNS1_11target_archE908ELNS1_3gpuE7ELNS1_3repE0EEENS1_47radix_sort_onesweep_sort_config_static_selectorELNS0_4arch9wavefront6targetE1EEEvSI_.kd
    .uniform_work_group_size: 1
    .uses_dynamic_stack: false
    .vgpr_count:     0
    .vgpr_spill_count: 0
    .wavefront_size: 64
  - .agpr_count:     0
    .args:
      - .offset:         0
        .size:           88
        .value_kind:     by_value
    .group_segment_fixed_size: 0
    .kernarg_segment_align: 8
    .kernarg_segment_size: 88
    .language:       OpenCL C
    .language_version:
      - 2
      - 0
    .max_flat_workgroup_size: 1024
    .name:           _ZN7rocprim17ROCPRIM_400000_NS6detail17trampoline_kernelINS0_14default_configENS1_35radix_sort_onesweep_config_selectorIddEEZZNS1_29radix_sort_onesweep_iterationIS3_Lb0EN6thrust23THRUST_200600_302600_NS6detail15normal_iteratorINS8_10device_ptrIdEEEESD_SD_SD_jNS0_19identity_decomposerENS1_16block_id_wrapperIjLb0EEEEE10hipError_tT1_PNSt15iterator_traitsISI_E10value_typeET2_T3_PNSJ_ISO_E10value_typeET4_T5_PST_SU_PNS1_23onesweep_lookback_stateEbbT6_jjT7_P12ihipStream_tbENKUlT_T0_SI_SN_E_clISD_PdSD_S15_EEDaS11_S12_SI_SN_EUlS11_E_NS1_11comp_targetILNS1_3genE10ELNS1_11target_archE1201ELNS1_3gpuE5ELNS1_3repE0EEENS1_47radix_sort_onesweep_sort_config_static_selectorELNS0_4arch9wavefront6targetE1EEEvSI_
    .private_segment_fixed_size: 0
    .sgpr_count:     6
    .sgpr_spill_count: 0
    .symbol:         _ZN7rocprim17ROCPRIM_400000_NS6detail17trampoline_kernelINS0_14default_configENS1_35radix_sort_onesweep_config_selectorIddEEZZNS1_29radix_sort_onesweep_iterationIS3_Lb0EN6thrust23THRUST_200600_302600_NS6detail15normal_iteratorINS8_10device_ptrIdEEEESD_SD_SD_jNS0_19identity_decomposerENS1_16block_id_wrapperIjLb0EEEEE10hipError_tT1_PNSt15iterator_traitsISI_E10value_typeET2_T3_PNSJ_ISO_E10value_typeET4_T5_PST_SU_PNS1_23onesweep_lookback_stateEbbT6_jjT7_P12ihipStream_tbENKUlT_T0_SI_SN_E_clISD_PdSD_S15_EEDaS11_S12_SI_SN_EUlS11_E_NS1_11comp_targetILNS1_3genE10ELNS1_11target_archE1201ELNS1_3gpuE5ELNS1_3repE0EEENS1_47radix_sort_onesweep_sort_config_static_selectorELNS0_4arch9wavefront6targetE1EEEvSI_.kd
    .uniform_work_group_size: 1
    .uses_dynamic_stack: false
    .vgpr_count:     0
    .vgpr_spill_count: 0
    .wavefront_size: 64
  - .agpr_count:     0
    .args:
      - .offset:         0
        .size:           88
        .value_kind:     by_value
    .group_segment_fixed_size: 0
    .kernarg_segment_align: 8
    .kernarg_segment_size: 88
    .language:       OpenCL C
    .language_version:
      - 2
      - 0
    .max_flat_workgroup_size: 1024
    .name:           _ZN7rocprim17ROCPRIM_400000_NS6detail17trampoline_kernelINS0_14default_configENS1_35radix_sort_onesweep_config_selectorIddEEZZNS1_29radix_sort_onesweep_iterationIS3_Lb0EN6thrust23THRUST_200600_302600_NS6detail15normal_iteratorINS8_10device_ptrIdEEEESD_SD_SD_jNS0_19identity_decomposerENS1_16block_id_wrapperIjLb0EEEEE10hipError_tT1_PNSt15iterator_traitsISI_E10value_typeET2_T3_PNSJ_ISO_E10value_typeET4_T5_PST_SU_PNS1_23onesweep_lookback_stateEbbT6_jjT7_P12ihipStream_tbENKUlT_T0_SI_SN_E_clISD_PdSD_S15_EEDaS11_S12_SI_SN_EUlS11_E_NS1_11comp_targetILNS1_3genE9ELNS1_11target_archE1100ELNS1_3gpuE3ELNS1_3repE0EEENS1_47radix_sort_onesweep_sort_config_static_selectorELNS0_4arch9wavefront6targetE1EEEvSI_
    .private_segment_fixed_size: 0
    .sgpr_count:     6
    .sgpr_spill_count: 0
    .symbol:         _ZN7rocprim17ROCPRIM_400000_NS6detail17trampoline_kernelINS0_14default_configENS1_35radix_sort_onesweep_config_selectorIddEEZZNS1_29radix_sort_onesweep_iterationIS3_Lb0EN6thrust23THRUST_200600_302600_NS6detail15normal_iteratorINS8_10device_ptrIdEEEESD_SD_SD_jNS0_19identity_decomposerENS1_16block_id_wrapperIjLb0EEEEE10hipError_tT1_PNSt15iterator_traitsISI_E10value_typeET2_T3_PNSJ_ISO_E10value_typeET4_T5_PST_SU_PNS1_23onesweep_lookback_stateEbbT6_jjT7_P12ihipStream_tbENKUlT_T0_SI_SN_E_clISD_PdSD_S15_EEDaS11_S12_SI_SN_EUlS11_E_NS1_11comp_targetILNS1_3genE9ELNS1_11target_archE1100ELNS1_3gpuE3ELNS1_3repE0EEENS1_47radix_sort_onesweep_sort_config_static_selectorELNS0_4arch9wavefront6targetE1EEEvSI_.kd
    .uniform_work_group_size: 1
    .uses_dynamic_stack: false
    .vgpr_count:     0
    .vgpr_spill_count: 0
    .wavefront_size: 64
  - .agpr_count:     0
    .args:
      - .offset:         0
        .size:           88
        .value_kind:     by_value
    .group_segment_fixed_size: 0
    .kernarg_segment_align: 8
    .kernarg_segment_size: 88
    .language:       OpenCL C
    .language_version:
      - 2
      - 0
    .max_flat_workgroup_size: 1024
    .name:           _ZN7rocprim17ROCPRIM_400000_NS6detail17trampoline_kernelINS0_14default_configENS1_35radix_sort_onesweep_config_selectorIddEEZZNS1_29radix_sort_onesweep_iterationIS3_Lb0EN6thrust23THRUST_200600_302600_NS6detail15normal_iteratorINS8_10device_ptrIdEEEESD_SD_SD_jNS0_19identity_decomposerENS1_16block_id_wrapperIjLb0EEEEE10hipError_tT1_PNSt15iterator_traitsISI_E10value_typeET2_T3_PNSJ_ISO_E10value_typeET4_T5_PST_SU_PNS1_23onesweep_lookback_stateEbbT6_jjT7_P12ihipStream_tbENKUlT_T0_SI_SN_E_clISD_PdSD_S15_EEDaS11_S12_SI_SN_EUlS11_E_NS1_11comp_targetILNS1_3genE8ELNS1_11target_archE1030ELNS1_3gpuE2ELNS1_3repE0EEENS1_47radix_sort_onesweep_sort_config_static_selectorELNS0_4arch9wavefront6targetE1EEEvSI_
    .private_segment_fixed_size: 0
    .sgpr_count:     6
    .sgpr_spill_count: 0
    .symbol:         _ZN7rocprim17ROCPRIM_400000_NS6detail17trampoline_kernelINS0_14default_configENS1_35radix_sort_onesweep_config_selectorIddEEZZNS1_29radix_sort_onesweep_iterationIS3_Lb0EN6thrust23THRUST_200600_302600_NS6detail15normal_iteratorINS8_10device_ptrIdEEEESD_SD_SD_jNS0_19identity_decomposerENS1_16block_id_wrapperIjLb0EEEEE10hipError_tT1_PNSt15iterator_traitsISI_E10value_typeET2_T3_PNSJ_ISO_E10value_typeET4_T5_PST_SU_PNS1_23onesweep_lookback_stateEbbT6_jjT7_P12ihipStream_tbENKUlT_T0_SI_SN_E_clISD_PdSD_S15_EEDaS11_S12_SI_SN_EUlS11_E_NS1_11comp_targetILNS1_3genE8ELNS1_11target_archE1030ELNS1_3gpuE2ELNS1_3repE0EEENS1_47radix_sort_onesweep_sort_config_static_selectorELNS0_4arch9wavefront6targetE1EEEvSI_.kd
    .uniform_work_group_size: 1
    .uses_dynamic_stack: false
    .vgpr_count:     0
    .vgpr_spill_count: 0
    .wavefront_size: 64
  - .agpr_count:     0
    .args:
      - .offset:         0
        .size:           88
        .value_kind:     by_value
    .group_segment_fixed_size: 0
    .kernarg_segment_align: 8
    .kernarg_segment_size: 88
    .language:       OpenCL C
    .language_version:
      - 2
      - 0
    .max_flat_workgroup_size: 512
    .name:           _ZN7rocprim17ROCPRIM_400000_NS6detail17trampoline_kernelINS0_14default_configENS1_35radix_sort_onesweep_config_selectorIddEEZZNS1_29radix_sort_onesweep_iterationIS3_Lb0EN6thrust23THRUST_200600_302600_NS6detail15normal_iteratorINS8_10device_ptrIdEEEESD_SD_SD_jNS0_19identity_decomposerENS1_16block_id_wrapperIjLb0EEEEE10hipError_tT1_PNSt15iterator_traitsISI_E10value_typeET2_T3_PNSJ_ISO_E10value_typeET4_T5_PST_SU_PNS1_23onesweep_lookback_stateEbbT6_jjT7_P12ihipStream_tbENKUlT_T0_SI_SN_E_clIPdSD_S15_SD_EEDaS11_S12_SI_SN_EUlS11_E_NS1_11comp_targetILNS1_3genE0ELNS1_11target_archE4294967295ELNS1_3gpuE0ELNS1_3repE0EEENS1_47radix_sort_onesweep_sort_config_static_selectorELNS0_4arch9wavefront6targetE1EEEvSI_
    .private_segment_fixed_size: 0
    .sgpr_count:     6
    .sgpr_spill_count: 0
    .symbol:         _ZN7rocprim17ROCPRIM_400000_NS6detail17trampoline_kernelINS0_14default_configENS1_35radix_sort_onesweep_config_selectorIddEEZZNS1_29radix_sort_onesweep_iterationIS3_Lb0EN6thrust23THRUST_200600_302600_NS6detail15normal_iteratorINS8_10device_ptrIdEEEESD_SD_SD_jNS0_19identity_decomposerENS1_16block_id_wrapperIjLb0EEEEE10hipError_tT1_PNSt15iterator_traitsISI_E10value_typeET2_T3_PNSJ_ISO_E10value_typeET4_T5_PST_SU_PNS1_23onesweep_lookback_stateEbbT6_jjT7_P12ihipStream_tbENKUlT_T0_SI_SN_E_clIPdSD_S15_SD_EEDaS11_S12_SI_SN_EUlS11_E_NS1_11comp_targetILNS1_3genE0ELNS1_11target_archE4294967295ELNS1_3gpuE0ELNS1_3repE0EEENS1_47radix_sort_onesweep_sort_config_static_selectorELNS0_4arch9wavefront6targetE1EEEvSI_.kd
    .uniform_work_group_size: 1
    .uses_dynamic_stack: false
    .vgpr_count:     0
    .vgpr_spill_count: 0
    .wavefront_size: 64
  - .agpr_count:     0
    .args:
      - .offset:         0
        .size:           88
        .value_kind:     by_value
      - .offset:         88
        .size:           4
        .value_kind:     hidden_block_count_x
      - .offset:         92
        .size:           4
        .value_kind:     hidden_block_count_y
      - .offset:         96
        .size:           4
        .value_kind:     hidden_block_count_z
      - .offset:         100
        .size:           2
        .value_kind:     hidden_group_size_x
      - .offset:         102
        .size:           2
        .value_kind:     hidden_group_size_y
      - .offset:         104
        .size:           2
        .value_kind:     hidden_group_size_z
      - .offset:         106
        .size:           2
        .value_kind:     hidden_remainder_x
      - .offset:         108
        .size:           2
        .value_kind:     hidden_remainder_y
      - .offset:         110
        .size:           2
        .value_kind:     hidden_remainder_z
      - .offset:         128
        .size:           8
        .value_kind:     hidden_global_offset_x
      - .offset:         136
        .size:           8
        .value_kind:     hidden_global_offset_y
      - .offset:         144
        .size:           8
        .value_kind:     hidden_global_offset_z
      - .offset:         152
        .size:           2
        .value_kind:     hidden_grid_dims
    .group_segment_fixed_size: 53328
    .kernarg_segment_align: 8
    .kernarg_segment_size: 344
    .language:       OpenCL C
    .language_version:
      - 2
      - 0
    .max_flat_workgroup_size: 1024
    .name:           _ZN7rocprim17ROCPRIM_400000_NS6detail17trampoline_kernelINS0_14default_configENS1_35radix_sort_onesweep_config_selectorIddEEZZNS1_29radix_sort_onesweep_iterationIS3_Lb0EN6thrust23THRUST_200600_302600_NS6detail15normal_iteratorINS8_10device_ptrIdEEEESD_SD_SD_jNS0_19identity_decomposerENS1_16block_id_wrapperIjLb0EEEEE10hipError_tT1_PNSt15iterator_traitsISI_E10value_typeET2_T3_PNSJ_ISO_E10value_typeET4_T5_PST_SU_PNS1_23onesweep_lookback_stateEbbT6_jjT7_P12ihipStream_tbENKUlT_T0_SI_SN_E_clIPdSD_S15_SD_EEDaS11_S12_SI_SN_EUlS11_E_NS1_11comp_targetILNS1_3genE6ELNS1_11target_archE950ELNS1_3gpuE13ELNS1_3repE0EEENS1_47radix_sort_onesweep_sort_config_static_selectorELNS0_4arch9wavefront6targetE1EEEvSI_
    .private_segment_fixed_size: 48
    .sgpr_count:     62
    .sgpr_spill_count: 0
    .symbol:         _ZN7rocprim17ROCPRIM_400000_NS6detail17trampoline_kernelINS0_14default_configENS1_35radix_sort_onesweep_config_selectorIddEEZZNS1_29radix_sort_onesweep_iterationIS3_Lb0EN6thrust23THRUST_200600_302600_NS6detail15normal_iteratorINS8_10device_ptrIdEEEESD_SD_SD_jNS0_19identity_decomposerENS1_16block_id_wrapperIjLb0EEEEE10hipError_tT1_PNSt15iterator_traitsISI_E10value_typeET2_T3_PNSJ_ISO_E10value_typeET4_T5_PST_SU_PNS1_23onesweep_lookback_stateEbbT6_jjT7_P12ihipStream_tbENKUlT_T0_SI_SN_E_clIPdSD_S15_SD_EEDaS11_S12_SI_SN_EUlS11_E_NS1_11comp_targetILNS1_3genE6ELNS1_11target_archE950ELNS1_3gpuE13ELNS1_3repE0EEENS1_47radix_sort_onesweep_sort_config_static_selectorELNS0_4arch9wavefront6targetE1EEEvSI_.kd
    .uniform_work_group_size: 1
    .uses_dynamic_stack: false
    .vgpr_count:     58
    .vgpr_spill_count: 0
    .wavefront_size: 64
  - .agpr_count:     0
    .args:
      - .offset:         0
        .size:           88
        .value_kind:     by_value
    .group_segment_fixed_size: 0
    .kernarg_segment_align: 8
    .kernarg_segment_size: 88
    .language:       OpenCL C
    .language_version:
      - 2
      - 0
    .max_flat_workgroup_size: 1024
    .name:           _ZN7rocprim17ROCPRIM_400000_NS6detail17trampoline_kernelINS0_14default_configENS1_35radix_sort_onesweep_config_selectorIddEEZZNS1_29radix_sort_onesweep_iterationIS3_Lb0EN6thrust23THRUST_200600_302600_NS6detail15normal_iteratorINS8_10device_ptrIdEEEESD_SD_SD_jNS0_19identity_decomposerENS1_16block_id_wrapperIjLb0EEEEE10hipError_tT1_PNSt15iterator_traitsISI_E10value_typeET2_T3_PNSJ_ISO_E10value_typeET4_T5_PST_SU_PNS1_23onesweep_lookback_stateEbbT6_jjT7_P12ihipStream_tbENKUlT_T0_SI_SN_E_clIPdSD_S15_SD_EEDaS11_S12_SI_SN_EUlS11_E_NS1_11comp_targetILNS1_3genE5ELNS1_11target_archE942ELNS1_3gpuE9ELNS1_3repE0EEENS1_47radix_sort_onesweep_sort_config_static_selectorELNS0_4arch9wavefront6targetE1EEEvSI_
    .private_segment_fixed_size: 0
    .sgpr_count:     6
    .sgpr_spill_count: 0
    .symbol:         _ZN7rocprim17ROCPRIM_400000_NS6detail17trampoline_kernelINS0_14default_configENS1_35radix_sort_onesweep_config_selectorIddEEZZNS1_29radix_sort_onesweep_iterationIS3_Lb0EN6thrust23THRUST_200600_302600_NS6detail15normal_iteratorINS8_10device_ptrIdEEEESD_SD_SD_jNS0_19identity_decomposerENS1_16block_id_wrapperIjLb0EEEEE10hipError_tT1_PNSt15iterator_traitsISI_E10value_typeET2_T3_PNSJ_ISO_E10value_typeET4_T5_PST_SU_PNS1_23onesweep_lookback_stateEbbT6_jjT7_P12ihipStream_tbENKUlT_T0_SI_SN_E_clIPdSD_S15_SD_EEDaS11_S12_SI_SN_EUlS11_E_NS1_11comp_targetILNS1_3genE5ELNS1_11target_archE942ELNS1_3gpuE9ELNS1_3repE0EEENS1_47radix_sort_onesweep_sort_config_static_selectorELNS0_4arch9wavefront6targetE1EEEvSI_.kd
    .uniform_work_group_size: 1
    .uses_dynamic_stack: false
    .vgpr_count:     0
    .vgpr_spill_count: 0
    .wavefront_size: 64
  - .agpr_count:     0
    .args:
      - .offset:         0
        .size:           88
        .value_kind:     by_value
    .group_segment_fixed_size: 0
    .kernarg_segment_align: 8
    .kernarg_segment_size: 88
    .language:       OpenCL C
    .language_version:
      - 2
      - 0
    .max_flat_workgroup_size: 512
    .name:           _ZN7rocprim17ROCPRIM_400000_NS6detail17trampoline_kernelINS0_14default_configENS1_35radix_sort_onesweep_config_selectorIddEEZZNS1_29radix_sort_onesweep_iterationIS3_Lb0EN6thrust23THRUST_200600_302600_NS6detail15normal_iteratorINS8_10device_ptrIdEEEESD_SD_SD_jNS0_19identity_decomposerENS1_16block_id_wrapperIjLb0EEEEE10hipError_tT1_PNSt15iterator_traitsISI_E10value_typeET2_T3_PNSJ_ISO_E10value_typeET4_T5_PST_SU_PNS1_23onesweep_lookback_stateEbbT6_jjT7_P12ihipStream_tbENKUlT_T0_SI_SN_E_clIPdSD_S15_SD_EEDaS11_S12_SI_SN_EUlS11_E_NS1_11comp_targetILNS1_3genE2ELNS1_11target_archE906ELNS1_3gpuE6ELNS1_3repE0EEENS1_47radix_sort_onesweep_sort_config_static_selectorELNS0_4arch9wavefront6targetE1EEEvSI_
    .private_segment_fixed_size: 0
    .sgpr_count:     6
    .sgpr_spill_count: 0
    .symbol:         _ZN7rocprim17ROCPRIM_400000_NS6detail17trampoline_kernelINS0_14default_configENS1_35radix_sort_onesweep_config_selectorIddEEZZNS1_29radix_sort_onesweep_iterationIS3_Lb0EN6thrust23THRUST_200600_302600_NS6detail15normal_iteratorINS8_10device_ptrIdEEEESD_SD_SD_jNS0_19identity_decomposerENS1_16block_id_wrapperIjLb0EEEEE10hipError_tT1_PNSt15iterator_traitsISI_E10value_typeET2_T3_PNSJ_ISO_E10value_typeET4_T5_PST_SU_PNS1_23onesweep_lookback_stateEbbT6_jjT7_P12ihipStream_tbENKUlT_T0_SI_SN_E_clIPdSD_S15_SD_EEDaS11_S12_SI_SN_EUlS11_E_NS1_11comp_targetILNS1_3genE2ELNS1_11target_archE906ELNS1_3gpuE6ELNS1_3repE0EEENS1_47radix_sort_onesweep_sort_config_static_selectorELNS0_4arch9wavefront6targetE1EEEvSI_.kd
    .uniform_work_group_size: 1
    .uses_dynamic_stack: false
    .vgpr_count:     0
    .vgpr_spill_count: 0
    .wavefront_size: 64
  - .agpr_count:     0
    .args:
      - .offset:         0
        .size:           88
        .value_kind:     by_value
    .group_segment_fixed_size: 0
    .kernarg_segment_align: 8
    .kernarg_segment_size: 88
    .language:       OpenCL C
    .language_version:
      - 2
      - 0
    .max_flat_workgroup_size: 1024
    .name:           _ZN7rocprim17ROCPRIM_400000_NS6detail17trampoline_kernelINS0_14default_configENS1_35radix_sort_onesweep_config_selectorIddEEZZNS1_29radix_sort_onesweep_iterationIS3_Lb0EN6thrust23THRUST_200600_302600_NS6detail15normal_iteratorINS8_10device_ptrIdEEEESD_SD_SD_jNS0_19identity_decomposerENS1_16block_id_wrapperIjLb0EEEEE10hipError_tT1_PNSt15iterator_traitsISI_E10value_typeET2_T3_PNSJ_ISO_E10value_typeET4_T5_PST_SU_PNS1_23onesweep_lookback_stateEbbT6_jjT7_P12ihipStream_tbENKUlT_T0_SI_SN_E_clIPdSD_S15_SD_EEDaS11_S12_SI_SN_EUlS11_E_NS1_11comp_targetILNS1_3genE4ELNS1_11target_archE910ELNS1_3gpuE8ELNS1_3repE0EEENS1_47radix_sort_onesweep_sort_config_static_selectorELNS0_4arch9wavefront6targetE1EEEvSI_
    .private_segment_fixed_size: 0
    .sgpr_count:     6
    .sgpr_spill_count: 0
    .symbol:         _ZN7rocprim17ROCPRIM_400000_NS6detail17trampoline_kernelINS0_14default_configENS1_35radix_sort_onesweep_config_selectorIddEEZZNS1_29radix_sort_onesweep_iterationIS3_Lb0EN6thrust23THRUST_200600_302600_NS6detail15normal_iteratorINS8_10device_ptrIdEEEESD_SD_SD_jNS0_19identity_decomposerENS1_16block_id_wrapperIjLb0EEEEE10hipError_tT1_PNSt15iterator_traitsISI_E10value_typeET2_T3_PNSJ_ISO_E10value_typeET4_T5_PST_SU_PNS1_23onesweep_lookback_stateEbbT6_jjT7_P12ihipStream_tbENKUlT_T0_SI_SN_E_clIPdSD_S15_SD_EEDaS11_S12_SI_SN_EUlS11_E_NS1_11comp_targetILNS1_3genE4ELNS1_11target_archE910ELNS1_3gpuE8ELNS1_3repE0EEENS1_47radix_sort_onesweep_sort_config_static_selectorELNS0_4arch9wavefront6targetE1EEEvSI_.kd
    .uniform_work_group_size: 1
    .uses_dynamic_stack: false
    .vgpr_count:     0
    .vgpr_spill_count: 0
    .wavefront_size: 64
  - .agpr_count:     0
    .args:
      - .offset:         0
        .size:           88
        .value_kind:     by_value
    .group_segment_fixed_size: 0
    .kernarg_segment_align: 8
    .kernarg_segment_size: 88
    .language:       OpenCL C
    .language_version:
      - 2
      - 0
    .max_flat_workgroup_size: 512
    .name:           _ZN7rocprim17ROCPRIM_400000_NS6detail17trampoline_kernelINS0_14default_configENS1_35radix_sort_onesweep_config_selectorIddEEZZNS1_29radix_sort_onesweep_iterationIS3_Lb0EN6thrust23THRUST_200600_302600_NS6detail15normal_iteratorINS8_10device_ptrIdEEEESD_SD_SD_jNS0_19identity_decomposerENS1_16block_id_wrapperIjLb0EEEEE10hipError_tT1_PNSt15iterator_traitsISI_E10value_typeET2_T3_PNSJ_ISO_E10value_typeET4_T5_PST_SU_PNS1_23onesweep_lookback_stateEbbT6_jjT7_P12ihipStream_tbENKUlT_T0_SI_SN_E_clIPdSD_S15_SD_EEDaS11_S12_SI_SN_EUlS11_E_NS1_11comp_targetILNS1_3genE3ELNS1_11target_archE908ELNS1_3gpuE7ELNS1_3repE0EEENS1_47radix_sort_onesweep_sort_config_static_selectorELNS0_4arch9wavefront6targetE1EEEvSI_
    .private_segment_fixed_size: 0
    .sgpr_count:     6
    .sgpr_spill_count: 0
    .symbol:         _ZN7rocprim17ROCPRIM_400000_NS6detail17trampoline_kernelINS0_14default_configENS1_35radix_sort_onesweep_config_selectorIddEEZZNS1_29radix_sort_onesweep_iterationIS3_Lb0EN6thrust23THRUST_200600_302600_NS6detail15normal_iteratorINS8_10device_ptrIdEEEESD_SD_SD_jNS0_19identity_decomposerENS1_16block_id_wrapperIjLb0EEEEE10hipError_tT1_PNSt15iterator_traitsISI_E10value_typeET2_T3_PNSJ_ISO_E10value_typeET4_T5_PST_SU_PNS1_23onesweep_lookback_stateEbbT6_jjT7_P12ihipStream_tbENKUlT_T0_SI_SN_E_clIPdSD_S15_SD_EEDaS11_S12_SI_SN_EUlS11_E_NS1_11comp_targetILNS1_3genE3ELNS1_11target_archE908ELNS1_3gpuE7ELNS1_3repE0EEENS1_47radix_sort_onesweep_sort_config_static_selectorELNS0_4arch9wavefront6targetE1EEEvSI_.kd
    .uniform_work_group_size: 1
    .uses_dynamic_stack: false
    .vgpr_count:     0
    .vgpr_spill_count: 0
    .wavefront_size: 64
  - .agpr_count:     0
    .args:
      - .offset:         0
        .size:           88
        .value_kind:     by_value
    .group_segment_fixed_size: 0
    .kernarg_segment_align: 8
    .kernarg_segment_size: 88
    .language:       OpenCL C
    .language_version:
      - 2
      - 0
    .max_flat_workgroup_size: 1024
    .name:           _ZN7rocprim17ROCPRIM_400000_NS6detail17trampoline_kernelINS0_14default_configENS1_35radix_sort_onesweep_config_selectorIddEEZZNS1_29radix_sort_onesweep_iterationIS3_Lb0EN6thrust23THRUST_200600_302600_NS6detail15normal_iteratorINS8_10device_ptrIdEEEESD_SD_SD_jNS0_19identity_decomposerENS1_16block_id_wrapperIjLb0EEEEE10hipError_tT1_PNSt15iterator_traitsISI_E10value_typeET2_T3_PNSJ_ISO_E10value_typeET4_T5_PST_SU_PNS1_23onesweep_lookback_stateEbbT6_jjT7_P12ihipStream_tbENKUlT_T0_SI_SN_E_clIPdSD_S15_SD_EEDaS11_S12_SI_SN_EUlS11_E_NS1_11comp_targetILNS1_3genE10ELNS1_11target_archE1201ELNS1_3gpuE5ELNS1_3repE0EEENS1_47radix_sort_onesweep_sort_config_static_selectorELNS0_4arch9wavefront6targetE1EEEvSI_
    .private_segment_fixed_size: 0
    .sgpr_count:     6
    .sgpr_spill_count: 0
    .symbol:         _ZN7rocprim17ROCPRIM_400000_NS6detail17trampoline_kernelINS0_14default_configENS1_35radix_sort_onesweep_config_selectorIddEEZZNS1_29radix_sort_onesweep_iterationIS3_Lb0EN6thrust23THRUST_200600_302600_NS6detail15normal_iteratorINS8_10device_ptrIdEEEESD_SD_SD_jNS0_19identity_decomposerENS1_16block_id_wrapperIjLb0EEEEE10hipError_tT1_PNSt15iterator_traitsISI_E10value_typeET2_T3_PNSJ_ISO_E10value_typeET4_T5_PST_SU_PNS1_23onesweep_lookback_stateEbbT6_jjT7_P12ihipStream_tbENKUlT_T0_SI_SN_E_clIPdSD_S15_SD_EEDaS11_S12_SI_SN_EUlS11_E_NS1_11comp_targetILNS1_3genE10ELNS1_11target_archE1201ELNS1_3gpuE5ELNS1_3repE0EEENS1_47radix_sort_onesweep_sort_config_static_selectorELNS0_4arch9wavefront6targetE1EEEvSI_.kd
    .uniform_work_group_size: 1
    .uses_dynamic_stack: false
    .vgpr_count:     0
    .vgpr_spill_count: 0
    .wavefront_size: 64
  - .agpr_count:     0
    .args:
      - .offset:         0
        .size:           88
        .value_kind:     by_value
    .group_segment_fixed_size: 0
    .kernarg_segment_align: 8
    .kernarg_segment_size: 88
    .language:       OpenCL C
    .language_version:
      - 2
      - 0
    .max_flat_workgroup_size: 1024
    .name:           _ZN7rocprim17ROCPRIM_400000_NS6detail17trampoline_kernelINS0_14default_configENS1_35radix_sort_onesweep_config_selectorIddEEZZNS1_29radix_sort_onesweep_iterationIS3_Lb0EN6thrust23THRUST_200600_302600_NS6detail15normal_iteratorINS8_10device_ptrIdEEEESD_SD_SD_jNS0_19identity_decomposerENS1_16block_id_wrapperIjLb0EEEEE10hipError_tT1_PNSt15iterator_traitsISI_E10value_typeET2_T3_PNSJ_ISO_E10value_typeET4_T5_PST_SU_PNS1_23onesweep_lookback_stateEbbT6_jjT7_P12ihipStream_tbENKUlT_T0_SI_SN_E_clIPdSD_S15_SD_EEDaS11_S12_SI_SN_EUlS11_E_NS1_11comp_targetILNS1_3genE9ELNS1_11target_archE1100ELNS1_3gpuE3ELNS1_3repE0EEENS1_47radix_sort_onesweep_sort_config_static_selectorELNS0_4arch9wavefront6targetE1EEEvSI_
    .private_segment_fixed_size: 0
    .sgpr_count:     6
    .sgpr_spill_count: 0
    .symbol:         _ZN7rocprim17ROCPRIM_400000_NS6detail17trampoline_kernelINS0_14default_configENS1_35radix_sort_onesweep_config_selectorIddEEZZNS1_29radix_sort_onesweep_iterationIS3_Lb0EN6thrust23THRUST_200600_302600_NS6detail15normal_iteratorINS8_10device_ptrIdEEEESD_SD_SD_jNS0_19identity_decomposerENS1_16block_id_wrapperIjLb0EEEEE10hipError_tT1_PNSt15iterator_traitsISI_E10value_typeET2_T3_PNSJ_ISO_E10value_typeET4_T5_PST_SU_PNS1_23onesweep_lookback_stateEbbT6_jjT7_P12ihipStream_tbENKUlT_T0_SI_SN_E_clIPdSD_S15_SD_EEDaS11_S12_SI_SN_EUlS11_E_NS1_11comp_targetILNS1_3genE9ELNS1_11target_archE1100ELNS1_3gpuE3ELNS1_3repE0EEENS1_47radix_sort_onesweep_sort_config_static_selectorELNS0_4arch9wavefront6targetE1EEEvSI_.kd
    .uniform_work_group_size: 1
    .uses_dynamic_stack: false
    .vgpr_count:     0
    .vgpr_spill_count: 0
    .wavefront_size: 64
  - .agpr_count:     0
    .args:
      - .offset:         0
        .size:           88
        .value_kind:     by_value
    .group_segment_fixed_size: 0
    .kernarg_segment_align: 8
    .kernarg_segment_size: 88
    .language:       OpenCL C
    .language_version:
      - 2
      - 0
    .max_flat_workgroup_size: 1024
    .name:           _ZN7rocprim17ROCPRIM_400000_NS6detail17trampoline_kernelINS0_14default_configENS1_35radix_sort_onesweep_config_selectorIddEEZZNS1_29radix_sort_onesweep_iterationIS3_Lb0EN6thrust23THRUST_200600_302600_NS6detail15normal_iteratorINS8_10device_ptrIdEEEESD_SD_SD_jNS0_19identity_decomposerENS1_16block_id_wrapperIjLb0EEEEE10hipError_tT1_PNSt15iterator_traitsISI_E10value_typeET2_T3_PNSJ_ISO_E10value_typeET4_T5_PST_SU_PNS1_23onesweep_lookback_stateEbbT6_jjT7_P12ihipStream_tbENKUlT_T0_SI_SN_E_clIPdSD_S15_SD_EEDaS11_S12_SI_SN_EUlS11_E_NS1_11comp_targetILNS1_3genE8ELNS1_11target_archE1030ELNS1_3gpuE2ELNS1_3repE0EEENS1_47radix_sort_onesweep_sort_config_static_selectorELNS0_4arch9wavefront6targetE1EEEvSI_
    .private_segment_fixed_size: 0
    .sgpr_count:     6
    .sgpr_spill_count: 0
    .symbol:         _ZN7rocprim17ROCPRIM_400000_NS6detail17trampoline_kernelINS0_14default_configENS1_35radix_sort_onesweep_config_selectorIddEEZZNS1_29radix_sort_onesweep_iterationIS3_Lb0EN6thrust23THRUST_200600_302600_NS6detail15normal_iteratorINS8_10device_ptrIdEEEESD_SD_SD_jNS0_19identity_decomposerENS1_16block_id_wrapperIjLb0EEEEE10hipError_tT1_PNSt15iterator_traitsISI_E10value_typeET2_T3_PNSJ_ISO_E10value_typeET4_T5_PST_SU_PNS1_23onesweep_lookback_stateEbbT6_jjT7_P12ihipStream_tbENKUlT_T0_SI_SN_E_clIPdSD_S15_SD_EEDaS11_S12_SI_SN_EUlS11_E_NS1_11comp_targetILNS1_3genE8ELNS1_11target_archE1030ELNS1_3gpuE2ELNS1_3repE0EEENS1_47radix_sort_onesweep_sort_config_static_selectorELNS0_4arch9wavefront6targetE1EEEvSI_.kd
    .uniform_work_group_size: 1
    .uses_dynamic_stack: false
    .vgpr_count:     0
    .vgpr_spill_count: 0
    .wavefront_size: 64
  - .agpr_count:     0
    .args:
      - .offset:         0
        .size:           72
        .value_kind:     by_value
    .group_segment_fixed_size: 64
    .kernarg_segment_align: 8
    .kernarg_segment_size: 72
    .language:       OpenCL C
    .language_version:
      - 2
      - 0
    .max_flat_workgroup_size: 128
    .name:           _ZN7rocprim17ROCPRIM_400000_NS6detail17trampoline_kernelINS0_14default_configENS1_22reduce_config_selectorIN6thrust23THRUST_200600_302600_NS5tupleIblNS6_9null_typeES8_S8_S8_S8_S8_S8_S8_EEEEZNS1_11reduce_implILb1ES3_PS9_SC_S9_NS6_11hip_rocprim9__find_if7functorIS9_EEEE10hipError_tPvRmT1_T2_T3_mT4_P12ihipStream_tbEUlT_E0_NS1_11comp_targetILNS1_3genE0ELNS1_11target_archE4294967295ELNS1_3gpuE0ELNS1_3repE0EEENS1_30default_config_static_selectorELNS0_4arch9wavefront6targetE1EEEvSK_
    .private_segment_fixed_size: 0
    .sgpr_count:     30
    .sgpr_spill_count: 0
    .symbol:         _ZN7rocprim17ROCPRIM_400000_NS6detail17trampoline_kernelINS0_14default_configENS1_22reduce_config_selectorIN6thrust23THRUST_200600_302600_NS5tupleIblNS6_9null_typeES8_S8_S8_S8_S8_S8_S8_EEEEZNS1_11reduce_implILb1ES3_PS9_SC_S9_NS6_11hip_rocprim9__find_if7functorIS9_EEEE10hipError_tPvRmT1_T2_T3_mT4_P12ihipStream_tbEUlT_E0_NS1_11comp_targetILNS1_3genE0ELNS1_11target_archE4294967295ELNS1_3gpuE0ELNS1_3repE0EEENS1_30default_config_static_selectorELNS0_4arch9wavefront6targetE1EEEvSK_.kd
    .uniform_work_group_size: 1
    .uses_dynamic_stack: false
    .vgpr_count:     13
    .vgpr_spill_count: 0
    .wavefront_size: 64
  - .agpr_count:     0
    .args:
      - .offset:         0
        .size:           72
        .value_kind:     by_value
    .group_segment_fixed_size: 0
    .kernarg_segment_align: 8
    .kernarg_segment_size: 72
    .language:       OpenCL C
    .language_version:
      - 2
      - 0
    .max_flat_workgroup_size: 256
    .name:           _ZN7rocprim17ROCPRIM_400000_NS6detail17trampoline_kernelINS0_14default_configENS1_22reduce_config_selectorIN6thrust23THRUST_200600_302600_NS5tupleIblNS6_9null_typeES8_S8_S8_S8_S8_S8_S8_EEEEZNS1_11reduce_implILb1ES3_PS9_SC_S9_NS6_11hip_rocprim9__find_if7functorIS9_EEEE10hipError_tPvRmT1_T2_T3_mT4_P12ihipStream_tbEUlT_E0_NS1_11comp_targetILNS1_3genE5ELNS1_11target_archE942ELNS1_3gpuE9ELNS1_3repE0EEENS1_30default_config_static_selectorELNS0_4arch9wavefront6targetE1EEEvSK_
    .private_segment_fixed_size: 0
    .sgpr_count:     6
    .sgpr_spill_count: 0
    .symbol:         _ZN7rocprim17ROCPRIM_400000_NS6detail17trampoline_kernelINS0_14default_configENS1_22reduce_config_selectorIN6thrust23THRUST_200600_302600_NS5tupleIblNS6_9null_typeES8_S8_S8_S8_S8_S8_S8_EEEEZNS1_11reduce_implILb1ES3_PS9_SC_S9_NS6_11hip_rocprim9__find_if7functorIS9_EEEE10hipError_tPvRmT1_T2_T3_mT4_P12ihipStream_tbEUlT_E0_NS1_11comp_targetILNS1_3genE5ELNS1_11target_archE942ELNS1_3gpuE9ELNS1_3repE0EEENS1_30default_config_static_selectorELNS0_4arch9wavefront6targetE1EEEvSK_.kd
    .uniform_work_group_size: 1
    .uses_dynamic_stack: false
    .vgpr_count:     0
    .vgpr_spill_count: 0
    .wavefront_size: 64
  - .agpr_count:     0
    .args:
      - .offset:         0
        .size:           72
        .value_kind:     by_value
    .group_segment_fixed_size: 0
    .kernarg_segment_align: 8
    .kernarg_segment_size: 72
    .language:       OpenCL C
    .language_version:
      - 2
      - 0
    .max_flat_workgroup_size: 256
    .name:           _ZN7rocprim17ROCPRIM_400000_NS6detail17trampoline_kernelINS0_14default_configENS1_22reduce_config_selectorIN6thrust23THRUST_200600_302600_NS5tupleIblNS6_9null_typeES8_S8_S8_S8_S8_S8_S8_EEEEZNS1_11reduce_implILb1ES3_PS9_SC_S9_NS6_11hip_rocprim9__find_if7functorIS9_EEEE10hipError_tPvRmT1_T2_T3_mT4_P12ihipStream_tbEUlT_E0_NS1_11comp_targetILNS1_3genE4ELNS1_11target_archE910ELNS1_3gpuE8ELNS1_3repE0EEENS1_30default_config_static_selectorELNS0_4arch9wavefront6targetE1EEEvSK_
    .private_segment_fixed_size: 0
    .sgpr_count:     6
    .sgpr_spill_count: 0
    .symbol:         _ZN7rocprim17ROCPRIM_400000_NS6detail17trampoline_kernelINS0_14default_configENS1_22reduce_config_selectorIN6thrust23THRUST_200600_302600_NS5tupleIblNS6_9null_typeES8_S8_S8_S8_S8_S8_S8_EEEEZNS1_11reduce_implILb1ES3_PS9_SC_S9_NS6_11hip_rocprim9__find_if7functorIS9_EEEE10hipError_tPvRmT1_T2_T3_mT4_P12ihipStream_tbEUlT_E0_NS1_11comp_targetILNS1_3genE4ELNS1_11target_archE910ELNS1_3gpuE8ELNS1_3repE0EEENS1_30default_config_static_selectorELNS0_4arch9wavefront6targetE1EEEvSK_.kd
    .uniform_work_group_size: 1
    .uses_dynamic_stack: false
    .vgpr_count:     0
    .vgpr_spill_count: 0
    .wavefront_size: 64
  - .agpr_count:     0
    .args:
      - .offset:         0
        .size:           72
        .value_kind:     by_value
    .group_segment_fixed_size: 0
    .kernarg_segment_align: 8
    .kernarg_segment_size: 72
    .language:       OpenCL C
    .language_version:
      - 2
      - 0
    .max_flat_workgroup_size: 128
    .name:           _ZN7rocprim17ROCPRIM_400000_NS6detail17trampoline_kernelINS0_14default_configENS1_22reduce_config_selectorIN6thrust23THRUST_200600_302600_NS5tupleIblNS6_9null_typeES8_S8_S8_S8_S8_S8_S8_EEEEZNS1_11reduce_implILb1ES3_PS9_SC_S9_NS6_11hip_rocprim9__find_if7functorIS9_EEEE10hipError_tPvRmT1_T2_T3_mT4_P12ihipStream_tbEUlT_E0_NS1_11comp_targetILNS1_3genE3ELNS1_11target_archE908ELNS1_3gpuE7ELNS1_3repE0EEENS1_30default_config_static_selectorELNS0_4arch9wavefront6targetE1EEEvSK_
    .private_segment_fixed_size: 0
    .sgpr_count:     6
    .sgpr_spill_count: 0
    .symbol:         _ZN7rocprim17ROCPRIM_400000_NS6detail17trampoline_kernelINS0_14default_configENS1_22reduce_config_selectorIN6thrust23THRUST_200600_302600_NS5tupleIblNS6_9null_typeES8_S8_S8_S8_S8_S8_S8_EEEEZNS1_11reduce_implILb1ES3_PS9_SC_S9_NS6_11hip_rocprim9__find_if7functorIS9_EEEE10hipError_tPvRmT1_T2_T3_mT4_P12ihipStream_tbEUlT_E0_NS1_11comp_targetILNS1_3genE3ELNS1_11target_archE908ELNS1_3gpuE7ELNS1_3repE0EEENS1_30default_config_static_selectorELNS0_4arch9wavefront6targetE1EEEvSK_.kd
    .uniform_work_group_size: 1
    .uses_dynamic_stack: false
    .vgpr_count:     0
    .vgpr_spill_count: 0
    .wavefront_size: 64
  - .agpr_count:     0
    .args:
      - .offset:         0
        .size:           72
        .value_kind:     by_value
    .group_segment_fixed_size: 0
    .kernarg_segment_align: 8
    .kernarg_segment_size: 72
    .language:       OpenCL C
    .language_version:
      - 2
      - 0
    .max_flat_workgroup_size: 128
    .name:           _ZN7rocprim17ROCPRIM_400000_NS6detail17trampoline_kernelINS0_14default_configENS1_22reduce_config_selectorIN6thrust23THRUST_200600_302600_NS5tupleIblNS6_9null_typeES8_S8_S8_S8_S8_S8_S8_EEEEZNS1_11reduce_implILb1ES3_PS9_SC_S9_NS6_11hip_rocprim9__find_if7functorIS9_EEEE10hipError_tPvRmT1_T2_T3_mT4_P12ihipStream_tbEUlT_E0_NS1_11comp_targetILNS1_3genE2ELNS1_11target_archE906ELNS1_3gpuE6ELNS1_3repE0EEENS1_30default_config_static_selectorELNS0_4arch9wavefront6targetE1EEEvSK_
    .private_segment_fixed_size: 0
    .sgpr_count:     6
    .sgpr_spill_count: 0
    .symbol:         _ZN7rocprim17ROCPRIM_400000_NS6detail17trampoline_kernelINS0_14default_configENS1_22reduce_config_selectorIN6thrust23THRUST_200600_302600_NS5tupleIblNS6_9null_typeES8_S8_S8_S8_S8_S8_S8_EEEEZNS1_11reduce_implILb1ES3_PS9_SC_S9_NS6_11hip_rocprim9__find_if7functorIS9_EEEE10hipError_tPvRmT1_T2_T3_mT4_P12ihipStream_tbEUlT_E0_NS1_11comp_targetILNS1_3genE2ELNS1_11target_archE906ELNS1_3gpuE6ELNS1_3repE0EEENS1_30default_config_static_selectorELNS0_4arch9wavefront6targetE1EEEvSK_.kd
    .uniform_work_group_size: 1
    .uses_dynamic_stack: false
    .vgpr_count:     0
    .vgpr_spill_count: 0
    .wavefront_size: 64
  - .agpr_count:     0
    .args:
      - .offset:         0
        .size:           72
        .value_kind:     by_value
    .group_segment_fixed_size: 0
    .kernarg_segment_align: 8
    .kernarg_segment_size: 72
    .language:       OpenCL C
    .language_version:
      - 2
      - 0
    .max_flat_workgroup_size: 256
    .name:           _ZN7rocprim17ROCPRIM_400000_NS6detail17trampoline_kernelINS0_14default_configENS1_22reduce_config_selectorIN6thrust23THRUST_200600_302600_NS5tupleIblNS6_9null_typeES8_S8_S8_S8_S8_S8_S8_EEEEZNS1_11reduce_implILb1ES3_PS9_SC_S9_NS6_11hip_rocprim9__find_if7functorIS9_EEEE10hipError_tPvRmT1_T2_T3_mT4_P12ihipStream_tbEUlT_E0_NS1_11comp_targetILNS1_3genE10ELNS1_11target_archE1201ELNS1_3gpuE5ELNS1_3repE0EEENS1_30default_config_static_selectorELNS0_4arch9wavefront6targetE1EEEvSK_
    .private_segment_fixed_size: 0
    .sgpr_count:     6
    .sgpr_spill_count: 0
    .symbol:         _ZN7rocprim17ROCPRIM_400000_NS6detail17trampoline_kernelINS0_14default_configENS1_22reduce_config_selectorIN6thrust23THRUST_200600_302600_NS5tupleIblNS6_9null_typeES8_S8_S8_S8_S8_S8_S8_EEEEZNS1_11reduce_implILb1ES3_PS9_SC_S9_NS6_11hip_rocprim9__find_if7functorIS9_EEEE10hipError_tPvRmT1_T2_T3_mT4_P12ihipStream_tbEUlT_E0_NS1_11comp_targetILNS1_3genE10ELNS1_11target_archE1201ELNS1_3gpuE5ELNS1_3repE0EEENS1_30default_config_static_selectorELNS0_4arch9wavefront6targetE1EEEvSK_.kd
    .uniform_work_group_size: 1
    .uses_dynamic_stack: false
    .vgpr_count:     0
    .vgpr_spill_count: 0
    .wavefront_size: 64
  - .agpr_count:     0
    .args:
      - .offset:         0
        .size:           72
        .value_kind:     by_value
    .group_segment_fixed_size: 0
    .kernarg_segment_align: 8
    .kernarg_segment_size: 72
    .language:       OpenCL C
    .language_version:
      - 2
      - 0
    .max_flat_workgroup_size: 256
    .name:           _ZN7rocprim17ROCPRIM_400000_NS6detail17trampoline_kernelINS0_14default_configENS1_22reduce_config_selectorIN6thrust23THRUST_200600_302600_NS5tupleIblNS6_9null_typeES8_S8_S8_S8_S8_S8_S8_EEEEZNS1_11reduce_implILb1ES3_PS9_SC_S9_NS6_11hip_rocprim9__find_if7functorIS9_EEEE10hipError_tPvRmT1_T2_T3_mT4_P12ihipStream_tbEUlT_E0_NS1_11comp_targetILNS1_3genE10ELNS1_11target_archE1200ELNS1_3gpuE4ELNS1_3repE0EEENS1_30default_config_static_selectorELNS0_4arch9wavefront6targetE1EEEvSK_
    .private_segment_fixed_size: 0
    .sgpr_count:     6
    .sgpr_spill_count: 0
    .symbol:         _ZN7rocprim17ROCPRIM_400000_NS6detail17trampoline_kernelINS0_14default_configENS1_22reduce_config_selectorIN6thrust23THRUST_200600_302600_NS5tupleIblNS6_9null_typeES8_S8_S8_S8_S8_S8_S8_EEEEZNS1_11reduce_implILb1ES3_PS9_SC_S9_NS6_11hip_rocprim9__find_if7functorIS9_EEEE10hipError_tPvRmT1_T2_T3_mT4_P12ihipStream_tbEUlT_E0_NS1_11comp_targetILNS1_3genE10ELNS1_11target_archE1200ELNS1_3gpuE4ELNS1_3repE0EEENS1_30default_config_static_selectorELNS0_4arch9wavefront6targetE1EEEvSK_.kd
    .uniform_work_group_size: 1
    .uses_dynamic_stack: false
    .vgpr_count:     0
    .vgpr_spill_count: 0
    .wavefront_size: 64
  - .agpr_count:     0
    .args:
      - .offset:         0
        .size:           72
        .value_kind:     by_value
    .group_segment_fixed_size: 0
    .kernarg_segment_align: 8
    .kernarg_segment_size: 72
    .language:       OpenCL C
    .language_version:
      - 2
      - 0
    .max_flat_workgroup_size: 256
    .name:           _ZN7rocprim17ROCPRIM_400000_NS6detail17trampoline_kernelINS0_14default_configENS1_22reduce_config_selectorIN6thrust23THRUST_200600_302600_NS5tupleIblNS6_9null_typeES8_S8_S8_S8_S8_S8_S8_EEEEZNS1_11reduce_implILb1ES3_PS9_SC_S9_NS6_11hip_rocprim9__find_if7functorIS9_EEEE10hipError_tPvRmT1_T2_T3_mT4_P12ihipStream_tbEUlT_E0_NS1_11comp_targetILNS1_3genE9ELNS1_11target_archE1100ELNS1_3gpuE3ELNS1_3repE0EEENS1_30default_config_static_selectorELNS0_4arch9wavefront6targetE1EEEvSK_
    .private_segment_fixed_size: 0
    .sgpr_count:     6
    .sgpr_spill_count: 0
    .symbol:         _ZN7rocprim17ROCPRIM_400000_NS6detail17trampoline_kernelINS0_14default_configENS1_22reduce_config_selectorIN6thrust23THRUST_200600_302600_NS5tupleIblNS6_9null_typeES8_S8_S8_S8_S8_S8_S8_EEEEZNS1_11reduce_implILb1ES3_PS9_SC_S9_NS6_11hip_rocprim9__find_if7functorIS9_EEEE10hipError_tPvRmT1_T2_T3_mT4_P12ihipStream_tbEUlT_E0_NS1_11comp_targetILNS1_3genE9ELNS1_11target_archE1100ELNS1_3gpuE3ELNS1_3repE0EEENS1_30default_config_static_selectorELNS0_4arch9wavefront6targetE1EEEvSK_.kd
    .uniform_work_group_size: 1
    .uses_dynamic_stack: false
    .vgpr_count:     0
    .vgpr_spill_count: 0
    .wavefront_size: 64
  - .agpr_count:     0
    .args:
      - .offset:         0
        .size:           72
        .value_kind:     by_value
    .group_segment_fixed_size: 0
    .kernarg_segment_align: 8
    .kernarg_segment_size: 72
    .language:       OpenCL C
    .language_version:
      - 2
      - 0
    .max_flat_workgroup_size: 256
    .name:           _ZN7rocprim17ROCPRIM_400000_NS6detail17trampoline_kernelINS0_14default_configENS1_22reduce_config_selectorIN6thrust23THRUST_200600_302600_NS5tupleIblNS6_9null_typeES8_S8_S8_S8_S8_S8_S8_EEEEZNS1_11reduce_implILb1ES3_PS9_SC_S9_NS6_11hip_rocprim9__find_if7functorIS9_EEEE10hipError_tPvRmT1_T2_T3_mT4_P12ihipStream_tbEUlT_E0_NS1_11comp_targetILNS1_3genE8ELNS1_11target_archE1030ELNS1_3gpuE2ELNS1_3repE0EEENS1_30default_config_static_selectorELNS0_4arch9wavefront6targetE1EEEvSK_
    .private_segment_fixed_size: 0
    .sgpr_count:     6
    .sgpr_spill_count: 0
    .symbol:         _ZN7rocprim17ROCPRIM_400000_NS6detail17trampoline_kernelINS0_14default_configENS1_22reduce_config_selectorIN6thrust23THRUST_200600_302600_NS5tupleIblNS6_9null_typeES8_S8_S8_S8_S8_S8_S8_EEEEZNS1_11reduce_implILb1ES3_PS9_SC_S9_NS6_11hip_rocprim9__find_if7functorIS9_EEEE10hipError_tPvRmT1_T2_T3_mT4_P12ihipStream_tbEUlT_E0_NS1_11comp_targetILNS1_3genE8ELNS1_11target_archE1030ELNS1_3gpuE2ELNS1_3repE0EEENS1_30default_config_static_selectorELNS0_4arch9wavefront6targetE1EEEvSK_.kd
    .uniform_work_group_size: 1
    .uses_dynamic_stack: false
    .vgpr_count:     0
    .vgpr_spill_count: 0
    .wavefront_size: 64
  - .agpr_count:     0
    .args:
      - .offset:         0
        .size:           56
        .value_kind:     by_value
    .group_segment_fixed_size: 160
    .kernarg_segment_align: 8
    .kernarg_segment_size: 56
    .language:       OpenCL C
    .language_version:
      - 2
      - 0
    .max_flat_workgroup_size: 128
    .name:           _ZN7rocprim17ROCPRIM_400000_NS6detail17trampoline_kernelINS0_14default_configENS1_22reduce_config_selectorIN6thrust23THRUST_200600_302600_NS5tupleIblNS6_9null_typeES8_S8_S8_S8_S8_S8_S8_EEEEZNS1_11reduce_implILb1ES3_PS9_SC_S9_NS6_11hip_rocprim9__find_if7functorIS9_EEEE10hipError_tPvRmT1_T2_T3_mT4_P12ihipStream_tbEUlT_E1_NS1_11comp_targetILNS1_3genE0ELNS1_11target_archE4294967295ELNS1_3gpuE0ELNS1_3repE0EEENS1_30default_config_static_selectorELNS0_4arch9wavefront6targetE1EEEvSK_
    .private_segment_fixed_size: 0
    .sgpr_count:     42
    .sgpr_spill_count: 0
    .symbol:         _ZN7rocprim17ROCPRIM_400000_NS6detail17trampoline_kernelINS0_14default_configENS1_22reduce_config_selectorIN6thrust23THRUST_200600_302600_NS5tupleIblNS6_9null_typeES8_S8_S8_S8_S8_S8_S8_EEEEZNS1_11reduce_implILb1ES3_PS9_SC_S9_NS6_11hip_rocprim9__find_if7functorIS9_EEEE10hipError_tPvRmT1_T2_T3_mT4_P12ihipStream_tbEUlT_E1_NS1_11comp_targetILNS1_3genE0ELNS1_11target_archE4294967295ELNS1_3gpuE0ELNS1_3repE0EEENS1_30default_config_static_selectorELNS0_4arch9wavefront6targetE1EEEvSK_.kd
    .uniform_work_group_size: 1
    .uses_dynamic_stack: false
    .vgpr_count:     27
    .vgpr_spill_count: 0
    .wavefront_size: 64
  - .agpr_count:     0
    .args:
      - .offset:         0
        .size:           56
        .value_kind:     by_value
    .group_segment_fixed_size: 0
    .kernarg_segment_align: 8
    .kernarg_segment_size: 56
    .language:       OpenCL C
    .language_version:
      - 2
      - 0
    .max_flat_workgroup_size: 256
    .name:           _ZN7rocprim17ROCPRIM_400000_NS6detail17trampoline_kernelINS0_14default_configENS1_22reduce_config_selectorIN6thrust23THRUST_200600_302600_NS5tupleIblNS6_9null_typeES8_S8_S8_S8_S8_S8_S8_EEEEZNS1_11reduce_implILb1ES3_PS9_SC_S9_NS6_11hip_rocprim9__find_if7functorIS9_EEEE10hipError_tPvRmT1_T2_T3_mT4_P12ihipStream_tbEUlT_E1_NS1_11comp_targetILNS1_3genE5ELNS1_11target_archE942ELNS1_3gpuE9ELNS1_3repE0EEENS1_30default_config_static_selectorELNS0_4arch9wavefront6targetE1EEEvSK_
    .private_segment_fixed_size: 0
    .sgpr_count:     6
    .sgpr_spill_count: 0
    .symbol:         _ZN7rocprim17ROCPRIM_400000_NS6detail17trampoline_kernelINS0_14default_configENS1_22reduce_config_selectorIN6thrust23THRUST_200600_302600_NS5tupleIblNS6_9null_typeES8_S8_S8_S8_S8_S8_S8_EEEEZNS1_11reduce_implILb1ES3_PS9_SC_S9_NS6_11hip_rocprim9__find_if7functorIS9_EEEE10hipError_tPvRmT1_T2_T3_mT4_P12ihipStream_tbEUlT_E1_NS1_11comp_targetILNS1_3genE5ELNS1_11target_archE942ELNS1_3gpuE9ELNS1_3repE0EEENS1_30default_config_static_selectorELNS0_4arch9wavefront6targetE1EEEvSK_.kd
    .uniform_work_group_size: 1
    .uses_dynamic_stack: false
    .vgpr_count:     0
    .vgpr_spill_count: 0
    .wavefront_size: 64
  - .agpr_count:     0
    .args:
      - .offset:         0
        .size:           56
        .value_kind:     by_value
    .group_segment_fixed_size: 0
    .kernarg_segment_align: 8
    .kernarg_segment_size: 56
    .language:       OpenCL C
    .language_version:
      - 2
      - 0
    .max_flat_workgroup_size: 256
    .name:           _ZN7rocprim17ROCPRIM_400000_NS6detail17trampoline_kernelINS0_14default_configENS1_22reduce_config_selectorIN6thrust23THRUST_200600_302600_NS5tupleIblNS6_9null_typeES8_S8_S8_S8_S8_S8_S8_EEEEZNS1_11reduce_implILb1ES3_PS9_SC_S9_NS6_11hip_rocprim9__find_if7functorIS9_EEEE10hipError_tPvRmT1_T2_T3_mT4_P12ihipStream_tbEUlT_E1_NS1_11comp_targetILNS1_3genE4ELNS1_11target_archE910ELNS1_3gpuE8ELNS1_3repE0EEENS1_30default_config_static_selectorELNS0_4arch9wavefront6targetE1EEEvSK_
    .private_segment_fixed_size: 0
    .sgpr_count:     6
    .sgpr_spill_count: 0
    .symbol:         _ZN7rocprim17ROCPRIM_400000_NS6detail17trampoline_kernelINS0_14default_configENS1_22reduce_config_selectorIN6thrust23THRUST_200600_302600_NS5tupleIblNS6_9null_typeES8_S8_S8_S8_S8_S8_S8_EEEEZNS1_11reduce_implILb1ES3_PS9_SC_S9_NS6_11hip_rocprim9__find_if7functorIS9_EEEE10hipError_tPvRmT1_T2_T3_mT4_P12ihipStream_tbEUlT_E1_NS1_11comp_targetILNS1_3genE4ELNS1_11target_archE910ELNS1_3gpuE8ELNS1_3repE0EEENS1_30default_config_static_selectorELNS0_4arch9wavefront6targetE1EEEvSK_.kd
    .uniform_work_group_size: 1
    .uses_dynamic_stack: false
    .vgpr_count:     0
    .vgpr_spill_count: 0
    .wavefront_size: 64
  - .agpr_count:     0
    .args:
      - .offset:         0
        .size:           56
        .value_kind:     by_value
    .group_segment_fixed_size: 0
    .kernarg_segment_align: 8
    .kernarg_segment_size: 56
    .language:       OpenCL C
    .language_version:
      - 2
      - 0
    .max_flat_workgroup_size: 128
    .name:           _ZN7rocprim17ROCPRIM_400000_NS6detail17trampoline_kernelINS0_14default_configENS1_22reduce_config_selectorIN6thrust23THRUST_200600_302600_NS5tupleIblNS6_9null_typeES8_S8_S8_S8_S8_S8_S8_EEEEZNS1_11reduce_implILb1ES3_PS9_SC_S9_NS6_11hip_rocprim9__find_if7functorIS9_EEEE10hipError_tPvRmT1_T2_T3_mT4_P12ihipStream_tbEUlT_E1_NS1_11comp_targetILNS1_3genE3ELNS1_11target_archE908ELNS1_3gpuE7ELNS1_3repE0EEENS1_30default_config_static_selectorELNS0_4arch9wavefront6targetE1EEEvSK_
    .private_segment_fixed_size: 0
    .sgpr_count:     6
    .sgpr_spill_count: 0
    .symbol:         _ZN7rocprim17ROCPRIM_400000_NS6detail17trampoline_kernelINS0_14default_configENS1_22reduce_config_selectorIN6thrust23THRUST_200600_302600_NS5tupleIblNS6_9null_typeES8_S8_S8_S8_S8_S8_S8_EEEEZNS1_11reduce_implILb1ES3_PS9_SC_S9_NS6_11hip_rocprim9__find_if7functorIS9_EEEE10hipError_tPvRmT1_T2_T3_mT4_P12ihipStream_tbEUlT_E1_NS1_11comp_targetILNS1_3genE3ELNS1_11target_archE908ELNS1_3gpuE7ELNS1_3repE0EEENS1_30default_config_static_selectorELNS0_4arch9wavefront6targetE1EEEvSK_.kd
    .uniform_work_group_size: 1
    .uses_dynamic_stack: false
    .vgpr_count:     0
    .vgpr_spill_count: 0
    .wavefront_size: 64
  - .agpr_count:     0
    .args:
      - .offset:         0
        .size:           56
        .value_kind:     by_value
    .group_segment_fixed_size: 0
    .kernarg_segment_align: 8
    .kernarg_segment_size: 56
    .language:       OpenCL C
    .language_version:
      - 2
      - 0
    .max_flat_workgroup_size: 128
    .name:           _ZN7rocprim17ROCPRIM_400000_NS6detail17trampoline_kernelINS0_14default_configENS1_22reduce_config_selectorIN6thrust23THRUST_200600_302600_NS5tupleIblNS6_9null_typeES8_S8_S8_S8_S8_S8_S8_EEEEZNS1_11reduce_implILb1ES3_PS9_SC_S9_NS6_11hip_rocprim9__find_if7functorIS9_EEEE10hipError_tPvRmT1_T2_T3_mT4_P12ihipStream_tbEUlT_E1_NS1_11comp_targetILNS1_3genE2ELNS1_11target_archE906ELNS1_3gpuE6ELNS1_3repE0EEENS1_30default_config_static_selectorELNS0_4arch9wavefront6targetE1EEEvSK_
    .private_segment_fixed_size: 0
    .sgpr_count:     6
    .sgpr_spill_count: 0
    .symbol:         _ZN7rocprim17ROCPRIM_400000_NS6detail17trampoline_kernelINS0_14default_configENS1_22reduce_config_selectorIN6thrust23THRUST_200600_302600_NS5tupleIblNS6_9null_typeES8_S8_S8_S8_S8_S8_S8_EEEEZNS1_11reduce_implILb1ES3_PS9_SC_S9_NS6_11hip_rocprim9__find_if7functorIS9_EEEE10hipError_tPvRmT1_T2_T3_mT4_P12ihipStream_tbEUlT_E1_NS1_11comp_targetILNS1_3genE2ELNS1_11target_archE906ELNS1_3gpuE6ELNS1_3repE0EEENS1_30default_config_static_selectorELNS0_4arch9wavefront6targetE1EEEvSK_.kd
    .uniform_work_group_size: 1
    .uses_dynamic_stack: false
    .vgpr_count:     0
    .vgpr_spill_count: 0
    .wavefront_size: 64
  - .agpr_count:     0
    .args:
      - .offset:         0
        .size:           56
        .value_kind:     by_value
    .group_segment_fixed_size: 0
    .kernarg_segment_align: 8
    .kernarg_segment_size: 56
    .language:       OpenCL C
    .language_version:
      - 2
      - 0
    .max_flat_workgroup_size: 256
    .name:           _ZN7rocprim17ROCPRIM_400000_NS6detail17trampoline_kernelINS0_14default_configENS1_22reduce_config_selectorIN6thrust23THRUST_200600_302600_NS5tupleIblNS6_9null_typeES8_S8_S8_S8_S8_S8_S8_EEEEZNS1_11reduce_implILb1ES3_PS9_SC_S9_NS6_11hip_rocprim9__find_if7functorIS9_EEEE10hipError_tPvRmT1_T2_T3_mT4_P12ihipStream_tbEUlT_E1_NS1_11comp_targetILNS1_3genE10ELNS1_11target_archE1201ELNS1_3gpuE5ELNS1_3repE0EEENS1_30default_config_static_selectorELNS0_4arch9wavefront6targetE1EEEvSK_
    .private_segment_fixed_size: 0
    .sgpr_count:     6
    .sgpr_spill_count: 0
    .symbol:         _ZN7rocprim17ROCPRIM_400000_NS6detail17trampoline_kernelINS0_14default_configENS1_22reduce_config_selectorIN6thrust23THRUST_200600_302600_NS5tupleIblNS6_9null_typeES8_S8_S8_S8_S8_S8_S8_EEEEZNS1_11reduce_implILb1ES3_PS9_SC_S9_NS6_11hip_rocprim9__find_if7functorIS9_EEEE10hipError_tPvRmT1_T2_T3_mT4_P12ihipStream_tbEUlT_E1_NS1_11comp_targetILNS1_3genE10ELNS1_11target_archE1201ELNS1_3gpuE5ELNS1_3repE0EEENS1_30default_config_static_selectorELNS0_4arch9wavefront6targetE1EEEvSK_.kd
    .uniform_work_group_size: 1
    .uses_dynamic_stack: false
    .vgpr_count:     0
    .vgpr_spill_count: 0
    .wavefront_size: 64
  - .agpr_count:     0
    .args:
      - .offset:         0
        .size:           56
        .value_kind:     by_value
    .group_segment_fixed_size: 0
    .kernarg_segment_align: 8
    .kernarg_segment_size: 56
    .language:       OpenCL C
    .language_version:
      - 2
      - 0
    .max_flat_workgroup_size: 256
    .name:           _ZN7rocprim17ROCPRIM_400000_NS6detail17trampoline_kernelINS0_14default_configENS1_22reduce_config_selectorIN6thrust23THRUST_200600_302600_NS5tupleIblNS6_9null_typeES8_S8_S8_S8_S8_S8_S8_EEEEZNS1_11reduce_implILb1ES3_PS9_SC_S9_NS6_11hip_rocprim9__find_if7functorIS9_EEEE10hipError_tPvRmT1_T2_T3_mT4_P12ihipStream_tbEUlT_E1_NS1_11comp_targetILNS1_3genE10ELNS1_11target_archE1200ELNS1_3gpuE4ELNS1_3repE0EEENS1_30default_config_static_selectorELNS0_4arch9wavefront6targetE1EEEvSK_
    .private_segment_fixed_size: 0
    .sgpr_count:     6
    .sgpr_spill_count: 0
    .symbol:         _ZN7rocprim17ROCPRIM_400000_NS6detail17trampoline_kernelINS0_14default_configENS1_22reduce_config_selectorIN6thrust23THRUST_200600_302600_NS5tupleIblNS6_9null_typeES8_S8_S8_S8_S8_S8_S8_EEEEZNS1_11reduce_implILb1ES3_PS9_SC_S9_NS6_11hip_rocprim9__find_if7functorIS9_EEEE10hipError_tPvRmT1_T2_T3_mT4_P12ihipStream_tbEUlT_E1_NS1_11comp_targetILNS1_3genE10ELNS1_11target_archE1200ELNS1_3gpuE4ELNS1_3repE0EEENS1_30default_config_static_selectorELNS0_4arch9wavefront6targetE1EEEvSK_.kd
    .uniform_work_group_size: 1
    .uses_dynamic_stack: false
    .vgpr_count:     0
    .vgpr_spill_count: 0
    .wavefront_size: 64
  - .agpr_count:     0
    .args:
      - .offset:         0
        .size:           56
        .value_kind:     by_value
    .group_segment_fixed_size: 0
    .kernarg_segment_align: 8
    .kernarg_segment_size: 56
    .language:       OpenCL C
    .language_version:
      - 2
      - 0
    .max_flat_workgroup_size: 256
    .name:           _ZN7rocprim17ROCPRIM_400000_NS6detail17trampoline_kernelINS0_14default_configENS1_22reduce_config_selectorIN6thrust23THRUST_200600_302600_NS5tupleIblNS6_9null_typeES8_S8_S8_S8_S8_S8_S8_EEEEZNS1_11reduce_implILb1ES3_PS9_SC_S9_NS6_11hip_rocprim9__find_if7functorIS9_EEEE10hipError_tPvRmT1_T2_T3_mT4_P12ihipStream_tbEUlT_E1_NS1_11comp_targetILNS1_3genE9ELNS1_11target_archE1100ELNS1_3gpuE3ELNS1_3repE0EEENS1_30default_config_static_selectorELNS0_4arch9wavefront6targetE1EEEvSK_
    .private_segment_fixed_size: 0
    .sgpr_count:     6
    .sgpr_spill_count: 0
    .symbol:         _ZN7rocprim17ROCPRIM_400000_NS6detail17trampoline_kernelINS0_14default_configENS1_22reduce_config_selectorIN6thrust23THRUST_200600_302600_NS5tupleIblNS6_9null_typeES8_S8_S8_S8_S8_S8_S8_EEEEZNS1_11reduce_implILb1ES3_PS9_SC_S9_NS6_11hip_rocprim9__find_if7functorIS9_EEEE10hipError_tPvRmT1_T2_T3_mT4_P12ihipStream_tbEUlT_E1_NS1_11comp_targetILNS1_3genE9ELNS1_11target_archE1100ELNS1_3gpuE3ELNS1_3repE0EEENS1_30default_config_static_selectorELNS0_4arch9wavefront6targetE1EEEvSK_.kd
    .uniform_work_group_size: 1
    .uses_dynamic_stack: false
    .vgpr_count:     0
    .vgpr_spill_count: 0
    .wavefront_size: 64
  - .agpr_count:     0
    .args:
      - .offset:         0
        .size:           56
        .value_kind:     by_value
    .group_segment_fixed_size: 0
    .kernarg_segment_align: 8
    .kernarg_segment_size: 56
    .language:       OpenCL C
    .language_version:
      - 2
      - 0
    .max_flat_workgroup_size: 256
    .name:           _ZN7rocprim17ROCPRIM_400000_NS6detail17trampoline_kernelINS0_14default_configENS1_22reduce_config_selectorIN6thrust23THRUST_200600_302600_NS5tupleIblNS6_9null_typeES8_S8_S8_S8_S8_S8_S8_EEEEZNS1_11reduce_implILb1ES3_PS9_SC_S9_NS6_11hip_rocprim9__find_if7functorIS9_EEEE10hipError_tPvRmT1_T2_T3_mT4_P12ihipStream_tbEUlT_E1_NS1_11comp_targetILNS1_3genE8ELNS1_11target_archE1030ELNS1_3gpuE2ELNS1_3repE0EEENS1_30default_config_static_selectorELNS0_4arch9wavefront6targetE1EEEvSK_
    .private_segment_fixed_size: 0
    .sgpr_count:     6
    .sgpr_spill_count: 0
    .symbol:         _ZN7rocprim17ROCPRIM_400000_NS6detail17trampoline_kernelINS0_14default_configENS1_22reduce_config_selectorIN6thrust23THRUST_200600_302600_NS5tupleIblNS6_9null_typeES8_S8_S8_S8_S8_S8_S8_EEEEZNS1_11reduce_implILb1ES3_PS9_SC_S9_NS6_11hip_rocprim9__find_if7functorIS9_EEEE10hipError_tPvRmT1_T2_T3_mT4_P12ihipStream_tbEUlT_E1_NS1_11comp_targetILNS1_3genE8ELNS1_11target_archE1030ELNS1_3gpuE2ELNS1_3repE0EEENS1_30default_config_static_selectorELNS0_4arch9wavefront6targetE1EEEvSK_.kd
    .uniform_work_group_size: 1
    .uses_dynamic_stack: false
    .vgpr_count:     0
    .vgpr_spill_count: 0
    .wavefront_size: 64
  - .agpr_count:     0
    .args:
      - .offset:         0
        .size:           104
        .value_kind:     by_value
    .group_segment_fixed_size: 64
    .kernarg_segment_align: 8
    .kernarg_segment_size: 104
    .language:       OpenCL C
    .language_version:
      - 2
      - 0
    .max_flat_workgroup_size: 128
    .name:           _ZN7rocprim17ROCPRIM_400000_NS6detail17trampoline_kernelINS0_14default_configENS1_22reduce_config_selectorIN6thrust23THRUST_200600_302600_NS5tupleIblNS6_9null_typeES8_S8_S8_S8_S8_S8_S8_EEEEZNS1_11reduce_implILb1ES3_NS6_12zip_iteratorINS7_INS6_11hip_rocprim26transform_input_iterator_tIbNSD_35transform_pair_of_input_iterators_tIbNS6_6detail15normal_iteratorINS6_10device_ptrIKdEEEESL_NS6_8equal_toIdEEEENSG_9not_fun_tINSD_8identityEEEEENSD_19counting_iterator_tIlEES8_S8_S8_S8_S8_S8_S8_S8_EEEEPS9_S9_NSD_9__find_if7functorIS9_EEEE10hipError_tPvRmT1_T2_T3_mT4_P12ihipStream_tbEUlT_E0_NS1_11comp_targetILNS1_3genE0ELNS1_11target_archE4294967295ELNS1_3gpuE0ELNS1_3repE0EEENS1_30default_config_static_selectorELNS0_4arch9wavefront6targetE1EEEvS14_
    .private_segment_fixed_size: 0
    .sgpr_count:     34
    .sgpr_spill_count: 0
    .symbol:         _ZN7rocprim17ROCPRIM_400000_NS6detail17trampoline_kernelINS0_14default_configENS1_22reduce_config_selectorIN6thrust23THRUST_200600_302600_NS5tupleIblNS6_9null_typeES8_S8_S8_S8_S8_S8_S8_EEEEZNS1_11reduce_implILb1ES3_NS6_12zip_iteratorINS7_INS6_11hip_rocprim26transform_input_iterator_tIbNSD_35transform_pair_of_input_iterators_tIbNS6_6detail15normal_iteratorINS6_10device_ptrIKdEEEESL_NS6_8equal_toIdEEEENSG_9not_fun_tINSD_8identityEEEEENSD_19counting_iterator_tIlEES8_S8_S8_S8_S8_S8_S8_S8_EEEEPS9_S9_NSD_9__find_if7functorIS9_EEEE10hipError_tPvRmT1_T2_T3_mT4_P12ihipStream_tbEUlT_E0_NS1_11comp_targetILNS1_3genE0ELNS1_11target_archE4294967295ELNS1_3gpuE0ELNS1_3repE0EEENS1_30default_config_static_selectorELNS0_4arch9wavefront6targetE1EEEvS14_.kd
    .uniform_work_group_size: 1
    .uses_dynamic_stack: false
    .vgpr_count:     20
    .vgpr_spill_count: 0
    .wavefront_size: 64
  - .agpr_count:     0
    .args:
      - .offset:         0
        .size:           104
        .value_kind:     by_value
    .group_segment_fixed_size: 0
    .kernarg_segment_align: 8
    .kernarg_segment_size: 104
    .language:       OpenCL C
    .language_version:
      - 2
      - 0
    .max_flat_workgroup_size: 256
    .name:           _ZN7rocprim17ROCPRIM_400000_NS6detail17trampoline_kernelINS0_14default_configENS1_22reduce_config_selectorIN6thrust23THRUST_200600_302600_NS5tupleIblNS6_9null_typeES8_S8_S8_S8_S8_S8_S8_EEEEZNS1_11reduce_implILb1ES3_NS6_12zip_iteratorINS7_INS6_11hip_rocprim26transform_input_iterator_tIbNSD_35transform_pair_of_input_iterators_tIbNS6_6detail15normal_iteratorINS6_10device_ptrIKdEEEESL_NS6_8equal_toIdEEEENSG_9not_fun_tINSD_8identityEEEEENSD_19counting_iterator_tIlEES8_S8_S8_S8_S8_S8_S8_S8_EEEEPS9_S9_NSD_9__find_if7functorIS9_EEEE10hipError_tPvRmT1_T2_T3_mT4_P12ihipStream_tbEUlT_E0_NS1_11comp_targetILNS1_3genE5ELNS1_11target_archE942ELNS1_3gpuE9ELNS1_3repE0EEENS1_30default_config_static_selectorELNS0_4arch9wavefront6targetE1EEEvS14_
    .private_segment_fixed_size: 0
    .sgpr_count:     6
    .sgpr_spill_count: 0
    .symbol:         _ZN7rocprim17ROCPRIM_400000_NS6detail17trampoline_kernelINS0_14default_configENS1_22reduce_config_selectorIN6thrust23THRUST_200600_302600_NS5tupleIblNS6_9null_typeES8_S8_S8_S8_S8_S8_S8_EEEEZNS1_11reduce_implILb1ES3_NS6_12zip_iteratorINS7_INS6_11hip_rocprim26transform_input_iterator_tIbNSD_35transform_pair_of_input_iterators_tIbNS6_6detail15normal_iteratorINS6_10device_ptrIKdEEEESL_NS6_8equal_toIdEEEENSG_9not_fun_tINSD_8identityEEEEENSD_19counting_iterator_tIlEES8_S8_S8_S8_S8_S8_S8_S8_EEEEPS9_S9_NSD_9__find_if7functorIS9_EEEE10hipError_tPvRmT1_T2_T3_mT4_P12ihipStream_tbEUlT_E0_NS1_11comp_targetILNS1_3genE5ELNS1_11target_archE942ELNS1_3gpuE9ELNS1_3repE0EEENS1_30default_config_static_selectorELNS0_4arch9wavefront6targetE1EEEvS14_.kd
    .uniform_work_group_size: 1
    .uses_dynamic_stack: false
    .vgpr_count:     0
    .vgpr_spill_count: 0
    .wavefront_size: 64
  - .agpr_count:     0
    .args:
      - .offset:         0
        .size:           104
        .value_kind:     by_value
    .group_segment_fixed_size: 0
    .kernarg_segment_align: 8
    .kernarg_segment_size: 104
    .language:       OpenCL C
    .language_version:
      - 2
      - 0
    .max_flat_workgroup_size: 256
    .name:           _ZN7rocprim17ROCPRIM_400000_NS6detail17trampoline_kernelINS0_14default_configENS1_22reduce_config_selectorIN6thrust23THRUST_200600_302600_NS5tupleIblNS6_9null_typeES8_S8_S8_S8_S8_S8_S8_EEEEZNS1_11reduce_implILb1ES3_NS6_12zip_iteratorINS7_INS6_11hip_rocprim26transform_input_iterator_tIbNSD_35transform_pair_of_input_iterators_tIbNS6_6detail15normal_iteratorINS6_10device_ptrIKdEEEESL_NS6_8equal_toIdEEEENSG_9not_fun_tINSD_8identityEEEEENSD_19counting_iterator_tIlEES8_S8_S8_S8_S8_S8_S8_S8_EEEEPS9_S9_NSD_9__find_if7functorIS9_EEEE10hipError_tPvRmT1_T2_T3_mT4_P12ihipStream_tbEUlT_E0_NS1_11comp_targetILNS1_3genE4ELNS1_11target_archE910ELNS1_3gpuE8ELNS1_3repE0EEENS1_30default_config_static_selectorELNS0_4arch9wavefront6targetE1EEEvS14_
    .private_segment_fixed_size: 0
    .sgpr_count:     6
    .sgpr_spill_count: 0
    .symbol:         _ZN7rocprim17ROCPRIM_400000_NS6detail17trampoline_kernelINS0_14default_configENS1_22reduce_config_selectorIN6thrust23THRUST_200600_302600_NS5tupleIblNS6_9null_typeES8_S8_S8_S8_S8_S8_S8_EEEEZNS1_11reduce_implILb1ES3_NS6_12zip_iteratorINS7_INS6_11hip_rocprim26transform_input_iterator_tIbNSD_35transform_pair_of_input_iterators_tIbNS6_6detail15normal_iteratorINS6_10device_ptrIKdEEEESL_NS6_8equal_toIdEEEENSG_9not_fun_tINSD_8identityEEEEENSD_19counting_iterator_tIlEES8_S8_S8_S8_S8_S8_S8_S8_EEEEPS9_S9_NSD_9__find_if7functorIS9_EEEE10hipError_tPvRmT1_T2_T3_mT4_P12ihipStream_tbEUlT_E0_NS1_11comp_targetILNS1_3genE4ELNS1_11target_archE910ELNS1_3gpuE8ELNS1_3repE0EEENS1_30default_config_static_selectorELNS0_4arch9wavefront6targetE1EEEvS14_.kd
    .uniform_work_group_size: 1
    .uses_dynamic_stack: false
    .vgpr_count:     0
    .vgpr_spill_count: 0
    .wavefront_size: 64
  - .agpr_count:     0
    .args:
      - .offset:         0
        .size:           104
        .value_kind:     by_value
    .group_segment_fixed_size: 0
    .kernarg_segment_align: 8
    .kernarg_segment_size: 104
    .language:       OpenCL C
    .language_version:
      - 2
      - 0
    .max_flat_workgroup_size: 128
    .name:           _ZN7rocprim17ROCPRIM_400000_NS6detail17trampoline_kernelINS0_14default_configENS1_22reduce_config_selectorIN6thrust23THRUST_200600_302600_NS5tupleIblNS6_9null_typeES8_S8_S8_S8_S8_S8_S8_EEEEZNS1_11reduce_implILb1ES3_NS6_12zip_iteratorINS7_INS6_11hip_rocprim26transform_input_iterator_tIbNSD_35transform_pair_of_input_iterators_tIbNS6_6detail15normal_iteratorINS6_10device_ptrIKdEEEESL_NS6_8equal_toIdEEEENSG_9not_fun_tINSD_8identityEEEEENSD_19counting_iterator_tIlEES8_S8_S8_S8_S8_S8_S8_S8_EEEEPS9_S9_NSD_9__find_if7functorIS9_EEEE10hipError_tPvRmT1_T2_T3_mT4_P12ihipStream_tbEUlT_E0_NS1_11comp_targetILNS1_3genE3ELNS1_11target_archE908ELNS1_3gpuE7ELNS1_3repE0EEENS1_30default_config_static_selectorELNS0_4arch9wavefront6targetE1EEEvS14_
    .private_segment_fixed_size: 0
    .sgpr_count:     6
    .sgpr_spill_count: 0
    .symbol:         _ZN7rocprim17ROCPRIM_400000_NS6detail17trampoline_kernelINS0_14default_configENS1_22reduce_config_selectorIN6thrust23THRUST_200600_302600_NS5tupleIblNS6_9null_typeES8_S8_S8_S8_S8_S8_S8_EEEEZNS1_11reduce_implILb1ES3_NS6_12zip_iteratorINS7_INS6_11hip_rocprim26transform_input_iterator_tIbNSD_35transform_pair_of_input_iterators_tIbNS6_6detail15normal_iteratorINS6_10device_ptrIKdEEEESL_NS6_8equal_toIdEEEENSG_9not_fun_tINSD_8identityEEEEENSD_19counting_iterator_tIlEES8_S8_S8_S8_S8_S8_S8_S8_EEEEPS9_S9_NSD_9__find_if7functorIS9_EEEE10hipError_tPvRmT1_T2_T3_mT4_P12ihipStream_tbEUlT_E0_NS1_11comp_targetILNS1_3genE3ELNS1_11target_archE908ELNS1_3gpuE7ELNS1_3repE0EEENS1_30default_config_static_selectorELNS0_4arch9wavefront6targetE1EEEvS14_.kd
    .uniform_work_group_size: 1
    .uses_dynamic_stack: false
    .vgpr_count:     0
    .vgpr_spill_count: 0
    .wavefront_size: 64
  - .agpr_count:     0
    .args:
      - .offset:         0
        .size:           104
        .value_kind:     by_value
    .group_segment_fixed_size: 0
    .kernarg_segment_align: 8
    .kernarg_segment_size: 104
    .language:       OpenCL C
    .language_version:
      - 2
      - 0
    .max_flat_workgroup_size: 128
    .name:           _ZN7rocprim17ROCPRIM_400000_NS6detail17trampoline_kernelINS0_14default_configENS1_22reduce_config_selectorIN6thrust23THRUST_200600_302600_NS5tupleIblNS6_9null_typeES8_S8_S8_S8_S8_S8_S8_EEEEZNS1_11reduce_implILb1ES3_NS6_12zip_iteratorINS7_INS6_11hip_rocprim26transform_input_iterator_tIbNSD_35transform_pair_of_input_iterators_tIbNS6_6detail15normal_iteratorINS6_10device_ptrIKdEEEESL_NS6_8equal_toIdEEEENSG_9not_fun_tINSD_8identityEEEEENSD_19counting_iterator_tIlEES8_S8_S8_S8_S8_S8_S8_S8_EEEEPS9_S9_NSD_9__find_if7functorIS9_EEEE10hipError_tPvRmT1_T2_T3_mT4_P12ihipStream_tbEUlT_E0_NS1_11comp_targetILNS1_3genE2ELNS1_11target_archE906ELNS1_3gpuE6ELNS1_3repE0EEENS1_30default_config_static_selectorELNS0_4arch9wavefront6targetE1EEEvS14_
    .private_segment_fixed_size: 0
    .sgpr_count:     6
    .sgpr_spill_count: 0
    .symbol:         _ZN7rocprim17ROCPRIM_400000_NS6detail17trampoline_kernelINS0_14default_configENS1_22reduce_config_selectorIN6thrust23THRUST_200600_302600_NS5tupleIblNS6_9null_typeES8_S8_S8_S8_S8_S8_S8_EEEEZNS1_11reduce_implILb1ES3_NS6_12zip_iteratorINS7_INS6_11hip_rocprim26transform_input_iterator_tIbNSD_35transform_pair_of_input_iterators_tIbNS6_6detail15normal_iteratorINS6_10device_ptrIKdEEEESL_NS6_8equal_toIdEEEENSG_9not_fun_tINSD_8identityEEEEENSD_19counting_iterator_tIlEES8_S8_S8_S8_S8_S8_S8_S8_EEEEPS9_S9_NSD_9__find_if7functorIS9_EEEE10hipError_tPvRmT1_T2_T3_mT4_P12ihipStream_tbEUlT_E0_NS1_11comp_targetILNS1_3genE2ELNS1_11target_archE906ELNS1_3gpuE6ELNS1_3repE0EEENS1_30default_config_static_selectorELNS0_4arch9wavefront6targetE1EEEvS14_.kd
    .uniform_work_group_size: 1
    .uses_dynamic_stack: false
    .vgpr_count:     0
    .vgpr_spill_count: 0
    .wavefront_size: 64
  - .agpr_count:     0
    .args:
      - .offset:         0
        .size:           104
        .value_kind:     by_value
    .group_segment_fixed_size: 0
    .kernarg_segment_align: 8
    .kernarg_segment_size: 104
    .language:       OpenCL C
    .language_version:
      - 2
      - 0
    .max_flat_workgroup_size: 256
    .name:           _ZN7rocprim17ROCPRIM_400000_NS6detail17trampoline_kernelINS0_14default_configENS1_22reduce_config_selectorIN6thrust23THRUST_200600_302600_NS5tupleIblNS6_9null_typeES8_S8_S8_S8_S8_S8_S8_EEEEZNS1_11reduce_implILb1ES3_NS6_12zip_iteratorINS7_INS6_11hip_rocprim26transform_input_iterator_tIbNSD_35transform_pair_of_input_iterators_tIbNS6_6detail15normal_iteratorINS6_10device_ptrIKdEEEESL_NS6_8equal_toIdEEEENSG_9not_fun_tINSD_8identityEEEEENSD_19counting_iterator_tIlEES8_S8_S8_S8_S8_S8_S8_S8_EEEEPS9_S9_NSD_9__find_if7functorIS9_EEEE10hipError_tPvRmT1_T2_T3_mT4_P12ihipStream_tbEUlT_E0_NS1_11comp_targetILNS1_3genE10ELNS1_11target_archE1201ELNS1_3gpuE5ELNS1_3repE0EEENS1_30default_config_static_selectorELNS0_4arch9wavefront6targetE1EEEvS14_
    .private_segment_fixed_size: 0
    .sgpr_count:     6
    .sgpr_spill_count: 0
    .symbol:         _ZN7rocprim17ROCPRIM_400000_NS6detail17trampoline_kernelINS0_14default_configENS1_22reduce_config_selectorIN6thrust23THRUST_200600_302600_NS5tupleIblNS6_9null_typeES8_S8_S8_S8_S8_S8_S8_EEEEZNS1_11reduce_implILb1ES3_NS6_12zip_iteratorINS7_INS6_11hip_rocprim26transform_input_iterator_tIbNSD_35transform_pair_of_input_iterators_tIbNS6_6detail15normal_iteratorINS6_10device_ptrIKdEEEESL_NS6_8equal_toIdEEEENSG_9not_fun_tINSD_8identityEEEEENSD_19counting_iterator_tIlEES8_S8_S8_S8_S8_S8_S8_S8_EEEEPS9_S9_NSD_9__find_if7functorIS9_EEEE10hipError_tPvRmT1_T2_T3_mT4_P12ihipStream_tbEUlT_E0_NS1_11comp_targetILNS1_3genE10ELNS1_11target_archE1201ELNS1_3gpuE5ELNS1_3repE0EEENS1_30default_config_static_selectorELNS0_4arch9wavefront6targetE1EEEvS14_.kd
    .uniform_work_group_size: 1
    .uses_dynamic_stack: false
    .vgpr_count:     0
    .vgpr_spill_count: 0
    .wavefront_size: 64
  - .agpr_count:     0
    .args:
      - .offset:         0
        .size:           104
        .value_kind:     by_value
    .group_segment_fixed_size: 0
    .kernarg_segment_align: 8
    .kernarg_segment_size: 104
    .language:       OpenCL C
    .language_version:
      - 2
      - 0
    .max_flat_workgroup_size: 256
    .name:           _ZN7rocprim17ROCPRIM_400000_NS6detail17trampoline_kernelINS0_14default_configENS1_22reduce_config_selectorIN6thrust23THRUST_200600_302600_NS5tupleIblNS6_9null_typeES8_S8_S8_S8_S8_S8_S8_EEEEZNS1_11reduce_implILb1ES3_NS6_12zip_iteratorINS7_INS6_11hip_rocprim26transform_input_iterator_tIbNSD_35transform_pair_of_input_iterators_tIbNS6_6detail15normal_iteratorINS6_10device_ptrIKdEEEESL_NS6_8equal_toIdEEEENSG_9not_fun_tINSD_8identityEEEEENSD_19counting_iterator_tIlEES8_S8_S8_S8_S8_S8_S8_S8_EEEEPS9_S9_NSD_9__find_if7functorIS9_EEEE10hipError_tPvRmT1_T2_T3_mT4_P12ihipStream_tbEUlT_E0_NS1_11comp_targetILNS1_3genE10ELNS1_11target_archE1200ELNS1_3gpuE4ELNS1_3repE0EEENS1_30default_config_static_selectorELNS0_4arch9wavefront6targetE1EEEvS14_
    .private_segment_fixed_size: 0
    .sgpr_count:     6
    .sgpr_spill_count: 0
    .symbol:         _ZN7rocprim17ROCPRIM_400000_NS6detail17trampoline_kernelINS0_14default_configENS1_22reduce_config_selectorIN6thrust23THRUST_200600_302600_NS5tupleIblNS6_9null_typeES8_S8_S8_S8_S8_S8_S8_EEEEZNS1_11reduce_implILb1ES3_NS6_12zip_iteratorINS7_INS6_11hip_rocprim26transform_input_iterator_tIbNSD_35transform_pair_of_input_iterators_tIbNS6_6detail15normal_iteratorINS6_10device_ptrIKdEEEESL_NS6_8equal_toIdEEEENSG_9not_fun_tINSD_8identityEEEEENSD_19counting_iterator_tIlEES8_S8_S8_S8_S8_S8_S8_S8_EEEEPS9_S9_NSD_9__find_if7functorIS9_EEEE10hipError_tPvRmT1_T2_T3_mT4_P12ihipStream_tbEUlT_E0_NS1_11comp_targetILNS1_3genE10ELNS1_11target_archE1200ELNS1_3gpuE4ELNS1_3repE0EEENS1_30default_config_static_selectorELNS0_4arch9wavefront6targetE1EEEvS14_.kd
    .uniform_work_group_size: 1
    .uses_dynamic_stack: false
    .vgpr_count:     0
    .vgpr_spill_count: 0
    .wavefront_size: 64
  - .agpr_count:     0
    .args:
      - .offset:         0
        .size:           104
        .value_kind:     by_value
    .group_segment_fixed_size: 0
    .kernarg_segment_align: 8
    .kernarg_segment_size: 104
    .language:       OpenCL C
    .language_version:
      - 2
      - 0
    .max_flat_workgroup_size: 256
    .name:           _ZN7rocprim17ROCPRIM_400000_NS6detail17trampoline_kernelINS0_14default_configENS1_22reduce_config_selectorIN6thrust23THRUST_200600_302600_NS5tupleIblNS6_9null_typeES8_S8_S8_S8_S8_S8_S8_EEEEZNS1_11reduce_implILb1ES3_NS6_12zip_iteratorINS7_INS6_11hip_rocprim26transform_input_iterator_tIbNSD_35transform_pair_of_input_iterators_tIbNS6_6detail15normal_iteratorINS6_10device_ptrIKdEEEESL_NS6_8equal_toIdEEEENSG_9not_fun_tINSD_8identityEEEEENSD_19counting_iterator_tIlEES8_S8_S8_S8_S8_S8_S8_S8_EEEEPS9_S9_NSD_9__find_if7functorIS9_EEEE10hipError_tPvRmT1_T2_T3_mT4_P12ihipStream_tbEUlT_E0_NS1_11comp_targetILNS1_3genE9ELNS1_11target_archE1100ELNS1_3gpuE3ELNS1_3repE0EEENS1_30default_config_static_selectorELNS0_4arch9wavefront6targetE1EEEvS14_
    .private_segment_fixed_size: 0
    .sgpr_count:     6
    .sgpr_spill_count: 0
    .symbol:         _ZN7rocprim17ROCPRIM_400000_NS6detail17trampoline_kernelINS0_14default_configENS1_22reduce_config_selectorIN6thrust23THRUST_200600_302600_NS5tupleIblNS6_9null_typeES8_S8_S8_S8_S8_S8_S8_EEEEZNS1_11reduce_implILb1ES3_NS6_12zip_iteratorINS7_INS6_11hip_rocprim26transform_input_iterator_tIbNSD_35transform_pair_of_input_iterators_tIbNS6_6detail15normal_iteratorINS6_10device_ptrIKdEEEESL_NS6_8equal_toIdEEEENSG_9not_fun_tINSD_8identityEEEEENSD_19counting_iterator_tIlEES8_S8_S8_S8_S8_S8_S8_S8_EEEEPS9_S9_NSD_9__find_if7functorIS9_EEEE10hipError_tPvRmT1_T2_T3_mT4_P12ihipStream_tbEUlT_E0_NS1_11comp_targetILNS1_3genE9ELNS1_11target_archE1100ELNS1_3gpuE3ELNS1_3repE0EEENS1_30default_config_static_selectorELNS0_4arch9wavefront6targetE1EEEvS14_.kd
    .uniform_work_group_size: 1
    .uses_dynamic_stack: false
    .vgpr_count:     0
    .vgpr_spill_count: 0
    .wavefront_size: 64
  - .agpr_count:     0
    .args:
      - .offset:         0
        .size:           104
        .value_kind:     by_value
    .group_segment_fixed_size: 0
    .kernarg_segment_align: 8
    .kernarg_segment_size: 104
    .language:       OpenCL C
    .language_version:
      - 2
      - 0
    .max_flat_workgroup_size: 256
    .name:           _ZN7rocprim17ROCPRIM_400000_NS6detail17trampoline_kernelINS0_14default_configENS1_22reduce_config_selectorIN6thrust23THRUST_200600_302600_NS5tupleIblNS6_9null_typeES8_S8_S8_S8_S8_S8_S8_EEEEZNS1_11reduce_implILb1ES3_NS6_12zip_iteratorINS7_INS6_11hip_rocprim26transform_input_iterator_tIbNSD_35transform_pair_of_input_iterators_tIbNS6_6detail15normal_iteratorINS6_10device_ptrIKdEEEESL_NS6_8equal_toIdEEEENSG_9not_fun_tINSD_8identityEEEEENSD_19counting_iterator_tIlEES8_S8_S8_S8_S8_S8_S8_S8_EEEEPS9_S9_NSD_9__find_if7functorIS9_EEEE10hipError_tPvRmT1_T2_T3_mT4_P12ihipStream_tbEUlT_E0_NS1_11comp_targetILNS1_3genE8ELNS1_11target_archE1030ELNS1_3gpuE2ELNS1_3repE0EEENS1_30default_config_static_selectorELNS0_4arch9wavefront6targetE1EEEvS14_
    .private_segment_fixed_size: 0
    .sgpr_count:     6
    .sgpr_spill_count: 0
    .symbol:         _ZN7rocprim17ROCPRIM_400000_NS6detail17trampoline_kernelINS0_14default_configENS1_22reduce_config_selectorIN6thrust23THRUST_200600_302600_NS5tupleIblNS6_9null_typeES8_S8_S8_S8_S8_S8_S8_EEEEZNS1_11reduce_implILb1ES3_NS6_12zip_iteratorINS7_INS6_11hip_rocprim26transform_input_iterator_tIbNSD_35transform_pair_of_input_iterators_tIbNS6_6detail15normal_iteratorINS6_10device_ptrIKdEEEESL_NS6_8equal_toIdEEEENSG_9not_fun_tINSD_8identityEEEEENSD_19counting_iterator_tIlEES8_S8_S8_S8_S8_S8_S8_S8_EEEEPS9_S9_NSD_9__find_if7functorIS9_EEEE10hipError_tPvRmT1_T2_T3_mT4_P12ihipStream_tbEUlT_E0_NS1_11comp_targetILNS1_3genE8ELNS1_11target_archE1030ELNS1_3gpuE2ELNS1_3repE0EEENS1_30default_config_static_selectorELNS0_4arch9wavefront6targetE1EEEvS14_.kd
    .uniform_work_group_size: 1
    .uses_dynamic_stack: false
    .vgpr_count:     0
    .vgpr_spill_count: 0
    .wavefront_size: 64
  - .agpr_count:     0
    .args:
      - .offset:         0
        .size:           88
        .value_kind:     by_value
    .group_segment_fixed_size: 160
    .kernarg_segment_align: 8
    .kernarg_segment_size: 88
    .language:       OpenCL C
    .language_version:
      - 2
      - 0
    .max_flat_workgroup_size: 128
    .name:           _ZN7rocprim17ROCPRIM_400000_NS6detail17trampoline_kernelINS0_14default_configENS1_22reduce_config_selectorIN6thrust23THRUST_200600_302600_NS5tupleIblNS6_9null_typeES8_S8_S8_S8_S8_S8_S8_EEEEZNS1_11reduce_implILb1ES3_NS6_12zip_iteratorINS7_INS6_11hip_rocprim26transform_input_iterator_tIbNSD_35transform_pair_of_input_iterators_tIbNS6_6detail15normal_iteratorINS6_10device_ptrIKdEEEESL_NS6_8equal_toIdEEEENSG_9not_fun_tINSD_8identityEEEEENSD_19counting_iterator_tIlEES8_S8_S8_S8_S8_S8_S8_S8_EEEEPS9_S9_NSD_9__find_if7functorIS9_EEEE10hipError_tPvRmT1_T2_T3_mT4_P12ihipStream_tbEUlT_E1_NS1_11comp_targetILNS1_3genE0ELNS1_11target_archE4294967295ELNS1_3gpuE0ELNS1_3repE0EEENS1_30default_config_static_selectorELNS0_4arch9wavefront6targetE1EEEvS14_
    .private_segment_fixed_size: 0
    .sgpr_count:     46
    .sgpr_spill_count: 0
    .symbol:         _ZN7rocprim17ROCPRIM_400000_NS6detail17trampoline_kernelINS0_14default_configENS1_22reduce_config_selectorIN6thrust23THRUST_200600_302600_NS5tupleIblNS6_9null_typeES8_S8_S8_S8_S8_S8_S8_EEEEZNS1_11reduce_implILb1ES3_NS6_12zip_iteratorINS7_INS6_11hip_rocprim26transform_input_iterator_tIbNSD_35transform_pair_of_input_iterators_tIbNS6_6detail15normal_iteratorINS6_10device_ptrIKdEEEESL_NS6_8equal_toIdEEEENSG_9not_fun_tINSD_8identityEEEEENSD_19counting_iterator_tIlEES8_S8_S8_S8_S8_S8_S8_S8_EEEEPS9_S9_NSD_9__find_if7functorIS9_EEEE10hipError_tPvRmT1_T2_T3_mT4_P12ihipStream_tbEUlT_E1_NS1_11comp_targetILNS1_3genE0ELNS1_11target_archE4294967295ELNS1_3gpuE0ELNS1_3repE0EEENS1_30default_config_static_selectorELNS0_4arch9wavefront6targetE1EEEvS14_.kd
    .uniform_work_group_size: 1
    .uses_dynamic_stack: false
    .vgpr_count:     45
    .vgpr_spill_count: 0
    .wavefront_size: 64
  - .agpr_count:     0
    .args:
      - .offset:         0
        .size:           88
        .value_kind:     by_value
    .group_segment_fixed_size: 0
    .kernarg_segment_align: 8
    .kernarg_segment_size: 88
    .language:       OpenCL C
    .language_version:
      - 2
      - 0
    .max_flat_workgroup_size: 256
    .name:           _ZN7rocprim17ROCPRIM_400000_NS6detail17trampoline_kernelINS0_14default_configENS1_22reduce_config_selectorIN6thrust23THRUST_200600_302600_NS5tupleIblNS6_9null_typeES8_S8_S8_S8_S8_S8_S8_EEEEZNS1_11reduce_implILb1ES3_NS6_12zip_iteratorINS7_INS6_11hip_rocprim26transform_input_iterator_tIbNSD_35transform_pair_of_input_iterators_tIbNS6_6detail15normal_iteratorINS6_10device_ptrIKdEEEESL_NS6_8equal_toIdEEEENSG_9not_fun_tINSD_8identityEEEEENSD_19counting_iterator_tIlEES8_S8_S8_S8_S8_S8_S8_S8_EEEEPS9_S9_NSD_9__find_if7functorIS9_EEEE10hipError_tPvRmT1_T2_T3_mT4_P12ihipStream_tbEUlT_E1_NS1_11comp_targetILNS1_3genE5ELNS1_11target_archE942ELNS1_3gpuE9ELNS1_3repE0EEENS1_30default_config_static_selectorELNS0_4arch9wavefront6targetE1EEEvS14_
    .private_segment_fixed_size: 0
    .sgpr_count:     6
    .sgpr_spill_count: 0
    .symbol:         _ZN7rocprim17ROCPRIM_400000_NS6detail17trampoline_kernelINS0_14default_configENS1_22reduce_config_selectorIN6thrust23THRUST_200600_302600_NS5tupleIblNS6_9null_typeES8_S8_S8_S8_S8_S8_S8_EEEEZNS1_11reduce_implILb1ES3_NS6_12zip_iteratorINS7_INS6_11hip_rocprim26transform_input_iterator_tIbNSD_35transform_pair_of_input_iterators_tIbNS6_6detail15normal_iteratorINS6_10device_ptrIKdEEEESL_NS6_8equal_toIdEEEENSG_9not_fun_tINSD_8identityEEEEENSD_19counting_iterator_tIlEES8_S8_S8_S8_S8_S8_S8_S8_EEEEPS9_S9_NSD_9__find_if7functorIS9_EEEE10hipError_tPvRmT1_T2_T3_mT4_P12ihipStream_tbEUlT_E1_NS1_11comp_targetILNS1_3genE5ELNS1_11target_archE942ELNS1_3gpuE9ELNS1_3repE0EEENS1_30default_config_static_selectorELNS0_4arch9wavefront6targetE1EEEvS14_.kd
    .uniform_work_group_size: 1
    .uses_dynamic_stack: false
    .vgpr_count:     0
    .vgpr_spill_count: 0
    .wavefront_size: 64
  - .agpr_count:     0
    .args:
      - .offset:         0
        .size:           88
        .value_kind:     by_value
    .group_segment_fixed_size: 0
    .kernarg_segment_align: 8
    .kernarg_segment_size: 88
    .language:       OpenCL C
    .language_version:
      - 2
      - 0
    .max_flat_workgroup_size: 256
    .name:           _ZN7rocprim17ROCPRIM_400000_NS6detail17trampoline_kernelINS0_14default_configENS1_22reduce_config_selectorIN6thrust23THRUST_200600_302600_NS5tupleIblNS6_9null_typeES8_S8_S8_S8_S8_S8_S8_EEEEZNS1_11reduce_implILb1ES3_NS6_12zip_iteratorINS7_INS6_11hip_rocprim26transform_input_iterator_tIbNSD_35transform_pair_of_input_iterators_tIbNS6_6detail15normal_iteratorINS6_10device_ptrIKdEEEESL_NS6_8equal_toIdEEEENSG_9not_fun_tINSD_8identityEEEEENSD_19counting_iterator_tIlEES8_S8_S8_S8_S8_S8_S8_S8_EEEEPS9_S9_NSD_9__find_if7functorIS9_EEEE10hipError_tPvRmT1_T2_T3_mT4_P12ihipStream_tbEUlT_E1_NS1_11comp_targetILNS1_3genE4ELNS1_11target_archE910ELNS1_3gpuE8ELNS1_3repE0EEENS1_30default_config_static_selectorELNS0_4arch9wavefront6targetE1EEEvS14_
    .private_segment_fixed_size: 0
    .sgpr_count:     6
    .sgpr_spill_count: 0
    .symbol:         _ZN7rocprim17ROCPRIM_400000_NS6detail17trampoline_kernelINS0_14default_configENS1_22reduce_config_selectorIN6thrust23THRUST_200600_302600_NS5tupleIblNS6_9null_typeES8_S8_S8_S8_S8_S8_S8_EEEEZNS1_11reduce_implILb1ES3_NS6_12zip_iteratorINS7_INS6_11hip_rocprim26transform_input_iterator_tIbNSD_35transform_pair_of_input_iterators_tIbNS6_6detail15normal_iteratorINS6_10device_ptrIKdEEEESL_NS6_8equal_toIdEEEENSG_9not_fun_tINSD_8identityEEEEENSD_19counting_iterator_tIlEES8_S8_S8_S8_S8_S8_S8_S8_EEEEPS9_S9_NSD_9__find_if7functorIS9_EEEE10hipError_tPvRmT1_T2_T3_mT4_P12ihipStream_tbEUlT_E1_NS1_11comp_targetILNS1_3genE4ELNS1_11target_archE910ELNS1_3gpuE8ELNS1_3repE0EEENS1_30default_config_static_selectorELNS0_4arch9wavefront6targetE1EEEvS14_.kd
    .uniform_work_group_size: 1
    .uses_dynamic_stack: false
    .vgpr_count:     0
    .vgpr_spill_count: 0
    .wavefront_size: 64
  - .agpr_count:     0
    .args:
      - .offset:         0
        .size:           88
        .value_kind:     by_value
    .group_segment_fixed_size: 0
    .kernarg_segment_align: 8
    .kernarg_segment_size: 88
    .language:       OpenCL C
    .language_version:
      - 2
      - 0
    .max_flat_workgroup_size: 128
    .name:           _ZN7rocprim17ROCPRIM_400000_NS6detail17trampoline_kernelINS0_14default_configENS1_22reduce_config_selectorIN6thrust23THRUST_200600_302600_NS5tupleIblNS6_9null_typeES8_S8_S8_S8_S8_S8_S8_EEEEZNS1_11reduce_implILb1ES3_NS6_12zip_iteratorINS7_INS6_11hip_rocprim26transform_input_iterator_tIbNSD_35transform_pair_of_input_iterators_tIbNS6_6detail15normal_iteratorINS6_10device_ptrIKdEEEESL_NS6_8equal_toIdEEEENSG_9not_fun_tINSD_8identityEEEEENSD_19counting_iterator_tIlEES8_S8_S8_S8_S8_S8_S8_S8_EEEEPS9_S9_NSD_9__find_if7functorIS9_EEEE10hipError_tPvRmT1_T2_T3_mT4_P12ihipStream_tbEUlT_E1_NS1_11comp_targetILNS1_3genE3ELNS1_11target_archE908ELNS1_3gpuE7ELNS1_3repE0EEENS1_30default_config_static_selectorELNS0_4arch9wavefront6targetE1EEEvS14_
    .private_segment_fixed_size: 0
    .sgpr_count:     6
    .sgpr_spill_count: 0
    .symbol:         _ZN7rocprim17ROCPRIM_400000_NS6detail17trampoline_kernelINS0_14default_configENS1_22reduce_config_selectorIN6thrust23THRUST_200600_302600_NS5tupleIblNS6_9null_typeES8_S8_S8_S8_S8_S8_S8_EEEEZNS1_11reduce_implILb1ES3_NS6_12zip_iteratorINS7_INS6_11hip_rocprim26transform_input_iterator_tIbNSD_35transform_pair_of_input_iterators_tIbNS6_6detail15normal_iteratorINS6_10device_ptrIKdEEEESL_NS6_8equal_toIdEEEENSG_9not_fun_tINSD_8identityEEEEENSD_19counting_iterator_tIlEES8_S8_S8_S8_S8_S8_S8_S8_EEEEPS9_S9_NSD_9__find_if7functorIS9_EEEE10hipError_tPvRmT1_T2_T3_mT4_P12ihipStream_tbEUlT_E1_NS1_11comp_targetILNS1_3genE3ELNS1_11target_archE908ELNS1_3gpuE7ELNS1_3repE0EEENS1_30default_config_static_selectorELNS0_4arch9wavefront6targetE1EEEvS14_.kd
    .uniform_work_group_size: 1
    .uses_dynamic_stack: false
    .vgpr_count:     0
    .vgpr_spill_count: 0
    .wavefront_size: 64
  - .agpr_count:     0
    .args:
      - .offset:         0
        .size:           88
        .value_kind:     by_value
    .group_segment_fixed_size: 0
    .kernarg_segment_align: 8
    .kernarg_segment_size: 88
    .language:       OpenCL C
    .language_version:
      - 2
      - 0
    .max_flat_workgroup_size: 128
    .name:           _ZN7rocprim17ROCPRIM_400000_NS6detail17trampoline_kernelINS0_14default_configENS1_22reduce_config_selectorIN6thrust23THRUST_200600_302600_NS5tupleIblNS6_9null_typeES8_S8_S8_S8_S8_S8_S8_EEEEZNS1_11reduce_implILb1ES3_NS6_12zip_iteratorINS7_INS6_11hip_rocprim26transform_input_iterator_tIbNSD_35transform_pair_of_input_iterators_tIbNS6_6detail15normal_iteratorINS6_10device_ptrIKdEEEESL_NS6_8equal_toIdEEEENSG_9not_fun_tINSD_8identityEEEEENSD_19counting_iterator_tIlEES8_S8_S8_S8_S8_S8_S8_S8_EEEEPS9_S9_NSD_9__find_if7functorIS9_EEEE10hipError_tPvRmT1_T2_T3_mT4_P12ihipStream_tbEUlT_E1_NS1_11comp_targetILNS1_3genE2ELNS1_11target_archE906ELNS1_3gpuE6ELNS1_3repE0EEENS1_30default_config_static_selectorELNS0_4arch9wavefront6targetE1EEEvS14_
    .private_segment_fixed_size: 0
    .sgpr_count:     6
    .sgpr_spill_count: 0
    .symbol:         _ZN7rocprim17ROCPRIM_400000_NS6detail17trampoline_kernelINS0_14default_configENS1_22reduce_config_selectorIN6thrust23THRUST_200600_302600_NS5tupleIblNS6_9null_typeES8_S8_S8_S8_S8_S8_S8_EEEEZNS1_11reduce_implILb1ES3_NS6_12zip_iteratorINS7_INS6_11hip_rocprim26transform_input_iterator_tIbNSD_35transform_pair_of_input_iterators_tIbNS6_6detail15normal_iteratorINS6_10device_ptrIKdEEEESL_NS6_8equal_toIdEEEENSG_9not_fun_tINSD_8identityEEEEENSD_19counting_iterator_tIlEES8_S8_S8_S8_S8_S8_S8_S8_EEEEPS9_S9_NSD_9__find_if7functorIS9_EEEE10hipError_tPvRmT1_T2_T3_mT4_P12ihipStream_tbEUlT_E1_NS1_11comp_targetILNS1_3genE2ELNS1_11target_archE906ELNS1_3gpuE6ELNS1_3repE0EEENS1_30default_config_static_selectorELNS0_4arch9wavefront6targetE1EEEvS14_.kd
    .uniform_work_group_size: 1
    .uses_dynamic_stack: false
    .vgpr_count:     0
    .vgpr_spill_count: 0
    .wavefront_size: 64
  - .agpr_count:     0
    .args:
      - .offset:         0
        .size:           88
        .value_kind:     by_value
    .group_segment_fixed_size: 0
    .kernarg_segment_align: 8
    .kernarg_segment_size: 88
    .language:       OpenCL C
    .language_version:
      - 2
      - 0
    .max_flat_workgroup_size: 256
    .name:           _ZN7rocprim17ROCPRIM_400000_NS6detail17trampoline_kernelINS0_14default_configENS1_22reduce_config_selectorIN6thrust23THRUST_200600_302600_NS5tupleIblNS6_9null_typeES8_S8_S8_S8_S8_S8_S8_EEEEZNS1_11reduce_implILb1ES3_NS6_12zip_iteratorINS7_INS6_11hip_rocprim26transform_input_iterator_tIbNSD_35transform_pair_of_input_iterators_tIbNS6_6detail15normal_iteratorINS6_10device_ptrIKdEEEESL_NS6_8equal_toIdEEEENSG_9not_fun_tINSD_8identityEEEEENSD_19counting_iterator_tIlEES8_S8_S8_S8_S8_S8_S8_S8_EEEEPS9_S9_NSD_9__find_if7functorIS9_EEEE10hipError_tPvRmT1_T2_T3_mT4_P12ihipStream_tbEUlT_E1_NS1_11comp_targetILNS1_3genE10ELNS1_11target_archE1201ELNS1_3gpuE5ELNS1_3repE0EEENS1_30default_config_static_selectorELNS0_4arch9wavefront6targetE1EEEvS14_
    .private_segment_fixed_size: 0
    .sgpr_count:     6
    .sgpr_spill_count: 0
    .symbol:         _ZN7rocprim17ROCPRIM_400000_NS6detail17trampoline_kernelINS0_14default_configENS1_22reduce_config_selectorIN6thrust23THRUST_200600_302600_NS5tupleIblNS6_9null_typeES8_S8_S8_S8_S8_S8_S8_EEEEZNS1_11reduce_implILb1ES3_NS6_12zip_iteratorINS7_INS6_11hip_rocprim26transform_input_iterator_tIbNSD_35transform_pair_of_input_iterators_tIbNS6_6detail15normal_iteratorINS6_10device_ptrIKdEEEESL_NS6_8equal_toIdEEEENSG_9not_fun_tINSD_8identityEEEEENSD_19counting_iterator_tIlEES8_S8_S8_S8_S8_S8_S8_S8_EEEEPS9_S9_NSD_9__find_if7functorIS9_EEEE10hipError_tPvRmT1_T2_T3_mT4_P12ihipStream_tbEUlT_E1_NS1_11comp_targetILNS1_3genE10ELNS1_11target_archE1201ELNS1_3gpuE5ELNS1_3repE0EEENS1_30default_config_static_selectorELNS0_4arch9wavefront6targetE1EEEvS14_.kd
    .uniform_work_group_size: 1
    .uses_dynamic_stack: false
    .vgpr_count:     0
    .vgpr_spill_count: 0
    .wavefront_size: 64
  - .agpr_count:     0
    .args:
      - .offset:         0
        .size:           88
        .value_kind:     by_value
    .group_segment_fixed_size: 0
    .kernarg_segment_align: 8
    .kernarg_segment_size: 88
    .language:       OpenCL C
    .language_version:
      - 2
      - 0
    .max_flat_workgroup_size: 256
    .name:           _ZN7rocprim17ROCPRIM_400000_NS6detail17trampoline_kernelINS0_14default_configENS1_22reduce_config_selectorIN6thrust23THRUST_200600_302600_NS5tupleIblNS6_9null_typeES8_S8_S8_S8_S8_S8_S8_EEEEZNS1_11reduce_implILb1ES3_NS6_12zip_iteratorINS7_INS6_11hip_rocprim26transform_input_iterator_tIbNSD_35transform_pair_of_input_iterators_tIbNS6_6detail15normal_iteratorINS6_10device_ptrIKdEEEESL_NS6_8equal_toIdEEEENSG_9not_fun_tINSD_8identityEEEEENSD_19counting_iterator_tIlEES8_S8_S8_S8_S8_S8_S8_S8_EEEEPS9_S9_NSD_9__find_if7functorIS9_EEEE10hipError_tPvRmT1_T2_T3_mT4_P12ihipStream_tbEUlT_E1_NS1_11comp_targetILNS1_3genE10ELNS1_11target_archE1200ELNS1_3gpuE4ELNS1_3repE0EEENS1_30default_config_static_selectorELNS0_4arch9wavefront6targetE1EEEvS14_
    .private_segment_fixed_size: 0
    .sgpr_count:     6
    .sgpr_spill_count: 0
    .symbol:         _ZN7rocprim17ROCPRIM_400000_NS6detail17trampoline_kernelINS0_14default_configENS1_22reduce_config_selectorIN6thrust23THRUST_200600_302600_NS5tupleIblNS6_9null_typeES8_S8_S8_S8_S8_S8_S8_EEEEZNS1_11reduce_implILb1ES3_NS6_12zip_iteratorINS7_INS6_11hip_rocprim26transform_input_iterator_tIbNSD_35transform_pair_of_input_iterators_tIbNS6_6detail15normal_iteratorINS6_10device_ptrIKdEEEESL_NS6_8equal_toIdEEEENSG_9not_fun_tINSD_8identityEEEEENSD_19counting_iterator_tIlEES8_S8_S8_S8_S8_S8_S8_S8_EEEEPS9_S9_NSD_9__find_if7functorIS9_EEEE10hipError_tPvRmT1_T2_T3_mT4_P12ihipStream_tbEUlT_E1_NS1_11comp_targetILNS1_3genE10ELNS1_11target_archE1200ELNS1_3gpuE4ELNS1_3repE0EEENS1_30default_config_static_selectorELNS0_4arch9wavefront6targetE1EEEvS14_.kd
    .uniform_work_group_size: 1
    .uses_dynamic_stack: false
    .vgpr_count:     0
    .vgpr_spill_count: 0
    .wavefront_size: 64
  - .agpr_count:     0
    .args:
      - .offset:         0
        .size:           88
        .value_kind:     by_value
    .group_segment_fixed_size: 0
    .kernarg_segment_align: 8
    .kernarg_segment_size: 88
    .language:       OpenCL C
    .language_version:
      - 2
      - 0
    .max_flat_workgroup_size: 256
    .name:           _ZN7rocprim17ROCPRIM_400000_NS6detail17trampoline_kernelINS0_14default_configENS1_22reduce_config_selectorIN6thrust23THRUST_200600_302600_NS5tupleIblNS6_9null_typeES8_S8_S8_S8_S8_S8_S8_EEEEZNS1_11reduce_implILb1ES3_NS6_12zip_iteratorINS7_INS6_11hip_rocprim26transform_input_iterator_tIbNSD_35transform_pair_of_input_iterators_tIbNS6_6detail15normal_iteratorINS6_10device_ptrIKdEEEESL_NS6_8equal_toIdEEEENSG_9not_fun_tINSD_8identityEEEEENSD_19counting_iterator_tIlEES8_S8_S8_S8_S8_S8_S8_S8_EEEEPS9_S9_NSD_9__find_if7functorIS9_EEEE10hipError_tPvRmT1_T2_T3_mT4_P12ihipStream_tbEUlT_E1_NS1_11comp_targetILNS1_3genE9ELNS1_11target_archE1100ELNS1_3gpuE3ELNS1_3repE0EEENS1_30default_config_static_selectorELNS0_4arch9wavefront6targetE1EEEvS14_
    .private_segment_fixed_size: 0
    .sgpr_count:     6
    .sgpr_spill_count: 0
    .symbol:         _ZN7rocprim17ROCPRIM_400000_NS6detail17trampoline_kernelINS0_14default_configENS1_22reduce_config_selectorIN6thrust23THRUST_200600_302600_NS5tupleIblNS6_9null_typeES8_S8_S8_S8_S8_S8_S8_EEEEZNS1_11reduce_implILb1ES3_NS6_12zip_iteratorINS7_INS6_11hip_rocprim26transform_input_iterator_tIbNSD_35transform_pair_of_input_iterators_tIbNS6_6detail15normal_iteratorINS6_10device_ptrIKdEEEESL_NS6_8equal_toIdEEEENSG_9not_fun_tINSD_8identityEEEEENSD_19counting_iterator_tIlEES8_S8_S8_S8_S8_S8_S8_S8_EEEEPS9_S9_NSD_9__find_if7functorIS9_EEEE10hipError_tPvRmT1_T2_T3_mT4_P12ihipStream_tbEUlT_E1_NS1_11comp_targetILNS1_3genE9ELNS1_11target_archE1100ELNS1_3gpuE3ELNS1_3repE0EEENS1_30default_config_static_selectorELNS0_4arch9wavefront6targetE1EEEvS14_.kd
    .uniform_work_group_size: 1
    .uses_dynamic_stack: false
    .vgpr_count:     0
    .vgpr_spill_count: 0
    .wavefront_size: 64
  - .agpr_count:     0
    .args:
      - .offset:         0
        .size:           88
        .value_kind:     by_value
    .group_segment_fixed_size: 0
    .kernarg_segment_align: 8
    .kernarg_segment_size: 88
    .language:       OpenCL C
    .language_version:
      - 2
      - 0
    .max_flat_workgroup_size: 256
    .name:           _ZN7rocprim17ROCPRIM_400000_NS6detail17trampoline_kernelINS0_14default_configENS1_22reduce_config_selectorIN6thrust23THRUST_200600_302600_NS5tupleIblNS6_9null_typeES8_S8_S8_S8_S8_S8_S8_EEEEZNS1_11reduce_implILb1ES3_NS6_12zip_iteratorINS7_INS6_11hip_rocprim26transform_input_iterator_tIbNSD_35transform_pair_of_input_iterators_tIbNS6_6detail15normal_iteratorINS6_10device_ptrIKdEEEESL_NS6_8equal_toIdEEEENSG_9not_fun_tINSD_8identityEEEEENSD_19counting_iterator_tIlEES8_S8_S8_S8_S8_S8_S8_S8_EEEEPS9_S9_NSD_9__find_if7functorIS9_EEEE10hipError_tPvRmT1_T2_T3_mT4_P12ihipStream_tbEUlT_E1_NS1_11comp_targetILNS1_3genE8ELNS1_11target_archE1030ELNS1_3gpuE2ELNS1_3repE0EEENS1_30default_config_static_selectorELNS0_4arch9wavefront6targetE1EEEvS14_
    .private_segment_fixed_size: 0
    .sgpr_count:     6
    .sgpr_spill_count: 0
    .symbol:         _ZN7rocprim17ROCPRIM_400000_NS6detail17trampoline_kernelINS0_14default_configENS1_22reduce_config_selectorIN6thrust23THRUST_200600_302600_NS5tupleIblNS6_9null_typeES8_S8_S8_S8_S8_S8_S8_EEEEZNS1_11reduce_implILb1ES3_NS6_12zip_iteratorINS7_INS6_11hip_rocprim26transform_input_iterator_tIbNSD_35transform_pair_of_input_iterators_tIbNS6_6detail15normal_iteratorINS6_10device_ptrIKdEEEESL_NS6_8equal_toIdEEEENSG_9not_fun_tINSD_8identityEEEEENSD_19counting_iterator_tIlEES8_S8_S8_S8_S8_S8_S8_S8_EEEEPS9_S9_NSD_9__find_if7functorIS9_EEEE10hipError_tPvRmT1_T2_T3_mT4_P12ihipStream_tbEUlT_E1_NS1_11comp_targetILNS1_3genE8ELNS1_11target_archE1030ELNS1_3gpuE2ELNS1_3repE0EEENS1_30default_config_static_selectorELNS0_4arch9wavefront6targetE1EEEvS14_.kd
    .uniform_work_group_size: 1
    .uses_dynamic_stack: false
    .vgpr_count:     0
    .vgpr_spill_count: 0
    .wavefront_size: 64
  - .agpr_count:     0
    .args:
      - .offset:         0
        .size:           16
        .value_kind:     by_value
      - .offset:         16
        .size:           8
        .value_kind:     by_value
      - .offset:         24
        .size:           8
        .value_kind:     by_value
    .group_segment_fixed_size: 0
    .kernarg_segment_align: 8
    .kernarg_segment_size: 32
    .language:       OpenCL C
    .language_version:
      - 2
      - 0
    .max_flat_workgroup_size: 256
    .name:           _ZN6thrust23THRUST_200600_302600_NS11hip_rocprim14__parallel_for6kernelILj256ENS1_10for_each_fINS0_7pointerINS0_5tupleIblNS0_9null_typeES7_S7_S7_S7_S7_S7_S7_EENS1_3tagENS0_11use_defaultESA_EENS0_6detail16wrapped_functionINSC_23allocator_traits_detail24construct1_via_allocatorINSC_18no_throw_allocatorINSC_19temporary_allocatorIS8_S9_EEEEEEvEEEEmLj1EEEvT0_T1_SO_
    .private_segment_fixed_size: 0
    .sgpr_count:     18
    .sgpr_spill_count: 0
    .symbol:         _ZN6thrust23THRUST_200600_302600_NS11hip_rocprim14__parallel_for6kernelILj256ENS1_10for_each_fINS0_7pointerINS0_5tupleIblNS0_9null_typeES7_S7_S7_S7_S7_S7_S7_EENS1_3tagENS0_11use_defaultESA_EENS0_6detail16wrapped_functionINSC_23allocator_traits_detail24construct1_via_allocatorINSC_18no_throw_allocatorINSC_19temporary_allocatorIS8_S9_EEEEEEvEEEEmLj1EEEvT0_T1_SO_.kd
    .uniform_work_group_size: 1
    .uses_dynamic_stack: false
    .vgpr_count:     6
    .vgpr_spill_count: 0
    .wavefront_size: 64
  - .agpr_count:     0
    .args:
      - .offset:         0
        .size:           16
        .value_kind:     by_value
      - .offset:         16
        .size:           8
        .value_kind:     by_value
      - .offset:         24
        .size:           8
        .value_kind:     by_value
    .group_segment_fixed_size: 0
    .kernarg_segment_align: 8
    .kernarg_segment_size: 32
    .language:       OpenCL C
    .language_version:
      - 2
      - 0
    .max_flat_workgroup_size: 256
    .name:           _ZN6thrust23THRUST_200600_302600_NS11hip_rocprim14__parallel_for6kernelILj256ENS1_10for_each_fINS0_7pointerINS0_5tupleIblNS0_9null_typeES7_S7_S7_S7_S7_S7_S7_EENS1_3tagENS0_11use_defaultESA_EENS0_6detail16wrapped_functionINSC_23allocator_traits_detail5gozerEvEEEElLj1EEEvT0_T1_SJ_
    .private_segment_fixed_size: 0
    .sgpr_count:     6
    .sgpr_spill_count: 0
    .symbol:         _ZN6thrust23THRUST_200600_302600_NS11hip_rocprim14__parallel_for6kernelILj256ENS1_10for_each_fINS0_7pointerINS0_5tupleIblNS0_9null_typeES7_S7_S7_S7_S7_S7_S7_EENS1_3tagENS0_11use_defaultESA_EENS0_6detail16wrapped_functionINSC_23allocator_traits_detail5gozerEvEEEElLj1EEEvT0_T1_SJ_.kd
    .uniform_work_group_size: 1
    .uses_dynamic_stack: false
    .vgpr_count:     0
    .vgpr_spill_count: 0
    .wavefront_size: 64
  - .agpr_count:     0
    .args:
      - .offset:         0
        .size:           16
        .value_kind:     by_value
      - .offset:         16
        .size:           8
        .value_kind:     by_value
      - .offset:         24
        .size:           8
        .value_kind:     by_value
    .group_segment_fixed_size: 0
    .kernarg_segment_align: 8
    .kernarg_segment_size: 32
    .language:       OpenCL C
    .language_version:
      - 2
      - 0
    .max_flat_workgroup_size: 256
    .name:           _ZN6thrust23THRUST_200600_302600_NS11hip_rocprim14__parallel_for6kernelILj256ENS1_20__uninitialized_copy7functorIPNS0_5tupleIblNS0_9null_typeES7_S7_S7_S7_S7_S7_S7_EENS0_7pointerIS8_NS1_3tagENS0_11use_defaultESC_EEEEmLj1EEEvT0_T1_SG_
    .private_segment_fixed_size: 0
    .sgpr_count:     18
    .sgpr_spill_count: 0
    .symbol:         _ZN6thrust23THRUST_200600_302600_NS11hip_rocprim14__parallel_for6kernelILj256ENS1_20__uninitialized_copy7functorIPNS0_5tupleIblNS0_9null_typeES7_S7_S7_S7_S7_S7_S7_EENS0_7pointerIS8_NS1_3tagENS0_11use_defaultESC_EEEEmLj1EEEvT0_T1_SG_.kd
    .uniform_work_group_size: 1
    .uses_dynamic_stack: false
    .vgpr_count:     6
    .vgpr_spill_count: 0
    .wavefront_size: 64
  - .agpr_count:     0
    .args:
      - .offset:         0
        .size:           16
        .value_kind:     by_value
      - .offset:         16
        .size:           8
        .value_kind:     by_value
      - .offset:         24
        .size:           8
        .value_kind:     by_value
    .group_segment_fixed_size: 0
    .kernarg_segment_align: 8
    .kernarg_segment_size: 32
    .language:       OpenCL C
    .language_version:
      - 2
      - 0
    .max_flat_workgroup_size: 256
    .name:           _ZN6thrust23THRUST_200600_302600_NS11hip_rocprim14__parallel_for6kernelILj256ENS1_20__uninitialized_fill7functorINS0_10device_ptrIfEEfEEmLj1EEEvT0_T1_SA_
    .private_segment_fixed_size: 0
    .sgpr_count:     22
    .sgpr_spill_count: 0
    .symbol:         _ZN6thrust23THRUST_200600_302600_NS11hip_rocprim14__parallel_for6kernelILj256ENS1_20__uninitialized_fill7functorINS0_10device_ptrIfEEfEEmLj1EEEvT0_T1_SA_.kd
    .uniform_work_group_size: 1
    .uses_dynamic_stack: false
    .vgpr_count:     4
    .vgpr_spill_count: 0
    .wavefront_size: 64
  - .agpr_count:     0
    .args:
      - .offset:         0
        .size:           48
        .value_kind:     by_value
      - .offset:         48
        .size:           4
        .value_kind:     hidden_block_count_x
      - .offset:         52
        .size:           4
        .value_kind:     hidden_block_count_y
      - .offset:         56
        .size:           4
        .value_kind:     hidden_block_count_z
      - .offset:         60
        .size:           2
        .value_kind:     hidden_group_size_x
      - .offset:         62
        .size:           2
        .value_kind:     hidden_group_size_y
      - .offset:         64
        .size:           2
        .value_kind:     hidden_group_size_z
      - .offset:         66
        .size:           2
        .value_kind:     hidden_remainder_x
      - .offset:         68
        .size:           2
        .value_kind:     hidden_remainder_y
      - .offset:         70
        .size:           2
        .value_kind:     hidden_remainder_z
      - .offset:         88
        .size:           8
        .value_kind:     hidden_global_offset_x
      - .offset:         96
        .size:           8
        .value_kind:     hidden_global_offset_y
      - .offset:         104
        .size:           8
        .value_kind:     hidden_global_offset_z
      - .offset:         112
        .size:           2
        .value_kind:     hidden_grid_dims
    .group_segment_fixed_size: 4112
    .kernarg_segment_align: 8
    .kernarg_segment_size: 304
    .language:       OpenCL C
    .language_version:
      - 2
      - 0
    .max_flat_workgroup_size: 256
    .name:           _ZN7rocprim17ROCPRIM_400000_NS6detail17trampoline_kernelINS0_13kernel_configILj256ELj4ELj4294967295EEENS1_37radix_sort_block_sort_config_selectorIffEEZNS1_21radix_sort_block_sortIS4_Lb0EN6thrust23THRUST_200600_302600_NS6detail15normal_iteratorINS9_10device_ptrIfEEEESE_SE_SE_NS0_19identity_decomposerEEE10hipError_tT1_T2_T3_T4_jRjT5_jjP12ihipStream_tbEUlT_E_NS1_11comp_targetILNS1_3genE0ELNS1_11target_archE4294967295ELNS1_3gpuE0ELNS1_3repE0EEENS1_44radix_sort_block_sort_config_static_selectorELNS0_4arch9wavefront6targetE1EEEvSH_
    .private_segment_fixed_size: 0
    .sgpr_count:     52
    .sgpr_spill_count: 0
    .symbol:         _ZN7rocprim17ROCPRIM_400000_NS6detail17trampoline_kernelINS0_13kernel_configILj256ELj4ELj4294967295EEENS1_37radix_sort_block_sort_config_selectorIffEEZNS1_21radix_sort_block_sortIS4_Lb0EN6thrust23THRUST_200600_302600_NS6detail15normal_iteratorINS9_10device_ptrIfEEEESE_SE_SE_NS0_19identity_decomposerEEE10hipError_tT1_T2_T3_T4_jRjT5_jjP12ihipStream_tbEUlT_E_NS1_11comp_targetILNS1_3genE0ELNS1_11target_archE4294967295ELNS1_3gpuE0ELNS1_3repE0EEENS1_44radix_sort_block_sort_config_static_selectorELNS0_4arch9wavefront6targetE1EEEvSH_.kd
    .uniform_work_group_size: 1
    .uses_dynamic_stack: false
    .vgpr_count:     41
    .vgpr_spill_count: 0
    .wavefront_size: 64
  - .agpr_count:     0
    .args:
      - .offset:         0
        .size:           48
        .value_kind:     by_value
    .group_segment_fixed_size: 0
    .kernarg_segment_align: 8
    .kernarg_segment_size: 48
    .language:       OpenCL C
    .language_version:
      - 2
      - 0
    .max_flat_workgroup_size: 256
    .name:           _ZN7rocprim17ROCPRIM_400000_NS6detail17trampoline_kernelINS0_13kernel_configILj256ELj4ELj4294967295EEENS1_37radix_sort_block_sort_config_selectorIffEEZNS1_21radix_sort_block_sortIS4_Lb0EN6thrust23THRUST_200600_302600_NS6detail15normal_iteratorINS9_10device_ptrIfEEEESE_SE_SE_NS0_19identity_decomposerEEE10hipError_tT1_T2_T3_T4_jRjT5_jjP12ihipStream_tbEUlT_E_NS1_11comp_targetILNS1_3genE5ELNS1_11target_archE942ELNS1_3gpuE9ELNS1_3repE0EEENS1_44radix_sort_block_sort_config_static_selectorELNS0_4arch9wavefront6targetE1EEEvSH_
    .private_segment_fixed_size: 0
    .sgpr_count:     6
    .sgpr_spill_count: 0
    .symbol:         _ZN7rocprim17ROCPRIM_400000_NS6detail17trampoline_kernelINS0_13kernel_configILj256ELj4ELj4294967295EEENS1_37radix_sort_block_sort_config_selectorIffEEZNS1_21radix_sort_block_sortIS4_Lb0EN6thrust23THRUST_200600_302600_NS6detail15normal_iteratorINS9_10device_ptrIfEEEESE_SE_SE_NS0_19identity_decomposerEEE10hipError_tT1_T2_T3_T4_jRjT5_jjP12ihipStream_tbEUlT_E_NS1_11comp_targetILNS1_3genE5ELNS1_11target_archE942ELNS1_3gpuE9ELNS1_3repE0EEENS1_44radix_sort_block_sort_config_static_selectorELNS0_4arch9wavefront6targetE1EEEvSH_.kd
    .uniform_work_group_size: 1
    .uses_dynamic_stack: false
    .vgpr_count:     0
    .vgpr_spill_count: 0
    .wavefront_size: 64
  - .agpr_count:     0
    .args:
      - .offset:         0
        .size:           48
        .value_kind:     by_value
    .group_segment_fixed_size: 0
    .kernarg_segment_align: 8
    .kernarg_segment_size: 48
    .language:       OpenCL C
    .language_version:
      - 2
      - 0
    .max_flat_workgroup_size: 256
    .name:           _ZN7rocprim17ROCPRIM_400000_NS6detail17trampoline_kernelINS0_13kernel_configILj256ELj4ELj4294967295EEENS1_37radix_sort_block_sort_config_selectorIffEEZNS1_21radix_sort_block_sortIS4_Lb0EN6thrust23THRUST_200600_302600_NS6detail15normal_iteratorINS9_10device_ptrIfEEEESE_SE_SE_NS0_19identity_decomposerEEE10hipError_tT1_T2_T3_T4_jRjT5_jjP12ihipStream_tbEUlT_E_NS1_11comp_targetILNS1_3genE4ELNS1_11target_archE910ELNS1_3gpuE8ELNS1_3repE0EEENS1_44radix_sort_block_sort_config_static_selectorELNS0_4arch9wavefront6targetE1EEEvSH_
    .private_segment_fixed_size: 0
    .sgpr_count:     6
    .sgpr_spill_count: 0
    .symbol:         _ZN7rocprim17ROCPRIM_400000_NS6detail17trampoline_kernelINS0_13kernel_configILj256ELj4ELj4294967295EEENS1_37radix_sort_block_sort_config_selectorIffEEZNS1_21radix_sort_block_sortIS4_Lb0EN6thrust23THRUST_200600_302600_NS6detail15normal_iteratorINS9_10device_ptrIfEEEESE_SE_SE_NS0_19identity_decomposerEEE10hipError_tT1_T2_T3_T4_jRjT5_jjP12ihipStream_tbEUlT_E_NS1_11comp_targetILNS1_3genE4ELNS1_11target_archE910ELNS1_3gpuE8ELNS1_3repE0EEENS1_44radix_sort_block_sort_config_static_selectorELNS0_4arch9wavefront6targetE1EEEvSH_.kd
    .uniform_work_group_size: 1
    .uses_dynamic_stack: false
    .vgpr_count:     0
    .vgpr_spill_count: 0
    .wavefront_size: 64
  - .agpr_count:     0
    .args:
      - .offset:         0
        .size:           48
        .value_kind:     by_value
    .group_segment_fixed_size: 0
    .kernarg_segment_align: 8
    .kernarg_segment_size: 48
    .language:       OpenCL C
    .language_version:
      - 2
      - 0
    .max_flat_workgroup_size: 256
    .name:           _ZN7rocprim17ROCPRIM_400000_NS6detail17trampoline_kernelINS0_13kernel_configILj256ELj4ELj4294967295EEENS1_37radix_sort_block_sort_config_selectorIffEEZNS1_21radix_sort_block_sortIS4_Lb0EN6thrust23THRUST_200600_302600_NS6detail15normal_iteratorINS9_10device_ptrIfEEEESE_SE_SE_NS0_19identity_decomposerEEE10hipError_tT1_T2_T3_T4_jRjT5_jjP12ihipStream_tbEUlT_E_NS1_11comp_targetILNS1_3genE3ELNS1_11target_archE908ELNS1_3gpuE7ELNS1_3repE0EEENS1_44radix_sort_block_sort_config_static_selectorELNS0_4arch9wavefront6targetE1EEEvSH_
    .private_segment_fixed_size: 0
    .sgpr_count:     6
    .sgpr_spill_count: 0
    .symbol:         _ZN7rocprim17ROCPRIM_400000_NS6detail17trampoline_kernelINS0_13kernel_configILj256ELj4ELj4294967295EEENS1_37radix_sort_block_sort_config_selectorIffEEZNS1_21radix_sort_block_sortIS4_Lb0EN6thrust23THRUST_200600_302600_NS6detail15normal_iteratorINS9_10device_ptrIfEEEESE_SE_SE_NS0_19identity_decomposerEEE10hipError_tT1_T2_T3_T4_jRjT5_jjP12ihipStream_tbEUlT_E_NS1_11comp_targetILNS1_3genE3ELNS1_11target_archE908ELNS1_3gpuE7ELNS1_3repE0EEENS1_44radix_sort_block_sort_config_static_selectorELNS0_4arch9wavefront6targetE1EEEvSH_.kd
    .uniform_work_group_size: 1
    .uses_dynamic_stack: false
    .vgpr_count:     0
    .vgpr_spill_count: 0
    .wavefront_size: 64
  - .agpr_count:     0
    .args:
      - .offset:         0
        .size:           48
        .value_kind:     by_value
    .group_segment_fixed_size: 0
    .kernarg_segment_align: 8
    .kernarg_segment_size: 48
    .language:       OpenCL C
    .language_version:
      - 2
      - 0
    .max_flat_workgroup_size: 256
    .name:           _ZN7rocprim17ROCPRIM_400000_NS6detail17trampoline_kernelINS0_13kernel_configILj256ELj4ELj4294967295EEENS1_37radix_sort_block_sort_config_selectorIffEEZNS1_21radix_sort_block_sortIS4_Lb0EN6thrust23THRUST_200600_302600_NS6detail15normal_iteratorINS9_10device_ptrIfEEEESE_SE_SE_NS0_19identity_decomposerEEE10hipError_tT1_T2_T3_T4_jRjT5_jjP12ihipStream_tbEUlT_E_NS1_11comp_targetILNS1_3genE2ELNS1_11target_archE906ELNS1_3gpuE6ELNS1_3repE0EEENS1_44radix_sort_block_sort_config_static_selectorELNS0_4arch9wavefront6targetE1EEEvSH_
    .private_segment_fixed_size: 0
    .sgpr_count:     6
    .sgpr_spill_count: 0
    .symbol:         _ZN7rocprim17ROCPRIM_400000_NS6detail17trampoline_kernelINS0_13kernel_configILj256ELj4ELj4294967295EEENS1_37radix_sort_block_sort_config_selectorIffEEZNS1_21radix_sort_block_sortIS4_Lb0EN6thrust23THRUST_200600_302600_NS6detail15normal_iteratorINS9_10device_ptrIfEEEESE_SE_SE_NS0_19identity_decomposerEEE10hipError_tT1_T2_T3_T4_jRjT5_jjP12ihipStream_tbEUlT_E_NS1_11comp_targetILNS1_3genE2ELNS1_11target_archE906ELNS1_3gpuE6ELNS1_3repE0EEENS1_44radix_sort_block_sort_config_static_selectorELNS0_4arch9wavefront6targetE1EEEvSH_.kd
    .uniform_work_group_size: 1
    .uses_dynamic_stack: false
    .vgpr_count:     0
    .vgpr_spill_count: 0
    .wavefront_size: 64
  - .agpr_count:     0
    .args:
      - .offset:         0
        .size:           48
        .value_kind:     by_value
    .group_segment_fixed_size: 0
    .kernarg_segment_align: 8
    .kernarg_segment_size: 48
    .language:       OpenCL C
    .language_version:
      - 2
      - 0
    .max_flat_workgroup_size: 256
    .name:           _ZN7rocprim17ROCPRIM_400000_NS6detail17trampoline_kernelINS0_13kernel_configILj256ELj4ELj4294967295EEENS1_37radix_sort_block_sort_config_selectorIffEEZNS1_21radix_sort_block_sortIS4_Lb0EN6thrust23THRUST_200600_302600_NS6detail15normal_iteratorINS9_10device_ptrIfEEEESE_SE_SE_NS0_19identity_decomposerEEE10hipError_tT1_T2_T3_T4_jRjT5_jjP12ihipStream_tbEUlT_E_NS1_11comp_targetILNS1_3genE10ELNS1_11target_archE1201ELNS1_3gpuE5ELNS1_3repE0EEENS1_44radix_sort_block_sort_config_static_selectorELNS0_4arch9wavefront6targetE1EEEvSH_
    .private_segment_fixed_size: 0
    .sgpr_count:     6
    .sgpr_spill_count: 0
    .symbol:         _ZN7rocprim17ROCPRIM_400000_NS6detail17trampoline_kernelINS0_13kernel_configILj256ELj4ELj4294967295EEENS1_37radix_sort_block_sort_config_selectorIffEEZNS1_21radix_sort_block_sortIS4_Lb0EN6thrust23THRUST_200600_302600_NS6detail15normal_iteratorINS9_10device_ptrIfEEEESE_SE_SE_NS0_19identity_decomposerEEE10hipError_tT1_T2_T3_T4_jRjT5_jjP12ihipStream_tbEUlT_E_NS1_11comp_targetILNS1_3genE10ELNS1_11target_archE1201ELNS1_3gpuE5ELNS1_3repE0EEENS1_44radix_sort_block_sort_config_static_selectorELNS0_4arch9wavefront6targetE1EEEvSH_.kd
    .uniform_work_group_size: 1
    .uses_dynamic_stack: false
    .vgpr_count:     0
    .vgpr_spill_count: 0
    .wavefront_size: 64
  - .agpr_count:     0
    .args:
      - .offset:         0
        .size:           48
        .value_kind:     by_value
    .group_segment_fixed_size: 0
    .kernarg_segment_align: 8
    .kernarg_segment_size: 48
    .language:       OpenCL C
    .language_version:
      - 2
      - 0
    .max_flat_workgroup_size: 256
    .name:           _ZN7rocprim17ROCPRIM_400000_NS6detail17trampoline_kernelINS0_13kernel_configILj256ELj4ELj4294967295EEENS1_37radix_sort_block_sort_config_selectorIffEEZNS1_21radix_sort_block_sortIS4_Lb0EN6thrust23THRUST_200600_302600_NS6detail15normal_iteratorINS9_10device_ptrIfEEEESE_SE_SE_NS0_19identity_decomposerEEE10hipError_tT1_T2_T3_T4_jRjT5_jjP12ihipStream_tbEUlT_E_NS1_11comp_targetILNS1_3genE10ELNS1_11target_archE1200ELNS1_3gpuE4ELNS1_3repE0EEENS1_44radix_sort_block_sort_config_static_selectorELNS0_4arch9wavefront6targetE1EEEvSH_
    .private_segment_fixed_size: 0
    .sgpr_count:     6
    .sgpr_spill_count: 0
    .symbol:         _ZN7rocprim17ROCPRIM_400000_NS6detail17trampoline_kernelINS0_13kernel_configILj256ELj4ELj4294967295EEENS1_37radix_sort_block_sort_config_selectorIffEEZNS1_21radix_sort_block_sortIS4_Lb0EN6thrust23THRUST_200600_302600_NS6detail15normal_iteratorINS9_10device_ptrIfEEEESE_SE_SE_NS0_19identity_decomposerEEE10hipError_tT1_T2_T3_T4_jRjT5_jjP12ihipStream_tbEUlT_E_NS1_11comp_targetILNS1_3genE10ELNS1_11target_archE1200ELNS1_3gpuE4ELNS1_3repE0EEENS1_44radix_sort_block_sort_config_static_selectorELNS0_4arch9wavefront6targetE1EEEvSH_.kd
    .uniform_work_group_size: 1
    .uses_dynamic_stack: false
    .vgpr_count:     0
    .vgpr_spill_count: 0
    .wavefront_size: 64
  - .agpr_count:     0
    .args:
      - .offset:         0
        .size:           48
        .value_kind:     by_value
    .group_segment_fixed_size: 0
    .kernarg_segment_align: 8
    .kernarg_segment_size: 48
    .language:       OpenCL C
    .language_version:
      - 2
      - 0
    .max_flat_workgroup_size: 256
    .name:           _ZN7rocprim17ROCPRIM_400000_NS6detail17trampoline_kernelINS0_13kernel_configILj256ELj4ELj4294967295EEENS1_37radix_sort_block_sort_config_selectorIffEEZNS1_21radix_sort_block_sortIS4_Lb0EN6thrust23THRUST_200600_302600_NS6detail15normal_iteratorINS9_10device_ptrIfEEEESE_SE_SE_NS0_19identity_decomposerEEE10hipError_tT1_T2_T3_T4_jRjT5_jjP12ihipStream_tbEUlT_E_NS1_11comp_targetILNS1_3genE9ELNS1_11target_archE1100ELNS1_3gpuE3ELNS1_3repE0EEENS1_44radix_sort_block_sort_config_static_selectorELNS0_4arch9wavefront6targetE1EEEvSH_
    .private_segment_fixed_size: 0
    .sgpr_count:     6
    .sgpr_spill_count: 0
    .symbol:         _ZN7rocprim17ROCPRIM_400000_NS6detail17trampoline_kernelINS0_13kernel_configILj256ELj4ELj4294967295EEENS1_37radix_sort_block_sort_config_selectorIffEEZNS1_21radix_sort_block_sortIS4_Lb0EN6thrust23THRUST_200600_302600_NS6detail15normal_iteratorINS9_10device_ptrIfEEEESE_SE_SE_NS0_19identity_decomposerEEE10hipError_tT1_T2_T3_T4_jRjT5_jjP12ihipStream_tbEUlT_E_NS1_11comp_targetILNS1_3genE9ELNS1_11target_archE1100ELNS1_3gpuE3ELNS1_3repE0EEENS1_44radix_sort_block_sort_config_static_selectorELNS0_4arch9wavefront6targetE1EEEvSH_.kd
    .uniform_work_group_size: 1
    .uses_dynamic_stack: false
    .vgpr_count:     0
    .vgpr_spill_count: 0
    .wavefront_size: 64
  - .agpr_count:     0
    .args:
      - .offset:         0
        .size:           48
        .value_kind:     by_value
    .group_segment_fixed_size: 0
    .kernarg_segment_align: 8
    .kernarg_segment_size: 48
    .language:       OpenCL C
    .language_version:
      - 2
      - 0
    .max_flat_workgroup_size: 256
    .name:           _ZN7rocprim17ROCPRIM_400000_NS6detail17trampoline_kernelINS0_13kernel_configILj256ELj4ELj4294967295EEENS1_37radix_sort_block_sort_config_selectorIffEEZNS1_21radix_sort_block_sortIS4_Lb0EN6thrust23THRUST_200600_302600_NS6detail15normal_iteratorINS9_10device_ptrIfEEEESE_SE_SE_NS0_19identity_decomposerEEE10hipError_tT1_T2_T3_T4_jRjT5_jjP12ihipStream_tbEUlT_E_NS1_11comp_targetILNS1_3genE8ELNS1_11target_archE1030ELNS1_3gpuE2ELNS1_3repE0EEENS1_44radix_sort_block_sort_config_static_selectorELNS0_4arch9wavefront6targetE1EEEvSH_
    .private_segment_fixed_size: 0
    .sgpr_count:     6
    .sgpr_spill_count: 0
    .symbol:         _ZN7rocprim17ROCPRIM_400000_NS6detail17trampoline_kernelINS0_13kernel_configILj256ELj4ELj4294967295EEENS1_37radix_sort_block_sort_config_selectorIffEEZNS1_21radix_sort_block_sortIS4_Lb0EN6thrust23THRUST_200600_302600_NS6detail15normal_iteratorINS9_10device_ptrIfEEEESE_SE_SE_NS0_19identity_decomposerEEE10hipError_tT1_T2_T3_T4_jRjT5_jjP12ihipStream_tbEUlT_E_NS1_11comp_targetILNS1_3genE8ELNS1_11target_archE1030ELNS1_3gpuE2ELNS1_3repE0EEENS1_44radix_sort_block_sort_config_static_selectorELNS0_4arch9wavefront6targetE1EEEvSH_.kd
    .uniform_work_group_size: 1
    .uses_dynamic_stack: false
    .vgpr_count:     0
    .vgpr_spill_count: 0
    .wavefront_size: 64
  - .agpr_count:     0
    .args:           []
    .group_segment_fixed_size: 0
    .kernarg_segment_align: 4
    .kernarg_segment_size: 0
    .language:       OpenCL C
    .language_version:
      - 2
      - 0
    .max_flat_workgroup_size: 1024
    .name:           _ZN7rocprim17ROCPRIM_400000_NS6detail44device_merge_sort_compile_time_verifier_archINS1_11comp_targetILNS1_3genE0ELNS1_11target_archE4294967295ELNS1_3gpuE0ELNS1_3repE0EEES8_NS1_28merge_sort_block_sort_configILj256ELj4ELNS0_20block_sort_algorithmE0EEENS0_14default_configENS1_37merge_sort_block_sort_config_selectorIffEENS1_38merge_sort_block_merge_config_selectorIffEEEEvv
    .private_segment_fixed_size: 0
    .sgpr_count:     6
    .sgpr_spill_count: 0
    .symbol:         _ZN7rocprim17ROCPRIM_400000_NS6detail44device_merge_sort_compile_time_verifier_archINS1_11comp_targetILNS1_3genE0ELNS1_11target_archE4294967295ELNS1_3gpuE0ELNS1_3repE0EEES8_NS1_28merge_sort_block_sort_configILj256ELj4ELNS0_20block_sort_algorithmE0EEENS0_14default_configENS1_37merge_sort_block_sort_config_selectorIffEENS1_38merge_sort_block_merge_config_selectorIffEEEEvv.kd
    .uniform_work_group_size: 1
    .uses_dynamic_stack: false
    .vgpr_count:     0
    .vgpr_spill_count: 0
    .wavefront_size: 64
  - .agpr_count:     0
    .args:           []
    .group_segment_fixed_size: 0
    .kernarg_segment_align: 4
    .kernarg_segment_size: 0
    .language:       OpenCL C
    .language_version:
      - 2
      - 0
    .max_flat_workgroup_size: 1024
    .name:           _ZN7rocprim17ROCPRIM_400000_NS6detail44device_merge_sort_compile_time_verifier_archINS1_11comp_targetILNS1_3genE5ELNS1_11target_archE942ELNS1_3gpuE9ELNS1_3repE0EEES8_NS1_28merge_sort_block_sort_configILj256ELj4ELNS0_20block_sort_algorithmE0EEENS0_14default_configENS1_37merge_sort_block_sort_config_selectorIffEENS1_38merge_sort_block_merge_config_selectorIffEEEEvv
    .private_segment_fixed_size: 0
    .sgpr_count:     6
    .sgpr_spill_count: 0
    .symbol:         _ZN7rocprim17ROCPRIM_400000_NS6detail44device_merge_sort_compile_time_verifier_archINS1_11comp_targetILNS1_3genE5ELNS1_11target_archE942ELNS1_3gpuE9ELNS1_3repE0EEES8_NS1_28merge_sort_block_sort_configILj256ELj4ELNS0_20block_sort_algorithmE0EEENS0_14default_configENS1_37merge_sort_block_sort_config_selectorIffEENS1_38merge_sort_block_merge_config_selectorIffEEEEvv.kd
    .uniform_work_group_size: 1
    .uses_dynamic_stack: false
    .vgpr_count:     0
    .vgpr_spill_count: 0
    .wavefront_size: 64
  - .agpr_count:     0
    .args:           []
    .group_segment_fixed_size: 0
    .kernarg_segment_align: 4
    .kernarg_segment_size: 0
    .language:       OpenCL C
    .language_version:
      - 2
      - 0
    .max_flat_workgroup_size: 1024
    .name:           _ZN7rocprim17ROCPRIM_400000_NS6detail44device_merge_sort_compile_time_verifier_archINS1_11comp_targetILNS1_3genE4ELNS1_11target_archE910ELNS1_3gpuE8ELNS1_3repE0EEES8_NS1_28merge_sort_block_sort_configILj256ELj4ELNS0_20block_sort_algorithmE0EEENS0_14default_configENS1_37merge_sort_block_sort_config_selectorIffEENS1_38merge_sort_block_merge_config_selectorIffEEEEvv
    .private_segment_fixed_size: 0
    .sgpr_count:     6
    .sgpr_spill_count: 0
    .symbol:         _ZN7rocprim17ROCPRIM_400000_NS6detail44device_merge_sort_compile_time_verifier_archINS1_11comp_targetILNS1_3genE4ELNS1_11target_archE910ELNS1_3gpuE8ELNS1_3repE0EEES8_NS1_28merge_sort_block_sort_configILj256ELj4ELNS0_20block_sort_algorithmE0EEENS0_14default_configENS1_37merge_sort_block_sort_config_selectorIffEENS1_38merge_sort_block_merge_config_selectorIffEEEEvv.kd
    .uniform_work_group_size: 1
    .uses_dynamic_stack: false
    .vgpr_count:     0
    .vgpr_spill_count: 0
    .wavefront_size: 64
  - .agpr_count:     0
    .args:           []
    .group_segment_fixed_size: 0
    .kernarg_segment_align: 4
    .kernarg_segment_size: 0
    .language:       OpenCL C
    .language_version:
      - 2
      - 0
    .max_flat_workgroup_size: 1024
    .name:           _ZN7rocprim17ROCPRIM_400000_NS6detail44device_merge_sort_compile_time_verifier_archINS1_11comp_targetILNS1_3genE3ELNS1_11target_archE908ELNS1_3gpuE7ELNS1_3repE0EEES8_NS1_28merge_sort_block_sort_configILj256ELj4ELNS0_20block_sort_algorithmE0EEENS0_14default_configENS1_37merge_sort_block_sort_config_selectorIffEENS1_38merge_sort_block_merge_config_selectorIffEEEEvv
    .private_segment_fixed_size: 0
    .sgpr_count:     6
    .sgpr_spill_count: 0
    .symbol:         _ZN7rocprim17ROCPRIM_400000_NS6detail44device_merge_sort_compile_time_verifier_archINS1_11comp_targetILNS1_3genE3ELNS1_11target_archE908ELNS1_3gpuE7ELNS1_3repE0EEES8_NS1_28merge_sort_block_sort_configILj256ELj4ELNS0_20block_sort_algorithmE0EEENS0_14default_configENS1_37merge_sort_block_sort_config_selectorIffEENS1_38merge_sort_block_merge_config_selectorIffEEEEvv.kd
    .uniform_work_group_size: 1
    .uses_dynamic_stack: false
    .vgpr_count:     0
    .vgpr_spill_count: 0
    .wavefront_size: 64
  - .agpr_count:     0
    .args:           []
    .group_segment_fixed_size: 0
    .kernarg_segment_align: 4
    .kernarg_segment_size: 0
    .language:       OpenCL C
    .language_version:
      - 2
      - 0
    .max_flat_workgroup_size: 1024
    .name:           _ZN7rocprim17ROCPRIM_400000_NS6detail44device_merge_sort_compile_time_verifier_archINS1_11comp_targetILNS1_3genE2ELNS1_11target_archE906ELNS1_3gpuE6ELNS1_3repE0EEES8_NS1_28merge_sort_block_sort_configILj256ELj4ELNS0_20block_sort_algorithmE0EEENS0_14default_configENS1_37merge_sort_block_sort_config_selectorIffEENS1_38merge_sort_block_merge_config_selectorIffEEEEvv
    .private_segment_fixed_size: 0
    .sgpr_count:     6
    .sgpr_spill_count: 0
    .symbol:         _ZN7rocprim17ROCPRIM_400000_NS6detail44device_merge_sort_compile_time_verifier_archINS1_11comp_targetILNS1_3genE2ELNS1_11target_archE906ELNS1_3gpuE6ELNS1_3repE0EEES8_NS1_28merge_sort_block_sort_configILj256ELj4ELNS0_20block_sort_algorithmE0EEENS0_14default_configENS1_37merge_sort_block_sort_config_selectorIffEENS1_38merge_sort_block_merge_config_selectorIffEEEEvv.kd
    .uniform_work_group_size: 1
    .uses_dynamic_stack: false
    .vgpr_count:     0
    .vgpr_spill_count: 0
    .wavefront_size: 64
  - .agpr_count:     0
    .args:           []
    .group_segment_fixed_size: 0
    .kernarg_segment_align: 4
    .kernarg_segment_size: 0
    .language:       OpenCL C
    .language_version:
      - 2
      - 0
    .max_flat_workgroup_size: 1024
    .name:           _ZN7rocprim17ROCPRIM_400000_NS6detail44device_merge_sort_compile_time_verifier_archINS1_11comp_targetILNS1_3genE10ELNS1_11target_archE1201ELNS1_3gpuE5ELNS1_3repE0EEES8_NS1_28merge_sort_block_sort_configILj256ELj4ELNS0_20block_sort_algorithmE0EEENS0_14default_configENS1_37merge_sort_block_sort_config_selectorIffEENS1_38merge_sort_block_merge_config_selectorIffEEEEvv
    .private_segment_fixed_size: 0
    .sgpr_count:     6
    .sgpr_spill_count: 0
    .symbol:         _ZN7rocprim17ROCPRIM_400000_NS6detail44device_merge_sort_compile_time_verifier_archINS1_11comp_targetILNS1_3genE10ELNS1_11target_archE1201ELNS1_3gpuE5ELNS1_3repE0EEES8_NS1_28merge_sort_block_sort_configILj256ELj4ELNS0_20block_sort_algorithmE0EEENS0_14default_configENS1_37merge_sort_block_sort_config_selectorIffEENS1_38merge_sort_block_merge_config_selectorIffEEEEvv.kd
    .uniform_work_group_size: 1
    .uses_dynamic_stack: false
    .vgpr_count:     0
    .vgpr_spill_count: 0
    .wavefront_size: 64
  - .agpr_count:     0
    .args:           []
    .group_segment_fixed_size: 0
    .kernarg_segment_align: 4
    .kernarg_segment_size: 0
    .language:       OpenCL C
    .language_version:
      - 2
      - 0
    .max_flat_workgroup_size: 1024
    .name:           _ZN7rocprim17ROCPRIM_400000_NS6detail44device_merge_sort_compile_time_verifier_archINS1_11comp_targetILNS1_3genE10ELNS1_11target_archE1200ELNS1_3gpuE4ELNS1_3repE0EEENS3_ILS4_10ELS5_1201ELS6_5ELS7_0EEENS1_28merge_sort_block_sort_configILj256ELj4ELNS0_20block_sort_algorithmE0EEENS0_14default_configENS1_37merge_sort_block_sort_config_selectorIffEENS1_38merge_sort_block_merge_config_selectorIffEEEEvv
    .private_segment_fixed_size: 0
    .sgpr_count:     6
    .sgpr_spill_count: 0
    .symbol:         _ZN7rocprim17ROCPRIM_400000_NS6detail44device_merge_sort_compile_time_verifier_archINS1_11comp_targetILNS1_3genE10ELNS1_11target_archE1200ELNS1_3gpuE4ELNS1_3repE0EEENS3_ILS4_10ELS5_1201ELS6_5ELS7_0EEENS1_28merge_sort_block_sort_configILj256ELj4ELNS0_20block_sort_algorithmE0EEENS0_14default_configENS1_37merge_sort_block_sort_config_selectorIffEENS1_38merge_sort_block_merge_config_selectorIffEEEEvv.kd
    .uniform_work_group_size: 1
    .uses_dynamic_stack: false
    .vgpr_count:     0
    .vgpr_spill_count: 0
    .wavefront_size: 64
  - .agpr_count:     0
    .args:           []
    .group_segment_fixed_size: 0
    .kernarg_segment_align: 4
    .kernarg_segment_size: 0
    .language:       OpenCL C
    .language_version:
      - 2
      - 0
    .max_flat_workgroup_size: 1024
    .name:           _ZN7rocprim17ROCPRIM_400000_NS6detail44device_merge_sort_compile_time_verifier_archINS1_11comp_targetILNS1_3genE9ELNS1_11target_archE1100ELNS1_3gpuE3ELNS1_3repE0EEES8_NS1_28merge_sort_block_sort_configILj256ELj4ELNS0_20block_sort_algorithmE0EEENS0_14default_configENS1_37merge_sort_block_sort_config_selectorIffEENS1_38merge_sort_block_merge_config_selectorIffEEEEvv
    .private_segment_fixed_size: 0
    .sgpr_count:     6
    .sgpr_spill_count: 0
    .symbol:         _ZN7rocprim17ROCPRIM_400000_NS6detail44device_merge_sort_compile_time_verifier_archINS1_11comp_targetILNS1_3genE9ELNS1_11target_archE1100ELNS1_3gpuE3ELNS1_3repE0EEES8_NS1_28merge_sort_block_sort_configILj256ELj4ELNS0_20block_sort_algorithmE0EEENS0_14default_configENS1_37merge_sort_block_sort_config_selectorIffEENS1_38merge_sort_block_merge_config_selectorIffEEEEvv.kd
    .uniform_work_group_size: 1
    .uses_dynamic_stack: false
    .vgpr_count:     0
    .vgpr_spill_count: 0
    .wavefront_size: 64
  - .agpr_count:     0
    .args:           []
    .group_segment_fixed_size: 0
    .kernarg_segment_align: 4
    .kernarg_segment_size: 0
    .language:       OpenCL C
    .language_version:
      - 2
      - 0
    .max_flat_workgroup_size: 1024
    .name:           _ZN7rocprim17ROCPRIM_400000_NS6detail44device_merge_sort_compile_time_verifier_archINS1_11comp_targetILNS1_3genE8ELNS1_11target_archE1030ELNS1_3gpuE2ELNS1_3repE0EEES8_NS1_28merge_sort_block_sort_configILj256ELj4ELNS0_20block_sort_algorithmE0EEENS0_14default_configENS1_37merge_sort_block_sort_config_selectorIffEENS1_38merge_sort_block_merge_config_selectorIffEEEEvv
    .private_segment_fixed_size: 0
    .sgpr_count:     6
    .sgpr_spill_count: 0
    .symbol:         _ZN7rocprim17ROCPRIM_400000_NS6detail44device_merge_sort_compile_time_verifier_archINS1_11comp_targetILNS1_3genE8ELNS1_11target_archE1030ELNS1_3gpuE2ELNS1_3repE0EEES8_NS1_28merge_sort_block_sort_configILj256ELj4ELNS0_20block_sort_algorithmE0EEENS0_14default_configENS1_37merge_sort_block_sort_config_selectorIffEENS1_38merge_sort_block_merge_config_selectorIffEEEEvv.kd
    .uniform_work_group_size: 1
    .uses_dynamic_stack: false
    .vgpr_count:     0
    .vgpr_spill_count: 0
    .wavefront_size: 64
  - .agpr_count:     0
    .args:
      - .offset:         0
        .size:           40
        .value_kind:     by_value
    .group_segment_fixed_size: 0
    .kernarg_segment_align: 8
    .kernarg_segment_size: 40
    .language:       OpenCL C
    .language_version:
      - 2
      - 0
    .max_flat_workgroup_size: 128
    .name:           _ZN7rocprim17ROCPRIM_400000_NS6detail17trampoline_kernelINS0_14default_configENS1_38merge_sort_block_merge_config_selectorIffEEZZNS1_27merge_sort_block_merge_implIS3_N6thrust23THRUST_200600_302600_NS6detail15normal_iteratorINS8_10device_ptrIfEEEESD_jNS1_19radix_merge_compareILb0ELb0EfNS0_19identity_decomposerEEEEE10hipError_tT0_T1_T2_jT3_P12ihipStream_tbPNSt15iterator_traitsISI_E10value_typeEPNSO_ISJ_E10value_typeEPSK_NS1_7vsmem_tEENKUlT_SI_SJ_SK_E_clIPfSD_S10_SD_EESH_SX_SI_SJ_SK_EUlSX_E_NS1_11comp_targetILNS1_3genE0ELNS1_11target_archE4294967295ELNS1_3gpuE0ELNS1_3repE0EEENS1_48merge_mergepath_partition_config_static_selectorELNS0_4arch9wavefront6targetE1EEEvSJ_
    .private_segment_fixed_size: 0
    .sgpr_count:     14
    .sgpr_spill_count: 0
    .symbol:         _ZN7rocprim17ROCPRIM_400000_NS6detail17trampoline_kernelINS0_14default_configENS1_38merge_sort_block_merge_config_selectorIffEEZZNS1_27merge_sort_block_merge_implIS3_N6thrust23THRUST_200600_302600_NS6detail15normal_iteratorINS8_10device_ptrIfEEEESD_jNS1_19radix_merge_compareILb0ELb0EfNS0_19identity_decomposerEEEEE10hipError_tT0_T1_T2_jT3_P12ihipStream_tbPNSt15iterator_traitsISI_E10value_typeEPNSO_ISJ_E10value_typeEPSK_NS1_7vsmem_tEENKUlT_SI_SJ_SK_E_clIPfSD_S10_SD_EESH_SX_SI_SJ_SK_EUlSX_E_NS1_11comp_targetILNS1_3genE0ELNS1_11target_archE4294967295ELNS1_3gpuE0ELNS1_3repE0EEENS1_48merge_mergepath_partition_config_static_selectorELNS0_4arch9wavefront6targetE1EEEvSJ_.kd
    .uniform_work_group_size: 1
    .uses_dynamic_stack: false
    .vgpr_count:     18
    .vgpr_spill_count: 0
    .wavefront_size: 64
  - .agpr_count:     0
    .args:
      - .offset:         0
        .size:           40
        .value_kind:     by_value
    .group_segment_fixed_size: 0
    .kernarg_segment_align: 8
    .kernarg_segment_size: 40
    .language:       OpenCL C
    .language_version:
      - 2
      - 0
    .max_flat_workgroup_size: 128
    .name:           _ZN7rocprim17ROCPRIM_400000_NS6detail17trampoline_kernelINS0_14default_configENS1_38merge_sort_block_merge_config_selectorIffEEZZNS1_27merge_sort_block_merge_implIS3_N6thrust23THRUST_200600_302600_NS6detail15normal_iteratorINS8_10device_ptrIfEEEESD_jNS1_19radix_merge_compareILb0ELb0EfNS0_19identity_decomposerEEEEE10hipError_tT0_T1_T2_jT3_P12ihipStream_tbPNSt15iterator_traitsISI_E10value_typeEPNSO_ISJ_E10value_typeEPSK_NS1_7vsmem_tEENKUlT_SI_SJ_SK_E_clIPfSD_S10_SD_EESH_SX_SI_SJ_SK_EUlSX_E_NS1_11comp_targetILNS1_3genE10ELNS1_11target_archE1201ELNS1_3gpuE5ELNS1_3repE0EEENS1_48merge_mergepath_partition_config_static_selectorELNS0_4arch9wavefront6targetE1EEEvSJ_
    .private_segment_fixed_size: 0
    .sgpr_count:     6
    .sgpr_spill_count: 0
    .symbol:         _ZN7rocprim17ROCPRIM_400000_NS6detail17trampoline_kernelINS0_14default_configENS1_38merge_sort_block_merge_config_selectorIffEEZZNS1_27merge_sort_block_merge_implIS3_N6thrust23THRUST_200600_302600_NS6detail15normal_iteratorINS8_10device_ptrIfEEEESD_jNS1_19radix_merge_compareILb0ELb0EfNS0_19identity_decomposerEEEEE10hipError_tT0_T1_T2_jT3_P12ihipStream_tbPNSt15iterator_traitsISI_E10value_typeEPNSO_ISJ_E10value_typeEPSK_NS1_7vsmem_tEENKUlT_SI_SJ_SK_E_clIPfSD_S10_SD_EESH_SX_SI_SJ_SK_EUlSX_E_NS1_11comp_targetILNS1_3genE10ELNS1_11target_archE1201ELNS1_3gpuE5ELNS1_3repE0EEENS1_48merge_mergepath_partition_config_static_selectorELNS0_4arch9wavefront6targetE1EEEvSJ_.kd
    .uniform_work_group_size: 1
    .uses_dynamic_stack: false
    .vgpr_count:     0
    .vgpr_spill_count: 0
    .wavefront_size: 64
  - .agpr_count:     0
    .args:
      - .offset:         0
        .size:           40
        .value_kind:     by_value
    .group_segment_fixed_size: 0
    .kernarg_segment_align: 8
    .kernarg_segment_size: 40
    .language:       OpenCL C
    .language_version:
      - 2
      - 0
    .max_flat_workgroup_size: 128
    .name:           _ZN7rocprim17ROCPRIM_400000_NS6detail17trampoline_kernelINS0_14default_configENS1_38merge_sort_block_merge_config_selectorIffEEZZNS1_27merge_sort_block_merge_implIS3_N6thrust23THRUST_200600_302600_NS6detail15normal_iteratorINS8_10device_ptrIfEEEESD_jNS1_19radix_merge_compareILb0ELb0EfNS0_19identity_decomposerEEEEE10hipError_tT0_T1_T2_jT3_P12ihipStream_tbPNSt15iterator_traitsISI_E10value_typeEPNSO_ISJ_E10value_typeEPSK_NS1_7vsmem_tEENKUlT_SI_SJ_SK_E_clIPfSD_S10_SD_EESH_SX_SI_SJ_SK_EUlSX_E_NS1_11comp_targetILNS1_3genE5ELNS1_11target_archE942ELNS1_3gpuE9ELNS1_3repE0EEENS1_48merge_mergepath_partition_config_static_selectorELNS0_4arch9wavefront6targetE1EEEvSJ_
    .private_segment_fixed_size: 0
    .sgpr_count:     6
    .sgpr_spill_count: 0
    .symbol:         _ZN7rocprim17ROCPRIM_400000_NS6detail17trampoline_kernelINS0_14default_configENS1_38merge_sort_block_merge_config_selectorIffEEZZNS1_27merge_sort_block_merge_implIS3_N6thrust23THRUST_200600_302600_NS6detail15normal_iteratorINS8_10device_ptrIfEEEESD_jNS1_19radix_merge_compareILb0ELb0EfNS0_19identity_decomposerEEEEE10hipError_tT0_T1_T2_jT3_P12ihipStream_tbPNSt15iterator_traitsISI_E10value_typeEPNSO_ISJ_E10value_typeEPSK_NS1_7vsmem_tEENKUlT_SI_SJ_SK_E_clIPfSD_S10_SD_EESH_SX_SI_SJ_SK_EUlSX_E_NS1_11comp_targetILNS1_3genE5ELNS1_11target_archE942ELNS1_3gpuE9ELNS1_3repE0EEENS1_48merge_mergepath_partition_config_static_selectorELNS0_4arch9wavefront6targetE1EEEvSJ_.kd
    .uniform_work_group_size: 1
    .uses_dynamic_stack: false
    .vgpr_count:     0
    .vgpr_spill_count: 0
    .wavefront_size: 64
  - .agpr_count:     0
    .args:
      - .offset:         0
        .size:           40
        .value_kind:     by_value
    .group_segment_fixed_size: 0
    .kernarg_segment_align: 8
    .kernarg_segment_size: 40
    .language:       OpenCL C
    .language_version:
      - 2
      - 0
    .max_flat_workgroup_size: 128
    .name:           _ZN7rocprim17ROCPRIM_400000_NS6detail17trampoline_kernelINS0_14default_configENS1_38merge_sort_block_merge_config_selectorIffEEZZNS1_27merge_sort_block_merge_implIS3_N6thrust23THRUST_200600_302600_NS6detail15normal_iteratorINS8_10device_ptrIfEEEESD_jNS1_19radix_merge_compareILb0ELb0EfNS0_19identity_decomposerEEEEE10hipError_tT0_T1_T2_jT3_P12ihipStream_tbPNSt15iterator_traitsISI_E10value_typeEPNSO_ISJ_E10value_typeEPSK_NS1_7vsmem_tEENKUlT_SI_SJ_SK_E_clIPfSD_S10_SD_EESH_SX_SI_SJ_SK_EUlSX_E_NS1_11comp_targetILNS1_3genE4ELNS1_11target_archE910ELNS1_3gpuE8ELNS1_3repE0EEENS1_48merge_mergepath_partition_config_static_selectorELNS0_4arch9wavefront6targetE1EEEvSJ_
    .private_segment_fixed_size: 0
    .sgpr_count:     6
    .sgpr_spill_count: 0
    .symbol:         _ZN7rocprim17ROCPRIM_400000_NS6detail17trampoline_kernelINS0_14default_configENS1_38merge_sort_block_merge_config_selectorIffEEZZNS1_27merge_sort_block_merge_implIS3_N6thrust23THRUST_200600_302600_NS6detail15normal_iteratorINS8_10device_ptrIfEEEESD_jNS1_19radix_merge_compareILb0ELb0EfNS0_19identity_decomposerEEEEE10hipError_tT0_T1_T2_jT3_P12ihipStream_tbPNSt15iterator_traitsISI_E10value_typeEPNSO_ISJ_E10value_typeEPSK_NS1_7vsmem_tEENKUlT_SI_SJ_SK_E_clIPfSD_S10_SD_EESH_SX_SI_SJ_SK_EUlSX_E_NS1_11comp_targetILNS1_3genE4ELNS1_11target_archE910ELNS1_3gpuE8ELNS1_3repE0EEENS1_48merge_mergepath_partition_config_static_selectorELNS0_4arch9wavefront6targetE1EEEvSJ_.kd
    .uniform_work_group_size: 1
    .uses_dynamic_stack: false
    .vgpr_count:     0
    .vgpr_spill_count: 0
    .wavefront_size: 64
  - .agpr_count:     0
    .args:
      - .offset:         0
        .size:           40
        .value_kind:     by_value
    .group_segment_fixed_size: 0
    .kernarg_segment_align: 8
    .kernarg_segment_size: 40
    .language:       OpenCL C
    .language_version:
      - 2
      - 0
    .max_flat_workgroup_size: 128
    .name:           _ZN7rocprim17ROCPRIM_400000_NS6detail17trampoline_kernelINS0_14default_configENS1_38merge_sort_block_merge_config_selectorIffEEZZNS1_27merge_sort_block_merge_implIS3_N6thrust23THRUST_200600_302600_NS6detail15normal_iteratorINS8_10device_ptrIfEEEESD_jNS1_19radix_merge_compareILb0ELb0EfNS0_19identity_decomposerEEEEE10hipError_tT0_T1_T2_jT3_P12ihipStream_tbPNSt15iterator_traitsISI_E10value_typeEPNSO_ISJ_E10value_typeEPSK_NS1_7vsmem_tEENKUlT_SI_SJ_SK_E_clIPfSD_S10_SD_EESH_SX_SI_SJ_SK_EUlSX_E_NS1_11comp_targetILNS1_3genE3ELNS1_11target_archE908ELNS1_3gpuE7ELNS1_3repE0EEENS1_48merge_mergepath_partition_config_static_selectorELNS0_4arch9wavefront6targetE1EEEvSJ_
    .private_segment_fixed_size: 0
    .sgpr_count:     6
    .sgpr_spill_count: 0
    .symbol:         _ZN7rocprim17ROCPRIM_400000_NS6detail17trampoline_kernelINS0_14default_configENS1_38merge_sort_block_merge_config_selectorIffEEZZNS1_27merge_sort_block_merge_implIS3_N6thrust23THRUST_200600_302600_NS6detail15normal_iteratorINS8_10device_ptrIfEEEESD_jNS1_19radix_merge_compareILb0ELb0EfNS0_19identity_decomposerEEEEE10hipError_tT0_T1_T2_jT3_P12ihipStream_tbPNSt15iterator_traitsISI_E10value_typeEPNSO_ISJ_E10value_typeEPSK_NS1_7vsmem_tEENKUlT_SI_SJ_SK_E_clIPfSD_S10_SD_EESH_SX_SI_SJ_SK_EUlSX_E_NS1_11comp_targetILNS1_3genE3ELNS1_11target_archE908ELNS1_3gpuE7ELNS1_3repE0EEENS1_48merge_mergepath_partition_config_static_selectorELNS0_4arch9wavefront6targetE1EEEvSJ_.kd
    .uniform_work_group_size: 1
    .uses_dynamic_stack: false
    .vgpr_count:     0
    .vgpr_spill_count: 0
    .wavefront_size: 64
  - .agpr_count:     0
    .args:
      - .offset:         0
        .size:           40
        .value_kind:     by_value
    .group_segment_fixed_size: 0
    .kernarg_segment_align: 8
    .kernarg_segment_size: 40
    .language:       OpenCL C
    .language_version:
      - 2
      - 0
    .max_flat_workgroup_size: 128
    .name:           _ZN7rocprim17ROCPRIM_400000_NS6detail17trampoline_kernelINS0_14default_configENS1_38merge_sort_block_merge_config_selectorIffEEZZNS1_27merge_sort_block_merge_implIS3_N6thrust23THRUST_200600_302600_NS6detail15normal_iteratorINS8_10device_ptrIfEEEESD_jNS1_19radix_merge_compareILb0ELb0EfNS0_19identity_decomposerEEEEE10hipError_tT0_T1_T2_jT3_P12ihipStream_tbPNSt15iterator_traitsISI_E10value_typeEPNSO_ISJ_E10value_typeEPSK_NS1_7vsmem_tEENKUlT_SI_SJ_SK_E_clIPfSD_S10_SD_EESH_SX_SI_SJ_SK_EUlSX_E_NS1_11comp_targetILNS1_3genE2ELNS1_11target_archE906ELNS1_3gpuE6ELNS1_3repE0EEENS1_48merge_mergepath_partition_config_static_selectorELNS0_4arch9wavefront6targetE1EEEvSJ_
    .private_segment_fixed_size: 0
    .sgpr_count:     6
    .sgpr_spill_count: 0
    .symbol:         _ZN7rocprim17ROCPRIM_400000_NS6detail17trampoline_kernelINS0_14default_configENS1_38merge_sort_block_merge_config_selectorIffEEZZNS1_27merge_sort_block_merge_implIS3_N6thrust23THRUST_200600_302600_NS6detail15normal_iteratorINS8_10device_ptrIfEEEESD_jNS1_19radix_merge_compareILb0ELb0EfNS0_19identity_decomposerEEEEE10hipError_tT0_T1_T2_jT3_P12ihipStream_tbPNSt15iterator_traitsISI_E10value_typeEPNSO_ISJ_E10value_typeEPSK_NS1_7vsmem_tEENKUlT_SI_SJ_SK_E_clIPfSD_S10_SD_EESH_SX_SI_SJ_SK_EUlSX_E_NS1_11comp_targetILNS1_3genE2ELNS1_11target_archE906ELNS1_3gpuE6ELNS1_3repE0EEENS1_48merge_mergepath_partition_config_static_selectorELNS0_4arch9wavefront6targetE1EEEvSJ_.kd
    .uniform_work_group_size: 1
    .uses_dynamic_stack: false
    .vgpr_count:     0
    .vgpr_spill_count: 0
    .wavefront_size: 64
  - .agpr_count:     0
    .args:
      - .offset:         0
        .size:           40
        .value_kind:     by_value
    .group_segment_fixed_size: 0
    .kernarg_segment_align: 8
    .kernarg_segment_size: 40
    .language:       OpenCL C
    .language_version:
      - 2
      - 0
    .max_flat_workgroup_size: 128
    .name:           _ZN7rocprim17ROCPRIM_400000_NS6detail17trampoline_kernelINS0_14default_configENS1_38merge_sort_block_merge_config_selectorIffEEZZNS1_27merge_sort_block_merge_implIS3_N6thrust23THRUST_200600_302600_NS6detail15normal_iteratorINS8_10device_ptrIfEEEESD_jNS1_19radix_merge_compareILb0ELb0EfNS0_19identity_decomposerEEEEE10hipError_tT0_T1_T2_jT3_P12ihipStream_tbPNSt15iterator_traitsISI_E10value_typeEPNSO_ISJ_E10value_typeEPSK_NS1_7vsmem_tEENKUlT_SI_SJ_SK_E_clIPfSD_S10_SD_EESH_SX_SI_SJ_SK_EUlSX_E_NS1_11comp_targetILNS1_3genE9ELNS1_11target_archE1100ELNS1_3gpuE3ELNS1_3repE0EEENS1_48merge_mergepath_partition_config_static_selectorELNS0_4arch9wavefront6targetE1EEEvSJ_
    .private_segment_fixed_size: 0
    .sgpr_count:     6
    .sgpr_spill_count: 0
    .symbol:         _ZN7rocprim17ROCPRIM_400000_NS6detail17trampoline_kernelINS0_14default_configENS1_38merge_sort_block_merge_config_selectorIffEEZZNS1_27merge_sort_block_merge_implIS3_N6thrust23THRUST_200600_302600_NS6detail15normal_iteratorINS8_10device_ptrIfEEEESD_jNS1_19radix_merge_compareILb0ELb0EfNS0_19identity_decomposerEEEEE10hipError_tT0_T1_T2_jT3_P12ihipStream_tbPNSt15iterator_traitsISI_E10value_typeEPNSO_ISJ_E10value_typeEPSK_NS1_7vsmem_tEENKUlT_SI_SJ_SK_E_clIPfSD_S10_SD_EESH_SX_SI_SJ_SK_EUlSX_E_NS1_11comp_targetILNS1_3genE9ELNS1_11target_archE1100ELNS1_3gpuE3ELNS1_3repE0EEENS1_48merge_mergepath_partition_config_static_selectorELNS0_4arch9wavefront6targetE1EEEvSJ_.kd
    .uniform_work_group_size: 1
    .uses_dynamic_stack: false
    .vgpr_count:     0
    .vgpr_spill_count: 0
    .wavefront_size: 64
  - .agpr_count:     0
    .args:
      - .offset:         0
        .size:           40
        .value_kind:     by_value
    .group_segment_fixed_size: 0
    .kernarg_segment_align: 8
    .kernarg_segment_size: 40
    .language:       OpenCL C
    .language_version:
      - 2
      - 0
    .max_flat_workgroup_size: 128
    .name:           _ZN7rocprim17ROCPRIM_400000_NS6detail17trampoline_kernelINS0_14default_configENS1_38merge_sort_block_merge_config_selectorIffEEZZNS1_27merge_sort_block_merge_implIS3_N6thrust23THRUST_200600_302600_NS6detail15normal_iteratorINS8_10device_ptrIfEEEESD_jNS1_19radix_merge_compareILb0ELb0EfNS0_19identity_decomposerEEEEE10hipError_tT0_T1_T2_jT3_P12ihipStream_tbPNSt15iterator_traitsISI_E10value_typeEPNSO_ISJ_E10value_typeEPSK_NS1_7vsmem_tEENKUlT_SI_SJ_SK_E_clIPfSD_S10_SD_EESH_SX_SI_SJ_SK_EUlSX_E_NS1_11comp_targetILNS1_3genE8ELNS1_11target_archE1030ELNS1_3gpuE2ELNS1_3repE0EEENS1_48merge_mergepath_partition_config_static_selectorELNS0_4arch9wavefront6targetE1EEEvSJ_
    .private_segment_fixed_size: 0
    .sgpr_count:     6
    .sgpr_spill_count: 0
    .symbol:         _ZN7rocprim17ROCPRIM_400000_NS6detail17trampoline_kernelINS0_14default_configENS1_38merge_sort_block_merge_config_selectorIffEEZZNS1_27merge_sort_block_merge_implIS3_N6thrust23THRUST_200600_302600_NS6detail15normal_iteratorINS8_10device_ptrIfEEEESD_jNS1_19radix_merge_compareILb0ELb0EfNS0_19identity_decomposerEEEEE10hipError_tT0_T1_T2_jT3_P12ihipStream_tbPNSt15iterator_traitsISI_E10value_typeEPNSO_ISJ_E10value_typeEPSK_NS1_7vsmem_tEENKUlT_SI_SJ_SK_E_clIPfSD_S10_SD_EESH_SX_SI_SJ_SK_EUlSX_E_NS1_11comp_targetILNS1_3genE8ELNS1_11target_archE1030ELNS1_3gpuE2ELNS1_3repE0EEENS1_48merge_mergepath_partition_config_static_selectorELNS0_4arch9wavefront6targetE1EEEvSJ_.kd
    .uniform_work_group_size: 1
    .uses_dynamic_stack: false
    .vgpr_count:     0
    .vgpr_spill_count: 0
    .wavefront_size: 64
  - .agpr_count:     0
    .args:
      - .offset:         0
        .size:           64
        .value_kind:     by_value
      - .offset:         64
        .size:           4
        .value_kind:     hidden_block_count_x
      - .offset:         68
        .size:           4
        .value_kind:     hidden_block_count_y
      - .offset:         72
        .size:           4
        .value_kind:     hidden_block_count_z
      - .offset:         76
        .size:           2
        .value_kind:     hidden_group_size_x
      - .offset:         78
        .size:           2
        .value_kind:     hidden_group_size_y
      - .offset:         80
        .size:           2
        .value_kind:     hidden_group_size_z
      - .offset:         82
        .size:           2
        .value_kind:     hidden_remainder_x
      - .offset:         84
        .size:           2
        .value_kind:     hidden_remainder_y
      - .offset:         86
        .size:           2
        .value_kind:     hidden_remainder_z
      - .offset:         104
        .size:           8
        .value_kind:     hidden_global_offset_x
      - .offset:         112
        .size:           8
        .value_kind:     hidden_global_offset_y
      - .offset:         120
        .size:           8
        .value_kind:     hidden_global_offset_z
      - .offset:         128
        .size:           2
        .value_kind:     hidden_grid_dims
    .group_segment_fixed_size: 4224
    .kernarg_segment_align: 8
    .kernarg_segment_size: 320
    .language:       OpenCL C
    .language_version:
      - 2
      - 0
    .max_flat_workgroup_size: 128
    .name:           _ZN7rocprim17ROCPRIM_400000_NS6detail17trampoline_kernelINS0_14default_configENS1_38merge_sort_block_merge_config_selectorIffEEZZNS1_27merge_sort_block_merge_implIS3_N6thrust23THRUST_200600_302600_NS6detail15normal_iteratorINS8_10device_ptrIfEEEESD_jNS1_19radix_merge_compareILb0ELb0EfNS0_19identity_decomposerEEEEE10hipError_tT0_T1_T2_jT3_P12ihipStream_tbPNSt15iterator_traitsISI_E10value_typeEPNSO_ISJ_E10value_typeEPSK_NS1_7vsmem_tEENKUlT_SI_SJ_SK_E_clIPfSD_S10_SD_EESH_SX_SI_SJ_SK_EUlSX_E0_NS1_11comp_targetILNS1_3genE0ELNS1_11target_archE4294967295ELNS1_3gpuE0ELNS1_3repE0EEENS1_38merge_mergepath_config_static_selectorELNS0_4arch9wavefront6targetE1EEEvSJ_
    .private_segment_fixed_size: 0
    .sgpr_count:     38
    .sgpr_spill_count: 0
    .symbol:         _ZN7rocprim17ROCPRIM_400000_NS6detail17trampoline_kernelINS0_14default_configENS1_38merge_sort_block_merge_config_selectorIffEEZZNS1_27merge_sort_block_merge_implIS3_N6thrust23THRUST_200600_302600_NS6detail15normal_iteratorINS8_10device_ptrIfEEEESD_jNS1_19radix_merge_compareILb0ELb0EfNS0_19identity_decomposerEEEEE10hipError_tT0_T1_T2_jT3_P12ihipStream_tbPNSt15iterator_traitsISI_E10value_typeEPNSO_ISJ_E10value_typeEPSK_NS1_7vsmem_tEENKUlT_SI_SJ_SK_E_clIPfSD_S10_SD_EESH_SX_SI_SJ_SK_EUlSX_E0_NS1_11comp_targetILNS1_3genE0ELNS1_11target_archE4294967295ELNS1_3gpuE0ELNS1_3repE0EEENS1_38merge_mergepath_config_static_selectorELNS0_4arch9wavefront6targetE1EEEvSJ_.kd
    .uniform_work_group_size: 1
    .uses_dynamic_stack: false
    .vgpr_count:     39
    .vgpr_spill_count: 0
    .wavefront_size: 64
  - .agpr_count:     0
    .args:
      - .offset:         0
        .size:           64
        .value_kind:     by_value
    .group_segment_fixed_size: 0
    .kernarg_segment_align: 8
    .kernarg_segment_size: 64
    .language:       OpenCL C
    .language_version:
      - 2
      - 0
    .max_flat_workgroup_size: 256
    .name:           _ZN7rocprim17ROCPRIM_400000_NS6detail17trampoline_kernelINS0_14default_configENS1_38merge_sort_block_merge_config_selectorIffEEZZNS1_27merge_sort_block_merge_implIS3_N6thrust23THRUST_200600_302600_NS6detail15normal_iteratorINS8_10device_ptrIfEEEESD_jNS1_19radix_merge_compareILb0ELb0EfNS0_19identity_decomposerEEEEE10hipError_tT0_T1_T2_jT3_P12ihipStream_tbPNSt15iterator_traitsISI_E10value_typeEPNSO_ISJ_E10value_typeEPSK_NS1_7vsmem_tEENKUlT_SI_SJ_SK_E_clIPfSD_S10_SD_EESH_SX_SI_SJ_SK_EUlSX_E0_NS1_11comp_targetILNS1_3genE10ELNS1_11target_archE1201ELNS1_3gpuE5ELNS1_3repE0EEENS1_38merge_mergepath_config_static_selectorELNS0_4arch9wavefront6targetE1EEEvSJ_
    .private_segment_fixed_size: 0
    .sgpr_count:     6
    .sgpr_spill_count: 0
    .symbol:         _ZN7rocprim17ROCPRIM_400000_NS6detail17trampoline_kernelINS0_14default_configENS1_38merge_sort_block_merge_config_selectorIffEEZZNS1_27merge_sort_block_merge_implIS3_N6thrust23THRUST_200600_302600_NS6detail15normal_iteratorINS8_10device_ptrIfEEEESD_jNS1_19radix_merge_compareILb0ELb0EfNS0_19identity_decomposerEEEEE10hipError_tT0_T1_T2_jT3_P12ihipStream_tbPNSt15iterator_traitsISI_E10value_typeEPNSO_ISJ_E10value_typeEPSK_NS1_7vsmem_tEENKUlT_SI_SJ_SK_E_clIPfSD_S10_SD_EESH_SX_SI_SJ_SK_EUlSX_E0_NS1_11comp_targetILNS1_3genE10ELNS1_11target_archE1201ELNS1_3gpuE5ELNS1_3repE0EEENS1_38merge_mergepath_config_static_selectorELNS0_4arch9wavefront6targetE1EEEvSJ_.kd
    .uniform_work_group_size: 1
    .uses_dynamic_stack: false
    .vgpr_count:     0
    .vgpr_spill_count: 0
    .wavefront_size: 64
  - .agpr_count:     0
    .args:
      - .offset:         0
        .size:           64
        .value_kind:     by_value
    .group_segment_fixed_size: 0
    .kernarg_segment_align: 8
    .kernarg_segment_size: 64
    .language:       OpenCL C
    .language_version:
      - 2
      - 0
    .max_flat_workgroup_size: 128
    .name:           _ZN7rocprim17ROCPRIM_400000_NS6detail17trampoline_kernelINS0_14default_configENS1_38merge_sort_block_merge_config_selectorIffEEZZNS1_27merge_sort_block_merge_implIS3_N6thrust23THRUST_200600_302600_NS6detail15normal_iteratorINS8_10device_ptrIfEEEESD_jNS1_19radix_merge_compareILb0ELb0EfNS0_19identity_decomposerEEEEE10hipError_tT0_T1_T2_jT3_P12ihipStream_tbPNSt15iterator_traitsISI_E10value_typeEPNSO_ISJ_E10value_typeEPSK_NS1_7vsmem_tEENKUlT_SI_SJ_SK_E_clIPfSD_S10_SD_EESH_SX_SI_SJ_SK_EUlSX_E0_NS1_11comp_targetILNS1_3genE5ELNS1_11target_archE942ELNS1_3gpuE9ELNS1_3repE0EEENS1_38merge_mergepath_config_static_selectorELNS0_4arch9wavefront6targetE1EEEvSJ_
    .private_segment_fixed_size: 0
    .sgpr_count:     6
    .sgpr_spill_count: 0
    .symbol:         _ZN7rocprim17ROCPRIM_400000_NS6detail17trampoline_kernelINS0_14default_configENS1_38merge_sort_block_merge_config_selectorIffEEZZNS1_27merge_sort_block_merge_implIS3_N6thrust23THRUST_200600_302600_NS6detail15normal_iteratorINS8_10device_ptrIfEEEESD_jNS1_19radix_merge_compareILb0ELb0EfNS0_19identity_decomposerEEEEE10hipError_tT0_T1_T2_jT3_P12ihipStream_tbPNSt15iterator_traitsISI_E10value_typeEPNSO_ISJ_E10value_typeEPSK_NS1_7vsmem_tEENKUlT_SI_SJ_SK_E_clIPfSD_S10_SD_EESH_SX_SI_SJ_SK_EUlSX_E0_NS1_11comp_targetILNS1_3genE5ELNS1_11target_archE942ELNS1_3gpuE9ELNS1_3repE0EEENS1_38merge_mergepath_config_static_selectorELNS0_4arch9wavefront6targetE1EEEvSJ_.kd
    .uniform_work_group_size: 1
    .uses_dynamic_stack: false
    .vgpr_count:     0
    .vgpr_spill_count: 0
    .wavefront_size: 64
  - .agpr_count:     0
    .args:
      - .offset:         0
        .size:           64
        .value_kind:     by_value
    .group_segment_fixed_size: 0
    .kernarg_segment_align: 8
    .kernarg_segment_size: 64
    .language:       OpenCL C
    .language_version:
      - 2
      - 0
    .max_flat_workgroup_size: 256
    .name:           _ZN7rocprim17ROCPRIM_400000_NS6detail17trampoline_kernelINS0_14default_configENS1_38merge_sort_block_merge_config_selectorIffEEZZNS1_27merge_sort_block_merge_implIS3_N6thrust23THRUST_200600_302600_NS6detail15normal_iteratorINS8_10device_ptrIfEEEESD_jNS1_19radix_merge_compareILb0ELb0EfNS0_19identity_decomposerEEEEE10hipError_tT0_T1_T2_jT3_P12ihipStream_tbPNSt15iterator_traitsISI_E10value_typeEPNSO_ISJ_E10value_typeEPSK_NS1_7vsmem_tEENKUlT_SI_SJ_SK_E_clIPfSD_S10_SD_EESH_SX_SI_SJ_SK_EUlSX_E0_NS1_11comp_targetILNS1_3genE4ELNS1_11target_archE910ELNS1_3gpuE8ELNS1_3repE0EEENS1_38merge_mergepath_config_static_selectorELNS0_4arch9wavefront6targetE1EEEvSJ_
    .private_segment_fixed_size: 0
    .sgpr_count:     6
    .sgpr_spill_count: 0
    .symbol:         _ZN7rocprim17ROCPRIM_400000_NS6detail17trampoline_kernelINS0_14default_configENS1_38merge_sort_block_merge_config_selectorIffEEZZNS1_27merge_sort_block_merge_implIS3_N6thrust23THRUST_200600_302600_NS6detail15normal_iteratorINS8_10device_ptrIfEEEESD_jNS1_19radix_merge_compareILb0ELb0EfNS0_19identity_decomposerEEEEE10hipError_tT0_T1_T2_jT3_P12ihipStream_tbPNSt15iterator_traitsISI_E10value_typeEPNSO_ISJ_E10value_typeEPSK_NS1_7vsmem_tEENKUlT_SI_SJ_SK_E_clIPfSD_S10_SD_EESH_SX_SI_SJ_SK_EUlSX_E0_NS1_11comp_targetILNS1_3genE4ELNS1_11target_archE910ELNS1_3gpuE8ELNS1_3repE0EEENS1_38merge_mergepath_config_static_selectorELNS0_4arch9wavefront6targetE1EEEvSJ_.kd
    .uniform_work_group_size: 1
    .uses_dynamic_stack: false
    .vgpr_count:     0
    .vgpr_spill_count: 0
    .wavefront_size: 64
  - .agpr_count:     0
    .args:
      - .offset:         0
        .size:           64
        .value_kind:     by_value
    .group_segment_fixed_size: 0
    .kernarg_segment_align: 8
    .kernarg_segment_size: 64
    .language:       OpenCL C
    .language_version:
      - 2
      - 0
    .max_flat_workgroup_size: 128
    .name:           _ZN7rocprim17ROCPRIM_400000_NS6detail17trampoline_kernelINS0_14default_configENS1_38merge_sort_block_merge_config_selectorIffEEZZNS1_27merge_sort_block_merge_implIS3_N6thrust23THRUST_200600_302600_NS6detail15normal_iteratorINS8_10device_ptrIfEEEESD_jNS1_19radix_merge_compareILb0ELb0EfNS0_19identity_decomposerEEEEE10hipError_tT0_T1_T2_jT3_P12ihipStream_tbPNSt15iterator_traitsISI_E10value_typeEPNSO_ISJ_E10value_typeEPSK_NS1_7vsmem_tEENKUlT_SI_SJ_SK_E_clIPfSD_S10_SD_EESH_SX_SI_SJ_SK_EUlSX_E0_NS1_11comp_targetILNS1_3genE3ELNS1_11target_archE908ELNS1_3gpuE7ELNS1_3repE0EEENS1_38merge_mergepath_config_static_selectorELNS0_4arch9wavefront6targetE1EEEvSJ_
    .private_segment_fixed_size: 0
    .sgpr_count:     6
    .sgpr_spill_count: 0
    .symbol:         _ZN7rocprim17ROCPRIM_400000_NS6detail17trampoline_kernelINS0_14default_configENS1_38merge_sort_block_merge_config_selectorIffEEZZNS1_27merge_sort_block_merge_implIS3_N6thrust23THRUST_200600_302600_NS6detail15normal_iteratorINS8_10device_ptrIfEEEESD_jNS1_19radix_merge_compareILb0ELb0EfNS0_19identity_decomposerEEEEE10hipError_tT0_T1_T2_jT3_P12ihipStream_tbPNSt15iterator_traitsISI_E10value_typeEPNSO_ISJ_E10value_typeEPSK_NS1_7vsmem_tEENKUlT_SI_SJ_SK_E_clIPfSD_S10_SD_EESH_SX_SI_SJ_SK_EUlSX_E0_NS1_11comp_targetILNS1_3genE3ELNS1_11target_archE908ELNS1_3gpuE7ELNS1_3repE0EEENS1_38merge_mergepath_config_static_selectorELNS0_4arch9wavefront6targetE1EEEvSJ_.kd
    .uniform_work_group_size: 1
    .uses_dynamic_stack: false
    .vgpr_count:     0
    .vgpr_spill_count: 0
    .wavefront_size: 64
  - .agpr_count:     0
    .args:
      - .offset:         0
        .size:           64
        .value_kind:     by_value
    .group_segment_fixed_size: 0
    .kernarg_segment_align: 8
    .kernarg_segment_size: 64
    .language:       OpenCL C
    .language_version:
      - 2
      - 0
    .max_flat_workgroup_size: 128
    .name:           _ZN7rocprim17ROCPRIM_400000_NS6detail17trampoline_kernelINS0_14default_configENS1_38merge_sort_block_merge_config_selectorIffEEZZNS1_27merge_sort_block_merge_implIS3_N6thrust23THRUST_200600_302600_NS6detail15normal_iteratorINS8_10device_ptrIfEEEESD_jNS1_19radix_merge_compareILb0ELb0EfNS0_19identity_decomposerEEEEE10hipError_tT0_T1_T2_jT3_P12ihipStream_tbPNSt15iterator_traitsISI_E10value_typeEPNSO_ISJ_E10value_typeEPSK_NS1_7vsmem_tEENKUlT_SI_SJ_SK_E_clIPfSD_S10_SD_EESH_SX_SI_SJ_SK_EUlSX_E0_NS1_11comp_targetILNS1_3genE2ELNS1_11target_archE906ELNS1_3gpuE6ELNS1_3repE0EEENS1_38merge_mergepath_config_static_selectorELNS0_4arch9wavefront6targetE1EEEvSJ_
    .private_segment_fixed_size: 0
    .sgpr_count:     6
    .sgpr_spill_count: 0
    .symbol:         _ZN7rocprim17ROCPRIM_400000_NS6detail17trampoline_kernelINS0_14default_configENS1_38merge_sort_block_merge_config_selectorIffEEZZNS1_27merge_sort_block_merge_implIS3_N6thrust23THRUST_200600_302600_NS6detail15normal_iteratorINS8_10device_ptrIfEEEESD_jNS1_19radix_merge_compareILb0ELb0EfNS0_19identity_decomposerEEEEE10hipError_tT0_T1_T2_jT3_P12ihipStream_tbPNSt15iterator_traitsISI_E10value_typeEPNSO_ISJ_E10value_typeEPSK_NS1_7vsmem_tEENKUlT_SI_SJ_SK_E_clIPfSD_S10_SD_EESH_SX_SI_SJ_SK_EUlSX_E0_NS1_11comp_targetILNS1_3genE2ELNS1_11target_archE906ELNS1_3gpuE6ELNS1_3repE0EEENS1_38merge_mergepath_config_static_selectorELNS0_4arch9wavefront6targetE1EEEvSJ_.kd
    .uniform_work_group_size: 1
    .uses_dynamic_stack: false
    .vgpr_count:     0
    .vgpr_spill_count: 0
    .wavefront_size: 64
  - .agpr_count:     0
    .args:
      - .offset:         0
        .size:           64
        .value_kind:     by_value
    .group_segment_fixed_size: 0
    .kernarg_segment_align: 8
    .kernarg_segment_size: 64
    .language:       OpenCL C
    .language_version:
      - 2
      - 0
    .max_flat_workgroup_size: 512
    .name:           _ZN7rocprim17ROCPRIM_400000_NS6detail17trampoline_kernelINS0_14default_configENS1_38merge_sort_block_merge_config_selectorIffEEZZNS1_27merge_sort_block_merge_implIS3_N6thrust23THRUST_200600_302600_NS6detail15normal_iteratorINS8_10device_ptrIfEEEESD_jNS1_19radix_merge_compareILb0ELb0EfNS0_19identity_decomposerEEEEE10hipError_tT0_T1_T2_jT3_P12ihipStream_tbPNSt15iterator_traitsISI_E10value_typeEPNSO_ISJ_E10value_typeEPSK_NS1_7vsmem_tEENKUlT_SI_SJ_SK_E_clIPfSD_S10_SD_EESH_SX_SI_SJ_SK_EUlSX_E0_NS1_11comp_targetILNS1_3genE9ELNS1_11target_archE1100ELNS1_3gpuE3ELNS1_3repE0EEENS1_38merge_mergepath_config_static_selectorELNS0_4arch9wavefront6targetE1EEEvSJ_
    .private_segment_fixed_size: 0
    .sgpr_count:     6
    .sgpr_spill_count: 0
    .symbol:         _ZN7rocprim17ROCPRIM_400000_NS6detail17trampoline_kernelINS0_14default_configENS1_38merge_sort_block_merge_config_selectorIffEEZZNS1_27merge_sort_block_merge_implIS3_N6thrust23THRUST_200600_302600_NS6detail15normal_iteratorINS8_10device_ptrIfEEEESD_jNS1_19radix_merge_compareILb0ELb0EfNS0_19identity_decomposerEEEEE10hipError_tT0_T1_T2_jT3_P12ihipStream_tbPNSt15iterator_traitsISI_E10value_typeEPNSO_ISJ_E10value_typeEPSK_NS1_7vsmem_tEENKUlT_SI_SJ_SK_E_clIPfSD_S10_SD_EESH_SX_SI_SJ_SK_EUlSX_E0_NS1_11comp_targetILNS1_3genE9ELNS1_11target_archE1100ELNS1_3gpuE3ELNS1_3repE0EEENS1_38merge_mergepath_config_static_selectorELNS0_4arch9wavefront6targetE1EEEvSJ_.kd
    .uniform_work_group_size: 1
    .uses_dynamic_stack: false
    .vgpr_count:     0
    .vgpr_spill_count: 0
    .wavefront_size: 64
  - .agpr_count:     0
    .args:
      - .offset:         0
        .size:           64
        .value_kind:     by_value
    .group_segment_fixed_size: 0
    .kernarg_segment_align: 8
    .kernarg_segment_size: 64
    .language:       OpenCL C
    .language_version:
      - 2
      - 0
    .max_flat_workgroup_size: 1024
    .name:           _ZN7rocprim17ROCPRIM_400000_NS6detail17trampoline_kernelINS0_14default_configENS1_38merge_sort_block_merge_config_selectorIffEEZZNS1_27merge_sort_block_merge_implIS3_N6thrust23THRUST_200600_302600_NS6detail15normal_iteratorINS8_10device_ptrIfEEEESD_jNS1_19radix_merge_compareILb0ELb0EfNS0_19identity_decomposerEEEEE10hipError_tT0_T1_T2_jT3_P12ihipStream_tbPNSt15iterator_traitsISI_E10value_typeEPNSO_ISJ_E10value_typeEPSK_NS1_7vsmem_tEENKUlT_SI_SJ_SK_E_clIPfSD_S10_SD_EESH_SX_SI_SJ_SK_EUlSX_E0_NS1_11comp_targetILNS1_3genE8ELNS1_11target_archE1030ELNS1_3gpuE2ELNS1_3repE0EEENS1_38merge_mergepath_config_static_selectorELNS0_4arch9wavefront6targetE1EEEvSJ_
    .private_segment_fixed_size: 0
    .sgpr_count:     6
    .sgpr_spill_count: 0
    .symbol:         _ZN7rocprim17ROCPRIM_400000_NS6detail17trampoline_kernelINS0_14default_configENS1_38merge_sort_block_merge_config_selectorIffEEZZNS1_27merge_sort_block_merge_implIS3_N6thrust23THRUST_200600_302600_NS6detail15normal_iteratorINS8_10device_ptrIfEEEESD_jNS1_19radix_merge_compareILb0ELb0EfNS0_19identity_decomposerEEEEE10hipError_tT0_T1_T2_jT3_P12ihipStream_tbPNSt15iterator_traitsISI_E10value_typeEPNSO_ISJ_E10value_typeEPSK_NS1_7vsmem_tEENKUlT_SI_SJ_SK_E_clIPfSD_S10_SD_EESH_SX_SI_SJ_SK_EUlSX_E0_NS1_11comp_targetILNS1_3genE8ELNS1_11target_archE1030ELNS1_3gpuE2ELNS1_3repE0EEENS1_38merge_mergepath_config_static_selectorELNS0_4arch9wavefront6targetE1EEEvSJ_.kd
    .uniform_work_group_size: 1
    .uses_dynamic_stack: false
    .vgpr_count:     0
    .vgpr_spill_count: 0
    .wavefront_size: 64
  - .agpr_count:     0
    .args:
      - .offset:         0
        .size:           48
        .value_kind:     by_value
    .group_segment_fixed_size: 0
    .kernarg_segment_align: 8
    .kernarg_segment_size: 48
    .language:       OpenCL C
    .language_version:
      - 2
      - 0
    .max_flat_workgroup_size: 256
    .name:           _ZN7rocprim17ROCPRIM_400000_NS6detail17trampoline_kernelINS0_14default_configENS1_38merge_sort_block_merge_config_selectorIffEEZZNS1_27merge_sort_block_merge_implIS3_N6thrust23THRUST_200600_302600_NS6detail15normal_iteratorINS8_10device_ptrIfEEEESD_jNS1_19radix_merge_compareILb0ELb0EfNS0_19identity_decomposerEEEEE10hipError_tT0_T1_T2_jT3_P12ihipStream_tbPNSt15iterator_traitsISI_E10value_typeEPNSO_ISJ_E10value_typeEPSK_NS1_7vsmem_tEENKUlT_SI_SJ_SK_E_clIPfSD_S10_SD_EESH_SX_SI_SJ_SK_EUlSX_E1_NS1_11comp_targetILNS1_3genE0ELNS1_11target_archE4294967295ELNS1_3gpuE0ELNS1_3repE0EEENS1_36merge_oddeven_config_static_selectorELNS0_4arch9wavefront6targetE1EEEvSJ_
    .private_segment_fixed_size: 0
    .sgpr_count:     30
    .sgpr_spill_count: 0
    .symbol:         _ZN7rocprim17ROCPRIM_400000_NS6detail17trampoline_kernelINS0_14default_configENS1_38merge_sort_block_merge_config_selectorIffEEZZNS1_27merge_sort_block_merge_implIS3_N6thrust23THRUST_200600_302600_NS6detail15normal_iteratorINS8_10device_ptrIfEEEESD_jNS1_19radix_merge_compareILb0ELb0EfNS0_19identity_decomposerEEEEE10hipError_tT0_T1_T2_jT3_P12ihipStream_tbPNSt15iterator_traitsISI_E10value_typeEPNSO_ISJ_E10value_typeEPSK_NS1_7vsmem_tEENKUlT_SI_SJ_SK_E_clIPfSD_S10_SD_EESH_SX_SI_SJ_SK_EUlSX_E1_NS1_11comp_targetILNS1_3genE0ELNS1_11target_archE4294967295ELNS1_3gpuE0ELNS1_3repE0EEENS1_36merge_oddeven_config_static_selectorELNS0_4arch9wavefront6targetE1EEEvSJ_.kd
    .uniform_work_group_size: 1
    .uses_dynamic_stack: false
    .vgpr_count:     11
    .vgpr_spill_count: 0
    .wavefront_size: 64
  - .agpr_count:     0
    .args:
      - .offset:         0
        .size:           48
        .value_kind:     by_value
    .group_segment_fixed_size: 0
    .kernarg_segment_align: 8
    .kernarg_segment_size: 48
    .language:       OpenCL C
    .language_version:
      - 2
      - 0
    .max_flat_workgroup_size: 256
    .name:           _ZN7rocprim17ROCPRIM_400000_NS6detail17trampoline_kernelINS0_14default_configENS1_38merge_sort_block_merge_config_selectorIffEEZZNS1_27merge_sort_block_merge_implIS3_N6thrust23THRUST_200600_302600_NS6detail15normal_iteratorINS8_10device_ptrIfEEEESD_jNS1_19radix_merge_compareILb0ELb0EfNS0_19identity_decomposerEEEEE10hipError_tT0_T1_T2_jT3_P12ihipStream_tbPNSt15iterator_traitsISI_E10value_typeEPNSO_ISJ_E10value_typeEPSK_NS1_7vsmem_tEENKUlT_SI_SJ_SK_E_clIPfSD_S10_SD_EESH_SX_SI_SJ_SK_EUlSX_E1_NS1_11comp_targetILNS1_3genE10ELNS1_11target_archE1201ELNS1_3gpuE5ELNS1_3repE0EEENS1_36merge_oddeven_config_static_selectorELNS0_4arch9wavefront6targetE1EEEvSJ_
    .private_segment_fixed_size: 0
    .sgpr_count:     6
    .sgpr_spill_count: 0
    .symbol:         _ZN7rocprim17ROCPRIM_400000_NS6detail17trampoline_kernelINS0_14default_configENS1_38merge_sort_block_merge_config_selectorIffEEZZNS1_27merge_sort_block_merge_implIS3_N6thrust23THRUST_200600_302600_NS6detail15normal_iteratorINS8_10device_ptrIfEEEESD_jNS1_19radix_merge_compareILb0ELb0EfNS0_19identity_decomposerEEEEE10hipError_tT0_T1_T2_jT3_P12ihipStream_tbPNSt15iterator_traitsISI_E10value_typeEPNSO_ISJ_E10value_typeEPSK_NS1_7vsmem_tEENKUlT_SI_SJ_SK_E_clIPfSD_S10_SD_EESH_SX_SI_SJ_SK_EUlSX_E1_NS1_11comp_targetILNS1_3genE10ELNS1_11target_archE1201ELNS1_3gpuE5ELNS1_3repE0EEENS1_36merge_oddeven_config_static_selectorELNS0_4arch9wavefront6targetE1EEEvSJ_.kd
    .uniform_work_group_size: 1
    .uses_dynamic_stack: false
    .vgpr_count:     0
    .vgpr_spill_count: 0
    .wavefront_size: 64
  - .agpr_count:     0
    .args:
      - .offset:         0
        .size:           48
        .value_kind:     by_value
    .group_segment_fixed_size: 0
    .kernarg_segment_align: 8
    .kernarg_segment_size: 48
    .language:       OpenCL C
    .language_version:
      - 2
      - 0
    .max_flat_workgroup_size: 256
    .name:           _ZN7rocprim17ROCPRIM_400000_NS6detail17trampoline_kernelINS0_14default_configENS1_38merge_sort_block_merge_config_selectorIffEEZZNS1_27merge_sort_block_merge_implIS3_N6thrust23THRUST_200600_302600_NS6detail15normal_iteratorINS8_10device_ptrIfEEEESD_jNS1_19radix_merge_compareILb0ELb0EfNS0_19identity_decomposerEEEEE10hipError_tT0_T1_T2_jT3_P12ihipStream_tbPNSt15iterator_traitsISI_E10value_typeEPNSO_ISJ_E10value_typeEPSK_NS1_7vsmem_tEENKUlT_SI_SJ_SK_E_clIPfSD_S10_SD_EESH_SX_SI_SJ_SK_EUlSX_E1_NS1_11comp_targetILNS1_3genE5ELNS1_11target_archE942ELNS1_3gpuE9ELNS1_3repE0EEENS1_36merge_oddeven_config_static_selectorELNS0_4arch9wavefront6targetE1EEEvSJ_
    .private_segment_fixed_size: 0
    .sgpr_count:     6
    .sgpr_spill_count: 0
    .symbol:         _ZN7rocprim17ROCPRIM_400000_NS6detail17trampoline_kernelINS0_14default_configENS1_38merge_sort_block_merge_config_selectorIffEEZZNS1_27merge_sort_block_merge_implIS3_N6thrust23THRUST_200600_302600_NS6detail15normal_iteratorINS8_10device_ptrIfEEEESD_jNS1_19radix_merge_compareILb0ELb0EfNS0_19identity_decomposerEEEEE10hipError_tT0_T1_T2_jT3_P12ihipStream_tbPNSt15iterator_traitsISI_E10value_typeEPNSO_ISJ_E10value_typeEPSK_NS1_7vsmem_tEENKUlT_SI_SJ_SK_E_clIPfSD_S10_SD_EESH_SX_SI_SJ_SK_EUlSX_E1_NS1_11comp_targetILNS1_3genE5ELNS1_11target_archE942ELNS1_3gpuE9ELNS1_3repE0EEENS1_36merge_oddeven_config_static_selectorELNS0_4arch9wavefront6targetE1EEEvSJ_.kd
    .uniform_work_group_size: 1
    .uses_dynamic_stack: false
    .vgpr_count:     0
    .vgpr_spill_count: 0
    .wavefront_size: 64
  - .agpr_count:     0
    .args:
      - .offset:         0
        .size:           48
        .value_kind:     by_value
    .group_segment_fixed_size: 0
    .kernarg_segment_align: 8
    .kernarg_segment_size: 48
    .language:       OpenCL C
    .language_version:
      - 2
      - 0
    .max_flat_workgroup_size: 256
    .name:           _ZN7rocprim17ROCPRIM_400000_NS6detail17trampoline_kernelINS0_14default_configENS1_38merge_sort_block_merge_config_selectorIffEEZZNS1_27merge_sort_block_merge_implIS3_N6thrust23THRUST_200600_302600_NS6detail15normal_iteratorINS8_10device_ptrIfEEEESD_jNS1_19radix_merge_compareILb0ELb0EfNS0_19identity_decomposerEEEEE10hipError_tT0_T1_T2_jT3_P12ihipStream_tbPNSt15iterator_traitsISI_E10value_typeEPNSO_ISJ_E10value_typeEPSK_NS1_7vsmem_tEENKUlT_SI_SJ_SK_E_clIPfSD_S10_SD_EESH_SX_SI_SJ_SK_EUlSX_E1_NS1_11comp_targetILNS1_3genE4ELNS1_11target_archE910ELNS1_3gpuE8ELNS1_3repE0EEENS1_36merge_oddeven_config_static_selectorELNS0_4arch9wavefront6targetE1EEEvSJ_
    .private_segment_fixed_size: 0
    .sgpr_count:     6
    .sgpr_spill_count: 0
    .symbol:         _ZN7rocprim17ROCPRIM_400000_NS6detail17trampoline_kernelINS0_14default_configENS1_38merge_sort_block_merge_config_selectorIffEEZZNS1_27merge_sort_block_merge_implIS3_N6thrust23THRUST_200600_302600_NS6detail15normal_iteratorINS8_10device_ptrIfEEEESD_jNS1_19radix_merge_compareILb0ELb0EfNS0_19identity_decomposerEEEEE10hipError_tT0_T1_T2_jT3_P12ihipStream_tbPNSt15iterator_traitsISI_E10value_typeEPNSO_ISJ_E10value_typeEPSK_NS1_7vsmem_tEENKUlT_SI_SJ_SK_E_clIPfSD_S10_SD_EESH_SX_SI_SJ_SK_EUlSX_E1_NS1_11comp_targetILNS1_3genE4ELNS1_11target_archE910ELNS1_3gpuE8ELNS1_3repE0EEENS1_36merge_oddeven_config_static_selectorELNS0_4arch9wavefront6targetE1EEEvSJ_.kd
    .uniform_work_group_size: 1
    .uses_dynamic_stack: false
    .vgpr_count:     0
    .vgpr_spill_count: 0
    .wavefront_size: 64
  - .agpr_count:     0
    .args:
      - .offset:         0
        .size:           48
        .value_kind:     by_value
    .group_segment_fixed_size: 0
    .kernarg_segment_align: 8
    .kernarg_segment_size: 48
    .language:       OpenCL C
    .language_version:
      - 2
      - 0
    .max_flat_workgroup_size: 256
    .name:           _ZN7rocprim17ROCPRIM_400000_NS6detail17trampoline_kernelINS0_14default_configENS1_38merge_sort_block_merge_config_selectorIffEEZZNS1_27merge_sort_block_merge_implIS3_N6thrust23THRUST_200600_302600_NS6detail15normal_iteratorINS8_10device_ptrIfEEEESD_jNS1_19radix_merge_compareILb0ELb0EfNS0_19identity_decomposerEEEEE10hipError_tT0_T1_T2_jT3_P12ihipStream_tbPNSt15iterator_traitsISI_E10value_typeEPNSO_ISJ_E10value_typeEPSK_NS1_7vsmem_tEENKUlT_SI_SJ_SK_E_clIPfSD_S10_SD_EESH_SX_SI_SJ_SK_EUlSX_E1_NS1_11comp_targetILNS1_3genE3ELNS1_11target_archE908ELNS1_3gpuE7ELNS1_3repE0EEENS1_36merge_oddeven_config_static_selectorELNS0_4arch9wavefront6targetE1EEEvSJ_
    .private_segment_fixed_size: 0
    .sgpr_count:     6
    .sgpr_spill_count: 0
    .symbol:         _ZN7rocprim17ROCPRIM_400000_NS6detail17trampoline_kernelINS0_14default_configENS1_38merge_sort_block_merge_config_selectorIffEEZZNS1_27merge_sort_block_merge_implIS3_N6thrust23THRUST_200600_302600_NS6detail15normal_iteratorINS8_10device_ptrIfEEEESD_jNS1_19radix_merge_compareILb0ELb0EfNS0_19identity_decomposerEEEEE10hipError_tT0_T1_T2_jT3_P12ihipStream_tbPNSt15iterator_traitsISI_E10value_typeEPNSO_ISJ_E10value_typeEPSK_NS1_7vsmem_tEENKUlT_SI_SJ_SK_E_clIPfSD_S10_SD_EESH_SX_SI_SJ_SK_EUlSX_E1_NS1_11comp_targetILNS1_3genE3ELNS1_11target_archE908ELNS1_3gpuE7ELNS1_3repE0EEENS1_36merge_oddeven_config_static_selectorELNS0_4arch9wavefront6targetE1EEEvSJ_.kd
    .uniform_work_group_size: 1
    .uses_dynamic_stack: false
    .vgpr_count:     0
    .vgpr_spill_count: 0
    .wavefront_size: 64
  - .agpr_count:     0
    .args:
      - .offset:         0
        .size:           48
        .value_kind:     by_value
    .group_segment_fixed_size: 0
    .kernarg_segment_align: 8
    .kernarg_segment_size: 48
    .language:       OpenCL C
    .language_version:
      - 2
      - 0
    .max_flat_workgroup_size: 256
    .name:           _ZN7rocprim17ROCPRIM_400000_NS6detail17trampoline_kernelINS0_14default_configENS1_38merge_sort_block_merge_config_selectorIffEEZZNS1_27merge_sort_block_merge_implIS3_N6thrust23THRUST_200600_302600_NS6detail15normal_iteratorINS8_10device_ptrIfEEEESD_jNS1_19radix_merge_compareILb0ELb0EfNS0_19identity_decomposerEEEEE10hipError_tT0_T1_T2_jT3_P12ihipStream_tbPNSt15iterator_traitsISI_E10value_typeEPNSO_ISJ_E10value_typeEPSK_NS1_7vsmem_tEENKUlT_SI_SJ_SK_E_clIPfSD_S10_SD_EESH_SX_SI_SJ_SK_EUlSX_E1_NS1_11comp_targetILNS1_3genE2ELNS1_11target_archE906ELNS1_3gpuE6ELNS1_3repE0EEENS1_36merge_oddeven_config_static_selectorELNS0_4arch9wavefront6targetE1EEEvSJ_
    .private_segment_fixed_size: 0
    .sgpr_count:     6
    .sgpr_spill_count: 0
    .symbol:         _ZN7rocprim17ROCPRIM_400000_NS6detail17trampoline_kernelINS0_14default_configENS1_38merge_sort_block_merge_config_selectorIffEEZZNS1_27merge_sort_block_merge_implIS3_N6thrust23THRUST_200600_302600_NS6detail15normal_iteratorINS8_10device_ptrIfEEEESD_jNS1_19radix_merge_compareILb0ELb0EfNS0_19identity_decomposerEEEEE10hipError_tT0_T1_T2_jT3_P12ihipStream_tbPNSt15iterator_traitsISI_E10value_typeEPNSO_ISJ_E10value_typeEPSK_NS1_7vsmem_tEENKUlT_SI_SJ_SK_E_clIPfSD_S10_SD_EESH_SX_SI_SJ_SK_EUlSX_E1_NS1_11comp_targetILNS1_3genE2ELNS1_11target_archE906ELNS1_3gpuE6ELNS1_3repE0EEENS1_36merge_oddeven_config_static_selectorELNS0_4arch9wavefront6targetE1EEEvSJ_.kd
    .uniform_work_group_size: 1
    .uses_dynamic_stack: false
    .vgpr_count:     0
    .vgpr_spill_count: 0
    .wavefront_size: 64
  - .agpr_count:     0
    .args:
      - .offset:         0
        .size:           48
        .value_kind:     by_value
    .group_segment_fixed_size: 0
    .kernarg_segment_align: 8
    .kernarg_segment_size: 48
    .language:       OpenCL C
    .language_version:
      - 2
      - 0
    .max_flat_workgroup_size: 256
    .name:           _ZN7rocprim17ROCPRIM_400000_NS6detail17trampoline_kernelINS0_14default_configENS1_38merge_sort_block_merge_config_selectorIffEEZZNS1_27merge_sort_block_merge_implIS3_N6thrust23THRUST_200600_302600_NS6detail15normal_iteratorINS8_10device_ptrIfEEEESD_jNS1_19radix_merge_compareILb0ELb0EfNS0_19identity_decomposerEEEEE10hipError_tT0_T1_T2_jT3_P12ihipStream_tbPNSt15iterator_traitsISI_E10value_typeEPNSO_ISJ_E10value_typeEPSK_NS1_7vsmem_tEENKUlT_SI_SJ_SK_E_clIPfSD_S10_SD_EESH_SX_SI_SJ_SK_EUlSX_E1_NS1_11comp_targetILNS1_3genE9ELNS1_11target_archE1100ELNS1_3gpuE3ELNS1_3repE0EEENS1_36merge_oddeven_config_static_selectorELNS0_4arch9wavefront6targetE1EEEvSJ_
    .private_segment_fixed_size: 0
    .sgpr_count:     6
    .sgpr_spill_count: 0
    .symbol:         _ZN7rocprim17ROCPRIM_400000_NS6detail17trampoline_kernelINS0_14default_configENS1_38merge_sort_block_merge_config_selectorIffEEZZNS1_27merge_sort_block_merge_implIS3_N6thrust23THRUST_200600_302600_NS6detail15normal_iteratorINS8_10device_ptrIfEEEESD_jNS1_19radix_merge_compareILb0ELb0EfNS0_19identity_decomposerEEEEE10hipError_tT0_T1_T2_jT3_P12ihipStream_tbPNSt15iterator_traitsISI_E10value_typeEPNSO_ISJ_E10value_typeEPSK_NS1_7vsmem_tEENKUlT_SI_SJ_SK_E_clIPfSD_S10_SD_EESH_SX_SI_SJ_SK_EUlSX_E1_NS1_11comp_targetILNS1_3genE9ELNS1_11target_archE1100ELNS1_3gpuE3ELNS1_3repE0EEENS1_36merge_oddeven_config_static_selectorELNS0_4arch9wavefront6targetE1EEEvSJ_.kd
    .uniform_work_group_size: 1
    .uses_dynamic_stack: false
    .vgpr_count:     0
    .vgpr_spill_count: 0
    .wavefront_size: 64
  - .agpr_count:     0
    .args:
      - .offset:         0
        .size:           48
        .value_kind:     by_value
    .group_segment_fixed_size: 0
    .kernarg_segment_align: 8
    .kernarg_segment_size: 48
    .language:       OpenCL C
    .language_version:
      - 2
      - 0
    .max_flat_workgroup_size: 256
    .name:           _ZN7rocprim17ROCPRIM_400000_NS6detail17trampoline_kernelINS0_14default_configENS1_38merge_sort_block_merge_config_selectorIffEEZZNS1_27merge_sort_block_merge_implIS3_N6thrust23THRUST_200600_302600_NS6detail15normal_iteratorINS8_10device_ptrIfEEEESD_jNS1_19radix_merge_compareILb0ELb0EfNS0_19identity_decomposerEEEEE10hipError_tT0_T1_T2_jT3_P12ihipStream_tbPNSt15iterator_traitsISI_E10value_typeEPNSO_ISJ_E10value_typeEPSK_NS1_7vsmem_tEENKUlT_SI_SJ_SK_E_clIPfSD_S10_SD_EESH_SX_SI_SJ_SK_EUlSX_E1_NS1_11comp_targetILNS1_3genE8ELNS1_11target_archE1030ELNS1_3gpuE2ELNS1_3repE0EEENS1_36merge_oddeven_config_static_selectorELNS0_4arch9wavefront6targetE1EEEvSJ_
    .private_segment_fixed_size: 0
    .sgpr_count:     6
    .sgpr_spill_count: 0
    .symbol:         _ZN7rocprim17ROCPRIM_400000_NS6detail17trampoline_kernelINS0_14default_configENS1_38merge_sort_block_merge_config_selectorIffEEZZNS1_27merge_sort_block_merge_implIS3_N6thrust23THRUST_200600_302600_NS6detail15normal_iteratorINS8_10device_ptrIfEEEESD_jNS1_19radix_merge_compareILb0ELb0EfNS0_19identity_decomposerEEEEE10hipError_tT0_T1_T2_jT3_P12ihipStream_tbPNSt15iterator_traitsISI_E10value_typeEPNSO_ISJ_E10value_typeEPSK_NS1_7vsmem_tEENKUlT_SI_SJ_SK_E_clIPfSD_S10_SD_EESH_SX_SI_SJ_SK_EUlSX_E1_NS1_11comp_targetILNS1_3genE8ELNS1_11target_archE1030ELNS1_3gpuE2ELNS1_3repE0EEENS1_36merge_oddeven_config_static_selectorELNS0_4arch9wavefront6targetE1EEEvSJ_.kd
    .uniform_work_group_size: 1
    .uses_dynamic_stack: false
    .vgpr_count:     0
    .vgpr_spill_count: 0
    .wavefront_size: 64
  - .agpr_count:     0
    .args:
      - .offset:         0
        .size:           40
        .value_kind:     by_value
    .group_segment_fixed_size: 0
    .kernarg_segment_align: 8
    .kernarg_segment_size: 40
    .language:       OpenCL C
    .language_version:
      - 2
      - 0
    .max_flat_workgroup_size: 128
    .name:           _ZN7rocprim17ROCPRIM_400000_NS6detail17trampoline_kernelINS0_14default_configENS1_38merge_sort_block_merge_config_selectorIffEEZZNS1_27merge_sort_block_merge_implIS3_N6thrust23THRUST_200600_302600_NS6detail15normal_iteratorINS8_10device_ptrIfEEEESD_jNS1_19radix_merge_compareILb0ELb0EfNS0_19identity_decomposerEEEEE10hipError_tT0_T1_T2_jT3_P12ihipStream_tbPNSt15iterator_traitsISI_E10value_typeEPNSO_ISJ_E10value_typeEPSK_NS1_7vsmem_tEENKUlT_SI_SJ_SK_E_clISD_PfSD_S10_EESH_SX_SI_SJ_SK_EUlSX_E_NS1_11comp_targetILNS1_3genE0ELNS1_11target_archE4294967295ELNS1_3gpuE0ELNS1_3repE0EEENS1_48merge_mergepath_partition_config_static_selectorELNS0_4arch9wavefront6targetE1EEEvSJ_
    .private_segment_fixed_size: 0
    .sgpr_count:     14
    .sgpr_spill_count: 0
    .symbol:         _ZN7rocprim17ROCPRIM_400000_NS6detail17trampoline_kernelINS0_14default_configENS1_38merge_sort_block_merge_config_selectorIffEEZZNS1_27merge_sort_block_merge_implIS3_N6thrust23THRUST_200600_302600_NS6detail15normal_iteratorINS8_10device_ptrIfEEEESD_jNS1_19radix_merge_compareILb0ELb0EfNS0_19identity_decomposerEEEEE10hipError_tT0_T1_T2_jT3_P12ihipStream_tbPNSt15iterator_traitsISI_E10value_typeEPNSO_ISJ_E10value_typeEPSK_NS1_7vsmem_tEENKUlT_SI_SJ_SK_E_clISD_PfSD_S10_EESH_SX_SI_SJ_SK_EUlSX_E_NS1_11comp_targetILNS1_3genE0ELNS1_11target_archE4294967295ELNS1_3gpuE0ELNS1_3repE0EEENS1_48merge_mergepath_partition_config_static_selectorELNS0_4arch9wavefront6targetE1EEEvSJ_.kd
    .uniform_work_group_size: 1
    .uses_dynamic_stack: false
    .vgpr_count:     18
    .vgpr_spill_count: 0
    .wavefront_size: 64
  - .agpr_count:     0
    .args:
      - .offset:         0
        .size:           40
        .value_kind:     by_value
    .group_segment_fixed_size: 0
    .kernarg_segment_align: 8
    .kernarg_segment_size: 40
    .language:       OpenCL C
    .language_version:
      - 2
      - 0
    .max_flat_workgroup_size: 128
    .name:           _ZN7rocprim17ROCPRIM_400000_NS6detail17trampoline_kernelINS0_14default_configENS1_38merge_sort_block_merge_config_selectorIffEEZZNS1_27merge_sort_block_merge_implIS3_N6thrust23THRUST_200600_302600_NS6detail15normal_iteratorINS8_10device_ptrIfEEEESD_jNS1_19radix_merge_compareILb0ELb0EfNS0_19identity_decomposerEEEEE10hipError_tT0_T1_T2_jT3_P12ihipStream_tbPNSt15iterator_traitsISI_E10value_typeEPNSO_ISJ_E10value_typeEPSK_NS1_7vsmem_tEENKUlT_SI_SJ_SK_E_clISD_PfSD_S10_EESH_SX_SI_SJ_SK_EUlSX_E_NS1_11comp_targetILNS1_3genE10ELNS1_11target_archE1201ELNS1_3gpuE5ELNS1_3repE0EEENS1_48merge_mergepath_partition_config_static_selectorELNS0_4arch9wavefront6targetE1EEEvSJ_
    .private_segment_fixed_size: 0
    .sgpr_count:     6
    .sgpr_spill_count: 0
    .symbol:         _ZN7rocprim17ROCPRIM_400000_NS6detail17trampoline_kernelINS0_14default_configENS1_38merge_sort_block_merge_config_selectorIffEEZZNS1_27merge_sort_block_merge_implIS3_N6thrust23THRUST_200600_302600_NS6detail15normal_iteratorINS8_10device_ptrIfEEEESD_jNS1_19radix_merge_compareILb0ELb0EfNS0_19identity_decomposerEEEEE10hipError_tT0_T1_T2_jT3_P12ihipStream_tbPNSt15iterator_traitsISI_E10value_typeEPNSO_ISJ_E10value_typeEPSK_NS1_7vsmem_tEENKUlT_SI_SJ_SK_E_clISD_PfSD_S10_EESH_SX_SI_SJ_SK_EUlSX_E_NS1_11comp_targetILNS1_3genE10ELNS1_11target_archE1201ELNS1_3gpuE5ELNS1_3repE0EEENS1_48merge_mergepath_partition_config_static_selectorELNS0_4arch9wavefront6targetE1EEEvSJ_.kd
    .uniform_work_group_size: 1
    .uses_dynamic_stack: false
    .vgpr_count:     0
    .vgpr_spill_count: 0
    .wavefront_size: 64
  - .agpr_count:     0
    .args:
      - .offset:         0
        .size:           40
        .value_kind:     by_value
    .group_segment_fixed_size: 0
    .kernarg_segment_align: 8
    .kernarg_segment_size: 40
    .language:       OpenCL C
    .language_version:
      - 2
      - 0
    .max_flat_workgroup_size: 128
    .name:           _ZN7rocprim17ROCPRIM_400000_NS6detail17trampoline_kernelINS0_14default_configENS1_38merge_sort_block_merge_config_selectorIffEEZZNS1_27merge_sort_block_merge_implIS3_N6thrust23THRUST_200600_302600_NS6detail15normal_iteratorINS8_10device_ptrIfEEEESD_jNS1_19radix_merge_compareILb0ELb0EfNS0_19identity_decomposerEEEEE10hipError_tT0_T1_T2_jT3_P12ihipStream_tbPNSt15iterator_traitsISI_E10value_typeEPNSO_ISJ_E10value_typeEPSK_NS1_7vsmem_tEENKUlT_SI_SJ_SK_E_clISD_PfSD_S10_EESH_SX_SI_SJ_SK_EUlSX_E_NS1_11comp_targetILNS1_3genE5ELNS1_11target_archE942ELNS1_3gpuE9ELNS1_3repE0EEENS1_48merge_mergepath_partition_config_static_selectorELNS0_4arch9wavefront6targetE1EEEvSJ_
    .private_segment_fixed_size: 0
    .sgpr_count:     6
    .sgpr_spill_count: 0
    .symbol:         _ZN7rocprim17ROCPRIM_400000_NS6detail17trampoline_kernelINS0_14default_configENS1_38merge_sort_block_merge_config_selectorIffEEZZNS1_27merge_sort_block_merge_implIS3_N6thrust23THRUST_200600_302600_NS6detail15normal_iteratorINS8_10device_ptrIfEEEESD_jNS1_19radix_merge_compareILb0ELb0EfNS0_19identity_decomposerEEEEE10hipError_tT0_T1_T2_jT3_P12ihipStream_tbPNSt15iterator_traitsISI_E10value_typeEPNSO_ISJ_E10value_typeEPSK_NS1_7vsmem_tEENKUlT_SI_SJ_SK_E_clISD_PfSD_S10_EESH_SX_SI_SJ_SK_EUlSX_E_NS1_11comp_targetILNS1_3genE5ELNS1_11target_archE942ELNS1_3gpuE9ELNS1_3repE0EEENS1_48merge_mergepath_partition_config_static_selectorELNS0_4arch9wavefront6targetE1EEEvSJ_.kd
    .uniform_work_group_size: 1
    .uses_dynamic_stack: false
    .vgpr_count:     0
    .vgpr_spill_count: 0
    .wavefront_size: 64
  - .agpr_count:     0
    .args:
      - .offset:         0
        .size:           40
        .value_kind:     by_value
    .group_segment_fixed_size: 0
    .kernarg_segment_align: 8
    .kernarg_segment_size: 40
    .language:       OpenCL C
    .language_version:
      - 2
      - 0
    .max_flat_workgroup_size: 128
    .name:           _ZN7rocprim17ROCPRIM_400000_NS6detail17trampoline_kernelINS0_14default_configENS1_38merge_sort_block_merge_config_selectorIffEEZZNS1_27merge_sort_block_merge_implIS3_N6thrust23THRUST_200600_302600_NS6detail15normal_iteratorINS8_10device_ptrIfEEEESD_jNS1_19radix_merge_compareILb0ELb0EfNS0_19identity_decomposerEEEEE10hipError_tT0_T1_T2_jT3_P12ihipStream_tbPNSt15iterator_traitsISI_E10value_typeEPNSO_ISJ_E10value_typeEPSK_NS1_7vsmem_tEENKUlT_SI_SJ_SK_E_clISD_PfSD_S10_EESH_SX_SI_SJ_SK_EUlSX_E_NS1_11comp_targetILNS1_3genE4ELNS1_11target_archE910ELNS1_3gpuE8ELNS1_3repE0EEENS1_48merge_mergepath_partition_config_static_selectorELNS0_4arch9wavefront6targetE1EEEvSJ_
    .private_segment_fixed_size: 0
    .sgpr_count:     6
    .sgpr_spill_count: 0
    .symbol:         _ZN7rocprim17ROCPRIM_400000_NS6detail17trampoline_kernelINS0_14default_configENS1_38merge_sort_block_merge_config_selectorIffEEZZNS1_27merge_sort_block_merge_implIS3_N6thrust23THRUST_200600_302600_NS6detail15normal_iteratorINS8_10device_ptrIfEEEESD_jNS1_19radix_merge_compareILb0ELb0EfNS0_19identity_decomposerEEEEE10hipError_tT0_T1_T2_jT3_P12ihipStream_tbPNSt15iterator_traitsISI_E10value_typeEPNSO_ISJ_E10value_typeEPSK_NS1_7vsmem_tEENKUlT_SI_SJ_SK_E_clISD_PfSD_S10_EESH_SX_SI_SJ_SK_EUlSX_E_NS1_11comp_targetILNS1_3genE4ELNS1_11target_archE910ELNS1_3gpuE8ELNS1_3repE0EEENS1_48merge_mergepath_partition_config_static_selectorELNS0_4arch9wavefront6targetE1EEEvSJ_.kd
    .uniform_work_group_size: 1
    .uses_dynamic_stack: false
    .vgpr_count:     0
    .vgpr_spill_count: 0
    .wavefront_size: 64
  - .agpr_count:     0
    .args:
      - .offset:         0
        .size:           40
        .value_kind:     by_value
    .group_segment_fixed_size: 0
    .kernarg_segment_align: 8
    .kernarg_segment_size: 40
    .language:       OpenCL C
    .language_version:
      - 2
      - 0
    .max_flat_workgroup_size: 128
    .name:           _ZN7rocprim17ROCPRIM_400000_NS6detail17trampoline_kernelINS0_14default_configENS1_38merge_sort_block_merge_config_selectorIffEEZZNS1_27merge_sort_block_merge_implIS3_N6thrust23THRUST_200600_302600_NS6detail15normal_iteratorINS8_10device_ptrIfEEEESD_jNS1_19radix_merge_compareILb0ELb0EfNS0_19identity_decomposerEEEEE10hipError_tT0_T1_T2_jT3_P12ihipStream_tbPNSt15iterator_traitsISI_E10value_typeEPNSO_ISJ_E10value_typeEPSK_NS1_7vsmem_tEENKUlT_SI_SJ_SK_E_clISD_PfSD_S10_EESH_SX_SI_SJ_SK_EUlSX_E_NS1_11comp_targetILNS1_3genE3ELNS1_11target_archE908ELNS1_3gpuE7ELNS1_3repE0EEENS1_48merge_mergepath_partition_config_static_selectorELNS0_4arch9wavefront6targetE1EEEvSJ_
    .private_segment_fixed_size: 0
    .sgpr_count:     6
    .sgpr_spill_count: 0
    .symbol:         _ZN7rocprim17ROCPRIM_400000_NS6detail17trampoline_kernelINS0_14default_configENS1_38merge_sort_block_merge_config_selectorIffEEZZNS1_27merge_sort_block_merge_implIS3_N6thrust23THRUST_200600_302600_NS6detail15normal_iteratorINS8_10device_ptrIfEEEESD_jNS1_19radix_merge_compareILb0ELb0EfNS0_19identity_decomposerEEEEE10hipError_tT0_T1_T2_jT3_P12ihipStream_tbPNSt15iterator_traitsISI_E10value_typeEPNSO_ISJ_E10value_typeEPSK_NS1_7vsmem_tEENKUlT_SI_SJ_SK_E_clISD_PfSD_S10_EESH_SX_SI_SJ_SK_EUlSX_E_NS1_11comp_targetILNS1_3genE3ELNS1_11target_archE908ELNS1_3gpuE7ELNS1_3repE0EEENS1_48merge_mergepath_partition_config_static_selectorELNS0_4arch9wavefront6targetE1EEEvSJ_.kd
    .uniform_work_group_size: 1
    .uses_dynamic_stack: false
    .vgpr_count:     0
    .vgpr_spill_count: 0
    .wavefront_size: 64
  - .agpr_count:     0
    .args:
      - .offset:         0
        .size:           40
        .value_kind:     by_value
    .group_segment_fixed_size: 0
    .kernarg_segment_align: 8
    .kernarg_segment_size: 40
    .language:       OpenCL C
    .language_version:
      - 2
      - 0
    .max_flat_workgroup_size: 128
    .name:           _ZN7rocprim17ROCPRIM_400000_NS6detail17trampoline_kernelINS0_14default_configENS1_38merge_sort_block_merge_config_selectorIffEEZZNS1_27merge_sort_block_merge_implIS3_N6thrust23THRUST_200600_302600_NS6detail15normal_iteratorINS8_10device_ptrIfEEEESD_jNS1_19radix_merge_compareILb0ELb0EfNS0_19identity_decomposerEEEEE10hipError_tT0_T1_T2_jT3_P12ihipStream_tbPNSt15iterator_traitsISI_E10value_typeEPNSO_ISJ_E10value_typeEPSK_NS1_7vsmem_tEENKUlT_SI_SJ_SK_E_clISD_PfSD_S10_EESH_SX_SI_SJ_SK_EUlSX_E_NS1_11comp_targetILNS1_3genE2ELNS1_11target_archE906ELNS1_3gpuE6ELNS1_3repE0EEENS1_48merge_mergepath_partition_config_static_selectorELNS0_4arch9wavefront6targetE1EEEvSJ_
    .private_segment_fixed_size: 0
    .sgpr_count:     6
    .sgpr_spill_count: 0
    .symbol:         _ZN7rocprim17ROCPRIM_400000_NS6detail17trampoline_kernelINS0_14default_configENS1_38merge_sort_block_merge_config_selectorIffEEZZNS1_27merge_sort_block_merge_implIS3_N6thrust23THRUST_200600_302600_NS6detail15normal_iteratorINS8_10device_ptrIfEEEESD_jNS1_19radix_merge_compareILb0ELb0EfNS0_19identity_decomposerEEEEE10hipError_tT0_T1_T2_jT3_P12ihipStream_tbPNSt15iterator_traitsISI_E10value_typeEPNSO_ISJ_E10value_typeEPSK_NS1_7vsmem_tEENKUlT_SI_SJ_SK_E_clISD_PfSD_S10_EESH_SX_SI_SJ_SK_EUlSX_E_NS1_11comp_targetILNS1_3genE2ELNS1_11target_archE906ELNS1_3gpuE6ELNS1_3repE0EEENS1_48merge_mergepath_partition_config_static_selectorELNS0_4arch9wavefront6targetE1EEEvSJ_.kd
    .uniform_work_group_size: 1
    .uses_dynamic_stack: false
    .vgpr_count:     0
    .vgpr_spill_count: 0
    .wavefront_size: 64
  - .agpr_count:     0
    .args:
      - .offset:         0
        .size:           40
        .value_kind:     by_value
    .group_segment_fixed_size: 0
    .kernarg_segment_align: 8
    .kernarg_segment_size: 40
    .language:       OpenCL C
    .language_version:
      - 2
      - 0
    .max_flat_workgroup_size: 128
    .name:           _ZN7rocprim17ROCPRIM_400000_NS6detail17trampoline_kernelINS0_14default_configENS1_38merge_sort_block_merge_config_selectorIffEEZZNS1_27merge_sort_block_merge_implIS3_N6thrust23THRUST_200600_302600_NS6detail15normal_iteratorINS8_10device_ptrIfEEEESD_jNS1_19radix_merge_compareILb0ELb0EfNS0_19identity_decomposerEEEEE10hipError_tT0_T1_T2_jT3_P12ihipStream_tbPNSt15iterator_traitsISI_E10value_typeEPNSO_ISJ_E10value_typeEPSK_NS1_7vsmem_tEENKUlT_SI_SJ_SK_E_clISD_PfSD_S10_EESH_SX_SI_SJ_SK_EUlSX_E_NS1_11comp_targetILNS1_3genE9ELNS1_11target_archE1100ELNS1_3gpuE3ELNS1_3repE0EEENS1_48merge_mergepath_partition_config_static_selectorELNS0_4arch9wavefront6targetE1EEEvSJ_
    .private_segment_fixed_size: 0
    .sgpr_count:     6
    .sgpr_spill_count: 0
    .symbol:         _ZN7rocprim17ROCPRIM_400000_NS6detail17trampoline_kernelINS0_14default_configENS1_38merge_sort_block_merge_config_selectorIffEEZZNS1_27merge_sort_block_merge_implIS3_N6thrust23THRUST_200600_302600_NS6detail15normal_iteratorINS8_10device_ptrIfEEEESD_jNS1_19radix_merge_compareILb0ELb0EfNS0_19identity_decomposerEEEEE10hipError_tT0_T1_T2_jT3_P12ihipStream_tbPNSt15iterator_traitsISI_E10value_typeEPNSO_ISJ_E10value_typeEPSK_NS1_7vsmem_tEENKUlT_SI_SJ_SK_E_clISD_PfSD_S10_EESH_SX_SI_SJ_SK_EUlSX_E_NS1_11comp_targetILNS1_3genE9ELNS1_11target_archE1100ELNS1_3gpuE3ELNS1_3repE0EEENS1_48merge_mergepath_partition_config_static_selectorELNS0_4arch9wavefront6targetE1EEEvSJ_.kd
    .uniform_work_group_size: 1
    .uses_dynamic_stack: false
    .vgpr_count:     0
    .vgpr_spill_count: 0
    .wavefront_size: 64
  - .agpr_count:     0
    .args:
      - .offset:         0
        .size:           40
        .value_kind:     by_value
    .group_segment_fixed_size: 0
    .kernarg_segment_align: 8
    .kernarg_segment_size: 40
    .language:       OpenCL C
    .language_version:
      - 2
      - 0
    .max_flat_workgroup_size: 128
    .name:           _ZN7rocprim17ROCPRIM_400000_NS6detail17trampoline_kernelINS0_14default_configENS1_38merge_sort_block_merge_config_selectorIffEEZZNS1_27merge_sort_block_merge_implIS3_N6thrust23THRUST_200600_302600_NS6detail15normal_iteratorINS8_10device_ptrIfEEEESD_jNS1_19radix_merge_compareILb0ELb0EfNS0_19identity_decomposerEEEEE10hipError_tT0_T1_T2_jT3_P12ihipStream_tbPNSt15iterator_traitsISI_E10value_typeEPNSO_ISJ_E10value_typeEPSK_NS1_7vsmem_tEENKUlT_SI_SJ_SK_E_clISD_PfSD_S10_EESH_SX_SI_SJ_SK_EUlSX_E_NS1_11comp_targetILNS1_3genE8ELNS1_11target_archE1030ELNS1_3gpuE2ELNS1_3repE0EEENS1_48merge_mergepath_partition_config_static_selectorELNS0_4arch9wavefront6targetE1EEEvSJ_
    .private_segment_fixed_size: 0
    .sgpr_count:     6
    .sgpr_spill_count: 0
    .symbol:         _ZN7rocprim17ROCPRIM_400000_NS6detail17trampoline_kernelINS0_14default_configENS1_38merge_sort_block_merge_config_selectorIffEEZZNS1_27merge_sort_block_merge_implIS3_N6thrust23THRUST_200600_302600_NS6detail15normal_iteratorINS8_10device_ptrIfEEEESD_jNS1_19radix_merge_compareILb0ELb0EfNS0_19identity_decomposerEEEEE10hipError_tT0_T1_T2_jT3_P12ihipStream_tbPNSt15iterator_traitsISI_E10value_typeEPNSO_ISJ_E10value_typeEPSK_NS1_7vsmem_tEENKUlT_SI_SJ_SK_E_clISD_PfSD_S10_EESH_SX_SI_SJ_SK_EUlSX_E_NS1_11comp_targetILNS1_3genE8ELNS1_11target_archE1030ELNS1_3gpuE2ELNS1_3repE0EEENS1_48merge_mergepath_partition_config_static_selectorELNS0_4arch9wavefront6targetE1EEEvSJ_.kd
    .uniform_work_group_size: 1
    .uses_dynamic_stack: false
    .vgpr_count:     0
    .vgpr_spill_count: 0
    .wavefront_size: 64
  - .agpr_count:     0
    .args:
      - .offset:         0
        .size:           64
        .value_kind:     by_value
      - .offset:         64
        .size:           4
        .value_kind:     hidden_block_count_x
      - .offset:         68
        .size:           4
        .value_kind:     hidden_block_count_y
      - .offset:         72
        .size:           4
        .value_kind:     hidden_block_count_z
      - .offset:         76
        .size:           2
        .value_kind:     hidden_group_size_x
      - .offset:         78
        .size:           2
        .value_kind:     hidden_group_size_y
      - .offset:         80
        .size:           2
        .value_kind:     hidden_group_size_z
      - .offset:         82
        .size:           2
        .value_kind:     hidden_remainder_x
      - .offset:         84
        .size:           2
        .value_kind:     hidden_remainder_y
      - .offset:         86
        .size:           2
        .value_kind:     hidden_remainder_z
      - .offset:         104
        .size:           8
        .value_kind:     hidden_global_offset_x
      - .offset:         112
        .size:           8
        .value_kind:     hidden_global_offset_y
      - .offset:         120
        .size:           8
        .value_kind:     hidden_global_offset_z
      - .offset:         128
        .size:           2
        .value_kind:     hidden_grid_dims
    .group_segment_fixed_size: 4224
    .kernarg_segment_align: 8
    .kernarg_segment_size: 320
    .language:       OpenCL C
    .language_version:
      - 2
      - 0
    .max_flat_workgroup_size: 128
    .name:           _ZN7rocprim17ROCPRIM_400000_NS6detail17trampoline_kernelINS0_14default_configENS1_38merge_sort_block_merge_config_selectorIffEEZZNS1_27merge_sort_block_merge_implIS3_N6thrust23THRUST_200600_302600_NS6detail15normal_iteratorINS8_10device_ptrIfEEEESD_jNS1_19radix_merge_compareILb0ELb0EfNS0_19identity_decomposerEEEEE10hipError_tT0_T1_T2_jT3_P12ihipStream_tbPNSt15iterator_traitsISI_E10value_typeEPNSO_ISJ_E10value_typeEPSK_NS1_7vsmem_tEENKUlT_SI_SJ_SK_E_clISD_PfSD_S10_EESH_SX_SI_SJ_SK_EUlSX_E0_NS1_11comp_targetILNS1_3genE0ELNS1_11target_archE4294967295ELNS1_3gpuE0ELNS1_3repE0EEENS1_38merge_mergepath_config_static_selectorELNS0_4arch9wavefront6targetE1EEEvSJ_
    .private_segment_fixed_size: 0
    .sgpr_count:     38
    .sgpr_spill_count: 0
    .symbol:         _ZN7rocprim17ROCPRIM_400000_NS6detail17trampoline_kernelINS0_14default_configENS1_38merge_sort_block_merge_config_selectorIffEEZZNS1_27merge_sort_block_merge_implIS3_N6thrust23THRUST_200600_302600_NS6detail15normal_iteratorINS8_10device_ptrIfEEEESD_jNS1_19radix_merge_compareILb0ELb0EfNS0_19identity_decomposerEEEEE10hipError_tT0_T1_T2_jT3_P12ihipStream_tbPNSt15iterator_traitsISI_E10value_typeEPNSO_ISJ_E10value_typeEPSK_NS1_7vsmem_tEENKUlT_SI_SJ_SK_E_clISD_PfSD_S10_EESH_SX_SI_SJ_SK_EUlSX_E0_NS1_11comp_targetILNS1_3genE0ELNS1_11target_archE4294967295ELNS1_3gpuE0ELNS1_3repE0EEENS1_38merge_mergepath_config_static_selectorELNS0_4arch9wavefront6targetE1EEEvSJ_.kd
    .uniform_work_group_size: 1
    .uses_dynamic_stack: false
    .vgpr_count:     39
    .vgpr_spill_count: 0
    .wavefront_size: 64
  - .agpr_count:     0
    .args:
      - .offset:         0
        .size:           64
        .value_kind:     by_value
    .group_segment_fixed_size: 0
    .kernarg_segment_align: 8
    .kernarg_segment_size: 64
    .language:       OpenCL C
    .language_version:
      - 2
      - 0
    .max_flat_workgroup_size: 256
    .name:           _ZN7rocprim17ROCPRIM_400000_NS6detail17trampoline_kernelINS0_14default_configENS1_38merge_sort_block_merge_config_selectorIffEEZZNS1_27merge_sort_block_merge_implIS3_N6thrust23THRUST_200600_302600_NS6detail15normal_iteratorINS8_10device_ptrIfEEEESD_jNS1_19radix_merge_compareILb0ELb0EfNS0_19identity_decomposerEEEEE10hipError_tT0_T1_T2_jT3_P12ihipStream_tbPNSt15iterator_traitsISI_E10value_typeEPNSO_ISJ_E10value_typeEPSK_NS1_7vsmem_tEENKUlT_SI_SJ_SK_E_clISD_PfSD_S10_EESH_SX_SI_SJ_SK_EUlSX_E0_NS1_11comp_targetILNS1_3genE10ELNS1_11target_archE1201ELNS1_3gpuE5ELNS1_3repE0EEENS1_38merge_mergepath_config_static_selectorELNS0_4arch9wavefront6targetE1EEEvSJ_
    .private_segment_fixed_size: 0
    .sgpr_count:     6
    .sgpr_spill_count: 0
    .symbol:         _ZN7rocprim17ROCPRIM_400000_NS6detail17trampoline_kernelINS0_14default_configENS1_38merge_sort_block_merge_config_selectorIffEEZZNS1_27merge_sort_block_merge_implIS3_N6thrust23THRUST_200600_302600_NS6detail15normal_iteratorINS8_10device_ptrIfEEEESD_jNS1_19radix_merge_compareILb0ELb0EfNS0_19identity_decomposerEEEEE10hipError_tT0_T1_T2_jT3_P12ihipStream_tbPNSt15iterator_traitsISI_E10value_typeEPNSO_ISJ_E10value_typeEPSK_NS1_7vsmem_tEENKUlT_SI_SJ_SK_E_clISD_PfSD_S10_EESH_SX_SI_SJ_SK_EUlSX_E0_NS1_11comp_targetILNS1_3genE10ELNS1_11target_archE1201ELNS1_3gpuE5ELNS1_3repE0EEENS1_38merge_mergepath_config_static_selectorELNS0_4arch9wavefront6targetE1EEEvSJ_.kd
    .uniform_work_group_size: 1
    .uses_dynamic_stack: false
    .vgpr_count:     0
    .vgpr_spill_count: 0
    .wavefront_size: 64
  - .agpr_count:     0
    .args:
      - .offset:         0
        .size:           64
        .value_kind:     by_value
    .group_segment_fixed_size: 0
    .kernarg_segment_align: 8
    .kernarg_segment_size: 64
    .language:       OpenCL C
    .language_version:
      - 2
      - 0
    .max_flat_workgroup_size: 128
    .name:           _ZN7rocprim17ROCPRIM_400000_NS6detail17trampoline_kernelINS0_14default_configENS1_38merge_sort_block_merge_config_selectorIffEEZZNS1_27merge_sort_block_merge_implIS3_N6thrust23THRUST_200600_302600_NS6detail15normal_iteratorINS8_10device_ptrIfEEEESD_jNS1_19radix_merge_compareILb0ELb0EfNS0_19identity_decomposerEEEEE10hipError_tT0_T1_T2_jT3_P12ihipStream_tbPNSt15iterator_traitsISI_E10value_typeEPNSO_ISJ_E10value_typeEPSK_NS1_7vsmem_tEENKUlT_SI_SJ_SK_E_clISD_PfSD_S10_EESH_SX_SI_SJ_SK_EUlSX_E0_NS1_11comp_targetILNS1_3genE5ELNS1_11target_archE942ELNS1_3gpuE9ELNS1_3repE0EEENS1_38merge_mergepath_config_static_selectorELNS0_4arch9wavefront6targetE1EEEvSJ_
    .private_segment_fixed_size: 0
    .sgpr_count:     6
    .sgpr_spill_count: 0
    .symbol:         _ZN7rocprim17ROCPRIM_400000_NS6detail17trampoline_kernelINS0_14default_configENS1_38merge_sort_block_merge_config_selectorIffEEZZNS1_27merge_sort_block_merge_implIS3_N6thrust23THRUST_200600_302600_NS6detail15normal_iteratorINS8_10device_ptrIfEEEESD_jNS1_19radix_merge_compareILb0ELb0EfNS0_19identity_decomposerEEEEE10hipError_tT0_T1_T2_jT3_P12ihipStream_tbPNSt15iterator_traitsISI_E10value_typeEPNSO_ISJ_E10value_typeEPSK_NS1_7vsmem_tEENKUlT_SI_SJ_SK_E_clISD_PfSD_S10_EESH_SX_SI_SJ_SK_EUlSX_E0_NS1_11comp_targetILNS1_3genE5ELNS1_11target_archE942ELNS1_3gpuE9ELNS1_3repE0EEENS1_38merge_mergepath_config_static_selectorELNS0_4arch9wavefront6targetE1EEEvSJ_.kd
    .uniform_work_group_size: 1
    .uses_dynamic_stack: false
    .vgpr_count:     0
    .vgpr_spill_count: 0
    .wavefront_size: 64
  - .agpr_count:     0
    .args:
      - .offset:         0
        .size:           64
        .value_kind:     by_value
    .group_segment_fixed_size: 0
    .kernarg_segment_align: 8
    .kernarg_segment_size: 64
    .language:       OpenCL C
    .language_version:
      - 2
      - 0
    .max_flat_workgroup_size: 256
    .name:           _ZN7rocprim17ROCPRIM_400000_NS6detail17trampoline_kernelINS0_14default_configENS1_38merge_sort_block_merge_config_selectorIffEEZZNS1_27merge_sort_block_merge_implIS3_N6thrust23THRUST_200600_302600_NS6detail15normal_iteratorINS8_10device_ptrIfEEEESD_jNS1_19radix_merge_compareILb0ELb0EfNS0_19identity_decomposerEEEEE10hipError_tT0_T1_T2_jT3_P12ihipStream_tbPNSt15iterator_traitsISI_E10value_typeEPNSO_ISJ_E10value_typeEPSK_NS1_7vsmem_tEENKUlT_SI_SJ_SK_E_clISD_PfSD_S10_EESH_SX_SI_SJ_SK_EUlSX_E0_NS1_11comp_targetILNS1_3genE4ELNS1_11target_archE910ELNS1_3gpuE8ELNS1_3repE0EEENS1_38merge_mergepath_config_static_selectorELNS0_4arch9wavefront6targetE1EEEvSJ_
    .private_segment_fixed_size: 0
    .sgpr_count:     6
    .sgpr_spill_count: 0
    .symbol:         _ZN7rocprim17ROCPRIM_400000_NS6detail17trampoline_kernelINS0_14default_configENS1_38merge_sort_block_merge_config_selectorIffEEZZNS1_27merge_sort_block_merge_implIS3_N6thrust23THRUST_200600_302600_NS6detail15normal_iteratorINS8_10device_ptrIfEEEESD_jNS1_19radix_merge_compareILb0ELb0EfNS0_19identity_decomposerEEEEE10hipError_tT0_T1_T2_jT3_P12ihipStream_tbPNSt15iterator_traitsISI_E10value_typeEPNSO_ISJ_E10value_typeEPSK_NS1_7vsmem_tEENKUlT_SI_SJ_SK_E_clISD_PfSD_S10_EESH_SX_SI_SJ_SK_EUlSX_E0_NS1_11comp_targetILNS1_3genE4ELNS1_11target_archE910ELNS1_3gpuE8ELNS1_3repE0EEENS1_38merge_mergepath_config_static_selectorELNS0_4arch9wavefront6targetE1EEEvSJ_.kd
    .uniform_work_group_size: 1
    .uses_dynamic_stack: false
    .vgpr_count:     0
    .vgpr_spill_count: 0
    .wavefront_size: 64
  - .agpr_count:     0
    .args:
      - .offset:         0
        .size:           64
        .value_kind:     by_value
    .group_segment_fixed_size: 0
    .kernarg_segment_align: 8
    .kernarg_segment_size: 64
    .language:       OpenCL C
    .language_version:
      - 2
      - 0
    .max_flat_workgroup_size: 128
    .name:           _ZN7rocprim17ROCPRIM_400000_NS6detail17trampoline_kernelINS0_14default_configENS1_38merge_sort_block_merge_config_selectorIffEEZZNS1_27merge_sort_block_merge_implIS3_N6thrust23THRUST_200600_302600_NS6detail15normal_iteratorINS8_10device_ptrIfEEEESD_jNS1_19radix_merge_compareILb0ELb0EfNS0_19identity_decomposerEEEEE10hipError_tT0_T1_T2_jT3_P12ihipStream_tbPNSt15iterator_traitsISI_E10value_typeEPNSO_ISJ_E10value_typeEPSK_NS1_7vsmem_tEENKUlT_SI_SJ_SK_E_clISD_PfSD_S10_EESH_SX_SI_SJ_SK_EUlSX_E0_NS1_11comp_targetILNS1_3genE3ELNS1_11target_archE908ELNS1_3gpuE7ELNS1_3repE0EEENS1_38merge_mergepath_config_static_selectorELNS0_4arch9wavefront6targetE1EEEvSJ_
    .private_segment_fixed_size: 0
    .sgpr_count:     6
    .sgpr_spill_count: 0
    .symbol:         _ZN7rocprim17ROCPRIM_400000_NS6detail17trampoline_kernelINS0_14default_configENS1_38merge_sort_block_merge_config_selectorIffEEZZNS1_27merge_sort_block_merge_implIS3_N6thrust23THRUST_200600_302600_NS6detail15normal_iteratorINS8_10device_ptrIfEEEESD_jNS1_19radix_merge_compareILb0ELb0EfNS0_19identity_decomposerEEEEE10hipError_tT0_T1_T2_jT3_P12ihipStream_tbPNSt15iterator_traitsISI_E10value_typeEPNSO_ISJ_E10value_typeEPSK_NS1_7vsmem_tEENKUlT_SI_SJ_SK_E_clISD_PfSD_S10_EESH_SX_SI_SJ_SK_EUlSX_E0_NS1_11comp_targetILNS1_3genE3ELNS1_11target_archE908ELNS1_3gpuE7ELNS1_3repE0EEENS1_38merge_mergepath_config_static_selectorELNS0_4arch9wavefront6targetE1EEEvSJ_.kd
    .uniform_work_group_size: 1
    .uses_dynamic_stack: false
    .vgpr_count:     0
    .vgpr_spill_count: 0
    .wavefront_size: 64
  - .agpr_count:     0
    .args:
      - .offset:         0
        .size:           64
        .value_kind:     by_value
    .group_segment_fixed_size: 0
    .kernarg_segment_align: 8
    .kernarg_segment_size: 64
    .language:       OpenCL C
    .language_version:
      - 2
      - 0
    .max_flat_workgroup_size: 128
    .name:           _ZN7rocprim17ROCPRIM_400000_NS6detail17trampoline_kernelINS0_14default_configENS1_38merge_sort_block_merge_config_selectorIffEEZZNS1_27merge_sort_block_merge_implIS3_N6thrust23THRUST_200600_302600_NS6detail15normal_iteratorINS8_10device_ptrIfEEEESD_jNS1_19radix_merge_compareILb0ELb0EfNS0_19identity_decomposerEEEEE10hipError_tT0_T1_T2_jT3_P12ihipStream_tbPNSt15iterator_traitsISI_E10value_typeEPNSO_ISJ_E10value_typeEPSK_NS1_7vsmem_tEENKUlT_SI_SJ_SK_E_clISD_PfSD_S10_EESH_SX_SI_SJ_SK_EUlSX_E0_NS1_11comp_targetILNS1_3genE2ELNS1_11target_archE906ELNS1_3gpuE6ELNS1_3repE0EEENS1_38merge_mergepath_config_static_selectorELNS0_4arch9wavefront6targetE1EEEvSJ_
    .private_segment_fixed_size: 0
    .sgpr_count:     6
    .sgpr_spill_count: 0
    .symbol:         _ZN7rocprim17ROCPRIM_400000_NS6detail17trampoline_kernelINS0_14default_configENS1_38merge_sort_block_merge_config_selectorIffEEZZNS1_27merge_sort_block_merge_implIS3_N6thrust23THRUST_200600_302600_NS6detail15normal_iteratorINS8_10device_ptrIfEEEESD_jNS1_19radix_merge_compareILb0ELb0EfNS0_19identity_decomposerEEEEE10hipError_tT0_T1_T2_jT3_P12ihipStream_tbPNSt15iterator_traitsISI_E10value_typeEPNSO_ISJ_E10value_typeEPSK_NS1_7vsmem_tEENKUlT_SI_SJ_SK_E_clISD_PfSD_S10_EESH_SX_SI_SJ_SK_EUlSX_E0_NS1_11comp_targetILNS1_3genE2ELNS1_11target_archE906ELNS1_3gpuE6ELNS1_3repE0EEENS1_38merge_mergepath_config_static_selectorELNS0_4arch9wavefront6targetE1EEEvSJ_.kd
    .uniform_work_group_size: 1
    .uses_dynamic_stack: false
    .vgpr_count:     0
    .vgpr_spill_count: 0
    .wavefront_size: 64
  - .agpr_count:     0
    .args:
      - .offset:         0
        .size:           64
        .value_kind:     by_value
    .group_segment_fixed_size: 0
    .kernarg_segment_align: 8
    .kernarg_segment_size: 64
    .language:       OpenCL C
    .language_version:
      - 2
      - 0
    .max_flat_workgroup_size: 512
    .name:           _ZN7rocprim17ROCPRIM_400000_NS6detail17trampoline_kernelINS0_14default_configENS1_38merge_sort_block_merge_config_selectorIffEEZZNS1_27merge_sort_block_merge_implIS3_N6thrust23THRUST_200600_302600_NS6detail15normal_iteratorINS8_10device_ptrIfEEEESD_jNS1_19radix_merge_compareILb0ELb0EfNS0_19identity_decomposerEEEEE10hipError_tT0_T1_T2_jT3_P12ihipStream_tbPNSt15iterator_traitsISI_E10value_typeEPNSO_ISJ_E10value_typeEPSK_NS1_7vsmem_tEENKUlT_SI_SJ_SK_E_clISD_PfSD_S10_EESH_SX_SI_SJ_SK_EUlSX_E0_NS1_11comp_targetILNS1_3genE9ELNS1_11target_archE1100ELNS1_3gpuE3ELNS1_3repE0EEENS1_38merge_mergepath_config_static_selectorELNS0_4arch9wavefront6targetE1EEEvSJ_
    .private_segment_fixed_size: 0
    .sgpr_count:     6
    .sgpr_spill_count: 0
    .symbol:         _ZN7rocprim17ROCPRIM_400000_NS6detail17trampoline_kernelINS0_14default_configENS1_38merge_sort_block_merge_config_selectorIffEEZZNS1_27merge_sort_block_merge_implIS3_N6thrust23THRUST_200600_302600_NS6detail15normal_iteratorINS8_10device_ptrIfEEEESD_jNS1_19radix_merge_compareILb0ELb0EfNS0_19identity_decomposerEEEEE10hipError_tT0_T1_T2_jT3_P12ihipStream_tbPNSt15iterator_traitsISI_E10value_typeEPNSO_ISJ_E10value_typeEPSK_NS1_7vsmem_tEENKUlT_SI_SJ_SK_E_clISD_PfSD_S10_EESH_SX_SI_SJ_SK_EUlSX_E0_NS1_11comp_targetILNS1_3genE9ELNS1_11target_archE1100ELNS1_3gpuE3ELNS1_3repE0EEENS1_38merge_mergepath_config_static_selectorELNS0_4arch9wavefront6targetE1EEEvSJ_.kd
    .uniform_work_group_size: 1
    .uses_dynamic_stack: false
    .vgpr_count:     0
    .vgpr_spill_count: 0
    .wavefront_size: 64
  - .agpr_count:     0
    .args:
      - .offset:         0
        .size:           64
        .value_kind:     by_value
    .group_segment_fixed_size: 0
    .kernarg_segment_align: 8
    .kernarg_segment_size: 64
    .language:       OpenCL C
    .language_version:
      - 2
      - 0
    .max_flat_workgroup_size: 1024
    .name:           _ZN7rocprim17ROCPRIM_400000_NS6detail17trampoline_kernelINS0_14default_configENS1_38merge_sort_block_merge_config_selectorIffEEZZNS1_27merge_sort_block_merge_implIS3_N6thrust23THRUST_200600_302600_NS6detail15normal_iteratorINS8_10device_ptrIfEEEESD_jNS1_19radix_merge_compareILb0ELb0EfNS0_19identity_decomposerEEEEE10hipError_tT0_T1_T2_jT3_P12ihipStream_tbPNSt15iterator_traitsISI_E10value_typeEPNSO_ISJ_E10value_typeEPSK_NS1_7vsmem_tEENKUlT_SI_SJ_SK_E_clISD_PfSD_S10_EESH_SX_SI_SJ_SK_EUlSX_E0_NS1_11comp_targetILNS1_3genE8ELNS1_11target_archE1030ELNS1_3gpuE2ELNS1_3repE0EEENS1_38merge_mergepath_config_static_selectorELNS0_4arch9wavefront6targetE1EEEvSJ_
    .private_segment_fixed_size: 0
    .sgpr_count:     6
    .sgpr_spill_count: 0
    .symbol:         _ZN7rocprim17ROCPRIM_400000_NS6detail17trampoline_kernelINS0_14default_configENS1_38merge_sort_block_merge_config_selectorIffEEZZNS1_27merge_sort_block_merge_implIS3_N6thrust23THRUST_200600_302600_NS6detail15normal_iteratorINS8_10device_ptrIfEEEESD_jNS1_19radix_merge_compareILb0ELb0EfNS0_19identity_decomposerEEEEE10hipError_tT0_T1_T2_jT3_P12ihipStream_tbPNSt15iterator_traitsISI_E10value_typeEPNSO_ISJ_E10value_typeEPSK_NS1_7vsmem_tEENKUlT_SI_SJ_SK_E_clISD_PfSD_S10_EESH_SX_SI_SJ_SK_EUlSX_E0_NS1_11comp_targetILNS1_3genE8ELNS1_11target_archE1030ELNS1_3gpuE2ELNS1_3repE0EEENS1_38merge_mergepath_config_static_selectorELNS0_4arch9wavefront6targetE1EEEvSJ_.kd
    .uniform_work_group_size: 1
    .uses_dynamic_stack: false
    .vgpr_count:     0
    .vgpr_spill_count: 0
    .wavefront_size: 64
  - .agpr_count:     0
    .args:
      - .offset:         0
        .size:           48
        .value_kind:     by_value
    .group_segment_fixed_size: 0
    .kernarg_segment_align: 8
    .kernarg_segment_size: 48
    .language:       OpenCL C
    .language_version:
      - 2
      - 0
    .max_flat_workgroup_size: 256
    .name:           _ZN7rocprim17ROCPRIM_400000_NS6detail17trampoline_kernelINS0_14default_configENS1_38merge_sort_block_merge_config_selectorIffEEZZNS1_27merge_sort_block_merge_implIS3_N6thrust23THRUST_200600_302600_NS6detail15normal_iteratorINS8_10device_ptrIfEEEESD_jNS1_19radix_merge_compareILb0ELb0EfNS0_19identity_decomposerEEEEE10hipError_tT0_T1_T2_jT3_P12ihipStream_tbPNSt15iterator_traitsISI_E10value_typeEPNSO_ISJ_E10value_typeEPSK_NS1_7vsmem_tEENKUlT_SI_SJ_SK_E_clISD_PfSD_S10_EESH_SX_SI_SJ_SK_EUlSX_E1_NS1_11comp_targetILNS1_3genE0ELNS1_11target_archE4294967295ELNS1_3gpuE0ELNS1_3repE0EEENS1_36merge_oddeven_config_static_selectorELNS0_4arch9wavefront6targetE1EEEvSJ_
    .private_segment_fixed_size: 0
    .sgpr_count:     30
    .sgpr_spill_count: 0
    .symbol:         _ZN7rocprim17ROCPRIM_400000_NS6detail17trampoline_kernelINS0_14default_configENS1_38merge_sort_block_merge_config_selectorIffEEZZNS1_27merge_sort_block_merge_implIS3_N6thrust23THRUST_200600_302600_NS6detail15normal_iteratorINS8_10device_ptrIfEEEESD_jNS1_19radix_merge_compareILb0ELb0EfNS0_19identity_decomposerEEEEE10hipError_tT0_T1_T2_jT3_P12ihipStream_tbPNSt15iterator_traitsISI_E10value_typeEPNSO_ISJ_E10value_typeEPSK_NS1_7vsmem_tEENKUlT_SI_SJ_SK_E_clISD_PfSD_S10_EESH_SX_SI_SJ_SK_EUlSX_E1_NS1_11comp_targetILNS1_3genE0ELNS1_11target_archE4294967295ELNS1_3gpuE0ELNS1_3repE0EEENS1_36merge_oddeven_config_static_selectorELNS0_4arch9wavefront6targetE1EEEvSJ_.kd
    .uniform_work_group_size: 1
    .uses_dynamic_stack: false
    .vgpr_count:     11
    .vgpr_spill_count: 0
    .wavefront_size: 64
  - .agpr_count:     0
    .args:
      - .offset:         0
        .size:           48
        .value_kind:     by_value
    .group_segment_fixed_size: 0
    .kernarg_segment_align: 8
    .kernarg_segment_size: 48
    .language:       OpenCL C
    .language_version:
      - 2
      - 0
    .max_flat_workgroup_size: 256
    .name:           _ZN7rocprim17ROCPRIM_400000_NS6detail17trampoline_kernelINS0_14default_configENS1_38merge_sort_block_merge_config_selectorIffEEZZNS1_27merge_sort_block_merge_implIS3_N6thrust23THRUST_200600_302600_NS6detail15normal_iteratorINS8_10device_ptrIfEEEESD_jNS1_19radix_merge_compareILb0ELb0EfNS0_19identity_decomposerEEEEE10hipError_tT0_T1_T2_jT3_P12ihipStream_tbPNSt15iterator_traitsISI_E10value_typeEPNSO_ISJ_E10value_typeEPSK_NS1_7vsmem_tEENKUlT_SI_SJ_SK_E_clISD_PfSD_S10_EESH_SX_SI_SJ_SK_EUlSX_E1_NS1_11comp_targetILNS1_3genE10ELNS1_11target_archE1201ELNS1_3gpuE5ELNS1_3repE0EEENS1_36merge_oddeven_config_static_selectorELNS0_4arch9wavefront6targetE1EEEvSJ_
    .private_segment_fixed_size: 0
    .sgpr_count:     6
    .sgpr_spill_count: 0
    .symbol:         _ZN7rocprim17ROCPRIM_400000_NS6detail17trampoline_kernelINS0_14default_configENS1_38merge_sort_block_merge_config_selectorIffEEZZNS1_27merge_sort_block_merge_implIS3_N6thrust23THRUST_200600_302600_NS6detail15normal_iteratorINS8_10device_ptrIfEEEESD_jNS1_19radix_merge_compareILb0ELb0EfNS0_19identity_decomposerEEEEE10hipError_tT0_T1_T2_jT3_P12ihipStream_tbPNSt15iterator_traitsISI_E10value_typeEPNSO_ISJ_E10value_typeEPSK_NS1_7vsmem_tEENKUlT_SI_SJ_SK_E_clISD_PfSD_S10_EESH_SX_SI_SJ_SK_EUlSX_E1_NS1_11comp_targetILNS1_3genE10ELNS1_11target_archE1201ELNS1_3gpuE5ELNS1_3repE0EEENS1_36merge_oddeven_config_static_selectorELNS0_4arch9wavefront6targetE1EEEvSJ_.kd
    .uniform_work_group_size: 1
    .uses_dynamic_stack: false
    .vgpr_count:     0
    .vgpr_spill_count: 0
    .wavefront_size: 64
  - .agpr_count:     0
    .args:
      - .offset:         0
        .size:           48
        .value_kind:     by_value
    .group_segment_fixed_size: 0
    .kernarg_segment_align: 8
    .kernarg_segment_size: 48
    .language:       OpenCL C
    .language_version:
      - 2
      - 0
    .max_flat_workgroup_size: 256
    .name:           _ZN7rocprim17ROCPRIM_400000_NS6detail17trampoline_kernelINS0_14default_configENS1_38merge_sort_block_merge_config_selectorIffEEZZNS1_27merge_sort_block_merge_implIS3_N6thrust23THRUST_200600_302600_NS6detail15normal_iteratorINS8_10device_ptrIfEEEESD_jNS1_19radix_merge_compareILb0ELb0EfNS0_19identity_decomposerEEEEE10hipError_tT0_T1_T2_jT3_P12ihipStream_tbPNSt15iterator_traitsISI_E10value_typeEPNSO_ISJ_E10value_typeEPSK_NS1_7vsmem_tEENKUlT_SI_SJ_SK_E_clISD_PfSD_S10_EESH_SX_SI_SJ_SK_EUlSX_E1_NS1_11comp_targetILNS1_3genE5ELNS1_11target_archE942ELNS1_3gpuE9ELNS1_3repE0EEENS1_36merge_oddeven_config_static_selectorELNS0_4arch9wavefront6targetE1EEEvSJ_
    .private_segment_fixed_size: 0
    .sgpr_count:     6
    .sgpr_spill_count: 0
    .symbol:         _ZN7rocprim17ROCPRIM_400000_NS6detail17trampoline_kernelINS0_14default_configENS1_38merge_sort_block_merge_config_selectorIffEEZZNS1_27merge_sort_block_merge_implIS3_N6thrust23THRUST_200600_302600_NS6detail15normal_iteratorINS8_10device_ptrIfEEEESD_jNS1_19radix_merge_compareILb0ELb0EfNS0_19identity_decomposerEEEEE10hipError_tT0_T1_T2_jT3_P12ihipStream_tbPNSt15iterator_traitsISI_E10value_typeEPNSO_ISJ_E10value_typeEPSK_NS1_7vsmem_tEENKUlT_SI_SJ_SK_E_clISD_PfSD_S10_EESH_SX_SI_SJ_SK_EUlSX_E1_NS1_11comp_targetILNS1_3genE5ELNS1_11target_archE942ELNS1_3gpuE9ELNS1_3repE0EEENS1_36merge_oddeven_config_static_selectorELNS0_4arch9wavefront6targetE1EEEvSJ_.kd
    .uniform_work_group_size: 1
    .uses_dynamic_stack: false
    .vgpr_count:     0
    .vgpr_spill_count: 0
    .wavefront_size: 64
  - .agpr_count:     0
    .args:
      - .offset:         0
        .size:           48
        .value_kind:     by_value
    .group_segment_fixed_size: 0
    .kernarg_segment_align: 8
    .kernarg_segment_size: 48
    .language:       OpenCL C
    .language_version:
      - 2
      - 0
    .max_flat_workgroup_size: 256
    .name:           _ZN7rocprim17ROCPRIM_400000_NS6detail17trampoline_kernelINS0_14default_configENS1_38merge_sort_block_merge_config_selectorIffEEZZNS1_27merge_sort_block_merge_implIS3_N6thrust23THRUST_200600_302600_NS6detail15normal_iteratorINS8_10device_ptrIfEEEESD_jNS1_19radix_merge_compareILb0ELb0EfNS0_19identity_decomposerEEEEE10hipError_tT0_T1_T2_jT3_P12ihipStream_tbPNSt15iterator_traitsISI_E10value_typeEPNSO_ISJ_E10value_typeEPSK_NS1_7vsmem_tEENKUlT_SI_SJ_SK_E_clISD_PfSD_S10_EESH_SX_SI_SJ_SK_EUlSX_E1_NS1_11comp_targetILNS1_3genE4ELNS1_11target_archE910ELNS1_3gpuE8ELNS1_3repE0EEENS1_36merge_oddeven_config_static_selectorELNS0_4arch9wavefront6targetE1EEEvSJ_
    .private_segment_fixed_size: 0
    .sgpr_count:     6
    .sgpr_spill_count: 0
    .symbol:         _ZN7rocprim17ROCPRIM_400000_NS6detail17trampoline_kernelINS0_14default_configENS1_38merge_sort_block_merge_config_selectorIffEEZZNS1_27merge_sort_block_merge_implIS3_N6thrust23THRUST_200600_302600_NS6detail15normal_iteratorINS8_10device_ptrIfEEEESD_jNS1_19radix_merge_compareILb0ELb0EfNS0_19identity_decomposerEEEEE10hipError_tT0_T1_T2_jT3_P12ihipStream_tbPNSt15iterator_traitsISI_E10value_typeEPNSO_ISJ_E10value_typeEPSK_NS1_7vsmem_tEENKUlT_SI_SJ_SK_E_clISD_PfSD_S10_EESH_SX_SI_SJ_SK_EUlSX_E1_NS1_11comp_targetILNS1_3genE4ELNS1_11target_archE910ELNS1_3gpuE8ELNS1_3repE0EEENS1_36merge_oddeven_config_static_selectorELNS0_4arch9wavefront6targetE1EEEvSJ_.kd
    .uniform_work_group_size: 1
    .uses_dynamic_stack: false
    .vgpr_count:     0
    .vgpr_spill_count: 0
    .wavefront_size: 64
  - .agpr_count:     0
    .args:
      - .offset:         0
        .size:           48
        .value_kind:     by_value
    .group_segment_fixed_size: 0
    .kernarg_segment_align: 8
    .kernarg_segment_size: 48
    .language:       OpenCL C
    .language_version:
      - 2
      - 0
    .max_flat_workgroup_size: 256
    .name:           _ZN7rocprim17ROCPRIM_400000_NS6detail17trampoline_kernelINS0_14default_configENS1_38merge_sort_block_merge_config_selectorIffEEZZNS1_27merge_sort_block_merge_implIS3_N6thrust23THRUST_200600_302600_NS6detail15normal_iteratorINS8_10device_ptrIfEEEESD_jNS1_19radix_merge_compareILb0ELb0EfNS0_19identity_decomposerEEEEE10hipError_tT0_T1_T2_jT3_P12ihipStream_tbPNSt15iterator_traitsISI_E10value_typeEPNSO_ISJ_E10value_typeEPSK_NS1_7vsmem_tEENKUlT_SI_SJ_SK_E_clISD_PfSD_S10_EESH_SX_SI_SJ_SK_EUlSX_E1_NS1_11comp_targetILNS1_3genE3ELNS1_11target_archE908ELNS1_3gpuE7ELNS1_3repE0EEENS1_36merge_oddeven_config_static_selectorELNS0_4arch9wavefront6targetE1EEEvSJ_
    .private_segment_fixed_size: 0
    .sgpr_count:     6
    .sgpr_spill_count: 0
    .symbol:         _ZN7rocprim17ROCPRIM_400000_NS6detail17trampoline_kernelINS0_14default_configENS1_38merge_sort_block_merge_config_selectorIffEEZZNS1_27merge_sort_block_merge_implIS3_N6thrust23THRUST_200600_302600_NS6detail15normal_iteratorINS8_10device_ptrIfEEEESD_jNS1_19radix_merge_compareILb0ELb0EfNS0_19identity_decomposerEEEEE10hipError_tT0_T1_T2_jT3_P12ihipStream_tbPNSt15iterator_traitsISI_E10value_typeEPNSO_ISJ_E10value_typeEPSK_NS1_7vsmem_tEENKUlT_SI_SJ_SK_E_clISD_PfSD_S10_EESH_SX_SI_SJ_SK_EUlSX_E1_NS1_11comp_targetILNS1_3genE3ELNS1_11target_archE908ELNS1_3gpuE7ELNS1_3repE0EEENS1_36merge_oddeven_config_static_selectorELNS0_4arch9wavefront6targetE1EEEvSJ_.kd
    .uniform_work_group_size: 1
    .uses_dynamic_stack: false
    .vgpr_count:     0
    .vgpr_spill_count: 0
    .wavefront_size: 64
  - .agpr_count:     0
    .args:
      - .offset:         0
        .size:           48
        .value_kind:     by_value
    .group_segment_fixed_size: 0
    .kernarg_segment_align: 8
    .kernarg_segment_size: 48
    .language:       OpenCL C
    .language_version:
      - 2
      - 0
    .max_flat_workgroup_size: 256
    .name:           _ZN7rocprim17ROCPRIM_400000_NS6detail17trampoline_kernelINS0_14default_configENS1_38merge_sort_block_merge_config_selectorIffEEZZNS1_27merge_sort_block_merge_implIS3_N6thrust23THRUST_200600_302600_NS6detail15normal_iteratorINS8_10device_ptrIfEEEESD_jNS1_19radix_merge_compareILb0ELb0EfNS0_19identity_decomposerEEEEE10hipError_tT0_T1_T2_jT3_P12ihipStream_tbPNSt15iterator_traitsISI_E10value_typeEPNSO_ISJ_E10value_typeEPSK_NS1_7vsmem_tEENKUlT_SI_SJ_SK_E_clISD_PfSD_S10_EESH_SX_SI_SJ_SK_EUlSX_E1_NS1_11comp_targetILNS1_3genE2ELNS1_11target_archE906ELNS1_3gpuE6ELNS1_3repE0EEENS1_36merge_oddeven_config_static_selectorELNS0_4arch9wavefront6targetE1EEEvSJ_
    .private_segment_fixed_size: 0
    .sgpr_count:     6
    .sgpr_spill_count: 0
    .symbol:         _ZN7rocprim17ROCPRIM_400000_NS6detail17trampoline_kernelINS0_14default_configENS1_38merge_sort_block_merge_config_selectorIffEEZZNS1_27merge_sort_block_merge_implIS3_N6thrust23THRUST_200600_302600_NS6detail15normal_iteratorINS8_10device_ptrIfEEEESD_jNS1_19radix_merge_compareILb0ELb0EfNS0_19identity_decomposerEEEEE10hipError_tT0_T1_T2_jT3_P12ihipStream_tbPNSt15iterator_traitsISI_E10value_typeEPNSO_ISJ_E10value_typeEPSK_NS1_7vsmem_tEENKUlT_SI_SJ_SK_E_clISD_PfSD_S10_EESH_SX_SI_SJ_SK_EUlSX_E1_NS1_11comp_targetILNS1_3genE2ELNS1_11target_archE906ELNS1_3gpuE6ELNS1_3repE0EEENS1_36merge_oddeven_config_static_selectorELNS0_4arch9wavefront6targetE1EEEvSJ_.kd
    .uniform_work_group_size: 1
    .uses_dynamic_stack: false
    .vgpr_count:     0
    .vgpr_spill_count: 0
    .wavefront_size: 64
  - .agpr_count:     0
    .args:
      - .offset:         0
        .size:           48
        .value_kind:     by_value
    .group_segment_fixed_size: 0
    .kernarg_segment_align: 8
    .kernarg_segment_size: 48
    .language:       OpenCL C
    .language_version:
      - 2
      - 0
    .max_flat_workgroup_size: 256
    .name:           _ZN7rocprim17ROCPRIM_400000_NS6detail17trampoline_kernelINS0_14default_configENS1_38merge_sort_block_merge_config_selectorIffEEZZNS1_27merge_sort_block_merge_implIS3_N6thrust23THRUST_200600_302600_NS6detail15normal_iteratorINS8_10device_ptrIfEEEESD_jNS1_19radix_merge_compareILb0ELb0EfNS0_19identity_decomposerEEEEE10hipError_tT0_T1_T2_jT3_P12ihipStream_tbPNSt15iterator_traitsISI_E10value_typeEPNSO_ISJ_E10value_typeEPSK_NS1_7vsmem_tEENKUlT_SI_SJ_SK_E_clISD_PfSD_S10_EESH_SX_SI_SJ_SK_EUlSX_E1_NS1_11comp_targetILNS1_3genE9ELNS1_11target_archE1100ELNS1_3gpuE3ELNS1_3repE0EEENS1_36merge_oddeven_config_static_selectorELNS0_4arch9wavefront6targetE1EEEvSJ_
    .private_segment_fixed_size: 0
    .sgpr_count:     6
    .sgpr_spill_count: 0
    .symbol:         _ZN7rocprim17ROCPRIM_400000_NS6detail17trampoline_kernelINS0_14default_configENS1_38merge_sort_block_merge_config_selectorIffEEZZNS1_27merge_sort_block_merge_implIS3_N6thrust23THRUST_200600_302600_NS6detail15normal_iteratorINS8_10device_ptrIfEEEESD_jNS1_19radix_merge_compareILb0ELb0EfNS0_19identity_decomposerEEEEE10hipError_tT0_T1_T2_jT3_P12ihipStream_tbPNSt15iterator_traitsISI_E10value_typeEPNSO_ISJ_E10value_typeEPSK_NS1_7vsmem_tEENKUlT_SI_SJ_SK_E_clISD_PfSD_S10_EESH_SX_SI_SJ_SK_EUlSX_E1_NS1_11comp_targetILNS1_3genE9ELNS1_11target_archE1100ELNS1_3gpuE3ELNS1_3repE0EEENS1_36merge_oddeven_config_static_selectorELNS0_4arch9wavefront6targetE1EEEvSJ_.kd
    .uniform_work_group_size: 1
    .uses_dynamic_stack: false
    .vgpr_count:     0
    .vgpr_spill_count: 0
    .wavefront_size: 64
  - .agpr_count:     0
    .args:
      - .offset:         0
        .size:           48
        .value_kind:     by_value
    .group_segment_fixed_size: 0
    .kernarg_segment_align: 8
    .kernarg_segment_size: 48
    .language:       OpenCL C
    .language_version:
      - 2
      - 0
    .max_flat_workgroup_size: 256
    .name:           _ZN7rocprim17ROCPRIM_400000_NS6detail17trampoline_kernelINS0_14default_configENS1_38merge_sort_block_merge_config_selectorIffEEZZNS1_27merge_sort_block_merge_implIS3_N6thrust23THRUST_200600_302600_NS6detail15normal_iteratorINS8_10device_ptrIfEEEESD_jNS1_19radix_merge_compareILb0ELb0EfNS0_19identity_decomposerEEEEE10hipError_tT0_T1_T2_jT3_P12ihipStream_tbPNSt15iterator_traitsISI_E10value_typeEPNSO_ISJ_E10value_typeEPSK_NS1_7vsmem_tEENKUlT_SI_SJ_SK_E_clISD_PfSD_S10_EESH_SX_SI_SJ_SK_EUlSX_E1_NS1_11comp_targetILNS1_3genE8ELNS1_11target_archE1030ELNS1_3gpuE2ELNS1_3repE0EEENS1_36merge_oddeven_config_static_selectorELNS0_4arch9wavefront6targetE1EEEvSJ_
    .private_segment_fixed_size: 0
    .sgpr_count:     6
    .sgpr_spill_count: 0
    .symbol:         _ZN7rocprim17ROCPRIM_400000_NS6detail17trampoline_kernelINS0_14default_configENS1_38merge_sort_block_merge_config_selectorIffEEZZNS1_27merge_sort_block_merge_implIS3_N6thrust23THRUST_200600_302600_NS6detail15normal_iteratorINS8_10device_ptrIfEEEESD_jNS1_19radix_merge_compareILb0ELb0EfNS0_19identity_decomposerEEEEE10hipError_tT0_T1_T2_jT3_P12ihipStream_tbPNSt15iterator_traitsISI_E10value_typeEPNSO_ISJ_E10value_typeEPSK_NS1_7vsmem_tEENKUlT_SI_SJ_SK_E_clISD_PfSD_S10_EESH_SX_SI_SJ_SK_EUlSX_E1_NS1_11comp_targetILNS1_3genE8ELNS1_11target_archE1030ELNS1_3gpuE2ELNS1_3repE0EEENS1_36merge_oddeven_config_static_selectorELNS0_4arch9wavefront6targetE1EEEvSJ_.kd
    .uniform_work_group_size: 1
    .uses_dynamic_stack: false
    .vgpr_count:     0
    .vgpr_spill_count: 0
    .wavefront_size: 64
  - .agpr_count:     0
    .args:
      - .offset:         0
        .size:           40
        .value_kind:     by_value
      - .offset:         40
        .size:           4
        .value_kind:     hidden_block_count_x
      - .offset:         44
        .size:           4
        .value_kind:     hidden_block_count_y
      - .offset:         48
        .size:           4
        .value_kind:     hidden_block_count_z
      - .offset:         52
        .size:           2
        .value_kind:     hidden_group_size_x
      - .offset:         54
        .size:           2
        .value_kind:     hidden_group_size_y
      - .offset:         56
        .size:           2
        .value_kind:     hidden_group_size_z
      - .offset:         58
        .size:           2
        .value_kind:     hidden_remainder_x
      - .offset:         60
        .size:           2
        .value_kind:     hidden_remainder_y
      - .offset:         62
        .size:           2
        .value_kind:     hidden_remainder_z
      - .offset:         80
        .size:           8
        .value_kind:     hidden_global_offset_x
      - .offset:         88
        .size:           8
        .value_kind:     hidden_global_offset_y
      - .offset:         96
        .size:           8
        .value_kind:     hidden_global_offset_z
      - .offset:         104
        .size:           2
        .value_kind:     hidden_grid_dims
    .group_segment_fixed_size: 0
    .kernarg_segment_align: 8
    .kernarg_segment_size: 296
    .language:       OpenCL C
    .language_version:
      - 2
      - 0
    .max_flat_workgroup_size: 128
    .name:           _ZN7rocprim17ROCPRIM_400000_NS6detail17trampoline_kernelINS0_14default_configENS1_25transform_config_selectorIfLb0EEEZNS1_14transform_implILb0ES3_S5_PfN6thrust23THRUST_200600_302600_NS6detail15normal_iteratorINS9_10device_ptrIfEEEENS0_8identityIfEEEE10hipError_tT2_T3_mT4_P12ihipStream_tbEUlT_E_NS1_11comp_targetILNS1_3genE0ELNS1_11target_archE4294967295ELNS1_3gpuE0ELNS1_3repE0EEENS1_30default_config_static_selectorELNS0_4arch9wavefront6targetE1EEEvT1_
    .private_segment_fixed_size: 0
    .sgpr_count:     22
    .sgpr_spill_count: 0
    .symbol:         _ZN7rocprim17ROCPRIM_400000_NS6detail17trampoline_kernelINS0_14default_configENS1_25transform_config_selectorIfLb0EEEZNS1_14transform_implILb0ES3_S5_PfN6thrust23THRUST_200600_302600_NS6detail15normal_iteratorINS9_10device_ptrIfEEEENS0_8identityIfEEEE10hipError_tT2_T3_mT4_P12ihipStream_tbEUlT_E_NS1_11comp_targetILNS1_3genE0ELNS1_11target_archE4294967295ELNS1_3gpuE0ELNS1_3repE0EEENS1_30default_config_static_selectorELNS0_4arch9wavefront6targetE1EEEvT1_.kd
    .uniform_work_group_size: 1
    .uses_dynamic_stack: false
    .vgpr_count:     7
    .vgpr_spill_count: 0
    .wavefront_size: 64
  - .agpr_count:     0
    .args:
      - .offset:         0
        .size:           40
        .value_kind:     by_value
    .group_segment_fixed_size: 0
    .kernarg_segment_align: 8
    .kernarg_segment_size: 40
    .language:       OpenCL C
    .language_version:
      - 2
      - 0
    .max_flat_workgroup_size: 256
    .name:           _ZN7rocprim17ROCPRIM_400000_NS6detail17trampoline_kernelINS0_14default_configENS1_25transform_config_selectorIfLb0EEEZNS1_14transform_implILb0ES3_S5_PfN6thrust23THRUST_200600_302600_NS6detail15normal_iteratorINS9_10device_ptrIfEEEENS0_8identityIfEEEE10hipError_tT2_T3_mT4_P12ihipStream_tbEUlT_E_NS1_11comp_targetILNS1_3genE5ELNS1_11target_archE942ELNS1_3gpuE9ELNS1_3repE0EEENS1_30default_config_static_selectorELNS0_4arch9wavefront6targetE1EEEvT1_
    .private_segment_fixed_size: 0
    .sgpr_count:     6
    .sgpr_spill_count: 0
    .symbol:         _ZN7rocprim17ROCPRIM_400000_NS6detail17trampoline_kernelINS0_14default_configENS1_25transform_config_selectorIfLb0EEEZNS1_14transform_implILb0ES3_S5_PfN6thrust23THRUST_200600_302600_NS6detail15normal_iteratorINS9_10device_ptrIfEEEENS0_8identityIfEEEE10hipError_tT2_T3_mT4_P12ihipStream_tbEUlT_E_NS1_11comp_targetILNS1_3genE5ELNS1_11target_archE942ELNS1_3gpuE9ELNS1_3repE0EEENS1_30default_config_static_selectorELNS0_4arch9wavefront6targetE1EEEvT1_.kd
    .uniform_work_group_size: 1
    .uses_dynamic_stack: false
    .vgpr_count:     0
    .vgpr_spill_count: 0
    .wavefront_size: 64
  - .agpr_count:     0
    .args:
      - .offset:         0
        .size:           40
        .value_kind:     by_value
    .group_segment_fixed_size: 0
    .kernarg_segment_align: 8
    .kernarg_segment_size: 40
    .language:       OpenCL C
    .language_version:
      - 2
      - 0
    .max_flat_workgroup_size: 1024
    .name:           _ZN7rocprim17ROCPRIM_400000_NS6detail17trampoline_kernelINS0_14default_configENS1_25transform_config_selectorIfLb0EEEZNS1_14transform_implILb0ES3_S5_PfN6thrust23THRUST_200600_302600_NS6detail15normal_iteratorINS9_10device_ptrIfEEEENS0_8identityIfEEEE10hipError_tT2_T3_mT4_P12ihipStream_tbEUlT_E_NS1_11comp_targetILNS1_3genE4ELNS1_11target_archE910ELNS1_3gpuE8ELNS1_3repE0EEENS1_30default_config_static_selectorELNS0_4arch9wavefront6targetE1EEEvT1_
    .private_segment_fixed_size: 0
    .sgpr_count:     6
    .sgpr_spill_count: 0
    .symbol:         _ZN7rocprim17ROCPRIM_400000_NS6detail17trampoline_kernelINS0_14default_configENS1_25transform_config_selectorIfLb0EEEZNS1_14transform_implILb0ES3_S5_PfN6thrust23THRUST_200600_302600_NS6detail15normal_iteratorINS9_10device_ptrIfEEEENS0_8identityIfEEEE10hipError_tT2_T3_mT4_P12ihipStream_tbEUlT_E_NS1_11comp_targetILNS1_3genE4ELNS1_11target_archE910ELNS1_3gpuE8ELNS1_3repE0EEENS1_30default_config_static_selectorELNS0_4arch9wavefront6targetE1EEEvT1_.kd
    .uniform_work_group_size: 1
    .uses_dynamic_stack: false
    .vgpr_count:     0
    .vgpr_spill_count: 0
    .wavefront_size: 64
  - .agpr_count:     0
    .args:
      - .offset:         0
        .size:           40
        .value_kind:     by_value
    .group_segment_fixed_size: 0
    .kernarg_segment_align: 8
    .kernarg_segment_size: 40
    .language:       OpenCL C
    .language_version:
      - 2
      - 0
    .max_flat_workgroup_size: 128
    .name:           _ZN7rocprim17ROCPRIM_400000_NS6detail17trampoline_kernelINS0_14default_configENS1_25transform_config_selectorIfLb0EEEZNS1_14transform_implILb0ES3_S5_PfN6thrust23THRUST_200600_302600_NS6detail15normal_iteratorINS9_10device_ptrIfEEEENS0_8identityIfEEEE10hipError_tT2_T3_mT4_P12ihipStream_tbEUlT_E_NS1_11comp_targetILNS1_3genE3ELNS1_11target_archE908ELNS1_3gpuE7ELNS1_3repE0EEENS1_30default_config_static_selectorELNS0_4arch9wavefront6targetE1EEEvT1_
    .private_segment_fixed_size: 0
    .sgpr_count:     6
    .sgpr_spill_count: 0
    .symbol:         _ZN7rocprim17ROCPRIM_400000_NS6detail17trampoline_kernelINS0_14default_configENS1_25transform_config_selectorIfLb0EEEZNS1_14transform_implILb0ES3_S5_PfN6thrust23THRUST_200600_302600_NS6detail15normal_iteratorINS9_10device_ptrIfEEEENS0_8identityIfEEEE10hipError_tT2_T3_mT4_P12ihipStream_tbEUlT_E_NS1_11comp_targetILNS1_3genE3ELNS1_11target_archE908ELNS1_3gpuE7ELNS1_3repE0EEENS1_30default_config_static_selectorELNS0_4arch9wavefront6targetE1EEEvT1_.kd
    .uniform_work_group_size: 1
    .uses_dynamic_stack: false
    .vgpr_count:     0
    .vgpr_spill_count: 0
    .wavefront_size: 64
  - .agpr_count:     0
    .args:
      - .offset:         0
        .size:           40
        .value_kind:     by_value
    .group_segment_fixed_size: 0
    .kernarg_segment_align: 8
    .kernarg_segment_size: 40
    .language:       OpenCL C
    .language_version:
      - 2
      - 0
    .max_flat_workgroup_size: 1024
    .name:           _ZN7rocprim17ROCPRIM_400000_NS6detail17trampoline_kernelINS0_14default_configENS1_25transform_config_selectorIfLb0EEEZNS1_14transform_implILb0ES3_S5_PfN6thrust23THRUST_200600_302600_NS6detail15normal_iteratorINS9_10device_ptrIfEEEENS0_8identityIfEEEE10hipError_tT2_T3_mT4_P12ihipStream_tbEUlT_E_NS1_11comp_targetILNS1_3genE2ELNS1_11target_archE906ELNS1_3gpuE6ELNS1_3repE0EEENS1_30default_config_static_selectorELNS0_4arch9wavefront6targetE1EEEvT1_
    .private_segment_fixed_size: 0
    .sgpr_count:     6
    .sgpr_spill_count: 0
    .symbol:         _ZN7rocprim17ROCPRIM_400000_NS6detail17trampoline_kernelINS0_14default_configENS1_25transform_config_selectorIfLb0EEEZNS1_14transform_implILb0ES3_S5_PfN6thrust23THRUST_200600_302600_NS6detail15normal_iteratorINS9_10device_ptrIfEEEENS0_8identityIfEEEE10hipError_tT2_T3_mT4_P12ihipStream_tbEUlT_E_NS1_11comp_targetILNS1_3genE2ELNS1_11target_archE906ELNS1_3gpuE6ELNS1_3repE0EEENS1_30default_config_static_selectorELNS0_4arch9wavefront6targetE1EEEvT1_.kd
    .uniform_work_group_size: 1
    .uses_dynamic_stack: false
    .vgpr_count:     0
    .vgpr_spill_count: 0
    .wavefront_size: 64
  - .agpr_count:     0
    .args:
      - .offset:         0
        .size:           40
        .value_kind:     by_value
    .group_segment_fixed_size: 0
    .kernarg_segment_align: 8
    .kernarg_segment_size: 40
    .language:       OpenCL C
    .language_version:
      - 2
      - 0
    .max_flat_workgroup_size: 512
    .name:           _ZN7rocprim17ROCPRIM_400000_NS6detail17trampoline_kernelINS0_14default_configENS1_25transform_config_selectorIfLb0EEEZNS1_14transform_implILb0ES3_S5_PfN6thrust23THRUST_200600_302600_NS6detail15normal_iteratorINS9_10device_ptrIfEEEENS0_8identityIfEEEE10hipError_tT2_T3_mT4_P12ihipStream_tbEUlT_E_NS1_11comp_targetILNS1_3genE10ELNS1_11target_archE1201ELNS1_3gpuE5ELNS1_3repE0EEENS1_30default_config_static_selectorELNS0_4arch9wavefront6targetE1EEEvT1_
    .private_segment_fixed_size: 0
    .sgpr_count:     6
    .sgpr_spill_count: 0
    .symbol:         _ZN7rocprim17ROCPRIM_400000_NS6detail17trampoline_kernelINS0_14default_configENS1_25transform_config_selectorIfLb0EEEZNS1_14transform_implILb0ES3_S5_PfN6thrust23THRUST_200600_302600_NS6detail15normal_iteratorINS9_10device_ptrIfEEEENS0_8identityIfEEEE10hipError_tT2_T3_mT4_P12ihipStream_tbEUlT_E_NS1_11comp_targetILNS1_3genE10ELNS1_11target_archE1201ELNS1_3gpuE5ELNS1_3repE0EEENS1_30default_config_static_selectorELNS0_4arch9wavefront6targetE1EEEvT1_.kd
    .uniform_work_group_size: 1
    .uses_dynamic_stack: false
    .vgpr_count:     0
    .vgpr_spill_count: 0
    .wavefront_size: 64
  - .agpr_count:     0
    .args:
      - .offset:         0
        .size:           40
        .value_kind:     by_value
    .group_segment_fixed_size: 0
    .kernarg_segment_align: 8
    .kernarg_segment_size: 40
    .language:       OpenCL C
    .language_version:
      - 2
      - 0
    .max_flat_workgroup_size: 512
    .name:           _ZN7rocprim17ROCPRIM_400000_NS6detail17trampoline_kernelINS0_14default_configENS1_25transform_config_selectorIfLb0EEEZNS1_14transform_implILb0ES3_S5_PfN6thrust23THRUST_200600_302600_NS6detail15normal_iteratorINS9_10device_ptrIfEEEENS0_8identityIfEEEE10hipError_tT2_T3_mT4_P12ihipStream_tbEUlT_E_NS1_11comp_targetILNS1_3genE10ELNS1_11target_archE1200ELNS1_3gpuE4ELNS1_3repE0EEENS1_30default_config_static_selectorELNS0_4arch9wavefront6targetE1EEEvT1_
    .private_segment_fixed_size: 0
    .sgpr_count:     6
    .sgpr_spill_count: 0
    .symbol:         _ZN7rocprim17ROCPRIM_400000_NS6detail17trampoline_kernelINS0_14default_configENS1_25transform_config_selectorIfLb0EEEZNS1_14transform_implILb0ES3_S5_PfN6thrust23THRUST_200600_302600_NS6detail15normal_iteratorINS9_10device_ptrIfEEEENS0_8identityIfEEEE10hipError_tT2_T3_mT4_P12ihipStream_tbEUlT_E_NS1_11comp_targetILNS1_3genE10ELNS1_11target_archE1200ELNS1_3gpuE4ELNS1_3repE0EEENS1_30default_config_static_selectorELNS0_4arch9wavefront6targetE1EEEvT1_.kd
    .uniform_work_group_size: 1
    .uses_dynamic_stack: false
    .vgpr_count:     0
    .vgpr_spill_count: 0
    .wavefront_size: 64
  - .agpr_count:     0
    .args:
      - .offset:         0
        .size:           40
        .value_kind:     by_value
    .group_segment_fixed_size: 0
    .kernarg_segment_align: 8
    .kernarg_segment_size: 40
    .language:       OpenCL C
    .language_version:
      - 2
      - 0
    .max_flat_workgroup_size: 1024
    .name:           _ZN7rocprim17ROCPRIM_400000_NS6detail17trampoline_kernelINS0_14default_configENS1_25transform_config_selectorIfLb0EEEZNS1_14transform_implILb0ES3_S5_PfN6thrust23THRUST_200600_302600_NS6detail15normal_iteratorINS9_10device_ptrIfEEEENS0_8identityIfEEEE10hipError_tT2_T3_mT4_P12ihipStream_tbEUlT_E_NS1_11comp_targetILNS1_3genE9ELNS1_11target_archE1100ELNS1_3gpuE3ELNS1_3repE0EEENS1_30default_config_static_selectorELNS0_4arch9wavefront6targetE1EEEvT1_
    .private_segment_fixed_size: 0
    .sgpr_count:     6
    .sgpr_spill_count: 0
    .symbol:         _ZN7rocprim17ROCPRIM_400000_NS6detail17trampoline_kernelINS0_14default_configENS1_25transform_config_selectorIfLb0EEEZNS1_14transform_implILb0ES3_S5_PfN6thrust23THRUST_200600_302600_NS6detail15normal_iteratorINS9_10device_ptrIfEEEENS0_8identityIfEEEE10hipError_tT2_T3_mT4_P12ihipStream_tbEUlT_E_NS1_11comp_targetILNS1_3genE9ELNS1_11target_archE1100ELNS1_3gpuE3ELNS1_3repE0EEENS1_30default_config_static_selectorELNS0_4arch9wavefront6targetE1EEEvT1_.kd
    .uniform_work_group_size: 1
    .uses_dynamic_stack: false
    .vgpr_count:     0
    .vgpr_spill_count: 0
    .wavefront_size: 64
  - .agpr_count:     0
    .args:
      - .offset:         0
        .size:           40
        .value_kind:     by_value
    .group_segment_fixed_size: 0
    .kernarg_segment_align: 8
    .kernarg_segment_size: 40
    .language:       OpenCL C
    .language_version:
      - 2
      - 0
    .max_flat_workgroup_size: 256
    .name:           _ZN7rocprim17ROCPRIM_400000_NS6detail17trampoline_kernelINS0_14default_configENS1_25transform_config_selectorIfLb0EEEZNS1_14transform_implILb0ES3_S5_PfN6thrust23THRUST_200600_302600_NS6detail15normal_iteratorINS9_10device_ptrIfEEEENS0_8identityIfEEEE10hipError_tT2_T3_mT4_P12ihipStream_tbEUlT_E_NS1_11comp_targetILNS1_3genE8ELNS1_11target_archE1030ELNS1_3gpuE2ELNS1_3repE0EEENS1_30default_config_static_selectorELNS0_4arch9wavefront6targetE1EEEvT1_
    .private_segment_fixed_size: 0
    .sgpr_count:     6
    .sgpr_spill_count: 0
    .symbol:         _ZN7rocprim17ROCPRIM_400000_NS6detail17trampoline_kernelINS0_14default_configENS1_25transform_config_selectorIfLb0EEEZNS1_14transform_implILb0ES3_S5_PfN6thrust23THRUST_200600_302600_NS6detail15normal_iteratorINS9_10device_ptrIfEEEENS0_8identityIfEEEE10hipError_tT2_T3_mT4_P12ihipStream_tbEUlT_E_NS1_11comp_targetILNS1_3genE8ELNS1_11target_archE1030ELNS1_3gpuE2ELNS1_3repE0EEENS1_30default_config_static_selectorELNS0_4arch9wavefront6targetE1EEEvT1_.kd
    .uniform_work_group_size: 1
    .uses_dynamic_stack: false
    .vgpr_count:     0
    .vgpr_spill_count: 0
    .wavefront_size: 64
  - .agpr_count:     0
    .args:
      - .offset:         0
        .size:           40
        .value_kind:     by_value
    .group_segment_fixed_size: 0
    .kernarg_segment_align: 8
    .kernarg_segment_size: 40
    .language:       OpenCL C
    .language_version:
      - 2
      - 0
    .max_flat_workgroup_size: 256
    .name:           _ZN7rocprim17ROCPRIM_400000_NS6detail17trampoline_kernelINS0_14default_configENS1_35radix_sort_onesweep_config_selectorIffEEZNS1_34radix_sort_onesweep_global_offsetsIS3_Lb0EN6thrust23THRUST_200600_302600_NS6detail15normal_iteratorINS8_10device_ptrIfEEEESD_jNS0_19identity_decomposerEEE10hipError_tT1_T2_PT3_SI_jT4_jjP12ihipStream_tbEUlT_E_NS1_11comp_targetILNS1_3genE0ELNS1_11target_archE4294967295ELNS1_3gpuE0ELNS1_3repE0EEENS1_52radix_sort_onesweep_histogram_config_static_selectorELNS0_4arch9wavefront6targetE1EEEvSG_
    .private_segment_fixed_size: 0
    .sgpr_count:     6
    .sgpr_spill_count: 0
    .symbol:         _ZN7rocprim17ROCPRIM_400000_NS6detail17trampoline_kernelINS0_14default_configENS1_35radix_sort_onesweep_config_selectorIffEEZNS1_34radix_sort_onesweep_global_offsetsIS3_Lb0EN6thrust23THRUST_200600_302600_NS6detail15normal_iteratorINS8_10device_ptrIfEEEESD_jNS0_19identity_decomposerEEE10hipError_tT1_T2_PT3_SI_jT4_jjP12ihipStream_tbEUlT_E_NS1_11comp_targetILNS1_3genE0ELNS1_11target_archE4294967295ELNS1_3gpuE0ELNS1_3repE0EEENS1_52radix_sort_onesweep_histogram_config_static_selectorELNS0_4arch9wavefront6targetE1EEEvSG_.kd
    .uniform_work_group_size: 1
    .uses_dynamic_stack: false
    .vgpr_count:     0
    .vgpr_spill_count: 0
    .wavefront_size: 64
  - .agpr_count:     0
    .args:
      - .offset:         0
        .size:           40
        .value_kind:     by_value
    .group_segment_fixed_size: 16384
    .kernarg_segment_align: 8
    .kernarg_segment_size: 40
    .language:       OpenCL C
    .language_version:
      - 2
      - 0
    .max_flat_workgroup_size: 1024
    .name:           _ZN7rocprim17ROCPRIM_400000_NS6detail17trampoline_kernelINS0_14default_configENS1_35radix_sort_onesweep_config_selectorIffEEZNS1_34radix_sort_onesweep_global_offsetsIS3_Lb0EN6thrust23THRUST_200600_302600_NS6detail15normal_iteratorINS8_10device_ptrIfEEEESD_jNS0_19identity_decomposerEEE10hipError_tT1_T2_PT3_SI_jT4_jjP12ihipStream_tbEUlT_E_NS1_11comp_targetILNS1_3genE6ELNS1_11target_archE950ELNS1_3gpuE13ELNS1_3repE0EEENS1_52radix_sort_onesweep_histogram_config_static_selectorELNS0_4arch9wavefront6targetE1EEEvSG_
    .private_segment_fixed_size: 0
    .sgpr_count:     25
    .sgpr_spill_count: 0
    .symbol:         _ZN7rocprim17ROCPRIM_400000_NS6detail17trampoline_kernelINS0_14default_configENS1_35radix_sort_onesweep_config_selectorIffEEZNS1_34radix_sort_onesweep_global_offsetsIS3_Lb0EN6thrust23THRUST_200600_302600_NS6detail15normal_iteratorINS8_10device_ptrIfEEEESD_jNS0_19identity_decomposerEEE10hipError_tT1_T2_PT3_SI_jT4_jjP12ihipStream_tbEUlT_E_NS1_11comp_targetILNS1_3genE6ELNS1_11target_archE950ELNS1_3gpuE13ELNS1_3repE0EEENS1_52radix_sort_onesweep_histogram_config_static_selectorELNS0_4arch9wavefront6targetE1EEEvSG_.kd
    .uniform_work_group_size: 1
    .uses_dynamic_stack: false
    .vgpr_count:     22
    .vgpr_spill_count: 0
    .wavefront_size: 64
  - .agpr_count:     0
    .args:
      - .offset:         0
        .size:           40
        .value_kind:     by_value
    .group_segment_fixed_size: 0
    .kernarg_segment_align: 8
    .kernarg_segment_size: 40
    .language:       OpenCL C
    .language_version:
      - 2
      - 0
    .max_flat_workgroup_size: 1024
    .name:           _ZN7rocprim17ROCPRIM_400000_NS6detail17trampoline_kernelINS0_14default_configENS1_35radix_sort_onesweep_config_selectorIffEEZNS1_34radix_sort_onesweep_global_offsetsIS3_Lb0EN6thrust23THRUST_200600_302600_NS6detail15normal_iteratorINS8_10device_ptrIfEEEESD_jNS0_19identity_decomposerEEE10hipError_tT1_T2_PT3_SI_jT4_jjP12ihipStream_tbEUlT_E_NS1_11comp_targetILNS1_3genE5ELNS1_11target_archE942ELNS1_3gpuE9ELNS1_3repE0EEENS1_52radix_sort_onesweep_histogram_config_static_selectorELNS0_4arch9wavefront6targetE1EEEvSG_
    .private_segment_fixed_size: 0
    .sgpr_count:     6
    .sgpr_spill_count: 0
    .symbol:         _ZN7rocprim17ROCPRIM_400000_NS6detail17trampoline_kernelINS0_14default_configENS1_35radix_sort_onesweep_config_selectorIffEEZNS1_34radix_sort_onesweep_global_offsetsIS3_Lb0EN6thrust23THRUST_200600_302600_NS6detail15normal_iteratorINS8_10device_ptrIfEEEESD_jNS0_19identity_decomposerEEE10hipError_tT1_T2_PT3_SI_jT4_jjP12ihipStream_tbEUlT_E_NS1_11comp_targetILNS1_3genE5ELNS1_11target_archE942ELNS1_3gpuE9ELNS1_3repE0EEENS1_52radix_sort_onesweep_histogram_config_static_selectorELNS0_4arch9wavefront6targetE1EEEvSG_.kd
    .uniform_work_group_size: 1
    .uses_dynamic_stack: false
    .vgpr_count:     0
    .vgpr_spill_count: 0
    .wavefront_size: 64
  - .agpr_count:     0
    .args:
      - .offset:         0
        .size:           40
        .value_kind:     by_value
    .group_segment_fixed_size: 0
    .kernarg_segment_align: 8
    .kernarg_segment_size: 40
    .language:       OpenCL C
    .language_version:
      - 2
      - 0
    .max_flat_workgroup_size: 512
    .name:           _ZN7rocprim17ROCPRIM_400000_NS6detail17trampoline_kernelINS0_14default_configENS1_35radix_sort_onesweep_config_selectorIffEEZNS1_34radix_sort_onesweep_global_offsetsIS3_Lb0EN6thrust23THRUST_200600_302600_NS6detail15normal_iteratorINS8_10device_ptrIfEEEESD_jNS0_19identity_decomposerEEE10hipError_tT1_T2_PT3_SI_jT4_jjP12ihipStream_tbEUlT_E_NS1_11comp_targetILNS1_3genE2ELNS1_11target_archE906ELNS1_3gpuE6ELNS1_3repE0EEENS1_52radix_sort_onesweep_histogram_config_static_selectorELNS0_4arch9wavefront6targetE1EEEvSG_
    .private_segment_fixed_size: 0
    .sgpr_count:     6
    .sgpr_spill_count: 0
    .symbol:         _ZN7rocprim17ROCPRIM_400000_NS6detail17trampoline_kernelINS0_14default_configENS1_35radix_sort_onesweep_config_selectorIffEEZNS1_34radix_sort_onesweep_global_offsetsIS3_Lb0EN6thrust23THRUST_200600_302600_NS6detail15normal_iteratorINS8_10device_ptrIfEEEESD_jNS0_19identity_decomposerEEE10hipError_tT1_T2_PT3_SI_jT4_jjP12ihipStream_tbEUlT_E_NS1_11comp_targetILNS1_3genE2ELNS1_11target_archE906ELNS1_3gpuE6ELNS1_3repE0EEENS1_52radix_sort_onesweep_histogram_config_static_selectorELNS0_4arch9wavefront6targetE1EEEvSG_.kd
    .uniform_work_group_size: 1
    .uses_dynamic_stack: false
    .vgpr_count:     0
    .vgpr_spill_count: 0
    .wavefront_size: 64
  - .agpr_count:     0
    .args:
      - .offset:         0
        .size:           40
        .value_kind:     by_value
    .group_segment_fixed_size: 0
    .kernarg_segment_align: 8
    .kernarg_segment_size: 40
    .language:       OpenCL C
    .language_version:
      - 2
      - 0
    .max_flat_workgroup_size: 512
    .name:           _ZN7rocprim17ROCPRIM_400000_NS6detail17trampoline_kernelINS0_14default_configENS1_35radix_sort_onesweep_config_selectorIffEEZNS1_34radix_sort_onesweep_global_offsetsIS3_Lb0EN6thrust23THRUST_200600_302600_NS6detail15normal_iteratorINS8_10device_ptrIfEEEESD_jNS0_19identity_decomposerEEE10hipError_tT1_T2_PT3_SI_jT4_jjP12ihipStream_tbEUlT_E_NS1_11comp_targetILNS1_3genE4ELNS1_11target_archE910ELNS1_3gpuE8ELNS1_3repE0EEENS1_52radix_sort_onesweep_histogram_config_static_selectorELNS0_4arch9wavefront6targetE1EEEvSG_
    .private_segment_fixed_size: 0
    .sgpr_count:     6
    .sgpr_spill_count: 0
    .symbol:         _ZN7rocprim17ROCPRIM_400000_NS6detail17trampoline_kernelINS0_14default_configENS1_35radix_sort_onesweep_config_selectorIffEEZNS1_34radix_sort_onesweep_global_offsetsIS3_Lb0EN6thrust23THRUST_200600_302600_NS6detail15normal_iteratorINS8_10device_ptrIfEEEESD_jNS0_19identity_decomposerEEE10hipError_tT1_T2_PT3_SI_jT4_jjP12ihipStream_tbEUlT_E_NS1_11comp_targetILNS1_3genE4ELNS1_11target_archE910ELNS1_3gpuE8ELNS1_3repE0EEENS1_52radix_sort_onesweep_histogram_config_static_selectorELNS0_4arch9wavefront6targetE1EEEvSG_.kd
    .uniform_work_group_size: 1
    .uses_dynamic_stack: false
    .vgpr_count:     0
    .vgpr_spill_count: 0
    .wavefront_size: 64
  - .agpr_count:     0
    .args:
      - .offset:         0
        .size:           40
        .value_kind:     by_value
    .group_segment_fixed_size: 0
    .kernarg_segment_align: 8
    .kernarg_segment_size: 40
    .language:       OpenCL C
    .language_version:
      - 2
      - 0
    .max_flat_workgroup_size: 256
    .name:           _ZN7rocprim17ROCPRIM_400000_NS6detail17trampoline_kernelINS0_14default_configENS1_35radix_sort_onesweep_config_selectorIffEEZNS1_34radix_sort_onesweep_global_offsetsIS3_Lb0EN6thrust23THRUST_200600_302600_NS6detail15normal_iteratorINS8_10device_ptrIfEEEESD_jNS0_19identity_decomposerEEE10hipError_tT1_T2_PT3_SI_jT4_jjP12ihipStream_tbEUlT_E_NS1_11comp_targetILNS1_3genE3ELNS1_11target_archE908ELNS1_3gpuE7ELNS1_3repE0EEENS1_52radix_sort_onesweep_histogram_config_static_selectorELNS0_4arch9wavefront6targetE1EEEvSG_
    .private_segment_fixed_size: 0
    .sgpr_count:     6
    .sgpr_spill_count: 0
    .symbol:         _ZN7rocprim17ROCPRIM_400000_NS6detail17trampoline_kernelINS0_14default_configENS1_35radix_sort_onesweep_config_selectorIffEEZNS1_34radix_sort_onesweep_global_offsetsIS3_Lb0EN6thrust23THRUST_200600_302600_NS6detail15normal_iteratorINS8_10device_ptrIfEEEESD_jNS0_19identity_decomposerEEE10hipError_tT1_T2_PT3_SI_jT4_jjP12ihipStream_tbEUlT_E_NS1_11comp_targetILNS1_3genE3ELNS1_11target_archE908ELNS1_3gpuE7ELNS1_3repE0EEENS1_52radix_sort_onesweep_histogram_config_static_selectorELNS0_4arch9wavefront6targetE1EEEvSG_.kd
    .uniform_work_group_size: 1
    .uses_dynamic_stack: false
    .vgpr_count:     0
    .vgpr_spill_count: 0
    .wavefront_size: 64
  - .agpr_count:     0
    .args:
      - .offset:         0
        .size:           40
        .value_kind:     by_value
    .group_segment_fixed_size: 0
    .kernarg_segment_align: 8
    .kernarg_segment_size: 40
    .language:       OpenCL C
    .language_version:
      - 2
      - 0
    .max_flat_workgroup_size: 1024
    .name:           _ZN7rocprim17ROCPRIM_400000_NS6detail17trampoline_kernelINS0_14default_configENS1_35radix_sort_onesweep_config_selectorIffEEZNS1_34radix_sort_onesweep_global_offsetsIS3_Lb0EN6thrust23THRUST_200600_302600_NS6detail15normal_iteratorINS8_10device_ptrIfEEEESD_jNS0_19identity_decomposerEEE10hipError_tT1_T2_PT3_SI_jT4_jjP12ihipStream_tbEUlT_E_NS1_11comp_targetILNS1_3genE10ELNS1_11target_archE1201ELNS1_3gpuE5ELNS1_3repE0EEENS1_52radix_sort_onesweep_histogram_config_static_selectorELNS0_4arch9wavefront6targetE1EEEvSG_
    .private_segment_fixed_size: 0
    .sgpr_count:     6
    .sgpr_spill_count: 0
    .symbol:         _ZN7rocprim17ROCPRIM_400000_NS6detail17trampoline_kernelINS0_14default_configENS1_35radix_sort_onesweep_config_selectorIffEEZNS1_34radix_sort_onesweep_global_offsetsIS3_Lb0EN6thrust23THRUST_200600_302600_NS6detail15normal_iteratorINS8_10device_ptrIfEEEESD_jNS0_19identity_decomposerEEE10hipError_tT1_T2_PT3_SI_jT4_jjP12ihipStream_tbEUlT_E_NS1_11comp_targetILNS1_3genE10ELNS1_11target_archE1201ELNS1_3gpuE5ELNS1_3repE0EEENS1_52radix_sort_onesweep_histogram_config_static_selectorELNS0_4arch9wavefront6targetE1EEEvSG_.kd
    .uniform_work_group_size: 1
    .uses_dynamic_stack: false
    .vgpr_count:     0
    .vgpr_spill_count: 0
    .wavefront_size: 64
  - .agpr_count:     0
    .args:
      - .offset:         0
        .size:           40
        .value_kind:     by_value
    .group_segment_fixed_size: 0
    .kernarg_segment_align: 8
    .kernarg_segment_size: 40
    .language:       OpenCL C
    .language_version:
      - 2
      - 0
    .max_flat_workgroup_size: 1024
    .name:           _ZN7rocprim17ROCPRIM_400000_NS6detail17trampoline_kernelINS0_14default_configENS1_35radix_sort_onesweep_config_selectorIffEEZNS1_34radix_sort_onesweep_global_offsetsIS3_Lb0EN6thrust23THRUST_200600_302600_NS6detail15normal_iteratorINS8_10device_ptrIfEEEESD_jNS0_19identity_decomposerEEE10hipError_tT1_T2_PT3_SI_jT4_jjP12ihipStream_tbEUlT_E_NS1_11comp_targetILNS1_3genE9ELNS1_11target_archE1100ELNS1_3gpuE3ELNS1_3repE0EEENS1_52radix_sort_onesweep_histogram_config_static_selectorELNS0_4arch9wavefront6targetE1EEEvSG_
    .private_segment_fixed_size: 0
    .sgpr_count:     6
    .sgpr_spill_count: 0
    .symbol:         _ZN7rocprim17ROCPRIM_400000_NS6detail17trampoline_kernelINS0_14default_configENS1_35radix_sort_onesweep_config_selectorIffEEZNS1_34radix_sort_onesweep_global_offsetsIS3_Lb0EN6thrust23THRUST_200600_302600_NS6detail15normal_iteratorINS8_10device_ptrIfEEEESD_jNS0_19identity_decomposerEEE10hipError_tT1_T2_PT3_SI_jT4_jjP12ihipStream_tbEUlT_E_NS1_11comp_targetILNS1_3genE9ELNS1_11target_archE1100ELNS1_3gpuE3ELNS1_3repE0EEENS1_52radix_sort_onesweep_histogram_config_static_selectorELNS0_4arch9wavefront6targetE1EEEvSG_.kd
    .uniform_work_group_size: 1
    .uses_dynamic_stack: false
    .vgpr_count:     0
    .vgpr_spill_count: 0
    .wavefront_size: 64
  - .agpr_count:     0
    .args:
      - .offset:         0
        .size:           40
        .value_kind:     by_value
    .group_segment_fixed_size: 0
    .kernarg_segment_align: 8
    .kernarg_segment_size: 40
    .language:       OpenCL C
    .language_version:
      - 2
      - 0
    .max_flat_workgroup_size: 1024
    .name:           _ZN7rocprim17ROCPRIM_400000_NS6detail17trampoline_kernelINS0_14default_configENS1_35radix_sort_onesweep_config_selectorIffEEZNS1_34radix_sort_onesweep_global_offsetsIS3_Lb0EN6thrust23THRUST_200600_302600_NS6detail15normal_iteratorINS8_10device_ptrIfEEEESD_jNS0_19identity_decomposerEEE10hipError_tT1_T2_PT3_SI_jT4_jjP12ihipStream_tbEUlT_E_NS1_11comp_targetILNS1_3genE8ELNS1_11target_archE1030ELNS1_3gpuE2ELNS1_3repE0EEENS1_52radix_sort_onesweep_histogram_config_static_selectorELNS0_4arch9wavefront6targetE1EEEvSG_
    .private_segment_fixed_size: 0
    .sgpr_count:     6
    .sgpr_spill_count: 0
    .symbol:         _ZN7rocprim17ROCPRIM_400000_NS6detail17trampoline_kernelINS0_14default_configENS1_35radix_sort_onesweep_config_selectorIffEEZNS1_34radix_sort_onesweep_global_offsetsIS3_Lb0EN6thrust23THRUST_200600_302600_NS6detail15normal_iteratorINS8_10device_ptrIfEEEESD_jNS0_19identity_decomposerEEE10hipError_tT1_T2_PT3_SI_jT4_jjP12ihipStream_tbEUlT_E_NS1_11comp_targetILNS1_3genE8ELNS1_11target_archE1030ELNS1_3gpuE2ELNS1_3repE0EEENS1_52radix_sort_onesweep_histogram_config_static_selectorELNS0_4arch9wavefront6targetE1EEEvSG_.kd
    .uniform_work_group_size: 1
    .uses_dynamic_stack: false
    .vgpr_count:     0
    .vgpr_spill_count: 0
    .wavefront_size: 64
  - .agpr_count:     0
    .args:
      - .address_space:  global
        .offset:         0
        .size:           8
        .value_kind:     global_buffer
    .group_segment_fixed_size: 0
    .kernarg_segment_align: 8
    .kernarg_segment_size: 8
    .language:       OpenCL C
    .language_version:
      - 2
      - 0
    .max_flat_workgroup_size: 256
    .name:           _ZN7rocprim17ROCPRIM_400000_NS6detail17trampoline_kernelINS0_14default_configENS1_35radix_sort_onesweep_config_selectorIffEEZNS1_34radix_sort_onesweep_global_offsetsIS3_Lb0EN6thrust23THRUST_200600_302600_NS6detail15normal_iteratorINS8_10device_ptrIfEEEESD_jNS0_19identity_decomposerEEE10hipError_tT1_T2_PT3_SI_jT4_jjP12ihipStream_tbEUlT_E0_NS1_11comp_targetILNS1_3genE0ELNS1_11target_archE4294967295ELNS1_3gpuE0ELNS1_3repE0EEENS1_52radix_sort_onesweep_histogram_config_static_selectorELNS0_4arch9wavefront6targetE1EEEvSG_
    .private_segment_fixed_size: 0
    .sgpr_count:     6
    .sgpr_spill_count: 0
    .symbol:         _ZN7rocprim17ROCPRIM_400000_NS6detail17trampoline_kernelINS0_14default_configENS1_35radix_sort_onesweep_config_selectorIffEEZNS1_34radix_sort_onesweep_global_offsetsIS3_Lb0EN6thrust23THRUST_200600_302600_NS6detail15normal_iteratorINS8_10device_ptrIfEEEESD_jNS0_19identity_decomposerEEE10hipError_tT1_T2_PT3_SI_jT4_jjP12ihipStream_tbEUlT_E0_NS1_11comp_targetILNS1_3genE0ELNS1_11target_archE4294967295ELNS1_3gpuE0ELNS1_3repE0EEENS1_52radix_sort_onesweep_histogram_config_static_selectorELNS0_4arch9wavefront6targetE1EEEvSG_.kd
    .uniform_work_group_size: 1
    .uses_dynamic_stack: false
    .vgpr_count:     0
    .vgpr_spill_count: 0
    .wavefront_size: 64
  - .agpr_count:     0
    .args:
      - .address_space:  global
        .offset:         0
        .size:           8
        .value_kind:     global_buffer
    .group_segment_fixed_size: 64
    .kernarg_segment_align: 8
    .kernarg_segment_size: 8
    .language:       OpenCL C
    .language_version:
      - 2
      - 0
    .max_flat_workgroup_size: 1024
    .name:           _ZN7rocprim17ROCPRIM_400000_NS6detail17trampoline_kernelINS0_14default_configENS1_35radix_sort_onesweep_config_selectorIffEEZNS1_34radix_sort_onesweep_global_offsetsIS3_Lb0EN6thrust23THRUST_200600_302600_NS6detail15normal_iteratorINS8_10device_ptrIfEEEESD_jNS0_19identity_decomposerEEE10hipError_tT1_T2_PT3_SI_jT4_jjP12ihipStream_tbEUlT_E0_NS1_11comp_targetILNS1_3genE6ELNS1_11target_archE950ELNS1_3gpuE13ELNS1_3repE0EEENS1_52radix_sort_onesweep_histogram_config_static_selectorELNS0_4arch9wavefront6targetE1EEEvSG_
    .private_segment_fixed_size: 0
    .sgpr_count:     20
    .sgpr_spill_count: 0
    .symbol:         _ZN7rocprim17ROCPRIM_400000_NS6detail17trampoline_kernelINS0_14default_configENS1_35radix_sort_onesweep_config_selectorIffEEZNS1_34radix_sort_onesweep_global_offsetsIS3_Lb0EN6thrust23THRUST_200600_302600_NS6detail15normal_iteratorINS8_10device_ptrIfEEEESD_jNS0_19identity_decomposerEEE10hipError_tT1_T2_PT3_SI_jT4_jjP12ihipStream_tbEUlT_E0_NS1_11comp_targetILNS1_3genE6ELNS1_11target_archE950ELNS1_3gpuE13ELNS1_3repE0EEENS1_52radix_sort_onesweep_histogram_config_static_selectorELNS0_4arch9wavefront6targetE1EEEvSG_.kd
    .uniform_work_group_size: 1
    .uses_dynamic_stack: false
    .vgpr_count:     7
    .vgpr_spill_count: 0
    .wavefront_size: 64
  - .agpr_count:     0
    .args:
      - .address_space:  global
        .offset:         0
        .size:           8
        .value_kind:     global_buffer
    .group_segment_fixed_size: 0
    .kernarg_segment_align: 8
    .kernarg_segment_size: 8
    .language:       OpenCL C
    .language_version:
      - 2
      - 0
    .max_flat_workgroup_size: 1024
    .name:           _ZN7rocprim17ROCPRIM_400000_NS6detail17trampoline_kernelINS0_14default_configENS1_35radix_sort_onesweep_config_selectorIffEEZNS1_34radix_sort_onesweep_global_offsetsIS3_Lb0EN6thrust23THRUST_200600_302600_NS6detail15normal_iteratorINS8_10device_ptrIfEEEESD_jNS0_19identity_decomposerEEE10hipError_tT1_T2_PT3_SI_jT4_jjP12ihipStream_tbEUlT_E0_NS1_11comp_targetILNS1_3genE5ELNS1_11target_archE942ELNS1_3gpuE9ELNS1_3repE0EEENS1_52radix_sort_onesweep_histogram_config_static_selectorELNS0_4arch9wavefront6targetE1EEEvSG_
    .private_segment_fixed_size: 0
    .sgpr_count:     6
    .sgpr_spill_count: 0
    .symbol:         _ZN7rocprim17ROCPRIM_400000_NS6detail17trampoline_kernelINS0_14default_configENS1_35radix_sort_onesweep_config_selectorIffEEZNS1_34radix_sort_onesweep_global_offsetsIS3_Lb0EN6thrust23THRUST_200600_302600_NS6detail15normal_iteratorINS8_10device_ptrIfEEEESD_jNS0_19identity_decomposerEEE10hipError_tT1_T2_PT3_SI_jT4_jjP12ihipStream_tbEUlT_E0_NS1_11comp_targetILNS1_3genE5ELNS1_11target_archE942ELNS1_3gpuE9ELNS1_3repE0EEENS1_52radix_sort_onesweep_histogram_config_static_selectorELNS0_4arch9wavefront6targetE1EEEvSG_.kd
    .uniform_work_group_size: 1
    .uses_dynamic_stack: false
    .vgpr_count:     0
    .vgpr_spill_count: 0
    .wavefront_size: 64
  - .agpr_count:     0
    .args:
      - .address_space:  global
        .offset:         0
        .size:           8
        .value_kind:     global_buffer
    .group_segment_fixed_size: 0
    .kernarg_segment_align: 8
    .kernarg_segment_size: 8
    .language:       OpenCL C
    .language_version:
      - 2
      - 0
    .max_flat_workgroup_size: 512
    .name:           _ZN7rocprim17ROCPRIM_400000_NS6detail17trampoline_kernelINS0_14default_configENS1_35radix_sort_onesweep_config_selectorIffEEZNS1_34radix_sort_onesweep_global_offsetsIS3_Lb0EN6thrust23THRUST_200600_302600_NS6detail15normal_iteratorINS8_10device_ptrIfEEEESD_jNS0_19identity_decomposerEEE10hipError_tT1_T2_PT3_SI_jT4_jjP12ihipStream_tbEUlT_E0_NS1_11comp_targetILNS1_3genE2ELNS1_11target_archE906ELNS1_3gpuE6ELNS1_3repE0EEENS1_52radix_sort_onesweep_histogram_config_static_selectorELNS0_4arch9wavefront6targetE1EEEvSG_
    .private_segment_fixed_size: 0
    .sgpr_count:     6
    .sgpr_spill_count: 0
    .symbol:         _ZN7rocprim17ROCPRIM_400000_NS6detail17trampoline_kernelINS0_14default_configENS1_35radix_sort_onesweep_config_selectorIffEEZNS1_34radix_sort_onesweep_global_offsetsIS3_Lb0EN6thrust23THRUST_200600_302600_NS6detail15normal_iteratorINS8_10device_ptrIfEEEESD_jNS0_19identity_decomposerEEE10hipError_tT1_T2_PT3_SI_jT4_jjP12ihipStream_tbEUlT_E0_NS1_11comp_targetILNS1_3genE2ELNS1_11target_archE906ELNS1_3gpuE6ELNS1_3repE0EEENS1_52radix_sort_onesweep_histogram_config_static_selectorELNS0_4arch9wavefront6targetE1EEEvSG_.kd
    .uniform_work_group_size: 1
    .uses_dynamic_stack: false
    .vgpr_count:     0
    .vgpr_spill_count: 0
    .wavefront_size: 64
  - .agpr_count:     0
    .args:
      - .address_space:  global
        .offset:         0
        .size:           8
        .value_kind:     global_buffer
    .group_segment_fixed_size: 0
    .kernarg_segment_align: 8
    .kernarg_segment_size: 8
    .language:       OpenCL C
    .language_version:
      - 2
      - 0
    .max_flat_workgroup_size: 512
    .name:           _ZN7rocprim17ROCPRIM_400000_NS6detail17trampoline_kernelINS0_14default_configENS1_35radix_sort_onesweep_config_selectorIffEEZNS1_34radix_sort_onesweep_global_offsetsIS3_Lb0EN6thrust23THRUST_200600_302600_NS6detail15normal_iteratorINS8_10device_ptrIfEEEESD_jNS0_19identity_decomposerEEE10hipError_tT1_T2_PT3_SI_jT4_jjP12ihipStream_tbEUlT_E0_NS1_11comp_targetILNS1_3genE4ELNS1_11target_archE910ELNS1_3gpuE8ELNS1_3repE0EEENS1_52radix_sort_onesweep_histogram_config_static_selectorELNS0_4arch9wavefront6targetE1EEEvSG_
    .private_segment_fixed_size: 0
    .sgpr_count:     6
    .sgpr_spill_count: 0
    .symbol:         _ZN7rocprim17ROCPRIM_400000_NS6detail17trampoline_kernelINS0_14default_configENS1_35radix_sort_onesweep_config_selectorIffEEZNS1_34radix_sort_onesweep_global_offsetsIS3_Lb0EN6thrust23THRUST_200600_302600_NS6detail15normal_iteratorINS8_10device_ptrIfEEEESD_jNS0_19identity_decomposerEEE10hipError_tT1_T2_PT3_SI_jT4_jjP12ihipStream_tbEUlT_E0_NS1_11comp_targetILNS1_3genE4ELNS1_11target_archE910ELNS1_3gpuE8ELNS1_3repE0EEENS1_52radix_sort_onesweep_histogram_config_static_selectorELNS0_4arch9wavefront6targetE1EEEvSG_.kd
    .uniform_work_group_size: 1
    .uses_dynamic_stack: false
    .vgpr_count:     0
    .vgpr_spill_count: 0
    .wavefront_size: 64
  - .agpr_count:     0
    .args:
      - .address_space:  global
        .offset:         0
        .size:           8
        .value_kind:     global_buffer
    .group_segment_fixed_size: 0
    .kernarg_segment_align: 8
    .kernarg_segment_size: 8
    .language:       OpenCL C
    .language_version:
      - 2
      - 0
    .max_flat_workgroup_size: 256
    .name:           _ZN7rocprim17ROCPRIM_400000_NS6detail17trampoline_kernelINS0_14default_configENS1_35radix_sort_onesweep_config_selectorIffEEZNS1_34radix_sort_onesweep_global_offsetsIS3_Lb0EN6thrust23THRUST_200600_302600_NS6detail15normal_iteratorINS8_10device_ptrIfEEEESD_jNS0_19identity_decomposerEEE10hipError_tT1_T2_PT3_SI_jT4_jjP12ihipStream_tbEUlT_E0_NS1_11comp_targetILNS1_3genE3ELNS1_11target_archE908ELNS1_3gpuE7ELNS1_3repE0EEENS1_52radix_sort_onesweep_histogram_config_static_selectorELNS0_4arch9wavefront6targetE1EEEvSG_
    .private_segment_fixed_size: 0
    .sgpr_count:     6
    .sgpr_spill_count: 0
    .symbol:         _ZN7rocprim17ROCPRIM_400000_NS6detail17trampoline_kernelINS0_14default_configENS1_35radix_sort_onesweep_config_selectorIffEEZNS1_34radix_sort_onesweep_global_offsetsIS3_Lb0EN6thrust23THRUST_200600_302600_NS6detail15normal_iteratorINS8_10device_ptrIfEEEESD_jNS0_19identity_decomposerEEE10hipError_tT1_T2_PT3_SI_jT4_jjP12ihipStream_tbEUlT_E0_NS1_11comp_targetILNS1_3genE3ELNS1_11target_archE908ELNS1_3gpuE7ELNS1_3repE0EEENS1_52radix_sort_onesweep_histogram_config_static_selectorELNS0_4arch9wavefront6targetE1EEEvSG_.kd
    .uniform_work_group_size: 1
    .uses_dynamic_stack: false
    .vgpr_count:     0
    .vgpr_spill_count: 0
    .wavefront_size: 64
  - .agpr_count:     0
    .args:
      - .address_space:  global
        .offset:         0
        .size:           8
        .value_kind:     global_buffer
    .group_segment_fixed_size: 0
    .kernarg_segment_align: 8
    .kernarg_segment_size: 8
    .language:       OpenCL C
    .language_version:
      - 2
      - 0
    .max_flat_workgroup_size: 1024
    .name:           _ZN7rocprim17ROCPRIM_400000_NS6detail17trampoline_kernelINS0_14default_configENS1_35radix_sort_onesweep_config_selectorIffEEZNS1_34radix_sort_onesweep_global_offsetsIS3_Lb0EN6thrust23THRUST_200600_302600_NS6detail15normal_iteratorINS8_10device_ptrIfEEEESD_jNS0_19identity_decomposerEEE10hipError_tT1_T2_PT3_SI_jT4_jjP12ihipStream_tbEUlT_E0_NS1_11comp_targetILNS1_3genE10ELNS1_11target_archE1201ELNS1_3gpuE5ELNS1_3repE0EEENS1_52radix_sort_onesweep_histogram_config_static_selectorELNS0_4arch9wavefront6targetE1EEEvSG_
    .private_segment_fixed_size: 0
    .sgpr_count:     6
    .sgpr_spill_count: 0
    .symbol:         _ZN7rocprim17ROCPRIM_400000_NS6detail17trampoline_kernelINS0_14default_configENS1_35radix_sort_onesweep_config_selectorIffEEZNS1_34radix_sort_onesweep_global_offsetsIS3_Lb0EN6thrust23THRUST_200600_302600_NS6detail15normal_iteratorINS8_10device_ptrIfEEEESD_jNS0_19identity_decomposerEEE10hipError_tT1_T2_PT3_SI_jT4_jjP12ihipStream_tbEUlT_E0_NS1_11comp_targetILNS1_3genE10ELNS1_11target_archE1201ELNS1_3gpuE5ELNS1_3repE0EEENS1_52radix_sort_onesweep_histogram_config_static_selectorELNS0_4arch9wavefront6targetE1EEEvSG_.kd
    .uniform_work_group_size: 1
    .uses_dynamic_stack: false
    .vgpr_count:     0
    .vgpr_spill_count: 0
    .wavefront_size: 64
  - .agpr_count:     0
    .args:
      - .address_space:  global
        .offset:         0
        .size:           8
        .value_kind:     global_buffer
    .group_segment_fixed_size: 0
    .kernarg_segment_align: 8
    .kernarg_segment_size: 8
    .language:       OpenCL C
    .language_version:
      - 2
      - 0
    .max_flat_workgroup_size: 1024
    .name:           _ZN7rocprim17ROCPRIM_400000_NS6detail17trampoline_kernelINS0_14default_configENS1_35radix_sort_onesweep_config_selectorIffEEZNS1_34radix_sort_onesweep_global_offsetsIS3_Lb0EN6thrust23THRUST_200600_302600_NS6detail15normal_iteratorINS8_10device_ptrIfEEEESD_jNS0_19identity_decomposerEEE10hipError_tT1_T2_PT3_SI_jT4_jjP12ihipStream_tbEUlT_E0_NS1_11comp_targetILNS1_3genE9ELNS1_11target_archE1100ELNS1_3gpuE3ELNS1_3repE0EEENS1_52radix_sort_onesweep_histogram_config_static_selectorELNS0_4arch9wavefront6targetE1EEEvSG_
    .private_segment_fixed_size: 0
    .sgpr_count:     6
    .sgpr_spill_count: 0
    .symbol:         _ZN7rocprim17ROCPRIM_400000_NS6detail17trampoline_kernelINS0_14default_configENS1_35radix_sort_onesweep_config_selectorIffEEZNS1_34radix_sort_onesweep_global_offsetsIS3_Lb0EN6thrust23THRUST_200600_302600_NS6detail15normal_iteratorINS8_10device_ptrIfEEEESD_jNS0_19identity_decomposerEEE10hipError_tT1_T2_PT3_SI_jT4_jjP12ihipStream_tbEUlT_E0_NS1_11comp_targetILNS1_3genE9ELNS1_11target_archE1100ELNS1_3gpuE3ELNS1_3repE0EEENS1_52radix_sort_onesweep_histogram_config_static_selectorELNS0_4arch9wavefront6targetE1EEEvSG_.kd
    .uniform_work_group_size: 1
    .uses_dynamic_stack: false
    .vgpr_count:     0
    .vgpr_spill_count: 0
    .wavefront_size: 64
  - .agpr_count:     0
    .args:
      - .address_space:  global
        .offset:         0
        .size:           8
        .value_kind:     global_buffer
    .group_segment_fixed_size: 0
    .kernarg_segment_align: 8
    .kernarg_segment_size: 8
    .language:       OpenCL C
    .language_version:
      - 2
      - 0
    .max_flat_workgroup_size: 1024
    .name:           _ZN7rocprim17ROCPRIM_400000_NS6detail17trampoline_kernelINS0_14default_configENS1_35radix_sort_onesweep_config_selectorIffEEZNS1_34radix_sort_onesweep_global_offsetsIS3_Lb0EN6thrust23THRUST_200600_302600_NS6detail15normal_iteratorINS8_10device_ptrIfEEEESD_jNS0_19identity_decomposerEEE10hipError_tT1_T2_PT3_SI_jT4_jjP12ihipStream_tbEUlT_E0_NS1_11comp_targetILNS1_3genE8ELNS1_11target_archE1030ELNS1_3gpuE2ELNS1_3repE0EEENS1_52radix_sort_onesweep_histogram_config_static_selectorELNS0_4arch9wavefront6targetE1EEEvSG_
    .private_segment_fixed_size: 0
    .sgpr_count:     6
    .sgpr_spill_count: 0
    .symbol:         _ZN7rocprim17ROCPRIM_400000_NS6detail17trampoline_kernelINS0_14default_configENS1_35radix_sort_onesweep_config_selectorIffEEZNS1_34radix_sort_onesweep_global_offsetsIS3_Lb0EN6thrust23THRUST_200600_302600_NS6detail15normal_iteratorINS8_10device_ptrIfEEEESD_jNS0_19identity_decomposerEEE10hipError_tT1_T2_PT3_SI_jT4_jjP12ihipStream_tbEUlT_E0_NS1_11comp_targetILNS1_3genE8ELNS1_11target_archE1030ELNS1_3gpuE2ELNS1_3repE0EEENS1_52radix_sort_onesweep_histogram_config_static_selectorELNS0_4arch9wavefront6targetE1EEEvSG_.kd
    .uniform_work_group_size: 1
    .uses_dynamic_stack: false
    .vgpr_count:     0
    .vgpr_spill_count: 0
    .wavefront_size: 64
  - .agpr_count:     0
    .args:
      - .offset:         0
        .size:           40
        .value_kind:     by_value
      - .offset:         40
        .size:           4
        .value_kind:     hidden_block_count_x
      - .offset:         44
        .size:           4
        .value_kind:     hidden_block_count_y
      - .offset:         48
        .size:           4
        .value_kind:     hidden_block_count_z
      - .offset:         52
        .size:           2
        .value_kind:     hidden_group_size_x
      - .offset:         54
        .size:           2
        .value_kind:     hidden_group_size_y
      - .offset:         56
        .size:           2
        .value_kind:     hidden_group_size_z
      - .offset:         58
        .size:           2
        .value_kind:     hidden_remainder_x
      - .offset:         60
        .size:           2
        .value_kind:     hidden_remainder_y
      - .offset:         62
        .size:           2
        .value_kind:     hidden_remainder_z
      - .offset:         80
        .size:           8
        .value_kind:     hidden_global_offset_x
      - .offset:         88
        .size:           8
        .value_kind:     hidden_global_offset_y
      - .offset:         96
        .size:           8
        .value_kind:     hidden_global_offset_z
      - .offset:         104
        .size:           2
        .value_kind:     hidden_grid_dims
    .group_segment_fixed_size: 0
    .kernarg_segment_align: 8
    .kernarg_segment_size: 296
    .language:       OpenCL C
    .language_version:
      - 2
      - 0
    .max_flat_workgroup_size: 128
    .name:           _ZN7rocprim17ROCPRIM_400000_NS6detail17trampoline_kernelINS0_14default_configENS1_25transform_config_selectorIfLb0EEEZNS1_14transform_implILb0ES3_S5_N6thrust23THRUST_200600_302600_NS6detail15normal_iteratorINS8_10device_ptrIfEEEEPfNS0_8identityIfEEEE10hipError_tT2_T3_mT4_P12ihipStream_tbEUlT_E_NS1_11comp_targetILNS1_3genE0ELNS1_11target_archE4294967295ELNS1_3gpuE0ELNS1_3repE0EEENS1_30default_config_static_selectorELNS0_4arch9wavefront6targetE1EEEvT1_
    .private_segment_fixed_size: 0
    .sgpr_count:     22
    .sgpr_spill_count: 0
    .symbol:         _ZN7rocprim17ROCPRIM_400000_NS6detail17trampoline_kernelINS0_14default_configENS1_25transform_config_selectorIfLb0EEEZNS1_14transform_implILb0ES3_S5_N6thrust23THRUST_200600_302600_NS6detail15normal_iteratorINS8_10device_ptrIfEEEEPfNS0_8identityIfEEEE10hipError_tT2_T3_mT4_P12ihipStream_tbEUlT_E_NS1_11comp_targetILNS1_3genE0ELNS1_11target_archE4294967295ELNS1_3gpuE0ELNS1_3repE0EEENS1_30default_config_static_selectorELNS0_4arch9wavefront6targetE1EEEvT1_.kd
    .uniform_work_group_size: 1
    .uses_dynamic_stack: false
    .vgpr_count:     7
    .vgpr_spill_count: 0
    .wavefront_size: 64
  - .agpr_count:     0
    .args:
      - .offset:         0
        .size:           40
        .value_kind:     by_value
    .group_segment_fixed_size: 0
    .kernarg_segment_align: 8
    .kernarg_segment_size: 40
    .language:       OpenCL C
    .language_version:
      - 2
      - 0
    .max_flat_workgroup_size: 256
    .name:           _ZN7rocprim17ROCPRIM_400000_NS6detail17trampoline_kernelINS0_14default_configENS1_25transform_config_selectorIfLb0EEEZNS1_14transform_implILb0ES3_S5_N6thrust23THRUST_200600_302600_NS6detail15normal_iteratorINS8_10device_ptrIfEEEEPfNS0_8identityIfEEEE10hipError_tT2_T3_mT4_P12ihipStream_tbEUlT_E_NS1_11comp_targetILNS1_3genE5ELNS1_11target_archE942ELNS1_3gpuE9ELNS1_3repE0EEENS1_30default_config_static_selectorELNS0_4arch9wavefront6targetE1EEEvT1_
    .private_segment_fixed_size: 0
    .sgpr_count:     6
    .sgpr_spill_count: 0
    .symbol:         _ZN7rocprim17ROCPRIM_400000_NS6detail17trampoline_kernelINS0_14default_configENS1_25transform_config_selectorIfLb0EEEZNS1_14transform_implILb0ES3_S5_N6thrust23THRUST_200600_302600_NS6detail15normal_iteratorINS8_10device_ptrIfEEEEPfNS0_8identityIfEEEE10hipError_tT2_T3_mT4_P12ihipStream_tbEUlT_E_NS1_11comp_targetILNS1_3genE5ELNS1_11target_archE942ELNS1_3gpuE9ELNS1_3repE0EEENS1_30default_config_static_selectorELNS0_4arch9wavefront6targetE1EEEvT1_.kd
    .uniform_work_group_size: 1
    .uses_dynamic_stack: false
    .vgpr_count:     0
    .vgpr_spill_count: 0
    .wavefront_size: 64
  - .agpr_count:     0
    .args:
      - .offset:         0
        .size:           40
        .value_kind:     by_value
    .group_segment_fixed_size: 0
    .kernarg_segment_align: 8
    .kernarg_segment_size: 40
    .language:       OpenCL C
    .language_version:
      - 2
      - 0
    .max_flat_workgroup_size: 1024
    .name:           _ZN7rocprim17ROCPRIM_400000_NS6detail17trampoline_kernelINS0_14default_configENS1_25transform_config_selectorIfLb0EEEZNS1_14transform_implILb0ES3_S5_N6thrust23THRUST_200600_302600_NS6detail15normal_iteratorINS8_10device_ptrIfEEEEPfNS0_8identityIfEEEE10hipError_tT2_T3_mT4_P12ihipStream_tbEUlT_E_NS1_11comp_targetILNS1_3genE4ELNS1_11target_archE910ELNS1_3gpuE8ELNS1_3repE0EEENS1_30default_config_static_selectorELNS0_4arch9wavefront6targetE1EEEvT1_
    .private_segment_fixed_size: 0
    .sgpr_count:     6
    .sgpr_spill_count: 0
    .symbol:         _ZN7rocprim17ROCPRIM_400000_NS6detail17trampoline_kernelINS0_14default_configENS1_25transform_config_selectorIfLb0EEEZNS1_14transform_implILb0ES3_S5_N6thrust23THRUST_200600_302600_NS6detail15normal_iteratorINS8_10device_ptrIfEEEEPfNS0_8identityIfEEEE10hipError_tT2_T3_mT4_P12ihipStream_tbEUlT_E_NS1_11comp_targetILNS1_3genE4ELNS1_11target_archE910ELNS1_3gpuE8ELNS1_3repE0EEENS1_30default_config_static_selectorELNS0_4arch9wavefront6targetE1EEEvT1_.kd
    .uniform_work_group_size: 1
    .uses_dynamic_stack: false
    .vgpr_count:     0
    .vgpr_spill_count: 0
    .wavefront_size: 64
  - .agpr_count:     0
    .args:
      - .offset:         0
        .size:           40
        .value_kind:     by_value
    .group_segment_fixed_size: 0
    .kernarg_segment_align: 8
    .kernarg_segment_size: 40
    .language:       OpenCL C
    .language_version:
      - 2
      - 0
    .max_flat_workgroup_size: 128
    .name:           _ZN7rocprim17ROCPRIM_400000_NS6detail17trampoline_kernelINS0_14default_configENS1_25transform_config_selectorIfLb0EEEZNS1_14transform_implILb0ES3_S5_N6thrust23THRUST_200600_302600_NS6detail15normal_iteratorINS8_10device_ptrIfEEEEPfNS0_8identityIfEEEE10hipError_tT2_T3_mT4_P12ihipStream_tbEUlT_E_NS1_11comp_targetILNS1_3genE3ELNS1_11target_archE908ELNS1_3gpuE7ELNS1_3repE0EEENS1_30default_config_static_selectorELNS0_4arch9wavefront6targetE1EEEvT1_
    .private_segment_fixed_size: 0
    .sgpr_count:     6
    .sgpr_spill_count: 0
    .symbol:         _ZN7rocprim17ROCPRIM_400000_NS6detail17trampoline_kernelINS0_14default_configENS1_25transform_config_selectorIfLb0EEEZNS1_14transform_implILb0ES3_S5_N6thrust23THRUST_200600_302600_NS6detail15normal_iteratorINS8_10device_ptrIfEEEEPfNS0_8identityIfEEEE10hipError_tT2_T3_mT4_P12ihipStream_tbEUlT_E_NS1_11comp_targetILNS1_3genE3ELNS1_11target_archE908ELNS1_3gpuE7ELNS1_3repE0EEENS1_30default_config_static_selectorELNS0_4arch9wavefront6targetE1EEEvT1_.kd
    .uniform_work_group_size: 1
    .uses_dynamic_stack: false
    .vgpr_count:     0
    .vgpr_spill_count: 0
    .wavefront_size: 64
  - .agpr_count:     0
    .args:
      - .offset:         0
        .size:           40
        .value_kind:     by_value
    .group_segment_fixed_size: 0
    .kernarg_segment_align: 8
    .kernarg_segment_size: 40
    .language:       OpenCL C
    .language_version:
      - 2
      - 0
    .max_flat_workgroup_size: 1024
    .name:           _ZN7rocprim17ROCPRIM_400000_NS6detail17trampoline_kernelINS0_14default_configENS1_25transform_config_selectorIfLb0EEEZNS1_14transform_implILb0ES3_S5_N6thrust23THRUST_200600_302600_NS6detail15normal_iteratorINS8_10device_ptrIfEEEEPfNS0_8identityIfEEEE10hipError_tT2_T3_mT4_P12ihipStream_tbEUlT_E_NS1_11comp_targetILNS1_3genE2ELNS1_11target_archE906ELNS1_3gpuE6ELNS1_3repE0EEENS1_30default_config_static_selectorELNS0_4arch9wavefront6targetE1EEEvT1_
    .private_segment_fixed_size: 0
    .sgpr_count:     6
    .sgpr_spill_count: 0
    .symbol:         _ZN7rocprim17ROCPRIM_400000_NS6detail17trampoline_kernelINS0_14default_configENS1_25transform_config_selectorIfLb0EEEZNS1_14transform_implILb0ES3_S5_N6thrust23THRUST_200600_302600_NS6detail15normal_iteratorINS8_10device_ptrIfEEEEPfNS0_8identityIfEEEE10hipError_tT2_T3_mT4_P12ihipStream_tbEUlT_E_NS1_11comp_targetILNS1_3genE2ELNS1_11target_archE906ELNS1_3gpuE6ELNS1_3repE0EEENS1_30default_config_static_selectorELNS0_4arch9wavefront6targetE1EEEvT1_.kd
    .uniform_work_group_size: 1
    .uses_dynamic_stack: false
    .vgpr_count:     0
    .vgpr_spill_count: 0
    .wavefront_size: 64
  - .agpr_count:     0
    .args:
      - .offset:         0
        .size:           40
        .value_kind:     by_value
    .group_segment_fixed_size: 0
    .kernarg_segment_align: 8
    .kernarg_segment_size: 40
    .language:       OpenCL C
    .language_version:
      - 2
      - 0
    .max_flat_workgroup_size: 512
    .name:           _ZN7rocprim17ROCPRIM_400000_NS6detail17trampoline_kernelINS0_14default_configENS1_25transform_config_selectorIfLb0EEEZNS1_14transform_implILb0ES3_S5_N6thrust23THRUST_200600_302600_NS6detail15normal_iteratorINS8_10device_ptrIfEEEEPfNS0_8identityIfEEEE10hipError_tT2_T3_mT4_P12ihipStream_tbEUlT_E_NS1_11comp_targetILNS1_3genE10ELNS1_11target_archE1201ELNS1_3gpuE5ELNS1_3repE0EEENS1_30default_config_static_selectorELNS0_4arch9wavefront6targetE1EEEvT1_
    .private_segment_fixed_size: 0
    .sgpr_count:     6
    .sgpr_spill_count: 0
    .symbol:         _ZN7rocprim17ROCPRIM_400000_NS6detail17trampoline_kernelINS0_14default_configENS1_25transform_config_selectorIfLb0EEEZNS1_14transform_implILb0ES3_S5_N6thrust23THRUST_200600_302600_NS6detail15normal_iteratorINS8_10device_ptrIfEEEEPfNS0_8identityIfEEEE10hipError_tT2_T3_mT4_P12ihipStream_tbEUlT_E_NS1_11comp_targetILNS1_3genE10ELNS1_11target_archE1201ELNS1_3gpuE5ELNS1_3repE0EEENS1_30default_config_static_selectorELNS0_4arch9wavefront6targetE1EEEvT1_.kd
    .uniform_work_group_size: 1
    .uses_dynamic_stack: false
    .vgpr_count:     0
    .vgpr_spill_count: 0
    .wavefront_size: 64
  - .agpr_count:     0
    .args:
      - .offset:         0
        .size:           40
        .value_kind:     by_value
    .group_segment_fixed_size: 0
    .kernarg_segment_align: 8
    .kernarg_segment_size: 40
    .language:       OpenCL C
    .language_version:
      - 2
      - 0
    .max_flat_workgroup_size: 512
    .name:           _ZN7rocprim17ROCPRIM_400000_NS6detail17trampoline_kernelINS0_14default_configENS1_25transform_config_selectorIfLb0EEEZNS1_14transform_implILb0ES3_S5_N6thrust23THRUST_200600_302600_NS6detail15normal_iteratorINS8_10device_ptrIfEEEEPfNS0_8identityIfEEEE10hipError_tT2_T3_mT4_P12ihipStream_tbEUlT_E_NS1_11comp_targetILNS1_3genE10ELNS1_11target_archE1200ELNS1_3gpuE4ELNS1_3repE0EEENS1_30default_config_static_selectorELNS0_4arch9wavefront6targetE1EEEvT1_
    .private_segment_fixed_size: 0
    .sgpr_count:     6
    .sgpr_spill_count: 0
    .symbol:         _ZN7rocprim17ROCPRIM_400000_NS6detail17trampoline_kernelINS0_14default_configENS1_25transform_config_selectorIfLb0EEEZNS1_14transform_implILb0ES3_S5_N6thrust23THRUST_200600_302600_NS6detail15normal_iteratorINS8_10device_ptrIfEEEEPfNS0_8identityIfEEEE10hipError_tT2_T3_mT4_P12ihipStream_tbEUlT_E_NS1_11comp_targetILNS1_3genE10ELNS1_11target_archE1200ELNS1_3gpuE4ELNS1_3repE0EEENS1_30default_config_static_selectorELNS0_4arch9wavefront6targetE1EEEvT1_.kd
    .uniform_work_group_size: 1
    .uses_dynamic_stack: false
    .vgpr_count:     0
    .vgpr_spill_count: 0
    .wavefront_size: 64
  - .agpr_count:     0
    .args:
      - .offset:         0
        .size:           40
        .value_kind:     by_value
    .group_segment_fixed_size: 0
    .kernarg_segment_align: 8
    .kernarg_segment_size: 40
    .language:       OpenCL C
    .language_version:
      - 2
      - 0
    .max_flat_workgroup_size: 1024
    .name:           _ZN7rocprim17ROCPRIM_400000_NS6detail17trampoline_kernelINS0_14default_configENS1_25transform_config_selectorIfLb0EEEZNS1_14transform_implILb0ES3_S5_N6thrust23THRUST_200600_302600_NS6detail15normal_iteratorINS8_10device_ptrIfEEEEPfNS0_8identityIfEEEE10hipError_tT2_T3_mT4_P12ihipStream_tbEUlT_E_NS1_11comp_targetILNS1_3genE9ELNS1_11target_archE1100ELNS1_3gpuE3ELNS1_3repE0EEENS1_30default_config_static_selectorELNS0_4arch9wavefront6targetE1EEEvT1_
    .private_segment_fixed_size: 0
    .sgpr_count:     6
    .sgpr_spill_count: 0
    .symbol:         _ZN7rocprim17ROCPRIM_400000_NS6detail17trampoline_kernelINS0_14default_configENS1_25transform_config_selectorIfLb0EEEZNS1_14transform_implILb0ES3_S5_N6thrust23THRUST_200600_302600_NS6detail15normal_iteratorINS8_10device_ptrIfEEEEPfNS0_8identityIfEEEE10hipError_tT2_T3_mT4_P12ihipStream_tbEUlT_E_NS1_11comp_targetILNS1_3genE9ELNS1_11target_archE1100ELNS1_3gpuE3ELNS1_3repE0EEENS1_30default_config_static_selectorELNS0_4arch9wavefront6targetE1EEEvT1_.kd
    .uniform_work_group_size: 1
    .uses_dynamic_stack: false
    .vgpr_count:     0
    .vgpr_spill_count: 0
    .wavefront_size: 64
  - .agpr_count:     0
    .args:
      - .offset:         0
        .size:           40
        .value_kind:     by_value
    .group_segment_fixed_size: 0
    .kernarg_segment_align: 8
    .kernarg_segment_size: 40
    .language:       OpenCL C
    .language_version:
      - 2
      - 0
    .max_flat_workgroup_size: 256
    .name:           _ZN7rocprim17ROCPRIM_400000_NS6detail17trampoline_kernelINS0_14default_configENS1_25transform_config_selectorIfLb0EEEZNS1_14transform_implILb0ES3_S5_N6thrust23THRUST_200600_302600_NS6detail15normal_iteratorINS8_10device_ptrIfEEEEPfNS0_8identityIfEEEE10hipError_tT2_T3_mT4_P12ihipStream_tbEUlT_E_NS1_11comp_targetILNS1_3genE8ELNS1_11target_archE1030ELNS1_3gpuE2ELNS1_3repE0EEENS1_30default_config_static_selectorELNS0_4arch9wavefront6targetE1EEEvT1_
    .private_segment_fixed_size: 0
    .sgpr_count:     6
    .sgpr_spill_count: 0
    .symbol:         _ZN7rocprim17ROCPRIM_400000_NS6detail17trampoline_kernelINS0_14default_configENS1_25transform_config_selectorIfLb0EEEZNS1_14transform_implILb0ES3_S5_N6thrust23THRUST_200600_302600_NS6detail15normal_iteratorINS8_10device_ptrIfEEEEPfNS0_8identityIfEEEE10hipError_tT2_T3_mT4_P12ihipStream_tbEUlT_E_NS1_11comp_targetILNS1_3genE8ELNS1_11target_archE1030ELNS1_3gpuE2ELNS1_3repE0EEENS1_30default_config_static_selectorELNS0_4arch9wavefront6targetE1EEEvT1_.kd
    .uniform_work_group_size: 1
    .uses_dynamic_stack: false
    .vgpr_count:     0
    .vgpr_spill_count: 0
    .wavefront_size: 64
  - .agpr_count:     0
    .args:
      - .offset:         0
        .size:           88
        .value_kind:     by_value
    .group_segment_fixed_size: 0
    .kernarg_segment_align: 8
    .kernarg_segment_size: 88
    .language:       OpenCL C
    .language_version:
      - 2
      - 0
    .max_flat_workgroup_size: 256
    .name:           _ZN7rocprim17ROCPRIM_400000_NS6detail17trampoline_kernelINS0_14default_configENS1_35radix_sort_onesweep_config_selectorIffEEZZNS1_29radix_sort_onesweep_iterationIS3_Lb0EN6thrust23THRUST_200600_302600_NS6detail15normal_iteratorINS8_10device_ptrIfEEEESD_SD_SD_jNS0_19identity_decomposerENS1_16block_id_wrapperIjLb1EEEEE10hipError_tT1_PNSt15iterator_traitsISI_E10value_typeET2_T3_PNSJ_ISO_E10value_typeET4_T5_PST_SU_PNS1_23onesweep_lookback_stateEbbT6_jjT7_P12ihipStream_tbENKUlT_T0_SI_SN_E_clISD_SD_SD_SD_EEDaS11_S12_SI_SN_EUlS11_E_NS1_11comp_targetILNS1_3genE0ELNS1_11target_archE4294967295ELNS1_3gpuE0ELNS1_3repE0EEENS1_47radix_sort_onesweep_sort_config_static_selectorELNS0_4arch9wavefront6targetE1EEEvSI_
    .private_segment_fixed_size: 0
    .sgpr_count:     6
    .sgpr_spill_count: 0
    .symbol:         _ZN7rocprim17ROCPRIM_400000_NS6detail17trampoline_kernelINS0_14default_configENS1_35radix_sort_onesweep_config_selectorIffEEZZNS1_29radix_sort_onesweep_iterationIS3_Lb0EN6thrust23THRUST_200600_302600_NS6detail15normal_iteratorINS8_10device_ptrIfEEEESD_SD_SD_jNS0_19identity_decomposerENS1_16block_id_wrapperIjLb1EEEEE10hipError_tT1_PNSt15iterator_traitsISI_E10value_typeET2_T3_PNSJ_ISO_E10value_typeET4_T5_PST_SU_PNS1_23onesweep_lookback_stateEbbT6_jjT7_P12ihipStream_tbENKUlT_T0_SI_SN_E_clISD_SD_SD_SD_EEDaS11_S12_SI_SN_EUlS11_E_NS1_11comp_targetILNS1_3genE0ELNS1_11target_archE4294967295ELNS1_3gpuE0ELNS1_3repE0EEENS1_47radix_sort_onesweep_sort_config_static_selectorELNS0_4arch9wavefront6targetE1EEEvSI_.kd
    .uniform_work_group_size: 1
    .uses_dynamic_stack: false
    .vgpr_count:     0
    .vgpr_spill_count: 0
    .wavefront_size: 64
  - .agpr_count:     0
    .args:
      - .offset:         0
        .size:           88
        .value_kind:     by_value
      - .offset:         88
        .size:           4
        .value_kind:     hidden_block_count_x
      - .offset:         92
        .size:           4
        .value_kind:     hidden_block_count_y
      - .offset:         96
        .size:           4
        .value_kind:     hidden_block_count_z
      - .offset:         100
        .size:           2
        .value_kind:     hidden_group_size_x
      - .offset:         102
        .size:           2
        .value_kind:     hidden_group_size_y
      - .offset:         104
        .size:           2
        .value_kind:     hidden_group_size_z
      - .offset:         106
        .size:           2
        .value_kind:     hidden_remainder_x
      - .offset:         108
        .size:           2
        .value_kind:     hidden_remainder_y
      - .offset:         110
        .size:           2
        .value_kind:     hidden_remainder_z
      - .offset:         128
        .size:           8
        .value_kind:     hidden_global_offset_x
      - .offset:         136
        .size:           8
        .value_kind:     hidden_global_offset_y
      - .offset:         144
        .size:           8
        .value_kind:     hidden_global_offset_z
      - .offset:         152
        .size:           2
        .value_kind:     hidden_grid_dims
    .group_segment_fixed_size: 53328
    .kernarg_segment_align: 8
    .kernarg_segment_size: 344
    .language:       OpenCL C
    .language_version:
      - 2
      - 0
    .max_flat_workgroup_size: 1024
    .name:           _ZN7rocprim17ROCPRIM_400000_NS6detail17trampoline_kernelINS0_14default_configENS1_35radix_sort_onesweep_config_selectorIffEEZZNS1_29radix_sort_onesweep_iterationIS3_Lb0EN6thrust23THRUST_200600_302600_NS6detail15normal_iteratorINS8_10device_ptrIfEEEESD_SD_SD_jNS0_19identity_decomposerENS1_16block_id_wrapperIjLb1EEEEE10hipError_tT1_PNSt15iterator_traitsISI_E10value_typeET2_T3_PNSJ_ISO_E10value_typeET4_T5_PST_SU_PNS1_23onesweep_lookback_stateEbbT6_jjT7_P12ihipStream_tbENKUlT_T0_SI_SN_E_clISD_SD_SD_SD_EEDaS11_S12_SI_SN_EUlS11_E_NS1_11comp_targetILNS1_3genE6ELNS1_11target_archE950ELNS1_3gpuE13ELNS1_3repE0EEENS1_47radix_sort_onesweep_sort_config_static_selectorELNS0_4arch9wavefront6targetE1EEEvSI_
    .private_segment_fixed_size: 48
    .sgpr_count:     66
    .sgpr_spill_count: 0
    .symbol:         _ZN7rocprim17ROCPRIM_400000_NS6detail17trampoline_kernelINS0_14default_configENS1_35radix_sort_onesweep_config_selectorIffEEZZNS1_29radix_sort_onesweep_iterationIS3_Lb0EN6thrust23THRUST_200600_302600_NS6detail15normal_iteratorINS8_10device_ptrIfEEEESD_SD_SD_jNS0_19identity_decomposerENS1_16block_id_wrapperIjLb1EEEEE10hipError_tT1_PNSt15iterator_traitsISI_E10value_typeET2_T3_PNSJ_ISO_E10value_typeET4_T5_PST_SU_PNS1_23onesweep_lookback_stateEbbT6_jjT7_P12ihipStream_tbENKUlT_T0_SI_SN_E_clISD_SD_SD_SD_EEDaS11_S12_SI_SN_EUlS11_E_NS1_11comp_targetILNS1_3genE6ELNS1_11target_archE950ELNS1_3gpuE13ELNS1_3repE0EEENS1_47radix_sort_onesweep_sort_config_static_selectorELNS0_4arch9wavefront6targetE1EEEvSI_.kd
    .uniform_work_group_size: 1
    .uses_dynamic_stack: false
    .vgpr_count:     53
    .vgpr_spill_count: 0
    .wavefront_size: 64
  - .agpr_count:     0
    .args:
      - .offset:         0
        .size:           88
        .value_kind:     by_value
    .group_segment_fixed_size: 0
    .kernarg_segment_align: 8
    .kernarg_segment_size: 88
    .language:       OpenCL C
    .language_version:
      - 2
      - 0
    .max_flat_workgroup_size: 1024
    .name:           _ZN7rocprim17ROCPRIM_400000_NS6detail17trampoline_kernelINS0_14default_configENS1_35radix_sort_onesweep_config_selectorIffEEZZNS1_29radix_sort_onesweep_iterationIS3_Lb0EN6thrust23THRUST_200600_302600_NS6detail15normal_iteratorINS8_10device_ptrIfEEEESD_SD_SD_jNS0_19identity_decomposerENS1_16block_id_wrapperIjLb1EEEEE10hipError_tT1_PNSt15iterator_traitsISI_E10value_typeET2_T3_PNSJ_ISO_E10value_typeET4_T5_PST_SU_PNS1_23onesweep_lookback_stateEbbT6_jjT7_P12ihipStream_tbENKUlT_T0_SI_SN_E_clISD_SD_SD_SD_EEDaS11_S12_SI_SN_EUlS11_E_NS1_11comp_targetILNS1_3genE5ELNS1_11target_archE942ELNS1_3gpuE9ELNS1_3repE0EEENS1_47radix_sort_onesweep_sort_config_static_selectorELNS0_4arch9wavefront6targetE1EEEvSI_
    .private_segment_fixed_size: 0
    .sgpr_count:     6
    .sgpr_spill_count: 0
    .symbol:         _ZN7rocprim17ROCPRIM_400000_NS6detail17trampoline_kernelINS0_14default_configENS1_35radix_sort_onesweep_config_selectorIffEEZZNS1_29radix_sort_onesweep_iterationIS3_Lb0EN6thrust23THRUST_200600_302600_NS6detail15normal_iteratorINS8_10device_ptrIfEEEESD_SD_SD_jNS0_19identity_decomposerENS1_16block_id_wrapperIjLb1EEEEE10hipError_tT1_PNSt15iterator_traitsISI_E10value_typeET2_T3_PNSJ_ISO_E10value_typeET4_T5_PST_SU_PNS1_23onesweep_lookback_stateEbbT6_jjT7_P12ihipStream_tbENKUlT_T0_SI_SN_E_clISD_SD_SD_SD_EEDaS11_S12_SI_SN_EUlS11_E_NS1_11comp_targetILNS1_3genE5ELNS1_11target_archE942ELNS1_3gpuE9ELNS1_3repE0EEENS1_47radix_sort_onesweep_sort_config_static_selectorELNS0_4arch9wavefront6targetE1EEEvSI_.kd
    .uniform_work_group_size: 1
    .uses_dynamic_stack: false
    .vgpr_count:     0
    .vgpr_spill_count: 0
    .wavefront_size: 64
  - .agpr_count:     0
    .args:
      - .offset:         0
        .size:           88
        .value_kind:     by_value
    .group_segment_fixed_size: 0
    .kernarg_segment_align: 8
    .kernarg_segment_size: 88
    .language:       OpenCL C
    .language_version:
      - 2
      - 0
    .max_flat_workgroup_size: 512
    .name:           _ZN7rocprim17ROCPRIM_400000_NS6detail17trampoline_kernelINS0_14default_configENS1_35radix_sort_onesweep_config_selectorIffEEZZNS1_29radix_sort_onesweep_iterationIS3_Lb0EN6thrust23THRUST_200600_302600_NS6detail15normal_iteratorINS8_10device_ptrIfEEEESD_SD_SD_jNS0_19identity_decomposerENS1_16block_id_wrapperIjLb1EEEEE10hipError_tT1_PNSt15iterator_traitsISI_E10value_typeET2_T3_PNSJ_ISO_E10value_typeET4_T5_PST_SU_PNS1_23onesweep_lookback_stateEbbT6_jjT7_P12ihipStream_tbENKUlT_T0_SI_SN_E_clISD_SD_SD_SD_EEDaS11_S12_SI_SN_EUlS11_E_NS1_11comp_targetILNS1_3genE2ELNS1_11target_archE906ELNS1_3gpuE6ELNS1_3repE0EEENS1_47radix_sort_onesweep_sort_config_static_selectorELNS0_4arch9wavefront6targetE1EEEvSI_
    .private_segment_fixed_size: 0
    .sgpr_count:     6
    .sgpr_spill_count: 0
    .symbol:         _ZN7rocprim17ROCPRIM_400000_NS6detail17trampoline_kernelINS0_14default_configENS1_35radix_sort_onesweep_config_selectorIffEEZZNS1_29radix_sort_onesweep_iterationIS3_Lb0EN6thrust23THRUST_200600_302600_NS6detail15normal_iteratorINS8_10device_ptrIfEEEESD_SD_SD_jNS0_19identity_decomposerENS1_16block_id_wrapperIjLb1EEEEE10hipError_tT1_PNSt15iterator_traitsISI_E10value_typeET2_T3_PNSJ_ISO_E10value_typeET4_T5_PST_SU_PNS1_23onesweep_lookback_stateEbbT6_jjT7_P12ihipStream_tbENKUlT_T0_SI_SN_E_clISD_SD_SD_SD_EEDaS11_S12_SI_SN_EUlS11_E_NS1_11comp_targetILNS1_3genE2ELNS1_11target_archE906ELNS1_3gpuE6ELNS1_3repE0EEENS1_47radix_sort_onesweep_sort_config_static_selectorELNS0_4arch9wavefront6targetE1EEEvSI_.kd
    .uniform_work_group_size: 1
    .uses_dynamic_stack: false
    .vgpr_count:     0
    .vgpr_spill_count: 0
    .wavefront_size: 64
  - .agpr_count:     0
    .args:
      - .offset:         0
        .size:           88
        .value_kind:     by_value
    .group_segment_fixed_size: 0
    .kernarg_segment_align: 8
    .kernarg_segment_size: 88
    .language:       OpenCL C
    .language_version:
      - 2
      - 0
    .max_flat_workgroup_size: 512
    .name:           _ZN7rocprim17ROCPRIM_400000_NS6detail17trampoline_kernelINS0_14default_configENS1_35radix_sort_onesweep_config_selectorIffEEZZNS1_29radix_sort_onesweep_iterationIS3_Lb0EN6thrust23THRUST_200600_302600_NS6detail15normal_iteratorINS8_10device_ptrIfEEEESD_SD_SD_jNS0_19identity_decomposerENS1_16block_id_wrapperIjLb1EEEEE10hipError_tT1_PNSt15iterator_traitsISI_E10value_typeET2_T3_PNSJ_ISO_E10value_typeET4_T5_PST_SU_PNS1_23onesweep_lookback_stateEbbT6_jjT7_P12ihipStream_tbENKUlT_T0_SI_SN_E_clISD_SD_SD_SD_EEDaS11_S12_SI_SN_EUlS11_E_NS1_11comp_targetILNS1_3genE4ELNS1_11target_archE910ELNS1_3gpuE8ELNS1_3repE0EEENS1_47radix_sort_onesweep_sort_config_static_selectorELNS0_4arch9wavefront6targetE1EEEvSI_
    .private_segment_fixed_size: 0
    .sgpr_count:     6
    .sgpr_spill_count: 0
    .symbol:         _ZN7rocprim17ROCPRIM_400000_NS6detail17trampoline_kernelINS0_14default_configENS1_35radix_sort_onesweep_config_selectorIffEEZZNS1_29radix_sort_onesweep_iterationIS3_Lb0EN6thrust23THRUST_200600_302600_NS6detail15normal_iteratorINS8_10device_ptrIfEEEESD_SD_SD_jNS0_19identity_decomposerENS1_16block_id_wrapperIjLb1EEEEE10hipError_tT1_PNSt15iterator_traitsISI_E10value_typeET2_T3_PNSJ_ISO_E10value_typeET4_T5_PST_SU_PNS1_23onesweep_lookback_stateEbbT6_jjT7_P12ihipStream_tbENKUlT_T0_SI_SN_E_clISD_SD_SD_SD_EEDaS11_S12_SI_SN_EUlS11_E_NS1_11comp_targetILNS1_3genE4ELNS1_11target_archE910ELNS1_3gpuE8ELNS1_3repE0EEENS1_47radix_sort_onesweep_sort_config_static_selectorELNS0_4arch9wavefront6targetE1EEEvSI_.kd
    .uniform_work_group_size: 1
    .uses_dynamic_stack: false
    .vgpr_count:     0
    .vgpr_spill_count: 0
    .wavefront_size: 64
  - .agpr_count:     0
    .args:
      - .offset:         0
        .size:           88
        .value_kind:     by_value
    .group_segment_fixed_size: 0
    .kernarg_segment_align: 8
    .kernarg_segment_size: 88
    .language:       OpenCL C
    .language_version:
      - 2
      - 0
    .max_flat_workgroup_size: 256
    .name:           _ZN7rocprim17ROCPRIM_400000_NS6detail17trampoline_kernelINS0_14default_configENS1_35radix_sort_onesweep_config_selectorIffEEZZNS1_29radix_sort_onesweep_iterationIS3_Lb0EN6thrust23THRUST_200600_302600_NS6detail15normal_iteratorINS8_10device_ptrIfEEEESD_SD_SD_jNS0_19identity_decomposerENS1_16block_id_wrapperIjLb1EEEEE10hipError_tT1_PNSt15iterator_traitsISI_E10value_typeET2_T3_PNSJ_ISO_E10value_typeET4_T5_PST_SU_PNS1_23onesweep_lookback_stateEbbT6_jjT7_P12ihipStream_tbENKUlT_T0_SI_SN_E_clISD_SD_SD_SD_EEDaS11_S12_SI_SN_EUlS11_E_NS1_11comp_targetILNS1_3genE3ELNS1_11target_archE908ELNS1_3gpuE7ELNS1_3repE0EEENS1_47radix_sort_onesweep_sort_config_static_selectorELNS0_4arch9wavefront6targetE1EEEvSI_
    .private_segment_fixed_size: 0
    .sgpr_count:     6
    .sgpr_spill_count: 0
    .symbol:         _ZN7rocprim17ROCPRIM_400000_NS6detail17trampoline_kernelINS0_14default_configENS1_35radix_sort_onesweep_config_selectorIffEEZZNS1_29radix_sort_onesweep_iterationIS3_Lb0EN6thrust23THRUST_200600_302600_NS6detail15normal_iteratorINS8_10device_ptrIfEEEESD_SD_SD_jNS0_19identity_decomposerENS1_16block_id_wrapperIjLb1EEEEE10hipError_tT1_PNSt15iterator_traitsISI_E10value_typeET2_T3_PNSJ_ISO_E10value_typeET4_T5_PST_SU_PNS1_23onesweep_lookback_stateEbbT6_jjT7_P12ihipStream_tbENKUlT_T0_SI_SN_E_clISD_SD_SD_SD_EEDaS11_S12_SI_SN_EUlS11_E_NS1_11comp_targetILNS1_3genE3ELNS1_11target_archE908ELNS1_3gpuE7ELNS1_3repE0EEENS1_47radix_sort_onesweep_sort_config_static_selectorELNS0_4arch9wavefront6targetE1EEEvSI_.kd
    .uniform_work_group_size: 1
    .uses_dynamic_stack: false
    .vgpr_count:     0
    .vgpr_spill_count: 0
    .wavefront_size: 64
  - .agpr_count:     0
    .args:
      - .offset:         0
        .size:           88
        .value_kind:     by_value
    .group_segment_fixed_size: 0
    .kernarg_segment_align: 8
    .kernarg_segment_size: 88
    .language:       OpenCL C
    .language_version:
      - 2
      - 0
    .max_flat_workgroup_size: 1024
    .name:           _ZN7rocprim17ROCPRIM_400000_NS6detail17trampoline_kernelINS0_14default_configENS1_35radix_sort_onesweep_config_selectorIffEEZZNS1_29radix_sort_onesweep_iterationIS3_Lb0EN6thrust23THRUST_200600_302600_NS6detail15normal_iteratorINS8_10device_ptrIfEEEESD_SD_SD_jNS0_19identity_decomposerENS1_16block_id_wrapperIjLb1EEEEE10hipError_tT1_PNSt15iterator_traitsISI_E10value_typeET2_T3_PNSJ_ISO_E10value_typeET4_T5_PST_SU_PNS1_23onesweep_lookback_stateEbbT6_jjT7_P12ihipStream_tbENKUlT_T0_SI_SN_E_clISD_SD_SD_SD_EEDaS11_S12_SI_SN_EUlS11_E_NS1_11comp_targetILNS1_3genE10ELNS1_11target_archE1201ELNS1_3gpuE5ELNS1_3repE0EEENS1_47radix_sort_onesweep_sort_config_static_selectorELNS0_4arch9wavefront6targetE1EEEvSI_
    .private_segment_fixed_size: 0
    .sgpr_count:     6
    .sgpr_spill_count: 0
    .symbol:         _ZN7rocprim17ROCPRIM_400000_NS6detail17trampoline_kernelINS0_14default_configENS1_35radix_sort_onesweep_config_selectorIffEEZZNS1_29radix_sort_onesweep_iterationIS3_Lb0EN6thrust23THRUST_200600_302600_NS6detail15normal_iteratorINS8_10device_ptrIfEEEESD_SD_SD_jNS0_19identity_decomposerENS1_16block_id_wrapperIjLb1EEEEE10hipError_tT1_PNSt15iterator_traitsISI_E10value_typeET2_T3_PNSJ_ISO_E10value_typeET4_T5_PST_SU_PNS1_23onesweep_lookback_stateEbbT6_jjT7_P12ihipStream_tbENKUlT_T0_SI_SN_E_clISD_SD_SD_SD_EEDaS11_S12_SI_SN_EUlS11_E_NS1_11comp_targetILNS1_3genE10ELNS1_11target_archE1201ELNS1_3gpuE5ELNS1_3repE0EEENS1_47radix_sort_onesweep_sort_config_static_selectorELNS0_4arch9wavefront6targetE1EEEvSI_.kd
    .uniform_work_group_size: 1
    .uses_dynamic_stack: false
    .vgpr_count:     0
    .vgpr_spill_count: 0
    .wavefront_size: 64
  - .agpr_count:     0
    .args:
      - .offset:         0
        .size:           88
        .value_kind:     by_value
    .group_segment_fixed_size: 0
    .kernarg_segment_align: 8
    .kernarg_segment_size: 88
    .language:       OpenCL C
    .language_version:
      - 2
      - 0
    .max_flat_workgroup_size: 1024
    .name:           _ZN7rocprim17ROCPRIM_400000_NS6detail17trampoline_kernelINS0_14default_configENS1_35radix_sort_onesweep_config_selectorIffEEZZNS1_29radix_sort_onesweep_iterationIS3_Lb0EN6thrust23THRUST_200600_302600_NS6detail15normal_iteratorINS8_10device_ptrIfEEEESD_SD_SD_jNS0_19identity_decomposerENS1_16block_id_wrapperIjLb1EEEEE10hipError_tT1_PNSt15iterator_traitsISI_E10value_typeET2_T3_PNSJ_ISO_E10value_typeET4_T5_PST_SU_PNS1_23onesweep_lookback_stateEbbT6_jjT7_P12ihipStream_tbENKUlT_T0_SI_SN_E_clISD_SD_SD_SD_EEDaS11_S12_SI_SN_EUlS11_E_NS1_11comp_targetILNS1_3genE9ELNS1_11target_archE1100ELNS1_3gpuE3ELNS1_3repE0EEENS1_47radix_sort_onesweep_sort_config_static_selectorELNS0_4arch9wavefront6targetE1EEEvSI_
    .private_segment_fixed_size: 0
    .sgpr_count:     6
    .sgpr_spill_count: 0
    .symbol:         _ZN7rocprim17ROCPRIM_400000_NS6detail17trampoline_kernelINS0_14default_configENS1_35radix_sort_onesweep_config_selectorIffEEZZNS1_29radix_sort_onesweep_iterationIS3_Lb0EN6thrust23THRUST_200600_302600_NS6detail15normal_iteratorINS8_10device_ptrIfEEEESD_SD_SD_jNS0_19identity_decomposerENS1_16block_id_wrapperIjLb1EEEEE10hipError_tT1_PNSt15iterator_traitsISI_E10value_typeET2_T3_PNSJ_ISO_E10value_typeET4_T5_PST_SU_PNS1_23onesweep_lookback_stateEbbT6_jjT7_P12ihipStream_tbENKUlT_T0_SI_SN_E_clISD_SD_SD_SD_EEDaS11_S12_SI_SN_EUlS11_E_NS1_11comp_targetILNS1_3genE9ELNS1_11target_archE1100ELNS1_3gpuE3ELNS1_3repE0EEENS1_47radix_sort_onesweep_sort_config_static_selectorELNS0_4arch9wavefront6targetE1EEEvSI_.kd
    .uniform_work_group_size: 1
    .uses_dynamic_stack: false
    .vgpr_count:     0
    .vgpr_spill_count: 0
    .wavefront_size: 64
  - .agpr_count:     0
    .args:
      - .offset:         0
        .size:           88
        .value_kind:     by_value
    .group_segment_fixed_size: 0
    .kernarg_segment_align: 8
    .kernarg_segment_size: 88
    .language:       OpenCL C
    .language_version:
      - 2
      - 0
    .max_flat_workgroup_size: 1024
    .name:           _ZN7rocprim17ROCPRIM_400000_NS6detail17trampoline_kernelINS0_14default_configENS1_35radix_sort_onesweep_config_selectorIffEEZZNS1_29radix_sort_onesweep_iterationIS3_Lb0EN6thrust23THRUST_200600_302600_NS6detail15normal_iteratorINS8_10device_ptrIfEEEESD_SD_SD_jNS0_19identity_decomposerENS1_16block_id_wrapperIjLb1EEEEE10hipError_tT1_PNSt15iterator_traitsISI_E10value_typeET2_T3_PNSJ_ISO_E10value_typeET4_T5_PST_SU_PNS1_23onesweep_lookback_stateEbbT6_jjT7_P12ihipStream_tbENKUlT_T0_SI_SN_E_clISD_SD_SD_SD_EEDaS11_S12_SI_SN_EUlS11_E_NS1_11comp_targetILNS1_3genE8ELNS1_11target_archE1030ELNS1_3gpuE2ELNS1_3repE0EEENS1_47radix_sort_onesweep_sort_config_static_selectorELNS0_4arch9wavefront6targetE1EEEvSI_
    .private_segment_fixed_size: 0
    .sgpr_count:     6
    .sgpr_spill_count: 0
    .symbol:         _ZN7rocprim17ROCPRIM_400000_NS6detail17trampoline_kernelINS0_14default_configENS1_35radix_sort_onesweep_config_selectorIffEEZZNS1_29radix_sort_onesweep_iterationIS3_Lb0EN6thrust23THRUST_200600_302600_NS6detail15normal_iteratorINS8_10device_ptrIfEEEESD_SD_SD_jNS0_19identity_decomposerENS1_16block_id_wrapperIjLb1EEEEE10hipError_tT1_PNSt15iterator_traitsISI_E10value_typeET2_T3_PNSJ_ISO_E10value_typeET4_T5_PST_SU_PNS1_23onesweep_lookback_stateEbbT6_jjT7_P12ihipStream_tbENKUlT_T0_SI_SN_E_clISD_SD_SD_SD_EEDaS11_S12_SI_SN_EUlS11_E_NS1_11comp_targetILNS1_3genE8ELNS1_11target_archE1030ELNS1_3gpuE2ELNS1_3repE0EEENS1_47radix_sort_onesweep_sort_config_static_selectorELNS0_4arch9wavefront6targetE1EEEvSI_.kd
    .uniform_work_group_size: 1
    .uses_dynamic_stack: false
    .vgpr_count:     0
    .vgpr_spill_count: 0
    .wavefront_size: 64
  - .agpr_count:     0
    .args:
      - .offset:         0
        .size:           88
        .value_kind:     by_value
    .group_segment_fixed_size: 0
    .kernarg_segment_align: 8
    .kernarg_segment_size: 88
    .language:       OpenCL C
    .language_version:
      - 2
      - 0
    .max_flat_workgroup_size: 256
    .name:           _ZN7rocprim17ROCPRIM_400000_NS6detail17trampoline_kernelINS0_14default_configENS1_35radix_sort_onesweep_config_selectorIffEEZZNS1_29radix_sort_onesweep_iterationIS3_Lb0EN6thrust23THRUST_200600_302600_NS6detail15normal_iteratorINS8_10device_ptrIfEEEESD_SD_SD_jNS0_19identity_decomposerENS1_16block_id_wrapperIjLb1EEEEE10hipError_tT1_PNSt15iterator_traitsISI_E10value_typeET2_T3_PNSJ_ISO_E10value_typeET4_T5_PST_SU_PNS1_23onesweep_lookback_stateEbbT6_jjT7_P12ihipStream_tbENKUlT_T0_SI_SN_E_clISD_PfSD_S15_EEDaS11_S12_SI_SN_EUlS11_E_NS1_11comp_targetILNS1_3genE0ELNS1_11target_archE4294967295ELNS1_3gpuE0ELNS1_3repE0EEENS1_47radix_sort_onesweep_sort_config_static_selectorELNS0_4arch9wavefront6targetE1EEEvSI_
    .private_segment_fixed_size: 0
    .sgpr_count:     6
    .sgpr_spill_count: 0
    .symbol:         _ZN7rocprim17ROCPRIM_400000_NS6detail17trampoline_kernelINS0_14default_configENS1_35radix_sort_onesweep_config_selectorIffEEZZNS1_29radix_sort_onesweep_iterationIS3_Lb0EN6thrust23THRUST_200600_302600_NS6detail15normal_iteratorINS8_10device_ptrIfEEEESD_SD_SD_jNS0_19identity_decomposerENS1_16block_id_wrapperIjLb1EEEEE10hipError_tT1_PNSt15iterator_traitsISI_E10value_typeET2_T3_PNSJ_ISO_E10value_typeET4_T5_PST_SU_PNS1_23onesweep_lookback_stateEbbT6_jjT7_P12ihipStream_tbENKUlT_T0_SI_SN_E_clISD_PfSD_S15_EEDaS11_S12_SI_SN_EUlS11_E_NS1_11comp_targetILNS1_3genE0ELNS1_11target_archE4294967295ELNS1_3gpuE0ELNS1_3repE0EEENS1_47radix_sort_onesweep_sort_config_static_selectorELNS0_4arch9wavefront6targetE1EEEvSI_.kd
    .uniform_work_group_size: 1
    .uses_dynamic_stack: false
    .vgpr_count:     0
    .vgpr_spill_count: 0
    .wavefront_size: 64
  - .agpr_count:     0
    .args:
      - .offset:         0
        .size:           88
        .value_kind:     by_value
      - .offset:         88
        .size:           4
        .value_kind:     hidden_block_count_x
      - .offset:         92
        .size:           4
        .value_kind:     hidden_block_count_y
      - .offset:         96
        .size:           4
        .value_kind:     hidden_block_count_z
      - .offset:         100
        .size:           2
        .value_kind:     hidden_group_size_x
      - .offset:         102
        .size:           2
        .value_kind:     hidden_group_size_y
      - .offset:         104
        .size:           2
        .value_kind:     hidden_group_size_z
      - .offset:         106
        .size:           2
        .value_kind:     hidden_remainder_x
      - .offset:         108
        .size:           2
        .value_kind:     hidden_remainder_y
      - .offset:         110
        .size:           2
        .value_kind:     hidden_remainder_z
      - .offset:         128
        .size:           8
        .value_kind:     hidden_global_offset_x
      - .offset:         136
        .size:           8
        .value_kind:     hidden_global_offset_y
      - .offset:         144
        .size:           8
        .value_kind:     hidden_global_offset_z
      - .offset:         152
        .size:           2
        .value_kind:     hidden_grid_dims
    .group_segment_fixed_size: 53328
    .kernarg_segment_align: 8
    .kernarg_segment_size: 344
    .language:       OpenCL C
    .language_version:
      - 2
      - 0
    .max_flat_workgroup_size: 1024
    .name:           _ZN7rocprim17ROCPRIM_400000_NS6detail17trampoline_kernelINS0_14default_configENS1_35radix_sort_onesweep_config_selectorIffEEZZNS1_29radix_sort_onesweep_iterationIS3_Lb0EN6thrust23THRUST_200600_302600_NS6detail15normal_iteratorINS8_10device_ptrIfEEEESD_SD_SD_jNS0_19identity_decomposerENS1_16block_id_wrapperIjLb1EEEEE10hipError_tT1_PNSt15iterator_traitsISI_E10value_typeET2_T3_PNSJ_ISO_E10value_typeET4_T5_PST_SU_PNS1_23onesweep_lookback_stateEbbT6_jjT7_P12ihipStream_tbENKUlT_T0_SI_SN_E_clISD_PfSD_S15_EEDaS11_S12_SI_SN_EUlS11_E_NS1_11comp_targetILNS1_3genE6ELNS1_11target_archE950ELNS1_3gpuE13ELNS1_3repE0EEENS1_47radix_sort_onesweep_sort_config_static_selectorELNS0_4arch9wavefront6targetE1EEEvSI_
    .private_segment_fixed_size: 48
    .sgpr_count:     66
    .sgpr_spill_count: 0
    .symbol:         _ZN7rocprim17ROCPRIM_400000_NS6detail17trampoline_kernelINS0_14default_configENS1_35radix_sort_onesweep_config_selectorIffEEZZNS1_29radix_sort_onesweep_iterationIS3_Lb0EN6thrust23THRUST_200600_302600_NS6detail15normal_iteratorINS8_10device_ptrIfEEEESD_SD_SD_jNS0_19identity_decomposerENS1_16block_id_wrapperIjLb1EEEEE10hipError_tT1_PNSt15iterator_traitsISI_E10value_typeET2_T3_PNSJ_ISO_E10value_typeET4_T5_PST_SU_PNS1_23onesweep_lookback_stateEbbT6_jjT7_P12ihipStream_tbENKUlT_T0_SI_SN_E_clISD_PfSD_S15_EEDaS11_S12_SI_SN_EUlS11_E_NS1_11comp_targetILNS1_3genE6ELNS1_11target_archE950ELNS1_3gpuE13ELNS1_3repE0EEENS1_47radix_sort_onesweep_sort_config_static_selectorELNS0_4arch9wavefront6targetE1EEEvSI_.kd
    .uniform_work_group_size: 1
    .uses_dynamic_stack: false
    .vgpr_count:     53
    .vgpr_spill_count: 0
    .wavefront_size: 64
  - .agpr_count:     0
    .args:
      - .offset:         0
        .size:           88
        .value_kind:     by_value
    .group_segment_fixed_size: 0
    .kernarg_segment_align: 8
    .kernarg_segment_size: 88
    .language:       OpenCL C
    .language_version:
      - 2
      - 0
    .max_flat_workgroup_size: 1024
    .name:           _ZN7rocprim17ROCPRIM_400000_NS6detail17trampoline_kernelINS0_14default_configENS1_35radix_sort_onesweep_config_selectorIffEEZZNS1_29radix_sort_onesweep_iterationIS3_Lb0EN6thrust23THRUST_200600_302600_NS6detail15normal_iteratorINS8_10device_ptrIfEEEESD_SD_SD_jNS0_19identity_decomposerENS1_16block_id_wrapperIjLb1EEEEE10hipError_tT1_PNSt15iterator_traitsISI_E10value_typeET2_T3_PNSJ_ISO_E10value_typeET4_T5_PST_SU_PNS1_23onesweep_lookback_stateEbbT6_jjT7_P12ihipStream_tbENKUlT_T0_SI_SN_E_clISD_PfSD_S15_EEDaS11_S12_SI_SN_EUlS11_E_NS1_11comp_targetILNS1_3genE5ELNS1_11target_archE942ELNS1_3gpuE9ELNS1_3repE0EEENS1_47radix_sort_onesweep_sort_config_static_selectorELNS0_4arch9wavefront6targetE1EEEvSI_
    .private_segment_fixed_size: 0
    .sgpr_count:     6
    .sgpr_spill_count: 0
    .symbol:         _ZN7rocprim17ROCPRIM_400000_NS6detail17trampoline_kernelINS0_14default_configENS1_35radix_sort_onesweep_config_selectorIffEEZZNS1_29radix_sort_onesweep_iterationIS3_Lb0EN6thrust23THRUST_200600_302600_NS6detail15normal_iteratorINS8_10device_ptrIfEEEESD_SD_SD_jNS0_19identity_decomposerENS1_16block_id_wrapperIjLb1EEEEE10hipError_tT1_PNSt15iterator_traitsISI_E10value_typeET2_T3_PNSJ_ISO_E10value_typeET4_T5_PST_SU_PNS1_23onesweep_lookback_stateEbbT6_jjT7_P12ihipStream_tbENKUlT_T0_SI_SN_E_clISD_PfSD_S15_EEDaS11_S12_SI_SN_EUlS11_E_NS1_11comp_targetILNS1_3genE5ELNS1_11target_archE942ELNS1_3gpuE9ELNS1_3repE0EEENS1_47radix_sort_onesweep_sort_config_static_selectorELNS0_4arch9wavefront6targetE1EEEvSI_.kd
    .uniform_work_group_size: 1
    .uses_dynamic_stack: false
    .vgpr_count:     0
    .vgpr_spill_count: 0
    .wavefront_size: 64
  - .agpr_count:     0
    .args:
      - .offset:         0
        .size:           88
        .value_kind:     by_value
    .group_segment_fixed_size: 0
    .kernarg_segment_align: 8
    .kernarg_segment_size: 88
    .language:       OpenCL C
    .language_version:
      - 2
      - 0
    .max_flat_workgroup_size: 512
    .name:           _ZN7rocprim17ROCPRIM_400000_NS6detail17trampoline_kernelINS0_14default_configENS1_35radix_sort_onesweep_config_selectorIffEEZZNS1_29radix_sort_onesweep_iterationIS3_Lb0EN6thrust23THRUST_200600_302600_NS6detail15normal_iteratorINS8_10device_ptrIfEEEESD_SD_SD_jNS0_19identity_decomposerENS1_16block_id_wrapperIjLb1EEEEE10hipError_tT1_PNSt15iterator_traitsISI_E10value_typeET2_T3_PNSJ_ISO_E10value_typeET4_T5_PST_SU_PNS1_23onesweep_lookback_stateEbbT6_jjT7_P12ihipStream_tbENKUlT_T0_SI_SN_E_clISD_PfSD_S15_EEDaS11_S12_SI_SN_EUlS11_E_NS1_11comp_targetILNS1_3genE2ELNS1_11target_archE906ELNS1_3gpuE6ELNS1_3repE0EEENS1_47radix_sort_onesweep_sort_config_static_selectorELNS0_4arch9wavefront6targetE1EEEvSI_
    .private_segment_fixed_size: 0
    .sgpr_count:     6
    .sgpr_spill_count: 0
    .symbol:         _ZN7rocprim17ROCPRIM_400000_NS6detail17trampoline_kernelINS0_14default_configENS1_35radix_sort_onesweep_config_selectorIffEEZZNS1_29radix_sort_onesweep_iterationIS3_Lb0EN6thrust23THRUST_200600_302600_NS6detail15normal_iteratorINS8_10device_ptrIfEEEESD_SD_SD_jNS0_19identity_decomposerENS1_16block_id_wrapperIjLb1EEEEE10hipError_tT1_PNSt15iterator_traitsISI_E10value_typeET2_T3_PNSJ_ISO_E10value_typeET4_T5_PST_SU_PNS1_23onesweep_lookback_stateEbbT6_jjT7_P12ihipStream_tbENKUlT_T0_SI_SN_E_clISD_PfSD_S15_EEDaS11_S12_SI_SN_EUlS11_E_NS1_11comp_targetILNS1_3genE2ELNS1_11target_archE906ELNS1_3gpuE6ELNS1_3repE0EEENS1_47radix_sort_onesweep_sort_config_static_selectorELNS0_4arch9wavefront6targetE1EEEvSI_.kd
    .uniform_work_group_size: 1
    .uses_dynamic_stack: false
    .vgpr_count:     0
    .vgpr_spill_count: 0
    .wavefront_size: 64
  - .agpr_count:     0
    .args:
      - .offset:         0
        .size:           88
        .value_kind:     by_value
    .group_segment_fixed_size: 0
    .kernarg_segment_align: 8
    .kernarg_segment_size: 88
    .language:       OpenCL C
    .language_version:
      - 2
      - 0
    .max_flat_workgroup_size: 512
    .name:           _ZN7rocprim17ROCPRIM_400000_NS6detail17trampoline_kernelINS0_14default_configENS1_35radix_sort_onesweep_config_selectorIffEEZZNS1_29radix_sort_onesweep_iterationIS3_Lb0EN6thrust23THRUST_200600_302600_NS6detail15normal_iteratorINS8_10device_ptrIfEEEESD_SD_SD_jNS0_19identity_decomposerENS1_16block_id_wrapperIjLb1EEEEE10hipError_tT1_PNSt15iterator_traitsISI_E10value_typeET2_T3_PNSJ_ISO_E10value_typeET4_T5_PST_SU_PNS1_23onesweep_lookback_stateEbbT6_jjT7_P12ihipStream_tbENKUlT_T0_SI_SN_E_clISD_PfSD_S15_EEDaS11_S12_SI_SN_EUlS11_E_NS1_11comp_targetILNS1_3genE4ELNS1_11target_archE910ELNS1_3gpuE8ELNS1_3repE0EEENS1_47radix_sort_onesweep_sort_config_static_selectorELNS0_4arch9wavefront6targetE1EEEvSI_
    .private_segment_fixed_size: 0
    .sgpr_count:     6
    .sgpr_spill_count: 0
    .symbol:         _ZN7rocprim17ROCPRIM_400000_NS6detail17trampoline_kernelINS0_14default_configENS1_35radix_sort_onesweep_config_selectorIffEEZZNS1_29radix_sort_onesweep_iterationIS3_Lb0EN6thrust23THRUST_200600_302600_NS6detail15normal_iteratorINS8_10device_ptrIfEEEESD_SD_SD_jNS0_19identity_decomposerENS1_16block_id_wrapperIjLb1EEEEE10hipError_tT1_PNSt15iterator_traitsISI_E10value_typeET2_T3_PNSJ_ISO_E10value_typeET4_T5_PST_SU_PNS1_23onesweep_lookback_stateEbbT6_jjT7_P12ihipStream_tbENKUlT_T0_SI_SN_E_clISD_PfSD_S15_EEDaS11_S12_SI_SN_EUlS11_E_NS1_11comp_targetILNS1_3genE4ELNS1_11target_archE910ELNS1_3gpuE8ELNS1_3repE0EEENS1_47radix_sort_onesweep_sort_config_static_selectorELNS0_4arch9wavefront6targetE1EEEvSI_.kd
    .uniform_work_group_size: 1
    .uses_dynamic_stack: false
    .vgpr_count:     0
    .vgpr_spill_count: 0
    .wavefront_size: 64
  - .agpr_count:     0
    .args:
      - .offset:         0
        .size:           88
        .value_kind:     by_value
    .group_segment_fixed_size: 0
    .kernarg_segment_align: 8
    .kernarg_segment_size: 88
    .language:       OpenCL C
    .language_version:
      - 2
      - 0
    .max_flat_workgroup_size: 256
    .name:           _ZN7rocprim17ROCPRIM_400000_NS6detail17trampoline_kernelINS0_14default_configENS1_35radix_sort_onesweep_config_selectorIffEEZZNS1_29radix_sort_onesweep_iterationIS3_Lb0EN6thrust23THRUST_200600_302600_NS6detail15normal_iteratorINS8_10device_ptrIfEEEESD_SD_SD_jNS0_19identity_decomposerENS1_16block_id_wrapperIjLb1EEEEE10hipError_tT1_PNSt15iterator_traitsISI_E10value_typeET2_T3_PNSJ_ISO_E10value_typeET4_T5_PST_SU_PNS1_23onesweep_lookback_stateEbbT6_jjT7_P12ihipStream_tbENKUlT_T0_SI_SN_E_clISD_PfSD_S15_EEDaS11_S12_SI_SN_EUlS11_E_NS1_11comp_targetILNS1_3genE3ELNS1_11target_archE908ELNS1_3gpuE7ELNS1_3repE0EEENS1_47radix_sort_onesweep_sort_config_static_selectorELNS0_4arch9wavefront6targetE1EEEvSI_
    .private_segment_fixed_size: 0
    .sgpr_count:     6
    .sgpr_spill_count: 0
    .symbol:         _ZN7rocprim17ROCPRIM_400000_NS6detail17trampoline_kernelINS0_14default_configENS1_35radix_sort_onesweep_config_selectorIffEEZZNS1_29radix_sort_onesweep_iterationIS3_Lb0EN6thrust23THRUST_200600_302600_NS6detail15normal_iteratorINS8_10device_ptrIfEEEESD_SD_SD_jNS0_19identity_decomposerENS1_16block_id_wrapperIjLb1EEEEE10hipError_tT1_PNSt15iterator_traitsISI_E10value_typeET2_T3_PNSJ_ISO_E10value_typeET4_T5_PST_SU_PNS1_23onesweep_lookback_stateEbbT6_jjT7_P12ihipStream_tbENKUlT_T0_SI_SN_E_clISD_PfSD_S15_EEDaS11_S12_SI_SN_EUlS11_E_NS1_11comp_targetILNS1_3genE3ELNS1_11target_archE908ELNS1_3gpuE7ELNS1_3repE0EEENS1_47radix_sort_onesweep_sort_config_static_selectorELNS0_4arch9wavefront6targetE1EEEvSI_.kd
    .uniform_work_group_size: 1
    .uses_dynamic_stack: false
    .vgpr_count:     0
    .vgpr_spill_count: 0
    .wavefront_size: 64
  - .agpr_count:     0
    .args:
      - .offset:         0
        .size:           88
        .value_kind:     by_value
    .group_segment_fixed_size: 0
    .kernarg_segment_align: 8
    .kernarg_segment_size: 88
    .language:       OpenCL C
    .language_version:
      - 2
      - 0
    .max_flat_workgroup_size: 1024
    .name:           _ZN7rocprim17ROCPRIM_400000_NS6detail17trampoline_kernelINS0_14default_configENS1_35radix_sort_onesweep_config_selectorIffEEZZNS1_29radix_sort_onesweep_iterationIS3_Lb0EN6thrust23THRUST_200600_302600_NS6detail15normal_iteratorINS8_10device_ptrIfEEEESD_SD_SD_jNS0_19identity_decomposerENS1_16block_id_wrapperIjLb1EEEEE10hipError_tT1_PNSt15iterator_traitsISI_E10value_typeET2_T3_PNSJ_ISO_E10value_typeET4_T5_PST_SU_PNS1_23onesweep_lookback_stateEbbT6_jjT7_P12ihipStream_tbENKUlT_T0_SI_SN_E_clISD_PfSD_S15_EEDaS11_S12_SI_SN_EUlS11_E_NS1_11comp_targetILNS1_3genE10ELNS1_11target_archE1201ELNS1_3gpuE5ELNS1_3repE0EEENS1_47radix_sort_onesweep_sort_config_static_selectorELNS0_4arch9wavefront6targetE1EEEvSI_
    .private_segment_fixed_size: 0
    .sgpr_count:     6
    .sgpr_spill_count: 0
    .symbol:         _ZN7rocprim17ROCPRIM_400000_NS6detail17trampoline_kernelINS0_14default_configENS1_35radix_sort_onesweep_config_selectorIffEEZZNS1_29radix_sort_onesweep_iterationIS3_Lb0EN6thrust23THRUST_200600_302600_NS6detail15normal_iteratorINS8_10device_ptrIfEEEESD_SD_SD_jNS0_19identity_decomposerENS1_16block_id_wrapperIjLb1EEEEE10hipError_tT1_PNSt15iterator_traitsISI_E10value_typeET2_T3_PNSJ_ISO_E10value_typeET4_T5_PST_SU_PNS1_23onesweep_lookback_stateEbbT6_jjT7_P12ihipStream_tbENKUlT_T0_SI_SN_E_clISD_PfSD_S15_EEDaS11_S12_SI_SN_EUlS11_E_NS1_11comp_targetILNS1_3genE10ELNS1_11target_archE1201ELNS1_3gpuE5ELNS1_3repE0EEENS1_47radix_sort_onesweep_sort_config_static_selectorELNS0_4arch9wavefront6targetE1EEEvSI_.kd
    .uniform_work_group_size: 1
    .uses_dynamic_stack: false
    .vgpr_count:     0
    .vgpr_spill_count: 0
    .wavefront_size: 64
  - .agpr_count:     0
    .args:
      - .offset:         0
        .size:           88
        .value_kind:     by_value
    .group_segment_fixed_size: 0
    .kernarg_segment_align: 8
    .kernarg_segment_size: 88
    .language:       OpenCL C
    .language_version:
      - 2
      - 0
    .max_flat_workgroup_size: 1024
    .name:           _ZN7rocprim17ROCPRIM_400000_NS6detail17trampoline_kernelINS0_14default_configENS1_35radix_sort_onesweep_config_selectorIffEEZZNS1_29radix_sort_onesweep_iterationIS3_Lb0EN6thrust23THRUST_200600_302600_NS6detail15normal_iteratorINS8_10device_ptrIfEEEESD_SD_SD_jNS0_19identity_decomposerENS1_16block_id_wrapperIjLb1EEEEE10hipError_tT1_PNSt15iterator_traitsISI_E10value_typeET2_T3_PNSJ_ISO_E10value_typeET4_T5_PST_SU_PNS1_23onesweep_lookback_stateEbbT6_jjT7_P12ihipStream_tbENKUlT_T0_SI_SN_E_clISD_PfSD_S15_EEDaS11_S12_SI_SN_EUlS11_E_NS1_11comp_targetILNS1_3genE9ELNS1_11target_archE1100ELNS1_3gpuE3ELNS1_3repE0EEENS1_47radix_sort_onesweep_sort_config_static_selectorELNS0_4arch9wavefront6targetE1EEEvSI_
    .private_segment_fixed_size: 0
    .sgpr_count:     6
    .sgpr_spill_count: 0
    .symbol:         _ZN7rocprim17ROCPRIM_400000_NS6detail17trampoline_kernelINS0_14default_configENS1_35radix_sort_onesweep_config_selectorIffEEZZNS1_29radix_sort_onesweep_iterationIS3_Lb0EN6thrust23THRUST_200600_302600_NS6detail15normal_iteratorINS8_10device_ptrIfEEEESD_SD_SD_jNS0_19identity_decomposerENS1_16block_id_wrapperIjLb1EEEEE10hipError_tT1_PNSt15iterator_traitsISI_E10value_typeET2_T3_PNSJ_ISO_E10value_typeET4_T5_PST_SU_PNS1_23onesweep_lookback_stateEbbT6_jjT7_P12ihipStream_tbENKUlT_T0_SI_SN_E_clISD_PfSD_S15_EEDaS11_S12_SI_SN_EUlS11_E_NS1_11comp_targetILNS1_3genE9ELNS1_11target_archE1100ELNS1_3gpuE3ELNS1_3repE0EEENS1_47radix_sort_onesweep_sort_config_static_selectorELNS0_4arch9wavefront6targetE1EEEvSI_.kd
    .uniform_work_group_size: 1
    .uses_dynamic_stack: false
    .vgpr_count:     0
    .vgpr_spill_count: 0
    .wavefront_size: 64
  - .agpr_count:     0
    .args:
      - .offset:         0
        .size:           88
        .value_kind:     by_value
    .group_segment_fixed_size: 0
    .kernarg_segment_align: 8
    .kernarg_segment_size: 88
    .language:       OpenCL C
    .language_version:
      - 2
      - 0
    .max_flat_workgroup_size: 1024
    .name:           _ZN7rocprim17ROCPRIM_400000_NS6detail17trampoline_kernelINS0_14default_configENS1_35radix_sort_onesweep_config_selectorIffEEZZNS1_29radix_sort_onesweep_iterationIS3_Lb0EN6thrust23THRUST_200600_302600_NS6detail15normal_iteratorINS8_10device_ptrIfEEEESD_SD_SD_jNS0_19identity_decomposerENS1_16block_id_wrapperIjLb1EEEEE10hipError_tT1_PNSt15iterator_traitsISI_E10value_typeET2_T3_PNSJ_ISO_E10value_typeET4_T5_PST_SU_PNS1_23onesweep_lookback_stateEbbT6_jjT7_P12ihipStream_tbENKUlT_T0_SI_SN_E_clISD_PfSD_S15_EEDaS11_S12_SI_SN_EUlS11_E_NS1_11comp_targetILNS1_3genE8ELNS1_11target_archE1030ELNS1_3gpuE2ELNS1_3repE0EEENS1_47radix_sort_onesweep_sort_config_static_selectorELNS0_4arch9wavefront6targetE1EEEvSI_
    .private_segment_fixed_size: 0
    .sgpr_count:     6
    .sgpr_spill_count: 0
    .symbol:         _ZN7rocprim17ROCPRIM_400000_NS6detail17trampoline_kernelINS0_14default_configENS1_35radix_sort_onesweep_config_selectorIffEEZZNS1_29radix_sort_onesweep_iterationIS3_Lb0EN6thrust23THRUST_200600_302600_NS6detail15normal_iteratorINS8_10device_ptrIfEEEESD_SD_SD_jNS0_19identity_decomposerENS1_16block_id_wrapperIjLb1EEEEE10hipError_tT1_PNSt15iterator_traitsISI_E10value_typeET2_T3_PNSJ_ISO_E10value_typeET4_T5_PST_SU_PNS1_23onesweep_lookback_stateEbbT6_jjT7_P12ihipStream_tbENKUlT_T0_SI_SN_E_clISD_PfSD_S15_EEDaS11_S12_SI_SN_EUlS11_E_NS1_11comp_targetILNS1_3genE8ELNS1_11target_archE1030ELNS1_3gpuE2ELNS1_3repE0EEENS1_47radix_sort_onesweep_sort_config_static_selectorELNS0_4arch9wavefront6targetE1EEEvSI_.kd
    .uniform_work_group_size: 1
    .uses_dynamic_stack: false
    .vgpr_count:     0
    .vgpr_spill_count: 0
    .wavefront_size: 64
  - .agpr_count:     0
    .args:
      - .offset:         0
        .size:           88
        .value_kind:     by_value
    .group_segment_fixed_size: 0
    .kernarg_segment_align: 8
    .kernarg_segment_size: 88
    .language:       OpenCL C
    .language_version:
      - 2
      - 0
    .max_flat_workgroup_size: 256
    .name:           _ZN7rocprim17ROCPRIM_400000_NS6detail17trampoline_kernelINS0_14default_configENS1_35radix_sort_onesweep_config_selectorIffEEZZNS1_29radix_sort_onesweep_iterationIS3_Lb0EN6thrust23THRUST_200600_302600_NS6detail15normal_iteratorINS8_10device_ptrIfEEEESD_SD_SD_jNS0_19identity_decomposerENS1_16block_id_wrapperIjLb1EEEEE10hipError_tT1_PNSt15iterator_traitsISI_E10value_typeET2_T3_PNSJ_ISO_E10value_typeET4_T5_PST_SU_PNS1_23onesweep_lookback_stateEbbT6_jjT7_P12ihipStream_tbENKUlT_T0_SI_SN_E_clIPfSD_S15_SD_EEDaS11_S12_SI_SN_EUlS11_E_NS1_11comp_targetILNS1_3genE0ELNS1_11target_archE4294967295ELNS1_3gpuE0ELNS1_3repE0EEENS1_47radix_sort_onesweep_sort_config_static_selectorELNS0_4arch9wavefront6targetE1EEEvSI_
    .private_segment_fixed_size: 0
    .sgpr_count:     6
    .sgpr_spill_count: 0
    .symbol:         _ZN7rocprim17ROCPRIM_400000_NS6detail17trampoline_kernelINS0_14default_configENS1_35radix_sort_onesweep_config_selectorIffEEZZNS1_29radix_sort_onesweep_iterationIS3_Lb0EN6thrust23THRUST_200600_302600_NS6detail15normal_iteratorINS8_10device_ptrIfEEEESD_SD_SD_jNS0_19identity_decomposerENS1_16block_id_wrapperIjLb1EEEEE10hipError_tT1_PNSt15iterator_traitsISI_E10value_typeET2_T3_PNSJ_ISO_E10value_typeET4_T5_PST_SU_PNS1_23onesweep_lookback_stateEbbT6_jjT7_P12ihipStream_tbENKUlT_T0_SI_SN_E_clIPfSD_S15_SD_EEDaS11_S12_SI_SN_EUlS11_E_NS1_11comp_targetILNS1_3genE0ELNS1_11target_archE4294967295ELNS1_3gpuE0ELNS1_3repE0EEENS1_47radix_sort_onesweep_sort_config_static_selectorELNS0_4arch9wavefront6targetE1EEEvSI_.kd
    .uniform_work_group_size: 1
    .uses_dynamic_stack: false
    .vgpr_count:     0
    .vgpr_spill_count: 0
    .wavefront_size: 64
  - .agpr_count:     0
    .args:
      - .offset:         0
        .size:           88
        .value_kind:     by_value
      - .offset:         88
        .size:           4
        .value_kind:     hidden_block_count_x
      - .offset:         92
        .size:           4
        .value_kind:     hidden_block_count_y
      - .offset:         96
        .size:           4
        .value_kind:     hidden_block_count_z
      - .offset:         100
        .size:           2
        .value_kind:     hidden_group_size_x
      - .offset:         102
        .size:           2
        .value_kind:     hidden_group_size_y
      - .offset:         104
        .size:           2
        .value_kind:     hidden_group_size_z
      - .offset:         106
        .size:           2
        .value_kind:     hidden_remainder_x
      - .offset:         108
        .size:           2
        .value_kind:     hidden_remainder_y
      - .offset:         110
        .size:           2
        .value_kind:     hidden_remainder_z
      - .offset:         128
        .size:           8
        .value_kind:     hidden_global_offset_x
      - .offset:         136
        .size:           8
        .value_kind:     hidden_global_offset_y
      - .offset:         144
        .size:           8
        .value_kind:     hidden_global_offset_z
      - .offset:         152
        .size:           2
        .value_kind:     hidden_grid_dims
    .group_segment_fixed_size: 53328
    .kernarg_segment_align: 8
    .kernarg_segment_size: 344
    .language:       OpenCL C
    .language_version:
      - 2
      - 0
    .max_flat_workgroup_size: 1024
    .name:           _ZN7rocprim17ROCPRIM_400000_NS6detail17trampoline_kernelINS0_14default_configENS1_35radix_sort_onesweep_config_selectorIffEEZZNS1_29radix_sort_onesweep_iterationIS3_Lb0EN6thrust23THRUST_200600_302600_NS6detail15normal_iteratorINS8_10device_ptrIfEEEESD_SD_SD_jNS0_19identity_decomposerENS1_16block_id_wrapperIjLb1EEEEE10hipError_tT1_PNSt15iterator_traitsISI_E10value_typeET2_T3_PNSJ_ISO_E10value_typeET4_T5_PST_SU_PNS1_23onesweep_lookback_stateEbbT6_jjT7_P12ihipStream_tbENKUlT_T0_SI_SN_E_clIPfSD_S15_SD_EEDaS11_S12_SI_SN_EUlS11_E_NS1_11comp_targetILNS1_3genE6ELNS1_11target_archE950ELNS1_3gpuE13ELNS1_3repE0EEENS1_47radix_sort_onesweep_sort_config_static_selectorELNS0_4arch9wavefront6targetE1EEEvSI_
    .private_segment_fixed_size: 48
    .sgpr_count:     66
    .sgpr_spill_count: 0
    .symbol:         _ZN7rocprim17ROCPRIM_400000_NS6detail17trampoline_kernelINS0_14default_configENS1_35radix_sort_onesweep_config_selectorIffEEZZNS1_29radix_sort_onesweep_iterationIS3_Lb0EN6thrust23THRUST_200600_302600_NS6detail15normal_iteratorINS8_10device_ptrIfEEEESD_SD_SD_jNS0_19identity_decomposerENS1_16block_id_wrapperIjLb1EEEEE10hipError_tT1_PNSt15iterator_traitsISI_E10value_typeET2_T3_PNSJ_ISO_E10value_typeET4_T5_PST_SU_PNS1_23onesweep_lookback_stateEbbT6_jjT7_P12ihipStream_tbENKUlT_T0_SI_SN_E_clIPfSD_S15_SD_EEDaS11_S12_SI_SN_EUlS11_E_NS1_11comp_targetILNS1_3genE6ELNS1_11target_archE950ELNS1_3gpuE13ELNS1_3repE0EEENS1_47radix_sort_onesweep_sort_config_static_selectorELNS0_4arch9wavefront6targetE1EEEvSI_.kd
    .uniform_work_group_size: 1
    .uses_dynamic_stack: false
    .vgpr_count:     53
    .vgpr_spill_count: 0
    .wavefront_size: 64
  - .agpr_count:     0
    .args:
      - .offset:         0
        .size:           88
        .value_kind:     by_value
    .group_segment_fixed_size: 0
    .kernarg_segment_align: 8
    .kernarg_segment_size: 88
    .language:       OpenCL C
    .language_version:
      - 2
      - 0
    .max_flat_workgroup_size: 1024
    .name:           _ZN7rocprim17ROCPRIM_400000_NS6detail17trampoline_kernelINS0_14default_configENS1_35radix_sort_onesweep_config_selectorIffEEZZNS1_29radix_sort_onesweep_iterationIS3_Lb0EN6thrust23THRUST_200600_302600_NS6detail15normal_iteratorINS8_10device_ptrIfEEEESD_SD_SD_jNS0_19identity_decomposerENS1_16block_id_wrapperIjLb1EEEEE10hipError_tT1_PNSt15iterator_traitsISI_E10value_typeET2_T3_PNSJ_ISO_E10value_typeET4_T5_PST_SU_PNS1_23onesweep_lookback_stateEbbT6_jjT7_P12ihipStream_tbENKUlT_T0_SI_SN_E_clIPfSD_S15_SD_EEDaS11_S12_SI_SN_EUlS11_E_NS1_11comp_targetILNS1_3genE5ELNS1_11target_archE942ELNS1_3gpuE9ELNS1_3repE0EEENS1_47radix_sort_onesweep_sort_config_static_selectorELNS0_4arch9wavefront6targetE1EEEvSI_
    .private_segment_fixed_size: 0
    .sgpr_count:     6
    .sgpr_spill_count: 0
    .symbol:         _ZN7rocprim17ROCPRIM_400000_NS6detail17trampoline_kernelINS0_14default_configENS1_35radix_sort_onesweep_config_selectorIffEEZZNS1_29radix_sort_onesweep_iterationIS3_Lb0EN6thrust23THRUST_200600_302600_NS6detail15normal_iteratorINS8_10device_ptrIfEEEESD_SD_SD_jNS0_19identity_decomposerENS1_16block_id_wrapperIjLb1EEEEE10hipError_tT1_PNSt15iterator_traitsISI_E10value_typeET2_T3_PNSJ_ISO_E10value_typeET4_T5_PST_SU_PNS1_23onesweep_lookback_stateEbbT6_jjT7_P12ihipStream_tbENKUlT_T0_SI_SN_E_clIPfSD_S15_SD_EEDaS11_S12_SI_SN_EUlS11_E_NS1_11comp_targetILNS1_3genE5ELNS1_11target_archE942ELNS1_3gpuE9ELNS1_3repE0EEENS1_47radix_sort_onesweep_sort_config_static_selectorELNS0_4arch9wavefront6targetE1EEEvSI_.kd
    .uniform_work_group_size: 1
    .uses_dynamic_stack: false
    .vgpr_count:     0
    .vgpr_spill_count: 0
    .wavefront_size: 64
  - .agpr_count:     0
    .args:
      - .offset:         0
        .size:           88
        .value_kind:     by_value
    .group_segment_fixed_size: 0
    .kernarg_segment_align: 8
    .kernarg_segment_size: 88
    .language:       OpenCL C
    .language_version:
      - 2
      - 0
    .max_flat_workgroup_size: 512
    .name:           _ZN7rocprim17ROCPRIM_400000_NS6detail17trampoline_kernelINS0_14default_configENS1_35radix_sort_onesweep_config_selectorIffEEZZNS1_29radix_sort_onesweep_iterationIS3_Lb0EN6thrust23THRUST_200600_302600_NS6detail15normal_iteratorINS8_10device_ptrIfEEEESD_SD_SD_jNS0_19identity_decomposerENS1_16block_id_wrapperIjLb1EEEEE10hipError_tT1_PNSt15iterator_traitsISI_E10value_typeET2_T3_PNSJ_ISO_E10value_typeET4_T5_PST_SU_PNS1_23onesweep_lookback_stateEbbT6_jjT7_P12ihipStream_tbENKUlT_T0_SI_SN_E_clIPfSD_S15_SD_EEDaS11_S12_SI_SN_EUlS11_E_NS1_11comp_targetILNS1_3genE2ELNS1_11target_archE906ELNS1_3gpuE6ELNS1_3repE0EEENS1_47radix_sort_onesweep_sort_config_static_selectorELNS0_4arch9wavefront6targetE1EEEvSI_
    .private_segment_fixed_size: 0
    .sgpr_count:     6
    .sgpr_spill_count: 0
    .symbol:         _ZN7rocprim17ROCPRIM_400000_NS6detail17trampoline_kernelINS0_14default_configENS1_35radix_sort_onesweep_config_selectorIffEEZZNS1_29radix_sort_onesweep_iterationIS3_Lb0EN6thrust23THRUST_200600_302600_NS6detail15normal_iteratorINS8_10device_ptrIfEEEESD_SD_SD_jNS0_19identity_decomposerENS1_16block_id_wrapperIjLb1EEEEE10hipError_tT1_PNSt15iterator_traitsISI_E10value_typeET2_T3_PNSJ_ISO_E10value_typeET4_T5_PST_SU_PNS1_23onesweep_lookback_stateEbbT6_jjT7_P12ihipStream_tbENKUlT_T0_SI_SN_E_clIPfSD_S15_SD_EEDaS11_S12_SI_SN_EUlS11_E_NS1_11comp_targetILNS1_3genE2ELNS1_11target_archE906ELNS1_3gpuE6ELNS1_3repE0EEENS1_47radix_sort_onesweep_sort_config_static_selectorELNS0_4arch9wavefront6targetE1EEEvSI_.kd
    .uniform_work_group_size: 1
    .uses_dynamic_stack: false
    .vgpr_count:     0
    .vgpr_spill_count: 0
    .wavefront_size: 64
  - .agpr_count:     0
    .args:
      - .offset:         0
        .size:           88
        .value_kind:     by_value
    .group_segment_fixed_size: 0
    .kernarg_segment_align: 8
    .kernarg_segment_size: 88
    .language:       OpenCL C
    .language_version:
      - 2
      - 0
    .max_flat_workgroup_size: 512
    .name:           _ZN7rocprim17ROCPRIM_400000_NS6detail17trampoline_kernelINS0_14default_configENS1_35radix_sort_onesweep_config_selectorIffEEZZNS1_29radix_sort_onesweep_iterationIS3_Lb0EN6thrust23THRUST_200600_302600_NS6detail15normal_iteratorINS8_10device_ptrIfEEEESD_SD_SD_jNS0_19identity_decomposerENS1_16block_id_wrapperIjLb1EEEEE10hipError_tT1_PNSt15iterator_traitsISI_E10value_typeET2_T3_PNSJ_ISO_E10value_typeET4_T5_PST_SU_PNS1_23onesweep_lookback_stateEbbT6_jjT7_P12ihipStream_tbENKUlT_T0_SI_SN_E_clIPfSD_S15_SD_EEDaS11_S12_SI_SN_EUlS11_E_NS1_11comp_targetILNS1_3genE4ELNS1_11target_archE910ELNS1_3gpuE8ELNS1_3repE0EEENS1_47radix_sort_onesweep_sort_config_static_selectorELNS0_4arch9wavefront6targetE1EEEvSI_
    .private_segment_fixed_size: 0
    .sgpr_count:     6
    .sgpr_spill_count: 0
    .symbol:         _ZN7rocprim17ROCPRIM_400000_NS6detail17trampoline_kernelINS0_14default_configENS1_35radix_sort_onesweep_config_selectorIffEEZZNS1_29radix_sort_onesweep_iterationIS3_Lb0EN6thrust23THRUST_200600_302600_NS6detail15normal_iteratorINS8_10device_ptrIfEEEESD_SD_SD_jNS0_19identity_decomposerENS1_16block_id_wrapperIjLb1EEEEE10hipError_tT1_PNSt15iterator_traitsISI_E10value_typeET2_T3_PNSJ_ISO_E10value_typeET4_T5_PST_SU_PNS1_23onesweep_lookback_stateEbbT6_jjT7_P12ihipStream_tbENKUlT_T0_SI_SN_E_clIPfSD_S15_SD_EEDaS11_S12_SI_SN_EUlS11_E_NS1_11comp_targetILNS1_3genE4ELNS1_11target_archE910ELNS1_3gpuE8ELNS1_3repE0EEENS1_47radix_sort_onesweep_sort_config_static_selectorELNS0_4arch9wavefront6targetE1EEEvSI_.kd
    .uniform_work_group_size: 1
    .uses_dynamic_stack: false
    .vgpr_count:     0
    .vgpr_spill_count: 0
    .wavefront_size: 64
  - .agpr_count:     0
    .args:
      - .offset:         0
        .size:           88
        .value_kind:     by_value
    .group_segment_fixed_size: 0
    .kernarg_segment_align: 8
    .kernarg_segment_size: 88
    .language:       OpenCL C
    .language_version:
      - 2
      - 0
    .max_flat_workgroup_size: 256
    .name:           _ZN7rocprim17ROCPRIM_400000_NS6detail17trampoline_kernelINS0_14default_configENS1_35radix_sort_onesweep_config_selectorIffEEZZNS1_29radix_sort_onesweep_iterationIS3_Lb0EN6thrust23THRUST_200600_302600_NS6detail15normal_iteratorINS8_10device_ptrIfEEEESD_SD_SD_jNS0_19identity_decomposerENS1_16block_id_wrapperIjLb1EEEEE10hipError_tT1_PNSt15iterator_traitsISI_E10value_typeET2_T3_PNSJ_ISO_E10value_typeET4_T5_PST_SU_PNS1_23onesweep_lookback_stateEbbT6_jjT7_P12ihipStream_tbENKUlT_T0_SI_SN_E_clIPfSD_S15_SD_EEDaS11_S12_SI_SN_EUlS11_E_NS1_11comp_targetILNS1_3genE3ELNS1_11target_archE908ELNS1_3gpuE7ELNS1_3repE0EEENS1_47radix_sort_onesweep_sort_config_static_selectorELNS0_4arch9wavefront6targetE1EEEvSI_
    .private_segment_fixed_size: 0
    .sgpr_count:     6
    .sgpr_spill_count: 0
    .symbol:         _ZN7rocprim17ROCPRIM_400000_NS6detail17trampoline_kernelINS0_14default_configENS1_35radix_sort_onesweep_config_selectorIffEEZZNS1_29radix_sort_onesweep_iterationIS3_Lb0EN6thrust23THRUST_200600_302600_NS6detail15normal_iteratorINS8_10device_ptrIfEEEESD_SD_SD_jNS0_19identity_decomposerENS1_16block_id_wrapperIjLb1EEEEE10hipError_tT1_PNSt15iterator_traitsISI_E10value_typeET2_T3_PNSJ_ISO_E10value_typeET4_T5_PST_SU_PNS1_23onesweep_lookback_stateEbbT6_jjT7_P12ihipStream_tbENKUlT_T0_SI_SN_E_clIPfSD_S15_SD_EEDaS11_S12_SI_SN_EUlS11_E_NS1_11comp_targetILNS1_3genE3ELNS1_11target_archE908ELNS1_3gpuE7ELNS1_3repE0EEENS1_47radix_sort_onesweep_sort_config_static_selectorELNS0_4arch9wavefront6targetE1EEEvSI_.kd
    .uniform_work_group_size: 1
    .uses_dynamic_stack: false
    .vgpr_count:     0
    .vgpr_spill_count: 0
    .wavefront_size: 64
  - .agpr_count:     0
    .args:
      - .offset:         0
        .size:           88
        .value_kind:     by_value
    .group_segment_fixed_size: 0
    .kernarg_segment_align: 8
    .kernarg_segment_size: 88
    .language:       OpenCL C
    .language_version:
      - 2
      - 0
    .max_flat_workgroup_size: 1024
    .name:           _ZN7rocprim17ROCPRIM_400000_NS6detail17trampoline_kernelINS0_14default_configENS1_35radix_sort_onesweep_config_selectorIffEEZZNS1_29radix_sort_onesweep_iterationIS3_Lb0EN6thrust23THRUST_200600_302600_NS6detail15normal_iteratorINS8_10device_ptrIfEEEESD_SD_SD_jNS0_19identity_decomposerENS1_16block_id_wrapperIjLb1EEEEE10hipError_tT1_PNSt15iterator_traitsISI_E10value_typeET2_T3_PNSJ_ISO_E10value_typeET4_T5_PST_SU_PNS1_23onesweep_lookback_stateEbbT6_jjT7_P12ihipStream_tbENKUlT_T0_SI_SN_E_clIPfSD_S15_SD_EEDaS11_S12_SI_SN_EUlS11_E_NS1_11comp_targetILNS1_3genE10ELNS1_11target_archE1201ELNS1_3gpuE5ELNS1_3repE0EEENS1_47radix_sort_onesweep_sort_config_static_selectorELNS0_4arch9wavefront6targetE1EEEvSI_
    .private_segment_fixed_size: 0
    .sgpr_count:     6
    .sgpr_spill_count: 0
    .symbol:         _ZN7rocprim17ROCPRIM_400000_NS6detail17trampoline_kernelINS0_14default_configENS1_35radix_sort_onesweep_config_selectorIffEEZZNS1_29radix_sort_onesweep_iterationIS3_Lb0EN6thrust23THRUST_200600_302600_NS6detail15normal_iteratorINS8_10device_ptrIfEEEESD_SD_SD_jNS0_19identity_decomposerENS1_16block_id_wrapperIjLb1EEEEE10hipError_tT1_PNSt15iterator_traitsISI_E10value_typeET2_T3_PNSJ_ISO_E10value_typeET4_T5_PST_SU_PNS1_23onesweep_lookback_stateEbbT6_jjT7_P12ihipStream_tbENKUlT_T0_SI_SN_E_clIPfSD_S15_SD_EEDaS11_S12_SI_SN_EUlS11_E_NS1_11comp_targetILNS1_3genE10ELNS1_11target_archE1201ELNS1_3gpuE5ELNS1_3repE0EEENS1_47radix_sort_onesweep_sort_config_static_selectorELNS0_4arch9wavefront6targetE1EEEvSI_.kd
    .uniform_work_group_size: 1
    .uses_dynamic_stack: false
    .vgpr_count:     0
    .vgpr_spill_count: 0
    .wavefront_size: 64
  - .agpr_count:     0
    .args:
      - .offset:         0
        .size:           88
        .value_kind:     by_value
    .group_segment_fixed_size: 0
    .kernarg_segment_align: 8
    .kernarg_segment_size: 88
    .language:       OpenCL C
    .language_version:
      - 2
      - 0
    .max_flat_workgroup_size: 1024
    .name:           _ZN7rocprim17ROCPRIM_400000_NS6detail17trampoline_kernelINS0_14default_configENS1_35radix_sort_onesweep_config_selectorIffEEZZNS1_29radix_sort_onesweep_iterationIS3_Lb0EN6thrust23THRUST_200600_302600_NS6detail15normal_iteratorINS8_10device_ptrIfEEEESD_SD_SD_jNS0_19identity_decomposerENS1_16block_id_wrapperIjLb1EEEEE10hipError_tT1_PNSt15iterator_traitsISI_E10value_typeET2_T3_PNSJ_ISO_E10value_typeET4_T5_PST_SU_PNS1_23onesweep_lookback_stateEbbT6_jjT7_P12ihipStream_tbENKUlT_T0_SI_SN_E_clIPfSD_S15_SD_EEDaS11_S12_SI_SN_EUlS11_E_NS1_11comp_targetILNS1_3genE9ELNS1_11target_archE1100ELNS1_3gpuE3ELNS1_3repE0EEENS1_47radix_sort_onesweep_sort_config_static_selectorELNS0_4arch9wavefront6targetE1EEEvSI_
    .private_segment_fixed_size: 0
    .sgpr_count:     6
    .sgpr_spill_count: 0
    .symbol:         _ZN7rocprim17ROCPRIM_400000_NS6detail17trampoline_kernelINS0_14default_configENS1_35radix_sort_onesweep_config_selectorIffEEZZNS1_29radix_sort_onesweep_iterationIS3_Lb0EN6thrust23THRUST_200600_302600_NS6detail15normal_iteratorINS8_10device_ptrIfEEEESD_SD_SD_jNS0_19identity_decomposerENS1_16block_id_wrapperIjLb1EEEEE10hipError_tT1_PNSt15iterator_traitsISI_E10value_typeET2_T3_PNSJ_ISO_E10value_typeET4_T5_PST_SU_PNS1_23onesweep_lookback_stateEbbT6_jjT7_P12ihipStream_tbENKUlT_T0_SI_SN_E_clIPfSD_S15_SD_EEDaS11_S12_SI_SN_EUlS11_E_NS1_11comp_targetILNS1_3genE9ELNS1_11target_archE1100ELNS1_3gpuE3ELNS1_3repE0EEENS1_47radix_sort_onesweep_sort_config_static_selectorELNS0_4arch9wavefront6targetE1EEEvSI_.kd
    .uniform_work_group_size: 1
    .uses_dynamic_stack: false
    .vgpr_count:     0
    .vgpr_spill_count: 0
    .wavefront_size: 64
  - .agpr_count:     0
    .args:
      - .offset:         0
        .size:           88
        .value_kind:     by_value
    .group_segment_fixed_size: 0
    .kernarg_segment_align: 8
    .kernarg_segment_size: 88
    .language:       OpenCL C
    .language_version:
      - 2
      - 0
    .max_flat_workgroup_size: 1024
    .name:           _ZN7rocprim17ROCPRIM_400000_NS6detail17trampoline_kernelINS0_14default_configENS1_35radix_sort_onesweep_config_selectorIffEEZZNS1_29radix_sort_onesweep_iterationIS3_Lb0EN6thrust23THRUST_200600_302600_NS6detail15normal_iteratorINS8_10device_ptrIfEEEESD_SD_SD_jNS0_19identity_decomposerENS1_16block_id_wrapperIjLb1EEEEE10hipError_tT1_PNSt15iterator_traitsISI_E10value_typeET2_T3_PNSJ_ISO_E10value_typeET4_T5_PST_SU_PNS1_23onesweep_lookback_stateEbbT6_jjT7_P12ihipStream_tbENKUlT_T0_SI_SN_E_clIPfSD_S15_SD_EEDaS11_S12_SI_SN_EUlS11_E_NS1_11comp_targetILNS1_3genE8ELNS1_11target_archE1030ELNS1_3gpuE2ELNS1_3repE0EEENS1_47radix_sort_onesweep_sort_config_static_selectorELNS0_4arch9wavefront6targetE1EEEvSI_
    .private_segment_fixed_size: 0
    .sgpr_count:     6
    .sgpr_spill_count: 0
    .symbol:         _ZN7rocprim17ROCPRIM_400000_NS6detail17trampoline_kernelINS0_14default_configENS1_35radix_sort_onesweep_config_selectorIffEEZZNS1_29radix_sort_onesweep_iterationIS3_Lb0EN6thrust23THRUST_200600_302600_NS6detail15normal_iteratorINS8_10device_ptrIfEEEESD_SD_SD_jNS0_19identity_decomposerENS1_16block_id_wrapperIjLb1EEEEE10hipError_tT1_PNSt15iterator_traitsISI_E10value_typeET2_T3_PNSJ_ISO_E10value_typeET4_T5_PST_SU_PNS1_23onesweep_lookback_stateEbbT6_jjT7_P12ihipStream_tbENKUlT_T0_SI_SN_E_clIPfSD_S15_SD_EEDaS11_S12_SI_SN_EUlS11_E_NS1_11comp_targetILNS1_3genE8ELNS1_11target_archE1030ELNS1_3gpuE2ELNS1_3repE0EEENS1_47radix_sort_onesweep_sort_config_static_selectorELNS0_4arch9wavefront6targetE1EEEvSI_.kd
    .uniform_work_group_size: 1
    .uses_dynamic_stack: false
    .vgpr_count:     0
    .vgpr_spill_count: 0
    .wavefront_size: 64
  - .agpr_count:     0
    .args:
      - .offset:         0
        .size:           88
        .value_kind:     by_value
    .group_segment_fixed_size: 0
    .kernarg_segment_align: 8
    .kernarg_segment_size: 88
    .language:       OpenCL C
    .language_version:
      - 2
      - 0
    .max_flat_workgroup_size: 256
    .name:           _ZN7rocprim17ROCPRIM_400000_NS6detail17trampoline_kernelINS0_14default_configENS1_35radix_sort_onesweep_config_selectorIffEEZZNS1_29radix_sort_onesweep_iterationIS3_Lb0EN6thrust23THRUST_200600_302600_NS6detail15normal_iteratorINS8_10device_ptrIfEEEESD_SD_SD_jNS0_19identity_decomposerENS1_16block_id_wrapperIjLb0EEEEE10hipError_tT1_PNSt15iterator_traitsISI_E10value_typeET2_T3_PNSJ_ISO_E10value_typeET4_T5_PST_SU_PNS1_23onesweep_lookback_stateEbbT6_jjT7_P12ihipStream_tbENKUlT_T0_SI_SN_E_clISD_SD_SD_SD_EEDaS11_S12_SI_SN_EUlS11_E_NS1_11comp_targetILNS1_3genE0ELNS1_11target_archE4294967295ELNS1_3gpuE0ELNS1_3repE0EEENS1_47radix_sort_onesweep_sort_config_static_selectorELNS0_4arch9wavefront6targetE1EEEvSI_
    .private_segment_fixed_size: 0
    .sgpr_count:     6
    .sgpr_spill_count: 0
    .symbol:         _ZN7rocprim17ROCPRIM_400000_NS6detail17trampoline_kernelINS0_14default_configENS1_35radix_sort_onesweep_config_selectorIffEEZZNS1_29radix_sort_onesweep_iterationIS3_Lb0EN6thrust23THRUST_200600_302600_NS6detail15normal_iteratorINS8_10device_ptrIfEEEESD_SD_SD_jNS0_19identity_decomposerENS1_16block_id_wrapperIjLb0EEEEE10hipError_tT1_PNSt15iterator_traitsISI_E10value_typeET2_T3_PNSJ_ISO_E10value_typeET4_T5_PST_SU_PNS1_23onesweep_lookback_stateEbbT6_jjT7_P12ihipStream_tbENKUlT_T0_SI_SN_E_clISD_SD_SD_SD_EEDaS11_S12_SI_SN_EUlS11_E_NS1_11comp_targetILNS1_3genE0ELNS1_11target_archE4294967295ELNS1_3gpuE0ELNS1_3repE0EEENS1_47radix_sort_onesweep_sort_config_static_selectorELNS0_4arch9wavefront6targetE1EEEvSI_.kd
    .uniform_work_group_size: 1
    .uses_dynamic_stack: false
    .vgpr_count:     0
    .vgpr_spill_count: 0
    .wavefront_size: 64
  - .agpr_count:     0
    .args:
      - .offset:         0
        .size:           88
        .value_kind:     by_value
      - .offset:         88
        .size:           4
        .value_kind:     hidden_block_count_x
      - .offset:         92
        .size:           4
        .value_kind:     hidden_block_count_y
      - .offset:         96
        .size:           4
        .value_kind:     hidden_block_count_z
      - .offset:         100
        .size:           2
        .value_kind:     hidden_group_size_x
      - .offset:         102
        .size:           2
        .value_kind:     hidden_group_size_y
      - .offset:         104
        .size:           2
        .value_kind:     hidden_group_size_z
      - .offset:         106
        .size:           2
        .value_kind:     hidden_remainder_x
      - .offset:         108
        .size:           2
        .value_kind:     hidden_remainder_y
      - .offset:         110
        .size:           2
        .value_kind:     hidden_remainder_z
      - .offset:         128
        .size:           8
        .value_kind:     hidden_global_offset_x
      - .offset:         136
        .size:           8
        .value_kind:     hidden_global_offset_y
      - .offset:         144
        .size:           8
        .value_kind:     hidden_global_offset_z
      - .offset:         152
        .size:           2
        .value_kind:     hidden_grid_dims
    .group_segment_fixed_size: 53328
    .kernarg_segment_align: 8
    .kernarg_segment_size: 344
    .language:       OpenCL C
    .language_version:
      - 2
      - 0
    .max_flat_workgroup_size: 1024
    .name:           _ZN7rocprim17ROCPRIM_400000_NS6detail17trampoline_kernelINS0_14default_configENS1_35radix_sort_onesweep_config_selectorIffEEZZNS1_29radix_sort_onesweep_iterationIS3_Lb0EN6thrust23THRUST_200600_302600_NS6detail15normal_iteratorINS8_10device_ptrIfEEEESD_SD_SD_jNS0_19identity_decomposerENS1_16block_id_wrapperIjLb0EEEEE10hipError_tT1_PNSt15iterator_traitsISI_E10value_typeET2_T3_PNSJ_ISO_E10value_typeET4_T5_PST_SU_PNS1_23onesweep_lookback_stateEbbT6_jjT7_P12ihipStream_tbENKUlT_T0_SI_SN_E_clISD_SD_SD_SD_EEDaS11_S12_SI_SN_EUlS11_E_NS1_11comp_targetILNS1_3genE6ELNS1_11target_archE950ELNS1_3gpuE13ELNS1_3repE0EEENS1_47radix_sort_onesweep_sort_config_static_selectorELNS0_4arch9wavefront6targetE1EEEvSI_
    .private_segment_fixed_size: 48
    .sgpr_count:     63
    .sgpr_spill_count: 0
    .symbol:         _ZN7rocprim17ROCPRIM_400000_NS6detail17trampoline_kernelINS0_14default_configENS1_35radix_sort_onesweep_config_selectorIffEEZZNS1_29radix_sort_onesweep_iterationIS3_Lb0EN6thrust23THRUST_200600_302600_NS6detail15normal_iteratorINS8_10device_ptrIfEEEESD_SD_SD_jNS0_19identity_decomposerENS1_16block_id_wrapperIjLb0EEEEE10hipError_tT1_PNSt15iterator_traitsISI_E10value_typeET2_T3_PNSJ_ISO_E10value_typeET4_T5_PST_SU_PNS1_23onesweep_lookback_stateEbbT6_jjT7_P12ihipStream_tbENKUlT_T0_SI_SN_E_clISD_SD_SD_SD_EEDaS11_S12_SI_SN_EUlS11_E_NS1_11comp_targetILNS1_3genE6ELNS1_11target_archE950ELNS1_3gpuE13ELNS1_3repE0EEENS1_47radix_sort_onesweep_sort_config_static_selectorELNS0_4arch9wavefront6targetE1EEEvSI_.kd
    .uniform_work_group_size: 1
    .uses_dynamic_stack: false
    .vgpr_count:     53
    .vgpr_spill_count: 0
    .wavefront_size: 64
  - .agpr_count:     0
    .args:
      - .offset:         0
        .size:           88
        .value_kind:     by_value
    .group_segment_fixed_size: 0
    .kernarg_segment_align: 8
    .kernarg_segment_size: 88
    .language:       OpenCL C
    .language_version:
      - 2
      - 0
    .max_flat_workgroup_size: 1024
    .name:           _ZN7rocprim17ROCPRIM_400000_NS6detail17trampoline_kernelINS0_14default_configENS1_35radix_sort_onesweep_config_selectorIffEEZZNS1_29radix_sort_onesweep_iterationIS3_Lb0EN6thrust23THRUST_200600_302600_NS6detail15normal_iteratorINS8_10device_ptrIfEEEESD_SD_SD_jNS0_19identity_decomposerENS1_16block_id_wrapperIjLb0EEEEE10hipError_tT1_PNSt15iterator_traitsISI_E10value_typeET2_T3_PNSJ_ISO_E10value_typeET4_T5_PST_SU_PNS1_23onesweep_lookback_stateEbbT6_jjT7_P12ihipStream_tbENKUlT_T0_SI_SN_E_clISD_SD_SD_SD_EEDaS11_S12_SI_SN_EUlS11_E_NS1_11comp_targetILNS1_3genE5ELNS1_11target_archE942ELNS1_3gpuE9ELNS1_3repE0EEENS1_47radix_sort_onesweep_sort_config_static_selectorELNS0_4arch9wavefront6targetE1EEEvSI_
    .private_segment_fixed_size: 0
    .sgpr_count:     6
    .sgpr_spill_count: 0
    .symbol:         _ZN7rocprim17ROCPRIM_400000_NS6detail17trampoline_kernelINS0_14default_configENS1_35radix_sort_onesweep_config_selectorIffEEZZNS1_29radix_sort_onesweep_iterationIS3_Lb0EN6thrust23THRUST_200600_302600_NS6detail15normal_iteratorINS8_10device_ptrIfEEEESD_SD_SD_jNS0_19identity_decomposerENS1_16block_id_wrapperIjLb0EEEEE10hipError_tT1_PNSt15iterator_traitsISI_E10value_typeET2_T3_PNSJ_ISO_E10value_typeET4_T5_PST_SU_PNS1_23onesweep_lookback_stateEbbT6_jjT7_P12ihipStream_tbENKUlT_T0_SI_SN_E_clISD_SD_SD_SD_EEDaS11_S12_SI_SN_EUlS11_E_NS1_11comp_targetILNS1_3genE5ELNS1_11target_archE942ELNS1_3gpuE9ELNS1_3repE0EEENS1_47radix_sort_onesweep_sort_config_static_selectorELNS0_4arch9wavefront6targetE1EEEvSI_.kd
    .uniform_work_group_size: 1
    .uses_dynamic_stack: false
    .vgpr_count:     0
    .vgpr_spill_count: 0
    .wavefront_size: 64
  - .agpr_count:     0
    .args:
      - .offset:         0
        .size:           88
        .value_kind:     by_value
    .group_segment_fixed_size: 0
    .kernarg_segment_align: 8
    .kernarg_segment_size: 88
    .language:       OpenCL C
    .language_version:
      - 2
      - 0
    .max_flat_workgroup_size: 512
    .name:           _ZN7rocprim17ROCPRIM_400000_NS6detail17trampoline_kernelINS0_14default_configENS1_35radix_sort_onesweep_config_selectorIffEEZZNS1_29radix_sort_onesweep_iterationIS3_Lb0EN6thrust23THRUST_200600_302600_NS6detail15normal_iteratorINS8_10device_ptrIfEEEESD_SD_SD_jNS0_19identity_decomposerENS1_16block_id_wrapperIjLb0EEEEE10hipError_tT1_PNSt15iterator_traitsISI_E10value_typeET2_T3_PNSJ_ISO_E10value_typeET4_T5_PST_SU_PNS1_23onesweep_lookback_stateEbbT6_jjT7_P12ihipStream_tbENKUlT_T0_SI_SN_E_clISD_SD_SD_SD_EEDaS11_S12_SI_SN_EUlS11_E_NS1_11comp_targetILNS1_3genE2ELNS1_11target_archE906ELNS1_3gpuE6ELNS1_3repE0EEENS1_47radix_sort_onesweep_sort_config_static_selectorELNS0_4arch9wavefront6targetE1EEEvSI_
    .private_segment_fixed_size: 0
    .sgpr_count:     6
    .sgpr_spill_count: 0
    .symbol:         _ZN7rocprim17ROCPRIM_400000_NS6detail17trampoline_kernelINS0_14default_configENS1_35radix_sort_onesweep_config_selectorIffEEZZNS1_29radix_sort_onesweep_iterationIS3_Lb0EN6thrust23THRUST_200600_302600_NS6detail15normal_iteratorINS8_10device_ptrIfEEEESD_SD_SD_jNS0_19identity_decomposerENS1_16block_id_wrapperIjLb0EEEEE10hipError_tT1_PNSt15iterator_traitsISI_E10value_typeET2_T3_PNSJ_ISO_E10value_typeET4_T5_PST_SU_PNS1_23onesweep_lookback_stateEbbT6_jjT7_P12ihipStream_tbENKUlT_T0_SI_SN_E_clISD_SD_SD_SD_EEDaS11_S12_SI_SN_EUlS11_E_NS1_11comp_targetILNS1_3genE2ELNS1_11target_archE906ELNS1_3gpuE6ELNS1_3repE0EEENS1_47radix_sort_onesweep_sort_config_static_selectorELNS0_4arch9wavefront6targetE1EEEvSI_.kd
    .uniform_work_group_size: 1
    .uses_dynamic_stack: false
    .vgpr_count:     0
    .vgpr_spill_count: 0
    .wavefront_size: 64
  - .agpr_count:     0
    .args:
      - .offset:         0
        .size:           88
        .value_kind:     by_value
    .group_segment_fixed_size: 0
    .kernarg_segment_align: 8
    .kernarg_segment_size: 88
    .language:       OpenCL C
    .language_version:
      - 2
      - 0
    .max_flat_workgroup_size: 512
    .name:           _ZN7rocprim17ROCPRIM_400000_NS6detail17trampoline_kernelINS0_14default_configENS1_35radix_sort_onesweep_config_selectorIffEEZZNS1_29radix_sort_onesweep_iterationIS3_Lb0EN6thrust23THRUST_200600_302600_NS6detail15normal_iteratorINS8_10device_ptrIfEEEESD_SD_SD_jNS0_19identity_decomposerENS1_16block_id_wrapperIjLb0EEEEE10hipError_tT1_PNSt15iterator_traitsISI_E10value_typeET2_T3_PNSJ_ISO_E10value_typeET4_T5_PST_SU_PNS1_23onesweep_lookback_stateEbbT6_jjT7_P12ihipStream_tbENKUlT_T0_SI_SN_E_clISD_SD_SD_SD_EEDaS11_S12_SI_SN_EUlS11_E_NS1_11comp_targetILNS1_3genE4ELNS1_11target_archE910ELNS1_3gpuE8ELNS1_3repE0EEENS1_47radix_sort_onesweep_sort_config_static_selectorELNS0_4arch9wavefront6targetE1EEEvSI_
    .private_segment_fixed_size: 0
    .sgpr_count:     6
    .sgpr_spill_count: 0
    .symbol:         _ZN7rocprim17ROCPRIM_400000_NS6detail17trampoline_kernelINS0_14default_configENS1_35radix_sort_onesweep_config_selectorIffEEZZNS1_29radix_sort_onesweep_iterationIS3_Lb0EN6thrust23THRUST_200600_302600_NS6detail15normal_iteratorINS8_10device_ptrIfEEEESD_SD_SD_jNS0_19identity_decomposerENS1_16block_id_wrapperIjLb0EEEEE10hipError_tT1_PNSt15iterator_traitsISI_E10value_typeET2_T3_PNSJ_ISO_E10value_typeET4_T5_PST_SU_PNS1_23onesweep_lookback_stateEbbT6_jjT7_P12ihipStream_tbENKUlT_T0_SI_SN_E_clISD_SD_SD_SD_EEDaS11_S12_SI_SN_EUlS11_E_NS1_11comp_targetILNS1_3genE4ELNS1_11target_archE910ELNS1_3gpuE8ELNS1_3repE0EEENS1_47radix_sort_onesweep_sort_config_static_selectorELNS0_4arch9wavefront6targetE1EEEvSI_.kd
    .uniform_work_group_size: 1
    .uses_dynamic_stack: false
    .vgpr_count:     0
    .vgpr_spill_count: 0
    .wavefront_size: 64
  - .agpr_count:     0
    .args:
      - .offset:         0
        .size:           88
        .value_kind:     by_value
    .group_segment_fixed_size: 0
    .kernarg_segment_align: 8
    .kernarg_segment_size: 88
    .language:       OpenCL C
    .language_version:
      - 2
      - 0
    .max_flat_workgroup_size: 256
    .name:           _ZN7rocprim17ROCPRIM_400000_NS6detail17trampoline_kernelINS0_14default_configENS1_35radix_sort_onesweep_config_selectorIffEEZZNS1_29radix_sort_onesweep_iterationIS3_Lb0EN6thrust23THRUST_200600_302600_NS6detail15normal_iteratorINS8_10device_ptrIfEEEESD_SD_SD_jNS0_19identity_decomposerENS1_16block_id_wrapperIjLb0EEEEE10hipError_tT1_PNSt15iterator_traitsISI_E10value_typeET2_T3_PNSJ_ISO_E10value_typeET4_T5_PST_SU_PNS1_23onesweep_lookback_stateEbbT6_jjT7_P12ihipStream_tbENKUlT_T0_SI_SN_E_clISD_SD_SD_SD_EEDaS11_S12_SI_SN_EUlS11_E_NS1_11comp_targetILNS1_3genE3ELNS1_11target_archE908ELNS1_3gpuE7ELNS1_3repE0EEENS1_47radix_sort_onesweep_sort_config_static_selectorELNS0_4arch9wavefront6targetE1EEEvSI_
    .private_segment_fixed_size: 0
    .sgpr_count:     6
    .sgpr_spill_count: 0
    .symbol:         _ZN7rocprim17ROCPRIM_400000_NS6detail17trampoline_kernelINS0_14default_configENS1_35radix_sort_onesweep_config_selectorIffEEZZNS1_29radix_sort_onesweep_iterationIS3_Lb0EN6thrust23THRUST_200600_302600_NS6detail15normal_iteratorINS8_10device_ptrIfEEEESD_SD_SD_jNS0_19identity_decomposerENS1_16block_id_wrapperIjLb0EEEEE10hipError_tT1_PNSt15iterator_traitsISI_E10value_typeET2_T3_PNSJ_ISO_E10value_typeET4_T5_PST_SU_PNS1_23onesweep_lookback_stateEbbT6_jjT7_P12ihipStream_tbENKUlT_T0_SI_SN_E_clISD_SD_SD_SD_EEDaS11_S12_SI_SN_EUlS11_E_NS1_11comp_targetILNS1_3genE3ELNS1_11target_archE908ELNS1_3gpuE7ELNS1_3repE0EEENS1_47radix_sort_onesweep_sort_config_static_selectorELNS0_4arch9wavefront6targetE1EEEvSI_.kd
    .uniform_work_group_size: 1
    .uses_dynamic_stack: false
    .vgpr_count:     0
    .vgpr_spill_count: 0
    .wavefront_size: 64
  - .agpr_count:     0
    .args:
      - .offset:         0
        .size:           88
        .value_kind:     by_value
    .group_segment_fixed_size: 0
    .kernarg_segment_align: 8
    .kernarg_segment_size: 88
    .language:       OpenCL C
    .language_version:
      - 2
      - 0
    .max_flat_workgroup_size: 1024
    .name:           _ZN7rocprim17ROCPRIM_400000_NS6detail17trampoline_kernelINS0_14default_configENS1_35radix_sort_onesweep_config_selectorIffEEZZNS1_29radix_sort_onesweep_iterationIS3_Lb0EN6thrust23THRUST_200600_302600_NS6detail15normal_iteratorINS8_10device_ptrIfEEEESD_SD_SD_jNS0_19identity_decomposerENS1_16block_id_wrapperIjLb0EEEEE10hipError_tT1_PNSt15iterator_traitsISI_E10value_typeET2_T3_PNSJ_ISO_E10value_typeET4_T5_PST_SU_PNS1_23onesweep_lookback_stateEbbT6_jjT7_P12ihipStream_tbENKUlT_T0_SI_SN_E_clISD_SD_SD_SD_EEDaS11_S12_SI_SN_EUlS11_E_NS1_11comp_targetILNS1_3genE10ELNS1_11target_archE1201ELNS1_3gpuE5ELNS1_3repE0EEENS1_47radix_sort_onesweep_sort_config_static_selectorELNS0_4arch9wavefront6targetE1EEEvSI_
    .private_segment_fixed_size: 0
    .sgpr_count:     6
    .sgpr_spill_count: 0
    .symbol:         _ZN7rocprim17ROCPRIM_400000_NS6detail17trampoline_kernelINS0_14default_configENS1_35radix_sort_onesweep_config_selectorIffEEZZNS1_29radix_sort_onesweep_iterationIS3_Lb0EN6thrust23THRUST_200600_302600_NS6detail15normal_iteratorINS8_10device_ptrIfEEEESD_SD_SD_jNS0_19identity_decomposerENS1_16block_id_wrapperIjLb0EEEEE10hipError_tT1_PNSt15iterator_traitsISI_E10value_typeET2_T3_PNSJ_ISO_E10value_typeET4_T5_PST_SU_PNS1_23onesweep_lookback_stateEbbT6_jjT7_P12ihipStream_tbENKUlT_T0_SI_SN_E_clISD_SD_SD_SD_EEDaS11_S12_SI_SN_EUlS11_E_NS1_11comp_targetILNS1_3genE10ELNS1_11target_archE1201ELNS1_3gpuE5ELNS1_3repE0EEENS1_47radix_sort_onesweep_sort_config_static_selectorELNS0_4arch9wavefront6targetE1EEEvSI_.kd
    .uniform_work_group_size: 1
    .uses_dynamic_stack: false
    .vgpr_count:     0
    .vgpr_spill_count: 0
    .wavefront_size: 64
  - .agpr_count:     0
    .args:
      - .offset:         0
        .size:           88
        .value_kind:     by_value
    .group_segment_fixed_size: 0
    .kernarg_segment_align: 8
    .kernarg_segment_size: 88
    .language:       OpenCL C
    .language_version:
      - 2
      - 0
    .max_flat_workgroup_size: 1024
    .name:           _ZN7rocprim17ROCPRIM_400000_NS6detail17trampoline_kernelINS0_14default_configENS1_35radix_sort_onesweep_config_selectorIffEEZZNS1_29radix_sort_onesweep_iterationIS3_Lb0EN6thrust23THRUST_200600_302600_NS6detail15normal_iteratorINS8_10device_ptrIfEEEESD_SD_SD_jNS0_19identity_decomposerENS1_16block_id_wrapperIjLb0EEEEE10hipError_tT1_PNSt15iterator_traitsISI_E10value_typeET2_T3_PNSJ_ISO_E10value_typeET4_T5_PST_SU_PNS1_23onesweep_lookback_stateEbbT6_jjT7_P12ihipStream_tbENKUlT_T0_SI_SN_E_clISD_SD_SD_SD_EEDaS11_S12_SI_SN_EUlS11_E_NS1_11comp_targetILNS1_3genE9ELNS1_11target_archE1100ELNS1_3gpuE3ELNS1_3repE0EEENS1_47radix_sort_onesweep_sort_config_static_selectorELNS0_4arch9wavefront6targetE1EEEvSI_
    .private_segment_fixed_size: 0
    .sgpr_count:     6
    .sgpr_spill_count: 0
    .symbol:         _ZN7rocprim17ROCPRIM_400000_NS6detail17trampoline_kernelINS0_14default_configENS1_35radix_sort_onesweep_config_selectorIffEEZZNS1_29radix_sort_onesweep_iterationIS3_Lb0EN6thrust23THRUST_200600_302600_NS6detail15normal_iteratorINS8_10device_ptrIfEEEESD_SD_SD_jNS0_19identity_decomposerENS1_16block_id_wrapperIjLb0EEEEE10hipError_tT1_PNSt15iterator_traitsISI_E10value_typeET2_T3_PNSJ_ISO_E10value_typeET4_T5_PST_SU_PNS1_23onesweep_lookback_stateEbbT6_jjT7_P12ihipStream_tbENKUlT_T0_SI_SN_E_clISD_SD_SD_SD_EEDaS11_S12_SI_SN_EUlS11_E_NS1_11comp_targetILNS1_3genE9ELNS1_11target_archE1100ELNS1_3gpuE3ELNS1_3repE0EEENS1_47radix_sort_onesweep_sort_config_static_selectorELNS0_4arch9wavefront6targetE1EEEvSI_.kd
    .uniform_work_group_size: 1
    .uses_dynamic_stack: false
    .vgpr_count:     0
    .vgpr_spill_count: 0
    .wavefront_size: 64
  - .agpr_count:     0
    .args:
      - .offset:         0
        .size:           88
        .value_kind:     by_value
    .group_segment_fixed_size: 0
    .kernarg_segment_align: 8
    .kernarg_segment_size: 88
    .language:       OpenCL C
    .language_version:
      - 2
      - 0
    .max_flat_workgroup_size: 1024
    .name:           _ZN7rocprim17ROCPRIM_400000_NS6detail17trampoline_kernelINS0_14default_configENS1_35radix_sort_onesweep_config_selectorIffEEZZNS1_29radix_sort_onesweep_iterationIS3_Lb0EN6thrust23THRUST_200600_302600_NS6detail15normal_iteratorINS8_10device_ptrIfEEEESD_SD_SD_jNS0_19identity_decomposerENS1_16block_id_wrapperIjLb0EEEEE10hipError_tT1_PNSt15iterator_traitsISI_E10value_typeET2_T3_PNSJ_ISO_E10value_typeET4_T5_PST_SU_PNS1_23onesweep_lookback_stateEbbT6_jjT7_P12ihipStream_tbENKUlT_T0_SI_SN_E_clISD_SD_SD_SD_EEDaS11_S12_SI_SN_EUlS11_E_NS1_11comp_targetILNS1_3genE8ELNS1_11target_archE1030ELNS1_3gpuE2ELNS1_3repE0EEENS1_47radix_sort_onesweep_sort_config_static_selectorELNS0_4arch9wavefront6targetE1EEEvSI_
    .private_segment_fixed_size: 0
    .sgpr_count:     6
    .sgpr_spill_count: 0
    .symbol:         _ZN7rocprim17ROCPRIM_400000_NS6detail17trampoline_kernelINS0_14default_configENS1_35radix_sort_onesweep_config_selectorIffEEZZNS1_29radix_sort_onesweep_iterationIS3_Lb0EN6thrust23THRUST_200600_302600_NS6detail15normal_iteratorINS8_10device_ptrIfEEEESD_SD_SD_jNS0_19identity_decomposerENS1_16block_id_wrapperIjLb0EEEEE10hipError_tT1_PNSt15iterator_traitsISI_E10value_typeET2_T3_PNSJ_ISO_E10value_typeET4_T5_PST_SU_PNS1_23onesweep_lookback_stateEbbT6_jjT7_P12ihipStream_tbENKUlT_T0_SI_SN_E_clISD_SD_SD_SD_EEDaS11_S12_SI_SN_EUlS11_E_NS1_11comp_targetILNS1_3genE8ELNS1_11target_archE1030ELNS1_3gpuE2ELNS1_3repE0EEENS1_47radix_sort_onesweep_sort_config_static_selectorELNS0_4arch9wavefront6targetE1EEEvSI_.kd
    .uniform_work_group_size: 1
    .uses_dynamic_stack: false
    .vgpr_count:     0
    .vgpr_spill_count: 0
    .wavefront_size: 64
  - .agpr_count:     0
    .args:
      - .offset:         0
        .size:           88
        .value_kind:     by_value
    .group_segment_fixed_size: 0
    .kernarg_segment_align: 8
    .kernarg_segment_size: 88
    .language:       OpenCL C
    .language_version:
      - 2
      - 0
    .max_flat_workgroup_size: 256
    .name:           _ZN7rocprim17ROCPRIM_400000_NS6detail17trampoline_kernelINS0_14default_configENS1_35radix_sort_onesweep_config_selectorIffEEZZNS1_29radix_sort_onesweep_iterationIS3_Lb0EN6thrust23THRUST_200600_302600_NS6detail15normal_iteratorINS8_10device_ptrIfEEEESD_SD_SD_jNS0_19identity_decomposerENS1_16block_id_wrapperIjLb0EEEEE10hipError_tT1_PNSt15iterator_traitsISI_E10value_typeET2_T3_PNSJ_ISO_E10value_typeET4_T5_PST_SU_PNS1_23onesweep_lookback_stateEbbT6_jjT7_P12ihipStream_tbENKUlT_T0_SI_SN_E_clISD_PfSD_S15_EEDaS11_S12_SI_SN_EUlS11_E_NS1_11comp_targetILNS1_3genE0ELNS1_11target_archE4294967295ELNS1_3gpuE0ELNS1_3repE0EEENS1_47radix_sort_onesweep_sort_config_static_selectorELNS0_4arch9wavefront6targetE1EEEvSI_
    .private_segment_fixed_size: 0
    .sgpr_count:     6
    .sgpr_spill_count: 0
    .symbol:         _ZN7rocprim17ROCPRIM_400000_NS6detail17trampoline_kernelINS0_14default_configENS1_35radix_sort_onesweep_config_selectorIffEEZZNS1_29radix_sort_onesweep_iterationIS3_Lb0EN6thrust23THRUST_200600_302600_NS6detail15normal_iteratorINS8_10device_ptrIfEEEESD_SD_SD_jNS0_19identity_decomposerENS1_16block_id_wrapperIjLb0EEEEE10hipError_tT1_PNSt15iterator_traitsISI_E10value_typeET2_T3_PNSJ_ISO_E10value_typeET4_T5_PST_SU_PNS1_23onesweep_lookback_stateEbbT6_jjT7_P12ihipStream_tbENKUlT_T0_SI_SN_E_clISD_PfSD_S15_EEDaS11_S12_SI_SN_EUlS11_E_NS1_11comp_targetILNS1_3genE0ELNS1_11target_archE4294967295ELNS1_3gpuE0ELNS1_3repE0EEENS1_47radix_sort_onesweep_sort_config_static_selectorELNS0_4arch9wavefront6targetE1EEEvSI_.kd
    .uniform_work_group_size: 1
    .uses_dynamic_stack: false
    .vgpr_count:     0
    .vgpr_spill_count: 0
    .wavefront_size: 64
  - .agpr_count:     0
    .args:
      - .offset:         0
        .size:           88
        .value_kind:     by_value
      - .offset:         88
        .size:           4
        .value_kind:     hidden_block_count_x
      - .offset:         92
        .size:           4
        .value_kind:     hidden_block_count_y
      - .offset:         96
        .size:           4
        .value_kind:     hidden_block_count_z
      - .offset:         100
        .size:           2
        .value_kind:     hidden_group_size_x
      - .offset:         102
        .size:           2
        .value_kind:     hidden_group_size_y
      - .offset:         104
        .size:           2
        .value_kind:     hidden_group_size_z
      - .offset:         106
        .size:           2
        .value_kind:     hidden_remainder_x
      - .offset:         108
        .size:           2
        .value_kind:     hidden_remainder_y
      - .offset:         110
        .size:           2
        .value_kind:     hidden_remainder_z
      - .offset:         128
        .size:           8
        .value_kind:     hidden_global_offset_x
      - .offset:         136
        .size:           8
        .value_kind:     hidden_global_offset_y
      - .offset:         144
        .size:           8
        .value_kind:     hidden_global_offset_z
      - .offset:         152
        .size:           2
        .value_kind:     hidden_grid_dims
    .group_segment_fixed_size: 53328
    .kernarg_segment_align: 8
    .kernarg_segment_size: 344
    .language:       OpenCL C
    .language_version:
      - 2
      - 0
    .max_flat_workgroup_size: 1024
    .name:           _ZN7rocprim17ROCPRIM_400000_NS6detail17trampoline_kernelINS0_14default_configENS1_35radix_sort_onesweep_config_selectorIffEEZZNS1_29radix_sort_onesweep_iterationIS3_Lb0EN6thrust23THRUST_200600_302600_NS6detail15normal_iteratorINS8_10device_ptrIfEEEESD_SD_SD_jNS0_19identity_decomposerENS1_16block_id_wrapperIjLb0EEEEE10hipError_tT1_PNSt15iterator_traitsISI_E10value_typeET2_T3_PNSJ_ISO_E10value_typeET4_T5_PST_SU_PNS1_23onesweep_lookback_stateEbbT6_jjT7_P12ihipStream_tbENKUlT_T0_SI_SN_E_clISD_PfSD_S15_EEDaS11_S12_SI_SN_EUlS11_E_NS1_11comp_targetILNS1_3genE6ELNS1_11target_archE950ELNS1_3gpuE13ELNS1_3repE0EEENS1_47radix_sort_onesweep_sort_config_static_selectorELNS0_4arch9wavefront6targetE1EEEvSI_
    .private_segment_fixed_size: 48
    .sgpr_count:     63
    .sgpr_spill_count: 0
    .symbol:         _ZN7rocprim17ROCPRIM_400000_NS6detail17trampoline_kernelINS0_14default_configENS1_35radix_sort_onesweep_config_selectorIffEEZZNS1_29radix_sort_onesweep_iterationIS3_Lb0EN6thrust23THRUST_200600_302600_NS6detail15normal_iteratorINS8_10device_ptrIfEEEESD_SD_SD_jNS0_19identity_decomposerENS1_16block_id_wrapperIjLb0EEEEE10hipError_tT1_PNSt15iterator_traitsISI_E10value_typeET2_T3_PNSJ_ISO_E10value_typeET4_T5_PST_SU_PNS1_23onesweep_lookback_stateEbbT6_jjT7_P12ihipStream_tbENKUlT_T0_SI_SN_E_clISD_PfSD_S15_EEDaS11_S12_SI_SN_EUlS11_E_NS1_11comp_targetILNS1_3genE6ELNS1_11target_archE950ELNS1_3gpuE13ELNS1_3repE0EEENS1_47radix_sort_onesweep_sort_config_static_selectorELNS0_4arch9wavefront6targetE1EEEvSI_.kd
    .uniform_work_group_size: 1
    .uses_dynamic_stack: false
    .vgpr_count:     53
    .vgpr_spill_count: 0
    .wavefront_size: 64
  - .agpr_count:     0
    .args:
      - .offset:         0
        .size:           88
        .value_kind:     by_value
    .group_segment_fixed_size: 0
    .kernarg_segment_align: 8
    .kernarg_segment_size: 88
    .language:       OpenCL C
    .language_version:
      - 2
      - 0
    .max_flat_workgroup_size: 1024
    .name:           _ZN7rocprim17ROCPRIM_400000_NS6detail17trampoline_kernelINS0_14default_configENS1_35radix_sort_onesweep_config_selectorIffEEZZNS1_29radix_sort_onesweep_iterationIS3_Lb0EN6thrust23THRUST_200600_302600_NS6detail15normal_iteratorINS8_10device_ptrIfEEEESD_SD_SD_jNS0_19identity_decomposerENS1_16block_id_wrapperIjLb0EEEEE10hipError_tT1_PNSt15iterator_traitsISI_E10value_typeET2_T3_PNSJ_ISO_E10value_typeET4_T5_PST_SU_PNS1_23onesweep_lookback_stateEbbT6_jjT7_P12ihipStream_tbENKUlT_T0_SI_SN_E_clISD_PfSD_S15_EEDaS11_S12_SI_SN_EUlS11_E_NS1_11comp_targetILNS1_3genE5ELNS1_11target_archE942ELNS1_3gpuE9ELNS1_3repE0EEENS1_47radix_sort_onesweep_sort_config_static_selectorELNS0_4arch9wavefront6targetE1EEEvSI_
    .private_segment_fixed_size: 0
    .sgpr_count:     6
    .sgpr_spill_count: 0
    .symbol:         _ZN7rocprim17ROCPRIM_400000_NS6detail17trampoline_kernelINS0_14default_configENS1_35radix_sort_onesweep_config_selectorIffEEZZNS1_29radix_sort_onesweep_iterationIS3_Lb0EN6thrust23THRUST_200600_302600_NS6detail15normal_iteratorINS8_10device_ptrIfEEEESD_SD_SD_jNS0_19identity_decomposerENS1_16block_id_wrapperIjLb0EEEEE10hipError_tT1_PNSt15iterator_traitsISI_E10value_typeET2_T3_PNSJ_ISO_E10value_typeET4_T5_PST_SU_PNS1_23onesweep_lookback_stateEbbT6_jjT7_P12ihipStream_tbENKUlT_T0_SI_SN_E_clISD_PfSD_S15_EEDaS11_S12_SI_SN_EUlS11_E_NS1_11comp_targetILNS1_3genE5ELNS1_11target_archE942ELNS1_3gpuE9ELNS1_3repE0EEENS1_47radix_sort_onesweep_sort_config_static_selectorELNS0_4arch9wavefront6targetE1EEEvSI_.kd
    .uniform_work_group_size: 1
    .uses_dynamic_stack: false
    .vgpr_count:     0
    .vgpr_spill_count: 0
    .wavefront_size: 64
  - .agpr_count:     0
    .args:
      - .offset:         0
        .size:           88
        .value_kind:     by_value
    .group_segment_fixed_size: 0
    .kernarg_segment_align: 8
    .kernarg_segment_size: 88
    .language:       OpenCL C
    .language_version:
      - 2
      - 0
    .max_flat_workgroup_size: 512
    .name:           _ZN7rocprim17ROCPRIM_400000_NS6detail17trampoline_kernelINS0_14default_configENS1_35radix_sort_onesweep_config_selectorIffEEZZNS1_29radix_sort_onesweep_iterationIS3_Lb0EN6thrust23THRUST_200600_302600_NS6detail15normal_iteratorINS8_10device_ptrIfEEEESD_SD_SD_jNS0_19identity_decomposerENS1_16block_id_wrapperIjLb0EEEEE10hipError_tT1_PNSt15iterator_traitsISI_E10value_typeET2_T3_PNSJ_ISO_E10value_typeET4_T5_PST_SU_PNS1_23onesweep_lookback_stateEbbT6_jjT7_P12ihipStream_tbENKUlT_T0_SI_SN_E_clISD_PfSD_S15_EEDaS11_S12_SI_SN_EUlS11_E_NS1_11comp_targetILNS1_3genE2ELNS1_11target_archE906ELNS1_3gpuE6ELNS1_3repE0EEENS1_47radix_sort_onesweep_sort_config_static_selectorELNS0_4arch9wavefront6targetE1EEEvSI_
    .private_segment_fixed_size: 0
    .sgpr_count:     6
    .sgpr_spill_count: 0
    .symbol:         _ZN7rocprim17ROCPRIM_400000_NS6detail17trampoline_kernelINS0_14default_configENS1_35radix_sort_onesweep_config_selectorIffEEZZNS1_29radix_sort_onesweep_iterationIS3_Lb0EN6thrust23THRUST_200600_302600_NS6detail15normal_iteratorINS8_10device_ptrIfEEEESD_SD_SD_jNS0_19identity_decomposerENS1_16block_id_wrapperIjLb0EEEEE10hipError_tT1_PNSt15iterator_traitsISI_E10value_typeET2_T3_PNSJ_ISO_E10value_typeET4_T5_PST_SU_PNS1_23onesweep_lookback_stateEbbT6_jjT7_P12ihipStream_tbENKUlT_T0_SI_SN_E_clISD_PfSD_S15_EEDaS11_S12_SI_SN_EUlS11_E_NS1_11comp_targetILNS1_3genE2ELNS1_11target_archE906ELNS1_3gpuE6ELNS1_3repE0EEENS1_47radix_sort_onesweep_sort_config_static_selectorELNS0_4arch9wavefront6targetE1EEEvSI_.kd
    .uniform_work_group_size: 1
    .uses_dynamic_stack: false
    .vgpr_count:     0
    .vgpr_spill_count: 0
    .wavefront_size: 64
  - .agpr_count:     0
    .args:
      - .offset:         0
        .size:           88
        .value_kind:     by_value
    .group_segment_fixed_size: 0
    .kernarg_segment_align: 8
    .kernarg_segment_size: 88
    .language:       OpenCL C
    .language_version:
      - 2
      - 0
    .max_flat_workgroup_size: 512
    .name:           _ZN7rocprim17ROCPRIM_400000_NS6detail17trampoline_kernelINS0_14default_configENS1_35radix_sort_onesweep_config_selectorIffEEZZNS1_29radix_sort_onesweep_iterationIS3_Lb0EN6thrust23THRUST_200600_302600_NS6detail15normal_iteratorINS8_10device_ptrIfEEEESD_SD_SD_jNS0_19identity_decomposerENS1_16block_id_wrapperIjLb0EEEEE10hipError_tT1_PNSt15iterator_traitsISI_E10value_typeET2_T3_PNSJ_ISO_E10value_typeET4_T5_PST_SU_PNS1_23onesweep_lookback_stateEbbT6_jjT7_P12ihipStream_tbENKUlT_T0_SI_SN_E_clISD_PfSD_S15_EEDaS11_S12_SI_SN_EUlS11_E_NS1_11comp_targetILNS1_3genE4ELNS1_11target_archE910ELNS1_3gpuE8ELNS1_3repE0EEENS1_47radix_sort_onesweep_sort_config_static_selectorELNS0_4arch9wavefront6targetE1EEEvSI_
    .private_segment_fixed_size: 0
    .sgpr_count:     6
    .sgpr_spill_count: 0
    .symbol:         _ZN7rocprim17ROCPRIM_400000_NS6detail17trampoline_kernelINS0_14default_configENS1_35radix_sort_onesweep_config_selectorIffEEZZNS1_29radix_sort_onesweep_iterationIS3_Lb0EN6thrust23THRUST_200600_302600_NS6detail15normal_iteratorINS8_10device_ptrIfEEEESD_SD_SD_jNS0_19identity_decomposerENS1_16block_id_wrapperIjLb0EEEEE10hipError_tT1_PNSt15iterator_traitsISI_E10value_typeET2_T3_PNSJ_ISO_E10value_typeET4_T5_PST_SU_PNS1_23onesweep_lookback_stateEbbT6_jjT7_P12ihipStream_tbENKUlT_T0_SI_SN_E_clISD_PfSD_S15_EEDaS11_S12_SI_SN_EUlS11_E_NS1_11comp_targetILNS1_3genE4ELNS1_11target_archE910ELNS1_3gpuE8ELNS1_3repE0EEENS1_47radix_sort_onesweep_sort_config_static_selectorELNS0_4arch9wavefront6targetE1EEEvSI_.kd
    .uniform_work_group_size: 1
    .uses_dynamic_stack: false
    .vgpr_count:     0
    .vgpr_spill_count: 0
    .wavefront_size: 64
  - .agpr_count:     0
    .args:
      - .offset:         0
        .size:           88
        .value_kind:     by_value
    .group_segment_fixed_size: 0
    .kernarg_segment_align: 8
    .kernarg_segment_size: 88
    .language:       OpenCL C
    .language_version:
      - 2
      - 0
    .max_flat_workgroup_size: 256
    .name:           _ZN7rocprim17ROCPRIM_400000_NS6detail17trampoline_kernelINS0_14default_configENS1_35radix_sort_onesweep_config_selectorIffEEZZNS1_29radix_sort_onesweep_iterationIS3_Lb0EN6thrust23THRUST_200600_302600_NS6detail15normal_iteratorINS8_10device_ptrIfEEEESD_SD_SD_jNS0_19identity_decomposerENS1_16block_id_wrapperIjLb0EEEEE10hipError_tT1_PNSt15iterator_traitsISI_E10value_typeET2_T3_PNSJ_ISO_E10value_typeET4_T5_PST_SU_PNS1_23onesweep_lookback_stateEbbT6_jjT7_P12ihipStream_tbENKUlT_T0_SI_SN_E_clISD_PfSD_S15_EEDaS11_S12_SI_SN_EUlS11_E_NS1_11comp_targetILNS1_3genE3ELNS1_11target_archE908ELNS1_3gpuE7ELNS1_3repE0EEENS1_47radix_sort_onesweep_sort_config_static_selectorELNS0_4arch9wavefront6targetE1EEEvSI_
    .private_segment_fixed_size: 0
    .sgpr_count:     6
    .sgpr_spill_count: 0
    .symbol:         _ZN7rocprim17ROCPRIM_400000_NS6detail17trampoline_kernelINS0_14default_configENS1_35radix_sort_onesweep_config_selectorIffEEZZNS1_29radix_sort_onesweep_iterationIS3_Lb0EN6thrust23THRUST_200600_302600_NS6detail15normal_iteratorINS8_10device_ptrIfEEEESD_SD_SD_jNS0_19identity_decomposerENS1_16block_id_wrapperIjLb0EEEEE10hipError_tT1_PNSt15iterator_traitsISI_E10value_typeET2_T3_PNSJ_ISO_E10value_typeET4_T5_PST_SU_PNS1_23onesweep_lookback_stateEbbT6_jjT7_P12ihipStream_tbENKUlT_T0_SI_SN_E_clISD_PfSD_S15_EEDaS11_S12_SI_SN_EUlS11_E_NS1_11comp_targetILNS1_3genE3ELNS1_11target_archE908ELNS1_3gpuE7ELNS1_3repE0EEENS1_47radix_sort_onesweep_sort_config_static_selectorELNS0_4arch9wavefront6targetE1EEEvSI_.kd
    .uniform_work_group_size: 1
    .uses_dynamic_stack: false
    .vgpr_count:     0
    .vgpr_spill_count: 0
    .wavefront_size: 64
  - .agpr_count:     0
    .args:
      - .offset:         0
        .size:           88
        .value_kind:     by_value
    .group_segment_fixed_size: 0
    .kernarg_segment_align: 8
    .kernarg_segment_size: 88
    .language:       OpenCL C
    .language_version:
      - 2
      - 0
    .max_flat_workgroup_size: 1024
    .name:           _ZN7rocprim17ROCPRIM_400000_NS6detail17trampoline_kernelINS0_14default_configENS1_35radix_sort_onesweep_config_selectorIffEEZZNS1_29radix_sort_onesweep_iterationIS3_Lb0EN6thrust23THRUST_200600_302600_NS6detail15normal_iteratorINS8_10device_ptrIfEEEESD_SD_SD_jNS0_19identity_decomposerENS1_16block_id_wrapperIjLb0EEEEE10hipError_tT1_PNSt15iterator_traitsISI_E10value_typeET2_T3_PNSJ_ISO_E10value_typeET4_T5_PST_SU_PNS1_23onesweep_lookback_stateEbbT6_jjT7_P12ihipStream_tbENKUlT_T0_SI_SN_E_clISD_PfSD_S15_EEDaS11_S12_SI_SN_EUlS11_E_NS1_11comp_targetILNS1_3genE10ELNS1_11target_archE1201ELNS1_3gpuE5ELNS1_3repE0EEENS1_47radix_sort_onesweep_sort_config_static_selectorELNS0_4arch9wavefront6targetE1EEEvSI_
    .private_segment_fixed_size: 0
    .sgpr_count:     6
    .sgpr_spill_count: 0
    .symbol:         _ZN7rocprim17ROCPRIM_400000_NS6detail17trampoline_kernelINS0_14default_configENS1_35radix_sort_onesweep_config_selectorIffEEZZNS1_29radix_sort_onesweep_iterationIS3_Lb0EN6thrust23THRUST_200600_302600_NS6detail15normal_iteratorINS8_10device_ptrIfEEEESD_SD_SD_jNS0_19identity_decomposerENS1_16block_id_wrapperIjLb0EEEEE10hipError_tT1_PNSt15iterator_traitsISI_E10value_typeET2_T3_PNSJ_ISO_E10value_typeET4_T5_PST_SU_PNS1_23onesweep_lookback_stateEbbT6_jjT7_P12ihipStream_tbENKUlT_T0_SI_SN_E_clISD_PfSD_S15_EEDaS11_S12_SI_SN_EUlS11_E_NS1_11comp_targetILNS1_3genE10ELNS1_11target_archE1201ELNS1_3gpuE5ELNS1_3repE0EEENS1_47radix_sort_onesweep_sort_config_static_selectorELNS0_4arch9wavefront6targetE1EEEvSI_.kd
    .uniform_work_group_size: 1
    .uses_dynamic_stack: false
    .vgpr_count:     0
    .vgpr_spill_count: 0
    .wavefront_size: 64
  - .agpr_count:     0
    .args:
      - .offset:         0
        .size:           88
        .value_kind:     by_value
    .group_segment_fixed_size: 0
    .kernarg_segment_align: 8
    .kernarg_segment_size: 88
    .language:       OpenCL C
    .language_version:
      - 2
      - 0
    .max_flat_workgroup_size: 1024
    .name:           _ZN7rocprim17ROCPRIM_400000_NS6detail17trampoline_kernelINS0_14default_configENS1_35radix_sort_onesweep_config_selectorIffEEZZNS1_29radix_sort_onesweep_iterationIS3_Lb0EN6thrust23THRUST_200600_302600_NS6detail15normal_iteratorINS8_10device_ptrIfEEEESD_SD_SD_jNS0_19identity_decomposerENS1_16block_id_wrapperIjLb0EEEEE10hipError_tT1_PNSt15iterator_traitsISI_E10value_typeET2_T3_PNSJ_ISO_E10value_typeET4_T5_PST_SU_PNS1_23onesweep_lookback_stateEbbT6_jjT7_P12ihipStream_tbENKUlT_T0_SI_SN_E_clISD_PfSD_S15_EEDaS11_S12_SI_SN_EUlS11_E_NS1_11comp_targetILNS1_3genE9ELNS1_11target_archE1100ELNS1_3gpuE3ELNS1_3repE0EEENS1_47radix_sort_onesweep_sort_config_static_selectorELNS0_4arch9wavefront6targetE1EEEvSI_
    .private_segment_fixed_size: 0
    .sgpr_count:     6
    .sgpr_spill_count: 0
    .symbol:         _ZN7rocprim17ROCPRIM_400000_NS6detail17trampoline_kernelINS0_14default_configENS1_35radix_sort_onesweep_config_selectorIffEEZZNS1_29radix_sort_onesweep_iterationIS3_Lb0EN6thrust23THRUST_200600_302600_NS6detail15normal_iteratorINS8_10device_ptrIfEEEESD_SD_SD_jNS0_19identity_decomposerENS1_16block_id_wrapperIjLb0EEEEE10hipError_tT1_PNSt15iterator_traitsISI_E10value_typeET2_T3_PNSJ_ISO_E10value_typeET4_T5_PST_SU_PNS1_23onesweep_lookback_stateEbbT6_jjT7_P12ihipStream_tbENKUlT_T0_SI_SN_E_clISD_PfSD_S15_EEDaS11_S12_SI_SN_EUlS11_E_NS1_11comp_targetILNS1_3genE9ELNS1_11target_archE1100ELNS1_3gpuE3ELNS1_3repE0EEENS1_47radix_sort_onesweep_sort_config_static_selectorELNS0_4arch9wavefront6targetE1EEEvSI_.kd
    .uniform_work_group_size: 1
    .uses_dynamic_stack: false
    .vgpr_count:     0
    .vgpr_spill_count: 0
    .wavefront_size: 64
  - .agpr_count:     0
    .args:
      - .offset:         0
        .size:           88
        .value_kind:     by_value
    .group_segment_fixed_size: 0
    .kernarg_segment_align: 8
    .kernarg_segment_size: 88
    .language:       OpenCL C
    .language_version:
      - 2
      - 0
    .max_flat_workgroup_size: 1024
    .name:           _ZN7rocprim17ROCPRIM_400000_NS6detail17trampoline_kernelINS0_14default_configENS1_35radix_sort_onesweep_config_selectorIffEEZZNS1_29radix_sort_onesweep_iterationIS3_Lb0EN6thrust23THRUST_200600_302600_NS6detail15normal_iteratorINS8_10device_ptrIfEEEESD_SD_SD_jNS0_19identity_decomposerENS1_16block_id_wrapperIjLb0EEEEE10hipError_tT1_PNSt15iterator_traitsISI_E10value_typeET2_T3_PNSJ_ISO_E10value_typeET4_T5_PST_SU_PNS1_23onesweep_lookback_stateEbbT6_jjT7_P12ihipStream_tbENKUlT_T0_SI_SN_E_clISD_PfSD_S15_EEDaS11_S12_SI_SN_EUlS11_E_NS1_11comp_targetILNS1_3genE8ELNS1_11target_archE1030ELNS1_3gpuE2ELNS1_3repE0EEENS1_47radix_sort_onesweep_sort_config_static_selectorELNS0_4arch9wavefront6targetE1EEEvSI_
    .private_segment_fixed_size: 0
    .sgpr_count:     6
    .sgpr_spill_count: 0
    .symbol:         _ZN7rocprim17ROCPRIM_400000_NS6detail17trampoline_kernelINS0_14default_configENS1_35radix_sort_onesweep_config_selectorIffEEZZNS1_29radix_sort_onesweep_iterationIS3_Lb0EN6thrust23THRUST_200600_302600_NS6detail15normal_iteratorINS8_10device_ptrIfEEEESD_SD_SD_jNS0_19identity_decomposerENS1_16block_id_wrapperIjLb0EEEEE10hipError_tT1_PNSt15iterator_traitsISI_E10value_typeET2_T3_PNSJ_ISO_E10value_typeET4_T5_PST_SU_PNS1_23onesweep_lookback_stateEbbT6_jjT7_P12ihipStream_tbENKUlT_T0_SI_SN_E_clISD_PfSD_S15_EEDaS11_S12_SI_SN_EUlS11_E_NS1_11comp_targetILNS1_3genE8ELNS1_11target_archE1030ELNS1_3gpuE2ELNS1_3repE0EEENS1_47radix_sort_onesweep_sort_config_static_selectorELNS0_4arch9wavefront6targetE1EEEvSI_.kd
    .uniform_work_group_size: 1
    .uses_dynamic_stack: false
    .vgpr_count:     0
    .vgpr_spill_count: 0
    .wavefront_size: 64
  - .agpr_count:     0
    .args:
      - .offset:         0
        .size:           88
        .value_kind:     by_value
    .group_segment_fixed_size: 0
    .kernarg_segment_align: 8
    .kernarg_segment_size: 88
    .language:       OpenCL C
    .language_version:
      - 2
      - 0
    .max_flat_workgroup_size: 256
    .name:           _ZN7rocprim17ROCPRIM_400000_NS6detail17trampoline_kernelINS0_14default_configENS1_35radix_sort_onesweep_config_selectorIffEEZZNS1_29radix_sort_onesweep_iterationIS3_Lb0EN6thrust23THRUST_200600_302600_NS6detail15normal_iteratorINS8_10device_ptrIfEEEESD_SD_SD_jNS0_19identity_decomposerENS1_16block_id_wrapperIjLb0EEEEE10hipError_tT1_PNSt15iterator_traitsISI_E10value_typeET2_T3_PNSJ_ISO_E10value_typeET4_T5_PST_SU_PNS1_23onesweep_lookback_stateEbbT6_jjT7_P12ihipStream_tbENKUlT_T0_SI_SN_E_clIPfSD_S15_SD_EEDaS11_S12_SI_SN_EUlS11_E_NS1_11comp_targetILNS1_3genE0ELNS1_11target_archE4294967295ELNS1_3gpuE0ELNS1_3repE0EEENS1_47radix_sort_onesweep_sort_config_static_selectorELNS0_4arch9wavefront6targetE1EEEvSI_
    .private_segment_fixed_size: 0
    .sgpr_count:     6
    .sgpr_spill_count: 0
    .symbol:         _ZN7rocprim17ROCPRIM_400000_NS6detail17trampoline_kernelINS0_14default_configENS1_35radix_sort_onesweep_config_selectorIffEEZZNS1_29radix_sort_onesweep_iterationIS3_Lb0EN6thrust23THRUST_200600_302600_NS6detail15normal_iteratorINS8_10device_ptrIfEEEESD_SD_SD_jNS0_19identity_decomposerENS1_16block_id_wrapperIjLb0EEEEE10hipError_tT1_PNSt15iterator_traitsISI_E10value_typeET2_T3_PNSJ_ISO_E10value_typeET4_T5_PST_SU_PNS1_23onesweep_lookback_stateEbbT6_jjT7_P12ihipStream_tbENKUlT_T0_SI_SN_E_clIPfSD_S15_SD_EEDaS11_S12_SI_SN_EUlS11_E_NS1_11comp_targetILNS1_3genE0ELNS1_11target_archE4294967295ELNS1_3gpuE0ELNS1_3repE0EEENS1_47radix_sort_onesweep_sort_config_static_selectorELNS0_4arch9wavefront6targetE1EEEvSI_.kd
    .uniform_work_group_size: 1
    .uses_dynamic_stack: false
    .vgpr_count:     0
    .vgpr_spill_count: 0
    .wavefront_size: 64
  - .agpr_count:     0
    .args:
      - .offset:         0
        .size:           88
        .value_kind:     by_value
      - .offset:         88
        .size:           4
        .value_kind:     hidden_block_count_x
      - .offset:         92
        .size:           4
        .value_kind:     hidden_block_count_y
      - .offset:         96
        .size:           4
        .value_kind:     hidden_block_count_z
      - .offset:         100
        .size:           2
        .value_kind:     hidden_group_size_x
      - .offset:         102
        .size:           2
        .value_kind:     hidden_group_size_y
      - .offset:         104
        .size:           2
        .value_kind:     hidden_group_size_z
      - .offset:         106
        .size:           2
        .value_kind:     hidden_remainder_x
      - .offset:         108
        .size:           2
        .value_kind:     hidden_remainder_y
      - .offset:         110
        .size:           2
        .value_kind:     hidden_remainder_z
      - .offset:         128
        .size:           8
        .value_kind:     hidden_global_offset_x
      - .offset:         136
        .size:           8
        .value_kind:     hidden_global_offset_y
      - .offset:         144
        .size:           8
        .value_kind:     hidden_global_offset_z
      - .offset:         152
        .size:           2
        .value_kind:     hidden_grid_dims
    .group_segment_fixed_size: 53328
    .kernarg_segment_align: 8
    .kernarg_segment_size: 344
    .language:       OpenCL C
    .language_version:
      - 2
      - 0
    .max_flat_workgroup_size: 1024
    .name:           _ZN7rocprim17ROCPRIM_400000_NS6detail17trampoline_kernelINS0_14default_configENS1_35radix_sort_onesweep_config_selectorIffEEZZNS1_29radix_sort_onesweep_iterationIS3_Lb0EN6thrust23THRUST_200600_302600_NS6detail15normal_iteratorINS8_10device_ptrIfEEEESD_SD_SD_jNS0_19identity_decomposerENS1_16block_id_wrapperIjLb0EEEEE10hipError_tT1_PNSt15iterator_traitsISI_E10value_typeET2_T3_PNSJ_ISO_E10value_typeET4_T5_PST_SU_PNS1_23onesweep_lookback_stateEbbT6_jjT7_P12ihipStream_tbENKUlT_T0_SI_SN_E_clIPfSD_S15_SD_EEDaS11_S12_SI_SN_EUlS11_E_NS1_11comp_targetILNS1_3genE6ELNS1_11target_archE950ELNS1_3gpuE13ELNS1_3repE0EEENS1_47radix_sort_onesweep_sort_config_static_selectorELNS0_4arch9wavefront6targetE1EEEvSI_
    .private_segment_fixed_size: 48
    .sgpr_count:     63
    .sgpr_spill_count: 0
    .symbol:         _ZN7rocprim17ROCPRIM_400000_NS6detail17trampoline_kernelINS0_14default_configENS1_35radix_sort_onesweep_config_selectorIffEEZZNS1_29radix_sort_onesweep_iterationIS3_Lb0EN6thrust23THRUST_200600_302600_NS6detail15normal_iteratorINS8_10device_ptrIfEEEESD_SD_SD_jNS0_19identity_decomposerENS1_16block_id_wrapperIjLb0EEEEE10hipError_tT1_PNSt15iterator_traitsISI_E10value_typeET2_T3_PNSJ_ISO_E10value_typeET4_T5_PST_SU_PNS1_23onesweep_lookback_stateEbbT6_jjT7_P12ihipStream_tbENKUlT_T0_SI_SN_E_clIPfSD_S15_SD_EEDaS11_S12_SI_SN_EUlS11_E_NS1_11comp_targetILNS1_3genE6ELNS1_11target_archE950ELNS1_3gpuE13ELNS1_3repE0EEENS1_47radix_sort_onesweep_sort_config_static_selectorELNS0_4arch9wavefront6targetE1EEEvSI_.kd
    .uniform_work_group_size: 1
    .uses_dynamic_stack: false
    .vgpr_count:     53
    .vgpr_spill_count: 0
    .wavefront_size: 64
  - .agpr_count:     0
    .args:
      - .offset:         0
        .size:           88
        .value_kind:     by_value
    .group_segment_fixed_size: 0
    .kernarg_segment_align: 8
    .kernarg_segment_size: 88
    .language:       OpenCL C
    .language_version:
      - 2
      - 0
    .max_flat_workgroup_size: 1024
    .name:           _ZN7rocprim17ROCPRIM_400000_NS6detail17trampoline_kernelINS0_14default_configENS1_35radix_sort_onesweep_config_selectorIffEEZZNS1_29radix_sort_onesweep_iterationIS3_Lb0EN6thrust23THRUST_200600_302600_NS6detail15normal_iteratorINS8_10device_ptrIfEEEESD_SD_SD_jNS0_19identity_decomposerENS1_16block_id_wrapperIjLb0EEEEE10hipError_tT1_PNSt15iterator_traitsISI_E10value_typeET2_T3_PNSJ_ISO_E10value_typeET4_T5_PST_SU_PNS1_23onesweep_lookback_stateEbbT6_jjT7_P12ihipStream_tbENKUlT_T0_SI_SN_E_clIPfSD_S15_SD_EEDaS11_S12_SI_SN_EUlS11_E_NS1_11comp_targetILNS1_3genE5ELNS1_11target_archE942ELNS1_3gpuE9ELNS1_3repE0EEENS1_47radix_sort_onesweep_sort_config_static_selectorELNS0_4arch9wavefront6targetE1EEEvSI_
    .private_segment_fixed_size: 0
    .sgpr_count:     6
    .sgpr_spill_count: 0
    .symbol:         _ZN7rocprim17ROCPRIM_400000_NS6detail17trampoline_kernelINS0_14default_configENS1_35radix_sort_onesweep_config_selectorIffEEZZNS1_29radix_sort_onesweep_iterationIS3_Lb0EN6thrust23THRUST_200600_302600_NS6detail15normal_iteratorINS8_10device_ptrIfEEEESD_SD_SD_jNS0_19identity_decomposerENS1_16block_id_wrapperIjLb0EEEEE10hipError_tT1_PNSt15iterator_traitsISI_E10value_typeET2_T3_PNSJ_ISO_E10value_typeET4_T5_PST_SU_PNS1_23onesweep_lookback_stateEbbT6_jjT7_P12ihipStream_tbENKUlT_T0_SI_SN_E_clIPfSD_S15_SD_EEDaS11_S12_SI_SN_EUlS11_E_NS1_11comp_targetILNS1_3genE5ELNS1_11target_archE942ELNS1_3gpuE9ELNS1_3repE0EEENS1_47radix_sort_onesweep_sort_config_static_selectorELNS0_4arch9wavefront6targetE1EEEvSI_.kd
    .uniform_work_group_size: 1
    .uses_dynamic_stack: false
    .vgpr_count:     0
    .vgpr_spill_count: 0
    .wavefront_size: 64
  - .agpr_count:     0
    .args:
      - .offset:         0
        .size:           88
        .value_kind:     by_value
    .group_segment_fixed_size: 0
    .kernarg_segment_align: 8
    .kernarg_segment_size: 88
    .language:       OpenCL C
    .language_version:
      - 2
      - 0
    .max_flat_workgroup_size: 512
    .name:           _ZN7rocprim17ROCPRIM_400000_NS6detail17trampoline_kernelINS0_14default_configENS1_35radix_sort_onesweep_config_selectorIffEEZZNS1_29radix_sort_onesweep_iterationIS3_Lb0EN6thrust23THRUST_200600_302600_NS6detail15normal_iteratorINS8_10device_ptrIfEEEESD_SD_SD_jNS0_19identity_decomposerENS1_16block_id_wrapperIjLb0EEEEE10hipError_tT1_PNSt15iterator_traitsISI_E10value_typeET2_T3_PNSJ_ISO_E10value_typeET4_T5_PST_SU_PNS1_23onesweep_lookback_stateEbbT6_jjT7_P12ihipStream_tbENKUlT_T0_SI_SN_E_clIPfSD_S15_SD_EEDaS11_S12_SI_SN_EUlS11_E_NS1_11comp_targetILNS1_3genE2ELNS1_11target_archE906ELNS1_3gpuE6ELNS1_3repE0EEENS1_47radix_sort_onesweep_sort_config_static_selectorELNS0_4arch9wavefront6targetE1EEEvSI_
    .private_segment_fixed_size: 0
    .sgpr_count:     6
    .sgpr_spill_count: 0
    .symbol:         _ZN7rocprim17ROCPRIM_400000_NS6detail17trampoline_kernelINS0_14default_configENS1_35radix_sort_onesweep_config_selectorIffEEZZNS1_29radix_sort_onesweep_iterationIS3_Lb0EN6thrust23THRUST_200600_302600_NS6detail15normal_iteratorINS8_10device_ptrIfEEEESD_SD_SD_jNS0_19identity_decomposerENS1_16block_id_wrapperIjLb0EEEEE10hipError_tT1_PNSt15iterator_traitsISI_E10value_typeET2_T3_PNSJ_ISO_E10value_typeET4_T5_PST_SU_PNS1_23onesweep_lookback_stateEbbT6_jjT7_P12ihipStream_tbENKUlT_T0_SI_SN_E_clIPfSD_S15_SD_EEDaS11_S12_SI_SN_EUlS11_E_NS1_11comp_targetILNS1_3genE2ELNS1_11target_archE906ELNS1_3gpuE6ELNS1_3repE0EEENS1_47radix_sort_onesweep_sort_config_static_selectorELNS0_4arch9wavefront6targetE1EEEvSI_.kd
    .uniform_work_group_size: 1
    .uses_dynamic_stack: false
    .vgpr_count:     0
    .vgpr_spill_count: 0
    .wavefront_size: 64
  - .agpr_count:     0
    .args:
      - .offset:         0
        .size:           88
        .value_kind:     by_value
    .group_segment_fixed_size: 0
    .kernarg_segment_align: 8
    .kernarg_segment_size: 88
    .language:       OpenCL C
    .language_version:
      - 2
      - 0
    .max_flat_workgroup_size: 512
    .name:           _ZN7rocprim17ROCPRIM_400000_NS6detail17trampoline_kernelINS0_14default_configENS1_35radix_sort_onesweep_config_selectorIffEEZZNS1_29radix_sort_onesweep_iterationIS3_Lb0EN6thrust23THRUST_200600_302600_NS6detail15normal_iteratorINS8_10device_ptrIfEEEESD_SD_SD_jNS0_19identity_decomposerENS1_16block_id_wrapperIjLb0EEEEE10hipError_tT1_PNSt15iterator_traitsISI_E10value_typeET2_T3_PNSJ_ISO_E10value_typeET4_T5_PST_SU_PNS1_23onesweep_lookback_stateEbbT6_jjT7_P12ihipStream_tbENKUlT_T0_SI_SN_E_clIPfSD_S15_SD_EEDaS11_S12_SI_SN_EUlS11_E_NS1_11comp_targetILNS1_3genE4ELNS1_11target_archE910ELNS1_3gpuE8ELNS1_3repE0EEENS1_47radix_sort_onesweep_sort_config_static_selectorELNS0_4arch9wavefront6targetE1EEEvSI_
    .private_segment_fixed_size: 0
    .sgpr_count:     6
    .sgpr_spill_count: 0
    .symbol:         _ZN7rocprim17ROCPRIM_400000_NS6detail17trampoline_kernelINS0_14default_configENS1_35radix_sort_onesweep_config_selectorIffEEZZNS1_29radix_sort_onesweep_iterationIS3_Lb0EN6thrust23THRUST_200600_302600_NS6detail15normal_iteratorINS8_10device_ptrIfEEEESD_SD_SD_jNS0_19identity_decomposerENS1_16block_id_wrapperIjLb0EEEEE10hipError_tT1_PNSt15iterator_traitsISI_E10value_typeET2_T3_PNSJ_ISO_E10value_typeET4_T5_PST_SU_PNS1_23onesweep_lookback_stateEbbT6_jjT7_P12ihipStream_tbENKUlT_T0_SI_SN_E_clIPfSD_S15_SD_EEDaS11_S12_SI_SN_EUlS11_E_NS1_11comp_targetILNS1_3genE4ELNS1_11target_archE910ELNS1_3gpuE8ELNS1_3repE0EEENS1_47radix_sort_onesweep_sort_config_static_selectorELNS0_4arch9wavefront6targetE1EEEvSI_.kd
    .uniform_work_group_size: 1
    .uses_dynamic_stack: false
    .vgpr_count:     0
    .vgpr_spill_count: 0
    .wavefront_size: 64
  - .agpr_count:     0
    .args:
      - .offset:         0
        .size:           88
        .value_kind:     by_value
    .group_segment_fixed_size: 0
    .kernarg_segment_align: 8
    .kernarg_segment_size: 88
    .language:       OpenCL C
    .language_version:
      - 2
      - 0
    .max_flat_workgroup_size: 256
    .name:           _ZN7rocprim17ROCPRIM_400000_NS6detail17trampoline_kernelINS0_14default_configENS1_35radix_sort_onesweep_config_selectorIffEEZZNS1_29radix_sort_onesweep_iterationIS3_Lb0EN6thrust23THRUST_200600_302600_NS6detail15normal_iteratorINS8_10device_ptrIfEEEESD_SD_SD_jNS0_19identity_decomposerENS1_16block_id_wrapperIjLb0EEEEE10hipError_tT1_PNSt15iterator_traitsISI_E10value_typeET2_T3_PNSJ_ISO_E10value_typeET4_T5_PST_SU_PNS1_23onesweep_lookback_stateEbbT6_jjT7_P12ihipStream_tbENKUlT_T0_SI_SN_E_clIPfSD_S15_SD_EEDaS11_S12_SI_SN_EUlS11_E_NS1_11comp_targetILNS1_3genE3ELNS1_11target_archE908ELNS1_3gpuE7ELNS1_3repE0EEENS1_47radix_sort_onesweep_sort_config_static_selectorELNS0_4arch9wavefront6targetE1EEEvSI_
    .private_segment_fixed_size: 0
    .sgpr_count:     6
    .sgpr_spill_count: 0
    .symbol:         _ZN7rocprim17ROCPRIM_400000_NS6detail17trampoline_kernelINS0_14default_configENS1_35radix_sort_onesweep_config_selectorIffEEZZNS1_29radix_sort_onesweep_iterationIS3_Lb0EN6thrust23THRUST_200600_302600_NS6detail15normal_iteratorINS8_10device_ptrIfEEEESD_SD_SD_jNS0_19identity_decomposerENS1_16block_id_wrapperIjLb0EEEEE10hipError_tT1_PNSt15iterator_traitsISI_E10value_typeET2_T3_PNSJ_ISO_E10value_typeET4_T5_PST_SU_PNS1_23onesweep_lookback_stateEbbT6_jjT7_P12ihipStream_tbENKUlT_T0_SI_SN_E_clIPfSD_S15_SD_EEDaS11_S12_SI_SN_EUlS11_E_NS1_11comp_targetILNS1_3genE3ELNS1_11target_archE908ELNS1_3gpuE7ELNS1_3repE0EEENS1_47radix_sort_onesweep_sort_config_static_selectorELNS0_4arch9wavefront6targetE1EEEvSI_.kd
    .uniform_work_group_size: 1
    .uses_dynamic_stack: false
    .vgpr_count:     0
    .vgpr_spill_count: 0
    .wavefront_size: 64
  - .agpr_count:     0
    .args:
      - .offset:         0
        .size:           88
        .value_kind:     by_value
    .group_segment_fixed_size: 0
    .kernarg_segment_align: 8
    .kernarg_segment_size: 88
    .language:       OpenCL C
    .language_version:
      - 2
      - 0
    .max_flat_workgroup_size: 1024
    .name:           _ZN7rocprim17ROCPRIM_400000_NS6detail17trampoline_kernelINS0_14default_configENS1_35radix_sort_onesweep_config_selectorIffEEZZNS1_29radix_sort_onesweep_iterationIS3_Lb0EN6thrust23THRUST_200600_302600_NS6detail15normal_iteratorINS8_10device_ptrIfEEEESD_SD_SD_jNS0_19identity_decomposerENS1_16block_id_wrapperIjLb0EEEEE10hipError_tT1_PNSt15iterator_traitsISI_E10value_typeET2_T3_PNSJ_ISO_E10value_typeET4_T5_PST_SU_PNS1_23onesweep_lookback_stateEbbT6_jjT7_P12ihipStream_tbENKUlT_T0_SI_SN_E_clIPfSD_S15_SD_EEDaS11_S12_SI_SN_EUlS11_E_NS1_11comp_targetILNS1_3genE10ELNS1_11target_archE1201ELNS1_3gpuE5ELNS1_3repE0EEENS1_47radix_sort_onesweep_sort_config_static_selectorELNS0_4arch9wavefront6targetE1EEEvSI_
    .private_segment_fixed_size: 0
    .sgpr_count:     6
    .sgpr_spill_count: 0
    .symbol:         _ZN7rocprim17ROCPRIM_400000_NS6detail17trampoline_kernelINS0_14default_configENS1_35radix_sort_onesweep_config_selectorIffEEZZNS1_29radix_sort_onesweep_iterationIS3_Lb0EN6thrust23THRUST_200600_302600_NS6detail15normal_iteratorINS8_10device_ptrIfEEEESD_SD_SD_jNS0_19identity_decomposerENS1_16block_id_wrapperIjLb0EEEEE10hipError_tT1_PNSt15iterator_traitsISI_E10value_typeET2_T3_PNSJ_ISO_E10value_typeET4_T5_PST_SU_PNS1_23onesweep_lookback_stateEbbT6_jjT7_P12ihipStream_tbENKUlT_T0_SI_SN_E_clIPfSD_S15_SD_EEDaS11_S12_SI_SN_EUlS11_E_NS1_11comp_targetILNS1_3genE10ELNS1_11target_archE1201ELNS1_3gpuE5ELNS1_3repE0EEENS1_47radix_sort_onesweep_sort_config_static_selectorELNS0_4arch9wavefront6targetE1EEEvSI_.kd
    .uniform_work_group_size: 1
    .uses_dynamic_stack: false
    .vgpr_count:     0
    .vgpr_spill_count: 0
    .wavefront_size: 64
  - .agpr_count:     0
    .args:
      - .offset:         0
        .size:           88
        .value_kind:     by_value
    .group_segment_fixed_size: 0
    .kernarg_segment_align: 8
    .kernarg_segment_size: 88
    .language:       OpenCL C
    .language_version:
      - 2
      - 0
    .max_flat_workgroup_size: 1024
    .name:           _ZN7rocprim17ROCPRIM_400000_NS6detail17trampoline_kernelINS0_14default_configENS1_35radix_sort_onesweep_config_selectorIffEEZZNS1_29radix_sort_onesweep_iterationIS3_Lb0EN6thrust23THRUST_200600_302600_NS6detail15normal_iteratorINS8_10device_ptrIfEEEESD_SD_SD_jNS0_19identity_decomposerENS1_16block_id_wrapperIjLb0EEEEE10hipError_tT1_PNSt15iterator_traitsISI_E10value_typeET2_T3_PNSJ_ISO_E10value_typeET4_T5_PST_SU_PNS1_23onesweep_lookback_stateEbbT6_jjT7_P12ihipStream_tbENKUlT_T0_SI_SN_E_clIPfSD_S15_SD_EEDaS11_S12_SI_SN_EUlS11_E_NS1_11comp_targetILNS1_3genE9ELNS1_11target_archE1100ELNS1_3gpuE3ELNS1_3repE0EEENS1_47radix_sort_onesweep_sort_config_static_selectorELNS0_4arch9wavefront6targetE1EEEvSI_
    .private_segment_fixed_size: 0
    .sgpr_count:     6
    .sgpr_spill_count: 0
    .symbol:         _ZN7rocprim17ROCPRIM_400000_NS6detail17trampoline_kernelINS0_14default_configENS1_35radix_sort_onesweep_config_selectorIffEEZZNS1_29radix_sort_onesweep_iterationIS3_Lb0EN6thrust23THRUST_200600_302600_NS6detail15normal_iteratorINS8_10device_ptrIfEEEESD_SD_SD_jNS0_19identity_decomposerENS1_16block_id_wrapperIjLb0EEEEE10hipError_tT1_PNSt15iterator_traitsISI_E10value_typeET2_T3_PNSJ_ISO_E10value_typeET4_T5_PST_SU_PNS1_23onesweep_lookback_stateEbbT6_jjT7_P12ihipStream_tbENKUlT_T0_SI_SN_E_clIPfSD_S15_SD_EEDaS11_S12_SI_SN_EUlS11_E_NS1_11comp_targetILNS1_3genE9ELNS1_11target_archE1100ELNS1_3gpuE3ELNS1_3repE0EEENS1_47radix_sort_onesweep_sort_config_static_selectorELNS0_4arch9wavefront6targetE1EEEvSI_.kd
    .uniform_work_group_size: 1
    .uses_dynamic_stack: false
    .vgpr_count:     0
    .vgpr_spill_count: 0
    .wavefront_size: 64
  - .agpr_count:     0
    .args:
      - .offset:         0
        .size:           88
        .value_kind:     by_value
    .group_segment_fixed_size: 0
    .kernarg_segment_align: 8
    .kernarg_segment_size: 88
    .language:       OpenCL C
    .language_version:
      - 2
      - 0
    .max_flat_workgroup_size: 1024
    .name:           _ZN7rocprim17ROCPRIM_400000_NS6detail17trampoline_kernelINS0_14default_configENS1_35radix_sort_onesweep_config_selectorIffEEZZNS1_29radix_sort_onesweep_iterationIS3_Lb0EN6thrust23THRUST_200600_302600_NS6detail15normal_iteratorINS8_10device_ptrIfEEEESD_SD_SD_jNS0_19identity_decomposerENS1_16block_id_wrapperIjLb0EEEEE10hipError_tT1_PNSt15iterator_traitsISI_E10value_typeET2_T3_PNSJ_ISO_E10value_typeET4_T5_PST_SU_PNS1_23onesweep_lookback_stateEbbT6_jjT7_P12ihipStream_tbENKUlT_T0_SI_SN_E_clIPfSD_S15_SD_EEDaS11_S12_SI_SN_EUlS11_E_NS1_11comp_targetILNS1_3genE8ELNS1_11target_archE1030ELNS1_3gpuE2ELNS1_3repE0EEENS1_47radix_sort_onesweep_sort_config_static_selectorELNS0_4arch9wavefront6targetE1EEEvSI_
    .private_segment_fixed_size: 0
    .sgpr_count:     6
    .sgpr_spill_count: 0
    .symbol:         _ZN7rocprim17ROCPRIM_400000_NS6detail17trampoline_kernelINS0_14default_configENS1_35radix_sort_onesweep_config_selectorIffEEZZNS1_29radix_sort_onesweep_iterationIS3_Lb0EN6thrust23THRUST_200600_302600_NS6detail15normal_iteratorINS8_10device_ptrIfEEEESD_SD_SD_jNS0_19identity_decomposerENS1_16block_id_wrapperIjLb0EEEEE10hipError_tT1_PNSt15iterator_traitsISI_E10value_typeET2_T3_PNSJ_ISO_E10value_typeET4_T5_PST_SU_PNS1_23onesweep_lookback_stateEbbT6_jjT7_P12ihipStream_tbENKUlT_T0_SI_SN_E_clIPfSD_S15_SD_EEDaS11_S12_SI_SN_EUlS11_E_NS1_11comp_targetILNS1_3genE8ELNS1_11target_archE1030ELNS1_3gpuE2ELNS1_3repE0EEENS1_47radix_sort_onesweep_sort_config_static_selectorELNS0_4arch9wavefront6targetE1EEEvSI_.kd
    .uniform_work_group_size: 1
    .uses_dynamic_stack: false
    .vgpr_count:     0
    .vgpr_spill_count: 0
    .wavefront_size: 64
  - .agpr_count:     0
    .args:
      - .offset:         0
        .size:           104
        .value_kind:     by_value
    .group_segment_fixed_size: 64
    .kernarg_segment_align: 8
    .kernarg_segment_size: 104
    .language:       OpenCL C
    .language_version:
      - 2
      - 0
    .max_flat_workgroup_size: 128
    .name:           _ZN7rocprim17ROCPRIM_400000_NS6detail17trampoline_kernelINS0_14default_configENS1_22reduce_config_selectorIN6thrust23THRUST_200600_302600_NS5tupleIblNS6_9null_typeES8_S8_S8_S8_S8_S8_S8_EEEEZNS1_11reduce_implILb1ES3_NS6_12zip_iteratorINS7_INS6_11hip_rocprim26transform_input_iterator_tIbNSD_35transform_pair_of_input_iterators_tIbNS6_6detail15normal_iteratorINS6_10device_ptrIKfEEEESL_NS6_8equal_toIfEEEENSG_9not_fun_tINSD_8identityEEEEENSD_19counting_iterator_tIlEES8_S8_S8_S8_S8_S8_S8_S8_EEEEPS9_S9_NSD_9__find_if7functorIS9_EEEE10hipError_tPvRmT1_T2_T3_mT4_P12ihipStream_tbEUlT_E0_NS1_11comp_targetILNS1_3genE0ELNS1_11target_archE4294967295ELNS1_3gpuE0ELNS1_3repE0EEENS1_30default_config_static_selectorELNS0_4arch9wavefront6targetE1EEEvS14_
    .private_segment_fixed_size: 0
    .sgpr_count:     34
    .sgpr_spill_count: 0
    .symbol:         _ZN7rocprim17ROCPRIM_400000_NS6detail17trampoline_kernelINS0_14default_configENS1_22reduce_config_selectorIN6thrust23THRUST_200600_302600_NS5tupleIblNS6_9null_typeES8_S8_S8_S8_S8_S8_S8_EEEEZNS1_11reduce_implILb1ES3_NS6_12zip_iteratorINS7_INS6_11hip_rocprim26transform_input_iterator_tIbNSD_35transform_pair_of_input_iterators_tIbNS6_6detail15normal_iteratorINS6_10device_ptrIKfEEEESL_NS6_8equal_toIfEEEENSG_9not_fun_tINSD_8identityEEEEENSD_19counting_iterator_tIlEES8_S8_S8_S8_S8_S8_S8_S8_EEEEPS9_S9_NSD_9__find_if7functorIS9_EEEE10hipError_tPvRmT1_T2_T3_mT4_P12ihipStream_tbEUlT_E0_NS1_11comp_targetILNS1_3genE0ELNS1_11target_archE4294967295ELNS1_3gpuE0ELNS1_3repE0EEENS1_30default_config_static_selectorELNS0_4arch9wavefront6targetE1EEEvS14_.kd
    .uniform_work_group_size: 1
    .uses_dynamic_stack: false
    .vgpr_count:     14
    .vgpr_spill_count: 0
    .wavefront_size: 64
  - .agpr_count:     0
    .args:
      - .offset:         0
        .size:           104
        .value_kind:     by_value
    .group_segment_fixed_size: 0
    .kernarg_segment_align: 8
    .kernarg_segment_size: 104
    .language:       OpenCL C
    .language_version:
      - 2
      - 0
    .max_flat_workgroup_size: 256
    .name:           _ZN7rocprim17ROCPRIM_400000_NS6detail17trampoline_kernelINS0_14default_configENS1_22reduce_config_selectorIN6thrust23THRUST_200600_302600_NS5tupleIblNS6_9null_typeES8_S8_S8_S8_S8_S8_S8_EEEEZNS1_11reduce_implILb1ES3_NS6_12zip_iteratorINS7_INS6_11hip_rocprim26transform_input_iterator_tIbNSD_35transform_pair_of_input_iterators_tIbNS6_6detail15normal_iteratorINS6_10device_ptrIKfEEEESL_NS6_8equal_toIfEEEENSG_9not_fun_tINSD_8identityEEEEENSD_19counting_iterator_tIlEES8_S8_S8_S8_S8_S8_S8_S8_EEEEPS9_S9_NSD_9__find_if7functorIS9_EEEE10hipError_tPvRmT1_T2_T3_mT4_P12ihipStream_tbEUlT_E0_NS1_11comp_targetILNS1_3genE5ELNS1_11target_archE942ELNS1_3gpuE9ELNS1_3repE0EEENS1_30default_config_static_selectorELNS0_4arch9wavefront6targetE1EEEvS14_
    .private_segment_fixed_size: 0
    .sgpr_count:     6
    .sgpr_spill_count: 0
    .symbol:         _ZN7rocprim17ROCPRIM_400000_NS6detail17trampoline_kernelINS0_14default_configENS1_22reduce_config_selectorIN6thrust23THRUST_200600_302600_NS5tupleIblNS6_9null_typeES8_S8_S8_S8_S8_S8_S8_EEEEZNS1_11reduce_implILb1ES3_NS6_12zip_iteratorINS7_INS6_11hip_rocprim26transform_input_iterator_tIbNSD_35transform_pair_of_input_iterators_tIbNS6_6detail15normal_iteratorINS6_10device_ptrIKfEEEESL_NS6_8equal_toIfEEEENSG_9not_fun_tINSD_8identityEEEEENSD_19counting_iterator_tIlEES8_S8_S8_S8_S8_S8_S8_S8_EEEEPS9_S9_NSD_9__find_if7functorIS9_EEEE10hipError_tPvRmT1_T2_T3_mT4_P12ihipStream_tbEUlT_E0_NS1_11comp_targetILNS1_3genE5ELNS1_11target_archE942ELNS1_3gpuE9ELNS1_3repE0EEENS1_30default_config_static_selectorELNS0_4arch9wavefront6targetE1EEEvS14_.kd
    .uniform_work_group_size: 1
    .uses_dynamic_stack: false
    .vgpr_count:     0
    .vgpr_spill_count: 0
    .wavefront_size: 64
  - .agpr_count:     0
    .args:
      - .offset:         0
        .size:           104
        .value_kind:     by_value
    .group_segment_fixed_size: 0
    .kernarg_segment_align: 8
    .kernarg_segment_size: 104
    .language:       OpenCL C
    .language_version:
      - 2
      - 0
    .max_flat_workgroup_size: 256
    .name:           _ZN7rocprim17ROCPRIM_400000_NS6detail17trampoline_kernelINS0_14default_configENS1_22reduce_config_selectorIN6thrust23THRUST_200600_302600_NS5tupleIblNS6_9null_typeES8_S8_S8_S8_S8_S8_S8_EEEEZNS1_11reduce_implILb1ES3_NS6_12zip_iteratorINS7_INS6_11hip_rocprim26transform_input_iterator_tIbNSD_35transform_pair_of_input_iterators_tIbNS6_6detail15normal_iteratorINS6_10device_ptrIKfEEEESL_NS6_8equal_toIfEEEENSG_9not_fun_tINSD_8identityEEEEENSD_19counting_iterator_tIlEES8_S8_S8_S8_S8_S8_S8_S8_EEEEPS9_S9_NSD_9__find_if7functorIS9_EEEE10hipError_tPvRmT1_T2_T3_mT4_P12ihipStream_tbEUlT_E0_NS1_11comp_targetILNS1_3genE4ELNS1_11target_archE910ELNS1_3gpuE8ELNS1_3repE0EEENS1_30default_config_static_selectorELNS0_4arch9wavefront6targetE1EEEvS14_
    .private_segment_fixed_size: 0
    .sgpr_count:     6
    .sgpr_spill_count: 0
    .symbol:         _ZN7rocprim17ROCPRIM_400000_NS6detail17trampoline_kernelINS0_14default_configENS1_22reduce_config_selectorIN6thrust23THRUST_200600_302600_NS5tupleIblNS6_9null_typeES8_S8_S8_S8_S8_S8_S8_EEEEZNS1_11reduce_implILb1ES3_NS6_12zip_iteratorINS7_INS6_11hip_rocprim26transform_input_iterator_tIbNSD_35transform_pair_of_input_iterators_tIbNS6_6detail15normal_iteratorINS6_10device_ptrIKfEEEESL_NS6_8equal_toIfEEEENSG_9not_fun_tINSD_8identityEEEEENSD_19counting_iterator_tIlEES8_S8_S8_S8_S8_S8_S8_S8_EEEEPS9_S9_NSD_9__find_if7functorIS9_EEEE10hipError_tPvRmT1_T2_T3_mT4_P12ihipStream_tbEUlT_E0_NS1_11comp_targetILNS1_3genE4ELNS1_11target_archE910ELNS1_3gpuE8ELNS1_3repE0EEENS1_30default_config_static_selectorELNS0_4arch9wavefront6targetE1EEEvS14_.kd
    .uniform_work_group_size: 1
    .uses_dynamic_stack: false
    .vgpr_count:     0
    .vgpr_spill_count: 0
    .wavefront_size: 64
  - .agpr_count:     0
    .args:
      - .offset:         0
        .size:           104
        .value_kind:     by_value
    .group_segment_fixed_size: 0
    .kernarg_segment_align: 8
    .kernarg_segment_size: 104
    .language:       OpenCL C
    .language_version:
      - 2
      - 0
    .max_flat_workgroup_size: 128
    .name:           _ZN7rocprim17ROCPRIM_400000_NS6detail17trampoline_kernelINS0_14default_configENS1_22reduce_config_selectorIN6thrust23THRUST_200600_302600_NS5tupleIblNS6_9null_typeES8_S8_S8_S8_S8_S8_S8_EEEEZNS1_11reduce_implILb1ES3_NS6_12zip_iteratorINS7_INS6_11hip_rocprim26transform_input_iterator_tIbNSD_35transform_pair_of_input_iterators_tIbNS6_6detail15normal_iteratorINS6_10device_ptrIKfEEEESL_NS6_8equal_toIfEEEENSG_9not_fun_tINSD_8identityEEEEENSD_19counting_iterator_tIlEES8_S8_S8_S8_S8_S8_S8_S8_EEEEPS9_S9_NSD_9__find_if7functorIS9_EEEE10hipError_tPvRmT1_T2_T3_mT4_P12ihipStream_tbEUlT_E0_NS1_11comp_targetILNS1_3genE3ELNS1_11target_archE908ELNS1_3gpuE7ELNS1_3repE0EEENS1_30default_config_static_selectorELNS0_4arch9wavefront6targetE1EEEvS14_
    .private_segment_fixed_size: 0
    .sgpr_count:     6
    .sgpr_spill_count: 0
    .symbol:         _ZN7rocprim17ROCPRIM_400000_NS6detail17trampoline_kernelINS0_14default_configENS1_22reduce_config_selectorIN6thrust23THRUST_200600_302600_NS5tupleIblNS6_9null_typeES8_S8_S8_S8_S8_S8_S8_EEEEZNS1_11reduce_implILb1ES3_NS6_12zip_iteratorINS7_INS6_11hip_rocprim26transform_input_iterator_tIbNSD_35transform_pair_of_input_iterators_tIbNS6_6detail15normal_iteratorINS6_10device_ptrIKfEEEESL_NS6_8equal_toIfEEEENSG_9not_fun_tINSD_8identityEEEEENSD_19counting_iterator_tIlEES8_S8_S8_S8_S8_S8_S8_S8_EEEEPS9_S9_NSD_9__find_if7functorIS9_EEEE10hipError_tPvRmT1_T2_T3_mT4_P12ihipStream_tbEUlT_E0_NS1_11comp_targetILNS1_3genE3ELNS1_11target_archE908ELNS1_3gpuE7ELNS1_3repE0EEENS1_30default_config_static_selectorELNS0_4arch9wavefront6targetE1EEEvS14_.kd
    .uniform_work_group_size: 1
    .uses_dynamic_stack: false
    .vgpr_count:     0
    .vgpr_spill_count: 0
    .wavefront_size: 64
  - .agpr_count:     0
    .args:
      - .offset:         0
        .size:           104
        .value_kind:     by_value
    .group_segment_fixed_size: 0
    .kernarg_segment_align: 8
    .kernarg_segment_size: 104
    .language:       OpenCL C
    .language_version:
      - 2
      - 0
    .max_flat_workgroup_size: 128
    .name:           _ZN7rocprim17ROCPRIM_400000_NS6detail17trampoline_kernelINS0_14default_configENS1_22reduce_config_selectorIN6thrust23THRUST_200600_302600_NS5tupleIblNS6_9null_typeES8_S8_S8_S8_S8_S8_S8_EEEEZNS1_11reduce_implILb1ES3_NS6_12zip_iteratorINS7_INS6_11hip_rocprim26transform_input_iterator_tIbNSD_35transform_pair_of_input_iterators_tIbNS6_6detail15normal_iteratorINS6_10device_ptrIKfEEEESL_NS6_8equal_toIfEEEENSG_9not_fun_tINSD_8identityEEEEENSD_19counting_iterator_tIlEES8_S8_S8_S8_S8_S8_S8_S8_EEEEPS9_S9_NSD_9__find_if7functorIS9_EEEE10hipError_tPvRmT1_T2_T3_mT4_P12ihipStream_tbEUlT_E0_NS1_11comp_targetILNS1_3genE2ELNS1_11target_archE906ELNS1_3gpuE6ELNS1_3repE0EEENS1_30default_config_static_selectorELNS0_4arch9wavefront6targetE1EEEvS14_
    .private_segment_fixed_size: 0
    .sgpr_count:     6
    .sgpr_spill_count: 0
    .symbol:         _ZN7rocprim17ROCPRIM_400000_NS6detail17trampoline_kernelINS0_14default_configENS1_22reduce_config_selectorIN6thrust23THRUST_200600_302600_NS5tupleIblNS6_9null_typeES8_S8_S8_S8_S8_S8_S8_EEEEZNS1_11reduce_implILb1ES3_NS6_12zip_iteratorINS7_INS6_11hip_rocprim26transform_input_iterator_tIbNSD_35transform_pair_of_input_iterators_tIbNS6_6detail15normal_iteratorINS6_10device_ptrIKfEEEESL_NS6_8equal_toIfEEEENSG_9not_fun_tINSD_8identityEEEEENSD_19counting_iterator_tIlEES8_S8_S8_S8_S8_S8_S8_S8_EEEEPS9_S9_NSD_9__find_if7functorIS9_EEEE10hipError_tPvRmT1_T2_T3_mT4_P12ihipStream_tbEUlT_E0_NS1_11comp_targetILNS1_3genE2ELNS1_11target_archE906ELNS1_3gpuE6ELNS1_3repE0EEENS1_30default_config_static_selectorELNS0_4arch9wavefront6targetE1EEEvS14_.kd
    .uniform_work_group_size: 1
    .uses_dynamic_stack: false
    .vgpr_count:     0
    .vgpr_spill_count: 0
    .wavefront_size: 64
  - .agpr_count:     0
    .args:
      - .offset:         0
        .size:           104
        .value_kind:     by_value
    .group_segment_fixed_size: 0
    .kernarg_segment_align: 8
    .kernarg_segment_size: 104
    .language:       OpenCL C
    .language_version:
      - 2
      - 0
    .max_flat_workgroup_size: 256
    .name:           _ZN7rocprim17ROCPRIM_400000_NS6detail17trampoline_kernelINS0_14default_configENS1_22reduce_config_selectorIN6thrust23THRUST_200600_302600_NS5tupleIblNS6_9null_typeES8_S8_S8_S8_S8_S8_S8_EEEEZNS1_11reduce_implILb1ES3_NS6_12zip_iteratorINS7_INS6_11hip_rocprim26transform_input_iterator_tIbNSD_35transform_pair_of_input_iterators_tIbNS6_6detail15normal_iteratorINS6_10device_ptrIKfEEEESL_NS6_8equal_toIfEEEENSG_9not_fun_tINSD_8identityEEEEENSD_19counting_iterator_tIlEES8_S8_S8_S8_S8_S8_S8_S8_EEEEPS9_S9_NSD_9__find_if7functorIS9_EEEE10hipError_tPvRmT1_T2_T3_mT4_P12ihipStream_tbEUlT_E0_NS1_11comp_targetILNS1_3genE10ELNS1_11target_archE1201ELNS1_3gpuE5ELNS1_3repE0EEENS1_30default_config_static_selectorELNS0_4arch9wavefront6targetE1EEEvS14_
    .private_segment_fixed_size: 0
    .sgpr_count:     6
    .sgpr_spill_count: 0
    .symbol:         _ZN7rocprim17ROCPRIM_400000_NS6detail17trampoline_kernelINS0_14default_configENS1_22reduce_config_selectorIN6thrust23THRUST_200600_302600_NS5tupleIblNS6_9null_typeES8_S8_S8_S8_S8_S8_S8_EEEEZNS1_11reduce_implILb1ES3_NS6_12zip_iteratorINS7_INS6_11hip_rocprim26transform_input_iterator_tIbNSD_35transform_pair_of_input_iterators_tIbNS6_6detail15normal_iteratorINS6_10device_ptrIKfEEEESL_NS6_8equal_toIfEEEENSG_9not_fun_tINSD_8identityEEEEENSD_19counting_iterator_tIlEES8_S8_S8_S8_S8_S8_S8_S8_EEEEPS9_S9_NSD_9__find_if7functorIS9_EEEE10hipError_tPvRmT1_T2_T3_mT4_P12ihipStream_tbEUlT_E0_NS1_11comp_targetILNS1_3genE10ELNS1_11target_archE1201ELNS1_3gpuE5ELNS1_3repE0EEENS1_30default_config_static_selectorELNS0_4arch9wavefront6targetE1EEEvS14_.kd
    .uniform_work_group_size: 1
    .uses_dynamic_stack: false
    .vgpr_count:     0
    .vgpr_spill_count: 0
    .wavefront_size: 64
  - .agpr_count:     0
    .args:
      - .offset:         0
        .size:           104
        .value_kind:     by_value
    .group_segment_fixed_size: 0
    .kernarg_segment_align: 8
    .kernarg_segment_size: 104
    .language:       OpenCL C
    .language_version:
      - 2
      - 0
    .max_flat_workgroup_size: 256
    .name:           _ZN7rocprim17ROCPRIM_400000_NS6detail17trampoline_kernelINS0_14default_configENS1_22reduce_config_selectorIN6thrust23THRUST_200600_302600_NS5tupleIblNS6_9null_typeES8_S8_S8_S8_S8_S8_S8_EEEEZNS1_11reduce_implILb1ES3_NS6_12zip_iteratorINS7_INS6_11hip_rocprim26transform_input_iterator_tIbNSD_35transform_pair_of_input_iterators_tIbNS6_6detail15normal_iteratorINS6_10device_ptrIKfEEEESL_NS6_8equal_toIfEEEENSG_9not_fun_tINSD_8identityEEEEENSD_19counting_iterator_tIlEES8_S8_S8_S8_S8_S8_S8_S8_EEEEPS9_S9_NSD_9__find_if7functorIS9_EEEE10hipError_tPvRmT1_T2_T3_mT4_P12ihipStream_tbEUlT_E0_NS1_11comp_targetILNS1_3genE10ELNS1_11target_archE1200ELNS1_3gpuE4ELNS1_3repE0EEENS1_30default_config_static_selectorELNS0_4arch9wavefront6targetE1EEEvS14_
    .private_segment_fixed_size: 0
    .sgpr_count:     6
    .sgpr_spill_count: 0
    .symbol:         _ZN7rocprim17ROCPRIM_400000_NS6detail17trampoline_kernelINS0_14default_configENS1_22reduce_config_selectorIN6thrust23THRUST_200600_302600_NS5tupleIblNS6_9null_typeES8_S8_S8_S8_S8_S8_S8_EEEEZNS1_11reduce_implILb1ES3_NS6_12zip_iteratorINS7_INS6_11hip_rocprim26transform_input_iterator_tIbNSD_35transform_pair_of_input_iterators_tIbNS6_6detail15normal_iteratorINS6_10device_ptrIKfEEEESL_NS6_8equal_toIfEEEENSG_9not_fun_tINSD_8identityEEEEENSD_19counting_iterator_tIlEES8_S8_S8_S8_S8_S8_S8_S8_EEEEPS9_S9_NSD_9__find_if7functorIS9_EEEE10hipError_tPvRmT1_T2_T3_mT4_P12ihipStream_tbEUlT_E0_NS1_11comp_targetILNS1_3genE10ELNS1_11target_archE1200ELNS1_3gpuE4ELNS1_3repE0EEENS1_30default_config_static_selectorELNS0_4arch9wavefront6targetE1EEEvS14_.kd
    .uniform_work_group_size: 1
    .uses_dynamic_stack: false
    .vgpr_count:     0
    .vgpr_spill_count: 0
    .wavefront_size: 64
  - .agpr_count:     0
    .args:
      - .offset:         0
        .size:           104
        .value_kind:     by_value
    .group_segment_fixed_size: 0
    .kernarg_segment_align: 8
    .kernarg_segment_size: 104
    .language:       OpenCL C
    .language_version:
      - 2
      - 0
    .max_flat_workgroup_size: 256
    .name:           _ZN7rocprim17ROCPRIM_400000_NS6detail17trampoline_kernelINS0_14default_configENS1_22reduce_config_selectorIN6thrust23THRUST_200600_302600_NS5tupleIblNS6_9null_typeES8_S8_S8_S8_S8_S8_S8_EEEEZNS1_11reduce_implILb1ES3_NS6_12zip_iteratorINS7_INS6_11hip_rocprim26transform_input_iterator_tIbNSD_35transform_pair_of_input_iterators_tIbNS6_6detail15normal_iteratorINS6_10device_ptrIKfEEEESL_NS6_8equal_toIfEEEENSG_9not_fun_tINSD_8identityEEEEENSD_19counting_iterator_tIlEES8_S8_S8_S8_S8_S8_S8_S8_EEEEPS9_S9_NSD_9__find_if7functorIS9_EEEE10hipError_tPvRmT1_T2_T3_mT4_P12ihipStream_tbEUlT_E0_NS1_11comp_targetILNS1_3genE9ELNS1_11target_archE1100ELNS1_3gpuE3ELNS1_3repE0EEENS1_30default_config_static_selectorELNS0_4arch9wavefront6targetE1EEEvS14_
    .private_segment_fixed_size: 0
    .sgpr_count:     6
    .sgpr_spill_count: 0
    .symbol:         _ZN7rocprim17ROCPRIM_400000_NS6detail17trampoline_kernelINS0_14default_configENS1_22reduce_config_selectorIN6thrust23THRUST_200600_302600_NS5tupleIblNS6_9null_typeES8_S8_S8_S8_S8_S8_S8_EEEEZNS1_11reduce_implILb1ES3_NS6_12zip_iteratorINS7_INS6_11hip_rocprim26transform_input_iterator_tIbNSD_35transform_pair_of_input_iterators_tIbNS6_6detail15normal_iteratorINS6_10device_ptrIKfEEEESL_NS6_8equal_toIfEEEENSG_9not_fun_tINSD_8identityEEEEENSD_19counting_iterator_tIlEES8_S8_S8_S8_S8_S8_S8_S8_EEEEPS9_S9_NSD_9__find_if7functorIS9_EEEE10hipError_tPvRmT1_T2_T3_mT4_P12ihipStream_tbEUlT_E0_NS1_11comp_targetILNS1_3genE9ELNS1_11target_archE1100ELNS1_3gpuE3ELNS1_3repE0EEENS1_30default_config_static_selectorELNS0_4arch9wavefront6targetE1EEEvS14_.kd
    .uniform_work_group_size: 1
    .uses_dynamic_stack: false
    .vgpr_count:     0
    .vgpr_spill_count: 0
    .wavefront_size: 64
  - .agpr_count:     0
    .args:
      - .offset:         0
        .size:           104
        .value_kind:     by_value
    .group_segment_fixed_size: 0
    .kernarg_segment_align: 8
    .kernarg_segment_size: 104
    .language:       OpenCL C
    .language_version:
      - 2
      - 0
    .max_flat_workgroup_size: 256
    .name:           _ZN7rocprim17ROCPRIM_400000_NS6detail17trampoline_kernelINS0_14default_configENS1_22reduce_config_selectorIN6thrust23THRUST_200600_302600_NS5tupleIblNS6_9null_typeES8_S8_S8_S8_S8_S8_S8_EEEEZNS1_11reduce_implILb1ES3_NS6_12zip_iteratorINS7_INS6_11hip_rocprim26transform_input_iterator_tIbNSD_35transform_pair_of_input_iterators_tIbNS6_6detail15normal_iteratorINS6_10device_ptrIKfEEEESL_NS6_8equal_toIfEEEENSG_9not_fun_tINSD_8identityEEEEENSD_19counting_iterator_tIlEES8_S8_S8_S8_S8_S8_S8_S8_EEEEPS9_S9_NSD_9__find_if7functorIS9_EEEE10hipError_tPvRmT1_T2_T3_mT4_P12ihipStream_tbEUlT_E0_NS1_11comp_targetILNS1_3genE8ELNS1_11target_archE1030ELNS1_3gpuE2ELNS1_3repE0EEENS1_30default_config_static_selectorELNS0_4arch9wavefront6targetE1EEEvS14_
    .private_segment_fixed_size: 0
    .sgpr_count:     6
    .sgpr_spill_count: 0
    .symbol:         _ZN7rocprim17ROCPRIM_400000_NS6detail17trampoline_kernelINS0_14default_configENS1_22reduce_config_selectorIN6thrust23THRUST_200600_302600_NS5tupleIblNS6_9null_typeES8_S8_S8_S8_S8_S8_S8_EEEEZNS1_11reduce_implILb1ES3_NS6_12zip_iteratorINS7_INS6_11hip_rocprim26transform_input_iterator_tIbNSD_35transform_pair_of_input_iterators_tIbNS6_6detail15normal_iteratorINS6_10device_ptrIKfEEEESL_NS6_8equal_toIfEEEENSG_9not_fun_tINSD_8identityEEEEENSD_19counting_iterator_tIlEES8_S8_S8_S8_S8_S8_S8_S8_EEEEPS9_S9_NSD_9__find_if7functorIS9_EEEE10hipError_tPvRmT1_T2_T3_mT4_P12ihipStream_tbEUlT_E0_NS1_11comp_targetILNS1_3genE8ELNS1_11target_archE1030ELNS1_3gpuE2ELNS1_3repE0EEENS1_30default_config_static_selectorELNS0_4arch9wavefront6targetE1EEEvS14_.kd
    .uniform_work_group_size: 1
    .uses_dynamic_stack: false
    .vgpr_count:     0
    .vgpr_spill_count: 0
    .wavefront_size: 64
  - .agpr_count:     0
    .args:
      - .offset:         0
        .size:           88
        .value_kind:     by_value
    .group_segment_fixed_size: 160
    .kernarg_segment_align: 8
    .kernarg_segment_size: 88
    .language:       OpenCL C
    .language_version:
      - 2
      - 0
    .max_flat_workgroup_size: 128
    .name:           _ZN7rocprim17ROCPRIM_400000_NS6detail17trampoline_kernelINS0_14default_configENS1_22reduce_config_selectorIN6thrust23THRUST_200600_302600_NS5tupleIblNS6_9null_typeES8_S8_S8_S8_S8_S8_S8_EEEEZNS1_11reduce_implILb1ES3_NS6_12zip_iteratorINS7_INS6_11hip_rocprim26transform_input_iterator_tIbNSD_35transform_pair_of_input_iterators_tIbNS6_6detail15normal_iteratorINS6_10device_ptrIKfEEEESL_NS6_8equal_toIfEEEENSG_9not_fun_tINSD_8identityEEEEENSD_19counting_iterator_tIlEES8_S8_S8_S8_S8_S8_S8_S8_EEEEPS9_S9_NSD_9__find_if7functorIS9_EEEE10hipError_tPvRmT1_T2_T3_mT4_P12ihipStream_tbEUlT_E1_NS1_11comp_targetILNS1_3genE0ELNS1_11target_archE4294967295ELNS1_3gpuE0ELNS1_3repE0EEENS1_30default_config_static_selectorELNS0_4arch9wavefront6targetE1EEEvS14_
    .private_segment_fixed_size: 0
    .sgpr_count:     48
    .sgpr_spill_count: 0
    .symbol:         _ZN7rocprim17ROCPRIM_400000_NS6detail17trampoline_kernelINS0_14default_configENS1_22reduce_config_selectorIN6thrust23THRUST_200600_302600_NS5tupleIblNS6_9null_typeES8_S8_S8_S8_S8_S8_S8_EEEEZNS1_11reduce_implILb1ES3_NS6_12zip_iteratorINS7_INS6_11hip_rocprim26transform_input_iterator_tIbNSD_35transform_pair_of_input_iterators_tIbNS6_6detail15normal_iteratorINS6_10device_ptrIKfEEEESL_NS6_8equal_toIfEEEENSG_9not_fun_tINSD_8identityEEEEENSD_19counting_iterator_tIlEES8_S8_S8_S8_S8_S8_S8_S8_EEEEPS9_S9_NSD_9__find_if7functorIS9_EEEE10hipError_tPvRmT1_T2_T3_mT4_P12ihipStream_tbEUlT_E1_NS1_11comp_targetILNS1_3genE0ELNS1_11target_archE4294967295ELNS1_3gpuE0ELNS1_3repE0EEENS1_30default_config_static_selectorELNS0_4arch9wavefront6targetE1EEEvS14_.kd
    .uniform_work_group_size: 1
    .uses_dynamic_stack: false
    .vgpr_count:     29
    .vgpr_spill_count: 0
    .wavefront_size: 64
  - .agpr_count:     0
    .args:
      - .offset:         0
        .size:           88
        .value_kind:     by_value
    .group_segment_fixed_size: 0
    .kernarg_segment_align: 8
    .kernarg_segment_size: 88
    .language:       OpenCL C
    .language_version:
      - 2
      - 0
    .max_flat_workgroup_size: 256
    .name:           _ZN7rocprim17ROCPRIM_400000_NS6detail17trampoline_kernelINS0_14default_configENS1_22reduce_config_selectorIN6thrust23THRUST_200600_302600_NS5tupleIblNS6_9null_typeES8_S8_S8_S8_S8_S8_S8_EEEEZNS1_11reduce_implILb1ES3_NS6_12zip_iteratorINS7_INS6_11hip_rocprim26transform_input_iterator_tIbNSD_35transform_pair_of_input_iterators_tIbNS6_6detail15normal_iteratorINS6_10device_ptrIKfEEEESL_NS6_8equal_toIfEEEENSG_9not_fun_tINSD_8identityEEEEENSD_19counting_iterator_tIlEES8_S8_S8_S8_S8_S8_S8_S8_EEEEPS9_S9_NSD_9__find_if7functorIS9_EEEE10hipError_tPvRmT1_T2_T3_mT4_P12ihipStream_tbEUlT_E1_NS1_11comp_targetILNS1_3genE5ELNS1_11target_archE942ELNS1_3gpuE9ELNS1_3repE0EEENS1_30default_config_static_selectorELNS0_4arch9wavefront6targetE1EEEvS14_
    .private_segment_fixed_size: 0
    .sgpr_count:     6
    .sgpr_spill_count: 0
    .symbol:         _ZN7rocprim17ROCPRIM_400000_NS6detail17trampoline_kernelINS0_14default_configENS1_22reduce_config_selectorIN6thrust23THRUST_200600_302600_NS5tupleIblNS6_9null_typeES8_S8_S8_S8_S8_S8_S8_EEEEZNS1_11reduce_implILb1ES3_NS6_12zip_iteratorINS7_INS6_11hip_rocprim26transform_input_iterator_tIbNSD_35transform_pair_of_input_iterators_tIbNS6_6detail15normal_iteratorINS6_10device_ptrIKfEEEESL_NS6_8equal_toIfEEEENSG_9not_fun_tINSD_8identityEEEEENSD_19counting_iterator_tIlEES8_S8_S8_S8_S8_S8_S8_S8_EEEEPS9_S9_NSD_9__find_if7functorIS9_EEEE10hipError_tPvRmT1_T2_T3_mT4_P12ihipStream_tbEUlT_E1_NS1_11comp_targetILNS1_3genE5ELNS1_11target_archE942ELNS1_3gpuE9ELNS1_3repE0EEENS1_30default_config_static_selectorELNS0_4arch9wavefront6targetE1EEEvS14_.kd
    .uniform_work_group_size: 1
    .uses_dynamic_stack: false
    .vgpr_count:     0
    .vgpr_spill_count: 0
    .wavefront_size: 64
  - .agpr_count:     0
    .args:
      - .offset:         0
        .size:           88
        .value_kind:     by_value
    .group_segment_fixed_size: 0
    .kernarg_segment_align: 8
    .kernarg_segment_size: 88
    .language:       OpenCL C
    .language_version:
      - 2
      - 0
    .max_flat_workgroup_size: 256
    .name:           _ZN7rocprim17ROCPRIM_400000_NS6detail17trampoline_kernelINS0_14default_configENS1_22reduce_config_selectorIN6thrust23THRUST_200600_302600_NS5tupleIblNS6_9null_typeES8_S8_S8_S8_S8_S8_S8_EEEEZNS1_11reduce_implILb1ES3_NS6_12zip_iteratorINS7_INS6_11hip_rocprim26transform_input_iterator_tIbNSD_35transform_pair_of_input_iterators_tIbNS6_6detail15normal_iteratorINS6_10device_ptrIKfEEEESL_NS6_8equal_toIfEEEENSG_9not_fun_tINSD_8identityEEEEENSD_19counting_iterator_tIlEES8_S8_S8_S8_S8_S8_S8_S8_EEEEPS9_S9_NSD_9__find_if7functorIS9_EEEE10hipError_tPvRmT1_T2_T3_mT4_P12ihipStream_tbEUlT_E1_NS1_11comp_targetILNS1_3genE4ELNS1_11target_archE910ELNS1_3gpuE8ELNS1_3repE0EEENS1_30default_config_static_selectorELNS0_4arch9wavefront6targetE1EEEvS14_
    .private_segment_fixed_size: 0
    .sgpr_count:     6
    .sgpr_spill_count: 0
    .symbol:         _ZN7rocprim17ROCPRIM_400000_NS6detail17trampoline_kernelINS0_14default_configENS1_22reduce_config_selectorIN6thrust23THRUST_200600_302600_NS5tupleIblNS6_9null_typeES8_S8_S8_S8_S8_S8_S8_EEEEZNS1_11reduce_implILb1ES3_NS6_12zip_iteratorINS7_INS6_11hip_rocprim26transform_input_iterator_tIbNSD_35transform_pair_of_input_iterators_tIbNS6_6detail15normal_iteratorINS6_10device_ptrIKfEEEESL_NS6_8equal_toIfEEEENSG_9not_fun_tINSD_8identityEEEEENSD_19counting_iterator_tIlEES8_S8_S8_S8_S8_S8_S8_S8_EEEEPS9_S9_NSD_9__find_if7functorIS9_EEEE10hipError_tPvRmT1_T2_T3_mT4_P12ihipStream_tbEUlT_E1_NS1_11comp_targetILNS1_3genE4ELNS1_11target_archE910ELNS1_3gpuE8ELNS1_3repE0EEENS1_30default_config_static_selectorELNS0_4arch9wavefront6targetE1EEEvS14_.kd
    .uniform_work_group_size: 1
    .uses_dynamic_stack: false
    .vgpr_count:     0
    .vgpr_spill_count: 0
    .wavefront_size: 64
  - .agpr_count:     0
    .args:
      - .offset:         0
        .size:           88
        .value_kind:     by_value
    .group_segment_fixed_size: 0
    .kernarg_segment_align: 8
    .kernarg_segment_size: 88
    .language:       OpenCL C
    .language_version:
      - 2
      - 0
    .max_flat_workgroup_size: 128
    .name:           _ZN7rocprim17ROCPRIM_400000_NS6detail17trampoline_kernelINS0_14default_configENS1_22reduce_config_selectorIN6thrust23THRUST_200600_302600_NS5tupleIblNS6_9null_typeES8_S8_S8_S8_S8_S8_S8_EEEEZNS1_11reduce_implILb1ES3_NS6_12zip_iteratorINS7_INS6_11hip_rocprim26transform_input_iterator_tIbNSD_35transform_pair_of_input_iterators_tIbNS6_6detail15normal_iteratorINS6_10device_ptrIKfEEEESL_NS6_8equal_toIfEEEENSG_9not_fun_tINSD_8identityEEEEENSD_19counting_iterator_tIlEES8_S8_S8_S8_S8_S8_S8_S8_EEEEPS9_S9_NSD_9__find_if7functorIS9_EEEE10hipError_tPvRmT1_T2_T3_mT4_P12ihipStream_tbEUlT_E1_NS1_11comp_targetILNS1_3genE3ELNS1_11target_archE908ELNS1_3gpuE7ELNS1_3repE0EEENS1_30default_config_static_selectorELNS0_4arch9wavefront6targetE1EEEvS14_
    .private_segment_fixed_size: 0
    .sgpr_count:     6
    .sgpr_spill_count: 0
    .symbol:         _ZN7rocprim17ROCPRIM_400000_NS6detail17trampoline_kernelINS0_14default_configENS1_22reduce_config_selectorIN6thrust23THRUST_200600_302600_NS5tupleIblNS6_9null_typeES8_S8_S8_S8_S8_S8_S8_EEEEZNS1_11reduce_implILb1ES3_NS6_12zip_iteratorINS7_INS6_11hip_rocprim26transform_input_iterator_tIbNSD_35transform_pair_of_input_iterators_tIbNS6_6detail15normal_iteratorINS6_10device_ptrIKfEEEESL_NS6_8equal_toIfEEEENSG_9not_fun_tINSD_8identityEEEEENSD_19counting_iterator_tIlEES8_S8_S8_S8_S8_S8_S8_S8_EEEEPS9_S9_NSD_9__find_if7functorIS9_EEEE10hipError_tPvRmT1_T2_T3_mT4_P12ihipStream_tbEUlT_E1_NS1_11comp_targetILNS1_3genE3ELNS1_11target_archE908ELNS1_3gpuE7ELNS1_3repE0EEENS1_30default_config_static_selectorELNS0_4arch9wavefront6targetE1EEEvS14_.kd
    .uniform_work_group_size: 1
    .uses_dynamic_stack: false
    .vgpr_count:     0
    .vgpr_spill_count: 0
    .wavefront_size: 64
  - .agpr_count:     0
    .args:
      - .offset:         0
        .size:           88
        .value_kind:     by_value
    .group_segment_fixed_size: 0
    .kernarg_segment_align: 8
    .kernarg_segment_size: 88
    .language:       OpenCL C
    .language_version:
      - 2
      - 0
    .max_flat_workgroup_size: 128
    .name:           _ZN7rocprim17ROCPRIM_400000_NS6detail17trampoline_kernelINS0_14default_configENS1_22reduce_config_selectorIN6thrust23THRUST_200600_302600_NS5tupleIblNS6_9null_typeES8_S8_S8_S8_S8_S8_S8_EEEEZNS1_11reduce_implILb1ES3_NS6_12zip_iteratorINS7_INS6_11hip_rocprim26transform_input_iterator_tIbNSD_35transform_pair_of_input_iterators_tIbNS6_6detail15normal_iteratorINS6_10device_ptrIKfEEEESL_NS6_8equal_toIfEEEENSG_9not_fun_tINSD_8identityEEEEENSD_19counting_iterator_tIlEES8_S8_S8_S8_S8_S8_S8_S8_EEEEPS9_S9_NSD_9__find_if7functorIS9_EEEE10hipError_tPvRmT1_T2_T3_mT4_P12ihipStream_tbEUlT_E1_NS1_11comp_targetILNS1_3genE2ELNS1_11target_archE906ELNS1_3gpuE6ELNS1_3repE0EEENS1_30default_config_static_selectorELNS0_4arch9wavefront6targetE1EEEvS14_
    .private_segment_fixed_size: 0
    .sgpr_count:     6
    .sgpr_spill_count: 0
    .symbol:         _ZN7rocprim17ROCPRIM_400000_NS6detail17trampoline_kernelINS0_14default_configENS1_22reduce_config_selectorIN6thrust23THRUST_200600_302600_NS5tupleIblNS6_9null_typeES8_S8_S8_S8_S8_S8_S8_EEEEZNS1_11reduce_implILb1ES3_NS6_12zip_iteratorINS7_INS6_11hip_rocprim26transform_input_iterator_tIbNSD_35transform_pair_of_input_iterators_tIbNS6_6detail15normal_iteratorINS6_10device_ptrIKfEEEESL_NS6_8equal_toIfEEEENSG_9not_fun_tINSD_8identityEEEEENSD_19counting_iterator_tIlEES8_S8_S8_S8_S8_S8_S8_S8_EEEEPS9_S9_NSD_9__find_if7functorIS9_EEEE10hipError_tPvRmT1_T2_T3_mT4_P12ihipStream_tbEUlT_E1_NS1_11comp_targetILNS1_3genE2ELNS1_11target_archE906ELNS1_3gpuE6ELNS1_3repE0EEENS1_30default_config_static_selectorELNS0_4arch9wavefront6targetE1EEEvS14_.kd
    .uniform_work_group_size: 1
    .uses_dynamic_stack: false
    .vgpr_count:     0
    .vgpr_spill_count: 0
    .wavefront_size: 64
  - .agpr_count:     0
    .args:
      - .offset:         0
        .size:           88
        .value_kind:     by_value
    .group_segment_fixed_size: 0
    .kernarg_segment_align: 8
    .kernarg_segment_size: 88
    .language:       OpenCL C
    .language_version:
      - 2
      - 0
    .max_flat_workgroup_size: 256
    .name:           _ZN7rocprim17ROCPRIM_400000_NS6detail17trampoline_kernelINS0_14default_configENS1_22reduce_config_selectorIN6thrust23THRUST_200600_302600_NS5tupleIblNS6_9null_typeES8_S8_S8_S8_S8_S8_S8_EEEEZNS1_11reduce_implILb1ES3_NS6_12zip_iteratorINS7_INS6_11hip_rocprim26transform_input_iterator_tIbNSD_35transform_pair_of_input_iterators_tIbNS6_6detail15normal_iteratorINS6_10device_ptrIKfEEEESL_NS6_8equal_toIfEEEENSG_9not_fun_tINSD_8identityEEEEENSD_19counting_iterator_tIlEES8_S8_S8_S8_S8_S8_S8_S8_EEEEPS9_S9_NSD_9__find_if7functorIS9_EEEE10hipError_tPvRmT1_T2_T3_mT4_P12ihipStream_tbEUlT_E1_NS1_11comp_targetILNS1_3genE10ELNS1_11target_archE1201ELNS1_3gpuE5ELNS1_3repE0EEENS1_30default_config_static_selectorELNS0_4arch9wavefront6targetE1EEEvS14_
    .private_segment_fixed_size: 0
    .sgpr_count:     6
    .sgpr_spill_count: 0
    .symbol:         _ZN7rocprim17ROCPRIM_400000_NS6detail17trampoline_kernelINS0_14default_configENS1_22reduce_config_selectorIN6thrust23THRUST_200600_302600_NS5tupleIblNS6_9null_typeES8_S8_S8_S8_S8_S8_S8_EEEEZNS1_11reduce_implILb1ES3_NS6_12zip_iteratorINS7_INS6_11hip_rocprim26transform_input_iterator_tIbNSD_35transform_pair_of_input_iterators_tIbNS6_6detail15normal_iteratorINS6_10device_ptrIKfEEEESL_NS6_8equal_toIfEEEENSG_9not_fun_tINSD_8identityEEEEENSD_19counting_iterator_tIlEES8_S8_S8_S8_S8_S8_S8_S8_EEEEPS9_S9_NSD_9__find_if7functorIS9_EEEE10hipError_tPvRmT1_T2_T3_mT4_P12ihipStream_tbEUlT_E1_NS1_11comp_targetILNS1_3genE10ELNS1_11target_archE1201ELNS1_3gpuE5ELNS1_3repE0EEENS1_30default_config_static_selectorELNS0_4arch9wavefront6targetE1EEEvS14_.kd
    .uniform_work_group_size: 1
    .uses_dynamic_stack: false
    .vgpr_count:     0
    .vgpr_spill_count: 0
    .wavefront_size: 64
  - .agpr_count:     0
    .args:
      - .offset:         0
        .size:           88
        .value_kind:     by_value
    .group_segment_fixed_size: 0
    .kernarg_segment_align: 8
    .kernarg_segment_size: 88
    .language:       OpenCL C
    .language_version:
      - 2
      - 0
    .max_flat_workgroup_size: 256
    .name:           _ZN7rocprim17ROCPRIM_400000_NS6detail17trampoline_kernelINS0_14default_configENS1_22reduce_config_selectorIN6thrust23THRUST_200600_302600_NS5tupleIblNS6_9null_typeES8_S8_S8_S8_S8_S8_S8_EEEEZNS1_11reduce_implILb1ES3_NS6_12zip_iteratorINS7_INS6_11hip_rocprim26transform_input_iterator_tIbNSD_35transform_pair_of_input_iterators_tIbNS6_6detail15normal_iteratorINS6_10device_ptrIKfEEEESL_NS6_8equal_toIfEEEENSG_9not_fun_tINSD_8identityEEEEENSD_19counting_iterator_tIlEES8_S8_S8_S8_S8_S8_S8_S8_EEEEPS9_S9_NSD_9__find_if7functorIS9_EEEE10hipError_tPvRmT1_T2_T3_mT4_P12ihipStream_tbEUlT_E1_NS1_11comp_targetILNS1_3genE10ELNS1_11target_archE1200ELNS1_3gpuE4ELNS1_3repE0EEENS1_30default_config_static_selectorELNS0_4arch9wavefront6targetE1EEEvS14_
    .private_segment_fixed_size: 0
    .sgpr_count:     6
    .sgpr_spill_count: 0
    .symbol:         _ZN7rocprim17ROCPRIM_400000_NS6detail17trampoline_kernelINS0_14default_configENS1_22reduce_config_selectorIN6thrust23THRUST_200600_302600_NS5tupleIblNS6_9null_typeES8_S8_S8_S8_S8_S8_S8_EEEEZNS1_11reduce_implILb1ES3_NS6_12zip_iteratorINS7_INS6_11hip_rocprim26transform_input_iterator_tIbNSD_35transform_pair_of_input_iterators_tIbNS6_6detail15normal_iteratorINS6_10device_ptrIKfEEEESL_NS6_8equal_toIfEEEENSG_9not_fun_tINSD_8identityEEEEENSD_19counting_iterator_tIlEES8_S8_S8_S8_S8_S8_S8_S8_EEEEPS9_S9_NSD_9__find_if7functorIS9_EEEE10hipError_tPvRmT1_T2_T3_mT4_P12ihipStream_tbEUlT_E1_NS1_11comp_targetILNS1_3genE10ELNS1_11target_archE1200ELNS1_3gpuE4ELNS1_3repE0EEENS1_30default_config_static_selectorELNS0_4arch9wavefront6targetE1EEEvS14_.kd
    .uniform_work_group_size: 1
    .uses_dynamic_stack: false
    .vgpr_count:     0
    .vgpr_spill_count: 0
    .wavefront_size: 64
  - .agpr_count:     0
    .args:
      - .offset:         0
        .size:           88
        .value_kind:     by_value
    .group_segment_fixed_size: 0
    .kernarg_segment_align: 8
    .kernarg_segment_size: 88
    .language:       OpenCL C
    .language_version:
      - 2
      - 0
    .max_flat_workgroup_size: 256
    .name:           _ZN7rocprim17ROCPRIM_400000_NS6detail17trampoline_kernelINS0_14default_configENS1_22reduce_config_selectorIN6thrust23THRUST_200600_302600_NS5tupleIblNS6_9null_typeES8_S8_S8_S8_S8_S8_S8_EEEEZNS1_11reduce_implILb1ES3_NS6_12zip_iteratorINS7_INS6_11hip_rocprim26transform_input_iterator_tIbNSD_35transform_pair_of_input_iterators_tIbNS6_6detail15normal_iteratorINS6_10device_ptrIKfEEEESL_NS6_8equal_toIfEEEENSG_9not_fun_tINSD_8identityEEEEENSD_19counting_iterator_tIlEES8_S8_S8_S8_S8_S8_S8_S8_EEEEPS9_S9_NSD_9__find_if7functorIS9_EEEE10hipError_tPvRmT1_T2_T3_mT4_P12ihipStream_tbEUlT_E1_NS1_11comp_targetILNS1_3genE9ELNS1_11target_archE1100ELNS1_3gpuE3ELNS1_3repE0EEENS1_30default_config_static_selectorELNS0_4arch9wavefront6targetE1EEEvS14_
    .private_segment_fixed_size: 0
    .sgpr_count:     6
    .sgpr_spill_count: 0
    .symbol:         _ZN7rocprim17ROCPRIM_400000_NS6detail17trampoline_kernelINS0_14default_configENS1_22reduce_config_selectorIN6thrust23THRUST_200600_302600_NS5tupleIblNS6_9null_typeES8_S8_S8_S8_S8_S8_S8_EEEEZNS1_11reduce_implILb1ES3_NS6_12zip_iteratorINS7_INS6_11hip_rocprim26transform_input_iterator_tIbNSD_35transform_pair_of_input_iterators_tIbNS6_6detail15normal_iteratorINS6_10device_ptrIKfEEEESL_NS6_8equal_toIfEEEENSG_9not_fun_tINSD_8identityEEEEENSD_19counting_iterator_tIlEES8_S8_S8_S8_S8_S8_S8_S8_EEEEPS9_S9_NSD_9__find_if7functorIS9_EEEE10hipError_tPvRmT1_T2_T3_mT4_P12ihipStream_tbEUlT_E1_NS1_11comp_targetILNS1_3genE9ELNS1_11target_archE1100ELNS1_3gpuE3ELNS1_3repE0EEENS1_30default_config_static_selectorELNS0_4arch9wavefront6targetE1EEEvS14_.kd
    .uniform_work_group_size: 1
    .uses_dynamic_stack: false
    .vgpr_count:     0
    .vgpr_spill_count: 0
    .wavefront_size: 64
  - .agpr_count:     0
    .args:
      - .offset:         0
        .size:           88
        .value_kind:     by_value
    .group_segment_fixed_size: 0
    .kernarg_segment_align: 8
    .kernarg_segment_size: 88
    .language:       OpenCL C
    .language_version:
      - 2
      - 0
    .max_flat_workgroup_size: 256
    .name:           _ZN7rocprim17ROCPRIM_400000_NS6detail17trampoline_kernelINS0_14default_configENS1_22reduce_config_selectorIN6thrust23THRUST_200600_302600_NS5tupleIblNS6_9null_typeES8_S8_S8_S8_S8_S8_S8_EEEEZNS1_11reduce_implILb1ES3_NS6_12zip_iteratorINS7_INS6_11hip_rocprim26transform_input_iterator_tIbNSD_35transform_pair_of_input_iterators_tIbNS6_6detail15normal_iteratorINS6_10device_ptrIKfEEEESL_NS6_8equal_toIfEEEENSG_9not_fun_tINSD_8identityEEEEENSD_19counting_iterator_tIlEES8_S8_S8_S8_S8_S8_S8_S8_EEEEPS9_S9_NSD_9__find_if7functorIS9_EEEE10hipError_tPvRmT1_T2_T3_mT4_P12ihipStream_tbEUlT_E1_NS1_11comp_targetILNS1_3genE8ELNS1_11target_archE1030ELNS1_3gpuE2ELNS1_3repE0EEENS1_30default_config_static_selectorELNS0_4arch9wavefront6targetE1EEEvS14_
    .private_segment_fixed_size: 0
    .sgpr_count:     6
    .sgpr_spill_count: 0
    .symbol:         _ZN7rocprim17ROCPRIM_400000_NS6detail17trampoline_kernelINS0_14default_configENS1_22reduce_config_selectorIN6thrust23THRUST_200600_302600_NS5tupleIblNS6_9null_typeES8_S8_S8_S8_S8_S8_S8_EEEEZNS1_11reduce_implILb1ES3_NS6_12zip_iteratorINS7_INS6_11hip_rocprim26transform_input_iterator_tIbNSD_35transform_pair_of_input_iterators_tIbNS6_6detail15normal_iteratorINS6_10device_ptrIKfEEEESL_NS6_8equal_toIfEEEENSG_9not_fun_tINSD_8identityEEEEENSD_19counting_iterator_tIlEES8_S8_S8_S8_S8_S8_S8_S8_EEEEPS9_S9_NSD_9__find_if7functorIS9_EEEE10hipError_tPvRmT1_T2_T3_mT4_P12ihipStream_tbEUlT_E1_NS1_11comp_targetILNS1_3genE8ELNS1_11target_archE1030ELNS1_3gpuE2ELNS1_3repE0EEENS1_30default_config_static_selectorELNS0_4arch9wavefront6targetE1EEEvS14_.kd
    .uniform_work_group_size: 1
    .uses_dynamic_stack: false
    .vgpr_count:     0
    .vgpr_spill_count: 0
    .wavefront_size: 64
  - .agpr_count:     0
    .args:
      - .offset:         0
        .size:           16
        .value_kind:     by_value
      - .offset:         16
        .size:           8
        .value_kind:     by_value
      - .offset:         24
        .size:           8
        .value_kind:     by_value
    .group_segment_fixed_size: 0
    .kernarg_segment_align: 8
    .kernarg_segment_size: 32
    .language:       OpenCL C
    .language_version:
      - 2
      - 0
    .max_flat_workgroup_size: 256
    .name:           _ZN6thrust23THRUST_200600_302600_NS11hip_rocprim14__parallel_for6kernelILj256ENS1_20__uninitialized_fill7functorINS0_10device_ptrIyEEyEEmLj1EEEvT0_T1_SA_
    .private_segment_fixed_size: 0
    .sgpr_count:     18
    .sgpr_spill_count: 0
    .symbol:         _ZN6thrust23THRUST_200600_302600_NS11hip_rocprim14__parallel_for6kernelILj256ENS1_20__uninitialized_fill7functorINS0_10device_ptrIyEEyEEmLj1EEEvT0_T1_SA_.kd
    .uniform_work_group_size: 1
    .uses_dynamic_stack: false
    .vgpr_count:     6
    .vgpr_spill_count: 0
    .wavefront_size: 64
  - .agpr_count:     0
    .args:
      - .offset:         0
        .size:           48
        .value_kind:     by_value
      - .offset:         48
        .size:           4
        .value_kind:     hidden_block_count_x
      - .offset:         52
        .size:           4
        .value_kind:     hidden_block_count_y
      - .offset:         56
        .size:           4
        .value_kind:     hidden_block_count_z
      - .offset:         60
        .size:           2
        .value_kind:     hidden_group_size_x
      - .offset:         62
        .size:           2
        .value_kind:     hidden_group_size_y
      - .offset:         64
        .size:           2
        .value_kind:     hidden_group_size_z
      - .offset:         66
        .size:           2
        .value_kind:     hidden_remainder_x
      - .offset:         68
        .size:           2
        .value_kind:     hidden_remainder_y
      - .offset:         70
        .size:           2
        .value_kind:     hidden_remainder_z
      - .offset:         88
        .size:           8
        .value_kind:     hidden_global_offset_x
      - .offset:         96
        .size:           8
        .value_kind:     hidden_global_offset_y
      - .offset:         104
        .size:           8
        .value_kind:     hidden_global_offset_z
      - .offset:         112
        .size:           2
        .value_kind:     hidden_grid_dims
    .group_segment_fixed_size: 8192
    .kernarg_segment_align: 8
    .kernarg_segment_size: 304
    .language:       OpenCL C
    .language_version:
      - 2
      - 0
    .max_flat_workgroup_size: 256
    .name:           _ZN7rocprim17ROCPRIM_400000_NS6detail17trampoline_kernelINS0_13kernel_configILj256ELj4ELj4294967295EEENS1_37radix_sort_block_sort_config_selectorIyyEEZNS1_21radix_sort_block_sortIS4_Lb0EN6thrust23THRUST_200600_302600_NS6detail15normal_iteratorINS9_10device_ptrIyEEEESE_SE_SE_NS0_19identity_decomposerEEE10hipError_tT1_T2_T3_T4_jRjT5_jjP12ihipStream_tbEUlT_E_NS1_11comp_targetILNS1_3genE0ELNS1_11target_archE4294967295ELNS1_3gpuE0ELNS1_3repE0EEENS1_44radix_sort_block_sort_config_static_selectorELNS0_4arch9wavefront6targetE1EEEvSH_
    .private_segment_fixed_size: 0
    .sgpr_count:     52
    .sgpr_spill_count: 0
    .symbol:         _ZN7rocprim17ROCPRIM_400000_NS6detail17trampoline_kernelINS0_13kernel_configILj256ELj4ELj4294967295EEENS1_37radix_sort_block_sort_config_selectorIyyEEZNS1_21radix_sort_block_sortIS4_Lb0EN6thrust23THRUST_200600_302600_NS6detail15normal_iteratorINS9_10device_ptrIyEEEESE_SE_SE_NS0_19identity_decomposerEEE10hipError_tT1_T2_T3_T4_jRjT5_jjP12ihipStream_tbEUlT_E_NS1_11comp_targetILNS1_3genE0ELNS1_11target_archE4294967295ELNS1_3gpuE0ELNS1_3repE0EEENS1_44radix_sort_block_sort_config_static_selectorELNS0_4arch9wavefront6targetE1EEEvSH_.kd
    .uniform_work_group_size: 1
    .uses_dynamic_stack: false
    .vgpr_count:     52
    .vgpr_spill_count: 0
    .wavefront_size: 64
  - .agpr_count:     0
    .args:
      - .offset:         0
        .size:           48
        .value_kind:     by_value
    .group_segment_fixed_size: 0
    .kernarg_segment_align: 8
    .kernarg_segment_size: 48
    .language:       OpenCL C
    .language_version:
      - 2
      - 0
    .max_flat_workgroup_size: 256
    .name:           _ZN7rocprim17ROCPRIM_400000_NS6detail17trampoline_kernelINS0_13kernel_configILj256ELj4ELj4294967295EEENS1_37radix_sort_block_sort_config_selectorIyyEEZNS1_21radix_sort_block_sortIS4_Lb0EN6thrust23THRUST_200600_302600_NS6detail15normal_iteratorINS9_10device_ptrIyEEEESE_SE_SE_NS0_19identity_decomposerEEE10hipError_tT1_T2_T3_T4_jRjT5_jjP12ihipStream_tbEUlT_E_NS1_11comp_targetILNS1_3genE5ELNS1_11target_archE942ELNS1_3gpuE9ELNS1_3repE0EEENS1_44radix_sort_block_sort_config_static_selectorELNS0_4arch9wavefront6targetE1EEEvSH_
    .private_segment_fixed_size: 0
    .sgpr_count:     6
    .sgpr_spill_count: 0
    .symbol:         _ZN7rocprim17ROCPRIM_400000_NS6detail17trampoline_kernelINS0_13kernel_configILj256ELj4ELj4294967295EEENS1_37radix_sort_block_sort_config_selectorIyyEEZNS1_21radix_sort_block_sortIS4_Lb0EN6thrust23THRUST_200600_302600_NS6detail15normal_iteratorINS9_10device_ptrIyEEEESE_SE_SE_NS0_19identity_decomposerEEE10hipError_tT1_T2_T3_T4_jRjT5_jjP12ihipStream_tbEUlT_E_NS1_11comp_targetILNS1_3genE5ELNS1_11target_archE942ELNS1_3gpuE9ELNS1_3repE0EEENS1_44radix_sort_block_sort_config_static_selectorELNS0_4arch9wavefront6targetE1EEEvSH_.kd
    .uniform_work_group_size: 1
    .uses_dynamic_stack: false
    .vgpr_count:     0
    .vgpr_spill_count: 0
    .wavefront_size: 64
  - .agpr_count:     0
    .args:
      - .offset:         0
        .size:           48
        .value_kind:     by_value
    .group_segment_fixed_size: 0
    .kernarg_segment_align: 8
    .kernarg_segment_size: 48
    .language:       OpenCL C
    .language_version:
      - 2
      - 0
    .max_flat_workgroup_size: 256
    .name:           _ZN7rocprim17ROCPRIM_400000_NS6detail17trampoline_kernelINS0_13kernel_configILj256ELj4ELj4294967295EEENS1_37radix_sort_block_sort_config_selectorIyyEEZNS1_21radix_sort_block_sortIS4_Lb0EN6thrust23THRUST_200600_302600_NS6detail15normal_iteratorINS9_10device_ptrIyEEEESE_SE_SE_NS0_19identity_decomposerEEE10hipError_tT1_T2_T3_T4_jRjT5_jjP12ihipStream_tbEUlT_E_NS1_11comp_targetILNS1_3genE4ELNS1_11target_archE910ELNS1_3gpuE8ELNS1_3repE0EEENS1_44radix_sort_block_sort_config_static_selectorELNS0_4arch9wavefront6targetE1EEEvSH_
    .private_segment_fixed_size: 0
    .sgpr_count:     6
    .sgpr_spill_count: 0
    .symbol:         _ZN7rocprim17ROCPRIM_400000_NS6detail17trampoline_kernelINS0_13kernel_configILj256ELj4ELj4294967295EEENS1_37radix_sort_block_sort_config_selectorIyyEEZNS1_21radix_sort_block_sortIS4_Lb0EN6thrust23THRUST_200600_302600_NS6detail15normal_iteratorINS9_10device_ptrIyEEEESE_SE_SE_NS0_19identity_decomposerEEE10hipError_tT1_T2_T3_T4_jRjT5_jjP12ihipStream_tbEUlT_E_NS1_11comp_targetILNS1_3genE4ELNS1_11target_archE910ELNS1_3gpuE8ELNS1_3repE0EEENS1_44radix_sort_block_sort_config_static_selectorELNS0_4arch9wavefront6targetE1EEEvSH_.kd
    .uniform_work_group_size: 1
    .uses_dynamic_stack: false
    .vgpr_count:     0
    .vgpr_spill_count: 0
    .wavefront_size: 64
  - .agpr_count:     0
    .args:
      - .offset:         0
        .size:           48
        .value_kind:     by_value
    .group_segment_fixed_size: 0
    .kernarg_segment_align: 8
    .kernarg_segment_size: 48
    .language:       OpenCL C
    .language_version:
      - 2
      - 0
    .max_flat_workgroup_size: 256
    .name:           _ZN7rocprim17ROCPRIM_400000_NS6detail17trampoline_kernelINS0_13kernel_configILj256ELj4ELj4294967295EEENS1_37radix_sort_block_sort_config_selectorIyyEEZNS1_21radix_sort_block_sortIS4_Lb0EN6thrust23THRUST_200600_302600_NS6detail15normal_iteratorINS9_10device_ptrIyEEEESE_SE_SE_NS0_19identity_decomposerEEE10hipError_tT1_T2_T3_T4_jRjT5_jjP12ihipStream_tbEUlT_E_NS1_11comp_targetILNS1_3genE3ELNS1_11target_archE908ELNS1_3gpuE7ELNS1_3repE0EEENS1_44radix_sort_block_sort_config_static_selectorELNS0_4arch9wavefront6targetE1EEEvSH_
    .private_segment_fixed_size: 0
    .sgpr_count:     6
    .sgpr_spill_count: 0
    .symbol:         _ZN7rocprim17ROCPRIM_400000_NS6detail17trampoline_kernelINS0_13kernel_configILj256ELj4ELj4294967295EEENS1_37radix_sort_block_sort_config_selectorIyyEEZNS1_21radix_sort_block_sortIS4_Lb0EN6thrust23THRUST_200600_302600_NS6detail15normal_iteratorINS9_10device_ptrIyEEEESE_SE_SE_NS0_19identity_decomposerEEE10hipError_tT1_T2_T3_T4_jRjT5_jjP12ihipStream_tbEUlT_E_NS1_11comp_targetILNS1_3genE3ELNS1_11target_archE908ELNS1_3gpuE7ELNS1_3repE0EEENS1_44radix_sort_block_sort_config_static_selectorELNS0_4arch9wavefront6targetE1EEEvSH_.kd
    .uniform_work_group_size: 1
    .uses_dynamic_stack: false
    .vgpr_count:     0
    .vgpr_spill_count: 0
    .wavefront_size: 64
  - .agpr_count:     0
    .args:
      - .offset:         0
        .size:           48
        .value_kind:     by_value
    .group_segment_fixed_size: 0
    .kernarg_segment_align: 8
    .kernarg_segment_size: 48
    .language:       OpenCL C
    .language_version:
      - 2
      - 0
    .max_flat_workgroup_size: 256
    .name:           _ZN7rocprim17ROCPRIM_400000_NS6detail17trampoline_kernelINS0_13kernel_configILj256ELj4ELj4294967295EEENS1_37radix_sort_block_sort_config_selectorIyyEEZNS1_21radix_sort_block_sortIS4_Lb0EN6thrust23THRUST_200600_302600_NS6detail15normal_iteratorINS9_10device_ptrIyEEEESE_SE_SE_NS0_19identity_decomposerEEE10hipError_tT1_T2_T3_T4_jRjT5_jjP12ihipStream_tbEUlT_E_NS1_11comp_targetILNS1_3genE2ELNS1_11target_archE906ELNS1_3gpuE6ELNS1_3repE0EEENS1_44radix_sort_block_sort_config_static_selectorELNS0_4arch9wavefront6targetE1EEEvSH_
    .private_segment_fixed_size: 0
    .sgpr_count:     6
    .sgpr_spill_count: 0
    .symbol:         _ZN7rocprim17ROCPRIM_400000_NS6detail17trampoline_kernelINS0_13kernel_configILj256ELj4ELj4294967295EEENS1_37radix_sort_block_sort_config_selectorIyyEEZNS1_21radix_sort_block_sortIS4_Lb0EN6thrust23THRUST_200600_302600_NS6detail15normal_iteratorINS9_10device_ptrIyEEEESE_SE_SE_NS0_19identity_decomposerEEE10hipError_tT1_T2_T3_T4_jRjT5_jjP12ihipStream_tbEUlT_E_NS1_11comp_targetILNS1_3genE2ELNS1_11target_archE906ELNS1_3gpuE6ELNS1_3repE0EEENS1_44radix_sort_block_sort_config_static_selectorELNS0_4arch9wavefront6targetE1EEEvSH_.kd
    .uniform_work_group_size: 1
    .uses_dynamic_stack: false
    .vgpr_count:     0
    .vgpr_spill_count: 0
    .wavefront_size: 64
  - .agpr_count:     0
    .args:
      - .offset:         0
        .size:           48
        .value_kind:     by_value
    .group_segment_fixed_size: 0
    .kernarg_segment_align: 8
    .kernarg_segment_size: 48
    .language:       OpenCL C
    .language_version:
      - 2
      - 0
    .max_flat_workgroup_size: 256
    .name:           _ZN7rocprim17ROCPRIM_400000_NS6detail17trampoline_kernelINS0_13kernel_configILj256ELj4ELj4294967295EEENS1_37radix_sort_block_sort_config_selectorIyyEEZNS1_21radix_sort_block_sortIS4_Lb0EN6thrust23THRUST_200600_302600_NS6detail15normal_iteratorINS9_10device_ptrIyEEEESE_SE_SE_NS0_19identity_decomposerEEE10hipError_tT1_T2_T3_T4_jRjT5_jjP12ihipStream_tbEUlT_E_NS1_11comp_targetILNS1_3genE10ELNS1_11target_archE1201ELNS1_3gpuE5ELNS1_3repE0EEENS1_44radix_sort_block_sort_config_static_selectorELNS0_4arch9wavefront6targetE1EEEvSH_
    .private_segment_fixed_size: 0
    .sgpr_count:     6
    .sgpr_spill_count: 0
    .symbol:         _ZN7rocprim17ROCPRIM_400000_NS6detail17trampoline_kernelINS0_13kernel_configILj256ELj4ELj4294967295EEENS1_37radix_sort_block_sort_config_selectorIyyEEZNS1_21radix_sort_block_sortIS4_Lb0EN6thrust23THRUST_200600_302600_NS6detail15normal_iteratorINS9_10device_ptrIyEEEESE_SE_SE_NS0_19identity_decomposerEEE10hipError_tT1_T2_T3_T4_jRjT5_jjP12ihipStream_tbEUlT_E_NS1_11comp_targetILNS1_3genE10ELNS1_11target_archE1201ELNS1_3gpuE5ELNS1_3repE0EEENS1_44radix_sort_block_sort_config_static_selectorELNS0_4arch9wavefront6targetE1EEEvSH_.kd
    .uniform_work_group_size: 1
    .uses_dynamic_stack: false
    .vgpr_count:     0
    .vgpr_spill_count: 0
    .wavefront_size: 64
  - .agpr_count:     0
    .args:
      - .offset:         0
        .size:           48
        .value_kind:     by_value
    .group_segment_fixed_size: 0
    .kernarg_segment_align: 8
    .kernarg_segment_size: 48
    .language:       OpenCL C
    .language_version:
      - 2
      - 0
    .max_flat_workgroup_size: 256
    .name:           _ZN7rocprim17ROCPRIM_400000_NS6detail17trampoline_kernelINS0_13kernel_configILj256ELj4ELj4294967295EEENS1_37radix_sort_block_sort_config_selectorIyyEEZNS1_21radix_sort_block_sortIS4_Lb0EN6thrust23THRUST_200600_302600_NS6detail15normal_iteratorINS9_10device_ptrIyEEEESE_SE_SE_NS0_19identity_decomposerEEE10hipError_tT1_T2_T3_T4_jRjT5_jjP12ihipStream_tbEUlT_E_NS1_11comp_targetILNS1_3genE10ELNS1_11target_archE1200ELNS1_3gpuE4ELNS1_3repE0EEENS1_44radix_sort_block_sort_config_static_selectorELNS0_4arch9wavefront6targetE1EEEvSH_
    .private_segment_fixed_size: 0
    .sgpr_count:     6
    .sgpr_spill_count: 0
    .symbol:         _ZN7rocprim17ROCPRIM_400000_NS6detail17trampoline_kernelINS0_13kernel_configILj256ELj4ELj4294967295EEENS1_37radix_sort_block_sort_config_selectorIyyEEZNS1_21radix_sort_block_sortIS4_Lb0EN6thrust23THRUST_200600_302600_NS6detail15normal_iteratorINS9_10device_ptrIyEEEESE_SE_SE_NS0_19identity_decomposerEEE10hipError_tT1_T2_T3_T4_jRjT5_jjP12ihipStream_tbEUlT_E_NS1_11comp_targetILNS1_3genE10ELNS1_11target_archE1200ELNS1_3gpuE4ELNS1_3repE0EEENS1_44radix_sort_block_sort_config_static_selectorELNS0_4arch9wavefront6targetE1EEEvSH_.kd
    .uniform_work_group_size: 1
    .uses_dynamic_stack: false
    .vgpr_count:     0
    .vgpr_spill_count: 0
    .wavefront_size: 64
  - .agpr_count:     0
    .args:
      - .offset:         0
        .size:           48
        .value_kind:     by_value
    .group_segment_fixed_size: 0
    .kernarg_segment_align: 8
    .kernarg_segment_size: 48
    .language:       OpenCL C
    .language_version:
      - 2
      - 0
    .max_flat_workgroup_size: 256
    .name:           _ZN7rocprim17ROCPRIM_400000_NS6detail17trampoline_kernelINS0_13kernel_configILj256ELj4ELj4294967295EEENS1_37radix_sort_block_sort_config_selectorIyyEEZNS1_21radix_sort_block_sortIS4_Lb0EN6thrust23THRUST_200600_302600_NS6detail15normal_iteratorINS9_10device_ptrIyEEEESE_SE_SE_NS0_19identity_decomposerEEE10hipError_tT1_T2_T3_T4_jRjT5_jjP12ihipStream_tbEUlT_E_NS1_11comp_targetILNS1_3genE9ELNS1_11target_archE1100ELNS1_3gpuE3ELNS1_3repE0EEENS1_44radix_sort_block_sort_config_static_selectorELNS0_4arch9wavefront6targetE1EEEvSH_
    .private_segment_fixed_size: 0
    .sgpr_count:     6
    .sgpr_spill_count: 0
    .symbol:         _ZN7rocprim17ROCPRIM_400000_NS6detail17trampoline_kernelINS0_13kernel_configILj256ELj4ELj4294967295EEENS1_37radix_sort_block_sort_config_selectorIyyEEZNS1_21radix_sort_block_sortIS4_Lb0EN6thrust23THRUST_200600_302600_NS6detail15normal_iteratorINS9_10device_ptrIyEEEESE_SE_SE_NS0_19identity_decomposerEEE10hipError_tT1_T2_T3_T4_jRjT5_jjP12ihipStream_tbEUlT_E_NS1_11comp_targetILNS1_3genE9ELNS1_11target_archE1100ELNS1_3gpuE3ELNS1_3repE0EEENS1_44radix_sort_block_sort_config_static_selectorELNS0_4arch9wavefront6targetE1EEEvSH_.kd
    .uniform_work_group_size: 1
    .uses_dynamic_stack: false
    .vgpr_count:     0
    .vgpr_spill_count: 0
    .wavefront_size: 64
  - .agpr_count:     0
    .args:
      - .offset:         0
        .size:           48
        .value_kind:     by_value
    .group_segment_fixed_size: 0
    .kernarg_segment_align: 8
    .kernarg_segment_size: 48
    .language:       OpenCL C
    .language_version:
      - 2
      - 0
    .max_flat_workgroup_size: 256
    .name:           _ZN7rocprim17ROCPRIM_400000_NS6detail17trampoline_kernelINS0_13kernel_configILj256ELj4ELj4294967295EEENS1_37radix_sort_block_sort_config_selectorIyyEEZNS1_21radix_sort_block_sortIS4_Lb0EN6thrust23THRUST_200600_302600_NS6detail15normal_iteratorINS9_10device_ptrIyEEEESE_SE_SE_NS0_19identity_decomposerEEE10hipError_tT1_T2_T3_T4_jRjT5_jjP12ihipStream_tbEUlT_E_NS1_11comp_targetILNS1_3genE8ELNS1_11target_archE1030ELNS1_3gpuE2ELNS1_3repE0EEENS1_44radix_sort_block_sort_config_static_selectorELNS0_4arch9wavefront6targetE1EEEvSH_
    .private_segment_fixed_size: 0
    .sgpr_count:     6
    .sgpr_spill_count: 0
    .symbol:         _ZN7rocprim17ROCPRIM_400000_NS6detail17trampoline_kernelINS0_13kernel_configILj256ELj4ELj4294967295EEENS1_37radix_sort_block_sort_config_selectorIyyEEZNS1_21radix_sort_block_sortIS4_Lb0EN6thrust23THRUST_200600_302600_NS6detail15normal_iteratorINS9_10device_ptrIyEEEESE_SE_SE_NS0_19identity_decomposerEEE10hipError_tT1_T2_T3_T4_jRjT5_jjP12ihipStream_tbEUlT_E_NS1_11comp_targetILNS1_3genE8ELNS1_11target_archE1030ELNS1_3gpuE2ELNS1_3repE0EEENS1_44radix_sort_block_sort_config_static_selectorELNS0_4arch9wavefront6targetE1EEEvSH_.kd
    .uniform_work_group_size: 1
    .uses_dynamic_stack: false
    .vgpr_count:     0
    .vgpr_spill_count: 0
    .wavefront_size: 64
  - .agpr_count:     0
    .args:           []
    .group_segment_fixed_size: 0
    .kernarg_segment_align: 4
    .kernarg_segment_size: 0
    .language:       OpenCL C
    .language_version:
      - 2
      - 0
    .max_flat_workgroup_size: 1024
    .name:           _ZN7rocprim17ROCPRIM_400000_NS6detail44device_merge_sort_compile_time_verifier_archINS1_11comp_targetILNS1_3genE0ELNS1_11target_archE4294967295ELNS1_3gpuE0ELNS1_3repE0EEES8_NS1_28merge_sort_block_sort_configILj256ELj4ELNS0_20block_sort_algorithmE0EEENS0_14default_configENS1_37merge_sort_block_sort_config_selectorIyyEENS1_38merge_sort_block_merge_config_selectorIyyEEEEvv
    .private_segment_fixed_size: 0
    .sgpr_count:     6
    .sgpr_spill_count: 0
    .symbol:         _ZN7rocprim17ROCPRIM_400000_NS6detail44device_merge_sort_compile_time_verifier_archINS1_11comp_targetILNS1_3genE0ELNS1_11target_archE4294967295ELNS1_3gpuE0ELNS1_3repE0EEES8_NS1_28merge_sort_block_sort_configILj256ELj4ELNS0_20block_sort_algorithmE0EEENS0_14default_configENS1_37merge_sort_block_sort_config_selectorIyyEENS1_38merge_sort_block_merge_config_selectorIyyEEEEvv.kd
    .uniform_work_group_size: 1
    .uses_dynamic_stack: false
    .vgpr_count:     0
    .vgpr_spill_count: 0
    .wavefront_size: 64
  - .agpr_count:     0
    .args:           []
    .group_segment_fixed_size: 0
    .kernarg_segment_align: 4
    .kernarg_segment_size: 0
    .language:       OpenCL C
    .language_version:
      - 2
      - 0
    .max_flat_workgroup_size: 1024
    .name:           _ZN7rocprim17ROCPRIM_400000_NS6detail44device_merge_sort_compile_time_verifier_archINS1_11comp_targetILNS1_3genE5ELNS1_11target_archE942ELNS1_3gpuE9ELNS1_3repE0EEES8_NS1_28merge_sort_block_sort_configILj256ELj4ELNS0_20block_sort_algorithmE0EEENS0_14default_configENS1_37merge_sort_block_sort_config_selectorIyyEENS1_38merge_sort_block_merge_config_selectorIyyEEEEvv
    .private_segment_fixed_size: 0
    .sgpr_count:     6
    .sgpr_spill_count: 0
    .symbol:         _ZN7rocprim17ROCPRIM_400000_NS6detail44device_merge_sort_compile_time_verifier_archINS1_11comp_targetILNS1_3genE5ELNS1_11target_archE942ELNS1_3gpuE9ELNS1_3repE0EEES8_NS1_28merge_sort_block_sort_configILj256ELj4ELNS0_20block_sort_algorithmE0EEENS0_14default_configENS1_37merge_sort_block_sort_config_selectorIyyEENS1_38merge_sort_block_merge_config_selectorIyyEEEEvv.kd
    .uniform_work_group_size: 1
    .uses_dynamic_stack: false
    .vgpr_count:     0
    .vgpr_spill_count: 0
    .wavefront_size: 64
  - .agpr_count:     0
    .args:           []
    .group_segment_fixed_size: 0
    .kernarg_segment_align: 4
    .kernarg_segment_size: 0
    .language:       OpenCL C
    .language_version:
      - 2
      - 0
    .max_flat_workgroup_size: 1024
    .name:           _ZN7rocprim17ROCPRIM_400000_NS6detail44device_merge_sort_compile_time_verifier_archINS1_11comp_targetILNS1_3genE4ELNS1_11target_archE910ELNS1_3gpuE8ELNS1_3repE0EEES8_NS1_28merge_sort_block_sort_configILj256ELj4ELNS0_20block_sort_algorithmE0EEENS0_14default_configENS1_37merge_sort_block_sort_config_selectorIyyEENS1_38merge_sort_block_merge_config_selectorIyyEEEEvv
    .private_segment_fixed_size: 0
    .sgpr_count:     6
    .sgpr_spill_count: 0
    .symbol:         _ZN7rocprim17ROCPRIM_400000_NS6detail44device_merge_sort_compile_time_verifier_archINS1_11comp_targetILNS1_3genE4ELNS1_11target_archE910ELNS1_3gpuE8ELNS1_3repE0EEES8_NS1_28merge_sort_block_sort_configILj256ELj4ELNS0_20block_sort_algorithmE0EEENS0_14default_configENS1_37merge_sort_block_sort_config_selectorIyyEENS1_38merge_sort_block_merge_config_selectorIyyEEEEvv.kd
    .uniform_work_group_size: 1
    .uses_dynamic_stack: false
    .vgpr_count:     0
    .vgpr_spill_count: 0
    .wavefront_size: 64
  - .agpr_count:     0
    .args:           []
    .group_segment_fixed_size: 0
    .kernarg_segment_align: 4
    .kernarg_segment_size: 0
    .language:       OpenCL C
    .language_version:
      - 2
      - 0
    .max_flat_workgroup_size: 1024
    .name:           _ZN7rocprim17ROCPRIM_400000_NS6detail44device_merge_sort_compile_time_verifier_archINS1_11comp_targetILNS1_3genE3ELNS1_11target_archE908ELNS1_3gpuE7ELNS1_3repE0EEES8_NS1_28merge_sort_block_sort_configILj256ELj4ELNS0_20block_sort_algorithmE0EEENS0_14default_configENS1_37merge_sort_block_sort_config_selectorIyyEENS1_38merge_sort_block_merge_config_selectorIyyEEEEvv
    .private_segment_fixed_size: 0
    .sgpr_count:     6
    .sgpr_spill_count: 0
    .symbol:         _ZN7rocprim17ROCPRIM_400000_NS6detail44device_merge_sort_compile_time_verifier_archINS1_11comp_targetILNS1_3genE3ELNS1_11target_archE908ELNS1_3gpuE7ELNS1_3repE0EEES8_NS1_28merge_sort_block_sort_configILj256ELj4ELNS0_20block_sort_algorithmE0EEENS0_14default_configENS1_37merge_sort_block_sort_config_selectorIyyEENS1_38merge_sort_block_merge_config_selectorIyyEEEEvv.kd
    .uniform_work_group_size: 1
    .uses_dynamic_stack: false
    .vgpr_count:     0
    .vgpr_spill_count: 0
    .wavefront_size: 64
  - .agpr_count:     0
    .args:           []
    .group_segment_fixed_size: 0
    .kernarg_segment_align: 4
    .kernarg_segment_size: 0
    .language:       OpenCL C
    .language_version:
      - 2
      - 0
    .max_flat_workgroup_size: 1024
    .name:           _ZN7rocprim17ROCPRIM_400000_NS6detail44device_merge_sort_compile_time_verifier_archINS1_11comp_targetILNS1_3genE2ELNS1_11target_archE906ELNS1_3gpuE6ELNS1_3repE0EEES8_NS1_28merge_sort_block_sort_configILj256ELj4ELNS0_20block_sort_algorithmE0EEENS0_14default_configENS1_37merge_sort_block_sort_config_selectorIyyEENS1_38merge_sort_block_merge_config_selectorIyyEEEEvv
    .private_segment_fixed_size: 0
    .sgpr_count:     6
    .sgpr_spill_count: 0
    .symbol:         _ZN7rocprim17ROCPRIM_400000_NS6detail44device_merge_sort_compile_time_verifier_archINS1_11comp_targetILNS1_3genE2ELNS1_11target_archE906ELNS1_3gpuE6ELNS1_3repE0EEES8_NS1_28merge_sort_block_sort_configILj256ELj4ELNS0_20block_sort_algorithmE0EEENS0_14default_configENS1_37merge_sort_block_sort_config_selectorIyyEENS1_38merge_sort_block_merge_config_selectorIyyEEEEvv.kd
    .uniform_work_group_size: 1
    .uses_dynamic_stack: false
    .vgpr_count:     0
    .vgpr_spill_count: 0
    .wavefront_size: 64
  - .agpr_count:     0
    .args:           []
    .group_segment_fixed_size: 0
    .kernarg_segment_align: 4
    .kernarg_segment_size: 0
    .language:       OpenCL C
    .language_version:
      - 2
      - 0
    .max_flat_workgroup_size: 1024
    .name:           _ZN7rocprim17ROCPRIM_400000_NS6detail44device_merge_sort_compile_time_verifier_archINS1_11comp_targetILNS1_3genE10ELNS1_11target_archE1201ELNS1_3gpuE5ELNS1_3repE0EEES8_NS1_28merge_sort_block_sort_configILj256ELj4ELNS0_20block_sort_algorithmE0EEENS0_14default_configENS1_37merge_sort_block_sort_config_selectorIyyEENS1_38merge_sort_block_merge_config_selectorIyyEEEEvv
    .private_segment_fixed_size: 0
    .sgpr_count:     6
    .sgpr_spill_count: 0
    .symbol:         _ZN7rocprim17ROCPRIM_400000_NS6detail44device_merge_sort_compile_time_verifier_archINS1_11comp_targetILNS1_3genE10ELNS1_11target_archE1201ELNS1_3gpuE5ELNS1_3repE0EEES8_NS1_28merge_sort_block_sort_configILj256ELj4ELNS0_20block_sort_algorithmE0EEENS0_14default_configENS1_37merge_sort_block_sort_config_selectorIyyEENS1_38merge_sort_block_merge_config_selectorIyyEEEEvv.kd
    .uniform_work_group_size: 1
    .uses_dynamic_stack: false
    .vgpr_count:     0
    .vgpr_spill_count: 0
    .wavefront_size: 64
  - .agpr_count:     0
    .args:           []
    .group_segment_fixed_size: 0
    .kernarg_segment_align: 4
    .kernarg_segment_size: 0
    .language:       OpenCL C
    .language_version:
      - 2
      - 0
    .max_flat_workgroup_size: 1024
    .name:           _ZN7rocprim17ROCPRIM_400000_NS6detail44device_merge_sort_compile_time_verifier_archINS1_11comp_targetILNS1_3genE10ELNS1_11target_archE1200ELNS1_3gpuE4ELNS1_3repE0EEENS3_ILS4_10ELS5_1201ELS6_5ELS7_0EEENS1_28merge_sort_block_sort_configILj256ELj4ELNS0_20block_sort_algorithmE0EEENS0_14default_configENS1_37merge_sort_block_sort_config_selectorIyyEENS1_38merge_sort_block_merge_config_selectorIyyEEEEvv
    .private_segment_fixed_size: 0
    .sgpr_count:     6
    .sgpr_spill_count: 0
    .symbol:         _ZN7rocprim17ROCPRIM_400000_NS6detail44device_merge_sort_compile_time_verifier_archINS1_11comp_targetILNS1_3genE10ELNS1_11target_archE1200ELNS1_3gpuE4ELNS1_3repE0EEENS3_ILS4_10ELS5_1201ELS6_5ELS7_0EEENS1_28merge_sort_block_sort_configILj256ELj4ELNS0_20block_sort_algorithmE0EEENS0_14default_configENS1_37merge_sort_block_sort_config_selectorIyyEENS1_38merge_sort_block_merge_config_selectorIyyEEEEvv.kd
    .uniform_work_group_size: 1
    .uses_dynamic_stack: false
    .vgpr_count:     0
    .vgpr_spill_count: 0
    .wavefront_size: 64
  - .agpr_count:     0
    .args:           []
    .group_segment_fixed_size: 0
    .kernarg_segment_align: 4
    .kernarg_segment_size: 0
    .language:       OpenCL C
    .language_version:
      - 2
      - 0
    .max_flat_workgroup_size: 1024
    .name:           _ZN7rocprim17ROCPRIM_400000_NS6detail44device_merge_sort_compile_time_verifier_archINS1_11comp_targetILNS1_3genE9ELNS1_11target_archE1100ELNS1_3gpuE3ELNS1_3repE0EEES8_NS1_28merge_sort_block_sort_configILj256ELj4ELNS0_20block_sort_algorithmE0EEENS0_14default_configENS1_37merge_sort_block_sort_config_selectorIyyEENS1_38merge_sort_block_merge_config_selectorIyyEEEEvv
    .private_segment_fixed_size: 0
    .sgpr_count:     6
    .sgpr_spill_count: 0
    .symbol:         _ZN7rocprim17ROCPRIM_400000_NS6detail44device_merge_sort_compile_time_verifier_archINS1_11comp_targetILNS1_3genE9ELNS1_11target_archE1100ELNS1_3gpuE3ELNS1_3repE0EEES8_NS1_28merge_sort_block_sort_configILj256ELj4ELNS0_20block_sort_algorithmE0EEENS0_14default_configENS1_37merge_sort_block_sort_config_selectorIyyEENS1_38merge_sort_block_merge_config_selectorIyyEEEEvv.kd
    .uniform_work_group_size: 1
    .uses_dynamic_stack: false
    .vgpr_count:     0
    .vgpr_spill_count: 0
    .wavefront_size: 64
  - .agpr_count:     0
    .args:           []
    .group_segment_fixed_size: 0
    .kernarg_segment_align: 4
    .kernarg_segment_size: 0
    .language:       OpenCL C
    .language_version:
      - 2
      - 0
    .max_flat_workgroup_size: 1024
    .name:           _ZN7rocprim17ROCPRIM_400000_NS6detail44device_merge_sort_compile_time_verifier_archINS1_11comp_targetILNS1_3genE8ELNS1_11target_archE1030ELNS1_3gpuE2ELNS1_3repE0EEES8_NS1_28merge_sort_block_sort_configILj256ELj4ELNS0_20block_sort_algorithmE0EEENS0_14default_configENS1_37merge_sort_block_sort_config_selectorIyyEENS1_38merge_sort_block_merge_config_selectorIyyEEEEvv
    .private_segment_fixed_size: 0
    .sgpr_count:     6
    .sgpr_spill_count: 0
    .symbol:         _ZN7rocprim17ROCPRIM_400000_NS6detail44device_merge_sort_compile_time_verifier_archINS1_11comp_targetILNS1_3genE8ELNS1_11target_archE1030ELNS1_3gpuE2ELNS1_3repE0EEES8_NS1_28merge_sort_block_sort_configILj256ELj4ELNS0_20block_sort_algorithmE0EEENS0_14default_configENS1_37merge_sort_block_sort_config_selectorIyyEENS1_38merge_sort_block_merge_config_selectorIyyEEEEvv.kd
    .uniform_work_group_size: 1
    .uses_dynamic_stack: false
    .vgpr_count:     0
    .vgpr_spill_count: 0
    .wavefront_size: 64
  - .agpr_count:     0
    .args:
      - .offset:         0
        .size:           40
        .value_kind:     by_value
    .group_segment_fixed_size: 0
    .kernarg_segment_align: 8
    .kernarg_segment_size: 40
    .language:       OpenCL C
    .language_version:
      - 2
      - 0
    .max_flat_workgroup_size: 128
    .name:           _ZN7rocprim17ROCPRIM_400000_NS6detail17trampoline_kernelINS0_14default_configENS1_38merge_sort_block_merge_config_selectorIyyEEZZNS1_27merge_sort_block_merge_implIS3_N6thrust23THRUST_200600_302600_NS6detail15normal_iteratorINS8_10device_ptrIyEEEESD_jNS1_19radix_merge_compareILb0ELb0EyNS0_19identity_decomposerEEEEE10hipError_tT0_T1_T2_jT3_P12ihipStream_tbPNSt15iterator_traitsISI_E10value_typeEPNSO_ISJ_E10value_typeEPSK_NS1_7vsmem_tEENKUlT_SI_SJ_SK_E_clIPySD_S10_SD_EESH_SX_SI_SJ_SK_EUlSX_E_NS1_11comp_targetILNS1_3genE0ELNS1_11target_archE4294967295ELNS1_3gpuE0ELNS1_3repE0EEENS1_48merge_mergepath_partition_config_static_selectorELNS0_4arch9wavefront6targetE1EEEvSJ_
    .private_segment_fixed_size: 0
    .sgpr_count:     14
    .sgpr_spill_count: 0
    .symbol:         _ZN7rocprim17ROCPRIM_400000_NS6detail17trampoline_kernelINS0_14default_configENS1_38merge_sort_block_merge_config_selectorIyyEEZZNS1_27merge_sort_block_merge_implIS3_N6thrust23THRUST_200600_302600_NS6detail15normal_iteratorINS8_10device_ptrIyEEEESD_jNS1_19radix_merge_compareILb0ELb0EyNS0_19identity_decomposerEEEEE10hipError_tT0_T1_T2_jT3_P12ihipStream_tbPNSt15iterator_traitsISI_E10value_typeEPNSO_ISJ_E10value_typeEPSK_NS1_7vsmem_tEENKUlT_SI_SJ_SK_E_clIPySD_S10_SD_EESH_SX_SI_SJ_SK_EUlSX_E_NS1_11comp_targetILNS1_3genE0ELNS1_11target_archE4294967295ELNS1_3gpuE0ELNS1_3repE0EEENS1_48merge_mergepath_partition_config_static_selectorELNS0_4arch9wavefront6targetE1EEEvSJ_.kd
    .uniform_work_group_size: 1
    .uses_dynamic_stack: false
    .vgpr_count:     20
    .vgpr_spill_count: 0
    .wavefront_size: 64
  - .agpr_count:     0
    .args:
      - .offset:         0
        .size:           40
        .value_kind:     by_value
    .group_segment_fixed_size: 0
    .kernarg_segment_align: 8
    .kernarg_segment_size: 40
    .language:       OpenCL C
    .language_version:
      - 2
      - 0
    .max_flat_workgroup_size: 128
    .name:           _ZN7rocprim17ROCPRIM_400000_NS6detail17trampoline_kernelINS0_14default_configENS1_38merge_sort_block_merge_config_selectorIyyEEZZNS1_27merge_sort_block_merge_implIS3_N6thrust23THRUST_200600_302600_NS6detail15normal_iteratorINS8_10device_ptrIyEEEESD_jNS1_19radix_merge_compareILb0ELb0EyNS0_19identity_decomposerEEEEE10hipError_tT0_T1_T2_jT3_P12ihipStream_tbPNSt15iterator_traitsISI_E10value_typeEPNSO_ISJ_E10value_typeEPSK_NS1_7vsmem_tEENKUlT_SI_SJ_SK_E_clIPySD_S10_SD_EESH_SX_SI_SJ_SK_EUlSX_E_NS1_11comp_targetILNS1_3genE10ELNS1_11target_archE1201ELNS1_3gpuE5ELNS1_3repE0EEENS1_48merge_mergepath_partition_config_static_selectorELNS0_4arch9wavefront6targetE1EEEvSJ_
    .private_segment_fixed_size: 0
    .sgpr_count:     6
    .sgpr_spill_count: 0
    .symbol:         _ZN7rocprim17ROCPRIM_400000_NS6detail17trampoline_kernelINS0_14default_configENS1_38merge_sort_block_merge_config_selectorIyyEEZZNS1_27merge_sort_block_merge_implIS3_N6thrust23THRUST_200600_302600_NS6detail15normal_iteratorINS8_10device_ptrIyEEEESD_jNS1_19radix_merge_compareILb0ELb0EyNS0_19identity_decomposerEEEEE10hipError_tT0_T1_T2_jT3_P12ihipStream_tbPNSt15iterator_traitsISI_E10value_typeEPNSO_ISJ_E10value_typeEPSK_NS1_7vsmem_tEENKUlT_SI_SJ_SK_E_clIPySD_S10_SD_EESH_SX_SI_SJ_SK_EUlSX_E_NS1_11comp_targetILNS1_3genE10ELNS1_11target_archE1201ELNS1_3gpuE5ELNS1_3repE0EEENS1_48merge_mergepath_partition_config_static_selectorELNS0_4arch9wavefront6targetE1EEEvSJ_.kd
    .uniform_work_group_size: 1
    .uses_dynamic_stack: false
    .vgpr_count:     0
    .vgpr_spill_count: 0
    .wavefront_size: 64
  - .agpr_count:     0
    .args:
      - .offset:         0
        .size:           40
        .value_kind:     by_value
    .group_segment_fixed_size: 0
    .kernarg_segment_align: 8
    .kernarg_segment_size: 40
    .language:       OpenCL C
    .language_version:
      - 2
      - 0
    .max_flat_workgroup_size: 128
    .name:           _ZN7rocprim17ROCPRIM_400000_NS6detail17trampoline_kernelINS0_14default_configENS1_38merge_sort_block_merge_config_selectorIyyEEZZNS1_27merge_sort_block_merge_implIS3_N6thrust23THRUST_200600_302600_NS6detail15normal_iteratorINS8_10device_ptrIyEEEESD_jNS1_19radix_merge_compareILb0ELb0EyNS0_19identity_decomposerEEEEE10hipError_tT0_T1_T2_jT3_P12ihipStream_tbPNSt15iterator_traitsISI_E10value_typeEPNSO_ISJ_E10value_typeEPSK_NS1_7vsmem_tEENKUlT_SI_SJ_SK_E_clIPySD_S10_SD_EESH_SX_SI_SJ_SK_EUlSX_E_NS1_11comp_targetILNS1_3genE5ELNS1_11target_archE942ELNS1_3gpuE9ELNS1_3repE0EEENS1_48merge_mergepath_partition_config_static_selectorELNS0_4arch9wavefront6targetE1EEEvSJ_
    .private_segment_fixed_size: 0
    .sgpr_count:     6
    .sgpr_spill_count: 0
    .symbol:         _ZN7rocprim17ROCPRIM_400000_NS6detail17trampoline_kernelINS0_14default_configENS1_38merge_sort_block_merge_config_selectorIyyEEZZNS1_27merge_sort_block_merge_implIS3_N6thrust23THRUST_200600_302600_NS6detail15normal_iteratorINS8_10device_ptrIyEEEESD_jNS1_19radix_merge_compareILb0ELb0EyNS0_19identity_decomposerEEEEE10hipError_tT0_T1_T2_jT3_P12ihipStream_tbPNSt15iterator_traitsISI_E10value_typeEPNSO_ISJ_E10value_typeEPSK_NS1_7vsmem_tEENKUlT_SI_SJ_SK_E_clIPySD_S10_SD_EESH_SX_SI_SJ_SK_EUlSX_E_NS1_11comp_targetILNS1_3genE5ELNS1_11target_archE942ELNS1_3gpuE9ELNS1_3repE0EEENS1_48merge_mergepath_partition_config_static_selectorELNS0_4arch9wavefront6targetE1EEEvSJ_.kd
    .uniform_work_group_size: 1
    .uses_dynamic_stack: false
    .vgpr_count:     0
    .vgpr_spill_count: 0
    .wavefront_size: 64
  - .agpr_count:     0
    .args:
      - .offset:         0
        .size:           40
        .value_kind:     by_value
    .group_segment_fixed_size: 0
    .kernarg_segment_align: 8
    .kernarg_segment_size: 40
    .language:       OpenCL C
    .language_version:
      - 2
      - 0
    .max_flat_workgroup_size: 128
    .name:           _ZN7rocprim17ROCPRIM_400000_NS6detail17trampoline_kernelINS0_14default_configENS1_38merge_sort_block_merge_config_selectorIyyEEZZNS1_27merge_sort_block_merge_implIS3_N6thrust23THRUST_200600_302600_NS6detail15normal_iteratorINS8_10device_ptrIyEEEESD_jNS1_19radix_merge_compareILb0ELb0EyNS0_19identity_decomposerEEEEE10hipError_tT0_T1_T2_jT3_P12ihipStream_tbPNSt15iterator_traitsISI_E10value_typeEPNSO_ISJ_E10value_typeEPSK_NS1_7vsmem_tEENKUlT_SI_SJ_SK_E_clIPySD_S10_SD_EESH_SX_SI_SJ_SK_EUlSX_E_NS1_11comp_targetILNS1_3genE4ELNS1_11target_archE910ELNS1_3gpuE8ELNS1_3repE0EEENS1_48merge_mergepath_partition_config_static_selectorELNS0_4arch9wavefront6targetE1EEEvSJ_
    .private_segment_fixed_size: 0
    .sgpr_count:     6
    .sgpr_spill_count: 0
    .symbol:         _ZN7rocprim17ROCPRIM_400000_NS6detail17trampoline_kernelINS0_14default_configENS1_38merge_sort_block_merge_config_selectorIyyEEZZNS1_27merge_sort_block_merge_implIS3_N6thrust23THRUST_200600_302600_NS6detail15normal_iteratorINS8_10device_ptrIyEEEESD_jNS1_19radix_merge_compareILb0ELb0EyNS0_19identity_decomposerEEEEE10hipError_tT0_T1_T2_jT3_P12ihipStream_tbPNSt15iterator_traitsISI_E10value_typeEPNSO_ISJ_E10value_typeEPSK_NS1_7vsmem_tEENKUlT_SI_SJ_SK_E_clIPySD_S10_SD_EESH_SX_SI_SJ_SK_EUlSX_E_NS1_11comp_targetILNS1_3genE4ELNS1_11target_archE910ELNS1_3gpuE8ELNS1_3repE0EEENS1_48merge_mergepath_partition_config_static_selectorELNS0_4arch9wavefront6targetE1EEEvSJ_.kd
    .uniform_work_group_size: 1
    .uses_dynamic_stack: false
    .vgpr_count:     0
    .vgpr_spill_count: 0
    .wavefront_size: 64
  - .agpr_count:     0
    .args:
      - .offset:         0
        .size:           40
        .value_kind:     by_value
    .group_segment_fixed_size: 0
    .kernarg_segment_align: 8
    .kernarg_segment_size: 40
    .language:       OpenCL C
    .language_version:
      - 2
      - 0
    .max_flat_workgroup_size: 128
    .name:           _ZN7rocprim17ROCPRIM_400000_NS6detail17trampoline_kernelINS0_14default_configENS1_38merge_sort_block_merge_config_selectorIyyEEZZNS1_27merge_sort_block_merge_implIS3_N6thrust23THRUST_200600_302600_NS6detail15normal_iteratorINS8_10device_ptrIyEEEESD_jNS1_19radix_merge_compareILb0ELb0EyNS0_19identity_decomposerEEEEE10hipError_tT0_T1_T2_jT3_P12ihipStream_tbPNSt15iterator_traitsISI_E10value_typeEPNSO_ISJ_E10value_typeEPSK_NS1_7vsmem_tEENKUlT_SI_SJ_SK_E_clIPySD_S10_SD_EESH_SX_SI_SJ_SK_EUlSX_E_NS1_11comp_targetILNS1_3genE3ELNS1_11target_archE908ELNS1_3gpuE7ELNS1_3repE0EEENS1_48merge_mergepath_partition_config_static_selectorELNS0_4arch9wavefront6targetE1EEEvSJ_
    .private_segment_fixed_size: 0
    .sgpr_count:     6
    .sgpr_spill_count: 0
    .symbol:         _ZN7rocprim17ROCPRIM_400000_NS6detail17trampoline_kernelINS0_14default_configENS1_38merge_sort_block_merge_config_selectorIyyEEZZNS1_27merge_sort_block_merge_implIS3_N6thrust23THRUST_200600_302600_NS6detail15normal_iteratorINS8_10device_ptrIyEEEESD_jNS1_19radix_merge_compareILb0ELb0EyNS0_19identity_decomposerEEEEE10hipError_tT0_T1_T2_jT3_P12ihipStream_tbPNSt15iterator_traitsISI_E10value_typeEPNSO_ISJ_E10value_typeEPSK_NS1_7vsmem_tEENKUlT_SI_SJ_SK_E_clIPySD_S10_SD_EESH_SX_SI_SJ_SK_EUlSX_E_NS1_11comp_targetILNS1_3genE3ELNS1_11target_archE908ELNS1_3gpuE7ELNS1_3repE0EEENS1_48merge_mergepath_partition_config_static_selectorELNS0_4arch9wavefront6targetE1EEEvSJ_.kd
    .uniform_work_group_size: 1
    .uses_dynamic_stack: false
    .vgpr_count:     0
    .vgpr_spill_count: 0
    .wavefront_size: 64
  - .agpr_count:     0
    .args:
      - .offset:         0
        .size:           40
        .value_kind:     by_value
    .group_segment_fixed_size: 0
    .kernarg_segment_align: 8
    .kernarg_segment_size: 40
    .language:       OpenCL C
    .language_version:
      - 2
      - 0
    .max_flat_workgroup_size: 128
    .name:           _ZN7rocprim17ROCPRIM_400000_NS6detail17trampoline_kernelINS0_14default_configENS1_38merge_sort_block_merge_config_selectorIyyEEZZNS1_27merge_sort_block_merge_implIS3_N6thrust23THRUST_200600_302600_NS6detail15normal_iteratorINS8_10device_ptrIyEEEESD_jNS1_19radix_merge_compareILb0ELb0EyNS0_19identity_decomposerEEEEE10hipError_tT0_T1_T2_jT3_P12ihipStream_tbPNSt15iterator_traitsISI_E10value_typeEPNSO_ISJ_E10value_typeEPSK_NS1_7vsmem_tEENKUlT_SI_SJ_SK_E_clIPySD_S10_SD_EESH_SX_SI_SJ_SK_EUlSX_E_NS1_11comp_targetILNS1_3genE2ELNS1_11target_archE906ELNS1_3gpuE6ELNS1_3repE0EEENS1_48merge_mergepath_partition_config_static_selectorELNS0_4arch9wavefront6targetE1EEEvSJ_
    .private_segment_fixed_size: 0
    .sgpr_count:     6
    .sgpr_spill_count: 0
    .symbol:         _ZN7rocprim17ROCPRIM_400000_NS6detail17trampoline_kernelINS0_14default_configENS1_38merge_sort_block_merge_config_selectorIyyEEZZNS1_27merge_sort_block_merge_implIS3_N6thrust23THRUST_200600_302600_NS6detail15normal_iteratorINS8_10device_ptrIyEEEESD_jNS1_19radix_merge_compareILb0ELb0EyNS0_19identity_decomposerEEEEE10hipError_tT0_T1_T2_jT3_P12ihipStream_tbPNSt15iterator_traitsISI_E10value_typeEPNSO_ISJ_E10value_typeEPSK_NS1_7vsmem_tEENKUlT_SI_SJ_SK_E_clIPySD_S10_SD_EESH_SX_SI_SJ_SK_EUlSX_E_NS1_11comp_targetILNS1_3genE2ELNS1_11target_archE906ELNS1_3gpuE6ELNS1_3repE0EEENS1_48merge_mergepath_partition_config_static_selectorELNS0_4arch9wavefront6targetE1EEEvSJ_.kd
    .uniform_work_group_size: 1
    .uses_dynamic_stack: false
    .vgpr_count:     0
    .vgpr_spill_count: 0
    .wavefront_size: 64
  - .agpr_count:     0
    .args:
      - .offset:         0
        .size:           40
        .value_kind:     by_value
    .group_segment_fixed_size: 0
    .kernarg_segment_align: 8
    .kernarg_segment_size: 40
    .language:       OpenCL C
    .language_version:
      - 2
      - 0
    .max_flat_workgroup_size: 128
    .name:           _ZN7rocprim17ROCPRIM_400000_NS6detail17trampoline_kernelINS0_14default_configENS1_38merge_sort_block_merge_config_selectorIyyEEZZNS1_27merge_sort_block_merge_implIS3_N6thrust23THRUST_200600_302600_NS6detail15normal_iteratorINS8_10device_ptrIyEEEESD_jNS1_19radix_merge_compareILb0ELb0EyNS0_19identity_decomposerEEEEE10hipError_tT0_T1_T2_jT3_P12ihipStream_tbPNSt15iterator_traitsISI_E10value_typeEPNSO_ISJ_E10value_typeEPSK_NS1_7vsmem_tEENKUlT_SI_SJ_SK_E_clIPySD_S10_SD_EESH_SX_SI_SJ_SK_EUlSX_E_NS1_11comp_targetILNS1_3genE9ELNS1_11target_archE1100ELNS1_3gpuE3ELNS1_3repE0EEENS1_48merge_mergepath_partition_config_static_selectorELNS0_4arch9wavefront6targetE1EEEvSJ_
    .private_segment_fixed_size: 0
    .sgpr_count:     6
    .sgpr_spill_count: 0
    .symbol:         _ZN7rocprim17ROCPRIM_400000_NS6detail17trampoline_kernelINS0_14default_configENS1_38merge_sort_block_merge_config_selectorIyyEEZZNS1_27merge_sort_block_merge_implIS3_N6thrust23THRUST_200600_302600_NS6detail15normal_iteratorINS8_10device_ptrIyEEEESD_jNS1_19radix_merge_compareILb0ELb0EyNS0_19identity_decomposerEEEEE10hipError_tT0_T1_T2_jT3_P12ihipStream_tbPNSt15iterator_traitsISI_E10value_typeEPNSO_ISJ_E10value_typeEPSK_NS1_7vsmem_tEENKUlT_SI_SJ_SK_E_clIPySD_S10_SD_EESH_SX_SI_SJ_SK_EUlSX_E_NS1_11comp_targetILNS1_3genE9ELNS1_11target_archE1100ELNS1_3gpuE3ELNS1_3repE0EEENS1_48merge_mergepath_partition_config_static_selectorELNS0_4arch9wavefront6targetE1EEEvSJ_.kd
    .uniform_work_group_size: 1
    .uses_dynamic_stack: false
    .vgpr_count:     0
    .vgpr_spill_count: 0
    .wavefront_size: 64
  - .agpr_count:     0
    .args:
      - .offset:         0
        .size:           40
        .value_kind:     by_value
    .group_segment_fixed_size: 0
    .kernarg_segment_align: 8
    .kernarg_segment_size: 40
    .language:       OpenCL C
    .language_version:
      - 2
      - 0
    .max_flat_workgroup_size: 128
    .name:           _ZN7rocprim17ROCPRIM_400000_NS6detail17trampoline_kernelINS0_14default_configENS1_38merge_sort_block_merge_config_selectorIyyEEZZNS1_27merge_sort_block_merge_implIS3_N6thrust23THRUST_200600_302600_NS6detail15normal_iteratorINS8_10device_ptrIyEEEESD_jNS1_19radix_merge_compareILb0ELb0EyNS0_19identity_decomposerEEEEE10hipError_tT0_T1_T2_jT3_P12ihipStream_tbPNSt15iterator_traitsISI_E10value_typeEPNSO_ISJ_E10value_typeEPSK_NS1_7vsmem_tEENKUlT_SI_SJ_SK_E_clIPySD_S10_SD_EESH_SX_SI_SJ_SK_EUlSX_E_NS1_11comp_targetILNS1_3genE8ELNS1_11target_archE1030ELNS1_3gpuE2ELNS1_3repE0EEENS1_48merge_mergepath_partition_config_static_selectorELNS0_4arch9wavefront6targetE1EEEvSJ_
    .private_segment_fixed_size: 0
    .sgpr_count:     6
    .sgpr_spill_count: 0
    .symbol:         _ZN7rocprim17ROCPRIM_400000_NS6detail17trampoline_kernelINS0_14default_configENS1_38merge_sort_block_merge_config_selectorIyyEEZZNS1_27merge_sort_block_merge_implIS3_N6thrust23THRUST_200600_302600_NS6detail15normal_iteratorINS8_10device_ptrIyEEEESD_jNS1_19radix_merge_compareILb0ELb0EyNS0_19identity_decomposerEEEEE10hipError_tT0_T1_T2_jT3_P12ihipStream_tbPNSt15iterator_traitsISI_E10value_typeEPNSO_ISJ_E10value_typeEPSK_NS1_7vsmem_tEENKUlT_SI_SJ_SK_E_clIPySD_S10_SD_EESH_SX_SI_SJ_SK_EUlSX_E_NS1_11comp_targetILNS1_3genE8ELNS1_11target_archE1030ELNS1_3gpuE2ELNS1_3repE0EEENS1_48merge_mergepath_partition_config_static_selectorELNS0_4arch9wavefront6targetE1EEEvSJ_.kd
    .uniform_work_group_size: 1
    .uses_dynamic_stack: false
    .vgpr_count:     0
    .vgpr_spill_count: 0
    .wavefront_size: 64
  - .agpr_count:     0
    .args:
      - .offset:         0
        .size:           64
        .value_kind:     by_value
      - .offset:         64
        .size:           4
        .value_kind:     hidden_block_count_x
      - .offset:         68
        .size:           4
        .value_kind:     hidden_block_count_y
      - .offset:         72
        .size:           4
        .value_kind:     hidden_block_count_z
      - .offset:         76
        .size:           2
        .value_kind:     hidden_group_size_x
      - .offset:         78
        .size:           2
        .value_kind:     hidden_group_size_y
      - .offset:         80
        .size:           2
        .value_kind:     hidden_group_size_z
      - .offset:         82
        .size:           2
        .value_kind:     hidden_remainder_x
      - .offset:         84
        .size:           2
        .value_kind:     hidden_remainder_y
      - .offset:         86
        .size:           2
        .value_kind:     hidden_remainder_z
      - .offset:         104
        .size:           8
        .value_kind:     hidden_global_offset_x
      - .offset:         112
        .size:           8
        .value_kind:     hidden_global_offset_y
      - .offset:         120
        .size:           8
        .value_kind:     hidden_global_offset_z
      - .offset:         128
        .size:           2
        .value_kind:     hidden_grid_dims
    .group_segment_fixed_size: 8448
    .kernarg_segment_align: 8
    .kernarg_segment_size: 320
    .language:       OpenCL C
    .language_version:
      - 2
      - 0
    .max_flat_workgroup_size: 512
    .name:           _ZN7rocprim17ROCPRIM_400000_NS6detail17trampoline_kernelINS0_14default_configENS1_38merge_sort_block_merge_config_selectorIyyEEZZNS1_27merge_sort_block_merge_implIS3_N6thrust23THRUST_200600_302600_NS6detail15normal_iteratorINS8_10device_ptrIyEEEESD_jNS1_19radix_merge_compareILb0ELb0EyNS0_19identity_decomposerEEEEE10hipError_tT0_T1_T2_jT3_P12ihipStream_tbPNSt15iterator_traitsISI_E10value_typeEPNSO_ISJ_E10value_typeEPSK_NS1_7vsmem_tEENKUlT_SI_SJ_SK_E_clIPySD_S10_SD_EESH_SX_SI_SJ_SK_EUlSX_E0_NS1_11comp_targetILNS1_3genE0ELNS1_11target_archE4294967295ELNS1_3gpuE0ELNS1_3repE0EEENS1_38merge_mergepath_config_static_selectorELNS0_4arch9wavefront6targetE1EEEvSJ_
    .private_segment_fixed_size: 0
    .sgpr_count:     36
    .sgpr_spill_count: 0
    .symbol:         _ZN7rocprim17ROCPRIM_400000_NS6detail17trampoline_kernelINS0_14default_configENS1_38merge_sort_block_merge_config_selectorIyyEEZZNS1_27merge_sort_block_merge_implIS3_N6thrust23THRUST_200600_302600_NS6detail15normal_iteratorINS8_10device_ptrIyEEEESD_jNS1_19radix_merge_compareILb0ELb0EyNS0_19identity_decomposerEEEEE10hipError_tT0_T1_T2_jT3_P12ihipStream_tbPNSt15iterator_traitsISI_E10value_typeEPNSO_ISJ_E10value_typeEPSK_NS1_7vsmem_tEENKUlT_SI_SJ_SK_E_clIPySD_S10_SD_EESH_SX_SI_SJ_SK_EUlSX_E0_NS1_11comp_targetILNS1_3genE0ELNS1_11target_archE4294967295ELNS1_3gpuE0ELNS1_3repE0EEENS1_38merge_mergepath_config_static_selectorELNS0_4arch9wavefront6targetE1EEEvSJ_.kd
    .uniform_work_group_size: 1
    .uses_dynamic_stack: false
    .vgpr_count:     21
    .vgpr_spill_count: 0
    .wavefront_size: 64
  - .agpr_count:     0
    .args:
      - .offset:         0
        .size:           64
        .value_kind:     by_value
    .group_segment_fixed_size: 0
    .kernarg_segment_align: 8
    .kernarg_segment_size: 64
    .language:       OpenCL C
    .language_version:
      - 2
      - 0
    .max_flat_workgroup_size: 512
    .name:           _ZN7rocprim17ROCPRIM_400000_NS6detail17trampoline_kernelINS0_14default_configENS1_38merge_sort_block_merge_config_selectorIyyEEZZNS1_27merge_sort_block_merge_implIS3_N6thrust23THRUST_200600_302600_NS6detail15normal_iteratorINS8_10device_ptrIyEEEESD_jNS1_19radix_merge_compareILb0ELb0EyNS0_19identity_decomposerEEEEE10hipError_tT0_T1_T2_jT3_P12ihipStream_tbPNSt15iterator_traitsISI_E10value_typeEPNSO_ISJ_E10value_typeEPSK_NS1_7vsmem_tEENKUlT_SI_SJ_SK_E_clIPySD_S10_SD_EESH_SX_SI_SJ_SK_EUlSX_E0_NS1_11comp_targetILNS1_3genE10ELNS1_11target_archE1201ELNS1_3gpuE5ELNS1_3repE0EEENS1_38merge_mergepath_config_static_selectorELNS0_4arch9wavefront6targetE1EEEvSJ_
    .private_segment_fixed_size: 0
    .sgpr_count:     6
    .sgpr_spill_count: 0
    .symbol:         _ZN7rocprim17ROCPRIM_400000_NS6detail17trampoline_kernelINS0_14default_configENS1_38merge_sort_block_merge_config_selectorIyyEEZZNS1_27merge_sort_block_merge_implIS3_N6thrust23THRUST_200600_302600_NS6detail15normal_iteratorINS8_10device_ptrIyEEEESD_jNS1_19radix_merge_compareILb0ELb0EyNS0_19identity_decomposerEEEEE10hipError_tT0_T1_T2_jT3_P12ihipStream_tbPNSt15iterator_traitsISI_E10value_typeEPNSO_ISJ_E10value_typeEPSK_NS1_7vsmem_tEENKUlT_SI_SJ_SK_E_clIPySD_S10_SD_EESH_SX_SI_SJ_SK_EUlSX_E0_NS1_11comp_targetILNS1_3genE10ELNS1_11target_archE1201ELNS1_3gpuE5ELNS1_3repE0EEENS1_38merge_mergepath_config_static_selectorELNS0_4arch9wavefront6targetE1EEEvSJ_.kd
    .uniform_work_group_size: 1
    .uses_dynamic_stack: false
    .vgpr_count:     0
    .vgpr_spill_count: 0
    .wavefront_size: 64
  - .agpr_count:     0
    .args:
      - .offset:         0
        .size:           64
        .value_kind:     by_value
    .group_segment_fixed_size: 0
    .kernarg_segment_align: 8
    .kernarg_segment_size: 64
    .language:       OpenCL C
    .language_version:
      - 2
      - 0
    .max_flat_workgroup_size: 256
    .name:           _ZN7rocprim17ROCPRIM_400000_NS6detail17trampoline_kernelINS0_14default_configENS1_38merge_sort_block_merge_config_selectorIyyEEZZNS1_27merge_sort_block_merge_implIS3_N6thrust23THRUST_200600_302600_NS6detail15normal_iteratorINS8_10device_ptrIyEEEESD_jNS1_19radix_merge_compareILb0ELb0EyNS0_19identity_decomposerEEEEE10hipError_tT0_T1_T2_jT3_P12ihipStream_tbPNSt15iterator_traitsISI_E10value_typeEPNSO_ISJ_E10value_typeEPSK_NS1_7vsmem_tEENKUlT_SI_SJ_SK_E_clIPySD_S10_SD_EESH_SX_SI_SJ_SK_EUlSX_E0_NS1_11comp_targetILNS1_3genE5ELNS1_11target_archE942ELNS1_3gpuE9ELNS1_3repE0EEENS1_38merge_mergepath_config_static_selectorELNS0_4arch9wavefront6targetE1EEEvSJ_
    .private_segment_fixed_size: 0
    .sgpr_count:     6
    .sgpr_spill_count: 0
    .symbol:         _ZN7rocprim17ROCPRIM_400000_NS6detail17trampoline_kernelINS0_14default_configENS1_38merge_sort_block_merge_config_selectorIyyEEZZNS1_27merge_sort_block_merge_implIS3_N6thrust23THRUST_200600_302600_NS6detail15normal_iteratorINS8_10device_ptrIyEEEESD_jNS1_19radix_merge_compareILb0ELb0EyNS0_19identity_decomposerEEEEE10hipError_tT0_T1_T2_jT3_P12ihipStream_tbPNSt15iterator_traitsISI_E10value_typeEPNSO_ISJ_E10value_typeEPSK_NS1_7vsmem_tEENKUlT_SI_SJ_SK_E_clIPySD_S10_SD_EESH_SX_SI_SJ_SK_EUlSX_E0_NS1_11comp_targetILNS1_3genE5ELNS1_11target_archE942ELNS1_3gpuE9ELNS1_3repE0EEENS1_38merge_mergepath_config_static_selectorELNS0_4arch9wavefront6targetE1EEEvSJ_.kd
    .uniform_work_group_size: 1
    .uses_dynamic_stack: false
    .vgpr_count:     0
    .vgpr_spill_count: 0
    .wavefront_size: 64
  - .agpr_count:     0
    .args:
      - .offset:         0
        .size:           64
        .value_kind:     by_value
    .group_segment_fixed_size: 0
    .kernarg_segment_align: 8
    .kernarg_segment_size: 64
    .language:       OpenCL C
    .language_version:
      - 2
      - 0
    .max_flat_workgroup_size: 512
    .name:           _ZN7rocprim17ROCPRIM_400000_NS6detail17trampoline_kernelINS0_14default_configENS1_38merge_sort_block_merge_config_selectorIyyEEZZNS1_27merge_sort_block_merge_implIS3_N6thrust23THRUST_200600_302600_NS6detail15normal_iteratorINS8_10device_ptrIyEEEESD_jNS1_19radix_merge_compareILb0ELb0EyNS0_19identity_decomposerEEEEE10hipError_tT0_T1_T2_jT3_P12ihipStream_tbPNSt15iterator_traitsISI_E10value_typeEPNSO_ISJ_E10value_typeEPSK_NS1_7vsmem_tEENKUlT_SI_SJ_SK_E_clIPySD_S10_SD_EESH_SX_SI_SJ_SK_EUlSX_E0_NS1_11comp_targetILNS1_3genE4ELNS1_11target_archE910ELNS1_3gpuE8ELNS1_3repE0EEENS1_38merge_mergepath_config_static_selectorELNS0_4arch9wavefront6targetE1EEEvSJ_
    .private_segment_fixed_size: 0
    .sgpr_count:     6
    .sgpr_spill_count: 0
    .symbol:         _ZN7rocprim17ROCPRIM_400000_NS6detail17trampoline_kernelINS0_14default_configENS1_38merge_sort_block_merge_config_selectorIyyEEZZNS1_27merge_sort_block_merge_implIS3_N6thrust23THRUST_200600_302600_NS6detail15normal_iteratorINS8_10device_ptrIyEEEESD_jNS1_19radix_merge_compareILb0ELb0EyNS0_19identity_decomposerEEEEE10hipError_tT0_T1_T2_jT3_P12ihipStream_tbPNSt15iterator_traitsISI_E10value_typeEPNSO_ISJ_E10value_typeEPSK_NS1_7vsmem_tEENKUlT_SI_SJ_SK_E_clIPySD_S10_SD_EESH_SX_SI_SJ_SK_EUlSX_E0_NS1_11comp_targetILNS1_3genE4ELNS1_11target_archE910ELNS1_3gpuE8ELNS1_3repE0EEENS1_38merge_mergepath_config_static_selectorELNS0_4arch9wavefront6targetE1EEEvSJ_.kd
    .uniform_work_group_size: 1
    .uses_dynamic_stack: false
    .vgpr_count:     0
    .vgpr_spill_count: 0
    .wavefront_size: 64
  - .agpr_count:     0
    .args:
      - .offset:         0
        .size:           64
        .value_kind:     by_value
    .group_segment_fixed_size: 0
    .kernarg_segment_align: 8
    .kernarg_segment_size: 64
    .language:       OpenCL C
    .language_version:
      - 2
      - 0
    .max_flat_workgroup_size: 512
    .name:           _ZN7rocprim17ROCPRIM_400000_NS6detail17trampoline_kernelINS0_14default_configENS1_38merge_sort_block_merge_config_selectorIyyEEZZNS1_27merge_sort_block_merge_implIS3_N6thrust23THRUST_200600_302600_NS6detail15normal_iteratorINS8_10device_ptrIyEEEESD_jNS1_19radix_merge_compareILb0ELb0EyNS0_19identity_decomposerEEEEE10hipError_tT0_T1_T2_jT3_P12ihipStream_tbPNSt15iterator_traitsISI_E10value_typeEPNSO_ISJ_E10value_typeEPSK_NS1_7vsmem_tEENKUlT_SI_SJ_SK_E_clIPySD_S10_SD_EESH_SX_SI_SJ_SK_EUlSX_E0_NS1_11comp_targetILNS1_3genE3ELNS1_11target_archE908ELNS1_3gpuE7ELNS1_3repE0EEENS1_38merge_mergepath_config_static_selectorELNS0_4arch9wavefront6targetE1EEEvSJ_
    .private_segment_fixed_size: 0
    .sgpr_count:     6
    .sgpr_spill_count: 0
    .symbol:         _ZN7rocprim17ROCPRIM_400000_NS6detail17trampoline_kernelINS0_14default_configENS1_38merge_sort_block_merge_config_selectorIyyEEZZNS1_27merge_sort_block_merge_implIS3_N6thrust23THRUST_200600_302600_NS6detail15normal_iteratorINS8_10device_ptrIyEEEESD_jNS1_19radix_merge_compareILb0ELb0EyNS0_19identity_decomposerEEEEE10hipError_tT0_T1_T2_jT3_P12ihipStream_tbPNSt15iterator_traitsISI_E10value_typeEPNSO_ISJ_E10value_typeEPSK_NS1_7vsmem_tEENKUlT_SI_SJ_SK_E_clIPySD_S10_SD_EESH_SX_SI_SJ_SK_EUlSX_E0_NS1_11comp_targetILNS1_3genE3ELNS1_11target_archE908ELNS1_3gpuE7ELNS1_3repE0EEENS1_38merge_mergepath_config_static_selectorELNS0_4arch9wavefront6targetE1EEEvSJ_.kd
    .uniform_work_group_size: 1
    .uses_dynamic_stack: false
    .vgpr_count:     0
    .vgpr_spill_count: 0
    .wavefront_size: 64
  - .agpr_count:     0
    .args:
      - .offset:         0
        .size:           64
        .value_kind:     by_value
    .group_segment_fixed_size: 0
    .kernarg_segment_align: 8
    .kernarg_segment_size: 64
    .language:       OpenCL C
    .language_version:
      - 2
      - 0
    .max_flat_workgroup_size: 128
    .name:           _ZN7rocprim17ROCPRIM_400000_NS6detail17trampoline_kernelINS0_14default_configENS1_38merge_sort_block_merge_config_selectorIyyEEZZNS1_27merge_sort_block_merge_implIS3_N6thrust23THRUST_200600_302600_NS6detail15normal_iteratorINS8_10device_ptrIyEEEESD_jNS1_19radix_merge_compareILb0ELb0EyNS0_19identity_decomposerEEEEE10hipError_tT0_T1_T2_jT3_P12ihipStream_tbPNSt15iterator_traitsISI_E10value_typeEPNSO_ISJ_E10value_typeEPSK_NS1_7vsmem_tEENKUlT_SI_SJ_SK_E_clIPySD_S10_SD_EESH_SX_SI_SJ_SK_EUlSX_E0_NS1_11comp_targetILNS1_3genE2ELNS1_11target_archE906ELNS1_3gpuE6ELNS1_3repE0EEENS1_38merge_mergepath_config_static_selectorELNS0_4arch9wavefront6targetE1EEEvSJ_
    .private_segment_fixed_size: 0
    .sgpr_count:     6
    .sgpr_spill_count: 0
    .symbol:         _ZN7rocprim17ROCPRIM_400000_NS6detail17trampoline_kernelINS0_14default_configENS1_38merge_sort_block_merge_config_selectorIyyEEZZNS1_27merge_sort_block_merge_implIS3_N6thrust23THRUST_200600_302600_NS6detail15normal_iteratorINS8_10device_ptrIyEEEESD_jNS1_19radix_merge_compareILb0ELb0EyNS0_19identity_decomposerEEEEE10hipError_tT0_T1_T2_jT3_P12ihipStream_tbPNSt15iterator_traitsISI_E10value_typeEPNSO_ISJ_E10value_typeEPSK_NS1_7vsmem_tEENKUlT_SI_SJ_SK_E_clIPySD_S10_SD_EESH_SX_SI_SJ_SK_EUlSX_E0_NS1_11comp_targetILNS1_3genE2ELNS1_11target_archE906ELNS1_3gpuE6ELNS1_3repE0EEENS1_38merge_mergepath_config_static_selectorELNS0_4arch9wavefront6targetE1EEEvSJ_.kd
    .uniform_work_group_size: 1
    .uses_dynamic_stack: false
    .vgpr_count:     0
    .vgpr_spill_count: 0
    .wavefront_size: 64
  - .agpr_count:     0
    .args:
      - .offset:         0
        .size:           64
        .value_kind:     by_value
    .group_segment_fixed_size: 0
    .kernarg_segment_align: 8
    .kernarg_segment_size: 64
    .language:       OpenCL C
    .language_version:
      - 2
      - 0
    .max_flat_workgroup_size: 1024
    .name:           _ZN7rocprim17ROCPRIM_400000_NS6detail17trampoline_kernelINS0_14default_configENS1_38merge_sort_block_merge_config_selectorIyyEEZZNS1_27merge_sort_block_merge_implIS3_N6thrust23THRUST_200600_302600_NS6detail15normal_iteratorINS8_10device_ptrIyEEEESD_jNS1_19radix_merge_compareILb0ELb0EyNS0_19identity_decomposerEEEEE10hipError_tT0_T1_T2_jT3_P12ihipStream_tbPNSt15iterator_traitsISI_E10value_typeEPNSO_ISJ_E10value_typeEPSK_NS1_7vsmem_tEENKUlT_SI_SJ_SK_E_clIPySD_S10_SD_EESH_SX_SI_SJ_SK_EUlSX_E0_NS1_11comp_targetILNS1_3genE9ELNS1_11target_archE1100ELNS1_3gpuE3ELNS1_3repE0EEENS1_38merge_mergepath_config_static_selectorELNS0_4arch9wavefront6targetE1EEEvSJ_
    .private_segment_fixed_size: 0
    .sgpr_count:     6
    .sgpr_spill_count: 0
    .symbol:         _ZN7rocprim17ROCPRIM_400000_NS6detail17trampoline_kernelINS0_14default_configENS1_38merge_sort_block_merge_config_selectorIyyEEZZNS1_27merge_sort_block_merge_implIS3_N6thrust23THRUST_200600_302600_NS6detail15normal_iteratorINS8_10device_ptrIyEEEESD_jNS1_19radix_merge_compareILb0ELb0EyNS0_19identity_decomposerEEEEE10hipError_tT0_T1_T2_jT3_P12ihipStream_tbPNSt15iterator_traitsISI_E10value_typeEPNSO_ISJ_E10value_typeEPSK_NS1_7vsmem_tEENKUlT_SI_SJ_SK_E_clIPySD_S10_SD_EESH_SX_SI_SJ_SK_EUlSX_E0_NS1_11comp_targetILNS1_3genE9ELNS1_11target_archE1100ELNS1_3gpuE3ELNS1_3repE0EEENS1_38merge_mergepath_config_static_selectorELNS0_4arch9wavefront6targetE1EEEvSJ_.kd
    .uniform_work_group_size: 1
    .uses_dynamic_stack: false
    .vgpr_count:     0
    .vgpr_spill_count: 0
    .wavefront_size: 64
  - .agpr_count:     0
    .args:
      - .offset:         0
        .size:           64
        .value_kind:     by_value
    .group_segment_fixed_size: 0
    .kernarg_segment_align: 8
    .kernarg_segment_size: 64
    .language:       OpenCL C
    .language_version:
      - 2
      - 0
    .max_flat_workgroup_size: 1024
    .name:           _ZN7rocprim17ROCPRIM_400000_NS6detail17trampoline_kernelINS0_14default_configENS1_38merge_sort_block_merge_config_selectorIyyEEZZNS1_27merge_sort_block_merge_implIS3_N6thrust23THRUST_200600_302600_NS6detail15normal_iteratorINS8_10device_ptrIyEEEESD_jNS1_19radix_merge_compareILb0ELb0EyNS0_19identity_decomposerEEEEE10hipError_tT0_T1_T2_jT3_P12ihipStream_tbPNSt15iterator_traitsISI_E10value_typeEPNSO_ISJ_E10value_typeEPSK_NS1_7vsmem_tEENKUlT_SI_SJ_SK_E_clIPySD_S10_SD_EESH_SX_SI_SJ_SK_EUlSX_E0_NS1_11comp_targetILNS1_3genE8ELNS1_11target_archE1030ELNS1_3gpuE2ELNS1_3repE0EEENS1_38merge_mergepath_config_static_selectorELNS0_4arch9wavefront6targetE1EEEvSJ_
    .private_segment_fixed_size: 0
    .sgpr_count:     6
    .sgpr_spill_count: 0
    .symbol:         _ZN7rocprim17ROCPRIM_400000_NS6detail17trampoline_kernelINS0_14default_configENS1_38merge_sort_block_merge_config_selectorIyyEEZZNS1_27merge_sort_block_merge_implIS3_N6thrust23THRUST_200600_302600_NS6detail15normal_iteratorINS8_10device_ptrIyEEEESD_jNS1_19radix_merge_compareILb0ELb0EyNS0_19identity_decomposerEEEEE10hipError_tT0_T1_T2_jT3_P12ihipStream_tbPNSt15iterator_traitsISI_E10value_typeEPNSO_ISJ_E10value_typeEPSK_NS1_7vsmem_tEENKUlT_SI_SJ_SK_E_clIPySD_S10_SD_EESH_SX_SI_SJ_SK_EUlSX_E0_NS1_11comp_targetILNS1_3genE8ELNS1_11target_archE1030ELNS1_3gpuE2ELNS1_3repE0EEENS1_38merge_mergepath_config_static_selectorELNS0_4arch9wavefront6targetE1EEEvSJ_.kd
    .uniform_work_group_size: 1
    .uses_dynamic_stack: false
    .vgpr_count:     0
    .vgpr_spill_count: 0
    .wavefront_size: 64
  - .agpr_count:     0
    .args:
      - .offset:         0
        .size:           48
        .value_kind:     by_value
    .group_segment_fixed_size: 0
    .kernarg_segment_align: 8
    .kernarg_segment_size: 48
    .language:       OpenCL C
    .language_version:
      - 2
      - 0
    .max_flat_workgroup_size: 256
    .name:           _ZN7rocprim17ROCPRIM_400000_NS6detail17trampoline_kernelINS0_14default_configENS1_38merge_sort_block_merge_config_selectorIyyEEZZNS1_27merge_sort_block_merge_implIS3_N6thrust23THRUST_200600_302600_NS6detail15normal_iteratorINS8_10device_ptrIyEEEESD_jNS1_19radix_merge_compareILb0ELb0EyNS0_19identity_decomposerEEEEE10hipError_tT0_T1_T2_jT3_P12ihipStream_tbPNSt15iterator_traitsISI_E10value_typeEPNSO_ISJ_E10value_typeEPSK_NS1_7vsmem_tEENKUlT_SI_SJ_SK_E_clIPySD_S10_SD_EESH_SX_SI_SJ_SK_EUlSX_E1_NS1_11comp_targetILNS1_3genE0ELNS1_11target_archE4294967295ELNS1_3gpuE0ELNS1_3repE0EEENS1_36merge_oddeven_config_static_selectorELNS0_4arch9wavefront6targetE1EEEvSJ_
    .private_segment_fixed_size: 0
    .sgpr_count:     30
    .sgpr_spill_count: 0
    .symbol:         _ZN7rocprim17ROCPRIM_400000_NS6detail17trampoline_kernelINS0_14default_configENS1_38merge_sort_block_merge_config_selectorIyyEEZZNS1_27merge_sort_block_merge_implIS3_N6thrust23THRUST_200600_302600_NS6detail15normal_iteratorINS8_10device_ptrIyEEEESD_jNS1_19radix_merge_compareILb0ELb0EyNS0_19identity_decomposerEEEEE10hipError_tT0_T1_T2_jT3_P12ihipStream_tbPNSt15iterator_traitsISI_E10value_typeEPNSO_ISJ_E10value_typeEPSK_NS1_7vsmem_tEENKUlT_SI_SJ_SK_E_clIPySD_S10_SD_EESH_SX_SI_SJ_SK_EUlSX_E1_NS1_11comp_targetILNS1_3genE0ELNS1_11target_archE4294967295ELNS1_3gpuE0ELNS1_3repE0EEENS1_36merge_oddeven_config_static_selectorELNS0_4arch9wavefront6targetE1EEEvSJ_.kd
    .uniform_work_group_size: 1
    .uses_dynamic_stack: false
    .vgpr_count:     13
    .vgpr_spill_count: 0
    .wavefront_size: 64
  - .agpr_count:     0
    .args:
      - .offset:         0
        .size:           48
        .value_kind:     by_value
    .group_segment_fixed_size: 0
    .kernarg_segment_align: 8
    .kernarg_segment_size: 48
    .language:       OpenCL C
    .language_version:
      - 2
      - 0
    .max_flat_workgroup_size: 256
    .name:           _ZN7rocprim17ROCPRIM_400000_NS6detail17trampoline_kernelINS0_14default_configENS1_38merge_sort_block_merge_config_selectorIyyEEZZNS1_27merge_sort_block_merge_implIS3_N6thrust23THRUST_200600_302600_NS6detail15normal_iteratorINS8_10device_ptrIyEEEESD_jNS1_19radix_merge_compareILb0ELb0EyNS0_19identity_decomposerEEEEE10hipError_tT0_T1_T2_jT3_P12ihipStream_tbPNSt15iterator_traitsISI_E10value_typeEPNSO_ISJ_E10value_typeEPSK_NS1_7vsmem_tEENKUlT_SI_SJ_SK_E_clIPySD_S10_SD_EESH_SX_SI_SJ_SK_EUlSX_E1_NS1_11comp_targetILNS1_3genE10ELNS1_11target_archE1201ELNS1_3gpuE5ELNS1_3repE0EEENS1_36merge_oddeven_config_static_selectorELNS0_4arch9wavefront6targetE1EEEvSJ_
    .private_segment_fixed_size: 0
    .sgpr_count:     6
    .sgpr_spill_count: 0
    .symbol:         _ZN7rocprim17ROCPRIM_400000_NS6detail17trampoline_kernelINS0_14default_configENS1_38merge_sort_block_merge_config_selectorIyyEEZZNS1_27merge_sort_block_merge_implIS3_N6thrust23THRUST_200600_302600_NS6detail15normal_iteratorINS8_10device_ptrIyEEEESD_jNS1_19radix_merge_compareILb0ELb0EyNS0_19identity_decomposerEEEEE10hipError_tT0_T1_T2_jT3_P12ihipStream_tbPNSt15iterator_traitsISI_E10value_typeEPNSO_ISJ_E10value_typeEPSK_NS1_7vsmem_tEENKUlT_SI_SJ_SK_E_clIPySD_S10_SD_EESH_SX_SI_SJ_SK_EUlSX_E1_NS1_11comp_targetILNS1_3genE10ELNS1_11target_archE1201ELNS1_3gpuE5ELNS1_3repE0EEENS1_36merge_oddeven_config_static_selectorELNS0_4arch9wavefront6targetE1EEEvSJ_.kd
    .uniform_work_group_size: 1
    .uses_dynamic_stack: false
    .vgpr_count:     0
    .vgpr_spill_count: 0
    .wavefront_size: 64
  - .agpr_count:     0
    .args:
      - .offset:         0
        .size:           48
        .value_kind:     by_value
    .group_segment_fixed_size: 0
    .kernarg_segment_align: 8
    .kernarg_segment_size: 48
    .language:       OpenCL C
    .language_version:
      - 2
      - 0
    .max_flat_workgroup_size: 256
    .name:           _ZN7rocprim17ROCPRIM_400000_NS6detail17trampoline_kernelINS0_14default_configENS1_38merge_sort_block_merge_config_selectorIyyEEZZNS1_27merge_sort_block_merge_implIS3_N6thrust23THRUST_200600_302600_NS6detail15normal_iteratorINS8_10device_ptrIyEEEESD_jNS1_19radix_merge_compareILb0ELb0EyNS0_19identity_decomposerEEEEE10hipError_tT0_T1_T2_jT3_P12ihipStream_tbPNSt15iterator_traitsISI_E10value_typeEPNSO_ISJ_E10value_typeEPSK_NS1_7vsmem_tEENKUlT_SI_SJ_SK_E_clIPySD_S10_SD_EESH_SX_SI_SJ_SK_EUlSX_E1_NS1_11comp_targetILNS1_3genE5ELNS1_11target_archE942ELNS1_3gpuE9ELNS1_3repE0EEENS1_36merge_oddeven_config_static_selectorELNS0_4arch9wavefront6targetE1EEEvSJ_
    .private_segment_fixed_size: 0
    .sgpr_count:     6
    .sgpr_spill_count: 0
    .symbol:         _ZN7rocprim17ROCPRIM_400000_NS6detail17trampoline_kernelINS0_14default_configENS1_38merge_sort_block_merge_config_selectorIyyEEZZNS1_27merge_sort_block_merge_implIS3_N6thrust23THRUST_200600_302600_NS6detail15normal_iteratorINS8_10device_ptrIyEEEESD_jNS1_19radix_merge_compareILb0ELb0EyNS0_19identity_decomposerEEEEE10hipError_tT0_T1_T2_jT3_P12ihipStream_tbPNSt15iterator_traitsISI_E10value_typeEPNSO_ISJ_E10value_typeEPSK_NS1_7vsmem_tEENKUlT_SI_SJ_SK_E_clIPySD_S10_SD_EESH_SX_SI_SJ_SK_EUlSX_E1_NS1_11comp_targetILNS1_3genE5ELNS1_11target_archE942ELNS1_3gpuE9ELNS1_3repE0EEENS1_36merge_oddeven_config_static_selectorELNS0_4arch9wavefront6targetE1EEEvSJ_.kd
    .uniform_work_group_size: 1
    .uses_dynamic_stack: false
    .vgpr_count:     0
    .vgpr_spill_count: 0
    .wavefront_size: 64
  - .agpr_count:     0
    .args:
      - .offset:         0
        .size:           48
        .value_kind:     by_value
    .group_segment_fixed_size: 0
    .kernarg_segment_align: 8
    .kernarg_segment_size: 48
    .language:       OpenCL C
    .language_version:
      - 2
      - 0
    .max_flat_workgroup_size: 256
    .name:           _ZN7rocprim17ROCPRIM_400000_NS6detail17trampoline_kernelINS0_14default_configENS1_38merge_sort_block_merge_config_selectorIyyEEZZNS1_27merge_sort_block_merge_implIS3_N6thrust23THRUST_200600_302600_NS6detail15normal_iteratorINS8_10device_ptrIyEEEESD_jNS1_19radix_merge_compareILb0ELb0EyNS0_19identity_decomposerEEEEE10hipError_tT0_T1_T2_jT3_P12ihipStream_tbPNSt15iterator_traitsISI_E10value_typeEPNSO_ISJ_E10value_typeEPSK_NS1_7vsmem_tEENKUlT_SI_SJ_SK_E_clIPySD_S10_SD_EESH_SX_SI_SJ_SK_EUlSX_E1_NS1_11comp_targetILNS1_3genE4ELNS1_11target_archE910ELNS1_3gpuE8ELNS1_3repE0EEENS1_36merge_oddeven_config_static_selectorELNS0_4arch9wavefront6targetE1EEEvSJ_
    .private_segment_fixed_size: 0
    .sgpr_count:     6
    .sgpr_spill_count: 0
    .symbol:         _ZN7rocprim17ROCPRIM_400000_NS6detail17trampoline_kernelINS0_14default_configENS1_38merge_sort_block_merge_config_selectorIyyEEZZNS1_27merge_sort_block_merge_implIS3_N6thrust23THRUST_200600_302600_NS6detail15normal_iteratorINS8_10device_ptrIyEEEESD_jNS1_19radix_merge_compareILb0ELb0EyNS0_19identity_decomposerEEEEE10hipError_tT0_T1_T2_jT3_P12ihipStream_tbPNSt15iterator_traitsISI_E10value_typeEPNSO_ISJ_E10value_typeEPSK_NS1_7vsmem_tEENKUlT_SI_SJ_SK_E_clIPySD_S10_SD_EESH_SX_SI_SJ_SK_EUlSX_E1_NS1_11comp_targetILNS1_3genE4ELNS1_11target_archE910ELNS1_3gpuE8ELNS1_3repE0EEENS1_36merge_oddeven_config_static_selectorELNS0_4arch9wavefront6targetE1EEEvSJ_.kd
    .uniform_work_group_size: 1
    .uses_dynamic_stack: false
    .vgpr_count:     0
    .vgpr_spill_count: 0
    .wavefront_size: 64
  - .agpr_count:     0
    .args:
      - .offset:         0
        .size:           48
        .value_kind:     by_value
    .group_segment_fixed_size: 0
    .kernarg_segment_align: 8
    .kernarg_segment_size: 48
    .language:       OpenCL C
    .language_version:
      - 2
      - 0
    .max_flat_workgroup_size: 256
    .name:           _ZN7rocprim17ROCPRIM_400000_NS6detail17trampoline_kernelINS0_14default_configENS1_38merge_sort_block_merge_config_selectorIyyEEZZNS1_27merge_sort_block_merge_implIS3_N6thrust23THRUST_200600_302600_NS6detail15normal_iteratorINS8_10device_ptrIyEEEESD_jNS1_19radix_merge_compareILb0ELb0EyNS0_19identity_decomposerEEEEE10hipError_tT0_T1_T2_jT3_P12ihipStream_tbPNSt15iterator_traitsISI_E10value_typeEPNSO_ISJ_E10value_typeEPSK_NS1_7vsmem_tEENKUlT_SI_SJ_SK_E_clIPySD_S10_SD_EESH_SX_SI_SJ_SK_EUlSX_E1_NS1_11comp_targetILNS1_3genE3ELNS1_11target_archE908ELNS1_3gpuE7ELNS1_3repE0EEENS1_36merge_oddeven_config_static_selectorELNS0_4arch9wavefront6targetE1EEEvSJ_
    .private_segment_fixed_size: 0
    .sgpr_count:     6
    .sgpr_spill_count: 0
    .symbol:         _ZN7rocprim17ROCPRIM_400000_NS6detail17trampoline_kernelINS0_14default_configENS1_38merge_sort_block_merge_config_selectorIyyEEZZNS1_27merge_sort_block_merge_implIS3_N6thrust23THRUST_200600_302600_NS6detail15normal_iteratorINS8_10device_ptrIyEEEESD_jNS1_19radix_merge_compareILb0ELb0EyNS0_19identity_decomposerEEEEE10hipError_tT0_T1_T2_jT3_P12ihipStream_tbPNSt15iterator_traitsISI_E10value_typeEPNSO_ISJ_E10value_typeEPSK_NS1_7vsmem_tEENKUlT_SI_SJ_SK_E_clIPySD_S10_SD_EESH_SX_SI_SJ_SK_EUlSX_E1_NS1_11comp_targetILNS1_3genE3ELNS1_11target_archE908ELNS1_3gpuE7ELNS1_3repE0EEENS1_36merge_oddeven_config_static_selectorELNS0_4arch9wavefront6targetE1EEEvSJ_.kd
    .uniform_work_group_size: 1
    .uses_dynamic_stack: false
    .vgpr_count:     0
    .vgpr_spill_count: 0
    .wavefront_size: 64
  - .agpr_count:     0
    .args:
      - .offset:         0
        .size:           48
        .value_kind:     by_value
    .group_segment_fixed_size: 0
    .kernarg_segment_align: 8
    .kernarg_segment_size: 48
    .language:       OpenCL C
    .language_version:
      - 2
      - 0
    .max_flat_workgroup_size: 256
    .name:           _ZN7rocprim17ROCPRIM_400000_NS6detail17trampoline_kernelINS0_14default_configENS1_38merge_sort_block_merge_config_selectorIyyEEZZNS1_27merge_sort_block_merge_implIS3_N6thrust23THRUST_200600_302600_NS6detail15normal_iteratorINS8_10device_ptrIyEEEESD_jNS1_19radix_merge_compareILb0ELb0EyNS0_19identity_decomposerEEEEE10hipError_tT0_T1_T2_jT3_P12ihipStream_tbPNSt15iterator_traitsISI_E10value_typeEPNSO_ISJ_E10value_typeEPSK_NS1_7vsmem_tEENKUlT_SI_SJ_SK_E_clIPySD_S10_SD_EESH_SX_SI_SJ_SK_EUlSX_E1_NS1_11comp_targetILNS1_3genE2ELNS1_11target_archE906ELNS1_3gpuE6ELNS1_3repE0EEENS1_36merge_oddeven_config_static_selectorELNS0_4arch9wavefront6targetE1EEEvSJ_
    .private_segment_fixed_size: 0
    .sgpr_count:     6
    .sgpr_spill_count: 0
    .symbol:         _ZN7rocprim17ROCPRIM_400000_NS6detail17trampoline_kernelINS0_14default_configENS1_38merge_sort_block_merge_config_selectorIyyEEZZNS1_27merge_sort_block_merge_implIS3_N6thrust23THRUST_200600_302600_NS6detail15normal_iteratorINS8_10device_ptrIyEEEESD_jNS1_19radix_merge_compareILb0ELb0EyNS0_19identity_decomposerEEEEE10hipError_tT0_T1_T2_jT3_P12ihipStream_tbPNSt15iterator_traitsISI_E10value_typeEPNSO_ISJ_E10value_typeEPSK_NS1_7vsmem_tEENKUlT_SI_SJ_SK_E_clIPySD_S10_SD_EESH_SX_SI_SJ_SK_EUlSX_E1_NS1_11comp_targetILNS1_3genE2ELNS1_11target_archE906ELNS1_3gpuE6ELNS1_3repE0EEENS1_36merge_oddeven_config_static_selectorELNS0_4arch9wavefront6targetE1EEEvSJ_.kd
    .uniform_work_group_size: 1
    .uses_dynamic_stack: false
    .vgpr_count:     0
    .vgpr_spill_count: 0
    .wavefront_size: 64
  - .agpr_count:     0
    .args:
      - .offset:         0
        .size:           48
        .value_kind:     by_value
    .group_segment_fixed_size: 0
    .kernarg_segment_align: 8
    .kernarg_segment_size: 48
    .language:       OpenCL C
    .language_version:
      - 2
      - 0
    .max_flat_workgroup_size: 256
    .name:           _ZN7rocprim17ROCPRIM_400000_NS6detail17trampoline_kernelINS0_14default_configENS1_38merge_sort_block_merge_config_selectorIyyEEZZNS1_27merge_sort_block_merge_implIS3_N6thrust23THRUST_200600_302600_NS6detail15normal_iteratorINS8_10device_ptrIyEEEESD_jNS1_19radix_merge_compareILb0ELb0EyNS0_19identity_decomposerEEEEE10hipError_tT0_T1_T2_jT3_P12ihipStream_tbPNSt15iterator_traitsISI_E10value_typeEPNSO_ISJ_E10value_typeEPSK_NS1_7vsmem_tEENKUlT_SI_SJ_SK_E_clIPySD_S10_SD_EESH_SX_SI_SJ_SK_EUlSX_E1_NS1_11comp_targetILNS1_3genE9ELNS1_11target_archE1100ELNS1_3gpuE3ELNS1_3repE0EEENS1_36merge_oddeven_config_static_selectorELNS0_4arch9wavefront6targetE1EEEvSJ_
    .private_segment_fixed_size: 0
    .sgpr_count:     6
    .sgpr_spill_count: 0
    .symbol:         _ZN7rocprim17ROCPRIM_400000_NS6detail17trampoline_kernelINS0_14default_configENS1_38merge_sort_block_merge_config_selectorIyyEEZZNS1_27merge_sort_block_merge_implIS3_N6thrust23THRUST_200600_302600_NS6detail15normal_iteratorINS8_10device_ptrIyEEEESD_jNS1_19radix_merge_compareILb0ELb0EyNS0_19identity_decomposerEEEEE10hipError_tT0_T1_T2_jT3_P12ihipStream_tbPNSt15iterator_traitsISI_E10value_typeEPNSO_ISJ_E10value_typeEPSK_NS1_7vsmem_tEENKUlT_SI_SJ_SK_E_clIPySD_S10_SD_EESH_SX_SI_SJ_SK_EUlSX_E1_NS1_11comp_targetILNS1_3genE9ELNS1_11target_archE1100ELNS1_3gpuE3ELNS1_3repE0EEENS1_36merge_oddeven_config_static_selectorELNS0_4arch9wavefront6targetE1EEEvSJ_.kd
    .uniform_work_group_size: 1
    .uses_dynamic_stack: false
    .vgpr_count:     0
    .vgpr_spill_count: 0
    .wavefront_size: 64
  - .agpr_count:     0
    .args:
      - .offset:         0
        .size:           48
        .value_kind:     by_value
    .group_segment_fixed_size: 0
    .kernarg_segment_align: 8
    .kernarg_segment_size: 48
    .language:       OpenCL C
    .language_version:
      - 2
      - 0
    .max_flat_workgroup_size: 256
    .name:           _ZN7rocprim17ROCPRIM_400000_NS6detail17trampoline_kernelINS0_14default_configENS1_38merge_sort_block_merge_config_selectorIyyEEZZNS1_27merge_sort_block_merge_implIS3_N6thrust23THRUST_200600_302600_NS6detail15normal_iteratorINS8_10device_ptrIyEEEESD_jNS1_19radix_merge_compareILb0ELb0EyNS0_19identity_decomposerEEEEE10hipError_tT0_T1_T2_jT3_P12ihipStream_tbPNSt15iterator_traitsISI_E10value_typeEPNSO_ISJ_E10value_typeEPSK_NS1_7vsmem_tEENKUlT_SI_SJ_SK_E_clIPySD_S10_SD_EESH_SX_SI_SJ_SK_EUlSX_E1_NS1_11comp_targetILNS1_3genE8ELNS1_11target_archE1030ELNS1_3gpuE2ELNS1_3repE0EEENS1_36merge_oddeven_config_static_selectorELNS0_4arch9wavefront6targetE1EEEvSJ_
    .private_segment_fixed_size: 0
    .sgpr_count:     6
    .sgpr_spill_count: 0
    .symbol:         _ZN7rocprim17ROCPRIM_400000_NS6detail17trampoline_kernelINS0_14default_configENS1_38merge_sort_block_merge_config_selectorIyyEEZZNS1_27merge_sort_block_merge_implIS3_N6thrust23THRUST_200600_302600_NS6detail15normal_iteratorINS8_10device_ptrIyEEEESD_jNS1_19radix_merge_compareILb0ELb0EyNS0_19identity_decomposerEEEEE10hipError_tT0_T1_T2_jT3_P12ihipStream_tbPNSt15iterator_traitsISI_E10value_typeEPNSO_ISJ_E10value_typeEPSK_NS1_7vsmem_tEENKUlT_SI_SJ_SK_E_clIPySD_S10_SD_EESH_SX_SI_SJ_SK_EUlSX_E1_NS1_11comp_targetILNS1_3genE8ELNS1_11target_archE1030ELNS1_3gpuE2ELNS1_3repE0EEENS1_36merge_oddeven_config_static_selectorELNS0_4arch9wavefront6targetE1EEEvSJ_.kd
    .uniform_work_group_size: 1
    .uses_dynamic_stack: false
    .vgpr_count:     0
    .vgpr_spill_count: 0
    .wavefront_size: 64
  - .agpr_count:     0
    .args:
      - .offset:         0
        .size:           40
        .value_kind:     by_value
    .group_segment_fixed_size: 0
    .kernarg_segment_align: 8
    .kernarg_segment_size: 40
    .language:       OpenCL C
    .language_version:
      - 2
      - 0
    .max_flat_workgroup_size: 128
    .name:           _ZN7rocprim17ROCPRIM_400000_NS6detail17trampoline_kernelINS0_14default_configENS1_38merge_sort_block_merge_config_selectorIyyEEZZNS1_27merge_sort_block_merge_implIS3_N6thrust23THRUST_200600_302600_NS6detail15normal_iteratorINS8_10device_ptrIyEEEESD_jNS1_19radix_merge_compareILb0ELb0EyNS0_19identity_decomposerEEEEE10hipError_tT0_T1_T2_jT3_P12ihipStream_tbPNSt15iterator_traitsISI_E10value_typeEPNSO_ISJ_E10value_typeEPSK_NS1_7vsmem_tEENKUlT_SI_SJ_SK_E_clISD_PySD_S10_EESH_SX_SI_SJ_SK_EUlSX_E_NS1_11comp_targetILNS1_3genE0ELNS1_11target_archE4294967295ELNS1_3gpuE0ELNS1_3repE0EEENS1_48merge_mergepath_partition_config_static_selectorELNS0_4arch9wavefront6targetE1EEEvSJ_
    .private_segment_fixed_size: 0
    .sgpr_count:     14
    .sgpr_spill_count: 0
    .symbol:         _ZN7rocprim17ROCPRIM_400000_NS6detail17trampoline_kernelINS0_14default_configENS1_38merge_sort_block_merge_config_selectorIyyEEZZNS1_27merge_sort_block_merge_implIS3_N6thrust23THRUST_200600_302600_NS6detail15normal_iteratorINS8_10device_ptrIyEEEESD_jNS1_19radix_merge_compareILb0ELb0EyNS0_19identity_decomposerEEEEE10hipError_tT0_T1_T2_jT3_P12ihipStream_tbPNSt15iterator_traitsISI_E10value_typeEPNSO_ISJ_E10value_typeEPSK_NS1_7vsmem_tEENKUlT_SI_SJ_SK_E_clISD_PySD_S10_EESH_SX_SI_SJ_SK_EUlSX_E_NS1_11comp_targetILNS1_3genE0ELNS1_11target_archE4294967295ELNS1_3gpuE0ELNS1_3repE0EEENS1_48merge_mergepath_partition_config_static_selectorELNS0_4arch9wavefront6targetE1EEEvSJ_.kd
    .uniform_work_group_size: 1
    .uses_dynamic_stack: false
    .vgpr_count:     20
    .vgpr_spill_count: 0
    .wavefront_size: 64
  - .agpr_count:     0
    .args:
      - .offset:         0
        .size:           40
        .value_kind:     by_value
    .group_segment_fixed_size: 0
    .kernarg_segment_align: 8
    .kernarg_segment_size: 40
    .language:       OpenCL C
    .language_version:
      - 2
      - 0
    .max_flat_workgroup_size: 128
    .name:           _ZN7rocprim17ROCPRIM_400000_NS6detail17trampoline_kernelINS0_14default_configENS1_38merge_sort_block_merge_config_selectorIyyEEZZNS1_27merge_sort_block_merge_implIS3_N6thrust23THRUST_200600_302600_NS6detail15normal_iteratorINS8_10device_ptrIyEEEESD_jNS1_19radix_merge_compareILb0ELb0EyNS0_19identity_decomposerEEEEE10hipError_tT0_T1_T2_jT3_P12ihipStream_tbPNSt15iterator_traitsISI_E10value_typeEPNSO_ISJ_E10value_typeEPSK_NS1_7vsmem_tEENKUlT_SI_SJ_SK_E_clISD_PySD_S10_EESH_SX_SI_SJ_SK_EUlSX_E_NS1_11comp_targetILNS1_3genE10ELNS1_11target_archE1201ELNS1_3gpuE5ELNS1_3repE0EEENS1_48merge_mergepath_partition_config_static_selectorELNS0_4arch9wavefront6targetE1EEEvSJ_
    .private_segment_fixed_size: 0
    .sgpr_count:     6
    .sgpr_spill_count: 0
    .symbol:         _ZN7rocprim17ROCPRIM_400000_NS6detail17trampoline_kernelINS0_14default_configENS1_38merge_sort_block_merge_config_selectorIyyEEZZNS1_27merge_sort_block_merge_implIS3_N6thrust23THRUST_200600_302600_NS6detail15normal_iteratorINS8_10device_ptrIyEEEESD_jNS1_19radix_merge_compareILb0ELb0EyNS0_19identity_decomposerEEEEE10hipError_tT0_T1_T2_jT3_P12ihipStream_tbPNSt15iterator_traitsISI_E10value_typeEPNSO_ISJ_E10value_typeEPSK_NS1_7vsmem_tEENKUlT_SI_SJ_SK_E_clISD_PySD_S10_EESH_SX_SI_SJ_SK_EUlSX_E_NS1_11comp_targetILNS1_3genE10ELNS1_11target_archE1201ELNS1_3gpuE5ELNS1_3repE0EEENS1_48merge_mergepath_partition_config_static_selectorELNS0_4arch9wavefront6targetE1EEEvSJ_.kd
    .uniform_work_group_size: 1
    .uses_dynamic_stack: false
    .vgpr_count:     0
    .vgpr_spill_count: 0
    .wavefront_size: 64
  - .agpr_count:     0
    .args:
      - .offset:         0
        .size:           40
        .value_kind:     by_value
    .group_segment_fixed_size: 0
    .kernarg_segment_align: 8
    .kernarg_segment_size: 40
    .language:       OpenCL C
    .language_version:
      - 2
      - 0
    .max_flat_workgroup_size: 128
    .name:           _ZN7rocprim17ROCPRIM_400000_NS6detail17trampoline_kernelINS0_14default_configENS1_38merge_sort_block_merge_config_selectorIyyEEZZNS1_27merge_sort_block_merge_implIS3_N6thrust23THRUST_200600_302600_NS6detail15normal_iteratorINS8_10device_ptrIyEEEESD_jNS1_19radix_merge_compareILb0ELb0EyNS0_19identity_decomposerEEEEE10hipError_tT0_T1_T2_jT3_P12ihipStream_tbPNSt15iterator_traitsISI_E10value_typeEPNSO_ISJ_E10value_typeEPSK_NS1_7vsmem_tEENKUlT_SI_SJ_SK_E_clISD_PySD_S10_EESH_SX_SI_SJ_SK_EUlSX_E_NS1_11comp_targetILNS1_3genE5ELNS1_11target_archE942ELNS1_3gpuE9ELNS1_3repE0EEENS1_48merge_mergepath_partition_config_static_selectorELNS0_4arch9wavefront6targetE1EEEvSJ_
    .private_segment_fixed_size: 0
    .sgpr_count:     6
    .sgpr_spill_count: 0
    .symbol:         _ZN7rocprim17ROCPRIM_400000_NS6detail17trampoline_kernelINS0_14default_configENS1_38merge_sort_block_merge_config_selectorIyyEEZZNS1_27merge_sort_block_merge_implIS3_N6thrust23THRUST_200600_302600_NS6detail15normal_iteratorINS8_10device_ptrIyEEEESD_jNS1_19radix_merge_compareILb0ELb0EyNS0_19identity_decomposerEEEEE10hipError_tT0_T1_T2_jT3_P12ihipStream_tbPNSt15iterator_traitsISI_E10value_typeEPNSO_ISJ_E10value_typeEPSK_NS1_7vsmem_tEENKUlT_SI_SJ_SK_E_clISD_PySD_S10_EESH_SX_SI_SJ_SK_EUlSX_E_NS1_11comp_targetILNS1_3genE5ELNS1_11target_archE942ELNS1_3gpuE9ELNS1_3repE0EEENS1_48merge_mergepath_partition_config_static_selectorELNS0_4arch9wavefront6targetE1EEEvSJ_.kd
    .uniform_work_group_size: 1
    .uses_dynamic_stack: false
    .vgpr_count:     0
    .vgpr_spill_count: 0
    .wavefront_size: 64
  - .agpr_count:     0
    .args:
      - .offset:         0
        .size:           40
        .value_kind:     by_value
    .group_segment_fixed_size: 0
    .kernarg_segment_align: 8
    .kernarg_segment_size: 40
    .language:       OpenCL C
    .language_version:
      - 2
      - 0
    .max_flat_workgroup_size: 128
    .name:           _ZN7rocprim17ROCPRIM_400000_NS6detail17trampoline_kernelINS0_14default_configENS1_38merge_sort_block_merge_config_selectorIyyEEZZNS1_27merge_sort_block_merge_implIS3_N6thrust23THRUST_200600_302600_NS6detail15normal_iteratorINS8_10device_ptrIyEEEESD_jNS1_19radix_merge_compareILb0ELb0EyNS0_19identity_decomposerEEEEE10hipError_tT0_T1_T2_jT3_P12ihipStream_tbPNSt15iterator_traitsISI_E10value_typeEPNSO_ISJ_E10value_typeEPSK_NS1_7vsmem_tEENKUlT_SI_SJ_SK_E_clISD_PySD_S10_EESH_SX_SI_SJ_SK_EUlSX_E_NS1_11comp_targetILNS1_3genE4ELNS1_11target_archE910ELNS1_3gpuE8ELNS1_3repE0EEENS1_48merge_mergepath_partition_config_static_selectorELNS0_4arch9wavefront6targetE1EEEvSJ_
    .private_segment_fixed_size: 0
    .sgpr_count:     6
    .sgpr_spill_count: 0
    .symbol:         _ZN7rocprim17ROCPRIM_400000_NS6detail17trampoline_kernelINS0_14default_configENS1_38merge_sort_block_merge_config_selectorIyyEEZZNS1_27merge_sort_block_merge_implIS3_N6thrust23THRUST_200600_302600_NS6detail15normal_iteratorINS8_10device_ptrIyEEEESD_jNS1_19radix_merge_compareILb0ELb0EyNS0_19identity_decomposerEEEEE10hipError_tT0_T1_T2_jT3_P12ihipStream_tbPNSt15iterator_traitsISI_E10value_typeEPNSO_ISJ_E10value_typeEPSK_NS1_7vsmem_tEENKUlT_SI_SJ_SK_E_clISD_PySD_S10_EESH_SX_SI_SJ_SK_EUlSX_E_NS1_11comp_targetILNS1_3genE4ELNS1_11target_archE910ELNS1_3gpuE8ELNS1_3repE0EEENS1_48merge_mergepath_partition_config_static_selectorELNS0_4arch9wavefront6targetE1EEEvSJ_.kd
    .uniform_work_group_size: 1
    .uses_dynamic_stack: false
    .vgpr_count:     0
    .vgpr_spill_count: 0
    .wavefront_size: 64
  - .agpr_count:     0
    .args:
      - .offset:         0
        .size:           40
        .value_kind:     by_value
    .group_segment_fixed_size: 0
    .kernarg_segment_align: 8
    .kernarg_segment_size: 40
    .language:       OpenCL C
    .language_version:
      - 2
      - 0
    .max_flat_workgroup_size: 128
    .name:           _ZN7rocprim17ROCPRIM_400000_NS6detail17trampoline_kernelINS0_14default_configENS1_38merge_sort_block_merge_config_selectorIyyEEZZNS1_27merge_sort_block_merge_implIS3_N6thrust23THRUST_200600_302600_NS6detail15normal_iteratorINS8_10device_ptrIyEEEESD_jNS1_19radix_merge_compareILb0ELb0EyNS0_19identity_decomposerEEEEE10hipError_tT0_T1_T2_jT3_P12ihipStream_tbPNSt15iterator_traitsISI_E10value_typeEPNSO_ISJ_E10value_typeEPSK_NS1_7vsmem_tEENKUlT_SI_SJ_SK_E_clISD_PySD_S10_EESH_SX_SI_SJ_SK_EUlSX_E_NS1_11comp_targetILNS1_3genE3ELNS1_11target_archE908ELNS1_3gpuE7ELNS1_3repE0EEENS1_48merge_mergepath_partition_config_static_selectorELNS0_4arch9wavefront6targetE1EEEvSJ_
    .private_segment_fixed_size: 0
    .sgpr_count:     6
    .sgpr_spill_count: 0
    .symbol:         _ZN7rocprim17ROCPRIM_400000_NS6detail17trampoline_kernelINS0_14default_configENS1_38merge_sort_block_merge_config_selectorIyyEEZZNS1_27merge_sort_block_merge_implIS3_N6thrust23THRUST_200600_302600_NS6detail15normal_iteratorINS8_10device_ptrIyEEEESD_jNS1_19radix_merge_compareILb0ELb0EyNS0_19identity_decomposerEEEEE10hipError_tT0_T1_T2_jT3_P12ihipStream_tbPNSt15iterator_traitsISI_E10value_typeEPNSO_ISJ_E10value_typeEPSK_NS1_7vsmem_tEENKUlT_SI_SJ_SK_E_clISD_PySD_S10_EESH_SX_SI_SJ_SK_EUlSX_E_NS1_11comp_targetILNS1_3genE3ELNS1_11target_archE908ELNS1_3gpuE7ELNS1_3repE0EEENS1_48merge_mergepath_partition_config_static_selectorELNS0_4arch9wavefront6targetE1EEEvSJ_.kd
    .uniform_work_group_size: 1
    .uses_dynamic_stack: false
    .vgpr_count:     0
    .vgpr_spill_count: 0
    .wavefront_size: 64
  - .agpr_count:     0
    .args:
      - .offset:         0
        .size:           40
        .value_kind:     by_value
    .group_segment_fixed_size: 0
    .kernarg_segment_align: 8
    .kernarg_segment_size: 40
    .language:       OpenCL C
    .language_version:
      - 2
      - 0
    .max_flat_workgroup_size: 128
    .name:           _ZN7rocprim17ROCPRIM_400000_NS6detail17trampoline_kernelINS0_14default_configENS1_38merge_sort_block_merge_config_selectorIyyEEZZNS1_27merge_sort_block_merge_implIS3_N6thrust23THRUST_200600_302600_NS6detail15normal_iteratorINS8_10device_ptrIyEEEESD_jNS1_19radix_merge_compareILb0ELb0EyNS0_19identity_decomposerEEEEE10hipError_tT0_T1_T2_jT3_P12ihipStream_tbPNSt15iterator_traitsISI_E10value_typeEPNSO_ISJ_E10value_typeEPSK_NS1_7vsmem_tEENKUlT_SI_SJ_SK_E_clISD_PySD_S10_EESH_SX_SI_SJ_SK_EUlSX_E_NS1_11comp_targetILNS1_3genE2ELNS1_11target_archE906ELNS1_3gpuE6ELNS1_3repE0EEENS1_48merge_mergepath_partition_config_static_selectorELNS0_4arch9wavefront6targetE1EEEvSJ_
    .private_segment_fixed_size: 0
    .sgpr_count:     6
    .sgpr_spill_count: 0
    .symbol:         _ZN7rocprim17ROCPRIM_400000_NS6detail17trampoline_kernelINS0_14default_configENS1_38merge_sort_block_merge_config_selectorIyyEEZZNS1_27merge_sort_block_merge_implIS3_N6thrust23THRUST_200600_302600_NS6detail15normal_iteratorINS8_10device_ptrIyEEEESD_jNS1_19radix_merge_compareILb0ELb0EyNS0_19identity_decomposerEEEEE10hipError_tT0_T1_T2_jT3_P12ihipStream_tbPNSt15iterator_traitsISI_E10value_typeEPNSO_ISJ_E10value_typeEPSK_NS1_7vsmem_tEENKUlT_SI_SJ_SK_E_clISD_PySD_S10_EESH_SX_SI_SJ_SK_EUlSX_E_NS1_11comp_targetILNS1_3genE2ELNS1_11target_archE906ELNS1_3gpuE6ELNS1_3repE0EEENS1_48merge_mergepath_partition_config_static_selectorELNS0_4arch9wavefront6targetE1EEEvSJ_.kd
    .uniform_work_group_size: 1
    .uses_dynamic_stack: false
    .vgpr_count:     0
    .vgpr_spill_count: 0
    .wavefront_size: 64
  - .agpr_count:     0
    .args:
      - .offset:         0
        .size:           40
        .value_kind:     by_value
    .group_segment_fixed_size: 0
    .kernarg_segment_align: 8
    .kernarg_segment_size: 40
    .language:       OpenCL C
    .language_version:
      - 2
      - 0
    .max_flat_workgroup_size: 128
    .name:           _ZN7rocprim17ROCPRIM_400000_NS6detail17trampoline_kernelINS0_14default_configENS1_38merge_sort_block_merge_config_selectorIyyEEZZNS1_27merge_sort_block_merge_implIS3_N6thrust23THRUST_200600_302600_NS6detail15normal_iteratorINS8_10device_ptrIyEEEESD_jNS1_19radix_merge_compareILb0ELb0EyNS0_19identity_decomposerEEEEE10hipError_tT0_T1_T2_jT3_P12ihipStream_tbPNSt15iterator_traitsISI_E10value_typeEPNSO_ISJ_E10value_typeEPSK_NS1_7vsmem_tEENKUlT_SI_SJ_SK_E_clISD_PySD_S10_EESH_SX_SI_SJ_SK_EUlSX_E_NS1_11comp_targetILNS1_3genE9ELNS1_11target_archE1100ELNS1_3gpuE3ELNS1_3repE0EEENS1_48merge_mergepath_partition_config_static_selectorELNS0_4arch9wavefront6targetE1EEEvSJ_
    .private_segment_fixed_size: 0
    .sgpr_count:     6
    .sgpr_spill_count: 0
    .symbol:         _ZN7rocprim17ROCPRIM_400000_NS6detail17trampoline_kernelINS0_14default_configENS1_38merge_sort_block_merge_config_selectorIyyEEZZNS1_27merge_sort_block_merge_implIS3_N6thrust23THRUST_200600_302600_NS6detail15normal_iteratorINS8_10device_ptrIyEEEESD_jNS1_19radix_merge_compareILb0ELb0EyNS0_19identity_decomposerEEEEE10hipError_tT0_T1_T2_jT3_P12ihipStream_tbPNSt15iterator_traitsISI_E10value_typeEPNSO_ISJ_E10value_typeEPSK_NS1_7vsmem_tEENKUlT_SI_SJ_SK_E_clISD_PySD_S10_EESH_SX_SI_SJ_SK_EUlSX_E_NS1_11comp_targetILNS1_3genE9ELNS1_11target_archE1100ELNS1_3gpuE3ELNS1_3repE0EEENS1_48merge_mergepath_partition_config_static_selectorELNS0_4arch9wavefront6targetE1EEEvSJ_.kd
    .uniform_work_group_size: 1
    .uses_dynamic_stack: false
    .vgpr_count:     0
    .vgpr_spill_count: 0
    .wavefront_size: 64
  - .agpr_count:     0
    .args:
      - .offset:         0
        .size:           40
        .value_kind:     by_value
    .group_segment_fixed_size: 0
    .kernarg_segment_align: 8
    .kernarg_segment_size: 40
    .language:       OpenCL C
    .language_version:
      - 2
      - 0
    .max_flat_workgroup_size: 128
    .name:           _ZN7rocprim17ROCPRIM_400000_NS6detail17trampoline_kernelINS0_14default_configENS1_38merge_sort_block_merge_config_selectorIyyEEZZNS1_27merge_sort_block_merge_implIS3_N6thrust23THRUST_200600_302600_NS6detail15normal_iteratorINS8_10device_ptrIyEEEESD_jNS1_19radix_merge_compareILb0ELb0EyNS0_19identity_decomposerEEEEE10hipError_tT0_T1_T2_jT3_P12ihipStream_tbPNSt15iterator_traitsISI_E10value_typeEPNSO_ISJ_E10value_typeEPSK_NS1_7vsmem_tEENKUlT_SI_SJ_SK_E_clISD_PySD_S10_EESH_SX_SI_SJ_SK_EUlSX_E_NS1_11comp_targetILNS1_3genE8ELNS1_11target_archE1030ELNS1_3gpuE2ELNS1_3repE0EEENS1_48merge_mergepath_partition_config_static_selectorELNS0_4arch9wavefront6targetE1EEEvSJ_
    .private_segment_fixed_size: 0
    .sgpr_count:     6
    .sgpr_spill_count: 0
    .symbol:         _ZN7rocprim17ROCPRIM_400000_NS6detail17trampoline_kernelINS0_14default_configENS1_38merge_sort_block_merge_config_selectorIyyEEZZNS1_27merge_sort_block_merge_implIS3_N6thrust23THRUST_200600_302600_NS6detail15normal_iteratorINS8_10device_ptrIyEEEESD_jNS1_19radix_merge_compareILb0ELb0EyNS0_19identity_decomposerEEEEE10hipError_tT0_T1_T2_jT3_P12ihipStream_tbPNSt15iterator_traitsISI_E10value_typeEPNSO_ISJ_E10value_typeEPSK_NS1_7vsmem_tEENKUlT_SI_SJ_SK_E_clISD_PySD_S10_EESH_SX_SI_SJ_SK_EUlSX_E_NS1_11comp_targetILNS1_3genE8ELNS1_11target_archE1030ELNS1_3gpuE2ELNS1_3repE0EEENS1_48merge_mergepath_partition_config_static_selectorELNS0_4arch9wavefront6targetE1EEEvSJ_.kd
    .uniform_work_group_size: 1
    .uses_dynamic_stack: false
    .vgpr_count:     0
    .vgpr_spill_count: 0
    .wavefront_size: 64
  - .agpr_count:     0
    .args:
      - .offset:         0
        .size:           64
        .value_kind:     by_value
      - .offset:         64
        .size:           4
        .value_kind:     hidden_block_count_x
      - .offset:         68
        .size:           4
        .value_kind:     hidden_block_count_y
      - .offset:         72
        .size:           4
        .value_kind:     hidden_block_count_z
      - .offset:         76
        .size:           2
        .value_kind:     hidden_group_size_x
      - .offset:         78
        .size:           2
        .value_kind:     hidden_group_size_y
      - .offset:         80
        .size:           2
        .value_kind:     hidden_group_size_z
      - .offset:         82
        .size:           2
        .value_kind:     hidden_remainder_x
      - .offset:         84
        .size:           2
        .value_kind:     hidden_remainder_y
      - .offset:         86
        .size:           2
        .value_kind:     hidden_remainder_z
      - .offset:         104
        .size:           8
        .value_kind:     hidden_global_offset_x
      - .offset:         112
        .size:           8
        .value_kind:     hidden_global_offset_y
      - .offset:         120
        .size:           8
        .value_kind:     hidden_global_offset_z
      - .offset:         128
        .size:           2
        .value_kind:     hidden_grid_dims
    .group_segment_fixed_size: 8448
    .kernarg_segment_align: 8
    .kernarg_segment_size: 320
    .language:       OpenCL C
    .language_version:
      - 2
      - 0
    .max_flat_workgroup_size: 512
    .name:           _ZN7rocprim17ROCPRIM_400000_NS6detail17trampoline_kernelINS0_14default_configENS1_38merge_sort_block_merge_config_selectorIyyEEZZNS1_27merge_sort_block_merge_implIS3_N6thrust23THRUST_200600_302600_NS6detail15normal_iteratorINS8_10device_ptrIyEEEESD_jNS1_19radix_merge_compareILb0ELb0EyNS0_19identity_decomposerEEEEE10hipError_tT0_T1_T2_jT3_P12ihipStream_tbPNSt15iterator_traitsISI_E10value_typeEPNSO_ISJ_E10value_typeEPSK_NS1_7vsmem_tEENKUlT_SI_SJ_SK_E_clISD_PySD_S10_EESH_SX_SI_SJ_SK_EUlSX_E0_NS1_11comp_targetILNS1_3genE0ELNS1_11target_archE4294967295ELNS1_3gpuE0ELNS1_3repE0EEENS1_38merge_mergepath_config_static_selectorELNS0_4arch9wavefront6targetE1EEEvSJ_
    .private_segment_fixed_size: 0
    .sgpr_count:     36
    .sgpr_spill_count: 0
    .symbol:         _ZN7rocprim17ROCPRIM_400000_NS6detail17trampoline_kernelINS0_14default_configENS1_38merge_sort_block_merge_config_selectorIyyEEZZNS1_27merge_sort_block_merge_implIS3_N6thrust23THRUST_200600_302600_NS6detail15normal_iteratorINS8_10device_ptrIyEEEESD_jNS1_19radix_merge_compareILb0ELb0EyNS0_19identity_decomposerEEEEE10hipError_tT0_T1_T2_jT3_P12ihipStream_tbPNSt15iterator_traitsISI_E10value_typeEPNSO_ISJ_E10value_typeEPSK_NS1_7vsmem_tEENKUlT_SI_SJ_SK_E_clISD_PySD_S10_EESH_SX_SI_SJ_SK_EUlSX_E0_NS1_11comp_targetILNS1_3genE0ELNS1_11target_archE4294967295ELNS1_3gpuE0ELNS1_3repE0EEENS1_38merge_mergepath_config_static_selectorELNS0_4arch9wavefront6targetE1EEEvSJ_.kd
    .uniform_work_group_size: 1
    .uses_dynamic_stack: false
    .vgpr_count:     22
    .vgpr_spill_count: 0
    .wavefront_size: 64
  - .agpr_count:     0
    .args:
      - .offset:         0
        .size:           64
        .value_kind:     by_value
    .group_segment_fixed_size: 0
    .kernarg_segment_align: 8
    .kernarg_segment_size: 64
    .language:       OpenCL C
    .language_version:
      - 2
      - 0
    .max_flat_workgroup_size: 512
    .name:           _ZN7rocprim17ROCPRIM_400000_NS6detail17trampoline_kernelINS0_14default_configENS1_38merge_sort_block_merge_config_selectorIyyEEZZNS1_27merge_sort_block_merge_implIS3_N6thrust23THRUST_200600_302600_NS6detail15normal_iteratorINS8_10device_ptrIyEEEESD_jNS1_19radix_merge_compareILb0ELb0EyNS0_19identity_decomposerEEEEE10hipError_tT0_T1_T2_jT3_P12ihipStream_tbPNSt15iterator_traitsISI_E10value_typeEPNSO_ISJ_E10value_typeEPSK_NS1_7vsmem_tEENKUlT_SI_SJ_SK_E_clISD_PySD_S10_EESH_SX_SI_SJ_SK_EUlSX_E0_NS1_11comp_targetILNS1_3genE10ELNS1_11target_archE1201ELNS1_3gpuE5ELNS1_3repE0EEENS1_38merge_mergepath_config_static_selectorELNS0_4arch9wavefront6targetE1EEEvSJ_
    .private_segment_fixed_size: 0
    .sgpr_count:     6
    .sgpr_spill_count: 0
    .symbol:         _ZN7rocprim17ROCPRIM_400000_NS6detail17trampoline_kernelINS0_14default_configENS1_38merge_sort_block_merge_config_selectorIyyEEZZNS1_27merge_sort_block_merge_implIS3_N6thrust23THRUST_200600_302600_NS6detail15normal_iteratorINS8_10device_ptrIyEEEESD_jNS1_19radix_merge_compareILb0ELb0EyNS0_19identity_decomposerEEEEE10hipError_tT0_T1_T2_jT3_P12ihipStream_tbPNSt15iterator_traitsISI_E10value_typeEPNSO_ISJ_E10value_typeEPSK_NS1_7vsmem_tEENKUlT_SI_SJ_SK_E_clISD_PySD_S10_EESH_SX_SI_SJ_SK_EUlSX_E0_NS1_11comp_targetILNS1_3genE10ELNS1_11target_archE1201ELNS1_3gpuE5ELNS1_3repE0EEENS1_38merge_mergepath_config_static_selectorELNS0_4arch9wavefront6targetE1EEEvSJ_.kd
    .uniform_work_group_size: 1
    .uses_dynamic_stack: false
    .vgpr_count:     0
    .vgpr_spill_count: 0
    .wavefront_size: 64
  - .agpr_count:     0
    .args:
      - .offset:         0
        .size:           64
        .value_kind:     by_value
    .group_segment_fixed_size: 0
    .kernarg_segment_align: 8
    .kernarg_segment_size: 64
    .language:       OpenCL C
    .language_version:
      - 2
      - 0
    .max_flat_workgroup_size: 256
    .name:           _ZN7rocprim17ROCPRIM_400000_NS6detail17trampoline_kernelINS0_14default_configENS1_38merge_sort_block_merge_config_selectorIyyEEZZNS1_27merge_sort_block_merge_implIS3_N6thrust23THRUST_200600_302600_NS6detail15normal_iteratorINS8_10device_ptrIyEEEESD_jNS1_19radix_merge_compareILb0ELb0EyNS0_19identity_decomposerEEEEE10hipError_tT0_T1_T2_jT3_P12ihipStream_tbPNSt15iterator_traitsISI_E10value_typeEPNSO_ISJ_E10value_typeEPSK_NS1_7vsmem_tEENKUlT_SI_SJ_SK_E_clISD_PySD_S10_EESH_SX_SI_SJ_SK_EUlSX_E0_NS1_11comp_targetILNS1_3genE5ELNS1_11target_archE942ELNS1_3gpuE9ELNS1_3repE0EEENS1_38merge_mergepath_config_static_selectorELNS0_4arch9wavefront6targetE1EEEvSJ_
    .private_segment_fixed_size: 0
    .sgpr_count:     6
    .sgpr_spill_count: 0
    .symbol:         _ZN7rocprim17ROCPRIM_400000_NS6detail17trampoline_kernelINS0_14default_configENS1_38merge_sort_block_merge_config_selectorIyyEEZZNS1_27merge_sort_block_merge_implIS3_N6thrust23THRUST_200600_302600_NS6detail15normal_iteratorINS8_10device_ptrIyEEEESD_jNS1_19radix_merge_compareILb0ELb0EyNS0_19identity_decomposerEEEEE10hipError_tT0_T1_T2_jT3_P12ihipStream_tbPNSt15iterator_traitsISI_E10value_typeEPNSO_ISJ_E10value_typeEPSK_NS1_7vsmem_tEENKUlT_SI_SJ_SK_E_clISD_PySD_S10_EESH_SX_SI_SJ_SK_EUlSX_E0_NS1_11comp_targetILNS1_3genE5ELNS1_11target_archE942ELNS1_3gpuE9ELNS1_3repE0EEENS1_38merge_mergepath_config_static_selectorELNS0_4arch9wavefront6targetE1EEEvSJ_.kd
    .uniform_work_group_size: 1
    .uses_dynamic_stack: false
    .vgpr_count:     0
    .vgpr_spill_count: 0
    .wavefront_size: 64
  - .agpr_count:     0
    .args:
      - .offset:         0
        .size:           64
        .value_kind:     by_value
    .group_segment_fixed_size: 0
    .kernarg_segment_align: 8
    .kernarg_segment_size: 64
    .language:       OpenCL C
    .language_version:
      - 2
      - 0
    .max_flat_workgroup_size: 512
    .name:           _ZN7rocprim17ROCPRIM_400000_NS6detail17trampoline_kernelINS0_14default_configENS1_38merge_sort_block_merge_config_selectorIyyEEZZNS1_27merge_sort_block_merge_implIS3_N6thrust23THRUST_200600_302600_NS6detail15normal_iteratorINS8_10device_ptrIyEEEESD_jNS1_19radix_merge_compareILb0ELb0EyNS0_19identity_decomposerEEEEE10hipError_tT0_T1_T2_jT3_P12ihipStream_tbPNSt15iterator_traitsISI_E10value_typeEPNSO_ISJ_E10value_typeEPSK_NS1_7vsmem_tEENKUlT_SI_SJ_SK_E_clISD_PySD_S10_EESH_SX_SI_SJ_SK_EUlSX_E0_NS1_11comp_targetILNS1_3genE4ELNS1_11target_archE910ELNS1_3gpuE8ELNS1_3repE0EEENS1_38merge_mergepath_config_static_selectorELNS0_4arch9wavefront6targetE1EEEvSJ_
    .private_segment_fixed_size: 0
    .sgpr_count:     6
    .sgpr_spill_count: 0
    .symbol:         _ZN7rocprim17ROCPRIM_400000_NS6detail17trampoline_kernelINS0_14default_configENS1_38merge_sort_block_merge_config_selectorIyyEEZZNS1_27merge_sort_block_merge_implIS3_N6thrust23THRUST_200600_302600_NS6detail15normal_iteratorINS8_10device_ptrIyEEEESD_jNS1_19radix_merge_compareILb0ELb0EyNS0_19identity_decomposerEEEEE10hipError_tT0_T1_T2_jT3_P12ihipStream_tbPNSt15iterator_traitsISI_E10value_typeEPNSO_ISJ_E10value_typeEPSK_NS1_7vsmem_tEENKUlT_SI_SJ_SK_E_clISD_PySD_S10_EESH_SX_SI_SJ_SK_EUlSX_E0_NS1_11comp_targetILNS1_3genE4ELNS1_11target_archE910ELNS1_3gpuE8ELNS1_3repE0EEENS1_38merge_mergepath_config_static_selectorELNS0_4arch9wavefront6targetE1EEEvSJ_.kd
    .uniform_work_group_size: 1
    .uses_dynamic_stack: false
    .vgpr_count:     0
    .vgpr_spill_count: 0
    .wavefront_size: 64
  - .agpr_count:     0
    .args:
      - .offset:         0
        .size:           64
        .value_kind:     by_value
    .group_segment_fixed_size: 0
    .kernarg_segment_align: 8
    .kernarg_segment_size: 64
    .language:       OpenCL C
    .language_version:
      - 2
      - 0
    .max_flat_workgroup_size: 512
    .name:           _ZN7rocprim17ROCPRIM_400000_NS6detail17trampoline_kernelINS0_14default_configENS1_38merge_sort_block_merge_config_selectorIyyEEZZNS1_27merge_sort_block_merge_implIS3_N6thrust23THRUST_200600_302600_NS6detail15normal_iteratorINS8_10device_ptrIyEEEESD_jNS1_19radix_merge_compareILb0ELb0EyNS0_19identity_decomposerEEEEE10hipError_tT0_T1_T2_jT3_P12ihipStream_tbPNSt15iterator_traitsISI_E10value_typeEPNSO_ISJ_E10value_typeEPSK_NS1_7vsmem_tEENKUlT_SI_SJ_SK_E_clISD_PySD_S10_EESH_SX_SI_SJ_SK_EUlSX_E0_NS1_11comp_targetILNS1_3genE3ELNS1_11target_archE908ELNS1_3gpuE7ELNS1_3repE0EEENS1_38merge_mergepath_config_static_selectorELNS0_4arch9wavefront6targetE1EEEvSJ_
    .private_segment_fixed_size: 0
    .sgpr_count:     6
    .sgpr_spill_count: 0
    .symbol:         _ZN7rocprim17ROCPRIM_400000_NS6detail17trampoline_kernelINS0_14default_configENS1_38merge_sort_block_merge_config_selectorIyyEEZZNS1_27merge_sort_block_merge_implIS3_N6thrust23THRUST_200600_302600_NS6detail15normal_iteratorINS8_10device_ptrIyEEEESD_jNS1_19radix_merge_compareILb0ELb0EyNS0_19identity_decomposerEEEEE10hipError_tT0_T1_T2_jT3_P12ihipStream_tbPNSt15iterator_traitsISI_E10value_typeEPNSO_ISJ_E10value_typeEPSK_NS1_7vsmem_tEENKUlT_SI_SJ_SK_E_clISD_PySD_S10_EESH_SX_SI_SJ_SK_EUlSX_E0_NS1_11comp_targetILNS1_3genE3ELNS1_11target_archE908ELNS1_3gpuE7ELNS1_3repE0EEENS1_38merge_mergepath_config_static_selectorELNS0_4arch9wavefront6targetE1EEEvSJ_.kd
    .uniform_work_group_size: 1
    .uses_dynamic_stack: false
    .vgpr_count:     0
    .vgpr_spill_count: 0
    .wavefront_size: 64
  - .agpr_count:     0
    .args:
      - .offset:         0
        .size:           64
        .value_kind:     by_value
    .group_segment_fixed_size: 0
    .kernarg_segment_align: 8
    .kernarg_segment_size: 64
    .language:       OpenCL C
    .language_version:
      - 2
      - 0
    .max_flat_workgroup_size: 128
    .name:           _ZN7rocprim17ROCPRIM_400000_NS6detail17trampoline_kernelINS0_14default_configENS1_38merge_sort_block_merge_config_selectorIyyEEZZNS1_27merge_sort_block_merge_implIS3_N6thrust23THRUST_200600_302600_NS6detail15normal_iteratorINS8_10device_ptrIyEEEESD_jNS1_19radix_merge_compareILb0ELb0EyNS0_19identity_decomposerEEEEE10hipError_tT0_T1_T2_jT3_P12ihipStream_tbPNSt15iterator_traitsISI_E10value_typeEPNSO_ISJ_E10value_typeEPSK_NS1_7vsmem_tEENKUlT_SI_SJ_SK_E_clISD_PySD_S10_EESH_SX_SI_SJ_SK_EUlSX_E0_NS1_11comp_targetILNS1_3genE2ELNS1_11target_archE906ELNS1_3gpuE6ELNS1_3repE0EEENS1_38merge_mergepath_config_static_selectorELNS0_4arch9wavefront6targetE1EEEvSJ_
    .private_segment_fixed_size: 0
    .sgpr_count:     6
    .sgpr_spill_count: 0
    .symbol:         _ZN7rocprim17ROCPRIM_400000_NS6detail17trampoline_kernelINS0_14default_configENS1_38merge_sort_block_merge_config_selectorIyyEEZZNS1_27merge_sort_block_merge_implIS3_N6thrust23THRUST_200600_302600_NS6detail15normal_iteratorINS8_10device_ptrIyEEEESD_jNS1_19radix_merge_compareILb0ELb0EyNS0_19identity_decomposerEEEEE10hipError_tT0_T1_T2_jT3_P12ihipStream_tbPNSt15iterator_traitsISI_E10value_typeEPNSO_ISJ_E10value_typeEPSK_NS1_7vsmem_tEENKUlT_SI_SJ_SK_E_clISD_PySD_S10_EESH_SX_SI_SJ_SK_EUlSX_E0_NS1_11comp_targetILNS1_3genE2ELNS1_11target_archE906ELNS1_3gpuE6ELNS1_3repE0EEENS1_38merge_mergepath_config_static_selectorELNS0_4arch9wavefront6targetE1EEEvSJ_.kd
    .uniform_work_group_size: 1
    .uses_dynamic_stack: false
    .vgpr_count:     0
    .vgpr_spill_count: 0
    .wavefront_size: 64
  - .agpr_count:     0
    .args:
      - .offset:         0
        .size:           64
        .value_kind:     by_value
    .group_segment_fixed_size: 0
    .kernarg_segment_align: 8
    .kernarg_segment_size: 64
    .language:       OpenCL C
    .language_version:
      - 2
      - 0
    .max_flat_workgroup_size: 1024
    .name:           _ZN7rocprim17ROCPRIM_400000_NS6detail17trampoline_kernelINS0_14default_configENS1_38merge_sort_block_merge_config_selectorIyyEEZZNS1_27merge_sort_block_merge_implIS3_N6thrust23THRUST_200600_302600_NS6detail15normal_iteratorINS8_10device_ptrIyEEEESD_jNS1_19radix_merge_compareILb0ELb0EyNS0_19identity_decomposerEEEEE10hipError_tT0_T1_T2_jT3_P12ihipStream_tbPNSt15iterator_traitsISI_E10value_typeEPNSO_ISJ_E10value_typeEPSK_NS1_7vsmem_tEENKUlT_SI_SJ_SK_E_clISD_PySD_S10_EESH_SX_SI_SJ_SK_EUlSX_E0_NS1_11comp_targetILNS1_3genE9ELNS1_11target_archE1100ELNS1_3gpuE3ELNS1_3repE0EEENS1_38merge_mergepath_config_static_selectorELNS0_4arch9wavefront6targetE1EEEvSJ_
    .private_segment_fixed_size: 0
    .sgpr_count:     6
    .sgpr_spill_count: 0
    .symbol:         _ZN7rocprim17ROCPRIM_400000_NS6detail17trampoline_kernelINS0_14default_configENS1_38merge_sort_block_merge_config_selectorIyyEEZZNS1_27merge_sort_block_merge_implIS3_N6thrust23THRUST_200600_302600_NS6detail15normal_iteratorINS8_10device_ptrIyEEEESD_jNS1_19radix_merge_compareILb0ELb0EyNS0_19identity_decomposerEEEEE10hipError_tT0_T1_T2_jT3_P12ihipStream_tbPNSt15iterator_traitsISI_E10value_typeEPNSO_ISJ_E10value_typeEPSK_NS1_7vsmem_tEENKUlT_SI_SJ_SK_E_clISD_PySD_S10_EESH_SX_SI_SJ_SK_EUlSX_E0_NS1_11comp_targetILNS1_3genE9ELNS1_11target_archE1100ELNS1_3gpuE3ELNS1_3repE0EEENS1_38merge_mergepath_config_static_selectorELNS0_4arch9wavefront6targetE1EEEvSJ_.kd
    .uniform_work_group_size: 1
    .uses_dynamic_stack: false
    .vgpr_count:     0
    .vgpr_spill_count: 0
    .wavefront_size: 64
  - .agpr_count:     0
    .args:
      - .offset:         0
        .size:           64
        .value_kind:     by_value
    .group_segment_fixed_size: 0
    .kernarg_segment_align: 8
    .kernarg_segment_size: 64
    .language:       OpenCL C
    .language_version:
      - 2
      - 0
    .max_flat_workgroup_size: 1024
    .name:           _ZN7rocprim17ROCPRIM_400000_NS6detail17trampoline_kernelINS0_14default_configENS1_38merge_sort_block_merge_config_selectorIyyEEZZNS1_27merge_sort_block_merge_implIS3_N6thrust23THRUST_200600_302600_NS6detail15normal_iteratorINS8_10device_ptrIyEEEESD_jNS1_19radix_merge_compareILb0ELb0EyNS0_19identity_decomposerEEEEE10hipError_tT0_T1_T2_jT3_P12ihipStream_tbPNSt15iterator_traitsISI_E10value_typeEPNSO_ISJ_E10value_typeEPSK_NS1_7vsmem_tEENKUlT_SI_SJ_SK_E_clISD_PySD_S10_EESH_SX_SI_SJ_SK_EUlSX_E0_NS1_11comp_targetILNS1_3genE8ELNS1_11target_archE1030ELNS1_3gpuE2ELNS1_3repE0EEENS1_38merge_mergepath_config_static_selectorELNS0_4arch9wavefront6targetE1EEEvSJ_
    .private_segment_fixed_size: 0
    .sgpr_count:     6
    .sgpr_spill_count: 0
    .symbol:         _ZN7rocprim17ROCPRIM_400000_NS6detail17trampoline_kernelINS0_14default_configENS1_38merge_sort_block_merge_config_selectorIyyEEZZNS1_27merge_sort_block_merge_implIS3_N6thrust23THRUST_200600_302600_NS6detail15normal_iteratorINS8_10device_ptrIyEEEESD_jNS1_19radix_merge_compareILb0ELb0EyNS0_19identity_decomposerEEEEE10hipError_tT0_T1_T2_jT3_P12ihipStream_tbPNSt15iterator_traitsISI_E10value_typeEPNSO_ISJ_E10value_typeEPSK_NS1_7vsmem_tEENKUlT_SI_SJ_SK_E_clISD_PySD_S10_EESH_SX_SI_SJ_SK_EUlSX_E0_NS1_11comp_targetILNS1_3genE8ELNS1_11target_archE1030ELNS1_3gpuE2ELNS1_3repE0EEENS1_38merge_mergepath_config_static_selectorELNS0_4arch9wavefront6targetE1EEEvSJ_.kd
    .uniform_work_group_size: 1
    .uses_dynamic_stack: false
    .vgpr_count:     0
    .vgpr_spill_count: 0
    .wavefront_size: 64
  - .agpr_count:     0
    .args:
      - .offset:         0
        .size:           48
        .value_kind:     by_value
    .group_segment_fixed_size: 0
    .kernarg_segment_align: 8
    .kernarg_segment_size: 48
    .language:       OpenCL C
    .language_version:
      - 2
      - 0
    .max_flat_workgroup_size: 256
    .name:           _ZN7rocprim17ROCPRIM_400000_NS6detail17trampoline_kernelINS0_14default_configENS1_38merge_sort_block_merge_config_selectorIyyEEZZNS1_27merge_sort_block_merge_implIS3_N6thrust23THRUST_200600_302600_NS6detail15normal_iteratorINS8_10device_ptrIyEEEESD_jNS1_19radix_merge_compareILb0ELb0EyNS0_19identity_decomposerEEEEE10hipError_tT0_T1_T2_jT3_P12ihipStream_tbPNSt15iterator_traitsISI_E10value_typeEPNSO_ISJ_E10value_typeEPSK_NS1_7vsmem_tEENKUlT_SI_SJ_SK_E_clISD_PySD_S10_EESH_SX_SI_SJ_SK_EUlSX_E1_NS1_11comp_targetILNS1_3genE0ELNS1_11target_archE4294967295ELNS1_3gpuE0ELNS1_3repE0EEENS1_36merge_oddeven_config_static_selectorELNS0_4arch9wavefront6targetE1EEEvSJ_
    .private_segment_fixed_size: 0
    .sgpr_count:     30
    .sgpr_spill_count: 0
    .symbol:         _ZN7rocprim17ROCPRIM_400000_NS6detail17trampoline_kernelINS0_14default_configENS1_38merge_sort_block_merge_config_selectorIyyEEZZNS1_27merge_sort_block_merge_implIS3_N6thrust23THRUST_200600_302600_NS6detail15normal_iteratorINS8_10device_ptrIyEEEESD_jNS1_19radix_merge_compareILb0ELb0EyNS0_19identity_decomposerEEEEE10hipError_tT0_T1_T2_jT3_P12ihipStream_tbPNSt15iterator_traitsISI_E10value_typeEPNSO_ISJ_E10value_typeEPSK_NS1_7vsmem_tEENKUlT_SI_SJ_SK_E_clISD_PySD_S10_EESH_SX_SI_SJ_SK_EUlSX_E1_NS1_11comp_targetILNS1_3genE0ELNS1_11target_archE4294967295ELNS1_3gpuE0ELNS1_3repE0EEENS1_36merge_oddeven_config_static_selectorELNS0_4arch9wavefront6targetE1EEEvSJ_.kd
    .uniform_work_group_size: 1
    .uses_dynamic_stack: false
    .vgpr_count:     13
    .vgpr_spill_count: 0
    .wavefront_size: 64
  - .agpr_count:     0
    .args:
      - .offset:         0
        .size:           48
        .value_kind:     by_value
    .group_segment_fixed_size: 0
    .kernarg_segment_align: 8
    .kernarg_segment_size: 48
    .language:       OpenCL C
    .language_version:
      - 2
      - 0
    .max_flat_workgroup_size: 256
    .name:           _ZN7rocprim17ROCPRIM_400000_NS6detail17trampoline_kernelINS0_14default_configENS1_38merge_sort_block_merge_config_selectorIyyEEZZNS1_27merge_sort_block_merge_implIS3_N6thrust23THRUST_200600_302600_NS6detail15normal_iteratorINS8_10device_ptrIyEEEESD_jNS1_19radix_merge_compareILb0ELb0EyNS0_19identity_decomposerEEEEE10hipError_tT0_T1_T2_jT3_P12ihipStream_tbPNSt15iterator_traitsISI_E10value_typeEPNSO_ISJ_E10value_typeEPSK_NS1_7vsmem_tEENKUlT_SI_SJ_SK_E_clISD_PySD_S10_EESH_SX_SI_SJ_SK_EUlSX_E1_NS1_11comp_targetILNS1_3genE10ELNS1_11target_archE1201ELNS1_3gpuE5ELNS1_3repE0EEENS1_36merge_oddeven_config_static_selectorELNS0_4arch9wavefront6targetE1EEEvSJ_
    .private_segment_fixed_size: 0
    .sgpr_count:     6
    .sgpr_spill_count: 0
    .symbol:         _ZN7rocprim17ROCPRIM_400000_NS6detail17trampoline_kernelINS0_14default_configENS1_38merge_sort_block_merge_config_selectorIyyEEZZNS1_27merge_sort_block_merge_implIS3_N6thrust23THRUST_200600_302600_NS6detail15normal_iteratorINS8_10device_ptrIyEEEESD_jNS1_19radix_merge_compareILb0ELb0EyNS0_19identity_decomposerEEEEE10hipError_tT0_T1_T2_jT3_P12ihipStream_tbPNSt15iterator_traitsISI_E10value_typeEPNSO_ISJ_E10value_typeEPSK_NS1_7vsmem_tEENKUlT_SI_SJ_SK_E_clISD_PySD_S10_EESH_SX_SI_SJ_SK_EUlSX_E1_NS1_11comp_targetILNS1_3genE10ELNS1_11target_archE1201ELNS1_3gpuE5ELNS1_3repE0EEENS1_36merge_oddeven_config_static_selectorELNS0_4arch9wavefront6targetE1EEEvSJ_.kd
    .uniform_work_group_size: 1
    .uses_dynamic_stack: false
    .vgpr_count:     0
    .vgpr_spill_count: 0
    .wavefront_size: 64
  - .agpr_count:     0
    .args:
      - .offset:         0
        .size:           48
        .value_kind:     by_value
    .group_segment_fixed_size: 0
    .kernarg_segment_align: 8
    .kernarg_segment_size: 48
    .language:       OpenCL C
    .language_version:
      - 2
      - 0
    .max_flat_workgroup_size: 256
    .name:           _ZN7rocprim17ROCPRIM_400000_NS6detail17trampoline_kernelINS0_14default_configENS1_38merge_sort_block_merge_config_selectorIyyEEZZNS1_27merge_sort_block_merge_implIS3_N6thrust23THRUST_200600_302600_NS6detail15normal_iteratorINS8_10device_ptrIyEEEESD_jNS1_19radix_merge_compareILb0ELb0EyNS0_19identity_decomposerEEEEE10hipError_tT0_T1_T2_jT3_P12ihipStream_tbPNSt15iterator_traitsISI_E10value_typeEPNSO_ISJ_E10value_typeEPSK_NS1_7vsmem_tEENKUlT_SI_SJ_SK_E_clISD_PySD_S10_EESH_SX_SI_SJ_SK_EUlSX_E1_NS1_11comp_targetILNS1_3genE5ELNS1_11target_archE942ELNS1_3gpuE9ELNS1_3repE0EEENS1_36merge_oddeven_config_static_selectorELNS0_4arch9wavefront6targetE1EEEvSJ_
    .private_segment_fixed_size: 0
    .sgpr_count:     6
    .sgpr_spill_count: 0
    .symbol:         _ZN7rocprim17ROCPRIM_400000_NS6detail17trampoline_kernelINS0_14default_configENS1_38merge_sort_block_merge_config_selectorIyyEEZZNS1_27merge_sort_block_merge_implIS3_N6thrust23THRUST_200600_302600_NS6detail15normal_iteratorINS8_10device_ptrIyEEEESD_jNS1_19radix_merge_compareILb0ELb0EyNS0_19identity_decomposerEEEEE10hipError_tT0_T1_T2_jT3_P12ihipStream_tbPNSt15iterator_traitsISI_E10value_typeEPNSO_ISJ_E10value_typeEPSK_NS1_7vsmem_tEENKUlT_SI_SJ_SK_E_clISD_PySD_S10_EESH_SX_SI_SJ_SK_EUlSX_E1_NS1_11comp_targetILNS1_3genE5ELNS1_11target_archE942ELNS1_3gpuE9ELNS1_3repE0EEENS1_36merge_oddeven_config_static_selectorELNS0_4arch9wavefront6targetE1EEEvSJ_.kd
    .uniform_work_group_size: 1
    .uses_dynamic_stack: false
    .vgpr_count:     0
    .vgpr_spill_count: 0
    .wavefront_size: 64
  - .agpr_count:     0
    .args:
      - .offset:         0
        .size:           48
        .value_kind:     by_value
    .group_segment_fixed_size: 0
    .kernarg_segment_align: 8
    .kernarg_segment_size: 48
    .language:       OpenCL C
    .language_version:
      - 2
      - 0
    .max_flat_workgroup_size: 256
    .name:           _ZN7rocprim17ROCPRIM_400000_NS6detail17trampoline_kernelINS0_14default_configENS1_38merge_sort_block_merge_config_selectorIyyEEZZNS1_27merge_sort_block_merge_implIS3_N6thrust23THRUST_200600_302600_NS6detail15normal_iteratorINS8_10device_ptrIyEEEESD_jNS1_19radix_merge_compareILb0ELb0EyNS0_19identity_decomposerEEEEE10hipError_tT0_T1_T2_jT3_P12ihipStream_tbPNSt15iterator_traitsISI_E10value_typeEPNSO_ISJ_E10value_typeEPSK_NS1_7vsmem_tEENKUlT_SI_SJ_SK_E_clISD_PySD_S10_EESH_SX_SI_SJ_SK_EUlSX_E1_NS1_11comp_targetILNS1_3genE4ELNS1_11target_archE910ELNS1_3gpuE8ELNS1_3repE0EEENS1_36merge_oddeven_config_static_selectorELNS0_4arch9wavefront6targetE1EEEvSJ_
    .private_segment_fixed_size: 0
    .sgpr_count:     6
    .sgpr_spill_count: 0
    .symbol:         _ZN7rocprim17ROCPRIM_400000_NS6detail17trampoline_kernelINS0_14default_configENS1_38merge_sort_block_merge_config_selectorIyyEEZZNS1_27merge_sort_block_merge_implIS3_N6thrust23THRUST_200600_302600_NS6detail15normal_iteratorINS8_10device_ptrIyEEEESD_jNS1_19radix_merge_compareILb0ELb0EyNS0_19identity_decomposerEEEEE10hipError_tT0_T1_T2_jT3_P12ihipStream_tbPNSt15iterator_traitsISI_E10value_typeEPNSO_ISJ_E10value_typeEPSK_NS1_7vsmem_tEENKUlT_SI_SJ_SK_E_clISD_PySD_S10_EESH_SX_SI_SJ_SK_EUlSX_E1_NS1_11comp_targetILNS1_3genE4ELNS1_11target_archE910ELNS1_3gpuE8ELNS1_3repE0EEENS1_36merge_oddeven_config_static_selectorELNS0_4arch9wavefront6targetE1EEEvSJ_.kd
    .uniform_work_group_size: 1
    .uses_dynamic_stack: false
    .vgpr_count:     0
    .vgpr_spill_count: 0
    .wavefront_size: 64
  - .agpr_count:     0
    .args:
      - .offset:         0
        .size:           48
        .value_kind:     by_value
    .group_segment_fixed_size: 0
    .kernarg_segment_align: 8
    .kernarg_segment_size: 48
    .language:       OpenCL C
    .language_version:
      - 2
      - 0
    .max_flat_workgroup_size: 256
    .name:           _ZN7rocprim17ROCPRIM_400000_NS6detail17trampoline_kernelINS0_14default_configENS1_38merge_sort_block_merge_config_selectorIyyEEZZNS1_27merge_sort_block_merge_implIS3_N6thrust23THRUST_200600_302600_NS6detail15normal_iteratorINS8_10device_ptrIyEEEESD_jNS1_19radix_merge_compareILb0ELb0EyNS0_19identity_decomposerEEEEE10hipError_tT0_T1_T2_jT3_P12ihipStream_tbPNSt15iterator_traitsISI_E10value_typeEPNSO_ISJ_E10value_typeEPSK_NS1_7vsmem_tEENKUlT_SI_SJ_SK_E_clISD_PySD_S10_EESH_SX_SI_SJ_SK_EUlSX_E1_NS1_11comp_targetILNS1_3genE3ELNS1_11target_archE908ELNS1_3gpuE7ELNS1_3repE0EEENS1_36merge_oddeven_config_static_selectorELNS0_4arch9wavefront6targetE1EEEvSJ_
    .private_segment_fixed_size: 0
    .sgpr_count:     6
    .sgpr_spill_count: 0
    .symbol:         _ZN7rocprim17ROCPRIM_400000_NS6detail17trampoline_kernelINS0_14default_configENS1_38merge_sort_block_merge_config_selectorIyyEEZZNS1_27merge_sort_block_merge_implIS3_N6thrust23THRUST_200600_302600_NS6detail15normal_iteratorINS8_10device_ptrIyEEEESD_jNS1_19radix_merge_compareILb0ELb0EyNS0_19identity_decomposerEEEEE10hipError_tT0_T1_T2_jT3_P12ihipStream_tbPNSt15iterator_traitsISI_E10value_typeEPNSO_ISJ_E10value_typeEPSK_NS1_7vsmem_tEENKUlT_SI_SJ_SK_E_clISD_PySD_S10_EESH_SX_SI_SJ_SK_EUlSX_E1_NS1_11comp_targetILNS1_3genE3ELNS1_11target_archE908ELNS1_3gpuE7ELNS1_3repE0EEENS1_36merge_oddeven_config_static_selectorELNS0_4arch9wavefront6targetE1EEEvSJ_.kd
    .uniform_work_group_size: 1
    .uses_dynamic_stack: false
    .vgpr_count:     0
    .vgpr_spill_count: 0
    .wavefront_size: 64
  - .agpr_count:     0
    .args:
      - .offset:         0
        .size:           48
        .value_kind:     by_value
    .group_segment_fixed_size: 0
    .kernarg_segment_align: 8
    .kernarg_segment_size: 48
    .language:       OpenCL C
    .language_version:
      - 2
      - 0
    .max_flat_workgroup_size: 256
    .name:           _ZN7rocprim17ROCPRIM_400000_NS6detail17trampoline_kernelINS0_14default_configENS1_38merge_sort_block_merge_config_selectorIyyEEZZNS1_27merge_sort_block_merge_implIS3_N6thrust23THRUST_200600_302600_NS6detail15normal_iteratorINS8_10device_ptrIyEEEESD_jNS1_19radix_merge_compareILb0ELb0EyNS0_19identity_decomposerEEEEE10hipError_tT0_T1_T2_jT3_P12ihipStream_tbPNSt15iterator_traitsISI_E10value_typeEPNSO_ISJ_E10value_typeEPSK_NS1_7vsmem_tEENKUlT_SI_SJ_SK_E_clISD_PySD_S10_EESH_SX_SI_SJ_SK_EUlSX_E1_NS1_11comp_targetILNS1_3genE2ELNS1_11target_archE906ELNS1_3gpuE6ELNS1_3repE0EEENS1_36merge_oddeven_config_static_selectorELNS0_4arch9wavefront6targetE1EEEvSJ_
    .private_segment_fixed_size: 0
    .sgpr_count:     6
    .sgpr_spill_count: 0
    .symbol:         _ZN7rocprim17ROCPRIM_400000_NS6detail17trampoline_kernelINS0_14default_configENS1_38merge_sort_block_merge_config_selectorIyyEEZZNS1_27merge_sort_block_merge_implIS3_N6thrust23THRUST_200600_302600_NS6detail15normal_iteratorINS8_10device_ptrIyEEEESD_jNS1_19radix_merge_compareILb0ELb0EyNS0_19identity_decomposerEEEEE10hipError_tT0_T1_T2_jT3_P12ihipStream_tbPNSt15iterator_traitsISI_E10value_typeEPNSO_ISJ_E10value_typeEPSK_NS1_7vsmem_tEENKUlT_SI_SJ_SK_E_clISD_PySD_S10_EESH_SX_SI_SJ_SK_EUlSX_E1_NS1_11comp_targetILNS1_3genE2ELNS1_11target_archE906ELNS1_3gpuE6ELNS1_3repE0EEENS1_36merge_oddeven_config_static_selectorELNS0_4arch9wavefront6targetE1EEEvSJ_.kd
    .uniform_work_group_size: 1
    .uses_dynamic_stack: false
    .vgpr_count:     0
    .vgpr_spill_count: 0
    .wavefront_size: 64
  - .agpr_count:     0
    .args:
      - .offset:         0
        .size:           48
        .value_kind:     by_value
    .group_segment_fixed_size: 0
    .kernarg_segment_align: 8
    .kernarg_segment_size: 48
    .language:       OpenCL C
    .language_version:
      - 2
      - 0
    .max_flat_workgroup_size: 256
    .name:           _ZN7rocprim17ROCPRIM_400000_NS6detail17trampoline_kernelINS0_14default_configENS1_38merge_sort_block_merge_config_selectorIyyEEZZNS1_27merge_sort_block_merge_implIS3_N6thrust23THRUST_200600_302600_NS6detail15normal_iteratorINS8_10device_ptrIyEEEESD_jNS1_19radix_merge_compareILb0ELb0EyNS0_19identity_decomposerEEEEE10hipError_tT0_T1_T2_jT3_P12ihipStream_tbPNSt15iterator_traitsISI_E10value_typeEPNSO_ISJ_E10value_typeEPSK_NS1_7vsmem_tEENKUlT_SI_SJ_SK_E_clISD_PySD_S10_EESH_SX_SI_SJ_SK_EUlSX_E1_NS1_11comp_targetILNS1_3genE9ELNS1_11target_archE1100ELNS1_3gpuE3ELNS1_3repE0EEENS1_36merge_oddeven_config_static_selectorELNS0_4arch9wavefront6targetE1EEEvSJ_
    .private_segment_fixed_size: 0
    .sgpr_count:     6
    .sgpr_spill_count: 0
    .symbol:         _ZN7rocprim17ROCPRIM_400000_NS6detail17trampoline_kernelINS0_14default_configENS1_38merge_sort_block_merge_config_selectorIyyEEZZNS1_27merge_sort_block_merge_implIS3_N6thrust23THRUST_200600_302600_NS6detail15normal_iteratorINS8_10device_ptrIyEEEESD_jNS1_19radix_merge_compareILb0ELb0EyNS0_19identity_decomposerEEEEE10hipError_tT0_T1_T2_jT3_P12ihipStream_tbPNSt15iterator_traitsISI_E10value_typeEPNSO_ISJ_E10value_typeEPSK_NS1_7vsmem_tEENKUlT_SI_SJ_SK_E_clISD_PySD_S10_EESH_SX_SI_SJ_SK_EUlSX_E1_NS1_11comp_targetILNS1_3genE9ELNS1_11target_archE1100ELNS1_3gpuE3ELNS1_3repE0EEENS1_36merge_oddeven_config_static_selectorELNS0_4arch9wavefront6targetE1EEEvSJ_.kd
    .uniform_work_group_size: 1
    .uses_dynamic_stack: false
    .vgpr_count:     0
    .vgpr_spill_count: 0
    .wavefront_size: 64
  - .agpr_count:     0
    .args:
      - .offset:         0
        .size:           48
        .value_kind:     by_value
    .group_segment_fixed_size: 0
    .kernarg_segment_align: 8
    .kernarg_segment_size: 48
    .language:       OpenCL C
    .language_version:
      - 2
      - 0
    .max_flat_workgroup_size: 256
    .name:           _ZN7rocprim17ROCPRIM_400000_NS6detail17trampoline_kernelINS0_14default_configENS1_38merge_sort_block_merge_config_selectorIyyEEZZNS1_27merge_sort_block_merge_implIS3_N6thrust23THRUST_200600_302600_NS6detail15normal_iteratorINS8_10device_ptrIyEEEESD_jNS1_19radix_merge_compareILb0ELb0EyNS0_19identity_decomposerEEEEE10hipError_tT0_T1_T2_jT3_P12ihipStream_tbPNSt15iterator_traitsISI_E10value_typeEPNSO_ISJ_E10value_typeEPSK_NS1_7vsmem_tEENKUlT_SI_SJ_SK_E_clISD_PySD_S10_EESH_SX_SI_SJ_SK_EUlSX_E1_NS1_11comp_targetILNS1_3genE8ELNS1_11target_archE1030ELNS1_3gpuE2ELNS1_3repE0EEENS1_36merge_oddeven_config_static_selectorELNS0_4arch9wavefront6targetE1EEEvSJ_
    .private_segment_fixed_size: 0
    .sgpr_count:     6
    .sgpr_spill_count: 0
    .symbol:         _ZN7rocprim17ROCPRIM_400000_NS6detail17trampoline_kernelINS0_14default_configENS1_38merge_sort_block_merge_config_selectorIyyEEZZNS1_27merge_sort_block_merge_implIS3_N6thrust23THRUST_200600_302600_NS6detail15normal_iteratorINS8_10device_ptrIyEEEESD_jNS1_19radix_merge_compareILb0ELb0EyNS0_19identity_decomposerEEEEE10hipError_tT0_T1_T2_jT3_P12ihipStream_tbPNSt15iterator_traitsISI_E10value_typeEPNSO_ISJ_E10value_typeEPSK_NS1_7vsmem_tEENKUlT_SI_SJ_SK_E_clISD_PySD_S10_EESH_SX_SI_SJ_SK_EUlSX_E1_NS1_11comp_targetILNS1_3genE8ELNS1_11target_archE1030ELNS1_3gpuE2ELNS1_3repE0EEENS1_36merge_oddeven_config_static_selectorELNS0_4arch9wavefront6targetE1EEEvSJ_.kd
    .uniform_work_group_size: 1
    .uses_dynamic_stack: false
    .vgpr_count:     0
    .vgpr_spill_count: 0
    .wavefront_size: 64
  - .agpr_count:     0
    .args:
      - .offset:         0
        .size:           40
        .value_kind:     by_value
      - .offset:         40
        .size:           4
        .value_kind:     hidden_block_count_x
      - .offset:         44
        .size:           4
        .value_kind:     hidden_block_count_y
      - .offset:         48
        .size:           4
        .value_kind:     hidden_block_count_z
      - .offset:         52
        .size:           2
        .value_kind:     hidden_group_size_x
      - .offset:         54
        .size:           2
        .value_kind:     hidden_group_size_y
      - .offset:         56
        .size:           2
        .value_kind:     hidden_group_size_z
      - .offset:         58
        .size:           2
        .value_kind:     hidden_remainder_x
      - .offset:         60
        .size:           2
        .value_kind:     hidden_remainder_y
      - .offset:         62
        .size:           2
        .value_kind:     hidden_remainder_z
      - .offset:         80
        .size:           8
        .value_kind:     hidden_global_offset_x
      - .offset:         88
        .size:           8
        .value_kind:     hidden_global_offset_y
      - .offset:         96
        .size:           8
        .value_kind:     hidden_global_offset_z
      - .offset:         104
        .size:           2
        .value_kind:     hidden_grid_dims
    .group_segment_fixed_size: 0
    .kernarg_segment_align: 8
    .kernarg_segment_size: 296
    .language:       OpenCL C
    .language_version:
      - 2
      - 0
    .max_flat_workgroup_size: 128
    .name:           _ZN7rocprim17ROCPRIM_400000_NS6detail17trampoline_kernelINS0_14default_configENS1_25transform_config_selectorIyLb0EEEZNS1_14transform_implILb0ES3_S5_PyN6thrust23THRUST_200600_302600_NS6detail15normal_iteratorINS9_10device_ptrIyEEEENS0_8identityIyEEEE10hipError_tT2_T3_mT4_P12ihipStream_tbEUlT_E_NS1_11comp_targetILNS1_3genE0ELNS1_11target_archE4294967295ELNS1_3gpuE0ELNS1_3repE0EEENS1_30default_config_static_selectorELNS0_4arch9wavefront6targetE1EEEvT1_
    .private_segment_fixed_size: 0
    .sgpr_count:     18
    .sgpr_spill_count: 0
    .symbol:         _ZN7rocprim17ROCPRIM_400000_NS6detail17trampoline_kernelINS0_14default_configENS1_25transform_config_selectorIyLb0EEEZNS1_14transform_implILb0ES3_S5_PyN6thrust23THRUST_200600_302600_NS6detail15normal_iteratorINS9_10device_ptrIyEEEENS0_8identityIyEEEE10hipError_tT2_T3_mT4_P12ihipStream_tbEUlT_E_NS1_11comp_targetILNS1_3genE0ELNS1_11target_archE4294967295ELNS1_3gpuE0ELNS1_3repE0EEENS1_30default_config_static_selectorELNS0_4arch9wavefront6targetE1EEEvT1_.kd
    .uniform_work_group_size: 1
    .uses_dynamic_stack: false
    .vgpr_count:     4
    .vgpr_spill_count: 0
    .wavefront_size: 64
  - .agpr_count:     0
    .args:
      - .offset:         0
        .size:           40
        .value_kind:     by_value
    .group_segment_fixed_size: 0
    .kernarg_segment_align: 8
    .kernarg_segment_size: 40
    .language:       OpenCL C
    .language_version:
      - 2
      - 0
    .max_flat_workgroup_size: 512
    .name:           _ZN7rocprim17ROCPRIM_400000_NS6detail17trampoline_kernelINS0_14default_configENS1_25transform_config_selectorIyLb0EEEZNS1_14transform_implILb0ES3_S5_PyN6thrust23THRUST_200600_302600_NS6detail15normal_iteratorINS9_10device_ptrIyEEEENS0_8identityIyEEEE10hipError_tT2_T3_mT4_P12ihipStream_tbEUlT_E_NS1_11comp_targetILNS1_3genE5ELNS1_11target_archE942ELNS1_3gpuE9ELNS1_3repE0EEENS1_30default_config_static_selectorELNS0_4arch9wavefront6targetE1EEEvT1_
    .private_segment_fixed_size: 0
    .sgpr_count:     6
    .sgpr_spill_count: 0
    .symbol:         _ZN7rocprim17ROCPRIM_400000_NS6detail17trampoline_kernelINS0_14default_configENS1_25transform_config_selectorIyLb0EEEZNS1_14transform_implILb0ES3_S5_PyN6thrust23THRUST_200600_302600_NS6detail15normal_iteratorINS9_10device_ptrIyEEEENS0_8identityIyEEEE10hipError_tT2_T3_mT4_P12ihipStream_tbEUlT_E_NS1_11comp_targetILNS1_3genE5ELNS1_11target_archE942ELNS1_3gpuE9ELNS1_3repE0EEENS1_30default_config_static_selectorELNS0_4arch9wavefront6targetE1EEEvT1_.kd
    .uniform_work_group_size: 1
    .uses_dynamic_stack: false
    .vgpr_count:     0
    .vgpr_spill_count: 0
    .wavefront_size: 64
  - .agpr_count:     0
    .args:
      - .offset:         0
        .size:           40
        .value_kind:     by_value
    .group_segment_fixed_size: 0
    .kernarg_segment_align: 8
    .kernarg_segment_size: 40
    .language:       OpenCL C
    .language_version:
      - 2
      - 0
    .max_flat_workgroup_size: 256
    .name:           _ZN7rocprim17ROCPRIM_400000_NS6detail17trampoline_kernelINS0_14default_configENS1_25transform_config_selectorIyLb0EEEZNS1_14transform_implILb0ES3_S5_PyN6thrust23THRUST_200600_302600_NS6detail15normal_iteratorINS9_10device_ptrIyEEEENS0_8identityIyEEEE10hipError_tT2_T3_mT4_P12ihipStream_tbEUlT_E_NS1_11comp_targetILNS1_3genE4ELNS1_11target_archE910ELNS1_3gpuE8ELNS1_3repE0EEENS1_30default_config_static_selectorELNS0_4arch9wavefront6targetE1EEEvT1_
    .private_segment_fixed_size: 0
    .sgpr_count:     6
    .sgpr_spill_count: 0
    .symbol:         _ZN7rocprim17ROCPRIM_400000_NS6detail17trampoline_kernelINS0_14default_configENS1_25transform_config_selectorIyLb0EEEZNS1_14transform_implILb0ES3_S5_PyN6thrust23THRUST_200600_302600_NS6detail15normal_iteratorINS9_10device_ptrIyEEEENS0_8identityIyEEEE10hipError_tT2_T3_mT4_P12ihipStream_tbEUlT_E_NS1_11comp_targetILNS1_3genE4ELNS1_11target_archE910ELNS1_3gpuE8ELNS1_3repE0EEENS1_30default_config_static_selectorELNS0_4arch9wavefront6targetE1EEEvT1_.kd
    .uniform_work_group_size: 1
    .uses_dynamic_stack: false
    .vgpr_count:     0
    .vgpr_spill_count: 0
    .wavefront_size: 64
  - .agpr_count:     0
    .args:
      - .offset:         0
        .size:           40
        .value_kind:     by_value
    .group_segment_fixed_size: 0
    .kernarg_segment_align: 8
    .kernarg_segment_size: 40
    .language:       OpenCL C
    .language_version:
      - 2
      - 0
    .max_flat_workgroup_size: 128
    .name:           _ZN7rocprim17ROCPRIM_400000_NS6detail17trampoline_kernelINS0_14default_configENS1_25transform_config_selectorIyLb0EEEZNS1_14transform_implILb0ES3_S5_PyN6thrust23THRUST_200600_302600_NS6detail15normal_iteratorINS9_10device_ptrIyEEEENS0_8identityIyEEEE10hipError_tT2_T3_mT4_P12ihipStream_tbEUlT_E_NS1_11comp_targetILNS1_3genE3ELNS1_11target_archE908ELNS1_3gpuE7ELNS1_3repE0EEENS1_30default_config_static_selectorELNS0_4arch9wavefront6targetE1EEEvT1_
    .private_segment_fixed_size: 0
    .sgpr_count:     6
    .sgpr_spill_count: 0
    .symbol:         _ZN7rocprim17ROCPRIM_400000_NS6detail17trampoline_kernelINS0_14default_configENS1_25transform_config_selectorIyLb0EEEZNS1_14transform_implILb0ES3_S5_PyN6thrust23THRUST_200600_302600_NS6detail15normal_iteratorINS9_10device_ptrIyEEEENS0_8identityIyEEEE10hipError_tT2_T3_mT4_P12ihipStream_tbEUlT_E_NS1_11comp_targetILNS1_3genE3ELNS1_11target_archE908ELNS1_3gpuE7ELNS1_3repE0EEENS1_30default_config_static_selectorELNS0_4arch9wavefront6targetE1EEEvT1_.kd
    .uniform_work_group_size: 1
    .uses_dynamic_stack: false
    .vgpr_count:     0
    .vgpr_spill_count: 0
    .wavefront_size: 64
  - .agpr_count:     0
    .args:
      - .offset:         0
        .size:           40
        .value_kind:     by_value
    .group_segment_fixed_size: 0
    .kernarg_segment_align: 8
    .kernarg_segment_size: 40
    .language:       OpenCL C
    .language_version:
      - 2
      - 0
    .max_flat_workgroup_size: 512
    .name:           _ZN7rocprim17ROCPRIM_400000_NS6detail17trampoline_kernelINS0_14default_configENS1_25transform_config_selectorIyLb0EEEZNS1_14transform_implILb0ES3_S5_PyN6thrust23THRUST_200600_302600_NS6detail15normal_iteratorINS9_10device_ptrIyEEEENS0_8identityIyEEEE10hipError_tT2_T3_mT4_P12ihipStream_tbEUlT_E_NS1_11comp_targetILNS1_3genE2ELNS1_11target_archE906ELNS1_3gpuE6ELNS1_3repE0EEENS1_30default_config_static_selectorELNS0_4arch9wavefront6targetE1EEEvT1_
    .private_segment_fixed_size: 0
    .sgpr_count:     6
    .sgpr_spill_count: 0
    .symbol:         _ZN7rocprim17ROCPRIM_400000_NS6detail17trampoline_kernelINS0_14default_configENS1_25transform_config_selectorIyLb0EEEZNS1_14transform_implILb0ES3_S5_PyN6thrust23THRUST_200600_302600_NS6detail15normal_iteratorINS9_10device_ptrIyEEEENS0_8identityIyEEEE10hipError_tT2_T3_mT4_P12ihipStream_tbEUlT_E_NS1_11comp_targetILNS1_3genE2ELNS1_11target_archE906ELNS1_3gpuE6ELNS1_3repE0EEENS1_30default_config_static_selectorELNS0_4arch9wavefront6targetE1EEEvT1_.kd
    .uniform_work_group_size: 1
    .uses_dynamic_stack: false
    .vgpr_count:     0
    .vgpr_spill_count: 0
    .wavefront_size: 64
  - .agpr_count:     0
    .args:
      - .offset:         0
        .size:           40
        .value_kind:     by_value
    .group_segment_fixed_size: 0
    .kernarg_segment_align: 8
    .kernarg_segment_size: 40
    .language:       OpenCL C
    .language_version:
      - 2
      - 0
    .max_flat_workgroup_size: 1024
    .name:           _ZN7rocprim17ROCPRIM_400000_NS6detail17trampoline_kernelINS0_14default_configENS1_25transform_config_selectorIyLb0EEEZNS1_14transform_implILb0ES3_S5_PyN6thrust23THRUST_200600_302600_NS6detail15normal_iteratorINS9_10device_ptrIyEEEENS0_8identityIyEEEE10hipError_tT2_T3_mT4_P12ihipStream_tbEUlT_E_NS1_11comp_targetILNS1_3genE10ELNS1_11target_archE1201ELNS1_3gpuE5ELNS1_3repE0EEENS1_30default_config_static_selectorELNS0_4arch9wavefront6targetE1EEEvT1_
    .private_segment_fixed_size: 0
    .sgpr_count:     6
    .sgpr_spill_count: 0
    .symbol:         _ZN7rocprim17ROCPRIM_400000_NS6detail17trampoline_kernelINS0_14default_configENS1_25transform_config_selectorIyLb0EEEZNS1_14transform_implILb0ES3_S5_PyN6thrust23THRUST_200600_302600_NS6detail15normal_iteratorINS9_10device_ptrIyEEEENS0_8identityIyEEEE10hipError_tT2_T3_mT4_P12ihipStream_tbEUlT_E_NS1_11comp_targetILNS1_3genE10ELNS1_11target_archE1201ELNS1_3gpuE5ELNS1_3repE0EEENS1_30default_config_static_selectorELNS0_4arch9wavefront6targetE1EEEvT1_.kd
    .uniform_work_group_size: 1
    .uses_dynamic_stack: false
    .vgpr_count:     0
    .vgpr_spill_count: 0
    .wavefront_size: 64
  - .agpr_count:     0
    .args:
      - .offset:         0
        .size:           40
        .value_kind:     by_value
    .group_segment_fixed_size: 0
    .kernarg_segment_align: 8
    .kernarg_segment_size: 40
    .language:       OpenCL C
    .language_version:
      - 2
      - 0
    .max_flat_workgroup_size: 512
    .name:           _ZN7rocprim17ROCPRIM_400000_NS6detail17trampoline_kernelINS0_14default_configENS1_25transform_config_selectorIyLb0EEEZNS1_14transform_implILb0ES3_S5_PyN6thrust23THRUST_200600_302600_NS6detail15normal_iteratorINS9_10device_ptrIyEEEENS0_8identityIyEEEE10hipError_tT2_T3_mT4_P12ihipStream_tbEUlT_E_NS1_11comp_targetILNS1_3genE10ELNS1_11target_archE1200ELNS1_3gpuE4ELNS1_3repE0EEENS1_30default_config_static_selectorELNS0_4arch9wavefront6targetE1EEEvT1_
    .private_segment_fixed_size: 0
    .sgpr_count:     6
    .sgpr_spill_count: 0
    .symbol:         _ZN7rocprim17ROCPRIM_400000_NS6detail17trampoline_kernelINS0_14default_configENS1_25transform_config_selectorIyLb0EEEZNS1_14transform_implILb0ES3_S5_PyN6thrust23THRUST_200600_302600_NS6detail15normal_iteratorINS9_10device_ptrIyEEEENS0_8identityIyEEEE10hipError_tT2_T3_mT4_P12ihipStream_tbEUlT_E_NS1_11comp_targetILNS1_3genE10ELNS1_11target_archE1200ELNS1_3gpuE4ELNS1_3repE0EEENS1_30default_config_static_selectorELNS0_4arch9wavefront6targetE1EEEvT1_.kd
    .uniform_work_group_size: 1
    .uses_dynamic_stack: false
    .vgpr_count:     0
    .vgpr_spill_count: 0
    .wavefront_size: 64
  - .agpr_count:     0
    .args:
      - .offset:         0
        .size:           40
        .value_kind:     by_value
    .group_segment_fixed_size: 0
    .kernarg_segment_align: 8
    .kernarg_segment_size: 40
    .language:       OpenCL C
    .language_version:
      - 2
      - 0
    .max_flat_workgroup_size: 512
    .name:           _ZN7rocprim17ROCPRIM_400000_NS6detail17trampoline_kernelINS0_14default_configENS1_25transform_config_selectorIyLb0EEEZNS1_14transform_implILb0ES3_S5_PyN6thrust23THRUST_200600_302600_NS6detail15normal_iteratorINS9_10device_ptrIyEEEENS0_8identityIyEEEE10hipError_tT2_T3_mT4_P12ihipStream_tbEUlT_E_NS1_11comp_targetILNS1_3genE9ELNS1_11target_archE1100ELNS1_3gpuE3ELNS1_3repE0EEENS1_30default_config_static_selectorELNS0_4arch9wavefront6targetE1EEEvT1_
    .private_segment_fixed_size: 0
    .sgpr_count:     6
    .sgpr_spill_count: 0
    .symbol:         _ZN7rocprim17ROCPRIM_400000_NS6detail17trampoline_kernelINS0_14default_configENS1_25transform_config_selectorIyLb0EEEZNS1_14transform_implILb0ES3_S5_PyN6thrust23THRUST_200600_302600_NS6detail15normal_iteratorINS9_10device_ptrIyEEEENS0_8identityIyEEEE10hipError_tT2_T3_mT4_P12ihipStream_tbEUlT_E_NS1_11comp_targetILNS1_3genE9ELNS1_11target_archE1100ELNS1_3gpuE3ELNS1_3repE0EEENS1_30default_config_static_selectorELNS0_4arch9wavefront6targetE1EEEvT1_.kd
    .uniform_work_group_size: 1
    .uses_dynamic_stack: false
    .vgpr_count:     0
    .vgpr_spill_count: 0
    .wavefront_size: 64
  - .agpr_count:     0
    .args:
      - .offset:         0
        .size:           40
        .value_kind:     by_value
    .group_segment_fixed_size: 0
    .kernarg_segment_align: 8
    .kernarg_segment_size: 40
    .language:       OpenCL C
    .language_version:
      - 2
      - 0
    .max_flat_workgroup_size: 512
    .name:           _ZN7rocprim17ROCPRIM_400000_NS6detail17trampoline_kernelINS0_14default_configENS1_25transform_config_selectorIyLb0EEEZNS1_14transform_implILb0ES3_S5_PyN6thrust23THRUST_200600_302600_NS6detail15normal_iteratorINS9_10device_ptrIyEEEENS0_8identityIyEEEE10hipError_tT2_T3_mT4_P12ihipStream_tbEUlT_E_NS1_11comp_targetILNS1_3genE8ELNS1_11target_archE1030ELNS1_3gpuE2ELNS1_3repE0EEENS1_30default_config_static_selectorELNS0_4arch9wavefront6targetE1EEEvT1_
    .private_segment_fixed_size: 0
    .sgpr_count:     6
    .sgpr_spill_count: 0
    .symbol:         _ZN7rocprim17ROCPRIM_400000_NS6detail17trampoline_kernelINS0_14default_configENS1_25transform_config_selectorIyLb0EEEZNS1_14transform_implILb0ES3_S5_PyN6thrust23THRUST_200600_302600_NS6detail15normal_iteratorINS9_10device_ptrIyEEEENS0_8identityIyEEEE10hipError_tT2_T3_mT4_P12ihipStream_tbEUlT_E_NS1_11comp_targetILNS1_3genE8ELNS1_11target_archE1030ELNS1_3gpuE2ELNS1_3repE0EEENS1_30default_config_static_selectorELNS0_4arch9wavefront6targetE1EEEvT1_.kd
    .uniform_work_group_size: 1
    .uses_dynamic_stack: false
    .vgpr_count:     0
    .vgpr_spill_count: 0
    .wavefront_size: 64
  - .agpr_count:     0
    .args:
      - .offset:         0
        .size:           40
        .value_kind:     by_value
    .group_segment_fixed_size: 0
    .kernarg_segment_align: 8
    .kernarg_segment_size: 40
    .language:       OpenCL C
    .language_version:
      - 2
      - 0
    .max_flat_workgroup_size: 128
    .name:           _ZN7rocprim17ROCPRIM_400000_NS6detail17trampoline_kernelINS0_14default_configENS1_38merge_sort_block_merge_config_selectorIyyEEZZNS1_27merge_sort_block_merge_implIS3_N6thrust23THRUST_200600_302600_NS6detail15normal_iteratorINS8_10device_ptrIyEEEESD_jNS1_19radix_merge_compareILb0ELb1EyNS0_19identity_decomposerEEEEE10hipError_tT0_T1_T2_jT3_P12ihipStream_tbPNSt15iterator_traitsISI_E10value_typeEPNSO_ISJ_E10value_typeEPSK_NS1_7vsmem_tEENKUlT_SI_SJ_SK_E_clIPySD_S10_SD_EESH_SX_SI_SJ_SK_EUlSX_E_NS1_11comp_targetILNS1_3genE0ELNS1_11target_archE4294967295ELNS1_3gpuE0ELNS1_3repE0EEENS1_48merge_mergepath_partition_config_static_selectorELNS0_4arch9wavefront6targetE1EEEvSJ_
    .private_segment_fixed_size: 0
    .sgpr_count:     16
    .sgpr_spill_count: 0
    .symbol:         _ZN7rocprim17ROCPRIM_400000_NS6detail17trampoline_kernelINS0_14default_configENS1_38merge_sort_block_merge_config_selectorIyyEEZZNS1_27merge_sort_block_merge_implIS3_N6thrust23THRUST_200600_302600_NS6detail15normal_iteratorINS8_10device_ptrIyEEEESD_jNS1_19radix_merge_compareILb0ELb1EyNS0_19identity_decomposerEEEEE10hipError_tT0_T1_T2_jT3_P12ihipStream_tbPNSt15iterator_traitsISI_E10value_typeEPNSO_ISJ_E10value_typeEPSK_NS1_7vsmem_tEENKUlT_SI_SJ_SK_E_clIPySD_S10_SD_EESH_SX_SI_SJ_SK_EUlSX_E_NS1_11comp_targetILNS1_3genE0ELNS1_11target_archE4294967295ELNS1_3gpuE0ELNS1_3repE0EEENS1_48merge_mergepath_partition_config_static_selectorELNS0_4arch9wavefront6targetE1EEEvSJ_.kd
    .uniform_work_group_size: 1
    .uses_dynamic_stack: false
    .vgpr_count:     16
    .vgpr_spill_count: 0
    .wavefront_size: 64
  - .agpr_count:     0
    .args:
      - .offset:         0
        .size:           40
        .value_kind:     by_value
    .group_segment_fixed_size: 0
    .kernarg_segment_align: 8
    .kernarg_segment_size: 40
    .language:       OpenCL C
    .language_version:
      - 2
      - 0
    .max_flat_workgroup_size: 128
    .name:           _ZN7rocprim17ROCPRIM_400000_NS6detail17trampoline_kernelINS0_14default_configENS1_38merge_sort_block_merge_config_selectorIyyEEZZNS1_27merge_sort_block_merge_implIS3_N6thrust23THRUST_200600_302600_NS6detail15normal_iteratorINS8_10device_ptrIyEEEESD_jNS1_19radix_merge_compareILb0ELb1EyNS0_19identity_decomposerEEEEE10hipError_tT0_T1_T2_jT3_P12ihipStream_tbPNSt15iterator_traitsISI_E10value_typeEPNSO_ISJ_E10value_typeEPSK_NS1_7vsmem_tEENKUlT_SI_SJ_SK_E_clIPySD_S10_SD_EESH_SX_SI_SJ_SK_EUlSX_E_NS1_11comp_targetILNS1_3genE10ELNS1_11target_archE1201ELNS1_3gpuE5ELNS1_3repE0EEENS1_48merge_mergepath_partition_config_static_selectorELNS0_4arch9wavefront6targetE1EEEvSJ_
    .private_segment_fixed_size: 0
    .sgpr_count:     6
    .sgpr_spill_count: 0
    .symbol:         _ZN7rocprim17ROCPRIM_400000_NS6detail17trampoline_kernelINS0_14default_configENS1_38merge_sort_block_merge_config_selectorIyyEEZZNS1_27merge_sort_block_merge_implIS3_N6thrust23THRUST_200600_302600_NS6detail15normal_iteratorINS8_10device_ptrIyEEEESD_jNS1_19radix_merge_compareILb0ELb1EyNS0_19identity_decomposerEEEEE10hipError_tT0_T1_T2_jT3_P12ihipStream_tbPNSt15iterator_traitsISI_E10value_typeEPNSO_ISJ_E10value_typeEPSK_NS1_7vsmem_tEENKUlT_SI_SJ_SK_E_clIPySD_S10_SD_EESH_SX_SI_SJ_SK_EUlSX_E_NS1_11comp_targetILNS1_3genE10ELNS1_11target_archE1201ELNS1_3gpuE5ELNS1_3repE0EEENS1_48merge_mergepath_partition_config_static_selectorELNS0_4arch9wavefront6targetE1EEEvSJ_.kd
    .uniform_work_group_size: 1
    .uses_dynamic_stack: false
    .vgpr_count:     0
    .vgpr_spill_count: 0
    .wavefront_size: 64
  - .agpr_count:     0
    .args:
      - .offset:         0
        .size:           40
        .value_kind:     by_value
    .group_segment_fixed_size: 0
    .kernarg_segment_align: 8
    .kernarg_segment_size: 40
    .language:       OpenCL C
    .language_version:
      - 2
      - 0
    .max_flat_workgroup_size: 128
    .name:           _ZN7rocprim17ROCPRIM_400000_NS6detail17trampoline_kernelINS0_14default_configENS1_38merge_sort_block_merge_config_selectorIyyEEZZNS1_27merge_sort_block_merge_implIS3_N6thrust23THRUST_200600_302600_NS6detail15normal_iteratorINS8_10device_ptrIyEEEESD_jNS1_19radix_merge_compareILb0ELb1EyNS0_19identity_decomposerEEEEE10hipError_tT0_T1_T2_jT3_P12ihipStream_tbPNSt15iterator_traitsISI_E10value_typeEPNSO_ISJ_E10value_typeEPSK_NS1_7vsmem_tEENKUlT_SI_SJ_SK_E_clIPySD_S10_SD_EESH_SX_SI_SJ_SK_EUlSX_E_NS1_11comp_targetILNS1_3genE5ELNS1_11target_archE942ELNS1_3gpuE9ELNS1_3repE0EEENS1_48merge_mergepath_partition_config_static_selectorELNS0_4arch9wavefront6targetE1EEEvSJ_
    .private_segment_fixed_size: 0
    .sgpr_count:     6
    .sgpr_spill_count: 0
    .symbol:         _ZN7rocprim17ROCPRIM_400000_NS6detail17trampoline_kernelINS0_14default_configENS1_38merge_sort_block_merge_config_selectorIyyEEZZNS1_27merge_sort_block_merge_implIS3_N6thrust23THRUST_200600_302600_NS6detail15normal_iteratorINS8_10device_ptrIyEEEESD_jNS1_19radix_merge_compareILb0ELb1EyNS0_19identity_decomposerEEEEE10hipError_tT0_T1_T2_jT3_P12ihipStream_tbPNSt15iterator_traitsISI_E10value_typeEPNSO_ISJ_E10value_typeEPSK_NS1_7vsmem_tEENKUlT_SI_SJ_SK_E_clIPySD_S10_SD_EESH_SX_SI_SJ_SK_EUlSX_E_NS1_11comp_targetILNS1_3genE5ELNS1_11target_archE942ELNS1_3gpuE9ELNS1_3repE0EEENS1_48merge_mergepath_partition_config_static_selectorELNS0_4arch9wavefront6targetE1EEEvSJ_.kd
    .uniform_work_group_size: 1
    .uses_dynamic_stack: false
    .vgpr_count:     0
    .vgpr_spill_count: 0
    .wavefront_size: 64
  - .agpr_count:     0
    .args:
      - .offset:         0
        .size:           40
        .value_kind:     by_value
    .group_segment_fixed_size: 0
    .kernarg_segment_align: 8
    .kernarg_segment_size: 40
    .language:       OpenCL C
    .language_version:
      - 2
      - 0
    .max_flat_workgroup_size: 128
    .name:           _ZN7rocprim17ROCPRIM_400000_NS6detail17trampoline_kernelINS0_14default_configENS1_38merge_sort_block_merge_config_selectorIyyEEZZNS1_27merge_sort_block_merge_implIS3_N6thrust23THRUST_200600_302600_NS6detail15normal_iteratorINS8_10device_ptrIyEEEESD_jNS1_19radix_merge_compareILb0ELb1EyNS0_19identity_decomposerEEEEE10hipError_tT0_T1_T2_jT3_P12ihipStream_tbPNSt15iterator_traitsISI_E10value_typeEPNSO_ISJ_E10value_typeEPSK_NS1_7vsmem_tEENKUlT_SI_SJ_SK_E_clIPySD_S10_SD_EESH_SX_SI_SJ_SK_EUlSX_E_NS1_11comp_targetILNS1_3genE4ELNS1_11target_archE910ELNS1_3gpuE8ELNS1_3repE0EEENS1_48merge_mergepath_partition_config_static_selectorELNS0_4arch9wavefront6targetE1EEEvSJ_
    .private_segment_fixed_size: 0
    .sgpr_count:     6
    .sgpr_spill_count: 0
    .symbol:         _ZN7rocprim17ROCPRIM_400000_NS6detail17trampoline_kernelINS0_14default_configENS1_38merge_sort_block_merge_config_selectorIyyEEZZNS1_27merge_sort_block_merge_implIS3_N6thrust23THRUST_200600_302600_NS6detail15normal_iteratorINS8_10device_ptrIyEEEESD_jNS1_19radix_merge_compareILb0ELb1EyNS0_19identity_decomposerEEEEE10hipError_tT0_T1_T2_jT3_P12ihipStream_tbPNSt15iterator_traitsISI_E10value_typeEPNSO_ISJ_E10value_typeEPSK_NS1_7vsmem_tEENKUlT_SI_SJ_SK_E_clIPySD_S10_SD_EESH_SX_SI_SJ_SK_EUlSX_E_NS1_11comp_targetILNS1_3genE4ELNS1_11target_archE910ELNS1_3gpuE8ELNS1_3repE0EEENS1_48merge_mergepath_partition_config_static_selectorELNS0_4arch9wavefront6targetE1EEEvSJ_.kd
    .uniform_work_group_size: 1
    .uses_dynamic_stack: false
    .vgpr_count:     0
    .vgpr_spill_count: 0
    .wavefront_size: 64
  - .agpr_count:     0
    .args:
      - .offset:         0
        .size:           40
        .value_kind:     by_value
    .group_segment_fixed_size: 0
    .kernarg_segment_align: 8
    .kernarg_segment_size: 40
    .language:       OpenCL C
    .language_version:
      - 2
      - 0
    .max_flat_workgroup_size: 128
    .name:           _ZN7rocprim17ROCPRIM_400000_NS6detail17trampoline_kernelINS0_14default_configENS1_38merge_sort_block_merge_config_selectorIyyEEZZNS1_27merge_sort_block_merge_implIS3_N6thrust23THRUST_200600_302600_NS6detail15normal_iteratorINS8_10device_ptrIyEEEESD_jNS1_19radix_merge_compareILb0ELb1EyNS0_19identity_decomposerEEEEE10hipError_tT0_T1_T2_jT3_P12ihipStream_tbPNSt15iterator_traitsISI_E10value_typeEPNSO_ISJ_E10value_typeEPSK_NS1_7vsmem_tEENKUlT_SI_SJ_SK_E_clIPySD_S10_SD_EESH_SX_SI_SJ_SK_EUlSX_E_NS1_11comp_targetILNS1_3genE3ELNS1_11target_archE908ELNS1_3gpuE7ELNS1_3repE0EEENS1_48merge_mergepath_partition_config_static_selectorELNS0_4arch9wavefront6targetE1EEEvSJ_
    .private_segment_fixed_size: 0
    .sgpr_count:     6
    .sgpr_spill_count: 0
    .symbol:         _ZN7rocprim17ROCPRIM_400000_NS6detail17trampoline_kernelINS0_14default_configENS1_38merge_sort_block_merge_config_selectorIyyEEZZNS1_27merge_sort_block_merge_implIS3_N6thrust23THRUST_200600_302600_NS6detail15normal_iteratorINS8_10device_ptrIyEEEESD_jNS1_19radix_merge_compareILb0ELb1EyNS0_19identity_decomposerEEEEE10hipError_tT0_T1_T2_jT3_P12ihipStream_tbPNSt15iterator_traitsISI_E10value_typeEPNSO_ISJ_E10value_typeEPSK_NS1_7vsmem_tEENKUlT_SI_SJ_SK_E_clIPySD_S10_SD_EESH_SX_SI_SJ_SK_EUlSX_E_NS1_11comp_targetILNS1_3genE3ELNS1_11target_archE908ELNS1_3gpuE7ELNS1_3repE0EEENS1_48merge_mergepath_partition_config_static_selectorELNS0_4arch9wavefront6targetE1EEEvSJ_.kd
    .uniform_work_group_size: 1
    .uses_dynamic_stack: false
    .vgpr_count:     0
    .vgpr_spill_count: 0
    .wavefront_size: 64
  - .agpr_count:     0
    .args:
      - .offset:         0
        .size:           40
        .value_kind:     by_value
    .group_segment_fixed_size: 0
    .kernarg_segment_align: 8
    .kernarg_segment_size: 40
    .language:       OpenCL C
    .language_version:
      - 2
      - 0
    .max_flat_workgroup_size: 128
    .name:           _ZN7rocprim17ROCPRIM_400000_NS6detail17trampoline_kernelINS0_14default_configENS1_38merge_sort_block_merge_config_selectorIyyEEZZNS1_27merge_sort_block_merge_implIS3_N6thrust23THRUST_200600_302600_NS6detail15normal_iteratorINS8_10device_ptrIyEEEESD_jNS1_19radix_merge_compareILb0ELb1EyNS0_19identity_decomposerEEEEE10hipError_tT0_T1_T2_jT3_P12ihipStream_tbPNSt15iterator_traitsISI_E10value_typeEPNSO_ISJ_E10value_typeEPSK_NS1_7vsmem_tEENKUlT_SI_SJ_SK_E_clIPySD_S10_SD_EESH_SX_SI_SJ_SK_EUlSX_E_NS1_11comp_targetILNS1_3genE2ELNS1_11target_archE906ELNS1_3gpuE6ELNS1_3repE0EEENS1_48merge_mergepath_partition_config_static_selectorELNS0_4arch9wavefront6targetE1EEEvSJ_
    .private_segment_fixed_size: 0
    .sgpr_count:     6
    .sgpr_spill_count: 0
    .symbol:         _ZN7rocprim17ROCPRIM_400000_NS6detail17trampoline_kernelINS0_14default_configENS1_38merge_sort_block_merge_config_selectorIyyEEZZNS1_27merge_sort_block_merge_implIS3_N6thrust23THRUST_200600_302600_NS6detail15normal_iteratorINS8_10device_ptrIyEEEESD_jNS1_19radix_merge_compareILb0ELb1EyNS0_19identity_decomposerEEEEE10hipError_tT0_T1_T2_jT3_P12ihipStream_tbPNSt15iterator_traitsISI_E10value_typeEPNSO_ISJ_E10value_typeEPSK_NS1_7vsmem_tEENKUlT_SI_SJ_SK_E_clIPySD_S10_SD_EESH_SX_SI_SJ_SK_EUlSX_E_NS1_11comp_targetILNS1_3genE2ELNS1_11target_archE906ELNS1_3gpuE6ELNS1_3repE0EEENS1_48merge_mergepath_partition_config_static_selectorELNS0_4arch9wavefront6targetE1EEEvSJ_.kd
    .uniform_work_group_size: 1
    .uses_dynamic_stack: false
    .vgpr_count:     0
    .vgpr_spill_count: 0
    .wavefront_size: 64
  - .agpr_count:     0
    .args:
      - .offset:         0
        .size:           40
        .value_kind:     by_value
    .group_segment_fixed_size: 0
    .kernarg_segment_align: 8
    .kernarg_segment_size: 40
    .language:       OpenCL C
    .language_version:
      - 2
      - 0
    .max_flat_workgroup_size: 128
    .name:           _ZN7rocprim17ROCPRIM_400000_NS6detail17trampoline_kernelINS0_14default_configENS1_38merge_sort_block_merge_config_selectorIyyEEZZNS1_27merge_sort_block_merge_implIS3_N6thrust23THRUST_200600_302600_NS6detail15normal_iteratorINS8_10device_ptrIyEEEESD_jNS1_19radix_merge_compareILb0ELb1EyNS0_19identity_decomposerEEEEE10hipError_tT0_T1_T2_jT3_P12ihipStream_tbPNSt15iterator_traitsISI_E10value_typeEPNSO_ISJ_E10value_typeEPSK_NS1_7vsmem_tEENKUlT_SI_SJ_SK_E_clIPySD_S10_SD_EESH_SX_SI_SJ_SK_EUlSX_E_NS1_11comp_targetILNS1_3genE9ELNS1_11target_archE1100ELNS1_3gpuE3ELNS1_3repE0EEENS1_48merge_mergepath_partition_config_static_selectorELNS0_4arch9wavefront6targetE1EEEvSJ_
    .private_segment_fixed_size: 0
    .sgpr_count:     6
    .sgpr_spill_count: 0
    .symbol:         _ZN7rocprim17ROCPRIM_400000_NS6detail17trampoline_kernelINS0_14default_configENS1_38merge_sort_block_merge_config_selectorIyyEEZZNS1_27merge_sort_block_merge_implIS3_N6thrust23THRUST_200600_302600_NS6detail15normal_iteratorINS8_10device_ptrIyEEEESD_jNS1_19radix_merge_compareILb0ELb1EyNS0_19identity_decomposerEEEEE10hipError_tT0_T1_T2_jT3_P12ihipStream_tbPNSt15iterator_traitsISI_E10value_typeEPNSO_ISJ_E10value_typeEPSK_NS1_7vsmem_tEENKUlT_SI_SJ_SK_E_clIPySD_S10_SD_EESH_SX_SI_SJ_SK_EUlSX_E_NS1_11comp_targetILNS1_3genE9ELNS1_11target_archE1100ELNS1_3gpuE3ELNS1_3repE0EEENS1_48merge_mergepath_partition_config_static_selectorELNS0_4arch9wavefront6targetE1EEEvSJ_.kd
    .uniform_work_group_size: 1
    .uses_dynamic_stack: false
    .vgpr_count:     0
    .vgpr_spill_count: 0
    .wavefront_size: 64
  - .agpr_count:     0
    .args:
      - .offset:         0
        .size:           40
        .value_kind:     by_value
    .group_segment_fixed_size: 0
    .kernarg_segment_align: 8
    .kernarg_segment_size: 40
    .language:       OpenCL C
    .language_version:
      - 2
      - 0
    .max_flat_workgroup_size: 128
    .name:           _ZN7rocprim17ROCPRIM_400000_NS6detail17trampoline_kernelINS0_14default_configENS1_38merge_sort_block_merge_config_selectorIyyEEZZNS1_27merge_sort_block_merge_implIS3_N6thrust23THRUST_200600_302600_NS6detail15normal_iteratorINS8_10device_ptrIyEEEESD_jNS1_19radix_merge_compareILb0ELb1EyNS0_19identity_decomposerEEEEE10hipError_tT0_T1_T2_jT3_P12ihipStream_tbPNSt15iterator_traitsISI_E10value_typeEPNSO_ISJ_E10value_typeEPSK_NS1_7vsmem_tEENKUlT_SI_SJ_SK_E_clIPySD_S10_SD_EESH_SX_SI_SJ_SK_EUlSX_E_NS1_11comp_targetILNS1_3genE8ELNS1_11target_archE1030ELNS1_3gpuE2ELNS1_3repE0EEENS1_48merge_mergepath_partition_config_static_selectorELNS0_4arch9wavefront6targetE1EEEvSJ_
    .private_segment_fixed_size: 0
    .sgpr_count:     6
    .sgpr_spill_count: 0
    .symbol:         _ZN7rocprim17ROCPRIM_400000_NS6detail17trampoline_kernelINS0_14default_configENS1_38merge_sort_block_merge_config_selectorIyyEEZZNS1_27merge_sort_block_merge_implIS3_N6thrust23THRUST_200600_302600_NS6detail15normal_iteratorINS8_10device_ptrIyEEEESD_jNS1_19radix_merge_compareILb0ELb1EyNS0_19identity_decomposerEEEEE10hipError_tT0_T1_T2_jT3_P12ihipStream_tbPNSt15iterator_traitsISI_E10value_typeEPNSO_ISJ_E10value_typeEPSK_NS1_7vsmem_tEENKUlT_SI_SJ_SK_E_clIPySD_S10_SD_EESH_SX_SI_SJ_SK_EUlSX_E_NS1_11comp_targetILNS1_3genE8ELNS1_11target_archE1030ELNS1_3gpuE2ELNS1_3repE0EEENS1_48merge_mergepath_partition_config_static_selectorELNS0_4arch9wavefront6targetE1EEEvSJ_.kd
    .uniform_work_group_size: 1
    .uses_dynamic_stack: false
    .vgpr_count:     0
    .vgpr_spill_count: 0
    .wavefront_size: 64
  - .agpr_count:     0
    .args:
      - .offset:         0
        .size:           72
        .value_kind:     by_value
      - .offset:         72
        .size:           4
        .value_kind:     hidden_block_count_x
      - .offset:         76
        .size:           4
        .value_kind:     hidden_block_count_y
      - .offset:         80
        .size:           4
        .value_kind:     hidden_block_count_z
      - .offset:         84
        .size:           2
        .value_kind:     hidden_group_size_x
      - .offset:         86
        .size:           2
        .value_kind:     hidden_group_size_y
      - .offset:         88
        .size:           2
        .value_kind:     hidden_group_size_z
      - .offset:         90
        .size:           2
        .value_kind:     hidden_remainder_x
      - .offset:         92
        .size:           2
        .value_kind:     hidden_remainder_y
      - .offset:         94
        .size:           2
        .value_kind:     hidden_remainder_z
      - .offset:         112
        .size:           8
        .value_kind:     hidden_global_offset_x
      - .offset:         120
        .size:           8
        .value_kind:     hidden_global_offset_y
      - .offset:         128
        .size:           8
        .value_kind:     hidden_global_offset_z
      - .offset:         136
        .size:           2
        .value_kind:     hidden_grid_dims
    .group_segment_fixed_size: 8448
    .kernarg_segment_align: 8
    .kernarg_segment_size: 328
    .language:       OpenCL C
    .language_version:
      - 2
      - 0
    .max_flat_workgroup_size: 512
    .name:           _ZN7rocprim17ROCPRIM_400000_NS6detail17trampoline_kernelINS0_14default_configENS1_38merge_sort_block_merge_config_selectorIyyEEZZNS1_27merge_sort_block_merge_implIS3_N6thrust23THRUST_200600_302600_NS6detail15normal_iteratorINS8_10device_ptrIyEEEESD_jNS1_19radix_merge_compareILb0ELb1EyNS0_19identity_decomposerEEEEE10hipError_tT0_T1_T2_jT3_P12ihipStream_tbPNSt15iterator_traitsISI_E10value_typeEPNSO_ISJ_E10value_typeEPSK_NS1_7vsmem_tEENKUlT_SI_SJ_SK_E_clIPySD_S10_SD_EESH_SX_SI_SJ_SK_EUlSX_E0_NS1_11comp_targetILNS1_3genE0ELNS1_11target_archE4294967295ELNS1_3gpuE0ELNS1_3repE0EEENS1_38merge_mergepath_config_static_selectorELNS0_4arch9wavefront6targetE1EEEvSJ_
    .private_segment_fixed_size: 0
    .sgpr_count:     38
    .sgpr_spill_count: 0
    .symbol:         _ZN7rocprim17ROCPRIM_400000_NS6detail17trampoline_kernelINS0_14default_configENS1_38merge_sort_block_merge_config_selectorIyyEEZZNS1_27merge_sort_block_merge_implIS3_N6thrust23THRUST_200600_302600_NS6detail15normal_iteratorINS8_10device_ptrIyEEEESD_jNS1_19radix_merge_compareILb0ELb1EyNS0_19identity_decomposerEEEEE10hipError_tT0_T1_T2_jT3_P12ihipStream_tbPNSt15iterator_traitsISI_E10value_typeEPNSO_ISJ_E10value_typeEPSK_NS1_7vsmem_tEENKUlT_SI_SJ_SK_E_clIPySD_S10_SD_EESH_SX_SI_SJ_SK_EUlSX_E0_NS1_11comp_targetILNS1_3genE0ELNS1_11target_archE4294967295ELNS1_3gpuE0ELNS1_3repE0EEENS1_38merge_mergepath_config_static_selectorELNS0_4arch9wavefront6targetE1EEEvSJ_.kd
    .uniform_work_group_size: 1
    .uses_dynamic_stack: false
    .vgpr_count:     21
    .vgpr_spill_count: 0
    .wavefront_size: 64
  - .agpr_count:     0
    .args:
      - .offset:         0
        .size:           72
        .value_kind:     by_value
    .group_segment_fixed_size: 0
    .kernarg_segment_align: 8
    .kernarg_segment_size: 72
    .language:       OpenCL C
    .language_version:
      - 2
      - 0
    .max_flat_workgroup_size: 512
    .name:           _ZN7rocprim17ROCPRIM_400000_NS6detail17trampoline_kernelINS0_14default_configENS1_38merge_sort_block_merge_config_selectorIyyEEZZNS1_27merge_sort_block_merge_implIS3_N6thrust23THRUST_200600_302600_NS6detail15normal_iteratorINS8_10device_ptrIyEEEESD_jNS1_19radix_merge_compareILb0ELb1EyNS0_19identity_decomposerEEEEE10hipError_tT0_T1_T2_jT3_P12ihipStream_tbPNSt15iterator_traitsISI_E10value_typeEPNSO_ISJ_E10value_typeEPSK_NS1_7vsmem_tEENKUlT_SI_SJ_SK_E_clIPySD_S10_SD_EESH_SX_SI_SJ_SK_EUlSX_E0_NS1_11comp_targetILNS1_3genE10ELNS1_11target_archE1201ELNS1_3gpuE5ELNS1_3repE0EEENS1_38merge_mergepath_config_static_selectorELNS0_4arch9wavefront6targetE1EEEvSJ_
    .private_segment_fixed_size: 0
    .sgpr_count:     6
    .sgpr_spill_count: 0
    .symbol:         _ZN7rocprim17ROCPRIM_400000_NS6detail17trampoline_kernelINS0_14default_configENS1_38merge_sort_block_merge_config_selectorIyyEEZZNS1_27merge_sort_block_merge_implIS3_N6thrust23THRUST_200600_302600_NS6detail15normal_iteratorINS8_10device_ptrIyEEEESD_jNS1_19radix_merge_compareILb0ELb1EyNS0_19identity_decomposerEEEEE10hipError_tT0_T1_T2_jT3_P12ihipStream_tbPNSt15iterator_traitsISI_E10value_typeEPNSO_ISJ_E10value_typeEPSK_NS1_7vsmem_tEENKUlT_SI_SJ_SK_E_clIPySD_S10_SD_EESH_SX_SI_SJ_SK_EUlSX_E0_NS1_11comp_targetILNS1_3genE10ELNS1_11target_archE1201ELNS1_3gpuE5ELNS1_3repE0EEENS1_38merge_mergepath_config_static_selectorELNS0_4arch9wavefront6targetE1EEEvSJ_.kd
    .uniform_work_group_size: 1
    .uses_dynamic_stack: false
    .vgpr_count:     0
    .vgpr_spill_count: 0
    .wavefront_size: 64
  - .agpr_count:     0
    .args:
      - .offset:         0
        .size:           72
        .value_kind:     by_value
    .group_segment_fixed_size: 0
    .kernarg_segment_align: 8
    .kernarg_segment_size: 72
    .language:       OpenCL C
    .language_version:
      - 2
      - 0
    .max_flat_workgroup_size: 256
    .name:           _ZN7rocprim17ROCPRIM_400000_NS6detail17trampoline_kernelINS0_14default_configENS1_38merge_sort_block_merge_config_selectorIyyEEZZNS1_27merge_sort_block_merge_implIS3_N6thrust23THRUST_200600_302600_NS6detail15normal_iteratorINS8_10device_ptrIyEEEESD_jNS1_19radix_merge_compareILb0ELb1EyNS0_19identity_decomposerEEEEE10hipError_tT0_T1_T2_jT3_P12ihipStream_tbPNSt15iterator_traitsISI_E10value_typeEPNSO_ISJ_E10value_typeEPSK_NS1_7vsmem_tEENKUlT_SI_SJ_SK_E_clIPySD_S10_SD_EESH_SX_SI_SJ_SK_EUlSX_E0_NS1_11comp_targetILNS1_3genE5ELNS1_11target_archE942ELNS1_3gpuE9ELNS1_3repE0EEENS1_38merge_mergepath_config_static_selectorELNS0_4arch9wavefront6targetE1EEEvSJ_
    .private_segment_fixed_size: 0
    .sgpr_count:     6
    .sgpr_spill_count: 0
    .symbol:         _ZN7rocprim17ROCPRIM_400000_NS6detail17trampoline_kernelINS0_14default_configENS1_38merge_sort_block_merge_config_selectorIyyEEZZNS1_27merge_sort_block_merge_implIS3_N6thrust23THRUST_200600_302600_NS6detail15normal_iteratorINS8_10device_ptrIyEEEESD_jNS1_19radix_merge_compareILb0ELb1EyNS0_19identity_decomposerEEEEE10hipError_tT0_T1_T2_jT3_P12ihipStream_tbPNSt15iterator_traitsISI_E10value_typeEPNSO_ISJ_E10value_typeEPSK_NS1_7vsmem_tEENKUlT_SI_SJ_SK_E_clIPySD_S10_SD_EESH_SX_SI_SJ_SK_EUlSX_E0_NS1_11comp_targetILNS1_3genE5ELNS1_11target_archE942ELNS1_3gpuE9ELNS1_3repE0EEENS1_38merge_mergepath_config_static_selectorELNS0_4arch9wavefront6targetE1EEEvSJ_.kd
    .uniform_work_group_size: 1
    .uses_dynamic_stack: false
    .vgpr_count:     0
    .vgpr_spill_count: 0
    .wavefront_size: 64
  - .agpr_count:     0
    .args:
      - .offset:         0
        .size:           72
        .value_kind:     by_value
    .group_segment_fixed_size: 0
    .kernarg_segment_align: 8
    .kernarg_segment_size: 72
    .language:       OpenCL C
    .language_version:
      - 2
      - 0
    .max_flat_workgroup_size: 512
    .name:           _ZN7rocprim17ROCPRIM_400000_NS6detail17trampoline_kernelINS0_14default_configENS1_38merge_sort_block_merge_config_selectorIyyEEZZNS1_27merge_sort_block_merge_implIS3_N6thrust23THRUST_200600_302600_NS6detail15normal_iteratorINS8_10device_ptrIyEEEESD_jNS1_19radix_merge_compareILb0ELb1EyNS0_19identity_decomposerEEEEE10hipError_tT0_T1_T2_jT3_P12ihipStream_tbPNSt15iterator_traitsISI_E10value_typeEPNSO_ISJ_E10value_typeEPSK_NS1_7vsmem_tEENKUlT_SI_SJ_SK_E_clIPySD_S10_SD_EESH_SX_SI_SJ_SK_EUlSX_E0_NS1_11comp_targetILNS1_3genE4ELNS1_11target_archE910ELNS1_3gpuE8ELNS1_3repE0EEENS1_38merge_mergepath_config_static_selectorELNS0_4arch9wavefront6targetE1EEEvSJ_
    .private_segment_fixed_size: 0
    .sgpr_count:     6
    .sgpr_spill_count: 0
    .symbol:         _ZN7rocprim17ROCPRIM_400000_NS6detail17trampoline_kernelINS0_14default_configENS1_38merge_sort_block_merge_config_selectorIyyEEZZNS1_27merge_sort_block_merge_implIS3_N6thrust23THRUST_200600_302600_NS6detail15normal_iteratorINS8_10device_ptrIyEEEESD_jNS1_19radix_merge_compareILb0ELb1EyNS0_19identity_decomposerEEEEE10hipError_tT0_T1_T2_jT3_P12ihipStream_tbPNSt15iterator_traitsISI_E10value_typeEPNSO_ISJ_E10value_typeEPSK_NS1_7vsmem_tEENKUlT_SI_SJ_SK_E_clIPySD_S10_SD_EESH_SX_SI_SJ_SK_EUlSX_E0_NS1_11comp_targetILNS1_3genE4ELNS1_11target_archE910ELNS1_3gpuE8ELNS1_3repE0EEENS1_38merge_mergepath_config_static_selectorELNS0_4arch9wavefront6targetE1EEEvSJ_.kd
    .uniform_work_group_size: 1
    .uses_dynamic_stack: false
    .vgpr_count:     0
    .vgpr_spill_count: 0
    .wavefront_size: 64
  - .agpr_count:     0
    .args:
      - .offset:         0
        .size:           72
        .value_kind:     by_value
    .group_segment_fixed_size: 0
    .kernarg_segment_align: 8
    .kernarg_segment_size: 72
    .language:       OpenCL C
    .language_version:
      - 2
      - 0
    .max_flat_workgroup_size: 512
    .name:           _ZN7rocprim17ROCPRIM_400000_NS6detail17trampoline_kernelINS0_14default_configENS1_38merge_sort_block_merge_config_selectorIyyEEZZNS1_27merge_sort_block_merge_implIS3_N6thrust23THRUST_200600_302600_NS6detail15normal_iteratorINS8_10device_ptrIyEEEESD_jNS1_19radix_merge_compareILb0ELb1EyNS0_19identity_decomposerEEEEE10hipError_tT0_T1_T2_jT3_P12ihipStream_tbPNSt15iterator_traitsISI_E10value_typeEPNSO_ISJ_E10value_typeEPSK_NS1_7vsmem_tEENKUlT_SI_SJ_SK_E_clIPySD_S10_SD_EESH_SX_SI_SJ_SK_EUlSX_E0_NS1_11comp_targetILNS1_3genE3ELNS1_11target_archE908ELNS1_3gpuE7ELNS1_3repE0EEENS1_38merge_mergepath_config_static_selectorELNS0_4arch9wavefront6targetE1EEEvSJ_
    .private_segment_fixed_size: 0
    .sgpr_count:     6
    .sgpr_spill_count: 0
    .symbol:         _ZN7rocprim17ROCPRIM_400000_NS6detail17trampoline_kernelINS0_14default_configENS1_38merge_sort_block_merge_config_selectorIyyEEZZNS1_27merge_sort_block_merge_implIS3_N6thrust23THRUST_200600_302600_NS6detail15normal_iteratorINS8_10device_ptrIyEEEESD_jNS1_19radix_merge_compareILb0ELb1EyNS0_19identity_decomposerEEEEE10hipError_tT0_T1_T2_jT3_P12ihipStream_tbPNSt15iterator_traitsISI_E10value_typeEPNSO_ISJ_E10value_typeEPSK_NS1_7vsmem_tEENKUlT_SI_SJ_SK_E_clIPySD_S10_SD_EESH_SX_SI_SJ_SK_EUlSX_E0_NS1_11comp_targetILNS1_3genE3ELNS1_11target_archE908ELNS1_3gpuE7ELNS1_3repE0EEENS1_38merge_mergepath_config_static_selectorELNS0_4arch9wavefront6targetE1EEEvSJ_.kd
    .uniform_work_group_size: 1
    .uses_dynamic_stack: false
    .vgpr_count:     0
    .vgpr_spill_count: 0
    .wavefront_size: 64
  - .agpr_count:     0
    .args:
      - .offset:         0
        .size:           72
        .value_kind:     by_value
    .group_segment_fixed_size: 0
    .kernarg_segment_align: 8
    .kernarg_segment_size: 72
    .language:       OpenCL C
    .language_version:
      - 2
      - 0
    .max_flat_workgroup_size: 128
    .name:           _ZN7rocprim17ROCPRIM_400000_NS6detail17trampoline_kernelINS0_14default_configENS1_38merge_sort_block_merge_config_selectorIyyEEZZNS1_27merge_sort_block_merge_implIS3_N6thrust23THRUST_200600_302600_NS6detail15normal_iteratorINS8_10device_ptrIyEEEESD_jNS1_19radix_merge_compareILb0ELb1EyNS0_19identity_decomposerEEEEE10hipError_tT0_T1_T2_jT3_P12ihipStream_tbPNSt15iterator_traitsISI_E10value_typeEPNSO_ISJ_E10value_typeEPSK_NS1_7vsmem_tEENKUlT_SI_SJ_SK_E_clIPySD_S10_SD_EESH_SX_SI_SJ_SK_EUlSX_E0_NS1_11comp_targetILNS1_3genE2ELNS1_11target_archE906ELNS1_3gpuE6ELNS1_3repE0EEENS1_38merge_mergepath_config_static_selectorELNS0_4arch9wavefront6targetE1EEEvSJ_
    .private_segment_fixed_size: 0
    .sgpr_count:     6
    .sgpr_spill_count: 0
    .symbol:         _ZN7rocprim17ROCPRIM_400000_NS6detail17trampoline_kernelINS0_14default_configENS1_38merge_sort_block_merge_config_selectorIyyEEZZNS1_27merge_sort_block_merge_implIS3_N6thrust23THRUST_200600_302600_NS6detail15normal_iteratorINS8_10device_ptrIyEEEESD_jNS1_19radix_merge_compareILb0ELb1EyNS0_19identity_decomposerEEEEE10hipError_tT0_T1_T2_jT3_P12ihipStream_tbPNSt15iterator_traitsISI_E10value_typeEPNSO_ISJ_E10value_typeEPSK_NS1_7vsmem_tEENKUlT_SI_SJ_SK_E_clIPySD_S10_SD_EESH_SX_SI_SJ_SK_EUlSX_E0_NS1_11comp_targetILNS1_3genE2ELNS1_11target_archE906ELNS1_3gpuE6ELNS1_3repE0EEENS1_38merge_mergepath_config_static_selectorELNS0_4arch9wavefront6targetE1EEEvSJ_.kd
    .uniform_work_group_size: 1
    .uses_dynamic_stack: false
    .vgpr_count:     0
    .vgpr_spill_count: 0
    .wavefront_size: 64
  - .agpr_count:     0
    .args:
      - .offset:         0
        .size:           72
        .value_kind:     by_value
    .group_segment_fixed_size: 0
    .kernarg_segment_align: 8
    .kernarg_segment_size: 72
    .language:       OpenCL C
    .language_version:
      - 2
      - 0
    .max_flat_workgroup_size: 1024
    .name:           _ZN7rocprim17ROCPRIM_400000_NS6detail17trampoline_kernelINS0_14default_configENS1_38merge_sort_block_merge_config_selectorIyyEEZZNS1_27merge_sort_block_merge_implIS3_N6thrust23THRUST_200600_302600_NS6detail15normal_iteratorINS8_10device_ptrIyEEEESD_jNS1_19radix_merge_compareILb0ELb1EyNS0_19identity_decomposerEEEEE10hipError_tT0_T1_T2_jT3_P12ihipStream_tbPNSt15iterator_traitsISI_E10value_typeEPNSO_ISJ_E10value_typeEPSK_NS1_7vsmem_tEENKUlT_SI_SJ_SK_E_clIPySD_S10_SD_EESH_SX_SI_SJ_SK_EUlSX_E0_NS1_11comp_targetILNS1_3genE9ELNS1_11target_archE1100ELNS1_3gpuE3ELNS1_3repE0EEENS1_38merge_mergepath_config_static_selectorELNS0_4arch9wavefront6targetE1EEEvSJ_
    .private_segment_fixed_size: 0
    .sgpr_count:     6
    .sgpr_spill_count: 0
    .symbol:         _ZN7rocprim17ROCPRIM_400000_NS6detail17trampoline_kernelINS0_14default_configENS1_38merge_sort_block_merge_config_selectorIyyEEZZNS1_27merge_sort_block_merge_implIS3_N6thrust23THRUST_200600_302600_NS6detail15normal_iteratorINS8_10device_ptrIyEEEESD_jNS1_19radix_merge_compareILb0ELb1EyNS0_19identity_decomposerEEEEE10hipError_tT0_T1_T2_jT3_P12ihipStream_tbPNSt15iterator_traitsISI_E10value_typeEPNSO_ISJ_E10value_typeEPSK_NS1_7vsmem_tEENKUlT_SI_SJ_SK_E_clIPySD_S10_SD_EESH_SX_SI_SJ_SK_EUlSX_E0_NS1_11comp_targetILNS1_3genE9ELNS1_11target_archE1100ELNS1_3gpuE3ELNS1_3repE0EEENS1_38merge_mergepath_config_static_selectorELNS0_4arch9wavefront6targetE1EEEvSJ_.kd
    .uniform_work_group_size: 1
    .uses_dynamic_stack: false
    .vgpr_count:     0
    .vgpr_spill_count: 0
    .wavefront_size: 64
  - .agpr_count:     0
    .args:
      - .offset:         0
        .size:           72
        .value_kind:     by_value
    .group_segment_fixed_size: 0
    .kernarg_segment_align: 8
    .kernarg_segment_size: 72
    .language:       OpenCL C
    .language_version:
      - 2
      - 0
    .max_flat_workgroup_size: 1024
    .name:           _ZN7rocprim17ROCPRIM_400000_NS6detail17trampoline_kernelINS0_14default_configENS1_38merge_sort_block_merge_config_selectorIyyEEZZNS1_27merge_sort_block_merge_implIS3_N6thrust23THRUST_200600_302600_NS6detail15normal_iteratorINS8_10device_ptrIyEEEESD_jNS1_19radix_merge_compareILb0ELb1EyNS0_19identity_decomposerEEEEE10hipError_tT0_T1_T2_jT3_P12ihipStream_tbPNSt15iterator_traitsISI_E10value_typeEPNSO_ISJ_E10value_typeEPSK_NS1_7vsmem_tEENKUlT_SI_SJ_SK_E_clIPySD_S10_SD_EESH_SX_SI_SJ_SK_EUlSX_E0_NS1_11comp_targetILNS1_3genE8ELNS1_11target_archE1030ELNS1_3gpuE2ELNS1_3repE0EEENS1_38merge_mergepath_config_static_selectorELNS0_4arch9wavefront6targetE1EEEvSJ_
    .private_segment_fixed_size: 0
    .sgpr_count:     6
    .sgpr_spill_count: 0
    .symbol:         _ZN7rocprim17ROCPRIM_400000_NS6detail17trampoline_kernelINS0_14default_configENS1_38merge_sort_block_merge_config_selectorIyyEEZZNS1_27merge_sort_block_merge_implIS3_N6thrust23THRUST_200600_302600_NS6detail15normal_iteratorINS8_10device_ptrIyEEEESD_jNS1_19radix_merge_compareILb0ELb1EyNS0_19identity_decomposerEEEEE10hipError_tT0_T1_T2_jT3_P12ihipStream_tbPNSt15iterator_traitsISI_E10value_typeEPNSO_ISJ_E10value_typeEPSK_NS1_7vsmem_tEENKUlT_SI_SJ_SK_E_clIPySD_S10_SD_EESH_SX_SI_SJ_SK_EUlSX_E0_NS1_11comp_targetILNS1_3genE8ELNS1_11target_archE1030ELNS1_3gpuE2ELNS1_3repE0EEENS1_38merge_mergepath_config_static_selectorELNS0_4arch9wavefront6targetE1EEEvSJ_.kd
    .uniform_work_group_size: 1
    .uses_dynamic_stack: false
    .vgpr_count:     0
    .vgpr_spill_count: 0
    .wavefront_size: 64
  - .agpr_count:     0
    .args:
      - .offset:         0
        .size:           48
        .value_kind:     by_value
    .group_segment_fixed_size: 0
    .kernarg_segment_align: 8
    .kernarg_segment_size: 48
    .language:       OpenCL C
    .language_version:
      - 2
      - 0
    .max_flat_workgroup_size: 256
    .name:           _ZN7rocprim17ROCPRIM_400000_NS6detail17trampoline_kernelINS0_14default_configENS1_38merge_sort_block_merge_config_selectorIyyEEZZNS1_27merge_sort_block_merge_implIS3_N6thrust23THRUST_200600_302600_NS6detail15normal_iteratorINS8_10device_ptrIyEEEESD_jNS1_19radix_merge_compareILb0ELb1EyNS0_19identity_decomposerEEEEE10hipError_tT0_T1_T2_jT3_P12ihipStream_tbPNSt15iterator_traitsISI_E10value_typeEPNSO_ISJ_E10value_typeEPSK_NS1_7vsmem_tEENKUlT_SI_SJ_SK_E_clIPySD_S10_SD_EESH_SX_SI_SJ_SK_EUlSX_E1_NS1_11comp_targetILNS1_3genE0ELNS1_11target_archE4294967295ELNS1_3gpuE0ELNS1_3repE0EEENS1_36merge_oddeven_config_static_selectorELNS0_4arch9wavefront6targetE1EEEvSJ_
    .private_segment_fixed_size: 0
    .sgpr_count:     30
    .sgpr_spill_count: 0
    .symbol:         _ZN7rocprim17ROCPRIM_400000_NS6detail17trampoline_kernelINS0_14default_configENS1_38merge_sort_block_merge_config_selectorIyyEEZZNS1_27merge_sort_block_merge_implIS3_N6thrust23THRUST_200600_302600_NS6detail15normal_iteratorINS8_10device_ptrIyEEEESD_jNS1_19radix_merge_compareILb0ELb1EyNS0_19identity_decomposerEEEEE10hipError_tT0_T1_T2_jT3_P12ihipStream_tbPNSt15iterator_traitsISI_E10value_typeEPNSO_ISJ_E10value_typeEPSK_NS1_7vsmem_tEENKUlT_SI_SJ_SK_E_clIPySD_S10_SD_EESH_SX_SI_SJ_SK_EUlSX_E1_NS1_11comp_targetILNS1_3genE0ELNS1_11target_archE4294967295ELNS1_3gpuE0ELNS1_3repE0EEENS1_36merge_oddeven_config_static_selectorELNS0_4arch9wavefront6targetE1EEEvSJ_.kd
    .uniform_work_group_size: 1
    .uses_dynamic_stack: false
    .vgpr_count:     15
    .vgpr_spill_count: 0
    .wavefront_size: 64
  - .agpr_count:     0
    .args:
      - .offset:         0
        .size:           48
        .value_kind:     by_value
    .group_segment_fixed_size: 0
    .kernarg_segment_align: 8
    .kernarg_segment_size: 48
    .language:       OpenCL C
    .language_version:
      - 2
      - 0
    .max_flat_workgroup_size: 256
    .name:           _ZN7rocprim17ROCPRIM_400000_NS6detail17trampoline_kernelINS0_14default_configENS1_38merge_sort_block_merge_config_selectorIyyEEZZNS1_27merge_sort_block_merge_implIS3_N6thrust23THRUST_200600_302600_NS6detail15normal_iteratorINS8_10device_ptrIyEEEESD_jNS1_19radix_merge_compareILb0ELb1EyNS0_19identity_decomposerEEEEE10hipError_tT0_T1_T2_jT3_P12ihipStream_tbPNSt15iterator_traitsISI_E10value_typeEPNSO_ISJ_E10value_typeEPSK_NS1_7vsmem_tEENKUlT_SI_SJ_SK_E_clIPySD_S10_SD_EESH_SX_SI_SJ_SK_EUlSX_E1_NS1_11comp_targetILNS1_3genE10ELNS1_11target_archE1201ELNS1_3gpuE5ELNS1_3repE0EEENS1_36merge_oddeven_config_static_selectorELNS0_4arch9wavefront6targetE1EEEvSJ_
    .private_segment_fixed_size: 0
    .sgpr_count:     6
    .sgpr_spill_count: 0
    .symbol:         _ZN7rocprim17ROCPRIM_400000_NS6detail17trampoline_kernelINS0_14default_configENS1_38merge_sort_block_merge_config_selectorIyyEEZZNS1_27merge_sort_block_merge_implIS3_N6thrust23THRUST_200600_302600_NS6detail15normal_iteratorINS8_10device_ptrIyEEEESD_jNS1_19radix_merge_compareILb0ELb1EyNS0_19identity_decomposerEEEEE10hipError_tT0_T1_T2_jT3_P12ihipStream_tbPNSt15iterator_traitsISI_E10value_typeEPNSO_ISJ_E10value_typeEPSK_NS1_7vsmem_tEENKUlT_SI_SJ_SK_E_clIPySD_S10_SD_EESH_SX_SI_SJ_SK_EUlSX_E1_NS1_11comp_targetILNS1_3genE10ELNS1_11target_archE1201ELNS1_3gpuE5ELNS1_3repE0EEENS1_36merge_oddeven_config_static_selectorELNS0_4arch9wavefront6targetE1EEEvSJ_.kd
    .uniform_work_group_size: 1
    .uses_dynamic_stack: false
    .vgpr_count:     0
    .vgpr_spill_count: 0
    .wavefront_size: 64
  - .agpr_count:     0
    .args:
      - .offset:         0
        .size:           48
        .value_kind:     by_value
    .group_segment_fixed_size: 0
    .kernarg_segment_align: 8
    .kernarg_segment_size: 48
    .language:       OpenCL C
    .language_version:
      - 2
      - 0
    .max_flat_workgroup_size: 256
    .name:           _ZN7rocprim17ROCPRIM_400000_NS6detail17trampoline_kernelINS0_14default_configENS1_38merge_sort_block_merge_config_selectorIyyEEZZNS1_27merge_sort_block_merge_implIS3_N6thrust23THRUST_200600_302600_NS6detail15normal_iteratorINS8_10device_ptrIyEEEESD_jNS1_19radix_merge_compareILb0ELb1EyNS0_19identity_decomposerEEEEE10hipError_tT0_T1_T2_jT3_P12ihipStream_tbPNSt15iterator_traitsISI_E10value_typeEPNSO_ISJ_E10value_typeEPSK_NS1_7vsmem_tEENKUlT_SI_SJ_SK_E_clIPySD_S10_SD_EESH_SX_SI_SJ_SK_EUlSX_E1_NS1_11comp_targetILNS1_3genE5ELNS1_11target_archE942ELNS1_3gpuE9ELNS1_3repE0EEENS1_36merge_oddeven_config_static_selectorELNS0_4arch9wavefront6targetE1EEEvSJ_
    .private_segment_fixed_size: 0
    .sgpr_count:     6
    .sgpr_spill_count: 0
    .symbol:         _ZN7rocprim17ROCPRIM_400000_NS6detail17trampoline_kernelINS0_14default_configENS1_38merge_sort_block_merge_config_selectorIyyEEZZNS1_27merge_sort_block_merge_implIS3_N6thrust23THRUST_200600_302600_NS6detail15normal_iteratorINS8_10device_ptrIyEEEESD_jNS1_19radix_merge_compareILb0ELb1EyNS0_19identity_decomposerEEEEE10hipError_tT0_T1_T2_jT3_P12ihipStream_tbPNSt15iterator_traitsISI_E10value_typeEPNSO_ISJ_E10value_typeEPSK_NS1_7vsmem_tEENKUlT_SI_SJ_SK_E_clIPySD_S10_SD_EESH_SX_SI_SJ_SK_EUlSX_E1_NS1_11comp_targetILNS1_3genE5ELNS1_11target_archE942ELNS1_3gpuE9ELNS1_3repE0EEENS1_36merge_oddeven_config_static_selectorELNS0_4arch9wavefront6targetE1EEEvSJ_.kd
    .uniform_work_group_size: 1
    .uses_dynamic_stack: false
    .vgpr_count:     0
    .vgpr_spill_count: 0
    .wavefront_size: 64
  - .agpr_count:     0
    .args:
      - .offset:         0
        .size:           48
        .value_kind:     by_value
    .group_segment_fixed_size: 0
    .kernarg_segment_align: 8
    .kernarg_segment_size: 48
    .language:       OpenCL C
    .language_version:
      - 2
      - 0
    .max_flat_workgroup_size: 256
    .name:           _ZN7rocprim17ROCPRIM_400000_NS6detail17trampoline_kernelINS0_14default_configENS1_38merge_sort_block_merge_config_selectorIyyEEZZNS1_27merge_sort_block_merge_implIS3_N6thrust23THRUST_200600_302600_NS6detail15normal_iteratorINS8_10device_ptrIyEEEESD_jNS1_19radix_merge_compareILb0ELb1EyNS0_19identity_decomposerEEEEE10hipError_tT0_T1_T2_jT3_P12ihipStream_tbPNSt15iterator_traitsISI_E10value_typeEPNSO_ISJ_E10value_typeEPSK_NS1_7vsmem_tEENKUlT_SI_SJ_SK_E_clIPySD_S10_SD_EESH_SX_SI_SJ_SK_EUlSX_E1_NS1_11comp_targetILNS1_3genE4ELNS1_11target_archE910ELNS1_3gpuE8ELNS1_3repE0EEENS1_36merge_oddeven_config_static_selectorELNS0_4arch9wavefront6targetE1EEEvSJ_
    .private_segment_fixed_size: 0
    .sgpr_count:     6
    .sgpr_spill_count: 0
    .symbol:         _ZN7rocprim17ROCPRIM_400000_NS6detail17trampoline_kernelINS0_14default_configENS1_38merge_sort_block_merge_config_selectorIyyEEZZNS1_27merge_sort_block_merge_implIS3_N6thrust23THRUST_200600_302600_NS6detail15normal_iteratorINS8_10device_ptrIyEEEESD_jNS1_19radix_merge_compareILb0ELb1EyNS0_19identity_decomposerEEEEE10hipError_tT0_T1_T2_jT3_P12ihipStream_tbPNSt15iterator_traitsISI_E10value_typeEPNSO_ISJ_E10value_typeEPSK_NS1_7vsmem_tEENKUlT_SI_SJ_SK_E_clIPySD_S10_SD_EESH_SX_SI_SJ_SK_EUlSX_E1_NS1_11comp_targetILNS1_3genE4ELNS1_11target_archE910ELNS1_3gpuE8ELNS1_3repE0EEENS1_36merge_oddeven_config_static_selectorELNS0_4arch9wavefront6targetE1EEEvSJ_.kd
    .uniform_work_group_size: 1
    .uses_dynamic_stack: false
    .vgpr_count:     0
    .vgpr_spill_count: 0
    .wavefront_size: 64
  - .agpr_count:     0
    .args:
      - .offset:         0
        .size:           48
        .value_kind:     by_value
    .group_segment_fixed_size: 0
    .kernarg_segment_align: 8
    .kernarg_segment_size: 48
    .language:       OpenCL C
    .language_version:
      - 2
      - 0
    .max_flat_workgroup_size: 256
    .name:           _ZN7rocprim17ROCPRIM_400000_NS6detail17trampoline_kernelINS0_14default_configENS1_38merge_sort_block_merge_config_selectorIyyEEZZNS1_27merge_sort_block_merge_implIS3_N6thrust23THRUST_200600_302600_NS6detail15normal_iteratorINS8_10device_ptrIyEEEESD_jNS1_19radix_merge_compareILb0ELb1EyNS0_19identity_decomposerEEEEE10hipError_tT0_T1_T2_jT3_P12ihipStream_tbPNSt15iterator_traitsISI_E10value_typeEPNSO_ISJ_E10value_typeEPSK_NS1_7vsmem_tEENKUlT_SI_SJ_SK_E_clIPySD_S10_SD_EESH_SX_SI_SJ_SK_EUlSX_E1_NS1_11comp_targetILNS1_3genE3ELNS1_11target_archE908ELNS1_3gpuE7ELNS1_3repE0EEENS1_36merge_oddeven_config_static_selectorELNS0_4arch9wavefront6targetE1EEEvSJ_
    .private_segment_fixed_size: 0
    .sgpr_count:     6
    .sgpr_spill_count: 0
    .symbol:         _ZN7rocprim17ROCPRIM_400000_NS6detail17trampoline_kernelINS0_14default_configENS1_38merge_sort_block_merge_config_selectorIyyEEZZNS1_27merge_sort_block_merge_implIS3_N6thrust23THRUST_200600_302600_NS6detail15normal_iteratorINS8_10device_ptrIyEEEESD_jNS1_19radix_merge_compareILb0ELb1EyNS0_19identity_decomposerEEEEE10hipError_tT0_T1_T2_jT3_P12ihipStream_tbPNSt15iterator_traitsISI_E10value_typeEPNSO_ISJ_E10value_typeEPSK_NS1_7vsmem_tEENKUlT_SI_SJ_SK_E_clIPySD_S10_SD_EESH_SX_SI_SJ_SK_EUlSX_E1_NS1_11comp_targetILNS1_3genE3ELNS1_11target_archE908ELNS1_3gpuE7ELNS1_3repE0EEENS1_36merge_oddeven_config_static_selectorELNS0_4arch9wavefront6targetE1EEEvSJ_.kd
    .uniform_work_group_size: 1
    .uses_dynamic_stack: false
    .vgpr_count:     0
    .vgpr_spill_count: 0
    .wavefront_size: 64
  - .agpr_count:     0
    .args:
      - .offset:         0
        .size:           48
        .value_kind:     by_value
    .group_segment_fixed_size: 0
    .kernarg_segment_align: 8
    .kernarg_segment_size: 48
    .language:       OpenCL C
    .language_version:
      - 2
      - 0
    .max_flat_workgroup_size: 256
    .name:           _ZN7rocprim17ROCPRIM_400000_NS6detail17trampoline_kernelINS0_14default_configENS1_38merge_sort_block_merge_config_selectorIyyEEZZNS1_27merge_sort_block_merge_implIS3_N6thrust23THRUST_200600_302600_NS6detail15normal_iteratorINS8_10device_ptrIyEEEESD_jNS1_19radix_merge_compareILb0ELb1EyNS0_19identity_decomposerEEEEE10hipError_tT0_T1_T2_jT3_P12ihipStream_tbPNSt15iterator_traitsISI_E10value_typeEPNSO_ISJ_E10value_typeEPSK_NS1_7vsmem_tEENKUlT_SI_SJ_SK_E_clIPySD_S10_SD_EESH_SX_SI_SJ_SK_EUlSX_E1_NS1_11comp_targetILNS1_3genE2ELNS1_11target_archE906ELNS1_3gpuE6ELNS1_3repE0EEENS1_36merge_oddeven_config_static_selectorELNS0_4arch9wavefront6targetE1EEEvSJ_
    .private_segment_fixed_size: 0
    .sgpr_count:     6
    .sgpr_spill_count: 0
    .symbol:         _ZN7rocprim17ROCPRIM_400000_NS6detail17trampoline_kernelINS0_14default_configENS1_38merge_sort_block_merge_config_selectorIyyEEZZNS1_27merge_sort_block_merge_implIS3_N6thrust23THRUST_200600_302600_NS6detail15normal_iteratorINS8_10device_ptrIyEEEESD_jNS1_19radix_merge_compareILb0ELb1EyNS0_19identity_decomposerEEEEE10hipError_tT0_T1_T2_jT3_P12ihipStream_tbPNSt15iterator_traitsISI_E10value_typeEPNSO_ISJ_E10value_typeEPSK_NS1_7vsmem_tEENKUlT_SI_SJ_SK_E_clIPySD_S10_SD_EESH_SX_SI_SJ_SK_EUlSX_E1_NS1_11comp_targetILNS1_3genE2ELNS1_11target_archE906ELNS1_3gpuE6ELNS1_3repE0EEENS1_36merge_oddeven_config_static_selectorELNS0_4arch9wavefront6targetE1EEEvSJ_.kd
    .uniform_work_group_size: 1
    .uses_dynamic_stack: false
    .vgpr_count:     0
    .vgpr_spill_count: 0
    .wavefront_size: 64
  - .agpr_count:     0
    .args:
      - .offset:         0
        .size:           48
        .value_kind:     by_value
    .group_segment_fixed_size: 0
    .kernarg_segment_align: 8
    .kernarg_segment_size: 48
    .language:       OpenCL C
    .language_version:
      - 2
      - 0
    .max_flat_workgroup_size: 256
    .name:           _ZN7rocprim17ROCPRIM_400000_NS6detail17trampoline_kernelINS0_14default_configENS1_38merge_sort_block_merge_config_selectorIyyEEZZNS1_27merge_sort_block_merge_implIS3_N6thrust23THRUST_200600_302600_NS6detail15normal_iteratorINS8_10device_ptrIyEEEESD_jNS1_19radix_merge_compareILb0ELb1EyNS0_19identity_decomposerEEEEE10hipError_tT0_T1_T2_jT3_P12ihipStream_tbPNSt15iterator_traitsISI_E10value_typeEPNSO_ISJ_E10value_typeEPSK_NS1_7vsmem_tEENKUlT_SI_SJ_SK_E_clIPySD_S10_SD_EESH_SX_SI_SJ_SK_EUlSX_E1_NS1_11comp_targetILNS1_3genE9ELNS1_11target_archE1100ELNS1_3gpuE3ELNS1_3repE0EEENS1_36merge_oddeven_config_static_selectorELNS0_4arch9wavefront6targetE1EEEvSJ_
    .private_segment_fixed_size: 0
    .sgpr_count:     6
    .sgpr_spill_count: 0
    .symbol:         _ZN7rocprim17ROCPRIM_400000_NS6detail17trampoline_kernelINS0_14default_configENS1_38merge_sort_block_merge_config_selectorIyyEEZZNS1_27merge_sort_block_merge_implIS3_N6thrust23THRUST_200600_302600_NS6detail15normal_iteratorINS8_10device_ptrIyEEEESD_jNS1_19radix_merge_compareILb0ELb1EyNS0_19identity_decomposerEEEEE10hipError_tT0_T1_T2_jT3_P12ihipStream_tbPNSt15iterator_traitsISI_E10value_typeEPNSO_ISJ_E10value_typeEPSK_NS1_7vsmem_tEENKUlT_SI_SJ_SK_E_clIPySD_S10_SD_EESH_SX_SI_SJ_SK_EUlSX_E1_NS1_11comp_targetILNS1_3genE9ELNS1_11target_archE1100ELNS1_3gpuE3ELNS1_3repE0EEENS1_36merge_oddeven_config_static_selectorELNS0_4arch9wavefront6targetE1EEEvSJ_.kd
    .uniform_work_group_size: 1
    .uses_dynamic_stack: false
    .vgpr_count:     0
    .vgpr_spill_count: 0
    .wavefront_size: 64
  - .agpr_count:     0
    .args:
      - .offset:         0
        .size:           48
        .value_kind:     by_value
    .group_segment_fixed_size: 0
    .kernarg_segment_align: 8
    .kernarg_segment_size: 48
    .language:       OpenCL C
    .language_version:
      - 2
      - 0
    .max_flat_workgroup_size: 256
    .name:           _ZN7rocprim17ROCPRIM_400000_NS6detail17trampoline_kernelINS0_14default_configENS1_38merge_sort_block_merge_config_selectorIyyEEZZNS1_27merge_sort_block_merge_implIS3_N6thrust23THRUST_200600_302600_NS6detail15normal_iteratorINS8_10device_ptrIyEEEESD_jNS1_19radix_merge_compareILb0ELb1EyNS0_19identity_decomposerEEEEE10hipError_tT0_T1_T2_jT3_P12ihipStream_tbPNSt15iterator_traitsISI_E10value_typeEPNSO_ISJ_E10value_typeEPSK_NS1_7vsmem_tEENKUlT_SI_SJ_SK_E_clIPySD_S10_SD_EESH_SX_SI_SJ_SK_EUlSX_E1_NS1_11comp_targetILNS1_3genE8ELNS1_11target_archE1030ELNS1_3gpuE2ELNS1_3repE0EEENS1_36merge_oddeven_config_static_selectorELNS0_4arch9wavefront6targetE1EEEvSJ_
    .private_segment_fixed_size: 0
    .sgpr_count:     6
    .sgpr_spill_count: 0
    .symbol:         _ZN7rocprim17ROCPRIM_400000_NS6detail17trampoline_kernelINS0_14default_configENS1_38merge_sort_block_merge_config_selectorIyyEEZZNS1_27merge_sort_block_merge_implIS3_N6thrust23THRUST_200600_302600_NS6detail15normal_iteratorINS8_10device_ptrIyEEEESD_jNS1_19radix_merge_compareILb0ELb1EyNS0_19identity_decomposerEEEEE10hipError_tT0_T1_T2_jT3_P12ihipStream_tbPNSt15iterator_traitsISI_E10value_typeEPNSO_ISJ_E10value_typeEPSK_NS1_7vsmem_tEENKUlT_SI_SJ_SK_E_clIPySD_S10_SD_EESH_SX_SI_SJ_SK_EUlSX_E1_NS1_11comp_targetILNS1_3genE8ELNS1_11target_archE1030ELNS1_3gpuE2ELNS1_3repE0EEENS1_36merge_oddeven_config_static_selectorELNS0_4arch9wavefront6targetE1EEEvSJ_.kd
    .uniform_work_group_size: 1
    .uses_dynamic_stack: false
    .vgpr_count:     0
    .vgpr_spill_count: 0
    .wavefront_size: 64
  - .agpr_count:     0
    .args:
      - .offset:         0
        .size:           40
        .value_kind:     by_value
    .group_segment_fixed_size: 0
    .kernarg_segment_align: 8
    .kernarg_segment_size: 40
    .language:       OpenCL C
    .language_version:
      - 2
      - 0
    .max_flat_workgroup_size: 128
    .name:           _ZN7rocprim17ROCPRIM_400000_NS6detail17trampoline_kernelINS0_14default_configENS1_38merge_sort_block_merge_config_selectorIyyEEZZNS1_27merge_sort_block_merge_implIS3_N6thrust23THRUST_200600_302600_NS6detail15normal_iteratorINS8_10device_ptrIyEEEESD_jNS1_19radix_merge_compareILb0ELb1EyNS0_19identity_decomposerEEEEE10hipError_tT0_T1_T2_jT3_P12ihipStream_tbPNSt15iterator_traitsISI_E10value_typeEPNSO_ISJ_E10value_typeEPSK_NS1_7vsmem_tEENKUlT_SI_SJ_SK_E_clISD_PySD_S10_EESH_SX_SI_SJ_SK_EUlSX_E_NS1_11comp_targetILNS1_3genE0ELNS1_11target_archE4294967295ELNS1_3gpuE0ELNS1_3repE0EEENS1_48merge_mergepath_partition_config_static_selectorELNS0_4arch9wavefront6targetE1EEEvSJ_
    .private_segment_fixed_size: 0
    .sgpr_count:     16
    .sgpr_spill_count: 0
    .symbol:         _ZN7rocprim17ROCPRIM_400000_NS6detail17trampoline_kernelINS0_14default_configENS1_38merge_sort_block_merge_config_selectorIyyEEZZNS1_27merge_sort_block_merge_implIS3_N6thrust23THRUST_200600_302600_NS6detail15normal_iteratorINS8_10device_ptrIyEEEESD_jNS1_19radix_merge_compareILb0ELb1EyNS0_19identity_decomposerEEEEE10hipError_tT0_T1_T2_jT3_P12ihipStream_tbPNSt15iterator_traitsISI_E10value_typeEPNSO_ISJ_E10value_typeEPSK_NS1_7vsmem_tEENKUlT_SI_SJ_SK_E_clISD_PySD_S10_EESH_SX_SI_SJ_SK_EUlSX_E_NS1_11comp_targetILNS1_3genE0ELNS1_11target_archE4294967295ELNS1_3gpuE0ELNS1_3repE0EEENS1_48merge_mergepath_partition_config_static_selectorELNS0_4arch9wavefront6targetE1EEEvSJ_.kd
    .uniform_work_group_size: 1
    .uses_dynamic_stack: false
    .vgpr_count:     16
    .vgpr_spill_count: 0
    .wavefront_size: 64
  - .agpr_count:     0
    .args:
      - .offset:         0
        .size:           40
        .value_kind:     by_value
    .group_segment_fixed_size: 0
    .kernarg_segment_align: 8
    .kernarg_segment_size: 40
    .language:       OpenCL C
    .language_version:
      - 2
      - 0
    .max_flat_workgroup_size: 128
    .name:           _ZN7rocprim17ROCPRIM_400000_NS6detail17trampoline_kernelINS0_14default_configENS1_38merge_sort_block_merge_config_selectorIyyEEZZNS1_27merge_sort_block_merge_implIS3_N6thrust23THRUST_200600_302600_NS6detail15normal_iteratorINS8_10device_ptrIyEEEESD_jNS1_19radix_merge_compareILb0ELb1EyNS0_19identity_decomposerEEEEE10hipError_tT0_T1_T2_jT3_P12ihipStream_tbPNSt15iterator_traitsISI_E10value_typeEPNSO_ISJ_E10value_typeEPSK_NS1_7vsmem_tEENKUlT_SI_SJ_SK_E_clISD_PySD_S10_EESH_SX_SI_SJ_SK_EUlSX_E_NS1_11comp_targetILNS1_3genE10ELNS1_11target_archE1201ELNS1_3gpuE5ELNS1_3repE0EEENS1_48merge_mergepath_partition_config_static_selectorELNS0_4arch9wavefront6targetE1EEEvSJ_
    .private_segment_fixed_size: 0
    .sgpr_count:     6
    .sgpr_spill_count: 0
    .symbol:         _ZN7rocprim17ROCPRIM_400000_NS6detail17trampoline_kernelINS0_14default_configENS1_38merge_sort_block_merge_config_selectorIyyEEZZNS1_27merge_sort_block_merge_implIS3_N6thrust23THRUST_200600_302600_NS6detail15normal_iteratorINS8_10device_ptrIyEEEESD_jNS1_19radix_merge_compareILb0ELb1EyNS0_19identity_decomposerEEEEE10hipError_tT0_T1_T2_jT3_P12ihipStream_tbPNSt15iterator_traitsISI_E10value_typeEPNSO_ISJ_E10value_typeEPSK_NS1_7vsmem_tEENKUlT_SI_SJ_SK_E_clISD_PySD_S10_EESH_SX_SI_SJ_SK_EUlSX_E_NS1_11comp_targetILNS1_3genE10ELNS1_11target_archE1201ELNS1_3gpuE5ELNS1_3repE0EEENS1_48merge_mergepath_partition_config_static_selectorELNS0_4arch9wavefront6targetE1EEEvSJ_.kd
    .uniform_work_group_size: 1
    .uses_dynamic_stack: false
    .vgpr_count:     0
    .vgpr_spill_count: 0
    .wavefront_size: 64
  - .agpr_count:     0
    .args:
      - .offset:         0
        .size:           40
        .value_kind:     by_value
    .group_segment_fixed_size: 0
    .kernarg_segment_align: 8
    .kernarg_segment_size: 40
    .language:       OpenCL C
    .language_version:
      - 2
      - 0
    .max_flat_workgroup_size: 128
    .name:           _ZN7rocprim17ROCPRIM_400000_NS6detail17trampoline_kernelINS0_14default_configENS1_38merge_sort_block_merge_config_selectorIyyEEZZNS1_27merge_sort_block_merge_implIS3_N6thrust23THRUST_200600_302600_NS6detail15normal_iteratorINS8_10device_ptrIyEEEESD_jNS1_19radix_merge_compareILb0ELb1EyNS0_19identity_decomposerEEEEE10hipError_tT0_T1_T2_jT3_P12ihipStream_tbPNSt15iterator_traitsISI_E10value_typeEPNSO_ISJ_E10value_typeEPSK_NS1_7vsmem_tEENKUlT_SI_SJ_SK_E_clISD_PySD_S10_EESH_SX_SI_SJ_SK_EUlSX_E_NS1_11comp_targetILNS1_3genE5ELNS1_11target_archE942ELNS1_3gpuE9ELNS1_3repE0EEENS1_48merge_mergepath_partition_config_static_selectorELNS0_4arch9wavefront6targetE1EEEvSJ_
    .private_segment_fixed_size: 0
    .sgpr_count:     6
    .sgpr_spill_count: 0
    .symbol:         _ZN7rocprim17ROCPRIM_400000_NS6detail17trampoline_kernelINS0_14default_configENS1_38merge_sort_block_merge_config_selectorIyyEEZZNS1_27merge_sort_block_merge_implIS3_N6thrust23THRUST_200600_302600_NS6detail15normal_iteratorINS8_10device_ptrIyEEEESD_jNS1_19radix_merge_compareILb0ELb1EyNS0_19identity_decomposerEEEEE10hipError_tT0_T1_T2_jT3_P12ihipStream_tbPNSt15iterator_traitsISI_E10value_typeEPNSO_ISJ_E10value_typeEPSK_NS1_7vsmem_tEENKUlT_SI_SJ_SK_E_clISD_PySD_S10_EESH_SX_SI_SJ_SK_EUlSX_E_NS1_11comp_targetILNS1_3genE5ELNS1_11target_archE942ELNS1_3gpuE9ELNS1_3repE0EEENS1_48merge_mergepath_partition_config_static_selectorELNS0_4arch9wavefront6targetE1EEEvSJ_.kd
    .uniform_work_group_size: 1
    .uses_dynamic_stack: false
    .vgpr_count:     0
    .vgpr_spill_count: 0
    .wavefront_size: 64
  - .agpr_count:     0
    .args:
      - .offset:         0
        .size:           40
        .value_kind:     by_value
    .group_segment_fixed_size: 0
    .kernarg_segment_align: 8
    .kernarg_segment_size: 40
    .language:       OpenCL C
    .language_version:
      - 2
      - 0
    .max_flat_workgroup_size: 128
    .name:           _ZN7rocprim17ROCPRIM_400000_NS6detail17trampoline_kernelINS0_14default_configENS1_38merge_sort_block_merge_config_selectorIyyEEZZNS1_27merge_sort_block_merge_implIS3_N6thrust23THRUST_200600_302600_NS6detail15normal_iteratorINS8_10device_ptrIyEEEESD_jNS1_19radix_merge_compareILb0ELb1EyNS0_19identity_decomposerEEEEE10hipError_tT0_T1_T2_jT3_P12ihipStream_tbPNSt15iterator_traitsISI_E10value_typeEPNSO_ISJ_E10value_typeEPSK_NS1_7vsmem_tEENKUlT_SI_SJ_SK_E_clISD_PySD_S10_EESH_SX_SI_SJ_SK_EUlSX_E_NS1_11comp_targetILNS1_3genE4ELNS1_11target_archE910ELNS1_3gpuE8ELNS1_3repE0EEENS1_48merge_mergepath_partition_config_static_selectorELNS0_4arch9wavefront6targetE1EEEvSJ_
    .private_segment_fixed_size: 0
    .sgpr_count:     6
    .sgpr_spill_count: 0
    .symbol:         _ZN7rocprim17ROCPRIM_400000_NS6detail17trampoline_kernelINS0_14default_configENS1_38merge_sort_block_merge_config_selectorIyyEEZZNS1_27merge_sort_block_merge_implIS3_N6thrust23THRUST_200600_302600_NS6detail15normal_iteratorINS8_10device_ptrIyEEEESD_jNS1_19radix_merge_compareILb0ELb1EyNS0_19identity_decomposerEEEEE10hipError_tT0_T1_T2_jT3_P12ihipStream_tbPNSt15iterator_traitsISI_E10value_typeEPNSO_ISJ_E10value_typeEPSK_NS1_7vsmem_tEENKUlT_SI_SJ_SK_E_clISD_PySD_S10_EESH_SX_SI_SJ_SK_EUlSX_E_NS1_11comp_targetILNS1_3genE4ELNS1_11target_archE910ELNS1_3gpuE8ELNS1_3repE0EEENS1_48merge_mergepath_partition_config_static_selectorELNS0_4arch9wavefront6targetE1EEEvSJ_.kd
    .uniform_work_group_size: 1
    .uses_dynamic_stack: false
    .vgpr_count:     0
    .vgpr_spill_count: 0
    .wavefront_size: 64
  - .agpr_count:     0
    .args:
      - .offset:         0
        .size:           40
        .value_kind:     by_value
    .group_segment_fixed_size: 0
    .kernarg_segment_align: 8
    .kernarg_segment_size: 40
    .language:       OpenCL C
    .language_version:
      - 2
      - 0
    .max_flat_workgroup_size: 128
    .name:           _ZN7rocprim17ROCPRIM_400000_NS6detail17trampoline_kernelINS0_14default_configENS1_38merge_sort_block_merge_config_selectorIyyEEZZNS1_27merge_sort_block_merge_implIS3_N6thrust23THRUST_200600_302600_NS6detail15normal_iteratorINS8_10device_ptrIyEEEESD_jNS1_19radix_merge_compareILb0ELb1EyNS0_19identity_decomposerEEEEE10hipError_tT0_T1_T2_jT3_P12ihipStream_tbPNSt15iterator_traitsISI_E10value_typeEPNSO_ISJ_E10value_typeEPSK_NS1_7vsmem_tEENKUlT_SI_SJ_SK_E_clISD_PySD_S10_EESH_SX_SI_SJ_SK_EUlSX_E_NS1_11comp_targetILNS1_3genE3ELNS1_11target_archE908ELNS1_3gpuE7ELNS1_3repE0EEENS1_48merge_mergepath_partition_config_static_selectorELNS0_4arch9wavefront6targetE1EEEvSJ_
    .private_segment_fixed_size: 0
    .sgpr_count:     6
    .sgpr_spill_count: 0
    .symbol:         _ZN7rocprim17ROCPRIM_400000_NS6detail17trampoline_kernelINS0_14default_configENS1_38merge_sort_block_merge_config_selectorIyyEEZZNS1_27merge_sort_block_merge_implIS3_N6thrust23THRUST_200600_302600_NS6detail15normal_iteratorINS8_10device_ptrIyEEEESD_jNS1_19radix_merge_compareILb0ELb1EyNS0_19identity_decomposerEEEEE10hipError_tT0_T1_T2_jT3_P12ihipStream_tbPNSt15iterator_traitsISI_E10value_typeEPNSO_ISJ_E10value_typeEPSK_NS1_7vsmem_tEENKUlT_SI_SJ_SK_E_clISD_PySD_S10_EESH_SX_SI_SJ_SK_EUlSX_E_NS1_11comp_targetILNS1_3genE3ELNS1_11target_archE908ELNS1_3gpuE7ELNS1_3repE0EEENS1_48merge_mergepath_partition_config_static_selectorELNS0_4arch9wavefront6targetE1EEEvSJ_.kd
    .uniform_work_group_size: 1
    .uses_dynamic_stack: false
    .vgpr_count:     0
    .vgpr_spill_count: 0
    .wavefront_size: 64
  - .agpr_count:     0
    .args:
      - .offset:         0
        .size:           40
        .value_kind:     by_value
    .group_segment_fixed_size: 0
    .kernarg_segment_align: 8
    .kernarg_segment_size: 40
    .language:       OpenCL C
    .language_version:
      - 2
      - 0
    .max_flat_workgroup_size: 128
    .name:           _ZN7rocprim17ROCPRIM_400000_NS6detail17trampoline_kernelINS0_14default_configENS1_38merge_sort_block_merge_config_selectorIyyEEZZNS1_27merge_sort_block_merge_implIS3_N6thrust23THRUST_200600_302600_NS6detail15normal_iteratorINS8_10device_ptrIyEEEESD_jNS1_19radix_merge_compareILb0ELb1EyNS0_19identity_decomposerEEEEE10hipError_tT0_T1_T2_jT3_P12ihipStream_tbPNSt15iterator_traitsISI_E10value_typeEPNSO_ISJ_E10value_typeEPSK_NS1_7vsmem_tEENKUlT_SI_SJ_SK_E_clISD_PySD_S10_EESH_SX_SI_SJ_SK_EUlSX_E_NS1_11comp_targetILNS1_3genE2ELNS1_11target_archE906ELNS1_3gpuE6ELNS1_3repE0EEENS1_48merge_mergepath_partition_config_static_selectorELNS0_4arch9wavefront6targetE1EEEvSJ_
    .private_segment_fixed_size: 0
    .sgpr_count:     6
    .sgpr_spill_count: 0
    .symbol:         _ZN7rocprim17ROCPRIM_400000_NS6detail17trampoline_kernelINS0_14default_configENS1_38merge_sort_block_merge_config_selectorIyyEEZZNS1_27merge_sort_block_merge_implIS3_N6thrust23THRUST_200600_302600_NS6detail15normal_iteratorINS8_10device_ptrIyEEEESD_jNS1_19radix_merge_compareILb0ELb1EyNS0_19identity_decomposerEEEEE10hipError_tT0_T1_T2_jT3_P12ihipStream_tbPNSt15iterator_traitsISI_E10value_typeEPNSO_ISJ_E10value_typeEPSK_NS1_7vsmem_tEENKUlT_SI_SJ_SK_E_clISD_PySD_S10_EESH_SX_SI_SJ_SK_EUlSX_E_NS1_11comp_targetILNS1_3genE2ELNS1_11target_archE906ELNS1_3gpuE6ELNS1_3repE0EEENS1_48merge_mergepath_partition_config_static_selectorELNS0_4arch9wavefront6targetE1EEEvSJ_.kd
    .uniform_work_group_size: 1
    .uses_dynamic_stack: false
    .vgpr_count:     0
    .vgpr_spill_count: 0
    .wavefront_size: 64
  - .agpr_count:     0
    .args:
      - .offset:         0
        .size:           40
        .value_kind:     by_value
    .group_segment_fixed_size: 0
    .kernarg_segment_align: 8
    .kernarg_segment_size: 40
    .language:       OpenCL C
    .language_version:
      - 2
      - 0
    .max_flat_workgroup_size: 128
    .name:           _ZN7rocprim17ROCPRIM_400000_NS6detail17trampoline_kernelINS0_14default_configENS1_38merge_sort_block_merge_config_selectorIyyEEZZNS1_27merge_sort_block_merge_implIS3_N6thrust23THRUST_200600_302600_NS6detail15normal_iteratorINS8_10device_ptrIyEEEESD_jNS1_19radix_merge_compareILb0ELb1EyNS0_19identity_decomposerEEEEE10hipError_tT0_T1_T2_jT3_P12ihipStream_tbPNSt15iterator_traitsISI_E10value_typeEPNSO_ISJ_E10value_typeEPSK_NS1_7vsmem_tEENKUlT_SI_SJ_SK_E_clISD_PySD_S10_EESH_SX_SI_SJ_SK_EUlSX_E_NS1_11comp_targetILNS1_3genE9ELNS1_11target_archE1100ELNS1_3gpuE3ELNS1_3repE0EEENS1_48merge_mergepath_partition_config_static_selectorELNS0_4arch9wavefront6targetE1EEEvSJ_
    .private_segment_fixed_size: 0
    .sgpr_count:     6
    .sgpr_spill_count: 0
    .symbol:         _ZN7rocprim17ROCPRIM_400000_NS6detail17trampoline_kernelINS0_14default_configENS1_38merge_sort_block_merge_config_selectorIyyEEZZNS1_27merge_sort_block_merge_implIS3_N6thrust23THRUST_200600_302600_NS6detail15normal_iteratorINS8_10device_ptrIyEEEESD_jNS1_19radix_merge_compareILb0ELb1EyNS0_19identity_decomposerEEEEE10hipError_tT0_T1_T2_jT3_P12ihipStream_tbPNSt15iterator_traitsISI_E10value_typeEPNSO_ISJ_E10value_typeEPSK_NS1_7vsmem_tEENKUlT_SI_SJ_SK_E_clISD_PySD_S10_EESH_SX_SI_SJ_SK_EUlSX_E_NS1_11comp_targetILNS1_3genE9ELNS1_11target_archE1100ELNS1_3gpuE3ELNS1_3repE0EEENS1_48merge_mergepath_partition_config_static_selectorELNS0_4arch9wavefront6targetE1EEEvSJ_.kd
    .uniform_work_group_size: 1
    .uses_dynamic_stack: false
    .vgpr_count:     0
    .vgpr_spill_count: 0
    .wavefront_size: 64
  - .agpr_count:     0
    .args:
      - .offset:         0
        .size:           40
        .value_kind:     by_value
    .group_segment_fixed_size: 0
    .kernarg_segment_align: 8
    .kernarg_segment_size: 40
    .language:       OpenCL C
    .language_version:
      - 2
      - 0
    .max_flat_workgroup_size: 128
    .name:           _ZN7rocprim17ROCPRIM_400000_NS6detail17trampoline_kernelINS0_14default_configENS1_38merge_sort_block_merge_config_selectorIyyEEZZNS1_27merge_sort_block_merge_implIS3_N6thrust23THRUST_200600_302600_NS6detail15normal_iteratorINS8_10device_ptrIyEEEESD_jNS1_19radix_merge_compareILb0ELb1EyNS0_19identity_decomposerEEEEE10hipError_tT0_T1_T2_jT3_P12ihipStream_tbPNSt15iterator_traitsISI_E10value_typeEPNSO_ISJ_E10value_typeEPSK_NS1_7vsmem_tEENKUlT_SI_SJ_SK_E_clISD_PySD_S10_EESH_SX_SI_SJ_SK_EUlSX_E_NS1_11comp_targetILNS1_3genE8ELNS1_11target_archE1030ELNS1_3gpuE2ELNS1_3repE0EEENS1_48merge_mergepath_partition_config_static_selectorELNS0_4arch9wavefront6targetE1EEEvSJ_
    .private_segment_fixed_size: 0
    .sgpr_count:     6
    .sgpr_spill_count: 0
    .symbol:         _ZN7rocprim17ROCPRIM_400000_NS6detail17trampoline_kernelINS0_14default_configENS1_38merge_sort_block_merge_config_selectorIyyEEZZNS1_27merge_sort_block_merge_implIS3_N6thrust23THRUST_200600_302600_NS6detail15normal_iteratorINS8_10device_ptrIyEEEESD_jNS1_19radix_merge_compareILb0ELb1EyNS0_19identity_decomposerEEEEE10hipError_tT0_T1_T2_jT3_P12ihipStream_tbPNSt15iterator_traitsISI_E10value_typeEPNSO_ISJ_E10value_typeEPSK_NS1_7vsmem_tEENKUlT_SI_SJ_SK_E_clISD_PySD_S10_EESH_SX_SI_SJ_SK_EUlSX_E_NS1_11comp_targetILNS1_3genE8ELNS1_11target_archE1030ELNS1_3gpuE2ELNS1_3repE0EEENS1_48merge_mergepath_partition_config_static_selectorELNS0_4arch9wavefront6targetE1EEEvSJ_.kd
    .uniform_work_group_size: 1
    .uses_dynamic_stack: false
    .vgpr_count:     0
    .vgpr_spill_count: 0
    .wavefront_size: 64
  - .agpr_count:     0
    .args:
      - .offset:         0
        .size:           72
        .value_kind:     by_value
      - .offset:         72
        .size:           4
        .value_kind:     hidden_block_count_x
      - .offset:         76
        .size:           4
        .value_kind:     hidden_block_count_y
      - .offset:         80
        .size:           4
        .value_kind:     hidden_block_count_z
      - .offset:         84
        .size:           2
        .value_kind:     hidden_group_size_x
      - .offset:         86
        .size:           2
        .value_kind:     hidden_group_size_y
      - .offset:         88
        .size:           2
        .value_kind:     hidden_group_size_z
      - .offset:         90
        .size:           2
        .value_kind:     hidden_remainder_x
      - .offset:         92
        .size:           2
        .value_kind:     hidden_remainder_y
      - .offset:         94
        .size:           2
        .value_kind:     hidden_remainder_z
      - .offset:         112
        .size:           8
        .value_kind:     hidden_global_offset_x
      - .offset:         120
        .size:           8
        .value_kind:     hidden_global_offset_y
      - .offset:         128
        .size:           8
        .value_kind:     hidden_global_offset_z
      - .offset:         136
        .size:           2
        .value_kind:     hidden_grid_dims
    .group_segment_fixed_size: 8448
    .kernarg_segment_align: 8
    .kernarg_segment_size: 328
    .language:       OpenCL C
    .language_version:
      - 2
      - 0
    .max_flat_workgroup_size: 512
    .name:           _ZN7rocprim17ROCPRIM_400000_NS6detail17trampoline_kernelINS0_14default_configENS1_38merge_sort_block_merge_config_selectorIyyEEZZNS1_27merge_sort_block_merge_implIS3_N6thrust23THRUST_200600_302600_NS6detail15normal_iteratorINS8_10device_ptrIyEEEESD_jNS1_19radix_merge_compareILb0ELb1EyNS0_19identity_decomposerEEEEE10hipError_tT0_T1_T2_jT3_P12ihipStream_tbPNSt15iterator_traitsISI_E10value_typeEPNSO_ISJ_E10value_typeEPSK_NS1_7vsmem_tEENKUlT_SI_SJ_SK_E_clISD_PySD_S10_EESH_SX_SI_SJ_SK_EUlSX_E0_NS1_11comp_targetILNS1_3genE0ELNS1_11target_archE4294967295ELNS1_3gpuE0ELNS1_3repE0EEENS1_38merge_mergepath_config_static_selectorELNS0_4arch9wavefront6targetE1EEEvSJ_
    .private_segment_fixed_size: 0
    .sgpr_count:     38
    .sgpr_spill_count: 0
    .symbol:         _ZN7rocprim17ROCPRIM_400000_NS6detail17trampoline_kernelINS0_14default_configENS1_38merge_sort_block_merge_config_selectorIyyEEZZNS1_27merge_sort_block_merge_implIS3_N6thrust23THRUST_200600_302600_NS6detail15normal_iteratorINS8_10device_ptrIyEEEESD_jNS1_19radix_merge_compareILb0ELb1EyNS0_19identity_decomposerEEEEE10hipError_tT0_T1_T2_jT3_P12ihipStream_tbPNSt15iterator_traitsISI_E10value_typeEPNSO_ISJ_E10value_typeEPSK_NS1_7vsmem_tEENKUlT_SI_SJ_SK_E_clISD_PySD_S10_EESH_SX_SI_SJ_SK_EUlSX_E0_NS1_11comp_targetILNS1_3genE0ELNS1_11target_archE4294967295ELNS1_3gpuE0ELNS1_3repE0EEENS1_38merge_mergepath_config_static_selectorELNS0_4arch9wavefront6targetE1EEEvSJ_.kd
    .uniform_work_group_size: 1
    .uses_dynamic_stack: false
    .vgpr_count:     22
    .vgpr_spill_count: 0
    .wavefront_size: 64
  - .agpr_count:     0
    .args:
      - .offset:         0
        .size:           72
        .value_kind:     by_value
    .group_segment_fixed_size: 0
    .kernarg_segment_align: 8
    .kernarg_segment_size: 72
    .language:       OpenCL C
    .language_version:
      - 2
      - 0
    .max_flat_workgroup_size: 512
    .name:           _ZN7rocprim17ROCPRIM_400000_NS6detail17trampoline_kernelINS0_14default_configENS1_38merge_sort_block_merge_config_selectorIyyEEZZNS1_27merge_sort_block_merge_implIS3_N6thrust23THRUST_200600_302600_NS6detail15normal_iteratorINS8_10device_ptrIyEEEESD_jNS1_19radix_merge_compareILb0ELb1EyNS0_19identity_decomposerEEEEE10hipError_tT0_T1_T2_jT3_P12ihipStream_tbPNSt15iterator_traitsISI_E10value_typeEPNSO_ISJ_E10value_typeEPSK_NS1_7vsmem_tEENKUlT_SI_SJ_SK_E_clISD_PySD_S10_EESH_SX_SI_SJ_SK_EUlSX_E0_NS1_11comp_targetILNS1_3genE10ELNS1_11target_archE1201ELNS1_3gpuE5ELNS1_3repE0EEENS1_38merge_mergepath_config_static_selectorELNS0_4arch9wavefront6targetE1EEEvSJ_
    .private_segment_fixed_size: 0
    .sgpr_count:     6
    .sgpr_spill_count: 0
    .symbol:         _ZN7rocprim17ROCPRIM_400000_NS6detail17trampoline_kernelINS0_14default_configENS1_38merge_sort_block_merge_config_selectorIyyEEZZNS1_27merge_sort_block_merge_implIS3_N6thrust23THRUST_200600_302600_NS6detail15normal_iteratorINS8_10device_ptrIyEEEESD_jNS1_19radix_merge_compareILb0ELb1EyNS0_19identity_decomposerEEEEE10hipError_tT0_T1_T2_jT3_P12ihipStream_tbPNSt15iterator_traitsISI_E10value_typeEPNSO_ISJ_E10value_typeEPSK_NS1_7vsmem_tEENKUlT_SI_SJ_SK_E_clISD_PySD_S10_EESH_SX_SI_SJ_SK_EUlSX_E0_NS1_11comp_targetILNS1_3genE10ELNS1_11target_archE1201ELNS1_3gpuE5ELNS1_3repE0EEENS1_38merge_mergepath_config_static_selectorELNS0_4arch9wavefront6targetE1EEEvSJ_.kd
    .uniform_work_group_size: 1
    .uses_dynamic_stack: false
    .vgpr_count:     0
    .vgpr_spill_count: 0
    .wavefront_size: 64
  - .agpr_count:     0
    .args:
      - .offset:         0
        .size:           72
        .value_kind:     by_value
    .group_segment_fixed_size: 0
    .kernarg_segment_align: 8
    .kernarg_segment_size: 72
    .language:       OpenCL C
    .language_version:
      - 2
      - 0
    .max_flat_workgroup_size: 256
    .name:           _ZN7rocprim17ROCPRIM_400000_NS6detail17trampoline_kernelINS0_14default_configENS1_38merge_sort_block_merge_config_selectorIyyEEZZNS1_27merge_sort_block_merge_implIS3_N6thrust23THRUST_200600_302600_NS6detail15normal_iteratorINS8_10device_ptrIyEEEESD_jNS1_19radix_merge_compareILb0ELb1EyNS0_19identity_decomposerEEEEE10hipError_tT0_T1_T2_jT3_P12ihipStream_tbPNSt15iterator_traitsISI_E10value_typeEPNSO_ISJ_E10value_typeEPSK_NS1_7vsmem_tEENKUlT_SI_SJ_SK_E_clISD_PySD_S10_EESH_SX_SI_SJ_SK_EUlSX_E0_NS1_11comp_targetILNS1_3genE5ELNS1_11target_archE942ELNS1_3gpuE9ELNS1_3repE0EEENS1_38merge_mergepath_config_static_selectorELNS0_4arch9wavefront6targetE1EEEvSJ_
    .private_segment_fixed_size: 0
    .sgpr_count:     6
    .sgpr_spill_count: 0
    .symbol:         _ZN7rocprim17ROCPRIM_400000_NS6detail17trampoline_kernelINS0_14default_configENS1_38merge_sort_block_merge_config_selectorIyyEEZZNS1_27merge_sort_block_merge_implIS3_N6thrust23THRUST_200600_302600_NS6detail15normal_iteratorINS8_10device_ptrIyEEEESD_jNS1_19radix_merge_compareILb0ELb1EyNS0_19identity_decomposerEEEEE10hipError_tT0_T1_T2_jT3_P12ihipStream_tbPNSt15iterator_traitsISI_E10value_typeEPNSO_ISJ_E10value_typeEPSK_NS1_7vsmem_tEENKUlT_SI_SJ_SK_E_clISD_PySD_S10_EESH_SX_SI_SJ_SK_EUlSX_E0_NS1_11comp_targetILNS1_3genE5ELNS1_11target_archE942ELNS1_3gpuE9ELNS1_3repE0EEENS1_38merge_mergepath_config_static_selectorELNS0_4arch9wavefront6targetE1EEEvSJ_.kd
    .uniform_work_group_size: 1
    .uses_dynamic_stack: false
    .vgpr_count:     0
    .vgpr_spill_count: 0
    .wavefront_size: 64
  - .agpr_count:     0
    .args:
      - .offset:         0
        .size:           72
        .value_kind:     by_value
    .group_segment_fixed_size: 0
    .kernarg_segment_align: 8
    .kernarg_segment_size: 72
    .language:       OpenCL C
    .language_version:
      - 2
      - 0
    .max_flat_workgroup_size: 512
    .name:           _ZN7rocprim17ROCPRIM_400000_NS6detail17trampoline_kernelINS0_14default_configENS1_38merge_sort_block_merge_config_selectorIyyEEZZNS1_27merge_sort_block_merge_implIS3_N6thrust23THRUST_200600_302600_NS6detail15normal_iteratorINS8_10device_ptrIyEEEESD_jNS1_19radix_merge_compareILb0ELb1EyNS0_19identity_decomposerEEEEE10hipError_tT0_T1_T2_jT3_P12ihipStream_tbPNSt15iterator_traitsISI_E10value_typeEPNSO_ISJ_E10value_typeEPSK_NS1_7vsmem_tEENKUlT_SI_SJ_SK_E_clISD_PySD_S10_EESH_SX_SI_SJ_SK_EUlSX_E0_NS1_11comp_targetILNS1_3genE4ELNS1_11target_archE910ELNS1_3gpuE8ELNS1_3repE0EEENS1_38merge_mergepath_config_static_selectorELNS0_4arch9wavefront6targetE1EEEvSJ_
    .private_segment_fixed_size: 0
    .sgpr_count:     6
    .sgpr_spill_count: 0
    .symbol:         _ZN7rocprim17ROCPRIM_400000_NS6detail17trampoline_kernelINS0_14default_configENS1_38merge_sort_block_merge_config_selectorIyyEEZZNS1_27merge_sort_block_merge_implIS3_N6thrust23THRUST_200600_302600_NS6detail15normal_iteratorINS8_10device_ptrIyEEEESD_jNS1_19radix_merge_compareILb0ELb1EyNS0_19identity_decomposerEEEEE10hipError_tT0_T1_T2_jT3_P12ihipStream_tbPNSt15iterator_traitsISI_E10value_typeEPNSO_ISJ_E10value_typeEPSK_NS1_7vsmem_tEENKUlT_SI_SJ_SK_E_clISD_PySD_S10_EESH_SX_SI_SJ_SK_EUlSX_E0_NS1_11comp_targetILNS1_3genE4ELNS1_11target_archE910ELNS1_3gpuE8ELNS1_3repE0EEENS1_38merge_mergepath_config_static_selectorELNS0_4arch9wavefront6targetE1EEEvSJ_.kd
    .uniform_work_group_size: 1
    .uses_dynamic_stack: false
    .vgpr_count:     0
    .vgpr_spill_count: 0
    .wavefront_size: 64
  - .agpr_count:     0
    .args:
      - .offset:         0
        .size:           72
        .value_kind:     by_value
    .group_segment_fixed_size: 0
    .kernarg_segment_align: 8
    .kernarg_segment_size: 72
    .language:       OpenCL C
    .language_version:
      - 2
      - 0
    .max_flat_workgroup_size: 512
    .name:           _ZN7rocprim17ROCPRIM_400000_NS6detail17trampoline_kernelINS0_14default_configENS1_38merge_sort_block_merge_config_selectorIyyEEZZNS1_27merge_sort_block_merge_implIS3_N6thrust23THRUST_200600_302600_NS6detail15normal_iteratorINS8_10device_ptrIyEEEESD_jNS1_19radix_merge_compareILb0ELb1EyNS0_19identity_decomposerEEEEE10hipError_tT0_T1_T2_jT3_P12ihipStream_tbPNSt15iterator_traitsISI_E10value_typeEPNSO_ISJ_E10value_typeEPSK_NS1_7vsmem_tEENKUlT_SI_SJ_SK_E_clISD_PySD_S10_EESH_SX_SI_SJ_SK_EUlSX_E0_NS1_11comp_targetILNS1_3genE3ELNS1_11target_archE908ELNS1_3gpuE7ELNS1_3repE0EEENS1_38merge_mergepath_config_static_selectorELNS0_4arch9wavefront6targetE1EEEvSJ_
    .private_segment_fixed_size: 0
    .sgpr_count:     6
    .sgpr_spill_count: 0
    .symbol:         _ZN7rocprim17ROCPRIM_400000_NS6detail17trampoline_kernelINS0_14default_configENS1_38merge_sort_block_merge_config_selectorIyyEEZZNS1_27merge_sort_block_merge_implIS3_N6thrust23THRUST_200600_302600_NS6detail15normal_iteratorINS8_10device_ptrIyEEEESD_jNS1_19radix_merge_compareILb0ELb1EyNS0_19identity_decomposerEEEEE10hipError_tT0_T1_T2_jT3_P12ihipStream_tbPNSt15iterator_traitsISI_E10value_typeEPNSO_ISJ_E10value_typeEPSK_NS1_7vsmem_tEENKUlT_SI_SJ_SK_E_clISD_PySD_S10_EESH_SX_SI_SJ_SK_EUlSX_E0_NS1_11comp_targetILNS1_3genE3ELNS1_11target_archE908ELNS1_3gpuE7ELNS1_3repE0EEENS1_38merge_mergepath_config_static_selectorELNS0_4arch9wavefront6targetE1EEEvSJ_.kd
    .uniform_work_group_size: 1
    .uses_dynamic_stack: false
    .vgpr_count:     0
    .vgpr_spill_count: 0
    .wavefront_size: 64
  - .agpr_count:     0
    .args:
      - .offset:         0
        .size:           72
        .value_kind:     by_value
    .group_segment_fixed_size: 0
    .kernarg_segment_align: 8
    .kernarg_segment_size: 72
    .language:       OpenCL C
    .language_version:
      - 2
      - 0
    .max_flat_workgroup_size: 128
    .name:           _ZN7rocprim17ROCPRIM_400000_NS6detail17trampoline_kernelINS0_14default_configENS1_38merge_sort_block_merge_config_selectorIyyEEZZNS1_27merge_sort_block_merge_implIS3_N6thrust23THRUST_200600_302600_NS6detail15normal_iteratorINS8_10device_ptrIyEEEESD_jNS1_19radix_merge_compareILb0ELb1EyNS0_19identity_decomposerEEEEE10hipError_tT0_T1_T2_jT3_P12ihipStream_tbPNSt15iterator_traitsISI_E10value_typeEPNSO_ISJ_E10value_typeEPSK_NS1_7vsmem_tEENKUlT_SI_SJ_SK_E_clISD_PySD_S10_EESH_SX_SI_SJ_SK_EUlSX_E0_NS1_11comp_targetILNS1_3genE2ELNS1_11target_archE906ELNS1_3gpuE6ELNS1_3repE0EEENS1_38merge_mergepath_config_static_selectorELNS0_4arch9wavefront6targetE1EEEvSJ_
    .private_segment_fixed_size: 0
    .sgpr_count:     6
    .sgpr_spill_count: 0
    .symbol:         _ZN7rocprim17ROCPRIM_400000_NS6detail17trampoline_kernelINS0_14default_configENS1_38merge_sort_block_merge_config_selectorIyyEEZZNS1_27merge_sort_block_merge_implIS3_N6thrust23THRUST_200600_302600_NS6detail15normal_iteratorINS8_10device_ptrIyEEEESD_jNS1_19radix_merge_compareILb0ELb1EyNS0_19identity_decomposerEEEEE10hipError_tT0_T1_T2_jT3_P12ihipStream_tbPNSt15iterator_traitsISI_E10value_typeEPNSO_ISJ_E10value_typeEPSK_NS1_7vsmem_tEENKUlT_SI_SJ_SK_E_clISD_PySD_S10_EESH_SX_SI_SJ_SK_EUlSX_E0_NS1_11comp_targetILNS1_3genE2ELNS1_11target_archE906ELNS1_3gpuE6ELNS1_3repE0EEENS1_38merge_mergepath_config_static_selectorELNS0_4arch9wavefront6targetE1EEEvSJ_.kd
    .uniform_work_group_size: 1
    .uses_dynamic_stack: false
    .vgpr_count:     0
    .vgpr_spill_count: 0
    .wavefront_size: 64
  - .agpr_count:     0
    .args:
      - .offset:         0
        .size:           72
        .value_kind:     by_value
    .group_segment_fixed_size: 0
    .kernarg_segment_align: 8
    .kernarg_segment_size: 72
    .language:       OpenCL C
    .language_version:
      - 2
      - 0
    .max_flat_workgroup_size: 1024
    .name:           _ZN7rocprim17ROCPRIM_400000_NS6detail17trampoline_kernelINS0_14default_configENS1_38merge_sort_block_merge_config_selectorIyyEEZZNS1_27merge_sort_block_merge_implIS3_N6thrust23THRUST_200600_302600_NS6detail15normal_iteratorINS8_10device_ptrIyEEEESD_jNS1_19radix_merge_compareILb0ELb1EyNS0_19identity_decomposerEEEEE10hipError_tT0_T1_T2_jT3_P12ihipStream_tbPNSt15iterator_traitsISI_E10value_typeEPNSO_ISJ_E10value_typeEPSK_NS1_7vsmem_tEENKUlT_SI_SJ_SK_E_clISD_PySD_S10_EESH_SX_SI_SJ_SK_EUlSX_E0_NS1_11comp_targetILNS1_3genE9ELNS1_11target_archE1100ELNS1_3gpuE3ELNS1_3repE0EEENS1_38merge_mergepath_config_static_selectorELNS0_4arch9wavefront6targetE1EEEvSJ_
    .private_segment_fixed_size: 0
    .sgpr_count:     6
    .sgpr_spill_count: 0
    .symbol:         _ZN7rocprim17ROCPRIM_400000_NS6detail17trampoline_kernelINS0_14default_configENS1_38merge_sort_block_merge_config_selectorIyyEEZZNS1_27merge_sort_block_merge_implIS3_N6thrust23THRUST_200600_302600_NS6detail15normal_iteratorINS8_10device_ptrIyEEEESD_jNS1_19radix_merge_compareILb0ELb1EyNS0_19identity_decomposerEEEEE10hipError_tT0_T1_T2_jT3_P12ihipStream_tbPNSt15iterator_traitsISI_E10value_typeEPNSO_ISJ_E10value_typeEPSK_NS1_7vsmem_tEENKUlT_SI_SJ_SK_E_clISD_PySD_S10_EESH_SX_SI_SJ_SK_EUlSX_E0_NS1_11comp_targetILNS1_3genE9ELNS1_11target_archE1100ELNS1_3gpuE3ELNS1_3repE0EEENS1_38merge_mergepath_config_static_selectorELNS0_4arch9wavefront6targetE1EEEvSJ_.kd
    .uniform_work_group_size: 1
    .uses_dynamic_stack: false
    .vgpr_count:     0
    .vgpr_spill_count: 0
    .wavefront_size: 64
  - .agpr_count:     0
    .args:
      - .offset:         0
        .size:           72
        .value_kind:     by_value
    .group_segment_fixed_size: 0
    .kernarg_segment_align: 8
    .kernarg_segment_size: 72
    .language:       OpenCL C
    .language_version:
      - 2
      - 0
    .max_flat_workgroup_size: 1024
    .name:           _ZN7rocprim17ROCPRIM_400000_NS6detail17trampoline_kernelINS0_14default_configENS1_38merge_sort_block_merge_config_selectorIyyEEZZNS1_27merge_sort_block_merge_implIS3_N6thrust23THRUST_200600_302600_NS6detail15normal_iteratorINS8_10device_ptrIyEEEESD_jNS1_19radix_merge_compareILb0ELb1EyNS0_19identity_decomposerEEEEE10hipError_tT0_T1_T2_jT3_P12ihipStream_tbPNSt15iterator_traitsISI_E10value_typeEPNSO_ISJ_E10value_typeEPSK_NS1_7vsmem_tEENKUlT_SI_SJ_SK_E_clISD_PySD_S10_EESH_SX_SI_SJ_SK_EUlSX_E0_NS1_11comp_targetILNS1_3genE8ELNS1_11target_archE1030ELNS1_3gpuE2ELNS1_3repE0EEENS1_38merge_mergepath_config_static_selectorELNS0_4arch9wavefront6targetE1EEEvSJ_
    .private_segment_fixed_size: 0
    .sgpr_count:     6
    .sgpr_spill_count: 0
    .symbol:         _ZN7rocprim17ROCPRIM_400000_NS6detail17trampoline_kernelINS0_14default_configENS1_38merge_sort_block_merge_config_selectorIyyEEZZNS1_27merge_sort_block_merge_implIS3_N6thrust23THRUST_200600_302600_NS6detail15normal_iteratorINS8_10device_ptrIyEEEESD_jNS1_19radix_merge_compareILb0ELb1EyNS0_19identity_decomposerEEEEE10hipError_tT0_T1_T2_jT3_P12ihipStream_tbPNSt15iterator_traitsISI_E10value_typeEPNSO_ISJ_E10value_typeEPSK_NS1_7vsmem_tEENKUlT_SI_SJ_SK_E_clISD_PySD_S10_EESH_SX_SI_SJ_SK_EUlSX_E0_NS1_11comp_targetILNS1_3genE8ELNS1_11target_archE1030ELNS1_3gpuE2ELNS1_3repE0EEENS1_38merge_mergepath_config_static_selectorELNS0_4arch9wavefront6targetE1EEEvSJ_.kd
    .uniform_work_group_size: 1
    .uses_dynamic_stack: false
    .vgpr_count:     0
    .vgpr_spill_count: 0
    .wavefront_size: 64
  - .agpr_count:     0
    .args:
      - .offset:         0
        .size:           48
        .value_kind:     by_value
    .group_segment_fixed_size: 0
    .kernarg_segment_align: 8
    .kernarg_segment_size: 48
    .language:       OpenCL C
    .language_version:
      - 2
      - 0
    .max_flat_workgroup_size: 256
    .name:           _ZN7rocprim17ROCPRIM_400000_NS6detail17trampoline_kernelINS0_14default_configENS1_38merge_sort_block_merge_config_selectorIyyEEZZNS1_27merge_sort_block_merge_implIS3_N6thrust23THRUST_200600_302600_NS6detail15normal_iteratorINS8_10device_ptrIyEEEESD_jNS1_19radix_merge_compareILb0ELb1EyNS0_19identity_decomposerEEEEE10hipError_tT0_T1_T2_jT3_P12ihipStream_tbPNSt15iterator_traitsISI_E10value_typeEPNSO_ISJ_E10value_typeEPSK_NS1_7vsmem_tEENKUlT_SI_SJ_SK_E_clISD_PySD_S10_EESH_SX_SI_SJ_SK_EUlSX_E1_NS1_11comp_targetILNS1_3genE0ELNS1_11target_archE4294967295ELNS1_3gpuE0ELNS1_3repE0EEENS1_36merge_oddeven_config_static_selectorELNS0_4arch9wavefront6targetE1EEEvSJ_
    .private_segment_fixed_size: 0
    .sgpr_count:     30
    .sgpr_spill_count: 0
    .symbol:         _ZN7rocprim17ROCPRIM_400000_NS6detail17trampoline_kernelINS0_14default_configENS1_38merge_sort_block_merge_config_selectorIyyEEZZNS1_27merge_sort_block_merge_implIS3_N6thrust23THRUST_200600_302600_NS6detail15normal_iteratorINS8_10device_ptrIyEEEESD_jNS1_19radix_merge_compareILb0ELb1EyNS0_19identity_decomposerEEEEE10hipError_tT0_T1_T2_jT3_P12ihipStream_tbPNSt15iterator_traitsISI_E10value_typeEPNSO_ISJ_E10value_typeEPSK_NS1_7vsmem_tEENKUlT_SI_SJ_SK_E_clISD_PySD_S10_EESH_SX_SI_SJ_SK_EUlSX_E1_NS1_11comp_targetILNS1_3genE0ELNS1_11target_archE4294967295ELNS1_3gpuE0ELNS1_3repE0EEENS1_36merge_oddeven_config_static_selectorELNS0_4arch9wavefront6targetE1EEEvSJ_.kd
    .uniform_work_group_size: 1
    .uses_dynamic_stack: false
    .vgpr_count:     15
    .vgpr_spill_count: 0
    .wavefront_size: 64
  - .agpr_count:     0
    .args:
      - .offset:         0
        .size:           48
        .value_kind:     by_value
    .group_segment_fixed_size: 0
    .kernarg_segment_align: 8
    .kernarg_segment_size: 48
    .language:       OpenCL C
    .language_version:
      - 2
      - 0
    .max_flat_workgroup_size: 256
    .name:           _ZN7rocprim17ROCPRIM_400000_NS6detail17trampoline_kernelINS0_14default_configENS1_38merge_sort_block_merge_config_selectorIyyEEZZNS1_27merge_sort_block_merge_implIS3_N6thrust23THRUST_200600_302600_NS6detail15normal_iteratorINS8_10device_ptrIyEEEESD_jNS1_19radix_merge_compareILb0ELb1EyNS0_19identity_decomposerEEEEE10hipError_tT0_T1_T2_jT3_P12ihipStream_tbPNSt15iterator_traitsISI_E10value_typeEPNSO_ISJ_E10value_typeEPSK_NS1_7vsmem_tEENKUlT_SI_SJ_SK_E_clISD_PySD_S10_EESH_SX_SI_SJ_SK_EUlSX_E1_NS1_11comp_targetILNS1_3genE10ELNS1_11target_archE1201ELNS1_3gpuE5ELNS1_3repE0EEENS1_36merge_oddeven_config_static_selectorELNS0_4arch9wavefront6targetE1EEEvSJ_
    .private_segment_fixed_size: 0
    .sgpr_count:     6
    .sgpr_spill_count: 0
    .symbol:         _ZN7rocprim17ROCPRIM_400000_NS6detail17trampoline_kernelINS0_14default_configENS1_38merge_sort_block_merge_config_selectorIyyEEZZNS1_27merge_sort_block_merge_implIS3_N6thrust23THRUST_200600_302600_NS6detail15normal_iteratorINS8_10device_ptrIyEEEESD_jNS1_19radix_merge_compareILb0ELb1EyNS0_19identity_decomposerEEEEE10hipError_tT0_T1_T2_jT3_P12ihipStream_tbPNSt15iterator_traitsISI_E10value_typeEPNSO_ISJ_E10value_typeEPSK_NS1_7vsmem_tEENKUlT_SI_SJ_SK_E_clISD_PySD_S10_EESH_SX_SI_SJ_SK_EUlSX_E1_NS1_11comp_targetILNS1_3genE10ELNS1_11target_archE1201ELNS1_3gpuE5ELNS1_3repE0EEENS1_36merge_oddeven_config_static_selectorELNS0_4arch9wavefront6targetE1EEEvSJ_.kd
    .uniform_work_group_size: 1
    .uses_dynamic_stack: false
    .vgpr_count:     0
    .vgpr_spill_count: 0
    .wavefront_size: 64
  - .agpr_count:     0
    .args:
      - .offset:         0
        .size:           48
        .value_kind:     by_value
    .group_segment_fixed_size: 0
    .kernarg_segment_align: 8
    .kernarg_segment_size: 48
    .language:       OpenCL C
    .language_version:
      - 2
      - 0
    .max_flat_workgroup_size: 256
    .name:           _ZN7rocprim17ROCPRIM_400000_NS6detail17trampoline_kernelINS0_14default_configENS1_38merge_sort_block_merge_config_selectorIyyEEZZNS1_27merge_sort_block_merge_implIS3_N6thrust23THRUST_200600_302600_NS6detail15normal_iteratorINS8_10device_ptrIyEEEESD_jNS1_19radix_merge_compareILb0ELb1EyNS0_19identity_decomposerEEEEE10hipError_tT0_T1_T2_jT3_P12ihipStream_tbPNSt15iterator_traitsISI_E10value_typeEPNSO_ISJ_E10value_typeEPSK_NS1_7vsmem_tEENKUlT_SI_SJ_SK_E_clISD_PySD_S10_EESH_SX_SI_SJ_SK_EUlSX_E1_NS1_11comp_targetILNS1_3genE5ELNS1_11target_archE942ELNS1_3gpuE9ELNS1_3repE0EEENS1_36merge_oddeven_config_static_selectorELNS0_4arch9wavefront6targetE1EEEvSJ_
    .private_segment_fixed_size: 0
    .sgpr_count:     6
    .sgpr_spill_count: 0
    .symbol:         _ZN7rocprim17ROCPRIM_400000_NS6detail17trampoline_kernelINS0_14default_configENS1_38merge_sort_block_merge_config_selectorIyyEEZZNS1_27merge_sort_block_merge_implIS3_N6thrust23THRUST_200600_302600_NS6detail15normal_iteratorINS8_10device_ptrIyEEEESD_jNS1_19radix_merge_compareILb0ELb1EyNS0_19identity_decomposerEEEEE10hipError_tT0_T1_T2_jT3_P12ihipStream_tbPNSt15iterator_traitsISI_E10value_typeEPNSO_ISJ_E10value_typeEPSK_NS1_7vsmem_tEENKUlT_SI_SJ_SK_E_clISD_PySD_S10_EESH_SX_SI_SJ_SK_EUlSX_E1_NS1_11comp_targetILNS1_3genE5ELNS1_11target_archE942ELNS1_3gpuE9ELNS1_3repE0EEENS1_36merge_oddeven_config_static_selectorELNS0_4arch9wavefront6targetE1EEEvSJ_.kd
    .uniform_work_group_size: 1
    .uses_dynamic_stack: false
    .vgpr_count:     0
    .vgpr_spill_count: 0
    .wavefront_size: 64
  - .agpr_count:     0
    .args:
      - .offset:         0
        .size:           48
        .value_kind:     by_value
    .group_segment_fixed_size: 0
    .kernarg_segment_align: 8
    .kernarg_segment_size: 48
    .language:       OpenCL C
    .language_version:
      - 2
      - 0
    .max_flat_workgroup_size: 256
    .name:           _ZN7rocprim17ROCPRIM_400000_NS6detail17trampoline_kernelINS0_14default_configENS1_38merge_sort_block_merge_config_selectorIyyEEZZNS1_27merge_sort_block_merge_implIS3_N6thrust23THRUST_200600_302600_NS6detail15normal_iteratorINS8_10device_ptrIyEEEESD_jNS1_19radix_merge_compareILb0ELb1EyNS0_19identity_decomposerEEEEE10hipError_tT0_T1_T2_jT3_P12ihipStream_tbPNSt15iterator_traitsISI_E10value_typeEPNSO_ISJ_E10value_typeEPSK_NS1_7vsmem_tEENKUlT_SI_SJ_SK_E_clISD_PySD_S10_EESH_SX_SI_SJ_SK_EUlSX_E1_NS1_11comp_targetILNS1_3genE4ELNS1_11target_archE910ELNS1_3gpuE8ELNS1_3repE0EEENS1_36merge_oddeven_config_static_selectorELNS0_4arch9wavefront6targetE1EEEvSJ_
    .private_segment_fixed_size: 0
    .sgpr_count:     6
    .sgpr_spill_count: 0
    .symbol:         _ZN7rocprim17ROCPRIM_400000_NS6detail17trampoline_kernelINS0_14default_configENS1_38merge_sort_block_merge_config_selectorIyyEEZZNS1_27merge_sort_block_merge_implIS3_N6thrust23THRUST_200600_302600_NS6detail15normal_iteratorINS8_10device_ptrIyEEEESD_jNS1_19radix_merge_compareILb0ELb1EyNS0_19identity_decomposerEEEEE10hipError_tT0_T1_T2_jT3_P12ihipStream_tbPNSt15iterator_traitsISI_E10value_typeEPNSO_ISJ_E10value_typeEPSK_NS1_7vsmem_tEENKUlT_SI_SJ_SK_E_clISD_PySD_S10_EESH_SX_SI_SJ_SK_EUlSX_E1_NS1_11comp_targetILNS1_3genE4ELNS1_11target_archE910ELNS1_3gpuE8ELNS1_3repE0EEENS1_36merge_oddeven_config_static_selectorELNS0_4arch9wavefront6targetE1EEEvSJ_.kd
    .uniform_work_group_size: 1
    .uses_dynamic_stack: false
    .vgpr_count:     0
    .vgpr_spill_count: 0
    .wavefront_size: 64
  - .agpr_count:     0
    .args:
      - .offset:         0
        .size:           48
        .value_kind:     by_value
    .group_segment_fixed_size: 0
    .kernarg_segment_align: 8
    .kernarg_segment_size: 48
    .language:       OpenCL C
    .language_version:
      - 2
      - 0
    .max_flat_workgroup_size: 256
    .name:           _ZN7rocprim17ROCPRIM_400000_NS6detail17trampoline_kernelINS0_14default_configENS1_38merge_sort_block_merge_config_selectorIyyEEZZNS1_27merge_sort_block_merge_implIS3_N6thrust23THRUST_200600_302600_NS6detail15normal_iteratorINS8_10device_ptrIyEEEESD_jNS1_19radix_merge_compareILb0ELb1EyNS0_19identity_decomposerEEEEE10hipError_tT0_T1_T2_jT3_P12ihipStream_tbPNSt15iterator_traitsISI_E10value_typeEPNSO_ISJ_E10value_typeEPSK_NS1_7vsmem_tEENKUlT_SI_SJ_SK_E_clISD_PySD_S10_EESH_SX_SI_SJ_SK_EUlSX_E1_NS1_11comp_targetILNS1_3genE3ELNS1_11target_archE908ELNS1_3gpuE7ELNS1_3repE0EEENS1_36merge_oddeven_config_static_selectorELNS0_4arch9wavefront6targetE1EEEvSJ_
    .private_segment_fixed_size: 0
    .sgpr_count:     6
    .sgpr_spill_count: 0
    .symbol:         _ZN7rocprim17ROCPRIM_400000_NS6detail17trampoline_kernelINS0_14default_configENS1_38merge_sort_block_merge_config_selectorIyyEEZZNS1_27merge_sort_block_merge_implIS3_N6thrust23THRUST_200600_302600_NS6detail15normal_iteratorINS8_10device_ptrIyEEEESD_jNS1_19radix_merge_compareILb0ELb1EyNS0_19identity_decomposerEEEEE10hipError_tT0_T1_T2_jT3_P12ihipStream_tbPNSt15iterator_traitsISI_E10value_typeEPNSO_ISJ_E10value_typeEPSK_NS1_7vsmem_tEENKUlT_SI_SJ_SK_E_clISD_PySD_S10_EESH_SX_SI_SJ_SK_EUlSX_E1_NS1_11comp_targetILNS1_3genE3ELNS1_11target_archE908ELNS1_3gpuE7ELNS1_3repE0EEENS1_36merge_oddeven_config_static_selectorELNS0_4arch9wavefront6targetE1EEEvSJ_.kd
    .uniform_work_group_size: 1
    .uses_dynamic_stack: false
    .vgpr_count:     0
    .vgpr_spill_count: 0
    .wavefront_size: 64
  - .agpr_count:     0
    .args:
      - .offset:         0
        .size:           48
        .value_kind:     by_value
    .group_segment_fixed_size: 0
    .kernarg_segment_align: 8
    .kernarg_segment_size: 48
    .language:       OpenCL C
    .language_version:
      - 2
      - 0
    .max_flat_workgroup_size: 256
    .name:           _ZN7rocprim17ROCPRIM_400000_NS6detail17trampoline_kernelINS0_14default_configENS1_38merge_sort_block_merge_config_selectorIyyEEZZNS1_27merge_sort_block_merge_implIS3_N6thrust23THRUST_200600_302600_NS6detail15normal_iteratorINS8_10device_ptrIyEEEESD_jNS1_19radix_merge_compareILb0ELb1EyNS0_19identity_decomposerEEEEE10hipError_tT0_T1_T2_jT3_P12ihipStream_tbPNSt15iterator_traitsISI_E10value_typeEPNSO_ISJ_E10value_typeEPSK_NS1_7vsmem_tEENKUlT_SI_SJ_SK_E_clISD_PySD_S10_EESH_SX_SI_SJ_SK_EUlSX_E1_NS1_11comp_targetILNS1_3genE2ELNS1_11target_archE906ELNS1_3gpuE6ELNS1_3repE0EEENS1_36merge_oddeven_config_static_selectorELNS0_4arch9wavefront6targetE1EEEvSJ_
    .private_segment_fixed_size: 0
    .sgpr_count:     6
    .sgpr_spill_count: 0
    .symbol:         _ZN7rocprim17ROCPRIM_400000_NS6detail17trampoline_kernelINS0_14default_configENS1_38merge_sort_block_merge_config_selectorIyyEEZZNS1_27merge_sort_block_merge_implIS3_N6thrust23THRUST_200600_302600_NS6detail15normal_iteratorINS8_10device_ptrIyEEEESD_jNS1_19radix_merge_compareILb0ELb1EyNS0_19identity_decomposerEEEEE10hipError_tT0_T1_T2_jT3_P12ihipStream_tbPNSt15iterator_traitsISI_E10value_typeEPNSO_ISJ_E10value_typeEPSK_NS1_7vsmem_tEENKUlT_SI_SJ_SK_E_clISD_PySD_S10_EESH_SX_SI_SJ_SK_EUlSX_E1_NS1_11comp_targetILNS1_3genE2ELNS1_11target_archE906ELNS1_3gpuE6ELNS1_3repE0EEENS1_36merge_oddeven_config_static_selectorELNS0_4arch9wavefront6targetE1EEEvSJ_.kd
    .uniform_work_group_size: 1
    .uses_dynamic_stack: false
    .vgpr_count:     0
    .vgpr_spill_count: 0
    .wavefront_size: 64
  - .agpr_count:     0
    .args:
      - .offset:         0
        .size:           48
        .value_kind:     by_value
    .group_segment_fixed_size: 0
    .kernarg_segment_align: 8
    .kernarg_segment_size: 48
    .language:       OpenCL C
    .language_version:
      - 2
      - 0
    .max_flat_workgroup_size: 256
    .name:           _ZN7rocprim17ROCPRIM_400000_NS6detail17trampoline_kernelINS0_14default_configENS1_38merge_sort_block_merge_config_selectorIyyEEZZNS1_27merge_sort_block_merge_implIS3_N6thrust23THRUST_200600_302600_NS6detail15normal_iteratorINS8_10device_ptrIyEEEESD_jNS1_19radix_merge_compareILb0ELb1EyNS0_19identity_decomposerEEEEE10hipError_tT0_T1_T2_jT3_P12ihipStream_tbPNSt15iterator_traitsISI_E10value_typeEPNSO_ISJ_E10value_typeEPSK_NS1_7vsmem_tEENKUlT_SI_SJ_SK_E_clISD_PySD_S10_EESH_SX_SI_SJ_SK_EUlSX_E1_NS1_11comp_targetILNS1_3genE9ELNS1_11target_archE1100ELNS1_3gpuE3ELNS1_3repE0EEENS1_36merge_oddeven_config_static_selectorELNS0_4arch9wavefront6targetE1EEEvSJ_
    .private_segment_fixed_size: 0
    .sgpr_count:     6
    .sgpr_spill_count: 0
    .symbol:         _ZN7rocprim17ROCPRIM_400000_NS6detail17trampoline_kernelINS0_14default_configENS1_38merge_sort_block_merge_config_selectorIyyEEZZNS1_27merge_sort_block_merge_implIS3_N6thrust23THRUST_200600_302600_NS6detail15normal_iteratorINS8_10device_ptrIyEEEESD_jNS1_19radix_merge_compareILb0ELb1EyNS0_19identity_decomposerEEEEE10hipError_tT0_T1_T2_jT3_P12ihipStream_tbPNSt15iterator_traitsISI_E10value_typeEPNSO_ISJ_E10value_typeEPSK_NS1_7vsmem_tEENKUlT_SI_SJ_SK_E_clISD_PySD_S10_EESH_SX_SI_SJ_SK_EUlSX_E1_NS1_11comp_targetILNS1_3genE9ELNS1_11target_archE1100ELNS1_3gpuE3ELNS1_3repE0EEENS1_36merge_oddeven_config_static_selectorELNS0_4arch9wavefront6targetE1EEEvSJ_.kd
    .uniform_work_group_size: 1
    .uses_dynamic_stack: false
    .vgpr_count:     0
    .vgpr_spill_count: 0
    .wavefront_size: 64
  - .agpr_count:     0
    .args:
      - .offset:         0
        .size:           48
        .value_kind:     by_value
    .group_segment_fixed_size: 0
    .kernarg_segment_align: 8
    .kernarg_segment_size: 48
    .language:       OpenCL C
    .language_version:
      - 2
      - 0
    .max_flat_workgroup_size: 256
    .name:           _ZN7rocprim17ROCPRIM_400000_NS6detail17trampoline_kernelINS0_14default_configENS1_38merge_sort_block_merge_config_selectorIyyEEZZNS1_27merge_sort_block_merge_implIS3_N6thrust23THRUST_200600_302600_NS6detail15normal_iteratorINS8_10device_ptrIyEEEESD_jNS1_19radix_merge_compareILb0ELb1EyNS0_19identity_decomposerEEEEE10hipError_tT0_T1_T2_jT3_P12ihipStream_tbPNSt15iterator_traitsISI_E10value_typeEPNSO_ISJ_E10value_typeEPSK_NS1_7vsmem_tEENKUlT_SI_SJ_SK_E_clISD_PySD_S10_EESH_SX_SI_SJ_SK_EUlSX_E1_NS1_11comp_targetILNS1_3genE8ELNS1_11target_archE1030ELNS1_3gpuE2ELNS1_3repE0EEENS1_36merge_oddeven_config_static_selectorELNS0_4arch9wavefront6targetE1EEEvSJ_
    .private_segment_fixed_size: 0
    .sgpr_count:     6
    .sgpr_spill_count: 0
    .symbol:         _ZN7rocprim17ROCPRIM_400000_NS6detail17trampoline_kernelINS0_14default_configENS1_38merge_sort_block_merge_config_selectorIyyEEZZNS1_27merge_sort_block_merge_implIS3_N6thrust23THRUST_200600_302600_NS6detail15normal_iteratorINS8_10device_ptrIyEEEESD_jNS1_19radix_merge_compareILb0ELb1EyNS0_19identity_decomposerEEEEE10hipError_tT0_T1_T2_jT3_P12ihipStream_tbPNSt15iterator_traitsISI_E10value_typeEPNSO_ISJ_E10value_typeEPSK_NS1_7vsmem_tEENKUlT_SI_SJ_SK_E_clISD_PySD_S10_EESH_SX_SI_SJ_SK_EUlSX_E1_NS1_11comp_targetILNS1_3genE8ELNS1_11target_archE1030ELNS1_3gpuE2ELNS1_3repE0EEENS1_36merge_oddeven_config_static_selectorELNS0_4arch9wavefront6targetE1EEEvSJ_.kd
    .uniform_work_group_size: 1
    .uses_dynamic_stack: false
    .vgpr_count:     0
    .vgpr_spill_count: 0
    .wavefront_size: 64
  - .agpr_count:     0
    .args:
      - .offset:         0
        .size:           40
        .value_kind:     by_value
    .group_segment_fixed_size: 0
    .kernarg_segment_align: 8
    .kernarg_segment_size: 40
    .language:       OpenCL C
    .language_version:
      - 2
      - 0
    .max_flat_workgroup_size: 512
    .name:           _ZN7rocprim17ROCPRIM_400000_NS6detail17trampoline_kernelINS0_14default_configENS1_35radix_sort_onesweep_config_selectorIyyEEZNS1_34radix_sort_onesweep_global_offsetsIS3_Lb0EN6thrust23THRUST_200600_302600_NS6detail15normal_iteratorINS8_10device_ptrIyEEEESD_jNS0_19identity_decomposerEEE10hipError_tT1_T2_PT3_SI_jT4_jjP12ihipStream_tbEUlT_E_NS1_11comp_targetILNS1_3genE0ELNS1_11target_archE4294967295ELNS1_3gpuE0ELNS1_3repE0EEENS1_52radix_sort_onesweep_histogram_config_static_selectorELNS0_4arch9wavefront6targetE1EEEvSG_
    .private_segment_fixed_size: 0
    .sgpr_count:     6
    .sgpr_spill_count: 0
    .symbol:         _ZN7rocprim17ROCPRIM_400000_NS6detail17trampoline_kernelINS0_14default_configENS1_35radix_sort_onesweep_config_selectorIyyEEZNS1_34radix_sort_onesweep_global_offsetsIS3_Lb0EN6thrust23THRUST_200600_302600_NS6detail15normal_iteratorINS8_10device_ptrIyEEEESD_jNS0_19identity_decomposerEEE10hipError_tT1_T2_PT3_SI_jT4_jjP12ihipStream_tbEUlT_E_NS1_11comp_targetILNS1_3genE0ELNS1_11target_archE4294967295ELNS1_3gpuE0ELNS1_3repE0EEENS1_52radix_sort_onesweep_histogram_config_static_selectorELNS0_4arch9wavefront6targetE1EEEvSG_.kd
    .uniform_work_group_size: 1
    .uses_dynamic_stack: false
    .vgpr_count:     0
    .vgpr_spill_count: 0
    .wavefront_size: 64
  - .agpr_count:     0
    .args:
      - .offset:         0
        .size:           40
        .value_kind:     by_value
    .group_segment_fixed_size: 32768
    .kernarg_segment_align: 8
    .kernarg_segment_size: 40
    .language:       OpenCL C
    .language_version:
      - 2
      - 0
    .max_flat_workgroup_size: 1024
    .name:           _ZN7rocprim17ROCPRIM_400000_NS6detail17trampoline_kernelINS0_14default_configENS1_35radix_sort_onesweep_config_selectorIyyEEZNS1_34radix_sort_onesweep_global_offsetsIS3_Lb0EN6thrust23THRUST_200600_302600_NS6detail15normal_iteratorINS8_10device_ptrIyEEEESD_jNS0_19identity_decomposerEEE10hipError_tT1_T2_PT3_SI_jT4_jjP12ihipStream_tbEUlT_E_NS1_11comp_targetILNS1_3genE6ELNS1_11target_archE950ELNS1_3gpuE13ELNS1_3repE0EEENS1_52radix_sort_onesweep_histogram_config_static_selectorELNS0_4arch9wavefront6targetE1EEEvSG_
    .private_segment_fixed_size: 0
    .sgpr_count:     25
    .sgpr_spill_count: 0
    .symbol:         _ZN7rocprim17ROCPRIM_400000_NS6detail17trampoline_kernelINS0_14default_configENS1_35radix_sort_onesweep_config_selectorIyyEEZNS1_34radix_sort_onesweep_global_offsetsIS3_Lb0EN6thrust23THRUST_200600_302600_NS6detail15normal_iteratorINS8_10device_ptrIyEEEESD_jNS0_19identity_decomposerEEE10hipError_tT1_T2_PT3_SI_jT4_jjP12ihipStream_tbEUlT_E_NS1_11comp_targetILNS1_3genE6ELNS1_11target_archE950ELNS1_3gpuE13ELNS1_3repE0EEENS1_52radix_sort_onesweep_histogram_config_static_selectorELNS0_4arch9wavefront6targetE1EEEvSG_.kd
    .uniform_work_group_size: 1
    .uses_dynamic_stack: false
    .vgpr_count:     28
    .vgpr_spill_count: 0
    .wavefront_size: 64
  - .agpr_count:     0
    .args:
      - .offset:         0
        .size:           40
        .value_kind:     by_value
    .group_segment_fixed_size: 0
    .kernarg_segment_align: 8
    .kernarg_segment_size: 40
    .language:       OpenCL C
    .language_version:
      - 2
      - 0
    .max_flat_workgroup_size: 1024
    .name:           _ZN7rocprim17ROCPRIM_400000_NS6detail17trampoline_kernelINS0_14default_configENS1_35radix_sort_onesweep_config_selectorIyyEEZNS1_34radix_sort_onesweep_global_offsetsIS3_Lb0EN6thrust23THRUST_200600_302600_NS6detail15normal_iteratorINS8_10device_ptrIyEEEESD_jNS0_19identity_decomposerEEE10hipError_tT1_T2_PT3_SI_jT4_jjP12ihipStream_tbEUlT_E_NS1_11comp_targetILNS1_3genE5ELNS1_11target_archE942ELNS1_3gpuE9ELNS1_3repE0EEENS1_52radix_sort_onesweep_histogram_config_static_selectorELNS0_4arch9wavefront6targetE1EEEvSG_
    .private_segment_fixed_size: 0
    .sgpr_count:     6
    .sgpr_spill_count: 0
    .symbol:         _ZN7rocprim17ROCPRIM_400000_NS6detail17trampoline_kernelINS0_14default_configENS1_35radix_sort_onesweep_config_selectorIyyEEZNS1_34radix_sort_onesweep_global_offsetsIS3_Lb0EN6thrust23THRUST_200600_302600_NS6detail15normal_iteratorINS8_10device_ptrIyEEEESD_jNS0_19identity_decomposerEEE10hipError_tT1_T2_PT3_SI_jT4_jjP12ihipStream_tbEUlT_E_NS1_11comp_targetILNS1_3genE5ELNS1_11target_archE942ELNS1_3gpuE9ELNS1_3repE0EEENS1_52radix_sort_onesweep_histogram_config_static_selectorELNS0_4arch9wavefront6targetE1EEEvSG_.kd
    .uniform_work_group_size: 1
    .uses_dynamic_stack: false
    .vgpr_count:     0
    .vgpr_spill_count: 0
    .wavefront_size: 64
  - .agpr_count:     0
    .args:
      - .offset:         0
        .size:           40
        .value_kind:     by_value
    .group_segment_fixed_size: 0
    .kernarg_segment_align: 8
    .kernarg_segment_size: 40
    .language:       OpenCL C
    .language_version:
      - 2
      - 0
    .max_flat_workgroup_size: 512
    .name:           _ZN7rocprim17ROCPRIM_400000_NS6detail17trampoline_kernelINS0_14default_configENS1_35radix_sort_onesweep_config_selectorIyyEEZNS1_34radix_sort_onesweep_global_offsetsIS3_Lb0EN6thrust23THRUST_200600_302600_NS6detail15normal_iteratorINS8_10device_ptrIyEEEESD_jNS0_19identity_decomposerEEE10hipError_tT1_T2_PT3_SI_jT4_jjP12ihipStream_tbEUlT_E_NS1_11comp_targetILNS1_3genE2ELNS1_11target_archE906ELNS1_3gpuE6ELNS1_3repE0EEENS1_52radix_sort_onesweep_histogram_config_static_selectorELNS0_4arch9wavefront6targetE1EEEvSG_
    .private_segment_fixed_size: 0
    .sgpr_count:     6
    .sgpr_spill_count: 0
    .symbol:         _ZN7rocprim17ROCPRIM_400000_NS6detail17trampoline_kernelINS0_14default_configENS1_35radix_sort_onesweep_config_selectorIyyEEZNS1_34radix_sort_onesweep_global_offsetsIS3_Lb0EN6thrust23THRUST_200600_302600_NS6detail15normal_iteratorINS8_10device_ptrIyEEEESD_jNS0_19identity_decomposerEEE10hipError_tT1_T2_PT3_SI_jT4_jjP12ihipStream_tbEUlT_E_NS1_11comp_targetILNS1_3genE2ELNS1_11target_archE906ELNS1_3gpuE6ELNS1_3repE0EEENS1_52radix_sort_onesweep_histogram_config_static_selectorELNS0_4arch9wavefront6targetE1EEEvSG_.kd
    .uniform_work_group_size: 1
    .uses_dynamic_stack: false
    .vgpr_count:     0
    .vgpr_spill_count: 0
    .wavefront_size: 64
  - .agpr_count:     0
    .args:
      - .offset:         0
        .size:           40
        .value_kind:     by_value
    .group_segment_fixed_size: 0
    .kernarg_segment_align: 8
    .kernarg_segment_size: 40
    .language:       OpenCL C
    .language_version:
      - 2
      - 0
    .max_flat_workgroup_size: 1024
    .name:           _ZN7rocprim17ROCPRIM_400000_NS6detail17trampoline_kernelINS0_14default_configENS1_35radix_sort_onesweep_config_selectorIyyEEZNS1_34radix_sort_onesweep_global_offsetsIS3_Lb0EN6thrust23THRUST_200600_302600_NS6detail15normal_iteratorINS8_10device_ptrIyEEEESD_jNS0_19identity_decomposerEEE10hipError_tT1_T2_PT3_SI_jT4_jjP12ihipStream_tbEUlT_E_NS1_11comp_targetILNS1_3genE4ELNS1_11target_archE910ELNS1_3gpuE8ELNS1_3repE0EEENS1_52radix_sort_onesweep_histogram_config_static_selectorELNS0_4arch9wavefront6targetE1EEEvSG_
    .private_segment_fixed_size: 0
    .sgpr_count:     6
    .sgpr_spill_count: 0
    .symbol:         _ZN7rocprim17ROCPRIM_400000_NS6detail17trampoline_kernelINS0_14default_configENS1_35radix_sort_onesweep_config_selectorIyyEEZNS1_34radix_sort_onesweep_global_offsetsIS3_Lb0EN6thrust23THRUST_200600_302600_NS6detail15normal_iteratorINS8_10device_ptrIyEEEESD_jNS0_19identity_decomposerEEE10hipError_tT1_T2_PT3_SI_jT4_jjP12ihipStream_tbEUlT_E_NS1_11comp_targetILNS1_3genE4ELNS1_11target_archE910ELNS1_3gpuE8ELNS1_3repE0EEENS1_52radix_sort_onesweep_histogram_config_static_selectorELNS0_4arch9wavefront6targetE1EEEvSG_.kd
    .uniform_work_group_size: 1
    .uses_dynamic_stack: false
    .vgpr_count:     0
    .vgpr_spill_count: 0
    .wavefront_size: 64
  - .agpr_count:     0
    .args:
      - .offset:         0
        .size:           40
        .value_kind:     by_value
    .group_segment_fixed_size: 0
    .kernarg_segment_align: 8
    .kernarg_segment_size: 40
    .language:       OpenCL C
    .language_version:
      - 2
      - 0
    .max_flat_workgroup_size: 512
    .name:           _ZN7rocprim17ROCPRIM_400000_NS6detail17trampoline_kernelINS0_14default_configENS1_35radix_sort_onesweep_config_selectorIyyEEZNS1_34radix_sort_onesweep_global_offsetsIS3_Lb0EN6thrust23THRUST_200600_302600_NS6detail15normal_iteratorINS8_10device_ptrIyEEEESD_jNS0_19identity_decomposerEEE10hipError_tT1_T2_PT3_SI_jT4_jjP12ihipStream_tbEUlT_E_NS1_11comp_targetILNS1_3genE3ELNS1_11target_archE908ELNS1_3gpuE7ELNS1_3repE0EEENS1_52radix_sort_onesweep_histogram_config_static_selectorELNS0_4arch9wavefront6targetE1EEEvSG_
    .private_segment_fixed_size: 0
    .sgpr_count:     6
    .sgpr_spill_count: 0
    .symbol:         _ZN7rocprim17ROCPRIM_400000_NS6detail17trampoline_kernelINS0_14default_configENS1_35radix_sort_onesweep_config_selectorIyyEEZNS1_34radix_sort_onesweep_global_offsetsIS3_Lb0EN6thrust23THRUST_200600_302600_NS6detail15normal_iteratorINS8_10device_ptrIyEEEESD_jNS0_19identity_decomposerEEE10hipError_tT1_T2_PT3_SI_jT4_jjP12ihipStream_tbEUlT_E_NS1_11comp_targetILNS1_3genE3ELNS1_11target_archE908ELNS1_3gpuE7ELNS1_3repE0EEENS1_52radix_sort_onesweep_histogram_config_static_selectorELNS0_4arch9wavefront6targetE1EEEvSG_.kd
    .uniform_work_group_size: 1
    .uses_dynamic_stack: false
    .vgpr_count:     0
    .vgpr_spill_count: 0
    .wavefront_size: 64
  - .agpr_count:     0
    .args:
      - .offset:         0
        .size:           40
        .value_kind:     by_value
    .group_segment_fixed_size: 0
    .kernarg_segment_align: 8
    .kernarg_segment_size: 40
    .language:       OpenCL C
    .language_version:
      - 2
      - 0
    .max_flat_workgroup_size: 1024
    .name:           _ZN7rocprim17ROCPRIM_400000_NS6detail17trampoline_kernelINS0_14default_configENS1_35radix_sort_onesweep_config_selectorIyyEEZNS1_34radix_sort_onesweep_global_offsetsIS3_Lb0EN6thrust23THRUST_200600_302600_NS6detail15normal_iteratorINS8_10device_ptrIyEEEESD_jNS0_19identity_decomposerEEE10hipError_tT1_T2_PT3_SI_jT4_jjP12ihipStream_tbEUlT_E_NS1_11comp_targetILNS1_3genE10ELNS1_11target_archE1201ELNS1_3gpuE5ELNS1_3repE0EEENS1_52radix_sort_onesweep_histogram_config_static_selectorELNS0_4arch9wavefront6targetE1EEEvSG_
    .private_segment_fixed_size: 0
    .sgpr_count:     6
    .sgpr_spill_count: 0
    .symbol:         _ZN7rocprim17ROCPRIM_400000_NS6detail17trampoline_kernelINS0_14default_configENS1_35radix_sort_onesweep_config_selectorIyyEEZNS1_34radix_sort_onesweep_global_offsetsIS3_Lb0EN6thrust23THRUST_200600_302600_NS6detail15normal_iteratorINS8_10device_ptrIyEEEESD_jNS0_19identity_decomposerEEE10hipError_tT1_T2_PT3_SI_jT4_jjP12ihipStream_tbEUlT_E_NS1_11comp_targetILNS1_3genE10ELNS1_11target_archE1201ELNS1_3gpuE5ELNS1_3repE0EEENS1_52radix_sort_onesweep_histogram_config_static_selectorELNS0_4arch9wavefront6targetE1EEEvSG_.kd
    .uniform_work_group_size: 1
    .uses_dynamic_stack: false
    .vgpr_count:     0
    .vgpr_spill_count: 0
    .wavefront_size: 64
  - .agpr_count:     0
    .args:
      - .offset:         0
        .size:           40
        .value_kind:     by_value
    .group_segment_fixed_size: 0
    .kernarg_segment_align: 8
    .kernarg_segment_size: 40
    .language:       OpenCL C
    .language_version:
      - 2
      - 0
    .max_flat_workgroup_size: 1024
    .name:           _ZN7rocprim17ROCPRIM_400000_NS6detail17trampoline_kernelINS0_14default_configENS1_35radix_sort_onesweep_config_selectorIyyEEZNS1_34radix_sort_onesweep_global_offsetsIS3_Lb0EN6thrust23THRUST_200600_302600_NS6detail15normal_iteratorINS8_10device_ptrIyEEEESD_jNS0_19identity_decomposerEEE10hipError_tT1_T2_PT3_SI_jT4_jjP12ihipStream_tbEUlT_E_NS1_11comp_targetILNS1_3genE9ELNS1_11target_archE1100ELNS1_3gpuE3ELNS1_3repE0EEENS1_52radix_sort_onesweep_histogram_config_static_selectorELNS0_4arch9wavefront6targetE1EEEvSG_
    .private_segment_fixed_size: 0
    .sgpr_count:     6
    .sgpr_spill_count: 0
    .symbol:         _ZN7rocprim17ROCPRIM_400000_NS6detail17trampoline_kernelINS0_14default_configENS1_35radix_sort_onesweep_config_selectorIyyEEZNS1_34radix_sort_onesweep_global_offsetsIS3_Lb0EN6thrust23THRUST_200600_302600_NS6detail15normal_iteratorINS8_10device_ptrIyEEEESD_jNS0_19identity_decomposerEEE10hipError_tT1_T2_PT3_SI_jT4_jjP12ihipStream_tbEUlT_E_NS1_11comp_targetILNS1_3genE9ELNS1_11target_archE1100ELNS1_3gpuE3ELNS1_3repE0EEENS1_52radix_sort_onesweep_histogram_config_static_selectorELNS0_4arch9wavefront6targetE1EEEvSG_.kd
    .uniform_work_group_size: 1
    .uses_dynamic_stack: false
    .vgpr_count:     0
    .vgpr_spill_count: 0
    .wavefront_size: 64
  - .agpr_count:     0
    .args:
      - .offset:         0
        .size:           40
        .value_kind:     by_value
    .group_segment_fixed_size: 0
    .kernarg_segment_align: 8
    .kernarg_segment_size: 40
    .language:       OpenCL C
    .language_version:
      - 2
      - 0
    .max_flat_workgroup_size: 1024
    .name:           _ZN7rocprim17ROCPRIM_400000_NS6detail17trampoline_kernelINS0_14default_configENS1_35radix_sort_onesweep_config_selectorIyyEEZNS1_34radix_sort_onesweep_global_offsetsIS3_Lb0EN6thrust23THRUST_200600_302600_NS6detail15normal_iteratorINS8_10device_ptrIyEEEESD_jNS0_19identity_decomposerEEE10hipError_tT1_T2_PT3_SI_jT4_jjP12ihipStream_tbEUlT_E_NS1_11comp_targetILNS1_3genE8ELNS1_11target_archE1030ELNS1_3gpuE2ELNS1_3repE0EEENS1_52radix_sort_onesweep_histogram_config_static_selectorELNS0_4arch9wavefront6targetE1EEEvSG_
    .private_segment_fixed_size: 0
    .sgpr_count:     6
    .sgpr_spill_count: 0
    .symbol:         _ZN7rocprim17ROCPRIM_400000_NS6detail17trampoline_kernelINS0_14default_configENS1_35radix_sort_onesweep_config_selectorIyyEEZNS1_34radix_sort_onesweep_global_offsetsIS3_Lb0EN6thrust23THRUST_200600_302600_NS6detail15normal_iteratorINS8_10device_ptrIyEEEESD_jNS0_19identity_decomposerEEE10hipError_tT1_T2_PT3_SI_jT4_jjP12ihipStream_tbEUlT_E_NS1_11comp_targetILNS1_3genE8ELNS1_11target_archE1030ELNS1_3gpuE2ELNS1_3repE0EEENS1_52radix_sort_onesweep_histogram_config_static_selectorELNS0_4arch9wavefront6targetE1EEEvSG_.kd
    .uniform_work_group_size: 1
    .uses_dynamic_stack: false
    .vgpr_count:     0
    .vgpr_spill_count: 0
    .wavefront_size: 64
  - .agpr_count:     0
    .args:
      - .address_space:  global
        .offset:         0
        .size:           8
        .value_kind:     global_buffer
    .group_segment_fixed_size: 0
    .kernarg_segment_align: 8
    .kernarg_segment_size: 8
    .language:       OpenCL C
    .language_version:
      - 2
      - 0
    .max_flat_workgroup_size: 512
    .name:           _ZN7rocprim17ROCPRIM_400000_NS6detail17trampoline_kernelINS0_14default_configENS1_35radix_sort_onesweep_config_selectorIyyEEZNS1_34radix_sort_onesweep_global_offsetsIS3_Lb0EN6thrust23THRUST_200600_302600_NS6detail15normal_iteratorINS8_10device_ptrIyEEEESD_jNS0_19identity_decomposerEEE10hipError_tT1_T2_PT3_SI_jT4_jjP12ihipStream_tbEUlT_E0_NS1_11comp_targetILNS1_3genE0ELNS1_11target_archE4294967295ELNS1_3gpuE0ELNS1_3repE0EEENS1_52radix_sort_onesweep_histogram_config_static_selectorELNS0_4arch9wavefront6targetE1EEEvSG_
    .private_segment_fixed_size: 0
    .sgpr_count:     6
    .sgpr_spill_count: 0
    .symbol:         _ZN7rocprim17ROCPRIM_400000_NS6detail17trampoline_kernelINS0_14default_configENS1_35radix_sort_onesweep_config_selectorIyyEEZNS1_34radix_sort_onesweep_global_offsetsIS3_Lb0EN6thrust23THRUST_200600_302600_NS6detail15normal_iteratorINS8_10device_ptrIyEEEESD_jNS0_19identity_decomposerEEE10hipError_tT1_T2_PT3_SI_jT4_jjP12ihipStream_tbEUlT_E0_NS1_11comp_targetILNS1_3genE0ELNS1_11target_archE4294967295ELNS1_3gpuE0ELNS1_3repE0EEENS1_52radix_sort_onesweep_histogram_config_static_selectorELNS0_4arch9wavefront6targetE1EEEvSG_.kd
    .uniform_work_group_size: 1
    .uses_dynamic_stack: false
    .vgpr_count:     0
    .vgpr_spill_count: 0
    .wavefront_size: 64
  - .agpr_count:     0
    .args:
      - .address_space:  global
        .offset:         0
        .size:           8
        .value_kind:     global_buffer
    .group_segment_fixed_size: 64
    .kernarg_segment_align: 8
    .kernarg_segment_size: 8
    .language:       OpenCL C
    .language_version:
      - 2
      - 0
    .max_flat_workgroup_size: 1024
    .name:           _ZN7rocprim17ROCPRIM_400000_NS6detail17trampoline_kernelINS0_14default_configENS1_35radix_sort_onesweep_config_selectorIyyEEZNS1_34radix_sort_onesweep_global_offsetsIS3_Lb0EN6thrust23THRUST_200600_302600_NS6detail15normal_iteratorINS8_10device_ptrIyEEEESD_jNS0_19identity_decomposerEEE10hipError_tT1_T2_PT3_SI_jT4_jjP12ihipStream_tbEUlT_E0_NS1_11comp_targetILNS1_3genE6ELNS1_11target_archE950ELNS1_3gpuE13ELNS1_3repE0EEENS1_52radix_sort_onesweep_histogram_config_static_selectorELNS0_4arch9wavefront6targetE1EEEvSG_
    .private_segment_fixed_size: 0
    .sgpr_count:     20
    .sgpr_spill_count: 0
    .symbol:         _ZN7rocprim17ROCPRIM_400000_NS6detail17trampoline_kernelINS0_14default_configENS1_35radix_sort_onesweep_config_selectorIyyEEZNS1_34radix_sort_onesweep_global_offsetsIS3_Lb0EN6thrust23THRUST_200600_302600_NS6detail15normal_iteratorINS8_10device_ptrIyEEEESD_jNS0_19identity_decomposerEEE10hipError_tT1_T2_PT3_SI_jT4_jjP12ihipStream_tbEUlT_E0_NS1_11comp_targetILNS1_3genE6ELNS1_11target_archE950ELNS1_3gpuE13ELNS1_3repE0EEENS1_52radix_sort_onesweep_histogram_config_static_selectorELNS0_4arch9wavefront6targetE1EEEvSG_.kd
    .uniform_work_group_size: 1
    .uses_dynamic_stack: false
    .vgpr_count:     7
    .vgpr_spill_count: 0
    .wavefront_size: 64
  - .agpr_count:     0
    .args:
      - .address_space:  global
        .offset:         0
        .size:           8
        .value_kind:     global_buffer
    .group_segment_fixed_size: 0
    .kernarg_segment_align: 8
    .kernarg_segment_size: 8
    .language:       OpenCL C
    .language_version:
      - 2
      - 0
    .max_flat_workgroup_size: 1024
    .name:           _ZN7rocprim17ROCPRIM_400000_NS6detail17trampoline_kernelINS0_14default_configENS1_35radix_sort_onesweep_config_selectorIyyEEZNS1_34radix_sort_onesweep_global_offsetsIS3_Lb0EN6thrust23THRUST_200600_302600_NS6detail15normal_iteratorINS8_10device_ptrIyEEEESD_jNS0_19identity_decomposerEEE10hipError_tT1_T2_PT3_SI_jT4_jjP12ihipStream_tbEUlT_E0_NS1_11comp_targetILNS1_3genE5ELNS1_11target_archE942ELNS1_3gpuE9ELNS1_3repE0EEENS1_52radix_sort_onesweep_histogram_config_static_selectorELNS0_4arch9wavefront6targetE1EEEvSG_
    .private_segment_fixed_size: 0
    .sgpr_count:     6
    .sgpr_spill_count: 0
    .symbol:         _ZN7rocprim17ROCPRIM_400000_NS6detail17trampoline_kernelINS0_14default_configENS1_35radix_sort_onesweep_config_selectorIyyEEZNS1_34radix_sort_onesweep_global_offsetsIS3_Lb0EN6thrust23THRUST_200600_302600_NS6detail15normal_iteratorINS8_10device_ptrIyEEEESD_jNS0_19identity_decomposerEEE10hipError_tT1_T2_PT3_SI_jT4_jjP12ihipStream_tbEUlT_E0_NS1_11comp_targetILNS1_3genE5ELNS1_11target_archE942ELNS1_3gpuE9ELNS1_3repE0EEENS1_52radix_sort_onesweep_histogram_config_static_selectorELNS0_4arch9wavefront6targetE1EEEvSG_.kd
    .uniform_work_group_size: 1
    .uses_dynamic_stack: false
    .vgpr_count:     0
    .vgpr_spill_count: 0
    .wavefront_size: 64
  - .agpr_count:     0
    .args:
      - .address_space:  global
        .offset:         0
        .size:           8
        .value_kind:     global_buffer
    .group_segment_fixed_size: 0
    .kernarg_segment_align: 8
    .kernarg_segment_size: 8
    .language:       OpenCL C
    .language_version:
      - 2
      - 0
    .max_flat_workgroup_size: 512
    .name:           _ZN7rocprim17ROCPRIM_400000_NS6detail17trampoline_kernelINS0_14default_configENS1_35radix_sort_onesweep_config_selectorIyyEEZNS1_34radix_sort_onesweep_global_offsetsIS3_Lb0EN6thrust23THRUST_200600_302600_NS6detail15normal_iteratorINS8_10device_ptrIyEEEESD_jNS0_19identity_decomposerEEE10hipError_tT1_T2_PT3_SI_jT4_jjP12ihipStream_tbEUlT_E0_NS1_11comp_targetILNS1_3genE2ELNS1_11target_archE906ELNS1_3gpuE6ELNS1_3repE0EEENS1_52radix_sort_onesweep_histogram_config_static_selectorELNS0_4arch9wavefront6targetE1EEEvSG_
    .private_segment_fixed_size: 0
    .sgpr_count:     6
    .sgpr_spill_count: 0
    .symbol:         _ZN7rocprim17ROCPRIM_400000_NS6detail17trampoline_kernelINS0_14default_configENS1_35radix_sort_onesweep_config_selectorIyyEEZNS1_34radix_sort_onesweep_global_offsetsIS3_Lb0EN6thrust23THRUST_200600_302600_NS6detail15normal_iteratorINS8_10device_ptrIyEEEESD_jNS0_19identity_decomposerEEE10hipError_tT1_T2_PT3_SI_jT4_jjP12ihipStream_tbEUlT_E0_NS1_11comp_targetILNS1_3genE2ELNS1_11target_archE906ELNS1_3gpuE6ELNS1_3repE0EEENS1_52radix_sort_onesweep_histogram_config_static_selectorELNS0_4arch9wavefront6targetE1EEEvSG_.kd
    .uniform_work_group_size: 1
    .uses_dynamic_stack: false
    .vgpr_count:     0
    .vgpr_spill_count: 0
    .wavefront_size: 64
  - .agpr_count:     0
    .args:
      - .address_space:  global
        .offset:         0
        .size:           8
        .value_kind:     global_buffer
    .group_segment_fixed_size: 0
    .kernarg_segment_align: 8
    .kernarg_segment_size: 8
    .language:       OpenCL C
    .language_version:
      - 2
      - 0
    .max_flat_workgroup_size: 1024
    .name:           _ZN7rocprim17ROCPRIM_400000_NS6detail17trampoline_kernelINS0_14default_configENS1_35radix_sort_onesweep_config_selectorIyyEEZNS1_34radix_sort_onesweep_global_offsetsIS3_Lb0EN6thrust23THRUST_200600_302600_NS6detail15normal_iteratorINS8_10device_ptrIyEEEESD_jNS0_19identity_decomposerEEE10hipError_tT1_T2_PT3_SI_jT4_jjP12ihipStream_tbEUlT_E0_NS1_11comp_targetILNS1_3genE4ELNS1_11target_archE910ELNS1_3gpuE8ELNS1_3repE0EEENS1_52radix_sort_onesweep_histogram_config_static_selectorELNS0_4arch9wavefront6targetE1EEEvSG_
    .private_segment_fixed_size: 0
    .sgpr_count:     6
    .sgpr_spill_count: 0
    .symbol:         _ZN7rocprim17ROCPRIM_400000_NS6detail17trampoline_kernelINS0_14default_configENS1_35radix_sort_onesweep_config_selectorIyyEEZNS1_34radix_sort_onesweep_global_offsetsIS3_Lb0EN6thrust23THRUST_200600_302600_NS6detail15normal_iteratorINS8_10device_ptrIyEEEESD_jNS0_19identity_decomposerEEE10hipError_tT1_T2_PT3_SI_jT4_jjP12ihipStream_tbEUlT_E0_NS1_11comp_targetILNS1_3genE4ELNS1_11target_archE910ELNS1_3gpuE8ELNS1_3repE0EEENS1_52radix_sort_onesweep_histogram_config_static_selectorELNS0_4arch9wavefront6targetE1EEEvSG_.kd
    .uniform_work_group_size: 1
    .uses_dynamic_stack: false
    .vgpr_count:     0
    .vgpr_spill_count: 0
    .wavefront_size: 64
  - .agpr_count:     0
    .args:
      - .address_space:  global
        .offset:         0
        .size:           8
        .value_kind:     global_buffer
    .group_segment_fixed_size: 0
    .kernarg_segment_align: 8
    .kernarg_segment_size: 8
    .language:       OpenCL C
    .language_version:
      - 2
      - 0
    .max_flat_workgroup_size: 512
    .name:           _ZN7rocprim17ROCPRIM_400000_NS6detail17trampoline_kernelINS0_14default_configENS1_35radix_sort_onesweep_config_selectorIyyEEZNS1_34radix_sort_onesweep_global_offsetsIS3_Lb0EN6thrust23THRUST_200600_302600_NS6detail15normal_iteratorINS8_10device_ptrIyEEEESD_jNS0_19identity_decomposerEEE10hipError_tT1_T2_PT3_SI_jT4_jjP12ihipStream_tbEUlT_E0_NS1_11comp_targetILNS1_3genE3ELNS1_11target_archE908ELNS1_3gpuE7ELNS1_3repE0EEENS1_52radix_sort_onesweep_histogram_config_static_selectorELNS0_4arch9wavefront6targetE1EEEvSG_
    .private_segment_fixed_size: 0
    .sgpr_count:     6
    .sgpr_spill_count: 0
    .symbol:         _ZN7rocprim17ROCPRIM_400000_NS6detail17trampoline_kernelINS0_14default_configENS1_35radix_sort_onesweep_config_selectorIyyEEZNS1_34radix_sort_onesweep_global_offsetsIS3_Lb0EN6thrust23THRUST_200600_302600_NS6detail15normal_iteratorINS8_10device_ptrIyEEEESD_jNS0_19identity_decomposerEEE10hipError_tT1_T2_PT3_SI_jT4_jjP12ihipStream_tbEUlT_E0_NS1_11comp_targetILNS1_3genE3ELNS1_11target_archE908ELNS1_3gpuE7ELNS1_3repE0EEENS1_52radix_sort_onesweep_histogram_config_static_selectorELNS0_4arch9wavefront6targetE1EEEvSG_.kd
    .uniform_work_group_size: 1
    .uses_dynamic_stack: false
    .vgpr_count:     0
    .vgpr_spill_count: 0
    .wavefront_size: 64
  - .agpr_count:     0
    .args:
      - .address_space:  global
        .offset:         0
        .size:           8
        .value_kind:     global_buffer
    .group_segment_fixed_size: 0
    .kernarg_segment_align: 8
    .kernarg_segment_size: 8
    .language:       OpenCL C
    .language_version:
      - 2
      - 0
    .max_flat_workgroup_size: 1024
    .name:           _ZN7rocprim17ROCPRIM_400000_NS6detail17trampoline_kernelINS0_14default_configENS1_35radix_sort_onesweep_config_selectorIyyEEZNS1_34radix_sort_onesweep_global_offsetsIS3_Lb0EN6thrust23THRUST_200600_302600_NS6detail15normal_iteratorINS8_10device_ptrIyEEEESD_jNS0_19identity_decomposerEEE10hipError_tT1_T2_PT3_SI_jT4_jjP12ihipStream_tbEUlT_E0_NS1_11comp_targetILNS1_3genE10ELNS1_11target_archE1201ELNS1_3gpuE5ELNS1_3repE0EEENS1_52radix_sort_onesweep_histogram_config_static_selectorELNS0_4arch9wavefront6targetE1EEEvSG_
    .private_segment_fixed_size: 0
    .sgpr_count:     6
    .sgpr_spill_count: 0
    .symbol:         _ZN7rocprim17ROCPRIM_400000_NS6detail17trampoline_kernelINS0_14default_configENS1_35radix_sort_onesweep_config_selectorIyyEEZNS1_34radix_sort_onesweep_global_offsetsIS3_Lb0EN6thrust23THRUST_200600_302600_NS6detail15normal_iteratorINS8_10device_ptrIyEEEESD_jNS0_19identity_decomposerEEE10hipError_tT1_T2_PT3_SI_jT4_jjP12ihipStream_tbEUlT_E0_NS1_11comp_targetILNS1_3genE10ELNS1_11target_archE1201ELNS1_3gpuE5ELNS1_3repE0EEENS1_52radix_sort_onesweep_histogram_config_static_selectorELNS0_4arch9wavefront6targetE1EEEvSG_.kd
    .uniform_work_group_size: 1
    .uses_dynamic_stack: false
    .vgpr_count:     0
    .vgpr_spill_count: 0
    .wavefront_size: 64
  - .agpr_count:     0
    .args:
      - .address_space:  global
        .offset:         0
        .size:           8
        .value_kind:     global_buffer
    .group_segment_fixed_size: 0
    .kernarg_segment_align: 8
    .kernarg_segment_size: 8
    .language:       OpenCL C
    .language_version:
      - 2
      - 0
    .max_flat_workgroup_size: 1024
    .name:           _ZN7rocprim17ROCPRIM_400000_NS6detail17trampoline_kernelINS0_14default_configENS1_35radix_sort_onesweep_config_selectorIyyEEZNS1_34radix_sort_onesweep_global_offsetsIS3_Lb0EN6thrust23THRUST_200600_302600_NS6detail15normal_iteratorINS8_10device_ptrIyEEEESD_jNS0_19identity_decomposerEEE10hipError_tT1_T2_PT3_SI_jT4_jjP12ihipStream_tbEUlT_E0_NS1_11comp_targetILNS1_3genE9ELNS1_11target_archE1100ELNS1_3gpuE3ELNS1_3repE0EEENS1_52radix_sort_onesweep_histogram_config_static_selectorELNS0_4arch9wavefront6targetE1EEEvSG_
    .private_segment_fixed_size: 0
    .sgpr_count:     6
    .sgpr_spill_count: 0
    .symbol:         _ZN7rocprim17ROCPRIM_400000_NS6detail17trampoline_kernelINS0_14default_configENS1_35radix_sort_onesweep_config_selectorIyyEEZNS1_34radix_sort_onesweep_global_offsetsIS3_Lb0EN6thrust23THRUST_200600_302600_NS6detail15normal_iteratorINS8_10device_ptrIyEEEESD_jNS0_19identity_decomposerEEE10hipError_tT1_T2_PT3_SI_jT4_jjP12ihipStream_tbEUlT_E0_NS1_11comp_targetILNS1_3genE9ELNS1_11target_archE1100ELNS1_3gpuE3ELNS1_3repE0EEENS1_52radix_sort_onesweep_histogram_config_static_selectorELNS0_4arch9wavefront6targetE1EEEvSG_.kd
    .uniform_work_group_size: 1
    .uses_dynamic_stack: false
    .vgpr_count:     0
    .vgpr_spill_count: 0
    .wavefront_size: 64
  - .agpr_count:     0
    .args:
      - .address_space:  global
        .offset:         0
        .size:           8
        .value_kind:     global_buffer
    .group_segment_fixed_size: 0
    .kernarg_segment_align: 8
    .kernarg_segment_size: 8
    .language:       OpenCL C
    .language_version:
      - 2
      - 0
    .max_flat_workgroup_size: 1024
    .name:           _ZN7rocprim17ROCPRIM_400000_NS6detail17trampoline_kernelINS0_14default_configENS1_35radix_sort_onesweep_config_selectorIyyEEZNS1_34radix_sort_onesweep_global_offsetsIS3_Lb0EN6thrust23THRUST_200600_302600_NS6detail15normal_iteratorINS8_10device_ptrIyEEEESD_jNS0_19identity_decomposerEEE10hipError_tT1_T2_PT3_SI_jT4_jjP12ihipStream_tbEUlT_E0_NS1_11comp_targetILNS1_3genE8ELNS1_11target_archE1030ELNS1_3gpuE2ELNS1_3repE0EEENS1_52radix_sort_onesweep_histogram_config_static_selectorELNS0_4arch9wavefront6targetE1EEEvSG_
    .private_segment_fixed_size: 0
    .sgpr_count:     6
    .sgpr_spill_count: 0
    .symbol:         _ZN7rocprim17ROCPRIM_400000_NS6detail17trampoline_kernelINS0_14default_configENS1_35radix_sort_onesweep_config_selectorIyyEEZNS1_34radix_sort_onesweep_global_offsetsIS3_Lb0EN6thrust23THRUST_200600_302600_NS6detail15normal_iteratorINS8_10device_ptrIyEEEESD_jNS0_19identity_decomposerEEE10hipError_tT1_T2_PT3_SI_jT4_jjP12ihipStream_tbEUlT_E0_NS1_11comp_targetILNS1_3genE8ELNS1_11target_archE1030ELNS1_3gpuE2ELNS1_3repE0EEENS1_52radix_sort_onesweep_histogram_config_static_selectorELNS0_4arch9wavefront6targetE1EEEvSG_.kd
    .uniform_work_group_size: 1
    .uses_dynamic_stack: false
    .vgpr_count:     0
    .vgpr_spill_count: 0
    .wavefront_size: 64
  - .agpr_count:     0
    .args:
      - .offset:         0
        .size:           40
        .value_kind:     by_value
      - .offset:         40
        .size:           4
        .value_kind:     hidden_block_count_x
      - .offset:         44
        .size:           4
        .value_kind:     hidden_block_count_y
      - .offset:         48
        .size:           4
        .value_kind:     hidden_block_count_z
      - .offset:         52
        .size:           2
        .value_kind:     hidden_group_size_x
      - .offset:         54
        .size:           2
        .value_kind:     hidden_group_size_y
      - .offset:         56
        .size:           2
        .value_kind:     hidden_group_size_z
      - .offset:         58
        .size:           2
        .value_kind:     hidden_remainder_x
      - .offset:         60
        .size:           2
        .value_kind:     hidden_remainder_y
      - .offset:         62
        .size:           2
        .value_kind:     hidden_remainder_z
      - .offset:         80
        .size:           8
        .value_kind:     hidden_global_offset_x
      - .offset:         88
        .size:           8
        .value_kind:     hidden_global_offset_y
      - .offset:         96
        .size:           8
        .value_kind:     hidden_global_offset_z
      - .offset:         104
        .size:           2
        .value_kind:     hidden_grid_dims
    .group_segment_fixed_size: 0
    .kernarg_segment_align: 8
    .kernarg_segment_size: 296
    .language:       OpenCL C
    .language_version:
      - 2
      - 0
    .max_flat_workgroup_size: 128
    .name:           _ZN7rocprim17ROCPRIM_400000_NS6detail17trampoline_kernelINS0_14default_configENS1_25transform_config_selectorIyLb0EEEZNS1_14transform_implILb0ES3_S5_N6thrust23THRUST_200600_302600_NS6detail15normal_iteratorINS8_10device_ptrIyEEEEPyNS0_8identityIyEEEE10hipError_tT2_T3_mT4_P12ihipStream_tbEUlT_E_NS1_11comp_targetILNS1_3genE0ELNS1_11target_archE4294967295ELNS1_3gpuE0ELNS1_3repE0EEENS1_30default_config_static_selectorELNS0_4arch9wavefront6targetE1EEEvT1_
    .private_segment_fixed_size: 0
    .sgpr_count:     18
    .sgpr_spill_count: 0
    .symbol:         _ZN7rocprim17ROCPRIM_400000_NS6detail17trampoline_kernelINS0_14default_configENS1_25transform_config_selectorIyLb0EEEZNS1_14transform_implILb0ES3_S5_N6thrust23THRUST_200600_302600_NS6detail15normal_iteratorINS8_10device_ptrIyEEEEPyNS0_8identityIyEEEE10hipError_tT2_T3_mT4_P12ihipStream_tbEUlT_E_NS1_11comp_targetILNS1_3genE0ELNS1_11target_archE4294967295ELNS1_3gpuE0ELNS1_3repE0EEENS1_30default_config_static_selectorELNS0_4arch9wavefront6targetE1EEEvT1_.kd
    .uniform_work_group_size: 1
    .uses_dynamic_stack: false
    .vgpr_count:     4
    .vgpr_spill_count: 0
    .wavefront_size: 64
  - .agpr_count:     0
    .args:
      - .offset:         0
        .size:           40
        .value_kind:     by_value
    .group_segment_fixed_size: 0
    .kernarg_segment_align: 8
    .kernarg_segment_size: 40
    .language:       OpenCL C
    .language_version:
      - 2
      - 0
    .max_flat_workgroup_size: 512
    .name:           _ZN7rocprim17ROCPRIM_400000_NS6detail17trampoline_kernelINS0_14default_configENS1_25transform_config_selectorIyLb0EEEZNS1_14transform_implILb0ES3_S5_N6thrust23THRUST_200600_302600_NS6detail15normal_iteratorINS8_10device_ptrIyEEEEPyNS0_8identityIyEEEE10hipError_tT2_T3_mT4_P12ihipStream_tbEUlT_E_NS1_11comp_targetILNS1_3genE5ELNS1_11target_archE942ELNS1_3gpuE9ELNS1_3repE0EEENS1_30default_config_static_selectorELNS0_4arch9wavefront6targetE1EEEvT1_
    .private_segment_fixed_size: 0
    .sgpr_count:     6
    .sgpr_spill_count: 0
    .symbol:         _ZN7rocprim17ROCPRIM_400000_NS6detail17trampoline_kernelINS0_14default_configENS1_25transform_config_selectorIyLb0EEEZNS1_14transform_implILb0ES3_S5_N6thrust23THRUST_200600_302600_NS6detail15normal_iteratorINS8_10device_ptrIyEEEEPyNS0_8identityIyEEEE10hipError_tT2_T3_mT4_P12ihipStream_tbEUlT_E_NS1_11comp_targetILNS1_3genE5ELNS1_11target_archE942ELNS1_3gpuE9ELNS1_3repE0EEENS1_30default_config_static_selectorELNS0_4arch9wavefront6targetE1EEEvT1_.kd
    .uniform_work_group_size: 1
    .uses_dynamic_stack: false
    .vgpr_count:     0
    .vgpr_spill_count: 0
    .wavefront_size: 64
  - .agpr_count:     0
    .args:
      - .offset:         0
        .size:           40
        .value_kind:     by_value
    .group_segment_fixed_size: 0
    .kernarg_segment_align: 8
    .kernarg_segment_size: 40
    .language:       OpenCL C
    .language_version:
      - 2
      - 0
    .max_flat_workgroup_size: 256
    .name:           _ZN7rocprim17ROCPRIM_400000_NS6detail17trampoline_kernelINS0_14default_configENS1_25transform_config_selectorIyLb0EEEZNS1_14transform_implILb0ES3_S5_N6thrust23THRUST_200600_302600_NS6detail15normal_iteratorINS8_10device_ptrIyEEEEPyNS0_8identityIyEEEE10hipError_tT2_T3_mT4_P12ihipStream_tbEUlT_E_NS1_11comp_targetILNS1_3genE4ELNS1_11target_archE910ELNS1_3gpuE8ELNS1_3repE0EEENS1_30default_config_static_selectorELNS0_4arch9wavefront6targetE1EEEvT1_
    .private_segment_fixed_size: 0
    .sgpr_count:     6
    .sgpr_spill_count: 0
    .symbol:         _ZN7rocprim17ROCPRIM_400000_NS6detail17trampoline_kernelINS0_14default_configENS1_25transform_config_selectorIyLb0EEEZNS1_14transform_implILb0ES3_S5_N6thrust23THRUST_200600_302600_NS6detail15normal_iteratorINS8_10device_ptrIyEEEEPyNS0_8identityIyEEEE10hipError_tT2_T3_mT4_P12ihipStream_tbEUlT_E_NS1_11comp_targetILNS1_3genE4ELNS1_11target_archE910ELNS1_3gpuE8ELNS1_3repE0EEENS1_30default_config_static_selectorELNS0_4arch9wavefront6targetE1EEEvT1_.kd
    .uniform_work_group_size: 1
    .uses_dynamic_stack: false
    .vgpr_count:     0
    .vgpr_spill_count: 0
    .wavefront_size: 64
  - .agpr_count:     0
    .args:
      - .offset:         0
        .size:           40
        .value_kind:     by_value
    .group_segment_fixed_size: 0
    .kernarg_segment_align: 8
    .kernarg_segment_size: 40
    .language:       OpenCL C
    .language_version:
      - 2
      - 0
    .max_flat_workgroup_size: 128
    .name:           _ZN7rocprim17ROCPRIM_400000_NS6detail17trampoline_kernelINS0_14default_configENS1_25transform_config_selectorIyLb0EEEZNS1_14transform_implILb0ES3_S5_N6thrust23THRUST_200600_302600_NS6detail15normal_iteratorINS8_10device_ptrIyEEEEPyNS0_8identityIyEEEE10hipError_tT2_T3_mT4_P12ihipStream_tbEUlT_E_NS1_11comp_targetILNS1_3genE3ELNS1_11target_archE908ELNS1_3gpuE7ELNS1_3repE0EEENS1_30default_config_static_selectorELNS0_4arch9wavefront6targetE1EEEvT1_
    .private_segment_fixed_size: 0
    .sgpr_count:     6
    .sgpr_spill_count: 0
    .symbol:         _ZN7rocprim17ROCPRIM_400000_NS6detail17trampoline_kernelINS0_14default_configENS1_25transform_config_selectorIyLb0EEEZNS1_14transform_implILb0ES3_S5_N6thrust23THRUST_200600_302600_NS6detail15normal_iteratorINS8_10device_ptrIyEEEEPyNS0_8identityIyEEEE10hipError_tT2_T3_mT4_P12ihipStream_tbEUlT_E_NS1_11comp_targetILNS1_3genE3ELNS1_11target_archE908ELNS1_3gpuE7ELNS1_3repE0EEENS1_30default_config_static_selectorELNS0_4arch9wavefront6targetE1EEEvT1_.kd
    .uniform_work_group_size: 1
    .uses_dynamic_stack: false
    .vgpr_count:     0
    .vgpr_spill_count: 0
    .wavefront_size: 64
  - .agpr_count:     0
    .args:
      - .offset:         0
        .size:           40
        .value_kind:     by_value
    .group_segment_fixed_size: 0
    .kernarg_segment_align: 8
    .kernarg_segment_size: 40
    .language:       OpenCL C
    .language_version:
      - 2
      - 0
    .max_flat_workgroup_size: 512
    .name:           _ZN7rocprim17ROCPRIM_400000_NS6detail17trampoline_kernelINS0_14default_configENS1_25transform_config_selectorIyLb0EEEZNS1_14transform_implILb0ES3_S5_N6thrust23THRUST_200600_302600_NS6detail15normal_iteratorINS8_10device_ptrIyEEEEPyNS0_8identityIyEEEE10hipError_tT2_T3_mT4_P12ihipStream_tbEUlT_E_NS1_11comp_targetILNS1_3genE2ELNS1_11target_archE906ELNS1_3gpuE6ELNS1_3repE0EEENS1_30default_config_static_selectorELNS0_4arch9wavefront6targetE1EEEvT1_
    .private_segment_fixed_size: 0
    .sgpr_count:     6
    .sgpr_spill_count: 0
    .symbol:         _ZN7rocprim17ROCPRIM_400000_NS6detail17trampoline_kernelINS0_14default_configENS1_25transform_config_selectorIyLb0EEEZNS1_14transform_implILb0ES3_S5_N6thrust23THRUST_200600_302600_NS6detail15normal_iteratorINS8_10device_ptrIyEEEEPyNS0_8identityIyEEEE10hipError_tT2_T3_mT4_P12ihipStream_tbEUlT_E_NS1_11comp_targetILNS1_3genE2ELNS1_11target_archE906ELNS1_3gpuE6ELNS1_3repE0EEENS1_30default_config_static_selectorELNS0_4arch9wavefront6targetE1EEEvT1_.kd
    .uniform_work_group_size: 1
    .uses_dynamic_stack: false
    .vgpr_count:     0
    .vgpr_spill_count: 0
    .wavefront_size: 64
  - .agpr_count:     0
    .args:
      - .offset:         0
        .size:           40
        .value_kind:     by_value
    .group_segment_fixed_size: 0
    .kernarg_segment_align: 8
    .kernarg_segment_size: 40
    .language:       OpenCL C
    .language_version:
      - 2
      - 0
    .max_flat_workgroup_size: 1024
    .name:           _ZN7rocprim17ROCPRIM_400000_NS6detail17trampoline_kernelINS0_14default_configENS1_25transform_config_selectorIyLb0EEEZNS1_14transform_implILb0ES3_S5_N6thrust23THRUST_200600_302600_NS6detail15normal_iteratorINS8_10device_ptrIyEEEEPyNS0_8identityIyEEEE10hipError_tT2_T3_mT4_P12ihipStream_tbEUlT_E_NS1_11comp_targetILNS1_3genE10ELNS1_11target_archE1201ELNS1_3gpuE5ELNS1_3repE0EEENS1_30default_config_static_selectorELNS0_4arch9wavefront6targetE1EEEvT1_
    .private_segment_fixed_size: 0
    .sgpr_count:     6
    .sgpr_spill_count: 0
    .symbol:         _ZN7rocprim17ROCPRIM_400000_NS6detail17trampoline_kernelINS0_14default_configENS1_25transform_config_selectorIyLb0EEEZNS1_14transform_implILb0ES3_S5_N6thrust23THRUST_200600_302600_NS6detail15normal_iteratorINS8_10device_ptrIyEEEEPyNS0_8identityIyEEEE10hipError_tT2_T3_mT4_P12ihipStream_tbEUlT_E_NS1_11comp_targetILNS1_3genE10ELNS1_11target_archE1201ELNS1_3gpuE5ELNS1_3repE0EEENS1_30default_config_static_selectorELNS0_4arch9wavefront6targetE1EEEvT1_.kd
    .uniform_work_group_size: 1
    .uses_dynamic_stack: false
    .vgpr_count:     0
    .vgpr_spill_count: 0
    .wavefront_size: 64
  - .agpr_count:     0
    .args:
      - .offset:         0
        .size:           40
        .value_kind:     by_value
    .group_segment_fixed_size: 0
    .kernarg_segment_align: 8
    .kernarg_segment_size: 40
    .language:       OpenCL C
    .language_version:
      - 2
      - 0
    .max_flat_workgroup_size: 512
    .name:           _ZN7rocprim17ROCPRIM_400000_NS6detail17trampoline_kernelINS0_14default_configENS1_25transform_config_selectorIyLb0EEEZNS1_14transform_implILb0ES3_S5_N6thrust23THRUST_200600_302600_NS6detail15normal_iteratorINS8_10device_ptrIyEEEEPyNS0_8identityIyEEEE10hipError_tT2_T3_mT4_P12ihipStream_tbEUlT_E_NS1_11comp_targetILNS1_3genE10ELNS1_11target_archE1200ELNS1_3gpuE4ELNS1_3repE0EEENS1_30default_config_static_selectorELNS0_4arch9wavefront6targetE1EEEvT1_
    .private_segment_fixed_size: 0
    .sgpr_count:     6
    .sgpr_spill_count: 0
    .symbol:         _ZN7rocprim17ROCPRIM_400000_NS6detail17trampoline_kernelINS0_14default_configENS1_25transform_config_selectorIyLb0EEEZNS1_14transform_implILb0ES3_S5_N6thrust23THRUST_200600_302600_NS6detail15normal_iteratorINS8_10device_ptrIyEEEEPyNS0_8identityIyEEEE10hipError_tT2_T3_mT4_P12ihipStream_tbEUlT_E_NS1_11comp_targetILNS1_3genE10ELNS1_11target_archE1200ELNS1_3gpuE4ELNS1_3repE0EEENS1_30default_config_static_selectorELNS0_4arch9wavefront6targetE1EEEvT1_.kd
    .uniform_work_group_size: 1
    .uses_dynamic_stack: false
    .vgpr_count:     0
    .vgpr_spill_count: 0
    .wavefront_size: 64
  - .agpr_count:     0
    .args:
      - .offset:         0
        .size:           40
        .value_kind:     by_value
    .group_segment_fixed_size: 0
    .kernarg_segment_align: 8
    .kernarg_segment_size: 40
    .language:       OpenCL C
    .language_version:
      - 2
      - 0
    .max_flat_workgroup_size: 512
    .name:           _ZN7rocprim17ROCPRIM_400000_NS6detail17trampoline_kernelINS0_14default_configENS1_25transform_config_selectorIyLb0EEEZNS1_14transform_implILb0ES3_S5_N6thrust23THRUST_200600_302600_NS6detail15normal_iteratorINS8_10device_ptrIyEEEEPyNS0_8identityIyEEEE10hipError_tT2_T3_mT4_P12ihipStream_tbEUlT_E_NS1_11comp_targetILNS1_3genE9ELNS1_11target_archE1100ELNS1_3gpuE3ELNS1_3repE0EEENS1_30default_config_static_selectorELNS0_4arch9wavefront6targetE1EEEvT1_
    .private_segment_fixed_size: 0
    .sgpr_count:     6
    .sgpr_spill_count: 0
    .symbol:         _ZN7rocprim17ROCPRIM_400000_NS6detail17trampoline_kernelINS0_14default_configENS1_25transform_config_selectorIyLb0EEEZNS1_14transform_implILb0ES3_S5_N6thrust23THRUST_200600_302600_NS6detail15normal_iteratorINS8_10device_ptrIyEEEEPyNS0_8identityIyEEEE10hipError_tT2_T3_mT4_P12ihipStream_tbEUlT_E_NS1_11comp_targetILNS1_3genE9ELNS1_11target_archE1100ELNS1_3gpuE3ELNS1_3repE0EEENS1_30default_config_static_selectorELNS0_4arch9wavefront6targetE1EEEvT1_.kd
    .uniform_work_group_size: 1
    .uses_dynamic_stack: false
    .vgpr_count:     0
    .vgpr_spill_count: 0
    .wavefront_size: 64
  - .agpr_count:     0
    .args:
      - .offset:         0
        .size:           40
        .value_kind:     by_value
    .group_segment_fixed_size: 0
    .kernarg_segment_align: 8
    .kernarg_segment_size: 40
    .language:       OpenCL C
    .language_version:
      - 2
      - 0
    .max_flat_workgroup_size: 512
    .name:           _ZN7rocprim17ROCPRIM_400000_NS6detail17trampoline_kernelINS0_14default_configENS1_25transform_config_selectorIyLb0EEEZNS1_14transform_implILb0ES3_S5_N6thrust23THRUST_200600_302600_NS6detail15normal_iteratorINS8_10device_ptrIyEEEEPyNS0_8identityIyEEEE10hipError_tT2_T3_mT4_P12ihipStream_tbEUlT_E_NS1_11comp_targetILNS1_3genE8ELNS1_11target_archE1030ELNS1_3gpuE2ELNS1_3repE0EEENS1_30default_config_static_selectorELNS0_4arch9wavefront6targetE1EEEvT1_
    .private_segment_fixed_size: 0
    .sgpr_count:     6
    .sgpr_spill_count: 0
    .symbol:         _ZN7rocprim17ROCPRIM_400000_NS6detail17trampoline_kernelINS0_14default_configENS1_25transform_config_selectorIyLb0EEEZNS1_14transform_implILb0ES3_S5_N6thrust23THRUST_200600_302600_NS6detail15normal_iteratorINS8_10device_ptrIyEEEEPyNS0_8identityIyEEEE10hipError_tT2_T3_mT4_P12ihipStream_tbEUlT_E_NS1_11comp_targetILNS1_3genE8ELNS1_11target_archE1030ELNS1_3gpuE2ELNS1_3repE0EEENS1_30default_config_static_selectorELNS0_4arch9wavefront6targetE1EEEvT1_.kd
    .uniform_work_group_size: 1
    .uses_dynamic_stack: false
    .vgpr_count:     0
    .vgpr_spill_count: 0
    .wavefront_size: 64
  - .agpr_count:     0
    .args:
      - .offset:         0
        .size:           88
        .value_kind:     by_value
    .group_segment_fixed_size: 0
    .kernarg_segment_align: 8
    .kernarg_segment_size: 88
    .language:       OpenCL C
    .language_version:
      - 2
      - 0
    .max_flat_workgroup_size: 512
    .name:           _ZN7rocprim17ROCPRIM_400000_NS6detail17trampoline_kernelINS0_14default_configENS1_35radix_sort_onesweep_config_selectorIyyEEZZNS1_29radix_sort_onesweep_iterationIS3_Lb0EN6thrust23THRUST_200600_302600_NS6detail15normal_iteratorINS8_10device_ptrIyEEEESD_SD_SD_jNS0_19identity_decomposerENS1_16block_id_wrapperIjLb1EEEEE10hipError_tT1_PNSt15iterator_traitsISI_E10value_typeET2_T3_PNSJ_ISO_E10value_typeET4_T5_PST_SU_PNS1_23onesweep_lookback_stateEbbT6_jjT7_P12ihipStream_tbENKUlT_T0_SI_SN_E_clISD_SD_SD_SD_EEDaS11_S12_SI_SN_EUlS11_E_NS1_11comp_targetILNS1_3genE0ELNS1_11target_archE4294967295ELNS1_3gpuE0ELNS1_3repE0EEENS1_47radix_sort_onesweep_sort_config_static_selectorELNS0_4arch9wavefront6targetE1EEEvSI_
    .private_segment_fixed_size: 0
    .sgpr_count:     6
    .sgpr_spill_count: 0
    .symbol:         _ZN7rocprim17ROCPRIM_400000_NS6detail17trampoline_kernelINS0_14default_configENS1_35radix_sort_onesweep_config_selectorIyyEEZZNS1_29radix_sort_onesweep_iterationIS3_Lb0EN6thrust23THRUST_200600_302600_NS6detail15normal_iteratorINS8_10device_ptrIyEEEESD_SD_SD_jNS0_19identity_decomposerENS1_16block_id_wrapperIjLb1EEEEE10hipError_tT1_PNSt15iterator_traitsISI_E10value_typeET2_T3_PNSJ_ISO_E10value_typeET4_T5_PST_SU_PNS1_23onesweep_lookback_stateEbbT6_jjT7_P12ihipStream_tbENKUlT_T0_SI_SN_E_clISD_SD_SD_SD_EEDaS11_S12_SI_SN_EUlS11_E_NS1_11comp_targetILNS1_3genE0ELNS1_11target_archE4294967295ELNS1_3gpuE0ELNS1_3repE0EEENS1_47radix_sort_onesweep_sort_config_static_selectorELNS0_4arch9wavefront6targetE1EEEvSI_.kd
    .uniform_work_group_size: 1
    .uses_dynamic_stack: false
    .vgpr_count:     0
    .vgpr_spill_count: 0
    .wavefront_size: 64
  - .agpr_count:     0
    .args:
      - .offset:         0
        .size:           88
        .value_kind:     by_value
      - .offset:         88
        .size:           4
        .value_kind:     hidden_block_count_x
      - .offset:         92
        .size:           4
        .value_kind:     hidden_block_count_y
      - .offset:         96
        .size:           4
        .value_kind:     hidden_block_count_z
      - .offset:         100
        .size:           2
        .value_kind:     hidden_group_size_x
      - .offset:         102
        .size:           2
        .value_kind:     hidden_group_size_y
      - .offset:         104
        .size:           2
        .value_kind:     hidden_group_size_z
      - .offset:         106
        .size:           2
        .value_kind:     hidden_remainder_x
      - .offset:         108
        .size:           2
        .value_kind:     hidden_remainder_y
      - .offset:         110
        .size:           2
        .value_kind:     hidden_remainder_z
      - .offset:         128
        .size:           8
        .value_kind:     hidden_global_offset_x
      - .offset:         136
        .size:           8
        .value_kind:     hidden_global_offset_y
      - .offset:         144
        .size:           8
        .value_kind:     hidden_global_offset_z
      - .offset:         152
        .size:           2
        .value_kind:     hidden_grid_dims
    .group_segment_fixed_size: 53328
    .kernarg_segment_align: 8
    .kernarg_segment_size: 344
    .language:       OpenCL C
    .language_version:
      - 2
      - 0
    .max_flat_workgroup_size: 1024
    .name:           _ZN7rocprim17ROCPRIM_400000_NS6detail17trampoline_kernelINS0_14default_configENS1_35radix_sort_onesweep_config_selectorIyyEEZZNS1_29radix_sort_onesweep_iterationIS3_Lb0EN6thrust23THRUST_200600_302600_NS6detail15normal_iteratorINS8_10device_ptrIyEEEESD_SD_SD_jNS0_19identity_decomposerENS1_16block_id_wrapperIjLb1EEEEE10hipError_tT1_PNSt15iterator_traitsISI_E10value_typeET2_T3_PNSJ_ISO_E10value_typeET4_T5_PST_SU_PNS1_23onesweep_lookback_stateEbbT6_jjT7_P12ihipStream_tbENKUlT_T0_SI_SN_E_clISD_SD_SD_SD_EEDaS11_S12_SI_SN_EUlS11_E_NS1_11comp_targetILNS1_3genE6ELNS1_11target_archE950ELNS1_3gpuE13ELNS1_3repE0EEENS1_47radix_sort_onesweep_sort_config_static_selectorELNS0_4arch9wavefront6targetE1EEEvSI_
    .private_segment_fixed_size: 48
    .sgpr_count:     67
    .sgpr_spill_count: 0
    .symbol:         _ZN7rocprim17ROCPRIM_400000_NS6detail17trampoline_kernelINS0_14default_configENS1_35radix_sort_onesweep_config_selectorIyyEEZZNS1_29radix_sort_onesweep_iterationIS3_Lb0EN6thrust23THRUST_200600_302600_NS6detail15normal_iteratorINS8_10device_ptrIyEEEESD_SD_SD_jNS0_19identity_decomposerENS1_16block_id_wrapperIjLb1EEEEE10hipError_tT1_PNSt15iterator_traitsISI_E10value_typeET2_T3_PNSJ_ISO_E10value_typeET4_T5_PST_SU_PNS1_23onesweep_lookback_stateEbbT6_jjT7_P12ihipStream_tbENKUlT_T0_SI_SN_E_clISD_SD_SD_SD_EEDaS11_S12_SI_SN_EUlS11_E_NS1_11comp_targetILNS1_3genE6ELNS1_11target_archE950ELNS1_3gpuE13ELNS1_3repE0EEENS1_47radix_sort_onesweep_sort_config_static_selectorELNS0_4arch9wavefront6targetE1EEEvSI_.kd
    .uniform_work_group_size: 1
    .uses_dynamic_stack: false
    .vgpr_count:     58
    .vgpr_spill_count: 0
    .wavefront_size: 64
  - .agpr_count:     0
    .args:
      - .offset:         0
        .size:           88
        .value_kind:     by_value
    .group_segment_fixed_size: 0
    .kernarg_segment_align: 8
    .kernarg_segment_size: 88
    .language:       OpenCL C
    .language_version:
      - 2
      - 0
    .max_flat_workgroup_size: 1024
    .name:           _ZN7rocprim17ROCPRIM_400000_NS6detail17trampoline_kernelINS0_14default_configENS1_35radix_sort_onesweep_config_selectorIyyEEZZNS1_29radix_sort_onesweep_iterationIS3_Lb0EN6thrust23THRUST_200600_302600_NS6detail15normal_iteratorINS8_10device_ptrIyEEEESD_SD_SD_jNS0_19identity_decomposerENS1_16block_id_wrapperIjLb1EEEEE10hipError_tT1_PNSt15iterator_traitsISI_E10value_typeET2_T3_PNSJ_ISO_E10value_typeET4_T5_PST_SU_PNS1_23onesweep_lookback_stateEbbT6_jjT7_P12ihipStream_tbENKUlT_T0_SI_SN_E_clISD_SD_SD_SD_EEDaS11_S12_SI_SN_EUlS11_E_NS1_11comp_targetILNS1_3genE5ELNS1_11target_archE942ELNS1_3gpuE9ELNS1_3repE0EEENS1_47radix_sort_onesweep_sort_config_static_selectorELNS0_4arch9wavefront6targetE1EEEvSI_
    .private_segment_fixed_size: 0
    .sgpr_count:     6
    .sgpr_spill_count: 0
    .symbol:         _ZN7rocprim17ROCPRIM_400000_NS6detail17trampoline_kernelINS0_14default_configENS1_35radix_sort_onesweep_config_selectorIyyEEZZNS1_29radix_sort_onesweep_iterationIS3_Lb0EN6thrust23THRUST_200600_302600_NS6detail15normal_iteratorINS8_10device_ptrIyEEEESD_SD_SD_jNS0_19identity_decomposerENS1_16block_id_wrapperIjLb1EEEEE10hipError_tT1_PNSt15iterator_traitsISI_E10value_typeET2_T3_PNSJ_ISO_E10value_typeET4_T5_PST_SU_PNS1_23onesweep_lookback_stateEbbT6_jjT7_P12ihipStream_tbENKUlT_T0_SI_SN_E_clISD_SD_SD_SD_EEDaS11_S12_SI_SN_EUlS11_E_NS1_11comp_targetILNS1_3genE5ELNS1_11target_archE942ELNS1_3gpuE9ELNS1_3repE0EEENS1_47radix_sort_onesweep_sort_config_static_selectorELNS0_4arch9wavefront6targetE1EEEvSI_.kd
    .uniform_work_group_size: 1
    .uses_dynamic_stack: false
    .vgpr_count:     0
    .vgpr_spill_count: 0
    .wavefront_size: 64
  - .agpr_count:     0
    .args:
      - .offset:         0
        .size:           88
        .value_kind:     by_value
    .group_segment_fixed_size: 0
    .kernarg_segment_align: 8
    .kernarg_segment_size: 88
    .language:       OpenCL C
    .language_version:
      - 2
      - 0
    .max_flat_workgroup_size: 512
    .name:           _ZN7rocprim17ROCPRIM_400000_NS6detail17trampoline_kernelINS0_14default_configENS1_35radix_sort_onesweep_config_selectorIyyEEZZNS1_29radix_sort_onesweep_iterationIS3_Lb0EN6thrust23THRUST_200600_302600_NS6detail15normal_iteratorINS8_10device_ptrIyEEEESD_SD_SD_jNS0_19identity_decomposerENS1_16block_id_wrapperIjLb1EEEEE10hipError_tT1_PNSt15iterator_traitsISI_E10value_typeET2_T3_PNSJ_ISO_E10value_typeET4_T5_PST_SU_PNS1_23onesweep_lookback_stateEbbT6_jjT7_P12ihipStream_tbENKUlT_T0_SI_SN_E_clISD_SD_SD_SD_EEDaS11_S12_SI_SN_EUlS11_E_NS1_11comp_targetILNS1_3genE2ELNS1_11target_archE906ELNS1_3gpuE6ELNS1_3repE0EEENS1_47radix_sort_onesweep_sort_config_static_selectorELNS0_4arch9wavefront6targetE1EEEvSI_
    .private_segment_fixed_size: 0
    .sgpr_count:     6
    .sgpr_spill_count: 0
    .symbol:         _ZN7rocprim17ROCPRIM_400000_NS6detail17trampoline_kernelINS0_14default_configENS1_35radix_sort_onesweep_config_selectorIyyEEZZNS1_29radix_sort_onesweep_iterationIS3_Lb0EN6thrust23THRUST_200600_302600_NS6detail15normal_iteratorINS8_10device_ptrIyEEEESD_SD_SD_jNS0_19identity_decomposerENS1_16block_id_wrapperIjLb1EEEEE10hipError_tT1_PNSt15iterator_traitsISI_E10value_typeET2_T3_PNSJ_ISO_E10value_typeET4_T5_PST_SU_PNS1_23onesweep_lookback_stateEbbT6_jjT7_P12ihipStream_tbENKUlT_T0_SI_SN_E_clISD_SD_SD_SD_EEDaS11_S12_SI_SN_EUlS11_E_NS1_11comp_targetILNS1_3genE2ELNS1_11target_archE906ELNS1_3gpuE6ELNS1_3repE0EEENS1_47radix_sort_onesweep_sort_config_static_selectorELNS0_4arch9wavefront6targetE1EEEvSI_.kd
    .uniform_work_group_size: 1
    .uses_dynamic_stack: false
    .vgpr_count:     0
    .vgpr_spill_count: 0
    .wavefront_size: 64
  - .agpr_count:     0
    .args:
      - .offset:         0
        .size:           88
        .value_kind:     by_value
    .group_segment_fixed_size: 0
    .kernarg_segment_align: 8
    .kernarg_segment_size: 88
    .language:       OpenCL C
    .language_version:
      - 2
      - 0
    .max_flat_workgroup_size: 1024
    .name:           _ZN7rocprim17ROCPRIM_400000_NS6detail17trampoline_kernelINS0_14default_configENS1_35radix_sort_onesweep_config_selectorIyyEEZZNS1_29radix_sort_onesweep_iterationIS3_Lb0EN6thrust23THRUST_200600_302600_NS6detail15normal_iteratorINS8_10device_ptrIyEEEESD_SD_SD_jNS0_19identity_decomposerENS1_16block_id_wrapperIjLb1EEEEE10hipError_tT1_PNSt15iterator_traitsISI_E10value_typeET2_T3_PNSJ_ISO_E10value_typeET4_T5_PST_SU_PNS1_23onesweep_lookback_stateEbbT6_jjT7_P12ihipStream_tbENKUlT_T0_SI_SN_E_clISD_SD_SD_SD_EEDaS11_S12_SI_SN_EUlS11_E_NS1_11comp_targetILNS1_3genE4ELNS1_11target_archE910ELNS1_3gpuE8ELNS1_3repE0EEENS1_47radix_sort_onesweep_sort_config_static_selectorELNS0_4arch9wavefront6targetE1EEEvSI_
    .private_segment_fixed_size: 0
    .sgpr_count:     6
    .sgpr_spill_count: 0
    .symbol:         _ZN7rocprim17ROCPRIM_400000_NS6detail17trampoline_kernelINS0_14default_configENS1_35radix_sort_onesweep_config_selectorIyyEEZZNS1_29radix_sort_onesweep_iterationIS3_Lb0EN6thrust23THRUST_200600_302600_NS6detail15normal_iteratorINS8_10device_ptrIyEEEESD_SD_SD_jNS0_19identity_decomposerENS1_16block_id_wrapperIjLb1EEEEE10hipError_tT1_PNSt15iterator_traitsISI_E10value_typeET2_T3_PNSJ_ISO_E10value_typeET4_T5_PST_SU_PNS1_23onesweep_lookback_stateEbbT6_jjT7_P12ihipStream_tbENKUlT_T0_SI_SN_E_clISD_SD_SD_SD_EEDaS11_S12_SI_SN_EUlS11_E_NS1_11comp_targetILNS1_3genE4ELNS1_11target_archE910ELNS1_3gpuE8ELNS1_3repE0EEENS1_47radix_sort_onesweep_sort_config_static_selectorELNS0_4arch9wavefront6targetE1EEEvSI_.kd
    .uniform_work_group_size: 1
    .uses_dynamic_stack: false
    .vgpr_count:     0
    .vgpr_spill_count: 0
    .wavefront_size: 64
  - .agpr_count:     0
    .args:
      - .offset:         0
        .size:           88
        .value_kind:     by_value
    .group_segment_fixed_size: 0
    .kernarg_segment_align: 8
    .kernarg_segment_size: 88
    .language:       OpenCL C
    .language_version:
      - 2
      - 0
    .max_flat_workgroup_size: 512
    .name:           _ZN7rocprim17ROCPRIM_400000_NS6detail17trampoline_kernelINS0_14default_configENS1_35radix_sort_onesweep_config_selectorIyyEEZZNS1_29radix_sort_onesweep_iterationIS3_Lb0EN6thrust23THRUST_200600_302600_NS6detail15normal_iteratorINS8_10device_ptrIyEEEESD_SD_SD_jNS0_19identity_decomposerENS1_16block_id_wrapperIjLb1EEEEE10hipError_tT1_PNSt15iterator_traitsISI_E10value_typeET2_T3_PNSJ_ISO_E10value_typeET4_T5_PST_SU_PNS1_23onesweep_lookback_stateEbbT6_jjT7_P12ihipStream_tbENKUlT_T0_SI_SN_E_clISD_SD_SD_SD_EEDaS11_S12_SI_SN_EUlS11_E_NS1_11comp_targetILNS1_3genE3ELNS1_11target_archE908ELNS1_3gpuE7ELNS1_3repE0EEENS1_47radix_sort_onesweep_sort_config_static_selectorELNS0_4arch9wavefront6targetE1EEEvSI_
    .private_segment_fixed_size: 0
    .sgpr_count:     6
    .sgpr_spill_count: 0
    .symbol:         _ZN7rocprim17ROCPRIM_400000_NS6detail17trampoline_kernelINS0_14default_configENS1_35radix_sort_onesweep_config_selectorIyyEEZZNS1_29radix_sort_onesweep_iterationIS3_Lb0EN6thrust23THRUST_200600_302600_NS6detail15normal_iteratorINS8_10device_ptrIyEEEESD_SD_SD_jNS0_19identity_decomposerENS1_16block_id_wrapperIjLb1EEEEE10hipError_tT1_PNSt15iterator_traitsISI_E10value_typeET2_T3_PNSJ_ISO_E10value_typeET4_T5_PST_SU_PNS1_23onesweep_lookback_stateEbbT6_jjT7_P12ihipStream_tbENKUlT_T0_SI_SN_E_clISD_SD_SD_SD_EEDaS11_S12_SI_SN_EUlS11_E_NS1_11comp_targetILNS1_3genE3ELNS1_11target_archE908ELNS1_3gpuE7ELNS1_3repE0EEENS1_47radix_sort_onesweep_sort_config_static_selectorELNS0_4arch9wavefront6targetE1EEEvSI_.kd
    .uniform_work_group_size: 1
    .uses_dynamic_stack: false
    .vgpr_count:     0
    .vgpr_spill_count: 0
    .wavefront_size: 64
  - .agpr_count:     0
    .args:
      - .offset:         0
        .size:           88
        .value_kind:     by_value
    .group_segment_fixed_size: 0
    .kernarg_segment_align: 8
    .kernarg_segment_size: 88
    .language:       OpenCL C
    .language_version:
      - 2
      - 0
    .max_flat_workgroup_size: 1024
    .name:           _ZN7rocprim17ROCPRIM_400000_NS6detail17trampoline_kernelINS0_14default_configENS1_35radix_sort_onesweep_config_selectorIyyEEZZNS1_29radix_sort_onesweep_iterationIS3_Lb0EN6thrust23THRUST_200600_302600_NS6detail15normal_iteratorINS8_10device_ptrIyEEEESD_SD_SD_jNS0_19identity_decomposerENS1_16block_id_wrapperIjLb1EEEEE10hipError_tT1_PNSt15iterator_traitsISI_E10value_typeET2_T3_PNSJ_ISO_E10value_typeET4_T5_PST_SU_PNS1_23onesweep_lookback_stateEbbT6_jjT7_P12ihipStream_tbENKUlT_T0_SI_SN_E_clISD_SD_SD_SD_EEDaS11_S12_SI_SN_EUlS11_E_NS1_11comp_targetILNS1_3genE10ELNS1_11target_archE1201ELNS1_3gpuE5ELNS1_3repE0EEENS1_47radix_sort_onesweep_sort_config_static_selectorELNS0_4arch9wavefront6targetE1EEEvSI_
    .private_segment_fixed_size: 0
    .sgpr_count:     6
    .sgpr_spill_count: 0
    .symbol:         _ZN7rocprim17ROCPRIM_400000_NS6detail17trampoline_kernelINS0_14default_configENS1_35radix_sort_onesweep_config_selectorIyyEEZZNS1_29radix_sort_onesweep_iterationIS3_Lb0EN6thrust23THRUST_200600_302600_NS6detail15normal_iteratorINS8_10device_ptrIyEEEESD_SD_SD_jNS0_19identity_decomposerENS1_16block_id_wrapperIjLb1EEEEE10hipError_tT1_PNSt15iterator_traitsISI_E10value_typeET2_T3_PNSJ_ISO_E10value_typeET4_T5_PST_SU_PNS1_23onesweep_lookback_stateEbbT6_jjT7_P12ihipStream_tbENKUlT_T0_SI_SN_E_clISD_SD_SD_SD_EEDaS11_S12_SI_SN_EUlS11_E_NS1_11comp_targetILNS1_3genE10ELNS1_11target_archE1201ELNS1_3gpuE5ELNS1_3repE0EEENS1_47radix_sort_onesweep_sort_config_static_selectorELNS0_4arch9wavefront6targetE1EEEvSI_.kd
    .uniform_work_group_size: 1
    .uses_dynamic_stack: false
    .vgpr_count:     0
    .vgpr_spill_count: 0
    .wavefront_size: 64
  - .agpr_count:     0
    .args:
      - .offset:         0
        .size:           88
        .value_kind:     by_value
    .group_segment_fixed_size: 0
    .kernarg_segment_align: 8
    .kernarg_segment_size: 88
    .language:       OpenCL C
    .language_version:
      - 2
      - 0
    .max_flat_workgroup_size: 1024
    .name:           _ZN7rocprim17ROCPRIM_400000_NS6detail17trampoline_kernelINS0_14default_configENS1_35radix_sort_onesweep_config_selectorIyyEEZZNS1_29radix_sort_onesweep_iterationIS3_Lb0EN6thrust23THRUST_200600_302600_NS6detail15normal_iteratorINS8_10device_ptrIyEEEESD_SD_SD_jNS0_19identity_decomposerENS1_16block_id_wrapperIjLb1EEEEE10hipError_tT1_PNSt15iterator_traitsISI_E10value_typeET2_T3_PNSJ_ISO_E10value_typeET4_T5_PST_SU_PNS1_23onesweep_lookback_stateEbbT6_jjT7_P12ihipStream_tbENKUlT_T0_SI_SN_E_clISD_SD_SD_SD_EEDaS11_S12_SI_SN_EUlS11_E_NS1_11comp_targetILNS1_3genE9ELNS1_11target_archE1100ELNS1_3gpuE3ELNS1_3repE0EEENS1_47radix_sort_onesweep_sort_config_static_selectorELNS0_4arch9wavefront6targetE1EEEvSI_
    .private_segment_fixed_size: 0
    .sgpr_count:     6
    .sgpr_spill_count: 0
    .symbol:         _ZN7rocprim17ROCPRIM_400000_NS6detail17trampoline_kernelINS0_14default_configENS1_35radix_sort_onesweep_config_selectorIyyEEZZNS1_29radix_sort_onesweep_iterationIS3_Lb0EN6thrust23THRUST_200600_302600_NS6detail15normal_iteratorINS8_10device_ptrIyEEEESD_SD_SD_jNS0_19identity_decomposerENS1_16block_id_wrapperIjLb1EEEEE10hipError_tT1_PNSt15iterator_traitsISI_E10value_typeET2_T3_PNSJ_ISO_E10value_typeET4_T5_PST_SU_PNS1_23onesweep_lookback_stateEbbT6_jjT7_P12ihipStream_tbENKUlT_T0_SI_SN_E_clISD_SD_SD_SD_EEDaS11_S12_SI_SN_EUlS11_E_NS1_11comp_targetILNS1_3genE9ELNS1_11target_archE1100ELNS1_3gpuE3ELNS1_3repE0EEENS1_47radix_sort_onesweep_sort_config_static_selectorELNS0_4arch9wavefront6targetE1EEEvSI_.kd
    .uniform_work_group_size: 1
    .uses_dynamic_stack: false
    .vgpr_count:     0
    .vgpr_spill_count: 0
    .wavefront_size: 64
  - .agpr_count:     0
    .args:
      - .offset:         0
        .size:           88
        .value_kind:     by_value
    .group_segment_fixed_size: 0
    .kernarg_segment_align: 8
    .kernarg_segment_size: 88
    .language:       OpenCL C
    .language_version:
      - 2
      - 0
    .max_flat_workgroup_size: 1024
    .name:           _ZN7rocprim17ROCPRIM_400000_NS6detail17trampoline_kernelINS0_14default_configENS1_35radix_sort_onesweep_config_selectorIyyEEZZNS1_29radix_sort_onesweep_iterationIS3_Lb0EN6thrust23THRUST_200600_302600_NS6detail15normal_iteratorINS8_10device_ptrIyEEEESD_SD_SD_jNS0_19identity_decomposerENS1_16block_id_wrapperIjLb1EEEEE10hipError_tT1_PNSt15iterator_traitsISI_E10value_typeET2_T3_PNSJ_ISO_E10value_typeET4_T5_PST_SU_PNS1_23onesweep_lookback_stateEbbT6_jjT7_P12ihipStream_tbENKUlT_T0_SI_SN_E_clISD_SD_SD_SD_EEDaS11_S12_SI_SN_EUlS11_E_NS1_11comp_targetILNS1_3genE8ELNS1_11target_archE1030ELNS1_3gpuE2ELNS1_3repE0EEENS1_47radix_sort_onesweep_sort_config_static_selectorELNS0_4arch9wavefront6targetE1EEEvSI_
    .private_segment_fixed_size: 0
    .sgpr_count:     6
    .sgpr_spill_count: 0
    .symbol:         _ZN7rocprim17ROCPRIM_400000_NS6detail17trampoline_kernelINS0_14default_configENS1_35radix_sort_onesweep_config_selectorIyyEEZZNS1_29radix_sort_onesweep_iterationIS3_Lb0EN6thrust23THRUST_200600_302600_NS6detail15normal_iteratorINS8_10device_ptrIyEEEESD_SD_SD_jNS0_19identity_decomposerENS1_16block_id_wrapperIjLb1EEEEE10hipError_tT1_PNSt15iterator_traitsISI_E10value_typeET2_T3_PNSJ_ISO_E10value_typeET4_T5_PST_SU_PNS1_23onesweep_lookback_stateEbbT6_jjT7_P12ihipStream_tbENKUlT_T0_SI_SN_E_clISD_SD_SD_SD_EEDaS11_S12_SI_SN_EUlS11_E_NS1_11comp_targetILNS1_3genE8ELNS1_11target_archE1030ELNS1_3gpuE2ELNS1_3repE0EEENS1_47radix_sort_onesweep_sort_config_static_selectorELNS0_4arch9wavefront6targetE1EEEvSI_.kd
    .uniform_work_group_size: 1
    .uses_dynamic_stack: false
    .vgpr_count:     0
    .vgpr_spill_count: 0
    .wavefront_size: 64
  - .agpr_count:     0
    .args:
      - .offset:         0
        .size:           88
        .value_kind:     by_value
    .group_segment_fixed_size: 0
    .kernarg_segment_align: 8
    .kernarg_segment_size: 88
    .language:       OpenCL C
    .language_version:
      - 2
      - 0
    .max_flat_workgroup_size: 512
    .name:           _ZN7rocprim17ROCPRIM_400000_NS6detail17trampoline_kernelINS0_14default_configENS1_35radix_sort_onesweep_config_selectorIyyEEZZNS1_29radix_sort_onesweep_iterationIS3_Lb0EN6thrust23THRUST_200600_302600_NS6detail15normal_iteratorINS8_10device_ptrIyEEEESD_SD_SD_jNS0_19identity_decomposerENS1_16block_id_wrapperIjLb1EEEEE10hipError_tT1_PNSt15iterator_traitsISI_E10value_typeET2_T3_PNSJ_ISO_E10value_typeET4_T5_PST_SU_PNS1_23onesweep_lookback_stateEbbT6_jjT7_P12ihipStream_tbENKUlT_T0_SI_SN_E_clISD_PySD_S15_EEDaS11_S12_SI_SN_EUlS11_E_NS1_11comp_targetILNS1_3genE0ELNS1_11target_archE4294967295ELNS1_3gpuE0ELNS1_3repE0EEENS1_47radix_sort_onesweep_sort_config_static_selectorELNS0_4arch9wavefront6targetE1EEEvSI_
    .private_segment_fixed_size: 0
    .sgpr_count:     6
    .sgpr_spill_count: 0
    .symbol:         _ZN7rocprim17ROCPRIM_400000_NS6detail17trampoline_kernelINS0_14default_configENS1_35radix_sort_onesweep_config_selectorIyyEEZZNS1_29radix_sort_onesweep_iterationIS3_Lb0EN6thrust23THRUST_200600_302600_NS6detail15normal_iteratorINS8_10device_ptrIyEEEESD_SD_SD_jNS0_19identity_decomposerENS1_16block_id_wrapperIjLb1EEEEE10hipError_tT1_PNSt15iterator_traitsISI_E10value_typeET2_T3_PNSJ_ISO_E10value_typeET4_T5_PST_SU_PNS1_23onesweep_lookback_stateEbbT6_jjT7_P12ihipStream_tbENKUlT_T0_SI_SN_E_clISD_PySD_S15_EEDaS11_S12_SI_SN_EUlS11_E_NS1_11comp_targetILNS1_3genE0ELNS1_11target_archE4294967295ELNS1_3gpuE0ELNS1_3repE0EEENS1_47radix_sort_onesweep_sort_config_static_selectorELNS0_4arch9wavefront6targetE1EEEvSI_.kd
    .uniform_work_group_size: 1
    .uses_dynamic_stack: false
    .vgpr_count:     0
    .vgpr_spill_count: 0
    .wavefront_size: 64
  - .agpr_count:     0
    .args:
      - .offset:         0
        .size:           88
        .value_kind:     by_value
      - .offset:         88
        .size:           4
        .value_kind:     hidden_block_count_x
      - .offset:         92
        .size:           4
        .value_kind:     hidden_block_count_y
      - .offset:         96
        .size:           4
        .value_kind:     hidden_block_count_z
      - .offset:         100
        .size:           2
        .value_kind:     hidden_group_size_x
      - .offset:         102
        .size:           2
        .value_kind:     hidden_group_size_y
      - .offset:         104
        .size:           2
        .value_kind:     hidden_group_size_z
      - .offset:         106
        .size:           2
        .value_kind:     hidden_remainder_x
      - .offset:         108
        .size:           2
        .value_kind:     hidden_remainder_y
      - .offset:         110
        .size:           2
        .value_kind:     hidden_remainder_z
      - .offset:         128
        .size:           8
        .value_kind:     hidden_global_offset_x
      - .offset:         136
        .size:           8
        .value_kind:     hidden_global_offset_y
      - .offset:         144
        .size:           8
        .value_kind:     hidden_global_offset_z
      - .offset:         152
        .size:           2
        .value_kind:     hidden_grid_dims
    .group_segment_fixed_size: 53328
    .kernarg_segment_align: 8
    .kernarg_segment_size: 344
    .language:       OpenCL C
    .language_version:
      - 2
      - 0
    .max_flat_workgroup_size: 1024
    .name:           _ZN7rocprim17ROCPRIM_400000_NS6detail17trampoline_kernelINS0_14default_configENS1_35radix_sort_onesweep_config_selectorIyyEEZZNS1_29radix_sort_onesweep_iterationIS3_Lb0EN6thrust23THRUST_200600_302600_NS6detail15normal_iteratorINS8_10device_ptrIyEEEESD_SD_SD_jNS0_19identity_decomposerENS1_16block_id_wrapperIjLb1EEEEE10hipError_tT1_PNSt15iterator_traitsISI_E10value_typeET2_T3_PNSJ_ISO_E10value_typeET4_T5_PST_SU_PNS1_23onesweep_lookback_stateEbbT6_jjT7_P12ihipStream_tbENKUlT_T0_SI_SN_E_clISD_PySD_S15_EEDaS11_S12_SI_SN_EUlS11_E_NS1_11comp_targetILNS1_3genE6ELNS1_11target_archE950ELNS1_3gpuE13ELNS1_3repE0EEENS1_47radix_sort_onesweep_sort_config_static_selectorELNS0_4arch9wavefront6targetE1EEEvSI_
    .private_segment_fixed_size: 48
    .sgpr_count:     67
    .sgpr_spill_count: 0
    .symbol:         _ZN7rocprim17ROCPRIM_400000_NS6detail17trampoline_kernelINS0_14default_configENS1_35radix_sort_onesweep_config_selectorIyyEEZZNS1_29radix_sort_onesweep_iterationIS3_Lb0EN6thrust23THRUST_200600_302600_NS6detail15normal_iteratorINS8_10device_ptrIyEEEESD_SD_SD_jNS0_19identity_decomposerENS1_16block_id_wrapperIjLb1EEEEE10hipError_tT1_PNSt15iterator_traitsISI_E10value_typeET2_T3_PNSJ_ISO_E10value_typeET4_T5_PST_SU_PNS1_23onesweep_lookback_stateEbbT6_jjT7_P12ihipStream_tbENKUlT_T0_SI_SN_E_clISD_PySD_S15_EEDaS11_S12_SI_SN_EUlS11_E_NS1_11comp_targetILNS1_3genE6ELNS1_11target_archE950ELNS1_3gpuE13ELNS1_3repE0EEENS1_47radix_sort_onesweep_sort_config_static_selectorELNS0_4arch9wavefront6targetE1EEEvSI_.kd
    .uniform_work_group_size: 1
    .uses_dynamic_stack: false
    .vgpr_count:     58
    .vgpr_spill_count: 0
    .wavefront_size: 64
  - .agpr_count:     0
    .args:
      - .offset:         0
        .size:           88
        .value_kind:     by_value
    .group_segment_fixed_size: 0
    .kernarg_segment_align: 8
    .kernarg_segment_size: 88
    .language:       OpenCL C
    .language_version:
      - 2
      - 0
    .max_flat_workgroup_size: 1024
    .name:           _ZN7rocprim17ROCPRIM_400000_NS6detail17trampoline_kernelINS0_14default_configENS1_35radix_sort_onesweep_config_selectorIyyEEZZNS1_29radix_sort_onesweep_iterationIS3_Lb0EN6thrust23THRUST_200600_302600_NS6detail15normal_iteratorINS8_10device_ptrIyEEEESD_SD_SD_jNS0_19identity_decomposerENS1_16block_id_wrapperIjLb1EEEEE10hipError_tT1_PNSt15iterator_traitsISI_E10value_typeET2_T3_PNSJ_ISO_E10value_typeET4_T5_PST_SU_PNS1_23onesweep_lookback_stateEbbT6_jjT7_P12ihipStream_tbENKUlT_T0_SI_SN_E_clISD_PySD_S15_EEDaS11_S12_SI_SN_EUlS11_E_NS1_11comp_targetILNS1_3genE5ELNS1_11target_archE942ELNS1_3gpuE9ELNS1_3repE0EEENS1_47radix_sort_onesweep_sort_config_static_selectorELNS0_4arch9wavefront6targetE1EEEvSI_
    .private_segment_fixed_size: 0
    .sgpr_count:     6
    .sgpr_spill_count: 0
    .symbol:         _ZN7rocprim17ROCPRIM_400000_NS6detail17trampoline_kernelINS0_14default_configENS1_35radix_sort_onesweep_config_selectorIyyEEZZNS1_29radix_sort_onesweep_iterationIS3_Lb0EN6thrust23THRUST_200600_302600_NS6detail15normal_iteratorINS8_10device_ptrIyEEEESD_SD_SD_jNS0_19identity_decomposerENS1_16block_id_wrapperIjLb1EEEEE10hipError_tT1_PNSt15iterator_traitsISI_E10value_typeET2_T3_PNSJ_ISO_E10value_typeET4_T5_PST_SU_PNS1_23onesweep_lookback_stateEbbT6_jjT7_P12ihipStream_tbENKUlT_T0_SI_SN_E_clISD_PySD_S15_EEDaS11_S12_SI_SN_EUlS11_E_NS1_11comp_targetILNS1_3genE5ELNS1_11target_archE942ELNS1_3gpuE9ELNS1_3repE0EEENS1_47radix_sort_onesweep_sort_config_static_selectorELNS0_4arch9wavefront6targetE1EEEvSI_.kd
    .uniform_work_group_size: 1
    .uses_dynamic_stack: false
    .vgpr_count:     0
    .vgpr_spill_count: 0
    .wavefront_size: 64
  - .agpr_count:     0
    .args:
      - .offset:         0
        .size:           88
        .value_kind:     by_value
    .group_segment_fixed_size: 0
    .kernarg_segment_align: 8
    .kernarg_segment_size: 88
    .language:       OpenCL C
    .language_version:
      - 2
      - 0
    .max_flat_workgroup_size: 512
    .name:           _ZN7rocprim17ROCPRIM_400000_NS6detail17trampoline_kernelINS0_14default_configENS1_35radix_sort_onesweep_config_selectorIyyEEZZNS1_29radix_sort_onesweep_iterationIS3_Lb0EN6thrust23THRUST_200600_302600_NS6detail15normal_iteratorINS8_10device_ptrIyEEEESD_SD_SD_jNS0_19identity_decomposerENS1_16block_id_wrapperIjLb1EEEEE10hipError_tT1_PNSt15iterator_traitsISI_E10value_typeET2_T3_PNSJ_ISO_E10value_typeET4_T5_PST_SU_PNS1_23onesweep_lookback_stateEbbT6_jjT7_P12ihipStream_tbENKUlT_T0_SI_SN_E_clISD_PySD_S15_EEDaS11_S12_SI_SN_EUlS11_E_NS1_11comp_targetILNS1_3genE2ELNS1_11target_archE906ELNS1_3gpuE6ELNS1_3repE0EEENS1_47radix_sort_onesweep_sort_config_static_selectorELNS0_4arch9wavefront6targetE1EEEvSI_
    .private_segment_fixed_size: 0
    .sgpr_count:     6
    .sgpr_spill_count: 0
    .symbol:         _ZN7rocprim17ROCPRIM_400000_NS6detail17trampoline_kernelINS0_14default_configENS1_35radix_sort_onesweep_config_selectorIyyEEZZNS1_29radix_sort_onesweep_iterationIS3_Lb0EN6thrust23THRUST_200600_302600_NS6detail15normal_iteratorINS8_10device_ptrIyEEEESD_SD_SD_jNS0_19identity_decomposerENS1_16block_id_wrapperIjLb1EEEEE10hipError_tT1_PNSt15iterator_traitsISI_E10value_typeET2_T3_PNSJ_ISO_E10value_typeET4_T5_PST_SU_PNS1_23onesweep_lookback_stateEbbT6_jjT7_P12ihipStream_tbENKUlT_T0_SI_SN_E_clISD_PySD_S15_EEDaS11_S12_SI_SN_EUlS11_E_NS1_11comp_targetILNS1_3genE2ELNS1_11target_archE906ELNS1_3gpuE6ELNS1_3repE0EEENS1_47radix_sort_onesweep_sort_config_static_selectorELNS0_4arch9wavefront6targetE1EEEvSI_.kd
    .uniform_work_group_size: 1
    .uses_dynamic_stack: false
    .vgpr_count:     0
    .vgpr_spill_count: 0
    .wavefront_size: 64
  - .agpr_count:     0
    .args:
      - .offset:         0
        .size:           88
        .value_kind:     by_value
    .group_segment_fixed_size: 0
    .kernarg_segment_align: 8
    .kernarg_segment_size: 88
    .language:       OpenCL C
    .language_version:
      - 2
      - 0
    .max_flat_workgroup_size: 1024
    .name:           _ZN7rocprim17ROCPRIM_400000_NS6detail17trampoline_kernelINS0_14default_configENS1_35radix_sort_onesweep_config_selectorIyyEEZZNS1_29radix_sort_onesweep_iterationIS3_Lb0EN6thrust23THRUST_200600_302600_NS6detail15normal_iteratorINS8_10device_ptrIyEEEESD_SD_SD_jNS0_19identity_decomposerENS1_16block_id_wrapperIjLb1EEEEE10hipError_tT1_PNSt15iterator_traitsISI_E10value_typeET2_T3_PNSJ_ISO_E10value_typeET4_T5_PST_SU_PNS1_23onesweep_lookback_stateEbbT6_jjT7_P12ihipStream_tbENKUlT_T0_SI_SN_E_clISD_PySD_S15_EEDaS11_S12_SI_SN_EUlS11_E_NS1_11comp_targetILNS1_3genE4ELNS1_11target_archE910ELNS1_3gpuE8ELNS1_3repE0EEENS1_47radix_sort_onesweep_sort_config_static_selectorELNS0_4arch9wavefront6targetE1EEEvSI_
    .private_segment_fixed_size: 0
    .sgpr_count:     6
    .sgpr_spill_count: 0
    .symbol:         _ZN7rocprim17ROCPRIM_400000_NS6detail17trampoline_kernelINS0_14default_configENS1_35radix_sort_onesweep_config_selectorIyyEEZZNS1_29radix_sort_onesweep_iterationIS3_Lb0EN6thrust23THRUST_200600_302600_NS6detail15normal_iteratorINS8_10device_ptrIyEEEESD_SD_SD_jNS0_19identity_decomposerENS1_16block_id_wrapperIjLb1EEEEE10hipError_tT1_PNSt15iterator_traitsISI_E10value_typeET2_T3_PNSJ_ISO_E10value_typeET4_T5_PST_SU_PNS1_23onesweep_lookback_stateEbbT6_jjT7_P12ihipStream_tbENKUlT_T0_SI_SN_E_clISD_PySD_S15_EEDaS11_S12_SI_SN_EUlS11_E_NS1_11comp_targetILNS1_3genE4ELNS1_11target_archE910ELNS1_3gpuE8ELNS1_3repE0EEENS1_47radix_sort_onesweep_sort_config_static_selectorELNS0_4arch9wavefront6targetE1EEEvSI_.kd
    .uniform_work_group_size: 1
    .uses_dynamic_stack: false
    .vgpr_count:     0
    .vgpr_spill_count: 0
    .wavefront_size: 64
  - .agpr_count:     0
    .args:
      - .offset:         0
        .size:           88
        .value_kind:     by_value
    .group_segment_fixed_size: 0
    .kernarg_segment_align: 8
    .kernarg_segment_size: 88
    .language:       OpenCL C
    .language_version:
      - 2
      - 0
    .max_flat_workgroup_size: 512
    .name:           _ZN7rocprim17ROCPRIM_400000_NS6detail17trampoline_kernelINS0_14default_configENS1_35radix_sort_onesweep_config_selectorIyyEEZZNS1_29radix_sort_onesweep_iterationIS3_Lb0EN6thrust23THRUST_200600_302600_NS6detail15normal_iteratorINS8_10device_ptrIyEEEESD_SD_SD_jNS0_19identity_decomposerENS1_16block_id_wrapperIjLb1EEEEE10hipError_tT1_PNSt15iterator_traitsISI_E10value_typeET2_T3_PNSJ_ISO_E10value_typeET4_T5_PST_SU_PNS1_23onesweep_lookback_stateEbbT6_jjT7_P12ihipStream_tbENKUlT_T0_SI_SN_E_clISD_PySD_S15_EEDaS11_S12_SI_SN_EUlS11_E_NS1_11comp_targetILNS1_3genE3ELNS1_11target_archE908ELNS1_3gpuE7ELNS1_3repE0EEENS1_47radix_sort_onesweep_sort_config_static_selectorELNS0_4arch9wavefront6targetE1EEEvSI_
    .private_segment_fixed_size: 0
    .sgpr_count:     6
    .sgpr_spill_count: 0
    .symbol:         _ZN7rocprim17ROCPRIM_400000_NS6detail17trampoline_kernelINS0_14default_configENS1_35radix_sort_onesweep_config_selectorIyyEEZZNS1_29radix_sort_onesweep_iterationIS3_Lb0EN6thrust23THRUST_200600_302600_NS6detail15normal_iteratorINS8_10device_ptrIyEEEESD_SD_SD_jNS0_19identity_decomposerENS1_16block_id_wrapperIjLb1EEEEE10hipError_tT1_PNSt15iterator_traitsISI_E10value_typeET2_T3_PNSJ_ISO_E10value_typeET4_T5_PST_SU_PNS1_23onesweep_lookback_stateEbbT6_jjT7_P12ihipStream_tbENKUlT_T0_SI_SN_E_clISD_PySD_S15_EEDaS11_S12_SI_SN_EUlS11_E_NS1_11comp_targetILNS1_3genE3ELNS1_11target_archE908ELNS1_3gpuE7ELNS1_3repE0EEENS1_47radix_sort_onesweep_sort_config_static_selectorELNS0_4arch9wavefront6targetE1EEEvSI_.kd
    .uniform_work_group_size: 1
    .uses_dynamic_stack: false
    .vgpr_count:     0
    .vgpr_spill_count: 0
    .wavefront_size: 64
  - .agpr_count:     0
    .args:
      - .offset:         0
        .size:           88
        .value_kind:     by_value
    .group_segment_fixed_size: 0
    .kernarg_segment_align: 8
    .kernarg_segment_size: 88
    .language:       OpenCL C
    .language_version:
      - 2
      - 0
    .max_flat_workgroup_size: 1024
    .name:           _ZN7rocprim17ROCPRIM_400000_NS6detail17trampoline_kernelINS0_14default_configENS1_35radix_sort_onesweep_config_selectorIyyEEZZNS1_29radix_sort_onesweep_iterationIS3_Lb0EN6thrust23THRUST_200600_302600_NS6detail15normal_iteratorINS8_10device_ptrIyEEEESD_SD_SD_jNS0_19identity_decomposerENS1_16block_id_wrapperIjLb1EEEEE10hipError_tT1_PNSt15iterator_traitsISI_E10value_typeET2_T3_PNSJ_ISO_E10value_typeET4_T5_PST_SU_PNS1_23onesweep_lookback_stateEbbT6_jjT7_P12ihipStream_tbENKUlT_T0_SI_SN_E_clISD_PySD_S15_EEDaS11_S12_SI_SN_EUlS11_E_NS1_11comp_targetILNS1_3genE10ELNS1_11target_archE1201ELNS1_3gpuE5ELNS1_3repE0EEENS1_47radix_sort_onesweep_sort_config_static_selectorELNS0_4arch9wavefront6targetE1EEEvSI_
    .private_segment_fixed_size: 0
    .sgpr_count:     6
    .sgpr_spill_count: 0
    .symbol:         _ZN7rocprim17ROCPRIM_400000_NS6detail17trampoline_kernelINS0_14default_configENS1_35radix_sort_onesweep_config_selectorIyyEEZZNS1_29radix_sort_onesweep_iterationIS3_Lb0EN6thrust23THRUST_200600_302600_NS6detail15normal_iteratorINS8_10device_ptrIyEEEESD_SD_SD_jNS0_19identity_decomposerENS1_16block_id_wrapperIjLb1EEEEE10hipError_tT1_PNSt15iterator_traitsISI_E10value_typeET2_T3_PNSJ_ISO_E10value_typeET4_T5_PST_SU_PNS1_23onesweep_lookback_stateEbbT6_jjT7_P12ihipStream_tbENKUlT_T0_SI_SN_E_clISD_PySD_S15_EEDaS11_S12_SI_SN_EUlS11_E_NS1_11comp_targetILNS1_3genE10ELNS1_11target_archE1201ELNS1_3gpuE5ELNS1_3repE0EEENS1_47radix_sort_onesweep_sort_config_static_selectorELNS0_4arch9wavefront6targetE1EEEvSI_.kd
    .uniform_work_group_size: 1
    .uses_dynamic_stack: false
    .vgpr_count:     0
    .vgpr_spill_count: 0
    .wavefront_size: 64
  - .agpr_count:     0
    .args:
      - .offset:         0
        .size:           88
        .value_kind:     by_value
    .group_segment_fixed_size: 0
    .kernarg_segment_align: 8
    .kernarg_segment_size: 88
    .language:       OpenCL C
    .language_version:
      - 2
      - 0
    .max_flat_workgroup_size: 1024
    .name:           _ZN7rocprim17ROCPRIM_400000_NS6detail17trampoline_kernelINS0_14default_configENS1_35radix_sort_onesweep_config_selectorIyyEEZZNS1_29radix_sort_onesweep_iterationIS3_Lb0EN6thrust23THRUST_200600_302600_NS6detail15normal_iteratorINS8_10device_ptrIyEEEESD_SD_SD_jNS0_19identity_decomposerENS1_16block_id_wrapperIjLb1EEEEE10hipError_tT1_PNSt15iterator_traitsISI_E10value_typeET2_T3_PNSJ_ISO_E10value_typeET4_T5_PST_SU_PNS1_23onesweep_lookback_stateEbbT6_jjT7_P12ihipStream_tbENKUlT_T0_SI_SN_E_clISD_PySD_S15_EEDaS11_S12_SI_SN_EUlS11_E_NS1_11comp_targetILNS1_3genE9ELNS1_11target_archE1100ELNS1_3gpuE3ELNS1_3repE0EEENS1_47radix_sort_onesweep_sort_config_static_selectorELNS0_4arch9wavefront6targetE1EEEvSI_
    .private_segment_fixed_size: 0
    .sgpr_count:     6
    .sgpr_spill_count: 0
    .symbol:         _ZN7rocprim17ROCPRIM_400000_NS6detail17trampoline_kernelINS0_14default_configENS1_35radix_sort_onesweep_config_selectorIyyEEZZNS1_29radix_sort_onesweep_iterationIS3_Lb0EN6thrust23THRUST_200600_302600_NS6detail15normal_iteratorINS8_10device_ptrIyEEEESD_SD_SD_jNS0_19identity_decomposerENS1_16block_id_wrapperIjLb1EEEEE10hipError_tT1_PNSt15iterator_traitsISI_E10value_typeET2_T3_PNSJ_ISO_E10value_typeET4_T5_PST_SU_PNS1_23onesweep_lookback_stateEbbT6_jjT7_P12ihipStream_tbENKUlT_T0_SI_SN_E_clISD_PySD_S15_EEDaS11_S12_SI_SN_EUlS11_E_NS1_11comp_targetILNS1_3genE9ELNS1_11target_archE1100ELNS1_3gpuE3ELNS1_3repE0EEENS1_47radix_sort_onesweep_sort_config_static_selectorELNS0_4arch9wavefront6targetE1EEEvSI_.kd
    .uniform_work_group_size: 1
    .uses_dynamic_stack: false
    .vgpr_count:     0
    .vgpr_spill_count: 0
    .wavefront_size: 64
  - .agpr_count:     0
    .args:
      - .offset:         0
        .size:           88
        .value_kind:     by_value
    .group_segment_fixed_size: 0
    .kernarg_segment_align: 8
    .kernarg_segment_size: 88
    .language:       OpenCL C
    .language_version:
      - 2
      - 0
    .max_flat_workgroup_size: 1024
    .name:           _ZN7rocprim17ROCPRIM_400000_NS6detail17trampoline_kernelINS0_14default_configENS1_35radix_sort_onesweep_config_selectorIyyEEZZNS1_29radix_sort_onesweep_iterationIS3_Lb0EN6thrust23THRUST_200600_302600_NS6detail15normal_iteratorINS8_10device_ptrIyEEEESD_SD_SD_jNS0_19identity_decomposerENS1_16block_id_wrapperIjLb1EEEEE10hipError_tT1_PNSt15iterator_traitsISI_E10value_typeET2_T3_PNSJ_ISO_E10value_typeET4_T5_PST_SU_PNS1_23onesweep_lookback_stateEbbT6_jjT7_P12ihipStream_tbENKUlT_T0_SI_SN_E_clISD_PySD_S15_EEDaS11_S12_SI_SN_EUlS11_E_NS1_11comp_targetILNS1_3genE8ELNS1_11target_archE1030ELNS1_3gpuE2ELNS1_3repE0EEENS1_47radix_sort_onesweep_sort_config_static_selectorELNS0_4arch9wavefront6targetE1EEEvSI_
    .private_segment_fixed_size: 0
    .sgpr_count:     6
    .sgpr_spill_count: 0
    .symbol:         _ZN7rocprim17ROCPRIM_400000_NS6detail17trampoline_kernelINS0_14default_configENS1_35radix_sort_onesweep_config_selectorIyyEEZZNS1_29radix_sort_onesweep_iterationIS3_Lb0EN6thrust23THRUST_200600_302600_NS6detail15normal_iteratorINS8_10device_ptrIyEEEESD_SD_SD_jNS0_19identity_decomposerENS1_16block_id_wrapperIjLb1EEEEE10hipError_tT1_PNSt15iterator_traitsISI_E10value_typeET2_T3_PNSJ_ISO_E10value_typeET4_T5_PST_SU_PNS1_23onesweep_lookback_stateEbbT6_jjT7_P12ihipStream_tbENKUlT_T0_SI_SN_E_clISD_PySD_S15_EEDaS11_S12_SI_SN_EUlS11_E_NS1_11comp_targetILNS1_3genE8ELNS1_11target_archE1030ELNS1_3gpuE2ELNS1_3repE0EEENS1_47radix_sort_onesweep_sort_config_static_selectorELNS0_4arch9wavefront6targetE1EEEvSI_.kd
    .uniform_work_group_size: 1
    .uses_dynamic_stack: false
    .vgpr_count:     0
    .vgpr_spill_count: 0
    .wavefront_size: 64
  - .agpr_count:     0
    .args:
      - .offset:         0
        .size:           88
        .value_kind:     by_value
    .group_segment_fixed_size: 0
    .kernarg_segment_align: 8
    .kernarg_segment_size: 88
    .language:       OpenCL C
    .language_version:
      - 2
      - 0
    .max_flat_workgroup_size: 512
    .name:           _ZN7rocprim17ROCPRIM_400000_NS6detail17trampoline_kernelINS0_14default_configENS1_35radix_sort_onesweep_config_selectorIyyEEZZNS1_29radix_sort_onesweep_iterationIS3_Lb0EN6thrust23THRUST_200600_302600_NS6detail15normal_iteratorINS8_10device_ptrIyEEEESD_SD_SD_jNS0_19identity_decomposerENS1_16block_id_wrapperIjLb1EEEEE10hipError_tT1_PNSt15iterator_traitsISI_E10value_typeET2_T3_PNSJ_ISO_E10value_typeET4_T5_PST_SU_PNS1_23onesweep_lookback_stateEbbT6_jjT7_P12ihipStream_tbENKUlT_T0_SI_SN_E_clIPySD_S15_SD_EEDaS11_S12_SI_SN_EUlS11_E_NS1_11comp_targetILNS1_3genE0ELNS1_11target_archE4294967295ELNS1_3gpuE0ELNS1_3repE0EEENS1_47radix_sort_onesweep_sort_config_static_selectorELNS0_4arch9wavefront6targetE1EEEvSI_
    .private_segment_fixed_size: 0
    .sgpr_count:     6
    .sgpr_spill_count: 0
    .symbol:         _ZN7rocprim17ROCPRIM_400000_NS6detail17trampoline_kernelINS0_14default_configENS1_35radix_sort_onesweep_config_selectorIyyEEZZNS1_29radix_sort_onesweep_iterationIS3_Lb0EN6thrust23THRUST_200600_302600_NS6detail15normal_iteratorINS8_10device_ptrIyEEEESD_SD_SD_jNS0_19identity_decomposerENS1_16block_id_wrapperIjLb1EEEEE10hipError_tT1_PNSt15iterator_traitsISI_E10value_typeET2_T3_PNSJ_ISO_E10value_typeET4_T5_PST_SU_PNS1_23onesweep_lookback_stateEbbT6_jjT7_P12ihipStream_tbENKUlT_T0_SI_SN_E_clIPySD_S15_SD_EEDaS11_S12_SI_SN_EUlS11_E_NS1_11comp_targetILNS1_3genE0ELNS1_11target_archE4294967295ELNS1_3gpuE0ELNS1_3repE0EEENS1_47radix_sort_onesweep_sort_config_static_selectorELNS0_4arch9wavefront6targetE1EEEvSI_.kd
    .uniform_work_group_size: 1
    .uses_dynamic_stack: false
    .vgpr_count:     0
    .vgpr_spill_count: 0
    .wavefront_size: 64
  - .agpr_count:     0
    .args:
      - .offset:         0
        .size:           88
        .value_kind:     by_value
      - .offset:         88
        .size:           4
        .value_kind:     hidden_block_count_x
      - .offset:         92
        .size:           4
        .value_kind:     hidden_block_count_y
      - .offset:         96
        .size:           4
        .value_kind:     hidden_block_count_z
      - .offset:         100
        .size:           2
        .value_kind:     hidden_group_size_x
      - .offset:         102
        .size:           2
        .value_kind:     hidden_group_size_y
      - .offset:         104
        .size:           2
        .value_kind:     hidden_group_size_z
      - .offset:         106
        .size:           2
        .value_kind:     hidden_remainder_x
      - .offset:         108
        .size:           2
        .value_kind:     hidden_remainder_y
      - .offset:         110
        .size:           2
        .value_kind:     hidden_remainder_z
      - .offset:         128
        .size:           8
        .value_kind:     hidden_global_offset_x
      - .offset:         136
        .size:           8
        .value_kind:     hidden_global_offset_y
      - .offset:         144
        .size:           8
        .value_kind:     hidden_global_offset_z
      - .offset:         152
        .size:           2
        .value_kind:     hidden_grid_dims
    .group_segment_fixed_size: 53328
    .kernarg_segment_align: 8
    .kernarg_segment_size: 344
    .language:       OpenCL C
    .language_version:
      - 2
      - 0
    .max_flat_workgroup_size: 1024
    .name:           _ZN7rocprim17ROCPRIM_400000_NS6detail17trampoline_kernelINS0_14default_configENS1_35radix_sort_onesweep_config_selectorIyyEEZZNS1_29radix_sort_onesweep_iterationIS3_Lb0EN6thrust23THRUST_200600_302600_NS6detail15normal_iteratorINS8_10device_ptrIyEEEESD_SD_SD_jNS0_19identity_decomposerENS1_16block_id_wrapperIjLb1EEEEE10hipError_tT1_PNSt15iterator_traitsISI_E10value_typeET2_T3_PNSJ_ISO_E10value_typeET4_T5_PST_SU_PNS1_23onesweep_lookback_stateEbbT6_jjT7_P12ihipStream_tbENKUlT_T0_SI_SN_E_clIPySD_S15_SD_EEDaS11_S12_SI_SN_EUlS11_E_NS1_11comp_targetILNS1_3genE6ELNS1_11target_archE950ELNS1_3gpuE13ELNS1_3repE0EEENS1_47radix_sort_onesweep_sort_config_static_selectorELNS0_4arch9wavefront6targetE1EEEvSI_
    .private_segment_fixed_size: 48
    .sgpr_count:     67
    .sgpr_spill_count: 0
    .symbol:         _ZN7rocprim17ROCPRIM_400000_NS6detail17trampoline_kernelINS0_14default_configENS1_35radix_sort_onesweep_config_selectorIyyEEZZNS1_29radix_sort_onesweep_iterationIS3_Lb0EN6thrust23THRUST_200600_302600_NS6detail15normal_iteratorINS8_10device_ptrIyEEEESD_SD_SD_jNS0_19identity_decomposerENS1_16block_id_wrapperIjLb1EEEEE10hipError_tT1_PNSt15iterator_traitsISI_E10value_typeET2_T3_PNSJ_ISO_E10value_typeET4_T5_PST_SU_PNS1_23onesweep_lookback_stateEbbT6_jjT7_P12ihipStream_tbENKUlT_T0_SI_SN_E_clIPySD_S15_SD_EEDaS11_S12_SI_SN_EUlS11_E_NS1_11comp_targetILNS1_3genE6ELNS1_11target_archE950ELNS1_3gpuE13ELNS1_3repE0EEENS1_47radix_sort_onesweep_sort_config_static_selectorELNS0_4arch9wavefront6targetE1EEEvSI_.kd
    .uniform_work_group_size: 1
    .uses_dynamic_stack: false
    .vgpr_count:     58
    .vgpr_spill_count: 0
    .wavefront_size: 64
  - .agpr_count:     0
    .args:
      - .offset:         0
        .size:           88
        .value_kind:     by_value
    .group_segment_fixed_size: 0
    .kernarg_segment_align: 8
    .kernarg_segment_size: 88
    .language:       OpenCL C
    .language_version:
      - 2
      - 0
    .max_flat_workgroup_size: 1024
    .name:           _ZN7rocprim17ROCPRIM_400000_NS6detail17trampoline_kernelINS0_14default_configENS1_35radix_sort_onesweep_config_selectorIyyEEZZNS1_29radix_sort_onesweep_iterationIS3_Lb0EN6thrust23THRUST_200600_302600_NS6detail15normal_iteratorINS8_10device_ptrIyEEEESD_SD_SD_jNS0_19identity_decomposerENS1_16block_id_wrapperIjLb1EEEEE10hipError_tT1_PNSt15iterator_traitsISI_E10value_typeET2_T3_PNSJ_ISO_E10value_typeET4_T5_PST_SU_PNS1_23onesweep_lookback_stateEbbT6_jjT7_P12ihipStream_tbENKUlT_T0_SI_SN_E_clIPySD_S15_SD_EEDaS11_S12_SI_SN_EUlS11_E_NS1_11comp_targetILNS1_3genE5ELNS1_11target_archE942ELNS1_3gpuE9ELNS1_3repE0EEENS1_47radix_sort_onesweep_sort_config_static_selectorELNS0_4arch9wavefront6targetE1EEEvSI_
    .private_segment_fixed_size: 0
    .sgpr_count:     6
    .sgpr_spill_count: 0
    .symbol:         _ZN7rocprim17ROCPRIM_400000_NS6detail17trampoline_kernelINS0_14default_configENS1_35radix_sort_onesweep_config_selectorIyyEEZZNS1_29radix_sort_onesweep_iterationIS3_Lb0EN6thrust23THRUST_200600_302600_NS6detail15normal_iteratorINS8_10device_ptrIyEEEESD_SD_SD_jNS0_19identity_decomposerENS1_16block_id_wrapperIjLb1EEEEE10hipError_tT1_PNSt15iterator_traitsISI_E10value_typeET2_T3_PNSJ_ISO_E10value_typeET4_T5_PST_SU_PNS1_23onesweep_lookback_stateEbbT6_jjT7_P12ihipStream_tbENKUlT_T0_SI_SN_E_clIPySD_S15_SD_EEDaS11_S12_SI_SN_EUlS11_E_NS1_11comp_targetILNS1_3genE5ELNS1_11target_archE942ELNS1_3gpuE9ELNS1_3repE0EEENS1_47radix_sort_onesweep_sort_config_static_selectorELNS0_4arch9wavefront6targetE1EEEvSI_.kd
    .uniform_work_group_size: 1
    .uses_dynamic_stack: false
    .vgpr_count:     0
    .vgpr_spill_count: 0
    .wavefront_size: 64
  - .agpr_count:     0
    .args:
      - .offset:         0
        .size:           88
        .value_kind:     by_value
    .group_segment_fixed_size: 0
    .kernarg_segment_align: 8
    .kernarg_segment_size: 88
    .language:       OpenCL C
    .language_version:
      - 2
      - 0
    .max_flat_workgroup_size: 512
    .name:           _ZN7rocprim17ROCPRIM_400000_NS6detail17trampoline_kernelINS0_14default_configENS1_35radix_sort_onesweep_config_selectorIyyEEZZNS1_29radix_sort_onesweep_iterationIS3_Lb0EN6thrust23THRUST_200600_302600_NS6detail15normal_iteratorINS8_10device_ptrIyEEEESD_SD_SD_jNS0_19identity_decomposerENS1_16block_id_wrapperIjLb1EEEEE10hipError_tT1_PNSt15iterator_traitsISI_E10value_typeET2_T3_PNSJ_ISO_E10value_typeET4_T5_PST_SU_PNS1_23onesweep_lookback_stateEbbT6_jjT7_P12ihipStream_tbENKUlT_T0_SI_SN_E_clIPySD_S15_SD_EEDaS11_S12_SI_SN_EUlS11_E_NS1_11comp_targetILNS1_3genE2ELNS1_11target_archE906ELNS1_3gpuE6ELNS1_3repE0EEENS1_47radix_sort_onesweep_sort_config_static_selectorELNS0_4arch9wavefront6targetE1EEEvSI_
    .private_segment_fixed_size: 0
    .sgpr_count:     6
    .sgpr_spill_count: 0
    .symbol:         _ZN7rocprim17ROCPRIM_400000_NS6detail17trampoline_kernelINS0_14default_configENS1_35radix_sort_onesweep_config_selectorIyyEEZZNS1_29radix_sort_onesweep_iterationIS3_Lb0EN6thrust23THRUST_200600_302600_NS6detail15normal_iteratorINS8_10device_ptrIyEEEESD_SD_SD_jNS0_19identity_decomposerENS1_16block_id_wrapperIjLb1EEEEE10hipError_tT1_PNSt15iterator_traitsISI_E10value_typeET2_T3_PNSJ_ISO_E10value_typeET4_T5_PST_SU_PNS1_23onesweep_lookback_stateEbbT6_jjT7_P12ihipStream_tbENKUlT_T0_SI_SN_E_clIPySD_S15_SD_EEDaS11_S12_SI_SN_EUlS11_E_NS1_11comp_targetILNS1_3genE2ELNS1_11target_archE906ELNS1_3gpuE6ELNS1_3repE0EEENS1_47radix_sort_onesweep_sort_config_static_selectorELNS0_4arch9wavefront6targetE1EEEvSI_.kd
    .uniform_work_group_size: 1
    .uses_dynamic_stack: false
    .vgpr_count:     0
    .vgpr_spill_count: 0
    .wavefront_size: 64
  - .agpr_count:     0
    .args:
      - .offset:         0
        .size:           88
        .value_kind:     by_value
    .group_segment_fixed_size: 0
    .kernarg_segment_align: 8
    .kernarg_segment_size: 88
    .language:       OpenCL C
    .language_version:
      - 2
      - 0
    .max_flat_workgroup_size: 1024
    .name:           _ZN7rocprim17ROCPRIM_400000_NS6detail17trampoline_kernelINS0_14default_configENS1_35radix_sort_onesweep_config_selectorIyyEEZZNS1_29radix_sort_onesweep_iterationIS3_Lb0EN6thrust23THRUST_200600_302600_NS6detail15normal_iteratorINS8_10device_ptrIyEEEESD_SD_SD_jNS0_19identity_decomposerENS1_16block_id_wrapperIjLb1EEEEE10hipError_tT1_PNSt15iterator_traitsISI_E10value_typeET2_T3_PNSJ_ISO_E10value_typeET4_T5_PST_SU_PNS1_23onesweep_lookback_stateEbbT6_jjT7_P12ihipStream_tbENKUlT_T0_SI_SN_E_clIPySD_S15_SD_EEDaS11_S12_SI_SN_EUlS11_E_NS1_11comp_targetILNS1_3genE4ELNS1_11target_archE910ELNS1_3gpuE8ELNS1_3repE0EEENS1_47radix_sort_onesweep_sort_config_static_selectorELNS0_4arch9wavefront6targetE1EEEvSI_
    .private_segment_fixed_size: 0
    .sgpr_count:     6
    .sgpr_spill_count: 0
    .symbol:         _ZN7rocprim17ROCPRIM_400000_NS6detail17trampoline_kernelINS0_14default_configENS1_35radix_sort_onesweep_config_selectorIyyEEZZNS1_29radix_sort_onesweep_iterationIS3_Lb0EN6thrust23THRUST_200600_302600_NS6detail15normal_iteratorINS8_10device_ptrIyEEEESD_SD_SD_jNS0_19identity_decomposerENS1_16block_id_wrapperIjLb1EEEEE10hipError_tT1_PNSt15iterator_traitsISI_E10value_typeET2_T3_PNSJ_ISO_E10value_typeET4_T5_PST_SU_PNS1_23onesweep_lookback_stateEbbT6_jjT7_P12ihipStream_tbENKUlT_T0_SI_SN_E_clIPySD_S15_SD_EEDaS11_S12_SI_SN_EUlS11_E_NS1_11comp_targetILNS1_3genE4ELNS1_11target_archE910ELNS1_3gpuE8ELNS1_3repE0EEENS1_47radix_sort_onesweep_sort_config_static_selectorELNS0_4arch9wavefront6targetE1EEEvSI_.kd
    .uniform_work_group_size: 1
    .uses_dynamic_stack: false
    .vgpr_count:     0
    .vgpr_spill_count: 0
    .wavefront_size: 64
  - .agpr_count:     0
    .args:
      - .offset:         0
        .size:           88
        .value_kind:     by_value
    .group_segment_fixed_size: 0
    .kernarg_segment_align: 8
    .kernarg_segment_size: 88
    .language:       OpenCL C
    .language_version:
      - 2
      - 0
    .max_flat_workgroup_size: 512
    .name:           _ZN7rocprim17ROCPRIM_400000_NS6detail17trampoline_kernelINS0_14default_configENS1_35radix_sort_onesweep_config_selectorIyyEEZZNS1_29radix_sort_onesweep_iterationIS3_Lb0EN6thrust23THRUST_200600_302600_NS6detail15normal_iteratorINS8_10device_ptrIyEEEESD_SD_SD_jNS0_19identity_decomposerENS1_16block_id_wrapperIjLb1EEEEE10hipError_tT1_PNSt15iterator_traitsISI_E10value_typeET2_T3_PNSJ_ISO_E10value_typeET4_T5_PST_SU_PNS1_23onesweep_lookback_stateEbbT6_jjT7_P12ihipStream_tbENKUlT_T0_SI_SN_E_clIPySD_S15_SD_EEDaS11_S12_SI_SN_EUlS11_E_NS1_11comp_targetILNS1_3genE3ELNS1_11target_archE908ELNS1_3gpuE7ELNS1_3repE0EEENS1_47radix_sort_onesweep_sort_config_static_selectorELNS0_4arch9wavefront6targetE1EEEvSI_
    .private_segment_fixed_size: 0
    .sgpr_count:     6
    .sgpr_spill_count: 0
    .symbol:         _ZN7rocprim17ROCPRIM_400000_NS6detail17trampoline_kernelINS0_14default_configENS1_35radix_sort_onesweep_config_selectorIyyEEZZNS1_29radix_sort_onesweep_iterationIS3_Lb0EN6thrust23THRUST_200600_302600_NS6detail15normal_iteratorINS8_10device_ptrIyEEEESD_SD_SD_jNS0_19identity_decomposerENS1_16block_id_wrapperIjLb1EEEEE10hipError_tT1_PNSt15iterator_traitsISI_E10value_typeET2_T3_PNSJ_ISO_E10value_typeET4_T5_PST_SU_PNS1_23onesweep_lookback_stateEbbT6_jjT7_P12ihipStream_tbENKUlT_T0_SI_SN_E_clIPySD_S15_SD_EEDaS11_S12_SI_SN_EUlS11_E_NS1_11comp_targetILNS1_3genE3ELNS1_11target_archE908ELNS1_3gpuE7ELNS1_3repE0EEENS1_47radix_sort_onesweep_sort_config_static_selectorELNS0_4arch9wavefront6targetE1EEEvSI_.kd
    .uniform_work_group_size: 1
    .uses_dynamic_stack: false
    .vgpr_count:     0
    .vgpr_spill_count: 0
    .wavefront_size: 64
  - .agpr_count:     0
    .args:
      - .offset:         0
        .size:           88
        .value_kind:     by_value
    .group_segment_fixed_size: 0
    .kernarg_segment_align: 8
    .kernarg_segment_size: 88
    .language:       OpenCL C
    .language_version:
      - 2
      - 0
    .max_flat_workgroup_size: 1024
    .name:           _ZN7rocprim17ROCPRIM_400000_NS6detail17trampoline_kernelINS0_14default_configENS1_35radix_sort_onesweep_config_selectorIyyEEZZNS1_29radix_sort_onesweep_iterationIS3_Lb0EN6thrust23THRUST_200600_302600_NS6detail15normal_iteratorINS8_10device_ptrIyEEEESD_SD_SD_jNS0_19identity_decomposerENS1_16block_id_wrapperIjLb1EEEEE10hipError_tT1_PNSt15iterator_traitsISI_E10value_typeET2_T3_PNSJ_ISO_E10value_typeET4_T5_PST_SU_PNS1_23onesweep_lookback_stateEbbT6_jjT7_P12ihipStream_tbENKUlT_T0_SI_SN_E_clIPySD_S15_SD_EEDaS11_S12_SI_SN_EUlS11_E_NS1_11comp_targetILNS1_3genE10ELNS1_11target_archE1201ELNS1_3gpuE5ELNS1_3repE0EEENS1_47radix_sort_onesweep_sort_config_static_selectorELNS0_4arch9wavefront6targetE1EEEvSI_
    .private_segment_fixed_size: 0
    .sgpr_count:     6
    .sgpr_spill_count: 0
    .symbol:         _ZN7rocprim17ROCPRIM_400000_NS6detail17trampoline_kernelINS0_14default_configENS1_35radix_sort_onesweep_config_selectorIyyEEZZNS1_29radix_sort_onesweep_iterationIS3_Lb0EN6thrust23THRUST_200600_302600_NS6detail15normal_iteratorINS8_10device_ptrIyEEEESD_SD_SD_jNS0_19identity_decomposerENS1_16block_id_wrapperIjLb1EEEEE10hipError_tT1_PNSt15iterator_traitsISI_E10value_typeET2_T3_PNSJ_ISO_E10value_typeET4_T5_PST_SU_PNS1_23onesweep_lookback_stateEbbT6_jjT7_P12ihipStream_tbENKUlT_T0_SI_SN_E_clIPySD_S15_SD_EEDaS11_S12_SI_SN_EUlS11_E_NS1_11comp_targetILNS1_3genE10ELNS1_11target_archE1201ELNS1_3gpuE5ELNS1_3repE0EEENS1_47radix_sort_onesweep_sort_config_static_selectorELNS0_4arch9wavefront6targetE1EEEvSI_.kd
    .uniform_work_group_size: 1
    .uses_dynamic_stack: false
    .vgpr_count:     0
    .vgpr_spill_count: 0
    .wavefront_size: 64
  - .agpr_count:     0
    .args:
      - .offset:         0
        .size:           88
        .value_kind:     by_value
    .group_segment_fixed_size: 0
    .kernarg_segment_align: 8
    .kernarg_segment_size: 88
    .language:       OpenCL C
    .language_version:
      - 2
      - 0
    .max_flat_workgroup_size: 1024
    .name:           _ZN7rocprim17ROCPRIM_400000_NS6detail17trampoline_kernelINS0_14default_configENS1_35radix_sort_onesweep_config_selectorIyyEEZZNS1_29radix_sort_onesweep_iterationIS3_Lb0EN6thrust23THRUST_200600_302600_NS6detail15normal_iteratorINS8_10device_ptrIyEEEESD_SD_SD_jNS0_19identity_decomposerENS1_16block_id_wrapperIjLb1EEEEE10hipError_tT1_PNSt15iterator_traitsISI_E10value_typeET2_T3_PNSJ_ISO_E10value_typeET4_T5_PST_SU_PNS1_23onesweep_lookback_stateEbbT6_jjT7_P12ihipStream_tbENKUlT_T0_SI_SN_E_clIPySD_S15_SD_EEDaS11_S12_SI_SN_EUlS11_E_NS1_11comp_targetILNS1_3genE9ELNS1_11target_archE1100ELNS1_3gpuE3ELNS1_3repE0EEENS1_47radix_sort_onesweep_sort_config_static_selectorELNS0_4arch9wavefront6targetE1EEEvSI_
    .private_segment_fixed_size: 0
    .sgpr_count:     6
    .sgpr_spill_count: 0
    .symbol:         _ZN7rocprim17ROCPRIM_400000_NS6detail17trampoline_kernelINS0_14default_configENS1_35radix_sort_onesweep_config_selectorIyyEEZZNS1_29radix_sort_onesweep_iterationIS3_Lb0EN6thrust23THRUST_200600_302600_NS6detail15normal_iteratorINS8_10device_ptrIyEEEESD_SD_SD_jNS0_19identity_decomposerENS1_16block_id_wrapperIjLb1EEEEE10hipError_tT1_PNSt15iterator_traitsISI_E10value_typeET2_T3_PNSJ_ISO_E10value_typeET4_T5_PST_SU_PNS1_23onesweep_lookback_stateEbbT6_jjT7_P12ihipStream_tbENKUlT_T0_SI_SN_E_clIPySD_S15_SD_EEDaS11_S12_SI_SN_EUlS11_E_NS1_11comp_targetILNS1_3genE9ELNS1_11target_archE1100ELNS1_3gpuE3ELNS1_3repE0EEENS1_47radix_sort_onesweep_sort_config_static_selectorELNS0_4arch9wavefront6targetE1EEEvSI_.kd
    .uniform_work_group_size: 1
    .uses_dynamic_stack: false
    .vgpr_count:     0
    .vgpr_spill_count: 0
    .wavefront_size: 64
  - .agpr_count:     0
    .args:
      - .offset:         0
        .size:           88
        .value_kind:     by_value
    .group_segment_fixed_size: 0
    .kernarg_segment_align: 8
    .kernarg_segment_size: 88
    .language:       OpenCL C
    .language_version:
      - 2
      - 0
    .max_flat_workgroup_size: 1024
    .name:           _ZN7rocprim17ROCPRIM_400000_NS6detail17trampoline_kernelINS0_14default_configENS1_35radix_sort_onesweep_config_selectorIyyEEZZNS1_29radix_sort_onesweep_iterationIS3_Lb0EN6thrust23THRUST_200600_302600_NS6detail15normal_iteratorINS8_10device_ptrIyEEEESD_SD_SD_jNS0_19identity_decomposerENS1_16block_id_wrapperIjLb1EEEEE10hipError_tT1_PNSt15iterator_traitsISI_E10value_typeET2_T3_PNSJ_ISO_E10value_typeET4_T5_PST_SU_PNS1_23onesweep_lookback_stateEbbT6_jjT7_P12ihipStream_tbENKUlT_T0_SI_SN_E_clIPySD_S15_SD_EEDaS11_S12_SI_SN_EUlS11_E_NS1_11comp_targetILNS1_3genE8ELNS1_11target_archE1030ELNS1_3gpuE2ELNS1_3repE0EEENS1_47radix_sort_onesweep_sort_config_static_selectorELNS0_4arch9wavefront6targetE1EEEvSI_
    .private_segment_fixed_size: 0
    .sgpr_count:     6
    .sgpr_spill_count: 0
    .symbol:         _ZN7rocprim17ROCPRIM_400000_NS6detail17trampoline_kernelINS0_14default_configENS1_35radix_sort_onesweep_config_selectorIyyEEZZNS1_29radix_sort_onesweep_iterationIS3_Lb0EN6thrust23THRUST_200600_302600_NS6detail15normal_iteratorINS8_10device_ptrIyEEEESD_SD_SD_jNS0_19identity_decomposerENS1_16block_id_wrapperIjLb1EEEEE10hipError_tT1_PNSt15iterator_traitsISI_E10value_typeET2_T3_PNSJ_ISO_E10value_typeET4_T5_PST_SU_PNS1_23onesweep_lookback_stateEbbT6_jjT7_P12ihipStream_tbENKUlT_T0_SI_SN_E_clIPySD_S15_SD_EEDaS11_S12_SI_SN_EUlS11_E_NS1_11comp_targetILNS1_3genE8ELNS1_11target_archE1030ELNS1_3gpuE2ELNS1_3repE0EEENS1_47radix_sort_onesweep_sort_config_static_selectorELNS0_4arch9wavefront6targetE1EEEvSI_.kd
    .uniform_work_group_size: 1
    .uses_dynamic_stack: false
    .vgpr_count:     0
    .vgpr_spill_count: 0
    .wavefront_size: 64
  - .agpr_count:     0
    .args:
      - .offset:         0
        .size:           88
        .value_kind:     by_value
    .group_segment_fixed_size: 0
    .kernarg_segment_align: 8
    .kernarg_segment_size: 88
    .language:       OpenCL C
    .language_version:
      - 2
      - 0
    .max_flat_workgroup_size: 512
    .name:           _ZN7rocprim17ROCPRIM_400000_NS6detail17trampoline_kernelINS0_14default_configENS1_35radix_sort_onesweep_config_selectorIyyEEZZNS1_29radix_sort_onesweep_iterationIS3_Lb0EN6thrust23THRUST_200600_302600_NS6detail15normal_iteratorINS8_10device_ptrIyEEEESD_SD_SD_jNS0_19identity_decomposerENS1_16block_id_wrapperIjLb0EEEEE10hipError_tT1_PNSt15iterator_traitsISI_E10value_typeET2_T3_PNSJ_ISO_E10value_typeET4_T5_PST_SU_PNS1_23onesweep_lookback_stateEbbT6_jjT7_P12ihipStream_tbENKUlT_T0_SI_SN_E_clISD_SD_SD_SD_EEDaS11_S12_SI_SN_EUlS11_E_NS1_11comp_targetILNS1_3genE0ELNS1_11target_archE4294967295ELNS1_3gpuE0ELNS1_3repE0EEENS1_47radix_sort_onesweep_sort_config_static_selectorELNS0_4arch9wavefront6targetE1EEEvSI_
    .private_segment_fixed_size: 0
    .sgpr_count:     6
    .sgpr_spill_count: 0
    .symbol:         _ZN7rocprim17ROCPRIM_400000_NS6detail17trampoline_kernelINS0_14default_configENS1_35radix_sort_onesweep_config_selectorIyyEEZZNS1_29radix_sort_onesweep_iterationIS3_Lb0EN6thrust23THRUST_200600_302600_NS6detail15normal_iteratorINS8_10device_ptrIyEEEESD_SD_SD_jNS0_19identity_decomposerENS1_16block_id_wrapperIjLb0EEEEE10hipError_tT1_PNSt15iterator_traitsISI_E10value_typeET2_T3_PNSJ_ISO_E10value_typeET4_T5_PST_SU_PNS1_23onesweep_lookback_stateEbbT6_jjT7_P12ihipStream_tbENKUlT_T0_SI_SN_E_clISD_SD_SD_SD_EEDaS11_S12_SI_SN_EUlS11_E_NS1_11comp_targetILNS1_3genE0ELNS1_11target_archE4294967295ELNS1_3gpuE0ELNS1_3repE0EEENS1_47radix_sort_onesweep_sort_config_static_selectorELNS0_4arch9wavefront6targetE1EEEvSI_.kd
    .uniform_work_group_size: 1
    .uses_dynamic_stack: false
    .vgpr_count:     0
    .vgpr_spill_count: 0
    .wavefront_size: 64
  - .agpr_count:     0
    .args:
      - .offset:         0
        .size:           88
        .value_kind:     by_value
      - .offset:         88
        .size:           4
        .value_kind:     hidden_block_count_x
      - .offset:         92
        .size:           4
        .value_kind:     hidden_block_count_y
      - .offset:         96
        .size:           4
        .value_kind:     hidden_block_count_z
      - .offset:         100
        .size:           2
        .value_kind:     hidden_group_size_x
      - .offset:         102
        .size:           2
        .value_kind:     hidden_group_size_y
      - .offset:         104
        .size:           2
        .value_kind:     hidden_group_size_z
      - .offset:         106
        .size:           2
        .value_kind:     hidden_remainder_x
      - .offset:         108
        .size:           2
        .value_kind:     hidden_remainder_y
      - .offset:         110
        .size:           2
        .value_kind:     hidden_remainder_z
      - .offset:         128
        .size:           8
        .value_kind:     hidden_global_offset_x
      - .offset:         136
        .size:           8
        .value_kind:     hidden_global_offset_y
      - .offset:         144
        .size:           8
        .value_kind:     hidden_global_offset_z
      - .offset:         152
        .size:           2
        .value_kind:     hidden_grid_dims
    .group_segment_fixed_size: 53328
    .kernarg_segment_align: 8
    .kernarg_segment_size: 344
    .language:       OpenCL C
    .language_version:
      - 2
      - 0
    .max_flat_workgroup_size: 1024
    .name:           _ZN7rocprim17ROCPRIM_400000_NS6detail17trampoline_kernelINS0_14default_configENS1_35radix_sort_onesweep_config_selectorIyyEEZZNS1_29radix_sort_onesweep_iterationIS3_Lb0EN6thrust23THRUST_200600_302600_NS6detail15normal_iteratorINS8_10device_ptrIyEEEESD_SD_SD_jNS0_19identity_decomposerENS1_16block_id_wrapperIjLb0EEEEE10hipError_tT1_PNSt15iterator_traitsISI_E10value_typeET2_T3_PNSJ_ISO_E10value_typeET4_T5_PST_SU_PNS1_23onesweep_lookback_stateEbbT6_jjT7_P12ihipStream_tbENKUlT_T0_SI_SN_E_clISD_SD_SD_SD_EEDaS11_S12_SI_SN_EUlS11_E_NS1_11comp_targetILNS1_3genE6ELNS1_11target_archE950ELNS1_3gpuE13ELNS1_3repE0EEENS1_47radix_sort_onesweep_sort_config_static_selectorELNS0_4arch9wavefront6targetE1EEEvSI_
    .private_segment_fixed_size: 48
    .sgpr_count:     64
    .sgpr_spill_count: 0
    .symbol:         _ZN7rocprim17ROCPRIM_400000_NS6detail17trampoline_kernelINS0_14default_configENS1_35radix_sort_onesweep_config_selectorIyyEEZZNS1_29radix_sort_onesweep_iterationIS3_Lb0EN6thrust23THRUST_200600_302600_NS6detail15normal_iteratorINS8_10device_ptrIyEEEESD_SD_SD_jNS0_19identity_decomposerENS1_16block_id_wrapperIjLb0EEEEE10hipError_tT1_PNSt15iterator_traitsISI_E10value_typeET2_T3_PNSJ_ISO_E10value_typeET4_T5_PST_SU_PNS1_23onesweep_lookback_stateEbbT6_jjT7_P12ihipStream_tbENKUlT_T0_SI_SN_E_clISD_SD_SD_SD_EEDaS11_S12_SI_SN_EUlS11_E_NS1_11comp_targetILNS1_3genE6ELNS1_11target_archE950ELNS1_3gpuE13ELNS1_3repE0EEENS1_47radix_sort_onesweep_sort_config_static_selectorELNS0_4arch9wavefront6targetE1EEEvSI_.kd
    .uniform_work_group_size: 1
    .uses_dynamic_stack: false
    .vgpr_count:     58
    .vgpr_spill_count: 0
    .wavefront_size: 64
  - .agpr_count:     0
    .args:
      - .offset:         0
        .size:           88
        .value_kind:     by_value
    .group_segment_fixed_size: 0
    .kernarg_segment_align: 8
    .kernarg_segment_size: 88
    .language:       OpenCL C
    .language_version:
      - 2
      - 0
    .max_flat_workgroup_size: 1024
    .name:           _ZN7rocprim17ROCPRIM_400000_NS6detail17trampoline_kernelINS0_14default_configENS1_35radix_sort_onesweep_config_selectorIyyEEZZNS1_29radix_sort_onesweep_iterationIS3_Lb0EN6thrust23THRUST_200600_302600_NS6detail15normal_iteratorINS8_10device_ptrIyEEEESD_SD_SD_jNS0_19identity_decomposerENS1_16block_id_wrapperIjLb0EEEEE10hipError_tT1_PNSt15iterator_traitsISI_E10value_typeET2_T3_PNSJ_ISO_E10value_typeET4_T5_PST_SU_PNS1_23onesweep_lookback_stateEbbT6_jjT7_P12ihipStream_tbENKUlT_T0_SI_SN_E_clISD_SD_SD_SD_EEDaS11_S12_SI_SN_EUlS11_E_NS1_11comp_targetILNS1_3genE5ELNS1_11target_archE942ELNS1_3gpuE9ELNS1_3repE0EEENS1_47radix_sort_onesweep_sort_config_static_selectorELNS0_4arch9wavefront6targetE1EEEvSI_
    .private_segment_fixed_size: 0
    .sgpr_count:     6
    .sgpr_spill_count: 0
    .symbol:         _ZN7rocprim17ROCPRIM_400000_NS6detail17trampoline_kernelINS0_14default_configENS1_35radix_sort_onesweep_config_selectorIyyEEZZNS1_29radix_sort_onesweep_iterationIS3_Lb0EN6thrust23THRUST_200600_302600_NS6detail15normal_iteratorINS8_10device_ptrIyEEEESD_SD_SD_jNS0_19identity_decomposerENS1_16block_id_wrapperIjLb0EEEEE10hipError_tT1_PNSt15iterator_traitsISI_E10value_typeET2_T3_PNSJ_ISO_E10value_typeET4_T5_PST_SU_PNS1_23onesweep_lookback_stateEbbT6_jjT7_P12ihipStream_tbENKUlT_T0_SI_SN_E_clISD_SD_SD_SD_EEDaS11_S12_SI_SN_EUlS11_E_NS1_11comp_targetILNS1_3genE5ELNS1_11target_archE942ELNS1_3gpuE9ELNS1_3repE0EEENS1_47radix_sort_onesweep_sort_config_static_selectorELNS0_4arch9wavefront6targetE1EEEvSI_.kd
    .uniform_work_group_size: 1
    .uses_dynamic_stack: false
    .vgpr_count:     0
    .vgpr_spill_count: 0
    .wavefront_size: 64
  - .agpr_count:     0
    .args:
      - .offset:         0
        .size:           88
        .value_kind:     by_value
    .group_segment_fixed_size: 0
    .kernarg_segment_align: 8
    .kernarg_segment_size: 88
    .language:       OpenCL C
    .language_version:
      - 2
      - 0
    .max_flat_workgroup_size: 512
    .name:           _ZN7rocprim17ROCPRIM_400000_NS6detail17trampoline_kernelINS0_14default_configENS1_35radix_sort_onesweep_config_selectorIyyEEZZNS1_29radix_sort_onesweep_iterationIS3_Lb0EN6thrust23THRUST_200600_302600_NS6detail15normal_iteratorINS8_10device_ptrIyEEEESD_SD_SD_jNS0_19identity_decomposerENS1_16block_id_wrapperIjLb0EEEEE10hipError_tT1_PNSt15iterator_traitsISI_E10value_typeET2_T3_PNSJ_ISO_E10value_typeET4_T5_PST_SU_PNS1_23onesweep_lookback_stateEbbT6_jjT7_P12ihipStream_tbENKUlT_T0_SI_SN_E_clISD_SD_SD_SD_EEDaS11_S12_SI_SN_EUlS11_E_NS1_11comp_targetILNS1_3genE2ELNS1_11target_archE906ELNS1_3gpuE6ELNS1_3repE0EEENS1_47radix_sort_onesweep_sort_config_static_selectorELNS0_4arch9wavefront6targetE1EEEvSI_
    .private_segment_fixed_size: 0
    .sgpr_count:     6
    .sgpr_spill_count: 0
    .symbol:         _ZN7rocprim17ROCPRIM_400000_NS6detail17trampoline_kernelINS0_14default_configENS1_35radix_sort_onesweep_config_selectorIyyEEZZNS1_29radix_sort_onesweep_iterationIS3_Lb0EN6thrust23THRUST_200600_302600_NS6detail15normal_iteratorINS8_10device_ptrIyEEEESD_SD_SD_jNS0_19identity_decomposerENS1_16block_id_wrapperIjLb0EEEEE10hipError_tT1_PNSt15iterator_traitsISI_E10value_typeET2_T3_PNSJ_ISO_E10value_typeET4_T5_PST_SU_PNS1_23onesweep_lookback_stateEbbT6_jjT7_P12ihipStream_tbENKUlT_T0_SI_SN_E_clISD_SD_SD_SD_EEDaS11_S12_SI_SN_EUlS11_E_NS1_11comp_targetILNS1_3genE2ELNS1_11target_archE906ELNS1_3gpuE6ELNS1_3repE0EEENS1_47radix_sort_onesweep_sort_config_static_selectorELNS0_4arch9wavefront6targetE1EEEvSI_.kd
    .uniform_work_group_size: 1
    .uses_dynamic_stack: false
    .vgpr_count:     0
    .vgpr_spill_count: 0
    .wavefront_size: 64
  - .agpr_count:     0
    .args:
      - .offset:         0
        .size:           88
        .value_kind:     by_value
    .group_segment_fixed_size: 0
    .kernarg_segment_align: 8
    .kernarg_segment_size: 88
    .language:       OpenCL C
    .language_version:
      - 2
      - 0
    .max_flat_workgroup_size: 1024
    .name:           _ZN7rocprim17ROCPRIM_400000_NS6detail17trampoline_kernelINS0_14default_configENS1_35radix_sort_onesweep_config_selectorIyyEEZZNS1_29radix_sort_onesweep_iterationIS3_Lb0EN6thrust23THRUST_200600_302600_NS6detail15normal_iteratorINS8_10device_ptrIyEEEESD_SD_SD_jNS0_19identity_decomposerENS1_16block_id_wrapperIjLb0EEEEE10hipError_tT1_PNSt15iterator_traitsISI_E10value_typeET2_T3_PNSJ_ISO_E10value_typeET4_T5_PST_SU_PNS1_23onesweep_lookback_stateEbbT6_jjT7_P12ihipStream_tbENKUlT_T0_SI_SN_E_clISD_SD_SD_SD_EEDaS11_S12_SI_SN_EUlS11_E_NS1_11comp_targetILNS1_3genE4ELNS1_11target_archE910ELNS1_3gpuE8ELNS1_3repE0EEENS1_47radix_sort_onesweep_sort_config_static_selectorELNS0_4arch9wavefront6targetE1EEEvSI_
    .private_segment_fixed_size: 0
    .sgpr_count:     6
    .sgpr_spill_count: 0
    .symbol:         _ZN7rocprim17ROCPRIM_400000_NS6detail17trampoline_kernelINS0_14default_configENS1_35radix_sort_onesweep_config_selectorIyyEEZZNS1_29radix_sort_onesweep_iterationIS3_Lb0EN6thrust23THRUST_200600_302600_NS6detail15normal_iteratorINS8_10device_ptrIyEEEESD_SD_SD_jNS0_19identity_decomposerENS1_16block_id_wrapperIjLb0EEEEE10hipError_tT1_PNSt15iterator_traitsISI_E10value_typeET2_T3_PNSJ_ISO_E10value_typeET4_T5_PST_SU_PNS1_23onesweep_lookback_stateEbbT6_jjT7_P12ihipStream_tbENKUlT_T0_SI_SN_E_clISD_SD_SD_SD_EEDaS11_S12_SI_SN_EUlS11_E_NS1_11comp_targetILNS1_3genE4ELNS1_11target_archE910ELNS1_3gpuE8ELNS1_3repE0EEENS1_47radix_sort_onesweep_sort_config_static_selectorELNS0_4arch9wavefront6targetE1EEEvSI_.kd
    .uniform_work_group_size: 1
    .uses_dynamic_stack: false
    .vgpr_count:     0
    .vgpr_spill_count: 0
    .wavefront_size: 64
  - .agpr_count:     0
    .args:
      - .offset:         0
        .size:           88
        .value_kind:     by_value
    .group_segment_fixed_size: 0
    .kernarg_segment_align: 8
    .kernarg_segment_size: 88
    .language:       OpenCL C
    .language_version:
      - 2
      - 0
    .max_flat_workgroup_size: 512
    .name:           _ZN7rocprim17ROCPRIM_400000_NS6detail17trampoline_kernelINS0_14default_configENS1_35radix_sort_onesweep_config_selectorIyyEEZZNS1_29radix_sort_onesweep_iterationIS3_Lb0EN6thrust23THRUST_200600_302600_NS6detail15normal_iteratorINS8_10device_ptrIyEEEESD_SD_SD_jNS0_19identity_decomposerENS1_16block_id_wrapperIjLb0EEEEE10hipError_tT1_PNSt15iterator_traitsISI_E10value_typeET2_T3_PNSJ_ISO_E10value_typeET4_T5_PST_SU_PNS1_23onesweep_lookback_stateEbbT6_jjT7_P12ihipStream_tbENKUlT_T0_SI_SN_E_clISD_SD_SD_SD_EEDaS11_S12_SI_SN_EUlS11_E_NS1_11comp_targetILNS1_3genE3ELNS1_11target_archE908ELNS1_3gpuE7ELNS1_3repE0EEENS1_47radix_sort_onesweep_sort_config_static_selectorELNS0_4arch9wavefront6targetE1EEEvSI_
    .private_segment_fixed_size: 0
    .sgpr_count:     6
    .sgpr_spill_count: 0
    .symbol:         _ZN7rocprim17ROCPRIM_400000_NS6detail17trampoline_kernelINS0_14default_configENS1_35radix_sort_onesweep_config_selectorIyyEEZZNS1_29radix_sort_onesweep_iterationIS3_Lb0EN6thrust23THRUST_200600_302600_NS6detail15normal_iteratorINS8_10device_ptrIyEEEESD_SD_SD_jNS0_19identity_decomposerENS1_16block_id_wrapperIjLb0EEEEE10hipError_tT1_PNSt15iterator_traitsISI_E10value_typeET2_T3_PNSJ_ISO_E10value_typeET4_T5_PST_SU_PNS1_23onesweep_lookback_stateEbbT6_jjT7_P12ihipStream_tbENKUlT_T0_SI_SN_E_clISD_SD_SD_SD_EEDaS11_S12_SI_SN_EUlS11_E_NS1_11comp_targetILNS1_3genE3ELNS1_11target_archE908ELNS1_3gpuE7ELNS1_3repE0EEENS1_47radix_sort_onesweep_sort_config_static_selectorELNS0_4arch9wavefront6targetE1EEEvSI_.kd
    .uniform_work_group_size: 1
    .uses_dynamic_stack: false
    .vgpr_count:     0
    .vgpr_spill_count: 0
    .wavefront_size: 64
  - .agpr_count:     0
    .args:
      - .offset:         0
        .size:           88
        .value_kind:     by_value
    .group_segment_fixed_size: 0
    .kernarg_segment_align: 8
    .kernarg_segment_size: 88
    .language:       OpenCL C
    .language_version:
      - 2
      - 0
    .max_flat_workgroup_size: 1024
    .name:           _ZN7rocprim17ROCPRIM_400000_NS6detail17trampoline_kernelINS0_14default_configENS1_35radix_sort_onesweep_config_selectorIyyEEZZNS1_29radix_sort_onesweep_iterationIS3_Lb0EN6thrust23THRUST_200600_302600_NS6detail15normal_iteratorINS8_10device_ptrIyEEEESD_SD_SD_jNS0_19identity_decomposerENS1_16block_id_wrapperIjLb0EEEEE10hipError_tT1_PNSt15iterator_traitsISI_E10value_typeET2_T3_PNSJ_ISO_E10value_typeET4_T5_PST_SU_PNS1_23onesweep_lookback_stateEbbT6_jjT7_P12ihipStream_tbENKUlT_T0_SI_SN_E_clISD_SD_SD_SD_EEDaS11_S12_SI_SN_EUlS11_E_NS1_11comp_targetILNS1_3genE10ELNS1_11target_archE1201ELNS1_3gpuE5ELNS1_3repE0EEENS1_47radix_sort_onesweep_sort_config_static_selectorELNS0_4arch9wavefront6targetE1EEEvSI_
    .private_segment_fixed_size: 0
    .sgpr_count:     6
    .sgpr_spill_count: 0
    .symbol:         _ZN7rocprim17ROCPRIM_400000_NS6detail17trampoline_kernelINS0_14default_configENS1_35radix_sort_onesweep_config_selectorIyyEEZZNS1_29radix_sort_onesweep_iterationIS3_Lb0EN6thrust23THRUST_200600_302600_NS6detail15normal_iteratorINS8_10device_ptrIyEEEESD_SD_SD_jNS0_19identity_decomposerENS1_16block_id_wrapperIjLb0EEEEE10hipError_tT1_PNSt15iterator_traitsISI_E10value_typeET2_T3_PNSJ_ISO_E10value_typeET4_T5_PST_SU_PNS1_23onesweep_lookback_stateEbbT6_jjT7_P12ihipStream_tbENKUlT_T0_SI_SN_E_clISD_SD_SD_SD_EEDaS11_S12_SI_SN_EUlS11_E_NS1_11comp_targetILNS1_3genE10ELNS1_11target_archE1201ELNS1_3gpuE5ELNS1_3repE0EEENS1_47radix_sort_onesweep_sort_config_static_selectorELNS0_4arch9wavefront6targetE1EEEvSI_.kd
    .uniform_work_group_size: 1
    .uses_dynamic_stack: false
    .vgpr_count:     0
    .vgpr_spill_count: 0
    .wavefront_size: 64
  - .agpr_count:     0
    .args:
      - .offset:         0
        .size:           88
        .value_kind:     by_value
    .group_segment_fixed_size: 0
    .kernarg_segment_align: 8
    .kernarg_segment_size: 88
    .language:       OpenCL C
    .language_version:
      - 2
      - 0
    .max_flat_workgroup_size: 1024
    .name:           _ZN7rocprim17ROCPRIM_400000_NS6detail17trampoline_kernelINS0_14default_configENS1_35radix_sort_onesweep_config_selectorIyyEEZZNS1_29radix_sort_onesweep_iterationIS3_Lb0EN6thrust23THRUST_200600_302600_NS6detail15normal_iteratorINS8_10device_ptrIyEEEESD_SD_SD_jNS0_19identity_decomposerENS1_16block_id_wrapperIjLb0EEEEE10hipError_tT1_PNSt15iterator_traitsISI_E10value_typeET2_T3_PNSJ_ISO_E10value_typeET4_T5_PST_SU_PNS1_23onesweep_lookback_stateEbbT6_jjT7_P12ihipStream_tbENKUlT_T0_SI_SN_E_clISD_SD_SD_SD_EEDaS11_S12_SI_SN_EUlS11_E_NS1_11comp_targetILNS1_3genE9ELNS1_11target_archE1100ELNS1_3gpuE3ELNS1_3repE0EEENS1_47radix_sort_onesweep_sort_config_static_selectorELNS0_4arch9wavefront6targetE1EEEvSI_
    .private_segment_fixed_size: 0
    .sgpr_count:     6
    .sgpr_spill_count: 0
    .symbol:         _ZN7rocprim17ROCPRIM_400000_NS6detail17trampoline_kernelINS0_14default_configENS1_35radix_sort_onesweep_config_selectorIyyEEZZNS1_29radix_sort_onesweep_iterationIS3_Lb0EN6thrust23THRUST_200600_302600_NS6detail15normal_iteratorINS8_10device_ptrIyEEEESD_SD_SD_jNS0_19identity_decomposerENS1_16block_id_wrapperIjLb0EEEEE10hipError_tT1_PNSt15iterator_traitsISI_E10value_typeET2_T3_PNSJ_ISO_E10value_typeET4_T5_PST_SU_PNS1_23onesweep_lookback_stateEbbT6_jjT7_P12ihipStream_tbENKUlT_T0_SI_SN_E_clISD_SD_SD_SD_EEDaS11_S12_SI_SN_EUlS11_E_NS1_11comp_targetILNS1_3genE9ELNS1_11target_archE1100ELNS1_3gpuE3ELNS1_3repE0EEENS1_47radix_sort_onesweep_sort_config_static_selectorELNS0_4arch9wavefront6targetE1EEEvSI_.kd
    .uniform_work_group_size: 1
    .uses_dynamic_stack: false
    .vgpr_count:     0
    .vgpr_spill_count: 0
    .wavefront_size: 64
  - .agpr_count:     0
    .args:
      - .offset:         0
        .size:           88
        .value_kind:     by_value
    .group_segment_fixed_size: 0
    .kernarg_segment_align: 8
    .kernarg_segment_size: 88
    .language:       OpenCL C
    .language_version:
      - 2
      - 0
    .max_flat_workgroup_size: 1024
    .name:           _ZN7rocprim17ROCPRIM_400000_NS6detail17trampoline_kernelINS0_14default_configENS1_35radix_sort_onesweep_config_selectorIyyEEZZNS1_29radix_sort_onesweep_iterationIS3_Lb0EN6thrust23THRUST_200600_302600_NS6detail15normal_iteratorINS8_10device_ptrIyEEEESD_SD_SD_jNS0_19identity_decomposerENS1_16block_id_wrapperIjLb0EEEEE10hipError_tT1_PNSt15iterator_traitsISI_E10value_typeET2_T3_PNSJ_ISO_E10value_typeET4_T5_PST_SU_PNS1_23onesweep_lookback_stateEbbT6_jjT7_P12ihipStream_tbENKUlT_T0_SI_SN_E_clISD_SD_SD_SD_EEDaS11_S12_SI_SN_EUlS11_E_NS1_11comp_targetILNS1_3genE8ELNS1_11target_archE1030ELNS1_3gpuE2ELNS1_3repE0EEENS1_47radix_sort_onesweep_sort_config_static_selectorELNS0_4arch9wavefront6targetE1EEEvSI_
    .private_segment_fixed_size: 0
    .sgpr_count:     6
    .sgpr_spill_count: 0
    .symbol:         _ZN7rocprim17ROCPRIM_400000_NS6detail17trampoline_kernelINS0_14default_configENS1_35radix_sort_onesweep_config_selectorIyyEEZZNS1_29radix_sort_onesweep_iterationIS3_Lb0EN6thrust23THRUST_200600_302600_NS6detail15normal_iteratorINS8_10device_ptrIyEEEESD_SD_SD_jNS0_19identity_decomposerENS1_16block_id_wrapperIjLb0EEEEE10hipError_tT1_PNSt15iterator_traitsISI_E10value_typeET2_T3_PNSJ_ISO_E10value_typeET4_T5_PST_SU_PNS1_23onesweep_lookback_stateEbbT6_jjT7_P12ihipStream_tbENKUlT_T0_SI_SN_E_clISD_SD_SD_SD_EEDaS11_S12_SI_SN_EUlS11_E_NS1_11comp_targetILNS1_3genE8ELNS1_11target_archE1030ELNS1_3gpuE2ELNS1_3repE0EEENS1_47radix_sort_onesweep_sort_config_static_selectorELNS0_4arch9wavefront6targetE1EEEvSI_.kd
    .uniform_work_group_size: 1
    .uses_dynamic_stack: false
    .vgpr_count:     0
    .vgpr_spill_count: 0
    .wavefront_size: 64
  - .agpr_count:     0
    .args:
      - .offset:         0
        .size:           88
        .value_kind:     by_value
    .group_segment_fixed_size: 0
    .kernarg_segment_align: 8
    .kernarg_segment_size: 88
    .language:       OpenCL C
    .language_version:
      - 2
      - 0
    .max_flat_workgroup_size: 512
    .name:           _ZN7rocprim17ROCPRIM_400000_NS6detail17trampoline_kernelINS0_14default_configENS1_35radix_sort_onesweep_config_selectorIyyEEZZNS1_29radix_sort_onesweep_iterationIS3_Lb0EN6thrust23THRUST_200600_302600_NS6detail15normal_iteratorINS8_10device_ptrIyEEEESD_SD_SD_jNS0_19identity_decomposerENS1_16block_id_wrapperIjLb0EEEEE10hipError_tT1_PNSt15iterator_traitsISI_E10value_typeET2_T3_PNSJ_ISO_E10value_typeET4_T5_PST_SU_PNS1_23onesweep_lookback_stateEbbT6_jjT7_P12ihipStream_tbENKUlT_T0_SI_SN_E_clISD_PySD_S15_EEDaS11_S12_SI_SN_EUlS11_E_NS1_11comp_targetILNS1_3genE0ELNS1_11target_archE4294967295ELNS1_3gpuE0ELNS1_3repE0EEENS1_47radix_sort_onesweep_sort_config_static_selectorELNS0_4arch9wavefront6targetE1EEEvSI_
    .private_segment_fixed_size: 0
    .sgpr_count:     6
    .sgpr_spill_count: 0
    .symbol:         _ZN7rocprim17ROCPRIM_400000_NS6detail17trampoline_kernelINS0_14default_configENS1_35radix_sort_onesweep_config_selectorIyyEEZZNS1_29radix_sort_onesweep_iterationIS3_Lb0EN6thrust23THRUST_200600_302600_NS6detail15normal_iteratorINS8_10device_ptrIyEEEESD_SD_SD_jNS0_19identity_decomposerENS1_16block_id_wrapperIjLb0EEEEE10hipError_tT1_PNSt15iterator_traitsISI_E10value_typeET2_T3_PNSJ_ISO_E10value_typeET4_T5_PST_SU_PNS1_23onesweep_lookback_stateEbbT6_jjT7_P12ihipStream_tbENKUlT_T0_SI_SN_E_clISD_PySD_S15_EEDaS11_S12_SI_SN_EUlS11_E_NS1_11comp_targetILNS1_3genE0ELNS1_11target_archE4294967295ELNS1_3gpuE0ELNS1_3repE0EEENS1_47radix_sort_onesweep_sort_config_static_selectorELNS0_4arch9wavefront6targetE1EEEvSI_.kd
    .uniform_work_group_size: 1
    .uses_dynamic_stack: false
    .vgpr_count:     0
    .vgpr_spill_count: 0
    .wavefront_size: 64
  - .agpr_count:     0
    .args:
      - .offset:         0
        .size:           88
        .value_kind:     by_value
      - .offset:         88
        .size:           4
        .value_kind:     hidden_block_count_x
      - .offset:         92
        .size:           4
        .value_kind:     hidden_block_count_y
      - .offset:         96
        .size:           4
        .value_kind:     hidden_block_count_z
      - .offset:         100
        .size:           2
        .value_kind:     hidden_group_size_x
      - .offset:         102
        .size:           2
        .value_kind:     hidden_group_size_y
      - .offset:         104
        .size:           2
        .value_kind:     hidden_group_size_z
      - .offset:         106
        .size:           2
        .value_kind:     hidden_remainder_x
      - .offset:         108
        .size:           2
        .value_kind:     hidden_remainder_y
      - .offset:         110
        .size:           2
        .value_kind:     hidden_remainder_z
      - .offset:         128
        .size:           8
        .value_kind:     hidden_global_offset_x
      - .offset:         136
        .size:           8
        .value_kind:     hidden_global_offset_y
      - .offset:         144
        .size:           8
        .value_kind:     hidden_global_offset_z
      - .offset:         152
        .size:           2
        .value_kind:     hidden_grid_dims
    .group_segment_fixed_size: 53328
    .kernarg_segment_align: 8
    .kernarg_segment_size: 344
    .language:       OpenCL C
    .language_version:
      - 2
      - 0
    .max_flat_workgroup_size: 1024
    .name:           _ZN7rocprim17ROCPRIM_400000_NS6detail17trampoline_kernelINS0_14default_configENS1_35radix_sort_onesweep_config_selectorIyyEEZZNS1_29radix_sort_onesweep_iterationIS3_Lb0EN6thrust23THRUST_200600_302600_NS6detail15normal_iteratorINS8_10device_ptrIyEEEESD_SD_SD_jNS0_19identity_decomposerENS1_16block_id_wrapperIjLb0EEEEE10hipError_tT1_PNSt15iterator_traitsISI_E10value_typeET2_T3_PNSJ_ISO_E10value_typeET4_T5_PST_SU_PNS1_23onesweep_lookback_stateEbbT6_jjT7_P12ihipStream_tbENKUlT_T0_SI_SN_E_clISD_PySD_S15_EEDaS11_S12_SI_SN_EUlS11_E_NS1_11comp_targetILNS1_3genE6ELNS1_11target_archE950ELNS1_3gpuE13ELNS1_3repE0EEENS1_47radix_sort_onesweep_sort_config_static_selectorELNS0_4arch9wavefront6targetE1EEEvSI_
    .private_segment_fixed_size: 48
    .sgpr_count:     64
    .sgpr_spill_count: 0
    .symbol:         _ZN7rocprim17ROCPRIM_400000_NS6detail17trampoline_kernelINS0_14default_configENS1_35radix_sort_onesweep_config_selectorIyyEEZZNS1_29radix_sort_onesweep_iterationIS3_Lb0EN6thrust23THRUST_200600_302600_NS6detail15normal_iteratorINS8_10device_ptrIyEEEESD_SD_SD_jNS0_19identity_decomposerENS1_16block_id_wrapperIjLb0EEEEE10hipError_tT1_PNSt15iterator_traitsISI_E10value_typeET2_T3_PNSJ_ISO_E10value_typeET4_T5_PST_SU_PNS1_23onesweep_lookback_stateEbbT6_jjT7_P12ihipStream_tbENKUlT_T0_SI_SN_E_clISD_PySD_S15_EEDaS11_S12_SI_SN_EUlS11_E_NS1_11comp_targetILNS1_3genE6ELNS1_11target_archE950ELNS1_3gpuE13ELNS1_3repE0EEENS1_47radix_sort_onesweep_sort_config_static_selectorELNS0_4arch9wavefront6targetE1EEEvSI_.kd
    .uniform_work_group_size: 1
    .uses_dynamic_stack: false
    .vgpr_count:     58
    .vgpr_spill_count: 0
    .wavefront_size: 64
  - .agpr_count:     0
    .args:
      - .offset:         0
        .size:           88
        .value_kind:     by_value
    .group_segment_fixed_size: 0
    .kernarg_segment_align: 8
    .kernarg_segment_size: 88
    .language:       OpenCL C
    .language_version:
      - 2
      - 0
    .max_flat_workgroup_size: 1024
    .name:           _ZN7rocprim17ROCPRIM_400000_NS6detail17trampoline_kernelINS0_14default_configENS1_35radix_sort_onesweep_config_selectorIyyEEZZNS1_29radix_sort_onesweep_iterationIS3_Lb0EN6thrust23THRUST_200600_302600_NS6detail15normal_iteratorINS8_10device_ptrIyEEEESD_SD_SD_jNS0_19identity_decomposerENS1_16block_id_wrapperIjLb0EEEEE10hipError_tT1_PNSt15iterator_traitsISI_E10value_typeET2_T3_PNSJ_ISO_E10value_typeET4_T5_PST_SU_PNS1_23onesweep_lookback_stateEbbT6_jjT7_P12ihipStream_tbENKUlT_T0_SI_SN_E_clISD_PySD_S15_EEDaS11_S12_SI_SN_EUlS11_E_NS1_11comp_targetILNS1_3genE5ELNS1_11target_archE942ELNS1_3gpuE9ELNS1_3repE0EEENS1_47radix_sort_onesweep_sort_config_static_selectorELNS0_4arch9wavefront6targetE1EEEvSI_
    .private_segment_fixed_size: 0
    .sgpr_count:     6
    .sgpr_spill_count: 0
    .symbol:         _ZN7rocprim17ROCPRIM_400000_NS6detail17trampoline_kernelINS0_14default_configENS1_35radix_sort_onesweep_config_selectorIyyEEZZNS1_29radix_sort_onesweep_iterationIS3_Lb0EN6thrust23THRUST_200600_302600_NS6detail15normal_iteratorINS8_10device_ptrIyEEEESD_SD_SD_jNS0_19identity_decomposerENS1_16block_id_wrapperIjLb0EEEEE10hipError_tT1_PNSt15iterator_traitsISI_E10value_typeET2_T3_PNSJ_ISO_E10value_typeET4_T5_PST_SU_PNS1_23onesweep_lookback_stateEbbT6_jjT7_P12ihipStream_tbENKUlT_T0_SI_SN_E_clISD_PySD_S15_EEDaS11_S12_SI_SN_EUlS11_E_NS1_11comp_targetILNS1_3genE5ELNS1_11target_archE942ELNS1_3gpuE9ELNS1_3repE0EEENS1_47radix_sort_onesweep_sort_config_static_selectorELNS0_4arch9wavefront6targetE1EEEvSI_.kd
    .uniform_work_group_size: 1
    .uses_dynamic_stack: false
    .vgpr_count:     0
    .vgpr_spill_count: 0
    .wavefront_size: 64
  - .agpr_count:     0
    .args:
      - .offset:         0
        .size:           88
        .value_kind:     by_value
    .group_segment_fixed_size: 0
    .kernarg_segment_align: 8
    .kernarg_segment_size: 88
    .language:       OpenCL C
    .language_version:
      - 2
      - 0
    .max_flat_workgroup_size: 512
    .name:           _ZN7rocprim17ROCPRIM_400000_NS6detail17trampoline_kernelINS0_14default_configENS1_35radix_sort_onesweep_config_selectorIyyEEZZNS1_29radix_sort_onesweep_iterationIS3_Lb0EN6thrust23THRUST_200600_302600_NS6detail15normal_iteratorINS8_10device_ptrIyEEEESD_SD_SD_jNS0_19identity_decomposerENS1_16block_id_wrapperIjLb0EEEEE10hipError_tT1_PNSt15iterator_traitsISI_E10value_typeET2_T3_PNSJ_ISO_E10value_typeET4_T5_PST_SU_PNS1_23onesweep_lookback_stateEbbT6_jjT7_P12ihipStream_tbENKUlT_T0_SI_SN_E_clISD_PySD_S15_EEDaS11_S12_SI_SN_EUlS11_E_NS1_11comp_targetILNS1_3genE2ELNS1_11target_archE906ELNS1_3gpuE6ELNS1_3repE0EEENS1_47radix_sort_onesweep_sort_config_static_selectorELNS0_4arch9wavefront6targetE1EEEvSI_
    .private_segment_fixed_size: 0
    .sgpr_count:     6
    .sgpr_spill_count: 0
    .symbol:         _ZN7rocprim17ROCPRIM_400000_NS6detail17trampoline_kernelINS0_14default_configENS1_35radix_sort_onesweep_config_selectorIyyEEZZNS1_29radix_sort_onesweep_iterationIS3_Lb0EN6thrust23THRUST_200600_302600_NS6detail15normal_iteratorINS8_10device_ptrIyEEEESD_SD_SD_jNS0_19identity_decomposerENS1_16block_id_wrapperIjLb0EEEEE10hipError_tT1_PNSt15iterator_traitsISI_E10value_typeET2_T3_PNSJ_ISO_E10value_typeET4_T5_PST_SU_PNS1_23onesweep_lookback_stateEbbT6_jjT7_P12ihipStream_tbENKUlT_T0_SI_SN_E_clISD_PySD_S15_EEDaS11_S12_SI_SN_EUlS11_E_NS1_11comp_targetILNS1_3genE2ELNS1_11target_archE906ELNS1_3gpuE6ELNS1_3repE0EEENS1_47radix_sort_onesweep_sort_config_static_selectorELNS0_4arch9wavefront6targetE1EEEvSI_.kd
    .uniform_work_group_size: 1
    .uses_dynamic_stack: false
    .vgpr_count:     0
    .vgpr_spill_count: 0
    .wavefront_size: 64
  - .agpr_count:     0
    .args:
      - .offset:         0
        .size:           88
        .value_kind:     by_value
    .group_segment_fixed_size: 0
    .kernarg_segment_align: 8
    .kernarg_segment_size: 88
    .language:       OpenCL C
    .language_version:
      - 2
      - 0
    .max_flat_workgroup_size: 1024
    .name:           _ZN7rocprim17ROCPRIM_400000_NS6detail17trampoline_kernelINS0_14default_configENS1_35radix_sort_onesweep_config_selectorIyyEEZZNS1_29radix_sort_onesweep_iterationIS3_Lb0EN6thrust23THRUST_200600_302600_NS6detail15normal_iteratorINS8_10device_ptrIyEEEESD_SD_SD_jNS0_19identity_decomposerENS1_16block_id_wrapperIjLb0EEEEE10hipError_tT1_PNSt15iterator_traitsISI_E10value_typeET2_T3_PNSJ_ISO_E10value_typeET4_T5_PST_SU_PNS1_23onesweep_lookback_stateEbbT6_jjT7_P12ihipStream_tbENKUlT_T0_SI_SN_E_clISD_PySD_S15_EEDaS11_S12_SI_SN_EUlS11_E_NS1_11comp_targetILNS1_3genE4ELNS1_11target_archE910ELNS1_3gpuE8ELNS1_3repE0EEENS1_47radix_sort_onesweep_sort_config_static_selectorELNS0_4arch9wavefront6targetE1EEEvSI_
    .private_segment_fixed_size: 0
    .sgpr_count:     6
    .sgpr_spill_count: 0
    .symbol:         _ZN7rocprim17ROCPRIM_400000_NS6detail17trampoline_kernelINS0_14default_configENS1_35radix_sort_onesweep_config_selectorIyyEEZZNS1_29radix_sort_onesweep_iterationIS3_Lb0EN6thrust23THRUST_200600_302600_NS6detail15normal_iteratorINS8_10device_ptrIyEEEESD_SD_SD_jNS0_19identity_decomposerENS1_16block_id_wrapperIjLb0EEEEE10hipError_tT1_PNSt15iterator_traitsISI_E10value_typeET2_T3_PNSJ_ISO_E10value_typeET4_T5_PST_SU_PNS1_23onesweep_lookback_stateEbbT6_jjT7_P12ihipStream_tbENKUlT_T0_SI_SN_E_clISD_PySD_S15_EEDaS11_S12_SI_SN_EUlS11_E_NS1_11comp_targetILNS1_3genE4ELNS1_11target_archE910ELNS1_3gpuE8ELNS1_3repE0EEENS1_47radix_sort_onesweep_sort_config_static_selectorELNS0_4arch9wavefront6targetE1EEEvSI_.kd
    .uniform_work_group_size: 1
    .uses_dynamic_stack: false
    .vgpr_count:     0
    .vgpr_spill_count: 0
    .wavefront_size: 64
  - .agpr_count:     0
    .args:
      - .offset:         0
        .size:           88
        .value_kind:     by_value
    .group_segment_fixed_size: 0
    .kernarg_segment_align: 8
    .kernarg_segment_size: 88
    .language:       OpenCL C
    .language_version:
      - 2
      - 0
    .max_flat_workgroup_size: 512
    .name:           _ZN7rocprim17ROCPRIM_400000_NS6detail17trampoline_kernelINS0_14default_configENS1_35radix_sort_onesweep_config_selectorIyyEEZZNS1_29radix_sort_onesweep_iterationIS3_Lb0EN6thrust23THRUST_200600_302600_NS6detail15normal_iteratorINS8_10device_ptrIyEEEESD_SD_SD_jNS0_19identity_decomposerENS1_16block_id_wrapperIjLb0EEEEE10hipError_tT1_PNSt15iterator_traitsISI_E10value_typeET2_T3_PNSJ_ISO_E10value_typeET4_T5_PST_SU_PNS1_23onesweep_lookback_stateEbbT6_jjT7_P12ihipStream_tbENKUlT_T0_SI_SN_E_clISD_PySD_S15_EEDaS11_S12_SI_SN_EUlS11_E_NS1_11comp_targetILNS1_3genE3ELNS1_11target_archE908ELNS1_3gpuE7ELNS1_3repE0EEENS1_47radix_sort_onesweep_sort_config_static_selectorELNS0_4arch9wavefront6targetE1EEEvSI_
    .private_segment_fixed_size: 0
    .sgpr_count:     6
    .sgpr_spill_count: 0
    .symbol:         _ZN7rocprim17ROCPRIM_400000_NS6detail17trampoline_kernelINS0_14default_configENS1_35radix_sort_onesweep_config_selectorIyyEEZZNS1_29radix_sort_onesweep_iterationIS3_Lb0EN6thrust23THRUST_200600_302600_NS6detail15normal_iteratorINS8_10device_ptrIyEEEESD_SD_SD_jNS0_19identity_decomposerENS1_16block_id_wrapperIjLb0EEEEE10hipError_tT1_PNSt15iterator_traitsISI_E10value_typeET2_T3_PNSJ_ISO_E10value_typeET4_T5_PST_SU_PNS1_23onesweep_lookback_stateEbbT6_jjT7_P12ihipStream_tbENKUlT_T0_SI_SN_E_clISD_PySD_S15_EEDaS11_S12_SI_SN_EUlS11_E_NS1_11comp_targetILNS1_3genE3ELNS1_11target_archE908ELNS1_3gpuE7ELNS1_3repE0EEENS1_47radix_sort_onesweep_sort_config_static_selectorELNS0_4arch9wavefront6targetE1EEEvSI_.kd
    .uniform_work_group_size: 1
    .uses_dynamic_stack: false
    .vgpr_count:     0
    .vgpr_spill_count: 0
    .wavefront_size: 64
  - .agpr_count:     0
    .args:
      - .offset:         0
        .size:           88
        .value_kind:     by_value
    .group_segment_fixed_size: 0
    .kernarg_segment_align: 8
    .kernarg_segment_size: 88
    .language:       OpenCL C
    .language_version:
      - 2
      - 0
    .max_flat_workgroup_size: 1024
    .name:           _ZN7rocprim17ROCPRIM_400000_NS6detail17trampoline_kernelINS0_14default_configENS1_35radix_sort_onesweep_config_selectorIyyEEZZNS1_29radix_sort_onesweep_iterationIS3_Lb0EN6thrust23THRUST_200600_302600_NS6detail15normal_iteratorINS8_10device_ptrIyEEEESD_SD_SD_jNS0_19identity_decomposerENS1_16block_id_wrapperIjLb0EEEEE10hipError_tT1_PNSt15iterator_traitsISI_E10value_typeET2_T3_PNSJ_ISO_E10value_typeET4_T5_PST_SU_PNS1_23onesweep_lookback_stateEbbT6_jjT7_P12ihipStream_tbENKUlT_T0_SI_SN_E_clISD_PySD_S15_EEDaS11_S12_SI_SN_EUlS11_E_NS1_11comp_targetILNS1_3genE10ELNS1_11target_archE1201ELNS1_3gpuE5ELNS1_3repE0EEENS1_47radix_sort_onesweep_sort_config_static_selectorELNS0_4arch9wavefront6targetE1EEEvSI_
    .private_segment_fixed_size: 0
    .sgpr_count:     6
    .sgpr_spill_count: 0
    .symbol:         _ZN7rocprim17ROCPRIM_400000_NS6detail17trampoline_kernelINS0_14default_configENS1_35radix_sort_onesweep_config_selectorIyyEEZZNS1_29radix_sort_onesweep_iterationIS3_Lb0EN6thrust23THRUST_200600_302600_NS6detail15normal_iteratorINS8_10device_ptrIyEEEESD_SD_SD_jNS0_19identity_decomposerENS1_16block_id_wrapperIjLb0EEEEE10hipError_tT1_PNSt15iterator_traitsISI_E10value_typeET2_T3_PNSJ_ISO_E10value_typeET4_T5_PST_SU_PNS1_23onesweep_lookback_stateEbbT6_jjT7_P12ihipStream_tbENKUlT_T0_SI_SN_E_clISD_PySD_S15_EEDaS11_S12_SI_SN_EUlS11_E_NS1_11comp_targetILNS1_3genE10ELNS1_11target_archE1201ELNS1_3gpuE5ELNS1_3repE0EEENS1_47radix_sort_onesweep_sort_config_static_selectorELNS0_4arch9wavefront6targetE1EEEvSI_.kd
    .uniform_work_group_size: 1
    .uses_dynamic_stack: false
    .vgpr_count:     0
    .vgpr_spill_count: 0
    .wavefront_size: 64
  - .agpr_count:     0
    .args:
      - .offset:         0
        .size:           88
        .value_kind:     by_value
    .group_segment_fixed_size: 0
    .kernarg_segment_align: 8
    .kernarg_segment_size: 88
    .language:       OpenCL C
    .language_version:
      - 2
      - 0
    .max_flat_workgroup_size: 1024
    .name:           _ZN7rocprim17ROCPRIM_400000_NS6detail17trampoline_kernelINS0_14default_configENS1_35radix_sort_onesweep_config_selectorIyyEEZZNS1_29radix_sort_onesweep_iterationIS3_Lb0EN6thrust23THRUST_200600_302600_NS6detail15normal_iteratorINS8_10device_ptrIyEEEESD_SD_SD_jNS0_19identity_decomposerENS1_16block_id_wrapperIjLb0EEEEE10hipError_tT1_PNSt15iterator_traitsISI_E10value_typeET2_T3_PNSJ_ISO_E10value_typeET4_T5_PST_SU_PNS1_23onesweep_lookback_stateEbbT6_jjT7_P12ihipStream_tbENKUlT_T0_SI_SN_E_clISD_PySD_S15_EEDaS11_S12_SI_SN_EUlS11_E_NS1_11comp_targetILNS1_3genE9ELNS1_11target_archE1100ELNS1_3gpuE3ELNS1_3repE0EEENS1_47radix_sort_onesweep_sort_config_static_selectorELNS0_4arch9wavefront6targetE1EEEvSI_
    .private_segment_fixed_size: 0
    .sgpr_count:     6
    .sgpr_spill_count: 0
    .symbol:         _ZN7rocprim17ROCPRIM_400000_NS6detail17trampoline_kernelINS0_14default_configENS1_35radix_sort_onesweep_config_selectorIyyEEZZNS1_29radix_sort_onesweep_iterationIS3_Lb0EN6thrust23THRUST_200600_302600_NS6detail15normal_iteratorINS8_10device_ptrIyEEEESD_SD_SD_jNS0_19identity_decomposerENS1_16block_id_wrapperIjLb0EEEEE10hipError_tT1_PNSt15iterator_traitsISI_E10value_typeET2_T3_PNSJ_ISO_E10value_typeET4_T5_PST_SU_PNS1_23onesweep_lookback_stateEbbT6_jjT7_P12ihipStream_tbENKUlT_T0_SI_SN_E_clISD_PySD_S15_EEDaS11_S12_SI_SN_EUlS11_E_NS1_11comp_targetILNS1_3genE9ELNS1_11target_archE1100ELNS1_3gpuE3ELNS1_3repE0EEENS1_47radix_sort_onesweep_sort_config_static_selectorELNS0_4arch9wavefront6targetE1EEEvSI_.kd
    .uniform_work_group_size: 1
    .uses_dynamic_stack: false
    .vgpr_count:     0
    .vgpr_spill_count: 0
    .wavefront_size: 64
  - .agpr_count:     0
    .args:
      - .offset:         0
        .size:           88
        .value_kind:     by_value
    .group_segment_fixed_size: 0
    .kernarg_segment_align: 8
    .kernarg_segment_size: 88
    .language:       OpenCL C
    .language_version:
      - 2
      - 0
    .max_flat_workgroup_size: 1024
    .name:           _ZN7rocprim17ROCPRIM_400000_NS6detail17trampoline_kernelINS0_14default_configENS1_35radix_sort_onesweep_config_selectorIyyEEZZNS1_29radix_sort_onesweep_iterationIS3_Lb0EN6thrust23THRUST_200600_302600_NS6detail15normal_iteratorINS8_10device_ptrIyEEEESD_SD_SD_jNS0_19identity_decomposerENS1_16block_id_wrapperIjLb0EEEEE10hipError_tT1_PNSt15iterator_traitsISI_E10value_typeET2_T3_PNSJ_ISO_E10value_typeET4_T5_PST_SU_PNS1_23onesweep_lookback_stateEbbT6_jjT7_P12ihipStream_tbENKUlT_T0_SI_SN_E_clISD_PySD_S15_EEDaS11_S12_SI_SN_EUlS11_E_NS1_11comp_targetILNS1_3genE8ELNS1_11target_archE1030ELNS1_3gpuE2ELNS1_3repE0EEENS1_47radix_sort_onesweep_sort_config_static_selectorELNS0_4arch9wavefront6targetE1EEEvSI_
    .private_segment_fixed_size: 0
    .sgpr_count:     6
    .sgpr_spill_count: 0
    .symbol:         _ZN7rocprim17ROCPRIM_400000_NS6detail17trampoline_kernelINS0_14default_configENS1_35radix_sort_onesweep_config_selectorIyyEEZZNS1_29radix_sort_onesweep_iterationIS3_Lb0EN6thrust23THRUST_200600_302600_NS6detail15normal_iteratorINS8_10device_ptrIyEEEESD_SD_SD_jNS0_19identity_decomposerENS1_16block_id_wrapperIjLb0EEEEE10hipError_tT1_PNSt15iterator_traitsISI_E10value_typeET2_T3_PNSJ_ISO_E10value_typeET4_T5_PST_SU_PNS1_23onesweep_lookback_stateEbbT6_jjT7_P12ihipStream_tbENKUlT_T0_SI_SN_E_clISD_PySD_S15_EEDaS11_S12_SI_SN_EUlS11_E_NS1_11comp_targetILNS1_3genE8ELNS1_11target_archE1030ELNS1_3gpuE2ELNS1_3repE0EEENS1_47radix_sort_onesweep_sort_config_static_selectorELNS0_4arch9wavefront6targetE1EEEvSI_.kd
    .uniform_work_group_size: 1
    .uses_dynamic_stack: false
    .vgpr_count:     0
    .vgpr_spill_count: 0
    .wavefront_size: 64
  - .agpr_count:     0
    .args:
      - .offset:         0
        .size:           88
        .value_kind:     by_value
    .group_segment_fixed_size: 0
    .kernarg_segment_align: 8
    .kernarg_segment_size: 88
    .language:       OpenCL C
    .language_version:
      - 2
      - 0
    .max_flat_workgroup_size: 512
    .name:           _ZN7rocprim17ROCPRIM_400000_NS6detail17trampoline_kernelINS0_14default_configENS1_35radix_sort_onesweep_config_selectorIyyEEZZNS1_29radix_sort_onesweep_iterationIS3_Lb0EN6thrust23THRUST_200600_302600_NS6detail15normal_iteratorINS8_10device_ptrIyEEEESD_SD_SD_jNS0_19identity_decomposerENS1_16block_id_wrapperIjLb0EEEEE10hipError_tT1_PNSt15iterator_traitsISI_E10value_typeET2_T3_PNSJ_ISO_E10value_typeET4_T5_PST_SU_PNS1_23onesweep_lookback_stateEbbT6_jjT7_P12ihipStream_tbENKUlT_T0_SI_SN_E_clIPySD_S15_SD_EEDaS11_S12_SI_SN_EUlS11_E_NS1_11comp_targetILNS1_3genE0ELNS1_11target_archE4294967295ELNS1_3gpuE0ELNS1_3repE0EEENS1_47radix_sort_onesweep_sort_config_static_selectorELNS0_4arch9wavefront6targetE1EEEvSI_
    .private_segment_fixed_size: 0
    .sgpr_count:     6
    .sgpr_spill_count: 0
    .symbol:         _ZN7rocprim17ROCPRIM_400000_NS6detail17trampoline_kernelINS0_14default_configENS1_35radix_sort_onesweep_config_selectorIyyEEZZNS1_29radix_sort_onesweep_iterationIS3_Lb0EN6thrust23THRUST_200600_302600_NS6detail15normal_iteratorINS8_10device_ptrIyEEEESD_SD_SD_jNS0_19identity_decomposerENS1_16block_id_wrapperIjLb0EEEEE10hipError_tT1_PNSt15iterator_traitsISI_E10value_typeET2_T3_PNSJ_ISO_E10value_typeET4_T5_PST_SU_PNS1_23onesweep_lookback_stateEbbT6_jjT7_P12ihipStream_tbENKUlT_T0_SI_SN_E_clIPySD_S15_SD_EEDaS11_S12_SI_SN_EUlS11_E_NS1_11comp_targetILNS1_3genE0ELNS1_11target_archE4294967295ELNS1_3gpuE0ELNS1_3repE0EEENS1_47radix_sort_onesweep_sort_config_static_selectorELNS0_4arch9wavefront6targetE1EEEvSI_.kd
    .uniform_work_group_size: 1
    .uses_dynamic_stack: false
    .vgpr_count:     0
    .vgpr_spill_count: 0
    .wavefront_size: 64
  - .agpr_count:     0
    .args:
      - .offset:         0
        .size:           88
        .value_kind:     by_value
      - .offset:         88
        .size:           4
        .value_kind:     hidden_block_count_x
      - .offset:         92
        .size:           4
        .value_kind:     hidden_block_count_y
      - .offset:         96
        .size:           4
        .value_kind:     hidden_block_count_z
      - .offset:         100
        .size:           2
        .value_kind:     hidden_group_size_x
      - .offset:         102
        .size:           2
        .value_kind:     hidden_group_size_y
      - .offset:         104
        .size:           2
        .value_kind:     hidden_group_size_z
      - .offset:         106
        .size:           2
        .value_kind:     hidden_remainder_x
      - .offset:         108
        .size:           2
        .value_kind:     hidden_remainder_y
      - .offset:         110
        .size:           2
        .value_kind:     hidden_remainder_z
      - .offset:         128
        .size:           8
        .value_kind:     hidden_global_offset_x
      - .offset:         136
        .size:           8
        .value_kind:     hidden_global_offset_y
      - .offset:         144
        .size:           8
        .value_kind:     hidden_global_offset_z
      - .offset:         152
        .size:           2
        .value_kind:     hidden_grid_dims
    .group_segment_fixed_size: 53328
    .kernarg_segment_align: 8
    .kernarg_segment_size: 344
    .language:       OpenCL C
    .language_version:
      - 2
      - 0
    .max_flat_workgroup_size: 1024
    .name:           _ZN7rocprim17ROCPRIM_400000_NS6detail17trampoline_kernelINS0_14default_configENS1_35radix_sort_onesweep_config_selectorIyyEEZZNS1_29radix_sort_onesweep_iterationIS3_Lb0EN6thrust23THRUST_200600_302600_NS6detail15normal_iteratorINS8_10device_ptrIyEEEESD_SD_SD_jNS0_19identity_decomposerENS1_16block_id_wrapperIjLb0EEEEE10hipError_tT1_PNSt15iterator_traitsISI_E10value_typeET2_T3_PNSJ_ISO_E10value_typeET4_T5_PST_SU_PNS1_23onesweep_lookback_stateEbbT6_jjT7_P12ihipStream_tbENKUlT_T0_SI_SN_E_clIPySD_S15_SD_EEDaS11_S12_SI_SN_EUlS11_E_NS1_11comp_targetILNS1_3genE6ELNS1_11target_archE950ELNS1_3gpuE13ELNS1_3repE0EEENS1_47radix_sort_onesweep_sort_config_static_selectorELNS0_4arch9wavefront6targetE1EEEvSI_
    .private_segment_fixed_size: 48
    .sgpr_count:     64
    .sgpr_spill_count: 0
    .symbol:         _ZN7rocprim17ROCPRIM_400000_NS6detail17trampoline_kernelINS0_14default_configENS1_35radix_sort_onesweep_config_selectorIyyEEZZNS1_29radix_sort_onesweep_iterationIS3_Lb0EN6thrust23THRUST_200600_302600_NS6detail15normal_iteratorINS8_10device_ptrIyEEEESD_SD_SD_jNS0_19identity_decomposerENS1_16block_id_wrapperIjLb0EEEEE10hipError_tT1_PNSt15iterator_traitsISI_E10value_typeET2_T3_PNSJ_ISO_E10value_typeET4_T5_PST_SU_PNS1_23onesweep_lookback_stateEbbT6_jjT7_P12ihipStream_tbENKUlT_T0_SI_SN_E_clIPySD_S15_SD_EEDaS11_S12_SI_SN_EUlS11_E_NS1_11comp_targetILNS1_3genE6ELNS1_11target_archE950ELNS1_3gpuE13ELNS1_3repE0EEENS1_47radix_sort_onesweep_sort_config_static_selectorELNS0_4arch9wavefront6targetE1EEEvSI_.kd
    .uniform_work_group_size: 1
    .uses_dynamic_stack: false
    .vgpr_count:     58
    .vgpr_spill_count: 0
    .wavefront_size: 64
  - .agpr_count:     0
    .args:
      - .offset:         0
        .size:           88
        .value_kind:     by_value
    .group_segment_fixed_size: 0
    .kernarg_segment_align: 8
    .kernarg_segment_size: 88
    .language:       OpenCL C
    .language_version:
      - 2
      - 0
    .max_flat_workgroup_size: 1024
    .name:           _ZN7rocprim17ROCPRIM_400000_NS6detail17trampoline_kernelINS0_14default_configENS1_35radix_sort_onesweep_config_selectorIyyEEZZNS1_29radix_sort_onesweep_iterationIS3_Lb0EN6thrust23THRUST_200600_302600_NS6detail15normal_iteratorINS8_10device_ptrIyEEEESD_SD_SD_jNS0_19identity_decomposerENS1_16block_id_wrapperIjLb0EEEEE10hipError_tT1_PNSt15iterator_traitsISI_E10value_typeET2_T3_PNSJ_ISO_E10value_typeET4_T5_PST_SU_PNS1_23onesweep_lookback_stateEbbT6_jjT7_P12ihipStream_tbENKUlT_T0_SI_SN_E_clIPySD_S15_SD_EEDaS11_S12_SI_SN_EUlS11_E_NS1_11comp_targetILNS1_3genE5ELNS1_11target_archE942ELNS1_3gpuE9ELNS1_3repE0EEENS1_47radix_sort_onesweep_sort_config_static_selectorELNS0_4arch9wavefront6targetE1EEEvSI_
    .private_segment_fixed_size: 0
    .sgpr_count:     6
    .sgpr_spill_count: 0
    .symbol:         _ZN7rocprim17ROCPRIM_400000_NS6detail17trampoline_kernelINS0_14default_configENS1_35radix_sort_onesweep_config_selectorIyyEEZZNS1_29radix_sort_onesweep_iterationIS3_Lb0EN6thrust23THRUST_200600_302600_NS6detail15normal_iteratorINS8_10device_ptrIyEEEESD_SD_SD_jNS0_19identity_decomposerENS1_16block_id_wrapperIjLb0EEEEE10hipError_tT1_PNSt15iterator_traitsISI_E10value_typeET2_T3_PNSJ_ISO_E10value_typeET4_T5_PST_SU_PNS1_23onesweep_lookback_stateEbbT6_jjT7_P12ihipStream_tbENKUlT_T0_SI_SN_E_clIPySD_S15_SD_EEDaS11_S12_SI_SN_EUlS11_E_NS1_11comp_targetILNS1_3genE5ELNS1_11target_archE942ELNS1_3gpuE9ELNS1_3repE0EEENS1_47radix_sort_onesweep_sort_config_static_selectorELNS0_4arch9wavefront6targetE1EEEvSI_.kd
    .uniform_work_group_size: 1
    .uses_dynamic_stack: false
    .vgpr_count:     0
    .vgpr_spill_count: 0
    .wavefront_size: 64
  - .agpr_count:     0
    .args:
      - .offset:         0
        .size:           88
        .value_kind:     by_value
    .group_segment_fixed_size: 0
    .kernarg_segment_align: 8
    .kernarg_segment_size: 88
    .language:       OpenCL C
    .language_version:
      - 2
      - 0
    .max_flat_workgroup_size: 512
    .name:           _ZN7rocprim17ROCPRIM_400000_NS6detail17trampoline_kernelINS0_14default_configENS1_35radix_sort_onesweep_config_selectorIyyEEZZNS1_29radix_sort_onesweep_iterationIS3_Lb0EN6thrust23THRUST_200600_302600_NS6detail15normal_iteratorINS8_10device_ptrIyEEEESD_SD_SD_jNS0_19identity_decomposerENS1_16block_id_wrapperIjLb0EEEEE10hipError_tT1_PNSt15iterator_traitsISI_E10value_typeET2_T3_PNSJ_ISO_E10value_typeET4_T5_PST_SU_PNS1_23onesweep_lookback_stateEbbT6_jjT7_P12ihipStream_tbENKUlT_T0_SI_SN_E_clIPySD_S15_SD_EEDaS11_S12_SI_SN_EUlS11_E_NS1_11comp_targetILNS1_3genE2ELNS1_11target_archE906ELNS1_3gpuE6ELNS1_3repE0EEENS1_47radix_sort_onesweep_sort_config_static_selectorELNS0_4arch9wavefront6targetE1EEEvSI_
    .private_segment_fixed_size: 0
    .sgpr_count:     6
    .sgpr_spill_count: 0
    .symbol:         _ZN7rocprim17ROCPRIM_400000_NS6detail17trampoline_kernelINS0_14default_configENS1_35radix_sort_onesweep_config_selectorIyyEEZZNS1_29radix_sort_onesweep_iterationIS3_Lb0EN6thrust23THRUST_200600_302600_NS6detail15normal_iteratorINS8_10device_ptrIyEEEESD_SD_SD_jNS0_19identity_decomposerENS1_16block_id_wrapperIjLb0EEEEE10hipError_tT1_PNSt15iterator_traitsISI_E10value_typeET2_T3_PNSJ_ISO_E10value_typeET4_T5_PST_SU_PNS1_23onesweep_lookback_stateEbbT6_jjT7_P12ihipStream_tbENKUlT_T0_SI_SN_E_clIPySD_S15_SD_EEDaS11_S12_SI_SN_EUlS11_E_NS1_11comp_targetILNS1_3genE2ELNS1_11target_archE906ELNS1_3gpuE6ELNS1_3repE0EEENS1_47radix_sort_onesweep_sort_config_static_selectorELNS0_4arch9wavefront6targetE1EEEvSI_.kd
    .uniform_work_group_size: 1
    .uses_dynamic_stack: false
    .vgpr_count:     0
    .vgpr_spill_count: 0
    .wavefront_size: 64
  - .agpr_count:     0
    .args:
      - .offset:         0
        .size:           88
        .value_kind:     by_value
    .group_segment_fixed_size: 0
    .kernarg_segment_align: 8
    .kernarg_segment_size: 88
    .language:       OpenCL C
    .language_version:
      - 2
      - 0
    .max_flat_workgroup_size: 1024
    .name:           _ZN7rocprim17ROCPRIM_400000_NS6detail17trampoline_kernelINS0_14default_configENS1_35radix_sort_onesweep_config_selectorIyyEEZZNS1_29radix_sort_onesweep_iterationIS3_Lb0EN6thrust23THRUST_200600_302600_NS6detail15normal_iteratorINS8_10device_ptrIyEEEESD_SD_SD_jNS0_19identity_decomposerENS1_16block_id_wrapperIjLb0EEEEE10hipError_tT1_PNSt15iterator_traitsISI_E10value_typeET2_T3_PNSJ_ISO_E10value_typeET4_T5_PST_SU_PNS1_23onesweep_lookback_stateEbbT6_jjT7_P12ihipStream_tbENKUlT_T0_SI_SN_E_clIPySD_S15_SD_EEDaS11_S12_SI_SN_EUlS11_E_NS1_11comp_targetILNS1_3genE4ELNS1_11target_archE910ELNS1_3gpuE8ELNS1_3repE0EEENS1_47radix_sort_onesweep_sort_config_static_selectorELNS0_4arch9wavefront6targetE1EEEvSI_
    .private_segment_fixed_size: 0
    .sgpr_count:     6
    .sgpr_spill_count: 0
    .symbol:         _ZN7rocprim17ROCPRIM_400000_NS6detail17trampoline_kernelINS0_14default_configENS1_35radix_sort_onesweep_config_selectorIyyEEZZNS1_29radix_sort_onesweep_iterationIS3_Lb0EN6thrust23THRUST_200600_302600_NS6detail15normal_iteratorINS8_10device_ptrIyEEEESD_SD_SD_jNS0_19identity_decomposerENS1_16block_id_wrapperIjLb0EEEEE10hipError_tT1_PNSt15iterator_traitsISI_E10value_typeET2_T3_PNSJ_ISO_E10value_typeET4_T5_PST_SU_PNS1_23onesweep_lookback_stateEbbT6_jjT7_P12ihipStream_tbENKUlT_T0_SI_SN_E_clIPySD_S15_SD_EEDaS11_S12_SI_SN_EUlS11_E_NS1_11comp_targetILNS1_3genE4ELNS1_11target_archE910ELNS1_3gpuE8ELNS1_3repE0EEENS1_47radix_sort_onesweep_sort_config_static_selectorELNS0_4arch9wavefront6targetE1EEEvSI_.kd
    .uniform_work_group_size: 1
    .uses_dynamic_stack: false
    .vgpr_count:     0
    .vgpr_spill_count: 0
    .wavefront_size: 64
  - .agpr_count:     0
    .args:
      - .offset:         0
        .size:           88
        .value_kind:     by_value
    .group_segment_fixed_size: 0
    .kernarg_segment_align: 8
    .kernarg_segment_size: 88
    .language:       OpenCL C
    .language_version:
      - 2
      - 0
    .max_flat_workgroup_size: 512
    .name:           _ZN7rocprim17ROCPRIM_400000_NS6detail17trampoline_kernelINS0_14default_configENS1_35radix_sort_onesweep_config_selectorIyyEEZZNS1_29radix_sort_onesweep_iterationIS3_Lb0EN6thrust23THRUST_200600_302600_NS6detail15normal_iteratorINS8_10device_ptrIyEEEESD_SD_SD_jNS0_19identity_decomposerENS1_16block_id_wrapperIjLb0EEEEE10hipError_tT1_PNSt15iterator_traitsISI_E10value_typeET2_T3_PNSJ_ISO_E10value_typeET4_T5_PST_SU_PNS1_23onesweep_lookback_stateEbbT6_jjT7_P12ihipStream_tbENKUlT_T0_SI_SN_E_clIPySD_S15_SD_EEDaS11_S12_SI_SN_EUlS11_E_NS1_11comp_targetILNS1_3genE3ELNS1_11target_archE908ELNS1_3gpuE7ELNS1_3repE0EEENS1_47radix_sort_onesweep_sort_config_static_selectorELNS0_4arch9wavefront6targetE1EEEvSI_
    .private_segment_fixed_size: 0
    .sgpr_count:     6
    .sgpr_spill_count: 0
    .symbol:         _ZN7rocprim17ROCPRIM_400000_NS6detail17trampoline_kernelINS0_14default_configENS1_35radix_sort_onesweep_config_selectorIyyEEZZNS1_29radix_sort_onesweep_iterationIS3_Lb0EN6thrust23THRUST_200600_302600_NS6detail15normal_iteratorINS8_10device_ptrIyEEEESD_SD_SD_jNS0_19identity_decomposerENS1_16block_id_wrapperIjLb0EEEEE10hipError_tT1_PNSt15iterator_traitsISI_E10value_typeET2_T3_PNSJ_ISO_E10value_typeET4_T5_PST_SU_PNS1_23onesweep_lookback_stateEbbT6_jjT7_P12ihipStream_tbENKUlT_T0_SI_SN_E_clIPySD_S15_SD_EEDaS11_S12_SI_SN_EUlS11_E_NS1_11comp_targetILNS1_3genE3ELNS1_11target_archE908ELNS1_3gpuE7ELNS1_3repE0EEENS1_47radix_sort_onesweep_sort_config_static_selectorELNS0_4arch9wavefront6targetE1EEEvSI_.kd
    .uniform_work_group_size: 1
    .uses_dynamic_stack: false
    .vgpr_count:     0
    .vgpr_spill_count: 0
    .wavefront_size: 64
  - .agpr_count:     0
    .args:
      - .offset:         0
        .size:           88
        .value_kind:     by_value
    .group_segment_fixed_size: 0
    .kernarg_segment_align: 8
    .kernarg_segment_size: 88
    .language:       OpenCL C
    .language_version:
      - 2
      - 0
    .max_flat_workgroup_size: 1024
    .name:           _ZN7rocprim17ROCPRIM_400000_NS6detail17trampoline_kernelINS0_14default_configENS1_35radix_sort_onesweep_config_selectorIyyEEZZNS1_29radix_sort_onesweep_iterationIS3_Lb0EN6thrust23THRUST_200600_302600_NS6detail15normal_iteratorINS8_10device_ptrIyEEEESD_SD_SD_jNS0_19identity_decomposerENS1_16block_id_wrapperIjLb0EEEEE10hipError_tT1_PNSt15iterator_traitsISI_E10value_typeET2_T3_PNSJ_ISO_E10value_typeET4_T5_PST_SU_PNS1_23onesweep_lookback_stateEbbT6_jjT7_P12ihipStream_tbENKUlT_T0_SI_SN_E_clIPySD_S15_SD_EEDaS11_S12_SI_SN_EUlS11_E_NS1_11comp_targetILNS1_3genE10ELNS1_11target_archE1201ELNS1_3gpuE5ELNS1_3repE0EEENS1_47radix_sort_onesweep_sort_config_static_selectorELNS0_4arch9wavefront6targetE1EEEvSI_
    .private_segment_fixed_size: 0
    .sgpr_count:     6
    .sgpr_spill_count: 0
    .symbol:         _ZN7rocprim17ROCPRIM_400000_NS6detail17trampoline_kernelINS0_14default_configENS1_35radix_sort_onesweep_config_selectorIyyEEZZNS1_29radix_sort_onesweep_iterationIS3_Lb0EN6thrust23THRUST_200600_302600_NS6detail15normal_iteratorINS8_10device_ptrIyEEEESD_SD_SD_jNS0_19identity_decomposerENS1_16block_id_wrapperIjLb0EEEEE10hipError_tT1_PNSt15iterator_traitsISI_E10value_typeET2_T3_PNSJ_ISO_E10value_typeET4_T5_PST_SU_PNS1_23onesweep_lookback_stateEbbT6_jjT7_P12ihipStream_tbENKUlT_T0_SI_SN_E_clIPySD_S15_SD_EEDaS11_S12_SI_SN_EUlS11_E_NS1_11comp_targetILNS1_3genE10ELNS1_11target_archE1201ELNS1_3gpuE5ELNS1_3repE0EEENS1_47radix_sort_onesweep_sort_config_static_selectorELNS0_4arch9wavefront6targetE1EEEvSI_.kd
    .uniform_work_group_size: 1
    .uses_dynamic_stack: false
    .vgpr_count:     0
    .vgpr_spill_count: 0
    .wavefront_size: 64
  - .agpr_count:     0
    .args:
      - .offset:         0
        .size:           88
        .value_kind:     by_value
    .group_segment_fixed_size: 0
    .kernarg_segment_align: 8
    .kernarg_segment_size: 88
    .language:       OpenCL C
    .language_version:
      - 2
      - 0
    .max_flat_workgroup_size: 1024
    .name:           _ZN7rocprim17ROCPRIM_400000_NS6detail17trampoline_kernelINS0_14default_configENS1_35radix_sort_onesweep_config_selectorIyyEEZZNS1_29radix_sort_onesweep_iterationIS3_Lb0EN6thrust23THRUST_200600_302600_NS6detail15normal_iteratorINS8_10device_ptrIyEEEESD_SD_SD_jNS0_19identity_decomposerENS1_16block_id_wrapperIjLb0EEEEE10hipError_tT1_PNSt15iterator_traitsISI_E10value_typeET2_T3_PNSJ_ISO_E10value_typeET4_T5_PST_SU_PNS1_23onesweep_lookback_stateEbbT6_jjT7_P12ihipStream_tbENKUlT_T0_SI_SN_E_clIPySD_S15_SD_EEDaS11_S12_SI_SN_EUlS11_E_NS1_11comp_targetILNS1_3genE9ELNS1_11target_archE1100ELNS1_3gpuE3ELNS1_3repE0EEENS1_47radix_sort_onesweep_sort_config_static_selectorELNS0_4arch9wavefront6targetE1EEEvSI_
    .private_segment_fixed_size: 0
    .sgpr_count:     6
    .sgpr_spill_count: 0
    .symbol:         _ZN7rocprim17ROCPRIM_400000_NS6detail17trampoline_kernelINS0_14default_configENS1_35radix_sort_onesweep_config_selectorIyyEEZZNS1_29radix_sort_onesweep_iterationIS3_Lb0EN6thrust23THRUST_200600_302600_NS6detail15normal_iteratorINS8_10device_ptrIyEEEESD_SD_SD_jNS0_19identity_decomposerENS1_16block_id_wrapperIjLb0EEEEE10hipError_tT1_PNSt15iterator_traitsISI_E10value_typeET2_T3_PNSJ_ISO_E10value_typeET4_T5_PST_SU_PNS1_23onesweep_lookback_stateEbbT6_jjT7_P12ihipStream_tbENKUlT_T0_SI_SN_E_clIPySD_S15_SD_EEDaS11_S12_SI_SN_EUlS11_E_NS1_11comp_targetILNS1_3genE9ELNS1_11target_archE1100ELNS1_3gpuE3ELNS1_3repE0EEENS1_47radix_sort_onesweep_sort_config_static_selectorELNS0_4arch9wavefront6targetE1EEEvSI_.kd
    .uniform_work_group_size: 1
    .uses_dynamic_stack: false
    .vgpr_count:     0
    .vgpr_spill_count: 0
    .wavefront_size: 64
  - .agpr_count:     0
    .args:
      - .offset:         0
        .size:           88
        .value_kind:     by_value
    .group_segment_fixed_size: 0
    .kernarg_segment_align: 8
    .kernarg_segment_size: 88
    .language:       OpenCL C
    .language_version:
      - 2
      - 0
    .max_flat_workgroup_size: 1024
    .name:           _ZN7rocprim17ROCPRIM_400000_NS6detail17trampoline_kernelINS0_14default_configENS1_35radix_sort_onesweep_config_selectorIyyEEZZNS1_29radix_sort_onesweep_iterationIS3_Lb0EN6thrust23THRUST_200600_302600_NS6detail15normal_iteratorINS8_10device_ptrIyEEEESD_SD_SD_jNS0_19identity_decomposerENS1_16block_id_wrapperIjLb0EEEEE10hipError_tT1_PNSt15iterator_traitsISI_E10value_typeET2_T3_PNSJ_ISO_E10value_typeET4_T5_PST_SU_PNS1_23onesweep_lookback_stateEbbT6_jjT7_P12ihipStream_tbENKUlT_T0_SI_SN_E_clIPySD_S15_SD_EEDaS11_S12_SI_SN_EUlS11_E_NS1_11comp_targetILNS1_3genE8ELNS1_11target_archE1030ELNS1_3gpuE2ELNS1_3repE0EEENS1_47radix_sort_onesweep_sort_config_static_selectorELNS0_4arch9wavefront6targetE1EEEvSI_
    .private_segment_fixed_size: 0
    .sgpr_count:     6
    .sgpr_spill_count: 0
    .symbol:         _ZN7rocprim17ROCPRIM_400000_NS6detail17trampoline_kernelINS0_14default_configENS1_35radix_sort_onesweep_config_selectorIyyEEZZNS1_29radix_sort_onesweep_iterationIS3_Lb0EN6thrust23THRUST_200600_302600_NS6detail15normal_iteratorINS8_10device_ptrIyEEEESD_SD_SD_jNS0_19identity_decomposerENS1_16block_id_wrapperIjLb0EEEEE10hipError_tT1_PNSt15iterator_traitsISI_E10value_typeET2_T3_PNSJ_ISO_E10value_typeET4_T5_PST_SU_PNS1_23onesweep_lookback_stateEbbT6_jjT7_P12ihipStream_tbENKUlT_T0_SI_SN_E_clIPySD_S15_SD_EEDaS11_S12_SI_SN_EUlS11_E_NS1_11comp_targetILNS1_3genE8ELNS1_11target_archE1030ELNS1_3gpuE2ELNS1_3repE0EEENS1_47radix_sort_onesweep_sort_config_static_selectorELNS0_4arch9wavefront6targetE1EEEvSI_.kd
    .uniform_work_group_size: 1
    .uses_dynamic_stack: false
    .vgpr_count:     0
    .vgpr_spill_count: 0
    .wavefront_size: 64
  - .agpr_count:     0
    .args:
      - .offset:         0
        .size:           104
        .value_kind:     by_value
    .group_segment_fixed_size: 64
    .kernarg_segment_align: 8
    .kernarg_segment_size: 104
    .language:       OpenCL C
    .language_version:
      - 2
      - 0
    .max_flat_workgroup_size: 128
    .name:           _ZN7rocprim17ROCPRIM_400000_NS6detail17trampoline_kernelINS0_14default_configENS1_22reduce_config_selectorIN6thrust23THRUST_200600_302600_NS5tupleIblNS6_9null_typeES8_S8_S8_S8_S8_S8_S8_EEEEZNS1_11reduce_implILb1ES3_NS6_12zip_iteratorINS7_INS6_11hip_rocprim26transform_input_iterator_tIbNSD_35transform_pair_of_input_iterators_tIbNS6_6detail15normal_iteratorINS6_10device_ptrIKyEEEESL_NS6_8equal_toIyEEEENSG_9not_fun_tINSD_8identityEEEEENSD_19counting_iterator_tIlEES8_S8_S8_S8_S8_S8_S8_S8_EEEEPS9_S9_NSD_9__find_if7functorIS9_EEEE10hipError_tPvRmT1_T2_T3_mT4_P12ihipStream_tbEUlT_E0_NS1_11comp_targetILNS1_3genE0ELNS1_11target_archE4294967295ELNS1_3gpuE0ELNS1_3repE0EEENS1_30default_config_static_selectorELNS0_4arch9wavefront6targetE1EEEvS14_
    .private_segment_fixed_size: 0
    .sgpr_count:     34
    .sgpr_spill_count: 0
    .symbol:         _ZN7rocprim17ROCPRIM_400000_NS6detail17trampoline_kernelINS0_14default_configENS1_22reduce_config_selectorIN6thrust23THRUST_200600_302600_NS5tupleIblNS6_9null_typeES8_S8_S8_S8_S8_S8_S8_EEEEZNS1_11reduce_implILb1ES3_NS6_12zip_iteratorINS7_INS6_11hip_rocprim26transform_input_iterator_tIbNSD_35transform_pair_of_input_iterators_tIbNS6_6detail15normal_iteratorINS6_10device_ptrIKyEEEESL_NS6_8equal_toIyEEEENSG_9not_fun_tINSD_8identityEEEEENSD_19counting_iterator_tIlEES8_S8_S8_S8_S8_S8_S8_S8_EEEEPS9_S9_NSD_9__find_if7functorIS9_EEEE10hipError_tPvRmT1_T2_T3_mT4_P12ihipStream_tbEUlT_E0_NS1_11comp_targetILNS1_3genE0ELNS1_11target_archE4294967295ELNS1_3gpuE0ELNS1_3repE0EEENS1_30default_config_static_selectorELNS0_4arch9wavefront6targetE1EEEvS14_.kd
    .uniform_work_group_size: 1
    .uses_dynamic_stack: false
    .vgpr_count:     20
    .vgpr_spill_count: 0
    .wavefront_size: 64
  - .agpr_count:     0
    .args:
      - .offset:         0
        .size:           104
        .value_kind:     by_value
    .group_segment_fixed_size: 0
    .kernarg_segment_align: 8
    .kernarg_segment_size: 104
    .language:       OpenCL C
    .language_version:
      - 2
      - 0
    .max_flat_workgroup_size: 256
    .name:           _ZN7rocprim17ROCPRIM_400000_NS6detail17trampoline_kernelINS0_14default_configENS1_22reduce_config_selectorIN6thrust23THRUST_200600_302600_NS5tupleIblNS6_9null_typeES8_S8_S8_S8_S8_S8_S8_EEEEZNS1_11reduce_implILb1ES3_NS6_12zip_iteratorINS7_INS6_11hip_rocprim26transform_input_iterator_tIbNSD_35transform_pair_of_input_iterators_tIbNS6_6detail15normal_iteratorINS6_10device_ptrIKyEEEESL_NS6_8equal_toIyEEEENSG_9not_fun_tINSD_8identityEEEEENSD_19counting_iterator_tIlEES8_S8_S8_S8_S8_S8_S8_S8_EEEEPS9_S9_NSD_9__find_if7functorIS9_EEEE10hipError_tPvRmT1_T2_T3_mT4_P12ihipStream_tbEUlT_E0_NS1_11comp_targetILNS1_3genE5ELNS1_11target_archE942ELNS1_3gpuE9ELNS1_3repE0EEENS1_30default_config_static_selectorELNS0_4arch9wavefront6targetE1EEEvS14_
    .private_segment_fixed_size: 0
    .sgpr_count:     6
    .sgpr_spill_count: 0
    .symbol:         _ZN7rocprim17ROCPRIM_400000_NS6detail17trampoline_kernelINS0_14default_configENS1_22reduce_config_selectorIN6thrust23THRUST_200600_302600_NS5tupleIblNS6_9null_typeES8_S8_S8_S8_S8_S8_S8_EEEEZNS1_11reduce_implILb1ES3_NS6_12zip_iteratorINS7_INS6_11hip_rocprim26transform_input_iterator_tIbNSD_35transform_pair_of_input_iterators_tIbNS6_6detail15normal_iteratorINS6_10device_ptrIKyEEEESL_NS6_8equal_toIyEEEENSG_9not_fun_tINSD_8identityEEEEENSD_19counting_iterator_tIlEES8_S8_S8_S8_S8_S8_S8_S8_EEEEPS9_S9_NSD_9__find_if7functorIS9_EEEE10hipError_tPvRmT1_T2_T3_mT4_P12ihipStream_tbEUlT_E0_NS1_11comp_targetILNS1_3genE5ELNS1_11target_archE942ELNS1_3gpuE9ELNS1_3repE0EEENS1_30default_config_static_selectorELNS0_4arch9wavefront6targetE1EEEvS14_.kd
    .uniform_work_group_size: 1
    .uses_dynamic_stack: false
    .vgpr_count:     0
    .vgpr_spill_count: 0
    .wavefront_size: 64
  - .agpr_count:     0
    .args:
      - .offset:         0
        .size:           104
        .value_kind:     by_value
    .group_segment_fixed_size: 0
    .kernarg_segment_align: 8
    .kernarg_segment_size: 104
    .language:       OpenCL C
    .language_version:
      - 2
      - 0
    .max_flat_workgroup_size: 256
    .name:           _ZN7rocprim17ROCPRIM_400000_NS6detail17trampoline_kernelINS0_14default_configENS1_22reduce_config_selectorIN6thrust23THRUST_200600_302600_NS5tupleIblNS6_9null_typeES8_S8_S8_S8_S8_S8_S8_EEEEZNS1_11reduce_implILb1ES3_NS6_12zip_iteratorINS7_INS6_11hip_rocprim26transform_input_iterator_tIbNSD_35transform_pair_of_input_iterators_tIbNS6_6detail15normal_iteratorINS6_10device_ptrIKyEEEESL_NS6_8equal_toIyEEEENSG_9not_fun_tINSD_8identityEEEEENSD_19counting_iterator_tIlEES8_S8_S8_S8_S8_S8_S8_S8_EEEEPS9_S9_NSD_9__find_if7functorIS9_EEEE10hipError_tPvRmT1_T2_T3_mT4_P12ihipStream_tbEUlT_E0_NS1_11comp_targetILNS1_3genE4ELNS1_11target_archE910ELNS1_3gpuE8ELNS1_3repE0EEENS1_30default_config_static_selectorELNS0_4arch9wavefront6targetE1EEEvS14_
    .private_segment_fixed_size: 0
    .sgpr_count:     6
    .sgpr_spill_count: 0
    .symbol:         _ZN7rocprim17ROCPRIM_400000_NS6detail17trampoline_kernelINS0_14default_configENS1_22reduce_config_selectorIN6thrust23THRUST_200600_302600_NS5tupleIblNS6_9null_typeES8_S8_S8_S8_S8_S8_S8_EEEEZNS1_11reduce_implILb1ES3_NS6_12zip_iteratorINS7_INS6_11hip_rocprim26transform_input_iterator_tIbNSD_35transform_pair_of_input_iterators_tIbNS6_6detail15normal_iteratorINS6_10device_ptrIKyEEEESL_NS6_8equal_toIyEEEENSG_9not_fun_tINSD_8identityEEEEENSD_19counting_iterator_tIlEES8_S8_S8_S8_S8_S8_S8_S8_EEEEPS9_S9_NSD_9__find_if7functorIS9_EEEE10hipError_tPvRmT1_T2_T3_mT4_P12ihipStream_tbEUlT_E0_NS1_11comp_targetILNS1_3genE4ELNS1_11target_archE910ELNS1_3gpuE8ELNS1_3repE0EEENS1_30default_config_static_selectorELNS0_4arch9wavefront6targetE1EEEvS14_.kd
    .uniform_work_group_size: 1
    .uses_dynamic_stack: false
    .vgpr_count:     0
    .vgpr_spill_count: 0
    .wavefront_size: 64
  - .agpr_count:     0
    .args:
      - .offset:         0
        .size:           104
        .value_kind:     by_value
    .group_segment_fixed_size: 0
    .kernarg_segment_align: 8
    .kernarg_segment_size: 104
    .language:       OpenCL C
    .language_version:
      - 2
      - 0
    .max_flat_workgroup_size: 128
    .name:           _ZN7rocprim17ROCPRIM_400000_NS6detail17trampoline_kernelINS0_14default_configENS1_22reduce_config_selectorIN6thrust23THRUST_200600_302600_NS5tupleIblNS6_9null_typeES8_S8_S8_S8_S8_S8_S8_EEEEZNS1_11reduce_implILb1ES3_NS6_12zip_iteratorINS7_INS6_11hip_rocprim26transform_input_iterator_tIbNSD_35transform_pair_of_input_iterators_tIbNS6_6detail15normal_iteratorINS6_10device_ptrIKyEEEESL_NS6_8equal_toIyEEEENSG_9not_fun_tINSD_8identityEEEEENSD_19counting_iterator_tIlEES8_S8_S8_S8_S8_S8_S8_S8_EEEEPS9_S9_NSD_9__find_if7functorIS9_EEEE10hipError_tPvRmT1_T2_T3_mT4_P12ihipStream_tbEUlT_E0_NS1_11comp_targetILNS1_3genE3ELNS1_11target_archE908ELNS1_3gpuE7ELNS1_3repE0EEENS1_30default_config_static_selectorELNS0_4arch9wavefront6targetE1EEEvS14_
    .private_segment_fixed_size: 0
    .sgpr_count:     6
    .sgpr_spill_count: 0
    .symbol:         _ZN7rocprim17ROCPRIM_400000_NS6detail17trampoline_kernelINS0_14default_configENS1_22reduce_config_selectorIN6thrust23THRUST_200600_302600_NS5tupleIblNS6_9null_typeES8_S8_S8_S8_S8_S8_S8_EEEEZNS1_11reduce_implILb1ES3_NS6_12zip_iteratorINS7_INS6_11hip_rocprim26transform_input_iterator_tIbNSD_35transform_pair_of_input_iterators_tIbNS6_6detail15normal_iteratorINS6_10device_ptrIKyEEEESL_NS6_8equal_toIyEEEENSG_9not_fun_tINSD_8identityEEEEENSD_19counting_iterator_tIlEES8_S8_S8_S8_S8_S8_S8_S8_EEEEPS9_S9_NSD_9__find_if7functorIS9_EEEE10hipError_tPvRmT1_T2_T3_mT4_P12ihipStream_tbEUlT_E0_NS1_11comp_targetILNS1_3genE3ELNS1_11target_archE908ELNS1_3gpuE7ELNS1_3repE0EEENS1_30default_config_static_selectorELNS0_4arch9wavefront6targetE1EEEvS14_.kd
    .uniform_work_group_size: 1
    .uses_dynamic_stack: false
    .vgpr_count:     0
    .vgpr_spill_count: 0
    .wavefront_size: 64
  - .agpr_count:     0
    .args:
      - .offset:         0
        .size:           104
        .value_kind:     by_value
    .group_segment_fixed_size: 0
    .kernarg_segment_align: 8
    .kernarg_segment_size: 104
    .language:       OpenCL C
    .language_version:
      - 2
      - 0
    .max_flat_workgroup_size: 128
    .name:           _ZN7rocprim17ROCPRIM_400000_NS6detail17trampoline_kernelINS0_14default_configENS1_22reduce_config_selectorIN6thrust23THRUST_200600_302600_NS5tupleIblNS6_9null_typeES8_S8_S8_S8_S8_S8_S8_EEEEZNS1_11reduce_implILb1ES3_NS6_12zip_iteratorINS7_INS6_11hip_rocprim26transform_input_iterator_tIbNSD_35transform_pair_of_input_iterators_tIbNS6_6detail15normal_iteratorINS6_10device_ptrIKyEEEESL_NS6_8equal_toIyEEEENSG_9not_fun_tINSD_8identityEEEEENSD_19counting_iterator_tIlEES8_S8_S8_S8_S8_S8_S8_S8_EEEEPS9_S9_NSD_9__find_if7functorIS9_EEEE10hipError_tPvRmT1_T2_T3_mT4_P12ihipStream_tbEUlT_E0_NS1_11comp_targetILNS1_3genE2ELNS1_11target_archE906ELNS1_3gpuE6ELNS1_3repE0EEENS1_30default_config_static_selectorELNS0_4arch9wavefront6targetE1EEEvS14_
    .private_segment_fixed_size: 0
    .sgpr_count:     6
    .sgpr_spill_count: 0
    .symbol:         _ZN7rocprim17ROCPRIM_400000_NS6detail17trampoline_kernelINS0_14default_configENS1_22reduce_config_selectorIN6thrust23THRUST_200600_302600_NS5tupleIblNS6_9null_typeES8_S8_S8_S8_S8_S8_S8_EEEEZNS1_11reduce_implILb1ES3_NS6_12zip_iteratorINS7_INS6_11hip_rocprim26transform_input_iterator_tIbNSD_35transform_pair_of_input_iterators_tIbNS6_6detail15normal_iteratorINS6_10device_ptrIKyEEEESL_NS6_8equal_toIyEEEENSG_9not_fun_tINSD_8identityEEEEENSD_19counting_iterator_tIlEES8_S8_S8_S8_S8_S8_S8_S8_EEEEPS9_S9_NSD_9__find_if7functorIS9_EEEE10hipError_tPvRmT1_T2_T3_mT4_P12ihipStream_tbEUlT_E0_NS1_11comp_targetILNS1_3genE2ELNS1_11target_archE906ELNS1_3gpuE6ELNS1_3repE0EEENS1_30default_config_static_selectorELNS0_4arch9wavefront6targetE1EEEvS14_.kd
    .uniform_work_group_size: 1
    .uses_dynamic_stack: false
    .vgpr_count:     0
    .vgpr_spill_count: 0
    .wavefront_size: 64
  - .agpr_count:     0
    .args:
      - .offset:         0
        .size:           104
        .value_kind:     by_value
    .group_segment_fixed_size: 0
    .kernarg_segment_align: 8
    .kernarg_segment_size: 104
    .language:       OpenCL C
    .language_version:
      - 2
      - 0
    .max_flat_workgroup_size: 256
    .name:           _ZN7rocprim17ROCPRIM_400000_NS6detail17trampoline_kernelINS0_14default_configENS1_22reduce_config_selectorIN6thrust23THRUST_200600_302600_NS5tupleIblNS6_9null_typeES8_S8_S8_S8_S8_S8_S8_EEEEZNS1_11reduce_implILb1ES3_NS6_12zip_iteratorINS7_INS6_11hip_rocprim26transform_input_iterator_tIbNSD_35transform_pair_of_input_iterators_tIbNS6_6detail15normal_iteratorINS6_10device_ptrIKyEEEESL_NS6_8equal_toIyEEEENSG_9not_fun_tINSD_8identityEEEEENSD_19counting_iterator_tIlEES8_S8_S8_S8_S8_S8_S8_S8_EEEEPS9_S9_NSD_9__find_if7functorIS9_EEEE10hipError_tPvRmT1_T2_T3_mT4_P12ihipStream_tbEUlT_E0_NS1_11comp_targetILNS1_3genE10ELNS1_11target_archE1201ELNS1_3gpuE5ELNS1_3repE0EEENS1_30default_config_static_selectorELNS0_4arch9wavefront6targetE1EEEvS14_
    .private_segment_fixed_size: 0
    .sgpr_count:     6
    .sgpr_spill_count: 0
    .symbol:         _ZN7rocprim17ROCPRIM_400000_NS6detail17trampoline_kernelINS0_14default_configENS1_22reduce_config_selectorIN6thrust23THRUST_200600_302600_NS5tupleIblNS6_9null_typeES8_S8_S8_S8_S8_S8_S8_EEEEZNS1_11reduce_implILb1ES3_NS6_12zip_iteratorINS7_INS6_11hip_rocprim26transform_input_iterator_tIbNSD_35transform_pair_of_input_iterators_tIbNS6_6detail15normal_iteratorINS6_10device_ptrIKyEEEESL_NS6_8equal_toIyEEEENSG_9not_fun_tINSD_8identityEEEEENSD_19counting_iterator_tIlEES8_S8_S8_S8_S8_S8_S8_S8_EEEEPS9_S9_NSD_9__find_if7functorIS9_EEEE10hipError_tPvRmT1_T2_T3_mT4_P12ihipStream_tbEUlT_E0_NS1_11comp_targetILNS1_3genE10ELNS1_11target_archE1201ELNS1_3gpuE5ELNS1_3repE0EEENS1_30default_config_static_selectorELNS0_4arch9wavefront6targetE1EEEvS14_.kd
    .uniform_work_group_size: 1
    .uses_dynamic_stack: false
    .vgpr_count:     0
    .vgpr_spill_count: 0
    .wavefront_size: 64
  - .agpr_count:     0
    .args:
      - .offset:         0
        .size:           104
        .value_kind:     by_value
    .group_segment_fixed_size: 0
    .kernarg_segment_align: 8
    .kernarg_segment_size: 104
    .language:       OpenCL C
    .language_version:
      - 2
      - 0
    .max_flat_workgroup_size: 256
    .name:           _ZN7rocprim17ROCPRIM_400000_NS6detail17trampoline_kernelINS0_14default_configENS1_22reduce_config_selectorIN6thrust23THRUST_200600_302600_NS5tupleIblNS6_9null_typeES8_S8_S8_S8_S8_S8_S8_EEEEZNS1_11reduce_implILb1ES3_NS6_12zip_iteratorINS7_INS6_11hip_rocprim26transform_input_iterator_tIbNSD_35transform_pair_of_input_iterators_tIbNS6_6detail15normal_iteratorINS6_10device_ptrIKyEEEESL_NS6_8equal_toIyEEEENSG_9not_fun_tINSD_8identityEEEEENSD_19counting_iterator_tIlEES8_S8_S8_S8_S8_S8_S8_S8_EEEEPS9_S9_NSD_9__find_if7functorIS9_EEEE10hipError_tPvRmT1_T2_T3_mT4_P12ihipStream_tbEUlT_E0_NS1_11comp_targetILNS1_3genE10ELNS1_11target_archE1200ELNS1_3gpuE4ELNS1_3repE0EEENS1_30default_config_static_selectorELNS0_4arch9wavefront6targetE1EEEvS14_
    .private_segment_fixed_size: 0
    .sgpr_count:     6
    .sgpr_spill_count: 0
    .symbol:         _ZN7rocprim17ROCPRIM_400000_NS6detail17trampoline_kernelINS0_14default_configENS1_22reduce_config_selectorIN6thrust23THRUST_200600_302600_NS5tupleIblNS6_9null_typeES8_S8_S8_S8_S8_S8_S8_EEEEZNS1_11reduce_implILb1ES3_NS6_12zip_iteratorINS7_INS6_11hip_rocprim26transform_input_iterator_tIbNSD_35transform_pair_of_input_iterators_tIbNS6_6detail15normal_iteratorINS6_10device_ptrIKyEEEESL_NS6_8equal_toIyEEEENSG_9not_fun_tINSD_8identityEEEEENSD_19counting_iterator_tIlEES8_S8_S8_S8_S8_S8_S8_S8_EEEEPS9_S9_NSD_9__find_if7functorIS9_EEEE10hipError_tPvRmT1_T2_T3_mT4_P12ihipStream_tbEUlT_E0_NS1_11comp_targetILNS1_3genE10ELNS1_11target_archE1200ELNS1_3gpuE4ELNS1_3repE0EEENS1_30default_config_static_selectorELNS0_4arch9wavefront6targetE1EEEvS14_.kd
    .uniform_work_group_size: 1
    .uses_dynamic_stack: false
    .vgpr_count:     0
    .vgpr_spill_count: 0
    .wavefront_size: 64
  - .agpr_count:     0
    .args:
      - .offset:         0
        .size:           104
        .value_kind:     by_value
    .group_segment_fixed_size: 0
    .kernarg_segment_align: 8
    .kernarg_segment_size: 104
    .language:       OpenCL C
    .language_version:
      - 2
      - 0
    .max_flat_workgroup_size: 256
    .name:           _ZN7rocprim17ROCPRIM_400000_NS6detail17trampoline_kernelINS0_14default_configENS1_22reduce_config_selectorIN6thrust23THRUST_200600_302600_NS5tupleIblNS6_9null_typeES8_S8_S8_S8_S8_S8_S8_EEEEZNS1_11reduce_implILb1ES3_NS6_12zip_iteratorINS7_INS6_11hip_rocprim26transform_input_iterator_tIbNSD_35transform_pair_of_input_iterators_tIbNS6_6detail15normal_iteratorINS6_10device_ptrIKyEEEESL_NS6_8equal_toIyEEEENSG_9not_fun_tINSD_8identityEEEEENSD_19counting_iterator_tIlEES8_S8_S8_S8_S8_S8_S8_S8_EEEEPS9_S9_NSD_9__find_if7functorIS9_EEEE10hipError_tPvRmT1_T2_T3_mT4_P12ihipStream_tbEUlT_E0_NS1_11comp_targetILNS1_3genE9ELNS1_11target_archE1100ELNS1_3gpuE3ELNS1_3repE0EEENS1_30default_config_static_selectorELNS0_4arch9wavefront6targetE1EEEvS14_
    .private_segment_fixed_size: 0
    .sgpr_count:     6
    .sgpr_spill_count: 0
    .symbol:         _ZN7rocprim17ROCPRIM_400000_NS6detail17trampoline_kernelINS0_14default_configENS1_22reduce_config_selectorIN6thrust23THRUST_200600_302600_NS5tupleIblNS6_9null_typeES8_S8_S8_S8_S8_S8_S8_EEEEZNS1_11reduce_implILb1ES3_NS6_12zip_iteratorINS7_INS6_11hip_rocprim26transform_input_iterator_tIbNSD_35transform_pair_of_input_iterators_tIbNS6_6detail15normal_iteratorINS6_10device_ptrIKyEEEESL_NS6_8equal_toIyEEEENSG_9not_fun_tINSD_8identityEEEEENSD_19counting_iterator_tIlEES8_S8_S8_S8_S8_S8_S8_S8_EEEEPS9_S9_NSD_9__find_if7functorIS9_EEEE10hipError_tPvRmT1_T2_T3_mT4_P12ihipStream_tbEUlT_E0_NS1_11comp_targetILNS1_3genE9ELNS1_11target_archE1100ELNS1_3gpuE3ELNS1_3repE0EEENS1_30default_config_static_selectorELNS0_4arch9wavefront6targetE1EEEvS14_.kd
    .uniform_work_group_size: 1
    .uses_dynamic_stack: false
    .vgpr_count:     0
    .vgpr_spill_count: 0
    .wavefront_size: 64
  - .agpr_count:     0
    .args:
      - .offset:         0
        .size:           104
        .value_kind:     by_value
    .group_segment_fixed_size: 0
    .kernarg_segment_align: 8
    .kernarg_segment_size: 104
    .language:       OpenCL C
    .language_version:
      - 2
      - 0
    .max_flat_workgroup_size: 256
    .name:           _ZN7rocprim17ROCPRIM_400000_NS6detail17trampoline_kernelINS0_14default_configENS1_22reduce_config_selectorIN6thrust23THRUST_200600_302600_NS5tupleIblNS6_9null_typeES8_S8_S8_S8_S8_S8_S8_EEEEZNS1_11reduce_implILb1ES3_NS6_12zip_iteratorINS7_INS6_11hip_rocprim26transform_input_iterator_tIbNSD_35transform_pair_of_input_iterators_tIbNS6_6detail15normal_iteratorINS6_10device_ptrIKyEEEESL_NS6_8equal_toIyEEEENSG_9not_fun_tINSD_8identityEEEEENSD_19counting_iterator_tIlEES8_S8_S8_S8_S8_S8_S8_S8_EEEEPS9_S9_NSD_9__find_if7functorIS9_EEEE10hipError_tPvRmT1_T2_T3_mT4_P12ihipStream_tbEUlT_E0_NS1_11comp_targetILNS1_3genE8ELNS1_11target_archE1030ELNS1_3gpuE2ELNS1_3repE0EEENS1_30default_config_static_selectorELNS0_4arch9wavefront6targetE1EEEvS14_
    .private_segment_fixed_size: 0
    .sgpr_count:     6
    .sgpr_spill_count: 0
    .symbol:         _ZN7rocprim17ROCPRIM_400000_NS6detail17trampoline_kernelINS0_14default_configENS1_22reduce_config_selectorIN6thrust23THRUST_200600_302600_NS5tupleIblNS6_9null_typeES8_S8_S8_S8_S8_S8_S8_EEEEZNS1_11reduce_implILb1ES3_NS6_12zip_iteratorINS7_INS6_11hip_rocprim26transform_input_iterator_tIbNSD_35transform_pair_of_input_iterators_tIbNS6_6detail15normal_iteratorINS6_10device_ptrIKyEEEESL_NS6_8equal_toIyEEEENSG_9not_fun_tINSD_8identityEEEEENSD_19counting_iterator_tIlEES8_S8_S8_S8_S8_S8_S8_S8_EEEEPS9_S9_NSD_9__find_if7functorIS9_EEEE10hipError_tPvRmT1_T2_T3_mT4_P12ihipStream_tbEUlT_E0_NS1_11comp_targetILNS1_3genE8ELNS1_11target_archE1030ELNS1_3gpuE2ELNS1_3repE0EEENS1_30default_config_static_selectorELNS0_4arch9wavefront6targetE1EEEvS14_.kd
    .uniform_work_group_size: 1
    .uses_dynamic_stack: false
    .vgpr_count:     0
    .vgpr_spill_count: 0
    .wavefront_size: 64
  - .agpr_count:     0
    .args:
      - .offset:         0
        .size:           88
        .value_kind:     by_value
    .group_segment_fixed_size: 160
    .kernarg_segment_align: 8
    .kernarg_segment_size: 88
    .language:       OpenCL C
    .language_version:
      - 2
      - 0
    .max_flat_workgroup_size: 128
    .name:           _ZN7rocprim17ROCPRIM_400000_NS6detail17trampoline_kernelINS0_14default_configENS1_22reduce_config_selectorIN6thrust23THRUST_200600_302600_NS5tupleIblNS6_9null_typeES8_S8_S8_S8_S8_S8_S8_EEEEZNS1_11reduce_implILb1ES3_NS6_12zip_iteratorINS7_INS6_11hip_rocprim26transform_input_iterator_tIbNSD_35transform_pair_of_input_iterators_tIbNS6_6detail15normal_iteratorINS6_10device_ptrIKyEEEESL_NS6_8equal_toIyEEEENSG_9not_fun_tINSD_8identityEEEEENSD_19counting_iterator_tIlEES8_S8_S8_S8_S8_S8_S8_S8_EEEEPS9_S9_NSD_9__find_if7functorIS9_EEEE10hipError_tPvRmT1_T2_T3_mT4_P12ihipStream_tbEUlT_E1_NS1_11comp_targetILNS1_3genE0ELNS1_11target_archE4294967295ELNS1_3gpuE0ELNS1_3repE0EEENS1_30default_config_static_selectorELNS0_4arch9wavefront6targetE1EEEvS14_
    .private_segment_fixed_size: 0
    .sgpr_count:     46
    .sgpr_spill_count: 0
    .symbol:         _ZN7rocprim17ROCPRIM_400000_NS6detail17trampoline_kernelINS0_14default_configENS1_22reduce_config_selectorIN6thrust23THRUST_200600_302600_NS5tupleIblNS6_9null_typeES8_S8_S8_S8_S8_S8_S8_EEEEZNS1_11reduce_implILb1ES3_NS6_12zip_iteratorINS7_INS6_11hip_rocprim26transform_input_iterator_tIbNSD_35transform_pair_of_input_iterators_tIbNS6_6detail15normal_iteratorINS6_10device_ptrIKyEEEESL_NS6_8equal_toIyEEEENSG_9not_fun_tINSD_8identityEEEEENSD_19counting_iterator_tIlEES8_S8_S8_S8_S8_S8_S8_S8_EEEEPS9_S9_NSD_9__find_if7functorIS9_EEEE10hipError_tPvRmT1_T2_T3_mT4_P12ihipStream_tbEUlT_E1_NS1_11comp_targetILNS1_3genE0ELNS1_11target_archE4294967295ELNS1_3gpuE0ELNS1_3repE0EEENS1_30default_config_static_selectorELNS0_4arch9wavefront6targetE1EEEvS14_.kd
    .uniform_work_group_size: 1
    .uses_dynamic_stack: false
    .vgpr_count:     45
    .vgpr_spill_count: 0
    .wavefront_size: 64
  - .agpr_count:     0
    .args:
      - .offset:         0
        .size:           88
        .value_kind:     by_value
    .group_segment_fixed_size: 0
    .kernarg_segment_align: 8
    .kernarg_segment_size: 88
    .language:       OpenCL C
    .language_version:
      - 2
      - 0
    .max_flat_workgroup_size: 256
    .name:           _ZN7rocprim17ROCPRIM_400000_NS6detail17trampoline_kernelINS0_14default_configENS1_22reduce_config_selectorIN6thrust23THRUST_200600_302600_NS5tupleIblNS6_9null_typeES8_S8_S8_S8_S8_S8_S8_EEEEZNS1_11reduce_implILb1ES3_NS6_12zip_iteratorINS7_INS6_11hip_rocprim26transform_input_iterator_tIbNSD_35transform_pair_of_input_iterators_tIbNS6_6detail15normal_iteratorINS6_10device_ptrIKyEEEESL_NS6_8equal_toIyEEEENSG_9not_fun_tINSD_8identityEEEEENSD_19counting_iterator_tIlEES8_S8_S8_S8_S8_S8_S8_S8_EEEEPS9_S9_NSD_9__find_if7functorIS9_EEEE10hipError_tPvRmT1_T2_T3_mT4_P12ihipStream_tbEUlT_E1_NS1_11comp_targetILNS1_3genE5ELNS1_11target_archE942ELNS1_3gpuE9ELNS1_3repE0EEENS1_30default_config_static_selectorELNS0_4arch9wavefront6targetE1EEEvS14_
    .private_segment_fixed_size: 0
    .sgpr_count:     6
    .sgpr_spill_count: 0
    .symbol:         _ZN7rocprim17ROCPRIM_400000_NS6detail17trampoline_kernelINS0_14default_configENS1_22reduce_config_selectorIN6thrust23THRUST_200600_302600_NS5tupleIblNS6_9null_typeES8_S8_S8_S8_S8_S8_S8_EEEEZNS1_11reduce_implILb1ES3_NS6_12zip_iteratorINS7_INS6_11hip_rocprim26transform_input_iterator_tIbNSD_35transform_pair_of_input_iterators_tIbNS6_6detail15normal_iteratorINS6_10device_ptrIKyEEEESL_NS6_8equal_toIyEEEENSG_9not_fun_tINSD_8identityEEEEENSD_19counting_iterator_tIlEES8_S8_S8_S8_S8_S8_S8_S8_EEEEPS9_S9_NSD_9__find_if7functorIS9_EEEE10hipError_tPvRmT1_T2_T3_mT4_P12ihipStream_tbEUlT_E1_NS1_11comp_targetILNS1_3genE5ELNS1_11target_archE942ELNS1_3gpuE9ELNS1_3repE0EEENS1_30default_config_static_selectorELNS0_4arch9wavefront6targetE1EEEvS14_.kd
    .uniform_work_group_size: 1
    .uses_dynamic_stack: false
    .vgpr_count:     0
    .vgpr_spill_count: 0
    .wavefront_size: 64
  - .agpr_count:     0
    .args:
      - .offset:         0
        .size:           88
        .value_kind:     by_value
    .group_segment_fixed_size: 0
    .kernarg_segment_align: 8
    .kernarg_segment_size: 88
    .language:       OpenCL C
    .language_version:
      - 2
      - 0
    .max_flat_workgroup_size: 256
    .name:           _ZN7rocprim17ROCPRIM_400000_NS6detail17trampoline_kernelINS0_14default_configENS1_22reduce_config_selectorIN6thrust23THRUST_200600_302600_NS5tupleIblNS6_9null_typeES8_S8_S8_S8_S8_S8_S8_EEEEZNS1_11reduce_implILb1ES3_NS6_12zip_iteratorINS7_INS6_11hip_rocprim26transform_input_iterator_tIbNSD_35transform_pair_of_input_iterators_tIbNS6_6detail15normal_iteratorINS6_10device_ptrIKyEEEESL_NS6_8equal_toIyEEEENSG_9not_fun_tINSD_8identityEEEEENSD_19counting_iterator_tIlEES8_S8_S8_S8_S8_S8_S8_S8_EEEEPS9_S9_NSD_9__find_if7functorIS9_EEEE10hipError_tPvRmT1_T2_T3_mT4_P12ihipStream_tbEUlT_E1_NS1_11comp_targetILNS1_3genE4ELNS1_11target_archE910ELNS1_3gpuE8ELNS1_3repE0EEENS1_30default_config_static_selectorELNS0_4arch9wavefront6targetE1EEEvS14_
    .private_segment_fixed_size: 0
    .sgpr_count:     6
    .sgpr_spill_count: 0
    .symbol:         _ZN7rocprim17ROCPRIM_400000_NS6detail17trampoline_kernelINS0_14default_configENS1_22reduce_config_selectorIN6thrust23THRUST_200600_302600_NS5tupleIblNS6_9null_typeES8_S8_S8_S8_S8_S8_S8_EEEEZNS1_11reduce_implILb1ES3_NS6_12zip_iteratorINS7_INS6_11hip_rocprim26transform_input_iterator_tIbNSD_35transform_pair_of_input_iterators_tIbNS6_6detail15normal_iteratorINS6_10device_ptrIKyEEEESL_NS6_8equal_toIyEEEENSG_9not_fun_tINSD_8identityEEEEENSD_19counting_iterator_tIlEES8_S8_S8_S8_S8_S8_S8_S8_EEEEPS9_S9_NSD_9__find_if7functorIS9_EEEE10hipError_tPvRmT1_T2_T3_mT4_P12ihipStream_tbEUlT_E1_NS1_11comp_targetILNS1_3genE4ELNS1_11target_archE910ELNS1_3gpuE8ELNS1_3repE0EEENS1_30default_config_static_selectorELNS0_4arch9wavefront6targetE1EEEvS14_.kd
    .uniform_work_group_size: 1
    .uses_dynamic_stack: false
    .vgpr_count:     0
    .vgpr_spill_count: 0
    .wavefront_size: 64
  - .agpr_count:     0
    .args:
      - .offset:         0
        .size:           88
        .value_kind:     by_value
    .group_segment_fixed_size: 0
    .kernarg_segment_align: 8
    .kernarg_segment_size: 88
    .language:       OpenCL C
    .language_version:
      - 2
      - 0
    .max_flat_workgroup_size: 128
    .name:           _ZN7rocprim17ROCPRIM_400000_NS6detail17trampoline_kernelINS0_14default_configENS1_22reduce_config_selectorIN6thrust23THRUST_200600_302600_NS5tupleIblNS6_9null_typeES8_S8_S8_S8_S8_S8_S8_EEEEZNS1_11reduce_implILb1ES3_NS6_12zip_iteratorINS7_INS6_11hip_rocprim26transform_input_iterator_tIbNSD_35transform_pair_of_input_iterators_tIbNS6_6detail15normal_iteratorINS6_10device_ptrIKyEEEESL_NS6_8equal_toIyEEEENSG_9not_fun_tINSD_8identityEEEEENSD_19counting_iterator_tIlEES8_S8_S8_S8_S8_S8_S8_S8_EEEEPS9_S9_NSD_9__find_if7functorIS9_EEEE10hipError_tPvRmT1_T2_T3_mT4_P12ihipStream_tbEUlT_E1_NS1_11comp_targetILNS1_3genE3ELNS1_11target_archE908ELNS1_3gpuE7ELNS1_3repE0EEENS1_30default_config_static_selectorELNS0_4arch9wavefront6targetE1EEEvS14_
    .private_segment_fixed_size: 0
    .sgpr_count:     6
    .sgpr_spill_count: 0
    .symbol:         _ZN7rocprim17ROCPRIM_400000_NS6detail17trampoline_kernelINS0_14default_configENS1_22reduce_config_selectorIN6thrust23THRUST_200600_302600_NS5tupleIblNS6_9null_typeES8_S8_S8_S8_S8_S8_S8_EEEEZNS1_11reduce_implILb1ES3_NS6_12zip_iteratorINS7_INS6_11hip_rocprim26transform_input_iterator_tIbNSD_35transform_pair_of_input_iterators_tIbNS6_6detail15normal_iteratorINS6_10device_ptrIKyEEEESL_NS6_8equal_toIyEEEENSG_9not_fun_tINSD_8identityEEEEENSD_19counting_iterator_tIlEES8_S8_S8_S8_S8_S8_S8_S8_EEEEPS9_S9_NSD_9__find_if7functorIS9_EEEE10hipError_tPvRmT1_T2_T3_mT4_P12ihipStream_tbEUlT_E1_NS1_11comp_targetILNS1_3genE3ELNS1_11target_archE908ELNS1_3gpuE7ELNS1_3repE0EEENS1_30default_config_static_selectorELNS0_4arch9wavefront6targetE1EEEvS14_.kd
    .uniform_work_group_size: 1
    .uses_dynamic_stack: false
    .vgpr_count:     0
    .vgpr_spill_count: 0
    .wavefront_size: 64
  - .agpr_count:     0
    .args:
      - .offset:         0
        .size:           88
        .value_kind:     by_value
    .group_segment_fixed_size: 0
    .kernarg_segment_align: 8
    .kernarg_segment_size: 88
    .language:       OpenCL C
    .language_version:
      - 2
      - 0
    .max_flat_workgroup_size: 128
    .name:           _ZN7rocprim17ROCPRIM_400000_NS6detail17trampoline_kernelINS0_14default_configENS1_22reduce_config_selectorIN6thrust23THRUST_200600_302600_NS5tupleIblNS6_9null_typeES8_S8_S8_S8_S8_S8_S8_EEEEZNS1_11reduce_implILb1ES3_NS6_12zip_iteratorINS7_INS6_11hip_rocprim26transform_input_iterator_tIbNSD_35transform_pair_of_input_iterators_tIbNS6_6detail15normal_iteratorINS6_10device_ptrIKyEEEESL_NS6_8equal_toIyEEEENSG_9not_fun_tINSD_8identityEEEEENSD_19counting_iterator_tIlEES8_S8_S8_S8_S8_S8_S8_S8_EEEEPS9_S9_NSD_9__find_if7functorIS9_EEEE10hipError_tPvRmT1_T2_T3_mT4_P12ihipStream_tbEUlT_E1_NS1_11comp_targetILNS1_3genE2ELNS1_11target_archE906ELNS1_3gpuE6ELNS1_3repE0EEENS1_30default_config_static_selectorELNS0_4arch9wavefront6targetE1EEEvS14_
    .private_segment_fixed_size: 0
    .sgpr_count:     6
    .sgpr_spill_count: 0
    .symbol:         _ZN7rocprim17ROCPRIM_400000_NS6detail17trampoline_kernelINS0_14default_configENS1_22reduce_config_selectorIN6thrust23THRUST_200600_302600_NS5tupleIblNS6_9null_typeES8_S8_S8_S8_S8_S8_S8_EEEEZNS1_11reduce_implILb1ES3_NS6_12zip_iteratorINS7_INS6_11hip_rocprim26transform_input_iterator_tIbNSD_35transform_pair_of_input_iterators_tIbNS6_6detail15normal_iteratorINS6_10device_ptrIKyEEEESL_NS6_8equal_toIyEEEENSG_9not_fun_tINSD_8identityEEEEENSD_19counting_iterator_tIlEES8_S8_S8_S8_S8_S8_S8_S8_EEEEPS9_S9_NSD_9__find_if7functorIS9_EEEE10hipError_tPvRmT1_T2_T3_mT4_P12ihipStream_tbEUlT_E1_NS1_11comp_targetILNS1_3genE2ELNS1_11target_archE906ELNS1_3gpuE6ELNS1_3repE0EEENS1_30default_config_static_selectorELNS0_4arch9wavefront6targetE1EEEvS14_.kd
    .uniform_work_group_size: 1
    .uses_dynamic_stack: false
    .vgpr_count:     0
    .vgpr_spill_count: 0
    .wavefront_size: 64
  - .agpr_count:     0
    .args:
      - .offset:         0
        .size:           88
        .value_kind:     by_value
    .group_segment_fixed_size: 0
    .kernarg_segment_align: 8
    .kernarg_segment_size: 88
    .language:       OpenCL C
    .language_version:
      - 2
      - 0
    .max_flat_workgroup_size: 256
    .name:           _ZN7rocprim17ROCPRIM_400000_NS6detail17trampoline_kernelINS0_14default_configENS1_22reduce_config_selectorIN6thrust23THRUST_200600_302600_NS5tupleIblNS6_9null_typeES8_S8_S8_S8_S8_S8_S8_EEEEZNS1_11reduce_implILb1ES3_NS6_12zip_iteratorINS7_INS6_11hip_rocprim26transform_input_iterator_tIbNSD_35transform_pair_of_input_iterators_tIbNS6_6detail15normal_iteratorINS6_10device_ptrIKyEEEESL_NS6_8equal_toIyEEEENSG_9not_fun_tINSD_8identityEEEEENSD_19counting_iterator_tIlEES8_S8_S8_S8_S8_S8_S8_S8_EEEEPS9_S9_NSD_9__find_if7functorIS9_EEEE10hipError_tPvRmT1_T2_T3_mT4_P12ihipStream_tbEUlT_E1_NS1_11comp_targetILNS1_3genE10ELNS1_11target_archE1201ELNS1_3gpuE5ELNS1_3repE0EEENS1_30default_config_static_selectorELNS0_4arch9wavefront6targetE1EEEvS14_
    .private_segment_fixed_size: 0
    .sgpr_count:     6
    .sgpr_spill_count: 0
    .symbol:         _ZN7rocprim17ROCPRIM_400000_NS6detail17trampoline_kernelINS0_14default_configENS1_22reduce_config_selectorIN6thrust23THRUST_200600_302600_NS5tupleIblNS6_9null_typeES8_S8_S8_S8_S8_S8_S8_EEEEZNS1_11reduce_implILb1ES3_NS6_12zip_iteratorINS7_INS6_11hip_rocprim26transform_input_iterator_tIbNSD_35transform_pair_of_input_iterators_tIbNS6_6detail15normal_iteratorINS6_10device_ptrIKyEEEESL_NS6_8equal_toIyEEEENSG_9not_fun_tINSD_8identityEEEEENSD_19counting_iterator_tIlEES8_S8_S8_S8_S8_S8_S8_S8_EEEEPS9_S9_NSD_9__find_if7functorIS9_EEEE10hipError_tPvRmT1_T2_T3_mT4_P12ihipStream_tbEUlT_E1_NS1_11comp_targetILNS1_3genE10ELNS1_11target_archE1201ELNS1_3gpuE5ELNS1_3repE0EEENS1_30default_config_static_selectorELNS0_4arch9wavefront6targetE1EEEvS14_.kd
    .uniform_work_group_size: 1
    .uses_dynamic_stack: false
    .vgpr_count:     0
    .vgpr_spill_count: 0
    .wavefront_size: 64
  - .agpr_count:     0
    .args:
      - .offset:         0
        .size:           88
        .value_kind:     by_value
    .group_segment_fixed_size: 0
    .kernarg_segment_align: 8
    .kernarg_segment_size: 88
    .language:       OpenCL C
    .language_version:
      - 2
      - 0
    .max_flat_workgroup_size: 256
    .name:           _ZN7rocprim17ROCPRIM_400000_NS6detail17trampoline_kernelINS0_14default_configENS1_22reduce_config_selectorIN6thrust23THRUST_200600_302600_NS5tupleIblNS6_9null_typeES8_S8_S8_S8_S8_S8_S8_EEEEZNS1_11reduce_implILb1ES3_NS6_12zip_iteratorINS7_INS6_11hip_rocprim26transform_input_iterator_tIbNSD_35transform_pair_of_input_iterators_tIbNS6_6detail15normal_iteratorINS6_10device_ptrIKyEEEESL_NS6_8equal_toIyEEEENSG_9not_fun_tINSD_8identityEEEEENSD_19counting_iterator_tIlEES8_S8_S8_S8_S8_S8_S8_S8_EEEEPS9_S9_NSD_9__find_if7functorIS9_EEEE10hipError_tPvRmT1_T2_T3_mT4_P12ihipStream_tbEUlT_E1_NS1_11comp_targetILNS1_3genE10ELNS1_11target_archE1200ELNS1_3gpuE4ELNS1_3repE0EEENS1_30default_config_static_selectorELNS0_4arch9wavefront6targetE1EEEvS14_
    .private_segment_fixed_size: 0
    .sgpr_count:     6
    .sgpr_spill_count: 0
    .symbol:         _ZN7rocprim17ROCPRIM_400000_NS6detail17trampoline_kernelINS0_14default_configENS1_22reduce_config_selectorIN6thrust23THRUST_200600_302600_NS5tupleIblNS6_9null_typeES8_S8_S8_S8_S8_S8_S8_EEEEZNS1_11reduce_implILb1ES3_NS6_12zip_iteratorINS7_INS6_11hip_rocprim26transform_input_iterator_tIbNSD_35transform_pair_of_input_iterators_tIbNS6_6detail15normal_iteratorINS6_10device_ptrIKyEEEESL_NS6_8equal_toIyEEEENSG_9not_fun_tINSD_8identityEEEEENSD_19counting_iterator_tIlEES8_S8_S8_S8_S8_S8_S8_S8_EEEEPS9_S9_NSD_9__find_if7functorIS9_EEEE10hipError_tPvRmT1_T2_T3_mT4_P12ihipStream_tbEUlT_E1_NS1_11comp_targetILNS1_3genE10ELNS1_11target_archE1200ELNS1_3gpuE4ELNS1_3repE0EEENS1_30default_config_static_selectorELNS0_4arch9wavefront6targetE1EEEvS14_.kd
    .uniform_work_group_size: 1
    .uses_dynamic_stack: false
    .vgpr_count:     0
    .vgpr_spill_count: 0
    .wavefront_size: 64
  - .agpr_count:     0
    .args:
      - .offset:         0
        .size:           88
        .value_kind:     by_value
    .group_segment_fixed_size: 0
    .kernarg_segment_align: 8
    .kernarg_segment_size: 88
    .language:       OpenCL C
    .language_version:
      - 2
      - 0
    .max_flat_workgroup_size: 256
    .name:           _ZN7rocprim17ROCPRIM_400000_NS6detail17trampoline_kernelINS0_14default_configENS1_22reduce_config_selectorIN6thrust23THRUST_200600_302600_NS5tupleIblNS6_9null_typeES8_S8_S8_S8_S8_S8_S8_EEEEZNS1_11reduce_implILb1ES3_NS6_12zip_iteratorINS7_INS6_11hip_rocprim26transform_input_iterator_tIbNSD_35transform_pair_of_input_iterators_tIbNS6_6detail15normal_iteratorINS6_10device_ptrIKyEEEESL_NS6_8equal_toIyEEEENSG_9not_fun_tINSD_8identityEEEEENSD_19counting_iterator_tIlEES8_S8_S8_S8_S8_S8_S8_S8_EEEEPS9_S9_NSD_9__find_if7functorIS9_EEEE10hipError_tPvRmT1_T2_T3_mT4_P12ihipStream_tbEUlT_E1_NS1_11comp_targetILNS1_3genE9ELNS1_11target_archE1100ELNS1_3gpuE3ELNS1_3repE0EEENS1_30default_config_static_selectorELNS0_4arch9wavefront6targetE1EEEvS14_
    .private_segment_fixed_size: 0
    .sgpr_count:     6
    .sgpr_spill_count: 0
    .symbol:         _ZN7rocprim17ROCPRIM_400000_NS6detail17trampoline_kernelINS0_14default_configENS1_22reduce_config_selectorIN6thrust23THRUST_200600_302600_NS5tupleIblNS6_9null_typeES8_S8_S8_S8_S8_S8_S8_EEEEZNS1_11reduce_implILb1ES3_NS6_12zip_iteratorINS7_INS6_11hip_rocprim26transform_input_iterator_tIbNSD_35transform_pair_of_input_iterators_tIbNS6_6detail15normal_iteratorINS6_10device_ptrIKyEEEESL_NS6_8equal_toIyEEEENSG_9not_fun_tINSD_8identityEEEEENSD_19counting_iterator_tIlEES8_S8_S8_S8_S8_S8_S8_S8_EEEEPS9_S9_NSD_9__find_if7functorIS9_EEEE10hipError_tPvRmT1_T2_T3_mT4_P12ihipStream_tbEUlT_E1_NS1_11comp_targetILNS1_3genE9ELNS1_11target_archE1100ELNS1_3gpuE3ELNS1_3repE0EEENS1_30default_config_static_selectorELNS0_4arch9wavefront6targetE1EEEvS14_.kd
    .uniform_work_group_size: 1
    .uses_dynamic_stack: false
    .vgpr_count:     0
    .vgpr_spill_count: 0
    .wavefront_size: 64
  - .agpr_count:     0
    .args:
      - .offset:         0
        .size:           88
        .value_kind:     by_value
    .group_segment_fixed_size: 0
    .kernarg_segment_align: 8
    .kernarg_segment_size: 88
    .language:       OpenCL C
    .language_version:
      - 2
      - 0
    .max_flat_workgroup_size: 256
    .name:           _ZN7rocprim17ROCPRIM_400000_NS6detail17trampoline_kernelINS0_14default_configENS1_22reduce_config_selectorIN6thrust23THRUST_200600_302600_NS5tupleIblNS6_9null_typeES8_S8_S8_S8_S8_S8_S8_EEEEZNS1_11reduce_implILb1ES3_NS6_12zip_iteratorINS7_INS6_11hip_rocprim26transform_input_iterator_tIbNSD_35transform_pair_of_input_iterators_tIbNS6_6detail15normal_iteratorINS6_10device_ptrIKyEEEESL_NS6_8equal_toIyEEEENSG_9not_fun_tINSD_8identityEEEEENSD_19counting_iterator_tIlEES8_S8_S8_S8_S8_S8_S8_S8_EEEEPS9_S9_NSD_9__find_if7functorIS9_EEEE10hipError_tPvRmT1_T2_T3_mT4_P12ihipStream_tbEUlT_E1_NS1_11comp_targetILNS1_3genE8ELNS1_11target_archE1030ELNS1_3gpuE2ELNS1_3repE0EEENS1_30default_config_static_selectorELNS0_4arch9wavefront6targetE1EEEvS14_
    .private_segment_fixed_size: 0
    .sgpr_count:     6
    .sgpr_spill_count: 0
    .symbol:         _ZN7rocprim17ROCPRIM_400000_NS6detail17trampoline_kernelINS0_14default_configENS1_22reduce_config_selectorIN6thrust23THRUST_200600_302600_NS5tupleIblNS6_9null_typeES8_S8_S8_S8_S8_S8_S8_EEEEZNS1_11reduce_implILb1ES3_NS6_12zip_iteratorINS7_INS6_11hip_rocprim26transform_input_iterator_tIbNSD_35transform_pair_of_input_iterators_tIbNS6_6detail15normal_iteratorINS6_10device_ptrIKyEEEESL_NS6_8equal_toIyEEEENSG_9not_fun_tINSD_8identityEEEEENSD_19counting_iterator_tIlEES8_S8_S8_S8_S8_S8_S8_S8_EEEEPS9_S9_NSD_9__find_if7functorIS9_EEEE10hipError_tPvRmT1_T2_T3_mT4_P12ihipStream_tbEUlT_E1_NS1_11comp_targetILNS1_3genE8ELNS1_11target_archE1030ELNS1_3gpuE2ELNS1_3repE0EEENS1_30default_config_static_selectorELNS0_4arch9wavefront6targetE1EEEvS14_.kd
    .uniform_work_group_size: 1
    .uses_dynamic_stack: false
    .vgpr_count:     0
    .vgpr_spill_count: 0
    .wavefront_size: 64
  - .agpr_count:     0
    .args:
      - .offset:         0
        .size:           16
        .value_kind:     by_value
      - .offset:         16
        .size:           8
        .value_kind:     by_value
      - .offset:         24
        .size:           8
        .value_kind:     by_value
    .group_segment_fixed_size: 0
    .kernarg_segment_align: 8
    .kernarg_segment_size: 32
    .language:       OpenCL C
    .language_version:
      - 2
      - 0
    .max_flat_workgroup_size: 256
    .name:           _ZN6thrust23THRUST_200600_302600_NS11hip_rocprim14__parallel_for6kernelILj256ENS1_20__uninitialized_fill7functorINS0_10device_ptrIjEEjEEmLj1EEEvT0_T1_SA_
    .private_segment_fixed_size: 0
    .sgpr_count:     22
    .sgpr_spill_count: 0
    .symbol:         _ZN6thrust23THRUST_200600_302600_NS11hip_rocprim14__parallel_for6kernelILj256ENS1_20__uninitialized_fill7functorINS0_10device_ptrIjEEjEEmLj1EEEvT0_T1_SA_.kd
    .uniform_work_group_size: 1
    .uses_dynamic_stack: false
    .vgpr_count:     4
    .vgpr_spill_count: 0
    .wavefront_size: 64
  - .agpr_count:     0
    .args:
      - .offset:         0
        .size:           48
        .value_kind:     by_value
      - .offset:         48
        .size:           4
        .value_kind:     hidden_block_count_x
      - .offset:         52
        .size:           4
        .value_kind:     hidden_block_count_y
      - .offset:         56
        .size:           4
        .value_kind:     hidden_block_count_z
      - .offset:         60
        .size:           2
        .value_kind:     hidden_group_size_x
      - .offset:         62
        .size:           2
        .value_kind:     hidden_group_size_y
      - .offset:         64
        .size:           2
        .value_kind:     hidden_group_size_z
      - .offset:         66
        .size:           2
        .value_kind:     hidden_remainder_x
      - .offset:         68
        .size:           2
        .value_kind:     hidden_remainder_y
      - .offset:         70
        .size:           2
        .value_kind:     hidden_remainder_z
      - .offset:         88
        .size:           8
        .value_kind:     hidden_global_offset_x
      - .offset:         96
        .size:           8
        .value_kind:     hidden_global_offset_y
      - .offset:         104
        .size:           8
        .value_kind:     hidden_global_offset_z
      - .offset:         112
        .size:           2
        .value_kind:     hidden_grid_dims
    .group_segment_fixed_size: 4112
    .kernarg_segment_align: 8
    .kernarg_segment_size: 304
    .language:       OpenCL C
    .language_version:
      - 2
      - 0
    .max_flat_workgroup_size: 256
    .name:           _ZN7rocprim17ROCPRIM_400000_NS6detail17trampoline_kernelINS0_13kernel_configILj256ELj4ELj4294967295EEENS1_37radix_sort_block_sort_config_selectorIjjEEZNS1_21radix_sort_block_sortIS4_Lb0EN6thrust23THRUST_200600_302600_NS6detail15normal_iteratorINS9_10device_ptrIjEEEESE_SE_SE_NS0_19identity_decomposerEEE10hipError_tT1_T2_T3_T4_jRjT5_jjP12ihipStream_tbEUlT_E_NS1_11comp_targetILNS1_3genE0ELNS1_11target_archE4294967295ELNS1_3gpuE0ELNS1_3repE0EEENS1_44radix_sort_block_sort_config_static_selectorELNS0_4arch9wavefront6targetE1EEEvSH_
    .private_segment_fixed_size: 0
    .sgpr_count:     52
    .sgpr_spill_count: 0
    .symbol:         _ZN7rocprim17ROCPRIM_400000_NS6detail17trampoline_kernelINS0_13kernel_configILj256ELj4ELj4294967295EEENS1_37radix_sort_block_sort_config_selectorIjjEEZNS1_21radix_sort_block_sortIS4_Lb0EN6thrust23THRUST_200600_302600_NS6detail15normal_iteratorINS9_10device_ptrIjEEEESE_SE_SE_NS0_19identity_decomposerEEE10hipError_tT1_T2_T3_T4_jRjT5_jjP12ihipStream_tbEUlT_E_NS1_11comp_targetILNS1_3genE0ELNS1_11target_archE4294967295ELNS1_3gpuE0ELNS1_3repE0EEENS1_44radix_sort_block_sort_config_static_selectorELNS0_4arch9wavefront6targetE1EEEvSH_.kd
    .uniform_work_group_size: 1
    .uses_dynamic_stack: false
    .vgpr_count:     40
    .vgpr_spill_count: 0
    .wavefront_size: 64
  - .agpr_count:     0
    .args:
      - .offset:         0
        .size:           48
        .value_kind:     by_value
    .group_segment_fixed_size: 0
    .kernarg_segment_align: 8
    .kernarg_segment_size: 48
    .language:       OpenCL C
    .language_version:
      - 2
      - 0
    .max_flat_workgroup_size: 256
    .name:           _ZN7rocprim17ROCPRIM_400000_NS6detail17trampoline_kernelINS0_13kernel_configILj256ELj4ELj4294967295EEENS1_37radix_sort_block_sort_config_selectorIjjEEZNS1_21radix_sort_block_sortIS4_Lb0EN6thrust23THRUST_200600_302600_NS6detail15normal_iteratorINS9_10device_ptrIjEEEESE_SE_SE_NS0_19identity_decomposerEEE10hipError_tT1_T2_T3_T4_jRjT5_jjP12ihipStream_tbEUlT_E_NS1_11comp_targetILNS1_3genE5ELNS1_11target_archE942ELNS1_3gpuE9ELNS1_3repE0EEENS1_44radix_sort_block_sort_config_static_selectorELNS0_4arch9wavefront6targetE1EEEvSH_
    .private_segment_fixed_size: 0
    .sgpr_count:     6
    .sgpr_spill_count: 0
    .symbol:         _ZN7rocprim17ROCPRIM_400000_NS6detail17trampoline_kernelINS0_13kernel_configILj256ELj4ELj4294967295EEENS1_37radix_sort_block_sort_config_selectorIjjEEZNS1_21radix_sort_block_sortIS4_Lb0EN6thrust23THRUST_200600_302600_NS6detail15normal_iteratorINS9_10device_ptrIjEEEESE_SE_SE_NS0_19identity_decomposerEEE10hipError_tT1_T2_T3_T4_jRjT5_jjP12ihipStream_tbEUlT_E_NS1_11comp_targetILNS1_3genE5ELNS1_11target_archE942ELNS1_3gpuE9ELNS1_3repE0EEENS1_44radix_sort_block_sort_config_static_selectorELNS0_4arch9wavefront6targetE1EEEvSH_.kd
    .uniform_work_group_size: 1
    .uses_dynamic_stack: false
    .vgpr_count:     0
    .vgpr_spill_count: 0
    .wavefront_size: 64
  - .agpr_count:     0
    .args:
      - .offset:         0
        .size:           48
        .value_kind:     by_value
    .group_segment_fixed_size: 0
    .kernarg_segment_align: 8
    .kernarg_segment_size: 48
    .language:       OpenCL C
    .language_version:
      - 2
      - 0
    .max_flat_workgroup_size: 256
    .name:           _ZN7rocprim17ROCPRIM_400000_NS6detail17trampoline_kernelINS0_13kernel_configILj256ELj4ELj4294967295EEENS1_37radix_sort_block_sort_config_selectorIjjEEZNS1_21radix_sort_block_sortIS4_Lb0EN6thrust23THRUST_200600_302600_NS6detail15normal_iteratorINS9_10device_ptrIjEEEESE_SE_SE_NS0_19identity_decomposerEEE10hipError_tT1_T2_T3_T4_jRjT5_jjP12ihipStream_tbEUlT_E_NS1_11comp_targetILNS1_3genE4ELNS1_11target_archE910ELNS1_3gpuE8ELNS1_3repE0EEENS1_44radix_sort_block_sort_config_static_selectorELNS0_4arch9wavefront6targetE1EEEvSH_
    .private_segment_fixed_size: 0
    .sgpr_count:     6
    .sgpr_spill_count: 0
    .symbol:         _ZN7rocprim17ROCPRIM_400000_NS6detail17trampoline_kernelINS0_13kernel_configILj256ELj4ELj4294967295EEENS1_37radix_sort_block_sort_config_selectorIjjEEZNS1_21radix_sort_block_sortIS4_Lb0EN6thrust23THRUST_200600_302600_NS6detail15normal_iteratorINS9_10device_ptrIjEEEESE_SE_SE_NS0_19identity_decomposerEEE10hipError_tT1_T2_T3_T4_jRjT5_jjP12ihipStream_tbEUlT_E_NS1_11comp_targetILNS1_3genE4ELNS1_11target_archE910ELNS1_3gpuE8ELNS1_3repE0EEENS1_44radix_sort_block_sort_config_static_selectorELNS0_4arch9wavefront6targetE1EEEvSH_.kd
    .uniform_work_group_size: 1
    .uses_dynamic_stack: false
    .vgpr_count:     0
    .vgpr_spill_count: 0
    .wavefront_size: 64
  - .agpr_count:     0
    .args:
      - .offset:         0
        .size:           48
        .value_kind:     by_value
    .group_segment_fixed_size: 0
    .kernarg_segment_align: 8
    .kernarg_segment_size: 48
    .language:       OpenCL C
    .language_version:
      - 2
      - 0
    .max_flat_workgroup_size: 256
    .name:           _ZN7rocprim17ROCPRIM_400000_NS6detail17trampoline_kernelINS0_13kernel_configILj256ELj4ELj4294967295EEENS1_37radix_sort_block_sort_config_selectorIjjEEZNS1_21radix_sort_block_sortIS4_Lb0EN6thrust23THRUST_200600_302600_NS6detail15normal_iteratorINS9_10device_ptrIjEEEESE_SE_SE_NS0_19identity_decomposerEEE10hipError_tT1_T2_T3_T4_jRjT5_jjP12ihipStream_tbEUlT_E_NS1_11comp_targetILNS1_3genE3ELNS1_11target_archE908ELNS1_3gpuE7ELNS1_3repE0EEENS1_44radix_sort_block_sort_config_static_selectorELNS0_4arch9wavefront6targetE1EEEvSH_
    .private_segment_fixed_size: 0
    .sgpr_count:     6
    .sgpr_spill_count: 0
    .symbol:         _ZN7rocprim17ROCPRIM_400000_NS6detail17trampoline_kernelINS0_13kernel_configILj256ELj4ELj4294967295EEENS1_37radix_sort_block_sort_config_selectorIjjEEZNS1_21radix_sort_block_sortIS4_Lb0EN6thrust23THRUST_200600_302600_NS6detail15normal_iteratorINS9_10device_ptrIjEEEESE_SE_SE_NS0_19identity_decomposerEEE10hipError_tT1_T2_T3_T4_jRjT5_jjP12ihipStream_tbEUlT_E_NS1_11comp_targetILNS1_3genE3ELNS1_11target_archE908ELNS1_3gpuE7ELNS1_3repE0EEENS1_44radix_sort_block_sort_config_static_selectorELNS0_4arch9wavefront6targetE1EEEvSH_.kd
    .uniform_work_group_size: 1
    .uses_dynamic_stack: false
    .vgpr_count:     0
    .vgpr_spill_count: 0
    .wavefront_size: 64
  - .agpr_count:     0
    .args:
      - .offset:         0
        .size:           48
        .value_kind:     by_value
    .group_segment_fixed_size: 0
    .kernarg_segment_align: 8
    .kernarg_segment_size: 48
    .language:       OpenCL C
    .language_version:
      - 2
      - 0
    .max_flat_workgroup_size: 256
    .name:           _ZN7rocprim17ROCPRIM_400000_NS6detail17trampoline_kernelINS0_13kernel_configILj256ELj4ELj4294967295EEENS1_37radix_sort_block_sort_config_selectorIjjEEZNS1_21radix_sort_block_sortIS4_Lb0EN6thrust23THRUST_200600_302600_NS6detail15normal_iteratorINS9_10device_ptrIjEEEESE_SE_SE_NS0_19identity_decomposerEEE10hipError_tT1_T2_T3_T4_jRjT5_jjP12ihipStream_tbEUlT_E_NS1_11comp_targetILNS1_3genE2ELNS1_11target_archE906ELNS1_3gpuE6ELNS1_3repE0EEENS1_44radix_sort_block_sort_config_static_selectorELNS0_4arch9wavefront6targetE1EEEvSH_
    .private_segment_fixed_size: 0
    .sgpr_count:     6
    .sgpr_spill_count: 0
    .symbol:         _ZN7rocprim17ROCPRIM_400000_NS6detail17trampoline_kernelINS0_13kernel_configILj256ELj4ELj4294967295EEENS1_37radix_sort_block_sort_config_selectorIjjEEZNS1_21radix_sort_block_sortIS4_Lb0EN6thrust23THRUST_200600_302600_NS6detail15normal_iteratorINS9_10device_ptrIjEEEESE_SE_SE_NS0_19identity_decomposerEEE10hipError_tT1_T2_T3_T4_jRjT5_jjP12ihipStream_tbEUlT_E_NS1_11comp_targetILNS1_3genE2ELNS1_11target_archE906ELNS1_3gpuE6ELNS1_3repE0EEENS1_44radix_sort_block_sort_config_static_selectorELNS0_4arch9wavefront6targetE1EEEvSH_.kd
    .uniform_work_group_size: 1
    .uses_dynamic_stack: false
    .vgpr_count:     0
    .vgpr_spill_count: 0
    .wavefront_size: 64
  - .agpr_count:     0
    .args:
      - .offset:         0
        .size:           48
        .value_kind:     by_value
    .group_segment_fixed_size: 0
    .kernarg_segment_align: 8
    .kernarg_segment_size: 48
    .language:       OpenCL C
    .language_version:
      - 2
      - 0
    .max_flat_workgroup_size: 256
    .name:           _ZN7rocprim17ROCPRIM_400000_NS6detail17trampoline_kernelINS0_13kernel_configILj256ELj4ELj4294967295EEENS1_37radix_sort_block_sort_config_selectorIjjEEZNS1_21radix_sort_block_sortIS4_Lb0EN6thrust23THRUST_200600_302600_NS6detail15normal_iteratorINS9_10device_ptrIjEEEESE_SE_SE_NS0_19identity_decomposerEEE10hipError_tT1_T2_T3_T4_jRjT5_jjP12ihipStream_tbEUlT_E_NS1_11comp_targetILNS1_3genE10ELNS1_11target_archE1201ELNS1_3gpuE5ELNS1_3repE0EEENS1_44radix_sort_block_sort_config_static_selectorELNS0_4arch9wavefront6targetE1EEEvSH_
    .private_segment_fixed_size: 0
    .sgpr_count:     6
    .sgpr_spill_count: 0
    .symbol:         _ZN7rocprim17ROCPRIM_400000_NS6detail17trampoline_kernelINS0_13kernel_configILj256ELj4ELj4294967295EEENS1_37radix_sort_block_sort_config_selectorIjjEEZNS1_21radix_sort_block_sortIS4_Lb0EN6thrust23THRUST_200600_302600_NS6detail15normal_iteratorINS9_10device_ptrIjEEEESE_SE_SE_NS0_19identity_decomposerEEE10hipError_tT1_T2_T3_T4_jRjT5_jjP12ihipStream_tbEUlT_E_NS1_11comp_targetILNS1_3genE10ELNS1_11target_archE1201ELNS1_3gpuE5ELNS1_3repE0EEENS1_44radix_sort_block_sort_config_static_selectorELNS0_4arch9wavefront6targetE1EEEvSH_.kd
    .uniform_work_group_size: 1
    .uses_dynamic_stack: false
    .vgpr_count:     0
    .vgpr_spill_count: 0
    .wavefront_size: 64
  - .agpr_count:     0
    .args:
      - .offset:         0
        .size:           48
        .value_kind:     by_value
    .group_segment_fixed_size: 0
    .kernarg_segment_align: 8
    .kernarg_segment_size: 48
    .language:       OpenCL C
    .language_version:
      - 2
      - 0
    .max_flat_workgroup_size: 256
    .name:           _ZN7rocprim17ROCPRIM_400000_NS6detail17trampoline_kernelINS0_13kernel_configILj256ELj4ELj4294967295EEENS1_37radix_sort_block_sort_config_selectorIjjEEZNS1_21radix_sort_block_sortIS4_Lb0EN6thrust23THRUST_200600_302600_NS6detail15normal_iteratorINS9_10device_ptrIjEEEESE_SE_SE_NS0_19identity_decomposerEEE10hipError_tT1_T2_T3_T4_jRjT5_jjP12ihipStream_tbEUlT_E_NS1_11comp_targetILNS1_3genE10ELNS1_11target_archE1200ELNS1_3gpuE4ELNS1_3repE0EEENS1_44radix_sort_block_sort_config_static_selectorELNS0_4arch9wavefront6targetE1EEEvSH_
    .private_segment_fixed_size: 0
    .sgpr_count:     6
    .sgpr_spill_count: 0
    .symbol:         _ZN7rocprim17ROCPRIM_400000_NS6detail17trampoline_kernelINS0_13kernel_configILj256ELj4ELj4294967295EEENS1_37radix_sort_block_sort_config_selectorIjjEEZNS1_21radix_sort_block_sortIS4_Lb0EN6thrust23THRUST_200600_302600_NS6detail15normal_iteratorINS9_10device_ptrIjEEEESE_SE_SE_NS0_19identity_decomposerEEE10hipError_tT1_T2_T3_T4_jRjT5_jjP12ihipStream_tbEUlT_E_NS1_11comp_targetILNS1_3genE10ELNS1_11target_archE1200ELNS1_3gpuE4ELNS1_3repE0EEENS1_44radix_sort_block_sort_config_static_selectorELNS0_4arch9wavefront6targetE1EEEvSH_.kd
    .uniform_work_group_size: 1
    .uses_dynamic_stack: false
    .vgpr_count:     0
    .vgpr_spill_count: 0
    .wavefront_size: 64
  - .agpr_count:     0
    .args:
      - .offset:         0
        .size:           48
        .value_kind:     by_value
    .group_segment_fixed_size: 0
    .kernarg_segment_align: 8
    .kernarg_segment_size: 48
    .language:       OpenCL C
    .language_version:
      - 2
      - 0
    .max_flat_workgroup_size: 256
    .name:           _ZN7rocprim17ROCPRIM_400000_NS6detail17trampoline_kernelINS0_13kernel_configILj256ELj4ELj4294967295EEENS1_37radix_sort_block_sort_config_selectorIjjEEZNS1_21radix_sort_block_sortIS4_Lb0EN6thrust23THRUST_200600_302600_NS6detail15normal_iteratorINS9_10device_ptrIjEEEESE_SE_SE_NS0_19identity_decomposerEEE10hipError_tT1_T2_T3_T4_jRjT5_jjP12ihipStream_tbEUlT_E_NS1_11comp_targetILNS1_3genE9ELNS1_11target_archE1100ELNS1_3gpuE3ELNS1_3repE0EEENS1_44radix_sort_block_sort_config_static_selectorELNS0_4arch9wavefront6targetE1EEEvSH_
    .private_segment_fixed_size: 0
    .sgpr_count:     6
    .sgpr_spill_count: 0
    .symbol:         _ZN7rocprim17ROCPRIM_400000_NS6detail17trampoline_kernelINS0_13kernel_configILj256ELj4ELj4294967295EEENS1_37radix_sort_block_sort_config_selectorIjjEEZNS1_21radix_sort_block_sortIS4_Lb0EN6thrust23THRUST_200600_302600_NS6detail15normal_iteratorINS9_10device_ptrIjEEEESE_SE_SE_NS0_19identity_decomposerEEE10hipError_tT1_T2_T3_T4_jRjT5_jjP12ihipStream_tbEUlT_E_NS1_11comp_targetILNS1_3genE9ELNS1_11target_archE1100ELNS1_3gpuE3ELNS1_3repE0EEENS1_44radix_sort_block_sort_config_static_selectorELNS0_4arch9wavefront6targetE1EEEvSH_.kd
    .uniform_work_group_size: 1
    .uses_dynamic_stack: false
    .vgpr_count:     0
    .vgpr_spill_count: 0
    .wavefront_size: 64
  - .agpr_count:     0
    .args:
      - .offset:         0
        .size:           48
        .value_kind:     by_value
    .group_segment_fixed_size: 0
    .kernarg_segment_align: 8
    .kernarg_segment_size: 48
    .language:       OpenCL C
    .language_version:
      - 2
      - 0
    .max_flat_workgroup_size: 256
    .name:           _ZN7rocprim17ROCPRIM_400000_NS6detail17trampoline_kernelINS0_13kernel_configILj256ELj4ELj4294967295EEENS1_37radix_sort_block_sort_config_selectorIjjEEZNS1_21radix_sort_block_sortIS4_Lb0EN6thrust23THRUST_200600_302600_NS6detail15normal_iteratorINS9_10device_ptrIjEEEESE_SE_SE_NS0_19identity_decomposerEEE10hipError_tT1_T2_T3_T4_jRjT5_jjP12ihipStream_tbEUlT_E_NS1_11comp_targetILNS1_3genE8ELNS1_11target_archE1030ELNS1_3gpuE2ELNS1_3repE0EEENS1_44radix_sort_block_sort_config_static_selectorELNS0_4arch9wavefront6targetE1EEEvSH_
    .private_segment_fixed_size: 0
    .sgpr_count:     6
    .sgpr_spill_count: 0
    .symbol:         _ZN7rocprim17ROCPRIM_400000_NS6detail17trampoline_kernelINS0_13kernel_configILj256ELj4ELj4294967295EEENS1_37radix_sort_block_sort_config_selectorIjjEEZNS1_21radix_sort_block_sortIS4_Lb0EN6thrust23THRUST_200600_302600_NS6detail15normal_iteratorINS9_10device_ptrIjEEEESE_SE_SE_NS0_19identity_decomposerEEE10hipError_tT1_T2_T3_T4_jRjT5_jjP12ihipStream_tbEUlT_E_NS1_11comp_targetILNS1_3genE8ELNS1_11target_archE1030ELNS1_3gpuE2ELNS1_3repE0EEENS1_44radix_sort_block_sort_config_static_selectorELNS0_4arch9wavefront6targetE1EEEvSH_.kd
    .uniform_work_group_size: 1
    .uses_dynamic_stack: false
    .vgpr_count:     0
    .vgpr_spill_count: 0
    .wavefront_size: 64
  - .agpr_count:     0
    .args:           []
    .group_segment_fixed_size: 0
    .kernarg_segment_align: 4
    .kernarg_segment_size: 0
    .language:       OpenCL C
    .language_version:
      - 2
      - 0
    .max_flat_workgroup_size: 1024
    .name:           _ZN7rocprim17ROCPRIM_400000_NS6detail44device_merge_sort_compile_time_verifier_archINS1_11comp_targetILNS1_3genE0ELNS1_11target_archE4294967295ELNS1_3gpuE0ELNS1_3repE0EEES8_NS1_28merge_sort_block_sort_configILj256ELj4ELNS0_20block_sort_algorithmE0EEENS0_14default_configENS1_37merge_sort_block_sort_config_selectorIjjEENS1_38merge_sort_block_merge_config_selectorIjjEEEEvv
    .private_segment_fixed_size: 0
    .sgpr_count:     6
    .sgpr_spill_count: 0
    .symbol:         _ZN7rocprim17ROCPRIM_400000_NS6detail44device_merge_sort_compile_time_verifier_archINS1_11comp_targetILNS1_3genE0ELNS1_11target_archE4294967295ELNS1_3gpuE0ELNS1_3repE0EEES8_NS1_28merge_sort_block_sort_configILj256ELj4ELNS0_20block_sort_algorithmE0EEENS0_14default_configENS1_37merge_sort_block_sort_config_selectorIjjEENS1_38merge_sort_block_merge_config_selectorIjjEEEEvv.kd
    .uniform_work_group_size: 1
    .uses_dynamic_stack: false
    .vgpr_count:     0
    .vgpr_spill_count: 0
    .wavefront_size: 64
  - .agpr_count:     0
    .args:           []
    .group_segment_fixed_size: 0
    .kernarg_segment_align: 4
    .kernarg_segment_size: 0
    .language:       OpenCL C
    .language_version:
      - 2
      - 0
    .max_flat_workgroup_size: 1024
    .name:           _ZN7rocprim17ROCPRIM_400000_NS6detail44device_merge_sort_compile_time_verifier_archINS1_11comp_targetILNS1_3genE5ELNS1_11target_archE942ELNS1_3gpuE9ELNS1_3repE0EEES8_NS1_28merge_sort_block_sort_configILj256ELj4ELNS0_20block_sort_algorithmE0EEENS0_14default_configENS1_37merge_sort_block_sort_config_selectorIjjEENS1_38merge_sort_block_merge_config_selectorIjjEEEEvv
    .private_segment_fixed_size: 0
    .sgpr_count:     6
    .sgpr_spill_count: 0
    .symbol:         _ZN7rocprim17ROCPRIM_400000_NS6detail44device_merge_sort_compile_time_verifier_archINS1_11comp_targetILNS1_3genE5ELNS1_11target_archE942ELNS1_3gpuE9ELNS1_3repE0EEES8_NS1_28merge_sort_block_sort_configILj256ELj4ELNS0_20block_sort_algorithmE0EEENS0_14default_configENS1_37merge_sort_block_sort_config_selectorIjjEENS1_38merge_sort_block_merge_config_selectorIjjEEEEvv.kd
    .uniform_work_group_size: 1
    .uses_dynamic_stack: false
    .vgpr_count:     0
    .vgpr_spill_count: 0
    .wavefront_size: 64
  - .agpr_count:     0
    .args:           []
    .group_segment_fixed_size: 0
    .kernarg_segment_align: 4
    .kernarg_segment_size: 0
    .language:       OpenCL C
    .language_version:
      - 2
      - 0
    .max_flat_workgroup_size: 1024
    .name:           _ZN7rocprim17ROCPRIM_400000_NS6detail44device_merge_sort_compile_time_verifier_archINS1_11comp_targetILNS1_3genE4ELNS1_11target_archE910ELNS1_3gpuE8ELNS1_3repE0EEES8_NS1_28merge_sort_block_sort_configILj256ELj4ELNS0_20block_sort_algorithmE0EEENS0_14default_configENS1_37merge_sort_block_sort_config_selectorIjjEENS1_38merge_sort_block_merge_config_selectorIjjEEEEvv
    .private_segment_fixed_size: 0
    .sgpr_count:     6
    .sgpr_spill_count: 0
    .symbol:         _ZN7rocprim17ROCPRIM_400000_NS6detail44device_merge_sort_compile_time_verifier_archINS1_11comp_targetILNS1_3genE4ELNS1_11target_archE910ELNS1_3gpuE8ELNS1_3repE0EEES8_NS1_28merge_sort_block_sort_configILj256ELj4ELNS0_20block_sort_algorithmE0EEENS0_14default_configENS1_37merge_sort_block_sort_config_selectorIjjEENS1_38merge_sort_block_merge_config_selectorIjjEEEEvv.kd
    .uniform_work_group_size: 1
    .uses_dynamic_stack: false
    .vgpr_count:     0
    .vgpr_spill_count: 0
    .wavefront_size: 64
  - .agpr_count:     0
    .args:           []
    .group_segment_fixed_size: 0
    .kernarg_segment_align: 4
    .kernarg_segment_size: 0
    .language:       OpenCL C
    .language_version:
      - 2
      - 0
    .max_flat_workgroup_size: 1024
    .name:           _ZN7rocprim17ROCPRIM_400000_NS6detail44device_merge_sort_compile_time_verifier_archINS1_11comp_targetILNS1_3genE3ELNS1_11target_archE908ELNS1_3gpuE7ELNS1_3repE0EEES8_NS1_28merge_sort_block_sort_configILj256ELj4ELNS0_20block_sort_algorithmE0EEENS0_14default_configENS1_37merge_sort_block_sort_config_selectorIjjEENS1_38merge_sort_block_merge_config_selectorIjjEEEEvv
    .private_segment_fixed_size: 0
    .sgpr_count:     6
    .sgpr_spill_count: 0
    .symbol:         _ZN7rocprim17ROCPRIM_400000_NS6detail44device_merge_sort_compile_time_verifier_archINS1_11comp_targetILNS1_3genE3ELNS1_11target_archE908ELNS1_3gpuE7ELNS1_3repE0EEES8_NS1_28merge_sort_block_sort_configILj256ELj4ELNS0_20block_sort_algorithmE0EEENS0_14default_configENS1_37merge_sort_block_sort_config_selectorIjjEENS1_38merge_sort_block_merge_config_selectorIjjEEEEvv.kd
    .uniform_work_group_size: 1
    .uses_dynamic_stack: false
    .vgpr_count:     0
    .vgpr_spill_count: 0
    .wavefront_size: 64
  - .agpr_count:     0
    .args:           []
    .group_segment_fixed_size: 0
    .kernarg_segment_align: 4
    .kernarg_segment_size: 0
    .language:       OpenCL C
    .language_version:
      - 2
      - 0
    .max_flat_workgroup_size: 1024
    .name:           _ZN7rocprim17ROCPRIM_400000_NS6detail44device_merge_sort_compile_time_verifier_archINS1_11comp_targetILNS1_3genE2ELNS1_11target_archE906ELNS1_3gpuE6ELNS1_3repE0EEES8_NS1_28merge_sort_block_sort_configILj256ELj4ELNS0_20block_sort_algorithmE0EEENS0_14default_configENS1_37merge_sort_block_sort_config_selectorIjjEENS1_38merge_sort_block_merge_config_selectorIjjEEEEvv
    .private_segment_fixed_size: 0
    .sgpr_count:     6
    .sgpr_spill_count: 0
    .symbol:         _ZN7rocprim17ROCPRIM_400000_NS6detail44device_merge_sort_compile_time_verifier_archINS1_11comp_targetILNS1_3genE2ELNS1_11target_archE906ELNS1_3gpuE6ELNS1_3repE0EEES8_NS1_28merge_sort_block_sort_configILj256ELj4ELNS0_20block_sort_algorithmE0EEENS0_14default_configENS1_37merge_sort_block_sort_config_selectorIjjEENS1_38merge_sort_block_merge_config_selectorIjjEEEEvv.kd
    .uniform_work_group_size: 1
    .uses_dynamic_stack: false
    .vgpr_count:     0
    .vgpr_spill_count: 0
    .wavefront_size: 64
  - .agpr_count:     0
    .args:           []
    .group_segment_fixed_size: 0
    .kernarg_segment_align: 4
    .kernarg_segment_size: 0
    .language:       OpenCL C
    .language_version:
      - 2
      - 0
    .max_flat_workgroup_size: 1024
    .name:           _ZN7rocprim17ROCPRIM_400000_NS6detail44device_merge_sort_compile_time_verifier_archINS1_11comp_targetILNS1_3genE10ELNS1_11target_archE1201ELNS1_3gpuE5ELNS1_3repE0EEES8_NS1_28merge_sort_block_sort_configILj256ELj4ELNS0_20block_sort_algorithmE0EEENS0_14default_configENS1_37merge_sort_block_sort_config_selectorIjjEENS1_38merge_sort_block_merge_config_selectorIjjEEEEvv
    .private_segment_fixed_size: 0
    .sgpr_count:     6
    .sgpr_spill_count: 0
    .symbol:         _ZN7rocprim17ROCPRIM_400000_NS6detail44device_merge_sort_compile_time_verifier_archINS1_11comp_targetILNS1_3genE10ELNS1_11target_archE1201ELNS1_3gpuE5ELNS1_3repE0EEES8_NS1_28merge_sort_block_sort_configILj256ELj4ELNS0_20block_sort_algorithmE0EEENS0_14default_configENS1_37merge_sort_block_sort_config_selectorIjjEENS1_38merge_sort_block_merge_config_selectorIjjEEEEvv.kd
    .uniform_work_group_size: 1
    .uses_dynamic_stack: false
    .vgpr_count:     0
    .vgpr_spill_count: 0
    .wavefront_size: 64
  - .agpr_count:     0
    .args:           []
    .group_segment_fixed_size: 0
    .kernarg_segment_align: 4
    .kernarg_segment_size: 0
    .language:       OpenCL C
    .language_version:
      - 2
      - 0
    .max_flat_workgroup_size: 1024
    .name:           _ZN7rocprim17ROCPRIM_400000_NS6detail44device_merge_sort_compile_time_verifier_archINS1_11comp_targetILNS1_3genE10ELNS1_11target_archE1200ELNS1_3gpuE4ELNS1_3repE0EEENS3_ILS4_10ELS5_1201ELS6_5ELS7_0EEENS1_28merge_sort_block_sort_configILj256ELj4ELNS0_20block_sort_algorithmE0EEENS0_14default_configENS1_37merge_sort_block_sort_config_selectorIjjEENS1_38merge_sort_block_merge_config_selectorIjjEEEEvv
    .private_segment_fixed_size: 0
    .sgpr_count:     6
    .sgpr_spill_count: 0
    .symbol:         _ZN7rocprim17ROCPRIM_400000_NS6detail44device_merge_sort_compile_time_verifier_archINS1_11comp_targetILNS1_3genE10ELNS1_11target_archE1200ELNS1_3gpuE4ELNS1_3repE0EEENS3_ILS4_10ELS5_1201ELS6_5ELS7_0EEENS1_28merge_sort_block_sort_configILj256ELj4ELNS0_20block_sort_algorithmE0EEENS0_14default_configENS1_37merge_sort_block_sort_config_selectorIjjEENS1_38merge_sort_block_merge_config_selectorIjjEEEEvv.kd
    .uniform_work_group_size: 1
    .uses_dynamic_stack: false
    .vgpr_count:     0
    .vgpr_spill_count: 0
    .wavefront_size: 64
  - .agpr_count:     0
    .args:           []
    .group_segment_fixed_size: 0
    .kernarg_segment_align: 4
    .kernarg_segment_size: 0
    .language:       OpenCL C
    .language_version:
      - 2
      - 0
    .max_flat_workgroup_size: 1024
    .name:           _ZN7rocprim17ROCPRIM_400000_NS6detail44device_merge_sort_compile_time_verifier_archINS1_11comp_targetILNS1_3genE9ELNS1_11target_archE1100ELNS1_3gpuE3ELNS1_3repE0EEES8_NS1_28merge_sort_block_sort_configILj256ELj4ELNS0_20block_sort_algorithmE0EEENS0_14default_configENS1_37merge_sort_block_sort_config_selectorIjjEENS1_38merge_sort_block_merge_config_selectorIjjEEEEvv
    .private_segment_fixed_size: 0
    .sgpr_count:     6
    .sgpr_spill_count: 0
    .symbol:         _ZN7rocprim17ROCPRIM_400000_NS6detail44device_merge_sort_compile_time_verifier_archINS1_11comp_targetILNS1_3genE9ELNS1_11target_archE1100ELNS1_3gpuE3ELNS1_3repE0EEES8_NS1_28merge_sort_block_sort_configILj256ELj4ELNS0_20block_sort_algorithmE0EEENS0_14default_configENS1_37merge_sort_block_sort_config_selectorIjjEENS1_38merge_sort_block_merge_config_selectorIjjEEEEvv.kd
    .uniform_work_group_size: 1
    .uses_dynamic_stack: false
    .vgpr_count:     0
    .vgpr_spill_count: 0
    .wavefront_size: 64
  - .agpr_count:     0
    .args:           []
    .group_segment_fixed_size: 0
    .kernarg_segment_align: 4
    .kernarg_segment_size: 0
    .language:       OpenCL C
    .language_version:
      - 2
      - 0
    .max_flat_workgroup_size: 1024
    .name:           _ZN7rocprim17ROCPRIM_400000_NS6detail44device_merge_sort_compile_time_verifier_archINS1_11comp_targetILNS1_3genE8ELNS1_11target_archE1030ELNS1_3gpuE2ELNS1_3repE0EEES8_NS1_28merge_sort_block_sort_configILj256ELj4ELNS0_20block_sort_algorithmE0EEENS0_14default_configENS1_37merge_sort_block_sort_config_selectorIjjEENS1_38merge_sort_block_merge_config_selectorIjjEEEEvv
    .private_segment_fixed_size: 0
    .sgpr_count:     6
    .sgpr_spill_count: 0
    .symbol:         _ZN7rocprim17ROCPRIM_400000_NS6detail44device_merge_sort_compile_time_verifier_archINS1_11comp_targetILNS1_3genE8ELNS1_11target_archE1030ELNS1_3gpuE2ELNS1_3repE0EEES8_NS1_28merge_sort_block_sort_configILj256ELj4ELNS0_20block_sort_algorithmE0EEENS0_14default_configENS1_37merge_sort_block_sort_config_selectorIjjEENS1_38merge_sort_block_merge_config_selectorIjjEEEEvv.kd
    .uniform_work_group_size: 1
    .uses_dynamic_stack: false
    .vgpr_count:     0
    .vgpr_spill_count: 0
    .wavefront_size: 64
  - .agpr_count:     0
    .args:
      - .offset:         0
        .size:           40
        .value_kind:     by_value
    .group_segment_fixed_size: 0
    .kernarg_segment_align: 8
    .kernarg_segment_size: 40
    .language:       OpenCL C
    .language_version:
      - 2
      - 0
    .max_flat_workgroup_size: 128
    .name:           _ZN7rocprim17ROCPRIM_400000_NS6detail17trampoline_kernelINS0_14default_configENS1_38merge_sort_block_merge_config_selectorIjjEEZZNS1_27merge_sort_block_merge_implIS3_N6thrust23THRUST_200600_302600_NS6detail15normal_iteratorINS8_10device_ptrIjEEEESD_jNS1_19radix_merge_compareILb0ELb0EjNS0_19identity_decomposerEEEEE10hipError_tT0_T1_T2_jT3_P12ihipStream_tbPNSt15iterator_traitsISI_E10value_typeEPNSO_ISJ_E10value_typeEPSK_NS1_7vsmem_tEENKUlT_SI_SJ_SK_E_clIPjSD_S10_SD_EESH_SX_SI_SJ_SK_EUlSX_E_NS1_11comp_targetILNS1_3genE0ELNS1_11target_archE4294967295ELNS1_3gpuE0ELNS1_3repE0EEENS1_48merge_mergepath_partition_config_static_selectorELNS0_4arch9wavefront6targetE1EEEvSJ_
    .private_segment_fixed_size: 0
    .sgpr_count:     14
    .sgpr_spill_count: 0
    .symbol:         _ZN7rocprim17ROCPRIM_400000_NS6detail17trampoline_kernelINS0_14default_configENS1_38merge_sort_block_merge_config_selectorIjjEEZZNS1_27merge_sort_block_merge_implIS3_N6thrust23THRUST_200600_302600_NS6detail15normal_iteratorINS8_10device_ptrIjEEEESD_jNS1_19radix_merge_compareILb0ELb0EjNS0_19identity_decomposerEEEEE10hipError_tT0_T1_T2_jT3_P12ihipStream_tbPNSt15iterator_traitsISI_E10value_typeEPNSO_ISJ_E10value_typeEPSK_NS1_7vsmem_tEENKUlT_SI_SJ_SK_E_clIPjSD_S10_SD_EESH_SX_SI_SJ_SK_EUlSX_E_NS1_11comp_targetILNS1_3genE0ELNS1_11target_archE4294967295ELNS1_3gpuE0ELNS1_3repE0EEENS1_48merge_mergepath_partition_config_static_selectorELNS0_4arch9wavefront6targetE1EEEvSJ_.kd
    .uniform_work_group_size: 1
    .uses_dynamic_stack: false
    .vgpr_count:     17
    .vgpr_spill_count: 0
    .wavefront_size: 64
  - .agpr_count:     0
    .args:
      - .offset:         0
        .size:           40
        .value_kind:     by_value
    .group_segment_fixed_size: 0
    .kernarg_segment_align: 8
    .kernarg_segment_size: 40
    .language:       OpenCL C
    .language_version:
      - 2
      - 0
    .max_flat_workgroup_size: 128
    .name:           _ZN7rocprim17ROCPRIM_400000_NS6detail17trampoline_kernelINS0_14default_configENS1_38merge_sort_block_merge_config_selectorIjjEEZZNS1_27merge_sort_block_merge_implIS3_N6thrust23THRUST_200600_302600_NS6detail15normal_iteratorINS8_10device_ptrIjEEEESD_jNS1_19radix_merge_compareILb0ELb0EjNS0_19identity_decomposerEEEEE10hipError_tT0_T1_T2_jT3_P12ihipStream_tbPNSt15iterator_traitsISI_E10value_typeEPNSO_ISJ_E10value_typeEPSK_NS1_7vsmem_tEENKUlT_SI_SJ_SK_E_clIPjSD_S10_SD_EESH_SX_SI_SJ_SK_EUlSX_E_NS1_11comp_targetILNS1_3genE10ELNS1_11target_archE1201ELNS1_3gpuE5ELNS1_3repE0EEENS1_48merge_mergepath_partition_config_static_selectorELNS0_4arch9wavefront6targetE1EEEvSJ_
    .private_segment_fixed_size: 0
    .sgpr_count:     6
    .sgpr_spill_count: 0
    .symbol:         _ZN7rocprim17ROCPRIM_400000_NS6detail17trampoline_kernelINS0_14default_configENS1_38merge_sort_block_merge_config_selectorIjjEEZZNS1_27merge_sort_block_merge_implIS3_N6thrust23THRUST_200600_302600_NS6detail15normal_iteratorINS8_10device_ptrIjEEEESD_jNS1_19radix_merge_compareILb0ELb0EjNS0_19identity_decomposerEEEEE10hipError_tT0_T1_T2_jT3_P12ihipStream_tbPNSt15iterator_traitsISI_E10value_typeEPNSO_ISJ_E10value_typeEPSK_NS1_7vsmem_tEENKUlT_SI_SJ_SK_E_clIPjSD_S10_SD_EESH_SX_SI_SJ_SK_EUlSX_E_NS1_11comp_targetILNS1_3genE10ELNS1_11target_archE1201ELNS1_3gpuE5ELNS1_3repE0EEENS1_48merge_mergepath_partition_config_static_selectorELNS0_4arch9wavefront6targetE1EEEvSJ_.kd
    .uniform_work_group_size: 1
    .uses_dynamic_stack: false
    .vgpr_count:     0
    .vgpr_spill_count: 0
    .wavefront_size: 64
  - .agpr_count:     0
    .args:
      - .offset:         0
        .size:           40
        .value_kind:     by_value
    .group_segment_fixed_size: 0
    .kernarg_segment_align: 8
    .kernarg_segment_size: 40
    .language:       OpenCL C
    .language_version:
      - 2
      - 0
    .max_flat_workgroup_size: 128
    .name:           _ZN7rocprim17ROCPRIM_400000_NS6detail17trampoline_kernelINS0_14default_configENS1_38merge_sort_block_merge_config_selectorIjjEEZZNS1_27merge_sort_block_merge_implIS3_N6thrust23THRUST_200600_302600_NS6detail15normal_iteratorINS8_10device_ptrIjEEEESD_jNS1_19radix_merge_compareILb0ELb0EjNS0_19identity_decomposerEEEEE10hipError_tT0_T1_T2_jT3_P12ihipStream_tbPNSt15iterator_traitsISI_E10value_typeEPNSO_ISJ_E10value_typeEPSK_NS1_7vsmem_tEENKUlT_SI_SJ_SK_E_clIPjSD_S10_SD_EESH_SX_SI_SJ_SK_EUlSX_E_NS1_11comp_targetILNS1_3genE5ELNS1_11target_archE942ELNS1_3gpuE9ELNS1_3repE0EEENS1_48merge_mergepath_partition_config_static_selectorELNS0_4arch9wavefront6targetE1EEEvSJ_
    .private_segment_fixed_size: 0
    .sgpr_count:     6
    .sgpr_spill_count: 0
    .symbol:         _ZN7rocprim17ROCPRIM_400000_NS6detail17trampoline_kernelINS0_14default_configENS1_38merge_sort_block_merge_config_selectorIjjEEZZNS1_27merge_sort_block_merge_implIS3_N6thrust23THRUST_200600_302600_NS6detail15normal_iteratorINS8_10device_ptrIjEEEESD_jNS1_19radix_merge_compareILb0ELb0EjNS0_19identity_decomposerEEEEE10hipError_tT0_T1_T2_jT3_P12ihipStream_tbPNSt15iterator_traitsISI_E10value_typeEPNSO_ISJ_E10value_typeEPSK_NS1_7vsmem_tEENKUlT_SI_SJ_SK_E_clIPjSD_S10_SD_EESH_SX_SI_SJ_SK_EUlSX_E_NS1_11comp_targetILNS1_3genE5ELNS1_11target_archE942ELNS1_3gpuE9ELNS1_3repE0EEENS1_48merge_mergepath_partition_config_static_selectorELNS0_4arch9wavefront6targetE1EEEvSJ_.kd
    .uniform_work_group_size: 1
    .uses_dynamic_stack: false
    .vgpr_count:     0
    .vgpr_spill_count: 0
    .wavefront_size: 64
  - .agpr_count:     0
    .args:
      - .offset:         0
        .size:           40
        .value_kind:     by_value
    .group_segment_fixed_size: 0
    .kernarg_segment_align: 8
    .kernarg_segment_size: 40
    .language:       OpenCL C
    .language_version:
      - 2
      - 0
    .max_flat_workgroup_size: 128
    .name:           _ZN7rocprim17ROCPRIM_400000_NS6detail17trampoline_kernelINS0_14default_configENS1_38merge_sort_block_merge_config_selectorIjjEEZZNS1_27merge_sort_block_merge_implIS3_N6thrust23THRUST_200600_302600_NS6detail15normal_iteratorINS8_10device_ptrIjEEEESD_jNS1_19radix_merge_compareILb0ELb0EjNS0_19identity_decomposerEEEEE10hipError_tT0_T1_T2_jT3_P12ihipStream_tbPNSt15iterator_traitsISI_E10value_typeEPNSO_ISJ_E10value_typeEPSK_NS1_7vsmem_tEENKUlT_SI_SJ_SK_E_clIPjSD_S10_SD_EESH_SX_SI_SJ_SK_EUlSX_E_NS1_11comp_targetILNS1_3genE4ELNS1_11target_archE910ELNS1_3gpuE8ELNS1_3repE0EEENS1_48merge_mergepath_partition_config_static_selectorELNS0_4arch9wavefront6targetE1EEEvSJ_
    .private_segment_fixed_size: 0
    .sgpr_count:     6
    .sgpr_spill_count: 0
    .symbol:         _ZN7rocprim17ROCPRIM_400000_NS6detail17trampoline_kernelINS0_14default_configENS1_38merge_sort_block_merge_config_selectorIjjEEZZNS1_27merge_sort_block_merge_implIS3_N6thrust23THRUST_200600_302600_NS6detail15normal_iteratorINS8_10device_ptrIjEEEESD_jNS1_19radix_merge_compareILb0ELb0EjNS0_19identity_decomposerEEEEE10hipError_tT0_T1_T2_jT3_P12ihipStream_tbPNSt15iterator_traitsISI_E10value_typeEPNSO_ISJ_E10value_typeEPSK_NS1_7vsmem_tEENKUlT_SI_SJ_SK_E_clIPjSD_S10_SD_EESH_SX_SI_SJ_SK_EUlSX_E_NS1_11comp_targetILNS1_3genE4ELNS1_11target_archE910ELNS1_3gpuE8ELNS1_3repE0EEENS1_48merge_mergepath_partition_config_static_selectorELNS0_4arch9wavefront6targetE1EEEvSJ_.kd
    .uniform_work_group_size: 1
    .uses_dynamic_stack: false
    .vgpr_count:     0
    .vgpr_spill_count: 0
    .wavefront_size: 64
  - .agpr_count:     0
    .args:
      - .offset:         0
        .size:           40
        .value_kind:     by_value
    .group_segment_fixed_size: 0
    .kernarg_segment_align: 8
    .kernarg_segment_size: 40
    .language:       OpenCL C
    .language_version:
      - 2
      - 0
    .max_flat_workgroup_size: 128
    .name:           _ZN7rocprim17ROCPRIM_400000_NS6detail17trampoline_kernelINS0_14default_configENS1_38merge_sort_block_merge_config_selectorIjjEEZZNS1_27merge_sort_block_merge_implIS3_N6thrust23THRUST_200600_302600_NS6detail15normal_iteratorINS8_10device_ptrIjEEEESD_jNS1_19radix_merge_compareILb0ELb0EjNS0_19identity_decomposerEEEEE10hipError_tT0_T1_T2_jT3_P12ihipStream_tbPNSt15iterator_traitsISI_E10value_typeEPNSO_ISJ_E10value_typeEPSK_NS1_7vsmem_tEENKUlT_SI_SJ_SK_E_clIPjSD_S10_SD_EESH_SX_SI_SJ_SK_EUlSX_E_NS1_11comp_targetILNS1_3genE3ELNS1_11target_archE908ELNS1_3gpuE7ELNS1_3repE0EEENS1_48merge_mergepath_partition_config_static_selectorELNS0_4arch9wavefront6targetE1EEEvSJ_
    .private_segment_fixed_size: 0
    .sgpr_count:     6
    .sgpr_spill_count: 0
    .symbol:         _ZN7rocprim17ROCPRIM_400000_NS6detail17trampoline_kernelINS0_14default_configENS1_38merge_sort_block_merge_config_selectorIjjEEZZNS1_27merge_sort_block_merge_implIS3_N6thrust23THRUST_200600_302600_NS6detail15normal_iteratorINS8_10device_ptrIjEEEESD_jNS1_19radix_merge_compareILb0ELb0EjNS0_19identity_decomposerEEEEE10hipError_tT0_T1_T2_jT3_P12ihipStream_tbPNSt15iterator_traitsISI_E10value_typeEPNSO_ISJ_E10value_typeEPSK_NS1_7vsmem_tEENKUlT_SI_SJ_SK_E_clIPjSD_S10_SD_EESH_SX_SI_SJ_SK_EUlSX_E_NS1_11comp_targetILNS1_3genE3ELNS1_11target_archE908ELNS1_3gpuE7ELNS1_3repE0EEENS1_48merge_mergepath_partition_config_static_selectorELNS0_4arch9wavefront6targetE1EEEvSJ_.kd
    .uniform_work_group_size: 1
    .uses_dynamic_stack: false
    .vgpr_count:     0
    .vgpr_spill_count: 0
    .wavefront_size: 64
  - .agpr_count:     0
    .args:
      - .offset:         0
        .size:           40
        .value_kind:     by_value
    .group_segment_fixed_size: 0
    .kernarg_segment_align: 8
    .kernarg_segment_size: 40
    .language:       OpenCL C
    .language_version:
      - 2
      - 0
    .max_flat_workgroup_size: 128
    .name:           _ZN7rocprim17ROCPRIM_400000_NS6detail17trampoline_kernelINS0_14default_configENS1_38merge_sort_block_merge_config_selectorIjjEEZZNS1_27merge_sort_block_merge_implIS3_N6thrust23THRUST_200600_302600_NS6detail15normal_iteratorINS8_10device_ptrIjEEEESD_jNS1_19radix_merge_compareILb0ELb0EjNS0_19identity_decomposerEEEEE10hipError_tT0_T1_T2_jT3_P12ihipStream_tbPNSt15iterator_traitsISI_E10value_typeEPNSO_ISJ_E10value_typeEPSK_NS1_7vsmem_tEENKUlT_SI_SJ_SK_E_clIPjSD_S10_SD_EESH_SX_SI_SJ_SK_EUlSX_E_NS1_11comp_targetILNS1_3genE2ELNS1_11target_archE906ELNS1_3gpuE6ELNS1_3repE0EEENS1_48merge_mergepath_partition_config_static_selectorELNS0_4arch9wavefront6targetE1EEEvSJ_
    .private_segment_fixed_size: 0
    .sgpr_count:     6
    .sgpr_spill_count: 0
    .symbol:         _ZN7rocprim17ROCPRIM_400000_NS6detail17trampoline_kernelINS0_14default_configENS1_38merge_sort_block_merge_config_selectorIjjEEZZNS1_27merge_sort_block_merge_implIS3_N6thrust23THRUST_200600_302600_NS6detail15normal_iteratorINS8_10device_ptrIjEEEESD_jNS1_19radix_merge_compareILb0ELb0EjNS0_19identity_decomposerEEEEE10hipError_tT0_T1_T2_jT3_P12ihipStream_tbPNSt15iterator_traitsISI_E10value_typeEPNSO_ISJ_E10value_typeEPSK_NS1_7vsmem_tEENKUlT_SI_SJ_SK_E_clIPjSD_S10_SD_EESH_SX_SI_SJ_SK_EUlSX_E_NS1_11comp_targetILNS1_3genE2ELNS1_11target_archE906ELNS1_3gpuE6ELNS1_3repE0EEENS1_48merge_mergepath_partition_config_static_selectorELNS0_4arch9wavefront6targetE1EEEvSJ_.kd
    .uniform_work_group_size: 1
    .uses_dynamic_stack: false
    .vgpr_count:     0
    .vgpr_spill_count: 0
    .wavefront_size: 64
  - .agpr_count:     0
    .args:
      - .offset:         0
        .size:           40
        .value_kind:     by_value
    .group_segment_fixed_size: 0
    .kernarg_segment_align: 8
    .kernarg_segment_size: 40
    .language:       OpenCL C
    .language_version:
      - 2
      - 0
    .max_flat_workgroup_size: 128
    .name:           _ZN7rocprim17ROCPRIM_400000_NS6detail17trampoline_kernelINS0_14default_configENS1_38merge_sort_block_merge_config_selectorIjjEEZZNS1_27merge_sort_block_merge_implIS3_N6thrust23THRUST_200600_302600_NS6detail15normal_iteratorINS8_10device_ptrIjEEEESD_jNS1_19radix_merge_compareILb0ELb0EjNS0_19identity_decomposerEEEEE10hipError_tT0_T1_T2_jT3_P12ihipStream_tbPNSt15iterator_traitsISI_E10value_typeEPNSO_ISJ_E10value_typeEPSK_NS1_7vsmem_tEENKUlT_SI_SJ_SK_E_clIPjSD_S10_SD_EESH_SX_SI_SJ_SK_EUlSX_E_NS1_11comp_targetILNS1_3genE9ELNS1_11target_archE1100ELNS1_3gpuE3ELNS1_3repE0EEENS1_48merge_mergepath_partition_config_static_selectorELNS0_4arch9wavefront6targetE1EEEvSJ_
    .private_segment_fixed_size: 0
    .sgpr_count:     6
    .sgpr_spill_count: 0
    .symbol:         _ZN7rocprim17ROCPRIM_400000_NS6detail17trampoline_kernelINS0_14default_configENS1_38merge_sort_block_merge_config_selectorIjjEEZZNS1_27merge_sort_block_merge_implIS3_N6thrust23THRUST_200600_302600_NS6detail15normal_iteratorINS8_10device_ptrIjEEEESD_jNS1_19radix_merge_compareILb0ELb0EjNS0_19identity_decomposerEEEEE10hipError_tT0_T1_T2_jT3_P12ihipStream_tbPNSt15iterator_traitsISI_E10value_typeEPNSO_ISJ_E10value_typeEPSK_NS1_7vsmem_tEENKUlT_SI_SJ_SK_E_clIPjSD_S10_SD_EESH_SX_SI_SJ_SK_EUlSX_E_NS1_11comp_targetILNS1_3genE9ELNS1_11target_archE1100ELNS1_3gpuE3ELNS1_3repE0EEENS1_48merge_mergepath_partition_config_static_selectorELNS0_4arch9wavefront6targetE1EEEvSJ_.kd
    .uniform_work_group_size: 1
    .uses_dynamic_stack: false
    .vgpr_count:     0
    .vgpr_spill_count: 0
    .wavefront_size: 64
  - .agpr_count:     0
    .args:
      - .offset:         0
        .size:           40
        .value_kind:     by_value
    .group_segment_fixed_size: 0
    .kernarg_segment_align: 8
    .kernarg_segment_size: 40
    .language:       OpenCL C
    .language_version:
      - 2
      - 0
    .max_flat_workgroup_size: 128
    .name:           _ZN7rocprim17ROCPRIM_400000_NS6detail17trampoline_kernelINS0_14default_configENS1_38merge_sort_block_merge_config_selectorIjjEEZZNS1_27merge_sort_block_merge_implIS3_N6thrust23THRUST_200600_302600_NS6detail15normal_iteratorINS8_10device_ptrIjEEEESD_jNS1_19radix_merge_compareILb0ELb0EjNS0_19identity_decomposerEEEEE10hipError_tT0_T1_T2_jT3_P12ihipStream_tbPNSt15iterator_traitsISI_E10value_typeEPNSO_ISJ_E10value_typeEPSK_NS1_7vsmem_tEENKUlT_SI_SJ_SK_E_clIPjSD_S10_SD_EESH_SX_SI_SJ_SK_EUlSX_E_NS1_11comp_targetILNS1_3genE8ELNS1_11target_archE1030ELNS1_3gpuE2ELNS1_3repE0EEENS1_48merge_mergepath_partition_config_static_selectorELNS0_4arch9wavefront6targetE1EEEvSJ_
    .private_segment_fixed_size: 0
    .sgpr_count:     6
    .sgpr_spill_count: 0
    .symbol:         _ZN7rocprim17ROCPRIM_400000_NS6detail17trampoline_kernelINS0_14default_configENS1_38merge_sort_block_merge_config_selectorIjjEEZZNS1_27merge_sort_block_merge_implIS3_N6thrust23THRUST_200600_302600_NS6detail15normal_iteratorINS8_10device_ptrIjEEEESD_jNS1_19radix_merge_compareILb0ELb0EjNS0_19identity_decomposerEEEEE10hipError_tT0_T1_T2_jT3_P12ihipStream_tbPNSt15iterator_traitsISI_E10value_typeEPNSO_ISJ_E10value_typeEPSK_NS1_7vsmem_tEENKUlT_SI_SJ_SK_E_clIPjSD_S10_SD_EESH_SX_SI_SJ_SK_EUlSX_E_NS1_11comp_targetILNS1_3genE8ELNS1_11target_archE1030ELNS1_3gpuE2ELNS1_3repE0EEENS1_48merge_mergepath_partition_config_static_selectorELNS0_4arch9wavefront6targetE1EEEvSJ_.kd
    .uniform_work_group_size: 1
    .uses_dynamic_stack: false
    .vgpr_count:     0
    .vgpr_spill_count: 0
    .wavefront_size: 64
  - .agpr_count:     0
    .args:
      - .offset:         0
        .size:           64
        .value_kind:     by_value
      - .offset:         64
        .size:           4
        .value_kind:     hidden_block_count_x
      - .offset:         68
        .size:           4
        .value_kind:     hidden_block_count_y
      - .offset:         72
        .size:           4
        .value_kind:     hidden_block_count_z
      - .offset:         76
        .size:           2
        .value_kind:     hidden_group_size_x
      - .offset:         78
        .size:           2
        .value_kind:     hidden_group_size_y
      - .offset:         80
        .size:           2
        .value_kind:     hidden_group_size_z
      - .offset:         82
        .size:           2
        .value_kind:     hidden_remainder_x
      - .offset:         84
        .size:           2
        .value_kind:     hidden_remainder_y
      - .offset:         86
        .size:           2
        .value_kind:     hidden_remainder_z
      - .offset:         104
        .size:           8
        .value_kind:     hidden_global_offset_x
      - .offset:         112
        .size:           8
        .value_kind:     hidden_global_offset_y
      - .offset:         120
        .size:           8
        .value_kind:     hidden_global_offset_z
      - .offset:         128
        .size:           2
        .value_kind:     hidden_grid_dims
    .group_segment_fixed_size: 4224
    .kernarg_segment_align: 8
    .kernarg_segment_size: 320
    .language:       OpenCL C
    .language_version:
      - 2
      - 0
    .max_flat_workgroup_size: 256
    .name:           _ZN7rocprim17ROCPRIM_400000_NS6detail17trampoline_kernelINS0_14default_configENS1_38merge_sort_block_merge_config_selectorIjjEEZZNS1_27merge_sort_block_merge_implIS3_N6thrust23THRUST_200600_302600_NS6detail15normal_iteratorINS8_10device_ptrIjEEEESD_jNS1_19radix_merge_compareILb0ELb0EjNS0_19identity_decomposerEEEEE10hipError_tT0_T1_T2_jT3_P12ihipStream_tbPNSt15iterator_traitsISI_E10value_typeEPNSO_ISJ_E10value_typeEPSK_NS1_7vsmem_tEENKUlT_SI_SJ_SK_E_clIPjSD_S10_SD_EESH_SX_SI_SJ_SK_EUlSX_E0_NS1_11comp_targetILNS1_3genE0ELNS1_11target_archE4294967295ELNS1_3gpuE0ELNS1_3repE0EEENS1_38merge_mergepath_config_static_selectorELNS0_4arch9wavefront6targetE1EEEvSJ_
    .private_segment_fixed_size: 0
    .sgpr_count:     36
    .sgpr_spill_count: 0
    .symbol:         _ZN7rocprim17ROCPRIM_400000_NS6detail17trampoline_kernelINS0_14default_configENS1_38merge_sort_block_merge_config_selectorIjjEEZZNS1_27merge_sort_block_merge_implIS3_N6thrust23THRUST_200600_302600_NS6detail15normal_iteratorINS8_10device_ptrIjEEEESD_jNS1_19radix_merge_compareILb0ELb0EjNS0_19identity_decomposerEEEEE10hipError_tT0_T1_T2_jT3_P12ihipStream_tbPNSt15iterator_traitsISI_E10value_typeEPNSO_ISJ_E10value_typeEPSK_NS1_7vsmem_tEENKUlT_SI_SJ_SK_E_clIPjSD_S10_SD_EESH_SX_SI_SJ_SK_EUlSX_E0_NS1_11comp_targetILNS1_3genE0ELNS1_11target_archE4294967295ELNS1_3gpuE0ELNS1_3repE0EEENS1_38merge_mergepath_config_static_selectorELNS0_4arch9wavefront6targetE1EEEvSJ_.kd
    .uniform_work_group_size: 1
    .uses_dynamic_stack: false
    .vgpr_count:     20
    .vgpr_spill_count: 0
    .wavefront_size: 64
  - .agpr_count:     0
    .args:
      - .offset:         0
        .size:           64
        .value_kind:     by_value
    .group_segment_fixed_size: 0
    .kernarg_segment_align: 8
    .kernarg_segment_size: 64
    .language:       OpenCL C
    .language_version:
      - 2
      - 0
    .max_flat_workgroup_size: 256
    .name:           _ZN7rocprim17ROCPRIM_400000_NS6detail17trampoline_kernelINS0_14default_configENS1_38merge_sort_block_merge_config_selectorIjjEEZZNS1_27merge_sort_block_merge_implIS3_N6thrust23THRUST_200600_302600_NS6detail15normal_iteratorINS8_10device_ptrIjEEEESD_jNS1_19radix_merge_compareILb0ELb0EjNS0_19identity_decomposerEEEEE10hipError_tT0_T1_T2_jT3_P12ihipStream_tbPNSt15iterator_traitsISI_E10value_typeEPNSO_ISJ_E10value_typeEPSK_NS1_7vsmem_tEENKUlT_SI_SJ_SK_E_clIPjSD_S10_SD_EESH_SX_SI_SJ_SK_EUlSX_E0_NS1_11comp_targetILNS1_3genE10ELNS1_11target_archE1201ELNS1_3gpuE5ELNS1_3repE0EEENS1_38merge_mergepath_config_static_selectorELNS0_4arch9wavefront6targetE1EEEvSJ_
    .private_segment_fixed_size: 0
    .sgpr_count:     6
    .sgpr_spill_count: 0
    .symbol:         _ZN7rocprim17ROCPRIM_400000_NS6detail17trampoline_kernelINS0_14default_configENS1_38merge_sort_block_merge_config_selectorIjjEEZZNS1_27merge_sort_block_merge_implIS3_N6thrust23THRUST_200600_302600_NS6detail15normal_iteratorINS8_10device_ptrIjEEEESD_jNS1_19radix_merge_compareILb0ELb0EjNS0_19identity_decomposerEEEEE10hipError_tT0_T1_T2_jT3_P12ihipStream_tbPNSt15iterator_traitsISI_E10value_typeEPNSO_ISJ_E10value_typeEPSK_NS1_7vsmem_tEENKUlT_SI_SJ_SK_E_clIPjSD_S10_SD_EESH_SX_SI_SJ_SK_EUlSX_E0_NS1_11comp_targetILNS1_3genE10ELNS1_11target_archE1201ELNS1_3gpuE5ELNS1_3repE0EEENS1_38merge_mergepath_config_static_selectorELNS0_4arch9wavefront6targetE1EEEvSJ_.kd
    .uniform_work_group_size: 1
    .uses_dynamic_stack: false
    .vgpr_count:     0
    .vgpr_spill_count: 0
    .wavefront_size: 64
  - .agpr_count:     0
    .args:
      - .offset:         0
        .size:           64
        .value_kind:     by_value
    .group_segment_fixed_size: 0
    .kernarg_segment_align: 8
    .kernarg_segment_size: 64
    .language:       OpenCL C
    .language_version:
      - 2
      - 0
    .max_flat_workgroup_size: 128
    .name:           _ZN7rocprim17ROCPRIM_400000_NS6detail17trampoline_kernelINS0_14default_configENS1_38merge_sort_block_merge_config_selectorIjjEEZZNS1_27merge_sort_block_merge_implIS3_N6thrust23THRUST_200600_302600_NS6detail15normal_iteratorINS8_10device_ptrIjEEEESD_jNS1_19radix_merge_compareILb0ELb0EjNS0_19identity_decomposerEEEEE10hipError_tT0_T1_T2_jT3_P12ihipStream_tbPNSt15iterator_traitsISI_E10value_typeEPNSO_ISJ_E10value_typeEPSK_NS1_7vsmem_tEENKUlT_SI_SJ_SK_E_clIPjSD_S10_SD_EESH_SX_SI_SJ_SK_EUlSX_E0_NS1_11comp_targetILNS1_3genE5ELNS1_11target_archE942ELNS1_3gpuE9ELNS1_3repE0EEENS1_38merge_mergepath_config_static_selectorELNS0_4arch9wavefront6targetE1EEEvSJ_
    .private_segment_fixed_size: 0
    .sgpr_count:     6
    .sgpr_spill_count: 0
    .symbol:         _ZN7rocprim17ROCPRIM_400000_NS6detail17trampoline_kernelINS0_14default_configENS1_38merge_sort_block_merge_config_selectorIjjEEZZNS1_27merge_sort_block_merge_implIS3_N6thrust23THRUST_200600_302600_NS6detail15normal_iteratorINS8_10device_ptrIjEEEESD_jNS1_19radix_merge_compareILb0ELb0EjNS0_19identity_decomposerEEEEE10hipError_tT0_T1_T2_jT3_P12ihipStream_tbPNSt15iterator_traitsISI_E10value_typeEPNSO_ISJ_E10value_typeEPSK_NS1_7vsmem_tEENKUlT_SI_SJ_SK_E_clIPjSD_S10_SD_EESH_SX_SI_SJ_SK_EUlSX_E0_NS1_11comp_targetILNS1_3genE5ELNS1_11target_archE942ELNS1_3gpuE9ELNS1_3repE0EEENS1_38merge_mergepath_config_static_selectorELNS0_4arch9wavefront6targetE1EEEvSJ_.kd
    .uniform_work_group_size: 1
    .uses_dynamic_stack: false
    .vgpr_count:     0
    .vgpr_spill_count: 0
    .wavefront_size: 64
  - .agpr_count:     0
    .args:
      - .offset:         0
        .size:           64
        .value_kind:     by_value
    .group_segment_fixed_size: 0
    .kernarg_segment_align: 8
    .kernarg_segment_size: 64
    .language:       OpenCL C
    .language_version:
      - 2
      - 0
    .max_flat_workgroup_size: 256
    .name:           _ZN7rocprim17ROCPRIM_400000_NS6detail17trampoline_kernelINS0_14default_configENS1_38merge_sort_block_merge_config_selectorIjjEEZZNS1_27merge_sort_block_merge_implIS3_N6thrust23THRUST_200600_302600_NS6detail15normal_iteratorINS8_10device_ptrIjEEEESD_jNS1_19radix_merge_compareILb0ELb0EjNS0_19identity_decomposerEEEEE10hipError_tT0_T1_T2_jT3_P12ihipStream_tbPNSt15iterator_traitsISI_E10value_typeEPNSO_ISJ_E10value_typeEPSK_NS1_7vsmem_tEENKUlT_SI_SJ_SK_E_clIPjSD_S10_SD_EESH_SX_SI_SJ_SK_EUlSX_E0_NS1_11comp_targetILNS1_3genE4ELNS1_11target_archE910ELNS1_3gpuE8ELNS1_3repE0EEENS1_38merge_mergepath_config_static_selectorELNS0_4arch9wavefront6targetE1EEEvSJ_
    .private_segment_fixed_size: 0
    .sgpr_count:     6
    .sgpr_spill_count: 0
    .symbol:         _ZN7rocprim17ROCPRIM_400000_NS6detail17trampoline_kernelINS0_14default_configENS1_38merge_sort_block_merge_config_selectorIjjEEZZNS1_27merge_sort_block_merge_implIS3_N6thrust23THRUST_200600_302600_NS6detail15normal_iteratorINS8_10device_ptrIjEEEESD_jNS1_19radix_merge_compareILb0ELb0EjNS0_19identity_decomposerEEEEE10hipError_tT0_T1_T2_jT3_P12ihipStream_tbPNSt15iterator_traitsISI_E10value_typeEPNSO_ISJ_E10value_typeEPSK_NS1_7vsmem_tEENKUlT_SI_SJ_SK_E_clIPjSD_S10_SD_EESH_SX_SI_SJ_SK_EUlSX_E0_NS1_11comp_targetILNS1_3genE4ELNS1_11target_archE910ELNS1_3gpuE8ELNS1_3repE0EEENS1_38merge_mergepath_config_static_selectorELNS0_4arch9wavefront6targetE1EEEvSJ_.kd
    .uniform_work_group_size: 1
    .uses_dynamic_stack: false
    .vgpr_count:     0
    .vgpr_spill_count: 0
    .wavefront_size: 64
  - .agpr_count:     0
    .args:
      - .offset:         0
        .size:           64
        .value_kind:     by_value
    .group_segment_fixed_size: 0
    .kernarg_segment_align: 8
    .kernarg_segment_size: 64
    .language:       OpenCL C
    .language_version:
      - 2
      - 0
    .max_flat_workgroup_size: 256
    .name:           _ZN7rocprim17ROCPRIM_400000_NS6detail17trampoline_kernelINS0_14default_configENS1_38merge_sort_block_merge_config_selectorIjjEEZZNS1_27merge_sort_block_merge_implIS3_N6thrust23THRUST_200600_302600_NS6detail15normal_iteratorINS8_10device_ptrIjEEEESD_jNS1_19radix_merge_compareILb0ELb0EjNS0_19identity_decomposerEEEEE10hipError_tT0_T1_T2_jT3_P12ihipStream_tbPNSt15iterator_traitsISI_E10value_typeEPNSO_ISJ_E10value_typeEPSK_NS1_7vsmem_tEENKUlT_SI_SJ_SK_E_clIPjSD_S10_SD_EESH_SX_SI_SJ_SK_EUlSX_E0_NS1_11comp_targetILNS1_3genE3ELNS1_11target_archE908ELNS1_3gpuE7ELNS1_3repE0EEENS1_38merge_mergepath_config_static_selectorELNS0_4arch9wavefront6targetE1EEEvSJ_
    .private_segment_fixed_size: 0
    .sgpr_count:     6
    .sgpr_spill_count: 0
    .symbol:         _ZN7rocprim17ROCPRIM_400000_NS6detail17trampoline_kernelINS0_14default_configENS1_38merge_sort_block_merge_config_selectorIjjEEZZNS1_27merge_sort_block_merge_implIS3_N6thrust23THRUST_200600_302600_NS6detail15normal_iteratorINS8_10device_ptrIjEEEESD_jNS1_19radix_merge_compareILb0ELb0EjNS0_19identity_decomposerEEEEE10hipError_tT0_T1_T2_jT3_P12ihipStream_tbPNSt15iterator_traitsISI_E10value_typeEPNSO_ISJ_E10value_typeEPSK_NS1_7vsmem_tEENKUlT_SI_SJ_SK_E_clIPjSD_S10_SD_EESH_SX_SI_SJ_SK_EUlSX_E0_NS1_11comp_targetILNS1_3genE3ELNS1_11target_archE908ELNS1_3gpuE7ELNS1_3repE0EEENS1_38merge_mergepath_config_static_selectorELNS0_4arch9wavefront6targetE1EEEvSJ_.kd
    .uniform_work_group_size: 1
    .uses_dynamic_stack: false
    .vgpr_count:     0
    .vgpr_spill_count: 0
    .wavefront_size: 64
  - .agpr_count:     0
    .args:
      - .offset:         0
        .size:           64
        .value_kind:     by_value
    .group_segment_fixed_size: 0
    .kernarg_segment_align: 8
    .kernarg_segment_size: 64
    .language:       OpenCL C
    .language_version:
      - 2
      - 0
    .max_flat_workgroup_size: 256
    .name:           _ZN7rocprim17ROCPRIM_400000_NS6detail17trampoline_kernelINS0_14default_configENS1_38merge_sort_block_merge_config_selectorIjjEEZZNS1_27merge_sort_block_merge_implIS3_N6thrust23THRUST_200600_302600_NS6detail15normal_iteratorINS8_10device_ptrIjEEEESD_jNS1_19radix_merge_compareILb0ELb0EjNS0_19identity_decomposerEEEEE10hipError_tT0_T1_T2_jT3_P12ihipStream_tbPNSt15iterator_traitsISI_E10value_typeEPNSO_ISJ_E10value_typeEPSK_NS1_7vsmem_tEENKUlT_SI_SJ_SK_E_clIPjSD_S10_SD_EESH_SX_SI_SJ_SK_EUlSX_E0_NS1_11comp_targetILNS1_3genE2ELNS1_11target_archE906ELNS1_3gpuE6ELNS1_3repE0EEENS1_38merge_mergepath_config_static_selectorELNS0_4arch9wavefront6targetE1EEEvSJ_
    .private_segment_fixed_size: 0
    .sgpr_count:     6
    .sgpr_spill_count: 0
    .symbol:         _ZN7rocprim17ROCPRIM_400000_NS6detail17trampoline_kernelINS0_14default_configENS1_38merge_sort_block_merge_config_selectorIjjEEZZNS1_27merge_sort_block_merge_implIS3_N6thrust23THRUST_200600_302600_NS6detail15normal_iteratorINS8_10device_ptrIjEEEESD_jNS1_19radix_merge_compareILb0ELb0EjNS0_19identity_decomposerEEEEE10hipError_tT0_T1_T2_jT3_P12ihipStream_tbPNSt15iterator_traitsISI_E10value_typeEPNSO_ISJ_E10value_typeEPSK_NS1_7vsmem_tEENKUlT_SI_SJ_SK_E_clIPjSD_S10_SD_EESH_SX_SI_SJ_SK_EUlSX_E0_NS1_11comp_targetILNS1_3genE2ELNS1_11target_archE906ELNS1_3gpuE6ELNS1_3repE0EEENS1_38merge_mergepath_config_static_selectorELNS0_4arch9wavefront6targetE1EEEvSJ_.kd
    .uniform_work_group_size: 1
    .uses_dynamic_stack: false
    .vgpr_count:     0
    .vgpr_spill_count: 0
    .wavefront_size: 64
  - .agpr_count:     0
    .args:
      - .offset:         0
        .size:           64
        .value_kind:     by_value
    .group_segment_fixed_size: 0
    .kernarg_segment_align: 8
    .kernarg_segment_size: 64
    .language:       OpenCL C
    .language_version:
      - 2
      - 0
    .max_flat_workgroup_size: 512
    .name:           _ZN7rocprim17ROCPRIM_400000_NS6detail17trampoline_kernelINS0_14default_configENS1_38merge_sort_block_merge_config_selectorIjjEEZZNS1_27merge_sort_block_merge_implIS3_N6thrust23THRUST_200600_302600_NS6detail15normal_iteratorINS8_10device_ptrIjEEEESD_jNS1_19radix_merge_compareILb0ELb0EjNS0_19identity_decomposerEEEEE10hipError_tT0_T1_T2_jT3_P12ihipStream_tbPNSt15iterator_traitsISI_E10value_typeEPNSO_ISJ_E10value_typeEPSK_NS1_7vsmem_tEENKUlT_SI_SJ_SK_E_clIPjSD_S10_SD_EESH_SX_SI_SJ_SK_EUlSX_E0_NS1_11comp_targetILNS1_3genE9ELNS1_11target_archE1100ELNS1_3gpuE3ELNS1_3repE0EEENS1_38merge_mergepath_config_static_selectorELNS0_4arch9wavefront6targetE1EEEvSJ_
    .private_segment_fixed_size: 0
    .sgpr_count:     6
    .sgpr_spill_count: 0
    .symbol:         _ZN7rocprim17ROCPRIM_400000_NS6detail17trampoline_kernelINS0_14default_configENS1_38merge_sort_block_merge_config_selectorIjjEEZZNS1_27merge_sort_block_merge_implIS3_N6thrust23THRUST_200600_302600_NS6detail15normal_iteratorINS8_10device_ptrIjEEEESD_jNS1_19radix_merge_compareILb0ELb0EjNS0_19identity_decomposerEEEEE10hipError_tT0_T1_T2_jT3_P12ihipStream_tbPNSt15iterator_traitsISI_E10value_typeEPNSO_ISJ_E10value_typeEPSK_NS1_7vsmem_tEENKUlT_SI_SJ_SK_E_clIPjSD_S10_SD_EESH_SX_SI_SJ_SK_EUlSX_E0_NS1_11comp_targetILNS1_3genE9ELNS1_11target_archE1100ELNS1_3gpuE3ELNS1_3repE0EEENS1_38merge_mergepath_config_static_selectorELNS0_4arch9wavefront6targetE1EEEvSJ_.kd
    .uniform_work_group_size: 1
    .uses_dynamic_stack: false
    .vgpr_count:     0
    .vgpr_spill_count: 0
    .wavefront_size: 64
  - .agpr_count:     0
    .args:
      - .offset:         0
        .size:           64
        .value_kind:     by_value
    .group_segment_fixed_size: 0
    .kernarg_segment_align: 8
    .kernarg_segment_size: 64
    .language:       OpenCL C
    .language_version:
      - 2
      - 0
    .max_flat_workgroup_size: 1024
    .name:           _ZN7rocprim17ROCPRIM_400000_NS6detail17trampoline_kernelINS0_14default_configENS1_38merge_sort_block_merge_config_selectorIjjEEZZNS1_27merge_sort_block_merge_implIS3_N6thrust23THRUST_200600_302600_NS6detail15normal_iteratorINS8_10device_ptrIjEEEESD_jNS1_19radix_merge_compareILb0ELb0EjNS0_19identity_decomposerEEEEE10hipError_tT0_T1_T2_jT3_P12ihipStream_tbPNSt15iterator_traitsISI_E10value_typeEPNSO_ISJ_E10value_typeEPSK_NS1_7vsmem_tEENKUlT_SI_SJ_SK_E_clIPjSD_S10_SD_EESH_SX_SI_SJ_SK_EUlSX_E0_NS1_11comp_targetILNS1_3genE8ELNS1_11target_archE1030ELNS1_3gpuE2ELNS1_3repE0EEENS1_38merge_mergepath_config_static_selectorELNS0_4arch9wavefront6targetE1EEEvSJ_
    .private_segment_fixed_size: 0
    .sgpr_count:     6
    .sgpr_spill_count: 0
    .symbol:         _ZN7rocprim17ROCPRIM_400000_NS6detail17trampoline_kernelINS0_14default_configENS1_38merge_sort_block_merge_config_selectorIjjEEZZNS1_27merge_sort_block_merge_implIS3_N6thrust23THRUST_200600_302600_NS6detail15normal_iteratorINS8_10device_ptrIjEEEESD_jNS1_19radix_merge_compareILb0ELb0EjNS0_19identity_decomposerEEEEE10hipError_tT0_T1_T2_jT3_P12ihipStream_tbPNSt15iterator_traitsISI_E10value_typeEPNSO_ISJ_E10value_typeEPSK_NS1_7vsmem_tEENKUlT_SI_SJ_SK_E_clIPjSD_S10_SD_EESH_SX_SI_SJ_SK_EUlSX_E0_NS1_11comp_targetILNS1_3genE8ELNS1_11target_archE1030ELNS1_3gpuE2ELNS1_3repE0EEENS1_38merge_mergepath_config_static_selectorELNS0_4arch9wavefront6targetE1EEEvSJ_.kd
    .uniform_work_group_size: 1
    .uses_dynamic_stack: false
    .vgpr_count:     0
    .vgpr_spill_count: 0
    .wavefront_size: 64
  - .agpr_count:     0
    .args:
      - .offset:         0
        .size:           48
        .value_kind:     by_value
    .group_segment_fixed_size: 0
    .kernarg_segment_align: 8
    .kernarg_segment_size: 48
    .language:       OpenCL C
    .language_version:
      - 2
      - 0
    .max_flat_workgroup_size: 256
    .name:           _ZN7rocprim17ROCPRIM_400000_NS6detail17trampoline_kernelINS0_14default_configENS1_38merge_sort_block_merge_config_selectorIjjEEZZNS1_27merge_sort_block_merge_implIS3_N6thrust23THRUST_200600_302600_NS6detail15normal_iteratorINS8_10device_ptrIjEEEESD_jNS1_19radix_merge_compareILb0ELb0EjNS0_19identity_decomposerEEEEE10hipError_tT0_T1_T2_jT3_P12ihipStream_tbPNSt15iterator_traitsISI_E10value_typeEPNSO_ISJ_E10value_typeEPSK_NS1_7vsmem_tEENKUlT_SI_SJ_SK_E_clIPjSD_S10_SD_EESH_SX_SI_SJ_SK_EUlSX_E1_NS1_11comp_targetILNS1_3genE0ELNS1_11target_archE4294967295ELNS1_3gpuE0ELNS1_3repE0EEENS1_36merge_oddeven_config_static_selectorELNS0_4arch9wavefront6targetE1EEEvSJ_
    .private_segment_fixed_size: 0
    .sgpr_count:     30
    .sgpr_spill_count: 0
    .symbol:         _ZN7rocprim17ROCPRIM_400000_NS6detail17trampoline_kernelINS0_14default_configENS1_38merge_sort_block_merge_config_selectorIjjEEZZNS1_27merge_sort_block_merge_implIS3_N6thrust23THRUST_200600_302600_NS6detail15normal_iteratorINS8_10device_ptrIjEEEESD_jNS1_19radix_merge_compareILb0ELb0EjNS0_19identity_decomposerEEEEE10hipError_tT0_T1_T2_jT3_P12ihipStream_tbPNSt15iterator_traitsISI_E10value_typeEPNSO_ISJ_E10value_typeEPSK_NS1_7vsmem_tEENKUlT_SI_SJ_SK_E_clIPjSD_S10_SD_EESH_SX_SI_SJ_SK_EUlSX_E1_NS1_11comp_targetILNS1_3genE0ELNS1_11target_archE4294967295ELNS1_3gpuE0ELNS1_3repE0EEENS1_36merge_oddeven_config_static_selectorELNS0_4arch9wavefront6targetE1EEEvSJ_.kd
    .uniform_work_group_size: 1
    .uses_dynamic_stack: false
    .vgpr_count:     10
    .vgpr_spill_count: 0
    .wavefront_size: 64
  - .agpr_count:     0
    .args:
      - .offset:         0
        .size:           48
        .value_kind:     by_value
    .group_segment_fixed_size: 0
    .kernarg_segment_align: 8
    .kernarg_segment_size: 48
    .language:       OpenCL C
    .language_version:
      - 2
      - 0
    .max_flat_workgroup_size: 256
    .name:           _ZN7rocprim17ROCPRIM_400000_NS6detail17trampoline_kernelINS0_14default_configENS1_38merge_sort_block_merge_config_selectorIjjEEZZNS1_27merge_sort_block_merge_implIS3_N6thrust23THRUST_200600_302600_NS6detail15normal_iteratorINS8_10device_ptrIjEEEESD_jNS1_19radix_merge_compareILb0ELb0EjNS0_19identity_decomposerEEEEE10hipError_tT0_T1_T2_jT3_P12ihipStream_tbPNSt15iterator_traitsISI_E10value_typeEPNSO_ISJ_E10value_typeEPSK_NS1_7vsmem_tEENKUlT_SI_SJ_SK_E_clIPjSD_S10_SD_EESH_SX_SI_SJ_SK_EUlSX_E1_NS1_11comp_targetILNS1_3genE10ELNS1_11target_archE1201ELNS1_3gpuE5ELNS1_3repE0EEENS1_36merge_oddeven_config_static_selectorELNS0_4arch9wavefront6targetE1EEEvSJ_
    .private_segment_fixed_size: 0
    .sgpr_count:     6
    .sgpr_spill_count: 0
    .symbol:         _ZN7rocprim17ROCPRIM_400000_NS6detail17trampoline_kernelINS0_14default_configENS1_38merge_sort_block_merge_config_selectorIjjEEZZNS1_27merge_sort_block_merge_implIS3_N6thrust23THRUST_200600_302600_NS6detail15normal_iteratorINS8_10device_ptrIjEEEESD_jNS1_19radix_merge_compareILb0ELb0EjNS0_19identity_decomposerEEEEE10hipError_tT0_T1_T2_jT3_P12ihipStream_tbPNSt15iterator_traitsISI_E10value_typeEPNSO_ISJ_E10value_typeEPSK_NS1_7vsmem_tEENKUlT_SI_SJ_SK_E_clIPjSD_S10_SD_EESH_SX_SI_SJ_SK_EUlSX_E1_NS1_11comp_targetILNS1_3genE10ELNS1_11target_archE1201ELNS1_3gpuE5ELNS1_3repE0EEENS1_36merge_oddeven_config_static_selectorELNS0_4arch9wavefront6targetE1EEEvSJ_.kd
    .uniform_work_group_size: 1
    .uses_dynamic_stack: false
    .vgpr_count:     0
    .vgpr_spill_count: 0
    .wavefront_size: 64
  - .agpr_count:     0
    .args:
      - .offset:         0
        .size:           48
        .value_kind:     by_value
    .group_segment_fixed_size: 0
    .kernarg_segment_align: 8
    .kernarg_segment_size: 48
    .language:       OpenCL C
    .language_version:
      - 2
      - 0
    .max_flat_workgroup_size: 256
    .name:           _ZN7rocprim17ROCPRIM_400000_NS6detail17trampoline_kernelINS0_14default_configENS1_38merge_sort_block_merge_config_selectorIjjEEZZNS1_27merge_sort_block_merge_implIS3_N6thrust23THRUST_200600_302600_NS6detail15normal_iteratorINS8_10device_ptrIjEEEESD_jNS1_19radix_merge_compareILb0ELb0EjNS0_19identity_decomposerEEEEE10hipError_tT0_T1_T2_jT3_P12ihipStream_tbPNSt15iterator_traitsISI_E10value_typeEPNSO_ISJ_E10value_typeEPSK_NS1_7vsmem_tEENKUlT_SI_SJ_SK_E_clIPjSD_S10_SD_EESH_SX_SI_SJ_SK_EUlSX_E1_NS1_11comp_targetILNS1_3genE5ELNS1_11target_archE942ELNS1_3gpuE9ELNS1_3repE0EEENS1_36merge_oddeven_config_static_selectorELNS0_4arch9wavefront6targetE1EEEvSJ_
    .private_segment_fixed_size: 0
    .sgpr_count:     6
    .sgpr_spill_count: 0
    .symbol:         _ZN7rocprim17ROCPRIM_400000_NS6detail17trampoline_kernelINS0_14default_configENS1_38merge_sort_block_merge_config_selectorIjjEEZZNS1_27merge_sort_block_merge_implIS3_N6thrust23THRUST_200600_302600_NS6detail15normal_iteratorINS8_10device_ptrIjEEEESD_jNS1_19radix_merge_compareILb0ELb0EjNS0_19identity_decomposerEEEEE10hipError_tT0_T1_T2_jT3_P12ihipStream_tbPNSt15iterator_traitsISI_E10value_typeEPNSO_ISJ_E10value_typeEPSK_NS1_7vsmem_tEENKUlT_SI_SJ_SK_E_clIPjSD_S10_SD_EESH_SX_SI_SJ_SK_EUlSX_E1_NS1_11comp_targetILNS1_3genE5ELNS1_11target_archE942ELNS1_3gpuE9ELNS1_3repE0EEENS1_36merge_oddeven_config_static_selectorELNS0_4arch9wavefront6targetE1EEEvSJ_.kd
    .uniform_work_group_size: 1
    .uses_dynamic_stack: false
    .vgpr_count:     0
    .vgpr_spill_count: 0
    .wavefront_size: 64
  - .agpr_count:     0
    .args:
      - .offset:         0
        .size:           48
        .value_kind:     by_value
    .group_segment_fixed_size: 0
    .kernarg_segment_align: 8
    .kernarg_segment_size: 48
    .language:       OpenCL C
    .language_version:
      - 2
      - 0
    .max_flat_workgroup_size: 256
    .name:           _ZN7rocprim17ROCPRIM_400000_NS6detail17trampoline_kernelINS0_14default_configENS1_38merge_sort_block_merge_config_selectorIjjEEZZNS1_27merge_sort_block_merge_implIS3_N6thrust23THRUST_200600_302600_NS6detail15normal_iteratorINS8_10device_ptrIjEEEESD_jNS1_19radix_merge_compareILb0ELb0EjNS0_19identity_decomposerEEEEE10hipError_tT0_T1_T2_jT3_P12ihipStream_tbPNSt15iterator_traitsISI_E10value_typeEPNSO_ISJ_E10value_typeEPSK_NS1_7vsmem_tEENKUlT_SI_SJ_SK_E_clIPjSD_S10_SD_EESH_SX_SI_SJ_SK_EUlSX_E1_NS1_11comp_targetILNS1_3genE4ELNS1_11target_archE910ELNS1_3gpuE8ELNS1_3repE0EEENS1_36merge_oddeven_config_static_selectorELNS0_4arch9wavefront6targetE1EEEvSJ_
    .private_segment_fixed_size: 0
    .sgpr_count:     6
    .sgpr_spill_count: 0
    .symbol:         _ZN7rocprim17ROCPRIM_400000_NS6detail17trampoline_kernelINS0_14default_configENS1_38merge_sort_block_merge_config_selectorIjjEEZZNS1_27merge_sort_block_merge_implIS3_N6thrust23THRUST_200600_302600_NS6detail15normal_iteratorINS8_10device_ptrIjEEEESD_jNS1_19radix_merge_compareILb0ELb0EjNS0_19identity_decomposerEEEEE10hipError_tT0_T1_T2_jT3_P12ihipStream_tbPNSt15iterator_traitsISI_E10value_typeEPNSO_ISJ_E10value_typeEPSK_NS1_7vsmem_tEENKUlT_SI_SJ_SK_E_clIPjSD_S10_SD_EESH_SX_SI_SJ_SK_EUlSX_E1_NS1_11comp_targetILNS1_3genE4ELNS1_11target_archE910ELNS1_3gpuE8ELNS1_3repE0EEENS1_36merge_oddeven_config_static_selectorELNS0_4arch9wavefront6targetE1EEEvSJ_.kd
    .uniform_work_group_size: 1
    .uses_dynamic_stack: false
    .vgpr_count:     0
    .vgpr_spill_count: 0
    .wavefront_size: 64
  - .agpr_count:     0
    .args:
      - .offset:         0
        .size:           48
        .value_kind:     by_value
    .group_segment_fixed_size: 0
    .kernarg_segment_align: 8
    .kernarg_segment_size: 48
    .language:       OpenCL C
    .language_version:
      - 2
      - 0
    .max_flat_workgroup_size: 256
    .name:           _ZN7rocprim17ROCPRIM_400000_NS6detail17trampoline_kernelINS0_14default_configENS1_38merge_sort_block_merge_config_selectorIjjEEZZNS1_27merge_sort_block_merge_implIS3_N6thrust23THRUST_200600_302600_NS6detail15normal_iteratorINS8_10device_ptrIjEEEESD_jNS1_19radix_merge_compareILb0ELb0EjNS0_19identity_decomposerEEEEE10hipError_tT0_T1_T2_jT3_P12ihipStream_tbPNSt15iterator_traitsISI_E10value_typeEPNSO_ISJ_E10value_typeEPSK_NS1_7vsmem_tEENKUlT_SI_SJ_SK_E_clIPjSD_S10_SD_EESH_SX_SI_SJ_SK_EUlSX_E1_NS1_11comp_targetILNS1_3genE3ELNS1_11target_archE908ELNS1_3gpuE7ELNS1_3repE0EEENS1_36merge_oddeven_config_static_selectorELNS0_4arch9wavefront6targetE1EEEvSJ_
    .private_segment_fixed_size: 0
    .sgpr_count:     6
    .sgpr_spill_count: 0
    .symbol:         _ZN7rocprim17ROCPRIM_400000_NS6detail17trampoline_kernelINS0_14default_configENS1_38merge_sort_block_merge_config_selectorIjjEEZZNS1_27merge_sort_block_merge_implIS3_N6thrust23THRUST_200600_302600_NS6detail15normal_iteratorINS8_10device_ptrIjEEEESD_jNS1_19radix_merge_compareILb0ELb0EjNS0_19identity_decomposerEEEEE10hipError_tT0_T1_T2_jT3_P12ihipStream_tbPNSt15iterator_traitsISI_E10value_typeEPNSO_ISJ_E10value_typeEPSK_NS1_7vsmem_tEENKUlT_SI_SJ_SK_E_clIPjSD_S10_SD_EESH_SX_SI_SJ_SK_EUlSX_E1_NS1_11comp_targetILNS1_3genE3ELNS1_11target_archE908ELNS1_3gpuE7ELNS1_3repE0EEENS1_36merge_oddeven_config_static_selectorELNS0_4arch9wavefront6targetE1EEEvSJ_.kd
    .uniform_work_group_size: 1
    .uses_dynamic_stack: false
    .vgpr_count:     0
    .vgpr_spill_count: 0
    .wavefront_size: 64
  - .agpr_count:     0
    .args:
      - .offset:         0
        .size:           48
        .value_kind:     by_value
    .group_segment_fixed_size: 0
    .kernarg_segment_align: 8
    .kernarg_segment_size: 48
    .language:       OpenCL C
    .language_version:
      - 2
      - 0
    .max_flat_workgroup_size: 256
    .name:           _ZN7rocprim17ROCPRIM_400000_NS6detail17trampoline_kernelINS0_14default_configENS1_38merge_sort_block_merge_config_selectorIjjEEZZNS1_27merge_sort_block_merge_implIS3_N6thrust23THRUST_200600_302600_NS6detail15normal_iteratorINS8_10device_ptrIjEEEESD_jNS1_19radix_merge_compareILb0ELb0EjNS0_19identity_decomposerEEEEE10hipError_tT0_T1_T2_jT3_P12ihipStream_tbPNSt15iterator_traitsISI_E10value_typeEPNSO_ISJ_E10value_typeEPSK_NS1_7vsmem_tEENKUlT_SI_SJ_SK_E_clIPjSD_S10_SD_EESH_SX_SI_SJ_SK_EUlSX_E1_NS1_11comp_targetILNS1_3genE2ELNS1_11target_archE906ELNS1_3gpuE6ELNS1_3repE0EEENS1_36merge_oddeven_config_static_selectorELNS0_4arch9wavefront6targetE1EEEvSJ_
    .private_segment_fixed_size: 0
    .sgpr_count:     6
    .sgpr_spill_count: 0
    .symbol:         _ZN7rocprim17ROCPRIM_400000_NS6detail17trampoline_kernelINS0_14default_configENS1_38merge_sort_block_merge_config_selectorIjjEEZZNS1_27merge_sort_block_merge_implIS3_N6thrust23THRUST_200600_302600_NS6detail15normal_iteratorINS8_10device_ptrIjEEEESD_jNS1_19radix_merge_compareILb0ELb0EjNS0_19identity_decomposerEEEEE10hipError_tT0_T1_T2_jT3_P12ihipStream_tbPNSt15iterator_traitsISI_E10value_typeEPNSO_ISJ_E10value_typeEPSK_NS1_7vsmem_tEENKUlT_SI_SJ_SK_E_clIPjSD_S10_SD_EESH_SX_SI_SJ_SK_EUlSX_E1_NS1_11comp_targetILNS1_3genE2ELNS1_11target_archE906ELNS1_3gpuE6ELNS1_3repE0EEENS1_36merge_oddeven_config_static_selectorELNS0_4arch9wavefront6targetE1EEEvSJ_.kd
    .uniform_work_group_size: 1
    .uses_dynamic_stack: false
    .vgpr_count:     0
    .vgpr_spill_count: 0
    .wavefront_size: 64
  - .agpr_count:     0
    .args:
      - .offset:         0
        .size:           48
        .value_kind:     by_value
    .group_segment_fixed_size: 0
    .kernarg_segment_align: 8
    .kernarg_segment_size: 48
    .language:       OpenCL C
    .language_version:
      - 2
      - 0
    .max_flat_workgroup_size: 256
    .name:           _ZN7rocprim17ROCPRIM_400000_NS6detail17trampoline_kernelINS0_14default_configENS1_38merge_sort_block_merge_config_selectorIjjEEZZNS1_27merge_sort_block_merge_implIS3_N6thrust23THRUST_200600_302600_NS6detail15normal_iteratorINS8_10device_ptrIjEEEESD_jNS1_19radix_merge_compareILb0ELb0EjNS0_19identity_decomposerEEEEE10hipError_tT0_T1_T2_jT3_P12ihipStream_tbPNSt15iterator_traitsISI_E10value_typeEPNSO_ISJ_E10value_typeEPSK_NS1_7vsmem_tEENKUlT_SI_SJ_SK_E_clIPjSD_S10_SD_EESH_SX_SI_SJ_SK_EUlSX_E1_NS1_11comp_targetILNS1_3genE9ELNS1_11target_archE1100ELNS1_3gpuE3ELNS1_3repE0EEENS1_36merge_oddeven_config_static_selectorELNS0_4arch9wavefront6targetE1EEEvSJ_
    .private_segment_fixed_size: 0
    .sgpr_count:     6
    .sgpr_spill_count: 0
    .symbol:         _ZN7rocprim17ROCPRIM_400000_NS6detail17trampoline_kernelINS0_14default_configENS1_38merge_sort_block_merge_config_selectorIjjEEZZNS1_27merge_sort_block_merge_implIS3_N6thrust23THRUST_200600_302600_NS6detail15normal_iteratorINS8_10device_ptrIjEEEESD_jNS1_19radix_merge_compareILb0ELb0EjNS0_19identity_decomposerEEEEE10hipError_tT0_T1_T2_jT3_P12ihipStream_tbPNSt15iterator_traitsISI_E10value_typeEPNSO_ISJ_E10value_typeEPSK_NS1_7vsmem_tEENKUlT_SI_SJ_SK_E_clIPjSD_S10_SD_EESH_SX_SI_SJ_SK_EUlSX_E1_NS1_11comp_targetILNS1_3genE9ELNS1_11target_archE1100ELNS1_3gpuE3ELNS1_3repE0EEENS1_36merge_oddeven_config_static_selectorELNS0_4arch9wavefront6targetE1EEEvSJ_.kd
    .uniform_work_group_size: 1
    .uses_dynamic_stack: false
    .vgpr_count:     0
    .vgpr_spill_count: 0
    .wavefront_size: 64
  - .agpr_count:     0
    .args:
      - .offset:         0
        .size:           48
        .value_kind:     by_value
    .group_segment_fixed_size: 0
    .kernarg_segment_align: 8
    .kernarg_segment_size: 48
    .language:       OpenCL C
    .language_version:
      - 2
      - 0
    .max_flat_workgroup_size: 256
    .name:           _ZN7rocprim17ROCPRIM_400000_NS6detail17trampoline_kernelINS0_14default_configENS1_38merge_sort_block_merge_config_selectorIjjEEZZNS1_27merge_sort_block_merge_implIS3_N6thrust23THRUST_200600_302600_NS6detail15normal_iteratorINS8_10device_ptrIjEEEESD_jNS1_19radix_merge_compareILb0ELb0EjNS0_19identity_decomposerEEEEE10hipError_tT0_T1_T2_jT3_P12ihipStream_tbPNSt15iterator_traitsISI_E10value_typeEPNSO_ISJ_E10value_typeEPSK_NS1_7vsmem_tEENKUlT_SI_SJ_SK_E_clIPjSD_S10_SD_EESH_SX_SI_SJ_SK_EUlSX_E1_NS1_11comp_targetILNS1_3genE8ELNS1_11target_archE1030ELNS1_3gpuE2ELNS1_3repE0EEENS1_36merge_oddeven_config_static_selectorELNS0_4arch9wavefront6targetE1EEEvSJ_
    .private_segment_fixed_size: 0
    .sgpr_count:     6
    .sgpr_spill_count: 0
    .symbol:         _ZN7rocprim17ROCPRIM_400000_NS6detail17trampoline_kernelINS0_14default_configENS1_38merge_sort_block_merge_config_selectorIjjEEZZNS1_27merge_sort_block_merge_implIS3_N6thrust23THRUST_200600_302600_NS6detail15normal_iteratorINS8_10device_ptrIjEEEESD_jNS1_19radix_merge_compareILb0ELb0EjNS0_19identity_decomposerEEEEE10hipError_tT0_T1_T2_jT3_P12ihipStream_tbPNSt15iterator_traitsISI_E10value_typeEPNSO_ISJ_E10value_typeEPSK_NS1_7vsmem_tEENKUlT_SI_SJ_SK_E_clIPjSD_S10_SD_EESH_SX_SI_SJ_SK_EUlSX_E1_NS1_11comp_targetILNS1_3genE8ELNS1_11target_archE1030ELNS1_3gpuE2ELNS1_3repE0EEENS1_36merge_oddeven_config_static_selectorELNS0_4arch9wavefront6targetE1EEEvSJ_.kd
    .uniform_work_group_size: 1
    .uses_dynamic_stack: false
    .vgpr_count:     0
    .vgpr_spill_count: 0
    .wavefront_size: 64
  - .agpr_count:     0
    .args:
      - .offset:         0
        .size:           40
        .value_kind:     by_value
    .group_segment_fixed_size: 0
    .kernarg_segment_align: 8
    .kernarg_segment_size: 40
    .language:       OpenCL C
    .language_version:
      - 2
      - 0
    .max_flat_workgroup_size: 128
    .name:           _ZN7rocprim17ROCPRIM_400000_NS6detail17trampoline_kernelINS0_14default_configENS1_38merge_sort_block_merge_config_selectorIjjEEZZNS1_27merge_sort_block_merge_implIS3_N6thrust23THRUST_200600_302600_NS6detail15normal_iteratorINS8_10device_ptrIjEEEESD_jNS1_19radix_merge_compareILb0ELb0EjNS0_19identity_decomposerEEEEE10hipError_tT0_T1_T2_jT3_P12ihipStream_tbPNSt15iterator_traitsISI_E10value_typeEPNSO_ISJ_E10value_typeEPSK_NS1_7vsmem_tEENKUlT_SI_SJ_SK_E_clISD_PjSD_S10_EESH_SX_SI_SJ_SK_EUlSX_E_NS1_11comp_targetILNS1_3genE0ELNS1_11target_archE4294967295ELNS1_3gpuE0ELNS1_3repE0EEENS1_48merge_mergepath_partition_config_static_selectorELNS0_4arch9wavefront6targetE1EEEvSJ_
    .private_segment_fixed_size: 0
    .sgpr_count:     14
    .sgpr_spill_count: 0
    .symbol:         _ZN7rocprim17ROCPRIM_400000_NS6detail17trampoline_kernelINS0_14default_configENS1_38merge_sort_block_merge_config_selectorIjjEEZZNS1_27merge_sort_block_merge_implIS3_N6thrust23THRUST_200600_302600_NS6detail15normal_iteratorINS8_10device_ptrIjEEEESD_jNS1_19radix_merge_compareILb0ELb0EjNS0_19identity_decomposerEEEEE10hipError_tT0_T1_T2_jT3_P12ihipStream_tbPNSt15iterator_traitsISI_E10value_typeEPNSO_ISJ_E10value_typeEPSK_NS1_7vsmem_tEENKUlT_SI_SJ_SK_E_clISD_PjSD_S10_EESH_SX_SI_SJ_SK_EUlSX_E_NS1_11comp_targetILNS1_3genE0ELNS1_11target_archE4294967295ELNS1_3gpuE0ELNS1_3repE0EEENS1_48merge_mergepath_partition_config_static_selectorELNS0_4arch9wavefront6targetE1EEEvSJ_.kd
    .uniform_work_group_size: 1
    .uses_dynamic_stack: false
    .vgpr_count:     17
    .vgpr_spill_count: 0
    .wavefront_size: 64
  - .agpr_count:     0
    .args:
      - .offset:         0
        .size:           40
        .value_kind:     by_value
    .group_segment_fixed_size: 0
    .kernarg_segment_align: 8
    .kernarg_segment_size: 40
    .language:       OpenCL C
    .language_version:
      - 2
      - 0
    .max_flat_workgroup_size: 128
    .name:           _ZN7rocprim17ROCPRIM_400000_NS6detail17trampoline_kernelINS0_14default_configENS1_38merge_sort_block_merge_config_selectorIjjEEZZNS1_27merge_sort_block_merge_implIS3_N6thrust23THRUST_200600_302600_NS6detail15normal_iteratorINS8_10device_ptrIjEEEESD_jNS1_19radix_merge_compareILb0ELb0EjNS0_19identity_decomposerEEEEE10hipError_tT0_T1_T2_jT3_P12ihipStream_tbPNSt15iterator_traitsISI_E10value_typeEPNSO_ISJ_E10value_typeEPSK_NS1_7vsmem_tEENKUlT_SI_SJ_SK_E_clISD_PjSD_S10_EESH_SX_SI_SJ_SK_EUlSX_E_NS1_11comp_targetILNS1_3genE10ELNS1_11target_archE1201ELNS1_3gpuE5ELNS1_3repE0EEENS1_48merge_mergepath_partition_config_static_selectorELNS0_4arch9wavefront6targetE1EEEvSJ_
    .private_segment_fixed_size: 0
    .sgpr_count:     6
    .sgpr_spill_count: 0
    .symbol:         _ZN7rocprim17ROCPRIM_400000_NS6detail17trampoline_kernelINS0_14default_configENS1_38merge_sort_block_merge_config_selectorIjjEEZZNS1_27merge_sort_block_merge_implIS3_N6thrust23THRUST_200600_302600_NS6detail15normal_iteratorINS8_10device_ptrIjEEEESD_jNS1_19radix_merge_compareILb0ELb0EjNS0_19identity_decomposerEEEEE10hipError_tT0_T1_T2_jT3_P12ihipStream_tbPNSt15iterator_traitsISI_E10value_typeEPNSO_ISJ_E10value_typeEPSK_NS1_7vsmem_tEENKUlT_SI_SJ_SK_E_clISD_PjSD_S10_EESH_SX_SI_SJ_SK_EUlSX_E_NS1_11comp_targetILNS1_3genE10ELNS1_11target_archE1201ELNS1_3gpuE5ELNS1_3repE0EEENS1_48merge_mergepath_partition_config_static_selectorELNS0_4arch9wavefront6targetE1EEEvSJ_.kd
    .uniform_work_group_size: 1
    .uses_dynamic_stack: false
    .vgpr_count:     0
    .vgpr_spill_count: 0
    .wavefront_size: 64
  - .agpr_count:     0
    .args:
      - .offset:         0
        .size:           40
        .value_kind:     by_value
    .group_segment_fixed_size: 0
    .kernarg_segment_align: 8
    .kernarg_segment_size: 40
    .language:       OpenCL C
    .language_version:
      - 2
      - 0
    .max_flat_workgroup_size: 128
    .name:           _ZN7rocprim17ROCPRIM_400000_NS6detail17trampoline_kernelINS0_14default_configENS1_38merge_sort_block_merge_config_selectorIjjEEZZNS1_27merge_sort_block_merge_implIS3_N6thrust23THRUST_200600_302600_NS6detail15normal_iteratorINS8_10device_ptrIjEEEESD_jNS1_19radix_merge_compareILb0ELb0EjNS0_19identity_decomposerEEEEE10hipError_tT0_T1_T2_jT3_P12ihipStream_tbPNSt15iterator_traitsISI_E10value_typeEPNSO_ISJ_E10value_typeEPSK_NS1_7vsmem_tEENKUlT_SI_SJ_SK_E_clISD_PjSD_S10_EESH_SX_SI_SJ_SK_EUlSX_E_NS1_11comp_targetILNS1_3genE5ELNS1_11target_archE942ELNS1_3gpuE9ELNS1_3repE0EEENS1_48merge_mergepath_partition_config_static_selectorELNS0_4arch9wavefront6targetE1EEEvSJ_
    .private_segment_fixed_size: 0
    .sgpr_count:     6
    .sgpr_spill_count: 0
    .symbol:         _ZN7rocprim17ROCPRIM_400000_NS6detail17trampoline_kernelINS0_14default_configENS1_38merge_sort_block_merge_config_selectorIjjEEZZNS1_27merge_sort_block_merge_implIS3_N6thrust23THRUST_200600_302600_NS6detail15normal_iteratorINS8_10device_ptrIjEEEESD_jNS1_19radix_merge_compareILb0ELb0EjNS0_19identity_decomposerEEEEE10hipError_tT0_T1_T2_jT3_P12ihipStream_tbPNSt15iterator_traitsISI_E10value_typeEPNSO_ISJ_E10value_typeEPSK_NS1_7vsmem_tEENKUlT_SI_SJ_SK_E_clISD_PjSD_S10_EESH_SX_SI_SJ_SK_EUlSX_E_NS1_11comp_targetILNS1_3genE5ELNS1_11target_archE942ELNS1_3gpuE9ELNS1_3repE0EEENS1_48merge_mergepath_partition_config_static_selectorELNS0_4arch9wavefront6targetE1EEEvSJ_.kd
    .uniform_work_group_size: 1
    .uses_dynamic_stack: false
    .vgpr_count:     0
    .vgpr_spill_count: 0
    .wavefront_size: 64
  - .agpr_count:     0
    .args:
      - .offset:         0
        .size:           40
        .value_kind:     by_value
    .group_segment_fixed_size: 0
    .kernarg_segment_align: 8
    .kernarg_segment_size: 40
    .language:       OpenCL C
    .language_version:
      - 2
      - 0
    .max_flat_workgroup_size: 128
    .name:           _ZN7rocprim17ROCPRIM_400000_NS6detail17trampoline_kernelINS0_14default_configENS1_38merge_sort_block_merge_config_selectorIjjEEZZNS1_27merge_sort_block_merge_implIS3_N6thrust23THRUST_200600_302600_NS6detail15normal_iteratorINS8_10device_ptrIjEEEESD_jNS1_19radix_merge_compareILb0ELb0EjNS0_19identity_decomposerEEEEE10hipError_tT0_T1_T2_jT3_P12ihipStream_tbPNSt15iterator_traitsISI_E10value_typeEPNSO_ISJ_E10value_typeEPSK_NS1_7vsmem_tEENKUlT_SI_SJ_SK_E_clISD_PjSD_S10_EESH_SX_SI_SJ_SK_EUlSX_E_NS1_11comp_targetILNS1_3genE4ELNS1_11target_archE910ELNS1_3gpuE8ELNS1_3repE0EEENS1_48merge_mergepath_partition_config_static_selectorELNS0_4arch9wavefront6targetE1EEEvSJ_
    .private_segment_fixed_size: 0
    .sgpr_count:     6
    .sgpr_spill_count: 0
    .symbol:         _ZN7rocprim17ROCPRIM_400000_NS6detail17trampoline_kernelINS0_14default_configENS1_38merge_sort_block_merge_config_selectorIjjEEZZNS1_27merge_sort_block_merge_implIS3_N6thrust23THRUST_200600_302600_NS6detail15normal_iteratorINS8_10device_ptrIjEEEESD_jNS1_19radix_merge_compareILb0ELb0EjNS0_19identity_decomposerEEEEE10hipError_tT0_T1_T2_jT3_P12ihipStream_tbPNSt15iterator_traitsISI_E10value_typeEPNSO_ISJ_E10value_typeEPSK_NS1_7vsmem_tEENKUlT_SI_SJ_SK_E_clISD_PjSD_S10_EESH_SX_SI_SJ_SK_EUlSX_E_NS1_11comp_targetILNS1_3genE4ELNS1_11target_archE910ELNS1_3gpuE8ELNS1_3repE0EEENS1_48merge_mergepath_partition_config_static_selectorELNS0_4arch9wavefront6targetE1EEEvSJ_.kd
    .uniform_work_group_size: 1
    .uses_dynamic_stack: false
    .vgpr_count:     0
    .vgpr_spill_count: 0
    .wavefront_size: 64
  - .agpr_count:     0
    .args:
      - .offset:         0
        .size:           40
        .value_kind:     by_value
    .group_segment_fixed_size: 0
    .kernarg_segment_align: 8
    .kernarg_segment_size: 40
    .language:       OpenCL C
    .language_version:
      - 2
      - 0
    .max_flat_workgroup_size: 128
    .name:           _ZN7rocprim17ROCPRIM_400000_NS6detail17trampoline_kernelINS0_14default_configENS1_38merge_sort_block_merge_config_selectorIjjEEZZNS1_27merge_sort_block_merge_implIS3_N6thrust23THRUST_200600_302600_NS6detail15normal_iteratorINS8_10device_ptrIjEEEESD_jNS1_19radix_merge_compareILb0ELb0EjNS0_19identity_decomposerEEEEE10hipError_tT0_T1_T2_jT3_P12ihipStream_tbPNSt15iterator_traitsISI_E10value_typeEPNSO_ISJ_E10value_typeEPSK_NS1_7vsmem_tEENKUlT_SI_SJ_SK_E_clISD_PjSD_S10_EESH_SX_SI_SJ_SK_EUlSX_E_NS1_11comp_targetILNS1_3genE3ELNS1_11target_archE908ELNS1_3gpuE7ELNS1_3repE0EEENS1_48merge_mergepath_partition_config_static_selectorELNS0_4arch9wavefront6targetE1EEEvSJ_
    .private_segment_fixed_size: 0
    .sgpr_count:     6
    .sgpr_spill_count: 0
    .symbol:         _ZN7rocprim17ROCPRIM_400000_NS6detail17trampoline_kernelINS0_14default_configENS1_38merge_sort_block_merge_config_selectorIjjEEZZNS1_27merge_sort_block_merge_implIS3_N6thrust23THRUST_200600_302600_NS6detail15normal_iteratorINS8_10device_ptrIjEEEESD_jNS1_19radix_merge_compareILb0ELb0EjNS0_19identity_decomposerEEEEE10hipError_tT0_T1_T2_jT3_P12ihipStream_tbPNSt15iterator_traitsISI_E10value_typeEPNSO_ISJ_E10value_typeEPSK_NS1_7vsmem_tEENKUlT_SI_SJ_SK_E_clISD_PjSD_S10_EESH_SX_SI_SJ_SK_EUlSX_E_NS1_11comp_targetILNS1_3genE3ELNS1_11target_archE908ELNS1_3gpuE7ELNS1_3repE0EEENS1_48merge_mergepath_partition_config_static_selectorELNS0_4arch9wavefront6targetE1EEEvSJ_.kd
    .uniform_work_group_size: 1
    .uses_dynamic_stack: false
    .vgpr_count:     0
    .vgpr_spill_count: 0
    .wavefront_size: 64
  - .agpr_count:     0
    .args:
      - .offset:         0
        .size:           40
        .value_kind:     by_value
    .group_segment_fixed_size: 0
    .kernarg_segment_align: 8
    .kernarg_segment_size: 40
    .language:       OpenCL C
    .language_version:
      - 2
      - 0
    .max_flat_workgroup_size: 128
    .name:           _ZN7rocprim17ROCPRIM_400000_NS6detail17trampoline_kernelINS0_14default_configENS1_38merge_sort_block_merge_config_selectorIjjEEZZNS1_27merge_sort_block_merge_implIS3_N6thrust23THRUST_200600_302600_NS6detail15normal_iteratorINS8_10device_ptrIjEEEESD_jNS1_19radix_merge_compareILb0ELb0EjNS0_19identity_decomposerEEEEE10hipError_tT0_T1_T2_jT3_P12ihipStream_tbPNSt15iterator_traitsISI_E10value_typeEPNSO_ISJ_E10value_typeEPSK_NS1_7vsmem_tEENKUlT_SI_SJ_SK_E_clISD_PjSD_S10_EESH_SX_SI_SJ_SK_EUlSX_E_NS1_11comp_targetILNS1_3genE2ELNS1_11target_archE906ELNS1_3gpuE6ELNS1_3repE0EEENS1_48merge_mergepath_partition_config_static_selectorELNS0_4arch9wavefront6targetE1EEEvSJ_
    .private_segment_fixed_size: 0
    .sgpr_count:     6
    .sgpr_spill_count: 0
    .symbol:         _ZN7rocprim17ROCPRIM_400000_NS6detail17trampoline_kernelINS0_14default_configENS1_38merge_sort_block_merge_config_selectorIjjEEZZNS1_27merge_sort_block_merge_implIS3_N6thrust23THRUST_200600_302600_NS6detail15normal_iteratorINS8_10device_ptrIjEEEESD_jNS1_19radix_merge_compareILb0ELb0EjNS0_19identity_decomposerEEEEE10hipError_tT0_T1_T2_jT3_P12ihipStream_tbPNSt15iterator_traitsISI_E10value_typeEPNSO_ISJ_E10value_typeEPSK_NS1_7vsmem_tEENKUlT_SI_SJ_SK_E_clISD_PjSD_S10_EESH_SX_SI_SJ_SK_EUlSX_E_NS1_11comp_targetILNS1_3genE2ELNS1_11target_archE906ELNS1_3gpuE6ELNS1_3repE0EEENS1_48merge_mergepath_partition_config_static_selectorELNS0_4arch9wavefront6targetE1EEEvSJ_.kd
    .uniform_work_group_size: 1
    .uses_dynamic_stack: false
    .vgpr_count:     0
    .vgpr_spill_count: 0
    .wavefront_size: 64
  - .agpr_count:     0
    .args:
      - .offset:         0
        .size:           40
        .value_kind:     by_value
    .group_segment_fixed_size: 0
    .kernarg_segment_align: 8
    .kernarg_segment_size: 40
    .language:       OpenCL C
    .language_version:
      - 2
      - 0
    .max_flat_workgroup_size: 128
    .name:           _ZN7rocprim17ROCPRIM_400000_NS6detail17trampoline_kernelINS0_14default_configENS1_38merge_sort_block_merge_config_selectorIjjEEZZNS1_27merge_sort_block_merge_implIS3_N6thrust23THRUST_200600_302600_NS6detail15normal_iteratorINS8_10device_ptrIjEEEESD_jNS1_19radix_merge_compareILb0ELb0EjNS0_19identity_decomposerEEEEE10hipError_tT0_T1_T2_jT3_P12ihipStream_tbPNSt15iterator_traitsISI_E10value_typeEPNSO_ISJ_E10value_typeEPSK_NS1_7vsmem_tEENKUlT_SI_SJ_SK_E_clISD_PjSD_S10_EESH_SX_SI_SJ_SK_EUlSX_E_NS1_11comp_targetILNS1_3genE9ELNS1_11target_archE1100ELNS1_3gpuE3ELNS1_3repE0EEENS1_48merge_mergepath_partition_config_static_selectorELNS0_4arch9wavefront6targetE1EEEvSJ_
    .private_segment_fixed_size: 0
    .sgpr_count:     6
    .sgpr_spill_count: 0
    .symbol:         _ZN7rocprim17ROCPRIM_400000_NS6detail17trampoline_kernelINS0_14default_configENS1_38merge_sort_block_merge_config_selectorIjjEEZZNS1_27merge_sort_block_merge_implIS3_N6thrust23THRUST_200600_302600_NS6detail15normal_iteratorINS8_10device_ptrIjEEEESD_jNS1_19radix_merge_compareILb0ELb0EjNS0_19identity_decomposerEEEEE10hipError_tT0_T1_T2_jT3_P12ihipStream_tbPNSt15iterator_traitsISI_E10value_typeEPNSO_ISJ_E10value_typeEPSK_NS1_7vsmem_tEENKUlT_SI_SJ_SK_E_clISD_PjSD_S10_EESH_SX_SI_SJ_SK_EUlSX_E_NS1_11comp_targetILNS1_3genE9ELNS1_11target_archE1100ELNS1_3gpuE3ELNS1_3repE0EEENS1_48merge_mergepath_partition_config_static_selectorELNS0_4arch9wavefront6targetE1EEEvSJ_.kd
    .uniform_work_group_size: 1
    .uses_dynamic_stack: false
    .vgpr_count:     0
    .vgpr_spill_count: 0
    .wavefront_size: 64
  - .agpr_count:     0
    .args:
      - .offset:         0
        .size:           40
        .value_kind:     by_value
    .group_segment_fixed_size: 0
    .kernarg_segment_align: 8
    .kernarg_segment_size: 40
    .language:       OpenCL C
    .language_version:
      - 2
      - 0
    .max_flat_workgroup_size: 128
    .name:           _ZN7rocprim17ROCPRIM_400000_NS6detail17trampoline_kernelINS0_14default_configENS1_38merge_sort_block_merge_config_selectorIjjEEZZNS1_27merge_sort_block_merge_implIS3_N6thrust23THRUST_200600_302600_NS6detail15normal_iteratorINS8_10device_ptrIjEEEESD_jNS1_19radix_merge_compareILb0ELb0EjNS0_19identity_decomposerEEEEE10hipError_tT0_T1_T2_jT3_P12ihipStream_tbPNSt15iterator_traitsISI_E10value_typeEPNSO_ISJ_E10value_typeEPSK_NS1_7vsmem_tEENKUlT_SI_SJ_SK_E_clISD_PjSD_S10_EESH_SX_SI_SJ_SK_EUlSX_E_NS1_11comp_targetILNS1_3genE8ELNS1_11target_archE1030ELNS1_3gpuE2ELNS1_3repE0EEENS1_48merge_mergepath_partition_config_static_selectorELNS0_4arch9wavefront6targetE1EEEvSJ_
    .private_segment_fixed_size: 0
    .sgpr_count:     6
    .sgpr_spill_count: 0
    .symbol:         _ZN7rocprim17ROCPRIM_400000_NS6detail17trampoline_kernelINS0_14default_configENS1_38merge_sort_block_merge_config_selectorIjjEEZZNS1_27merge_sort_block_merge_implIS3_N6thrust23THRUST_200600_302600_NS6detail15normal_iteratorINS8_10device_ptrIjEEEESD_jNS1_19radix_merge_compareILb0ELb0EjNS0_19identity_decomposerEEEEE10hipError_tT0_T1_T2_jT3_P12ihipStream_tbPNSt15iterator_traitsISI_E10value_typeEPNSO_ISJ_E10value_typeEPSK_NS1_7vsmem_tEENKUlT_SI_SJ_SK_E_clISD_PjSD_S10_EESH_SX_SI_SJ_SK_EUlSX_E_NS1_11comp_targetILNS1_3genE8ELNS1_11target_archE1030ELNS1_3gpuE2ELNS1_3repE0EEENS1_48merge_mergepath_partition_config_static_selectorELNS0_4arch9wavefront6targetE1EEEvSJ_.kd
    .uniform_work_group_size: 1
    .uses_dynamic_stack: false
    .vgpr_count:     0
    .vgpr_spill_count: 0
    .wavefront_size: 64
  - .agpr_count:     0
    .args:
      - .offset:         0
        .size:           64
        .value_kind:     by_value
      - .offset:         64
        .size:           4
        .value_kind:     hidden_block_count_x
      - .offset:         68
        .size:           4
        .value_kind:     hidden_block_count_y
      - .offset:         72
        .size:           4
        .value_kind:     hidden_block_count_z
      - .offset:         76
        .size:           2
        .value_kind:     hidden_group_size_x
      - .offset:         78
        .size:           2
        .value_kind:     hidden_group_size_y
      - .offset:         80
        .size:           2
        .value_kind:     hidden_group_size_z
      - .offset:         82
        .size:           2
        .value_kind:     hidden_remainder_x
      - .offset:         84
        .size:           2
        .value_kind:     hidden_remainder_y
      - .offset:         86
        .size:           2
        .value_kind:     hidden_remainder_z
      - .offset:         104
        .size:           8
        .value_kind:     hidden_global_offset_x
      - .offset:         112
        .size:           8
        .value_kind:     hidden_global_offset_y
      - .offset:         120
        .size:           8
        .value_kind:     hidden_global_offset_z
      - .offset:         128
        .size:           2
        .value_kind:     hidden_grid_dims
    .group_segment_fixed_size: 4224
    .kernarg_segment_align: 8
    .kernarg_segment_size: 320
    .language:       OpenCL C
    .language_version:
      - 2
      - 0
    .max_flat_workgroup_size: 256
    .name:           _ZN7rocprim17ROCPRIM_400000_NS6detail17trampoline_kernelINS0_14default_configENS1_38merge_sort_block_merge_config_selectorIjjEEZZNS1_27merge_sort_block_merge_implIS3_N6thrust23THRUST_200600_302600_NS6detail15normal_iteratorINS8_10device_ptrIjEEEESD_jNS1_19radix_merge_compareILb0ELb0EjNS0_19identity_decomposerEEEEE10hipError_tT0_T1_T2_jT3_P12ihipStream_tbPNSt15iterator_traitsISI_E10value_typeEPNSO_ISJ_E10value_typeEPSK_NS1_7vsmem_tEENKUlT_SI_SJ_SK_E_clISD_PjSD_S10_EESH_SX_SI_SJ_SK_EUlSX_E0_NS1_11comp_targetILNS1_3genE0ELNS1_11target_archE4294967295ELNS1_3gpuE0ELNS1_3repE0EEENS1_38merge_mergepath_config_static_selectorELNS0_4arch9wavefront6targetE1EEEvSJ_
    .private_segment_fixed_size: 0
    .sgpr_count:     36
    .sgpr_spill_count: 0
    .symbol:         _ZN7rocprim17ROCPRIM_400000_NS6detail17trampoline_kernelINS0_14default_configENS1_38merge_sort_block_merge_config_selectorIjjEEZZNS1_27merge_sort_block_merge_implIS3_N6thrust23THRUST_200600_302600_NS6detail15normal_iteratorINS8_10device_ptrIjEEEESD_jNS1_19radix_merge_compareILb0ELb0EjNS0_19identity_decomposerEEEEE10hipError_tT0_T1_T2_jT3_P12ihipStream_tbPNSt15iterator_traitsISI_E10value_typeEPNSO_ISJ_E10value_typeEPSK_NS1_7vsmem_tEENKUlT_SI_SJ_SK_E_clISD_PjSD_S10_EESH_SX_SI_SJ_SK_EUlSX_E0_NS1_11comp_targetILNS1_3genE0ELNS1_11target_archE4294967295ELNS1_3gpuE0ELNS1_3repE0EEENS1_38merge_mergepath_config_static_selectorELNS0_4arch9wavefront6targetE1EEEvSJ_.kd
    .uniform_work_group_size: 1
    .uses_dynamic_stack: false
    .vgpr_count:     21
    .vgpr_spill_count: 0
    .wavefront_size: 64
  - .agpr_count:     0
    .args:
      - .offset:         0
        .size:           64
        .value_kind:     by_value
    .group_segment_fixed_size: 0
    .kernarg_segment_align: 8
    .kernarg_segment_size: 64
    .language:       OpenCL C
    .language_version:
      - 2
      - 0
    .max_flat_workgroup_size: 256
    .name:           _ZN7rocprim17ROCPRIM_400000_NS6detail17trampoline_kernelINS0_14default_configENS1_38merge_sort_block_merge_config_selectorIjjEEZZNS1_27merge_sort_block_merge_implIS3_N6thrust23THRUST_200600_302600_NS6detail15normal_iteratorINS8_10device_ptrIjEEEESD_jNS1_19radix_merge_compareILb0ELb0EjNS0_19identity_decomposerEEEEE10hipError_tT0_T1_T2_jT3_P12ihipStream_tbPNSt15iterator_traitsISI_E10value_typeEPNSO_ISJ_E10value_typeEPSK_NS1_7vsmem_tEENKUlT_SI_SJ_SK_E_clISD_PjSD_S10_EESH_SX_SI_SJ_SK_EUlSX_E0_NS1_11comp_targetILNS1_3genE10ELNS1_11target_archE1201ELNS1_3gpuE5ELNS1_3repE0EEENS1_38merge_mergepath_config_static_selectorELNS0_4arch9wavefront6targetE1EEEvSJ_
    .private_segment_fixed_size: 0
    .sgpr_count:     6
    .sgpr_spill_count: 0
    .symbol:         _ZN7rocprim17ROCPRIM_400000_NS6detail17trampoline_kernelINS0_14default_configENS1_38merge_sort_block_merge_config_selectorIjjEEZZNS1_27merge_sort_block_merge_implIS3_N6thrust23THRUST_200600_302600_NS6detail15normal_iteratorINS8_10device_ptrIjEEEESD_jNS1_19radix_merge_compareILb0ELb0EjNS0_19identity_decomposerEEEEE10hipError_tT0_T1_T2_jT3_P12ihipStream_tbPNSt15iterator_traitsISI_E10value_typeEPNSO_ISJ_E10value_typeEPSK_NS1_7vsmem_tEENKUlT_SI_SJ_SK_E_clISD_PjSD_S10_EESH_SX_SI_SJ_SK_EUlSX_E0_NS1_11comp_targetILNS1_3genE10ELNS1_11target_archE1201ELNS1_3gpuE5ELNS1_3repE0EEENS1_38merge_mergepath_config_static_selectorELNS0_4arch9wavefront6targetE1EEEvSJ_.kd
    .uniform_work_group_size: 1
    .uses_dynamic_stack: false
    .vgpr_count:     0
    .vgpr_spill_count: 0
    .wavefront_size: 64
  - .agpr_count:     0
    .args:
      - .offset:         0
        .size:           64
        .value_kind:     by_value
    .group_segment_fixed_size: 0
    .kernarg_segment_align: 8
    .kernarg_segment_size: 64
    .language:       OpenCL C
    .language_version:
      - 2
      - 0
    .max_flat_workgroup_size: 128
    .name:           _ZN7rocprim17ROCPRIM_400000_NS6detail17trampoline_kernelINS0_14default_configENS1_38merge_sort_block_merge_config_selectorIjjEEZZNS1_27merge_sort_block_merge_implIS3_N6thrust23THRUST_200600_302600_NS6detail15normal_iteratorINS8_10device_ptrIjEEEESD_jNS1_19radix_merge_compareILb0ELb0EjNS0_19identity_decomposerEEEEE10hipError_tT0_T1_T2_jT3_P12ihipStream_tbPNSt15iterator_traitsISI_E10value_typeEPNSO_ISJ_E10value_typeEPSK_NS1_7vsmem_tEENKUlT_SI_SJ_SK_E_clISD_PjSD_S10_EESH_SX_SI_SJ_SK_EUlSX_E0_NS1_11comp_targetILNS1_3genE5ELNS1_11target_archE942ELNS1_3gpuE9ELNS1_3repE0EEENS1_38merge_mergepath_config_static_selectorELNS0_4arch9wavefront6targetE1EEEvSJ_
    .private_segment_fixed_size: 0
    .sgpr_count:     6
    .sgpr_spill_count: 0
    .symbol:         _ZN7rocprim17ROCPRIM_400000_NS6detail17trampoline_kernelINS0_14default_configENS1_38merge_sort_block_merge_config_selectorIjjEEZZNS1_27merge_sort_block_merge_implIS3_N6thrust23THRUST_200600_302600_NS6detail15normal_iteratorINS8_10device_ptrIjEEEESD_jNS1_19radix_merge_compareILb0ELb0EjNS0_19identity_decomposerEEEEE10hipError_tT0_T1_T2_jT3_P12ihipStream_tbPNSt15iterator_traitsISI_E10value_typeEPNSO_ISJ_E10value_typeEPSK_NS1_7vsmem_tEENKUlT_SI_SJ_SK_E_clISD_PjSD_S10_EESH_SX_SI_SJ_SK_EUlSX_E0_NS1_11comp_targetILNS1_3genE5ELNS1_11target_archE942ELNS1_3gpuE9ELNS1_3repE0EEENS1_38merge_mergepath_config_static_selectorELNS0_4arch9wavefront6targetE1EEEvSJ_.kd
    .uniform_work_group_size: 1
    .uses_dynamic_stack: false
    .vgpr_count:     0
    .vgpr_spill_count: 0
    .wavefront_size: 64
  - .agpr_count:     0
    .args:
      - .offset:         0
        .size:           64
        .value_kind:     by_value
    .group_segment_fixed_size: 0
    .kernarg_segment_align: 8
    .kernarg_segment_size: 64
    .language:       OpenCL C
    .language_version:
      - 2
      - 0
    .max_flat_workgroup_size: 256
    .name:           _ZN7rocprim17ROCPRIM_400000_NS6detail17trampoline_kernelINS0_14default_configENS1_38merge_sort_block_merge_config_selectorIjjEEZZNS1_27merge_sort_block_merge_implIS3_N6thrust23THRUST_200600_302600_NS6detail15normal_iteratorINS8_10device_ptrIjEEEESD_jNS1_19radix_merge_compareILb0ELb0EjNS0_19identity_decomposerEEEEE10hipError_tT0_T1_T2_jT3_P12ihipStream_tbPNSt15iterator_traitsISI_E10value_typeEPNSO_ISJ_E10value_typeEPSK_NS1_7vsmem_tEENKUlT_SI_SJ_SK_E_clISD_PjSD_S10_EESH_SX_SI_SJ_SK_EUlSX_E0_NS1_11comp_targetILNS1_3genE4ELNS1_11target_archE910ELNS1_3gpuE8ELNS1_3repE0EEENS1_38merge_mergepath_config_static_selectorELNS0_4arch9wavefront6targetE1EEEvSJ_
    .private_segment_fixed_size: 0
    .sgpr_count:     6
    .sgpr_spill_count: 0
    .symbol:         _ZN7rocprim17ROCPRIM_400000_NS6detail17trampoline_kernelINS0_14default_configENS1_38merge_sort_block_merge_config_selectorIjjEEZZNS1_27merge_sort_block_merge_implIS3_N6thrust23THRUST_200600_302600_NS6detail15normal_iteratorINS8_10device_ptrIjEEEESD_jNS1_19radix_merge_compareILb0ELb0EjNS0_19identity_decomposerEEEEE10hipError_tT0_T1_T2_jT3_P12ihipStream_tbPNSt15iterator_traitsISI_E10value_typeEPNSO_ISJ_E10value_typeEPSK_NS1_7vsmem_tEENKUlT_SI_SJ_SK_E_clISD_PjSD_S10_EESH_SX_SI_SJ_SK_EUlSX_E0_NS1_11comp_targetILNS1_3genE4ELNS1_11target_archE910ELNS1_3gpuE8ELNS1_3repE0EEENS1_38merge_mergepath_config_static_selectorELNS0_4arch9wavefront6targetE1EEEvSJ_.kd
    .uniform_work_group_size: 1
    .uses_dynamic_stack: false
    .vgpr_count:     0
    .vgpr_spill_count: 0
    .wavefront_size: 64
  - .agpr_count:     0
    .args:
      - .offset:         0
        .size:           64
        .value_kind:     by_value
    .group_segment_fixed_size: 0
    .kernarg_segment_align: 8
    .kernarg_segment_size: 64
    .language:       OpenCL C
    .language_version:
      - 2
      - 0
    .max_flat_workgroup_size: 256
    .name:           _ZN7rocprim17ROCPRIM_400000_NS6detail17trampoline_kernelINS0_14default_configENS1_38merge_sort_block_merge_config_selectorIjjEEZZNS1_27merge_sort_block_merge_implIS3_N6thrust23THRUST_200600_302600_NS6detail15normal_iteratorINS8_10device_ptrIjEEEESD_jNS1_19radix_merge_compareILb0ELb0EjNS0_19identity_decomposerEEEEE10hipError_tT0_T1_T2_jT3_P12ihipStream_tbPNSt15iterator_traitsISI_E10value_typeEPNSO_ISJ_E10value_typeEPSK_NS1_7vsmem_tEENKUlT_SI_SJ_SK_E_clISD_PjSD_S10_EESH_SX_SI_SJ_SK_EUlSX_E0_NS1_11comp_targetILNS1_3genE3ELNS1_11target_archE908ELNS1_3gpuE7ELNS1_3repE0EEENS1_38merge_mergepath_config_static_selectorELNS0_4arch9wavefront6targetE1EEEvSJ_
    .private_segment_fixed_size: 0
    .sgpr_count:     6
    .sgpr_spill_count: 0
    .symbol:         _ZN7rocprim17ROCPRIM_400000_NS6detail17trampoline_kernelINS0_14default_configENS1_38merge_sort_block_merge_config_selectorIjjEEZZNS1_27merge_sort_block_merge_implIS3_N6thrust23THRUST_200600_302600_NS6detail15normal_iteratorINS8_10device_ptrIjEEEESD_jNS1_19radix_merge_compareILb0ELb0EjNS0_19identity_decomposerEEEEE10hipError_tT0_T1_T2_jT3_P12ihipStream_tbPNSt15iterator_traitsISI_E10value_typeEPNSO_ISJ_E10value_typeEPSK_NS1_7vsmem_tEENKUlT_SI_SJ_SK_E_clISD_PjSD_S10_EESH_SX_SI_SJ_SK_EUlSX_E0_NS1_11comp_targetILNS1_3genE3ELNS1_11target_archE908ELNS1_3gpuE7ELNS1_3repE0EEENS1_38merge_mergepath_config_static_selectorELNS0_4arch9wavefront6targetE1EEEvSJ_.kd
    .uniform_work_group_size: 1
    .uses_dynamic_stack: false
    .vgpr_count:     0
    .vgpr_spill_count: 0
    .wavefront_size: 64
  - .agpr_count:     0
    .args:
      - .offset:         0
        .size:           64
        .value_kind:     by_value
    .group_segment_fixed_size: 0
    .kernarg_segment_align: 8
    .kernarg_segment_size: 64
    .language:       OpenCL C
    .language_version:
      - 2
      - 0
    .max_flat_workgroup_size: 256
    .name:           _ZN7rocprim17ROCPRIM_400000_NS6detail17trampoline_kernelINS0_14default_configENS1_38merge_sort_block_merge_config_selectorIjjEEZZNS1_27merge_sort_block_merge_implIS3_N6thrust23THRUST_200600_302600_NS6detail15normal_iteratorINS8_10device_ptrIjEEEESD_jNS1_19radix_merge_compareILb0ELb0EjNS0_19identity_decomposerEEEEE10hipError_tT0_T1_T2_jT3_P12ihipStream_tbPNSt15iterator_traitsISI_E10value_typeEPNSO_ISJ_E10value_typeEPSK_NS1_7vsmem_tEENKUlT_SI_SJ_SK_E_clISD_PjSD_S10_EESH_SX_SI_SJ_SK_EUlSX_E0_NS1_11comp_targetILNS1_3genE2ELNS1_11target_archE906ELNS1_3gpuE6ELNS1_3repE0EEENS1_38merge_mergepath_config_static_selectorELNS0_4arch9wavefront6targetE1EEEvSJ_
    .private_segment_fixed_size: 0
    .sgpr_count:     6
    .sgpr_spill_count: 0
    .symbol:         _ZN7rocprim17ROCPRIM_400000_NS6detail17trampoline_kernelINS0_14default_configENS1_38merge_sort_block_merge_config_selectorIjjEEZZNS1_27merge_sort_block_merge_implIS3_N6thrust23THRUST_200600_302600_NS6detail15normal_iteratorINS8_10device_ptrIjEEEESD_jNS1_19radix_merge_compareILb0ELb0EjNS0_19identity_decomposerEEEEE10hipError_tT0_T1_T2_jT3_P12ihipStream_tbPNSt15iterator_traitsISI_E10value_typeEPNSO_ISJ_E10value_typeEPSK_NS1_7vsmem_tEENKUlT_SI_SJ_SK_E_clISD_PjSD_S10_EESH_SX_SI_SJ_SK_EUlSX_E0_NS1_11comp_targetILNS1_3genE2ELNS1_11target_archE906ELNS1_3gpuE6ELNS1_3repE0EEENS1_38merge_mergepath_config_static_selectorELNS0_4arch9wavefront6targetE1EEEvSJ_.kd
    .uniform_work_group_size: 1
    .uses_dynamic_stack: false
    .vgpr_count:     0
    .vgpr_spill_count: 0
    .wavefront_size: 64
  - .agpr_count:     0
    .args:
      - .offset:         0
        .size:           64
        .value_kind:     by_value
    .group_segment_fixed_size: 0
    .kernarg_segment_align: 8
    .kernarg_segment_size: 64
    .language:       OpenCL C
    .language_version:
      - 2
      - 0
    .max_flat_workgroup_size: 512
    .name:           _ZN7rocprim17ROCPRIM_400000_NS6detail17trampoline_kernelINS0_14default_configENS1_38merge_sort_block_merge_config_selectorIjjEEZZNS1_27merge_sort_block_merge_implIS3_N6thrust23THRUST_200600_302600_NS6detail15normal_iteratorINS8_10device_ptrIjEEEESD_jNS1_19radix_merge_compareILb0ELb0EjNS0_19identity_decomposerEEEEE10hipError_tT0_T1_T2_jT3_P12ihipStream_tbPNSt15iterator_traitsISI_E10value_typeEPNSO_ISJ_E10value_typeEPSK_NS1_7vsmem_tEENKUlT_SI_SJ_SK_E_clISD_PjSD_S10_EESH_SX_SI_SJ_SK_EUlSX_E0_NS1_11comp_targetILNS1_3genE9ELNS1_11target_archE1100ELNS1_3gpuE3ELNS1_3repE0EEENS1_38merge_mergepath_config_static_selectorELNS0_4arch9wavefront6targetE1EEEvSJ_
    .private_segment_fixed_size: 0
    .sgpr_count:     6
    .sgpr_spill_count: 0
    .symbol:         _ZN7rocprim17ROCPRIM_400000_NS6detail17trampoline_kernelINS0_14default_configENS1_38merge_sort_block_merge_config_selectorIjjEEZZNS1_27merge_sort_block_merge_implIS3_N6thrust23THRUST_200600_302600_NS6detail15normal_iteratorINS8_10device_ptrIjEEEESD_jNS1_19radix_merge_compareILb0ELb0EjNS0_19identity_decomposerEEEEE10hipError_tT0_T1_T2_jT3_P12ihipStream_tbPNSt15iterator_traitsISI_E10value_typeEPNSO_ISJ_E10value_typeEPSK_NS1_7vsmem_tEENKUlT_SI_SJ_SK_E_clISD_PjSD_S10_EESH_SX_SI_SJ_SK_EUlSX_E0_NS1_11comp_targetILNS1_3genE9ELNS1_11target_archE1100ELNS1_3gpuE3ELNS1_3repE0EEENS1_38merge_mergepath_config_static_selectorELNS0_4arch9wavefront6targetE1EEEvSJ_.kd
    .uniform_work_group_size: 1
    .uses_dynamic_stack: false
    .vgpr_count:     0
    .vgpr_spill_count: 0
    .wavefront_size: 64
  - .agpr_count:     0
    .args:
      - .offset:         0
        .size:           64
        .value_kind:     by_value
    .group_segment_fixed_size: 0
    .kernarg_segment_align: 8
    .kernarg_segment_size: 64
    .language:       OpenCL C
    .language_version:
      - 2
      - 0
    .max_flat_workgroup_size: 1024
    .name:           _ZN7rocprim17ROCPRIM_400000_NS6detail17trampoline_kernelINS0_14default_configENS1_38merge_sort_block_merge_config_selectorIjjEEZZNS1_27merge_sort_block_merge_implIS3_N6thrust23THRUST_200600_302600_NS6detail15normal_iteratorINS8_10device_ptrIjEEEESD_jNS1_19radix_merge_compareILb0ELb0EjNS0_19identity_decomposerEEEEE10hipError_tT0_T1_T2_jT3_P12ihipStream_tbPNSt15iterator_traitsISI_E10value_typeEPNSO_ISJ_E10value_typeEPSK_NS1_7vsmem_tEENKUlT_SI_SJ_SK_E_clISD_PjSD_S10_EESH_SX_SI_SJ_SK_EUlSX_E0_NS1_11comp_targetILNS1_3genE8ELNS1_11target_archE1030ELNS1_3gpuE2ELNS1_3repE0EEENS1_38merge_mergepath_config_static_selectorELNS0_4arch9wavefront6targetE1EEEvSJ_
    .private_segment_fixed_size: 0
    .sgpr_count:     6
    .sgpr_spill_count: 0
    .symbol:         _ZN7rocprim17ROCPRIM_400000_NS6detail17trampoline_kernelINS0_14default_configENS1_38merge_sort_block_merge_config_selectorIjjEEZZNS1_27merge_sort_block_merge_implIS3_N6thrust23THRUST_200600_302600_NS6detail15normal_iteratorINS8_10device_ptrIjEEEESD_jNS1_19radix_merge_compareILb0ELb0EjNS0_19identity_decomposerEEEEE10hipError_tT0_T1_T2_jT3_P12ihipStream_tbPNSt15iterator_traitsISI_E10value_typeEPNSO_ISJ_E10value_typeEPSK_NS1_7vsmem_tEENKUlT_SI_SJ_SK_E_clISD_PjSD_S10_EESH_SX_SI_SJ_SK_EUlSX_E0_NS1_11comp_targetILNS1_3genE8ELNS1_11target_archE1030ELNS1_3gpuE2ELNS1_3repE0EEENS1_38merge_mergepath_config_static_selectorELNS0_4arch9wavefront6targetE1EEEvSJ_.kd
    .uniform_work_group_size: 1
    .uses_dynamic_stack: false
    .vgpr_count:     0
    .vgpr_spill_count: 0
    .wavefront_size: 64
  - .agpr_count:     0
    .args:
      - .offset:         0
        .size:           48
        .value_kind:     by_value
    .group_segment_fixed_size: 0
    .kernarg_segment_align: 8
    .kernarg_segment_size: 48
    .language:       OpenCL C
    .language_version:
      - 2
      - 0
    .max_flat_workgroup_size: 256
    .name:           _ZN7rocprim17ROCPRIM_400000_NS6detail17trampoline_kernelINS0_14default_configENS1_38merge_sort_block_merge_config_selectorIjjEEZZNS1_27merge_sort_block_merge_implIS3_N6thrust23THRUST_200600_302600_NS6detail15normal_iteratorINS8_10device_ptrIjEEEESD_jNS1_19radix_merge_compareILb0ELb0EjNS0_19identity_decomposerEEEEE10hipError_tT0_T1_T2_jT3_P12ihipStream_tbPNSt15iterator_traitsISI_E10value_typeEPNSO_ISJ_E10value_typeEPSK_NS1_7vsmem_tEENKUlT_SI_SJ_SK_E_clISD_PjSD_S10_EESH_SX_SI_SJ_SK_EUlSX_E1_NS1_11comp_targetILNS1_3genE0ELNS1_11target_archE4294967295ELNS1_3gpuE0ELNS1_3repE0EEENS1_36merge_oddeven_config_static_selectorELNS0_4arch9wavefront6targetE1EEEvSJ_
    .private_segment_fixed_size: 0
    .sgpr_count:     30
    .sgpr_spill_count: 0
    .symbol:         _ZN7rocprim17ROCPRIM_400000_NS6detail17trampoline_kernelINS0_14default_configENS1_38merge_sort_block_merge_config_selectorIjjEEZZNS1_27merge_sort_block_merge_implIS3_N6thrust23THRUST_200600_302600_NS6detail15normal_iteratorINS8_10device_ptrIjEEEESD_jNS1_19radix_merge_compareILb0ELb0EjNS0_19identity_decomposerEEEEE10hipError_tT0_T1_T2_jT3_P12ihipStream_tbPNSt15iterator_traitsISI_E10value_typeEPNSO_ISJ_E10value_typeEPSK_NS1_7vsmem_tEENKUlT_SI_SJ_SK_E_clISD_PjSD_S10_EESH_SX_SI_SJ_SK_EUlSX_E1_NS1_11comp_targetILNS1_3genE0ELNS1_11target_archE4294967295ELNS1_3gpuE0ELNS1_3repE0EEENS1_36merge_oddeven_config_static_selectorELNS0_4arch9wavefront6targetE1EEEvSJ_.kd
    .uniform_work_group_size: 1
    .uses_dynamic_stack: false
    .vgpr_count:     10
    .vgpr_spill_count: 0
    .wavefront_size: 64
  - .agpr_count:     0
    .args:
      - .offset:         0
        .size:           48
        .value_kind:     by_value
    .group_segment_fixed_size: 0
    .kernarg_segment_align: 8
    .kernarg_segment_size: 48
    .language:       OpenCL C
    .language_version:
      - 2
      - 0
    .max_flat_workgroup_size: 256
    .name:           _ZN7rocprim17ROCPRIM_400000_NS6detail17trampoline_kernelINS0_14default_configENS1_38merge_sort_block_merge_config_selectorIjjEEZZNS1_27merge_sort_block_merge_implIS3_N6thrust23THRUST_200600_302600_NS6detail15normal_iteratorINS8_10device_ptrIjEEEESD_jNS1_19radix_merge_compareILb0ELb0EjNS0_19identity_decomposerEEEEE10hipError_tT0_T1_T2_jT3_P12ihipStream_tbPNSt15iterator_traitsISI_E10value_typeEPNSO_ISJ_E10value_typeEPSK_NS1_7vsmem_tEENKUlT_SI_SJ_SK_E_clISD_PjSD_S10_EESH_SX_SI_SJ_SK_EUlSX_E1_NS1_11comp_targetILNS1_3genE10ELNS1_11target_archE1201ELNS1_3gpuE5ELNS1_3repE0EEENS1_36merge_oddeven_config_static_selectorELNS0_4arch9wavefront6targetE1EEEvSJ_
    .private_segment_fixed_size: 0
    .sgpr_count:     6
    .sgpr_spill_count: 0
    .symbol:         _ZN7rocprim17ROCPRIM_400000_NS6detail17trampoline_kernelINS0_14default_configENS1_38merge_sort_block_merge_config_selectorIjjEEZZNS1_27merge_sort_block_merge_implIS3_N6thrust23THRUST_200600_302600_NS6detail15normal_iteratorINS8_10device_ptrIjEEEESD_jNS1_19radix_merge_compareILb0ELb0EjNS0_19identity_decomposerEEEEE10hipError_tT0_T1_T2_jT3_P12ihipStream_tbPNSt15iterator_traitsISI_E10value_typeEPNSO_ISJ_E10value_typeEPSK_NS1_7vsmem_tEENKUlT_SI_SJ_SK_E_clISD_PjSD_S10_EESH_SX_SI_SJ_SK_EUlSX_E1_NS1_11comp_targetILNS1_3genE10ELNS1_11target_archE1201ELNS1_3gpuE5ELNS1_3repE0EEENS1_36merge_oddeven_config_static_selectorELNS0_4arch9wavefront6targetE1EEEvSJ_.kd
    .uniform_work_group_size: 1
    .uses_dynamic_stack: false
    .vgpr_count:     0
    .vgpr_spill_count: 0
    .wavefront_size: 64
  - .agpr_count:     0
    .args:
      - .offset:         0
        .size:           48
        .value_kind:     by_value
    .group_segment_fixed_size: 0
    .kernarg_segment_align: 8
    .kernarg_segment_size: 48
    .language:       OpenCL C
    .language_version:
      - 2
      - 0
    .max_flat_workgroup_size: 256
    .name:           _ZN7rocprim17ROCPRIM_400000_NS6detail17trampoline_kernelINS0_14default_configENS1_38merge_sort_block_merge_config_selectorIjjEEZZNS1_27merge_sort_block_merge_implIS3_N6thrust23THRUST_200600_302600_NS6detail15normal_iteratorINS8_10device_ptrIjEEEESD_jNS1_19radix_merge_compareILb0ELb0EjNS0_19identity_decomposerEEEEE10hipError_tT0_T1_T2_jT3_P12ihipStream_tbPNSt15iterator_traitsISI_E10value_typeEPNSO_ISJ_E10value_typeEPSK_NS1_7vsmem_tEENKUlT_SI_SJ_SK_E_clISD_PjSD_S10_EESH_SX_SI_SJ_SK_EUlSX_E1_NS1_11comp_targetILNS1_3genE5ELNS1_11target_archE942ELNS1_3gpuE9ELNS1_3repE0EEENS1_36merge_oddeven_config_static_selectorELNS0_4arch9wavefront6targetE1EEEvSJ_
    .private_segment_fixed_size: 0
    .sgpr_count:     6
    .sgpr_spill_count: 0
    .symbol:         _ZN7rocprim17ROCPRIM_400000_NS6detail17trampoline_kernelINS0_14default_configENS1_38merge_sort_block_merge_config_selectorIjjEEZZNS1_27merge_sort_block_merge_implIS3_N6thrust23THRUST_200600_302600_NS6detail15normal_iteratorINS8_10device_ptrIjEEEESD_jNS1_19radix_merge_compareILb0ELb0EjNS0_19identity_decomposerEEEEE10hipError_tT0_T1_T2_jT3_P12ihipStream_tbPNSt15iterator_traitsISI_E10value_typeEPNSO_ISJ_E10value_typeEPSK_NS1_7vsmem_tEENKUlT_SI_SJ_SK_E_clISD_PjSD_S10_EESH_SX_SI_SJ_SK_EUlSX_E1_NS1_11comp_targetILNS1_3genE5ELNS1_11target_archE942ELNS1_3gpuE9ELNS1_3repE0EEENS1_36merge_oddeven_config_static_selectorELNS0_4arch9wavefront6targetE1EEEvSJ_.kd
    .uniform_work_group_size: 1
    .uses_dynamic_stack: false
    .vgpr_count:     0
    .vgpr_spill_count: 0
    .wavefront_size: 64
  - .agpr_count:     0
    .args:
      - .offset:         0
        .size:           48
        .value_kind:     by_value
    .group_segment_fixed_size: 0
    .kernarg_segment_align: 8
    .kernarg_segment_size: 48
    .language:       OpenCL C
    .language_version:
      - 2
      - 0
    .max_flat_workgroup_size: 256
    .name:           _ZN7rocprim17ROCPRIM_400000_NS6detail17trampoline_kernelINS0_14default_configENS1_38merge_sort_block_merge_config_selectorIjjEEZZNS1_27merge_sort_block_merge_implIS3_N6thrust23THRUST_200600_302600_NS6detail15normal_iteratorINS8_10device_ptrIjEEEESD_jNS1_19radix_merge_compareILb0ELb0EjNS0_19identity_decomposerEEEEE10hipError_tT0_T1_T2_jT3_P12ihipStream_tbPNSt15iterator_traitsISI_E10value_typeEPNSO_ISJ_E10value_typeEPSK_NS1_7vsmem_tEENKUlT_SI_SJ_SK_E_clISD_PjSD_S10_EESH_SX_SI_SJ_SK_EUlSX_E1_NS1_11comp_targetILNS1_3genE4ELNS1_11target_archE910ELNS1_3gpuE8ELNS1_3repE0EEENS1_36merge_oddeven_config_static_selectorELNS0_4arch9wavefront6targetE1EEEvSJ_
    .private_segment_fixed_size: 0
    .sgpr_count:     6
    .sgpr_spill_count: 0
    .symbol:         _ZN7rocprim17ROCPRIM_400000_NS6detail17trampoline_kernelINS0_14default_configENS1_38merge_sort_block_merge_config_selectorIjjEEZZNS1_27merge_sort_block_merge_implIS3_N6thrust23THRUST_200600_302600_NS6detail15normal_iteratorINS8_10device_ptrIjEEEESD_jNS1_19radix_merge_compareILb0ELb0EjNS0_19identity_decomposerEEEEE10hipError_tT0_T1_T2_jT3_P12ihipStream_tbPNSt15iterator_traitsISI_E10value_typeEPNSO_ISJ_E10value_typeEPSK_NS1_7vsmem_tEENKUlT_SI_SJ_SK_E_clISD_PjSD_S10_EESH_SX_SI_SJ_SK_EUlSX_E1_NS1_11comp_targetILNS1_3genE4ELNS1_11target_archE910ELNS1_3gpuE8ELNS1_3repE0EEENS1_36merge_oddeven_config_static_selectorELNS0_4arch9wavefront6targetE1EEEvSJ_.kd
    .uniform_work_group_size: 1
    .uses_dynamic_stack: false
    .vgpr_count:     0
    .vgpr_spill_count: 0
    .wavefront_size: 64
  - .agpr_count:     0
    .args:
      - .offset:         0
        .size:           48
        .value_kind:     by_value
    .group_segment_fixed_size: 0
    .kernarg_segment_align: 8
    .kernarg_segment_size: 48
    .language:       OpenCL C
    .language_version:
      - 2
      - 0
    .max_flat_workgroup_size: 256
    .name:           _ZN7rocprim17ROCPRIM_400000_NS6detail17trampoline_kernelINS0_14default_configENS1_38merge_sort_block_merge_config_selectorIjjEEZZNS1_27merge_sort_block_merge_implIS3_N6thrust23THRUST_200600_302600_NS6detail15normal_iteratorINS8_10device_ptrIjEEEESD_jNS1_19radix_merge_compareILb0ELb0EjNS0_19identity_decomposerEEEEE10hipError_tT0_T1_T2_jT3_P12ihipStream_tbPNSt15iterator_traitsISI_E10value_typeEPNSO_ISJ_E10value_typeEPSK_NS1_7vsmem_tEENKUlT_SI_SJ_SK_E_clISD_PjSD_S10_EESH_SX_SI_SJ_SK_EUlSX_E1_NS1_11comp_targetILNS1_3genE3ELNS1_11target_archE908ELNS1_3gpuE7ELNS1_3repE0EEENS1_36merge_oddeven_config_static_selectorELNS0_4arch9wavefront6targetE1EEEvSJ_
    .private_segment_fixed_size: 0
    .sgpr_count:     6
    .sgpr_spill_count: 0
    .symbol:         _ZN7rocprim17ROCPRIM_400000_NS6detail17trampoline_kernelINS0_14default_configENS1_38merge_sort_block_merge_config_selectorIjjEEZZNS1_27merge_sort_block_merge_implIS3_N6thrust23THRUST_200600_302600_NS6detail15normal_iteratorINS8_10device_ptrIjEEEESD_jNS1_19radix_merge_compareILb0ELb0EjNS0_19identity_decomposerEEEEE10hipError_tT0_T1_T2_jT3_P12ihipStream_tbPNSt15iterator_traitsISI_E10value_typeEPNSO_ISJ_E10value_typeEPSK_NS1_7vsmem_tEENKUlT_SI_SJ_SK_E_clISD_PjSD_S10_EESH_SX_SI_SJ_SK_EUlSX_E1_NS1_11comp_targetILNS1_3genE3ELNS1_11target_archE908ELNS1_3gpuE7ELNS1_3repE0EEENS1_36merge_oddeven_config_static_selectorELNS0_4arch9wavefront6targetE1EEEvSJ_.kd
    .uniform_work_group_size: 1
    .uses_dynamic_stack: false
    .vgpr_count:     0
    .vgpr_spill_count: 0
    .wavefront_size: 64
  - .agpr_count:     0
    .args:
      - .offset:         0
        .size:           48
        .value_kind:     by_value
    .group_segment_fixed_size: 0
    .kernarg_segment_align: 8
    .kernarg_segment_size: 48
    .language:       OpenCL C
    .language_version:
      - 2
      - 0
    .max_flat_workgroup_size: 256
    .name:           _ZN7rocprim17ROCPRIM_400000_NS6detail17trampoline_kernelINS0_14default_configENS1_38merge_sort_block_merge_config_selectorIjjEEZZNS1_27merge_sort_block_merge_implIS3_N6thrust23THRUST_200600_302600_NS6detail15normal_iteratorINS8_10device_ptrIjEEEESD_jNS1_19radix_merge_compareILb0ELb0EjNS0_19identity_decomposerEEEEE10hipError_tT0_T1_T2_jT3_P12ihipStream_tbPNSt15iterator_traitsISI_E10value_typeEPNSO_ISJ_E10value_typeEPSK_NS1_7vsmem_tEENKUlT_SI_SJ_SK_E_clISD_PjSD_S10_EESH_SX_SI_SJ_SK_EUlSX_E1_NS1_11comp_targetILNS1_3genE2ELNS1_11target_archE906ELNS1_3gpuE6ELNS1_3repE0EEENS1_36merge_oddeven_config_static_selectorELNS0_4arch9wavefront6targetE1EEEvSJ_
    .private_segment_fixed_size: 0
    .sgpr_count:     6
    .sgpr_spill_count: 0
    .symbol:         _ZN7rocprim17ROCPRIM_400000_NS6detail17trampoline_kernelINS0_14default_configENS1_38merge_sort_block_merge_config_selectorIjjEEZZNS1_27merge_sort_block_merge_implIS3_N6thrust23THRUST_200600_302600_NS6detail15normal_iteratorINS8_10device_ptrIjEEEESD_jNS1_19radix_merge_compareILb0ELb0EjNS0_19identity_decomposerEEEEE10hipError_tT0_T1_T2_jT3_P12ihipStream_tbPNSt15iterator_traitsISI_E10value_typeEPNSO_ISJ_E10value_typeEPSK_NS1_7vsmem_tEENKUlT_SI_SJ_SK_E_clISD_PjSD_S10_EESH_SX_SI_SJ_SK_EUlSX_E1_NS1_11comp_targetILNS1_3genE2ELNS1_11target_archE906ELNS1_3gpuE6ELNS1_3repE0EEENS1_36merge_oddeven_config_static_selectorELNS0_4arch9wavefront6targetE1EEEvSJ_.kd
    .uniform_work_group_size: 1
    .uses_dynamic_stack: false
    .vgpr_count:     0
    .vgpr_spill_count: 0
    .wavefront_size: 64
  - .agpr_count:     0
    .args:
      - .offset:         0
        .size:           48
        .value_kind:     by_value
    .group_segment_fixed_size: 0
    .kernarg_segment_align: 8
    .kernarg_segment_size: 48
    .language:       OpenCL C
    .language_version:
      - 2
      - 0
    .max_flat_workgroup_size: 256
    .name:           _ZN7rocprim17ROCPRIM_400000_NS6detail17trampoline_kernelINS0_14default_configENS1_38merge_sort_block_merge_config_selectorIjjEEZZNS1_27merge_sort_block_merge_implIS3_N6thrust23THRUST_200600_302600_NS6detail15normal_iteratorINS8_10device_ptrIjEEEESD_jNS1_19radix_merge_compareILb0ELb0EjNS0_19identity_decomposerEEEEE10hipError_tT0_T1_T2_jT3_P12ihipStream_tbPNSt15iterator_traitsISI_E10value_typeEPNSO_ISJ_E10value_typeEPSK_NS1_7vsmem_tEENKUlT_SI_SJ_SK_E_clISD_PjSD_S10_EESH_SX_SI_SJ_SK_EUlSX_E1_NS1_11comp_targetILNS1_3genE9ELNS1_11target_archE1100ELNS1_3gpuE3ELNS1_3repE0EEENS1_36merge_oddeven_config_static_selectorELNS0_4arch9wavefront6targetE1EEEvSJ_
    .private_segment_fixed_size: 0
    .sgpr_count:     6
    .sgpr_spill_count: 0
    .symbol:         _ZN7rocprim17ROCPRIM_400000_NS6detail17trampoline_kernelINS0_14default_configENS1_38merge_sort_block_merge_config_selectorIjjEEZZNS1_27merge_sort_block_merge_implIS3_N6thrust23THRUST_200600_302600_NS6detail15normal_iteratorINS8_10device_ptrIjEEEESD_jNS1_19radix_merge_compareILb0ELb0EjNS0_19identity_decomposerEEEEE10hipError_tT0_T1_T2_jT3_P12ihipStream_tbPNSt15iterator_traitsISI_E10value_typeEPNSO_ISJ_E10value_typeEPSK_NS1_7vsmem_tEENKUlT_SI_SJ_SK_E_clISD_PjSD_S10_EESH_SX_SI_SJ_SK_EUlSX_E1_NS1_11comp_targetILNS1_3genE9ELNS1_11target_archE1100ELNS1_3gpuE3ELNS1_3repE0EEENS1_36merge_oddeven_config_static_selectorELNS0_4arch9wavefront6targetE1EEEvSJ_.kd
    .uniform_work_group_size: 1
    .uses_dynamic_stack: false
    .vgpr_count:     0
    .vgpr_spill_count: 0
    .wavefront_size: 64
  - .agpr_count:     0
    .args:
      - .offset:         0
        .size:           48
        .value_kind:     by_value
    .group_segment_fixed_size: 0
    .kernarg_segment_align: 8
    .kernarg_segment_size: 48
    .language:       OpenCL C
    .language_version:
      - 2
      - 0
    .max_flat_workgroup_size: 256
    .name:           _ZN7rocprim17ROCPRIM_400000_NS6detail17trampoline_kernelINS0_14default_configENS1_38merge_sort_block_merge_config_selectorIjjEEZZNS1_27merge_sort_block_merge_implIS3_N6thrust23THRUST_200600_302600_NS6detail15normal_iteratorINS8_10device_ptrIjEEEESD_jNS1_19radix_merge_compareILb0ELb0EjNS0_19identity_decomposerEEEEE10hipError_tT0_T1_T2_jT3_P12ihipStream_tbPNSt15iterator_traitsISI_E10value_typeEPNSO_ISJ_E10value_typeEPSK_NS1_7vsmem_tEENKUlT_SI_SJ_SK_E_clISD_PjSD_S10_EESH_SX_SI_SJ_SK_EUlSX_E1_NS1_11comp_targetILNS1_3genE8ELNS1_11target_archE1030ELNS1_3gpuE2ELNS1_3repE0EEENS1_36merge_oddeven_config_static_selectorELNS0_4arch9wavefront6targetE1EEEvSJ_
    .private_segment_fixed_size: 0
    .sgpr_count:     6
    .sgpr_spill_count: 0
    .symbol:         _ZN7rocprim17ROCPRIM_400000_NS6detail17trampoline_kernelINS0_14default_configENS1_38merge_sort_block_merge_config_selectorIjjEEZZNS1_27merge_sort_block_merge_implIS3_N6thrust23THRUST_200600_302600_NS6detail15normal_iteratorINS8_10device_ptrIjEEEESD_jNS1_19radix_merge_compareILb0ELb0EjNS0_19identity_decomposerEEEEE10hipError_tT0_T1_T2_jT3_P12ihipStream_tbPNSt15iterator_traitsISI_E10value_typeEPNSO_ISJ_E10value_typeEPSK_NS1_7vsmem_tEENKUlT_SI_SJ_SK_E_clISD_PjSD_S10_EESH_SX_SI_SJ_SK_EUlSX_E1_NS1_11comp_targetILNS1_3genE8ELNS1_11target_archE1030ELNS1_3gpuE2ELNS1_3repE0EEENS1_36merge_oddeven_config_static_selectorELNS0_4arch9wavefront6targetE1EEEvSJ_.kd
    .uniform_work_group_size: 1
    .uses_dynamic_stack: false
    .vgpr_count:     0
    .vgpr_spill_count: 0
    .wavefront_size: 64
  - .agpr_count:     0
    .args:
      - .offset:         0
        .size:           40
        .value_kind:     by_value
      - .offset:         40
        .size:           4
        .value_kind:     hidden_block_count_x
      - .offset:         44
        .size:           4
        .value_kind:     hidden_block_count_y
      - .offset:         48
        .size:           4
        .value_kind:     hidden_block_count_z
      - .offset:         52
        .size:           2
        .value_kind:     hidden_group_size_x
      - .offset:         54
        .size:           2
        .value_kind:     hidden_group_size_y
      - .offset:         56
        .size:           2
        .value_kind:     hidden_group_size_z
      - .offset:         58
        .size:           2
        .value_kind:     hidden_remainder_x
      - .offset:         60
        .size:           2
        .value_kind:     hidden_remainder_y
      - .offset:         62
        .size:           2
        .value_kind:     hidden_remainder_z
      - .offset:         80
        .size:           8
        .value_kind:     hidden_global_offset_x
      - .offset:         88
        .size:           8
        .value_kind:     hidden_global_offset_y
      - .offset:         96
        .size:           8
        .value_kind:     hidden_global_offset_z
      - .offset:         104
        .size:           2
        .value_kind:     hidden_grid_dims
    .group_segment_fixed_size: 0
    .kernarg_segment_align: 8
    .kernarg_segment_size: 296
    .language:       OpenCL C
    .language_version:
      - 2
      - 0
    .max_flat_workgroup_size: 128
    .name:           _ZN7rocprim17ROCPRIM_400000_NS6detail17trampoline_kernelINS0_14default_configENS1_25transform_config_selectorIjLb0EEEZNS1_14transform_implILb0ES3_S5_PjN6thrust23THRUST_200600_302600_NS6detail15normal_iteratorINS9_10device_ptrIjEEEENS0_8identityIjEEEE10hipError_tT2_T3_mT4_P12ihipStream_tbEUlT_E_NS1_11comp_targetILNS1_3genE0ELNS1_11target_archE4294967295ELNS1_3gpuE0ELNS1_3repE0EEENS1_30default_config_static_selectorELNS0_4arch9wavefront6targetE1EEEvT1_
    .private_segment_fixed_size: 0
    .sgpr_count:     22
    .sgpr_spill_count: 0
    .symbol:         _ZN7rocprim17ROCPRIM_400000_NS6detail17trampoline_kernelINS0_14default_configENS1_25transform_config_selectorIjLb0EEEZNS1_14transform_implILb0ES3_S5_PjN6thrust23THRUST_200600_302600_NS6detail15normal_iteratorINS9_10device_ptrIjEEEENS0_8identityIjEEEE10hipError_tT2_T3_mT4_P12ihipStream_tbEUlT_E_NS1_11comp_targetILNS1_3genE0ELNS1_11target_archE4294967295ELNS1_3gpuE0ELNS1_3repE0EEENS1_30default_config_static_selectorELNS0_4arch9wavefront6targetE1EEEvT1_.kd
    .uniform_work_group_size: 1
    .uses_dynamic_stack: false
    .vgpr_count:     7
    .vgpr_spill_count: 0
    .wavefront_size: 64
  - .agpr_count:     0
    .args:
      - .offset:         0
        .size:           40
        .value_kind:     by_value
    .group_segment_fixed_size: 0
    .kernarg_segment_align: 8
    .kernarg_segment_size: 40
    .language:       OpenCL C
    .language_version:
      - 2
      - 0
    .max_flat_workgroup_size: 512
    .name:           _ZN7rocprim17ROCPRIM_400000_NS6detail17trampoline_kernelINS0_14default_configENS1_25transform_config_selectorIjLb0EEEZNS1_14transform_implILb0ES3_S5_PjN6thrust23THRUST_200600_302600_NS6detail15normal_iteratorINS9_10device_ptrIjEEEENS0_8identityIjEEEE10hipError_tT2_T3_mT4_P12ihipStream_tbEUlT_E_NS1_11comp_targetILNS1_3genE5ELNS1_11target_archE942ELNS1_3gpuE9ELNS1_3repE0EEENS1_30default_config_static_selectorELNS0_4arch9wavefront6targetE1EEEvT1_
    .private_segment_fixed_size: 0
    .sgpr_count:     6
    .sgpr_spill_count: 0
    .symbol:         _ZN7rocprim17ROCPRIM_400000_NS6detail17trampoline_kernelINS0_14default_configENS1_25transform_config_selectorIjLb0EEEZNS1_14transform_implILb0ES3_S5_PjN6thrust23THRUST_200600_302600_NS6detail15normal_iteratorINS9_10device_ptrIjEEEENS0_8identityIjEEEE10hipError_tT2_T3_mT4_P12ihipStream_tbEUlT_E_NS1_11comp_targetILNS1_3genE5ELNS1_11target_archE942ELNS1_3gpuE9ELNS1_3repE0EEENS1_30default_config_static_selectorELNS0_4arch9wavefront6targetE1EEEvT1_.kd
    .uniform_work_group_size: 1
    .uses_dynamic_stack: false
    .vgpr_count:     0
    .vgpr_spill_count: 0
    .wavefront_size: 64
  - .agpr_count:     0
    .args:
      - .offset:         0
        .size:           40
        .value_kind:     by_value
    .group_segment_fixed_size: 0
    .kernarg_segment_align: 8
    .kernarg_segment_size: 40
    .language:       OpenCL C
    .language_version:
      - 2
      - 0
    .max_flat_workgroup_size: 1024
    .name:           _ZN7rocprim17ROCPRIM_400000_NS6detail17trampoline_kernelINS0_14default_configENS1_25transform_config_selectorIjLb0EEEZNS1_14transform_implILb0ES3_S5_PjN6thrust23THRUST_200600_302600_NS6detail15normal_iteratorINS9_10device_ptrIjEEEENS0_8identityIjEEEE10hipError_tT2_T3_mT4_P12ihipStream_tbEUlT_E_NS1_11comp_targetILNS1_3genE4ELNS1_11target_archE910ELNS1_3gpuE8ELNS1_3repE0EEENS1_30default_config_static_selectorELNS0_4arch9wavefront6targetE1EEEvT1_
    .private_segment_fixed_size: 0
    .sgpr_count:     6
    .sgpr_spill_count: 0
    .symbol:         _ZN7rocprim17ROCPRIM_400000_NS6detail17trampoline_kernelINS0_14default_configENS1_25transform_config_selectorIjLb0EEEZNS1_14transform_implILb0ES3_S5_PjN6thrust23THRUST_200600_302600_NS6detail15normal_iteratorINS9_10device_ptrIjEEEENS0_8identityIjEEEE10hipError_tT2_T3_mT4_P12ihipStream_tbEUlT_E_NS1_11comp_targetILNS1_3genE4ELNS1_11target_archE910ELNS1_3gpuE8ELNS1_3repE0EEENS1_30default_config_static_selectorELNS0_4arch9wavefront6targetE1EEEvT1_.kd
    .uniform_work_group_size: 1
    .uses_dynamic_stack: false
    .vgpr_count:     0
    .vgpr_spill_count: 0
    .wavefront_size: 64
  - .agpr_count:     0
    .args:
      - .offset:         0
        .size:           40
        .value_kind:     by_value
    .group_segment_fixed_size: 0
    .kernarg_segment_align: 8
    .kernarg_segment_size: 40
    .language:       OpenCL C
    .language_version:
      - 2
      - 0
    .max_flat_workgroup_size: 128
    .name:           _ZN7rocprim17ROCPRIM_400000_NS6detail17trampoline_kernelINS0_14default_configENS1_25transform_config_selectorIjLb0EEEZNS1_14transform_implILb0ES3_S5_PjN6thrust23THRUST_200600_302600_NS6detail15normal_iteratorINS9_10device_ptrIjEEEENS0_8identityIjEEEE10hipError_tT2_T3_mT4_P12ihipStream_tbEUlT_E_NS1_11comp_targetILNS1_3genE3ELNS1_11target_archE908ELNS1_3gpuE7ELNS1_3repE0EEENS1_30default_config_static_selectorELNS0_4arch9wavefront6targetE1EEEvT1_
    .private_segment_fixed_size: 0
    .sgpr_count:     6
    .sgpr_spill_count: 0
    .symbol:         _ZN7rocprim17ROCPRIM_400000_NS6detail17trampoline_kernelINS0_14default_configENS1_25transform_config_selectorIjLb0EEEZNS1_14transform_implILb0ES3_S5_PjN6thrust23THRUST_200600_302600_NS6detail15normal_iteratorINS9_10device_ptrIjEEEENS0_8identityIjEEEE10hipError_tT2_T3_mT4_P12ihipStream_tbEUlT_E_NS1_11comp_targetILNS1_3genE3ELNS1_11target_archE908ELNS1_3gpuE7ELNS1_3repE0EEENS1_30default_config_static_selectorELNS0_4arch9wavefront6targetE1EEEvT1_.kd
    .uniform_work_group_size: 1
    .uses_dynamic_stack: false
    .vgpr_count:     0
    .vgpr_spill_count: 0
    .wavefront_size: 64
  - .agpr_count:     0
    .args:
      - .offset:         0
        .size:           40
        .value_kind:     by_value
    .group_segment_fixed_size: 0
    .kernarg_segment_align: 8
    .kernarg_segment_size: 40
    .language:       OpenCL C
    .language_version:
      - 2
      - 0
    .max_flat_workgroup_size: 1024
    .name:           _ZN7rocprim17ROCPRIM_400000_NS6detail17trampoline_kernelINS0_14default_configENS1_25transform_config_selectorIjLb0EEEZNS1_14transform_implILb0ES3_S5_PjN6thrust23THRUST_200600_302600_NS6detail15normal_iteratorINS9_10device_ptrIjEEEENS0_8identityIjEEEE10hipError_tT2_T3_mT4_P12ihipStream_tbEUlT_E_NS1_11comp_targetILNS1_3genE2ELNS1_11target_archE906ELNS1_3gpuE6ELNS1_3repE0EEENS1_30default_config_static_selectorELNS0_4arch9wavefront6targetE1EEEvT1_
    .private_segment_fixed_size: 0
    .sgpr_count:     6
    .sgpr_spill_count: 0
    .symbol:         _ZN7rocprim17ROCPRIM_400000_NS6detail17trampoline_kernelINS0_14default_configENS1_25transform_config_selectorIjLb0EEEZNS1_14transform_implILb0ES3_S5_PjN6thrust23THRUST_200600_302600_NS6detail15normal_iteratorINS9_10device_ptrIjEEEENS0_8identityIjEEEE10hipError_tT2_T3_mT4_P12ihipStream_tbEUlT_E_NS1_11comp_targetILNS1_3genE2ELNS1_11target_archE906ELNS1_3gpuE6ELNS1_3repE0EEENS1_30default_config_static_selectorELNS0_4arch9wavefront6targetE1EEEvT1_.kd
    .uniform_work_group_size: 1
    .uses_dynamic_stack: false
    .vgpr_count:     0
    .vgpr_spill_count: 0
    .wavefront_size: 64
  - .agpr_count:     0
    .args:
      - .offset:         0
        .size:           40
        .value_kind:     by_value
    .group_segment_fixed_size: 0
    .kernarg_segment_align: 8
    .kernarg_segment_size: 40
    .language:       OpenCL C
    .language_version:
      - 2
      - 0
    .max_flat_workgroup_size: 1024
    .name:           _ZN7rocprim17ROCPRIM_400000_NS6detail17trampoline_kernelINS0_14default_configENS1_25transform_config_selectorIjLb0EEEZNS1_14transform_implILb0ES3_S5_PjN6thrust23THRUST_200600_302600_NS6detail15normal_iteratorINS9_10device_ptrIjEEEENS0_8identityIjEEEE10hipError_tT2_T3_mT4_P12ihipStream_tbEUlT_E_NS1_11comp_targetILNS1_3genE10ELNS1_11target_archE1201ELNS1_3gpuE5ELNS1_3repE0EEENS1_30default_config_static_selectorELNS0_4arch9wavefront6targetE1EEEvT1_
    .private_segment_fixed_size: 0
    .sgpr_count:     6
    .sgpr_spill_count: 0
    .symbol:         _ZN7rocprim17ROCPRIM_400000_NS6detail17trampoline_kernelINS0_14default_configENS1_25transform_config_selectorIjLb0EEEZNS1_14transform_implILb0ES3_S5_PjN6thrust23THRUST_200600_302600_NS6detail15normal_iteratorINS9_10device_ptrIjEEEENS0_8identityIjEEEE10hipError_tT2_T3_mT4_P12ihipStream_tbEUlT_E_NS1_11comp_targetILNS1_3genE10ELNS1_11target_archE1201ELNS1_3gpuE5ELNS1_3repE0EEENS1_30default_config_static_selectorELNS0_4arch9wavefront6targetE1EEEvT1_.kd
    .uniform_work_group_size: 1
    .uses_dynamic_stack: false
    .vgpr_count:     0
    .vgpr_spill_count: 0
    .wavefront_size: 64
  - .agpr_count:     0
    .args:
      - .offset:         0
        .size:           40
        .value_kind:     by_value
    .group_segment_fixed_size: 0
    .kernarg_segment_align: 8
    .kernarg_segment_size: 40
    .language:       OpenCL C
    .language_version:
      - 2
      - 0
    .max_flat_workgroup_size: 512
    .name:           _ZN7rocprim17ROCPRIM_400000_NS6detail17trampoline_kernelINS0_14default_configENS1_25transform_config_selectorIjLb0EEEZNS1_14transform_implILb0ES3_S5_PjN6thrust23THRUST_200600_302600_NS6detail15normal_iteratorINS9_10device_ptrIjEEEENS0_8identityIjEEEE10hipError_tT2_T3_mT4_P12ihipStream_tbEUlT_E_NS1_11comp_targetILNS1_3genE10ELNS1_11target_archE1200ELNS1_3gpuE4ELNS1_3repE0EEENS1_30default_config_static_selectorELNS0_4arch9wavefront6targetE1EEEvT1_
    .private_segment_fixed_size: 0
    .sgpr_count:     6
    .sgpr_spill_count: 0
    .symbol:         _ZN7rocprim17ROCPRIM_400000_NS6detail17trampoline_kernelINS0_14default_configENS1_25transform_config_selectorIjLb0EEEZNS1_14transform_implILb0ES3_S5_PjN6thrust23THRUST_200600_302600_NS6detail15normal_iteratorINS9_10device_ptrIjEEEENS0_8identityIjEEEE10hipError_tT2_T3_mT4_P12ihipStream_tbEUlT_E_NS1_11comp_targetILNS1_3genE10ELNS1_11target_archE1200ELNS1_3gpuE4ELNS1_3repE0EEENS1_30default_config_static_selectorELNS0_4arch9wavefront6targetE1EEEvT1_.kd
    .uniform_work_group_size: 1
    .uses_dynamic_stack: false
    .vgpr_count:     0
    .vgpr_spill_count: 0
    .wavefront_size: 64
  - .agpr_count:     0
    .args:
      - .offset:         0
        .size:           40
        .value_kind:     by_value
    .group_segment_fixed_size: 0
    .kernarg_segment_align: 8
    .kernarg_segment_size: 40
    .language:       OpenCL C
    .language_version:
      - 2
      - 0
    .max_flat_workgroup_size: 64
    .name:           _ZN7rocprim17ROCPRIM_400000_NS6detail17trampoline_kernelINS0_14default_configENS1_25transform_config_selectorIjLb0EEEZNS1_14transform_implILb0ES3_S5_PjN6thrust23THRUST_200600_302600_NS6detail15normal_iteratorINS9_10device_ptrIjEEEENS0_8identityIjEEEE10hipError_tT2_T3_mT4_P12ihipStream_tbEUlT_E_NS1_11comp_targetILNS1_3genE9ELNS1_11target_archE1100ELNS1_3gpuE3ELNS1_3repE0EEENS1_30default_config_static_selectorELNS0_4arch9wavefront6targetE1EEEvT1_
    .private_segment_fixed_size: 0
    .sgpr_count:     6
    .sgpr_spill_count: 0
    .symbol:         _ZN7rocprim17ROCPRIM_400000_NS6detail17trampoline_kernelINS0_14default_configENS1_25transform_config_selectorIjLb0EEEZNS1_14transform_implILb0ES3_S5_PjN6thrust23THRUST_200600_302600_NS6detail15normal_iteratorINS9_10device_ptrIjEEEENS0_8identityIjEEEE10hipError_tT2_T3_mT4_P12ihipStream_tbEUlT_E_NS1_11comp_targetILNS1_3genE9ELNS1_11target_archE1100ELNS1_3gpuE3ELNS1_3repE0EEENS1_30default_config_static_selectorELNS0_4arch9wavefront6targetE1EEEvT1_.kd
    .uniform_work_group_size: 1
    .uses_dynamic_stack: false
    .vgpr_count:     0
    .vgpr_spill_count: 0
    .wavefront_size: 64
  - .agpr_count:     0
    .args:
      - .offset:         0
        .size:           40
        .value_kind:     by_value
    .group_segment_fixed_size: 0
    .kernarg_segment_align: 8
    .kernarg_segment_size: 40
    .language:       OpenCL C
    .language_version:
      - 2
      - 0
    .max_flat_workgroup_size: 256
    .name:           _ZN7rocprim17ROCPRIM_400000_NS6detail17trampoline_kernelINS0_14default_configENS1_25transform_config_selectorIjLb0EEEZNS1_14transform_implILb0ES3_S5_PjN6thrust23THRUST_200600_302600_NS6detail15normal_iteratorINS9_10device_ptrIjEEEENS0_8identityIjEEEE10hipError_tT2_T3_mT4_P12ihipStream_tbEUlT_E_NS1_11comp_targetILNS1_3genE8ELNS1_11target_archE1030ELNS1_3gpuE2ELNS1_3repE0EEENS1_30default_config_static_selectorELNS0_4arch9wavefront6targetE1EEEvT1_
    .private_segment_fixed_size: 0
    .sgpr_count:     6
    .sgpr_spill_count: 0
    .symbol:         _ZN7rocprim17ROCPRIM_400000_NS6detail17trampoline_kernelINS0_14default_configENS1_25transform_config_selectorIjLb0EEEZNS1_14transform_implILb0ES3_S5_PjN6thrust23THRUST_200600_302600_NS6detail15normal_iteratorINS9_10device_ptrIjEEEENS0_8identityIjEEEE10hipError_tT2_T3_mT4_P12ihipStream_tbEUlT_E_NS1_11comp_targetILNS1_3genE8ELNS1_11target_archE1030ELNS1_3gpuE2ELNS1_3repE0EEENS1_30default_config_static_selectorELNS0_4arch9wavefront6targetE1EEEvT1_.kd
    .uniform_work_group_size: 1
    .uses_dynamic_stack: false
    .vgpr_count:     0
    .vgpr_spill_count: 0
    .wavefront_size: 64
  - .agpr_count:     0
    .args:
      - .offset:         0
        .size:           40
        .value_kind:     by_value
    .group_segment_fixed_size: 0
    .kernarg_segment_align: 8
    .kernarg_segment_size: 40
    .language:       OpenCL C
    .language_version:
      - 2
      - 0
    .max_flat_workgroup_size: 128
    .name:           _ZN7rocprim17ROCPRIM_400000_NS6detail17trampoline_kernelINS0_14default_configENS1_38merge_sort_block_merge_config_selectorIjjEEZZNS1_27merge_sort_block_merge_implIS3_N6thrust23THRUST_200600_302600_NS6detail15normal_iteratorINS8_10device_ptrIjEEEESD_jNS1_19radix_merge_compareILb0ELb1EjNS0_19identity_decomposerEEEEE10hipError_tT0_T1_T2_jT3_P12ihipStream_tbPNSt15iterator_traitsISI_E10value_typeEPNSO_ISJ_E10value_typeEPSK_NS1_7vsmem_tEENKUlT_SI_SJ_SK_E_clIPjSD_S10_SD_EESH_SX_SI_SJ_SK_EUlSX_E_NS1_11comp_targetILNS1_3genE0ELNS1_11target_archE4294967295ELNS1_3gpuE0ELNS1_3repE0EEENS1_48merge_mergepath_partition_config_static_selectorELNS0_4arch9wavefront6targetE1EEEvSJ_
    .private_segment_fixed_size: 0
    .sgpr_count:     16
    .sgpr_spill_count: 0
    .symbol:         _ZN7rocprim17ROCPRIM_400000_NS6detail17trampoline_kernelINS0_14default_configENS1_38merge_sort_block_merge_config_selectorIjjEEZZNS1_27merge_sort_block_merge_implIS3_N6thrust23THRUST_200600_302600_NS6detail15normal_iteratorINS8_10device_ptrIjEEEESD_jNS1_19radix_merge_compareILb0ELb1EjNS0_19identity_decomposerEEEEE10hipError_tT0_T1_T2_jT3_P12ihipStream_tbPNSt15iterator_traitsISI_E10value_typeEPNSO_ISJ_E10value_typeEPSK_NS1_7vsmem_tEENKUlT_SI_SJ_SK_E_clIPjSD_S10_SD_EESH_SX_SI_SJ_SK_EUlSX_E_NS1_11comp_targetILNS1_3genE0ELNS1_11target_archE4294967295ELNS1_3gpuE0ELNS1_3repE0EEENS1_48merge_mergepath_partition_config_static_selectorELNS0_4arch9wavefront6targetE1EEEvSJ_.kd
    .uniform_work_group_size: 1
    .uses_dynamic_stack: false
    .vgpr_count:     17
    .vgpr_spill_count: 0
    .wavefront_size: 64
  - .agpr_count:     0
    .args:
      - .offset:         0
        .size:           40
        .value_kind:     by_value
    .group_segment_fixed_size: 0
    .kernarg_segment_align: 8
    .kernarg_segment_size: 40
    .language:       OpenCL C
    .language_version:
      - 2
      - 0
    .max_flat_workgroup_size: 128
    .name:           _ZN7rocprim17ROCPRIM_400000_NS6detail17trampoline_kernelINS0_14default_configENS1_38merge_sort_block_merge_config_selectorIjjEEZZNS1_27merge_sort_block_merge_implIS3_N6thrust23THRUST_200600_302600_NS6detail15normal_iteratorINS8_10device_ptrIjEEEESD_jNS1_19radix_merge_compareILb0ELb1EjNS0_19identity_decomposerEEEEE10hipError_tT0_T1_T2_jT3_P12ihipStream_tbPNSt15iterator_traitsISI_E10value_typeEPNSO_ISJ_E10value_typeEPSK_NS1_7vsmem_tEENKUlT_SI_SJ_SK_E_clIPjSD_S10_SD_EESH_SX_SI_SJ_SK_EUlSX_E_NS1_11comp_targetILNS1_3genE10ELNS1_11target_archE1201ELNS1_3gpuE5ELNS1_3repE0EEENS1_48merge_mergepath_partition_config_static_selectorELNS0_4arch9wavefront6targetE1EEEvSJ_
    .private_segment_fixed_size: 0
    .sgpr_count:     6
    .sgpr_spill_count: 0
    .symbol:         _ZN7rocprim17ROCPRIM_400000_NS6detail17trampoline_kernelINS0_14default_configENS1_38merge_sort_block_merge_config_selectorIjjEEZZNS1_27merge_sort_block_merge_implIS3_N6thrust23THRUST_200600_302600_NS6detail15normal_iteratorINS8_10device_ptrIjEEEESD_jNS1_19radix_merge_compareILb0ELb1EjNS0_19identity_decomposerEEEEE10hipError_tT0_T1_T2_jT3_P12ihipStream_tbPNSt15iterator_traitsISI_E10value_typeEPNSO_ISJ_E10value_typeEPSK_NS1_7vsmem_tEENKUlT_SI_SJ_SK_E_clIPjSD_S10_SD_EESH_SX_SI_SJ_SK_EUlSX_E_NS1_11comp_targetILNS1_3genE10ELNS1_11target_archE1201ELNS1_3gpuE5ELNS1_3repE0EEENS1_48merge_mergepath_partition_config_static_selectorELNS0_4arch9wavefront6targetE1EEEvSJ_.kd
    .uniform_work_group_size: 1
    .uses_dynamic_stack: false
    .vgpr_count:     0
    .vgpr_spill_count: 0
    .wavefront_size: 64
  - .agpr_count:     0
    .args:
      - .offset:         0
        .size:           40
        .value_kind:     by_value
    .group_segment_fixed_size: 0
    .kernarg_segment_align: 8
    .kernarg_segment_size: 40
    .language:       OpenCL C
    .language_version:
      - 2
      - 0
    .max_flat_workgroup_size: 128
    .name:           _ZN7rocprim17ROCPRIM_400000_NS6detail17trampoline_kernelINS0_14default_configENS1_38merge_sort_block_merge_config_selectorIjjEEZZNS1_27merge_sort_block_merge_implIS3_N6thrust23THRUST_200600_302600_NS6detail15normal_iteratorINS8_10device_ptrIjEEEESD_jNS1_19radix_merge_compareILb0ELb1EjNS0_19identity_decomposerEEEEE10hipError_tT0_T1_T2_jT3_P12ihipStream_tbPNSt15iterator_traitsISI_E10value_typeEPNSO_ISJ_E10value_typeEPSK_NS1_7vsmem_tEENKUlT_SI_SJ_SK_E_clIPjSD_S10_SD_EESH_SX_SI_SJ_SK_EUlSX_E_NS1_11comp_targetILNS1_3genE5ELNS1_11target_archE942ELNS1_3gpuE9ELNS1_3repE0EEENS1_48merge_mergepath_partition_config_static_selectorELNS0_4arch9wavefront6targetE1EEEvSJ_
    .private_segment_fixed_size: 0
    .sgpr_count:     6
    .sgpr_spill_count: 0
    .symbol:         _ZN7rocprim17ROCPRIM_400000_NS6detail17trampoline_kernelINS0_14default_configENS1_38merge_sort_block_merge_config_selectorIjjEEZZNS1_27merge_sort_block_merge_implIS3_N6thrust23THRUST_200600_302600_NS6detail15normal_iteratorINS8_10device_ptrIjEEEESD_jNS1_19radix_merge_compareILb0ELb1EjNS0_19identity_decomposerEEEEE10hipError_tT0_T1_T2_jT3_P12ihipStream_tbPNSt15iterator_traitsISI_E10value_typeEPNSO_ISJ_E10value_typeEPSK_NS1_7vsmem_tEENKUlT_SI_SJ_SK_E_clIPjSD_S10_SD_EESH_SX_SI_SJ_SK_EUlSX_E_NS1_11comp_targetILNS1_3genE5ELNS1_11target_archE942ELNS1_3gpuE9ELNS1_3repE0EEENS1_48merge_mergepath_partition_config_static_selectorELNS0_4arch9wavefront6targetE1EEEvSJ_.kd
    .uniform_work_group_size: 1
    .uses_dynamic_stack: false
    .vgpr_count:     0
    .vgpr_spill_count: 0
    .wavefront_size: 64
  - .agpr_count:     0
    .args:
      - .offset:         0
        .size:           40
        .value_kind:     by_value
    .group_segment_fixed_size: 0
    .kernarg_segment_align: 8
    .kernarg_segment_size: 40
    .language:       OpenCL C
    .language_version:
      - 2
      - 0
    .max_flat_workgroup_size: 128
    .name:           _ZN7rocprim17ROCPRIM_400000_NS6detail17trampoline_kernelINS0_14default_configENS1_38merge_sort_block_merge_config_selectorIjjEEZZNS1_27merge_sort_block_merge_implIS3_N6thrust23THRUST_200600_302600_NS6detail15normal_iteratorINS8_10device_ptrIjEEEESD_jNS1_19radix_merge_compareILb0ELb1EjNS0_19identity_decomposerEEEEE10hipError_tT0_T1_T2_jT3_P12ihipStream_tbPNSt15iterator_traitsISI_E10value_typeEPNSO_ISJ_E10value_typeEPSK_NS1_7vsmem_tEENKUlT_SI_SJ_SK_E_clIPjSD_S10_SD_EESH_SX_SI_SJ_SK_EUlSX_E_NS1_11comp_targetILNS1_3genE4ELNS1_11target_archE910ELNS1_3gpuE8ELNS1_3repE0EEENS1_48merge_mergepath_partition_config_static_selectorELNS0_4arch9wavefront6targetE1EEEvSJ_
    .private_segment_fixed_size: 0
    .sgpr_count:     6
    .sgpr_spill_count: 0
    .symbol:         _ZN7rocprim17ROCPRIM_400000_NS6detail17trampoline_kernelINS0_14default_configENS1_38merge_sort_block_merge_config_selectorIjjEEZZNS1_27merge_sort_block_merge_implIS3_N6thrust23THRUST_200600_302600_NS6detail15normal_iteratorINS8_10device_ptrIjEEEESD_jNS1_19radix_merge_compareILb0ELb1EjNS0_19identity_decomposerEEEEE10hipError_tT0_T1_T2_jT3_P12ihipStream_tbPNSt15iterator_traitsISI_E10value_typeEPNSO_ISJ_E10value_typeEPSK_NS1_7vsmem_tEENKUlT_SI_SJ_SK_E_clIPjSD_S10_SD_EESH_SX_SI_SJ_SK_EUlSX_E_NS1_11comp_targetILNS1_3genE4ELNS1_11target_archE910ELNS1_3gpuE8ELNS1_3repE0EEENS1_48merge_mergepath_partition_config_static_selectorELNS0_4arch9wavefront6targetE1EEEvSJ_.kd
    .uniform_work_group_size: 1
    .uses_dynamic_stack: false
    .vgpr_count:     0
    .vgpr_spill_count: 0
    .wavefront_size: 64
  - .agpr_count:     0
    .args:
      - .offset:         0
        .size:           40
        .value_kind:     by_value
    .group_segment_fixed_size: 0
    .kernarg_segment_align: 8
    .kernarg_segment_size: 40
    .language:       OpenCL C
    .language_version:
      - 2
      - 0
    .max_flat_workgroup_size: 128
    .name:           _ZN7rocprim17ROCPRIM_400000_NS6detail17trampoline_kernelINS0_14default_configENS1_38merge_sort_block_merge_config_selectorIjjEEZZNS1_27merge_sort_block_merge_implIS3_N6thrust23THRUST_200600_302600_NS6detail15normal_iteratorINS8_10device_ptrIjEEEESD_jNS1_19radix_merge_compareILb0ELb1EjNS0_19identity_decomposerEEEEE10hipError_tT0_T1_T2_jT3_P12ihipStream_tbPNSt15iterator_traitsISI_E10value_typeEPNSO_ISJ_E10value_typeEPSK_NS1_7vsmem_tEENKUlT_SI_SJ_SK_E_clIPjSD_S10_SD_EESH_SX_SI_SJ_SK_EUlSX_E_NS1_11comp_targetILNS1_3genE3ELNS1_11target_archE908ELNS1_3gpuE7ELNS1_3repE0EEENS1_48merge_mergepath_partition_config_static_selectorELNS0_4arch9wavefront6targetE1EEEvSJ_
    .private_segment_fixed_size: 0
    .sgpr_count:     6
    .sgpr_spill_count: 0
    .symbol:         _ZN7rocprim17ROCPRIM_400000_NS6detail17trampoline_kernelINS0_14default_configENS1_38merge_sort_block_merge_config_selectorIjjEEZZNS1_27merge_sort_block_merge_implIS3_N6thrust23THRUST_200600_302600_NS6detail15normal_iteratorINS8_10device_ptrIjEEEESD_jNS1_19radix_merge_compareILb0ELb1EjNS0_19identity_decomposerEEEEE10hipError_tT0_T1_T2_jT3_P12ihipStream_tbPNSt15iterator_traitsISI_E10value_typeEPNSO_ISJ_E10value_typeEPSK_NS1_7vsmem_tEENKUlT_SI_SJ_SK_E_clIPjSD_S10_SD_EESH_SX_SI_SJ_SK_EUlSX_E_NS1_11comp_targetILNS1_3genE3ELNS1_11target_archE908ELNS1_3gpuE7ELNS1_3repE0EEENS1_48merge_mergepath_partition_config_static_selectorELNS0_4arch9wavefront6targetE1EEEvSJ_.kd
    .uniform_work_group_size: 1
    .uses_dynamic_stack: false
    .vgpr_count:     0
    .vgpr_spill_count: 0
    .wavefront_size: 64
  - .agpr_count:     0
    .args:
      - .offset:         0
        .size:           40
        .value_kind:     by_value
    .group_segment_fixed_size: 0
    .kernarg_segment_align: 8
    .kernarg_segment_size: 40
    .language:       OpenCL C
    .language_version:
      - 2
      - 0
    .max_flat_workgroup_size: 128
    .name:           _ZN7rocprim17ROCPRIM_400000_NS6detail17trampoline_kernelINS0_14default_configENS1_38merge_sort_block_merge_config_selectorIjjEEZZNS1_27merge_sort_block_merge_implIS3_N6thrust23THRUST_200600_302600_NS6detail15normal_iteratorINS8_10device_ptrIjEEEESD_jNS1_19radix_merge_compareILb0ELb1EjNS0_19identity_decomposerEEEEE10hipError_tT0_T1_T2_jT3_P12ihipStream_tbPNSt15iterator_traitsISI_E10value_typeEPNSO_ISJ_E10value_typeEPSK_NS1_7vsmem_tEENKUlT_SI_SJ_SK_E_clIPjSD_S10_SD_EESH_SX_SI_SJ_SK_EUlSX_E_NS1_11comp_targetILNS1_3genE2ELNS1_11target_archE906ELNS1_3gpuE6ELNS1_3repE0EEENS1_48merge_mergepath_partition_config_static_selectorELNS0_4arch9wavefront6targetE1EEEvSJ_
    .private_segment_fixed_size: 0
    .sgpr_count:     6
    .sgpr_spill_count: 0
    .symbol:         _ZN7rocprim17ROCPRIM_400000_NS6detail17trampoline_kernelINS0_14default_configENS1_38merge_sort_block_merge_config_selectorIjjEEZZNS1_27merge_sort_block_merge_implIS3_N6thrust23THRUST_200600_302600_NS6detail15normal_iteratorINS8_10device_ptrIjEEEESD_jNS1_19radix_merge_compareILb0ELb1EjNS0_19identity_decomposerEEEEE10hipError_tT0_T1_T2_jT3_P12ihipStream_tbPNSt15iterator_traitsISI_E10value_typeEPNSO_ISJ_E10value_typeEPSK_NS1_7vsmem_tEENKUlT_SI_SJ_SK_E_clIPjSD_S10_SD_EESH_SX_SI_SJ_SK_EUlSX_E_NS1_11comp_targetILNS1_3genE2ELNS1_11target_archE906ELNS1_3gpuE6ELNS1_3repE0EEENS1_48merge_mergepath_partition_config_static_selectorELNS0_4arch9wavefront6targetE1EEEvSJ_.kd
    .uniform_work_group_size: 1
    .uses_dynamic_stack: false
    .vgpr_count:     0
    .vgpr_spill_count: 0
    .wavefront_size: 64
  - .agpr_count:     0
    .args:
      - .offset:         0
        .size:           40
        .value_kind:     by_value
    .group_segment_fixed_size: 0
    .kernarg_segment_align: 8
    .kernarg_segment_size: 40
    .language:       OpenCL C
    .language_version:
      - 2
      - 0
    .max_flat_workgroup_size: 128
    .name:           _ZN7rocprim17ROCPRIM_400000_NS6detail17trampoline_kernelINS0_14default_configENS1_38merge_sort_block_merge_config_selectorIjjEEZZNS1_27merge_sort_block_merge_implIS3_N6thrust23THRUST_200600_302600_NS6detail15normal_iteratorINS8_10device_ptrIjEEEESD_jNS1_19radix_merge_compareILb0ELb1EjNS0_19identity_decomposerEEEEE10hipError_tT0_T1_T2_jT3_P12ihipStream_tbPNSt15iterator_traitsISI_E10value_typeEPNSO_ISJ_E10value_typeEPSK_NS1_7vsmem_tEENKUlT_SI_SJ_SK_E_clIPjSD_S10_SD_EESH_SX_SI_SJ_SK_EUlSX_E_NS1_11comp_targetILNS1_3genE9ELNS1_11target_archE1100ELNS1_3gpuE3ELNS1_3repE0EEENS1_48merge_mergepath_partition_config_static_selectorELNS0_4arch9wavefront6targetE1EEEvSJ_
    .private_segment_fixed_size: 0
    .sgpr_count:     6
    .sgpr_spill_count: 0
    .symbol:         _ZN7rocprim17ROCPRIM_400000_NS6detail17trampoline_kernelINS0_14default_configENS1_38merge_sort_block_merge_config_selectorIjjEEZZNS1_27merge_sort_block_merge_implIS3_N6thrust23THRUST_200600_302600_NS6detail15normal_iteratorINS8_10device_ptrIjEEEESD_jNS1_19radix_merge_compareILb0ELb1EjNS0_19identity_decomposerEEEEE10hipError_tT0_T1_T2_jT3_P12ihipStream_tbPNSt15iterator_traitsISI_E10value_typeEPNSO_ISJ_E10value_typeEPSK_NS1_7vsmem_tEENKUlT_SI_SJ_SK_E_clIPjSD_S10_SD_EESH_SX_SI_SJ_SK_EUlSX_E_NS1_11comp_targetILNS1_3genE9ELNS1_11target_archE1100ELNS1_3gpuE3ELNS1_3repE0EEENS1_48merge_mergepath_partition_config_static_selectorELNS0_4arch9wavefront6targetE1EEEvSJ_.kd
    .uniform_work_group_size: 1
    .uses_dynamic_stack: false
    .vgpr_count:     0
    .vgpr_spill_count: 0
    .wavefront_size: 64
  - .agpr_count:     0
    .args:
      - .offset:         0
        .size:           40
        .value_kind:     by_value
    .group_segment_fixed_size: 0
    .kernarg_segment_align: 8
    .kernarg_segment_size: 40
    .language:       OpenCL C
    .language_version:
      - 2
      - 0
    .max_flat_workgroup_size: 128
    .name:           _ZN7rocprim17ROCPRIM_400000_NS6detail17trampoline_kernelINS0_14default_configENS1_38merge_sort_block_merge_config_selectorIjjEEZZNS1_27merge_sort_block_merge_implIS3_N6thrust23THRUST_200600_302600_NS6detail15normal_iteratorINS8_10device_ptrIjEEEESD_jNS1_19radix_merge_compareILb0ELb1EjNS0_19identity_decomposerEEEEE10hipError_tT0_T1_T2_jT3_P12ihipStream_tbPNSt15iterator_traitsISI_E10value_typeEPNSO_ISJ_E10value_typeEPSK_NS1_7vsmem_tEENKUlT_SI_SJ_SK_E_clIPjSD_S10_SD_EESH_SX_SI_SJ_SK_EUlSX_E_NS1_11comp_targetILNS1_3genE8ELNS1_11target_archE1030ELNS1_3gpuE2ELNS1_3repE0EEENS1_48merge_mergepath_partition_config_static_selectorELNS0_4arch9wavefront6targetE1EEEvSJ_
    .private_segment_fixed_size: 0
    .sgpr_count:     6
    .sgpr_spill_count: 0
    .symbol:         _ZN7rocprim17ROCPRIM_400000_NS6detail17trampoline_kernelINS0_14default_configENS1_38merge_sort_block_merge_config_selectorIjjEEZZNS1_27merge_sort_block_merge_implIS3_N6thrust23THRUST_200600_302600_NS6detail15normal_iteratorINS8_10device_ptrIjEEEESD_jNS1_19radix_merge_compareILb0ELb1EjNS0_19identity_decomposerEEEEE10hipError_tT0_T1_T2_jT3_P12ihipStream_tbPNSt15iterator_traitsISI_E10value_typeEPNSO_ISJ_E10value_typeEPSK_NS1_7vsmem_tEENKUlT_SI_SJ_SK_E_clIPjSD_S10_SD_EESH_SX_SI_SJ_SK_EUlSX_E_NS1_11comp_targetILNS1_3genE8ELNS1_11target_archE1030ELNS1_3gpuE2ELNS1_3repE0EEENS1_48merge_mergepath_partition_config_static_selectorELNS0_4arch9wavefront6targetE1EEEvSJ_.kd
    .uniform_work_group_size: 1
    .uses_dynamic_stack: false
    .vgpr_count:     0
    .vgpr_spill_count: 0
    .wavefront_size: 64
  - .agpr_count:     0
    .args:
      - .offset:         0
        .size:           64
        .value_kind:     by_value
      - .offset:         64
        .size:           4
        .value_kind:     hidden_block_count_x
      - .offset:         68
        .size:           4
        .value_kind:     hidden_block_count_y
      - .offset:         72
        .size:           4
        .value_kind:     hidden_block_count_z
      - .offset:         76
        .size:           2
        .value_kind:     hidden_group_size_x
      - .offset:         78
        .size:           2
        .value_kind:     hidden_group_size_y
      - .offset:         80
        .size:           2
        .value_kind:     hidden_group_size_z
      - .offset:         82
        .size:           2
        .value_kind:     hidden_remainder_x
      - .offset:         84
        .size:           2
        .value_kind:     hidden_remainder_y
      - .offset:         86
        .size:           2
        .value_kind:     hidden_remainder_z
      - .offset:         104
        .size:           8
        .value_kind:     hidden_global_offset_x
      - .offset:         112
        .size:           8
        .value_kind:     hidden_global_offset_y
      - .offset:         120
        .size:           8
        .value_kind:     hidden_global_offset_z
      - .offset:         128
        .size:           2
        .value_kind:     hidden_grid_dims
    .group_segment_fixed_size: 4224
    .kernarg_segment_align: 8
    .kernarg_segment_size: 320
    .language:       OpenCL C
    .language_version:
      - 2
      - 0
    .max_flat_workgroup_size: 256
    .name:           _ZN7rocprim17ROCPRIM_400000_NS6detail17trampoline_kernelINS0_14default_configENS1_38merge_sort_block_merge_config_selectorIjjEEZZNS1_27merge_sort_block_merge_implIS3_N6thrust23THRUST_200600_302600_NS6detail15normal_iteratorINS8_10device_ptrIjEEEESD_jNS1_19radix_merge_compareILb0ELb1EjNS0_19identity_decomposerEEEEE10hipError_tT0_T1_T2_jT3_P12ihipStream_tbPNSt15iterator_traitsISI_E10value_typeEPNSO_ISJ_E10value_typeEPSK_NS1_7vsmem_tEENKUlT_SI_SJ_SK_E_clIPjSD_S10_SD_EESH_SX_SI_SJ_SK_EUlSX_E0_NS1_11comp_targetILNS1_3genE0ELNS1_11target_archE4294967295ELNS1_3gpuE0ELNS1_3repE0EEENS1_38merge_mergepath_config_static_selectorELNS0_4arch9wavefront6targetE1EEEvSJ_
    .private_segment_fixed_size: 0
    .sgpr_count:     37
    .sgpr_spill_count: 0
    .symbol:         _ZN7rocprim17ROCPRIM_400000_NS6detail17trampoline_kernelINS0_14default_configENS1_38merge_sort_block_merge_config_selectorIjjEEZZNS1_27merge_sort_block_merge_implIS3_N6thrust23THRUST_200600_302600_NS6detail15normal_iteratorINS8_10device_ptrIjEEEESD_jNS1_19radix_merge_compareILb0ELb1EjNS0_19identity_decomposerEEEEE10hipError_tT0_T1_T2_jT3_P12ihipStream_tbPNSt15iterator_traitsISI_E10value_typeEPNSO_ISJ_E10value_typeEPSK_NS1_7vsmem_tEENKUlT_SI_SJ_SK_E_clIPjSD_S10_SD_EESH_SX_SI_SJ_SK_EUlSX_E0_NS1_11comp_targetILNS1_3genE0ELNS1_11target_archE4294967295ELNS1_3gpuE0ELNS1_3repE0EEENS1_38merge_mergepath_config_static_selectorELNS0_4arch9wavefront6targetE1EEEvSJ_.kd
    .uniform_work_group_size: 1
    .uses_dynamic_stack: false
    .vgpr_count:     20
    .vgpr_spill_count: 0
    .wavefront_size: 64
  - .agpr_count:     0
    .args:
      - .offset:         0
        .size:           64
        .value_kind:     by_value
    .group_segment_fixed_size: 0
    .kernarg_segment_align: 8
    .kernarg_segment_size: 64
    .language:       OpenCL C
    .language_version:
      - 2
      - 0
    .max_flat_workgroup_size: 256
    .name:           _ZN7rocprim17ROCPRIM_400000_NS6detail17trampoline_kernelINS0_14default_configENS1_38merge_sort_block_merge_config_selectorIjjEEZZNS1_27merge_sort_block_merge_implIS3_N6thrust23THRUST_200600_302600_NS6detail15normal_iteratorINS8_10device_ptrIjEEEESD_jNS1_19radix_merge_compareILb0ELb1EjNS0_19identity_decomposerEEEEE10hipError_tT0_T1_T2_jT3_P12ihipStream_tbPNSt15iterator_traitsISI_E10value_typeEPNSO_ISJ_E10value_typeEPSK_NS1_7vsmem_tEENKUlT_SI_SJ_SK_E_clIPjSD_S10_SD_EESH_SX_SI_SJ_SK_EUlSX_E0_NS1_11comp_targetILNS1_3genE10ELNS1_11target_archE1201ELNS1_3gpuE5ELNS1_3repE0EEENS1_38merge_mergepath_config_static_selectorELNS0_4arch9wavefront6targetE1EEEvSJ_
    .private_segment_fixed_size: 0
    .sgpr_count:     6
    .sgpr_spill_count: 0
    .symbol:         _ZN7rocprim17ROCPRIM_400000_NS6detail17trampoline_kernelINS0_14default_configENS1_38merge_sort_block_merge_config_selectorIjjEEZZNS1_27merge_sort_block_merge_implIS3_N6thrust23THRUST_200600_302600_NS6detail15normal_iteratorINS8_10device_ptrIjEEEESD_jNS1_19radix_merge_compareILb0ELb1EjNS0_19identity_decomposerEEEEE10hipError_tT0_T1_T2_jT3_P12ihipStream_tbPNSt15iterator_traitsISI_E10value_typeEPNSO_ISJ_E10value_typeEPSK_NS1_7vsmem_tEENKUlT_SI_SJ_SK_E_clIPjSD_S10_SD_EESH_SX_SI_SJ_SK_EUlSX_E0_NS1_11comp_targetILNS1_3genE10ELNS1_11target_archE1201ELNS1_3gpuE5ELNS1_3repE0EEENS1_38merge_mergepath_config_static_selectorELNS0_4arch9wavefront6targetE1EEEvSJ_.kd
    .uniform_work_group_size: 1
    .uses_dynamic_stack: false
    .vgpr_count:     0
    .vgpr_spill_count: 0
    .wavefront_size: 64
  - .agpr_count:     0
    .args:
      - .offset:         0
        .size:           64
        .value_kind:     by_value
    .group_segment_fixed_size: 0
    .kernarg_segment_align: 8
    .kernarg_segment_size: 64
    .language:       OpenCL C
    .language_version:
      - 2
      - 0
    .max_flat_workgroup_size: 128
    .name:           _ZN7rocprim17ROCPRIM_400000_NS6detail17trampoline_kernelINS0_14default_configENS1_38merge_sort_block_merge_config_selectorIjjEEZZNS1_27merge_sort_block_merge_implIS3_N6thrust23THRUST_200600_302600_NS6detail15normal_iteratorINS8_10device_ptrIjEEEESD_jNS1_19radix_merge_compareILb0ELb1EjNS0_19identity_decomposerEEEEE10hipError_tT0_T1_T2_jT3_P12ihipStream_tbPNSt15iterator_traitsISI_E10value_typeEPNSO_ISJ_E10value_typeEPSK_NS1_7vsmem_tEENKUlT_SI_SJ_SK_E_clIPjSD_S10_SD_EESH_SX_SI_SJ_SK_EUlSX_E0_NS1_11comp_targetILNS1_3genE5ELNS1_11target_archE942ELNS1_3gpuE9ELNS1_3repE0EEENS1_38merge_mergepath_config_static_selectorELNS0_4arch9wavefront6targetE1EEEvSJ_
    .private_segment_fixed_size: 0
    .sgpr_count:     6
    .sgpr_spill_count: 0
    .symbol:         _ZN7rocprim17ROCPRIM_400000_NS6detail17trampoline_kernelINS0_14default_configENS1_38merge_sort_block_merge_config_selectorIjjEEZZNS1_27merge_sort_block_merge_implIS3_N6thrust23THRUST_200600_302600_NS6detail15normal_iteratorINS8_10device_ptrIjEEEESD_jNS1_19radix_merge_compareILb0ELb1EjNS0_19identity_decomposerEEEEE10hipError_tT0_T1_T2_jT3_P12ihipStream_tbPNSt15iterator_traitsISI_E10value_typeEPNSO_ISJ_E10value_typeEPSK_NS1_7vsmem_tEENKUlT_SI_SJ_SK_E_clIPjSD_S10_SD_EESH_SX_SI_SJ_SK_EUlSX_E0_NS1_11comp_targetILNS1_3genE5ELNS1_11target_archE942ELNS1_3gpuE9ELNS1_3repE0EEENS1_38merge_mergepath_config_static_selectorELNS0_4arch9wavefront6targetE1EEEvSJ_.kd
    .uniform_work_group_size: 1
    .uses_dynamic_stack: false
    .vgpr_count:     0
    .vgpr_spill_count: 0
    .wavefront_size: 64
  - .agpr_count:     0
    .args:
      - .offset:         0
        .size:           64
        .value_kind:     by_value
    .group_segment_fixed_size: 0
    .kernarg_segment_align: 8
    .kernarg_segment_size: 64
    .language:       OpenCL C
    .language_version:
      - 2
      - 0
    .max_flat_workgroup_size: 256
    .name:           _ZN7rocprim17ROCPRIM_400000_NS6detail17trampoline_kernelINS0_14default_configENS1_38merge_sort_block_merge_config_selectorIjjEEZZNS1_27merge_sort_block_merge_implIS3_N6thrust23THRUST_200600_302600_NS6detail15normal_iteratorINS8_10device_ptrIjEEEESD_jNS1_19radix_merge_compareILb0ELb1EjNS0_19identity_decomposerEEEEE10hipError_tT0_T1_T2_jT3_P12ihipStream_tbPNSt15iterator_traitsISI_E10value_typeEPNSO_ISJ_E10value_typeEPSK_NS1_7vsmem_tEENKUlT_SI_SJ_SK_E_clIPjSD_S10_SD_EESH_SX_SI_SJ_SK_EUlSX_E0_NS1_11comp_targetILNS1_3genE4ELNS1_11target_archE910ELNS1_3gpuE8ELNS1_3repE0EEENS1_38merge_mergepath_config_static_selectorELNS0_4arch9wavefront6targetE1EEEvSJ_
    .private_segment_fixed_size: 0
    .sgpr_count:     6
    .sgpr_spill_count: 0
    .symbol:         _ZN7rocprim17ROCPRIM_400000_NS6detail17trampoline_kernelINS0_14default_configENS1_38merge_sort_block_merge_config_selectorIjjEEZZNS1_27merge_sort_block_merge_implIS3_N6thrust23THRUST_200600_302600_NS6detail15normal_iteratorINS8_10device_ptrIjEEEESD_jNS1_19radix_merge_compareILb0ELb1EjNS0_19identity_decomposerEEEEE10hipError_tT0_T1_T2_jT3_P12ihipStream_tbPNSt15iterator_traitsISI_E10value_typeEPNSO_ISJ_E10value_typeEPSK_NS1_7vsmem_tEENKUlT_SI_SJ_SK_E_clIPjSD_S10_SD_EESH_SX_SI_SJ_SK_EUlSX_E0_NS1_11comp_targetILNS1_3genE4ELNS1_11target_archE910ELNS1_3gpuE8ELNS1_3repE0EEENS1_38merge_mergepath_config_static_selectorELNS0_4arch9wavefront6targetE1EEEvSJ_.kd
    .uniform_work_group_size: 1
    .uses_dynamic_stack: false
    .vgpr_count:     0
    .vgpr_spill_count: 0
    .wavefront_size: 64
  - .agpr_count:     0
    .args:
      - .offset:         0
        .size:           64
        .value_kind:     by_value
    .group_segment_fixed_size: 0
    .kernarg_segment_align: 8
    .kernarg_segment_size: 64
    .language:       OpenCL C
    .language_version:
      - 2
      - 0
    .max_flat_workgroup_size: 256
    .name:           _ZN7rocprim17ROCPRIM_400000_NS6detail17trampoline_kernelINS0_14default_configENS1_38merge_sort_block_merge_config_selectorIjjEEZZNS1_27merge_sort_block_merge_implIS3_N6thrust23THRUST_200600_302600_NS6detail15normal_iteratorINS8_10device_ptrIjEEEESD_jNS1_19radix_merge_compareILb0ELb1EjNS0_19identity_decomposerEEEEE10hipError_tT0_T1_T2_jT3_P12ihipStream_tbPNSt15iterator_traitsISI_E10value_typeEPNSO_ISJ_E10value_typeEPSK_NS1_7vsmem_tEENKUlT_SI_SJ_SK_E_clIPjSD_S10_SD_EESH_SX_SI_SJ_SK_EUlSX_E0_NS1_11comp_targetILNS1_3genE3ELNS1_11target_archE908ELNS1_3gpuE7ELNS1_3repE0EEENS1_38merge_mergepath_config_static_selectorELNS0_4arch9wavefront6targetE1EEEvSJ_
    .private_segment_fixed_size: 0
    .sgpr_count:     6
    .sgpr_spill_count: 0
    .symbol:         _ZN7rocprim17ROCPRIM_400000_NS6detail17trampoline_kernelINS0_14default_configENS1_38merge_sort_block_merge_config_selectorIjjEEZZNS1_27merge_sort_block_merge_implIS3_N6thrust23THRUST_200600_302600_NS6detail15normal_iteratorINS8_10device_ptrIjEEEESD_jNS1_19radix_merge_compareILb0ELb1EjNS0_19identity_decomposerEEEEE10hipError_tT0_T1_T2_jT3_P12ihipStream_tbPNSt15iterator_traitsISI_E10value_typeEPNSO_ISJ_E10value_typeEPSK_NS1_7vsmem_tEENKUlT_SI_SJ_SK_E_clIPjSD_S10_SD_EESH_SX_SI_SJ_SK_EUlSX_E0_NS1_11comp_targetILNS1_3genE3ELNS1_11target_archE908ELNS1_3gpuE7ELNS1_3repE0EEENS1_38merge_mergepath_config_static_selectorELNS0_4arch9wavefront6targetE1EEEvSJ_.kd
    .uniform_work_group_size: 1
    .uses_dynamic_stack: false
    .vgpr_count:     0
    .vgpr_spill_count: 0
    .wavefront_size: 64
  - .agpr_count:     0
    .args:
      - .offset:         0
        .size:           64
        .value_kind:     by_value
    .group_segment_fixed_size: 0
    .kernarg_segment_align: 8
    .kernarg_segment_size: 64
    .language:       OpenCL C
    .language_version:
      - 2
      - 0
    .max_flat_workgroup_size: 256
    .name:           _ZN7rocprim17ROCPRIM_400000_NS6detail17trampoline_kernelINS0_14default_configENS1_38merge_sort_block_merge_config_selectorIjjEEZZNS1_27merge_sort_block_merge_implIS3_N6thrust23THRUST_200600_302600_NS6detail15normal_iteratorINS8_10device_ptrIjEEEESD_jNS1_19radix_merge_compareILb0ELb1EjNS0_19identity_decomposerEEEEE10hipError_tT0_T1_T2_jT3_P12ihipStream_tbPNSt15iterator_traitsISI_E10value_typeEPNSO_ISJ_E10value_typeEPSK_NS1_7vsmem_tEENKUlT_SI_SJ_SK_E_clIPjSD_S10_SD_EESH_SX_SI_SJ_SK_EUlSX_E0_NS1_11comp_targetILNS1_3genE2ELNS1_11target_archE906ELNS1_3gpuE6ELNS1_3repE0EEENS1_38merge_mergepath_config_static_selectorELNS0_4arch9wavefront6targetE1EEEvSJ_
    .private_segment_fixed_size: 0
    .sgpr_count:     6
    .sgpr_spill_count: 0
    .symbol:         _ZN7rocprim17ROCPRIM_400000_NS6detail17trampoline_kernelINS0_14default_configENS1_38merge_sort_block_merge_config_selectorIjjEEZZNS1_27merge_sort_block_merge_implIS3_N6thrust23THRUST_200600_302600_NS6detail15normal_iteratorINS8_10device_ptrIjEEEESD_jNS1_19radix_merge_compareILb0ELb1EjNS0_19identity_decomposerEEEEE10hipError_tT0_T1_T2_jT3_P12ihipStream_tbPNSt15iterator_traitsISI_E10value_typeEPNSO_ISJ_E10value_typeEPSK_NS1_7vsmem_tEENKUlT_SI_SJ_SK_E_clIPjSD_S10_SD_EESH_SX_SI_SJ_SK_EUlSX_E0_NS1_11comp_targetILNS1_3genE2ELNS1_11target_archE906ELNS1_3gpuE6ELNS1_3repE0EEENS1_38merge_mergepath_config_static_selectorELNS0_4arch9wavefront6targetE1EEEvSJ_.kd
    .uniform_work_group_size: 1
    .uses_dynamic_stack: false
    .vgpr_count:     0
    .vgpr_spill_count: 0
    .wavefront_size: 64
  - .agpr_count:     0
    .args:
      - .offset:         0
        .size:           64
        .value_kind:     by_value
    .group_segment_fixed_size: 0
    .kernarg_segment_align: 8
    .kernarg_segment_size: 64
    .language:       OpenCL C
    .language_version:
      - 2
      - 0
    .max_flat_workgroup_size: 512
    .name:           _ZN7rocprim17ROCPRIM_400000_NS6detail17trampoline_kernelINS0_14default_configENS1_38merge_sort_block_merge_config_selectorIjjEEZZNS1_27merge_sort_block_merge_implIS3_N6thrust23THRUST_200600_302600_NS6detail15normal_iteratorINS8_10device_ptrIjEEEESD_jNS1_19radix_merge_compareILb0ELb1EjNS0_19identity_decomposerEEEEE10hipError_tT0_T1_T2_jT3_P12ihipStream_tbPNSt15iterator_traitsISI_E10value_typeEPNSO_ISJ_E10value_typeEPSK_NS1_7vsmem_tEENKUlT_SI_SJ_SK_E_clIPjSD_S10_SD_EESH_SX_SI_SJ_SK_EUlSX_E0_NS1_11comp_targetILNS1_3genE9ELNS1_11target_archE1100ELNS1_3gpuE3ELNS1_3repE0EEENS1_38merge_mergepath_config_static_selectorELNS0_4arch9wavefront6targetE1EEEvSJ_
    .private_segment_fixed_size: 0
    .sgpr_count:     6
    .sgpr_spill_count: 0
    .symbol:         _ZN7rocprim17ROCPRIM_400000_NS6detail17trampoline_kernelINS0_14default_configENS1_38merge_sort_block_merge_config_selectorIjjEEZZNS1_27merge_sort_block_merge_implIS3_N6thrust23THRUST_200600_302600_NS6detail15normal_iteratorINS8_10device_ptrIjEEEESD_jNS1_19radix_merge_compareILb0ELb1EjNS0_19identity_decomposerEEEEE10hipError_tT0_T1_T2_jT3_P12ihipStream_tbPNSt15iterator_traitsISI_E10value_typeEPNSO_ISJ_E10value_typeEPSK_NS1_7vsmem_tEENKUlT_SI_SJ_SK_E_clIPjSD_S10_SD_EESH_SX_SI_SJ_SK_EUlSX_E0_NS1_11comp_targetILNS1_3genE9ELNS1_11target_archE1100ELNS1_3gpuE3ELNS1_3repE0EEENS1_38merge_mergepath_config_static_selectorELNS0_4arch9wavefront6targetE1EEEvSJ_.kd
    .uniform_work_group_size: 1
    .uses_dynamic_stack: false
    .vgpr_count:     0
    .vgpr_spill_count: 0
    .wavefront_size: 64
  - .agpr_count:     0
    .args:
      - .offset:         0
        .size:           64
        .value_kind:     by_value
    .group_segment_fixed_size: 0
    .kernarg_segment_align: 8
    .kernarg_segment_size: 64
    .language:       OpenCL C
    .language_version:
      - 2
      - 0
    .max_flat_workgroup_size: 1024
    .name:           _ZN7rocprim17ROCPRIM_400000_NS6detail17trampoline_kernelINS0_14default_configENS1_38merge_sort_block_merge_config_selectorIjjEEZZNS1_27merge_sort_block_merge_implIS3_N6thrust23THRUST_200600_302600_NS6detail15normal_iteratorINS8_10device_ptrIjEEEESD_jNS1_19radix_merge_compareILb0ELb1EjNS0_19identity_decomposerEEEEE10hipError_tT0_T1_T2_jT3_P12ihipStream_tbPNSt15iterator_traitsISI_E10value_typeEPNSO_ISJ_E10value_typeEPSK_NS1_7vsmem_tEENKUlT_SI_SJ_SK_E_clIPjSD_S10_SD_EESH_SX_SI_SJ_SK_EUlSX_E0_NS1_11comp_targetILNS1_3genE8ELNS1_11target_archE1030ELNS1_3gpuE2ELNS1_3repE0EEENS1_38merge_mergepath_config_static_selectorELNS0_4arch9wavefront6targetE1EEEvSJ_
    .private_segment_fixed_size: 0
    .sgpr_count:     6
    .sgpr_spill_count: 0
    .symbol:         _ZN7rocprim17ROCPRIM_400000_NS6detail17trampoline_kernelINS0_14default_configENS1_38merge_sort_block_merge_config_selectorIjjEEZZNS1_27merge_sort_block_merge_implIS3_N6thrust23THRUST_200600_302600_NS6detail15normal_iteratorINS8_10device_ptrIjEEEESD_jNS1_19radix_merge_compareILb0ELb1EjNS0_19identity_decomposerEEEEE10hipError_tT0_T1_T2_jT3_P12ihipStream_tbPNSt15iterator_traitsISI_E10value_typeEPNSO_ISJ_E10value_typeEPSK_NS1_7vsmem_tEENKUlT_SI_SJ_SK_E_clIPjSD_S10_SD_EESH_SX_SI_SJ_SK_EUlSX_E0_NS1_11comp_targetILNS1_3genE8ELNS1_11target_archE1030ELNS1_3gpuE2ELNS1_3repE0EEENS1_38merge_mergepath_config_static_selectorELNS0_4arch9wavefront6targetE1EEEvSJ_.kd
    .uniform_work_group_size: 1
    .uses_dynamic_stack: false
    .vgpr_count:     0
    .vgpr_spill_count: 0
    .wavefront_size: 64
  - .agpr_count:     0
    .args:
      - .offset:         0
        .size:           48
        .value_kind:     by_value
    .group_segment_fixed_size: 0
    .kernarg_segment_align: 8
    .kernarg_segment_size: 48
    .language:       OpenCL C
    .language_version:
      - 2
      - 0
    .max_flat_workgroup_size: 256
    .name:           _ZN7rocprim17ROCPRIM_400000_NS6detail17trampoline_kernelINS0_14default_configENS1_38merge_sort_block_merge_config_selectorIjjEEZZNS1_27merge_sort_block_merge_implIS3_N6thrust23THRUST_200600_302600_NS6detail15normal_iteratorINS8_10device_ptrIjEEEESD_jNS1_19radix_merge_compareILb0ELb1EjNS0_19identity_decomposerEEEEE10hipError_tT0_T1_T2_jT3_P12ihipStream_tbPNSt15iterator_traitsISI_E10value_typeEPNSO_ISJ_E10value_typeEPSK_NS1_7vsmem_tEENKUlT_SI_SJ_SK_E_clIPjSD_S10_SD_EESH_SX_SI_SJ_SK_EUlSX_E1_NS1_11comp_targetILNS1_3genE0ELNS1_11target_archE4294967295ELNS1_3gpuE0ELNS1_3repE0EEENS1_36merge_oddeven_config_static_selectorELNS0_4arch9wavefront6targetE1EEEvSJ_
    .private_segment_fixed_size: 0
    .sgpr_count:     30
    .sgpr_spill_count: 0
    .symbol:         _ZN7rocprim17ROCPRIM_400000_NS6detail17trampoline_kernelINS0_14default_configENS1_38merge_sort_block_merge_config_selectorIjjEEZZNS1_27merge_sort_block_merge_implIS3_N6thrust23THRUST_200600_302600_NS6detail15normal_iteratorINS8_10device_ptrIjEEEESD_jNS1_19radix_merge_compareILb0ELb1EjNS0_19identity_decomposerEEEEE10hipError_tT0_T1_T2_jT3_P12ihipStream_tbPNSt15iterator_traitsISI_E10value_typeEPNSO_ISJ_E10value_typeEPSK_NS1_7vsmem_tEENKUlT_SI_SJ_SK_E_clIPjSD_S10_SD_EESH_SX_SI_SJ_SK_EUlSX_E1_NS1_11comp_targetILNS1_3genE0ELNS1_11target_archE4294967295ELNS1_3gpuE0ELNS1_3repE0EEENS1_36merge_oddeven_config_static_selectorELNS0_4arch9wavefront6targetE1EEEvSJ_.kd
    .uniform_work_group_size: 1
    .uses_dynamic_stack: false
    .vgpr_count:     11
    .vgpr_spill_count: 0
    .wavefront_size: 64
  - .agpr_count:     0
    .args:
      - .offset:         0
        .size:           48
        .value_kind:     by_value
    .group_segment_fixed_size: 0
    .kernarg_segment_align: 8
    .kernarg_segment_size: 48
    .language:       OpenCL C
    .language_version:
      - 2
      - 0
    .max_flat_workgroup_size: 256
    .name:           _ZN7rocprim17ROCPRIM_400000_NS6detail17trampoline_kernelINS0_14default_configENS1_38merge_sort_block_merge_config_selectorIjjEEZZNS1_27merge_sort_block_merge_implIS3_N6thrust23THRUST_200600_302600_NS6detail15normal_iteratorINS8_10device_ptrIjEEEESD_jNS1_19radix_merge_compareILb0ELb1EjNS0_19identity_decomposerEEEEE10hipError_tT0_T1_T2_jT3_P12ihipStream_tbPNSt15iterator_traitsISI_E10value_typeEPNSO_ISJ_E10value_typeEPSK_NS1_7vsmem_tEENKUlT_SI_SJ_SK_E_clIPjSD_S10_SD_EESH_SX_SI_SJ_SK_EUlSX_E1_NS1_11comp_targetILNS1_3genE10ELNS1_11target_archE1201ELNS1_3gpuE5ELNS1_3repE0EEENS1_36merge_oddeven_config_static_selectorELNS0_4arch9wavefront6targetE1EEEvSJ_
    .private_segment_fixed_size: 0
    .sgpr_count:     6
    .sgpr_spill_count: 0
    .symbol:         _ZN7rocprim17ROCPRIM_400000_NS6detail17trampoline_kernelINS0_14default_configENS1_38merge_sort_block_merge_config_selectorIjjEEZZNS1_27merge_sort_block_merge_implIS3_N6thrust23THRUST_200600_302600_NS6detail15normal_iteratorINS8_10device_ptrIjEEEESD_jNS1_19radix_merge_compareILb0ELb1EjNS0_19identity_decomposerEEEEE10hipError_tT0_T1_T2_jT3_P12ihipStream_tbPNSt15iterator_traitsISI_E10value_typeEPNSO_ISJ_E10value_typeEPSK_NS1_7vsmem_tEENKUlT_SI_SJ_SK_E_clIPjSD_S10_SD_EESH_SX_SI_SJ_SK_EUlSX_E1_NS1_11comp_targetILNS1_3genE10ELNS1_11target_archE1201ELNS1_3gpuE5ELNS1_3repE0EEENS1_36merge_oddeven_config_static_selectorELNS0_4arch9wavefront6targetE1EEEvSJ_.kd
    .uniform_work_group_size: 1
    .uses_dynamic_stack: false
    .vgpr_count:     0
    .vgpr_spill_count: 0
    .wavefront_size: 64
  - .agpr_count:     0
    .args:
      - .offset:         0
        .size:           48
        .value_kind:     by_value
    .group_segment_fixed_size: 0
    .kernarg_segment_align: 8
    .kernarg_segment_size: 48
    .language:       OpenCL C
    .language_version:
      - 2
      - 0
    .max_flat_workgroup_size: 256
    .name:           _ZN7rocprim17ROCPRIM_400000_NS6detail17trampoline_kernelINS0_14default_configENS1_38merge_sort_block_merge_config_selectorIjjEEZZNS1_27merge_sort_block_merge_implIS3_N6thrust23THRUST_200600_302600_NS6detail15normal_iteratorINS8_10device_ptrIjEEEESD_jNS1_19radix_merge_compareILb0ELb1EjNS0_19identity_decomposerEEEEE10hipError_tT0_T1_T2_jT3_P12ihipStream_tbPNSt15iterator_traitsISI_E10value_typeEPNSO_ISJ_E10value_typeEPSK_NS1_7vsmem_tEENKUlT_SI_SJ_SK_E_clIPjSD_S10_SD_EESH_SX_SI_SJ_SK_EUlSX_E1_NS1_11comp_targetILNS1_3genE5ELNS1_11target_archE942ELNS1_3gpuE9ELNS1_3repE0EEENS1_36merge_oddeven_config_static_selectorELNS0_4arch9wavefront6targetE1EEEvSJ_
    .private_segment_fixed_size: 0
    .sgpr_count:     6
    .sgpr_spill_count: 0
    .symbol:         _ZN7rocprim17ROCPRIM_400000_NS6detail17trampoline_kernelINS0_14default_configENS1_38merge_sort_block_merge_config_selectorIjjEEZZNS1_27merge_sort_block_merge_implIS3_N6thrust23THRUST_200600_302600_NS6detail15normal_iteratorINS8_10device_ptrIjEEEESD_jNS1_19radix_merge_compareILb0ELb1EjNS0_19identity_decomposerEEEEE10hipError_tT0_T1_T2_jT3_P12ihipStream_tbPNSt15iterator_traitsISI_E10value_typeEPNSO_ISJ_E10value_typeEPSK_NS1_7vsmem_tEENKUlT_SI_SJ_SK_E_clIPjSD_S10_SD_EESH_SX_SI_SJ_SK_EUlSX_E1_NS1_11comp_targetILNS1_3genE5ELNS1_11target_archE942ELNS1_3gpuE9ELNS1_3repE0EEENS1_36merge_oddeven_config_static_selectorELNS0_4arch9wavefront6targetE1EEEvSJ_.kd
    .uniform_work_group_size: 1
    .uses_dynamic_stack: false
    .vgpr_count:     0
    .vgpr_spill_count: 0
    .wavefront_size: 64
  - .agpr_count:     0
    .args:
      - .offset:         0
        .size:           48
        .value_kind:     by_value
    .group_segment_fixed_size: 0
    .kernarg_segment_align: 8
    .kernarg_segment_size: 48
    .language:       OpenCL C
    .language_version:
      - 2
      - 0
    .max_flat_workgroup_size: 256
    .name:           _ZN7rocprim17ROCPRIM_400000_NS6detail17trampoline_kernelINS0_14default_configENS1_38merge_sort_block_merge_config_selectorIjjEEZZNS1_27merge_sort_block_merge_implIS3_N6thrust23THRUST_200600_302600_NS6detail15normal_iteratorINS8_10device_ptrIjEEEESD_jNS1_19radix_merge_compareILb0ELb1EjNS0_19identity_decomposerEEEEE10hipError_tT0_T1_T2_jT3_P12ihipStream_tbPNSt15iterator_traitsISI_E10value_typeEPNSO_ISJ_E10value_typeEPSK_NS1_7vsmem_tEENKUlT_SI_SJ_SK_E_clIPjSD_S10_SD_EESH_SX_SI_SJ_SK_EUlSX_E1_NS1_11comp_targetILNS1_3genE4ELNS1_11target_archE910ELNS1_3gpuE8ELNS1_3repE0EEENS1_36merge_oddeven_config_static_selectorELNS0_4arch9wavefront6targetE1EEEvSJ_
    .private_segment_fixed_size: 0
    .sgpr_count:     6
    .sgpr_spill_count: 0
    .symbol:         _ZN7rocprim17ROCPRIM_400000_NS6detail17trampoline_kernelINS0_14default_configENS1_38merge_sort_block_merge_config_selectorIjjEEZZNS1_27merge_sort_block_merge_implIS3_N6thrust23THRUST_200600_302600_NS6detail15normal_iteratorINS8_10device_ptrIjEEEESD_jNS1_19radix_merge_compareILb0ELb1EjNS0_19identity_decomposerEEEEE10hipError_tT0_T1_T2_jT3_P12ihipStream_tbPNSt15iterator_traitsISI_E10value_typeEPNSO_ISJ_E10value_typeEPSK_NS1_7vsmem_tEENKUlT_SI_SJ_SK_E_clIPjSD_S10_SD_EESH_SX_SI_SJ_SK_EUlSX_E1_NS1_11comp_targetILNS1_3genE4ELNS1_11target_archE910ELNS1_3gpuE8ELNS1_3repE0EEENS1_36merge_oddeven_config_static_selectorELNS0_4arch9wavefront6targetE1EEEvSJ_.kd
    .uniform_work_group_size: 1
    .uses_dynamic_stack: false
    .vgpr_count:     0
    .vgpr_spill_count: 0
    .wavefront_size: 64
  - .agpr_count:     0
    .args:
      - .offset:         0
        .size:           48
        .value_kind:     by_value
    .group_segment_fixed_size: 0
    .kernarg_segment_align: 8
    .kernarg_segment_size: 48
    .language:       OpenCL C
    .language_version:
      - 2
      - 0
    .max_flat_workgroup_size: 256
    .name:           _ZN7rocprim17ROCPRIM_400000_NS6detail17trampoline_kernelINS0_14default_configENS1_38merge_sort_block_merge_config_selectorIjjEEZZNS1_27merge_sort_block_merge_implIS3_N6thrust23THRUST_200600_302600_NS6detail15normal_iteratorINS8_10device_ptrIjEEEESD_jNS1_19radix_merge_compareILb0ELb1EjNS0_19identity_decomposerEEEEE10hipError_tT0_T1_T2_jT3_P12ihipStream_tbPNSt15iterator_traitsISI_E10value_typeEPNSO_ISJ_E10value_typeEPSK_NS1_7vsmem_tEENKUlT_SI_SJ_SK_E_clIPjSD_S10_SD_EESH_SX_SI_SJ_SK_EUlSX_E1_NS1_11comp_targetILNS1_3genE3ELNS1_11target_archE908ELNS1_3gpuE7ELNS1_3repE0EEENS1_36merge_oddeven_config_static_selectorELNS0_4arch9wavefront6targetE1EEEvSJ_
    .private_segment_fixed_size: 0
    .sgpr_count:     6
    .sgpr_spill_count: 0
    .symbol:         _ZN7rocprim17ROCPRIM_400000_NS6detail17trampoline_kernelINS0_14default_configENS1_38merge_sort_block_merge_config_selectorIjjEEZZNS1_27merge_sort_block_merge_implIS3_N6thrust23THRUST_200600_302600_NS6detail15normal_iteratorINS8_10device_ptrIjEEEESD_jNS1_19radix_merge_compareILb0ELb1EjNS0_19identity_decomposerEEEEE10hipError_tT0_T1_T2_jT3_P12ihipStream_tbPNSt15iterator_traitsISI_E10value_typeEPNSO_ISJ_E10value_typeEPSK_NS1_7vsmem_tEENKUlT_SI_SJ_SK_E_clIPjSD_S10_SD_EESH_SX_SI_SJ_SK_EUlSX_E1_NS1_11comp_targetILNS1_3genE3ELNS1_11target_archE908ELNS1_3gpuE7ELNS1_3repE0EEENS1_36merge_oddeven_config_static_selectorELNS0_4arch9wavefront6targetE1EEEvSJ_.kd
    .uniform_work_group_size: 1
    .uses_dynamic_stack: false
    .vgpr_count:     0
    .vgpr_spill_count: 0
    .wavefront_size: 64
  - .agpr_count:     0
    .args:
      - .offset:         0
        .size:           48
        .value_kind:     by_value
    .group_segment_fixed_size: 0
    .kernarg_segment_align: 8
    .kernarg_segment_size: 48
    .language:       OpenCL C
    .language_version:
      - 2
      - 0
    .max_flat_workgroup_size: 256
    .name:           _ZN7rocprim17ROCPRIM_400000_NS6detail17trampoline_kernelINS0_14default_configENS1_38merge_sort_block_merge_config_selectorIjjEEZZNS1_27merge_sort_block_merge_implIS3_N6thrust23THRUST_200600_302600_NS6detail15normal_iteratorINS8_10device_ptrIjEEEESD_jNS1_19radix_merge_compareILb0ELb1EjNS0_19identity_decomposerEEEEE10hipError_tT0_T1_T2_jT3_P12ihipStream_tbPNSt15iterator_traitsISI_E10value_typeEPNSO_ISJ_E10value_typeEPSK_NS1_7vsmem_tEENKUlT_SI_SJ_SK_E_clIPjSD_S10_SD_EESH_SX_SI_SJ_SK_EUlSX_E1_NS1_11comp_targetILNS1_3genE2ELNS1_11target_archE906ELNS1_3gpuE6ELNS1_3repE0EEENS1_36merge_oddeven_config_static_selectorELNS0_4arch9wavefront6targetE1EEEvSJ_
    .private_segment_fixed_size: 0
    .sgpr_count:     6
    .sgpr_spill_count: 0
    .symbol:         _ZN7rocprim17ROCPRIM_400000_NS6detail17trampoline_kernelINS0_14default_configENS1_38merge_sort_block_merge_config_selectorIjjEEZZNS1_27merge_sort_block_merge_implIS3_N6thrust23THRUST_200600_302600_NS6detail15normal_iteratorINS8_10device_ptrIjEEEESD_jNS1_19radix_merge_compareILb0ELb1EjNS0_19identity_decomposerEEEEE10hipError_tT0_T1_T2_jT3_P12ihipStream_tbPNSt15iterator_traitsISI_E10value_typeEPNSO_ISJ_E10value_typeEPSK_NS1_7vsmem_tEENKUlT_SI_SJ_SK_E_clIPjSD_S10_SD_EESH_SX_SI_SJ_SK_EUlSX_E1_NS1_11comp_targetILNS1_3genE2ELNS1_11target_archE906ELNS1_3gpuE6ELNS1_3repE0EEENS1_36merge_oddeven_config_static_selectorELNS0_4arch9wavefront6targetE1EEEvSJ_.kd
    .uniform_work_group_size: 1
    .uses_dynamic_stack: false
    .vgpr_count:     0
    .vgpr_spill_count: 0
    .wavefront_size: 64
  - .agpr_count:     0
    .args:
      - .offset:         0
        .size:           48
        .value_kind:     by_value
    .group_segment_fixed_size: 0
    .kernarg_segment_align: 8
    .kernarg_segment_size: 48
    .language:       OpenCL C
    .language_version:
      - 2
      - 0
    .max_flat_workgroup_size: 256
    .name:           _ZN7rocprim17ROCPRIM_400000_NS6detail17trampoline_kernelINS0_14default_configENS1_38merge_sort_block_merge_config_selectorIjjEEZZNS1_27merge_sort_block_merge_implIS3_N6thrust23THRUST_200600_302600_NS6detail15normal_iteratorINS8_10device_ptrIjEEEESD_jNS1_19radix_merge_compareILb0ELb1EjNS0_19identity_decomposerEEEEE10hipError_tT0_T1_T2_jT3_P12ihipStream_tbPNSt15iterator_traitsISI_E10value_typeEPNSO_ISJ_E10value_typeEPSK_NS1_7vsmem_tEENKUlT_SI_SJ_SK_E_clIPjSD_S10_SD_EESH_SX_SI_SJ_SK_EUlSX_E1_NS1_11comp_targetILNS1_3genE9ELNS1_11target_archE1100ELNS1_3gpuE3ELNS1_3repE0EEENS1_36merge_oddeven_config_static_selectorELNS0_4arch9wavefront6targetE1EEEvSJ_
    .private_segment_fixed_size: 0
    .sgpr_count:     6
    .sgpr_spill_count: 0
    .symbol:         _ZN7rocprim17ROCPRIM_400000_NS6detail17trampoline_kernelINS0_14default_configENS1_38merge_sort_block_merge_config_selectorIjjEEZZNS1_27merge_sort_block_merge_implIS3_N6thrust23THRUST_200600_302600_NS6detail15normal_iteratorINS8_10device_ptrIjEEEESD_jNS1_19radix_merge_compareILb0ELb1EjNS0_19identity_decomposerEEEEE10hipError_tT0_T1_T2_jT3_P12ihipStream_tbPNSt15iterator_traitsISI_E10value_typeEPNSO_ISJ_E10value_typeEPSK_NS1_7vsmem_tEENKUlT_SI_SJ_SK_E_clIPjSD_S10_SD_EESH_SX_SI_SJ_SK_EUlSX_E1_NS1_11comp_targetILNS1_3genE9ELNS1_11target_archE1100ELNS1_3gpuE3ELNS1_3repE0EEENS1_36merge_oddeven_config_static_selectorELNS0_4arch9wavefront6targetE1EEEvSJ_.kd
    .uniform_work_group_size: 1
    .uses_dynamic_stack: false
    .vgpr_count:     0
    .vgpr_spill_count: 0
    .wavefront_size: 64
  - .agpr_count:     0
    .args:
      - .offset:         0
        .size:           48
        .value_kind:     by_value
    .group_segment_fixed_size: 0
    .kernarg_segment_align: 8
    .kernarg_segment_size: 48
    .language:       OpenCL C
    .language_version:
      - 2
      - 0
    .max_flat_workgroup_size: 256
    .name:           _ZN7rocprim17ROCPRIM_400000_NS6detail17trampoline_kernelINS0_14default_configENS1_38merge_sort_block_merge_config_selectorIjjEEZZNS1_27merge_sort_block_merge_implIS3_N6thrust23THRUST_200600_302600_NS6detail15normal_iteratorINS8_10device_ptrIjEEEESD_jNS1_19radix_merge_compareILb0ELb1EjNS0_19identity_decomposerEEEEE10hipError_tT0_T1_T2_jT3_P12ihipStream_tbPNSt15iterator_traitsISI_E10value_typeEPNSO_ISJ_E10value_typeEPSK_NS1_7vsmem_tEENKUlT_SI_SJ_SK_E_clIPjSD_S10_SD_EESH_SX_SI_SJ_SK_EUlSX_E1_NS1_11comp_targetILNS1_3genE8ELNS1_11target_archE1030ELNS1_3gpuE2ELNS1_3repE0EEENS1_36merge_oddeven_config_static_selectorELNS0_4arch9wavefront6targetE1EEEvSJ_
    .private_segment_fixed_size: 0
    .sgpr_count:     6
    .sgpr_spill_count: 0
    .symbol:         _ZN7rocprim17ROCPRIM_400000_NS6detail17trampoline_kernelINS0_14default_configENS1_38merge_sort_block_merge_config_selectorIjjEEZZNS1_27merge_sort_block_merge_implIS3_N6thrust23THRUST_200600_302600_NS6detail15normal_iteratorINS8_10device_ptrIjEEEESD_jNS1_19radix_merge_compareILb0ELb1EjNS0_19identity_decomposerEEEEE10hipError_tT0_T1_T2_jT3_P12ihipStream_tbPNSt15iterator_traitsISI_E10value_typeEPNSO_ISJ_E10value_typeEPSK_NS1_7vsmem_tEENKUlT_SI_SJ_SK_E_clIPjSD_S10_SD_EESH_SX_SI_SJ_SK_EUlSX_E1_NS1_11comp_targetILNS1_3genE8ELNS1_11target_archE1030ELNS1_3gpuE2ELNS1_3repE0EEENS1_36merge_oddeven_config_static_selectorELNS0_4arch9wavefront6targetE1EEEvSJ_.kd
    .uniform_work_group_size: 1
    .uses_dynamic_stack: false
    .vgpr_count:     0
    .vgpr_spill_count: 0
    .wavefront_size: 64
  - .agpr_count:     0
    .args:
      - .offset:         0
        .size:           40
        .value_kind:     by_value
    .group_segment_fixed_size: 0
    .kernarg_segment_align: 8
    .kernarg_segment_size: 40
    .language:       OpenCL C
    .language_version:
      - 2
      - 0
    .max_flat_workgroup_size: 128
    .name:           _ZN7rocprim17ROCPRIM_400000_NS6detail17trampoline_kernelINS0_14default_configENS1_38merge_sort_block_merge_config_selectorIjjEEZZNS1_27merge_sort_block_merge_implIS3_N6thrust23THRUST_200600_302600_NS6detail15normal_iteratorINS8_10device_ptrIjEEEESD_jNS1_19radix_merge_compareILb0ELb1EjNS0_19identity_decomposerEEEEE10hipError_tT0_T1_T2_jT3_P12ihipStream_tbPNSt15iterator_traitsISI_E10value_typeEPNSO_ISJ_E10value_typeEPSK_NS1_7vsmem_tEENKUlT_SI_SJ_SK_E_clISD_PjSD_S10_EESH_SX_SI_SJ_SK_EUlSX_E_NS1_11comp_targetILNS1_3genE0ELNS1_11target_archE4294967295ELNS1_3gpuE0ELNS1_3repE0EEENS1_48merge_mergepath_partition_config_static_selectorELNS0_4arch9wavefront6targetE1EEEvSJ_
    .private_segment_fixed_size: 0
    .sgpr_count:     16
    .sgpr_spill_count: 0
    .symbol:         _ZN7rocprim17ROCPRIM_400000_NS6detail17trampoline_kernelINS0_14default_configENS1_38merge_sort_block_merge_config_selectorIjjEEZZNS1_27merge_sort_block_merge_implIS3_N6thrust23THRUST_200600_302600_NS6detail15normal_iteratorINS8_10device_ptrIjEEEESD_jNS1_19radix_merge_compareILb0ELb1EjNS0_19identity_decomposerEEEEE10hipError_tT0_T1_T2_jT3_P12ihipStream_tbPNSt15iterator_traitsISI_E10value_typeEPNSO_ISJ_E10value_typeEPSK_NS1_7vsmem_tEENKUlT_SI_SJ_SK_E_clISD_PjSD_S10_EESH_SX_SI_SJ_SK_EUlSX_E_NS1_11comp_targetILNS1_3genE0ELNS1_11target_archE4294967295ELNS1_3gpuE0ELNS1_3repE0EEENS1_48merge_mergepath_partition_config_static_selectorELNS0_4arch9wavefront6targetE1EEEvSJ_.kd
    .uniform_work_group_size: 1
    .uses_dynamic_stack: false
    .vgpr_count:     17
    .vgpr_spill_count: 0
    .wavefront_size: 64
  - .agpr_count:     0
    .args:
      - .offset:         0
        .size:           40
        .value_kind:     by_value
    .group_segment_fixed_size: 0
    .kernarg_segment_align: 8
    .kernarg_segment_size: 40
    .language:       OpenCL C
    .language_version:
      - 2
      - 0
    .max_flat_workgroup_size: 128
    .name:           _ZN7rocprim17ROCPRIM_400000_NS6detail17trampoline_kernelINS0_14default_configENS1_38merge_sort_block_merge_config_selectorIjjEEZZNS1_27merge_sort_block_merge_implIS3_N6thrust23THRUST_200600_302600_NS6detail15normal_iteratorINS8_10device_ptrIjEEEESD_jNS1_19radix_merge_compareILb0ELb1EjNS0_19identity_decomposerEEEEE10hipError_tT0_T1_T2_jT3_P12ihipStream_tbPNSt15iterator_traitsISI_E10value_typeEPNSO_ISJ_E10value_typeEPSK_NS1_7vsmem_tEENKUlT_SI_SJ_SK_E_clISD_PjSD_S10_EESH_SX_SI_SJ_SK_EUlSX_E_NS1_11comp_targetILNS1_3genE10ELNS1_11target_archE1201ELNS1_3gpuE5ELNS1_3repE0EEENS1_48merge_mergepath_partition_config_static_selectorELNS0_4arch9wavefront6targetE1EEEvSJ_
    .private_segment_fixed_size: 0
    .sgpr_count:     6
    .sgpr_spill_count: 0
    .symbol:         _ZN7rocprim17ROCPRIM_400000_NS6detail17trampoline_kernelINS0_14default_configENS1_38merge_sort_block_merge_config_selectorIjjEEZZNS1_27merge_sort_block_merge_implIS3_N6thrust23THRUST_200600_302600_NS6detail15normal_iteratorINS8_10device_ptrIjEEEESD_jNS1_19radix_merge_compareILb0ELb1EjNS0_19identity_decomposerEEEEE10hipError_tT0_T1_T2_jT3_P12ihipStream_tbPNSt15iterator_traitsISI_E10value_typeEPNSO_ISJ_E10value_typeEPSK_NS1_7vsmem_tEENKUlT_SI_SJ_SK_E_clISD_PjSD_S10_EESH_SX_SI_SJ_SK_EUlSX_E_NS1_11comp_targetILNS1_3genE10ELNS1_11target_archE1201ELNS1_3gpuE5ELNS1_3repE0EEENS1_48merge_mergepath_partition_config_static_selectorELNS0_4arch9wavefront6targetE1EEEvSJ_.kd
    .uniform_work_group_size: 1
    .uses_dynamic_stack: false
    .vgpr_count:     0
    .vgpr_spill_count: 0
    .wavefront_size: 64
  - .agpr_count:     0
    .args:
      - .offset:         0
        .size:           40
        .value_kind:     by_value
    .group_segment_fixed_size: 0
    .kernarg_segment_align: 8
    .kernarg_segment_size: 40
    .language:       OpenCL C
    .language_version:
      - 2
      - 0
    .max_flat_workgroup_size: 128
    .name:           _ZN7rocprim17ROCPRIM_400000_NS6detail17trampoline_kernelINS0_14default_configENS1_38merge_sort_block_merge_config_selectorIjjEEZZNS1_27merge_sort_block_merge_implIS3_N6thrust23THRUST_200600_302600_NS6detail15normal_iteratorINS8_10device_ptrIjEEEESD_jNS1_19radix_merge_compareILb0ELb1EjNS0_19identity_decomposerEEEEE10hipError_tT0_T1_T2_jT3_P12ihipStream_tbPNSt15iterator_traitsISI_E10value_typeEPNSO_ISJ_E10value_typeEPSK_NS1_7vsmem_tEENKUlT_SI_SJ_SK_E_clISD_PjSD_S10_EESH_SX_SI_SJ_SK_EUlSX_E_NS1_11comp_targetILNS1_3genE5ELNS1_11target_archE942ELNS1_3gpuE9ELNS1_3repE0EEENS1_48merge_mergepath_partition_config_static_selectorELNS0_4arch9wavefront6targetE1EEEvSJ_
    .private_segment_fixed_size: 0
    .sgpr_count:     6
    .sgpr_spill_count: 0
    .symbol:         _ZN7rocprim17ROCPRIM_400000_NS6detail17trampoline_kernelINS0_14default_configENS1_38merge_sort_block_merge_config_selectorIjjEEZZNS1_27merge_sort_block_merge_implIS3_N6thrust23THRUST_200600_302600_NS6detail15normal_iteratorINS8_10device_ptrIjEEEESD_jNS1_19radix_merge_compareILb0ELb1EjNS0_19identity_decomposerEEEEE10hipError_tT0_T1_T2_jT3_P12ihipStream_tbPNSt15iterator_traitsISI_E10value_typeEPNSO_ISJ_E10value_typeEPSK_NS1_7vsmem_tEENKUlT_SI_SJ_SK_E_clISD_PjSD_S10_EESH_SX_SI_SJ_SK_EUlSX_E_NS1_11comp_targetILNS1_3genE5ELNS1_11target_archE942ELNS1_3gpuE9ELNS1_3repE0EEENS1_48merge_mergepath_partition_config_static_selectorELNS0_4arch9wavefront6targetE1EEEvSJ_.kd
    .uniform_work_group_size: 1
    .uses_dynamic_stack: false
    .vgpr_count:     0
    .vgpr_spill_count: 0
    .wavefront_size: 64
  - .agpr_count:     0
    .args:
      - .offset:         0
        .size:           40
        .value_kind:     by_value
    .group_segment_fixed_size: 0
    .kernarg_segment_align: 8
    .kernarg_segment_size: 40
    .language:       OpenCL C
    .language_version:
      - 2
      - 0
    .max_flat_workgroup_size: 128
    .name:           _ZN7rocprim17ROCPRIM_400000_NS6detail17trampoline_kernelINS0_14default_configENS1_38merge_sort_block_merge_config_selectorIjjEEZZNS1_27merge_sort_block_merge_implIS3_N6thrust23THRUST_200600_302600_NS6detail15normal_iteratorINS8_10device_ptrIjEEEESD_jNS1_19radix_merge_compareILb0ELb1EjNS0_19identity_decomposerEEEEE10hipError_tT0_T1_T2_jT3_P12ihipStream_tbPNSt15iterator_traitsISI_E10value_typeEPNSO_ISJ_E10value_typeEPSK_NS1_7vsmem_tEENKUlT_SI_SJ_SK_E_clISD_PjSD_S10_EESH_SX_SI_SJ_SK_EUlSX_E_NS1_11comp_targetILNS1_3genE4ELNS1_11target_archE910ELNS1_3gpuE8ELNS1_3repE0EEENS1_48merge_mergepath_partition_config_static_selectorELNS0_4arch9wavefront6targetE1EEEvSJ_
    .private_segment_fixed_size: 0
    .sgpr_count:     6
    .sgpr_spill_count: 0
    .symbol:         _ZN7rocprim17ROCPRIM_400000_NS6detail17trampoline_kernelINS0_14default_configENS1_38merge_sort_block_merge_config_selectorIjjEEZZNS1_27merge_sort_block_merge_implIS3_N6thrust23THRUST_200600_302600_NS6detail15normal_iteratorINS8_10device_ptrIjEEEESD_jNS1_19radix_merge_compareILb0ELb1EjNS0_19identity_decomposerEEEEE10hipError_tT0_T1_T2_jT3_P12ihipStream_tbPNSt15iterator_traitsISI_E10value_typeEPNSO_ISJ_E10value_typeEPSK_NS1_7vsmem_tEENKUlT_SI_SJ_SK_E_clISD_PjSD_S10_EESH_SX_SI_SJ_SK_EUlSX_E_NS1_11comp_targetILNS1_3genE4ELNS1_11target_archE910ELNS1_3gpuE8ELNS1_3repE0EEENS1_48merge_mergepath_partition_config_static_selectorELNS0_4arch9wavefront6targetE1EEEvSJ_.kd
    .uniform_work_group_size: 1
    .uses_dynamic_stack: false
    .vgpr_count:     0
    .vgpr_spill_count: 0
    .wavefront_size: 64
  - .agpr_count:     0
    .args:
      - .offset:         0
        .size:           40
        .value_kind:     by_value
    .group_segment_fixed_size: 0
    .kernarg_segment_align: 8
    .kernarg_segment_size: 40
    .language:       OpenCL C
    .language_version:
      - 2
      - 0
    .max_flat_workgroup_size: 128
    .name:           _ZN7rocprim17ROCPRIM_400000_NS6detail17trampoline_kernelINS0_14default_configENS1_38merge_sort_block_merge_config_selectorIjjEEZZNS1_27merge_sort_block_merge_implIS3_N6thrust23THRUST_200600_302600_NS6detail15normal_iteratorINS8_10device_ptrIjEEEESD_jNS1_19radix_merge_compareILb0ELb1EjNS0_19identity_decomposerEEEEE10hipError_tT0_T1_T2_jT3_P12ihipStream_tbPNSt15iterator_traitsISI_E10value_typeEPNSO_ISJ_E10value_typeEPSK_NS1_7vsmem_tEENKUlT_SI_SJ_SK_E_clISD_PjSD_S10_EESH_SX_SI_SJ_SK_EUlSX_E_NS1_11comp_targetILNS1_3genE3ELNS1_11target_archE908ELNS1_3gpuE7ELNS1_3repE0EEENS1_48merge_mergepath_partition_config_static_selectorELNS0_4arch9wavefront6targetE1EEEvSJ_
    .private_segment_fixed_size: 0
    .sgpr_count:     6
    .sgpr_spill_count: 0
    .symbol:         _ZN7rocprim17ROCPRIM_400000_NS6detail17trampoline_kernelINS0_14default_configENS1_38merge_sort_block_merge_config_selectorIjjEEZZNS1_27merge_sort_block_merge_implIS3_N6thrust23THRUST_200600_302600_NS6detail15normal_iteratorINS8_10device_ptrIjEEEESD_jNS1_19radix_merge_compareILb0ELb1EjNS0_19identity_decomposerEEEEE10hipError_tT0_T1_T2_jT3_P12ihipStream_tbPNSt15iterator_traitsISI_E10value_typeEPNSO_ISJ_E10value_typeEPSK_NS1_7vsmem_tEENKUlT_SI_SJ_SK_E_clISD_PjSD_S10_EESH_SX_SI_SJ_SK_EUlSX_E_NS1_11comp_targetILNS1_3genE3ELNS1_11target_archE908ELNS1_3gpuE7ELNS1_3repE0EEENS1_48merge_mergepath_partition_config_static_selectorELNS0_4arch9wavefront6targetE1EEEvSJ_.kd
    .uniform_work_group_size: 1
    .uses_dynamic_stack: false
    .vgpr_count:     0
    .vgpr_spill_count: 0
    .wavefront_size: 64
  - .agpr_count:     0
    .args:
      - .offset:         0
        .size:           40
        .value_kind:     by_value
    .group_segment_fixed_size: 0
    .kernarg_segment_align: 8
    .kernarg_segment_size: 40
    .language:       OpenCL C
    .language_version:
      - 2
      - 0
    .max_flat_workgroup_size: 128
    .name:           _ZN7rocprim17ROCPRIM_400000_NS6detail17trampoline_kernelINS0_14default_configENS1_38merge_sort_block_merge_config_selectorIjjEEZZNS1_27merge_sort_block_merge_implIS3_N6thrust23THRUST_200600_302600_NS6detail15normal_iteratorINS8_10device_ptrIjEEEESD_jNS1_19radix_merge_compareILb0ELb1EjNS0_19identity_decomposerEEEEE10hipError_tT0_T1_T2_jT3_P12ihipStream_tbPNSt15iterator_traitsISI_E10value_typeEPNSO_ISJ_E10value_typeEPSK_NS1_7vsmem_tEENKUlT_SI_SJ_SK_E_clISD_PjSD_S10_EESH_SX_SI_SJ_SK_EUlSX_E_NS1_11comp_targetILNS1_3genE2ELNS1_11target_archE906ELNS1_3gpuE6ELNS1_3repE0EEENS1_48merge_mergepath_partition_config_static_selectorELNS0_4arch9wavefront6targetE1EEEvSJ_
    .private_segment_fixed_size: 0
    .sgpr_count:     6
    .sgpr_spill_count: 0
    .symbol:         _ZN7rocprim17ROCPRIM_400000_NS6detail17trampoline_kernelINS0_14default_configENS1_38merge_sort_block_merge_config_selectorIjjEEZZNS1_27merge_sort_block_merge_implIS3_N6thrust23THRUST_200600_302600_NS6detail15normal_iteratorINS8_10device_ptrIjEEEESD_jNS1_19radix_merge_compareILb0ELb1EjNS0_19identity_decomposerEEEEE10hipError_tT0_T1_T2_jT3_P12ihipStream_tbPNSt15iterator_traitsISI_E10value_typeEPNSO_ISJ_E10value_typeEPSK_NS1_7vsmem_tEENKUlT_SI_SJ_SK_E_clISD_PjSD_S10_EESH_SX_SI_SJ_SK_EUlSX_E_NS1_11comp_targetILNS1_3genE2ELNS1_11target_archE906ELNS1_3gpuE6ELNS1_3repE0EEENS1_48merge_mergepath_partition_config_static_selectorELNS0_4arch9wavefront6targetE1EEEvSJ_.kd
    .uniform_work_group_size: 1
    .uses_dynamic_stack: false
    .vgpr_count:     0
    .vgpr_spill_count: 0
    .wavefront_size: 64
  - .agpr_count:     0
    .args:
      - .offset:         0
        .size:           40
        .value_kind:     by_value
    .group_segment_fixed_size: 0
    .kernarg_segment_align: 8
    .kernarg_segment_size: 40
    .language:       OpenCL C
    .language_version:
      - 2
      - 0
    .max_flat_workgroup_size: 128
    .name:           _ZN7rocprim17ROCPRIM_400000_NS6detail17trampoline_kernelINS0_14default_configENS1_38merge_sort_block_merge_config_selectorIjjEEZZNS1_27merge_sort_block_merge_implIS3_N6thrust23THRUST_200600_302600_NS6detail15normal_iteratorINS8_10device_ptrIjEEEESD_jNS1_19radix_merge_compareILb0ELb1EjNS0_19identity_decomposerEEEEE10hipError_tT0_T1_T2_jT3_P12ihipStream_tbPNSt15iterator_traitsISI_E10value_typeEPNSO_ISJ_E10value_typeEPSK_NS1_7vsmem_tEENKUlT_SI_SJ_SK_E_clISD_PjSD_S10_EESH_SX_SI_SJ_SK_EUlSX_E_NS1_11comp_targetILNS1_3genE9ELNS1_11target_archE1100ELNS1_3gpuE3ELNS1_3repE0EEENS1_48merge_mergepath_partition_config_static_selectorELNS0_4arch9wavefront6targetE1EEEvSJ_
    .private_segment_fixed_size: 0
    .sgpr_count:     6
    .sgpr_spill_count: 0
    .symbol:         _ZN7rocprim17ROCPRIM_400000_NS6detail17trampoline_kernelINS0_14default_configENS1_38merge_sort_block_merge_config_selectorIjjEEZZNS1_27merge_sort_block_merge_implIS3_N6thrust23THRUST_200600_302600_NS6detail15normal_iteratorINS8_10device_ptrIjEEEESD_jNS1_19radix_merge_compareILb0ELb1EjNS0_19identity_decomposerEEEEE10hipError_tT0_T1_T2_jT3_P12ihipStream_tbPNSt15iterator_traitsISI_E10value_typeEPNSO_ISJ_E10value_typeEPSK_NS1_7vsmem_tEENKUlT_SI_SJ_SK_E_clISD_PjSD_S10_EESH_SX_SI_SJ_SK_EUlSX_E_NS1_11comp_targetILNS1_3genE9ELNS1_11target_archE1100ELNS1_3gpuE3ELNS1_3repE0EEENS1_48merge_mergepath_partition_config_static_selectorELNS0_4arch9wavefront6targetE1EEEvSJ_.kd
    .uniform_work_group_size: 1
    .uses_dynamic_stack: false
    .vgpr_count:     0
    .vgpr_spill_count: 0
    .wavefront_size: 64
  - .agpr_count:     0
    .args:
      - .offset:         0
        .size:           40
        .value_kind:     by_value
    .group_segment_fixed_size: 0
    .kernarg_segment_align: 8
    .kernarg_segment_size: 40
    .language:       OpenCL C
    .language_version:
      - 2
      - 0
    .max_flat_workgroup_size: 128
    .name:           _ZN7rocprim17ROCPRIM_400000_NS6detail17trampoline_kernelINS0_14default_configENS1_38merge_sort_block_merge_config_selectorIjjEEZZNS1_27merge_sort_block_merge_implIS3_N6thrust23THRUST_200600_302600_NS6detail15normal_iteratorINS8_10device_ptrIjEEEESD_jNS1_19radix_merge_compareILb0ELb1EjNS0_19identity_decomposerEEEEE10hipError_tT0_T1_T2_jT3_P12ihipStream_tbPNSt15iterator_traitsISI_E10value_typeEPNSO_ISJ_E10value_typeEPSK_NS1_7vsmem_tEENKUlT_SI_SJ_SK_E_clISD_PjSD_S10_EESH_SX_SI_SJ_SK_EUlSX_E_NS1_11comp_targetILNS1_3genE8ELNS1_11target_archE1030ELNS1_3gpuE2ELNS1_3repE0EEENS1_48merge_mergepath_partition_config_static_selectorELNS0_4arch9wavefront6targetE1EEEvSJ_
    .private_segment_fixed_size: 0
    .sgpr_count:     6
    .sgpr_spill_count: 0
    .symbol:         _ZN7rocprim17ROCPRIM_400000_NS6detail17trampoline_kernelINS0_14default_configENS1_38merge_sort_block_merge_config_selectorIjjEEZZNS1_27merge_sort_block_merge_implIS3_N6thrust23THRUST_200600_302600_NS6detail15normal_iteratorINS8_10device_ptrIjEEEESD_jNS1_19radix_merge_compareILb0ELb1EjNS0_19identity_decomposerEEEEE10hipError_tT0_T1_T2_jT3_P12ihipStream_tbPNSt15iterator_traitsISI_E10value_typeEPNSO_ISJ_E10value_typeEPSK_NS1_7vsmem_tEENKUlT_SI_SJ_SK_E_clISD_PjSD_S10_EESH_SX_SI_SJ_SK_EUlSX_E_NS1_11comp_targetILNS1_3genE8ELNS1_11target_archE1030ELNS1_3gpuE2ELNS1_3repE0EEENS1_48merge_mergepath_partition_config_static_selectorELNS0_4arch9wavefront6targetE1EEEvSJ_.kd
    .uniform_work_group_size: 1
    .uses_dynamic_stack: false
    .vgpr_count:     0
    .vgpr_spill_count: 0
    .wavefront_size: 64
  - .agpr_count:     0
    .args:
      - .offset:         0
        .size:           64
        .value_kind:     by_value
      - .offset:         64
        .size:           4
        .value_kind:     hidden_block_count_x
      - .offset:         68
        .size:           4
        .value_kind:     hidden_block_count_y
      - .offset:         72
        .size:           4
        .value_kind:     hidden_block_count_z
      - .offset:         76
        .size:           2
        .value_kind:     hidden_group_size_x
      - .offset:         78
        .size:           2
        .value_kind:     hidden_group_size_y
      - .offset:         80
        .size:           2
        .value_kind:     hidden_group_size_z
      - .offset:         82
        .size:           2
        .value_kind:     hidden_remainder_x
      - .offset:         84
        .size:           2
        .value_kind:     hidden_remainder_y
      - .offset:         86
        .size:           2
        .value_kind:     hidden_remainder_z
      - .offset:         104
        .size:           8
        .value_kind:     hidden_global_offset_x
      - .offset:         112
        .size:           8
        .value_kind:     hidden_global_offset_y
      - .offset:         120
        .size:           8
        .value_kind:     hidden_global_offset_z
      - .offset:         128
        .size:           2
        .value_kind:     hidden_grid_dims
    .group_segment_fixed_size: 4224
    .kernarg_segment_align: 8
    .kernarg_segment_size: 320
    .language:       OpenCL C
    .language_version:
      - 2
      - 0
    .max_flat_workgroup_size: 256
    .name:           _ZN7rocprim17ROCPRIM_400000_NS6detail17trampoline_kernelINS0_14default_configENS1_38merge_sort_block_merge_config_selectorIjjEEZZNS1_27merge_sort_block_merge_implIS3_N6thrust23THRUST_200600_302600_NS6detail15normal_iteratorINS8_10device_ptrIjEEEESD_jNS1_19radix_merge_compareILb0ELb1EjNS0_19identity_decomposerEEEEE10hipError_tT0_T1_T2_jT3_P12ihipStream_tbPNSt15iterator_traitsISI_E10value_typeEPNSO_ISJ_E10value_typeEPSK_NS1_7vsmem_tEENKUlT_SI_SJ_SK_E_clISD_PjSD_S10_EESH_SX_SI_SJ_SK_EUlSX_E0_NS1_11comp_targetILNS1_3genE0ELNS1_11target_archE4294967295ELNS1_3gpuE0ELNS1_3repE0EEENS1_38merge_mergepath_config_static_selectorELNS0_4arch9wavefront6targetE1EEEvSJ_
    .private_segment_fixed_size: 0
    .sgpr_count:     37
    .sgpr_spill_count: 0
    .symbol:         _ZN7rocprim17ROCPRIM_400000_NS6detail17trampoline_kernelINS0_14default_configENS1_38merge_sort_block_merge_config_selectorIjjEEZZNS1_27merge_sort_block_merge_implIS3_N6thrust23THRUST_200600_302600_NS6detail15normal_iteratorINS8_10device_ptrIjEEEESD_jNS1_19radix_merge_compareILb0ELb1EjNS0_19identity_decomposerEEEEE10hipError_tT0_T1_T2_jT3_P12ihipStream_tbPNSt15iterator_traitsISI_E10value_typeEPNSO_ISJ_E10value_typeEPSK_NS1_7vsmem_tEENKUlT_SI_SJ_SK_E_clISD_PjSD_S10_EESH_SX_SI_SJ_SK_EUlSX_E0_NS1_11comp_targetILNS1_3genE0ELNS1_11target_archE4294967295ELNS1_3gpuE0ELNS1_3repE0EEENS1_38merge_mergepath_config_static_selectorELNS0_4arch9wavefront6targetE1EEEvSJ_.kd
    .uniform_work_group_size: 1
    .uses_dynamic_stack: false
    .vgpr_count:     21
    .vgpr_spill_count: 0
    .wavefront_size: 64
  - .agpr_count:     0
    .args:
      - .offset:         0
        .size:           64
        .value_kind:     by_value
    .group_segment_fixed_size: 0
    .kernarg_segment_align: 8
    .kernarg_segment_size: 64
    .language:       OpenCL C
    .language_version:
      - 2
      - 0
    .max_flat_workgroup_size: 256
    .name:           _ZN7rocprim17ROCPRIM_400000_NS6detail17trampoline_kernelINS0_14default_configENS1_38merge_sort_block_merge_config_selectorIjjEEZZNS1_27merge_sort_block_merge_implIS3_N6thrust23THRUST_200600_302600_NS6detail15normal_iteratorINS8_10device_ptrIjEEEESD_jNS1_19radix_merge_compareILb0ELb1EjNS0_19identity_decomposerEEEEE10hipError_tT0_T1_T2_jT3_P12ihipStream_tbPNSt15iterator_traitsISI_E10value_typeEPNSO_ISJ_E10value_typeEPSK_NS1_7vsmem_tEENKUlT_SI_SJ_SK_E_clISD_PjSD_S10_EESH_SX_SI_SJ_SK_EUlSX_E0_NS1_11comp_targetILNS1_3genE10ELNS1_11target_archE1201ELNS1_3gpuE5ELNS1_3repE0EEENS1_38merge_mergepath_config_static_selectorELNS0_4arch9wavefront6targetE1EEEvSJ_
    .private_segment_fixed_size: 0
    .sgpr_count:     6
    .sgpr_spill_count: 0
    .symbol:         _ZN7rocprim17ROCPRIM_400000_NS6detail17trampoline_kernelINS0_14default_configENS1_38merge_sort_block_merge_config_selectorIjjEEZZNS1_27merge_sort_block_merge_implIS3_N6thrust23THRUST_200600_302600_NS6detail15normal_iteratorINS8_10device_ptrIjEEEESD_jNS1_19radix_merge_compareILb0ELb1EjNS0_19identity_decomposerEEEEE10hipError_tT0_T1_T2_jT3_P12ihipStream_tbPNSt15iterator_traitsISI_E10value_typeEPNSO_ISJ_E10value_typeEPSK_NS1_7vsmem_tEENKUlT_SI_SJ_SK_E_clISD_PjSD_S10_EESH_SX_SI_SJ_SK_EUlSX_E0_NS1_11comp_targetILNS1_3genE10ELNS1_11target_archE1201ELNS1_3gpuE5ELNS1_3repE0EEENS1_38merge_mergepath_config_static_selectorELNS0_4arch9wavefront6targetE1EEEvSJ_.kd
    .uniform_work_group_size: 1
    .uses_dynamic_stack: false
    .vgpr_count:     0
    .vgpr_spill_count: 0
    .wavefront_size: 64
  - .agpr_count:     0
    .args:
      - .offset:         0
        .size:           64
        .value_kind:     by_value
    .group_segment_fixed_size: 0
    .kernarg_segment_align: 8
    .kernarg_segment_size: 64
    .language:       OpenCL C
    .language_version:
      - 2
      - 0
    .max_flat_workgroup_size: 128
    .name:           _ZN7rocprim17ROCPRIM_400000_NS6detail17trampoline_kernelINS0_14default_configENS1_38merge_sort_block_merge_config_selectorIjjEEZZNS1_27merge_sort_block_merge_implIS3_N6thrust23THRUST_200600_302600_NS6detail15normal_iteratorINS8_10device_ptrIjEEEESD_jNS1_19radix_merge_compareILb0ELb1EjNS0_19identity_decomposerEEEEE10hipError_tT0_T1_T2_jT3_P12ihipStream_tbPNSt15iterator_traitsISI_E10value_typeEPNSO_ISJ_E10value_typeEPSK_NS1_7vsmem_tEENKUlT_SI_SJ_SK_E_clISD_PjSD_S10_EESH_SX_SI_SJ_SK_EUlSX_E0_NS1_11comp_targetILNS1_3genE5ELNS1_11target_archE942ELNS1_3gpuE9ELNS1_3repE0EEENS1_38merge_mergepath_config_static_selectorELNS0_4arch9wavefront6targetE1EEEvSJ_
    .private_segment_fixed_size: 0
    .sgpr_count:     6
    .sgpr_spill_count: 0
    .symbol:         _ZN7rocprim17ROCPRIM_400000_NS6detail17trampoline_kernelINS0_14default_configENS1_38merge_sort_block_merge_config_selectorIjjEEZZNS1_27merge_sort_block_merge_implIS3_N6thrust23THRUST_200600_302600_NS6detail15normal_iteratorINS8_10device_ptrIjEEEESD_jNS1_19radix_merge_compareILb0ELb1EjNS0_19identity_decomposerEEEEE10hipError_tT0_T1_T2_jT3_P12ihipStream_tbPNSt15iterator_traitsISI_E10value_typeEPNSO_ISJ_E10value_typeEPSK_NS1_7vsmem_tEENKUlT_SI_SJ_SK_E_clISD_PjSD_S10_EESH_SX_SI_SJ_SK_EUlSX_E0_NS1_11comp_targetILNS1_3genE5ELNS1_11target_archE942ELNS1_3gpuE9ELNS1_3repE0EEENS1_38merge_mergepath_config_static_selectorELNS0_4arch9wavefront6targetE1EEEvSJ_.kd
    .uniform_work_group_size: 1
    .uses_dynamic_stack: false
    .vgpr_count:     0
    .vgpr_spill_count: 0
    .wavefront_size: 64
  - .agpr_count:     0
    .args:
      - .offset:         0
        .size:           64
        .value_kind:     by_value
    .group_segment_fixed_size: 0
    .kernarg_segment_align: 8
    .kernarg_segment_size: 64
    .language:       OpenCL C
    .language_version:
      - 2
      - 0
    .max_flat_workgroup_size: 256
    .name:           _ZN7rocprim17ROCPRIM_400000_NS6detail17trampoline_kernelINS0_14default_configENS1_38merge_sort_block_merge_config_selectorIjjEEZZNS1_27merge_sort_block_merge_implIS3_N6thrust23THRUST_200600_302600_NS6detail15normal_iteratorINS8_10device_ptrIjEEEESD_jNS1_19radix_merge_compareILb0ELb1EjNS0_19identity_decomposerEEEEE10hipError_tT0_T1_T2_jT3_P12ihipStream_tbPNSt15iterator_traitsISI_E10value_typeEPNSO_ISJ_E10value_typeEPSK_NS1_7vsmem_tEENKUlT_SI_SJ_SK_E_clISD_PjSD_S10_EESH_SX_SI_SJ_SK_EUlSX_E0_NS1_11comp_targetILNS1_3genE4ELNS1_11target_archE910ELNS1_3gpuE8ELNS1_3repE0EEENS1_38merge_mergepath_config_static_selectorELNS0_4arch9wavefront6targetE1EEEvSJ_
    .private_segment_fixed_size: 0
    .sgpr_count:     6
    .sgpr_spill_count: 0
    .symbol:         _ZN7rocprim17ROCPRIM_400000_NS6detail17trampoline_kernelINS0_14default_configENS1_38merge_sort_block_merge_config_selectorIjjEEZZNS1_27merge_sort_block_merge_implIS3_N6thrust23THRUST_200600_302600_NS6detail15normal_iteratorINS8_10device_ptrIjEEEESD_jNS1_19radix_merge_compareILb0ELb1EjNS0_19identity_decomposerEEEEE10hipError_tT0_T1_T2_jT3_P12ihipStream_tbPNSt15iterator_traitsISI_E10value_typeEPNSO_ISJ_E10value_typeEPSK_NS1_7vsmem_tEENKUlT_SI_SJ_SK_E_clISD_PjSD_S10_EESH_SX_SI_SJ_SK_EUlSX_E0_NS1_11comp_targetILNS1_3genE4ELNS1_11target_archE910ELNS1_3gpuE8ELNS1_3repE0EEENS1_38merge_mergepath_config_static_selectorELNS0_4arch9wavefront6targetE1EEEvSJ_.kd
    .uniform_work_group_size: 1
    .uses_dynamic_stack: false
    .vgpr_count:     0
    .vgpr_spill_count: 0
    .wavefront_size: 64
  - .agpr_count:     0
    .args:
      - .offset:         0
        .size:           64
        .value_kind:     by_value
    .group_segment_fixed_size: 0
    .kernarg_segment_align: 8
    .kernarg_segment_size: 64
    .language:       OpenCL C
    .language_version:
      - 2
      - 0
    .max_flat_workgroup_size: 256
    .name:           _ZN7rocprim17ROCPRIM_400000_NS6detail17trampoline_kernelINS0_14default_configENS1_38merge_sort_block_merge_config_selectorIjjEEZZNS1_27merge_sort_block_merge_implIS3_N6thrust23THRUST_200600_302600_NS6detail15normal_iteratorINS8_10device_ptrIjEEEESD_jNS1_19radix_merge_compareILb0ELb1EjNS0_19identity_decomposerEEEEE10hipError_tT0_T1_T2_jT3_P12ihipStream_tbPNSt15iterator_traitsISI_E10value_typeEPNSO_ISJ_E10value_typeEPSK_NS1_7vsmem_tEENKUlT_SI_SJ_SK_E_clISD_PjSD_S10_EESH_SX_SI_SJ_SK_EUlSX_E0_NS1_11comp_targetILNS1_3genE3ELNS1_11target_archE908ELNS1_3gpuE7ELNS1_3repE0EEENS1_38merge_mergepath_config_static_selectorELNS0_4arch9wavefront6targetE1EEEvSJ_
    .private_segment_fixed_size: 0
    .sgpr_count:     6
    .sgpr_spill_count: 0
    .symbol:         _ZN7rocprim17ROCPRIM_400000_NS6detail17trampoline_kernelINS0_14default_configENS1_38merge_sort_block_merge_config_selectorIjjEEZZNS1_27merge_sort_block_merge_implIS3_N6thrust23THRUST_200600_302600_NS6detail15normal_iteratorINS8_10device_ptrIjEEEESD_jNS1_19radix_merge_compareILb0ELb1EjNS0_19identity_decomposerEEEEE10hipError_tT0_T1_T2_jT3_P12ihipStream_tbPNSt15iterator_traitsISI_E10value_typeEPNSO_ISJ_E10value_typeEPSK_NS1_7vsmem_tEENKUlT_SI_SJ_SK_E_clISD_PjSD_S10_EESH_SX_SI_SJ_SK_EUlSX_E0_NS1_11comp_targetILNS1_3genE3ELNS1_11target_archE908ELNS1_3gpuE7ELNS1_3repE0EEENS1_38merge_mergepath_config_static_selectorELNS0_4arch9wavefront6targetE1EEEvSJ_.kd
    .uniform_work_group_size: 1
    .uses_dynamic_stack: false
    .vgpr_count:     0
    .vgpr_spill_count: 0
    .wavefront_size: 64
  - .agpr_count:     0
    .args:
      - .offset:         0
        .size:           64
        .value_kind:     by_value
    .group_segment_fixed_size: 0
    .kernarg_segment_align: 8
    .kernarg_segment_size: 64
    .language:       OpenCL C
    .language_version:
      - 2
      - 0
    .max_flat_workgroup_size: 256
    .name:           _ZN7rocprim17ROCPRIM_400000_NS6detail17trampoline_kernelINS0_14default_configENS1_38merge_sort_block_merge_config_selectorIjjEEZZNS1_27merge_sort_block_merge_implIS3_N6thrust23THRUST_200600_302600_NS6detail15normal_iteratorINS8_10device_ptrIjEEEESD_jNS1_19radix_merge_compareILb0ELb1EjNS0_19identity_decomposerEEEEE10hipError_tT0_T1_T2_jT3_P12ihipStream_tbPNSt15iterator_traitsISI_E10value_typeEPNSO_ISJ_E10value_typeEPSK_NS1_7vsmem_tEENKUlT_SI_SJ_SK_E_clISD_PjSD_S10_EESH_SX_SI_SJ_SK_EUlSX_E0_NS1_11comp_targetILNS1_3genE2ELNS1_11target_archE906ELNS1_3gpuE6ELNS1_3repE0EEENS1_38merge_mergepath_config_static_selectorELNS0_4arch9wavefront6targetE1EEEvSJ_
    .private_segment_fixed_size: 0
    .sgpr_count:     6
    .sgpr_spill_count: 0
    .symbol:         _ZN7rocprim17ROCPRIM_400000_NS6detail17trampoline_kernelINS0_14default_configENS1_38merge_sort_block_merge_config_selectorIjjEEZZNS1_27merge_sort_block_merge_implIS3_N6thrust23THRUST_200600_302600_NS6detail15normal_iteratorINS8_10device_ptrIjEEEESD_jNS1_19radix_merge_compareILb0ELb1EjNS0_19identity_decomposerEEEEE10hipError_tT0_T1_T2_jT3_P12ihipStream_tbPNSt15iterator_traitsISI_E10value_typeEPNSO_ISJ_E10value_typeEPSK_NS1_7vsmem_tEENKUlT_SI_SJ_SK_E_clISD_PjSD_S10_EESH_SX_SI_SJ_SK_EUlSX_E0_NS1_11comp_targetILNS1_3genE2ELNS1_11target_archE906ELNS1_3gpuE6ELNS1_3repE0EEENS1_38merge_mergepath_config_static_selectorELNS0_4arch9wavefront6targetE1EEEvSJ_.kd
    .uniform_work_group_size: 1
    .uses_dynamic_stack: false
    .vgpr_count:     0
    .vgpr_spill_count: 0
    .wavefront_size: 64
  - .agpr_count:     0
    .args:
      - .offset:         0
        .size:           64
        .value_kind:     by_value
    .group_segment_fixed_size: 0
    .kernarg_segment_align: 8
    .kernarg_segment_size: 64
    .language:       OpenCL C
    .language_version:
      - 2
      - 0
    .max_flat_workgroup_size: 512
    .name:           _ZN7rocprim17ROCPRIM_400000_NS6detail17trampoline_kernelINS0_14default_configENS1_38merge_sort_block_merge_config_selectorIjjEEZZNS1_27merge_sort_block_merge_implIS3_N6thrust23THRUST_200600_302600_NS6detail15normal_iteratorINS8_10device_ptrIjEEEESD_jNS1_19radix_merge_compareILb0ELb1EjNS0_19identity_decomposerEEEEE10hipError_tT0_T1_T2_jT3_P12ihipStream_tbPNSt15iterator_traitsISI_E10value_typeEPNSO_ISJ_E10value_typeEPSK_NS1_7vsmem_tEENKUlT_SI_SJ_SK_E_clISD_PjSD_S10_EESH_SX_SI_SJ_SK_EUlSX_E0_NS1_11comp_targetILNS1_3genE9ELNS1_11target_archE1100ELNS1_3gpuE3ELNS1_3repE0EEENS1_38merge_mergepath_config_static_selectorELNS0_4arch9wavefront6targetE1EEEvSJ_
    .private_segment_fixed_size: 0
    .sgpr_count:     6
    .sgpr_spill_count: 0
    .symbol:         _ZN7rocprim17ROCPRIM_400000_NS6detail17trampoline_kernelINS0_14default_configENS1_38merge_sort_block_merge_config_selectorIjjEEZZNS1_27merge_sort_block_merge_implIS3_N6thrust23THRUST_200600_302600_NS6detail15normal_iteratorINS8_10device_ptrIjEEEESD_jNS1_19radix_merge_compareILb0ELb1EjNS0_19identity_decomposerEEEEE10hipError_tT0_T1_T2_jT3_P12ihipStream_tbPNSt15iterator_traitsISI_E10value_typeEPNSO_ISJ_E10value_typeEPSK_NS1_7vsmem_tEENKUlT_SI_SJ_SK_E_clISD_PjSD_S10_EESH_SX_SI_SJ_SK_EUlSX_E0_NS1_11comp_targetILNS1_3genE9ELNS1_11target_archE1100ELNS1_3gpuE3ELNS1_3repE0EEENS1_38merge_mergepath_config_static_selectorELNS0_4arch9wavefront6targetE1EEEvSJ_.kd
    .uniform_work_group_size: 1
    .uses_dynamic_stack: false
    .vgpr_count:     0
    .vgpr_spill_count: 0
    .wavefront_size: 64
  - .agpr_count:     0
    .args:
      - .offset:         0
        .size:           64
        .value_kind:     by_value
    .group_segment_fixed_size: 0
    .kernarg_segment_align: 8
    .kernarg_segment_size: 64
    .language:       OpenCL C
    .language_version:
      - 2
      - 0
    .max_flat_workgroup_size: 1024
    .name:           _ZN7rocprim17ROCPRIM_400000_NS6detail17trampoline_kernelINS0_14default_configENS1_38merge_sort_block_merge_config_selectorIjjEEZZNS1_27merge_sort_block_merge_implIS3_N6thrust23THRUST_200600_302600_NS6detail15normal_iteratorINS8_10device_ptrIjEEEESD_jNS1_19radix_merge_compareILb0ELb1EjNS0_19identity_decomposerEEEEE10hipError_tT0_T1_T2_jT3_P12ihipStream_tbPNSt15iterator_traitsISI_E10value_typeEPNSO_ISJ_E10value_typeEPSK_NS1_7vsmem_tEENKUlT_SI_SJ_SK_E_clISD_PjSD_S10_EESH_SX_SI_SJ_SK_EUlSX_E0_NS1_11comp_targetILNS1_3genE8ELNS1_11target_archE1030ELNS1_3gpuE2ELNS1_3repE0EEENS1_38merge_mergepath_config_static_selectorELNS0_4arch9wavefront6targetE1EEEvSJ_
    .private_segment_fixed_size: 0
    .sgpr_count:     6
    .sgpr_spill_count: 0
    .symbol:         _ZN7rocprim17ROCPRIM_400000_NS6detail17trampoline_kernelINS0_14default_configENS1_38merge_sort_block_merge_config_selectorIjjEEZZNS1_27merge_sort_block_merge_implIS3_N6thrust23THRUST_200600_302600_NS6detail15normal_iteratorINS8_10device_ptrIjEEEESD_jNS1_19radix_merge_compareILb0ELb1EjNS0_19identity_decomposerEEEEE10hipError_tT0_T1_T2_jT3_P12ihipStream_tbPNSt15iterator_traitsISI_E10value_typeEPNSO_ISJ_E10value_typeEPSK_NS1_7vsmem_tEENKUlT_SI_SJ_SK_E_clISD_PjSD_S10_EESH_SX_SI_SJ_SK_EUlSX_E0_NS1_11comp_targetILNS1_3genE8ELNS1_11target_archE1030ELNS1_3gpuE2ELNS1_3repE0EEENS1_38merge_mergepath_config_static_selectorELNS0_4arch9wavefront6targetE1EEEvSJ_.kd
    .uniform_work_group_size: 1
    .uses_dynamic_stack: false
    .vgpr_count:     0
    .vgpr_spill_count: 0
    .wavefront_size: 64
  - .agpr_count:     0
    .args:
      - .offset:         0
        .size:           48
        .value_kind:     by_value
    .group_segment_fixed_size: 0
    .kernarg_segment_align: 8
    .kernarg_segment_size: 48
    .language:       OpenCL C
    .language_version:
      - 2
      - 0
    .max_flat_workgroup_size: 256
    .name:           _ZN7rocprim17ROCPRIM_400000_NS6detail17trampoline_kernelINS0_14default_configENS1_38merge_sort_block_merge_config_selectorIjjEEZZNS1_27merge_sort_block_merge_implIS3_N6thrust23THRUST_200600_302600_NS6detail15normal_iteratorINS8_10device_ptrIjEEEESD_jNS1_19radix_merge_compareILb0ELb1EjNS0_19identity_decomposerEEEEE10hipError_tT0_T1_T2_jT3_P12ihipStream_tbPNSt15iterator_traitsISI_E10value_typeEPNSO_ISJ_E10value_typeEPSK_NS1_7vsmem_tEENKUlT_SI_SJ_SK_E_clISD_PjSD_S10_EESH_SX_SI_SJ_SK_EUlSX_E1_NS1_11comp_targetILNS1_3genE0ELNS1_11target_archE4294967295ELNS1_3gpuE0ELNS1_3repE0EEENS1_36merge_oddeven_config_static_selectorELNS0_4arch9wavefront6targetE1EEEvSJ_
    .private_segment_fixed_size: 0
    .sgpr_count:     30
    .sgpr_spill_count: 0
    .symbol:         _ZN7rocprim17ROCPRIM_400000_NS6detail17trampoline_kernelINS0_14default_configENS1_38merge_sort_block_merge_config_selectorIjjEEZZNS1_27merge_sort_block_merge_implIS3_N6thrust23THRUST_200600_302600_NS6detail15normal_iteratorINS8_10device_ptrIjEEEESD_jNS1_19radix_merge_compareILb0ELb1EjNS0_19identity_decomposerEEEEE10hipError_tT0_T1_T2_jT3_P12ihipStream_tbPNSt15iterator_traitsISI_E10value_typeEPNSO_ISJ_E10value_typeEPSK_NS1_7vsmem_tEENKUlT_SI_SJ_SK_E_clISD_PjSD_S10_EESH_SX_SI_SJ_SK_EUlSX_E1_NS1_11comp_targetILNS1_3genE0ELNS1_11target_archE4294967295ELNS1_3gpuE0ELNS1_3repE0EEENS1_36merge_oddeven_config_static_selectorELNS0_4arch9wavefront6targetE1EEEvSJ_.kd
    .uniform_work_group_size: 1
    .uses_dynamic_stack: false
    .vgpr_count:     11
    .vgpr_spill_count: 0
    .wavefront_size: 64
  - .agpr_count:     0
    .args:
      - .offset:         0
        .size:           48
        .value_kind:     by_value
    .group_segment_fixed_size: 0
    .kernarg_segment_align: 8
    .kernarg_segment_size: 48
    .language:       OpenCL C
    .language_version:
      - 2
      - 0
    .max_flat_workgroup_size: 256
    .name:           _ZN7rocprim17ROCPRIM_400000_NS6detail17trampoline_kernelINS0_14default_configENS1_38merge_sort_block_merge_config_selectorIjjEEZZNS1_27merge_sort_block_merge_implIS3_N6thrust23THRUST_200600_302600_NS6detail15normal_iteratorINS8_10device_ptrIjEEEESD_jNS1_19radix_merge_compareILb0ELb1EjNS0_19identity_decomposerEEEEE10hipError_tT0_T1_T2_jT3_P12ihipStream_tbPNSt15iterator_traitsISI_E10value_typeEPNSO_ISJ_E10value_typeEPSK_NS1_7vsmem_tEENKUlT_SI_SJ_SK_E_clISD_PjSD_S10_EESH_SX_SI_SJ_SK_EUlSX_E1_NS1_11comp_targetILNS1_3genE10ELNS1_11target_archE1201ELNS1_3gpuE5ELNS1_3repE0EEENS1_36merge_oddeven_config_static_selectorELNS0_4arch9wavefront6targetE1EEEvSJ_
    .private_segment_fixed_size: 0
    .sgpr_count:     6
    .sgpr_spill_count: 0
    .symbol:         _ZN7rocprim17ROCPRIM_400000_NS6detail17trampoline_kernelINS0_14default_configENS1_38merge_sort_block_merge_config_selectorIjjEEZZNS1_27merge_sort_block_merge_implIS3_N6thrust23THRUST_200600_302600_NS6detail15normal_iteratorINS8_10device_ptrIjEEEESD_jNS1_19radix_merge_compareILb0ELb1EjNS0_19identity_decomposerEEEEE10hipError_tT0_T1_T2_jT3_P12ihipStream_tbPNSt15iterator_traitsISI_E10value_typeEPNSO_ISJ_E10value_typeEPSK_NS1_7vsmem_tEENKUlT_SI_SJ_SK_E_clISD_PjSD_S10_EESH_SX_SI_SJ_SK_EUlSX_E1_NS1_11comp_targetILNS1_3genE10ELNS1_11target_archE1201ELNS1_3gpuE5ELNS1_3repE0EEENS1_36merge_oddeven_config_static_selectorELNS0_4arch9wavefront6targetE1EEEvSJ_.kd
    .uniform_work_group_size: 1
    .uses_dynamic_stack: false
    .vgpr_count:     0
    .vgpr_spill_count: 0
    .wavefront_size: 64
  - .agpr_count:     0
    .args:
      - .offset:         0
        .size:           48
        .value_kind:     by_value
    .group_segment_fixed_size: 0
    .kernarg_segment_align: 8
    .kernarg_segment_size: 48
    .language:       OpenCL C
    .language_version:
      - 2
      - 0
    .max_flat_workgroup_size: 256
    .name:           _ZN7rocprim17ROCPRIM_400000_NS6detail17trampoline_kernelINS0_14default_configENS1_38merge_sort_block_merge_config_selectorIjjEEZZNS1_27merge_sort_block_merge_implIS3_N6thrust23THRUST_200600_302600_NS6detail15normal_iteratorINS8_10device_ptrIjEEEESD_jNS1_19radix_merge_compareILb0ELb1EjNS0_19identity_decomposerEEEEE10hipError_tT0_T1_T2_jT3_P12ihipStream_tbPNSt15iterator_traitsISI_E10value_typeEPNSO_ISJ_E10value_typeEPSK_NS1_7vsmem_tEENKUlT_SI_SJ_SK_E_clISD_PjSD_S10_EESH_SX_SI_SJ_SK_EUlSX_E1_NS1_11comp_targetILNS1_3genE5ELNS1_11target_archE942ELNS1_3gpuE9ELNS1_3repE0EEENS1_36merge_oddeven_config_static_selectorELNS0_4arch9wavefront6targetE1EEEvSJ_
    .private_segment_fixed_size: 0
    .sgpr_count:     6
    .sgpr_spill_count: 0
    .symbol:         _ZN7rocprim17ROCPRIM_400000_NS6detail17trampoline_kernelINS0_14default_configENS1_38merge_sort_block_merge_config_selectorIjjEEZZNS1_27merge_sort_block_merge_implIS3_N6thrust23THRUST_200600_302600_NS6detail15normal_iteratorINS8_10device_ptrIjEEEESD_jNS1_19radix_merge_compareILb0ELb1EjNS0_19identity_decomposerEEEEE10hipError_tT0_T1_T2_jT3_P12ihipStream_tbPNSt15iterator_traitsISI_E10value_typeEPNSO_ISJ_E10value_typeEPSK_NS1_7vsmem_tEENKUlT_SI_SJ_SK_E_clISD_PjSD_S10_EESH_SX_SI_SJ_SK_EUlSX_E1_NS1_11comp_targetILNS1_3genE5ELNS1_11target_archE942ELNS1_3gpuE9ELNS1_3repE0EEENS1_36merge_oddeven_config_static_selectorELNS0_4arch9wavefront6targetE1EEEvSJ_.kd
    .uniform_work_group_size: 1
    .uses_dynamic_stack: false
    .vgpr_count:     0
    .vgpr_spill_count: 0
    .wavefront_size: 64
  - .agpr_count:     0
    .args:
      - .offset:         0
        .size:           48
        .value_kind:     by_value
    .group_segment_fixed_size: 0
    .kernarg_segment_align: 8
    .kernarg_segment_size: 48
    .language:       OpenCL C
    .language_version:
      - 2
      - 0
    .max_flat_workgroup_size: 256
    .name:           _ZN7rocprim17ROCPRIM_400000_NS6detail17trampoline_kernelINS0_14default_configENS1_38merge_sort_block_merge_config_selectorIjjEEZZNS1_27merge_sort_block_merge_implIS3_N6thrust23THRUST_200600_302600_NS6detail15normal_iteratorINS8_10device_ptrIjEEEESD_jNS1_19radix_merge_compareILb0ELb1EjNS0_19identity_decomposerEEEEE10hipError_tT0_T1_T2_jT3_P12ihipStream_tbPNSt15iterator_traitsISI_E10value_typeEPNSO_ISJ_E10value_typeEPSK_NS1_7vsmem_tEENKUlT_SI_SJ_SK_E_clISD_PjSD_S10_EESH_SX_SI_SJ_SK_EUlSX_E1_NS1_11comp_targetILNS1_3genE4ELNS1_11target_archE910ELNS1_3gpuE8ELNS1_3repE0EEENS1_36merge_oddeven_config_static_selectorELNS0_4arch9wavefront6targetE1EEEvSJ_
    .private_segment_fixed_size: 0
    .sgpr_count:     6
    .sgpr_spill_count: 0
    .symbol:         _ZN7rocprim17ROCPRIM_400000_NS6detail17trampoline_kernelINS0_14default_configENS1_38merge_sort_block_merge_config_selectorIjjEEZZNS1_27merge_sort_block_merge_implIS3_N6thrust23THRUST_200600_302600_NS6detail15normal_iteratorINS8_10device_ptrIjEEEESD_jNS1_19radix_merge_compareILb0ELb1EjNS0_19identity_decomposerEEEEE10hipError_tT0_T1_T2_jT3_P12ihipStream_tbPNSt15iterator_traitsISI_E10value_typeEPNSO_ISJ_E10value_typeEPSK_NS1_7vsmem_tEENKUlT_SI_SJ_SK_E_clISD_PjSD_S10_EESH_SX_SI_SJ_SK_EUlSX_E1_NS1_11comp_targetILNS1_3genE4ELNS1_11target_archE910ELNS1_3gpuE8ELNS1_3repE0EEENS1_36merge_oddeven_config_static_selectorELNS0_4arch9wavefront6targetE1EEEvSJ_.kd
    .uniform_work_group_size: 1
    .uses_dynamic_stack: false
    .vgpr_count:     0
    .vgpr_spill_count: 0
    .wavefront_size: 64
  - .agpr_count:     0
    .args:
      - .offset:         0
        .size:           48
        .value_kind:     by_value
    .group_segment_fixed_size: 0
    .kernarg_segment_align: 8
    .kernarg_segment_size: 48
    .language:       OpenCL C
    .language_version:
      - 2
      - 0
    .max_flat_workgroup_size: 256
    .name:           _ZN7rocprim17ROCPRIM_400000_NS6detail17trampoline_kernelINS0_14default_configENS1_38merge_sort_block_merge_config_selectorIjjEEZZNS1_27merge_sort_block_merge_implIS3_N6thrust23THRUST_200600_302600_NS6detail15normal_iteratorINS8_10device_ptrIjEEEESD_jNS1_19radix_merge_compareILb0ELb1EjNS0_19identity_decomposerEEEEE10hipError_tT0_T1_T2_jT3_P12ihipStream_tbPNSt15iterator_traitsISI_E10value_typeEPNSO_ISJ_E10value_typeEPSK_NS1_7vsmem_tEENKUlT_SI_SJ_SK_E_clISD_PjSD_S10_EESH_SX_SI_SJ_SK_EUlSX_E1_NS1_11comp_targetILNS1_3genE3ELNS1_11target_archE908ELNS1_3gpuE7ELNS1_3repE0EEENS1_36merge_oddeven_config_static_selectorELNS0_4arch9wavefront6targetE1EEEvSJ_
    .private_segment_fixed_size: 0
    .sgpr_count:     6
    .sgpr_spill_count: 0
    .symbol:         _ZN7rocprim17ROCPRIM_400000_NS6detail17trampoline_kernelINS0_14default_configENS1_38merge_sort_block_merge_config_selectorIjjEEZZNS1_27merge_sort_block_merge_implIS3_N6thrust23THRUST_200600_302600_NS6detail15normal_iteratorINS8_10device_ptrIjEEEESD_jNS1_19radix_merge_compareILb0ELb1EjNS0_19identity_decomposerEEEEE10hipError_tT0_T1_T2_jT3_P12ihipStream_tbPNSt15iterator_traitsISI_E10value_typeEPNSO_ISJ_E10value_typeEPSK_NS1_7vsmem_tEENKUlT_SI_SJ_SK_E_clISD_PjSD_S10_EESH_SX_SI_SJ_SK_EUlSX_E1_NS1_11comp_targetILNS1_3genE3ELNS1_11target_archE908ELNS1_3gpuE7ELNS1_3repE0EEENS1_36merge_oddeven_config_static_selectorELNS0_4arch9wavefront6targetE1EEEvSJ_.kd
    .uniform_work_group_size: 1
    .uses_dynamic_stack: false
    .vgpr_count:     0
    .vgpr_spill_count: 0
    .wavefront_size: 64
  - .agpr_count:     0
    .args:
      - .offset:         0
        .size:           48
        .value_kind:     by_value
    .group_segment_fixed_size: 0
    .kernarg_segment_align: 8
    .kernarg_segment_size: 48
    .language:       OpenCL C
    .language_version:
      - 2
      - 0
    .max_flat_workgroup_size: 256
    .name:           _ZN7rocprim17ROCPRIM_400000_NS6detail17trampoline_kernelINS0_14default_configENS1_38merge_sort_block_merge_config_selectorIjjEEZZNS1_27merge_sort_block_merge_implIS3_N6thrust23THRUST_200600_302600_NS6detail15normal_iteratorINS8_10device_ptrIjEEEESD_jNS1_19radix_merge_compareILb0ELb1EjNS0_19identity_decomposerEEEEE10hipError_tT0_T1_T2_jT3_P12ihipStream_tbPNSt15iterator_traitsISI_E10value_typeEPNSO_ISJ_E10value_typeEPSK_NS1_7vsmem_tEENKUlT_SI_SJ_SK_E_clISD_PjSD_S10_EESH_SX_SI_SJ_SK_EUlSX_E1_NS1_11comp_targetILNS1_3genE2ELNS1_11target_archE906ELNS1_3gpuE6ELNS1_3repE0EEENS1_36merge_oddeven_config_static_selectorELNS0_4arch9wavefront6targetE1EEEvSJ_
    .private_segment_fixed_size: 0
    .sgpr_count:     6
    .sgpr_spill_count: 0
    .symbol:         _ZN7rocprim17ROCPRIM_400000_NS6detail17trampoline_kernelINS0_14default_configENS1_38merge_sort_block_merge_config_selectorIjjEEZZNS1_27merge_sort_block_merge_implIS3_N6thrust23THRUST_200600_302600_NS6detail15normal_iteratorINS8_10device_ptrIjEEEESD_jNS1_19radix_merge_compareILb0ELb1EjNS0_19identity_decomposerEEEEE10hipError_tT0_T1_T2_jT3_P12ihipStream_tbPNSt15iterator_traitsISI_E10value_typeEPNSO_ISJ_E10value_typeEPSK_NS1_7vsmem_tEENKUlT_SI_SJ_SK_E_clISD_PjSD_S10_EESH_SX_SI_SJ_SK_EUlSX_E1_NS1_11comp_targetILNS1_3genE2ELNS1_11target_archE906ELNS1_3gpuE6ELNS1_3repE0EEENS1_36merge_oddeven_config_static_selectorELNS0_4arch9wavefront6targetE1EEEvSJ_.kd
    .uniform_work_group_size: 1
    .uses_dynamic_stack: false
    .vgpr_count:     0
    .vgpr_spill_count: 0
    .wavefront_size: 64
  - .agpr_count:     0
    .args:
      - .offset:         0
        .size:           48
        .value_kind:     by_value
    .group_segment_fixed_size: 0
    .kernarg_segment_align: 8
    .kernarg_segment_size: 48
    .language:       OpenCL C
    .language_version:
      - 2
      - 0
    .max_flat_workgroup_size: 256
    .name:           _ZN7rocprim17ROCPRIM_400000_NS6detail17trampoline_kernelINS0_14default_configENS1_38merge_sort_block_merge_config_selectorIjjEEZZNS1_27merge_sort_block_merge_implIS3_N6thrust23THRUST_200600_302600_NS6detail15normal_iteratorINS8_10device_ptrIjEEEESD_jNS1_19radix_merge_compareILb0ELb1EjNS0_19identity_decomposerEEEEE10hipError_tT0_T1_T2_jT3_P12ihipStream_tbPNSt15iterator_traitsISI_E10value_typeEPNSO_ISJ_E10value_typeEPSK_NS1_7vsmem_tEENKUlT_SI_SJ_SK_E_clISD_PjSD_S10_EESH_SX_SI_SJ_SK_EUlSX_E1_NS1_11comp_targetILNS1_3genE9ELNS1_11target_archE1100ELNS1_3gpuE3ELNS1_3repE0EEENS1_36merge_oddeven_config_static_selectorELNS0_4arch9wavefront6targetE1EEEvSJ_
    .private_segment_fixed_size: 0
    .sgpr_count:     6
    .sgpr_spill_count: 0
    .symbol:         _ZN7rocprim17ROCPRIM_400000_NS6detail17trampoline_kernelINS0_14default_configENS1_38merge_sort_block_merge_config_selectorIjjEEZZNS1_27merge_sort_block_merge_implIS3_N6thrust23THRUST_200600_302600_NS6detail15normal_iteratorINS8_10device_ptrIjEEEESD_jNS1_19radix_merge_compareILb0ELb1EjNS0_19identity_decomposerEEEEE10hipError_tT0_T1_T2_jT3_P12ihipStream_tbPNSt15iterator_traitsISI_E10value_typeEPNSO_ISJ_E10value_typeEPSK_NS1_7vsmem_tEENKUlT_SI_SJ_SK_E_clISD_PjSD_S10_EESH_SX_SI_SJ_SK_EUlSX_E1_NS1_11comp_targetILNS1_3genE9ELNS1_11target_archE1100ELNS1_3gpuE3ELNS1_3repE0EEENS1_36merge_oddeven_config_static_selectorELNS0_4arch9wavefront6targetE1EEEvSJ_.kd
    .uniform_work_group_size: 1
    .uses_dynamic_stack: false
    .vgpr_count:     0
    .vgpr_spill_count: 0
    .wavefront_size: 64
  - .agpr_count:     0
    .args:
      - .offset:         0
        .size:           48
        .value_kind:     by_value
    .group_segment_fixed_size: 0
    .kernarg_segment_align: 8
    .kernarg_segment_size: 48
    .language:       OpenCL C
    .language_version:
      - 2
      - 0
    .max_flat_workgroup_size: 256
    .name:           _ZN7rocprim17ROCPRIM_400000_NS6detail17trampoline_kernelINS0_14default_configENS1_38merge_sort_block_merge_config_selectorIjjEEZZNS1_27merge_sort_block_merge_implIS3_N6thrust23THRUST_200600_302600_NS6detail15normal_iteratorINS8_10device_ptrIjEEEESD_jNS1_19radix_merge_compareILb0ELb1EjNS0_19identity_decomposerEEEEE10hipError_tT0_T1_T2_jT3_P12ihipStream_tbPNSt15iterator_traitsISI_E10value_typeEPNSO_ISJ_E10value_typeEPSK_NS1_7vsmem_tEENKUlT_SI_SJ_SK_E_clISD_PjSD_S10_EESH_SX_SI_SJ_SK_EUlSX_E1_NS1_11comp_targetILNS1_3genE8ELNS1_11target_archE1030ELNS1_3gpuE2ELNS1_3repE0EEENS1_36merge_oddeven_config_static_selectorELNS0_4arch9wavefront6targetE1EEEvSJ_
    .private_segment_fixed_size: 0
    .sgpr_count:     6
    .sgpr_spill_count: 0
    .symbol:         _ZN7rocprim17ROCPRIM_400000_NS6detail17trampoline_kernelINS0_14default_configENS1_38merge_sort_block_merge_config_selectorIjjEEZZNS1_27merge_sort_block_merge_implIS3_N6thrust23THRUST_200600_302600_NS6detail15normal_iteratorINS8_10device_ptrIjEEEESD_jNS1_19radix_merge_compareILb0ELb1EjNS0_19identity_decomposerEEEEE10hipError_tT0_T1_T2_jT3_P12ihipStream_tbPNSt15iterator_traitsISI_E10value_typeEPNSO_ISJ_E10value_typeEPSK_NS1_7vsmem_tEENKUlT_SI_SJ_SK_E_clISD_PjSD_S10_EESH_SX_SI_SJ_SK_EUlSX_E1_NS1_11comp_targetILNS1_3genE8ELNS1_11target_archE1030ELNS1_3gpuE2ELNS1_3repE0EEENS1_36merge_oddeven_config_static_selectorELNS0_4arch9wavefront6targetE1EEEvSJ_.kd
    .uniform_work_group_size: 1
    .uses_dynamic_stack: false
    .vgpr_count:     0
    .vgpr_spill_count: 0
    .wavefront_size: 64
  - .agpr_count:     0
    .args:
      - .offset:         0
        .size:           40
        .value_kind:     by_value
    .group_segment_fixed_size: 0
    .kernarg_segment_align: 8
    .kernarg_segment_size: 40
    .language:       OpenCL C
    .language_version:
      - 2
      - 0
    .max_flat_workgroup_size: 256
    .name:           _ZN7rocprim17ROCPRIM_400000_NS6detail17trampoline_kernelINS0_14default_configENS1_35radix_sort_onesweep_config_selectorIjjEEZNS1_34radix_sort_onesweep_global_offsetsIS3_Lb0EN6thrust23THRUST_200600_302600_NS6detail15normal_iteratorINS8_10device_ptrIjEEEESD_jNS0_19identity_decomposerEEE10hipError_tT1_T2_PT3_SI_jT4_jjP12ihipStream_tbEUlT_E_NS1_11comp_targetILNS1_3genE0ELNS1_11target_archE4294967295ELNS1_3gpuE0ELNS1_3repE0EEENS1_52radix_sort_onesweep_histogram_config_static_selectorELNS0_4arch9wavefront6targetE1EEEvSG_
    .private_segment_fixed_size: 0
    .sgpr_count:     6
    .sgpr_spill_count: 0
    .symbol:         _ZN7rocprim17ROCPRIM_400000_NS6detail17trampoline_kernelINS0_14default_configENS1_35radix_sort_onesweep_config_selectorIjjEEZNS1_34radix_sort_onesweep_global_offsetsIS3_Lb0EN6thrust23THRUST_200600_302600_NS6detail15normal_iteratorINS8_10device_ptrIjEEEESD_jNS0_19identity_decomposerEEE10hipError_tT1_T2_PT3_SI_jT4_jjP12ihipStream_tbEUlT_E_NS1_11comp_targetILNS1_3genE0ELNS1_11target_archE4294967295ELNS1_3gpuE0ELNS1_3repE0EEENS1_52radix_sort_onesweep_histogram_config_static_selectorELNS0_4arch9wavefront6targetE1EEEvSG_.kd
    .uniform_work_group_size: 1
    .uses_dynamic_stack: false
    .vgpr_count:     0
    .vgpr_spill_count: 0
    .wavefront_size: 64
  - .agpr_count:     0
    .args:
      - .offset:         0
        .size:           40
        .value_kind:     by_value
    .group_segment_fixed_size: 16384
    .kernarg_segment_align: 8
    .kernarg_segment_size: 40
    .language:       OpenCL C
    .language_version:
      - 2
      - 0
    .max_flat_workgroup_size: 1024
    .name:           _ZN7rocprim17ROCPRIM_400000_NS6detail17trampoline_kernelINS0_14default_configENS1_35radix_sort_onesweep_config_selectorIjjEEZNS1_34radix_sort_onesweep_global_offsetsIS3_Lb0EN6thrust23THRUST_200600_302600_NS6detail15normal_iteratorINS8_10device_ptrIjEEEESD_jNS0_19identity_decomposerEEE10hipError_tT1_T2_PT3_SI_jT4_jjP12ihipStream_tbEUlT_E_NS1_11comp_targetILNS1_3genE6ELNS1_11target_archE950ELNS1_3gpuE13ELNS1_3repE0EEENS1_52radix_sort_onesweep_histogram_config_static_selectorELNS0_4arch9wavefront6targetE1EEEvSG_
    .private_segment_fixed_size: 0
    .sgpr_count:     25
    .sgpr_spill_count: 0
    .symbol:         _ZN7rocprim17ROCPRIM_400000_NS6detail17trampoline_kernelINS0_14default_configENS1_35radix_sort_onesweep_config_selectorIjjEEZNS1_34radix_sort_onesweep_global_offsetsIS3_Lb0EN6thrust23THRUST_200600_302600_NS6detail15normal_iteratorINS8_10device_ptrIjEEEESD_jNS0_19identity_decomposerEEE10hipError_tT1_T2_PT3_SI_jT4_jjP12ihipStream_tbEUlT_E_NS1_11comp_targetILNS1_3genE6ELNS1_11target_archE950ELNS1_3gpuE13ELNS1_3repE0EEENS1_52radix_sort_onesweep_histogram_config_static_selectorELNS0_4arch9wavefront6targetE1EEEvSG_.kd
    .uniform_work_group_size: 1
    .uses_dynamic_stack: false
    .vgpr_count:     36
    .vgpr_spill_count: 0
    .wavefront_size: 64
  - .agpr_count:     0
    .args:
      - .offset:         0
        .size:           40
        .value_kind:     by_value
    .group_segment_fixed_size: 0
    .kernarg_segment_align: 8
    .kernarg_segment_size: 40
    .language:       OpenCL C
    .language_version:
      - 2
      - 0
    .max_flat_workgroup_size: 1024
    .name:           _ZN7rocprim17ROCPRIM_400000_NS6detail17trampoline_kernelINS0_14default_configENS1_35radix_sort_onesweep_config_selectorIjjEEZNS1_34radix_sort_onesweep_global_offsetsIS3_Lb0EN6thrust23THRUST_200600_302600_NS6detail15normal_iteratorINS8_10device_ptrIjEEEESD_jNS0_19identity_decomposerEEE10hipError_tT1_T2_PT3_SI_jT4_jjP12ihipStream_tbEUlT_E_NS1_11comp_targetILNS1_3genE5ELNS1_11target_archE942ELNS1_3gpuE9ELNS1_3repE0EEENS1_52radix_sort_onesweep_histogram_config_static_selectorELNS0_4arch9wavefront6targetE1EEEvSG_
    .private_segment_fixed_size: 0
    .sgpr_count:     6
    .sgpr_spill_count: 0
    .symbol:         _ZN7rocprim17ROCPRIM_400000_NS6detail17trampoline_kernelINS0_14default_configENS1_35radix_sort_onesweep_config_selectorIjjEEZNS1_34radix_sort_onesweep_global_offsetsIS3_Lb0EN6thrust23THRUST_200600_302600_NS6detail15normal_iteratorINS8_10device_ptrIjEEEESD_jNS0_19identity_decomposerEEE10hipError_tT1_T2_PT3_SI_jT4_jjP12ihipStream_tbEUlT_E_NS1_11comp_targetILNS1_3genE5ELNS1_11target_archE942ELNS1_3gpuE9ELNS1_3repE0EEENS1_52radix_sort_onesweep_histogram_config_static_selectorELNS0_4arch9wavefront6targetE1EEEvSG_.kd
    .uniform_work_group_size: 1
    .uses_dynamic_stack: false
    .vgpr_count:     0
    .vgpr_spill_count: 0
    .wavefront_size: 64
  - .agpr_count:     0
    .args:
      - .offset:         0
        .size:           40
        .value_kind:     by_value
    .group_segment_fixed_size: 0
    .kernarg_segment_align: 8
    .kernarg_segment_size: 40
    .language:       OpenCL C
    .language_version:
      - 2
      - 0
    .max_flat_workgroup_size: 512
    .name:           _ZN7rocprim17ROCPRIM_400000_NS6detail17trampoline_kernelINS0_14default_configENS1_35radix_sort_onesweep_config_selectorIjjEEZNS1_34radix_sort_onesweep_global_offsetsIS3_Lb0EN6thrust23THRUST_200600_302600_NS6detail15normal_iteratorINS8_10device_ptrIjEEEESD_jNS0_19identity_decomposerEEE10hipError_tT1_T2_PT3_SI_jT4_jjP12ihipStream_tbEUlT_E_NS1_11comp_targetILNS1_3genE2ELNS1_11target_archE906ELNS1_3gpuE6ELNS1_3repE0EEENS1_52radix_sort_onesweep_histogram_config_static_selectorELNS0_4arch9wavefront6targetE1EEEvSG_
    .private_segment_fixed_size: 0
    .sgpr_count:     6
    .sgpr_spill_count: 0
    .symbol:         _ZN7rocprim17ROCPRIM_400000_NS6detail17trampoline_kernelINS0_14default_configENS1_35radix_sort_onesweep_config_selectorIjjEEZNS1_34radix_sort_onesweep_global_offsetsIS3_Lb0EN6thrust23THRUST_200600_302600_NS6detail15normal_iteratorINS8_10device_ptrIjEEEESD_jNS0_19identity_decomposerEEE10hipError_tT1_T2_PT3_SI_jT4_jjP12ihipStream_tbEUlT_E_NS1_11comp_targetILNS1_3genE2ELNS1_11target_archE906ELNS1_3gpuE6ELNS1_3repE0EEENS1_52radix_sort_onesweep_histogram_config_static_selectorELNS0_4arch9wavefront6targetE1EEEvSG_.kd
    .uniform_work_group_size: 1
    .uses_dynamic_stack: false
    .vgpr_count:     0
    .vgpr_spill_count: 0
    .wavefront_size: 64
  - .agpr_count:     0
    .args:
      - .offset:         0
        .size:           40
        .value_kind:     by_value
    .group_segment_fixed_size: 0
    .kernarg_segment_align: 8
    .kernarg_segment_size: 40
    .language:       OpenCL C
    .language_version:
      - 2
      - 0
    .max_flat_workgroup_size: 512
    .name:           _ZN7rocprim17ROCPRIM_400000_NS6detail17trampoline_kernelINS0_14default_configENS1_35radix_sort_onesweep_config_selectorIjjEEZNS1_34radix_sort_onesweep_global_offsetsIS3_Lb0EN6thrust23THRUST_200600_302600_NS6detail15normal_iteratorINS8_10device_ptrIjEEEESD_jNS0_19identity_decomposerEEE10hipError_tT1_T2_PT3_SI_jT4_jjP12ihipStream_tbEUlT_E_NS1_11comp_targetILNS1_3genE4ELNS1_11target_archE910ELNS1_3gpuE8ELNS1_3repE0EEENS1_52radix_sort_onesweep_histogram_config_static_selectorELNS0_4arch9wavefront6targetE1EEEvSG_
    .private_segment_fixed_size: 0
    .sgpr_count:     6
    .sgpr_spill_count: 0
    .symbol:         _ZN7rocprim17ROCPRIM_400000_NS6detail17trampoline_kernelINS0_14default_configENS1_35radix_sort_onesweep_config_selectorIjjEEZNS1_34radix_sort_onesweep_global_offsetsIS3_Lb0EN6thrust23THRUST_200600_302600_NS6detail15normal_iteratorINS8_10device_ptrIjEEEESD_jNS0_19identity_decomposerEEE10hipError_tT1_T2_PT3_SI_jT4_jjP12ihipStream_tbEUlT_E_NS1_11comp_targetILNS1_3genE4ELNS1_11target_archE910ELNS1_3gpuE8ELNS1_3repE0EEENS1_52radix_sort_onesweep_histogram_config_static_selectorELNS0_4arch9wavefront6targetE1EEEvSG_.kd
    .uniform_work_group_size: 1
    .uses_dynamic_stack: false
    .vgpr_count:     0
    .vgpr_spill_count: 0
    .wavefront_size: 64
  - .agpr_count:     0
    .args:
      - .offset:         0
        .size:           40
        .value_kind:     by_value
    .group_segment_fixed_size: 0
    .kernarg_segment_align: 8
    .kernarg_segment_size: 40
    .language:       OpenCL C
    .language_version:
      - 2
      - 0
    .max_flat_workgroup_size: 256
    .name:           _ZN7rocprim17ROCPRIM_400000_NS6detail17trampoline_kernelINS0_14default_configENS1_35radix_sort_onesweep_config_selectorIjjEEZNS1_34radix_sort_onesweep_global_offsetsIS3_Lb0EN6thrust23THRUST_200600_302600_NS6detail15normal_iteratorINS8_10device_ptrIjEEEESD_jNS0_19identity_decomposerEEE10hipError_tT1_T2_PT3_SI_jT4_jjP12ihipStream_tbEUlT_E_NS1_11comp_targetILNS1_3genE3ELNS1_11target_archE908ELNS1_3gpuE7ELNS1_3repE0EEENS1_52radix_sort_onesweep_histogram_config_static_selectorELNS0_4arch9wavefront6targetE1EEEvSG_
    .private_segment_fixed_size: 0
    .sgpr_count:     6
    .sgpr_spill_count: 0
    .symbol:         _ZN7rocprim17ROCPRIM_400000_NS6detail17trampoline_kernelINS0_14default_configENS1_35radix_sort_onesweep_config_selectorIjjEEZNS1_34radix_sort_onesweep_global_offsetsIS3_Lb0EN6thrust23THRUST_200600_302600_NS6detail15normal_iteratorINS8_10device_ptrIjEEEESD_jNS0_19identity_decomposerEEE10hipError_tT1_T2_PT3_SI_jT4_jjP12ihipStream_tbEUlT_E_NS1_11comp_targetILNS1_3genE3ELNS1_11target_archE908ELNS1_3gpuE7ELNS1_3repE0EEENS1_52radix_sort_onesweep_histogram_config_static_selectorELNS0_4arch9wavefront6targetE1EEEvSG_.kd
    .uniform_work_group_size: 1
    .uses_dynamic_stack: false
    .vgpr_count:     0
    .vgpr_spill_count: 0
    .wavefront_size: 64
  - .agpr_count:     0
    .args:
      - .offset:         0
        .size:           40
        .value_kind:     by_value
    .group_segment_fixed_size: 0
    .kernarg_segment_align: 8
    .kernarg_segment_size: 40
    .language:       OpenCL C
    .language_version:
      - 2
      - 0
    .max_flat_workgroup_size: 1024
    .name:           _ZN7rocprim17ROCPRIM_400000_NS6detail17trampoline_kernelINS0_14default_configENS1_35radix_sort_onesweep_config_selectorIjjEEZNS1_34radix_sort_onesweep_global_offsetsIS3_Lb0EN6thrust23THRUST_200600_302600_NS6detail15normal_iteratorINS8_10device_ptrIjEEEESD_jNS0_19identity_decomposerEEE10hipError_tT1_T2_PT3_SI_jT4_jjP12ihipStream_tbEUlT_E_NS1_11comp_targetILNS1_3genE10ELNS1_11target_archE1201ELNS1_3gpuE5ELNS1_3repE0EEENS1_52radix_sort_onesweep_histogram_config_static_selectorELNS0_4arch9wavefront6targetE1EEEvSG_
    .private_segment_fixed_size: 0
    .sgpr_count:     6
    .sgpr_spill_count: 0
    .symbol:         _ZN7rocprim17ROCPRIM_400000_NS6detail17trampoline_kernelINS0_14default_configENS1_35radix_sort_onesweep_config_selectorIjjEEZNS1_34radix_sort_onesweep_global_offsetsIS3_Lb0EN6thrust23THRUST_200600_302600_NS6detail15normal_iteratorINS8_10device_ptrIjEEEESD_jNS0_19identity_decomposerEEE10hipError_tT1_T2_PT3_SI_jT4_jjP12ihipStream_tbEUlT_E_NS1_11comp_targetILNS1_3genE10ELNS1_11target_archE1201ELNS1_3gpuE5ELNS1_3repE0EEENS1_52radix_sort_onesweep_histogram_config_static_selectorELNS0_4arch9wavefront6targetE1EEEvSG_.kd
    .uniform_work_group_size: 1
    .uses_dynamic_stack: false
    .vgpr_count:     0
    .vgpr_spill_count: 0
    .wavefront_size: 64
  - .agpr_count:     0
    .args:
      - .offset:         0
        .size:           40
        .value_kind:     by_value
    .group_segment_fixed_size: 0
    .kernarg_segment_align: 8
    .kernarg_segment_size: 40
    .language:       OpenCL C
    .language_version:
      - 2
      - 0
    .max_flat_workgroup_size: 1024
    .name:           _ZN7rocprim17ROCPRIM_400000_NS6detail17trampoline_kernelINS0_14default_configENS1_35radix_sort_onesweep_config_selectorIjjEEZNS1_34radix_sort_onesweep_global_offsetsIS3_Lb0EN6thrust23THRUST_200600_302600_NS6detail15normal_iteratorINS8_10device_ptrIjEEEESD_jNS0_19identity_decomposerEEE10hipError_tT1_T2_PT3_SI_jT4_jjP12ihipStream_tbEUlT_E_NS1_11comp_targetILNS1_3genE9ELNS1_11target_archE1100ELNS1_3gpuE3ELNS1_3repE0EEENS1_52radix_sort_onesweep_histogram_config_static_selectorELNS0_4arch9wavefront6targetE1EEEvSG_
    .private_segment_fixed_size: 0
    .sgpr_count:     6
    .sgpr_spill_count: 0
    .symbol:         _ZN7rocprim17ROCPRIM_400000_NS6detail17trampoline_kernelINS0_14default_configENS1_35radix_sort_onesweep_config_selectorIjjEEZNS1_34radix_sort_onesweep_global_offsetsIS3_Lb0EN6thrust23THRUST_200600_302600_NS6detail15normal_iteratorINS8_10device_ptrIjEEEESD_jNS0_19identity_decomposerEEE10hipError_tT1_T2_PT3_SI_jT4_jjP12ihipStream_tbEUlT_E_NS1_11comp_targetILNS1_3genE9ELNS1_11target_archE1100ELNS1_3gpuE3ELNS1_3repE0EEENS1_52radix_sort_onesweep_histogram_config_static_selectorELNS0_4arch9wavefront6targetE1EEEvSG_.kd
    .uniform_work_group_size: 1
    .uses_dynamic_stack: false
    .vgpr_count:     0
    .vgpr_spill_count: 0
    .wavefront_size: 64
  - .agpr_count:     0
    .args:
      - .offset:         0
        .size:           40
        .value_kind:     by_value
    .group_segment_fixed_size: 0
    .kernarg_segment_align: 8
    .kernarg_segment_size: 40
    .language:       OpenCL C
    .language_version:
      - 2
      - 0
    .max_flat_workgroup_size: 1024
    .name:           _ZN7rocprim17ROCPRIM_400000_NS6detail17trampoline_kernelINS0_14default_configENS1_35radix_sort_onesweep_config_selectorIjjEEZNS1_34radix_sort_onesweep_global_offsetsIS3_Lb0EN6thrust23THRUST_200600_302600_NS6detail15normal_iteratorINS8_10device_ptrIjEEEESD_jNS0_19identity_decomposerEEE10hipError_tT1_T2_PT3_SI_jT4_jjP12ihipStream_tbEUlT_E_NS1_11comp_targetILNS1_3genE8ELNS1_11target_archE1030ELNS1_3gpuE2ELNS1_3repE0EEENS1_52radix_sort_onesweep_histogram_config_static_selectorELNS0_4arch9wavefront6targetE1EEEvSG_
    .private_segment_fixed_size: 0
    .sgpr_count:     6
    .sgpr_spill_count: 0
    .symbol:         _ZN7rocprim17ROCPRIM_400000_NS6detail17trampoline_kernelINS0_14default_configENS1_35radix_sort_onesweep_config_selectorIjjEEZNS1_34radix_sort_onesweep_global_offsetsIS3_Lb0EN6thrust23THRUST_200600_302600_NS6detail15normal_iteratorINS8_10device_ptrIjEEEESD_jNS0_19identity_decomposerEEE10hipError_tT1_T2_PT3_SI_jT4_jjP12ihipStream_tbEUlT_E_NS1_11comp_targetILNS1_3genE8ELNS1_11target_archE1030ELNS1_3gpuE2ELNS1_3repE0EEENS1_52radix_sort_onesweep_histogram_config_static_selectorELNS0_4arch9wavefront6targetE1EEEvSG_.kd
    .uniform_work_group_size: 1
    .uses_dynamic_stack: false
    .vgpr_count:     0
    .vgpr_spill_count: 0
    .wavefront_size: 64
  - .agpr_count:     0
    .args:
      - .address_space:  global
        .offset:         0
        .size:           8
        .value_kind:     global_buffer
    .group_segment_fixed_size: 0
    .kernarg_segment_align: 8
    .kernarg_segment_size: 8
    .language:       OpenCL C
    .language_version:
      - 2
      - 0
    .max_flat_workgroup_size: 256
    .name:           _ZN7rocprim17ROCPRIM_400000_NS6detail17trampoline_kernelINS0_14default_configENS1_35radix_sort_onesweep_config_selectorIjjEEZNS1_34radix_sort_onesweep_global_offsetsIS3_Lb0EN6thrust23THRUST_200600_302600_NS6detail15normal_iteratorINS8_10device_ptrIjEEEESD_jNS0_19identity_decomposerEEE10hipError_tT1_T2_PT3_SI_jT4_jjP12ihipStream_tbEUlT_E0_NS1_11comp_targetILNS1_3genE0ELNS1_11target_archE4294967295ELNS1_3gpuE0ELNS1_3repE0EEENS1_52radix_sort_onesweep_histogram_config_static_selectorELNS0_4arch9wavefront6targetE1EEEvSG_
    .private_segment_fixed_size: 0
    .sgpr_count:     6
    .sgpr_spill_count: 0
    .symbol:         _ZN7rocprim17ROCPRIM_400000_NS6detail17trampoline_kernelINS0_14default_configENS1_35radix_sort_onesweep_config_selectorIjjEEZNS1_34radix_sort_onesweep_global_offsetsIS3_Lb0EN6thrust23THRUST_200600_302600_NS6detail15normal_iteratorINS8_10device_ptrIjEEEESD_jNS0_19identity_decomposerEEE10hipError_tT1_T2_PT3_SI_jT4_jjP12ihipStream_tbEUlT_E0_NS1_11comp_targetILNS1_3genE0ELNS1_11target_archE4294967295ELNS1_3gpuE0ELNS1_3repE0EEENS1_52radix_sort_onesweep_histogram_config_static_selectorELNS0_4arch9wavefront6targetE1EEEvSG_.kd
    .uniform_work_group_size: 1
    .uses_dynamic_stack: false
    .vgpr_count:     0
    .vgpr_spill_count: 0
    .wavefront_size: 64
  - .agpr_count:     0
    .args:
      - .address_space:  global
        .offset:         0
        .size:           8
        .value_kind:     global_buffer
    .group_segment_fixed_size: 64
    .kernarg_segment_align: 8
    .kernarg_segment_size: 8
    .language:       OpenCL C
    .language_version:
      - 2
      - 0
    .max_flat_workgroup_size: 1024
    .name:           _ZN7rocprim17ROCPRIM_400000_NS6detail17trampoline_kernelINS0_14default_configENS1_35radix_sort_onesweep_config_selectorIjjEEZNS1_34radix_sort_onesweep_global_offsetsIS3_Lb0EN6thrust23THRUST_200600_302600_NS6detail15normal_iteratorINS8_10device_ptrIjEEEESD_jNS0_19identity_decomposerEEE10hipError_tT1_T2_PT3_SI_jT4_jjP12ihipStream_tbEUlT_E0_NS1_11comp_targetILNS1_3genE6ELNS1_11target_archE950ELNS1_3gpuE13ELNS1_3repE0EEENS1_52radix_sort_onesweep_histogram_config_static_selectorELNS0_4arch9wavefront6targetE1EEEvSG_
    .private_segment_fixed_size: 0
    .sgpr_count:     20
    .sgpr_spill_count: 0
    .symbol:         _ZN7rocprim17ROCPRIM_400000_NS6detail17trampoline_kernelINS0_14default_configENS1_35radix_sort_onesweep_config_selectorIjjEEZNS1_34radix_sort_onesweep_global_offsetsIS3_Lb0EN6thrust23THRUST_200600_302600_NS6detail15normal_iteratorINS8_10device_ptrIjEEEESD_jNS0_19identity_decomposerEEE10hipError_tT1_T2_PT3_SI_jT4_jjP12ihipStream_tbEUlT_E0_NS1_11comp_targetILNS1_3genE6ELNS1_11target_archE950ELNS1_3gpuE13ELNS1_3repE0EEENS1_52radix_sort_onesweep_histogram_config_static_selectorELNS0_4arch9wavefront6targetE1EEEvSG_.kd
    .uniform_work_group_size: 1
    .uses_dynamic_stack: false
    .vgpr_count:     7
    .vgpr_spill_count: 0
    .wavefront_size: 64
  - .agpr_count:     0
    .args:
      - .address_space:  global
        .offset:         0
        .size:           8
        .value_kind:     global_buffer
    .group_segment_fixed_size: 0
    .kernarg_segment_align: 8
    .kernarg_segment_size: 8
    .language:       OpenCL C
    .language_version:
      - 2
      - 0
    .max_flat_workgroup_size: 1024
    .name:           _ZN7rocprim17ROCPRIM_400000_NS6detail17trampoline_kernelINS0_14default_configENS1_35radix_sort_onesweep_config_selectorIjjEEZNS1_34radix_sort_onesweep_global_offsetsIS3_Lb0EN6thrust23THRUST_200600_302600_NS6detail15normal_iteratorINS8_10device_ptrIjEEEESD_jNS0_19identity_decomposerEEE10hipError_tT1_T2_PT3_SI_jT4_jjP12ihipStream_tbEUlT_E0_NS1_11comp_targetILNS1_3genE5ELNS1_11target_archE942ELNS1_3gpuE9ELNS1_3repE0EEENS1_52radix_sort_onesweep_histogram_config_static_selectorELNS0_4arch9wavefront6targetE1EEEvSG_
    .private_segment_fixed_size: 0
    .sgpr_count:     6
    .sgpr_spill_count: 0
    .symbol:         _ZN7rocprim17ROCPRIM_400000_NS6detail17trampoline_kernelINS0_14default_configENS1_35radix_sort_onesweep_config_selectorIjjEEZNS1_34radix_sort_onesweep_global_offsetsIS3_Lb0EN6thrust23THRUST_200600_302600_NS6detail15normal_iteratorINS8_10device_ptrIjEEEESD_jNS0_19identity_decomposerEEE10hipError_tT1_T2_PT3_SI_jT4_jjP12ihipStream_tbEUlT_E0_NS1_11comp_targetILNS1_3genE5ELNS1_11target_archE942ELNS1_3gpuE9ELNS1_3repE0EEENS1_52radix_sort_onesweep_histogram_config_static_selectorELNS0_4arch9wavefront6targetE1EEEvSG_.kd
    .uniform_work_group_size: 1
    .uses_dynamic_stack: false
    .vgpr_count:     0
    .vgpr_spill_count: 0
    .wavefront_size: 64
  - .agpr_count:     0
    .args:
      - .address_space:  global
        .offset:         0
        .size:           8
        .value_kind:     global_buffer
    .group_segment_fixed_size: 0
    .kernarg_segment_align: 8
    .kernarg_segment_size: 8
    .language:       OpenCL C
    .language_version:
      - 2
      - 0
    .max_flat_workgroup_size: 512
    .name:           _ZN7rocprim17ROCPRIM_400000_NS6detail17trampoline_kernelINS0_14default_configENS1_35radix_sort_onesweep_config_selectorIjjEEZNS1_34radix_sort_onesweep_global_offsetsIS3_Lb0EN6thrust23THRUST_200600_302600_NS6detail15normal_iteratorINS8_10device_ptrIjEEEESD_jNS0_19identity_decomposerEEE10hipError_tT1_T2_PT3_SI_jT4_jjP12ihipStream_tbEUlT_E0_NS1_11comp_targetILNS1_3genE2ELNS1_11target_archE906ELNS1_3gpuE6ELNS1_3repE0EEENS1_52radix_sort_onesweep_histogram_config_static_selectorELNS0_4arch9wavefront6targetE1EEEvSG_
    .private_segment_fixed_size: 0
    .sgpr_count:     6
    .sgpr_spill_count: 0
    .symbol:         _ZN7rocprim17ROCPRIM_400000_NS6detail17trampoline_kernelINS0_14default_configENS1_35radix_sort_onesweep_config_selectorIjjEEZNS1_34radix_sort_onesweep_global_offsetsIS3_Lb0EN6thrust23THRUST_200600_302600_NS6detail15normal_iteratorINS8_10device_ptrIjEEEESD_jNS0_19identity_decomposerEEE10hipError_tT1_T2_PT3_SI_jT4_jjP12ihipStream_tbEUlT_E0_NS1_11comp_targetILNS1_3genE2ELNS1_11target_archE906ELNS1_3gpuE6ELNS1_3repE0EEENS1_52radix_sort_onesweep_histogram_config_static_selectorELNS0_4arch9wavefront6targetE1EEEvSG_.kd
    .uniform_work_group_size: 1
    .uses_dynamic_stack: false
    .vgpr_count:     0
    .vgpr_spill_count: 0
    .wavefront_size: 64
  - .agpr_count:     0
    .args:
      - .address_space:  global
        .offset:         0
        .size:           8
        .value_kind:     global_buffer
    .group_segment_fixed_size: 0
    .kernarg_segment_align: 8
    .kernarg_segment_size: 8
    .language:       OpenCL C
    .language_version:
      - 2
      - 0
    .max_flat_workgroup_size: 512
    .name:           _ZN7rocprim17ROCPRIM_400000_NS6detail17trampoline_kernelINS0_14default_configENS1_35radix_sort_onesweep_config_selectorIjjEEZNS1_34radix_sort_onesweep_global_offsetsIS3_Lb0EN6thrust23THRUST_200600_302600_NS6detail15normal_iteratorINS8_10device_ptrIjEEEESD_jNS0_19identity_decomposerEEE10hipError_tT1_T2_PT3_SI_jT4_jjP12ihipStream_tbEUlT_E0_NS1_11comp_targetILNS1_3genE4ELNS1_11target_archE910ELNS1_3gpuE8ELNS1_3repE0EEENS1_52radix_sort_onesweep_histogram_config_static_selectorELNS0_4arch9wavefront6targetE1EEEvSG_
    .private_segment_fixed_size: 0
    .sgpr_count:     6
    .sgpr_spill_count: 0
    .symbol:         _ZN7rocprim17ROCPRIM_400000_NS6detail17trampoline_kernelINS0_14default_configENS1_35radix_sort_onesweep_config_selectorIjjEEZNS1_34radix_sort_onesweep_global_offsetsIS3_Lb0EN6thrust23THRUST_200600_302600_NS6detail15normal_iteratorINS8_10device_ptrIjEEEESD_jNS0_19identity_decomposerEEE10hipError_tT1_T2_PT3_SI_jT4_jjP12ihipStream_tbEUlT_E0_NS1_11comp_targetILNS1_3genE4ELNS1_11target_archE910ELNS1_3gpuE8ELNS1_3repE0EEENS1_52radix_sort_onesweep_histogram_config_static_selectorELNS0_4arch9wavefront6targetE1EEEvSG_.kd
    .uniform_work_group_size: 1
    .uses_dynamic_stack: false
    .vgpr_count:     0
    .vgpr_spill_count: 0
    .wavefront_size: 64
  - .agpr_count:     0
    .args:
      - .address_space:  global
        .offset:         0
        .size:           8
        .value_kind:     global_buffer
    .group_segment_fixed_size: 0
    .kernarg_segment_align: 8
    .kernarg_segment_size: 8
    .language:       OpenCL C
    .language_version:
      - 2
      - 0
    .max_flat_workgroup_size: 256
    .name:           _ZN7rocprim17ROCPRIM_400000_NS6detail17trampoline_kernelINS0_14default_configENS1_35radix_sort_onesweep_config_selectorIjjEEZNS1_34radix_sort_onesweep_global_offsetsIS3_Lb0EN6thrust23THRUST_200600_302600_NS6detail15normal_iteratorINS8_10device_ptrIjEEEESD_jNS0_19identity_decomposerEEE10hipError_tT1_T2_PT3_SI_jT4_jjP12ihipStream_tbEUlT_E0_NS1_11comp_targetILNS1_3genE3ELNS1_11target_archE908ELNS1_3gpuE7ELNS1_3repE0EEENS1_52radix_sort_onesweep_histogram_config_static_selectorELNS0_4arch9wavefront6targetE1EEEvSG_
    .private_segment_fixed_size: 0
    .sgpr_count:     6
    .sgpr_spill_count: 0
    .symbol:         _ZN7rocprim17ROCPRIM_400000_NS6detail17trampoline_kernelINS0_14default_configENS1_35radix_sort_onesweep_config_selectorIjjEEZNS1_34radix_sort_onesweep_global_offsetsIS3_Lb0EN6thrust23THRUST_200600_302600_NS6detail15normal_iteratorINS8_10device_ptrIjEEEESD_jNS0_19identity_decomposerEEE10hipError_tT1_T2_PT3_SI_jT4_jjP12ihipStream_tbEUlT_E0_NS1_11comp_targetILNS1_3genE3ELNS1_11target_archE908ELNS1_3gpuE7ELNS1_3repE0EEENS1_52radix_sort_onesweep_histogram_config_static_selectorELNS0_4arch9wavefront6targetE1EEEvSG_.kd
    .uniform_work_group_size: 1
    .uses_dynamic_stack: false
    .vgpr_count:     0
    .vgpr_spill_count: 0
    .wavefront_size: 64
  - .agpr_count:     0
    .args:
      - .address_space:  global
        .offset:         0
        .size:           8
        .value_kind:     global_buffer
    .group_segment_fixed_size: 0
    .kernarg_segment_align: 8
    .kernarg_segment_size: 8
    .language:       OpenCL C
    .language_version:
      - 2
      - 0
    .max_flat_workgroup_size: 1024
    .name:           _ZN7rocprim17ROCPRIM_400000_NS6detail17trampoline_kernelINS0_14default_configENS1_35radix_sort_onesweep_config_selectorIjjEEZNS1_34radix_sort_onesweep_global_offsetsIS3_Lb0EN6thrust23THRUST_200600_302600_NS6detail15normal_iteratorINS8_10device_ptrIjEEEESD_jNS0_19identity_decomposerEEE10hipError_tT1_T2_PT3_SI_jT4_jjP12ihipStream_tbEUlT_E0_NS1_11comp_targetILNS1_3genE10ELNS1_11target_archE1201ELNS1_3gpuE5ELNS1_3repE0EEENS1_52radix_sort_onesweep_histogram_config_static_selectorELNS0_4arch9wavefront6targetE1EEEvSG_
    .private_segment_fixed_size: 0
    .sgpr_count:     6
    .sgpr_spill_count: 0
    .symbol:         _ZN7rocprim17ROCPRIM_400000_NS6detail17trampoline_kernelINS0_14default_configENS1_35radix_sort_onesweep_config_selectorIjjEEZNS1_34radix_sort_onesweep_global_offsetsIS3_Lb0EN6thrust23THRUST_200600_302600_NS6detail15normal_iteratorINS8_10device_ptrIjEEEESD_jNS0_19identity_decomposerEEE10hipError_tT1_T2_PT3_SI_jT4_jjP12ihipStream_tbEUlT_E0_NS1_11comp_targetILNS1_3genE10ELNS1_11target_archE1201ELNS1_3gpuE5ELNS1_3repE0EEENS1_52radix_sort_onesweep_histogram_config_static_selectorELNS0_4arch9wavefront6targetE1EEEvSG_.kd
    .uniform_work_group_size: 1
    .uses_dynamic_stack: false
    .vgpr_count:     0
    .vgpr_spill_count: 0
    .wavefront_size: 64
  - .agpr_count:     0
    .args:
      - .address_space:  global
        .offset:         0
        .size:           8
        .value_kind:     global_buffer
    .group_segment_fixed_size: 0
    .kernarg_segment_align: 8
    .kernarg_segment_size: 8
    .language:       OpenCL C
    .language_version:
      - 2
      - 0
    .max_flat_workgroup_size: 1024
    .name:           _ZN7rocprim17ROCPRIM_400000_NS6detail17trampoline_kernelINS0_14default_configENS1_35radix_sort_onesweep_config_selectorIjjEEZNS1_34radix_sort_onesweep_global_offsetsIS3_Lb0EN6thrust23THRUST_200600_302600_NS6detail15normal_iteratorINS8_10device_ptrIjEEEESD_jNS0_19identity_decomposerEEE10hipError_tT1_T2_PT3_SI_jT4_jjP12ihipStream_tbEUlT_E0_NS1_11comp_targetILNS1_3genE9ELNS1_11target_archE1100ELNS1_3gpuE3ELNS1_3repE0EEENS1_52radix_sort_onesweep_histogram_config_static_selectorELNS0_4arch9wavefront6targetE1EEEvSG_
    .private_segment_fixed_size: 0
    .sgpr_count:     6
    .sgpr_spill_count: 0
    .symbol:         _ZN7rocprim17ROCPRIM_400000_NS6detail17trampoline_kernelINS0_14default_configENS1_35radix_sort_onesweep_config_selectorIjjEEZNS1_34radix_sort_onesweep_global_offsetsIS3_Lb0EN6thrust23THRUST_200600_302600_NS6detail15normal_iteratorINS8_10device_ptrIjEEEESD_jNS0_19identity_decomposerEEE10hipError_tT1_T2_PT3_SI_jT4_jjP12ihipStream_tbEUlT_E0_NS1_11comp_targetILNS1_3genE9ELNS1_11target_archE1100ELNS1_3gpuE3ELNS1_3repE0EEENS1_52radix_sort_onesweep_histogram_config_static_selectorELNS0_4arch9wavefront6targetE1EEEvSG_.kd
    .uniform_work_group_size: 1
    .uses_dynamic_stack: false
    .vgpr_count:     0
    .vgpr_spill_count: 0
    .wavefront_size: 64
  - .agpr_count:     0
    .args:
      - .address_space:  global
        .offset:         0
        .size:           8
        .value_kind:     global_buffer
    .group_segment_fixed_size: 0
    .kernarg_segment_align: 8
    .kernarg_segment_size: 8
    .language:       OpenCL C
    .language_version:
      - 2
      - 0
    .max_flat_workgroup_size: 1024
    .name:           _ZN7rocprim17ROCPRIM_400000_NS6detail17trampoline_kernelINS0_14default_configENS1_35radix_sort_onesweep_config_selectorIjjEEZNS1_34radix_sort_onesweep_global_offsetsIS3_Lb0EN6thrust23THRUST_200600_302600_NS6detail15normal_iteratorINS8_10device_ptrIjEEEESD_jNS0_19identity_decomposerEEE10hipError_tT1_T2_PT3_SI_jT4_jjP12ihipStream_tbEUlT_E0_NS1_11comp_targetILNS1_3genE8ELNS1_11target_archE1030ELNS1_3gpuE2ELNS1_3repE0EEENS1_52radix_sort_onesweep_histogram_config_static_selectorELNS0_4arch9wavefront6targetE1EEEvSG_
    .private_segment_fixed_size: 0
    .sgpr_count:     6
    .sgpr_spill_count: 0
    .symbol:         _ZN7rocprim17ROCPRIM_400000_NS6detail17trampoline_kernelINS0_14default_configENS1_35radix_sort_onesweep_config_selectorIjjEEZNS1_34radix_sort_onesweep_global_offsetsIS3_Lb0EN6thrust23THRUST_200600_302600_NS6detail15normal_iteratorINS8_10device_ptrIjEEEESD_jNS0_19identity_decomposerEEE10hipError_tT1_T2_PT3_SI_jT4_jjP12ihipStream_tbEUlT_E0_NS1_11comp_targetILNS1_3genE8ELNS1_11target_archE1030ELNS1_3gpuE2ELNS1_3repE0EEENS1_52radix_sort_onesweep_histogram_config_static_selectorELNS0_4arch9wavefront6targetE1EEEvSG_.kd
    .uniform_work_group_size: 1
    .uses_dynamic_stack: false
    .vgpr_count:     0
    .vgpr_spill_count: 0
    .wavefront_size: 64
  - .agpr_count:     0
    .args:
      - .offset:         0
        .size:           40
        .value_kind:     by_value
      - .offset:         40
        .size:           4
        .value_kind:     hidden_block_count_x
      - .offset:         44
        .size:           4
        .value_kind:     hidden_block_count_y
      - .offset:         48
        .size:           4
        .value_kind:     hidden_block_count_z
      - .offset:         52
        .size:           2
        .value_kind:     hidden_group_size_x
      - .offset:         54
        .size:           2
        .value_kind:     hidden_group_size_y
      - .offset:         56
        .size:           2
        .value_kind:     hidden_group_size_z
      - .offset:         58
        .size:           2
        .value_kind:     hidden_remainder_x
      - .offset:         60
        .size:           2
        .value_kind:     hidden_remainder_y
      - .offset:         62
        .size:           2
        .value_kind:     hidden_remainder_z
      - .offset:         80
        .size:           8
        .value_kind:     hidden_global_offset_x
      - .offset:         88
        .size:           8
        .value_kind:     hidden_global_offset_y
      - .offset:         96
        .size:           8
        .value_kind:     hidden_global_offset_z
      - .offset:         104
        .size:           2
        .value_kind:     hidden_grid_dims
    .group_segment_fixed_size: 0
    .kernarg_segment_align: 8
    .kernarg_segment_size: 296
    .language:       OpenCL C
    .language_version:
      - 2
      - 0
    .max_flat_workgroup_size: 128
    .name:           _ZN7rocprim17ROCPRIM_400000_NS6detail17trampoline_kernelINS0_14default_configENS1_25transform_config_selectorIjLb0EEEZNS1_14transform_implILb0ES3_S5_N6thrust23THRUST_200600_302600_NS6detail15normal_iteratorINS8_10device_ptrIjEEEEPjNS0_8identityIjEEEE10hipError_tT2_T3_mT4_P12ihipStream_tbEUlT_E_NS1_11comp_targetILNS1_3genE0ELNS1_11target_archE4294967295ELNS1_3gpuE0ELNS1_3repE0EEENS1_30default_config_static_selectorELNS0_4arch9wavefront6targetE1EEEvT1_
    .private_segment_fixed_size: 0
    .sgpr_count:     22
    .sgpr_spill_count: 0
    .symbol:         _ZN7rocprim17ROCPRIM_400000_NS6detail17trampoline_kernelINS0_14default_configENS1_25transform_config_selectorIjLb0EEEZNS1_14transform_implILb0ES3_S5_N6thrust23THRUST_200600_302600_NS6detail15normal_iteratorINS8_10device_ptrIjEEEEPjNS0_8identityIjEEEE10hipError_tT2_T3_mT4_P12ihipStream_tbEUlT_E_NS1_11comp_targetILNS1_3genE0ELNS1_11target_archE4294967295ELNS1_3gpuE0ELNS1_3repE0EEENS1_30default_config_static_selectorELNS0_4arch9wavefront6targetE1EEEvT1_.kd
    .uniform_work_group_size: 1
    .uses_dynamic_stack: false
    .vgpr_count:     7
    .vgpr_spill_count: 0
    .wavefront_size: 64
  - .agpr_count:     0
    .args:
      - .offset:         0
        .size:           40
        .value_kind:     by_value
    .group_segment_fixed_size: 0
    .kernarg_segment_align: 8
    .kernarg_segment_size: 40
    .language:       OpenCL C
    .language_version:
      - 2
      - 0
    .max_flat_workgroup_size: 512
    .name:           _ZN7rocprim17ROCPRIM_400000_NS6detail17trampoline_kernelINS0_14default_configENS1_25transform_config_selectorIjLb0EEEZNS1_14transform_implILb0ES3_S5_N6thrust23THRUST_200600_302600_NS6detail15normal_iteratorINS8_10device_ptrIjEEEEPjNS0_8identityIjEEEE10hipError_tT2_T3_mT4_P12ihipStream_tbEUlT_E_NS1_11comp_targetILNS1_3genE5ELNS1_11target_archE942ELNS1_3gpuE9ELNS1_3repE0EEENS1_30default_config_static_selectorELNS0_4arch9wavefront6targetE1EEEvT1_
    .private_segment_fixed_size: 0
    .sgpr_count:     6
    .sgpr_spill_count: 0
    .symbol:         _ZN7rocprim17ROCPRIM_400000_NS6detail17trampoline_kernelINS0_14default_configENS1_25transform_config_selectorIjLb0EEEZNS1_14transform_implILb0ES3_S5_N6thrust23THRUST_200600_302600_NS6detail15normal_iteratorINS8_10device_ptrIjEEEEPjNS0_8identityIjEEEE10hipError_tT2_T3_mT4_P12ihipStream_tbEUlT_E_NS1_11comp_targetILNS1_3genE5ELNS1_11target_archE942ELNS1_3gpuE9ELNS1_3repE0EEENS1_30default_config_static_selectorELNS0_4arch9wavefront6targetE1EEEvT1_.kd
    .uniform_work_group_size: 1
    .uses_dynamic_stack: false
    .vgpr_count:     0
    .vgpr_spill_count: 0
    .wavefront_size: 64
  - .agpr_count:     0
    .args:
      - .offset:         0
        .size:           40
        .value_kind:     by_value
    .group_segment_fixed_size: 0
    .kernarg_segment_align: 8
    .kernarg_segment_size: 40
    .language:       OpenCL C
    .language_version:
      - 2
      - 0
    .max_flat_workgroup_size: 1024
    .name:           _ZN7rocprim17ROCPRIM_400000_NS6detail17trampoline_kernelINS0_14default_configENS1_25transform_config_selectorIjLb0EEEZNS1_14transform_implILb0ES3_S5_N6thrust23THRUST_200600_302600_NS6detail15normal_iteratorINS8_10device_ptrIjEEEEPjNS0_8identityIjEEEE10hipError_tT2_T3_mT4_P12ihipStream_tbEUlT_E_NS1_11comp_targetILNS1_3genE4ELNS1_11target_archE910ELNS1_3gpuE8ELNS1_3repE0EEENS1_30default_config_static_selectorELNS0_4arch9wavefront6targetE1EEEvT1_
    .private_segment_fixed_size: 0
    .sgpr_count:     6
    .sgpr_spill_count: 0
    .symbol:         _ZN7rocprim17ROCPRIM_400000_NS6detail17trampoline_kernelINS0_14default_configENS1_25transform_config_selectorIjLb0EEEZNS1_14transform_implILb0ES3_S5_N6thrust23THRUST_200600_302600_NS6detail15normal_iteratorINS8_10device_ptrIjEEEEPjNS0_8identityIjEEEE10hipError_tT2_T3_mT4_P12ihipStream_tbEUlT_E_NS1_11comp_targetILNS1_3genE4ELNS1_11target_archE910ELNS1_3gpuE8ELNS1_3repE0EEENS1_30default_config_static_selectorELNS0_4arch9wavefront6targetE1EEEvT1_.kd
    .uniform_work_group_size: 1
    .uses_dynamic_stack: false
    .vgpr_count:     0
    .vgpr_spill_count: 0
    .wavefront_size: 64
  - .agpr_count:     0
    .args:
      - .offset:         0
        .size:           40
        .value_kind:     by_value
    .group_segment_fixed_size: 0
    .kernarg_segment_align: 8
    .kernarg_segment_size: 40
    .language:       OpenCL C
    .language_version:
      - 2
      - 0
    .max_flat_workgroup_size: 128
    .name:           _ZN7rocprim17ROCPRIM_400000_NS6detail17trampoline_kernelINS0_14default_configENS1_25transform_config_selectorIjLb0EEEZNS1_14transform_implILb0ES3_S5_N6thrust23THRUST_200600_302600_NS6detail15normal_iteratorINS8_10device_ptrIjEEEEPjNS0_8identityIjEEEE10hipError_tT2_T3_mT4_P12ihipStream_tbEUlT_E_NS1_11comp_targetILNS1_3genE3ELNS1_11target_archE908ELNS1_3gpuE7ELNS1_3repE0EEENS1_30default_config_static_selectorELNS0_4arch9wavefront6targetE1EEEvT1_
    .private_segment_fixed_size: 0
    .sgpr_count:     6
    .sgpr_spill_count: 0
    .symbol:         _ZN7rocprim17ROCPRIM_400000_NS6detail17trampoline_kernelINS0_14default_configENS1_25transform_config_selectorIjLb0EEEZNS1_14transform_implILb0ES3_S5_N6thrust23THRUST_200600_302600_NS6detail15normal_iteratorINS8_10device_ptrIjEEEEPjNS0_8identityIjEEEE10hipError_tT2_T3_mT4_P12ihipStream_tbEUlT_E_NS1_11comp_targetILNS1_3genE3ELNS1_11target_archE908ELNS1_3gpuE7ELNS1_3repE0EEENS1_30default_config_static_selectorELNS0_4arch9wavefront6targetE1EEEvT1_.kd
    .uniform_work_group_size: 1
    .uses_dynamic_stack: false
    .vgpr_count:     0
    .vgpr_spill_count: 0
    .wavefront_size: 64
  - .agpr_count:     0
    .args:
      - .offset:         0
        .size:           40
        .value_kind:     by_value
    .group_segment_fixed_size: 0
    .kernarg_segment_align: 8
    .kernarg_segment_size: 40
    .language:       OpenCL C
    .language_version:
      - 2
      - 0
    .max_flat_workgroup_size: 1024
    .name:           _ZN7rocprim17ROCPRIM_400000_NS6detail17trampoline_kernelINS0_14default_configENS1_25transform_config_selectorIjLb0EEEZNS1_14transform_implILb0ES3_S5_N6thrust23THRUST_200600_302600_NS6detail15normal_iteratorINS8_10device_ptrIjEEEEPjNS0_8identityIjEEEE10hipError_tT2_T3_mT4_P12ihipStream_tbEUlT_E_NS1_11comp_targetILNS1_3genE2ELNS1_11target_archE906ELNS1_3gpuE6ELNS1_3repE0EEENS1_30default_config_static_selectorELNS0_4arch9wavefront6targetE1EEEvT1_
    .private_segment_fixed_size: 0
    .sgpr_count:     6
    .sgpr_spill_count: 0
    .symbol:         _ZN7rocprim17ROCPRIM_400000_NS6detail17trampoline_kernelINS0_14default_configENS1_25transform_config_selectorIjLb0EEEZNS1_14transform_implILb0ES3_S5_N6thrust23THRUST_200600_302600_NS6detail15normal_iteratorINS8_10device_ptrIjEEEEPjNS0_8identityIjEEEE10hipError_tT2_T3_mT4_P12ihipStream_tbEUlT_E_NS1_11comp_targetILNS1_3genE2ELNS1_11target_archE906ELNS1_3gpuE6ELNS1_3repE0EEENS1_30default_config_static_selectorELNS0_4arch9wavefront6targetE1EEEvT1_.kd
    .uniform_work_group_size: 1
    .uses_dynamic_stack: false
    .vgpr_count:     0
    .vgpr_spill_count: 0
    .wavefront_size: 64
  - .agpr_count:     0
    .args:
      - .offset:         0
        .size:           40
        .value_kind:     by_value
    .group_segment_fixed_size: 0
    .kernarg_segment_align: 8
    .kernarg_segment_size: 40
    .language:       OpenCL C
    .language_version:
      - 2
      - 0
    .max_flat_workgroup_size: 1024
    .name:           _ZN7rocprim17ROCPRIM_400000_NS6detail17trampoline_kernelINS0_14default_configENS1_25transform_config_selectorIjLb0EEEZNS1_14transform_implILb0ES3_S5_N6thrust23THRUST_200600_302600_NS6detail15normal_iteratorINS8_10device_ptrIjEEEEPjNS0_8identityIjEEEE10hipError_tT2_T3_mT4_P12ihipStream_tbEUlT_E_NS1_11comp_targetILNS1_3genE10ELNS1_11target_archE1201ELNS1_3gpuE5ELNS1_3repE0EEENS1_30default_config_static_selectorELNS0_4arch9wavefront6targetE1EEEvT1_
    .private_segment_fixed_size: 0
    .sgpr_count:     6
    .sgpr_spill_count: 0
    .symbol:         _ZN7rocprim17ROCPRIM_400000_NS6detail17trampoline_kernelINS0_14default_configENS1_25transform_config_selectorIjLb0EEEZNS1_14transform_implILb0ES3_S5_N6thrust23THRUST_200600_302600_NS6detail15normal_iteratorINS8_10device_ptrIjEEEEPjNS0_8identityIjEEEE10hipError_tT2_T3_mT4_P12ihipStream_tbEUlT_E_NS1_11comp_targetILNS1_3genE10ELNS1_11target_archE1201ELNS1_3gpuE5ELNS1_3repE0EEENS1_30default_config_static_selectorELNS0_4arch9wavefront6targetE1EEEvT1_.kd
    .uniform_work_group_size: 1
    .uses_dynamic_stack: false
    .vgpr_count:     0
    .vgpr_spill_count: 0
    .wavefront_size: 64
  - .agpr_count:     0
    .args:
      - .offset:         0
        .size:           40
        .value_kind:     by_value
    .group_segment_fixed_size: 0
    .kernarg_segment_align: 8
    .kernarg_segment_size: 40
    .language:       OpenCL C
    .language_version:
      - 2
      - 0
    .max_flat_workgroup_size: 512
    .name:           _ZN7rocprim17ROCPRIM_400000_NS6detail17trampoline_kernelINS0_14default_configENS1_25transform_config_selectorIjLb0EEEZNS1_14transform_implILb0ES3_S5_N6thrust23THRUST_200600_302600_NS6detail15normal_iteratorINS8_10device_ptrIjEEEEPjNS0_8identityIjEEEE10hipError_tT2_T3_mT4_P12ihipStream_tbEUlT_E_NS1_11comp_targetILNS1_3genE10ELNS1_11target_archE1200ELNS1_3gpuE4ELNS1_3repE0EEENS1_30default_config_static_selectorELNS0_4arch9wavefront6targetE1EEEvT1_
    .private_segment_fixed_size: 0
    .sgpr_count:     6
    .sgpr_spill_count: 0
    .symbol:         _ZN7rocprim17ROCPRIM_400000_NS6detail17trampoline_kernelINS0_14default_configENS1_25transform_config_selectorIjLb0EEEZNS1_14transform_implILb0ES3_S5_N6thrust23THRUST_200600_302600_NS6detail15normal_iteratorINS8_10device_ptrIjEEEEPjNS0_8identityIjEEEE10hipError_tT2_T3_mT4_P12ihipStream_tbEUlT_E_NS1_11comp_targetILNS1_3genE10ELNS1_11target_archE1200ELNS1_3gpuE4ELNS1_3repE0EEENS1_30default_config_static_selectorELNS0_4arch9wavefront6targetE1EEEvT1_.kd
    .uniform_work_group_size: 1
    .uses_dynamic_stack: false
    .vgpr_count:     0
    .vgpr_spill_count: 0
    .wavefront_size: 64
  - .agpr_count:     0
    .args:
      - .offset:         0
        .size:           40
        .value_kind:     by_value
    .group_segment_fixed_size: 0
    .kernarg_segment_align: 8
    .kernarg_segment_size: 40
    .language:       OpenCL C
    .language_version:
      - 2
      - 0
    .max_flat_workgroup_size: 64
    .name:           _ZN7rocprim17ROCPRIM_400000_NS6detail17trampoline_kernelINS0_14default_configENS1_25transform_config_selectorIjLb0EEEZNS1_14transform_implILb0ES3_S5_N6thrust23THRUST_200600_302600_NS6detail15normal_iteratorINS8_10device_ptrIjEEEEPjNS0_8identityIjEEEE10hipError_tT2_T3_mT4_P12ihipStream_tbEUlT_E_NS1_11comp_targetILNS1_3genE9ELNS1_11target_archE1100ELNS1_3gpuE3ELNS1_3repE0EEENS1_30default_config_static_selectorELNS0_4arch9wavefront6targetE1EEEvT1_
    .private_segment_fixed_size: 0
    .sgpr_count:     6
    .sgpr_spill_count: 0
    .symbol:         _ZN7rocprim17ROCPRIM_400000_NS6detail17trampoline_kernelINS0_14default_configENS1_25transform_config_selectorIjLb0EEEZNS1_14transform_implILb0ES3_S5_N6thrust23THRUST_200600_302600_NS6detail15normal_iteratorINS8_10device_ptrIjEEEEPjNS0_8identityIjEEEE10hipError_tT2_T3_mT4_P12ihipStream_tbEUlT_E_NS1_11comp_targetILNS1_3genE9ELNS1_11target_archE1100ELNS1_3gpuE3ELNS1_3repE0EEENS1_30default_config_static_selectorELNS0_4arch9wavefront6targetE1EEEvT1_.kd
    .uniform_work_group_size: 1
    .uses_dynamic_stack: false
    .vgpr_count:     0
    .vgpr_spill_count: 0
    .wavefront_size: 64
  - .agpr_count:     0
    .args:
      - .offset:         0
        .size:           40
        .value_kind:     by_value
    .group_segment_fixed_size: 0
    .kernarg_segment_align: 8
    .kernarg_segment_size: 40
    .language:       OpenCL C
    .language_version:
      - 2
      - 0
    .max_flat_workgroup_size: 256
    .name:           _ZN7rocprim17ROCPRIM_400000_NS6detail17trampoline_kernelINS0_14default_configENS1_25transform_config_selectorIjLb0EEEZNS1_14transform_implILb0ES3_S5_N6thrust23THRUST_200600_302600_NS6detail15normal_iteratorINS8_10device_ptrIjEEEEPjNS0_8identityIjEEEE10hipError_tT2_T3_mT4_P12ihipStream_tbEUlT_E_NS1_11comp_targetILNS1_3genE8ELNS1_11target_archE1030ELNS1_3gpuE2ELNS1_3repE0EEENS1_30default_config_static_selectorELNS0_4arch9wavefront6targetE1EEEvT1_
    .private_segment_fixed_size: 0
    .sgpr_count:     6
    .sgpr_spill_count: 0
    .symbol:         _ZN7rocprim17ROCPRIM_400000_NS6detail17trampoline_kernelINS0_14default_configENS1_25transform_config_selectorIjLb0EEEZNS1_14transform_implILb0ES3_S5_N6thrust23THRUST_200600_302600_NS6detail15normal_iteratorINS8_10device_ptrIjEEEEPjNS0_8identityIjEEEE10hipError_tT2_T3_mT4_P12ihipStream_tbEUlT_E_NS1_11comp_targetILNS1_3genE8ELNS1_11target_archE1030ELNS1_3gpuE2ELNS1_3repE0EEENS1_30default_config_static_selectorELNS0_4arch9wavefront6targetE1EEEvT1_.kd
    .uniform_work_group_size: 1
    .uses_dynamic_stack: false
    .vgpr_count:     0
    .vgpr_spill_count: 0
    .wavefront_size: 64
  - .agpr_count:     0
    .args:
      - .offset:         0
        .size:           88
        .value_kind:     by_value
    .group_segment_fixed_size: 0
    .kernarg_segment_align: 8
    .kernarg_segment_size: 88
    .language:       OpenCL C
    .language_version:
      - 2
      - 0
    .max_flat_workgroup_size: 256
    .name:           _ZN7rocprim17ROCPRIM_400000_NS6detail17trampoline_kernelINS0_14default_configENS1_35radix_sort_onesweep_config_selectorIjjEEZZNS1_29radix_sort_onesweep_iterationIS3_Lb0EN6thrust23THRUST_200600_302600_NS6detail15normal_iteratorINS8_10device_ptrIjEEEESD_SD_SD_jNS0_19identity_decomposerENS1_16block_id_wrapperIjLb1EEEEE10hipError_tT1_PNSt15iterator_traitsISI_E10value_typeET2_T3_PNSJ_ISO_E10value_typeET4_T5_PST_SU_PNS1_23onesweep_lookback_stateEbbT6_jjT7_P12ihipStream_tbENKUlT_T0_SI_SN_E_clISD_SD_SD_SD_EEDaS11_S12_SI_SN_EUlS11_E_NS1_11comp_targetILNS1_3genE0ELNS1_11target_archE4294967295ELNS1_3gpuE0ELNS1_3repE0EEENS1_47radix_sort_onesweep_sort_config_static_selectorELNS0_4arch9wavefront6targetE1EEEvSI_
    .private_segment_fixed_size: 0
    .sgpr_count:     6
    .sgpr_spill_count: 0
    .symbol:         _ZN7rocprim17ROCPRIM_400000_NS6detail17trampoline_kernelINS0_14default_configENS1_35radix_sort_onesweep_config_selectorIjjEEZZNS1_29radix_sort_onesweep_iterationIS3_Lb0EN6thrust23THRUST_200600_302600_NS6detail15normal_iteratorINS8_10device_ptrIjEEEESD_SD_SD_jNS0_19identity_decomposerENS1_16block_id_wrapperIjLb1EEEEE10hipError_tT1_PNSt15iterator_traitsISI_E10value_typeET2_T3_PNSJ_ISO_E10value_typeET4_T5_PST_SU_PNS1_23onesweep_lookback_stateEbbT6_jjT7_P12ihipStream_tbENKUlT_T0_SI_SN_E_clISD_SD_SD_SD_EEDaS11_S12_SI_SN_EUlS11_E_NS1_11comp_targetILNS1_3genE0ELNS1_11target_archE4294967295ELNS1_3gpuE0ELNS1_3repE0EEENS1_47radix_sort_onesweep_sort_config_static_selectorELNS0_4arch9wavefront6targetE1EEEvSI_.kd
    .uniform_work_group_size: 1
    .uses_dynamic_stack: false
    .vgpr_count:     0
    .vgpr_spill_count: 0
    .wavefront_size: 64
  - .agpr_count:     0
    .args:
      - .offset:         0
        .size:           88
        .value_kind:     by_value
      - .offset:         88
        .size:           4
        .value_kind:     hidden_block_count_x
      - .offset:         92
        .size:           4
        .value_kind:     hidden_block_count_y
      - .offset:         96
        .size:           4
        .value_kind:     hidden_block_count_z
      - .offset:         100
        .size:           2
        .value_kind:     hidden_group_size_x
      - .offset:         102
        .size:           2
        .value_kind:     hidden_group_size_y
      - .offset:         104
        .size:           2
        .value_kind:     hidden_group_size_z
      - .offset:         106
        .size:           2
        .value_kind:     hidden_remainder_x
      - .offset:         108
        .size:           2
        .value_kind:     hidden_remainder_y
      - .offset:         110
        .size:           2
        .value_kind:     hidden_remainder_z
      - .offset:         128
        .size:           8
        .value_kind:     hidden_global_offset_x
      - .offset:         136
        .size:           8
        .value_kind:     hidden_global_offset_y
      - .offset:         144
        .size:           8
        .value_kind:     hidden_global_offset_z
      - .offset:         152
        .size:           2
        .value_kind:     hidden_grid_dims
    .group_segment_fixed_size: 20552
    .kernarg_segment_align: 8
    .kernarg_segment_size: 344
    .language:       OpenCL C
    .language_version:
      - 2
      - 0
    .max_flat_workgroup_size: 1024
    .name:           _ZN7rocprim17ROCPRIM_400000_NS6detail17trampoline_kernelINS0_14default_configENS1_35radix_sort_onesweep_config_selectorIjjEEZZNS1_29radix_sort_onesweep_iterationIS3_Lb0EN6thrust23THRUST_200600_302600_NS6detail15normal_iteratorINS8_10device_ptrIjEEEESD_SD_SD_jNS0_19identity_decomposerENS1_16block_id_wrapperIjLb1EEEEE10hipError_tT1_PNSt15iterator_traitsISI_E10value_typeET2_T3_PNSJ_ISO_E10value_typeET4_T5_PST_SU_PNS1_23onesweep_lookback_stateEbbT6_jjT7_P12ihipStream_tbENKUlT_T0_SI_SN_E_clISD_SD_SD_SD_EEDaS11_S12_SI_SN_EUlS11_E_NS1_11comp_targetILNS1_3genE6ELNS1_11target_archE950ELNS1_3gpuE13ELNS1_3repE0EEENS1_47radix_sort_onesweep_sort_config_static_selectorELNS0_4arch9wavefront6targetE1EEEvSI_
    .private_segment_fixed_size: 80
    .sgpr_count:     79
    .sgpr_spill_count: 0
    .symbol:         _ZN7rocprim17ROCPRIM_400000_NS6detail17trampoline_kernelINS0_14default_configENS1_35radix_sort_onesweep_config_selectorIjjEEZZNS1_29radix_sort_onesweep_iterationIS3_Lb0EN6thrust23THRUST_200600_302600_NS6detail15normal_iteratorINS8_10device_ptrIjEEEESD_SD_SD_jNS0_19identity_decomposerENS1_16block_id_wrapperIjLb1EEEEE10hipError_tT1_PNSt15iterator_traitsISI_E10value_typeET2_T3_PNSJ_ISO_E10value_typeET4_T5_PST_SU_PNS1_23onesweep_lookback_stateEbbT6_jjT7_P12ihipStream_tbENKUlT_T0_SI_SN_E_clISD_SD_SD_SD_EEDaS11_S12_SI_SN_EUlS11_E_NS1_11comp_targetILNS1_3genE6ELNS1_11target_archE950ELNS1_3gpuE13ELNS1_3repE0EEENS1_47radix_sort_onesweep_sort_config_static_selectorELNS0_4arch9wavefront6targetE1EEEvSI_.kd
    .uniform_work_group_size: 1
    .uses_dynamic_stack: false
    .vgpr_count:     89
    .vgpr_spill_count: 0
    .wavefront_size: 64
  - .agpr_count:     0
    .args:
      - .offset:         0
        .size:           88
        .value_kind:     by_value
    .group_segment_fixed_size: 0
    .kernarg_segment_align: 8
    .kernarg_segment_size: 88
    .language:       OpenCL C
    .language_version:
      - 2
      - 0
    .max_flat_workgroup_size: 1024
    .name:           _ZN7rocprim17ROCPRIM_400000_NS6detail17trampoline_kernelINS0_14default_configENS1_35radix_sort_onesweep_config_selectorIjjEEZZNS1_29radix_sort_onesweep_iterationIS3_Lb0EN6thrust23THRUST_200600_302600_NS6detail15normal_iteratorINS8_10device_ptrIjEEEESD_SD_SD_jNS0_19identity_decomposerENS1_16block_id_wrapperIjLb1EEEEE10hipError_tT1_PNSt15iterator_traitsISI_E10value_typeET2_T3_PNSJ_ISO_E10value_typeET4_T5_PST_SU_PNS1_23onesweep_lookback_stateEbbT6_jjT7_P12ihipStream_tbENKUlT_T0_SI_SN_E_clISD_SD_SD_SD_EEDaS11_S12_SI_SN_EUlS11_E_NS1_11comp_targetILNS1_3genE5ELNS1_11target_archE942ELNS1_3gpuE9ELNS1_3repE0EEENS1_47radix_sort_onesweep_sort_config_static_selectorELNS0_4arch9wavefront6targetE1EEEvSI_
    .private_segment_fixed_size: 0
    .sgpr_count:     6
    .sgpr_spill_count: 0
    .symbol:         _ZN7rocprim17ROCPRIM_400000_NS6detail17trampoline_kernelINS0_14default_configENS1_35radix_sort_onesweep_config_selectorIjjEEZZNS1_29radix_sort_onesweep_iterationIS3_Lb0EN6thrust23THRUST_200600_302600_NS6detail15normal_iteratorINS8_10device_ptrIjEEEESD_SD_SD_jNS0_19identity_decomposerENS1_16block_id_wrapperIjLb1EEEEE10hipError_tT1_PNSt15iterator_traitsISI_E10value_typeET2_T3_PNSJ_ISO_E10value_typeET4_T5_PST_SU_PNS1_23onesweep_lookback_stateEbbT6_jjT7_P12ihipStream_tbENKUlT_T0_SI_SN_E_clISD_SD_SD_SD_EEDaS11_S12_SI_SN_EUlS11_E_NS1_11comp_targetILNS1_3genE5ELNS1_11target_archE942ELNS1_3gpuE9ELNS1_3repE0EEENS1_47radix_sort_onesweep_sort_config_static_selectorELNS0_4arch9wavefront6targetE1EEEvSI_.kd
    .uniform_work_group_size: 1
    .uses_dynamic_stack: false
    .vgpr_count:     0
    .vgpr_spill_count: 0
    .wavefront_size: 64
  - .agpr_count:     0
    .args:
      - .offset:         0
        .size:           88
        .value_kind:     by_value
    .group_segment_fixed_size: 0
    .kernarg_segment_align: 8
    .kernarg_segment_size: 88
    .language:       OpenCL C
    .language_version:
      - 2
      - 0
    .max_flat_workgroup_size: 512
    .name:           _ZN7rocprim17ROCPRIM_400000_NS6detail17trampoline_kernelINS0_14default_configENS1_35radix_sort_onesweep_config_selectorIjjEEZZNS1_29radix_sort_onesweep_iterationIS3_Lb0EN6thrust23THRUST_200600_302600_NS6detail15normal_iteratorINS8_10device_ptrIjEEEESD_SD_SD_jNS0_19identity_decomposerENS1_16block_id_wrapperIjLb1EEEEE10hipError_tT1_PNSt15iterator_traitsISI_E10value_typeET2_T3_PNSJ_ISO_E10value_typeET4_T5_PST_SU_PNS1_23onesweep_lookback_stateEbbT6_jjT7_P12ihipStream_tbENKUlT_T0_SI_SN_E_clISD_SD_SD_SD_EEDaS11_S12_SI_SN_EUlS11_E_NS1_11comp_targetILNS1_3genE2ELNS1_11target_archE906ELNS1_3gpuE6ELNS1_3repE0EEENS1_47radix_sort_onesweep_sort_config_static_selectorELNS0_4arch9wavefront6targetE1EEEvSI_
    .private_segment_fixed_size: 0
    .sgpr_count:     6
    .sgpr_spill_count: 0
    .symbol:         _ZN7rocprim17ROCPRIM_400000_NS6detail17trampoline_kernelINS0_14default_configENS1_35radix_sort_onesweep_config_selectorIjjEEZZNS1_29radix_sort_onesweep_iterationIS3_Lb0EN6thrust23THRUST_200600_302600_NS6detail15normal_iteratorINS8_10device_ptrIjEEEESD_SD_SD_jNS0_19identity_decomposerENS1_16block_id_wrapperIjLb1EEEEE10hipError_tT1_PNSt15iterator_traitsISI_E10value_typeET2_T3_PNSJ_ISO_E10value_typeET4_T5_PST_SU_PNS1_23onesweep_lookback_stateEbbT6_jjT7_P12ihipStream_tbENKUlT_T0_SI_SN_E_clISD_SD_SD_SD_EEDaS11_S12_SI_SN_EUlS11_E_NS1_11comp_targetILNS1_3genE2ELNS1_11target_archE906ELNS1_3gpuE6ELNS1_3repE0EEENS1_47radix_sort_onesweep_sort_config_static_selectorELNS0_4arch9wavefront6targetE1EEEvSI_.kd
    .uniform_work_group_size: 1
    .uses_dynamic_stack: false
    .vgpr_count:     0
    .vgpr_spill_count: 0
    .wavefront_size: 64
  - .agpr_count:     0
    .args:
      - .offset:         0
        .size:           88
        .value_kind:     by_value
    .group_segment_fixed_size: 0
    .kernarg_segment_align: 8
    .kernarg_segment_size: 88
    .language:       OpenCL C
    .language_version:
      - 2
      - 0
    .max_flat_workgroup_size: 512
    .name:           _ZN7rocprim17ROCPRIM_400000_NS6detail17trampoline_kernelINS0_14default_configENS1_35radix_sort_onesweep_config_selectorIjjEEZZNS1_29radix_sort_onesweep_iterationIS3_Lb0EN6thrust23THRUST_200600_302600_NS6detail15normal_iteratorINS8_10device_ptrIjEEEESD_SD_SD_jNS0_19identity_decomposerENS1_16block_id_wrapperIjLb1EEEEE10hipError_tT1_PNSt15iterator_traitsISI_E10value_typeET2_T3_PNSJ_ISO_E10value_typeET4_T5_PST_SU_PNS1_23onesweep_lookback_stateEbbT6_jjT7_P12ihipStream_tbENKUlT_T0_SI_SN_E_clISD_SD_SD_SD_EEDaS11_S12_SI_SN_EUlS11_E_NS1_11comp_targetILNS1_3genE4ELNS1_11target_archE910ELNS1_3gpuE8ELNS1_3repE0EEENS1_47radix_sort_onesweep_sort_config_static_selectorELNS0_4arch9wavefront6targetE1EEEvSI_
    .private_segment_fixed_size: 0
    .sgpr_count:     6
    .sgpr_spill_count: 0
    .symbol:         _ZN7rocprim17ROCPRIM_400000_NS6detail17trampoline_kernelINS0_14default_configENS1_35radix_sort_onesweep_config_selectorIjjEEZZNS1_29radix_sort_onesweep_iterationIS3_Lb0EN6thrust23THRUST_200600_302600_NS6detail15normal_iteratorINS8_10device_ptrIjEEEESD_SD_SD_jNS0_19identity_decomposerENS1_16block_id_wrapperIjLb1EEEEE10hipError_tT1_PNSt15iterator_traitsISI_E10value_typeET2_T3_PNSJ_ISO_E10value_typeET4_T5_PST_SU_PNS1_23onesweep_lookback_stateEbbT6_jjT7_P12ihipStream_tbENKUlT_T0_SI_SN_E_clISD_SD_SD_SD_EEDaS11_S12_SI_SN_EUlS11_E_NS1_11comp_targetILNS1_3genE4ELNS1_11target_archE910ELNS1_3gpuE8ELNS1_3repE0EEENS1_47radix_sort_onesweep_sort_config_static_selectorELNS0_4arch9wavefront6targetE1EEEvSI_.kd
    .uniform_work_group_size: 1
    .uses_dynamic_stack: false
    .vgpr_count:     0
    .vgpr_spill_count: 0
    .wavefront_size: 64
  - .agpr_count:     0
    .args:
      - .offset:         0
        .size:           88
        .value_kind:     by_value
    .group_segment_fixed_size: 0
    .kernarg_segment_align: 8
    .kernarg_segment_size: 88
    .language:       OpenCL C
    .language_version:
      - 2
      - 0
    .max_flat_workgroup_size: 256
    .name:           _ZN7rocprim17ROCPRIM_400000_NS6detail17trampoline_kernelINS0_14default_configENS1_35radix_sort_onesweep_config_selectorIjjEEZZNS1_29radix_sort_onesweep_iterationIS3_Lb0EN6thrust23THRUST_200600_302600_NS6detail15normal_iteratorINS8_10device_ptrIjEEEESD_SD_SD_jNS0_19identity_decomposerENS1_16block_id_wrapperIjLb1EEEEE10hipError_tT1_PNSt15iterator_traitsISI_E10value_typeET2_T3_PNSJ_ISO_E10value_typeET4_T5_PST_SU_PNS1_23onesweep_lookback_stateEbbT6_jjT7_P12ihipStream_tbENKUlT_T0_SI_SN_E_clISD_SD_SD_SD_EEDaS11_S12_SI_SN_EUlS11_E_NS1_11comp_targetILNS1_3genE3ELNS1_11target_archE908ELNS1_3gpuE7ELNS1_3repE0EEENS1_47radix_sort_onesweep_sort_config_static_selectorELNS0_4arch9wavefront6targetE1EEEvSI_
    .private_segment_fixed_size: 0
    .sgpr_count:     6
    .sgpr_spill_count: 0
    .symbol:         _ZN7rocprim17ROCPRIM_400000_NS6detail17trampoline_kernelINS0_14default_configENS1_35radix_sort_onesweep_config_selectorIjjEEZZNS1_29radix_sort_onesweep_iterationIS3_Lb0EN6thrust23THRUST_200600_302600_NS6detail15normal_iteratorINS8_10device_ptrIjEEEESD_SD_SD_jNS0_19identity_decomposerENS1_16block_id_wrapperIjLb1EEEEE10hipError_tT1_PNSt15iterator_traitsISI_E10value_typeET2_T3_PNSJ_ISO_E10value_typeET4_T5_PST_SU_PNS1_23onesweep_lookback_stateEbbT6_jjT7_P12ihipStream_tbENKUlT_T0_SI_SN_E_clISD_SD_SD_SD_EEDaS11_S12_SI_SN_EUlS11_E_NS1_11comp_targetILNS1_3genE3ELNS1_11target_archE908ELNS1_3gpuE7ELNS1_3repE0EEENS1_47radix_sort_onesweep_sort_config_static_selectorELNS0_4arch9wavefront6targetE1EEEvSI_.kd
    .uniform_work_group_size: 1
    .uses_dynamic_stack: false
    .vgpr_count:     0
    .vgpr_spill_count: 0
    .wavefront_size: 64
  - .agpr_count:     0
    .args:
      - .offset:         0
        .size:           88
        .value_kind:     by_value
    .group_segment_fixed_size: 0
    .kernarg_segment_align: 8
    .kernarg_segment_size: 88
    .language:       OpenCL C
    .language_version:
      - 2
      - 0
    .max_flat_workgroup_size: 1024
    .name:           _ZN7rocprim17ROCPRIM_400000_NS6detail17trampoline_kernelINS0_14default_configENS1_35radix_sort_onesweep_config_selectorIjjEEZZNS1_29radix_sort_onesweep_iterationIS3_Lb0EN6thrust23THRUST_200600_302600_NS6detail15normal_iteratorINS8_10device_ptrIjEEEESD_SD_SD_jNS0_19identity_decomposerENS1_16block_id_wrapperIjLb1EEEEE10hipError_tT1_PNSt15iterator_traitsISI_E10value_typeET2_T3_PNSJ_ISO_E10value_typeET4_T5_PST_SU_PNS1_23onesweep_lookback_stateEbbT6_jjT7_P12ihipStream_tbENKUlT_T0_SI_SN_E_clISD_SD_SD_SD_EEDaS11_S12_SI_SN_EUlS11_E_NS1_11comp_targetILNS1_3genE10ELNS1_11target_archE1201ELNS1_3gpuE5ELNS1_3repE0EEENS1_47radix_sort_onesweep_sort_config_static_selectorELNS0_4arch9wavefront6targetE1EEEvSI_
    .private_segment_fixed_size: 0
    .sgpr_count:     6
    .sgpr_spill_count: 0
    .symbol:         _ZN7rocprim17ROCPRIM_400000_NS6detail17trampoline_kernelINS0_14default_configENS1_35radix_sort_onesweep_config_selectorIjjEEZZNS1_29radix_sort_onesweep_iterationIS3_Lb0EN6thrust23THRUST_200600_302600_NS6detail15normal_iteratorINS8_10device_ptrIjEEEESD_SD_SD_jNS0_19identity_decomposerENS1_16block_id_wrapperIjLb1EEEEE10hipError_tT1_PNSt15iterator_traitsISI_E10value_typeET2_T3_PNSJ_ISO_E10value_typeET4_T5_PST_SU_PNS1_23onesweep_lookback_stateEbbT6_jjT7_P12ihipStream_tbENKUlT_T0_SI_SN_E_clISD_SD_SD_SD_EEDaS11_S12_SI_SN_EUlS11_E_NS1_11comp_targetILNS1_3genE10ELNS1_11target_archE1201ELNS1_3gpuE5ELNS1_3repE0EEENS1_47radix_sort_onesweep_sort_config_static_selectorELNS0_4arch9wavefront6targetE1EEEvSI_.kd
    .uniform_work_group_size: 1
    .uses_dynamic_stack: false
    .vgpr_count:     0
    .vgpr_spill_count: 0
    .wavefront_size: 64
  - .agpr_count:     0
    .args:
      - .offset:         0
        .size:           88
        .value_kind:     by_value
    .group_segment_fixed_size: 0
    .kernarg_segment_align: 8
    .kernarg_segment_size: 88
    .language:       OpenCL C
    .language_version:
      - 2
      - 0
    .max_flat_workgroup_size: 1024
    .name:           _ZN7rocprim17ROCPRIM_400000_NS6detail17trampoline_kernelINS0_14default_configENS1_35radix_sort_onesweep_config_selectorIjjEEZZNS1_29radix_sort_onesweep_iterationIS3_Lb0EN6thrust23THRUST_200600_302600_NS6detail15normal_iteratorINS8_10device_ptrIjEEEESD_SD_SD_jNS0_19identity_decomposerENS1_16block_id_wrapperIjLb1EEEEE10hipError_tT1_PNSt15iterator_traitsISI_E10value_typeET2_T3_PNSJ_ISO_E10value_typeET4_T5_PST_SU_PNS1_23onesweep_lookback_stateEbbT6_jjT7_P12ihipStream_tbENKUlT_T0_SI_SN_E_clISD_SD_SD_SD_EEDaS11_S12_SI_SN_EUlS11_E_NS1_11comp_targetILNS1_3genE9ELNS1_11target_archE1100ELNS1_3gpuE3ELNS1_3repE0EEENS1_47radix_sort_onesweep_sort_config_static_selectorELNS0_4arch9wavefront6targetE1EEEvSI_
    .private_segment_fixed_size: 0
    .sgpr_count:     6
    .sgpr_spill_count: 0
    .symbol:         _ZN7rocprim17ROCPRIM_400000_NS6detail17trampoline_kernelINS0_14default_configENS1_35radix_sort_onesweep_config_selectorIjjEEZZNS1_29radix_sort_onesweep_iterationIS3_Lb0EN6thrust23THRUST_200600_302600_NS6detail15normal_iteratorINS8_10device_ptrIjEEEESD_SD_SD_jNS0_19identity_decomposerENS1_16block_id_wrapperIjLb1EEEEE10hipError_tT1_PNSt15iterator_traitsISI_E10value_typeET2_T3_PNSJ_ISO_E10value_typeET4_T5_PST_SU_PNS1_23onesweep_lookback_stateEbbT6_jjT7_P12ihipStream_tbENKUlT_T0_SI_SN_E_clISD_SD_SD_SD_EEDaS11_S12_SI_SN_EUlS11_E_NS1_11comp_targetILNS1_3genE9ELNS1_11target_archE1100ELNS1_3gpuE3ELNS1_3repE0EEENS1_47radix_sort_onesweep_sort_config_static_selectorELNS0_4arch9wavefront6targetE1EEEvSI_.kd
    .uniform_work_group_size: 1
    .uses_dynamic_stack: false
    .vgpr_count:     0
    .vgpr_spill_count: 0
    .wavefront_size: 64
  - .agpr_count:     0
    .args:
      - .offset:         0
        .size:           88
        .value_kind:     by_value
    .group_segment_fixed_size: 0
    .kernarg_segment_align: 8
    .kernarg_segment_size: 88
    .language:       OpenCL C
    .language_version:
      - 2
      - 0
    .max_flat_workgroup_size: 1024
    .name:           _ZN7rocprim17ROCPRIM_400000_NS6detail17trampoline_kernelINS0_14default_configENS1_35radix_sort_onesweep_config_selectorIjjEEZZNS1_29radix_sort_onesweep_iterationIS3_Lb0EN6thrust23THRUST_200600_302600_NS6detail15normal_iteratorINS8_10device_ptrIjEEEESD_SD_SD_jNS0_19identity_decomposerENS1_16block_id_wrapperIjLb1EEEEE10hipError_tT1_PNSt15iterator_traitsISI_E10value_typeET2_T3_PNSJ_ISO_E10value_typeET4_T5_PST_SU_PNS1_23onesweep_lookback_stateEbbT6_jjT7_P12ihipStream_tbENKUlT_T0_SI_SN_E_clISD_SD_SD_SD_EEDaS11_S12_SI_SN_EUlS11_E_NS1_11comp_targetILNS1_3genE8ELNS1_11target_archE1030ELNS1_3gpuE2ELNS1_3repE0EEENS1_47radix_sort_onesweep_sort_config_static_selectorELNS0_4arch9wavefront6targetE1EEEvSI_
    .private_segment_fixed_size: 0
    .sgpr_count:     6
    .sgpr_spill_count: 0
    .symbol:         _ZN7rocprim17ROCPRIM_400000_NS6detail17trampoline_kernelINS0_14default_configENS1_35radix_sort_onesweep_config_selectorIjjEEZZNS1_29radix_sort_onesweep_iterationIS3_Lb0EN6thrust23THRUST_200600_302600_NS6detail15normal_iteratorINS8_10device_ptrIjEEEESD_SD_SD_jNS0_19identity_decomposerENS1_16block_id_wrapperIjLb1EEEEE10hipError_tT1_PNSt15iterator_traitsISI_E10value_typeET2_T3_PNSJ_ISO_E10value_typeET4_T5_PST_SU_PNS1_23onesweep_lookback_stateEbbT6_jjT7_P12ihipStream_tbENKUlT_T0_SI_SN_E_clISD_SD_SD_SD_EEDaS11_S12_SI_SN_EUlS11_E_NS1_11comp_targetILNS1_3genE8ELNS1_11target_archE1030ELNS1_3gpuE2ELNS1_3repE0EEENS1_47radix_sort_onesweep_sort_config_static_selectorELNS0_4arch9wavefront6targetE1EEEvSI_.kd
    .uniform_work_group_size: 1
    .uses_dynamic_stack: false
    .vgpr_count:     0
    .vgpr_spill_count: 0
    .wavefront_size: 64
  - .agpr_count:     0
    .args:
      - .offset:         0
        .size:           88
        .value_kind:     by_value
    .group_segment_fixed_size: 0
    .kernarg_segment_align: 8
    .kernarg_segment_size: 88
    .language:       OpenCL C
    .language_version:
      - 2
      - 0
    .max_flat_workgroup_size: 256
    .name:           _ZN7rocprim17ROCPRIM_400000_NS6detail17trampoline_kernelINS0_14default_configENS1_35radix_sort_onesweep_config_selectorIjjEEZZNS1_29radix_sort_onesweep_iterationIS3_Lb0EN6thrust23THRUST_200600_302600_NS6detail15normal_iteratorINS8_10device_ptrIjEEEESD_SD_SD_jNS0_19identity_decomposerENS1_16block_id_wrapperIjLb1EEEEE10hipError_tT1_PNSt15iterator_traitsISI_E10value_typeET2_T3_PNSJ_ISO_E10value_typeET4_T5_PST_SU_PNS1_23onesweep_lookback_stateEbbT6_jjT7_P12ihipStream_tbENKUlT_T0_SI_SN_E_clISD_PjSD_S15_EEDaS11_S12_SI_SN_EUlS11_E_NS1_11comp_targetILNS1_3genE0ELNS1_11target_archE4294967295ELNS1_3gpuE0ELNS1_3repE0EEENS1_47radix_sort_onesweep_sort_config_static_selectorELNS0_4arch9wavefront6targetE1EEEvSI_
    .private_segment_fixed_size: 0
    .sgpr_count:     6
    .sgpr_spill_count: 0
    .symbol:         _ZN7rocprim17ROCPRIM_400000_NS6detail17trampoline_kernelINS0_14default_configENS1_35radix_sort_onesweep_config_selectorIjjEEZZNS1_29radix_sort_onesweep_iterationIS3_Lb0EN6thrust23THRUST_200600_302600_NS6detail15normal_iteratorINS8_10device_ptrIjEEEESD_SD_SD_jNS0_19identity_decomposerENS1_16block_id_wrapperIjLb1EEEEE10hipError_tT1_PNSt15iterator_traitsISI_E10value_typeET2_T3_PNSJ_ISO_E10value_typeET4_T5_PST_SU_PNS1_23onesweep_lookback_stateEbbT6_jjT7_P12ihipStream_tbENKUlT_T0_SI_SN_E_clISD_PjSD_S15_EEDaS11_S12_SI_SN_EUlS11_E_NS1_11comp_targetILNS1_3genE0ELNS1_11target_archE4294967295ELNS1_3gpuE0ELNS1_3repE0EEENS1_47radix_sort_onesweep_sort_config_static_selectorELNS0_4arch9wavefront6targetE1EEEvSI_.kd
    .uniform_work_group_size: 1
    .uses_dynamic_stack: false
    .vgpr_count:     0
    .vgpr_spill_count: 0
    .wavefront_size: 64
  - .agpr_count:     0
    .args:
      - .offset:         0
        .size:           88
        .value_kind:     by_value
      - .offset:         88
        .size:           4
        .value_kind:     hidden_block_count_x
      - .offset:         92
        .size:           4
        .value_kind:     hidden_block_count_y
      - .offset:         96
        .size:           4
        .value_kind:     hidden_block_count_z
      - .offset:         100
        .size:           2
        .value_kind:     hidden_group_size_x
      - .offset:         102
        .size:           2
        .value_kind:     hidden_group_size_y
      - .offset:         104
        .size:           2
        .value_kind:     hidden_group_size_z
      - .offset:         106
        .size:           2
        .value_kind:     hidden_remainder_x
      - .offset:         108
        .size:           2
        .value_kind:     hidden_remainder_y
      - .offset:         110
        .size:           2
        .value_kind:     hidden_remainder_z
      - .offset:         128
        .size:           8
        .value_kind:     hidden_global_offset_x
      - .offset:         136
        .size:           8
        .value_kind:     hidden_global_offset_y
      - .offset:         144
        .size:           8
        .value_kind:     hidden_global_offset_z
      - .offset:         152
        .size:           2
        .value_kind:     hidden_grid_dims
    .group_segment_fixed_size: 20552
    .kernarg_segment_align: 8
    .kernarg_segment_size: 344
    .language:       OpenCL C
    .language_version:
      - 2
      - 0
    .max_flat_workgroup_size: 1024
    .name:           _ZN7rocprim17ROCPRIM_400000_NS6detail17trampoline_kernelINS0_14default_configENS1_35radix_sort_onesweep_config_selectorIjjEEZZNS1_29radix_sort_onesweep_iterationIS3_Lb0EN6thrust23THRUST_200600_302600_NS6detail15normal_iteratorINS8_10device_ptrIjEEEESD_SD_SD_jNS0_19identity_decomposerENS1_16block_id_wrapperIjLb1EEEEE10hipError_tT1_PNSt15iterator_traitsISI_E10value_typeET2_T3_PNSJ_ISO_E10value_typeET4_T5_PST_SU_PNS1_23onesweep_lookback_stateEbbT6_jjT7_P12ihipStream_tbENKUlT_T0_SI_SN_E_clISD_PjSD_S15_EEDaS11_S12_SI_SN_EUlS11_E_NS1_11comp_targetILNS1_3genE6ELNS1_11target_archE950ELNS1_3gpuE13ELNS1_3repE0EEENS1_47radix_sort_onesweep_sort_config_static_selectorELNS0_4arch9wavefront6targetE1EEEvSI_
    .private_segment_fixed_size: 80
    .sgpr_count:     79
    .sgpr_spill_count: 0
    .symbol:         _ZN7rocprim17ROCPRIM_400000_NS6detail17trampoline_kernelINS0_14default_configENS1_35radix_sort_onesweep_config_selectorIjjEEZZNS1_29radix_sort_onesweep_iterationIS3_Lb0EN6thrust23THRUST_200600_302600_NS6detail15normal_iteratorINS8_10device_ptrIjEEEESD_SD_SD_jNS0_19identity_decomposerENS1_16block_id_wrapperIjLb1EEEEE10hipError_tT1_PNSt15iterator_traitsISI_E10value_typeET2_T3_PNSJ_ISO_E10value_typeET4_T5_PST_SU_PNS1_23onesweep_lookback_stateEbbT6_jjT7_P12ihipStream_tbENKUlT_T0_SI_SN_E_clISD_PjSD_S15_EEDaS11_S12_SI_SN_EUlS11_E_NS1_11comp_targetILNS1_3genE6ELNS1_11target_archE950ELNS1_3gpuE13ELNS1_3repE0EEENS1_47radix_sort_onesweep_sort_config_static_selectorELNS0_4arch9wavefront6targetE1EEEvSI_.kd
    .uniform_work_group_size: 1
    .uses_dynamic_stack: false
    .vgpr_count:     89
    .vgpr_spill_count: 0
    .wavefront_size: 64
  - .agpr_count:     0
    .args:
      - .offset:         0
        .size:           88
        .value_kind:     by_value
    .group_segment_fixed_size: 0
    .kernarg_segment_align: 8
    .kernarg_segment_size: 88
    .language:       OpenCL C
    .language_version:
      - 2
      - 0
    .max_flat_workgroup_size: 1024
    .name:           _ZN7rocprim17ROCPRIM_400000_NS6detail17trampoline_kernelINS0_14default_configENS1_35radix_sort_onesweep_config_selectorIjjEEZZNS1_29radix_sort_onesweep_iterationIS3_Lb0EN6thrust23THRUST_200600_302600_NS6detail15normal_iteratorINS8_10device_ptrIjEEEESD_SD_SD_jNS0_19identity_decomposerENS1_16block_id_wrapperIjLb1EEEEE10hipError_tT1_PNSt15iterator_traitsISI_E10value_typeET2_T3_PNSJ_ISO_E10value_typeET4_T5_PST_SU_PNS1_23onesweep_lookback_stateEbbT6_jjT7_P12ihipStream_tbENKUlT_T0_SI_SN_E_clISD_PjSD_S15_EEDaS11_S12_SI_SN_EUlS11_E_NS1_11comp_targetILNS1_3genE5ELNS1_11target_archE942ELNS1_3gpuE9ELNS1_3repE0EEENS1_47radix_sort_onesweep_sort_config_static_selectorELNS0_4arch9wavefront6targetE1EEEvSI_
    .private_segment_fixed_size: 0
    .sgpr_count:     6
    .sgpr_spill_count: 0
    .symbol:         _ZN7rocprim17ROCPRIM_400000_NS6detail17trampoline_kernelINS0_14default_configENS1_35radix_sort_onesweep_config_selectorIjjEEZZNS1_29radix_sort_onesweep_iterationIS3_Lb0EN6thrust23THRUST_200600_302600_NS6detail15normal_iteratorINS8_10device_ptrIjEEEESD_SD_SD_jNS0_19identity_decomposerENS1_16block_id_wrapperIjLb1EEEEE10hipError_tT1_PNSt15iterator_traitsISI_E10value_typeET2_T3_PNSJ_ISO_E10value_typeET4_T5_PST_SU_PNS1_23onesweep_lookback_stateEbbT6_jjT7_P12ihipStream_tbENKUlT_T0_SI_SN_E_clISD_PjSD_S15_EEDaS11_S12_SI_SN_EUlS11_E_NS1_11comp_targetILNS1_3genE5ELNS1_11target_archE942ELNS1_3gpuE9ELNS1_3repE0EEENS1_47radix_sort_onesweep_sort_config_static_selectorELNS0_4arch9wavefront6targetE1EEEvSI_.kd
    .uniform_work_group_size: 1
    .uses_dynamic_stack: false
    .vgpr_count:     0
    .vgpr_spill_count: 0
    .wavefront_size: 64
  - .agpr_count:     0
    .args:
      - .offset:         0
        .size:           88
        .value_kind:     by_value
    .group_segment_fixed_size: 0
    .kernarg_segment_align: 8
    .kernarg_segment_size: 88
    .language:       OpenCL C
    .language_version:
      - 2
      - 0
    .max_flat_workgroup_size: 512
    .name:           _ZN7rocprim17ROCPRIM_400000_NS6detail17trampoline_kernelINS0_14default_configENS1_35radix_sort_onesweep_config_selectorIjjEEZZNS1_29radix_sort_onesweep_iterationIS3_Lb0EN6thrust23THRUST_200600_302600_NS6detail15normal_iteratorINS8_10device_ptrIjEEEESD_SD_SD_jNS0_19identity_decomposerENS1_16block_id_wrapperIjLb1EEEEE10hipError_tT1_PNSt15iterator_traitsISI_E10value_typeET2_T3_PNSJ_ISO_E10value_typeET4_T5_PST_SU_PNS1_23onesweep_lookback_stateEbbT6_jjT7_P12ihipStream_tbENKUlT_T0_SI_SN_E_clISD_PjSD_S15_EEDaS11_S12_SI_SN_EUlS11_E_NS1_11comp_targetILNS1_3genE2ELNS1_11target_archE906ELNS1_3gpuE6ELNS1_3repE0EEENS1_47radix_sort_onesweep_sort_config_static_selectorELNS0_4arch9wavefront6targetE1EEEvSI_
    .private_segment_fixed_size: 0
    .sgpr_count:     6
    .sgpr_spill_count: 0
    .symbol:         _ZN7rocprim17ROCPRIM_400000_NS6detail17trampoline_kernelINS0_14default_configENS1_35radix_sort_onesweep_config_selectorIjjEEZZNS1_29radix_sort_onesweep_iterationIS3_Lb0EN6thrust23THRUST_200600_302600_NS6detail15normal_iteratorINS8_10device_ptrIjEEEESD_SD_SD_jNS0_19identity_decomposerENS1_16block_id_wrapperIjLb1EEEEE10hipError_tT1_PNSt15iterator_traitsISI_E10value_typeET2_T3_PNSJ_ISO_E10value_typeET4_T5_PST_SU_PNS1_23onesweep_lookback_stateEbbT6_jjT7_P12ihipStream_tbENKUlT_T0_SI_SN_E_clISD_PjSD_S15_EEDaS11_S12_SI_SN_EUlS11_E_NS1_11comp_targetILNS1_3genE2ELNS1_11target_archE906ELNS1_3gpuE6ELNS1_3repE0EEENS1_47radix_sort_onesweep_sort_config_static_selectorELNS0_4arch9wavefront6targetE1EEEvSI_.kd
    .uniform_work_group_size: 1
    .uses_dynamic_stack: false
    .vgpr_count:     0
    .vgpr_spill_count: 0
    .wavefront_size: 64
  - .agpr_count:     0
    .args:
      - .offset:         0
        .size:           88
        .value_kind:     by_value
    .group_segment_fixed_size: 0
    .kernarg_segment_align: 8
    .kernarg_segment_size: 88
    .language:       OpenCL C
    .language_version:
      - 2
      - 0
    .max_flat_workgroup_size: 512
    .name:           _ZN7rocprim17ROCPRIM_400000_NS6detail17trampoline_kernelINS0_14default_configENS1_35radix_sort_onesweep_config_selectorIjjEEZZNS1_29radix_sort_onesweep_iterationIS3_Lb0EN6thrust23THRUST_200600_302600_NS6detail15normal_iteratorINS8_10device_ptrIjEEEESD_SD_SD_jNS0_19identity_decomposerENS1_16block_id_wrapperIjLb1EEEEE10hipError_tT1_PNSt15iterator_traitsISI_E10value_typeET2_T3_PNSJ_ISO_E10value_typeET4_T5_PST_SU_PNS1_23onesweep_lookback_stateEbbT6_jjT7_P12ihipStream_tbENKUlT_T0_SI_SN_E_clISD_PjSD_S15_EEDaS11_S12_SI_SN_EUlS11_E_NS1_11comp_targetILNS1_3genE4ELNS1_11target_archE910ELNS1_3gpuE8ELNS1_3repE0EEENS1_47radix_sort_onesweep_sort_config_static_selectorELNS0_4arch9wavefront6targetE1EEEvSI_
    .private_segment_fixed_size: 0
    .sgpr_count:     6
    .sgpr_spill_count: 0
    .symbol:         _ZN7rocprim17ROCPRIM_400000_NS6detail17trampoline_kernelINS0_14default_configENS1_35radix_sort_onesweep_config_selectorIjjEEZZNS1_29radix_sort_onesweep_iterationIS3_Lb0EN6thrust23THRUST_200600_302600_NS6detail15normal_iteratorINS8_10device_ptrIjEEEESD_SD_SD_jNS0_19identity_decomposerENS1_16block_id_wrapperIjLb1EEEEE10hipError_tT1_PNSt15iterator_traitsISI_E10value_typeET2_T3_PNSJ_ISO_E10value_typeET4_T5_PST_SU_PNS1_23onesweep_lookback_stateEbbT6_jjT7_P12ihipStream_tbENKUlT_T0_SI_SN_E_clISD_PjSD_S15_EEDaS11_S12_SI_SN_EUlS11_E_NS1_11comp_targetILNS1_3genE4ELNS1_11target_archE910ELNS1_3gpuE8ELNS1_3repE0EEENS1_47radix_sort_onesweep_sort_config_static_selectorELNS0_4arch9wavefront6targetE1EEEvSI_.kd
    .uniform_work_group_size: 1
    .uses_dynamic_stack: false
    .vgpr_count:     0
    .vgpr_spill_count: 0
    .wavefront_size: 64
  - .agpr_count:     0
    .args:
      - .offset:         0
        .size:           88
        .value_kind:     by_value
    .group_segment_fixed_size: 0
    .kernarg_segment_align: 8
    .kernarg_segment_size: 88
    .language:       OpenCL C
    .language_version:
      - 2
      - 0
    .max_flat_workgroup_size: 256
    .name:           _ZN7rocprim17ROCPRIM_400000_NS6detail17trampoline_kernelINS0_14default_configENS1_35radix_sort_onesweep_config_selectorIjjEEZZNS1_29radix_sort_onesweep_iterationIS3_Lb0EN6thrust23THRUST_200600_302600_NS6detail15normal_iteratorINS8_10device_ptrIjEEEESD_SD_SD_jNS0_19identity_decomposerENS1_16block_id_wrapperIjLb1EEEEE10hipError_tT1_PNSt15iterator_traitsISI_E10value_typeET2_T3_PNSJ_ISO_E10value_typeET4_T5_PST_SU_PNS1_23onesweep_lookback_stateEbbT6_jjT7_P12ihipStream_tbENKUlT_T0_SI_SN_E_clISD_PjSD_S15_EEDaS11_S12_SI_SN_EUlS11_E_NS1_11comp_targetILNS1_3genE3ELNS1_11target_archE908ELNS1_3gpuE7ELNS1_3repE0EEENS1_47radix_sort_onesweep_sort_config_static_selectorELNS0_4arch9wavefront6targetE1EEEvSI_
    .private_segment_fixed_size: 0
    .sgpr_count:     6
    .sgpr_spill_count: 0
    .symbol:         _ZN7rocprim17ROCPRIM_400000_NS6detail17trampoline_kernelINS0_14default_configENS1_35radix_sort_onesweep_config_selectorIjjEEZZNS1_29radix_sort_onesweep_iterationIS3_Lb0EN6thrust23THRUST_200600_302600_NS6detail15normal_iteratorINS8_10device_ptrIjEEEESD_SD_SD_jNS0_19identity_decomposerENS1_16block_id_wrapperIjLb1EEEEE10hipError_tT1_PNSt15iterator_traitsISI_E10value_typeET2_T3_PNSJ_ISO_E10value_typeET4_T5_PST_SU_PNS1_23onesweep_lookback_stateEbbT6_jjT7_P12ihipStream_tbENKUlT_T0_SI_SN_E_clISD_PjSD_S15_EEDaS11_S12_SI_SN_EUlS11_E_NS1_11comp_targetILNS1_3genE3ELNS1_11target_archE908ELNS1_3gpuE7ELNS1_3repE0EEENS1_47radix_sort_onesweep_sort_config_static_selectorELNS0_4arch9wavefront6targetE1EEEvSI_.kd
    .uniform_work_group_size: 1
    .uses_dynamic_stack: false
    .vgpr_count:     0
    .vgpr_spill_count: 0
    .wavefront_size: 64
  - .agpr_count:     0
    .args:
      - .offset:         0
        .size:           88
        .value_kind:     by_value
    .group_segment_fixed_size: 0
    .kernarg_segment_align: 8
    .kernarg_segment_size: 88
    .language:       OpenCL C
    .language_version:
      - 2
      - 0
    .max_flat_workgroup_size: 1024
    .name:           _ZN7rocprim17ROCPRIM_400000_NS6detail17trampoline_kernelINS0_14default_configENS1_35radix_sort_onesweep_config_selectorIjjEEZZNS1_29radix_sort_onesweep_iterationIS3_Lb0EN6thrust23THRUST_200600_302600_NS6detail15normal_iteratorINS8_10device_ptrIjEEEESD_SD_SD_jNS0_19identity_decomposerENS1_16block_id_wrapperIjLb1EEEEE10hipError_tT1_PNSt15iterator_traitsISI_E10value_typeET2_T3_PNSJ_ISO_E10value_typeET4_T5_PST_SU_PNS1_23onesweep_lookback_stateEbbT6_jjT7_P12ihipStream_tbENKUlT_T0_SI_SN_E_clISD_PjSD_S15_EEDaS11_S12_SI_SN_EUlS11_E_NS1_11comp_targetILNS1_3genE10ELNS1_11target_archE1201ELNS1_3gpuE5ELNS1_3repE0EEENS1_47radix_sort_onesweep_sort_config_static_selectorELNS0_4arch9wavefront6targetE1EEEvSI_
    .private_segment_fixed_size: 0
    .sgpr_count:     6
    .sgpr_spill_count: 0
    .symbol:         _ZN7rocprim17ROCPRIM_400000_NS6detail17trampoline_kernelINS0_14default_configENS1_35radix_sort_onesweep_config_selectorIjjEEZZNS1_29radix_sort_onesweep_iterationIS3_Lb0EN6thrust23THRUST_200600_302600_NS6detail15normal_iteratorINS8_10device_ptrIjEEEESD_SD_SD_jNS0_19identity_decomposerENS1_16block_id_wrapperIjLb1EEEEE10hipError_tT1_PNSt15iterator_traitsISI_E10value_typeET2_T3_PNSJ_ISO_E10value_typeET4_T5_PST_SU_PNS1_23onesweep_lookback_stateEbbT6_jjT7_P12ihipStream_tbENKUlT_T0_SI_SN_E_clISD_PjSD_S15_EEDaS11_S12_SI_SN_EUlS11_E_NS1_11comp_targetILNS1_3genE10ELNS1_11target_archE1201ELNS1_3gpuE5ELNS1_3repE0EEENS1_47radix_sort_onesweep_sort_config_static_selectorELNS0_4arch9wavefront6targetE1EEEvSI_.kd
    .uniform_work_group_size: 1
    .uses_dynamic_stack: false
    .vgpr_count:     0
    .vgpr_spill_count: 0
    .wavefront_size: 64
  - .agpr_count:     0
    .args:
      - .offset:         0
        .size:           88
        .value_kind:     by_value
    .group_segment_fixed_size: 0
    .kernarg_segment_align: 8
    .kernarg_segment_size: 88
    .language:       OpenCL C
    .language_version:
      - 2
      - 0
    .max_flat_workgroup_size: 1024
    .name:           _ZN7rocprim17ROCPRIM_400000_NS6detail17trampoline_kernelINS0_14default_configENS1_35radix_sort_onesweep_config_selectorIjjEEZZNS1_29radix_sort_onesweep_iterationIS3_Lb0EN6thrust23THRUST_200600_302600_NS6detail15normal_iteratorINS8_10device_ptrIjEEEESD_SD_SD_jNS0_19identity_decomposerENS1_16block_id_wrapperIjLb1EEEEE10hipError_tT1_PNSt15iterator_traitsISI_E10value_typeET2_T3_PNSJ_ISO_E10value_typeET4_T5_PST_SU_PNS1_23onesweep_lookback_stateEbbT6_jjT7_P12ihipStream_tbENKUlT_T0_SI_SN_E_clISD_PjSD_S15_EEDaS11_S12_SI_SN_EUlS11_E_NS1_11comp_targetILNS1_3genE9ELNS1_11target_archE1100ELNS1_3gpuE3ELNS1_3repE0EEENS1_47radix_sort_onesweep_sort_config_static_selectorELNS0_4arch9wavefront6targetE1EEEvSI_
    .private_segment_fixed_size: 0
    .sgpr_count:     6
    .sgpr_spill_count: 0
    .symbol:         _ZN7rocprim17ROCPRIM_400000_NS6detail17trampoline_kernelINS0_14default_configENS1_35radix_sort_onesweep_config_selectorIjjEEZZNS1_29radix_sort_onesweep_iterationIS3_Lb0EN6thrust23THRUST_200600_302600_NS6detail15normal_iteratorINS8_10device_ptrIjEEEESD_SD_SD_jNS0_19identity_decomposerENS1_16block_id_wrapperIjLb1EEEEE10hipError_tT1_PNSt15iterator_traitsISI_E10value_typeET2_T3_PNSJ_ISO_E10value_typeET4_T5_PST_SU_PNS1_23onesweep_lookback_stateEbbT6_jjT7_P12ihipStream_tbENKUlT_T0_SI_SN_E_clISD_PjSD_S15_EEDaS11_S12_SI_SN_EUlS11_E_NS1_11comp_targetILNS1_3genE9ELNS1_11target_archE1100ELNS1_3gpuE3ELNS1_3repE0EEENS1_47radix_sort_onesweep_sort_config_static_selectorELNS0_4arch9wavefront6targetE1EEEvSI_.kd
    .uniform_work_group_size: 1
    .uses_dynamic_stack: false
    .vgpr_count:     0
    .vgpr_spill_count: 0
    .wavefront_size: 64
  - .agpr_count:     0
    .args:
      - .offset:         0
        .size:           88
        .value_kind:     by_value
    .group_segment_fixed_size: 0
    .kernarg_segment_align: 8
    .kernarg_segment_size: 88
    .language:       OpenCL C
    .language_version:
      - 2
      - 0
    .max_flat_workgroup_size: 1024
    .name:           _ZN7rocprim17ROCPRIM_400000_NS6detail17trampoline_kernelINS0_14default_configENS1_35radix_sort_onesweep_config_selectorIjjEEZZNS1_29radix_sort_onesweep_iterationIS3_Lb0EN6thrust23THRUST_200600_302600_NS6detail15normal_iteratorINS8_10device_ptrIjEEEESD_SD_SD_jNS0_19identity_decomposerENS1_16block_id_wrapperIjLb1EEEEE10hipError_tT1_PNSt15iterator_traitsISI_E10value_typeET2_T3_PNSJ_ISO_E10value_typeET4_T5_PST_SU_PNS1_23onesweep_lookback_stateEbbT6_jjT7_P12ihipStream_tbENKUlT_T0_SI_SN_E_clISD_PjSD_S15_EEDaS11_S12_SI_SN_EUlS11_E_NS1_11comp_targetILNS1_3genE8ELNS1_11target_archE1030ELNS1_3gpuE2ELNS1_3repE0EEENS1_47radix_sort_onesweep_sort_config_static_selectorELNS0_4arch9wavefront6targetE1EEEvSI_
    .private_segment_fixed_size: 0
    .sgpr_count:     6
    .sgpr_spill_count: 0
    .symbol:         _ZN7rocprim17ROCPRIM_400000_NS6detail17trampoline_kernelINS0_14default_configENS1_35radix_sort_onesweep_config_selectorIjjEEZZNS1_29radix_sort_onesweep_iterationIS3_Lb0EN6thrust23THRUST_200600_302600_NS6detail15normal_iteratorINS8_10device_ptrIjEEEESD_SD_SD_jNS0_19identity_decomposerENS1_16block_id_wrapperIjLb1EEEEE10hipError_tT1_PNSt15iterator_traitsISI_E10value_typeET2_T3_PNSJ_ISO_E10value_typeET4_T5_PST_SU_PNS1_23onesweep_lookback_stateEbbT6_jjT7_P12ihipStream_tbENKUlT_T0_SI_SN_E_clISD_PjSD_S15_EEDaS11_S12_SI_SN_EUlS11_E_NS1_11comp_targetILNS1_3genE8ELNS1_11target_archE1030ELNS1_3gpuE2ELNS1_3repE0EEENS1_47radix_sort_onesweep_sort_config_static_selectorELNS0_4arch9wavefront6targetE1EEEvSI_.kd
    .uniform_work_group_size: 1
    .uses_dynamic_stack: false
    .vgpr_count:     0
    .vgpr_spill_count: 0
    .wavefront_size: 64
  - .agpr_count:     0
    .args:
      - .offset:         0
        .size:           88
        .value_kind:     by_value
    .group_segment_fixed_size: 0
    .kernarg_segment_align: 8
    .kernarg_segment_size: 88
    .language:       OpenCL C
    .language_version:
      - 2
      - 0
    .max_flat_workgroup_size: 256
    .name:           _ZN7rocprim17ROCPRIM_400000_NS6detail17trampoline_kernelINS0_14default_configENS1_35radix_sort_onesweep_config_selectorIjjEEZZNS1_29radix_sort_onesweep_iterationIS3_Lb0EN6thrust23THRUST_200600_302600_NS6detail15normal_iteratorINS8_10device_ptrIjEEEESD_SD_SD_jNS0_19identity_decomposerENS1_16block_id_wrapperIjLb1EEEEE10hipError_tT1_PNSt15iterator_traitsISI_E10value_typeET2_T3_PNSJ_ISO_E10value_typeET4_T5_PST_SU_PNS1_23onesweep_lookback_stateEbbT6_jjT7_P12ihipStream_tbENKUlT_T0_SI_SN_E_clIPjSD_S15_SD_EEDaS11_S12_SI_SN_EUlS11_E_NS1_11comp_targetILNS1_3genE0ELNS1_11target_archE4294967295ELNS1_3gpuE0ELNS1_3repE0EEENS1_47radix_sort_onesweep_sort_config_static_selectorELNS0_4arch9wavefront6targetE1EEEvSI_
    .private_segment_fixed_size: 0
    .sgpr_count:     6
    .sgpr_spill_count: 0
    .symbol:         _ZN7rocprim17ROCPRIM_400000_NS6detail17trampoline_kernelINS0_14default_configENS1_35radix_sort_onesweep_config_selectorIjjEEZZNS1_29radix_sort_onesweep_iterationIS3_Lb0EN6thrust23THRUST_200600_302600_NS6detail15normal_iteratorINS8_10device_ptrIjEEEESD_SD_SD_jNS0_19identity_decomposerENS1_16block_id_wrapperIjLb1EEEEE10hipError_tT1_PNSt15iterator_traitsISI_E10value_typeET2_T3_PNSJ_ISO_E10value_typeET4_T5_PST_SU_PNS1_23onesweep_lookback_stateEbbT6_jjT7_P12ihipStream_tbENKUlT_T0_SI_SN_E_clIPjSD_S15_SD_EEDaS11_S12_SI_SN_EUlS11_E_NS1_11comp_targetILNS1_3genE0ELNS1_11target_archE4294967295ELNS1_3gpuE0ELNS1_3repE0EEENS1_47radix_sort_onesweep_sort_config_static_selectorELNS0_4arch9wavefront6targetE1EEEvSI_.kd
    .uniform_work_group_size: 1
    .uses_dynamic_stack: false
    .vgpr_count:     0
    .vgpr_spill_count: 0
    .wavefront_size: 64
  - .agpr_count:     0
    .args:
      - .offset:         0
        .size:           88
        .value_kind:     by_value
      - .offset:         88
        .size:           4
        .value_kind:     hidden_block_count_x
      - .offset:         92
        .size:           4
        .value_kind:     hidden_block_count_y
      - .offset:         96
        .size:           4
        .value_kind:     hidden_block_count_z
      - .offset:         100
        .size:           2
        .value_kind:     hidden_group_size_x
      - .offset:         102
        .size:           2
        .value_kind:     hidden_group_size_y
      - .offset:         104
        .size:           2
        .value_kind:     hidden_group_size_z
      - .offset:         106
        .size:           2
        .value_kind:     hidden_remainder_x
      - .offset:         108
        .size:           2
        .value_kind:     hidden_remainder_y
      - .offset:         110
        .size:           2
        .value_kind:     hidden_remainder_z
      - .offset:         128
        .size:           8
        .value_kind:     hidden_global_offset_x
      - .offset:         136
        .size:           8
        .value_kind:     hidden_global_offset_y
      - .offset:         144
        .size:           8
        .value_kind:     hidden_global_offset_z
      - .offset:         152
        .size:           2
        .value_kind:     hidden_grid_dims
    .group_segment_fixed_size: 20552
    .kernarg_segment_align: 8
    .kernarg_segment_size: 344
    .language:       OpenCL C
    .language_version:
      - 2
      - 0
    .max_flat_workgroup_size: 1024
    .name:           _ZN7rocprim17ROCPRIM_400000_NS6detail17trampoline_kernelINS0_14default_configENS1_35radix_sort_onesweep_config_selectorIjjEEZZNS1_29radix_sort_onesweep_iterationIS3_Lb0EN6thrust23THRUST_200600_302600_NS6detail15normal_iteratorINS8_10device_ptrIjEEEESD_SD_SD_jNS0_19identity_decomposerENS1_16block_id_wrapperIjLb1EEEEE10hipError_tT1_PNSt15iterator_traitsISI_E10value_typeET2_T3_PNSJ_ISO_E10value_typeET4_T5_PST_SU_PNS1_23onesweep_lookback_stateEbbT6_jjT7_P12ihipStream_tbENKUlT_T0_SI_SN_E_clIPjSD_S15_SD_EEDaS11_S12_SI_SN_EUlS11_E_NS1_11comp_targetILNS1_3genE6ELNS1_11target_archE950ELNS1_3gpuE13ELNS1_3repE0EEENS1_47radix_sort_onesweep_sort_config_static_selectorELNS0_4arch9wavefront6targetE1EEEvSI_
    .private_segment_fixed_size: 80
    .sgpr_count:     79
    .sgpr_spill_count: 0
    .symbol:         _ZN7rocprim17ROCPRIM_400000_NS6detail17trampoline_kernelINS0_14default_configENS1_35radix_sort_onesweep_config_selectorIjjEEZZNS1_29radix_sort_onesweep_iterationIS3_Lb0EN6thrust23THRUST_200600_302600_NS6detail15normal_iteratorINS8_10device_ptrIjEEEESD_SD_SD_jNS0_19identity_decomposerENS1_16block_id_wrapperIjLb1EEEEE10hipError_tT1_PNSt15iterator_traitsISI_E10value_typeET2_T3_PNSJ_ISO_E10value_typeET4_T5_PST_SU_PNS1_23onesweep_lookback_stateEbbT6_jjT7_P12ihipStream_tbENKUlT_T0_SI_SN_E_clIPjSD_S15_SD_EEDaS11_S12_SI_SN_EUlS11_E_NS1_11comp_targetILNS1_3genE6ELNS1_11target_archE950ELNS1_3gpuE13ELNS1_3repE0EEENS1_47radix_sort_onesweep_sort_config_static_selectorELNS0_4arch9wavefront6targetE1EEEvSI_.kd
    .uniform_work_group_size: 1
    .uses_dynamic_stack: false
    .vgpr_count:     89
    .vgpr_spill_count: 0
    .wavefront_size: 64
  - .agpr_count:     0
    .args:
      - .offset:         0
        .size:           88
        .value_kind:     by_value
    .group_segment_fixed_size: 0
    .kernarg_segment_align: 8
    .kernarg_segment_size: 88
    .language:       OpenCL C
    .language_version:
      - 2
      - 0
    .max_flat_workgroup_size: 1024
    .name:           _ZN7rocprim17ROCPRIM_400000_NS6detail17trampoline_kernelINS0_14default_configENS1_35radix_sort_onesweep_config_selectorIjjEEZZNS1_29radix_sort_onesweep_iterationIS3_Lb0EN6thrust23THRUST_200600_302600_NS6detail15normal_iteratorINS8_10device_ptrIjEEEESD_SD_SD_jNS0_19identity_decomposerENS1_16block_id_wrapperIjLb1EEEEE10hipError_tT1_PNSt15iterator_traitsISI_E10value_typeET2_T3_PNSJ_ISO_E10value_typeET4_T5_PST_SU_PNS1_23onesweep_lookback_stateEbbT6_jjT7_P12ihipStream_tbENKUlT_T0_SI_SN_E_clIPjSD_S15_SD_EEDaS11_S12_SI_SN_EUlS11_E_NS1_11comp_targetILNS1_3genE5ELNS1_11target_archE942ELNS1_3gpuE9ELNS1_3repE0EEENS1_47radix_sort_onesweep_sort_config_static_selectorELNS0_4arch9wavefront6targetE1EEEvSI_
    .private_segment_fixed_size: 0
    .sgpr_count:     6
    .sgpr_spill_count: 0
    .symbol:         _ZN7rocprim17ROCPRIM_400000_NS6detail17trampoline_kernelINS0_14default_configENS1_35radix_sort_onesweep_config_selectorIjjEEZZNS1_29radix_sort_onesweep_iterationIS3_Lb0EN6thrust23THRUST_200600_302600_NS6detail15normal_iteratorINS8_10device_ptrIjEEEESD_SD_SD_jNS0_19identity_decomposerENS1_16block_id_wrapperIjLb1EEEEE10hipError_tT1_PNSt15iterator_traitsISI_E10value_typeET2_T3_PNSJ_ISO_E10value_typeET4_T5_PST_SU_PNS1_23onesweep_lookback_stateEbbT6_jjT7_P12ihipStream_tbENKUlT_T0_SI_SN_E_clIPjSD_S15_SD_EEDaS11_S12_SI_SN_EUlS11_E_NS1_11comp_targetILNS1_3genE5ELNS1_11target_archE942ELNS1_3gpuE9ELNS1_3repE0EEENS1_47radix_sort_onesweep_sort_config_static_selectorELNS0_4arch9wavefront6targetE1EEEvSI_.kd
    .uniform_work_group_size: 1
    .uses_dynamic_stack: false
    .vgpr_count:     0
    .vgpr_spill_count: 0
    .wavefront_size: 64
  - .agpr_count:     0
    .args:
      - .offset:         0
        .size:           88
        .value_kind:     by_value
    .group_segment_fixed_size: 0
    .kernarg_segment_align: 8
    .kernarg_segment_size: 88
    .language:       OpenCL C
    .language_version:
      - 2
      - 0
    .max_flat_workgroup_size: 512
    .name:           _ZN7rocprim17ROCPRIM_400000_NS6detail17trampoline_kernelINS0_14default_configENS1_35radix_sort_onesweep_config_selectorIjjEEZZNS1_29radix_sort_onesweep_iterationIS3_Lb0EN6thrust23THRUST_200600_302600_NS6detail15normal_iteratorINS8_10device_ptrIjEEEESD_SD_SD_jNS0_19identity_decomposerENS1_16block_id_wrapperIjLb1EEEEE10hipError_tT1_PNSt15iterator_traitsISI_E10value_typeET2_T3_PNSJ_ISO_E10value_typeET4_T5_PST_SU_PNS1_23onesweep_lookback_stateEbbT6_jjT7_P12ihipStream_tbENKUlT_T0_SI_SN_E_clIPjSD_S15_SD_EEDaS11_S12_SI_SN_EUlS11_E_NS1_11comp_targetILNS1_3genE2ELNS1_11target_archE906ELNS1_3gpuE6ELNS1_3repE0EEENS1_47radix_sort_onesweep_sort_config_static_selectorELNS0_4arch9wavefront6targetE1EEEvSI_
    .private_segment_fixed_size: 0
    .sgpr_count:     6
    .sgpr_spill_count: 0
    .symbol:         _ZN7rocprim17ROCPRIM_400000_NS6detail17trampoline_kernelINS0_14default_configENS1_35radix_sort_onesweep_config_selectorIjjEEZZNS1_29radix_sort_onesweep_iterationIS3_Lb0EN6thrust23THRUST_200600_302600_NS6detail15normal_iteratorINS8_10device_ptrIjEEEESD_SD_SD_jNS0_19identity_decomposerENS1_16block_id_wrapperIjLb1EEEEE10hipError_tT1_PNSt15iterator_traitsISI_E10value_typeET2_T3_PNSJ_ISO_E10value_typeET4_T5_PST_SU_PNS1_23onesweep_lookback_stateEbbT6_jjT7_P12ihipStream_tbENKUlT_T0_SI_SN_E_clIPjSD_S15_SD_EEDaS11_S12_SI_SN_EUlS11_E_NS1_11comp_targetILNS1_3genE2ELNS1_11target_archE906ELNS1_3gpuE6ELNS1_3repE0EEENS1_47radix_sort_onesweep_sort_config_static_selectorELNS0_4arch9wavefront6targetE1EEEvSI_.kd
    .uniform_work_group_size: 1
    .uses_dynamic_stack: false
    .vgpr_count:     0
    .vgpr_spill_count: 0
    .wavefront_size: 64
  - .agpr_count:     0
    .args:
      - .offset:         0
        .size:           88
        .value_kind:     by_value
    .group_segment_fixed_size: 0
    .kernarg_segment_align: 8
    .kernarg_segment_size: 88
    .language:       OpenCL C
    .language_version:
      - 2
      - 0
    .max_flat_workgroup_size: 512
    .name:           _ZN7rocprim17ROCPRIM_400000_NS6detail17trampoline_kernelINS0_14default_configENS1_35radix_sort_onesweep_config_selectorIjjEEZZNS1_29radix_sort_onesweep_iterationIS3_Lb0EN6thrust23THRUST_200600_302600_NS6detail15normal_iteratorINS8_10device_ptrIjEEEESD_SD_SD_jNS0_19identity_decomposerENS1_16block_id_wrapperIjLb1EEEEE10hipError_tT1_PNSt15iterator_traitsISI_E10value_typeET2_T3_PNSJ_ISO_E10value_typeET4_T5_PST_SU_PNS1_23onesweep_lookback_stateEbbT6_jjT7_P12ihipStream_tbENKUlT_T0_SI_SN_E_clIPjSD_S15_SD_EEDaS11_S12_SI_SN_EUlS11_E_NS1_11comp_targetILNS1_3genE4ELNS1_11target_archE910ELNS1_3gpuE8ELNS1_3repE0EEENS1_47radix_sort_onesweep_sort_config_static_selectorELNS0_4arch9wavefront6targetE1EEEvSI_
    .private_segment_fixed_size: 0
    .sgpr_count:     6
    .sgpr_spill_count: 0
    .symbol:         _ZN7rocprim17ROCPRIM_400000_NS6detail17trampoline_kernelINS0_14default_configENS1_35radix_sort_onesweep_config_selectorIjjEEZZNS1_29radix_sort_onesweep_iterationIS3_Lb0EN6thrust23THRUST_200600_302600_NS6detail15normal_iteratorINS8_10device_ptrIjEEEESD_SD_SD_jNS0_19identity_decomposerENS1_16block_id_wrapperIjLb1EEEEE10hipError_tT1_PNSt15iterator_traitsISI_E10value_typeET2_T3_PNSJ_ISO_E10value_typeET4_T5_PST_SU_PNS1_23onesweep_lookback_stateEbbT6_jjT7_P12ihipStream_tbENKUlT_T0_SI_SN_E_clIPjSD_S15_SD_EEDaS11_S12_SI_SN_EUlS11_E_NS1_11comp_targetILNS1_3genE4ELNS1_11target_archE910ELNS1_3gpuE8ELNS1_3repE0EEENS1_47radix_sort_onesweep_sort_config_static_selectorELNS0_4arch9wavefront6targetE1EEEvSI_.kd
    .uniform_work_group_size: 1
    .uses_dynamic_stack: false
    .vgpr_count:     0
    .vgpr_spill_count: 0
    .wavefront_size: 64
  - .agpr_count:     0
    .args:
      - .offset:         0
        .size:           88
        .value_kind:     by_value
    .group_segment_fixed_size: 0
    .kernarg_segment_align: 8
    .kernarg_segment_size: 88
    .language:       OpenCL C
    .language_version:
      - 2
      - 0
    .max_flat_workgroup_size: 256
    .name:           _ZN7rocprim17ROCPRIM_400000_NS6detail17trampoline_kernelINS0_14default_configENS1_35radix_sort_onesweep_config_selectorIjjEEZZNS1_29radix_sort_onesweep_iterationIS3_Lb0EN6thrust23THRUST_200600_302600_NS6detail15normal_iteratorINS8_10device_ptrIjEEEESD_SD_SD_jNS0_19identity_decomposerENS1_16block_id_wrapperIjLb1EEEEE10hipError_tT1_PNSt15iterator_traitsISI_E10value_typeET2_T3_PNSJ_ISO_E10value_typeET4_T5_PST_SU_PNS1_23onesweep_lookback_stateEbbT6_jjT7_P12ihipStream_tbENKUlT_T0_SI_SN_E_clIPjSD_S15_SD_EEDaS11_S12_SI_SN_EUlS11_E_NS1_11comp_targetILNS1_3genE3ELNS1_11target_archE908ELNS1_3gpuE7ELNS1_3repE0EEENS1_47radix_sort_onesweep_sort_config_static_selectorELNS0_4arch9wavefront6targetE1EEEvSI_
    .private_segment_fixed_size: 0
    .sgpr_count:     6
    .sgpr_spill_count: 0
    .symbol:         _ZN7rocprim17ROCPRIM_400000_NS6detail17trampoline_kernelINS0_14default_configENS1_35radix_sort_onesweep_config_selectorIjjEEZZNS1_29radix_sort_onesweep_iterationIS3_Lb0EN6thrust23THRUST_200600_302600_NS6detail15normal_iteratorINS8_10device_ptrIjEEEESD_SD_SD_jNS0_19identity_decomposerENS1_16block_id_wrapperIjLb1EEEEE10hipError_tT1_PNSt15iterator_traitsISI_E10value_typeET2_T3_PNSJ_ISO_E10value_typeET4_T5_PST_SU_PNS1_23onesweep_lookback_stateEbbT6_jjT7_P12ihipStream_tbENKUlT_T0_SI_SN_E_clIPjSD_S15_SD_EEDaS11_S12_SI_SN_EUlS11_E_NS1_11comp_targetILNS1_3genE3ELNS1_11target_archE908ELNS1_3gpuE7ELNS1_3repE0EEENS1_47radix_sort_onesweep_sort_config_static_selectorELNS0_4arch9wavefront6targetE1EEEvSI_.kd
    .uniform_work_group_size: 1
    .uses_dynamic_stack: false
    .vgpr_count:     0
    .vgpr_spill_count: 0
    .wavefront_size: 64
  - .agpr_count:     0
    .args:
      - .offset:         0
        .size:           88
        .value_kind:     by_value
    .group_segment_fixed_size: 0
    .kernarg_segment_align: 8
    .kernarg_segment_size: 88
    .language:       OpenCL C
    .language_version:
      - 2
      - 0
    .max_flat_workgroup_size: 1024
    .name:           _ZN7rocprim17ROCPRIM_400000_NS6detail17trampoline_kernelINS0_14default_configENS1_35radix_sort_onesweep_config_selectorIjjEEZZNS1_29radix_sort_onesweep_iterationIS3_Lb0EN6thrust23THRUST_200600_302600_NS6detail15normal_iteratorINS8_10device_ptrIjEEEESD_SD_SD_jNS0_19identity_decomposerENS1_16block_id_wrapperIjLb1EEEEE10hipError_tT1_PNSt15iterator_traitsISI_E10value_typeET2_T3_PNSJ_ISO_E10value_typeET4_T5_PST_SU_PNS1_23onesweep_lookback_stateEbbT6_jjT7_P12ihipStream_tbENKUlT_T0_SI_SN_E_clIPjSD_S15_SD_EEDaS11_S12_SI_SN_EUlS11_E_NS1_11comp_targetILNS1_3genE10ELNS1_11target_archE1201ELNS1_3gpuE5ELNS1_3repE0EEENS1_47radix_sort_onesweep_sort_config_static_selectorELNS0_4arch9wavefront6targetE1EEEvSI_
    .private_segment_fixed_size: 0
    .sgpr_count:     6
    .sgpr_spill_count: 0
    .symbol:         _ZN7rocprim17ROCPRIM_400000_NS6detail17trampoline_kernelINS0_14default_configENS1_35radix_sort_onesweep_config_selectorIjjEEZZNS1_29radix_sort_onesweep_iterationIS3_Lb0EN6thrust23THRUST_200600_302600_NS6detail15normal_iteratorINS8_10device_ptrIjEEEESD_SD_SD_jNS0_19identity_decomposerENS1_16block_id_wrapperIjLb1EEEEE10hipError_tT1_PNSt15iterator_traitsISI_E10value_typeET2_T3_PNSJ_ISO_E10value_typeET4_T5_PST_SU_PNS1_23onesweep_lookback_stateEbbT6_jjT7_P12ihipStream_tbENKUlT_T0_SI_SN_E_clIPjSD_S15_SD_EEDaS11_S12_SI_SN_EUlS11_E_NS1_11comp_targetILNS1_3genE10ELNS1_11target_archE1201ELNS1_3gpuE5ELNS1_3repE0EEENS1_47radix_sort_onesweep_sort_config_static_selectorELNS0_4arch9wavefront6targetE1EEEvSI_.kd
    .uniform_work_group_size: 1
    .uses_dynamic_stack: false
    .vgpr_count:     0
    .vgpr_spill_count: 0
    .wavefront_size: 64
  - .agpr_count:     0
    .args:
      - .offset:         0
        .size:           88
        .value_kind:     by_value
    .group_segment_fixed_size: 0
    .kernarg_segment_align: 8
    .kernarg_segment_size: 88
    .language:       OpenCL C
    .language_version:
      - 2
      - 0
    .max_flat_workgroup_size: 1024
    .name:           _ZN7rocprim17ROCPRIM_400000_NS6detail17trampoline_kernelINS0_14default_configENS1_35radix_sort_onesweep_config_selectorIjjEEZZNS1_29radix_sort_onesweep_iterationIS3_Lb0EN6thrust23THRUST_200600_302600_NS6detail15normal_iteratorINS8_10device_ptrIjEEEESD_SD_SD_jNS0_19identity_decomposerENS1_16block_id_wrapperIjLb1EEEEE10hipError_tT1_PNSt15iterator_traitsISI_E10value_typeET2_T3_PNSJ_ISO_E10value_typeET4_T5_PST_SU_PNS1_23onesweep_lookback_stateEbbT6_jjT7_P12ihipStream_tbENKUlT_T0_SI_SN_E_clIPjSD_S15_SD_EEDaS11_S12_SI_SN_EUlS11_E_NS1_11comp_targetILNS1_3genE9ELNS1_11target_archE1100ELNS1_3gpuE3ELNS1_3repE0EEENS1_47radix_sort_onesweep_sort_config_static_selectorELNS0_4arch9wavefront6targetE1EEEvSI_
    .private_segment_fixed_size: 0
    .sgpr_count:     6
    .sgpr_spill_count: 0
    .symbol:         _ZN7rocprim17ROCPRIM_400000_NS6detail17trampoline_kernelINS0_14default_configENS1_35radix_sort_onesweep_config_selectorIjjEEZZNS1_29radix_sort_onesweep_iterationIS3_Lb0EN6thrust23THRUST_200600_302600_NS6detail15normal_iteratorINS8_10device_ptrIjEEEESD_SD_SD_jNS0_19identity_decomposerENS1_16block_id_wrapperIjLb1EEEEE10hipError_tT1_PNSt15iterator_traitsISI_E10value_typeET2_T3_PNSJ_ISO_E10value_typeET4_T5_PST_SU_PNS1_23onesweep_lookback_stateEbbT6_jjT7_P12ihipStream_tbENKUlT_T0_SI_SN_E_clIPjSD_S15_SD_EEDaS11_S12_SI_SN_EUlS11_E_NS1_11comp_targetILNS1_3genE9ELNS1_11target_archE1100ELNS1_3gpuE3ELNS1_3repE0EEENS1_47radix_sort_onesweep_sort_config_static_selectorELNS0_4arch9wavefront6targetE1EEEvSI_.kd
    .uniform_work_group_size: 1
    .uses_dynamic_stack: false
    .vgpr_count:     0
    .vgpr_spill_count: 0
    .wavefront_size: 64
  - .agpr_count:     0
    .args:
      - .offset:         0
        .size:           88
        .value_kind:     by_value
    .group_segment_fixed_size: 0
    .kernarg_segment_align: 8
    .kernarg_segment_size: 88
    .language:       OpenCL C
    .language_version:
      - 2
      - 0
    .max_flat_workgroup_size: 1024
    .name:           _ZN7rocprim17ROCPRIM_400000_NS6detail17trampoline_kernelINS0_14default_configENS1_35radix_sort_onesweep_config_selectorIjjEEZZNS1_29radix_sort_onesweep_iterationIS3_Lb0EN6thrust23THRUST_200600_302600_NS6detail15normal_iteratorINS8_10device_ptrIjEEEESD_SD_SD_jNS0_19identity_decomposerENS1_16block_id_wrapperIjLb1EEEEE10hipError_tT1_PNSt15iterator_traitsISI_E10value_typeET2_T3_PNSJ_ISO_E10value_typeET4_T5_PST_SU_PNS1_23onesweep_lookback_stateEbbT6_jjT7_P12ihipStream_tbENKUlT_T0_SI_SN_E_clIPjSD_S15_SD_EEDaS11_S12_SI_SN_EUlS11_E_NS1_11comp_targetILNS1_3genE8ELNS1_11target_archE1030ELNS1_3gpuE2ELNS1_3repE0EEENS1_47radix_sort_onesweep_sort_config_static_selectorELNS0_4arch9wavefront6targetE1EEEvSI_
    .private_segment_fixed_size: 0
    .sgpr_count:     6
    .sgpr_spill_count: 0
    .symbol:         _ZN7rocprim17ROCPRIM_400000_NS6detail17trampoline_kernelINS0_14default_configENS1_35radix_sort_onesweep_config_selectorIjjEEZZNS1_29radix_sort_onesweep_iterationIS3_Lb0EN6thrust23THRUST_200600_302600_NS6detail15normal_iteratorINS8_10device_ptrIjEEEESD_SD_SD_jNS0_19identity_decomposerENS1_16block_id_wrapperIjLb1EEEEE10hipError_tT1_PNSt15iterator_traitsISI_E10value_typeET2_T3_PNSJ_ISO_E10value_typeET4_T5_PST_SU_PNS1_23onesweep_lookback_stateEbbT6_jjT7_P12ihipStream_tbENKUlT_T0_SI_SN_E_clIPjSD_S15_SD_EEDaS11_S12_SI_SN_EUlS11_E_NS1_11comp_targetILNS1_3genE8ELNS1_11target_archE1030ELNS1_3gpuE2ELNS1_3repE0EEENS1_47radix_sort_onesweep_sort_config_static_selectorELNS0_4arch9wavefront6targetE1EEEvSI_.kd
    .uniform_work_group_size: 1
    .uses_dynamic_stack: false
    .vgpr_count:     0
    .vgpr_spill_count: 0
    .wavefront_size: 64
  - .agpr_count:     0
    .args:
      - .offset:         0
        .size:           88
        .value_kind:     by_value
    .group_segment_fixed_size: 0
    .kernarg_segment_align: 8
    .kernarg_segment_size: 88
    .language:       OpenCL C
    .language_version:
      - 2
      - 0
    .max_flat_workgroup_size: 256
    .name:           _ZN7rocprim17ROCPRIM_400000_NS6detail17trampoline_kernelINS0_14default_configENS1_35radix_sort_onesweep_config_selectorIjjEEZZNS1_29radix_sort_onesweep_iterationIS3_Lb0EN6thrust23THRUST_200600_302600_NS6detail15normal_iteratorINS8_10device_ptrIjEEEESD_SD_SD_jNS0_19identity_decomposerENS1_16block_id_wrapperIjLb0EEEEE10hipError_tT1_PNSt15iterator_traitsISI_E10value_typeET2_T3_PNSJ_ISO_E10value_typeET4_T5_PST_SU_PNS1_23onesweep_lookback_stateEbbT6_jjT7_P12ihipStream_tbENKUlT_T0_SI_SN_E_clISD_SD_SD_SD_EEDaS11_S12_SI_SN_EUlS11_E_NS1_11comp_targetILNS1_3genE0ELNS1_11target_archE4294967295ELNS1_3gpuE0ELNS1_3repE0EEENS1_47radix_sort_onesweep_sort_config_static_selectorELNS0_4arch9wavefront6targetE1EEEvSI_
    .private_segment_fixed_size: 0
    .sgpr_count:     6
    .sgpr_spill_count: 0
    .symbol:         _ZN7rocprim17ROCPRIM_400000_NS6detail17trampoline_kernelINS0_14default_configENS1_35radix_sort_onesweep_config_selectorIjjEEZZNS1_29radix_sort_onesweep_iterationIS3_Lb0EN6thrust23THRUST_200600_302600_NS6detail15normal_iteratorINS8_10device_ptrIjEEEESD_SD_SD_jNS0_19identity_decomposerENS1_16block_id_wrapperIjLb0EEEEE10hipError_tT1_PNSt15iterator_traitsISI_E10value_typeET2_T3_PNSJ_ISO_E10value_typeET4_T5_PST_SU_PNS1_23onesweep_lookback_stateEbbT6_jjT7_P12ihipStream_tbENKUlT_T0_SI_SN_E_clISD_SD_SD_SD_EEDaS11_S12_SI_SN_EUlS11_E_NS1_11comp_targetILNS1_3genE0ELNS1_11target_archE4294967295ELNS1_3gpuE0ELNS1_3repE0EEENS1_47radix_sort_onesweep_sort_config_static_selectorELNS0_4arch9wavefront6targetE1EEEvSI_.kd
    .uniform_work_group_size: 1
    .uses_dynamic_stack: false
    .vgpr_count:     0
    .vgpr_spill_count: 0
    .wavefront_size: 64
  - .agpr_count:     0
    .args:
      - .offset:         0
        .size:           88
        .value_kind:     by_value
      - .offset:         88
        .size:           4
        .value_kind:     hidden_block_count_x
      - .offset:         92
        .size:           4
        .value_kind:     hidden_block_count_y
      - .offset:         96
        .size:           4
        .value_kind:     hidden_block_count_z
      - .offset:         100
        .size:           2
        .value_kind:     hidden_group_size_x
      - .offset:         102
        .size:           2
        .value_kind:     hidden_group_size_y
      - .offset:         104
        .size:           2
        .value_kind:     hidden_group_size_z
      - .offset:         106
        .size:           2
        .value_kind:     hidden_remainder_x
      - .offset:         108
        .size:           2
        .value_kind:     hidden_remainder_y
      - .offset:         110
        .size:           2
        .value_kind:     hidden_remainder_z
      - .offset:         128
        .size:           8
        .value_kind:     hidden_global_offset_x
      - .offset:         136
        .size:           8
        .value_kind:     hidden_global_offset_y
      - .offset:         144
        .size:           8
        .value_kind:     hidden_global_offset_z
      - .offset:         152
        .size:           2
        .value_kind:     hidden_grid_dims
    .group_segment_fixed_size: 20552
    .kernarg_segment_align: 8
    .kernarg_segment_size: 344
    .language:       OpenCL C
    .language_version:
      - 2
      - 0
    .max_flat_workgroup_size: 1024
    .name:           _ZN7rocprim17ROCPRIM_400000_NS6detail17trampoline_kernelINS0_14default_configENS1_35radix_sort_onesweep_config_selectorIjjEEZZNS1_29radix_sort_onesweep_iterationIS3_Lb0EN6thrust23THRUST_200600_302600_NS6detail15normal_iteratorINS8_10device_ptrIjEEEESD_SD_SD_jNS0_19identity_decomposerENS1_16block_id_wrapperIjLb0EEEEE10hipError_tT1_PNSt15iterator_traitsISI_E10value_typeET2_T3_PNSJ_ISO_E10value_typeET4_T5_PST_SU_PNS1_23onesweep_lookback_stateEbbT6_jjT7_P12ihipStream_tbENKUlT_T0_SI_SN_E_clISD_SD_SD_SD_EEDaS11_S12_SI_SN_EUlS11_E_NS1_11comp_targetILNS1_3genE6ELNS1_11target_archE950ELNS1_3gpuE13ELNS1_3repE0EEENS1_47radix_sort_onesweep_sort_config_static_selectorELNS0_4arch9wavefront6targetE1EEEvSI_
    .private_segment_fixed_size: 80
    .sgpr_count:     76
    .sgpr_spill_count: 0
    .symbol:         _ZN7rocprim17ROCPRIM_400000_NS6detail17trampoline_kernelINS0_14default_configENS1_35radix_sort_onesweep_config_selectorIjjEEZZNS1_29radix_sort_onesweep_iterationIS3_Lb0EN6thrust23THRUST_200600_302600_NS6detail15normal_iteratorINS8_10device_ptrIjEEEESD_SD_SD_jNS0_19identity_decomposerENS1_16block_id_wrapperIjLb0EEEEE10hipError_tT1_PNSt15iterator_traitsISI_E10value_typeET2_T3_PNSJ_ISO_E10value_typeET4_T5_PST_SU_PNS1_23onesweep_lookback_stateEbbT6_jjT7_P12ihipStream_tbENKUlT_T0_SI_SN_E_clISD_SD_SD_SD_EEDaS11_S12_SI_SN_EUlS11_E_NS1_11comp_targetILNS1_3genE6ELNS1_11target_archE950ELNS1_3gpuE13ELNS1_3repE0EEENS1_47radix_sort_onesweep_sort_config_static_selectorELNS0_4arch9wavefront6targetE1EEEvSI_.kd
    .uniform_work_group_size: 1
    .uses_dynamic_stack: false
    .vgpr_count:     88
    .vgpr_spill_count: 0
    .wavefront_size: 64
  - .agpr_count:     0
    .args:
      - .offset:         0
        .size:           88
        .value_kind:     by_value
    .group_segment_fixed_size: 0
    .kernarg_segment_align: 8
    .kernarg_segment_size: 88
    .language:       OpenCL C
    .language_version:
      - 2
      - 0
    .max_flat_workgroup_size: 1024
    .name:           _ZN7rocprim17ROCPRIM_400000_NS6detail17trampoline_kernelINS0_14default_configENS1_35radix_sort_onesweep_config_selectorIjjEEZZNS1_29radix_sort_onesweep_iterationIS3_Lb0EN6thrust23THRUST_200600_302600_NS6detail15normal_iteratorINS8_10device_ptrIjEEEESD_SD_SD_jNS0_19identity_decomposerENS1_16block_id_wrapperIjLb0EEEEE10hipError_tT1_PNSt15iterator_traitsISI_E10value_typeET2_T3_PNSJ_ISO_E10value_typeET4_T5_PST_SU_PNS1_23onesweep_lookback_stateEbbT6_jjT7_P12ihipStream_tbENKUlT_T0_SI_SN_E_clISD_SD_SD_SD_EEDaS11_S12_SI_SN_EUlS11_E_NS1_11comp_targetILNS1_3genE5ELNS1_11target_archE942ELNS1_3gpuE9ELNS1_3repE0EEENS1_47radix_sort_onesweep_sort_config_static_selectorELNS0_4arch9wavefront6targetE1EEEvSI_
    .private_segment_fixed_size: 0
    .sgpr_count:     6
    .sgpr_spill_count: 0
    .symbol:         _ZN7rocprim17ROCPRIM_400000_NS6detail17trampoline_kernelINS0_14default_configENS1_35radix_sort_onesweep_config_selectorIjjEEZZNS1_29radix_sort_onesweep_iterationIS3_Lb0EN6thrust23THRUST_200600_302600_NS6detail15normal_iteratorINS8_10device_ptrIjEEEESD_SD_SD_jNS0_19identity_decomposerENS1_16block_id_wrapperIjLb0EEEEE10hipError_tT1_PNSt15iterator_traitsISI_E10value_typeET2_T3_PNSJ_ISO_E10value_typeET4_T5_PST_SU_PNS1_23onesweep_lookback_stateEbbT6_jjT7_P12ihipStream_tbENKUlT_T0_SI_SN_E_clISD_SD_SD_SD_EEDaS11_S12_SI_SN_EUlS11_E_NS1_11comp_targetILNS1_3genE5ELNS1_11target_archE942ELNS1_3gpuE9ELNS1_3repE0EEENS1_47radix_sort_onesweep_sort_config_static_selectorELNS0_4arch9wavefront6targetE1EEEvSI_.kd
    .uniform_work_group_size: 1
    .uses_dynamic_stack: false
    .vgpr_count:     0
    .vgpr_spill_count: 0
    .wavefront_size: 64
  - .agpr_count:     0
    .args:
      - .offset:         0
        .size:           88
        .value_kind:     by_value
    .group_segment_fixed_size: 0
    .kernarg_segment_align: 8
    .kernarg_segment_size: 88
    .language:       OpenCL C
    .language_version:
      - 2
      - 0
    .max_flat_workgroup_size: 512
    .name:           _ZN7rocprim17ROCPRIM_400000_NS6detail17trampoline_kernelINS0_14default_configENS1_35radix_sort_onesweep_config_selectorIjjEEZZNS1_29radix_sort_onesweep_iterationIS3_Lb0EN6thrust23THRUST_200600_302600_NS6detail15normal_iteratorINS8_10device_ptrIjEEEESD_SD_SD_jNS0_19identity_decomposerENS1_16block_id_wrapperIjLb0EEEEE10hipError_tT1_PNSt15iterator_traitsISI_E10value_typeET2_T3_PNSJ_ISO_E10value_typeET4_T5_PST_SU_PNS1_23onesweep_lookback_stateEbbT6_jjT7_P12ihipStream_tbENKUlT_T0_SI_SN_E_clISD_SD_SD_SD_EEDaS11_S12_SI_SN_EUlS11_E_NS1_11comp_targetILNS1_3genE2ELNS1_11target_archE906ELNS1_3gpuE6ELNS1_3repE0EEENS1_47radix_sort_onesweep_sort_config_static_selectorELNS0_4arch9wavefront6targetE1EEEvSI_
    .private_segment_fixed_size: 0
    .sgpr_count:     6
    .sgpr_spill_count: 0
    .symbol:         _ZN7rocprim17ROCPRIM_400000_NS6detail17trampoline_kernelINS0_14default_configENS1_35radix_sort_onesweep_config_selectorIjjEEZZNS1_29radix_sort_onesweep_iterationIS3_Lb0EN6thrust23THRUST_200600_302600_NS6detail15normal_iteratorINS8_10device_ptrIjEEEESD_SD_SD_jNS0_19identity_decomposerENS1_16block_id_wrapperIjLb0EEEEE10hipError_tT1_PNSt15iterator_traitsISI_E10value_typeET2_T3_PNSJ_ISO_E10value_typeET4_T5_PST_SU_PNS1_23onesweep_lookback_stateEbbT6_jjT7_P12ihipStream_tbENKUlT_T0_SI_SN_E_clISD_SD_SD_SD_EEDaS11_S12_SI_SN_EUlS11_E_NS1_11comp_targetILNS1_3genE2ELNS1_11target_archE906ELNS1_3gpuE6ELNS1_3repE0EEENS1_47radix_sort_onesweep_sort_config_static_selectorELNS0_4arch9wavefront6targetE1EEEvSI_.kd
    .uniform_work_group_size: 1
    .uses_dynamic_stack: false
    .vgpr_count:     0
    .vgpr_spill_count: 0
    .wavefront_size: 64
  - .agpr_count:     0
    .args:
      - .offset:         0
        .size:           88
        .value_kind:     by_value
    .group_segment_fixed_size: 0
    .kernarg_segment_align: 8
    .kernarg_segment_size: 88
    .language:       OpenCL C
    .language_version:
      - 2
      - 0
    .max_flat_workgroup_size: 512
    .name:           _ZN7rocprim17ROCPRIM_400000_NS6detail17trampoline_kernelINS0_14default_configENS1_35radix_sort_onesweep_config_selectorIjjEEZZNS1_29radix_sort_onesweep_iterationIS3_Lb0EN6thrust23THRUST_200600_302600_NS6detail15normal_iteratorINS8_10device_ptrIjEEEESD_SD_SD_jNS0_19identity_decomposerENS1_16block_id_wrapperIjLb0EEEEE10hipError_tT1_PNSt15iterator_traitsISI_E10value_typeET2_T3_PNSJ_ISO_E10value_typeET4_T5_PST_SU_PNS1_23onesweep_lookback_stateEbbT6_jjT7_P12ihipStream_tbENKUlT_T0_SI_SN_E_clISD_SD_SD_SD_EEDaS11_S12_SI_SN_EUlS11_E_NS1_11comp_targetILNS1_3genE4ELNS1_11target_archE910ELNS1_3gpuE8ELNS1_3repE0EEENS1_47radix_sort_onesweep_sort_config_static_selectorELNS0_4arch9wavefront6targetE1EEEvSI_
    .private_segment_fixed_size: 0
    .sgpr_count:     6
    .sgpr_spill_count: 0
    .symbol:         _ZN7rocprim17ROCPRIM_400000_NS6detail17trampoline_kernelINS0_14default_configENS1_35radix_sort_onesweep_config_selectorIjjEEZZNS1_29radix_sort_onesweep_iterationIS3_Lb0EN6thrust23THRUST_200600_302600_NS6detail15normal_iteratorINS8_10device_ptrIjEEEESD_SD_SD_jNS0_19identity_decomposerENS1_16block_id_wrapperIjLb0EEEEE10hipError_tT1_PNSt15iterator_traitsISI_E10value_typeET2_T3_PNSJ_ISO_E10value_typeET4_T5_PST_SU_PNS1_23onesweep_lookback_stateEbbT6_jjT7_P12ihipStream_tbENKUlT_T0_SI_SN_E_clISD_SD_SD_SD_EEDaS11_S12_SI_SN_EUlS11_E_NS1_11comp_targetILNS1_3genE4ELNS1_11target_archE910ELNS1_3gpuE8ELNS1_3repE0EEENS1_47radix_sort_onesweep_sort_config_static_selectorELNS0_4arch9wavefront6targetE1EEEvSI_.kd
    .uniform_work_group_size: 1
    .uses_dynamic_stack: false
    .vgpr_count:     0
    .vgpr_spill_count: 0
    .wavefront_size: 64
  - .agpr_count:     0
    .args:
      - .offset:         0
        .size:           88
        .value_kind:     by_value
    .group_segment_fixed_size: 0
    .kernarg_segment_align: 8
    .kernarg_segment_size: 88
    .language:       OpenCL C
    .language_version:
      - 2
      - 0
    .max_flat_workgroup_size: 256
    .name:           _ZN7rocprim17ROCPRIM_400000_NS6detail17trampoline_kernelINS0_14default_configENS1_35radix_sort_onesweep_config_selectorIjjEEZZNS1_29radix_sort_onesweep_iterationIS3_Lb0EN6thrust23THRUST_200600_302600_NS6detail15normal_iteratorINS8_10device_ptrIjEEEESD_SD_SD_jNS0_19identity_decomposerENS1_16block_id_wrapperIjLb0EEEEE10hipError_tT1_PNSt15iterator_traitsISI_E10value_typeET2_T3_PNSJ_ISO_E10value_typeET4_T5_PST_SU_PNS1_23onesweep_lookback_stateEbbT6_jjT7_P12ihipStream_tbENKUlT_T0_SI_SN_E_clISD_SD_SD_SD_EEDaS11_S12_SI_SN_EUlS11_E_NS1_11comp_targetILNS1_3genE3ELNS1_11target_archE908ELNS1_3gpuE7ELNS1_3repE0EEENS1_47radix_sort_onesweep_sort_config_static_selectorELNS0_4arch9wavefront6targetE1EEEvSI_
    .private_segment_fixed_size: 0
    .sgpr_count:     6
    .sgpr_spill_count: 0
    .symbol:         _ZN7rocprim17ROCPRIM_400000_NS6detail17trampoline_kernelINS0_14default_configENS1_35radix_sort_onesweep_config_selectorIjjEEZZNS1_29radix_sort_onesweep_iterationIS3_Lb0EN6thrust23THRUST_200600_302600_NS6detail15normal_iteratorINS8_10device_ptrIjEEEESD_SD_SD_jNS0_19identity_decomposerENS1_16block_id_wrapperIjLb0EEEEE10hipError_tT1_PNSt15iterator_traitsISI_E10value_typeET2_T3_PNSJ_ISO_E10value_typeET4_T5_PST_SU_PNS1_23onesweep_lookback_stateEbbT6_jjT7_P12ihipStream_tbENKUlT_T0_SI_SN_E_clISD_SD_SD_SD_EEDaS11_S12_SI_SN_EUlS11_E_NS1_11comp_targetILNS1_3genE3ELNS1_11target_archE908ELNS1_3gpuE7ELNS1_3repE0EEENS1_47radix_sort_onesweep_sort_config_static_selectorELNS0_4arch9wavefront6targetE1EEEvSI_.kd
    .uniform_work_group_size: 1
    .uses_dynamic_stack: false
    .vgpr_count:     0
    .vgpr_spill_count: 0
    .wavefront_size: 64
  - .agpr_count:     0
    .args:
      - .offset:         0
        .size:           88
        .value_kind:     by_value
    .group_segment_fixed_size: 0
    .kernarg_segment_align: 8
    .kernarg_segment_size: 88
    .language:       OpenCL C
    .language_version:
      - 2
      - 0
    .max_flat_workgroup_size: 1024
    .name:           _ZN7rocprim17ROCPRIM_400000_NS6detail17trampoline_kernelINS0_14default_configENS1_35radix_sort_onesweep_config_selectorIjjEEZZNS1_29radix_sort_onesweep_iterationIS3_Lb0EN6thrust23THRUST_200600_302600_NS6detail15normal_iteratorINS8_10device_ptrIjEEEESD_SD_SD_jNS0_19identity_decomposerENS1_16block_id_wrapperIjLb0EEEEE10hipError_tT1_PNSt15iterator_traitsISI_E10value_typeET2_T3_PNSJ_ISO_E10value_typeET4_T5_PST_SU_PNS1_23onesweep_lookback_stateEbbT6_jjT7_P12ihipStream_tbENKUlT_T0_SI_SN_E_clISD_SD_SD_SD_EEDaS11_S12_SI_SN_EUlS11_E_NS1_11comp_targetILNS1_3genE10ELNS1_11target_archE1201ELNS1_3gpuE5ELNS1_3repE0EEENS1_47radix_sort_onesweep_sort_config_static_selectorELNS0_4arch9wavefront6targetE1EEEvSI_
    .private_segment_fixed_size: 0
    .sgpr_count:     6
    .sgpr_spill_count: 0
    .symbol:         _ZN7rocprim17ROCPRIM_400000_NS6detail17trampoline_kernelINS0_14default_configENS1_35radix_sort_onesweep_config_selectorIjjEEZZNS1_29radix_sort_onesweep_iterationIS3_Lb0EN6thrust23THRUST_200600_302600_NS6detail15normal_iteratorINS8_10device_ptrIjEEEESD_SD_SD_jNS0_19identity_decomposerENS1_16block_id_wrapperIjLb0EEEEE10hipError_tT1_PNSt15iterator_traitsISI_E10value_typeET2_T3_PNSJ_ISO_E10value_typeET4_T5_PST_SU_PNS1_23onesweep_lookback_stateEbbT6_jjT7_P12ihipStream_tbENKUlT_T0_SI_SN_E_clISD_SD_SD_SD_EEDaS11_S12_SI_SN_EUlS11_E_NS1_11comp_targetILNS1_3genE10ELNS1_11target_archE1201ELNS1_3gpuE5ELNS1_3repE0EEENS1_47radix_sort_onesweep_sort_config_static_selectorELNS0_4arch9wavefront6targetE1EEEvSI_.kd
    .uniform_work_group_size: 1
    .uses_dynamic_stack: false
    .vgpr_count:     0
    .vgpr_spill_count: 0
    .wavefront_size: 64
  - .agpr_count:     0
    .args:
      - .offset:         0
        .size:           88
        .value_kind:     by_value
    .group_segment_fixed_size: 0
    .kernarg_segment_align: 8
    .kernarg_segment_size: 88
    .language:       OpenCL C
    .language_version:
      - 2
      - 0
    .max_flat_workgroup_size: 1024
    .name:           _ZN7rocprim17ROCPRIM_400000_NS6detail17trampoline_kernelINS0_14default_configENS1_35radix_sort_onesweep_config_selectorIjjEEZZNS1_29radix_sort_onesweep_iterationIS3_Lb0EN6thrust23THRUST_200600_302600_NS6detail15normal_iteratorINS8_10device_ptrIjEEEESD_SD_SD_jNS0_19identity_decomposerENS1_16block_id_wrapperIjLb0EEEEE10hipError_tT1_PNSt15iterator_traitsISI_E10value_typeET2_T3_PNSJ_ISO_E10value_typeET4_T5_PST_SU_PNS1_23onesweep_lookback_stateEbbT6_jjT7_P12ihipStream_tbENKUlT_T0_SI_SN_E_clISD_SD_SD_SD_EEDaS11_S12_SI_SN_EUlS11_E_NS1_11comp_targetILNS1_3genE9ELNS1_11target_archE1100ELNS1_3gpuE3ELNS1_3repE0EEENS1_47radix_sort_onesweep_sort_config_static_selectorELNS0_4arch9wavefront6targetE1EEEvSI_
    .private_segment_fixed_size: 0
    .sgpr_count:     6
    .sgpr_spill_count: 0
    .symbol:         _ZN7rocprim17ROCPRIM_400000_NS6detail17trampoline_kernelINS0_14default_configENS1_35radix_sort_onesweep_config_selectorIjjEEZZNS1_29radix_sort_onesweep_iterationIS3_Lb0EN6thrust23THRUST_200600_302600_NS6detail15normal_iteratorINS8_10device_ptrIjEEEESD_SD_SD_jNS0_19identity_decomposerENS1_16block_id_wrapperIjLb0EEEEE10hipError_tT1_PNSt15iterator_traitsISI_E10value_typeET2_T3_PNSJ_ISO_E10value_typeET4_T5_PST_SU_PNS1_23onesweep_lookback_stateEbbT6_jjT7_P12ihipStream_tbENKUlT_T0_SI_SN_E_clISD_SD_SD_SD_EEDaS11_S12_SI_SN_EUlS11_E_NS1_11comp_targetILNS1_3genE9ELNS1_11target_archE1100ELNS1_3gpuE3ELNS1_3repE0EEENS1_47radix_sort_onesweep_sort_config_static_selectorELNS0_4arch9wavefront6targetE1EEEvSI_.kd
    .uniform_work_group_size: 1
    .uses_dynamic_stack: false
    .vgpr_count:     0
    .vgpr_spill_count: 0
    .wavefront_size: 64
  - .agpr_count:     0
    .args:
      - .offset:         0
        .size:           88
        .value_kind:     by_value
    .group_segment_fixed_size: 0
    .kernarg_segment_align: 8
    .kernarg_segment_size: 88
    .language:       OpenCL C
    .language_version:
      - 2
      - 0
    .max_flat_workgroup_size: 1024
    .name:           _ZN7rocprim17ROCPRIM_400000_NS6detail17trampoline_kernelINS0_14default_configENS1_35radix_sort_onesweep_config_selectorIjjEEZZNS1_29radix_sort_onesweep_iterationIS3_Lb0EN6thrust23THRUST_200600_302600_NS6detail15normal_iteratorINS8_10device_ptrIjEEEESD_SD_SD_jNS0_19identity_decomposerENS1_16block_id_wrapperIjLb0EEEEE10hipError_tT1_PNSt15iterator_traitsISI_E10value_typeET2_T3_PNSJ_ISO_E10value_typeET4_T5_PST_SU_PNS1_23onesweep_lookback_stateEbbT6_jjT7_P12ihipStream_tbENKUlT_T0_SI_SN_E_clISD_SD_SD_SD_EEDaS11_S12_SI_SN_EUlS11_E_NS1_11comp_targetILNS1_3genE8ELNS1_11target_archE1030ELNS1_3gpuE2ELNS1_3repE0EEENS1_47radix_sort_onesweep_sort_config_static_selectorELNS0_4arch9wavefront6targetE1EEEvSI_
    .private_segment_fixed_size: 0
    .sgpr_count:     6
    .sgpr_spill_count: 0
    .symbol:         _ZN7rocprim17ROCPRIM_400000_NS6detail17trampoline_kernelINS0_14default_configENS1_35radix_sort_onesweep_config_selectorIjjEEZZNS1_29radix_sort_onesweep_iterationIS3_Lb0EN6thrust23THRUST_200600_302600_NS6detail15normal_iteratorINS8_10device_ptrIjEEEESD_SD_SD_jNS0_19identity_decomposerENS1_16block_id_wrapperIjLb0EEEEE10hipError_tT1_PNSt15iterator_traitsISI_E10value_typeET2_T3_PNSJ_ISO_E10value_typeET4_T5_PST_SU_PNS1_23onesweep_lookback_stateEbbT6_jjT7_P12ihipStream_tbENKUlT_T0_SI_SN_E_clISD_SD_SD_SD_EEDaS11_S12_SI_SN_EUlS11_E_NS1_11comp_targetILNS1_3genE8ELNS1_11target_archE1030ELNS1_3gpuE2ELNS1_3repE0EEENS1_47radix_sort_onesweep_sort_config_static_selectorELNS0_4arch9wavefront6targetE1EEEvSI_.kd
    .uniform_work_group_size: 1
    .uses_dynamic_stack: false
    .vgpr_count:     0
    .vgpr_spill_count: 0
    .wavefront_size: 64
  - .agpr_count:     0
    .args:
      - .offset:         0
        .size:           88
        .value_kind:     by_value
    .group_segment_fixed_size: 0
    .kernarg_segment_align: 8
    .kernarg_segment_size: 88
    .language:       OpenCL C
    .language_version:
      - 2
      - 0
    .max_flat_workgroup_size: 256
    .name:           _ZN7rocprim17ROCPRIM_400000_NS6detail17trampoline_kernelINS0_14default_configENS1_35radix_sort_onesweep_config_selectorIjjEEZZNS1_29radix_sort_onesweep_iterationIS3_Lb0EN6thrust23THRUST_200600_302600_NS6detail15normal_iteratorINS8_10device_ptrIjEEEESD_SD_SD_jNS0_19identity_decomposerENS1_16block_id_wrapperIjLb0EEEEE10hipError_tT1_PNSt15iterator_traitsISI_E10value_typeET2_T3_PNSJ_ISO_E10value_typeET4_T5_PST_SU_PNS1_23onesweep_lookback_stateEbbT6_jjT7_P12ihipStream_tbENKUlT_T0_SI_SN_E_clISD_PjSD_S15_EEDaS11_S12_SI_SN_EUlS11_E_NS1_11comp_targetILNS1_3genE0ELNS1_11target_archE4294967295ELNS1_3gpuE0ELNS1_3repE0EEENS1_47radix_sort_onesweep_sort_config_static_selectorELNS0_4arch9wavefront6targetE1EEEvSI_
    .private_segment_fixed_size: 0
    .sgpr_count:     6
    .sgpr_spill_count: 0
    .symbol:         _ZN7rocprim17ROCPRIM_400000_NS6detail17trampoline_kernelINS0_14default_configENS1_35radix_sort_onesweep_config_selectorIjjEEZZNS1_29radix_sort_onesweep_iterationIS3_Lb0EN6thrust23THRUST_200600_302600_NS6detail15normal_iteratorINS8_10device_ptrIjEEEESD_SD_SD_jNS0_19identity_decomposerENS1_16block_id_wrapperIjLb0EEEEE10hipError_tT1_PNSt15iterator_traitsISI_E10value_typeET2_T3_PNSJ_ISO_E10value_typeET4_T5_PST_SU_PNS1_23onesweep_lookback_stateEbbT6_jjT7_P12ihipStream_tbENKUlT_T0_SI_SN_E_clISD_PjSD_S15_EEDaS11_S12_SI_SN_EUlS11_E_NS1_11comp_targetILNS1_3genE0ELNS1_11target_archE4294967295ELNS1_3gpuE0ELNS1_3repE0EEENS1_47radix_sort_onesweep_sort_config_static_selectorELNS0_4arch9wavefront6targetE1EEEvSI_.kd
    .uniform_work_group_size: 1
    .uses_dynamic_stack: false
    .vgpr_count:     0
    .vgpr_spill_count: 0
    .wavefront_size: 64
  - .agpr_count:     0
    .args:
      - .offset:         0
        .size:           88
        .value_kind:     by_value
      - .offset:         88
        .size:           4
        .value_kind:     hidden_block_count_x
      - .offset:         92
        .size:           4
        .value_kind:     hidden_block_count_y
      - .offset:         96
        .size:           4
        .value_kind:     hidden_block_count_z
      - .offset:         100
        .size:           2
        .value_kind:     hidden_group_size_x
      - .offset:         102
        .size:           2
        .value_kind:     hidden_group_size_y
      - .offset:         104
        .size:           2
        .value_kind:     hidden_group_size_z
      - .offset:         106
        .size:           2
        .value_kind:     hidden_remainder_x
      - .offset:         108
        .size:           2
        .value_kind:     hidden_remainder_y
      - .offset:         110
        .size:           2
        .value_kind:     hidden_remainder_z
      - .offset:         128
        .size:           8
        .value_kind:     hidden_global_offset_x
      - .offset:         136
        .size:           8
        .value_kind:     hidden_global_offset_y
      - .offset:         144
        .size:           8
        .value_kind:     hidden_global_offset_z
      - .offset:         152
        .size:           2
        .value_kind:     hidden_grid_dims
    .group_segment_fixed_size: 20552
    .kernarg_segment_align: 8
    .kernarg_segment_size: 344
    .language:       OpenCL C
    .language_version:
      - 2
      - 0
    .max_flat_workgroup_size: 1024
    .name:           _ZN7rocprim17ROCPRIM_400000_NS6detail17trampoline_kernelINS0_14default_configENS1_35radix_sort_onesweep_config_selectorIjjEEZZNS1_29radix_sort_onesweep_iterationIS3_Lb0EN6thrust23THRUST_200600_302600_NS6detail15normal_iteratorINS8_10device_ptrIjEEEESD_SD_SD_jNS0_19identity_decomposerENS1_16block_id_wrapperIjLb0EEEEE10hipError_tT1_PNSt15iterator_traitsISI_E10value_typeET2_T3_PNSJ_ISO_E10value_typeET4_T5_PST_SU_PNS1_23onesweep_lookback_stateEbbT6_jjT7_P12ihipStream_tbENKUlT_T0_SI_SN_E_clISD_PjSD_S15_EEDaS11_S12_SI_SN_EUlS11_E_NS1_11comp_targetILNS1_3genE6ELNS1_11target_archE950ELNS1_3gpuE13ELNS1_3repE0EEENS1_47radix_sort_onesweep_sort_config_static_selectorELNS0_4arch9wavefront6targetE1EEEvSI_
    .private_segment_fixed_size: 80
    .sgpr_count:     76
    .sgpr_spill_count: 0
    .symbol:         _ZN7rocprim17ROCPRIM_400000_NS6detail17trampoline_kernelINS0_14default_configENS1_35radix_sort_onesweep_config_selectorIjjEEZZNS1_29radix_sort_onesweep_iterationIS3_Lb0EN6thrust23THRUST_200600_302600_NS6detail15normal_iteratorINS8_10device_ptrIjEEEESD_SD_SD_jNS0_19identity_decomposerENS1_16block_id_wrapperIjLb0EEEEE10hipError_tT1_PNSt15iterator_traitsISI_E10value_typeET2_T3_PNSJ_ISO_E10value_typeET4_T5_PST_SU_PNS1_23onesweep_lookback_stateEbbT6_jjT7_P12ihipStream_tbENKUlT_T0_SI_SN_E_clISD_PjSD_S15_EEDaS11_S12_SI_SN_EUlS11_E_NS1_11comp_targetILNS1_3genE6ELNS1_11target_archE950ELNS1_3gpuE13ELNS1_3repE0EEENS1_47radix_sort_onesweep_sort_config_static_selectorELNS0_4arch9wavefront6targetE1EEEvSI_.kd
    .uniform_work_group_size: 1
    .uses_dynamic_stack: false
    .vgpr_count:     88
    .vgpr_spill_count: 0
    .wavefront_size: 64
  - .agpr_count:     0
    .args:
      - .offset:         0
        .size:           88
        .value_kind:     by_value
    .group_segment_fixed_size: 0
    .kernarg_segment_align: 8
    .kernarg_segment_size: 88
    .language:       OpenCL C
    .language_version:
      - 2
      - 0
    .max_flat_workgroup_size: 1024
    .name:           _ZN7rocprim17ROCPRIM_400000_NS6detail17trampoline_kernelINS0_14default_configENS1_35radix_sort_onesweep_config_selectorIjjEEZZNS1_29radix_sort_onesweep_iterationIS3_Lb0EN6thrust23THRUST_200600_302600_NS6detail15normal_iteratorINS8_10device_ptrIjEEEESD_SD_SD_jNS0_19identity_decomposerENS1_16block_id_wrapperIjLb0EEEEE10hipError_tT1_PNSt15iterator_traitsISI_E10value_typeET2_T3_PNSJ_ISO_E10value_typeET4_T5_PST_SU_PNS1_23onesweep_lookback_stateEbbT6_jjT7_P12ihipStream_tbENKUlT_T0_SI_SN_E_clISD_PjSD_S15_EEDaS11_S12_SI_SN_EUlS11_E_NS1_11comp_targetILNS1_3genE5ELNS1_11target_archE942ELNS1_3gpuE9ELNS1_3repE0EEENS1_47radix_sort_onesweep_sort_config_static_selectorELNS0_4arch9wavefront6targetE1EEEvSI_
    .private_segment_fixed_size: 0
    .sgpr_count:     6
    .sgpr_spill_count: 0
    .symbol:         _ZN7rocprim17ROCPRIM_400000_NS6detail17trampoline_kernelINS0_14default_configENS1_35radix_sort_onesweep_config_selectorIjjEEZZNS1_29radix_sort_onesweep_iterationIS3_Lb0EN6thrust23THRUST_200600_302600_NS6detail15normal_iteratorINS8_10device_ptrIjEEEESD_SD_SD_jNS0_19identity_decomposerENS1_16block_id_wrapperIjLb0EEEEE10hipError_tT1_PNSt15iterator_traitsISI_E10value_typeET2_T3_PNSJ_ISO_E10value_typeET4_T5_PST_SU_PNS1_23onesweep_lookback_stateEbbT6_jjT7_P12ihipStream_tbENKUlT_T0_SI_SN_E_clISD_PjSD_S15_EEDaS11_S12_SI_SN_EUlS11_E_NS1_11comp_targetILNS1_3genE5ELNS1_11target_archE942ELNS1_3gpuE9ELNS1_3repE0EEENS1_47radix_sort_onesweep_sort_config_static_selectorELNS0_4arch9wavefront6targetE1EEEvSI_.kd
    .uniform_work_group_size: 1
    .uses_dynamic_stack: false
    .vgpr_count:     0
    .vgpr_spill_count: 0
    .wavefront_size: 64
  - .agpr_count:     0
    .args:
      - .offset:         0
        .size:           88
        .value_kind:     by_value
    .group_segment_fixed_size: 0
    .kernarg_segment_align: 8
    .kernarg_segment_size: 88
    .language:       OpenCL C
    .language_version:
      - 2
      - 0
    .max_flat_workgroup_size: 512
    .name:           _ZN7rocprim17ROCPRIM_400000_NS6detail17trampoline_kernelINS0_14default_configENS1_35radix_sort_onesweep_config_selectorIjjEEZZNS1_29radix_sort_onesweep_iterationIS3_Lb0EN6thrust23THRUST_200600_302600_NS6detail15normal_iteratorINS8_10device_ptrIjEEEESD_SD_SD_jNS0_19identity_decomposerENS1_16block_id_wrapperIjLb0EEEEE10hipError_tT1_PNSt15iterator_traitsISI_E10value_typeET2_T3_PNSJ_ISO_E10value_typeET4_T5_PST_SU_PNS1_23onesweep_lookback_stateEbbT6_jjT7_P12ihipStream_tbENKUlT_T0_SI_SN_E_clISD_PjSD_S15_EEDaS11_S12_SI_SN_EUlS11_E_NS1_11comp_targetILNS1_3genE2ELNS1_11target_archE906ELNS1_3gpuE6ELNS1_3repE0EEENS1_47radix_sort_onesweep_sort_config_static_selectorELNS0_4arch9wavefront6targetE1EEEvSI_
    .private_segment_fixed_size: 0
    .sgpr_count:     6
    .sgpr_spill_count: 0
    .symbol:         _ZN7rocprim17ROCPRIM_400000_NS6detail17trampoline_kernelINS0_14default_configENS1_35radix_sort_onesweep_config_selectorIjjEEZZNS1_29radix_sort_onesweep_iterationIS3_Lb0EN6thrust23THRUST_200600_302600_NS6detail15normal_iteratorINS8_10device_ptrIjEEEESD_SD_SD_jNS0_19identity_decomposerENS1_16block_id_wrapperIjLb0EEEEE10hipError_tT1_PNSt15iterator_traitsISI_E10value_typeET2_T3_PNSJ_ISO_E10value_typeET4_T5_PST_SU_PNS1_23onesweep_lookback_stateEbbT6_jjT7_P12ihipStream_tbENKUlT_T0_SI_SN_E_clISD_PjSD_S15_EEDaS11_S12_SI_SN_EUlS11_E_NS1_11comp_targetILNS1_3genE2ELNS1_11target_archE906ELNS1_3gpuE6ELNS1_3repE0EEENS1_47radix_sort_onesweep_sort_config_static_selectorELNS0_4arch9wavefront6targetE1EEEvSI_.kd
    .uniform_work_group_size: 1
    .uses_dynamic_stack: false
    .vgpr_count:     0
    .vgpr_spill_count: 0
    .wavefront_size: 64
  - .agpr_count:     0
    .args:
      - .offset:         0
        .size:           88
        .value_kind:     by_value
    .group_segment_fixed_size: 0
    .kernarg_segment_align: 8
    .kernarg_segment_size: 88
    .language:       OpenCL C
    .language_version:
      - 2
      - 0
    .max_flat_workgroup_size: 512
    .name:           _ZN7rocprim17ROCPRIM_400000_NS6detail17trampoline_kernelINS0_14default_configENS1_35radix_sort_onesweep_config_selectorIjjEEZZNS1_29radix_sort_onesweep_iterationIS3_Lb0EN6thrust23THRUST_200600_302600_NS6detail15normal_iteratorINS8_10device_ptrIjEEEESD_SD_SD_jNS0_19identity_decomposerENS1_16block_id_wrapperIjLb0EEEEE10hipError_tT1_PNSt15iterator_traitsISI_E10value_typeET2_T3_PNSJ_ISO_E10value_typeET4_T5_PST_SU_PNS1_23onesweep_lookback_stateEbbT6_jjT7_P12ihipStream_tbENKUlT_T0_SI_SN_E_clISD_PjSD_S15_EEDaS11_S12_SI_SN_EUlS11_E_NS1_11comp_targetILNS1_3genE4ELNS1_11target_archE910ELNS1_3gpuE8ELNS1_3repE0EEENS1_47radix_sort_onesweep_sort_config_static_selectorELNS0_4arch9wavefront6targetE1EEEvSI_
    .private_segment_fixed_size: 0
    .sgpr_count:     6
    .sgpr_spill_count: 0
    .symbol:         _ZN7rocprim17ROCPRIM_400000_NS6detail17trampoline_kernelINS0_14default_configENS1_35radix_sort_onesweep_config_selectorIjjEEZZNS1_29radix_sort_onesweep_iterationIS3_Lb0EN6thrust23THRUST_200600_302600_NS6detail15normal_iteratorINS8_10device_ptrIjEEEESD_SD_SD_jNS0_19identity_decomposerENS1_16block_id_wrapperIjLb0EEEEE10hipError_tT1_PNSt15iterator_traitsISI_E10value_typeET2_T3_PNSJ_ISO_E10value_typeET4_T5_PST_SU_PNS1_23onesweep_lookback_stateEbbT6_jjT7_P12ihipStream_tbENKUlT_T0_SI_SN_E_clISD_PjSD_S15_EEDaS11_S12_SI_SN_EUlS11_E_NS1_11comp_targetILNS1_3genE4ELNS1_11target_archE910ELNS1_3gpuE8ELNS1_3repE0EEENS1_47radix_sort_onesweep_sort_config_static_selectorELNS0_4arch9wavefront6targetE1EEEvSI_.kd
    .uniform_work_group_size: 1
    .uses_dynamic_stack: false
    .vgpr_count:     0
    .vgpr_spill_count: 0
    .wavefront_size: 64
  - .agpr_count:     0
    .args:
      - .offset:         0
        .size:           88
        .value_kind:     by_value
    .group_segment_fixed_size: 0
    .kernarg_segment_align: 8
    .kernarg_segment_size: 88
    .language:       OpenCL C
    .language_version:
      - 2
      - 0
    .max_flat_workgroup_size: 256
    .name:           _ZN7rocprim17ROCPRIM_400000_NS6detail17trampoline_kernelINS0_14default_configENS1_35radix_sort_onesweep_config_selectorIjjEEZZNS1_29radix_sort_onesweep_iterationIS3_Lb0EN6thrust23THRUST_200600_302600_NS6detail15normal_iteratorINS8_10device_ptrIjEEEESD_SD_SD_jNS0_19identity_decomposerENS1_16block_id_wrapperIjLb0EEEEE10hipError_tT1_PNSt15iterator_traitsISI_E10value_typeET2_T3_PNSJ_ISO_E10value_typeET4_T5_PST_SU_PNS1_23onesweep_lookback_stateEbbT6_jjT7_P12ihipStream_tbENKUlT_T0_SI_SN_E_clISD_PjSD_S15_EEDaS11_S12_SI_SN_EUlS11_E_NS1_11comp_targetILNS1_3genE3ELNS1_11target_archE908ELNS1_3gpuE7ELNS1_3repE0EEENS1_47radix_sort_onesweep_sort_config_static_selectorELNS0_4arch9wavefront6targetE1EEEvSI_
    .private_segment_fixed_size: 0
    .sgpr_count:     6
    .sgpr_spill_count: 0
    .symbol:         _ZN7rocprim17ROCPRIM_400000_NS6detail17trampoline_kernelINS0_14default_configENS1_35radix_sort_onesweep_config_selectorIjjEEZZNS1_29radix_sort_onesweep_iterationIS3_Lb0EN6thrust23THRUST_200600_302600_NS6detail15normal_iteratorINS8_10device_ptrIjEEEESD_SD_SD_jNS0_19identity_decomposerENS1_16block_id_wrapperIjLb0EEEEE10hipError_tT1_PNSt15iterator_traitsISI_E10value_typeET2_T3_PNSJ_ISO_E10value_typeET4_T5_PST_SU_PNS1_23onesweep_lookback_stateEbbT6_jjT7_P12ihipStream_tbENKUlT_T0_SI_SN_E_clISD_PjSD_S15_EEDaS11_S12_SI_SN_EUlS11_E_NS1_11comp_targetILNS1_3genE3ELNS1_11target_archE908ELNS1_3gpuE7ELNS1_3repE0EEENS1_47radix_sort_onesweep_sort_config_static_selectorELNS0_4arch9wavefront6targetE1EEEvSI_.kd
    .uniform_work_group_size: 1
    .uses_dynamic_stack: false
    .vgpr_count:     0
    .vgpr_spill_count: 0
    .wavefront_size: 64
  - .agpr_count:     0
    .args:
      - .offset:         0
        .size:           88
        .value_kind:     by_value
    .group_segment_fixed_size: 0
    .kernarg_segment_align: 8
    .kernarg_segment_size: 88
    .language:       OpenCL C
    .language_version:
      - 2
      - 0
    .max_flat_workgroup_size: 1024
    .name:           _ZN7rocprim17ROCPRIM_400000_NS6detail17trampoline_kernelINS0_14default_configENS1_35radix_sort_onesweep_config_selectorIjjEEZZNS1_29radix_sort_onesweep_iterationIS3_Lb0EN6thrust23THRUST_200600_302600_NS6detail15normal_iteratorINS8_10device_ptrIjEEEESD_SD_SD_jNS0_19identity_decomposerENS1_16block_id_wrapperIjLb0EEEEE10hipError_tT1_PNSt15iterator_traitsISI_E10value_typeET2_T3_PNSJ_ISO_E10value_typeET4_T5_PST_SU_PNS1_23onesweep_lookback_stateEbbT6_jjT7_P12ihipStream_tbENKUlT_T0_SI_SN_E_clISD_PjSD_S15_EEDaS11_S12_SI_SN_EUlS11_E_NS1_11comp_targetILNS1_3genE10ELNS1_11target_archE1201ELNS1_3gpuE5ELNS1_3repE0EEENS1_47radix_sort_onesweep_sort_config_static_selectorELNS0_4arch9wavefront6targetE1EEEvSI_
    .private_segment_fixed_size: 0
    .sgpr_count:     6
    .sgpr_spill_count: 0
    .symbol:         _ZN7rocprim17ROCPRIM_400000_NS6detail17trampoline_kernelINS0_14default_configENS1_35radix_sort_onesweep_config_selectorIjjEEZZNS1_29radix_sort_onesweep_iterationIS3_Lb0EN6thrust23THRUST_200600_302600_NS6detail15normal_iteratorINS8_10device_ptrIjEEEESD_SD_SD_jNS0_19identity_decomposerENS1_16block_id_wrapperIjLb0EEEEE10hipError_tT1_PNSt15iterator_traitsISI_E10value_typeET2_T3_PNSJ_ISO_E10value_typeET4_T5_PST_SU_PNS1_23onesweep_lookback_stateEbbT6_jjT7_P12ihipStream_tbENKUlT_T0_SI_SN_E_clISD_PjSD_S15_EEDaS11_S12_SI_SN_EUlS11_E_NS1_11comp_targetILNS1_3genE10ELNS1_11target_archE1201ELNS1_3gpuE5ELNS1_3repE0EEENS1_47radix_sort_onesweep_sort_config_static_selectorELNS0_4arch9wavefront6targetE1EEEvSI_.kd
    .uniform_work_group_size: 1
    .uses_dynamic_stack: false
    .vgpr_count:     0
    .vgpr_spill_count: 0
    .wavefront_size: 64
  - .agpr_count:     0
    .args:
      - .offset:         0
        .size:           88
        .value_kind:     by_value
    .group_segment_fixed_size: 0
    .kernarg_segment_align: 8
    .kernarg_segment_size: 88
    .language:       OpenCL C
    .language_version:
      - 2
      - 0
    .max_flat_workgroup_size: 1024
    .name:           _ZN7rocprim17ROCPRIM_400000_NS6detail17trampoline_kernelINS0_14default_configENS1_35radix_sort_onesweep_config_selectorIjjEEZZNS1_29radix_sort_onesweep_iterationIS3_Lb0EN6thrust23THRUST_200600_302600_NS6detail15normal_iteratorINS8_10device_ptrIjEEEESD_SD_SD_jNS0_19identity_decomposerENS1_16block_id_wrapperIjLb0EEEEE10hipError_tT1_PNSt15iterator_traitsISI_E10value_typeET2_T3_PNSJ_ISO_E10value_typeET4_T5_PST_SU_PNS1_23onesweep_lookback_stateEbbT6_jjT7_P12ihipStream_tbENKUlT_T0_SI_SN_E_clISD_PjSD_S15_EEDaS11_S12_SI_SN_EUlS11_E_NS1_11comp_targetILNS1_3genE9ELNS1_11target_archE1100ELNS1_3gpuE3ELNS1_3repE0EEENS1_47radix_sort_onesweep_sort_config_static_selectorELNS0_4arch9wavefront6targetE1EEEvSI_
    .private_segment_fixed_size: 0
    .sgpr_count:     6
    .sgpr_spill_count: 0
    .symbol:         _ZN7rocprim17ROCPRIM_400000_NS6detail17trampoline_kernelINS0_14default_configENS1_35radix_sort_onesweep_config_selectorIjjEEZZNS1_29radix_sort_onesweep_iterationIS3_Lb0EN6thrust23THRUST_200600_302600_NS6detail15normal_iteratorINS8_10device_ptrIjEEEESD_SD_SD_jNS0_19identity_decomposerENS1_16block_id_wrapperIjLb0EEEEE10hipError_tT1_PNSt15iterator_traitsISI_E10value_typeET2_T3_PNSJ_ISO_E10value_typeET4_T5_PST_SU_PNS1_23onesweep_lookback_stateEbbT6_jjT7_P12ihipStream_tbENKUlT_T0_SI_SN_E_clISD_PjSD_S15_EEDaS11_S12_SI_SN_EUlS11_E_NS1_11comp_targetILNS1_3genE9ELNS1_11target_archE1100ELNS1_3gpuE3ELNS1_3repE0EEENS1_47radix_sort_onesweep_sort_config_static_selectorELNS0_4arch9wavefront6targetE1EEEvSI_.kd
    .uniform_work_group_size: 1
    .uses_dynamic_stack: false
    .vgpr_count:     0
    .vgpr_spill_count: 0
    .wavefront_size: 64
  - .agpr_count:     0
    .args:
      - .offset:         0
        .size:           88
        .value_kind:     by_value
    .group_segment_fixed_size: 0
    .kernarg_segment_align: 8
    .kernarg_segment_size: 88
    .language:       OpenCL C
    .language_version:
      - 2
      - 0
    .max_flat_workgroup_size: 1024
    .name:           _ZN7rocprim17ROCPRIM_400000_NS6detail17trampoline_kernelINS0_14default_configENS1_35radix_sort_onesweep_config_selectorIjjEEZZNS1_29radix_sort_onesweep_iterationIS3_Lb0EN6thrust23THRUST_200600_302600_NS6detail15normal_iteratorINS8_10device_ptrIjEEEESD_SD_SD_jNS0_19identity_decomposerENS1_16block_id_wrapperIjLb0EEEEE10hipError_tT1_PNSt15iterator_traitsISI_E10value_typeET2_T3_PNSJ_ISO_E10value_typeET4_T5_PST_SU_PNS1_23onesweep_lookback_stateEbbT6_jjT7_P12ihipStream_tbENKUlT_T0_SI_SN_E_clISD_PjSD_S15_EEDaS11_S12_SI_SN_EUlS11_E_NS1_11comp_targetILNS1_3genE8ELNS1_11target_archE1030ELNS1_3gpuE2ELNS1_3repE0EEENS1_47radix_sort_onesweep_sort_config_static_selectorELNS0_4arch9wavefront6targetE1EEEvSI_
    .private_segment_fixed_size: 0
    .sgpr_count:     6
    .sgpr_spill_count: 0
    .symbol:         _ZN7rocprim17ROCPRIM_400000_NS6detail17trampoline_kernelINS0_14default_configENS1_35radix_sort_onesweep_config_selectorIjjEEZZNS1_29radix_sort_onesweep_iterationIS3_Lb0EN6thrust23THRUST_200600_302600_NS6detail15normal_iteratorINS8_10device_ptrIjEEEESD_SD_SD_jNS0_19identity_decomposerENS1_16block_id_wrapperIjLb0EEEEE10hipError_tT1_PNSt15iterator_traitsISI_E10value_typeET2_T3_PNSJ_ISO_E10value_typeET4_T5_PST_SU_PNS1_23onesweep_lookback_stateEbbT6_jjT7_P12ihipStream_tbENKUlT_T0_SI_SN_E_clISD_PjSD_S15_EEDaS11_S12_SI_SN_EUlS11_E_NS1_11comp_targetILNS1_3genE8ELNS1_11target_archE1030ELNS1_3gpuE2ELNS1_3repE0EEENS1_47radix_sort_onesweep_sort_config_static_selectorELNS0_4arch9wavefront6targetE1EEEvSI_.kd
    .uniform_work_group_size: 1
    .uses_dynamic_stack: false
    .vgpr_count:     0
    .vgpr_spill_count: 0
    .wavefront_size: 64
  - .agpr_count:     0
    .args:
      - .offset:         0
        .size:           88
        .value_kind:     by_value
    .group_segment_fixed_size: 0
    .kernarg_segment_align: 8
    .kernarg_segment_size: 88
    .language:       OpenCL C
    .language_version:
      - 2
      - 0
    .max_flat_workgroup_size: 256
    .name:           _ZN7rocprim17ROCPRIM_400000_NS6detail17trampoline_kernelINS0_14default_configENS1_35radix_sort_onesweep_config_selectorIjjEEZZNS1_29radix_sort_onesweep_iterationIS3_Lb0EN6thrust23THRUST_200600_302600_NS6detail15normal_iteratorINS8_10device_ptrIjEEEESD_SD_SD_jNS0_19identity_decomposerENS1_16block_id_wrapperIjLb0EEEEE10hipError_tT1_PNSt15iterator_traitsISI_E10value_typeET2_T3_PNSJ_ISO_E10value_typeET4_T5_PST_SU_PNS1_23onesweep_lookback_stateEbbT6_jjT7_P12ihipStream_tbENKUlT_T0_SI_SN_E_clIPjSD_S15_SD_EEDaS11_S12_SI_SN_EUlS11_E_NS1_11comp_targetILNS1_3genE0ELNS1_11target_archE4294967295ELNS1_3gpuE0ELNS1_3repE0EEENS1_47radix_sort_onesweep_sort_config_static_selectorELNS0_4arch9wavefront6targetE1EEEvSI_
    .private_segment_fixed_size: 0
    .sgpr_count:     6
    .sgpr_spill_count: 0
    .symbol:         _ZN7rocprim17ROCPRIM_400000_NS6detail17trampoline_kernelINS0_14default_configENS1_35radix_sort_onesweep_config_selectorIjjEEZZNS1_29radix_sort_onesweep_iterationIS3_Lb0EN6thrust23THRUST_200600_302600_NS6detail15normal_iteratorINS8_10device_ptrIjEEEESD_SD_SD_jNS0_19identity_decomposerENS1_16block_id_wrapperIjLb0EEEEE10hipError_tT1_PNSt15iterator_traitsISI_E10value_typeET2_T3_PNSJ_ISO_E10value_typeET4_T5_PST_SU_PNS1_23onesweep_lookback_stateEbbT6_jjT7_P12ihipStream_tbENKUlT_T0_SI_SN_E_clIPjSD_S15_SD_EEDaS11_S12_SI_SN_EUlS11_E_NS1_11comp_targetILNS1_3genE0ELNS1_11target_archE4294967295ELNS1_3gpuE0ELNS1_3repE0EEENS1_47radix_sort_onesweep_sort_config_static_selectorELNS0_4arch9wavefront6targetE1EEEvSI_.kd
    .uniform_work_group_size: 1
    .uses_dynamic_stack: false
    .vgpr_count:     0
    .vgpr_spill_count: 0
    .wavefront_size: 64
  - .agpr_count:     0
    .args:
      - .offset:         0
        .size:           88
        .value_kind:     by_value
      - .offset:         88
        .size:           4
        .value_kind:     hidden_block_count_x
      - .offset:         92
        .size:           4
        .value_kind:     hidden_block_count_y
      - .offset:         96
        .size:           4
        .value_kind:     hidden_block_count_z
      - .offset:         100
        .size:           2
        .value_kind:     hidden_group_size_x
      - .offset:         102
        .size:           2
        .value_kind:     hidden_group_size_y
      - .offset:         104
        .size:           2
        .value_kind:     hidden_group_size_z
      - .offset:         106
        .size:           2
        .value_kind:     hidden_remainder_x
      - .offset:         108
        .size:           2
        .value_kind:     hidden_remainder_y
      - .offset:         110
        .size:           2
        .value_kind:     hidden_remainder_z
      - .offset:         128
        .size:           8
        .value_kind:     hidden_global_offset_x
      - .offset:         136
        .size:           8
        .value_kind:     hidden_global_offset_y
      - .offset:         144
        .size:           8
        .value_kind:     hidden_global_offset_z
      - .offset:         152
        .size:           2
        .value_kind:     hidden_grid_dims
    .group_segment_fixed_size: 20552
    .kernarg_segment_align: 8
    .kernarg_segment_size: 344
    .language:       OpenCL C
    .language_version:
      - 2
      - 0
    .max_flat_workgroup_size: 1024
    .name:           _ZN7rocprim17ROCPRIM_400000_NS6detail17trampoline_kernelINS0_14default_configENS1_35radix_sort_onesweep_config_selectorIjjEEZZNS1_29radix_sort_onesweep_iterationIS3_Lb0EN6thrust23THRUST_200600_302600_NS6detail15normal_iteratorINS8_10device_ptrIjEEEESD_SD_SD_jNS0_19identity_decomposerENS1_16block_id_wrapperIjLb0EEEEE10hipError_tT1_PNSt15iterator_traitsISI_E10value_typeET2_T3_PNSJ_ISO_E10value_typeET4_T5_PST_SU_PNS1_23onesweep_lookback_stateEbbT6_jjT7_P12ihipStream_tbENKUlT_T0_SI_SN_E_clIPjSD_S15_SD_EEDaS11_S12_SI_SN_EUlS11_E_NS1_11comp_targetILNS1_3genE6ELNS1_11target_archE950ELNS1_3gpuE13ELNS1_3repE0EEENS1_47radix_sort_onesweep_sort_config_static_selectorELNS0_4arch9wavefront6targetE1EEEvSI_
    .private_segment_fixed_size: 80
    .sgpr_count:     76
    .sgpr_spill_count: 0
    .symbol:         _ZN7rocprim17ROCPRIM_400000_NS6detail17trampoline_kernelINS0_14default_configENS1_35radix_sort_onesweep_config_selectorIjjEEZZNS1_29radix_sort_onesweep_iterationIS3_Lb0EN6thrust23THRUST_200600_302600_NS6detail15normal_iteratorINS8_10device_ptrIjEEEESD_SD_SD_jNS0_19identity_decomposerENS1_16block_id_wrapperIjLb0EEEEE10hipError_tT1_PNSt15iterator_traitsISI_E10value_typeET2_T3_PNSJ_ISO_E10value_typeET4_T5_PST_SU_PNS1_23onesweep_lookback_stateEbbT6_jjT7_P12ihipStream_tbENKUlT_T0_SI_SN_E_clIPjSD_S15_SD_EEDaS11_S12_SI_SN_EUlS11_E_NS1_11comp_targetILNS1_3genE6ELNS1_11target_archE950ELNS1_3gpuE13ELNS1_3repE0EEENS1_47radix_sort_onesweep_sort_config_static_selectorELNS0_4arch9wavefront6targetE1EEEvSI_.kd
    .uniform_work_group_size: 1
    .uses_dynamic_stack: false
    .vgpr_count:     88
    .vgpr_spill_count: 0
    .wavefront_size: 64
  - .agpr_count:     0
    .args:
      - .offset:         0
        .size:           88
        .value_kind:     by_value
    .group_segment_fixed_size: 0
    .kernarg_segment_align: 8
    .kernarg_segment_size: 88
    .language:       OpenCL C
    .language_version:
      - 2
      - 0
    .max_flat_workgroup_size: 1024
    .name:           _ZN7rocprim17ROCPRIM_400000_NS6detail17trampoline_kernelINS0_14default_configENS1_35radix_sort_onesweep_config_selectorIjjEEZZNS1_29radix_sort_onesweep_iterationIS3_Lb0EN6thrust23THRUST_200600_302600_NS6detail15normal_iteratorINS8_10device_ptrIjEEEESD_SD_SD_jNS0_19identity_decomposerENS1_16block_id_wrapperIjLb0EEEEE10hipError_tT1_PNSt15iterator_traitsISI_E10value_typeET2_T3_PNSJ_ISO_E10value_typeET4_T5_PST_SU_PNS1_23onesweep_lookback_stateEbbT6_jjT7_P12ihipStream_tbENKUlT_T0_SI_SN_E_clIPjSD_S15_SD_EEDaS11_S12_SI_SN_EUlS11_E_NS1_11comp_targetILNS1_3genE5ELNS1_11target_archE942ELNS1_3gpuE9ELNS1_3repE0EEENS1_47radix_sort_onesweep_sort_config_static_selectorELNS0_4arch9wavefront6targetE1EEEvSI_
    .private_segment_fixed_size: 0
    .sgpr_count:     6
    .sgpr_spill_count: 0
    .symbol:         _ZN7rocprim17ROCPRIM_400000_NS6detail17trampoline_kernelINS0_14default_configENS1_35radix_sort_onesweep_config_selectorIjjEEZZNS1_29radix_sort_onesweep_iterationIS3_Lb0EN6thrust23THRUST_200600_302600_NS6detail15normal_iteratorINS8_10device_ptrIjEEEESD_SD_SD_jNS0_19identity_decomposerENS1_16block_id_wrapperIjLb0EEEEE10hipError_tT1_PNSt15iterator_traitsISI_E10value_typeET2_T3_PNSJ_ISO_E10value_typeET4_T5_PST_SU_PNS1_23onesweep_lookback_stateEbbT6_jjT7_P12ihipStream_tbENKUlT_T0_SI_SN_E_clIPjSD_S15_SD_EEDaS11_S12_SI_SN_EUlS11_E_NS1_11comp_targetILNS1_3genE5ELNS1_11target_archE942ELNS1_3gpuE9ELNS1_3repE0EEENS1_47radix_sort_onesweep_sort_config_static_selectorELNS0_4arch9wavefront6targetE1EEEvSI_.kd
    .uniform_work_group_size: 1
    .uses_dynamic_stack: false
    .vgpr_count:     0
    .vgpr_spill_count: 0
    .wavefront_size: 64
  - .agpr_count:     0
    .args:
      - .offset:         0
        .size:           88
        .value_kind:     by_value
    .group_segment_fixed_size: 0
    .kernarg_segment_align: 8
    .kernarg_segment_size: 88
    .language:       OpenCL C
    .language_version:
      - 2
      - 0
    .max_flat_workgroup_size: 512
    .name:           _ZN7rocprim17ROCPRIM_400000_NS6detail17trampoline_kernelINS0_14default_configENS1_35radix_sort_onesweep_config_selectorIjjEEZZNS1_29radix_sort_onesweep_iterationIS3_Lb0EN6thrust23THRUST_200600_302600_NS6detail15normal_iteratorINS8_10device_ptrIjEEEESD_SD_SD_jNS0_19identity_decomposerENS1_16block_id_wrapperIjLb0EEEEE10hipError_tT1_PNSt15iterator_traitsISI_E10value_typeET2_T3_PNSJ_ISO_E10value_typeET4_T5_PST_SU_PNS1_23onesweep_lookback_stateEbbT6_jjT7_P12ihipStream_tbENKUlT_T0_SI_SN_E_clIPjSD_S15_SD_EEDaS11_S12_SI_SN_EUlS11_E_NS1_11comp_targetILNS1_3genE2ELNS1_11target_archE906ELNS1_3gpuE6ELNS1_3repE0EEENS1_47radix_sort_onesweep_sort_config_static_selectorELNS0_4arch9wavefront6targetE1EEEvSI_
    .private_segment_fixed_size: 0
    .sgpr_count:     6
    .sgpr_spill_count: 0
    .symbol:         _ZN7rocprim17ROCPRIM_400000_NS6detail17trampoline_kernelINS0_14default_configENS1_35radix_sort_onesweep_config_selectorIjjEEZZNS1_29radix_sort_onesweep_iterationIS3_Lb0EN6thrust23THRUST_200600_302600_NS6detail15normal_iteratorINS8_10device_ptrIjEEEESD_SD_SD_jNS0_19identity_decomposerENS1_16block_id_wrapperIjLb0EEEEE10hipError_tT1_PNSt15iterator_traitsISI_E10value_typeET2_T3_PNSJ_ISO_E10value_typeET4_T5_PST_SU_PNS1_23onesweep_lookback_stateEbbT6_jjT7_P12ihipStream_tbENKUlT_T0_SI_SN_E_clIPjSD_S15_SD_EEDaS11_S12_SI_SN_EUlS11_E_NS1_11comp_targetILNS1_3genE2ELNS1_11target_archE906ELNS1_3gpuE6ELNS1_3repE0EEENS1_47radix_sort_onesweep_sort_config_static_selectorELNS0_4arch9wavefront6targetE1EEEvSI_.kd
    .uniform_work_group_size: 1
    .uses_dynamic_stack: false
    .vgpr_count:     0
    .vgpr_spill_count: 0
    .wavefront_size: 64
  - .agpr_count:     0
    .args:
      - .offset:         0
        .size:           88
        .value_kind:     by_value
    .group_segment_fixed_size: 0
    .kernarg_segment_align: 8
    .kernarg_segment_size: 88
    .language:       OpenCL C
    .language_version:
      - 2
      - 0
    .max_flat_workgroup_size: 512
    .name:           _ZN7rocprim17ROCPRIM_400000_NS6detail17trampoline_kernelINS0_14default_configENS1_35radix_sort_onesweep_config_selectorIjjEEZZNS1_29radix_sort_onesweep_iterationIS3_Lb0EN6thrust23THRUST_200600_302600_NS6detail15normal_iteratorINS8_10device_ptrIjEEEESD_SD_SD_jNS0_19identity_decomposerENS1_16block_id_wrapperIjLb0EEEEE10hipError_tT1_PNSt15iterator_traitsISI_E10value_typeET2_T3_PNSJ_ISO_E10value_typeET4_T5_PST_SU_PNS1_23onesweep_lookback_stateEbbT6_jjT7_P12ihipStream_tbENKUlT_T0_SI_SN_E_clIPjSD_S15_SD_EEDaS11_S12_SI_SN_EUlS11_E_NS1_11comp_targetILNS1_3genE4ELNS1_11target_archE910ELNS1_3gpuE8ELNS1_3repE0EEENS1_47radix_sort_onesweep_sort_config_static_selectorELNS0_4arch9wavefront6targetE1EEEvSI_
    .private_segment_fixed_size: 0
    .sgpr_count:     6
    .sgpr_spill_count: 0
    .symbol:         _ZN7rocprim17ROCPRIM_400000_NS6detail17trampoline_kernelINS0_14default_configENS1_35radix_sort_onesweep_config_selectorIjjEEZZNS1_29radix_sort_onesweep_iterationIS3_Lb0EN6thrust23THRUST_200600_302600_NS6detail15normal_iteratorINS8_10device_ptrIjEEEESD_SD_SD_jNS0_19identity_decomposerENS1_16block_id_wrapperIjLb0EEEEE10hipError_tT1_PNSt15iterator_traitsISI_E10value_typeET2_T3_PNSJ_ISO_E10value_typeET4_T5_PST_SU_PNS1_23onesweep_lookback_stateEbbT6_jjT7_P12ihipStream_tbENKUlT_T0_SI_SN_E_clIPjSD_S15_SD_EEDaS11_S12_SI_SN_EUlS11_E_NS1_11comp_targetILNS1_3genE4ELNS1_11target_archE910ELNS1_3gpuE8ELNS1_3repE0EEENS1_47radix_sort_onesweep_sort_config_static_selectorELNS0_4arch9wavefront6targetE1EEEvSI_.kd
    .uniform_work_group_size: 1
    .uses_dynamic_stack: false
    .vgpr_count:     0
    .vgpr_spill_count: 0
    .wavefront_size: 64
  - .agpr_count:     0
    .args:
      - .offset:         0
        .size:           88
        .value_kind:     by_value
    .group_segment_fixed_size: 0
    .kernarg_segment_align: 8
    .kernarg_segment_size: 88
    .language:       OpenCL C
    .language_version:
      - 2
      - 0
    .max_flat_workgroup_size: 256
    .name:           _ZN7rocprim17ROCPRIM_400000_NS6detail17trampoline_kernelINS0_14default_configENS1_35radix_sort_onesweep_config_selectorIjjEEZZNS1_29radix_sort_onesweep_iterationIS3_Lb0EN6thrust23THRUST_200600_302600_NS6detail15normal_iteratorINS8_10device_ptrIjEEEESD_SD_SD_jNS0_19identity_decomposerENS1_16block_id_wrapperIjLb0EEEEE10hipError_tT1_PNSt15iterator_traitsISI_E10value_typeET2_T3_PNSJ_ISO_E10value_typeET4_T5_PST_SU_PNS1_23onesweep_lookback_stateEbbT6_jjT7_P12ihipStream_tbENKUlT_T0_SI_SN_E_clIPjSD_S15_SD_EEDaS11_S12_SI_SN_EUlS11_E_NS1_11comp_targetILNS1_3genE3ELNS1_11target_archE908ELNS1_3gpuE7ELNS1_3repE0EEENS1_47radix_sort_onesweep_sort_config_static_selectorELNS0_4arch9wavefront6targetE1EEEvSI_
    .private_segment_fixed_size: 0
    .sgpr_count:     6
    .sgpr_spill_count: 0
    .symbol:         _ZN7rocprim17ROCPRIM_400000_NS6detail17trampoline_kernelINS0_14default_configENS1_35radix_sort_onesweep_config_selectorIjjEEZZNS1_29radix_sort_onesweep_iterationIS3_Lb0EN6thrust23THRUST_200600_302600_NS6detail15normal_iteratorINS8_10device_ptrIjEEEESD_SD_SD_jNS0_19identity_decomposerENS1_16block_id_wrapperIjLb0EEEEE10hipError_tT1_PNSt15iterator_traitsISI_E10value_typeET2_T3_PNSJ_ISO_E10value_typeET4_T5_PST_SU_PNS1_23onesweep_lookback_stateEbbT6_jjT7_P12ihipStream_tbENKUlT_T0_SI_SN_E_clIPjSD_S15_SD_EEDaS11_S12_SI_SN_EUlS11_E_NS1_11comp_targetILNS1_3genE3ELNS1_11target_archE908ELNS1_3gpuE7ELNS1_3repE0EEENS1_47radix_sort_onesweep_sort_config_static_selectorELNS0_4arch9wavefront6targetE1EEEvSI_.kd
    .uniform_work_group_size: 1
    .uses_dynamic_stack: false
    .vgpr_count:     0
    .vgpr_spill_count: 0
    .wavefront_size: 64
  - .agpr_count:     0
    .args:
      - .offset:         0
        .size:           88
        .value_kind:     by_value
    .group_segment_fixed_size: 0
    .kernarg_segment_align: 8
    .kernarg_segment_size: 88
    .language:       OpenCL C
    .language_version:
      - 2
      - 0
    .max_flat_workgroup_size: 1024
    .name:           _ZN7rocprim17ROCPRIM_400000_NS6detail17trampoline_kernelINS0_14default_configENS1_35radix_sort_onesweep_config_selectorIjjEEZZNS1_29radix_sort_onesweep_iterationIS3_Lb0EN6thrust23THRUST_200600_302600_NS6detail15normal_iteratorINS8_10device_ptrIjEEEESD_SD_SD_jNS0_19identity_decomposerENS1_16block_id_wrapperIjLb0EEEEE10hipError_tT1_PNSt15iterator_traitsISI_E10value_typeET2_T3_PNSJ_ISO_E10value_typeET4_T5_PST_SU_PNS1_23onesweep_lookback_stateEbbT6_jjT7_P12ihipStream_tbENKUlT_T0_SI_SN_E_clIPjSD_S15_SD_EEDaS11_S12_SI_SN_EUlS11_E_NS1_11comp_targetILNS1_3genE10ELNS1_11target_archE1201ELNS1_3gpuE5ELNS1_3repE0EEENS1_47radix_sort_onesweep_sort_config_static_selectorELNS0_4arch9wavefront6targetE1EEEvSI_
    .private_segment_fixed_size: 0
    .sgpr_count:     6
    .sgpr_spill_count: 0
    .symbol:         _ZN7rocprim17ROCPRIM_400000_NS6detail17trampoline_kernelINS0_14default_configENS1_35radix_sort_onesweep_config_selectorIjjEEZZNS1_29radix_sort_onesweep_iterationIS3_Lb0EN6thrust23THRUST_200600_302600_NS6detail15normal_iteratorINS8_10device_ptrIjEEEESD_SD_SD_jNS0_19identity_decomposerENS1_16block_id_wrapperIjLb0EEEEE10hipError_tT1_PNSt15iterator_traitsISI_E10value_typeET2_T3_PNSJ_ISO_E10value_typeET4_T5_PST_SU_PNS1_23onesweep_lookback_stateEbbT6_jjT7_P12ihipStream_tbENKUlT_T0_SI_SN_E_clIPjSD_S15_SD_EEDaS11_S12_SI_SN_EUlS11_E_NS1_11comp_targetILNS1_3genE10ELNS1_11target_archE1201ELNS1_3gpuE5ELNS1_3repE0EEENS1_47radix_sort_onesweep_sort_config_static_selectorELNS0_4arch9wavefront6targetE1EEEvSI_.kd
    .uniform_work_group_size: 1
    .uses_dynamic_stack: false
    .vgpr_count:     0
    .vgpr_spill_count: 0
    .wavefront_size: 64
  - .agpr_count:     0
    .args:
      - .offset:         0
        .size:           88
        .value_kind:     by_value
    .group_segment_fixed_size: 0
    .kernarg_segment_align: 8
    .kernarg_segment_size: 88
    .language:       OpenCL C
    .language_version:
      - 2
      - 0
    .max_flat_workgroup_size: 1024
    .name:           _ZN7rocprim17ROCPRIM_400000_NS6detail17trampoline_kernelINS0_14default_configENS1_35radix_sort_onesweep_config_selectorIjjEEZZNS1_29radix_sort_onesweep_iterationIS3_Lb0EN6thrust23THRUST_200600_302600_NS6detail15normal_iteratorINS8_10device_ptrIjEEEESD_SD_SD_jNS0_19identity_decomposerENS1_16block_id_wrapperIjLb0EEEEE10hipError_tT1_PNSt15iterator_traitsISI_E10value_typeET2_T3_PNSJ_ISO_E10value_typeET4_T5_PST_SU_PNS1_23onesweep_lookback_stateEbbT6_jjT7_P12ihipStream_tbENKUlT_T0_SI_SN_E_clIPjSD_S15_SD_EEDaS11_S12_SI_SN_EUlS11_E_NS1_11comp_targetILNS1_3genE9ELNS1_11target_archE1100ELNS1_3gpuE3ELNS1_3repE0EEENS1_47radix_sort_onesweep_sort_config_static_selectorELNS0_4arch9wavefront6targetE1EEEvSI_
    .private_segment_fixed_size: 0
    .sgpr_count:     6
    .sgpr_spill_count: 0
    .symbol:         _ZN7rocprim17ROCPRIM_400000_NS6detail17trampoline_kernelINS0_14default_configENS1_35radix_sort_onesweep_config_selectorIjjEEZZNS1_29radix_sort_onesweep_iterationIS3_Lb0EN6thrust23THRUST_200600_302600_NS6detail15normal_iteratorINS8_10device_ptrIjEEEESD_SD_SD_jNS0_19identity_decomposerENS1_16block_id_wrapperIjLb0EEEEE10hipError_tT1_PNSt15iterator_traitsISI_E10value_typeET2_T3_PNSJ_ISO_E10value_typeET4_T5_PST_SU_PNS1_23onesweep_lookback_stateEbbT6_jjT7_P12ihipStream_tbENKUlT_T0_SI_SN_E_clIPjSD_S15_SD_EEDaS11_S12_SI_SN_EUlS11_E_NS1_11comp_targetILNS1_3genE9ELNS1_11target_archE1100ELNS1_3gpuE3ELNS1_3repE0EEENS1_47radix_sort_onesweep_sort_config_static_selectorELNS0_4arch9wavefront6targetE1EEEvSI_.kd
    .uniform_work_group_size: 1
    .uses_dynamic_stack: false
    .vgpr_count:     0
    .vgpr_spill_count: 0
    .wavefront_size: 64
  - .agpr_count:     0
    .args:
      - .offset:         0
        .size:           88
        .value_kind:     by_value
    .group_segment_fixed_size: 0
    .kernarg_segment_align: 8
    .kernarg_segment_size: 88
    .language:       OpenCL C
    .language_version:
      - 2
      - 0
    .max_flat_workgroup_size: 1024
    .name:           _ZN7rocprim17ROCPRIM_400000_NS6detail17trampoline_kernelINS0_14default_configENS1_35radix_sort_onesweep_config_selectorIjjEEZZNS1_29radix_sort_onesweep_iterationIS3_Lb0EN6thrust23THRUST_200600_302600_NS6detail15normal_iteratorINS8_10device_ptrIjEEEESD_SD_SD_jNS0_19identity_decomposerENS1_16block_id_wrapperIjLb0EEEEE10hipError_tT1_PNSt15iterator_traitsISI_E10value_typeET2_T3_PNSJ_ISO_E10value_typeET4_T5_PST_SU_PNS1_23onesweep_lookback_stateEbbT6_jjT7_P12ihipStream_tbENKUlT_T0_SI_SN_E_clIPjSD_S15_SD_EEDaS11_S12_SI_SN_EUlS11_E_NS1_11comp_targetILNS1_3genE8ELNS1_11target_archE1030ELNS1_3gpuE2ELNS1_3repE0EEENS1_47radix_sort_onesweep_sort_config_static_selectorELNS0_4arch9wavefront6targetE1EEEvSI_
    .private_segment_fixed_size: 0
    .sgpr_count:     6
    .sgpr_spill_count: 0
    .symbol:         _ZN7rocprim17ROCPRIM_400000_NS6detail17trampoline_kernelINS0_14default_configENS1_35radix_sort_onesweep_config_selectorIjjEEZZNS1_29radix_sort_onesweep_iterationIS3_Lb0EN6thrust23THRUST_200600_302600_NS6detail15normal_iteratorINS8_10device_ptrIjEEEESD_SD_SD_jNS0_19identity_decomposerENS1_16block_id_wrapperIjLb0EEEEE10hipError_tT1_PNSt15iterator_traitsISI_E10value_typeET2_T3_PNSJ_ISO_E10value_typeET4_T5_PST_SU_PNS1_23onesweep_lookback_stateEbbT6_jjT7_P12ihipStream_tbENKUlT_T0_SI_SN_E_clIPjSD_S15_SD_EEDaS11_S12_SI_SN_EUlS11_E_NS1_11comp_targetILNS1_3genE8ELNS1_11target_archE1030ELNS1_3gpuE2ELNS1_3repE0EEENS1_47radix_sort_onesweep_sort_config_static_selectorELNS0_4arch9wavefront6targetE1EEEvSI_.kd
    .uniform_work_group_size: 1
    .uses_dynamic_stack: false
    .vgpr_count:     0
    .vgpr_spill_count: 0
    .wavefront_size: 64
  - .agpr_count:     0
    .args:
      - .offset:         0
        .size:           104
        .value_kind:     by_value
    .group_segment_fixed_size: 64
    .kernarg_segment_align: 8
    .kernarg_segment_size: 104
    .language:       OpenCL C
    .language_version:
      - 2
      - 0
    .max_flat_workgroup_size: 128
    .name:           _ZN7rocprim17ROCPRIM_400000_NS6detail17trampoline_kernelINS0_14default_configENS1_22reduce_config_selectorIN6thrust23THRUST_200600_302600_NS5tupleIblNS6_9null_typeES8_S8_S8_S8_S8_S8_S8_EEEEZNS1_11reduce_implILb1ES3_NS6_12zip_iteratorINS7_INS6_11hip_rocprim26transform_input_iterator_tIbNSD_35transform_pair_of_input_iterators_tIbNS6_6detail15normal_iteratorINS6_10device_ptrIKjEEEESL_NS6_8equal_toIjEEEENSG_9not_fun_tINSD_8identityEEEEENSD_19counting_iterator_tIlEES8_S8_S8_S8_S8_S8_S8_S8_EEEEPS9_S9_NSD_9__find_if7functorIS9_EEEE10hipError_tPvRmT1_T2_T3_mT4_P12ihipStream_tbEUlT_E0_NS1_11comp_targetILNS1_3genE0ELNS1_11target_archE4294967295ELNS1_3gpuE0ELNS1_3repE0EEENS1_30default_config_static_selectorELNS0_4arch9wavefront6targetE1EEEvS14_
    .private_segment_fixed_size: 0
    .sgpr_count:     34
    .sgpr_spill_count: 0
    .symbol:         _ZN7rocprim17ROCPRIM_400000_NS6detail17trampoline_kernelINS0_14default_configENS1_22reduce_config_selectorIN6thrust23THRUST_200600_302600_NS5tupleIblNS6_9null_typeES8_S8_S8_S8_S8_S8_S8_EEEEZNS1_11reduce_implILb1ES3_NS6_12zip_iteratorINS7_INS6_11hip_rocprim26transform_input_iterator_tIbNSD_35transform_pair_of_input_iterators_tIbNS6_6detail15normal_iteratorINS6_10device_ptrIKjEEEESL_NS6_8equal_toIjEEEENSG_9not_fun_tINSD_8identityEEEEENSD_19counting_iterator_tIlEES8_S8_S8_S8_S8_S8_S8_S8_EEEEPS9_S9_NSD_9__find_if7functorIS9_EEEE10hipError_tPvRmT1_T2_T3_mT4_P12ihipStream_tbEUlT_E0_NS1_11comp_targetILNS1_3genE0ELNS1_11target_archE4294967295ELNS1_3gpuE0ELNS1_3repE0EEENS1_30default_config_static_selectorELNS0_4arch9wavefront6targetE1EEEvS14_.kd
    .uniform_work_group_size: 1
    .uses_dynamic_stack: false
    .vgpr_count:     14
    .vgpr_spill_count: 0
    .wavefront_size: 64
  - .agpr_count:     0
    .args:
      - .offset:         0
        .size:           104
        .value_kind:     by_value
    .group_segment_fixed_size: 0
    .kernarg_segment_align: 8
    .kernarg_segment_size: 104
    .language:       OpenCL C
    .language_version:
      - 2
      - 0
    .max_flat_workgroup_size: 256
    .name:           _ZN7rocprim17ROCPRIM_400000_NS6detail17trampoline_kernelINS0_14default_configENS1_22reduce_config_selectorIN6thrust23THRUST_200600_302600_NS5tupleIblNS6_9null_typeES8_S8_S8_S8_S8_S8_S8_EEEEZNS1_11reduce_implILb1ES3_NS6_12zip_iteratorINS7_INS6_11hip_rocprim26transform_input_iterator_tIbNSD_35transform_pair_of_input_iterators_tIbNS6_6detail15normal_iteratorINS6_10device_ptrIKjEEEESL_NS6_8equal_toIjEEEENSG_9not_fun_tINSD_8identityEEEEENSD_19counting_iterator_tIlEES8_S8_S8_S8_S8_S8_S8_S8_EEEEPS9_S9_NSD_9__find_if7functorIS9_EEEE10hipError_tPvRmT1_T2_T3_mT4_P12ihipStream_tbEUlT_E0_NS1_11comp_targetILNS1_3genE5ELNS1_11target_archE942ELNS1_3gpuE9ELNS1_3repE0EEENS1_30default_config_static_selectorELNS0_4arch9wavefront6targetE1EEEvS14_
    .private_segment_fixed_size: 0
    .sgpr_count:     6
    .sgpr_spill_count: 0
    .symbol:         _ZN7rocprim17ROCPRIM_400000_NS6detail17trampoline_kernelINS0_14default_configENS1_22reduce_config_selectorIN6thrust23THRUST_200600_302600_NS5tupleIblNS6_9null_typeES8_S8_S8_S8_S8_S8_S8_EEEEZNS1_11reduce_implILb1ES3_NS6_12zip_iteratorINS7_INS6_11hip_rocprim26transform_input_iterator_tIbNSD_35transform_pair_of_input_iterators_tIbNS6_6detail15normal_iteratorINS6_10device_ptrIKjEEEESL_NS6_8equal_toIjEEEENSG_9not_fun_tINSD_8identityEEEEENSD_19counting_iterator_tIlEES8_S8_S8_S8_S8_S8_S8_S8_EEEEPS9_S9_NSD_9__find_if7functorIS9_EEEE10hipError_tPvRmT1_T2_T3_mT4_P12ihipStream_tbEUlT_E0_NS1_11comp_targetILNS1_3genE5ELNS1_11target_archE942ELNS1_3gpuE9ELNS1_3repE0EEENS1_30default_config_static_selectorELNS0_4arch9wavefront6targetE1EEEvS14_.kd
    .uniform_work_group_size: 1
    .uses_dynamic_stack: false
    .vgpr_count:     0
    .vgpr_spill_count: 0
    .wavefront_size: 64
  - .agpr_count:     0
    .args:
      - .offset:         0
        .size:           104
        .value_kind:     by_value
    .group_segment_fixed_size: 0
    .kernarg_segment_align: 8
    .kernarg_segment_size: 104
    .language:       OpenCL C
    .language_version:
      - 2
      - 0
    .max_flat_workgroup_size: 256
    .name:           _ZN7rocprim17ROCPRIM_400000_NS6detail17trampoline_kernelINS0_14default_configENS1_22reduce_config_selectorIN6thrust23THRUST_200600_302600_NS5tupleIblNS6_9null_typeES8_S8_S8_S8_S8_S8_S8_EEEEZNS1_11reduce_implILb1ES3_NS6_12zip_iteratorINS7_INS6_11hip_rocprim26transform_input_iterator_tIbNSD_35transform_pair_of_input_iterators_tIbNS6_6detail15normal_iteratorINS6_10device_ptrIKjEEEESL_NS6_8equal_toIjEEEENSG_9not_fun_tINSD_8identityEEEEENSD_19counting_iterator_tIlEES8_S8_S8_S8_S8_S8_S8_S8_EEEEPS9_S9_NSD_9__find_if7functorIS9_EEEE10hipError_tPvRmT1_T2_T3_mT4_P12ihipStream_tbEUlT_E0_NS1_11comp_targetILNS1_3genE4ELNS1_11target_archE910ELNS1_3gpuE8ELNS1_3repE0EEENS1_30default_config_static_selectorELNS0_4arch9wavefront6targetE1EEEvS14_
    .private_segment_fixed_size: 0
    .sgpr_count:     6
    .sgpr_spill_count: 0
    .symbol:         _ZN7rocprim17ROCPRIM_400000_NS6detail17trampoline_kernelINS0_14default_configENS1_22reduce_config_selectorIN6thrust23THRUST_200600_302600_NS5tupleIblNS6_9null_typeES8_S8_S8_S8_S8_S8_S8_EEEEZNS1_11reduce_implILb1ES3_NS6_12zip_iteratorINS7_INS6_11hip_rocprim26transform_input_iterator_tIbNSD_35transform_pair_of_input_iterators_tIbNS6_6detail15normal_iteratorINS6_10device_ptrIKjEEEESL_NS6_8equal_toIjEEEENSG_9not_fun_tINSD_8identityEEEEENSD_19counting_iterator_tIlEES8_S8_S8_S8_S8_S8_S8_S8_EEEEPS9_S9_NSD_9__find_if7functorIS9_EEEE10hipError_tPvRmT1_T2_T3_mT4_P12ihipStream_tbEUlT_E0_NS1_11comp_targetILNS1_3genE4ELNS1_11target_archE910ELNS1_3gpuE8ELNS1_3repE0EEENS1_30default_config_static_selectorELNS0_4arch9wavefront6targetE1EEEvS14_.kd
    .uniform_work_group_size: 1
    .uses_dynamic_stack: false
    .vgpr_count:     0
    .vgpr_spill_count: 0
    .wavefront_size: 64
  - .agpr_count:     0
    .args:
      - .offset:         0
        .size:           104
        .value_kind:     by_value
    .group_segment_fixed_size: 0
    .kernarg_segment_align: 8
    .kernarg_segment_size: 104
    .language:       OpenCL C
    .language_version:
      - 2
      - 0
    .max_flat_workgroup_size: 128
    .name:           _ZN7rocprim17ROCPRIM_400000_NS6detail17trampoline_kernelINS0_14default_configENS1_22reduce_config_selectorIN6thrust23THRUST_200600_302600_NS5tupleIblNS6_9null_typeES8_S8_S8_S8_S8_S8_S8_EEEEZNS1_11reduce_implILb1ES3_NS6_12zip_iteratorINS7_INS6_11hip_rocprim26transform_input_iterator_tIbNSD_35transform_pair_of_input_iterators_tIbNS6_6detail15normal_iteratorINS6_10device_ptrIKjEEEESL_NS6_8equal_toIjEEEENSG_9not_fun_tINSD_8identityEEEEENSD_19counting_iterator_tIlEES8_S8_S8_S8_S8_S8_S8_S8_EEEEPS9_S9_NSD_9__find_if7functorIS9_EEEE10hipError_tPvRmT1_T2_T3_mT4_P12ihipStream_tbEUlT_E0_NS1_11comp_targetILNS1_3genE3ELNS1_11target_archE908ELNS1_3gpuE7ELNS1_3repE0EEENS1_30default_config_static_selectorELNS0_4arch9wavefront6targetE1EEEvS14_
    .private_segment_fixed_size: 0
    .sgpr_count:     6
    .sgpr_spill_count: 0
    .symbol:         _ZN7rocprim17ROCPRIM_400000_NS6detail17trampoline_kernelINS0_14default_configENS1_22reduce_config_selectorIN6thrust23THRUST_200600_302600_NS5tupleIblNS6_9null_typeES8_S8_S8_S8_S8_S8_S8_EEEEZNS1_11reduce_implILb1ES3_NS6_12zip_iteratorINS7_INS6_11hip_rocprim26transform_input_iterator_tIbNSD_35transform_pair_of_input_iterators_tIbNS6_6detail15normal_iteratorINS6_10device_ptrIKjEEEESL_NS6_8equal_toIjEEEENSG_9not_fun_tINSD_8identityEEEEENSD_19counting_iterator_tIlEES8_S8_S8_S8_S8_S8_S8_S8_EEEEPS9_S9_NSD_9__find_if7functorIS9_EEEE10hipError_tPvRmT1_T2_T3_mT4_P12ihipStream_tbEUlT_E0_NS1_11comp_targetILNS1_3genE3ELNS1_11target_archE908ELNS1_3gpuE7ELNS1_3repE0EEENS1_30default_config_static_selectorELNS0_4arch9wavefront6targetE1EEEvS14_.kd
    .uniform_work_group_size: 1
    .uses_dynamic_stack: false
    .vgpr_count:     0
    .vgpr_spill_count: 0
    .wavefront_size: 64
  - .agpr_count:     0
    .args:
      - .offset:         0
        .size:           104
        .value_kind:     by_value
    .group_segment_fixed_size: 0
    .kernarg_segment_align: 8
    .kernarg_segment_size: 104
    .language:       OpenCL C
    .language_version:
      - 2
      - 0
    .max_flat_workgroup_size: 128
    .name:           _ZN7rocprim17ROCPRIM_400000_NS6detail17trampoline_kernelINS0_14default_configENS1_22reduce_config_selectorIN6thrust23THRUST_200600_302600_NS5tupleIblNS6_9null_typeES8_S8_S8_S8_S8_S8_S8_EEEEZNS1_11reduce_implILb1ES3_NS6_12zip_iteratorINS7_INS6_11hip_rocprim26transform_input_iterator_tIbNSD_35transform_pair_of_input_iterators_tIbNS6_6detail15normal_iteratorINS6_10device_ptrIKjEEEESL_NS6_8equal_toIjEEEENSG_9not_fun_tINSD_8identityEEEEENSD_19counting_iterator_tIlEES8_S8_S8_S8_S8_S8_S8_S8_EEEEPS9_S9_NSD_9__find_if7functorIS9_EEEE10hipError_tPvRmT1_T2_T3_mT4_P12ihipStream_tbEUlT_E0_NS1_11comp_targetILNS1_3genE2ELNS1_11target_archE906ELNS1_3gpuE6ELNS1_3repE0EEENS1_30default_config_static_selectorELNS0_4arch9wavefront6targetE1EEEvS14_
    .private_segment_fixed_size: 0
    .sgpr_count:     6
    .sgpr_spill_count: 0
    .symbol:         _ZN7rocprim17ROCPRIM_400000_NS6detail17trampoline_kernelINS0_14default_configENS1_22reduce_config_selectorIN6thrust23THRUST_200600_302600_NS5tupleIblNS6_9null_typeES8_S8_S8_S8_S8_S8_S8_EEEEZNS1_11reduce_implILb1ES3_NS6_12zip_iteratorINS7_INS6_11hip_rocprim26transform_input_iterator_tIbNSD_35transform_pair_of_input_iterators_tIbNS6_6detail15normal_iteratorINS6_10device_ptrIKjEEEESL_NS6_8equal_toIjEEEENSG_9not_fun_tINSD_8identityEEEEENSD_19counting_iterator_tIlEES8_S8_S8_S8_S8_S8_S8_S8_EEEEPS9_S9_NSD_9__find_if7functorIS9_EEEE10hipError_tPvRmT1_T2_T3_mT4_P12ihipStream_tbEUlT_E0_NS1_11comp_targetILNS1_3genE2ELNS1_11target_archE906ELNS1_3gpuE6ELNS1_3repE0EEENS1_30default_config_static_selectorELNS0_4arch9wavefront6targetE1EEEvS14_.kd
    .uniform_work_group_size: 1
    .uses_dynamic_stack: false
    .vgpr_count:     0
    .vgpr_spill_count: 0
    .wavefront_size: 64
  - .agpr_count:     0
    .args:
      - .offset:         0
        .size:           104
        .value_kind:     by_value
    .group_segment_fixed_size: 0
    .kernarg_segment_align: 8
    .kernarg_segment_size: 104
    .language:       OpenCL C
    .language_version:
      - 2
      - 0
    .max_flat_workgroup_size: 256
    .name:           _ZN7rocprim17ROCPRIM_400000_NS6detail17trampoline_kernelINS0_14default_configENS1_22reduce_config_selectorIN6thrust23THRUST_200600_302600_NS5tupleIblNS6_9null_typeES8_S8_S8_S8_S8_S8_S8_EEEEZNS1_11reduce_implILb1ES3_NS6_12zip_iteratorINS7_INS6_11hip_rocprim26transform_input_iterator_tIbNSD_35transform_pair_of_input_iterators_tIbNS6_6detail15normal_iteratorINS6_10device_ptrIKjEEEESL_NS6_8equal_toIjEEEENSG_9not_fun_tINSD_8identityEEEEENSD_19counting_iterator_tIlEES8_S8_S8_S8_S8_S8_S8_S8_EEEEPS9_S9_NSD_9__find_if7functorIS9_EEEE10hipError_tPvRmT1_T2_T3_mT4_P12ihipStream_tbEUlT_E0_NS1_11comp_targetILNS1_3genE10ELNS1_11target_archE1201ELNS1_3gpuE5ELNS1_3repE0EEENS1_30default_config_static_selectorELNS0_4arch9wavefront6targetE1EEEvS14_
    .private_segment_fixed_size: 0
    .sgpr_count:     6
    .sgpr_spill_count: 0
    .symbol:         _ZN7rocprim17ROCPRIM_400000_NS6detail17trampoline_kernelINS0_14default_configENS1_22reduce_config_selectorIN6thrust23THRUST_200600_302600_NS5tupleIblNS6_9null_typeES8_S8_S8_S8_S8_S8_S8_EEEEZNS1_11reduce_implILb1ES3_NS6_12zip_iteratorINS7_INS6_11hip_rocprim26transform_input_iterator_tIbNSD_35transform_pair_of_input_iterators_tIbNS6_6detail15normal_iteratorINS6_10device_ptrIKjEEEESL_NS6_8equal_toIjEEEENSG_9not_fun_tINSD_8identityEEEEENSD_19counting_iterator_tIlEES8_S8_S8_S8_S8_S8_S8_S8_EEEEPS9_S9_NSD_9__find_if7functorIS9_EEEE10hipError_tPvRmT1_T2_T3_mT4_P12ihipStream_tbEUlT_E0_NS1_11comp_targetILNS1_3genE10ELNS1_11target_archE1201ELNS1_3gpuE5ELNS1_3repE0EEENS1_30default_config_static_selectorELNS0_4arch9wavefront6targetE1EEEvS14_.kd
    .uniform_work_group_size: 1
    .uses_dynamic_stack: false
    .vgpr_count:     0
    .vgpr_spill_count: 0
    .wavefront_size: 64
  - .agpr_count:     0
    .args:
      - .offset:         0
        .size:           104
        .value_kind:     by_value
    .group_segment_fixed_size: 0
    .kernarg_segment_align: 8
    .kernarg_segment_size: 104
    .language:       OpenCL C
    .language_version:
      - 2
      - 0
    .max_flat_workgroup_size: 256
    .name:           _ZN7rocprim17ROCPRIM_400000_NS6detail17trampoline_kernelINS0_14default_configENS1_22reduce_config_selectorIN6thrust23THRUST_200600_302600_NS5tupleIblNS6_9null_typeES8_S8_S8_S8_S8_S8_S8_EEEEZNS1_11reduce_implILb1ES3_NS6_12zip_iteratorINS7_INS6_11hip_rocprim26transform_input_iterator_tIbNSD_35transform_pair_of_input_iterators_tIbNS6_6detail15normal_iteratorINS6_10device_ptrIKjEEEESL_NS6_8equal_toIjEEEENSG_9not_fun_tINSD_8identityEEEEENSD_19counting_iterator_tIlEES8_S8_S8_S8_S8_S8_S8_S8_EEEEPS9_S9_NSD_9__find_if7functorIS9_EEEE10hipError_tPvRmT1_T2_T3_mT4_P12ihipStream_tbEUlT_E0_NS1_11comp_targetILNS1_3genE10ELNS1_11target_archE1200ELNS1_3gpuE4ELNS1_3repE0EEENS1_30default_config_static_selectorELNS0_4arch9wavefront6targetE1EEEvS14_
    .private_segment_fixed_size: 0
    .sgpr_count:     6
    .sgpr_spill_count: 0
    .symbol:         _ZN7rocprim17ROCPRIM_400000_NS6detail17trampoline_kernelINS0_14default_configENS1_22reduce_config_selectorIN6thrust23THRUST_200600_302600_NS5tupleIblNS6_9null_typeES8_S8_S8_S8_S8_S8_S8_EEEEZNS1_11reduce_implILb1ES3_NS6_12zip_iteratorINS7_INS6_11hip_rocprim26transform_input_iterator_tIbNSD_35transform_pair_of_input_iterators_tIbNS6_6detail15normal_iteratorINS6_10device_ptrIKjEEEESL_NS6_8equal_toIjEEEENSG_9not_fun_tINSD_8identityEEEEENSD_19counting_iterator_tIlEES8_S8_S8_S8_S8_S8_S8_S8_EEEEPS9_S9_NSD_9__find_if7functorIS9_EEEE10hipError_tPvRmT1_T2_T3_mT4_P12ihipStream_tbEUlT_E0_NS1_11comp_targetILNS1_3genE10ELNS1_11target_archE1200ELNS1_3gpuE4ELNS1_3repE0EEENS1_30default_config_static_selectorELNS0_4arch9wavefront6targetE1EEEvS14_.kd
    .uniform_work_group_size: 1
    .uses_dynamic_stack: false
    .vgpr_count:     0
    .vgpr_spill_count: 0
    .wavefront_size: 64
  - .agpr_count:     0
    .args:
      - .offset:         0
        .size:           104
        .value_kind:     by_value
    .group_segment_fixed_size: 0
    .kernarg_segment_align: 8
    .kernarg_segment_size: 104
    .language:       OpenCL C
    .language_version:
      - 2
      - 0
    .max_flat_workgroup_size: 256
    .name:           _ZN7rocprim17ROCPRIM_400000_NS6detail17trampoline_kernelINS0_14default_configENS1_22reduce_config_selectorIN6thrust23THRUST_200600_302600_NS5tupleIblNS6_9null_typeES8_S8_S8_S8_S8_S8_S8_EEEEZNS1_11reduce_implILb1ES3_NS6_12zip_iteratorINS7_INS6_11hip_rocprim26transform_input_iterator_tIbNSD_35transform_pair_of_input_iterators_tIbNS6_6detail15normal_iteratorINS6_10device_ptrIKjEEEESL_NS6_8equal_toIjEEEENSG_9not_fun_tINSD_8identityEEEEENSD_19counting_iterator_tIlEES8_S8_S8_S8_S8_S8_S8_S8_EEEEPS9_S9_NSD_9__find_if7functorIS9_EEEE10hipError_tPvRmT1_T2_T3_mT4_P12ihipStream_tbEUlT_E0_NS1_11comp_targetILNS1_3genE9ELNS1_11target_archE1100ELNS1_3gpuE3ELNS1_3repE0EEENS1_30default_config_static_selectorELNS0_4arch9wavefront6targetE1EEEvS14_
    .private_segment_fixed_size: 0
    .sgpr_count:     6
    .sgpr_spill_count: 0
    .symbol:         _ZN7rocprim17ROCPRIM_400000_NS6detail17trampoline_kernelINS0_14default_configENS1_22reduce_config_selectorIN6thrust23THRUST_200600_302600_NS5tupleIblNS6_9null_typeES8_S8_S8_S8_S8_S8_S8_EEEEZNS1_11reduce_implILb1ES3_NS6_12zip_iteratorINS7_INS6_11hip_rocprim26transform_input_iterator_tIbNSD_35transform_pair_of_input_iterators_tIbNS6_6detail15normal_iteratorINS6_10device_ptrIKjEEEESL_NS6_8equal_toIjEEEENSG_9not_fun_tINSD_8identityEEEEENSD_19counting_iterator_tIlEES8_S8_S8_S8_S8_S8_S8_S8_EEEEPS9_S9_NSD_9__find_if7functorIS9_EEEE10hipError_tPvRmT1_T2_T3_mT4_P12ihipStream_tbEUlT_E0_NS1_11comp_targetILNS1_3genE9ELNS1_11target_archE1100ELNS1_3gpuE3ELNS1_3repE0EEENS1_30default_config_static_selectorELNS0_4arch9wavefront6targetE1EEEvS14_.kd
    .uniform_work_group_size: 1
    .uses_dynamic_stack: false
    .vgpr_count:     0
    .vgpr_spill_count: 0
    .wavefront_size: 64
  - .agpr_count:     0
    .args:
      - .offset:         0
        .size:           104
        .value_kind:     by_value
    .group_segment_fixed_size: 0
    .kernarg_segment_align: 8
    .kernarg_segment_size: 104
    .language:       OpenCL C
    .language_version:
      - 2
      - 0
    .max_flat_workgroup_size: 256
    .name:           _ZN7rocprim17ROCPRIM_400000_NS6detail17trampoline_kernelINS0_14default_configENS1_22reduce_config_selectorIN6thrust23THRUST_200600_302600_NS5tupleIblNS6_9null_typeES8_S8_S8_S8_S8_S8_S8_EEEEZNS1_11reduce_implILb1ES3_NS6_12zip_iteratorINS7_INS6_11hip_rocprim26transform_input_iterator_tIbNSD_35transform_pair_of_input_iterators_tIbNS6_6detail15normal_iteratorINS6_10device_ptrIKjEEEESL_NS6_8equal_toIjEEEENSG_9not_fun_tINSD_8identityEEEEENSD_19counting_iterator_tIlEES8_S8_S8_S8_S8_S8_S8_S8_EEEEPS9_S9_NSD_9__find_if7functorIS9_EEEE10hipError_tPvRmT1_T2_T3_mT4_P12ihipStream_tbEUlT_E0_NS1_11comp_targetILNS1_3genE8ELNS1_11target_archE1030ELNS1_3gpuE2ELNS1_3repE0EEENS1_30default_config_static_selectorELNS0_4arch9wavefront6targetE1EEEvS14_
    .private_segment_fixed_size: 0
    .sgpr_count:     6
    .sgpr_spill_count: 0
    .symbol:         _ZN7rocprim17ROCPRIM_400000_NS6detail17trampoline_kernelINS0_14default_configENS1_22reduce_config_selectorIN6thrust23THRUST_200600_302600_NS5tupleIblNS6_9null_typeES8_S8_S8_S8_S8_S8_S8_EEEEZNS1_11reduce_implILb1ES3_NS6_12zip_iteratorINS7_INS6_11hip_rocprim26transform_input_iterator_tIbNSD_35transform_pair_of_input_iterators_tIbNS6_6detail15normal_iteratorINS6_10device_ptrIKjEEEESL_NS6_8equal_toIjEEEENSG_9not_fun_tINSD_8identityEEEEENSD_19counting_iterator_tIlEES8_S8_S8_S8_S8_S8_S8_S8_EEEEPS9_S9_NSD_9__find_if7functorIS9_EEEE10hipError_tPvRmT1_T2_T3_mT4_P12ihipStream_tbEUlT_E0_NS1_11comp_targetILNS1_3genE8ELNS1_11target_archE1030ELNS1_3gpuE2ELNS1_3repE0EEENS1_30default_config_static_selectorELNS0_4arch9wavefront6targetE1EEEvS14_.kd
    .uniform_work_group_size: 1
    .uses_dynamic_stack: false
    .vgpr_count:     0
    .vgpr_spill_count: 0
    .wavefront_size: 64
  - .agpr_count:     0
    .args:
      - .offset:         0
        .size:           88
        .value_kind:     by_value
    .group_segment_fixed_size: 160
    .kernarg_segment_align: 8
    .kernarg_segment_size: 88
    .language:       OpenCL C
    .language_version:
      - 2
      - 0
    .max_flat_workgroup_size: 128
    .name:           _ZN7rocprim17ROCPRIM_400000_NS6detail17trampoline_kernelINS0_14default_configENS1_22reduce_config_selectorIN6thrust23THRUST_200600_302600_NS5tupleIblNS6_9null_typeES8_S8_S8_S8_S8_S8_S8_EEEEZNS1_11reduce_implILb1ES3_NS6_12zip_iteratorINS7_INS6_11hip_rocprim26transform_input_iterator_tIbNSD_35transform_pair_of_input_iterators_tIbNS6_6detail15normal_iteratorINS6_10device_ptrIKjEEEESL_NS6_8equal_toIjEEEENSG_9not_fun_tINSD_8identityEEEEENSD_19counting_iterator_tIlEES8_S8_S8_S8_S8_S8_S8_S8_EEEEPS9_S9_NSD_9__find_if7functorIS9_EEEE10hipError_tPvRmT1_T2_T3_mT4_P12ihipStream_tbEUlT_E1_NS1_11comp_targetILNS1_3genE0ELNS1_11target_archE4294967295ELNS1_3gpuE0ELNS1_3repE0EEENS1_30default_config_static_selectorELNS0_4arch9wavefront6targetE1EEEvS14_
    .private_segment_fixed_size: 0
    .sgpr_count:     48
    .sgpr_spill_count: 0
    .symbol:         _ZN7rocprim17ROCPRIM_400000_NS6detail17trampoline_kernelINS0_14default_configENS1_22reduce_config_selectorIN6thrust23THRUST_200600_302600_NS5tupleIblNS6_9null_typeES8_S8_S8_S8_S8_S8_S8_EEEEZNS1_11reduce_implILb1ES3_NS6_12zip_iteratorINS7_INS6_11hip_rocprim26transform_input_iterator_tIbNSD_35transform_pair_of_input_iterators_tIbNS6_6detail15normal_iteratorINS6_10device_ptrIKjEEEESL_NS6_8equal_toIjEEEENSG_9not_fun_tINSD_8identityEEEEENSD_19counting_iterator_tIlEES8_S8_S8_S8_S8_S8_S8_S8_EEEEPS9_S9_NSD_9__find_if7functorIS9_EEEE10hipError_tPvRmT1_T2_T3_mT4_P12ihipStream_tbEUlT_E1_NS1_11comp_targetILNS1_3genE0ELNS1_11target_archE4294967295ELNS1_3gpuE0ELNS1_3repE0EEENS1_30default_config_static_selectorELNS0_4arch9wavefront6targetE1EEEvS14_.kd
    .uniform_work_group_size: 1
    .uses_dynamic_stack: false
    .vgpr_count:     29
    .vgpr_spill_count: 0
    .wavefront_size: 64
  - .agpr_count:     0
    .args:
      - .offset:         0
        .size:           88
        .value_kind:     by_value
    .group_segment_fixed_size: 0
    .kernarg_segment_align: 8
    .kernarg_segment_size: 88
    .language:       OpenCL C
    .language_version:
      - 2
      - 0
    .max_flat_workgroup_size: 256
    .name:           _ZN7rocprim17ROCPRIM_400000_NS6detail17trampoline_kernelINS0_14default_configENS1_22reduce_config_selectorIN6thrust23THRUST_200600_302600_NS5tupleIblNS6_9null_typeES8_S8_S8_S8_S8_S8_S8_EEEEZNS1_11reduce_implILb1ES3_NS6_12zip_iteratorINS7_INS6_11hip_rocprim26transform_input_iterator_tIbNSD_35transform_pair_of_input_iterators_tIbNS6_6detail15normal_iteratorINS6_10device_ptrIKjEEEESL_NS6_8equal_toIjEEEENSG_9not_fun_tINSD_8identityEEEEENSD_19counting_iterator_tIlEES8_S8_S8_S8_S8_S8_S8_S8_EEEEPS9_S9_NSD_9__find_if7functorIS9_EEEE10hipError_tPvRmT1_T2_T3_mT4_P12ihipStream_tbEUlT_E1_NS1_11comp_targetILNS1_3genE5ELNS1_11target_archE942ELNS1_3gpuE9ELNS1_3repE0EEENS1_30default_config_static_selectorELNS0_4arch9wavefront6targetE1EEEvS14_
    .private_segment_fixed_size: 0
    .sgpr_count:     6
    .sgpr_spill_count: 0
    .symbol:         _ZN7rocprim17ROCPRIM_400000_NS6detail17trampoline_kernelINS0_14default_configENS1_22reduce_config_selectorIN6thrust23THRUST_200600_302600_NS5tupleIblNS6_9null_typeES8_S8_S8_S8_S8_S8_S8_EEEEZNS1_11reduce_implILb1ES3_NS6_12zip_iteratorINS7_INS6_11hip_rocprim26transform_input_iterator_tIbNSD_35transform_pair_of_input_iterators_tIbNS6_6detail15normal_iteratorINS6_10device_ptrIKjEEEESL_NS6_8equal_toIjEEEENSG_9not_fun_tINSD_8identityEEEEENSD_19counting_iterator_tIlEES8_S8_S8_S8_S8_S8_S8_S8_EEEEPS9_S9_NSD_9__find_if7functorIS9_EEEE10hipError_tPvRmT1_T2_T3_mT4_P12ihipStream_tbEUlT_E1_NS1_11comp_targetILNS1_3genE5ELNS1_11target_archE942ELNS1_3gpuE9ELNS1_3repE0EEENS1_30default_config_static_selectorELNS0_4arch9wavefront6targetE1EEEvS14_.kd
    .uniform_work_group_size: 1
    .uses_dynamic_stack: false
    .vgpr_count:     0
    .vgpr_spill_count: 0
    .wavefront_size: 64
  - .agpr_count:     0
    .args:
      - .offset:         0
        .size:           88
        .value_kind:     by_value
    .group_segment_fixed_size: 0
    .kernarg_segment_align: 8
    .kernarg_segment_size: 88
    .language:       OpenCL C
    .language_version:
      - 2
      - 0
    .max_flat_workgroup_size: 256
    .name:           _ZN7rocprim17ROCPRIM_400000_NS6detail17trampoline_kernelINS0_14default_configENS1_22reduce_config_selectorIN6thrust23THRUST_200600_302600_NS5tupleIblNS6_9null_typeES8_S8_S8_S8_S8_S8_S8_EEEEZNS1_11reduce_implILb1ES3_NS6_12zip_iteratorINS7_INS6_11hip_rocprim26transform_input_iterator_tIbNSD_35transform_pair_of_input_iterators_tIbNS6_6detail15normal_iteratorINS6_10device_ptrIKjEEEESL_NS6_8equal_toIjEEEENSG_9not_fun_tINSD_8identityEEEEENSD_19counting_iterator_tIlEES8_S8_S8_S8_S8_S8_S8_S8_EEEEPS9_S9_NSD_9__find_if7functorIS9_EEEE10hipError_tPvRmT1_T2_T3_mT4_P12ihipStream_tbEUlT_E1_NS1_11comp_targetILNS1_3genE4ELNS1_11target_archE910ELNS1_3gpuE8ELNS1_3repE0EEENS1_30default_config_static_selectorELNS0_4arch9wavefront6targetE1EEEvS14_
    .private_segment_fixed_size: 0
    .sgpr_count:     6
    .sgpr_spill_count: 0
    .symbol:         _ZN7rocprim17ROCPRIM_400000_NS6detail17trampoline_kernelINS0_14default_configENS1_22reduce_config_selectorIN6thrust23THRUST_200600_302600_NS5tupleIblNS6_9null_typeES8_S8_S8_S8_S8_S8_S8_EEEEZNS1_11reduce_implILb1ES3_NS6_12zip_iteratorINS7_INS6_11hip_rocprim26transform_input_iterator_tIbNSD_35transform_pair_of_input_iterators_tIbNS6_6detail15normal_iteratorINS6_10device_ptrIKjEEEESL_NS6_8equal_toIjEEEENSG_9not_fun_tINSD_8identityEEEEENSD_19counting_iterator_tIlEES8_S8_S8_S8_S8_S8_S8_S8_EEEEPS9_S9_NSD_9__find_if7functorIS9_EEEE10hipError_tPvRmT1_T2_T3_mT4_P12ihipStream_tbEUlT_E1_NS1_11comp_targetILNS1_3genE4ELNS1_11target_archE910ELNS1_3gpuE8ELNS1_3repE0EEENS1_30default_config_static_selectorELNS0_4arch9wavefront6targetE1EEEvS14_.kd
    .uniform_work_group_size: 1
    .uses_dynamic_stack: false
    .vgpr_count:     0
    .vgpr_spill_count: 0
    .wavefront_size: 64
  - .agpr_count:     0
    .args:
      - .offset:         0
        .size:           88
        .value_kind:     by_value
    .group_segment_fixed_size: 0
    .kernarg_segment_align: 8
    .kernarg_segment_size: 88
    .language:       OpenCL C
    .language_version:
      - 2
      - 0
    .max_flat_workgroup_size: 128
    .name:           _ZN7rocprim17ROCPRIM_400000_NS6detail17trampoline_kernelINS0_14default_configENS1_22reduce_config_selectorIN6thrust23THRUST_200600_302600_NS5tupleIblNS6_9null_typeES8_S8_S8_S8_S8_S8_S8_EEEEZNS1_11reduce_implILb1ES3_NS6_12zip_iteratorINS7_INS6_11hip_rocprim26transform_input_iterator_tIbNSD_35transform_pair_of_input_iterators_tIbNS6_6detail15normal_iteratorINS6_10device_ptrIKjEEEESL_NS6_8equal_toIjEEEENSG_9not_fun_tINSD_8identityEEEEENSD_19counting_iterator_tIlEES8_S8_S8_S8_S8_S8_S8_S8_EEEEPS9_S9_NSD_9__find_if7functorIS9_EEEE10hipError_tPvRmT1_T2_T3_mT4_P12ihipStream_tbEUlT_E1_NS1_11comp_targetILNS1_3genE3ELNS1_11target_archE908ELNS1_3gpuE7ELNS1_3repE0EEENS1_30default_config_static_selectorELNS0_4arch9wavefront6targetE1EEEvS14_
    .private_segment_fixed_size: 0
    .sgpr_count:     6
    .sgpr_spill_count: 0
    .symbol:         _ZN7rocprim17ROCPRIM_400000_NS6detail17trampoline_kernelINS0_14default_configENS1_22reduce_config_selectorIN6thrust23THRUST_200600_302600_NS5tupleIblNS6_9null_typeES8_S8_S8_S8_S8_S8_S8_EEEEZNS1_11reduce_implILb1ES3_NS6_12zip_iteratorINS7_INS6_11hip_rocprim26transform_input_iterator_tIbNSD_35transform_pair_of_input_iterators_tIbNS6_6detail15normal_iteratorINS6_10device_ptrIKjEEEESL_NS6_8equal_toIjEEEENSG_9not_fun_tINSD_8identityEEEEENSD_19counting_iterator_tIlEES8_S8_S8_S8_S8_S8_S8_S8_EEEEPS9_S9_NSD_9__find_if7functorIS9_EEEE10hipError_tPvRmT1_T2_T3_mT4_P12ihipStream_tbEUlT_E1_NS1_11comp_targetILNS1_3genE3ELNS1_11target_archE908ELNS1_3gpuE7ELNS1_3repE0EEENS1_30default_config_static_selectorELNS0_4arch9wavefront6targetE1EEEvS14_.kd
    .uniform_work_group_size: 1
    .uses_dynamic_stack: false
    .vgpr_count:     0
    .vgpr_spill_count: 0
    .wavefront_size: 64
  - .agpr_count:     0
    .args:
      - .offset:         0
        .size:           88
        .value_kind:     by_value
    .group_segment_fixed_size: 0
    .kernarg_segment_align: 8
    .kernarg_segment_size: 88
    .language:       OpenCL C
    .language_version:
      - 2
      - 0
    .max_flat_workgroup_size: 128
    .name:           _ZN7rocprim17ROCPRIM_400000_NS6detail17trampoline_kernelINS0_14default_configENS1_22reduce_config_selectorIN6thrust23THRUST_200600_302600_NS5tupleIblNS6_9null_typeES8_S8_S8_S8_S8_S8_S8_EEEEZNS1_11reduce_implILb1ES3_NS6_12zip_iteratorINS7_INS6_11hip_rocprim26transform_input_iterator_tIbNSD_35transform_pair_of_input_iterators_tIbNS6_6detail15normal_iteratorINS6_10device_ptrIKjEEEESL_NS6_8equal_toIjEEEENSG_9not_fun_tINSD_8identityEEEEENSD_19counting_iterator_tIlEES8_S8_S8_S8_S8_S8_S8_S8_EEEEPS9_S9_NSD_9__find_if7functorIS9_EEEE10hipError_tPvRmT1_T2_T3_mT4_P12ihipStream_tbEUlT_E1_NS1_11comp_targetILNS1_3genE2ELNS1_11target_archE906ELNS1_3gpuE6ELNS1_3repE0EEENS1_30default_config_static_selectorELNS0_4arch9wavefront6targetE1EEEvS14_
    .private_segment_fixed_size: 0
    .sgpr_count:     6
    .sgpr_spill_count: 0
    .symbol:         _ZN7rocprim17ROCPRIM_400000_NS6detail17trampoline_kernelINS0_14default_configENS1_22reduce_config_selectorIN6thrust23THRUST_200600_302600_NS5tupleIblNS6_9null_typeES8_S8_S8_S8_S8_S8_S8_EEEEZNS1_11reduce_implILb1ES3_NS6_12zip_iteratorINS7_INS6_11hip_rocprim26transform_input_iterator_tIbNSD_35transform_pair_of_input_iterators_tIbNS6_6detail15normal_iteratorINS6_10device_ptrIKjEEEESL_NS6_8equal_toIjEEEENSG_9not_fun_tINSD_8identityEEEEENSD_19counting_iterator_tIlEES8_S8_S8_S8_S8_S8_S8_S8_EEEEPS9_S9_NSD_9__find_if7functorIS9_EEEE10hipError_tPvRmT1_T2_T3_mT4_P12ihipStream_tbEUlT_E1_NS1_11comp_targetILNS1_3genE2ELNS1_11target_archE906ELNS1_3gpuE6ELNS1_3repE0EEENS1_30default_config_static_selectorELNS0_4arch9wavefront6targetE1EEEvS14_.kd
    .uniform_work_group_size: 1
    .uses_dynamic_stack: false
    .vgpr_count:     0
    .vgpr_spill_count: 0
    .wavefront_size: 64
  - .agpr_count:     0
    .args:
      - .offset:         0
        .size:           88
        .value_kind:     by_value
    .group_segment_fixed_size: 0
    .kernarg_segment_align: 8
    .kernarg_segment_size: 88
    .language:       OpenCL C
    .language_version:
      - 2
      - 0
    .max_flat_workgroup_size: 256
    .name:           _ZN7rocprim17ROCPRIM_400000_NS6detail17trampoline_kernelINS0_14default_configENS1_22reduce_config_selectorIN6thrust23THRUST_200600_302600_NS5tupleIblNS6_9null_typeES8_S8_S8_S8_S8_S8_S8_EEEEZNS1_11reduce_implILb1ES3_NS6_12zip_iteratorINS7_INS6_11hip_rocprim26transform_input_iterator_tIbNSD_35transform_pair_of_input_iterators_tIbNS6_6detail15normal_iteratorINS6_10device_ptrIKjEEEESL_NS6_8equal_toIjEEEENSG_9not_fun_tINSD_8identityEEEEENSD_19counting_iterator_tIlEES8_S8_S8_S8_S8_S8_S8_S8_EEEEPS9_S9_NSD_9__find_if7functorIS9_EEEE10hipError_tPvRmT1_T2_T3_mT4_P12ihipStream_tbEUlT_E1_NS1_11comp_targetILNS1_3genE10ELNS1_11target_archE1201ELNS1_3gpuE5ELNS1_3repE0EEENS1_30default_config_static_selectorELNS0_4arch9wavefront6targetE1EEEvS14_
    .private_segment_fixed_size: 0
    .sgpr_count:     6
    .sgpr_spill_count: 0
    .symbol:         _ZN7rocprim17ROCPRIM_400000_NS6detail17trampoline_kernelINS0_14default_configENS1_22reduce_config_selectorIN6thrust23THRUST_200600_302600_NS5tupleIblNS6_9null_typeES8_S8_S8_S8_S8_S8_S8_EEEEZNS1_11reduce_implILb1ES3_NS6_12zip_iteratorINS7_INS6_11hip_rocprim26transform_input_iterator_tIbNSD_35transform_pair_of_input_iterators_tIbNS6_6detail15normal_iteratorINS6_10device_ptrIKjEEEESL_NS6_8equal_toIjEEEENSG_9not_fun_tINSD_8identityEEEEENSD_19counting_iterator_tIlEES8_S8_S8_S8_S8_S8_S8_S8_EEEEPS9_S9_NSD_9__find_if7functorIS9_EEEE10hipError_tPvRmT1_T2_T3_mT4_P12ihipStream_tbEUlT_E1_NS1_11comp_targetILNS1_3genE10ELNS1_11target_archE1201ELNS1_3gpuE5ELNS1_3repE0EEENS1_30default_config_static_selectorELNS0_4arch9wavefront6targetE1EEEvS14_.kd
    .uniform_work_group_size: 1
    .uses_dynamic_stack: false
    .vgpr_count:     0
    .vgpr_spill_count: 0
    .wavefront_size: 64
  - .agpr_count:     0
    .args:
      - .offset:         0
        .size:           88
        .value_kind:     by_value
    .group_segment_fixed_size: 0
    .kernarg_segment_align: 8
    .kernarg_segment_size: 88
    .language:       OpenCL C
    .language_version:
      - 2
      - 0
    .max_flat_workgroup_size: 256
    .name:           _ZN7rocprim17ROCPRIM_400000_NS6detail17trampoline_kernelINS0_14default_configENS1_22reduce_config_selectorIN6thrust23THRUST_200600_302600_NS5tupleIblNS6_9null_typeES8_S8_S8_S8_S8_S8_S8_EEEEZNS1_11reduce_implILb1ES3_NS6_12zip_iteratorINS7_INS6_11hip_rocprim26transform_input_iterator_tIbNSD_35transform_pair_of_input_iterators_tIbNS6_6detail15normal_iteratorINS6_10device_ptrIKjEEEESL_NS6_8equal_toIjEEEENSG_9not_fun_tINSD_8identityEEEEENSD_19counting_iterator_tIlEES8_S8_S8_S8_S8_S8_S8_S8_EEEEPS9_S9_NSD_9__find_if7functorIS9_EEEE10hipError_tPvRmT1_T2_T3_mT4_P12ihipStream_tbEUlT_E1_NS1_11comp_targetILNS1_3genE10ELNS1_11target_archE1200ELNS1_3gpuE4ELNS1_3repE0EEENS1_30default_config_static_selectorELNS0_4arch9wavefront6targetE1EEEvS14_
    .private_segment_fixed_size: 0
    .sgpr_count:     6
    .sgpr_spill_count: 0
    .symbol:         _ZN7rocprim17ROCPRIM_400000_NS6detail17trampoline_kernelINS0_14default_configENS1_22reduce_config_selectorIN6thrust23THRUST_200600_302600_NS5tupleIblNS6_9null_typeES8_S8_S8_S8_S8_S8_S8_EEEEZNS1_11reduce_implILb1ES3_NS6_12zip_iteratorINS7_INS6_11hip_rocprim26transform_input_iterator_tIbNSD_35transform_pair_of_input_iterators_tIbNS6_6detail15normal_iteratorINS6_10device_ptrIKjEEEESL_NS6_8equal_toIjEEEENSG_9not_fun_tINSD_8identityEEEEENSD_19counting_iterator_tIlEES8_S8_S8_S8_S8_S8_S8_S8_EEEEPS9_S9_NSD_9__find_if7functorIS9_EEEE10hipError_tPvRmT1_T2_T3_mT4_P12ihipStream_tbEUlT_E1_NS1_11comp_targetILNS1_3genE10ELNS1_11target_archE1200ELNS1_3gpuE4ELNS1_3repE0EEENS1_30default_config_static_selectorELNS0_4arch9wavefront6targetE1EEEvS14_.kd
    .uniform_work_group_size: 1
    .uses_dynamic_stack: false
    .vgpr_count:     0
    .vgpr_spill_count: 0
    .wavefront_size: 64
  - .agpr_count:     0
    .args:
      - .offset:         0
        .size:           88
        .value_kind:     by_value
    .group_segment_fixed_size: 0
    .kernarg_segment_align: 8
    .kernarg_segment_size: 88
    .language:       OpenCL C
    .language_version:
      - 2
      - 0
    .max_flat_workgroup_size: 256
    .name:           _ZN7rocprim17ROCPRIM_400000_NS6detail17trampoline_kernelINS0_14default_configENS1_22reduce_config_selectorIN6thrust23THRUST_200600_302600_NS5tupleIblNS6_9null_typeES8_S8_S8_S8_S8_S8_S8_EEEEZNS1_11reduce_implILb1ES3_NS6_12zip_iteratorINS7_INS6_11hip_rocprim26transform_input_iterator_tIbNSD_35transform_pair_of_input_iterators_tIbNS6_6detail15normal_iteratorINS6_10device_ptrIKjEEEESL_NS6_8equal_toIjEEEENSG_9not_fun_tINSD_8identityEEEEENSD_19counting_iterator_tIlEES8_S8_S8_S8_S8_S8_S8_S8_EEEEPS9_S9_NSD_9__find_if7functorIS9_EEEE10hipError_tPvRmT1_T2_T3_mT4_P12ihipStream_tbEUlT_E1_NS1_11comp_targetILNS1_3genE9ELNS1_11target_archE1100ELNS1_3gpuE3ELNS1_3repE0EEENS1_30default_config_static_selectorELNS0_4arch9wavefront6targetE1EEEvS14_
    .private_segment_fixed_size: 0
    .sgpr_count:     6
    .sgpr_spill_count: 0
    .symbol:         _ZN7rocprim17ROCPRIM_400000_NS6detail17trampoline_kernelINS0_14default_configENS1_22reduce_config_selectorIN6thrust23THRUST_200600_302600_NS5tupleIblNS6_9null_typeES8_S8_S8_S8_S8_S8_S8_EEEEZNS1_11reduce_implILb1ES3_NS6_12zip_iteratorINS7_INS6_11hip_rocprim26transform_input_iterator_tIbNSD_35transform_pair_of_input_iterators_tIbNS6_6detail15normal_iteratorINS6_10device_ptrIKjEEEESL_NS6_8equal_toIjEEEENSG_9not_fun_tINSD_8identityEEEEENSD_19counting_iterator_tIlEES8_S8_S8_S8_S8_S8_S8_S8_EEEEPS9_S9_NSD_9__find_if7functorIS9_EEEE10hipError_tPvRmT1_T2_T3_mT4_P12ihipStream_tbEUlT_E1_NS1_11comp_targetILNS1_3genE9ELNS1_11target_archE1100ELNS1_3gpuE3ELNS1_3repE0EEENS1_30default_config_static_selectorELNS0_4arch9wavefront6targetE1EEEvS14_.kd
    .uniform_work_group_size: 1
    .uses_dynamic_stack: false
    .vgpr_count:     0
    .vgpr_spill_count: 0
    .wavefront_size: 64
  - .agpr_count:     0
    .args:
      - .offset:         0
        .size:           88
        .value_kind:     by_value
    .group_segment_fixed_size: 0
    .kernarg_segment_align: 8
    .kernarg_segment_size: 88
    .language:       OpenCL C
    .language_version:
      - 2
      - 0
    .max_flat_workgroup_size: 256
    .name:           _ZN7rocprim17ROCPRIM_400000_NS6detail17trampoline_kernelINS0_14default_configENS1_22reduce_config_selectorIN6thrust23THRUST_200600_302600_NS5tupleIblNS6_9null_typeES8_S8_S8_S8_S8_S8_S8_EEEEZNS1_11reduce_implILb1ES3_NS6_12zip_iteratorINS7_INS6_11hip_rocprim26transform_input_iterator_tIbNSD_35transform_pair_of_input_iterators_tIbNS6_6detail15normal_iteratorINS6_10device_ptrIKjEEEESL_NS6_8equal_toIjEEEENSG_9not_fun_tINSD_8identityEEEEENSD_19counting_iterator_tIlEES8_S8_S8_S8_S8_S8_S8_S8_EEEEPS9_S9_NSD_9__find_if7functorIS9_EEEE10hipError_tPvRmT1_T2_T3_mT4_P12ihipStream_tbEUlT_E1_NS1_11comp_targetILNS1_3genE8ELNS1_11target_archE1030ELNS1_3gpuE2ELNS1_3repE0EEENS1_30default_config_static_selectorELNS0_4arch9wavefront6targetE1EEEvS14_
    .private_segment_fixed_size: 0
    .sgpr_count:     6
    .sgpr_spill_count: 0
    .symbol:         _ZN7rocprim17ROCPRIM_400000_NS6detail17trampoline_kernelINS0_14default_configENS1_22reduce_config_selectorIN6thrust23THRUST_200600_302600_NS5tupleIblNS6_9null_typeES8_S8_S8_S8_S8_S8_S8_EEEEZNS1_11reduce_implILb1ES3_NS6_12zip_iteratorINS7_INS6_11hip_rocprim26transform_input_iterator_tIbNSD_35transform_pair_of_input_iterators_tIbNS6_6detail15normal_iteratorINS6_10device_ptrIKjEEEESL_NS6_8equal_toIjEEEENSG_9not_fun_tINSD_8identityEEEEENSD_19counting_iterator_tIlEES8_S8_S8_S8_S8_S8_S8_S8_EEEEPS9_S9_NSD_9__find_if7functorIS9_EEEE10hipError_tPvRmT1_T2_T3_mT4_P12ihipStream_tbEUlT_E1_NS1_11comp_targetILNS1_3genE8ELNS1_11target_archE1030ELNS1_3gpuE2ELNS1_3repE0EEENS1_30default_config_static_selectorELNS0_4arch9wavefront6targetE1EEEvS14_.kd
    .uniform_work_group_size: 1
    .uses_dynamic_stack: false
    .vgpr_count:     0
    .vgpr_spill_count: 0
    .wavefront_size: 64
  - .agpr_count:     0
    .args:
      - .offset:         0
        .size:           16
        .value_kind:     by_value
      - .offset:         16
        .size:           8
        .value_kind:     by_value
      - .offset:         24
        .size:           8
        .value_kind:     by_value
    .group_segment_fixed_size: 0
    .kernarg_segment_align: 8
    .kernarg_segment_size: 32
    .language:       OpenCL C
    .language_version:
      - 2
      - 0
    .max_flat_workgroup_size: 256
    .name:           _ZN6thrust23THRUST_200600_302600_NS11hip_rocprim14__parallel_for6kernelILj256ENS1_20__uninitialized_fill7functorINS0_10device_ptrItEEtEEmLj1EEEvT0_T1_SA_
    .private_segment_fixed_size: 0
    .sgpr_count:     22
    .sgpr_spill_count: 0
    .symbol:         _ZN6thrust23THRUST_200600_302600_NS11hip_rocprim14__parallel_for6kernelILj256ENS1_20__uninitialized_fill7functorINS0_10device_ptrItEEtEEmLj1EEEvT0_T1_SA_.kd
    .uniform_work_group_size: 1
    .uses_dynamic_stack: false
    .vgpr_count:     4
    .vgpr_spill_count: 0
    .wavefront_size: 64
  - .agpr_count:     0
    .args:
      - .offset:         0
        .size:           48
        .value_kind:     by_value
      - .offset:         48
        .size:           4
        .value_kind:     hidden_block_count_x
      - .offset:         52
        .size:           4
        .value_kind:     hidden_block_count_y
      - .offset:         56
        .size:           4
        .value_kind:     hidden_block_count_z
      - .offset:         60
        .size:           2
        .value_kind:     hidden_group_size_x
      - .offset:         62
        .size:           2
        .value_kind:     hidden_group_size_y
      - .offset:         64
        .size:           2
        .value_kind:     hidden_group_size_z
      - .offset:         66
        .size:           2
        .value_kind:     hidden_remainder_x
      - .offset:         68
        .size:           2
        .value_kind:     hidden_remainder_y
      - .offset:         70
        .size:           2
        .value_kind:     hidden_remainder_z
      - .offset:         88
        .size:           8
        .value_kind:     hidden_global_offset_x
      - .offset:         96
        .size:           8
        .value_kind:     hidden_global_offset_y
      - .offset:         104
        .size:           8
        .value_kind:     hidden_global_offset_z
      - .offset:         112
        .size:           2
        .value_kind:     hidden_grid_dims
    .group_segment_fixed_size: 4112
    .kernarg_segment_align: 8
    .kernarg_segment_size: 304
    .language:       OpenCL C
    .language_version:
      - 2
      - 0
    .max_flat_workgroup_size: 256
    .name:           _ZN7rocprim17ROCPRIM_400000_NS6detail17trampoline_kernelINS0_13kernel_configILj256ELj4ELj4294967295EEENS1_37radix_sort_block_sort_config_selectorIttEEZNS1_21radix_sort_block_sortIS4_Lb0EN6thrust23THRUST_200600_302600_NS6detail15normal_iteratorINS9_10device_ptrItEEEESE_SE_SE_NS0_19identity_decomposerEEE10hipError_tT1_T2_T3_T4_jRjT5_jjP12ihipStream_tbEUlT_E_NS1_11comp_targetILNS1_3genE0ELNS1_11target_archE4294967295ELNS1_3gpuE0ELNS1_3repE0EEENS1_44radix_sort_block_sort_config_static_selectorELNS0_4arch9wavefront6targetE1EEEvSH_
    .private_segment_fixed_size: 0
    .sgpr_count:     52
    .sgpr_spill_count: 0
    .symbol:         _ZN7rocprim17ROCPRIM_400000_NS6detail17trampoline_kernelINS0_13kernel_configILj256ELj4ELj4294967295EEENS1_37radix_sort_block_sort_config_selectorIttEEZNS1_21radix_sort_block_sortIS4_Lb0EN6thrust23THRUST_200600_302600_NS6detail15normal_iteratorINS9_10device_ptrItEEEESE_SE_SE_NS0_19identity_decomposerEEE10hipError_tT1_T2_T3_T4_jRjT5_jjP12ihipStream_tbEUlT_E_NS1_11comp_targetILNS1_3genE0ELNS1_11target_archE4294967295ELNS1_3gpuE0ELNS1_3repE0EEENS1_44radix_sort_block_sort_config_static_selectorELNS0_4arch9wavefront6targetE1EEEvSH_.kd
    .uniform_work_group_size: 1
    .uses_dynamic_stack: false
    .vgpr_count:     36
    .vgpr_spill_count: 0
    .wavefront_size: 64
  - .agpr_count:     0
    .args:
      - .offset:         0
        .size:           48
        .value_kind:     by_value
    .group_segment_fixed_size: 0
    .kernarg_segment_align: 8
    .kernarg_segment_size: 48
    .language:       OpenCL C
    .language_version:
      - 2
      - 0
    .max_flat_workgroup_size: 256
    .name:           _ZN7rocprim17ROCPRIM_400000_NS6detail17trampoline_kernelINS0_13kernel_configILj256ELj4ELj4294967295EEENS1_37radix_sort_block_sort_config_selectorIttEEZNS1_21radix_sort_block_sortIS4_Lb0EN6thrust23THRUST_200600_302600_NS6detail15normal_iteratorINS9_10device_ptrItEEEESE_SE_SE_NS0_19identity_decomposerEEE10hipError_tT1_T2_T3_T4_jRjT5_jjP12ihipStream_tbEUlT_E_NS1_11comp_targetILNS1_3genE5ELNS1_11target_archE942ELNS1_3gpuE9ELNS1_3repE0EEENS1_44radix_sort_block_sort_config_static_selectorELNS0_4arch9wavefront6targetE1EEEvSH_
    .private_segment_fixed_size: 0
    .sgpr_count:     6
    .sgpr_spill_count: 0
    .symbol:         _ZN7rocprim17ROCPRIM_400000_NS6detail17trampoline_kernelINS0_13kernel_configILj256ELj4ELj4294967295EEENS1_37radix_sort_block_sort_config_selectorIttEEZNS1_21radix_sort_block_sortIS4_Lb0EN6thrust23THRUST_200600_302600_NS6detail15normal_iteratorINS9_10device_ptrItEEEESE_SE_SE_NS0_19identity_decomposerEEE10hipError_tT1_T2_T3_T4_jRjT5_jjP12ihipStream_tbEUlT_E_NS1_11comp_targetILNS1_3genE5ELNS1_11target_archE942ELNS1_3gpuE9ELNS1_3repE0EEENS1_44radix_sort_block_sort_config_static_selectorELNS0_4arch9wavefront6targetE1EEEvSH_.kd
    .uniform_work_group_size: 1
    .uses_dynamic_stack: false
    .vgpr_count:     0
    .vgpr_spill_count: 0
    .wavefront_size: 64
  - .agpr_count:     0
    .args:
      - .offset:         0
        .size:           48
        .value_kind:     by_value
    .group_segment_fixed_size: 0
    .kernarg_segment_align: 8
    .kernarg_segment_size: 48
    .language:       OpenCL C
    .language_version:
      - 2
      - 0
    .max_flat_workgroup_size: 256
    .name:           _ZN7rocprim17ROCPRIM_400000_NS6detail17trampoline_kernelINS0_13kernel_configILj256ELj4ELj4294967295EEENS1_37radix_sort_block_sort_config_selectorIttEEZNS1_21radix_sort_block_sortIS4_Lb0EN6thrust23THRUST_200600_302600_NS6detail15normal_iteratorINS9_10device_ptrItEEEESE_SE_SE_NS0_19identity_decomposerEEE10hipError_tT1_T2_T3_T4_jRjT5_jjP12ihipStream_tbEUlT_E_NS1_11comp_targetILNS1_3genE4ELNS1_11target_archE910ELNS1_3gpuE8ELNS1_3repE0EEENS1_44radix_sort_block_sort_config_static_selectorELNS0_4arch9wavefront6targetE1EEEvSH_
    .private_segment_fixed_size: 0
    .sgpr_count:     6
    .sgpr_spill_count: 0
    .symbol:         _ZN7rocprim17ROCPRIM_400000_NS6detail17trampoline_kernelINS0_13kernel_configILj256ELj4ELj4294967295EEENS1_37radix_sort_block_sort_config_selectorIttEEZNS1_21radix_sort_block_sortIS4_Lb0EN6thrust23THRUST_200600_302600_NS6detail15normal_iteratorINS9_10device_ptrItEEEESE_SE_SE_NS0_19identity_decomposerEEE10hipError_tT1_T2_T3_T4_jRjT5_jjP12ihipStream_tbEUlT_E_NS1_11comp_targetILNS1_3genE4ELNS1_11target_archE910ELNS1_3gpuE8ELNS1_3repE0EEENS1_44radix_sort_block_sort_config_static_selectorELNS0_4arch9wavefront6targetE1EEEvSH_.kd
    .uniform_work_group_size: 1
    .uses_dynamic_stack: false
    .vgpr_count:     0
    .vgpr_spill_count: 0
    .wavefront_size: 64
  - .agpr_count:     0
    .args:
      - .offset:         0
        .size:           48
        .value_kind:     by_value
    .group_segment_fixed_size: 0
    .kernarg_segment_align: 8
    .kernarg_segment_size: 48
    .language:       OpenCL C
    .language_version:
      - 2
      - 0
    .max_flat_workgroup_size: 256
    .name:           _ZN7rocprim17ROCPRIM_400000_NS6detail17trampoline_kernelINS0_13kernel_configILj256ELj4ELj4294967295EEENS1_37radix_sort_block_sort_config_selectorIttEEZNS1_21radix_sort_block_sortIS4_Lb0EN6thrust23THRUST_200600_302600_NS6detail15normal_iteratorINS9_10device_ptrItEEEESE_SE_SE_NS0_19identity_decomposerEEE10hipError_tT1_T2_T3_T4_jRjT5_jjP12ihipStream_tbEUlT_E_NS1_11comp_targetILNS1_3genE3ELNS1_11target_archE908ELNS1_3gpuE7ELNS1_3repE0EEENS1_44radix_sort_block_sort_config_static_selectorELNS0_4arch9wavefront6targetE1EEEvSH_
    .private_segment_fixed_size: 0
    .sgpr_count:     6
    .sgpr_spill_count: 0
    .symbol:         _ZN7rocprim17ROCPRIM_400000_NS6detail17trampoline_kernelINS0_13kernel_configILj256ELj4ELj4294967295EEENS1_37radix_sort_block_sort_config_selectorIttEEZNS1_21radix_sort_block_sortIS4_Lb0EN6thrust23THRUST_200600_302600_NS6detail15normal_iteratorINS9_10device_ptrItEEEESE_SE_SE_NS0_19identity_decomposerEEE10hipError_tT1_T2_T3_T4_jRjT5_jjP12ihipStream_tbEUlT_E_NS1_11comp_targetILNS1_3genE3ELNS1_11target_archE908ELNS1_3gpuE7ELNS1_3repE0EEENS1_44radix_sort_block_sort_config_static_selectorELNS0_4arch9wavefront6targetE1EEEvSH_.kd
    .uniform_work_group_size: 1
    .uses_dynamic_stack: false
    .vgpr_count:     0
    .vgpr_spill_count: 0
    .wavefront_size: 64
  - .agpr_count:     0
    .args:
      - .offset:         0
        .size:           48
        .value_kind:     by_value
    .group_segment_fixed_size: 0
    .kernarg_segment_align: 8
    .kernarg_segment_size: 48
    .language:       OpenCL C
    .language_version:
      - 2
      - 0
    .max_flat_workgroup_size: 256
    .name:           _ZN7rocprim17ROCPRIM_400000_NS6detail17trampoline_kernelINS0_13kernel_configILj256ELj4ELj4294967295EEENS1_37radix_sort_block_sort_config_selectorIttEEZNS1_21radix_sort_block_sortIS4_Lb0EN6thrust23THRUST_200600_302600_NS6detail15normal_iteratorINS9_10device_ptrItEEEESE_SE_SE_NS0_19identity_decomposerEEE10hipError_tT1_T2_T3_T4_jRjT5_jjP12ihipStream_tbEUlT_E_NS1_11comp_targetILNS1_3genE2ELNS1_11target_archE906ELNS1_3gpuE6ELNS1_3repE0EEENS1_44radix_sort_block_sort_config_static_selectorELNS0_4arch9wavefront6targetE1EEEvSH_
    .private_segment_fixed_size: 0
    .sgpr_count:     6
    .sgpr_spill_count: 0
    .symbol:         _ZN7rocprim17ROCPRIM_400000_NS6detail17trampoline_kernelINS0_13kernel_configILj256ELj4ELj4294967295EEENS1_37radix_sort_block_sort_config_selectorIttEEZNS1_21radix_sort_block_sortIS4_Lb0EN6thrust23THRUST_200600_302600_NS6detail15normal_iteratorINS9_10device_ptrItEEEESE_SE_SE_NS0_19identity_decomposerEEE10hipError_tT1_T2_T3_T4_jRjT5_jjP12ihipStream_tbEUlT_E_NS1_11comp_targetILNS1_3genE2ELNS1_11target_archE906ELNS1_3gpuE6ELNS1_3repE0EEENS1_44radix_sort_block_sort_config_static_selectorELNS0_4arch9wavefront6targetE1EEEvSH_.kd
    .uniform_work_group_size: 1
    .uses_dynamic_stack: false
    .vgpr_count:     0
    .vgpr_spill_count: 0
    .wavefront_size: 64
  - .agpr_count:     0
    .args:
      - .offset:         0
        .size:           48
        .value_kind:     by_value
    .group_segment_fixed_size: 0
    .kernarg_segment_align: 8
    .kernarg_segment_size: 48
    .language:       OpenCL C
    .language_version:
      - 2
      - 0
    .max_flat_workgroup_size: 256
    .name:           _ZN7rocprim17ROCPRIM_400000_NS6detail17trampoline_kernelINS0_13kernel_configILj256ELj4ELj4294967295EEENS1_37radix_sort_block_sort_config_selectorIttEEZNS1_21radix_sort_block_sortIS4_Lb0EN6thrust23THRUST_200600_302600_NS6detail15normal_iteratorINS9_10device_ptrItEEEESE_SE_SE_NS0_19identity_decomposerEEE10hipError_tT1_T2_T3_T4_jRjT5_jjP12ihipStream_tbEUlT_E_NS1_11comp_targetILNS1_3genE10ELNS1_11target_archE1201ELNS1_3gpuE5ELNS1_3repE0EEENS1_44radix_sort_block_sort_config_static_selectorELNS0_4arch9wavefront6targetE1EEEvSH_
    .private_segment_fixed_size: 0
    .sgpr_count:     6
    .sgpr_spill_count: 0
    .symbol:         _ZN7rocprim17ROCPRIM_400000_NS6detail17trampoline_kernelINS0_13kernel_configILj256ELj4ELj4294967295EEENS1_37radix_sort_block_sort_config_selectorIttEEZNS1_21radix_sort_block_sortIS4_Lb0EN6thrust23THRUST_200600_302600_NS6detail15normal_iteratorINS9_10device_ptrItEEEESE_SE_SE_NS0_19identity_decomposerEEE10hipError_tT1_T2_T3_T4_jRjT5_jjP12ihipStream_tbEUlT_E_NS1_11comp_targetILNS1_3genE10ELNS1_11target_archE1201ELNS1_3gpuE5ELNS1_3repE0EEENS1_44radix_sort_block_sort_config_static_selectorELNS0_4arch9wavefront6targetE1EEEvSH_.kd
    .uniform_work_group_size: 1
    .uses_dynamic_stack: false
    .vgpr_count:     0
    .vgpr_spill_count: 0
    .wavefront_size: 64
  - .agpr_count:     0
    .args:
      - .offset:         0
        .size:           48
        .value_kind:     by_value
    .group_segment_fixed_size: 0
    .kernarg_segment_align: 8
    .kernarg_segment_size: 48
    .language:       OpenCL C
    .language_version:
      - 2
      - 0
    .max_flat_workgroup_size: 256
    .name:           _ZN7rocprim17ROCPRIM_400000_NS6detail17trampoline_kernelINS0_13kernel_configILj256ELj4ELj4294967295EEENS1_37radix_sort_block_sort_config_selectorIttEEZNS1_21radix_sort_block_sortIS4_Lb0EN6thrust23THRUST_200600_302600_NS6detail15normal_iteratorINS9_10device_ptrItEEEESE_SE_SE_NS0_19identity_decomposerEEE10hipError_tT1_T2_T3_T4_jRjT5_jjP12ihipStream_tbEUlT_E_NS1_11comp_targetILNS1_3genE10ELNS1_11target_archE1200ELNS1_3gpuE4ELNS1_3repE0EEENS1_44radix_sort_block_sort_config_static_selectorELNS0_4arch9wavefront6targetE1EEEvSH_
    .private_segment_fixed_size: 0
    .sgpr_count:     6
    .sgpr_spill_count: 0
    .symbol:         _ZN7rocprim17ROCPRIM_400000_NS6detail17trampoline_kernelINS0_13kernel_configILj256ELj4ELj4294967295EEENS1_37radix_sort_block_sort_config_selectorIttEEZNS1_21radix_sort_block_sortIS4_Lb0EN6thrust23THRUST_200600_302600_NS6detail15normal_iteratorINS9_10device_ptrItEEEESE_SE_SE_NS0_19identity_decomposerEEE10hipError_tT1_T2_T3_T4_jRjT5_jjP12ihipStream_tbEUlT_E_NS1_11comp_targetILNS1_3genE10ELNS1_11target_archE1200ELNS1_3gpuE4ELNS1_3repE0EEENS1_44radix_sort_block_sort_config_static_selectorELNS0_4arch9wavefront6targetE1EEEvSH_.kd
    .uniform_work_group_size: 1
    .uses_dynamic_stack: false
    .vgpr_count:     0
    .vgpr_spill_count: 0
    .wavefront_size: 64
  - .agpr_count:     0
    .args:
      - .offset:         0
        .size:           48
        .value_kind:     by_value
    .group_segment_fixed_size: 0
    .kernarg_segment_align: 8
    .kernarg_segment_size: 48
    .language:       OpenCL C
    .language_version:
      - 2
      - 0
    .max_flat_workgroup_size: 256
    .name:           _ZN7rocprim17ROCPRIM_400000_NS6detail17trampoline_kernelINS0_13kernel_configILj256ELj4ELj4294967295EEENS1_37radix_sort_block_sort_config_selectorIttEEZNS1_21radix_sort_block_sortIS4_Lb0EN6thrust23THRUST_200600_302600_NS6detail15normal_iteratorINS9_10device_ptrItEEEESE_SE_SE_NS0_19identity_decomposerEEE10hipError_tT1_T2_T3_T4_jRjT5_jjP12ihipStream_tbEUlT_E_NS1_11comp_targetILNS1_3genE9ELNS1_11target_archE1100ELNS1_3gpuE3ELNS1_3repE0EEENS1_44radix_sort_block_sort_config_static_selectorELNS0_4arch9wavefront6targetE1EEEvSH_
    .private_segment_fixed_size: 0
    .sgpr_count:     6
    .sgpr_spill_count: 0
    .symbol:         _ZN7rocprim17ROCPRIM_400000_NS6detail17trampoline_kernelINS0_13kernel_configILj256ELj4ELj4294967295EEENS1_37radix_sort_block_sort_config_selectorIttEEZNS1_21radix_sort_block_sortIS4_Lb0EN6thrust23THRUST_200600_302600_NS6detail15normal_iteratorINS9_10device_ptrItEEEESE_SE_SE_NS0_19identity_decomposerEEE10hipError_tT1_T2_T3_T4_jRjT5_jjP12ihipStream_tbEUlT_E_NS1_11comp_targetILNS1_3genE9ELNS1_11target_archE1100ELNS1_3gpuE3ELNS1_3repE0EEENS1_44radix_sort_block_sort_config_static_selectorELNS0_4arch9wavefront6targetE1EEEvSH_.kd
    .uniform_work_group_size: 1
    .uses_dynamic_stack: false
    .vgpr_count:     0
    .vgpr_spill_count: 0
    .wavefront_size: 64
  - .agpr_count:     0
    .args:
      - .offset:         0
        .size:           48
        .value_kind:     by_value
    .group_segment_fixed_size: 0
    .kernarg_segment_align: 8
    .kernarg_segment_size: 48
    .language:       OpenCL C
    .language_version:
      - 2
      - 0
    .max_flat_workgroup_size: 256
    .name:           _ZN7rocprim17ROCPRIM_400000_NS6detail17trampoline_kernelINS0_13kernel_configILj256ELj4ELj4294967295EEENS1_37radix_sort_block_sort_config_selectorIttEEZNS1_21radix_sort_block_sortIS4_Lb0EN6thrust23THRUST_200600_302600_NS6detail15normal_iteratorINS9_10device_ptrItEEEESE_SE_SE_NS0_19identity_decomposerEEE10hipError_tT1_T2_T3_T4_jRjT5_jjP12ihipStream_tbEUlT_E_NS1_11comp_targetILNS1_3genE8ELNS1_11target_archE1030ELNS1_3gpuE2ELNS1_3repE0EEENS1_44radix_sort_block_sort_config_static_selectorELNS0_4arch9wavefront6targetE1EEEvSH_
    .private_segment_fixed_size: 0
    .sgpr_count:     6
    .sgpr_spill_count: 0
    .symbol:         _ZN7rocprim17ROCPRIM_400000_NS6detail17trampoline_kernelINS0_13kernel_configILj256ELj4ELj4294967295EEENS1_37radix_sort_block_sort_config_selectorIttEEZNS1_21radix_sort_block_sortIS4_Lb0EN6thrust23THRUST_200600_302600_NS6detail15normal_iteratorINS9_10device_ptrItEEEESE_SE_SE_NS0_19identity_decomposerEEE10hipError_tT1_T2_T3_T4_jRjT5_jjP12ihipStream_tbEUlT_E_NS1_11comp_targetILNS1_3genE8ELNS1_11target_archE1030ELNS1_3gpuE2ELNS1_3repE0EEENS1_44radix_sort_block_sort_config_static_selectorELNS0_4arch9wavefront6targetE1EEEvSH_.kd
    .uniform_work_group_size: 1
    .uses_dynamic_stack: false
    .vgpr_count:     0
    .vgpr_spill_count: 0
    .wavefront_size: 64
  - .agpr_count:     0
    .args:           []
    .group_segment_fixed_size: 0
    .kernarg_segment_align: 4
    .kernarg_segment_size: 0
    .language:       OpenCL C
    .language_version:
      - 2
      - 0
    .max_flat_workgroup_size: 1024
    .name:           _ZN7rocprim17ROCPRIM_400000_NS6detail44device_merge_sort_compile_time_verifier_archINS1_11comp_targetILNS1_3genE0ELNS1_11target_archE4294967295ELNS1_3gpuE0ELNS1_3repE0EEES8_NS1_28merge_sort_block_sort_configILj256ELj4ELNS0_20block_sort_algorithmE0EEENS0_14default_configENS1_37merge_sort_block_sort_config_selectorIttEENS1_38merge_sort_block_merge_config_selectorIttEEEEvv
    .private_segment_fixed_size: 0
    .sgpr_count:     6
    .sgpr_spill_count: 0
    .symbol:         _ZN7rocprim17ROCPRIM_400000_NS6detail44device_merge_sort_compile_time_verifier_archINS1_11comp_targetILNS1_3genE0ELNS1_11target_archE4294967295ELNS1_3gpuE0ELNS1_3repE0EEES8_NS1_28merge_sort_block_sort_configILj256ELj4ELNS0_20block_sort_algorithmE0EEENS0_14default_configENS1_37merge_sort_block_sort_config_selectorIttEENS1_38merge_sort_block_merge_config_selectorIttEEEEvv.kd
    .uniform_work_group_size: 1
    .uses_dynamic_stack: false
    .vgpr_count:     0
    .vgpr_spill_count: 0
    .wavefront_size: 64
  - .agpr_count:     0
    .args:           []
    .group_segment_fixed_size: 0
    .kernarg_segment_align: 4
    .kernarg_segment_size: 0
    .language:       OpenCL C
    .language_version:
      - 2
      - 0
    .max_flat_workgroup_size: 1024
    .name:           _ZN7rocprim17ROCPRIM_400000_NS6detail44device_merge_sort_compile_time_verifier_archINS1_11comp_targetILNS1_3genE5ELNS1_11target_archE942ELNS1_3gpuE9ELNS1_3repE0EEES8_NS1_28merge_sort_block_sort_configILj256ELj4ELNS0_20block_sort_algorithmE0EEENS0_14default_configENS1_37merge_sort_block_sort_config_selectorIttEENS1_38merge_sort_block_merge_config_selectorIttEEEEvv
    .private_segment_fixed_size: 0
    .sgpr_count:     6
    .sgpr_spill_count: 0
    .symbol:         _ZN7rocprim17ROCPRIM_400000_NS6detail44device_merge_sort_compile_time_verifier_archINS1_11comp_targetILNS1_3genE5ELNS1_11target_archE942ELNS1_3gpuE9ELNS1_3repE0EEES8_NS1_28merge_sort_block_sort_configILj256ELj4ELNS0_20block_sort_algorithmE0EEENS0_14default_configENS1_37merge_sort_block_sort_config_selectorIttEENS1_38merge_sort_block_merge_config_selectorIttEEEEvv.kd
    .uniform_work_group_size: 1
    .uses_dynamic_stack: false
    .vgpr_count:     0
    .vgpr_spill_count: 0
    .wavefront_size: 64
  - .agpr_count:     0
    .args:           []
    .group_segment_fixed_size: 0
    .kernarg_segment_align: 4
    .kernarg_segment_size: 0
    .language:       OpenCL C
    .language_version:
      - 2
      - 0
    .max_flat_workgroup_size: 1024
    .name:           _ZN7rocprim17ROCPRIM_400000_NS6detail44device_merge_sort_compile_time_verifier_archINS1_11comp_targetILNS1_3genE4ELNS1_11target_archE910ELNS1_3gpuE8ELNS1_3repE0EEES8_NS1_28merge_sort_block_sort_configILj256ELj4ELNS0_20block_sort_algorithmE0EEENS0_14default_configENS1_37merge_sort_block_sort_config_selectorIttEENS1_38merge_sort_block_merge_config_selectorIttEEEEvv
    .private_segment_fixed_size: 0
    .sgpr_count:     6
    .sgpr_spill_count: 0
    .symbol:         _ZN7rocprim17ROCPRIM_400000_NS6detail44device_merge_sort_compile_time_verifier_archINS1_11comp_targetILNS1_3genE4ELNS1_11target_archE910ELNS1_3gpuE8ELNS1_3repE0EEES8_NS1_28merge_sort_block_sort_configILj256ELj4ELNS0_20block_sort_algorithmE0EEENS0_14default_configENS1_37merge_sort_block_sort_config_selectorIttEENS1_38merge_sort_block_merge_config_selectorIttEEEEvv.kd
    .uniform_work_group_size: 1
    .uses_dynamic_stack: false
    .vgpr_count:     0
    .vgpr_spill_count: 0
    .wavefront_size: 64
  - .agpr_count:     0
    .args:           []
    .group_segment_fixed_size: 0
    .kernarg_segment_align: 4
    .kernarg_segment_size: 0
    .language:       OpenCL C
    .language_version:
      - 2
      - 0
    .max_flat_workgroup_size: 1024
    .name:           _ZN7rocprim17ROCPRIM_400000_NS6detail44device_merge_sort_compile_time_verifier_archINS1_11comp_targetILNS1_3genE3ELNS1_11target_archE908ELNS1_3gpuE7ELNS1_3repE0EEES8_NS1_28merge_sort_block_sort_configILj256ELj4ELNS0_20block_sort_algorithmE0EEENS0_14default_configENS1_37merge_sort_block_sort_config_selectorIttEENS1_38merge_sort_block_merge_config_selectorIttEEEEvv
    .private_segment_fixed_size: 0
    .sgpr_count:     6
    .sgpr_spill_count: 0
    .symbol:         _ZN7rocprim17ROCPRIM_400000_NS6detail44device_merge_sort_compile_time_verifier_archINS1_11comp_targetILNS1_3genE3ELNS1_11target_archE908ELNS1_3gpuE7ELNS1_3repE0EEES8_NS1_28merge_sort_block_sort_configILj256ELj4ELNS0_20block_sort_algorithmE0EEENS0_14default_configENS1_37merge_sort_block_sort_config_selectorIttEENS1_38merge_sort_block_merge_config_selectorIttEEEEvv.kd
    .uniform_work_group_size: 1
    .uses_dynamic_stack: false
    .vgpr_count:     0
    .vgpr_spill_count: 0
    .wavefront_size: 64
  - .agpr_count:     0
    .args:           []
    .group_segment_fixed_size: 0
    .kernarg_segment_align: 4
    .kernarg_segment_size: 0
    .language:       OpenCL C
    .language_version:
      - 2
      - 0
    .max_flat_workgroup_size: 1024
    .name:           _ZN7rocprim17ROCPRIM_400000_NS6detail44device_merge_sort_compile_time_verifier_archINS1_11comp_targetILNS1_3genE2ELNS1_11target_archE906ELNS1_3gpuE6ELNS1_3repE0EEES8_NS1_28merge_sort_block_sort_configILj256ELj4ELNS0_20block_sort_algorithmE0EEENS0_14default_configENS1_37merge_sort_block_sort_config_selectorIttEENS1_38merge_sort_block_merge_config_selectorIttEEEEvv
    .private_segment_fixed_size: 0
    .sgpr_count:     6
    .sgpr_spill_count: 0
    .symbol:         _ZN7rocprim17ROCPRIM_400000_NS6detail44device_merge_sort_compile_time_verifier_archINS1_11comp_targetILNS1_3genE2ELNS1_11target_archE906ELNS1_3gpuE6ELNS1_3repE0EEES8_NS1_28merge_sort_block_sort_configILj256ELj4ELNS0_20block_sort_algorithmE0EEENS0_14default_configENS1_37merge_sort_block_sort_config_selectorIttEENS1_38merge_sort_block_merge_config_selectorIttEEEEvv.kd
    .uniform_work_group_size: 1
    .uses_dynamic_stack: false
    .vgpr_count:     0
    .vgpr_spill_count: 0
    .wavefront_size: 64
  - .agpr_count:     0
    .args:           []
    .group_segment_fixed_size: 0
    .kernarg_segment_align: 4
    .kernarg_segment_size: 0
    .language:       OpenCL C
    .language_version:
      - 2
      - 0
    .max_flat_workgroup_size: 1024
    .name:           _ZN7rocprim17ROCPRIM_400000_NS6detail44device_merge_sort_compile_time_verifier_archINS1_11comp_targetILNS1_3genE10ELNS1_11target_archE1201ELNS1_3gpuE5ELNS1_3repE0EEES8_NS1_28merge_sort_block_sort_configILj256ELj4ELNS0_20block_sort_algorithmE0EEENS0_14default_configENS1_37merge_sort_block_sort_config_selectorIttEENS1_38merge_sort_block_merge_config_selectorIttEEEEvv
    .private_segment_fixed_size: 0
    .sgpr_count:     6
    .sgpr_spill_count: 0
    .symbol:         _ZN7rocprim17ROCPRIM_400000_NS6detail44device_merge_sort_compile_time_verifier_archINS1_11comp_targetILNS1_3genE10ELNS1_11target_archE1201ELNS1_3gpuE5ELNS1_3repE0EEES8_NS1_28merge_sort_block_sort_configILj256ELj4ELNS0_20block_sort_algorithmE0EEENS0_14default_configENS1_37merge_sort_block_sort_config_selectorIttEENS1_38merge_sort_block_merge_config_selectorIttEEEEvv.kd
    .uniform_work_group_size: 1
    .uses_dynamic_stack: false
    .vgpr_count:     0
    .vgpr_spill_count: 0
    .wavefront_size: 64
  - .agpr_count:     0
    .args:           []
    .group_segment_fixed_size: 0
    .kernarg_segment_align: 4
    .kernarg_segment_size: 0
    .language:       OpenCL C
    .language_version:
      - 2
      - 0
    .max_flat_workgroup_size: 1024
    .name:           _ZN7rocprim17ROCPRIM_400000_NS6detail44device_merge_sort_compile_time_verifier_archINS1_11comp_targetILNS1_3genE10ELNS1_11target_archE1200ELNS1_3gpuE4ELNS1_3repE0EEENS3_ILS4_10ELS5_1201ELS6_5ELS7_0EEENS1_28merge_sort_block_sort_configILj256ELj4ELNS0_20block_sort_algorithmE0EEENS0_14default_configENS1_37merge_sort_block_sort_config_selectorIttEENS1_38merge_sort_block_merge_config_selectorIttEEEEvv
    .private_segment_fixed_size: 0
    .sgpr_count:     6
    .sgpr_spill_count: 0
    .symbol:         _ZN7rocprim17ROCPRIM_400000_NS6detail44device_merge_sort_compile_time_verifier_archINS1_11comp_targetILNS1_3genE10ELNS1_11target_archE1200ELNS1_3gpuE4ELNS1_3repE0EEENS3_ILS4_10ELS5_1201ELS6_5ELS7_0EEENS1_28merge_sort_block_sort_configILj256ELj4ELNS0_20block_sort_algorithmE0EEENS0_14default_configENS1_37merge_sort_block_sort_config_selectorIttEENS1_38merge_sort_block_merge_config_selectorIttEEEEvv.kd
    .uniform_work_group_size: 1
    .uses_dynamic_stack: false
    .vgpr_count:     0
    .vgpr_spill_count: 0
    .wavefront_size: 64
  - .agpr_count:     0
    .args:           []
    .group_segment_fixed_size: 0
    .kernarg_segment_align: 4
    .kernarg_segment_size: 0
    .language:       OpenCL C
    .language_version:
      - 2
      - 0
    .max_flat_workgroup_size: 1024
    .name:           _ZN7rocprim17ROCPRIM_400000_NS6detail44device_merge_sort_compile_time_verifier_archINS1_11comp_targetILNS1_3genE9ELNS1_11target_archE1100ELNS1_3gpuE3ELNS1_3repE0EEES8_NS1_28merge_sort_block_sort_configILj256ELj4ELNS0_20block_sort_algorithmE0EEENS0_14default_configENS1_37merge_sort_block_sort_config_selectorIttEENS1_38merge_sort_block_merge_config_selectorIttEEEEvv
    .private_segment_fixed_size: 0
    .sgpr_count:     6
    .sgpr_spill_count: 0
    .symbol:         _ZN7rocprim17ROCPRIM_400000_NS6detail44device_merge_sort_compile_time_verifier_archINS1_11comp_targetILNS1_3genE9ELNS1_11target_archE1100ELNS1_3gpuE3ELNS1_3repE0EEES8_NS1_28merge_sort_block_sort_configILj256ELj4ELNS0_20block_sort_algorithmE0EEENS0_14default_configENS1_37merge_sort_block_sort_config_selectorIttEENS1_38merge_sort_block_merge_config_selectorIttEEEEvv.kd
    .uniform_work_group_size: 1
    .uses_dynamic_stack: false
    .vgpr_count:     0
    .vgpr_spill_count: 0
    .wavefront_size: 64
  - .agpr_count:     0
    .args:           []
    .group_segment_fixed_size: 0
    .kernarg_segment_align: 4
    .kernarg_segment_size: 0
    .language:       OpenCL C
    .language_version:
      - 2
      - 0
    .max_flat_workgroup_size: 1024
    .name:           _ZN7rocprim17ROCPRIM_400000_NS6detail44device_merge_sort_compile_time_verifier_archINS1_11comp_targetILNS1_3genE8ELNS1_11target_archE1030ELNS1_3gpuE2ELNS1_3repE0EEES8_NS1_28merge_sort_block_sort_configILj256ELj4ELNS0_20block_sort_algorithmE0EEENS0_14default_configENS1_37merge_sort_block_sort_config_selectorIttEENS1_38merge_sort_block_merge_config_selectorIttEEEEvv
    .private_segment_fixed_size: 0
    .sgpr_count:     6
    .sgpr_spill_count: 0
    .symbol:         _ZN7rocprim17ROCPRIM_400000_NS6detail44device_merge_sort_compile_time_verifier_archINS1_11comp_targetILNS1_3genE8ELNS1_11target_archE1030ELNS1_3gpuE2ELNS1_3repE0EEES8_NS1_28merge_sort_block_sort_configILj256ELj4ELNS0_20block_sort_algorithmE0EEENS0_14default_configENS1_37merge_sort_block_sort_config_selectorIttEENS1_38merge_sort_block_merge_config_selectorIttEEEEvv.kd
    .uniform_work_group_size: 1
    .uses_dynamic_stack: false
    .vgpr_count:     0
    .vgpr_spill_count: 0
    .wavefront_size: 64
  - .agpr_count:     0
    .args:
      - .offset:         0
        .size:           40
        .value_kind:     by_value
    .group_segment_fixed_size: 0
    .kernarg_segment_align: 8
    .kernarg_segment_size: 40
    .language:       OpenCL C
    .language_version:
      - 2
      - 0
    .max_flat_workgroup_size: 128
    .name:           _ZN7rocprim17ROCPRIM_400000_NS6detail17trampoline_kernelINS0_14default_configENS1_38merge_sort_block_merge_config_selectorIttEEZZNS1_27merge_sort_block_merge_implIS3_N6thrust23THRUST_200600_302600_NS6detail15normal_iteratorINS8_10device_ptrItEEEESD_jNS1_19radix_merge_compareILb0ELb0EtNS0_19identity_decomposerEEEEE10hipError_tT0_T1_T2_jT3_P12ihipStream_tbPNSt15iterator_traitsISI_E10value_typeEPNSO_ISJ_E10value_typeEPSK_NS1_7vsmem_tEENKUlT_SI_SJ_SK_E_clIPtSD_S10_SD_EESH_SX_SI_SJ_SK_EUlSX_E_NS1_11comp_targetILNS1_3genE0ELNS1_11target_archE4294967295ELNS1_3gpuE0ELNS1_3repE0EEENS1_48merge_mergepath_partition_config_static_selectorELNS0_4arch9wavefront6targetE1EEEvSJ_
    .private_segment_fixed_size: 0
    .sgpr_count:     14
    .sgpr_spill_count: 0
    .symbol:         _ZN7rocprim17ROCPRIM_400000_NS6detail17trampoline_kernelINS0_14default_configENS1_38merge_sort_block_merge_config_selectorIttEEZZNS1_27merge_sort_block_merge_implIS3_N6thrust23THRUST_200600_302600_NS6detail15normal_iteratorINS8_10device_ptrItEEEESD_jNS1_19radix_merge_compareILb0ELb0EtNS0_19identity_decomposerEEEEE10hipError_tT0_T1_T2_jT3_P12ihipStream_tbPNSt15iterator_traitsISI_E10value_typeEPNSO_ISJ_E10value_typeEPSK_NS1_7vsmem_tEENKUlT_SI_SJ_SK_E_clIPtSD_S10_SD_EESH_SX_SI_SJ_SK_EUlSX_E_NS1_11comp_targetILNS1_3genE0ELNS1_11target_archE4294967295ELNS1_3gpuE0ELNS1_3repE0EEENS1_48merge_mergepath_partition_config_static_selectorELNS0_4arch9wavefront6targetE1EEEvSJ_.kd
    .uniform_work_group_size: 1
    .uses_dynamic_stack: false
    .vgpr_count:     17
    .vgpr_spill_count: 0
    .wavefront_size: 64
  - .agpr_count:     0
    .args:
      - .offset:         0
        .size:           40
        .value_kind:     by_value
    .group_segment_fixed_size: 0
    .kernarg_segment_align: 8
    .kernarg_segment_size: 40
    .language:       OpenCL C
    .language_version:
      - 2
      - 0
    .max_flat_workgroup_size: 128
    .name:           _ZN7rocprim17ROCPRIM_400000_NS6detail17trampoline_kernelINS0_14default_configENS1_38merge_sort_block_merge_config_selectorIttEEZZNS1_27merge_sort_block_merge_implIS3_N6thrust23THRUST_200600_302600_NS6detail15normal_iteratorINS8_10device_ptrItEEEESD_jNS1_19radix_merge_compareILb0ELb0EtNS0_19identity_decomposerEEEEE10hipError_tT0_T1_T2_jT3_P12ihipStream_tbPNSt15iterator_traitsISI_E10value_typeEPNSO_ISJ_E10value_typeEPSK_NS1_7vsmem_tEENKUlT_SI_SJ_SK_E_clIPtSD_S10_SD_EESH_SX_SI_SJ_SK_EUlSX_E_NS1_11comp_targetILNS1_3genE10ELNS1_11target_archE1201ELNS1_3gpuE5ELNS1_3repE0EEENS1_48merge_mergepath_partition_config_static_selectorELNS0_4arch9wavefront6targetE1EEEvSJ_
    .private_segment_fixed_size: 0
    .sgpr_count:     6
    .sgpr_spill_count: 0
    .symbol:         _ZN7rocprim17ROCPRIM_400000_NS6detail17trampoline_kernelINS0_14default_configENS1_38merge_sort_block_merge_config_selectorIttEEZZNS1_27merge_sort_block_merge_implIS3_N6thrust23THRUST_200600_302600_NS6detail15normal_iteratorINS8_10device_ptrItEEEESD_jNS1_19radix_merge_compareILb0ELb0EtNS0_19identity_decomposerEEEEE10hipError_tT0_T1_T2_jT3_P12ihipStream_tbPNSt15iterator_traitsISI_E10value_typeEPNSO_ISJ_E10value_typeEPSK_NS1_7vsmem_tEENKUlT_SI_SJ_SK_E_clIPtSD_S10_SD_EESH_SX_SI_SJ_SK_EUlSX_E_NS1_11comp_targetILNS1_3genE10ELNS1_11target_archE1201ELNS1_3gpuE5ELNS1_3repE0EEENS1_48merge_mergepath_partition_config_static_selectorELNS0_4arch9wavefront6targetE1EEEvSJ_.kd
    .uniform_work_group_size: 1
    .uses_dynamic_stack: false
    .vgpr_count:     0
    .vgpr_spill_count: 0
    .wavefront_size: 64
  - .agpr_count:     0
    .args:
      - .offset:         0
        .size:           40
        .value_kind:     by_value
    .group_segment_fixed_size: 0
    .kernarg_segment_align: 8
    .kernarg_segment_size: 40
    .language:       OpenCL C
    .language_version:
      - 2
      - 0
    .max_flat_workgroup_size: 128
    .name:           _ZN7rocprim17ROCPRIM_400000_NS6detail17trampoline_kernelINS0_14default_configENS1_38merge_sort_block_merge_config_selectorIttEEZZNS1_27merge_sort_block_merge_implIS3_N6thrust23THRUST_200600_302600_NS6detail15normal_iteratorINS8_10device_ptrItEEEESD_jNS1_19radix_merge_compareILb0ELb0EtNS0_19identity_decomposerEEEEE10hipError_tT0_T1_T2_jT3_P12ihipStream_tbPNSt15iterator_traitsISI_E10value_typeEPNSO_ISJ_E10value_typeEPSK_NS1_7vsmem_tEENKUlT_SI_SJ_SK_E_clIPtSD_S10_SD_EESH_SX_SI_SJ_SK_EUlSX_E_NS1_11comp_targetILNS1_3genE5ELNS1_11target_archE942ELNS1_3gpuE9ELNS1_3repE0EEENS1_48merge_mergepath_partition_config_static_selectorELNS0_4arch9wavefront6targetE1EEEvSJ_
    .private_segment_fixed_size: 0
    .sgpr_count:     6
    .sgpr_spill_count: 0
    .symbol:         _ZN7rocprim17ROCPRIM_400000_NS6detail17trampoline_kernelINS0_14default_configENS1_38merge_sort_block_merge_config_selectorIttEEZZNS1_27merge_sort_block_merge_implIS3_N6thrust23THRUST_200600_302600_NS6detail15normal_iteratorINS8_10device_ptrItEEEESD_jNS1_19radix_merge_compareILb0ELb0EtNS0_19identity_decomposerEEEEE10hipError_tT0_T1_T2_jT3_P12ihipStream_tbPNSt15iterator_traitsISI_E10value_typeEPNSO_ISJ_E10value_typeEPSK_NS1_7vsmem_tEENKUlT_SI_SJ_SK_E_clIPtSD_S10_SD_EESH_SX_SI_SJ_SK_EUlSX_E_NS1_11comp_targetILNS1_3genE5ELNS1_11target_archE942ELNS1_3gpuE9ELNS1_3repE0EEENS1_48merge_mergepath_partition_config_static_selectorELNS0_4arch9wavefront6targetE1EEEvSJ_.kd
    .uniform_work_group_size: 1
    .uses_dynamic_stack: false
    .vgpr_count:     0
    .vgpr_spill_count: 0
    .wavefront_size: 64
  - .agpr_count:     0
    .args:
      - .offset:         0
        .size:           40
        .value_kind:     by_value
    .group_segment_fixed_size: 0
    .kernarg_segment_align: 8
    .kernarg_segment_size: 40
    .language:       OpenCL C
    .language_version:
      - 2
      - 0
    .max_flat_workgroup_size: 128
    .name:           _ZN7rocprim17ROCPRIM_400000_NS6detail17trampoline_kernelINS0_14default_configENS1_38merge_sort_block_merge_config_selectorIttEEZZNS1_27merge_sort_block_merge_implIS3_N6thrust23THRUST_200600_302600_NS6detail15normal_iteratorINS8_10device_ptrItEEEESD_jNS1_19radix_merge_compareILb0ELb0EtNS0_19identity_decomposerEEEEE10hipError_tT0_T1_T2_jT3_P12ihipStream_tbPNSt15iterator_traitsISI_E10value_typeEPNSO_ISJ_E10value_typeEPSK_NS1_7vsmem_tEENKUlT_SI_SJ_SK_E_clIPtSD_S10_SD_EESH_SX_SI_SJ_SK_EUlSX_E_NS1_11comp_targetILNS1_3genE4ELNS1_11target_archE910ELNS1_3gpuE8ELNS1_3repE0EEENS1_48merge_mergepath_partition_config_static_selectorELNS0_4arch9wavefront6targetE1EEEvSJ_
    .private_segment_fixed_size: 0
    .sgpr_count:     6
    .sgpr_spill_count: 0
    .symbol:         _ZN7rocprim17ROCPRIM_400000_NS6detail17trampoline_kernelINS0_14default_configENS1_38merge_sort_block_merge_config_selectorIttEEZZNS1_27merge_sort_block_merge_implIS3_N6thrust23THRUST_200600_302600_NS6detail15normal_iteratorINS8_10device_ptrItEEEESD_jNS1_19radix_merge_compareILb0ELb0EtNS0_19identity_decomposerEEEEE10hipError_tT0_T1_T2_jT3_P12ihipStream_tbPNSt15iterator_traitsISI_E10value_typeEPNSO_ISJ_E10value_typeEPSK_NS1_7vsmem_tEENKUlT_SI_SJ_SK_E_clIPtSD_S10_SD_EESH_SX_SI_SJ_SK_EUlSX_E_NS1_11comp_targetILNS1_3genE4ELNS1_11target_archE910ELNS1_3gpuE8ELNS1_3repE0EEENS1_48merge_mergepath_partition_config_static_selectorELNS0_4arch9wavefront6targetE1EEEvSJ_.kd
    .uniform_work_group_size: 1
    .uses_dynamic_stack: false
    .vgpr_count:     0
    .vgpr_spill_count: 0
    .wavefront_size: 64
  - .agpr_count:     0
    .args:
      - .offset:         0
        .size:           40
        .value_kind:     by_value
    .group_segment_fixed_size: 0
    .kernarg_segment_align: 8
    .kernarg_segment_size: 40
    .language:       OpenCL C
    .language_version:
      - 2
      - 0
    .max_flat_workgroup_size: 128
    .name:           _ZN7rocprim17ROCPRIM_400000_NS6detail17trampoline_kernelINS0_14default_configENS1_38merge_sort_block_merge_config_selectorIttEEZZNS1_27merge_sort_block_merge_implIS3_N6thrust23THRUST_200600_302600_NS6detail15normal_iteratorINS8_10device_ptrItEEEESD_jNS1_19radix_merge_compareILb0ELb0EtNS0_19identity_decomposerEEEEE10hipError_tT0_T1_T2_jT3_P12ihipStream_tbPNSt15iterator_traitsISI_E10value_typeEPNSO_ISJ_E10value_typeEPSK_NS1_7vsmem_tEENKUlT_SI_SJ_SK_E_clIPtSD_S10_SD_EESH_SX_SI_SJ_SK_EUlSX_E_NS1_11comp_targetILNS1_3genE3ELNS1_11target_archE908ELNS1_3gpuE7ELNS1_3repE0EEENS1_48merge_mergepath_partition_config_static_selectorELNS0_4arch9wavefront6targetE1EEEvSJ_
    .private_segment_fixed_size: 0
    .sgpr_count:     6
    .sgpr_spill_count: 0
    .symbol:         _ZN7rocprim17ROCPRIM_400000_NS6detail17trampoline_kernelINS0_14default_configENS1_38merge_sort_block_merge_config_selectorIttEEZZNS1_27merge_sort_block_merge_implIS3_N6thrust23THRUST_200600_302600_NS6detail15normal_iteratorINS8_10device_ptrItEEEESD_jNS1_19radix_merge_compareILb0ELb0EtNS0_19identity_decomposerEEEEE10hipError_tT0_T1_T2_jT3_P12ihipStream_tbPNSt15iterator_traitsISI_E10value_typeEPNSO_ISJ_E10value_typeEPSK_NS1_7vsmem_tEENKUlT_SI_SJ_SK_E_clIPtSD_S10_SD_EESH_SX_SI_SJ_SK_EUlSX_E_NS1_11comp_targetILNS1_3genE3ELNS1_11target_archE908ELNS1_3gpuE7ELNS1_3repE0EEENS1_48merge_mergepath_partition_config_static_selectorELNS0_4arch9wavefront6targetE1EEEvSJ_.kd
    .uniform_work_group_size: 1
    .uses_dynamic_stack: false
    .vgpr_count:     0
    .vgpr_spill_count: 0
    .wavefront_size: 64
  - .agpr_count:     0
    .args:
      - .offset:         0
        .size:           40
        .value_kind:     by_value
    .group_segment_fixed_size: 0
    .kernarg_segment_align: 8
    .kernarg_segment_size: 40
    .language:       OpenCL C
    .language_version:
      - 2
      - 0
    .max_flat_workgroup_size: 128
    .name:           _ZN7rocprim17ROCPRIM_400000_NS6detail17trampoline_kernelINS0_14default_configENS1_38merge_sort_block_merge_config_selectorIttEEZZNS1_27merge_sort_block_merge_implIS3_N6thrust23THRUST_200600_302600_NS6detail15normal_iteratorINS8_10device_ptrItEEEESD_jNS1_19radix_merge_compareILb0ELb0EtNS0_19identity_decomposerEEEEE10hipError_tT0_T1_T2_jT3_P12ihipStream_tbPNSt15iterator_traitsISI_E10value_typeEPNSO_ISJ_E10value_typeEPSK_NS1_7vsmem_tEENKUlT_SI_SJ_SK_E_clIPtSD_S10_SD_EESH_SX_SI_SJ_SK_EUlSX_E_NS1_11comp_targetILNS1_3genE2ELNS1_11target_archE906ELNS1_3gpuE6ELNS1_3repE0EEENS1_48merge_mergepath_partition_config_static_selectorELNS0_4arch9wavefront6targetE1EEEvSJ_
    .private_segment_fixed_size: 0
    .sgpr_count:     6
    .sgpr_spill_count: 0
    .symbol:         _ZN7rocprim17ROCPRIM_400000_NS6detail17trampoline_kernelINS0_14default_configENS1_38merge_sort_block_merge_config_selectorIttEEZZNS1_27merge_sort_block_merge_implIS3_N6thrust23THRUST_200600_302600_NS6detail15normal_iteratorINS8_10device_ptrItEEEESD_jNS1_19radix_merge_compareILb0ELb0EtNS0_19identity_decomposerEEEEE10hipError_tT0_T1_T2_jT3_P12ihipStream_tbPNSt15iterator_traitsISI_E10value_typeEPNSO_ISJ_E10value_typeEPSK_NS1_7vsmem_tEENKUlT_SI_SJ_SK_E_clIPtSD_S10_SD_EESH_SX_SI_SJ_SK_EUlSX_E_NS1_11comp_targetILNS1_3genE2ELNS1_11target_archE906ELNS1_3gpuE6ELNS1_3repE0EEENS1_48merge_mergepath_partition_config_static_selectorELNS0_4arch9wavefront6targetE1EEEvSJ_.kd
    .uniform_work_group_size: 1
    .uses_dynamic_stack: false
    .vgpr_count:     0
    .vgpr_spill_count: 0
    .wavefront_size: 64
  - .agpr_count:     0
    .args:
      - .offset:         0
        .size:           40
        .value_kind:     by_value
    .group_segment_fixed_size: 0
    .kernarg_segment_align: 8
    .kernarg_segment_size: 40
    .language:       OpenCL C
    .language_version:
      - 2
      - 0
    .max_flat_workgroup_size: 128
    .name:           _ZN7rocprim17ROCPRIM_400000_NS6detail17trampoline_kernelINS0_14default_configENS1_38merge_sort_block_merge_config_selectorIttEEZZNS1_27merge_sort_block_merge_implIS3_N6thrust23THRUST_200600_302600_NS6detail15normal_iteratorINS8_10device_ptrItEEEESD_jNS1_19radix_merge_compareILb0ELb0EtNS0_19identity_decomposerEEEEE10hipError_tT0_T1_T2_jT3_P12ihipStream_tbPNSt15iterator_traitsISI_E10value_typeEPNSO_ISJ_E10value_typeEPSK_NS1_7vsmem_tEENKUlT_SI_SJ_SK_E_clIPtSD_S10_SD_EESH_SX_SI_SJ_SK_EUlSX_E_NS1_11comp_targetILNS1_3genE9ELNS1_11target_archE1100ELNS1_3gpuE3ELNS1_3repE0EEENS1_48merge_mergepath_partition_config_static_selectorELNS0_4arch9wavefront6targetE1EEEvSJ_
    .private_segment_fixed_size: 0
    .sgpr_count:     6
    .sgpr_spill_count: 0
    .symbol:         _ZN7rocprim17ROCPRIM_400000_NS6detail17trampoline_kernelINS0_14default_configENS1_38merge_sort_block_merge_config_selectorIttEEZZNS1_27merge_sort_block_merge_implIS3_N6thrust23THRUST_200600_302600_NS6detail15normal_iteratorINS8_10device_ptrItEEEESD_jNS1_19radix_merge_compareILb0ELb0EtNS0_19identity_decomposerEEEEE10hipError_tT0_T1_T2_jT3_P12ihipStream_tbPNSt15iterator_traitsISI_E10value_typeEPNSO_ISJ_E10value_typeEPSK_NS1_7vsmem_tEENKUlT_SI_SJ_SK_E_clIPtSD_S10_SD_EESH_SX_SI_SJ_SK_EUlSX_E_NS1_11comp_targetILNS1_3genE9ELNS1_11target_archE1100ELNS1_3gpuE3ELNS1_3repE0EEENS1_48merge_mergepath_partition_config_static_selectorELNS0_4arch9wavefront6targetE1EEEvSJ_.kd
    .uniform_work_group_size: 1
    .uses_dynamic_stack: false
    .vgpr_count:     0
    .vgpr_spill_count: 0
    .wavefront_size: 64
  - .agpr_count:     0
    .args:
      - .offset:         0
        .size:           40
        .value_kind:     by_value
    .group_segment_fixed_size: 0
    .kernarg_segment_align: 8
    .kernarg_segment_size: 40
    .language:       OpenCL C
    .language_version:
      - 2
      - 0
    .max_flat_workgroup_size: 128
    .name:           _ZN7rocprim17ROCPRIM_400000_NS6detail17trampoline_kernelINS0_14default_configENS1_38merge_sort_block_merge_config_selectorIttEEZZNS1_27merge_sort_block_merge_implIS3_N6thrust23THRUST_200600_302600_NS6detail15normal_iteratorINS8_10device_ptrItEEEESD_jNS1_19radix_merge_compareILb0ELb0EtNS0_19identity_decomposerEEEEE10hipError_tT0_T1_T2_jT3_P12ihipStream_tbPNSt15iterator_traitsISI_E10value_typeEPNSO_ISJ_E10value_typeEPSK_NS1_7vsmem_tEENKUlT_SI_SJ_SK_E_clIPtSD_S10_SD_EESH_SX_SI_SJ_SK_EUlSX_E_NS1_11comp_targetILNS1_3genE8ELNS1_11target_archE1030ELNS1_3gpuE2ELNS1_3repE0EEENS1_48merge_mergepath_partition_config_static_selectorELNS0_4arch9wavefront6targetE1EEEvSJ_
    .private_segment_fixed_size: 0
    .sgpr_count:     6
    .sgpr_spill_count: 0
    .symbol:         _ZN7rocprim17ROCPRIM_400000_NS6detail17trampoline_kernelINS0_14default_configENS1_38merge_sort_block_merge_config_selectorIttEEZZNS1_27merge_sort_block_merge_implIS3_N6thrust23THRUST_200600_302600_NS6detail15normal_iteratorINS8_10device_ptrItEEEESD_jNS1_19radix_merge_compareILb0ELb0EtNS0_19identity_decomposerEEEEE10hipError_tT0_T1_T2_jT3_P12ihipStream_tbPNSt15iterator_traitsISI_E10value_typeEPNSO_ISJ_E10value_typeEPSK_NS1_7vsmem_tEENKUlT_SI_SJ_SK_E_clIPtSD_S10_SD_EESH_SX_SI_SJ_SK_EUlSX_E_NS1_11comp_targetILNS1_3genE8ELNS1_11target_archE1030ELNS1_3gpuE2ELNS1_3repE0EEENS1_48merge_mergepath_partition_config_static_selectorELNS0_4arch9wavefront6targetE1EEEvSJ_.kd
    .uniform_work_group_size: 1
    .uses_dynamic_stack: false
    .vgpr_count:     0
    .vgpr_spill_count: 0
    .wavefront_size: 64
  - .agpr_count:     0
    .args:
      - .offset:         0
        .size:           64
        .value_kind:     by_value
      - .offset:         64
        .size:           4
        .value_kind:     hidden_block_count_x
      - .offset:         68
        .size:           4
        .value_kind:     hidden_block_count_y
      - .offset:         72
        .size:           4
        .value_kind:     hidden_block_count_z
      - .offset:         76
        .size:           2
        .value_kind:     hidden_group_size_x
      - .offset:         78
        .size:           2
        .value_kind:     hidden_group_size_y
      - .offset:         80
        .size:           2
        .value_kind:     hidden_group_size_z
      - .offset:         82
        .size:           2
        .value_kind:     hidden_remainder_x
      - .offset:         84
        .size:           2
        .value_kind:     hidden_remainder_y
      - .offset:         86
        .size:           2
        .value_kind:     hidden_remainder_z
      - .offset:         104
        .size:           8
        .value_kind:     hidden_global_offset_x
      - .offset:         112
        .size:           8
        .value_kind:     hidden_global_offset_y
      - .offset:         120
        .size:           8
        .value_kind:     hidden_global_offset_z
      - .offset:         128
        .size:           2
        .value_kind:     hidden_grid_dims
    .group_segment_fixed_size: 2112
    .kernarg_segment_align: 8
    .kernarg_segment_size: 320
    .language:       OpenCL C
    .language_version:
      - 2
      - 0
    .max_flat_workgroup_size: 128
    .name:           _ZN7rocprim17ROCPRIM_400000_NS6detail17trampoline_kernelINS0_14default_configENS1_38merge_sort_block_merge_config_selectorIttEEZZNS1_27merge_sort_block_merge_implIS3_N6thrust23THRUST_200600_302600_NS6detail15normal_iteratorINS8_10device_ptrItEEEESD_jNS1_19radix_merge_compareILb0ELb0EtNS0_19identity_decomposerEEEEE10hipError_tT0_T1_T2_jT3_P12ihipStream_tbPNSt15iterator_traitsISI_E10value_typeEPNSO_ISJ_E10value_typeEPSK_NS1_7vsmem_tEENKUlT_SI_SJ_SK_E_clIPtSD_S10_SD_EESH_SX_SI_SJ_SK_EUlSX_E0_NS1_11comp_targetILNS1_3genE0ELNS1_11target_archE4294967295ELNS1_3gpuE0ELNS1_3repE0EEENS1_38merge_mergepath_config_static_selectorELNS0_4arch9wavefront6targetE1EEEvSJ_
    .private_segment_fixed_size: 0
    .sgpr_count:     36
    .sgpr_spill_count: 0
    .symbol:         _ZN7rocprim17ROCPRIM_400000_NS6detail17trampoline_kernelINS0_14default_configENS1_38merge_sort_block_merge_config_selectorIttEEZZNS1_27merge_sort_block_merge_implIS3_N6thrust23THRUST_200600_302600_NS6detail15normal_iteratorINS8_10device_ptrItEEEESD_jNS1_19radix_merge_compareILb0ELb0EtNS0_19identity_decomposerEEEEE10hipError_tT0_T1_T2_jT3_P12ihipStream_tbPNSt15iterator_traitsISI_E10value_typeEPNSO_ISJ_E10value_typeEPSK_NS1_7vsmem_tEENKUlT_SI_SJ_SK_E_clIPtSD_S10_SD_EESH_SX_SI_SJ_SK_EUlSX_E0_NS1_11comp_targetILNS1_3genE0ELNS1_11target_archE4294967295ELNS1_3gpuE0ELNS1_3repE0EEENS1_38merge_mergepath_config_static_selectorELNS0_4arch9wavefront6targetE1EEEvSJ_.kd
    .uniform_work_group_size: 1
    .uses_dynamic_stack: false
    .vgpr_count:     36
    .vgpr_spill_count: 0
    .wavefront_size: 64
  - .agpr_count:     0
    .args:
      - .offset:         0
        .size:           64
        .value_kind:     by_value
    .group_segment_fixed_size: 0
    .kernarg_segment_align: 8
    .kernarg_segment_size: 64
    .language:       OpenCL C
    .language_version:
      - 2
      - 0
    .max_flat_workgroup_size: 128
    .name:           _ZN7rocprim17ROCPRIM_400000_NS6detail17trampoline_kernelINS0_14default_configENS1_38merge_sort_block_merge_config_selectorIttEEZZNS1_27merge_sort_block_merge_implIS3_N6thrust23THRUST_200600_302600_NS6detail15normal_iteratorINS8_10device_ptrItEEEESD_jNS1_19radix_merge_compareILb0ELb0EtNS0_19identity_decomposerEEEEE10hipError_tT0_T1_T2_jT3_P12ihipStream_tbPNSt15iterator_traitsISI_E10value_typeEPNSO_ISJ_E10value_typeEPSK_NS1_7vsmem_tEENKUlT_SI_SJ_SK_E_clIPtSD_S10_SD_EESH_SX_SI_SJ_SK_EUlSX_E0_NS1_11comp_targetILNS1_3genE10ELNS1_11target_archE1201ELNS1_3gpuE5ELNS1_3repE0EEENS1_38merge_mergepath_config_static_selectorELNS0_4arch9wavefront6targetE1EEEvSJ_
    .private_segment_fixed_size: 0
    .sgpr_count:     6
    .sgpr_spill_count: 0
    .symbol:         _ZN7rocprim17ROCPRIM_400000_NS6detail17trampoline_kernelINS0_14default_configENS1_38merge_sort_block_merge_config_selectorIttEEZZNS1_27merge_sort_block_merge_implIS3_N6thrust23THRUST_200600_302600_NS6detail15normal_iteratorINS8_10device_ptrItEEEESD_jNS1_19radix_merge_compareILb0ELb0EtNS0_19identity_decomposerEEEEE10hipError_tT0_T1_T2_jT3_P12ihipStream_tbPNSt15iterator_traitsISI_E10value_typeEPNSO_ISJ_E10value_typeEPSK_NS1_7vsmem_tEENKUlT_SI_SJ_SK_E_clIPtSD_S10_SD_EESH_SX_SI_SJ_SK_EUlSX_E0_NS1_11comp_targetILNS1_3genE10ELNS1_11target_archE1201ELNS1_3gpuE5ELNS1_3repE0EEENS1_38merge_mergepath_config_static_selectorELNS0_4arch9wavefront6targetE1EEEvSJ_.kd
    .uniform_work_group_size: 1
    .uses_dynamic_stack: false
    .vgpr_count:     0
    .vgpr_spill_count: 0
    .wavefront_size: 64
  - .agpr_count:     0
    .args:
      - .offset:         0
        .size:           64
        .value_kind:     by_value
    .group_segment_fixed_size: 0
    .kernarg_segment_align: 8
    .kernarg_segment_size: 64
    .language:       OpenCL C
    .language_version:
      - 2
      - 0
    .max_flat_workgroup_size: 128
    .name:           _ZN7rocprim17ROCPRIM_400000_NS6detail17trampoline_kernelINS0_14default_configENS1_38merge_sort_block_merge_config_selectorIttEEZZNS1_27merge_sort_block_merge_implIS3_N6thrust23THRUST_200600_302600_NS6detail15normal_iteratorINS8_10device_ptrItEEEESD_jNS1_19radix_merge_compareILb0ELb0EtNS0_19identity_decomposerEEEEE10hipError_tT0_T1_T2_jT3_P12ihipStream_tbPNSt15iterator_traitsISI_E10value_typeEPNSO_ISJ_E10value_typeEPSK_NS1_7vsmem_tEENKUlT_SI_SJ_SK_E_clIPtSD_S10_SD_EESH_SX_SI_SJ_SK_EUlSX_E0_NS1_11comp_targetILNS1_3genE5ELNS1_11target_archE942ELNS1_3gpuE9ELNS1_3repE0EEENS1_38merge_mergepath_config_static_selectorELNS0_4arch9wavefront6targetE1EEEvSJ_
    .private_segment_fixed_size: 0
    .sgpr_count:     6
    .sgpr_spill_count: 0
    .symbol:         _ZN7rocprim17ROCPRIM_400000_NS6detail17trampoline_kernelINS0_14default_configENS1_38merge_sort_block_merge_config_selectorIttEEZZNS1_27merge_sort_block_merge_implIS3_N6thrust23THRUST_200600_302600_NS6detail15normal_iteratorINS8_10device_ptrItEEEESD_jNS1_19radix_merge_compareILb0ELb0EtNS0_19identity_decomposerEEEEE10hipError_tT0_T1_T2_jT3_P12ihipStream_tbPNSt15iterator_traitsISI_E10value_typeEPNSO_ISJ_E10value_typeEPSK_NS1_7vsmem_tEENKUlT_SI_SJ_SK_E_clIPtSD_S10_SD_EESH_SX_SI_SJ_SK_EUlSX_E0_NS1_11comp_targetILNS1_3genE5ELNS1_11target_archE942ELNS1_3gpuE9ELNS1_3repE0EEENS1_38merge_mergepath_config_static_selectorELNS0_4arch9wavefront6targetE1EEEvSJ_.kd
    .uniform_work_group_size: 1
    .uses_dynamic_stack: false
    .vgpr_count:     0
    .vgpr_spill_count: 0
    .wavefront_size: 64
  - .agpr_count:     0
    .args:
      - .offset:         0
        .size:           64
        .value_kind:     by_value
    .group_segment_fixed_size: 0
    .kernarg_segment_align: 8
    .kernarg_segment_size: 64
    .language:       OpenCL C
    .language_version:
      - 2
      - 0
    .max_flat_workgroup_size: 128
    .name:           _ZN7rocprim17ROCPRIM_400000_NS6detail17trampoline_kernelINS0_14default_configENS1_38merge_sort_block_merge_config_selectorIttEEZZNS1_27merge_sort_block_merge_implIS3_N6thrust23THRUST_200600_302600_NS6detail15normal_iteratorINS8_10device_ptrItEEEESD_jNS1_19radix_merge_compareILb0ELb0EtNS0_19identity_decomposerEEEEE10hipError_tT0_T1_T2_jT3_P12ihipStream_tbPNSt15iterator_traitsISI_E10value_typeEPNSO_ISJ_E10value_typeEPSK_NS1_7vsmem_tEENKUlT_SI_SJ_SK_E_clIPtSD_S10_SD_EESH_SX_SI_SJ_SK_EUlSX_E0_NS1_11comp_targetILNS1_3genE4ELNS1_11target_archE910ELNS1_3gpuE8ELNS1_3repE0EEENS1_38merge_mergepath_config_static_selectorELNS0_4arch9wavefront6targetE1EEEvSJ_
    .private_segment_fixed_size: 0
    .sgpr_count:     6
    .sgpr_spill_count: 0
    .symbol:         _ZN7rocprim17ROCPRIM_400000_NS6detail17trampoline_kernelINS0_14default_configENS1_38merge_sort_block_merge_config_selectorIttEEZZNS1_27merge_sort_block_merge_implIS3_N6thrust23THRUST_200600_302600_NS6detail15normal_iteratorINS8_10device_ptrItEEEESD_jNS1_19radix_merge_compareILb0ELb0EtNS0_19identity_decomposerEEEEE10hipError_tT0_T1_T2_jT3_P12ihipStream_tbPNSt15iterator_traitsISI_E10value_typeEPNSO_ISJ_E10value_typeEPSK_NS1_7vsmem_tEENKUlT_SI_SJ_SK_E_clIPtSD_S10_SD_EESH_SX_SI_SJ_SK_EUlSX_E0_NS1_11comp_targetILNS1_3genE4ELNS1_11target_archE910ELNS1_3gpuE8ELNS1_3repE0EEENS1_38merge_mergepath_config_static_selectorELNS0_4arch9wavefront6targetE1EEEvSJ_.kd
    .uniform_work_group_size: 1
    .uses_dynamic_stack: false
    .vgpr_count:     0
    .vgpr_spill_count: 0
    .wavefront_size: 64
  - .agpr_count:     0
    .args:
      - .offset:         0
        .size:           64
        .value_kind:     by_value
    .group_segment_fixed_size: 0
    .kernarg_segment_align: 8
    .kernarg_segment_size: 64
    .language:       OpenCL C
    .language_version:
      - 2
      - 0
    .max_flat_workgroup_size: 128
    .name:           _ZN7rocprim17ROCPRIM_400000_NS6detail17trampoline_kernelINS0_14default_configENS1_38merge_sort_block_merge_config_selectorIttEEZZNS1_27merge_sort_block_merge_implIS3_N6thrust23THRUST_200600_302600_NS6detail15normal_iteratorINS8_10device_ptrItEEEESD_jNS1_19radix_merge_compareILb0ELb0EtNS0_19identity_decomposerEEEEE10hipError_tT0_T1_T2_jT3_P12ihipStream_tbPNSt15iterator_traitsISI_E10value_typeEPNSO_ISJ_E10value_typeEPSK_NS1_7vsmem_tEENKUlT_SI_SJ_SK_E_clIPtSD_S10_SD_EESH_SX_SI_SJ_SK_EUlSX_E0_NS1_11comp_targetILNS1_3genE3ELNS1_11target_archE908ELNS1_3gpuE7ELNS1_3repE0EEENS1_38merge_mergepath_config_static_selectorELNS0_4arch9wavefront6targetE1EEEvSJ_
    .private_segment_fixed_size: 0
    .sgpr_count:     6
    .sgpr_spill_count: 0
    .symbol:         _ZN7rocprim17ROCPRIM_400000_NS6detail17trampoline_kernelINS0_14default_configENS1_38merge_sort_block_merge_config_selectorIttEEZZNS1_27merge_sort_block_merge_implIS3_N6thrust23THRUST_200600_302600_NS6detail15normal_iteratorINS8_10device_ptrItEEEESD_jNS1_19radix_merge_compareILb0ELb0EtNS0_19identity_decomposerEEEEE10hipError_tT0_T1_T2_jT3_P12ihipStream_tbPNSt15iterator_traitsISI_E10value_typeEPNSO_ISJ_E10value_typeEPSK_NS1_7vsmem_tEENKUlT_SI_SJ_SK_E_clIPtSD_S10_SD_EESH_SX_SI_SJ_SK_EUlSX_E0_NS1_11comp_targetILNS1_3genE3ELNS1_11target_archE908ELNS1_3gpuE7ELNS1_3repE0EEENS1_38merge_mergepath_config_static_selectorELNS0_4arch9wavefront6targetE1EEEvSJ_.kd
    .uniform_work_group_size: 1
    .uses_dynamic_stack: false
    .vgpr_count:     0
    .vgpr_spill_count: 0
    .wavefront_size: 64
  - .agpr_count:     0
    .args:
      - .offset:         0
        .size:           64
        .value_kind:     by_value
    .group_segment_fixed_size: 0
    .kernarg_segment_align: 8
    .kernarg_segment_size: 64
    .language:       OpenCL C
    .language_version:
      - 2
      - 0
    .max_flat_workgroup_size: 128
    .name:           _ZN7rocprim17ROCPRIM_400000_NS6detail17trampoline_kernelINS0_14default_configENS1_38merge_sort_block_merge_config_selectorIttEEZZNS1_27merge_sort_block_merge_implIS3_N6thrust23THRUST_200600_302600_NS6detail15normal_iteratorINS8_10device_ptrItEEEESD_jNS1_19radix_merge_compareILb0ELb0EtNS0_19identity_decomposerEEEEE10hipError_tT0_T1_T2_jT3_P12ihipStream_tbPNSt15iterator_traitsISI_E10value_typeEPNSO_ISJ_E10value_typeEPSK_NS1_7vsmem_tEENKUlT_SI_SJ_SK_E_clIPtSD_S10_SD_EESH_SX_SI_SJ_SK_EUlSX_E0_NS1_11comp_targetILNS1_3genE2ELNS1_11target_archE906ELNS1_3gpuE6ELNS1_3repE0EEENS1_38merge_mergepath_config_static_selectorELNS0_4arch9wavefront6targetE1EEEvSJ_
    .private_segment_fixed_size: 0
    .sgpr_count:     6
    .sgpr_spill_count: 0
    .symbol:         _ZN7rocprim17ROCPRIM_400000_NS6detail17trampoline_kernelINS0_14default_configENS1_38merge_sort_block_merge_config_selectorIttEEZZNS1_27merge_sort_block_merge_implIS3_N6thrust23THRUST_200600_302600_NS6detail15normal_iteratorINS8_10device_ptrItEEEESD_jNS1_19radix_merge_compareILb0ELb0EtNS0_19identity_decomposerEEEEE10hipError_tT0_T1_T2_jT3_P12ihipStream_tbPNSt15iterator_traitsISI_E10value_typeEPNSO_ISJ_E10value_typeEPSK_NS1_7vsmem_tEENKUlT_SI_SJ_SK_E_clIPtSD_S10_SD_EESH_SX_SI_SJ_SK_EUlSX_E0_NS1_11comp_targetILNS1_3genE2ELNS1_11target_archE906ELNS1_3gpuE6ELNS1_3repE0EEENS1_38merge_mergepath_config_static_selectorELNS0_4arch9wavefront6targetE1EEEvSJ_.kd
    .uniform_work_group_size: 1
    .uses_dynamic_stack: false
    .vgpr_count:     0
    .vgpr_spill_count: 0
    .wavefront_size: 64
  - .agpr_count:     0
    .args:
      - .offset:         0
        .size:           64
        .value_kind:     by_value
    .group_segment_fixed_size: 0
    .kernarg_segment_align: 8
    .kernarg_segment_size: 64
    .language:       OpenCL C
    .language_version:
      - 2
      - 0
    .max_flat_workgroup_size: 128
    .name:           _ZN7rocprim17ROCPRIM_400000_NS6detail17trampoline_kernelINS0_14default_configENS1_38merge_sort_block_merge_config_selectorIttEEZZNS1_27merge_sort_block_merge_implIS3_N6thrust23THRUST_200600_302600_NS6detail15normal_iteratorINS8_10device_ptrItEEEESD_jNS1_19radix_merge_compareILb0ELb0EtNS0_19identity_decomposerEEEEE10hipError_tT0_T1_T2_jT3_P12ihipStream_tbPNSt15iterator_traitsISI_E10value_typeEPNSO_ISJ_E10value_typeEPSK_NS1_7vsmem_tEENKUlT_SI_SJ_SK_E_clIPtSD_S10_SD_EESH_SX_SI_SJ_SK_EUlSX_E0_NS1_11comp_targetILNS1_3genE9ELNS1_11target_archE1100ELNS1_3gpuE3ELNS1_3repE0EEENS1_38merge_mergepath_config_static_selectorELNS0_4arch9wavefront6targetE1EEEvSJ_
    .private_segment_fixed_size: 0
    .sgpr_count:     6
    .sgpr_spill_count: 0
    .symbol:         _ZN7rocprim17ROCPRIM_400000_NS6detail17trampoline_kernelINS0_14default_configENS1_38merge_sort_block_merge_config_selectorIttEEZZNS1_27merge_sort_block_merge_implIS3_N6thrust23THRUST_200600_302600_NS6detail15normal_iteratorINS8_10device_ptrItEEEESD_jNS1_19radix_merge_compareILb0ELb0EtNS0_19identity_decomposerEEEEE10hipError_tT0_T1_T2_jT3_P12ihipStream_tbPNSt15iterator_traitsISI_E10value_typeEPNSO_ISJ_E10value_typeEPSK_NS1_7vsmem_tEENKUlT_SI_SJ_SK_E_clIPtSD_S10_SD_EESH_SX_SI_SJ_SK_EUlSX_E0_NS1_11comp_targetILNS1_3genE9ELNS1_11target_archE1100ELNS1_3gpuE3ELNS1_3repE0EEENS1_38merge_mergepath_config_static_selectorELNS0_4arch9wavefront6targetE1EEEvSJ_.kd
    .uniform_work_group_size: 1
    .uses_dynamic_stack: false
    .vgpr_count:     0
    .vgpr_spill_count: 0
    .wavefront_size: 64
  - .agpr_count:     0
    .args:
      - .offset:         0
        .size:           64
        .value_kind:     by_value
    .group_segment_fixed_size: 0
    .kernarg_segment_align: 8
    .kernarg_segment_size: 64
    .language:       OpenCL C
    .language_version:
      - 2
      - 0
    .max_flat_workgroup_size: 256
    .name:           _ZN7rocprim17ROCPRIM_400000_NS6detail17trampoline_kernelINS0_14default_configENS1_38merge_sort_block_merge_config_selectorIttEEZZNS1_27merge_sort_block_merge_implIS3_N6thrust23THRUST_200600_302600_NS6detail15normal_iteratorINS8_10device_ptrItEEEESD_jNS1_19radix_merge_compareILb0ELb0EtNS0_19identity_decomposerEEEEE10hipError_tT0_T1_T2_jT3_P12ihipStream_tbPNSt15iterator_traitsISI_E10value_typeEPNSO_ISJ_E10value_typeEPSK_NS1_7vsmem_tEENKUlT_SI_SJ_SK_E_clIPtSD_S10_SD_EESH_SX_SI_SJ_SK_EUlSX_E0_NS1_11comp_targetILNS1_3genE8ELNS1_11target_archE1030ELNS1_3gpuE2ELNS1_3repE0EEENS1_38merge_mergepath_config_static_selectorELNS0_4arch9wavefront6targetE1EEEvSJ_
    .private_segment_fixed_size: 0
    .sgpr_count:     6
    .sgpr_spill_count: 0
    .symbol:         _ZN7rocprim17ROCPRIM_400000_NS6detail17trampoline_kernelINS0_14default_configENS1_38merge_sort_block_merge_config_selectorIttEEZZNS1_27merge_sort_block_merge_implIS3_N6thrust23THRUST_200600_302600_NS6detail15normal_iteratorINS8_10device_ptrItEEEESD_jNS1_19radix_merge_compareILb0ELb0EtNS0_19identity_decomposerEEEEE10hipError_tT0_T1_T2_jT3_P12ihipStream_tbPNSt15iterator_traitsISI_E10value_typeEPNSO_ISJ_E10value_typeEPSK_NS1_7vsmem_tEENKUlT_SI_SJ_SK_E_clIPtSD_S10_SD_EESH_SX_SI_SJ_SK_EUlSX_E0_NS1_11comp_targetILNS1_3genE8ELNS1_11target_archE1030ELNS1_3gpuE2ELNS1_3repE0EEENS1_38merge_mergepath_config_static_selectorELNS0_4arch9wavefront6targetE1EEEvSJ_.kd
    .uniform_work_group_size: 1
    .uses_dynamic_stack: false
    .vgpr_count:     0
    .vgpr_spill_count: 0
    .wavefront_size: 64
  - .agpr_count:     0
    .args:
      - .offset:         0
        .size:           48
        .value_kind:     by_value
    .group_segment_fixed_size: 0
    .kernarg_segment_align: 8
    .kernarg_segment_size: 48
    .language:       OpenCL C
    .language_version:
      - 2
      - 0
    .max_flat_workgroup_size: 256
    .name:           _ZN7rocprim17ROCPRIM_400000_NS6detail17trampoline_kernelINS0_14default_configENS1_38merge_sort_block_merge_config_selectorIttEEZZNS1_27merge_sort_block_merge_implIS3_N6thrust23THRUST_200600_302600_NS6detail15normal_iteratorINS8_10device_ptrItEEEESD_jNS1_19radix_merge_compareILb0ELb0EtNS0_19identity_decomposerEEEEE10hipError_tT0_T1_T2_jT3_P12ihipStream_tbPNSt15iterator_traitsISI_E10value_typeEPNSO_ISJ_E10value_typeEPSK_NS1_7vsmem_tEENKUlT_SI_SJ_SK_E_clIPtSD_S10_SD_EESH_SX_SI_SJ_SK_EUlSX_E1_NS1_11comp_targetILNS1_3genE0ELNS1_11target_archE4294967295ELNS1_3gpuE0ELNS1_3repE0EEENS1_36merge_oddeven_config_static_selectorELNS0_4arch9wavefront6targetE1EEEvSJ_
    .private_segment_fixed_size: 0
    .sgpr_count:     30
    .sgpr_spill_count: 0
    .symbol:         _ZN7rocprim17ROCPRIM_400000_NS6detail17trampoline_kernelINS0_14default_configENS1_38merge_sort_block_merge_config_selectorIttEEZZNS1_27merge_sort_block_merge_implIS3_N6thrust23THRUST_200600_302600_NS6detail15normal_iteratorINS8_10device_ptrItEEEESD_jNS1_19radix_merge_compareILb0ELb0EtNS0_19identity_decomposerEEEEE10hipError_tT0_T1_T2_jT3_P12ihipStream_tbPNSt15iterator_traitsISI_E10value_typeEPNSO_ISJ_E10value_typeEPSK_NS1_7vsmem_tEENKUlT_SI_SJ_SK_E_clIPtSD_S10_SD_EESH_SX_SI_SJ_SK_EUlSX_E1_NS1_11comp_targetILNS1_3genE0ELNS1_11target_archE4294967295ELNS1_3gpuE0ELNS1_3repE0EEENS1_36merge_oddeven_config_static_selectorELNS0_4arch9wavefront6targetE1EEEvSJ_.kd
    .uniform_work_group_size: 1
    .uses_dynamic_stack: false
    .vgpr_count:     9
    .vgpr_spill_count: 0
    .wavefront_size: 64
  - .agpr_count:     0
    .args:
      - .offset:         0
        .size:           48
        .value_kind:     by_value
    .group_segment_fixed_size: 0
    .kernarg_segment_align: 8
    .kernarg_segment_size: 48
    .language:       OpenCL C
    .language_version:
      - 2
      - 0
    .max_flat_workgroup_size: 256
    .name:           _ZN7rocprim17ROCPRIM_400000_NS6detail17trampoline_kernelINS0_14default_configENS1_38merge_sort_block_merge_config_selectorIttEEZZNS1_27merge_sort_block_merge_implIS3_N6thrust23THRUST_200600_302600_NS6detail15normal_iteratorINS8_10device_ptrItEEEESD_jNS1_19radix_merge_compareILb0ELb0EtNS0_19identity_decomposerEEEEE10hipError_tT0_T1_T2_jT3_P12ihipStream_tbPNSt15iterator_traitsISI_E10value_typeEPNSO_ISJ_E10value_typeEPSK_NS1_7vsmem_tEENKUlT_SI_SJ_SK_E_clIPtSD_S10_SD_EESH_SX_SI_SJ_SK_EUlSX_E1_NS1_11comp_targetILNS1_3genE10ELNS1_11target_archE1201ELNS1_3gpuE5ELNS1_3repE0EEENS1_36merge_oddeven_config_static_selectorELNS0_4arch9wavefront6targetE1EEEvSJ_
    .private_segment_fixed_size: 0
    .sgpr_count:     6
    .sgpr_spill_count: 0
    .symbol:         _ZN7rocprim17ROCPRIM_400000_NS6detail17trampoline_kernelINS0_14default_configENS1_38merge_sort_block_merge_config_selectorIttEEZZNS1_27merge_sort_block_merge_implIS3_N6thrust23THRUST_200600_302600_NS6detail15normal_iteratorINS8_10device_ptrItEEEESD_jNS1_19radix_merge_compareILb0ELb0EtNS0_19identity_decomposerEEEEE10hipError_tT0_T1_T2_jT3_P12ihipStream_tbPNSt15iterator_traitsISI_E10value_typeEPNSO_ISJ_E10value_typeEPSK_NS1_7vsmem_tEENKUlT_SI_SJ_SK_E_clIPtSD_S10_SD_EESH_SX_SI_SJ_SK_EUlSX_E1_NS1_11comp_targetILNS1_3genE10ELNS1_11target_archE1201ELNS1_3gpuE5ELNS1_3repE0EEENS1_36merge_oddeven_config_static_selectorELNS0_4arch9wavefront6targetE1EEEvSJ_.kd
    .uniform_work_group_size: 1
    .uses_dynamic_stack: false
    .vgpr_count:     0
    .vgpr_spill_count: 0
    .wavefront_size: 64
  - .agpr_count:     0
    .args:
      - .offset:         0
        .size:           48
        .value_kind:     by_value
    .group_segment_fixed_size: 0
    .kernarg_segment_align: 8
    .kernarg_segment_size: 48
    .language:       OpenCL C
    .language_version:
      - 2
      - 0
    .max_flat_workgroup_size: 256
    .name:           _ZN7rocprim17ROCPRIM_400000_NS6detail17trampoline_kernelINS0_14default_configENS1_38merge_sort_block_merge_config_selectorIttEEZZNS1_27merge_sort_block_merge_implIS3_N6thrust23THRUST_200600_302600_NS6detail15normal_iteratorINS8_10device_ptrItEEEESD_jNS1_19radix_merge_compareILb0ELb0EtNS0_19identity_decomposerEEEEE10hipError_tT0_T1_T2_jT3_P12ihipStream_tbPNSt15iterator_traitsISI_E10value_typeEPNSO_ISJ_E10value_typeEPSK_NS1_7vsmem_tEENKUlT_SI_SJ_SK_E_clIPtSD_S10_SD_EESH_SX_SI_SJ_SK_EUlSX_E1_NS1_11comp_targetILNS1_3genE5ELNS1_11target_archE942ELNS1_3gpuE9ELNS1_3repE0EEENS1_36merge_oddeven_config_static_selectorELNS0_4arch9wavefront6targetE1EEEvSJ_
    .private_segment_fixed_size: 0
    .sgpr_count:     6
    .sgpr_spill_count: 0
    .symbol:         _ZN7rocprim17ROCPRIM_400000_NS6detail17trampoline_kernelINS0_14default_configENS1_38merge_sort_block_merge_config_selectorIttEEZZNS1_27merge_sort_block_merge_implIS3_N6thrust23THRUST_200600_302600_NS6detail15normal_iteratorINS8_10device_ptrItEEEESD_jNS1_19radix_merge_compareILb0ELb0EtNS0_19identity_decomposerEEEEE10hipError_tT0_T1_T2_jT3_P12ihipStream_tbPNSt15iterator_traitsISI_E10value_typeEPNSO_ISJ_E10value_typeEPSK_NS1_7vsmem_tEENKUlT_SI_SJ_SK_E_clIPtSD_S10_SD_EESH_SX_SI_SJ_SK_EUlSX_E1_NS1_11comp_targetILNS1_3genE5ELNS1_11target_archE942ELNS1_3gpuE9ELNS1_3repE0EEENS1_36merge_oddeven_config_static_selectorELNS0_4arch9wavefront6targetE1EEEvSJ_.kd
    .uniform_work_group_size: 1
    .uses_dynamic_stack: false
    .vgpr_count:     0
    .vgpr_spill_count: 0
    .wavefront_size: 64
  - .agpr_count:     0
    .args:
      - .offset:         0
        .size:           48
        .value_kind:     by_value
    .group_segment_fixed_size: 0
    .kernarg_segment_align: 8
    .kernarg_segment_size: 48
    .language:       OpenCL C
    .language_version:
      - 2
      - 0
    .max_flat_workgroup_size: 256
    .name:           _ZN7rocprim17ROCPRIM_400000_NS6detail17trampoline_kernelINS0_14default_configENS1_38merge_sort_block_merge_config_selectorIttEEZZNS1_27merge_sort_block_merge_implIS3_N6thrust23THRUST_200600_302600_NS6detail15normal_iteratorINS8_10device_ptrItEEEESD_jNS1_19radix_merge_compareILb0ELb0EtNS0_19identity_decomposerEEEEE10hipError_tT0_T1_T2_jT3_P12ihipStream_tbPNSt15iterator_traitsISI_E10value_typeEPNSO_ISJ_E10value_typeEPSK_NS1_7vsmem_tEENKUlT_SI_SJ_SK_E_clIPtSD_S10_SD_EESH_SX_SI_SJ_SK_EUlSX_E1_NS1_11comp_targetILNS1_3genE4ELNS1_11target_archE910ELNS1_3gpuE8ELNS1_3repE0EEENS1_36merge_oddeven_config_static_selectorELNS0_4arch9wavefront6targetE1EEEvSJ_
    .private_segment_fixed_size: 0
    .sgpr_count:     6
    .sgpr_spill_count: 0
    .symbol:         _ZN7rocprim17ROCPRIM_400000_NS6detail17trampoline_kernelINS0_14default_configENS1_38merge_sort_block_merge_config_selectorIttEEZZNS1_27merge_sort_block_merge_implIS3_N6thrust23THRUST_200600_302600_NS6detail15normal_iteratorINS8_10device_ptrItEEEESD_jNS1_19radix_merge_compareILb0ELb0EtNS0_19identity_decomposerEEEEE10hipError_tT0_T1_T2_jT3_P12ihipStream_tbPNSt15iterator_traitsISI_E10value_typeEPNSO_ISJ_E10value_typeEPSK_NS1_7vsmem_tEENKUlT_SI_SJ_SK_E_clIPtSD_S10_SD_EESH_SX_SI_SJ_SK_EUlSX_E1_NS1_11comp_targetILNS1_3genE4ELNS1_11target_archE910ELNS1_3gpuE8ELNS1_3repE0EEENS1_36merge_oddeven_config_static_selectorELNS0_4arch9wavefront6targetE1EEEvSJ_.kd
    .uniform_work_group_size: 1
    .uses_dynamic_stack: false
    .vgpr_count:     0
    .vgpr_spill_count: 0
    .wavefront_size: 64
  - .agpr_count:     0
    .args:
      - .offset:         0
        .size:           48
        .value_kind:     by_value
    .group_segment_fixed_size: 0
    .kernarg_segment_align: 8
    .kernarg_segment_size: 48
    .language:       OpenCL C
    .language_version:
      - 2
      - 0
    .max_flat_workgroup_size: 256
    .name:           _ZN7rocprim17ROCPRIM_400000_NS6detail17trampoline_kernelINS0_14default_configENS1_38merge_sort_block_merge_config_selectorIttEEZZNS1_27merge_sort_block_merge_implIS3_N6thrust23THRUST_200600_302600_NS6detail15normal_iteratorINS8_10device_ptrItEEEESD_jNS1_19radix_merge_compareILb0ELb0EtNS0_19identity_decomposerEEEEE10hipError_tT0_T1_T2_jT3_P12ihipStream_tbPNSt15iterator_traitsISI_E10value_typeEPNSO_ISJ_E10value_typeEPSK_NS1_7vsmem_tEENKUlT_SI_SJ_SK_E_clIPtSD_S10_SD_EESH_SX_SI_SJ_SK_EUlSX_E1_NS1_11comp_targetILNS1_3genE3ELNS1_11target_archE908ELNS1_3gpuE7ELNS1_3repE0EEENS1_36merge_oddeven_config_static_selectorELNS0_4arch9wavefront6targetE1EEEvSJ_
    .private_segment_fixed_size: 0
    .sgpr_count:     6
    .sgpr_spill_count: 0
    .symbol:         _ZN7rocprim17ROCPRIM_400000_NS6detail17trampoline_kernelINS0_14default_configENS1_38merge_sort_block_merge_config_selectorIttEEZZNS1_27merge_sort_block_merge_implIS3_N6thrust23THRUST_200600_302600_NS6detail15normal_iteratorINS8_10device_ptrItEEEESD_jNS1_19radix_merge_compareILb0ELb0EtNS0_19identity_decomposerEEEEE10hipError_tT0_T1_T2_jT3_P12ihipStream_tbPNSt15iterator_traitsISI_E10value_typeEPNSO_ISJ_E10value_typeEPSK_NS1_7vsmem_tEENKUlT_SI_SJ_SK_E_clIPtSD_S10_SD_EESH_SX_SI_SJ_SK_EUlSX_E1_NS1_11comp_targetILNS1_3genE3ELNS1_11target_archE908ELNS1_3gpuE7ELNS1_3repE0EEENS1_36merge_oddeven_config_static_selectorELNS0_4arch9wavefront6targetE1EEEvSJ_.kd
    .uniform_work_group_size: 1
    .uses_dynamic_stack: false
    .vgpr_count:     0
    .vgpr_spill_count: 0
    .wavefront_size: 64
  - .agpr_count:     0
    .args:
      - .offset:         0
        .size:           48
        .value_kind:     by_value
    .group_segment_fixed_size: 0
    .kernarg_segment_align: 8
    .kernarg_segment_size: 48
    .language:       OpenCL C
    .language_version:
      - 2
      - 0
    .max_flat_workgroup_size: 256
    .name:           _ZN7rocprim17ROCPRIM_400000_NS6detail17trampoline_kernelINS0_14default_configENS1_38merge_sort_block_merge_config_selectorIttEEZZNS1_27merge_sort_block_merge_implIS3_N6thrust23THRUST_200600_302600_NS6detail15normal_iteratorINS8_10device_ptrItEEEESD_jNS1_19radix_merge_compareILb0ELb0EtNS0_19identity_decomposerEEEEE10hipError_tT0_T1_T2_jT3_P12ihipStream_tbPNSt15iterator_traitsISI_E10value_typeEPNSO_ISJ_E10value_typeEPSK_NS1_7vsmem_tEENKUlT_SI_SJ_SK_E_clIPtSD_S10_SD_EESH_SX_SI_SJ_SK_EUlSX_E1_NS1_11comp_targetILNS1_3genE2ELNS1_11target_archE906ELNS1_3gpuE6ELNS1_3repE0EEENS1_36merge_oddeven_config_static_selectorELNS0_4arch9wavefront6targetE1EEEvSJ_
    .private_segment_fixed_size: 0
    .sgpr_count:     6
    .sgpr_spill_count: 0
    .symbol:         _ZN7rocprim17ROCPRIM_400000_NS6detail17trampoline_kernelINS0_14default_configENS1_38merge_sort_block_merge_config_selectorIttEEZZNS1_27merge_sort_block_merge_implIS3_N6thrust23THRUST_200600_302600_NS6detail15normal_iteratorINS8_10device_ptrItEEEESD_jNS1_19radix_merge_compareILb0ELb0EtNS0_19identity_decomposerEEEEE10hipError_tT0_T1_T2_jT3_P12ihipStream_tbPNSt15iterator_traitsISI_E10value_typeEPNSO_ISJ_E10value_typeEPSK_NS1_7vsmem_tEENKUlT_SI_SJ_SK_E_clIPtSD_S10_SD_EESH_SX_SI_SJ_SK_EUlSX_E1_NS1_11comp_targetILNS1_3genE2ELNS1_11target_archE906ELNS1_3gpuE6ELNS1_3repE0EEENS1_36merge_oddeven_config_static_selectorELNS0_4arch9wavefront6targetE1EEEvSJ_.kd
    .uniform_work_group_size: 1
    .uses_dynamic_stack: false
    .vgpr_count:     0
    .vgpr_spill_count: 0
    .wavefront_size: 64
  - .agpr_count:     0
    .args:
      - .offset:         0
        .size:           48
        .value_kind:     by_value
    .group_segment_fixed_size: 0
    .kernarg_segment_align: 8
    .kernarg_segment_size: 48
    .language:       OpenCL C
    .language_version:
      - 2
      - 0
    .max_flat_workgroup_size: 256
    .name:           _ZN7rocprim17ROCPRIM_400000_NS6detail17trampoline_kernelINS0_14default_configENS1_38merge_sort_block_merge_config_selectorIttEEZZNS1_27merge_sort_block_merge_implIS3_N6thrust23THRUST_200600_302600_NS6detail15normal_iteratorINS8_10device_ptrItEEEESD_jNS1_19radix_merge_compareILb0ELb0EtNS0_19identity_decomposerEEEEE10hipError_tT0_T1_T2_jT3_P12ihipStream_tbPNSt15iterator_traitsISI_E10value_typeEPNSO_ISJ_E10value_typeEPSK_NS1_7vsmem_tEENKUlT_SI_SJ_SK_E_clIPtSD_S10_SD_EESH_SX_SI_SJ_SK_EUlSX_E1_NS1_11comp_targetILNS1_3genE9ELNS1_11target_archE1100ELNS1_3gpuE3ELNS1_3repE0EEENS1_36merge_oddeven_config_static_selectorELNS0_4arch9wavefront6targetE1EEEvSJ_
    .private_segment_fixed_size: 0
    .sgpr_count:     6
    .sgpr_spill_count: 0
    .symbol:         _ZN7rocprim17ROCPRIM_400000_NS6detail17trampoline_kernelINS0_14default_configENS1_38merge_sort_block_merge_config_selectorIttEEZZNS1_27merge_sort_block_merge_implIS3_N6thrust23THRUST_200600_302600_NS6detail15normal_iteratorINS8_10device_ptrItEEEESD_jNS1_19radix_merge_compareILb0ELb0EtNS0_19identity_decomposerEEEEE10hipError_tT0_T1_T2_jT3_P12ihipStream_tbPNSt15iterator_traitsISI_E10value_typeEPNSO_ISJ_E10value_typeEPSK_NS1_7vsmem_tEENKUlT_SI_SJ_SK_E_clIPtSD_S10_SD_EESH_SX_SI_SJ_SK_EUlSX_E1_NS1_11comp_targetILNS1_3genE9ELNS1_11target_archE1100ELNS1_3gpuE3ELNS1_3repE0EEENS1_36merge_oddeven_config_static_selectorELNS0_4arch9wavefront6targetE1EEEvSJ_.kd
    .uniform_work_group_size: 1
    .uses_dynamic_stack: false
    .vgpr_count:     0
    .vgpr_spill_count: 0
    .wavefront_size: 64
  - .agpr_count:     0
    .args:
      - .offset:         0
        .size:           48
        .value_kind:     by_value
    .group_segment_fixed_size: 0
    .kernarg_segment_align: 8
    .kernarg_segment_size: 48
    .language:       OpenCL C
    .language_version:
      - 2
      - 0
    .max_flat_workgroup_size: 256
    .name:           _ZN7rocprim17ROCPRIM_400000_NS6detail17trampoline_kernelINS0_14default_configENS1_38merge_sort_block_merge_config_selectorIttEEZZNS1_27merge_sort_block_merge_implIS3_N6thrust23THRUST_200600_302600_NS6detail15normal_iteratorINS8_10device_ptrItEEEESD_jNS1_19radix_merge_compareILb0ELb0EtNS0_19identity_decomposerEEEEE10hipError_tT0_T1_T2_jT3_P12ihipStream_tbPNSt15iterator_traitsISI_E10value_typeEPNSO_ISJ_E10value_typeEPSK_NS1_7vsmem_tEENKUlT_SI_SJ_SK_E_clIPtSD_S10_SD_EESH_SX_SI_SJ_SK_EUlSX_E1_NS1_11comp_targetILNS1_3genE8ELNS1_11target_archE1030ELNS1_3gpuE2ELNS1_3repE0EEENS1_36merge_oddeven_config_static_selectorELNS0_4arch9wavefront6targetE1EEEvSJ_
    .private_segment_fixed_size: 0
    .sgpr_count:     6
    .sgpr_spill_count: 0
    .symbol:         _ZN7rocprim17ROCPRIM_400000_NS6detail17trampoline_kernelINS0_14default_configENS1_38merge_sort_block_merge_config_selectorIttEEZZNS1_27merge_sort_block_merge_implIS3_N6thrust23THRUST_200600_302600_NS6detail15normal_iteratorINS8_10device_ptrItEEEESD_jNS1_19radix_merge_compareILb0ELb0EtNS0_19identity_decomposerEEEEE10hipError_tT0_T1_T2_jT3_P12ihipStream_tbPNSt15iterator_traitsISI_E10value_typeEPNSO_ISJ_E10value_typeEPSK_NS1_7vsmem_tEENKUlT_SI_SJ_SK_E_clIPtSD_S10_SD_EESH_SX_SI_SJ_SK_EUlSX_E1_NS1_11comp_targetILNS1_3genE8ELNS1_11target_archE1030ELNS1_3gpuE2ELNS1_3repE0EEENS1_36merge_oddeven_config_static_selectorELNS0_4arch9wavefront6targetE1EEEvSJ_.kd
    .uniform_work_group_size: 1
    .uses_dynamic_stack: false
    .vgpr_count:     0
    .vgpr_spill_count: 0
    .wavefront_size: 64
  - .agpr_count:     0
    .args:
      - .offset:         0
        .size:           40
        .value_kind:     by_value
    .group_segment_fixed_size: 0
    .kernarg_segment_align: 8
    .kernarg_segment_size: 40
    .language:       OpenCL C
    .language_version:
      - 2
      - 0
    .max_flat_workgroup_size: 128
    .name:           _ZN7rocprim17ROCPRIM_400000_NS6detail17trampoline_kernelINS0_14default_configENS1_38merge_sort_block_merge_config_selectorIttEEZZNS1_27merge_sort_block_merge_implIS3_N6thrust23THRUST_200600_302600_NS6detail15normal_iteratorINS8_10device_ptrItEEEESD_jNS1_19radix_merge_compareILb0ELb0EtNS0_19identity_decomposerEEEEE10hipError_tT0_T1_T2_jT3_P12ihipStream_tbPNSt15iterator_traitsISI_E10value_typeEPNSO_ISJ_E10value_typeEPSK_NS1_7vsmem_tEENKUlT_SI_SJ_SK_E_clISD_PtSD_S10_EESH_SX_SI_SJ_SK_EUlSX_E_NS1_11comp_targetILNS1_3genE0ELNS1_11target_archE4294967295ELNS1_3gpuE0ELNS1_3repE0EEENS1_48merge_mergepath_partition_config_static_selectorELNS0_4arch9wavefront6targetE1EEEvSJ_
    .private_segment_fixed_size: 0
    .sgpr_count:     14
    .sgpr_spill_count: 0
    .symbol:         _ZN7rocprim17ROCPRIM_400000_NS6detail17trampoline_kernelINS0_14default_configENS1_38merge_sort_block_merge_config_selectorIttEEZZNS1_27merge_sort_block_merge_implIS3_N6thrust23THRUST_200600_302600_NS6detail15normal_iteratorINS8_10device_ptrItEEEESD_jNS1_19radix_merge_compareILb0ELb0EtNS0_19identity_decomposerEEEEE10hipError_tT0_T1_T2_jT3_P12ihipStream_tbPNSt15iterator_traitsISI_E10value_typeEPNSO_ISJ_E10value_typeEPSK_NS1_7vsmem_tEENKUlT_SI_SJ_SK_E_clISD_PtSD_S10_EESH_SX_SI_SJ_SK_EUlSX_E_NS1_11comp_targetILNS1_3genE0ELNS1_11target_archE4294967295ELNS1_3gpuE0ELNS1_3repE0EEENS1_48merge_mergepath_partition_config_static_selectorELNS0_4arch9wavefront6targetE1EEEvSJ_.kd
    .uniform_work_group_size: 1
    .uses_dynamic_stack: false
    .vgpr_count:     17
    .vgpr_spill_count: 0
    .wavefront_size: 64
  - .agpr_count:     0
    .args:
      - .offset:         0
        .size:           40
        .value_kind:     by_value
    .group_segment_fixed_size: 0
    .kernarg_segment_align: 8
    .kernarg_segment_size: 40
    .language:       OpenCL C
    .language_version:
      - 2
      - 0
    .max_flat_workgroup_size: 128
    .name:           _ZN7rocprim17ROCPRIM_400000_NS6detail17trampoline_kernelINS0_14default_configENS1_38merge_sort_block_merge_config_selectorIttEEZZNS1_27merge_sort_block_merge_implIS3_N6thrust23THRUST_200600_302600_NS6detail15normal_iteratorINS8_10device_ptrItEEEESD_jNS1_19radix_merge_compareILb0ELb0EtNS0_19identity_decomposerEEEEE10hipError_tT0_T1_T2_jT3_P12ihipStream_tbPNSt15iterator_traitsISI_E10value_typeEPNSO_ISJ_E10value_typeEPSK_NS1_7vsmem_tEENKUlT_SI_SJ_SK_E_clISD_PtSD_S10_EESH_SX_SI_SJ_SK_EUlSX_E_NS1_11comp_targetILNS1_3genE10ELNS1_11target_archE1201ELNS1_3gpuE5ELNS1_3repE0EEENS1_48merge_mergepath_partition_config_static_selectorELNS0_4arch9wavefront6targetE1EEEvSJ_
    .private_segment_fixed_size: 0
    .sgpr_count:     6
    .sgpr_spill_count: 0
    .symbol:         _ZN7rocprim17ROCPRIM_400000_NS6detail17trampoline_kernelINS0_14default_configENS1_38merge_sort_block_merge_config_selectorIttEEZZNS1_27merge_sort_block_merge_implIS3_N6thrust23THRUST_200600_302600_NS6detail15normal_iteratorINS8_10device_ptrItEEEESD_jNS1_19radix_merge_compareILb0ELb0EtNS0_19identity_decomposerEEEEE10hipError_tT0_T1_T2_jT3_P12ihipStream_tbPNSt15iterator_traitsISI_E10value_typeEPNSO_ISJ_E10value_typeEPSK_NS1_7vsmem_tEENKUlT_SI_SJ_SK_E_clISD_PtSD_S10_EESH_SX_SI_SJ_SK_EUlSX_E_NS1_11comp_targetILNS1_3genE10ELNS1_11target_archE1201ELNS1_3gpuE5ELNS1_3repE0EEENS1_48merge_mergepath_partition_config_static_selectorELNS0_4arch9wavefront6targetE1EEEvSJ_.kd
    .uniform_work_group_size: 1
    .uses_dynamic_stack: false
    .vgpr_count:     0
    .vgpr_spill_count: 0
    .wavefront_size: 64
  - .agpr_count:     0
    .args:
      - .offset:         0
        .size:           40
        .value_kind:     by_value
    .group_segment_fixed_size: 0
    .kernarg_segment_align: 8
    .kernarg_segment_size: 40
    .language:       OpenCL C
    .language_version:
      - 2
      - 0
    .max_flat_workgroup_size: 128
    .name:           _ZN7rocprim17ROCPRIM_400000_NS6detail17trampoline_kernelINS0_14default_configENS1_38merge_sort_block_merge_config_selectorIttEEZZNS1_27merge_sort_block_merge_implIS3_N6thrust23THRUST_200600_302600_NS6detail15normal_iteratorINS8_10device_ptrItEEEESD_jNS1_19radix_merge_compareILb0ELb0EtNS0_19identity_decomposerEEEEE10hipError_tT0_T1_T2_jT3_P12ihipStream_tbPNSt15iterator_traitsISI_E10value_typeEPNSO_ISJ_E10value_typeEPSK_NS1_7vsmem_tEENKUlT_SI_SJ_SK_E_clISD_PtSD_S10_EESH_SX_SI_SJ_SK_EUlSX_E_NS1_11comp_targetILNS1_3genE5ELNS1_11target_archE942ELNS1_3gpuE9ELNS1_3repE0EEENS1_48merge_mergepath_partition_config_static_selectorELNS0_4arch9wavefront6targetE1EEEvSJ_
    .private_segment_fixed_size: 0
    .sgpr_count:     6
    .sgpr_spill_count: 0
    .symbol:         _ZN7rocprim17ROCPRIM_400000_NS6detail17trampoline_kernelINS0_14default_configENS1_38merge_sort_block_merge_config_selectorIttEEZZNS1_27merge_sort_block_merge_implIS3_N6thrust23THRUST_200600_302600_NS6detail15normal_iteratorINS8_10device_ptrItEEEESD_jNS1_19radix_merge_compareILb0ELb0EtNS0_19identity_decomposerEEEEE10hipError_tT0_T1_T2_jT3_P12ihipStream_tbPNSt15iterator_traitsISI_E10value_typeEPNSO_ISJ_E10value_typeEPSK_NS1_7vsmem_tEENKUlT_SI_SJ_SK_E_clISD_PtSD_S10_EESH_SX_SI_SJ_SK_EUlSX_E_NS1_11comp_targetILNS1_3genE5ELNS1_11target_archE942ELNS1_3gpuE9ELNS1_3repE0EEENS1_48merge_mergepath_partition_config_static_selectorELNS0_4arch9wavefront6targetE1EEEvSJ_.kd
    .uniform_work_group_size: 1
    .uses_dynamic_stack: false
    .vgpr_count:     0
    .vgpr_spill_count: 0
    .wavefront_size: 64
  - .agpr_count:     0
    .args:
      - .offset:         0
        .size:           40
        .value_kind:     by_value
    .group_segment_fixed_size: 0
    .kernarg_segment_align: 8
    .kernarg_segment_size: 40
    .language:       OpenCL C
    .language_version:
      - 2
      - 0
    .max_flat_workgroup_size: 128
    .name:           _ZN7rocprim17ROCPRIM_400000_NS6detail17trampoline_kernelINS0_14default_configENS1_38merge_sort_block_merge_config_selectorIttEEZZNS1_27merge_sort_block_merge_implIS3_N6thrust23THRUST_200600_302600_NS6detail15normal_iteratorINS8_10device_ptrItEEEESD_jNS1_19radix_merge_compareILb0ELb0EtNS0_19identity_decomposerEEEEE10hipError_tT0_T1_T2_jT3_P12ihipStream_tbPNSt15iterator_traitsISI_E10value_typeEPNSO_ISJ_E10value_typeEPSK_NS1_7vsmem_tEENKUlT_SI_SJ_SK_E_clISD_PtSD_S10_EESH_SX_SI_SJ_SK_EUlSX_E_NS1_11comp_targetILNS1_3genE4ELNS1_11target_archE910ELNS1_3gpuE8ELNS1_3repE0EEENS1_48merge_mergepath_partition_config_static_selectorELNS0_4arch9wavefront6targetE1EEEvSJ_
    .private_segment_fixed_size: 0
    .sgpr_count:     6
    .sgpr_spill_count: 0
    .symbol:         _ZN7rocprim17ROCPRIM_400000_NS6detail17trampoline_kernelINS0_14default_configENS1_38merge_sort_block_merge_config_selectorIttEEZZNS1_27merge_sort_block_merge_implIS3_N6thrust23THRUST_200600_302600_NS6detail15normal_iteratorINS8_10device_ptrItEEEESD_jNS1_19radix_merge_compareILb0ELb0EtNS0_19identity_decomposerEEEEE10hipError_tT0_T1_T2_jT3_P12ihipStream_tbPNSt15iterator_traitsISI_E10value_typeEPNSO_ISJ_E10value_typeEPSK_NS1_7vsmem_tEENKUlT_SI_SJ_SK_E_clISD_PtSD_S10_EESH_SX_SI_SJ_SK_EUlSX_E_NS1_11comp_targetILNS1_3genE4ELNS1_11target_archE910ELNS1_3gpuE8ELNS1_3repE0EEENS1_48merge_mergepath_partition_config_static_selectorELNS0_4arch9wavefront6targetE1EEEvSJ_.kd
    .uniform_work_group_size: 1
    .uses_dynamic_stack: false
    .vgpr_count:     0
    .vgpr_spill_count: 0
    .wavefront_size: 64
  - .agpr_count:     0
    .args:
      - .offset:         0
        .size:           40
        .value_kind:     by_value
    .group_segment_fixed_size: 0
    .kernarg_segment_align: 8
    .kernarg_segment_size: 40
    .language:       OpenCL C
    .language_version:
      - 2
      - 0
    .max_flat_workgroup_size: 128
    .name:           _ZN7rocprim17ROCPRIM_400000_NS6detail17trampoline_kernelINS0_14default_configENS1_38merge_sort_block_merge_config_selectorIttEEZZNS1_27merge_sort_block_merge_implIS3_N6thrust23THRUST_200600_302600_NS6detail15normal_iteratorINS8_10device_ptrItEEEESD_jNS1_19radix_merge_compareILb0ELb0EtNS0_19identity_decomposerEEEEE10hipError_tT0_T1_T2_jT3_P12ihipStream_tbPNSt15iterator_traitsISI_E10value_typeEPNSO_ISJ_E10value_typeEPSK_NS1_7vsmem_tEENKUlT_SI_SJ_SK_E_clISD_PtSD_S10_EESH_SX_SI_SJ_SK_EUlSX_E_NS1_11comp_targetILNS1_3genE3ELNS1_11target_archE908ELNS1_3gpuE7ELNS1_3repE0EEENS1_48merge_mergepath_partition_config_static_selectorELNS0_4arch9wavefront6targetE1EEEvSJ_
    .private_segment_fixed_size: 0
    .sgpr_count:     6
    .sgpr_spill_count: 0
    .symbol:         _ZN7rocprim17ROCPRIM_400000_NS6detail17trampoline_kernelINS0_14default_configENS1_38merge_sort_block_merge_config_selectorIttEEZZNS1_27merge_sort_block_merge_implIS3_N6thrust23THRUST_200600_302600_NS6detail15normal_iteratorINS8_10device_ptrItEEEESD_jNS1_19radix_merge_compareILb0ELb0EtNS0_19identity_decomposerEEEEE10hipError_tT0_T1_T2_jT3_P12ihipStream_tbPNSt15iterator_traitsISI_E10value_typeEPNSO_ISJ_E10value_typeEPSK_NS1_7vsmem_tEENKUlT_SI_SJ_SK_E_clISD_PtSD_S10_EESH_SX_SI_SJ_SK_EUlSX_E_NS1_11comp_targetILNS1_3genE3ELNS1_11target_archE908ELNS1_3gpuE7ELNS1_3repE0EEENS1_48merge_mergepath_partition_config_static_selectorELNS0_4arch9wavefront6targetE1EEEvSJ_.kd
    .uniform_work_group_size: 1
    .uses_dynamic_stack: false
    .vgpr_count:     0
    .vgpr_spill_count: 0
    .wavefront_size: 64
  - .agpr_count:     0
    .args:
      - .offset:         0
        .size:           40
        .value_kind:     by_value
    .group_segment_fixed_size: 0
    .kernarg_segment_align: 8
    .kernarg_segment_size: 40
    .language:       OpenCL C
    .language_version:
      - 2
      - 0
    .max_flat_workgroup_size: 128
    .name:           _ZN7rocprim17ROCPRIM_400000_NS6detail17trampoline_kernelINS0_14default_configENS1_38merge_sort_block_merge_config_selectorIttEEZZNS1_27merge_sort_block_merge_implIS3_N6thrust23THRUST_200600_302600_NS6detail15normal_iteratorINS8_10device_ptrItEEEESD_jNS1_19radix_merge_compareILb0ELb0EtNS0_19identity_decomposerEEEEE10hipError_tT0_T1_T2_jT3_P12ihipStream_tbPNSt15iterator_traitsISI_E10value_typeEPNSO_ISJ_E10value_typeEPSK_NS1_7vsmem_tEENKUlT_SI_SJ_SK_E_clISD_PtSD_S10_EESH_SX_SI_SJ_SK_EUlSX_E_NS1_11comp_targetILNS1_3genE2ELNS1_11target_archE906ELNS1_3gpuE6ELNS1_3repE0EEENS1_48merge_mergepath_partition_config_static_selectorELNS0_4arch9wavefront6targetE1EEEvSJ_
    .private_segment_fixed_size: 0
    .sgpr_count:     6
    .sgpr_spill_count: 0
    .symbol:         _ZN7rocprim17ROCPRIM_400000_NS6detail17trampoline_kernelINS0_14default_configENS1_38merge_sort_block_merge_config_selectorIttEEZZNS1_27merge_sort_block_merge_implIS3_N6thrust23THRUST_200600_302600_NS6detail15normal_iteratorINS8_10device_ptrItEEEESD_jNS1_19radix_merge_compareILb0ELb0EtNS0_19identity_decomposerEEEEE10hipError_tT0_T1_T2_jT3_P12ihipStream_tbPNSt15iterator_traitsISI_E10value_typeEPNSO_ISJ_E10value_typeEPSK_NS1_7vsmem_tEENKUlT_SI_SJ_SK_E_clISD_PtSD_S10_EESH_SX_SI_SJ_SK_EUlSX_E_NS1_11comp_targetILNS1_3genE2ELNS1_11target_archE906ELNS1_3gpuE6ELNS1_3repE0EEENS1_48merge_mergepath_partition_config_static_selectorELNS0_4arch9wavefront6targetE1EEEvSJ_.kd
    .uniform_work_group_size: 1
    .uses_dynamic_stack: false
    .vgpr_count:     0
    .vgpr_spill_count: 0
    .wavefront_size: 64
  - .agpr_count:     0
    .args:
      - .offset:         0
        .size:           40
        .value_kind:     by_value
    .group_segment_fixed_size: 0
    .kernarg_segment_align: 8
    .kernarg_segment_size: 40
    .language:       OpenCL C
    .language_version:
      - 2
      - 0
    .max_flat_workgroup_size: 128
    .name:           _ZN7rocprim17ROCPRIM_400000_NS6detail17trampoline_kernelINS0_14default_configENS1_38merge_sort_block_merge_config_selectorIttEEZZNS1_27merge_sort_block_merge_implIS3_N6thrust23THRUST_200600_302600_NS6detail15normal_iteratorINS8_10device_ptrItEEEESD_jNS1_19radix_merge_compareILb0ELb0EtNS0_19identity_decomposerEEEEE10hipError_tT0_T1_T2_jT3_P12ihipStream_tbPNSt15iterator_traitsISI_E10value_typeEPNSO_ISJ_E10value_typeEPSK_NS1_7vsmem_tEENKUlT_SI_SJ_SK_E_clISD_PtSD_S10_EESH_SX_SI_SJ_SK_EUlSX_E_NS1_11comp_targetILNS1_3genE9ELNS1_11target_archE1100ELNS1_3gpuE3ELNS1_3repE0EEENS1_48merge_mergepath_partition_config_static_selectorELNS0_4arch9wavefront6targetE1EEEvSJ_
    .private_segment_fixed_size: 0
    .sgpr_count:     6
    .sgpr_spill_count: 0
    .symbol:         _ZN7rocprim17ROCPRIM_400000_NS6detail17trampoline_kernelINS0_14default_configENS1_38merge_sort_block_merge_config_selectorIttEEZZNS1_27merge_sort_block_merge_implIS3_N6thrust23THRUST_200600_302600_NS6detail15normal_iteratorINS8_10device_ptrItEEEESD_jNS1_19radix_merge_compareILb0ELb0EtNS0_19identity_decomposerEEEEE10hipError_tT0_T1_T2_jT3_P12ihipStream_tbPNSt15iterator_traitsISI_E10value_typeEPNSO_ISJ_E10value_typeEPSK_NS1_7vsmem_tEENKUlT_SI_SJ_SK_E_clISD_PtSD_S10_EESH_SX_SI_SJ_SK_EUlSX_E_NS1_11comp_targetILNS1_3genE9ELNS1_11target_archE1100ELNS1_3gpuE3ELNS1_3repE0EEENS1_48merge_mergepath_partition_config_static_selectorELNS0_4arch9wavefront6targetE1EEEvSJ_.kd
    .uniform_work_group_size: 1
    .uses_dynamic_stack: false
    .vgpr_count:     0
    .vgpr_spill_count: 0
    .wavefront_size: 64
  - .agpr_count:     0
    .args:
      - .offset:         0
        .size:           40
        .value_kind:     by_value
    .group_segment_fixed_size: 0
    .kernarg_segment_align: 8
    .kernarg_segment_size: 40
    .language:       OpenCL C
    .language_version:
      - 2
      - 0
    .max_flat_workgroup_size: 128
    .name:           _ZN7rocprim17ROCPRIM_400000_NS6detail17trampoline_kernelINS0_14default_configENS1_38merge_sort_block_merge_config_selectorIttEEZZNS1_27merge_sort_block_merge_implIS3_N6thrust23THRUST_200600_302600_NS6detail15normal_iteratorINS8_10device_ptrItEEEESD_jNS1_19radix_merge_compareILb0ELb0EtNS0_19identity_decomposerEEEEE10hipError_tT0_T1_T2_jT3_P12ihipStream_tbPNSt15iterator_traitsISI_E10value_typeEPNSO_ISJ_E10value_typeEPSK_NS1_7vsmem_tEENKUlT_SI_SJ_SK_E_clISD_PtSD_S10_EESH_SX_SI_SJ_SK_EUlSX_E_NS1_11comp_targetILNS1_3genE8ELNS1_11target_archE1030ELNS1_3gpuE2ELNS1_3repE0EEENS1_48merge_mergepath_partition_config_static_selectorELNS0_4arch9wavefront6targetE1EEEvSJ_
    .private_segment_fixed_size: 0
    .sgpr_count:     6
    .sgpr_spill_count: 0
    .symbol:         _ZN7rocprim17ROCPRIM_400000_NS6detail17trampoline_kernelINS0_14default_configENS1_38merge_sort_block_merge_config_selectorIttEEZZNS1_27merge_sort_block_merge_implIS3_N6thrust23THRUST_200600_302600_NS6detail15normal_iteratorINS8_10device_ptrItEEEESD_jNS1_19radix_merge_compareILb0ELb0EtNS0_19identity_decomposerEEEEE10hipError_tT0_T1_T2_jT3_P12ihipStream_tbPNSt15iterator_traitsISI_E10value_typeEPNSO_ISJ_E10value_typeEPSK_NS1_7vsmem_tEENKUlT_SI_SJ_SK_E_clISD_PtSD_S10_EESH_SX_SI_SJ_SK_EUlSX_E_NS1_11comp_targetILNS1_3genE8ELNS1_11target_archE1030ELNS1_3gpuE2ELNS1_3repE0EEENS1_48merge_mergepath_partition_config_static_selectorELNS0_4arch9wavefront6targetE1EEEvSJ_.kd
    .uniform_work_group_size: 1
    .uses_dynamic_stack: false
    .vgpr_count:     0
    .vgpr_spill_count: 0
    .wavefront_size: 64
  - .agpr_count:     0
    .args:
      - .offset:         0
        .size:           64
        .value_kind:     by_value
      - .offset:         64
        .size:           4
        .value_kind:     hidden_block_count_x
      - .offset:         68
        .size:           4
        .value_kind:     hidden_block_count_y
      - .offset:         72
        .size:           4
        .value_kind:     hidden_block_count_z
      - .offset:         76
        .size:           2
        .value_kind:     hidden_group_size_x
      - .offset:         78
        .size:           2
        .value_kind:     hidden_group_size_y
      - .offset:         80
        .size:           2
        .value_kind:     hidden_group_size_z
      - .offset:         82
        .size:           2
        .value_kind:     hidden_remainder_x
      - .offset:         84
        .size:           2
        .value_kind:     hidden_remainder_y
      - .offset:         86
        .size:           2
        .value_kind:     hidden_remainder_z
      - .offset:         104
        .size:           8
        .value_kind:     hidden_global_offset_x
      - .offset:         112
        .size:           8
        .value_kind:     hidden_global_offset_y
      - .offset:         120
        .size:           8
        .value_kind:     hidden_global_offset_z
      - .offset:         128
        .size:           2
        .value_kind:     hidden_grid_dims
    .group_segment_fixed_size: 2112
    .kernarg_segment_align: 8
    .kernarg_segment_size: 320
    .language:       OpenCL C
    .language_version:
      - 2
      - 0
    .max_flat_workgroup_size: 128
    .name:           _ZN7rocprim17ROCPRIM_400000_NS6detail17trampoline_kernelINS0_14default_configENS1_38merge_sort_block_merge_config_selectorIttEEZZNS1_27merge_sort_block_merge_implIS3_N6thrust23THRUST_200600_302600_NS6detail15normal_iteratorINS8_10device_ptrItEEEESD_jNS1_19radix_merge_compareILb0ELb0EtNS0_19identity_decomposerEEEEE10hipError_tT0_T1_T2_jT3_P12ihipStream_tbPNSt15iterator_traitsISI_E10value_typeEPNSO_ISJ_E10value_typeEPSK_NS1_7vsmem_tEENKUlT_SI_SJ_SK_E_clISD_PtSD_S10_EESH_SX_SI_SJ_SK_EUlSX_E0_NS1_11comp_targetILNS1_3genE0ELNS1_11target_archE4294967295ELNS1_3gpuE0ELNS1_3repE0EEENS1_38merge_mergepath_config_static_selectorELNS0_4arch9wavefront6targetE1EEEvSJ_
    .private_segment_fixed_size: 0
    .sgpr_count:     36
    .sgpr_spill_count: 0
    .symbol:         _ZN7rocprim17ROCPRIM_400000_NS6detail17trampoline_kernelINS0_14default_configENS1_38merge_sort_block_merge_config_selectorIttEEZZNS1_27merge_sort_block_merge_implIS3_N6thrust23THRUST_200600_302600_NS6detail15normal_iteratorINS8_10device_ptrItEEEESD_jNS1_19radix_merge_compareILb0ELb0EtNS0_19identity_decomposerEEEEE10hipError_tT0_T1_T2_jT3_P12ihipStream_tbPNSt15iterator_traitsISI_E10value_typeEPNSO_ISJ_E10value_typeEPSK_NS1_7vsmem_tEENKUlT_SI_SJ_SK_E_clISD_PtSD_S10_EESH_SX_SI_SJ_SK_EUlSX_E0_NS1_11comp_targetILNS1_3genE0ELNS1_11target_archE4294967295ELNS1_3gpuE0ELNS1_3repE0EEENS1_38merge_mergepath_config_static_selectorELNS0_4arch9wavefront6targetE1EEEvSJ_.kd
    .uniform_work_group_size: 1
    .uses_dynamic_stack: false
    .vgpr_count:     36
    .vgpr_spill_count: 0
    .wavefront_size: 64
  - .agpr_count:     0
    .args:
      - .offset:         0
        .size:           64
        .value_kind:     by_value
    .group_segment_fixed_size: 0
    .kernarg_segment_align: 8
    .kernarg_segment_size: 64
    .language:       OpenCL C
    .language_version:
      - 2
      - 0
    .max_flat_workgroup_size: 128
    .name:           _ZN7rocprim17ROCPRIM_400000_NS6detail17trampoline_kernelINS0_14default_configENS1_38merge_sort_block_merge_config_selectorIttEEZZNS1_27merge_sort_block_merge_implIS3_N6thrust23THRUST_200600_302600_NS6detail15normal_iteratorINS8_10device_ptrItEEEESD_jNS1_19radix_merge_compareILb0ELb0EtNS0_19identity_decomposerEEEEE10hipError_tT0_T1_T2_jT3_P12ihipStream_tbPNSt15iterator_traitsISI_E10value_typeEPNSO_ISJ_E10value_typeEPSK_NS1_7vsmem_tEENKUlT_SI_SJ_SK_E_clISD_PtSD_S10_EESH_SX_SI_SJ_SK_EUlSX_E0_NS1_11comp_targetILNS1_3genE10ELNS1_11target_archE1201ELNS1_3gpuE5ELNS1_3repE0EEENS1_38merge_mergepath_config_static_selectorELNS0_4arch9wavefront6targetE1EEEvSJ_
    .private_segment_fixed_size: 0
    .sgpr_count:     6
    .sgpr_spill_count: 0
    .symbol:         _ZN7rocprim17ROCPRIM_400000_NS6detail17trampoline_kernelINS0_14default_configENS1_38merge_sort_block_merge_config_selectorIttEEZZNS1_27merge_sort_block_merge_implIS3_N6thrust23THRUST_200600_302600_NS6detail15normal_iteratorINS8_10device_ptrItEEEESD_jNS1_19radix_merge_compareILb0ELb0EtNS0_19identity_decomposerEEEEE10hipError_tT0_T1_T2_jT3_P12ihipStream_tbPNSt15iterator_traitsISI_E10value_typeEPNSO_ISJ_E10value_typeEPSK_NS1_7vsmem_tEENKUlT_SI_SJ_SK_E_clISD_PtSD_S10_EESH_SX_SI_SJ_SK_EUlSX_E0_NS1_11comp_targetILNS1_3genE10ELNS1_11target_archE1201ELNS1_3gpuE5ELNS1_3repE0EEENS1_38merge_mergepath_config_static_selectorELNS0_4arch9wavefront6targetE1EEEvSJ_.kd
    .uniform_work_group_size: 1
    .uses_dynamic_stack: false
    .vgpr_count:     0
    .vgpr_spill_count: 0
    .wavefront_size: 64
  - .agpr_count:     0
    .args:
      - .offset:         0
        .size:           64
        .value_kind:     by_value
    .group_segment_fixed_size: 0
    .kernarg_segment_align: 8
    .kernarg_segment_size: 64
    .language:       OpenCL C
    .language_version:
      - 2
      - 0
    .max_flat_workgroup_size: 128
    .name:           _ZN7rocprim17ROCPRIM_400000_NS6detail17trampoline_kernelINS0_14default_configENS1_38merge_sort_block_merge_config_selectorIttEEZZNS1_27merge_sort_block_merge_implIS3_N6thrust23THRUST_200600_302600_NS6detail15normal_iteratorINS8_10device_ptrItEEEESD_jNS1_19radix_merge_compareILb0ELb0EtNS0_19identity_decomposerEEEEE10hipError_tT0_T1_T2_jT3_P12ihipStream_tbPNSt15iterator_traitsISI_E10value_typeEPNSO_ISJ_E10value_typeEPSK_NS1_7vsmem_tEENKUlT_SI_SJ_SK_E_clISD_PtSD_S10_EESH_SX_SI_SJ_SK_EUlSX_E0_NS1_11comp_targetILNS1_3genE5ELNS1_11target_archE942ELNS1_3gpuE9ELNS1_3repE0EEENS1_38merge_mergepath_config_static_selectorELNS0_4arch9wavefront6targetE1EEEvSJ_
    .private_segment_fixed_size: 0
    .sgpr_count:     6
    .sgpr_spill_count: 0
    .symbol:         _ZN7rocprim17ROCPRIM_400000_NS6detail17trampoline_kernelINS0_14default_configENS1_38merge_sort_block_merge_config_selectorIttEEZZNS1_27merge_sort_block_merge_implIS3_N6thrust23THRUST_200600_302600_NS6detail15normal_iteratorINS8_10device_ptrItEEEESD_jNS1_19radix_merge_compareILb0ELb0EtNS0_19identity_decomposerEEEEE10hipError_tT0_T1_T2_jT3_P12ihipStream_tbPNSt15iterator_traitsISI_E10value_typeEPNSO_ISJ_E10value_typeEPSK_NS1_7vsmem_tEENKUlT_SI_SJ_SK_E_clISD_PtSD_S10_EESH_SX_SI_SJ_SK_EUlSX_E0_NS1_11comp_targetILNS1_3genE5ELNS1_11target_archE942ELNS1_3gpuE9ELNS1_3repE0EEENS1_38merge_mergepath_config_static_selectorELNS0_4arch9wavefront6targetE1EEEvSJ_.kd
    .uniform_work_group_size: 1
    .uses_dynamic_stack: false
    .vgpr_count:     0
    .vgpr_spill_count: 0
    .wavefront_size: 64
  - .agpr_count:     0
    .args:
      - .offset:         0
        .size:           64
        .value_kind:     by_value
    .group_segment_fixed_size: 0
    .kernarg_segment_align: 8
    .kernarg_segment_size: 64
    .language:       OpenCL C
    .language_version:
      - 2
      - 0
    .max_flat_workgroup_size: 128
    .name:           _ZN7rocprim17ROCPRIM_400000_NS6detail17trampoline_kernelINS0_14default_configENS1_38merge_sort_block_merge_config_selectorIttEEZZNS1_27merge_sort_block_merge_implIS3_N6thrust23THRUST_200600_302600_NS6detail15normal_iteratorINS8_10device_ptrItEEEESD_jNS1_19radix_merge_compareILb0ELb0EtNS0_19identity_decomposerEEEEE10hipError_tT0_T1_T2_jT3_P12ihipStream_tbPNSt15iterator_traitsISI_E10value_typeEPNSO_ISJ_E10value_typeEPSK_NS1_7vsmem_tEENKUlT_SI_SJ_SK_E_clISD_PtSD_S10_EESH_SX_SI_SJ_SK_EUlSX_E0_NS1_11comp_targetILNS1_3genE4ELNS1_11target_archE910ELNS1_3gpuE8ELNS1_3repE0EEENS1_38merge_mergepath_config_static_selectorELNS0_4arch9wavefront6targetE1EEEvSJ_
    .private_segment_fixed_size: 0
    .sgpr_count:     6
    .sgpr_spill_count: 0
    .symbol:         _ZN7rocprim17ROCPRIM_400000_NS6detail17trampoline_kernelINS0_14default_configENS1_38merge_sort_block_merge_config_selectorIttEEZZNS1_27merge_sort_block_merge_implIS3_N6thrust23THRUST_200600_302600_NS6detail15normal_iteratorINS8_10device_ptrItEEEESD_jNS1_19radix_merge_compareILb0ELb0EtNS0_19identity_decomposerEEEEE10hipError_tT0_T1_T2_jT3_P12ihipStream_tbPNSt15iterator_traitsISI_E10value_typeEPNSO_ISJ_E10value_typeEPSK_NS1_7vsmem_tEENKUlT_SI_SJ_SK_E_clISD_PtSD_S10_EESH_SX_SI_SJ_SK_EUlSX_E0_NS1_11comp_targetILNS1_3genE4ELNS1_11target_archE910ELNS1_3gpuE8ELNS1_3repE0EEENS1_38merge_mergepath_config_static_selectorELNS0_4arch9wavefront6targetE1EEEvSJ_.kd
    .uniform_work_group_size: 1
    .uses_dynamic_stack: false
    .vgpr_count:     0
    .vgpr_spill_count: 0
    .wavefront_size: 64
  - .agpr_count:     0
    .args:
      - .offset:         0
        .size:           64
        .value_kind:     by_value
    .group_segment_fixed_size: 0
    .kernarg_segment_align: 8
    .kernarg_segment_size: 64
    .language:       OpenCL C
    .language_version:
      - 2
      - 0
    .max_flat_workgroup_size: 128
    .name:           _ZN7rocprim17ROCPRIM_400000_NS6detail17trampoline_kernelINS0_14default_configENS1_38merge_sort_block_merge_config_selectorIttEEZZNS1_27merge_sort_block_merge_implIS3_N6thrust23THRUST_200600_302600_NS6detail15normal_iteratorINS8_10device_ptrItEEEESD_jNS1_19radix_merge_compareILb0ELb0EtNS0_19identity_decomposerEEEEE10hipError_tT0_T1_T2_jT3_P12ihipStream_tbPNSt15iterator_traitsISI_E10value_typeEPNSO_ISJ_E10value_typeEPSK_NS1_7vsmem_tEENKUlT_SI_SJ_SK_E_clISD_PtSD_S10_EESH_SX_SI_SJ_SK_EUlSX_E0_NS1_11comp_targetILNS1_3genE3ELNS1_11target_archE908ELNS1_3gpuE7ELNS1_3repE0EEENS1_38merge_mergepath_config_static_selectorELNS0_4arch9wavefront6targetE1EEEvSJ_
    .private_segment_fixed_size: 0
    .sgpr_count:     6
    .sgpr_spill_count: 0
    .symbol:         _ZN7rocprim17ROCPRIM_400000_NS6detail17trampoline_kernelINS0_14default_configENS1_38merge_sort_block_merge_config_selectorIttEEZZNS1_27merge_sort_block_merge_implIS3_N6thrust23THRUST_200600_302600_NS6detail15normal_iteratorINS8_10device_ptrItEEEESD_jNS1_19radix_merge_compareILb0ELb0EtNS0_19identity_decomposerEEEEE10hipError_tT0_T1_T2_jT3_P12ihipStream_tbPNSt15iterator_traitsISI_E10value_typeEPNSO_ISJ_E10value_typeEPSK_NS1_7vsmem_tEENKUlT_SI_SJ_SK_E_clISD_PtSD_S10_EESH_SX_SI_SJ_SK_EUlSX_E0_NS1_11comp_targetILNS1_3genE3ELNS1_11target_archE908ELNS1_3gpuE7ELNS1_3repE0EEENS1_38merge_mergepath_config_static_selectorELNS0_4arch9wavefront6targetE1EEEvSJ_.kd
    .uniform_work_group_size: 1
    .uses_dynamic_stack: false
    .vgpr_count:     0
    .vgpr_spill_count: 0
    .wavefront_size: 64
  - .agpr_count:     0
    .args:
      - .offset:         0
        .size:           64
        .value_kind:     by_value
    .group_segment_fixed_size: 0
    .kernarg_segment_align: 8
    .kernarg_segment_size: 64
    .language:       OpenCL C
    .language_version:
      - 2
      - 0
    .max_flat_workgroup_size: 128
    .name:           _ZN7rocprim17ROCPRIM_400000_NS6detail17trampoline_kernelINS0_14default_configENS1_38merge_sort_block_merge_config_selectorIttEEZZNS1_27merge_sort_block_merge_implIS3_N6thrust23THRUST_200600_302600_NS6detail15normal_iteratorINS8_10device_ptrItEEEESD_jNS1_19radix_merge_compareILb0ELb0EtNS0_19identity_decomposerEEEEE10hipError_tT0_T1_T2_jT3_P12ihipStream_tbPNSt15iterator_traitsISI_E10value_typeEPNSO_ISJ_E10value_typeEPSK_NS1_7vsmem_tEENKUlT_SI_SJ_SK_E_clISD_PtSD_S10_EESH_SX_SI_SJ_SK_EUlSX_E0_NS1_11comp_targetILNS1_3genE2ELNS1_11target_archE906ELNS1_3gpuE6ELNS1_3repE0EEENS1_38merge_mergepath_config_static_selectorELNS0_4arch9wavefront6targetE1EEEvSJ_
    .private_segment_fixed_size: 0
    .sgpr_count:     6
    .sgpr_spill_count: 0
    .symbol:         _ZN7rocprim17ROCPRIM_400000_NS6detail17trampoline_kernelINS0_14default_configENS1_38merge_sort_block_merge_config_selectorIttEEZZNS1_27merge_sort_block_merge_implIS3_N6thrust23THRUST_200600_302600_NS6detail15normal_iteratorINS8_10device_ptrItEEEESD_jNS1_19radix_merge_compareILb0ELb0EtNS0_19identity_decomposerEEEEE10hipError_tT0_T1_T2_jT3_P12ihipStream_tbPNSt15iterator_traitsISI_E10value_typeEPNSO_ISJ_E10value_typeEPSK_NS1_7vsmem_tEENKUlT_SI_SJ_SK_E_clISD_PtSD_S10_EESH_SX_SI_SJ_SK_EUlSX_E0_NS1_11comp_targetILNS1_3genE2ELNS1_11target_archE906ELNS1_3gpuE6ELNS1_3repE0EEENS1_38merge_mergepath_config_static_selectorELNS0_4arch9wavefront6targetE1EEEvSJ_.kd
    .uniform_work_group_size: 1
    .uses_dynamic_stack: false
    .vgpr_count:     0
    .vgpr_spill_count: 0
    .wavefront_size: 64
  - .agpr_count:     0
    .args:
      - .offset:         0
        .size:           64
        .value_kind:     by_value
    .group_segment_fixed_size: 0
    .kernarg_segment_align: 8
    .kernarg_segment_size: 64
    .language:       OpenCL C
    .language_version:
      - 2
      - 0
    .max_flat_workgroup_size: 128
    .name:           _ZN7rocprim17ROCPRIM_400000_NS6detail17trampoline_kernelINS0_14default_configENS1_38merge_sort_block_merge_config_selectorIttEEZZNS1_27merge_sort_block_merge_implIS3_N6thrust23THRUST_200600_302600_NS6detail15normal_iteratorINS8_10device_ptrItEEEESD_jNS1_19radix_merge_compareILb0ELb0EtNS0_19identity_decomposerEEEEE10hipError_tT0_T1_T2_jT3_P12ihipStream_tbPNSt15iterator_traitsISI_E10value_typeEPNSO_ISJ_E10value_typeEPSK_NS1_7vsmem_tEENKUlT_SI_SJ_SK_E_clISD_PtSD_S10_EESH_SX_SI_SJ_SK_EUlSX_E0_NS1_11comp_targetILNS1_3genE9ELNS1_11target_archE1100ELNS1_3gpuE3ELNS1_3repE0EEENS1_38merge_mergepath_config_static_selectorELNS0_4arch9wavefront6targetE1EEEvSJ_
    .private_segment_fixed_size: 0
    .sgpr_count:     6
    .sgpr_spill_count: 0
    .symbol:         _ZN7rocprim17ROCPRIM_400000_NS6detail17trampoline_kernelINS0_14default_configENS1_38merge_sort_block_merge_config_selectorIttEEZZNS1_27merge_sort_block_merge_implIS3_N6thrust23THRUST_200600_302600_NS6detail15normal_iteratorINS8_10device_ptrItEEEESD_jNS1_19radix_merge_compareILb0ELb0EtNS0_19identity_decomposerEEEEE10hipError_tT0_T1_T2_jT3_P12ihipStream_tbPNSt15iterator_traitsISI_E10value_typeEPNSO_ISJ_E10value_typeEPSK_NS1_7vsmem_tEENKUlT_SI_SJ_SK_E_clISD_PtSD_S10_EESH_SX_SI_SJ_SK_EUlSX_E0_NS1_11comp_targetILNS1_3genE9ELNS1_11target_archE1100ELNS1_3gpuE3ELNS1_3repE0EEENS1_38merge_mergepath_config_static_selectorELNS0_4arch9wavefront6targetE1EEEvSJ_.kd
    .uniform_work_group_size: 1
    .uses_dynamic_stack: false
    .vgpr_count:     0
    .vgpr_spill_count: 0
    .wavefront_size: 64
  - .agpr_count:     0
    .args:
      - .offset:         0
        .size:           64
        .value_kind:     by_value
    .group_segment_fixed_size: 0
    .kernarg_segment_align: 8
    .kernarg_segment_size: 64
    .language:       OpenCL C
    .language_version:
      - 2
      - 0
    .max_flat_workgroup_size: 256
    .name:           _ZN7rocprim17ROCPRIM_400000_NS6detail17trampoline_kernelINS0_14default_configENS1_38merge_sort_block_merge_config_selectorIttEEZZNS1_27merge_sort_block_merge_implIS3_N6thrust23THRUST_200600_302600_NS6detail15normal_iteratorINS8_10device_ptrItEEEESD_jNS1_19radix_merge_compareILb0ELb0EtNS0_19identity_decomposerEEEEE10hipError_tT0_T1_T2_jT3_P12ihipStream_tbPNSt15iterator_traitsISI_E10value_typeEPNSO_ISJ_E10value_typeEPSK_NS1_7vsmem_tEENKUlT_SI_SJ_SK_E_clISD_PtSD_S10_EESH_SX_SI_SJ_SK_EUlSX_E0_NS1_11comp_targetILNS1_3genE8ELNS1_11target_archE1030ELNS1_3gpuE2ELNS1_3repE0EEENS1_38merge_mergepath_config_static_selectorELNS0_4arch9wavefront6targetE1EEEvSJ_
    .private_segment_fixed_size: 0
    .sgpr_count:     6
    .sgpr_spill_count: 0
    .symbol:         _ZN7rocprim17ROCPRIM_400000_NS6detail17trampoline_kernelINS0_14default_configENS1_38merge_sort_block_merge_config_selectorIttEEZZNS1_27merge_sort_block_merge_implIS3_N6thrust23THRUST_200600_302600_NS6detail15normal_iteratorINS8_10device_ptrItEEEESD_jNS1_19radix_merge_compareILb0ELb0EtNS0_19identity_decomposerEEEEE10hipError_tT0_T1_T2_jT3_P12ihipStream_tbPNSt15iterator_traitsISI_E10value_typeEPNSO_ISJ_E10value_typeEPSK_NS1_7vsmem_tEENKUlT_SI_SJ_SK_E_clISD_PtSD_S10_EESH_SX_SI_SJ_SK_EUlSX_E0_NS1_11comp_targetILNS1_3genE8ELNS1_11target_archE1030ELNS1_3gpuE2ELNS1_3repE0EEENS1_38merge_mergepath_config_static_selectorELNS0_4arch9wavefront6targetE1EEEvSJ_.kd
    .uniform_work_group_size: 1
    .uses_dynamic_stack: false
    .vgpr_count:     0
    .vgpr_spill_count: 0
    .wavefront_size: 64
  - .agpr_count:     0
    .args:
      - .offset:         0
        .size:           48
        .value_kind:     by_value
    .group_segment_fixed_size: 0
    .kernarg_segment_align: 8
    .kernarg_segment_size: 48
    .language:       OpenCL C
    .language_version:
      - 2
      - 0
    .max_flat_workgroup_size: 256
    .name:           _ZN7rocprim17ROCPRIM_400000_NS6detail17trampoline_kernelINS0_14default_configENS1_38merge_sort_block_merge_config_selectorIttEEZZNS1_27merge_sort_block_merge_implIS3_N6thrust23THRUST_200600_302600_NS6detail15normal_iteratorINS8_10device_ptrItEEEESD_jNS1_19radix_merge_compareILb0ELb0EtNS0_19identity_decomposerEEEEE10hipError_tT0_T1_T2_jT3_P12ihipStream_tbPNSt15iterator_traitsISI_E10value_typeEPNSO_ISJ_E10value_typeEPSK_NS1_7vsmem_tEENKUlT_SI_SJ_SK_E_clISD_PtSD_S10_EESH_SX_SI_SJ_SK_EUlSX_E1_NS1_11comp_targetILNS1_3genE0ELNS1_11target_archE4294967295ELNS1_3gpuE0ELNS1_3repE0EEENS1_36merge_oddeven_config_static_selectorELNS0_4arch9wavefront6targetE1EEEvSJ_
    .private_segment_fixed_size: 0
    .sgpr_count:     30
    .sgpr_spill_count: 0
    .symbol:         _ZN7rocprim17ROCPRIM_400000_NS6detail17trampoline_kernelINS0_14default_configENS1_38merge_sort_block_merge_config_selectorIttEEZZNS1_27merge_sort_block_merge_implIS3_N6thrust23THRUST_200600_302600_NS6detail15normal_iteratorINS8_10device_ptrItEEEESD_jNS1_19radix_merge_compareILb0ELb0EtNS0_19identity_decomposerEEEEE10hipError_tT0_T1_T2_jT3_P12ihipStream_tbPNSt15iterator_traitsISI_E10value_typeEPNSO_ISJ_E10value_typeEPSK_NS1_7vsmem_tEENKUlT_SI_SJ_SK_E_clISD_PtSD_S10_EESH_SX_SI_SJ_SK_EUlSX_E1_NS1_11comp_targetILNS1_3genE0ELNS1_11target_archE4294967295ELNS1_3gpuE0ELNS1_3repE0EEENS1_36merge_oddeven_config_static_selectorELNS0_4arch9wavefront6targetE1EEEvSJ_.kd
    .uniform_work_group_size: 1
    .uses_dynamic_stack: false
    .vgpr_count:     9
    .vgpr_spill_count: 0
    .wavefront_size: 64
  - .agpr_count:     0
    .args:
      - .offset:         0
        .size:           48
        .value_kind:     by_value
    .group_segment_fixed_size: 0
    .kernarg_segment_align: 8
    .kernarg_segment_size: 48
    .language:       OpenCL C
    .language_version:
      - 2
      - 0
    .max_flat_workgroup_size: 256
    .name:           _ZN7rocprim17ROCPRIM_400000_NS6detail17trampoline_kernelINS0_14default_configENS1_38merge_sort_block_merge_config_selectorIttEEZZNS1_27merge_sort_block_merge_implIS3_N6thrust23THRUST_200600_302600_NS6detail15normal_iteratorINS8_10device_ptrItEEEESD_jNS1_19radix_merge_compareILb0ELb0EtNS0_19identity_decomposerEEEEE10hipError_tT0_T1_T2_jT3_P12ihipStream_tbPNSt15iterator_traitsISI_E10value_typeEPNSO_ISJ_E10value_typeEPSK_NS1_7vsmem_tEENKUlT_SI_SJ_SK_E_clISD_PtSD_S10_EESH_SX_SI_SJ_SK_EUlSX_E1_NS1_11comp_targetILNS1_3genE10ELNS1_11target_archE1201ELNS1_3gpuE5ELNS1_3repE0EEENS1_36merge_oddeven_config_static_selectorELNS0_4arch9wavefront6targetE1EEEvSJ_
    .private_segment_fixed_size: 0
    .sgpr_count:     6
    .sgpr_spill_count: 0
    .symbol:         _ZN7rocprim17ROCPRIM_400000_NS6detail17trampoline_kernelINS0_14default_configENS1_38merge_sort_block_merge_config_selectorIttEEZZNS1_27merge_sort_block_merge_implIS3_N6thrust23THRUST_200600_302600_NS6detail15normal_iteratorINS8_10device_ptrItEEEESD_jNS1_19radix_merge_compareILb0ELb0EtNS0_19identity_decomposerEEEEE10hipError_tT0_T1_T2_jT3_P12ihipStream_tbPNSt15iterator_traitsISI_E10value_typeEPNSO_ISJ_E10value_typeEPSK_NS1_7vsmem_tEENKUlT_SI_SJ_SK_E_clISD_PtSD_S10_EESH_SX_SI_SJ_SK_EUlSX_E1_NS1_11comp_targetILNS1_3genE10ELNS1_11target_archE1201ELNS1_3gpuE5ELNS1_3repE0EEENS1_36merge_oddeven_config_static_selectorELNS0_4arch9wavefront6targetE1EEEvSJ_.kd
    .uniform_work_group_size: 1
    .uses_dynamic_stack: false
    .vgpr_count:     0
    .vgpr_spill_count: 0
    .wavefront_size: 64
  - .agpr_count:     0
    .args:
      - .offset:         0
        .size:           48
        .value_kind:     by_value
    .group_segment_fixed_size: 0
    .kernarg_segment_align: 8
    .kernarg_segment_size: 48
    .language:       OpenCL C
    .language_version:
      - 2
      - 0
    .max_flat_workgroup_size: 256
    .name:           _ZN7rocprim17ROCPRIM_400000_NS6detail17trampoline_kernelINS0_14default_configENS1_38merge_sort_block_merge_config_selectorIttEEZZNS1_27merge_sort_block_merge_implIS3_N6thrust23THRUST_200600_302600_NS6detail15normal_iteratorINS8_10device_ptrItEEEESD_jNS1_19radix_merge_compareILb0ELb0EtNS0_19identity_decomposerEEEEE10hipError_tT0_T1_T2_jT3_P12ihipStream_tbPNSt15iterator_traitsISI_E10value_typeEPNSO_ISJ_E10value_typeEPSK_NS1_7vsmem_tEENKUlT_SI_SJ_SK_E_clISD_PtSD_S10_EESH_SX_SI_SJ_SK_EUlSX_E1_NS1_11comp_targetILNS1_3genE5ELNS1_11target_archE942ELNS1_3gpuE9ELNS1_3repE0EEENS1_36merge_oddeven_config_static_selectorELNS0_4arch9wavefront6targetE1EEEvSJ_
    .private_segment_fixed_size: 0
    .sgpr_count:     6
    .sgpr_spill_count: 0
    .symbol:         _ZN7rocprim17ROCPRIM_400000_NS6detail17trampoline_kernelINS0_14default_configENS1_38merge_sort_block_merge_config_selectorIttEEZZNS1_27merge_sort_block_merge_implIS3_N6thrust23THRUST_200600_302600_NS6detail15normal_iteratorINS8_10device_ptrItEEEESD_jNS1_19radix_merge_compareILb0ELb0EtNS0_19identity_decomposerEEEEE10hipError_tT0_T1_T2_jT3_P12ihipStream_tbPNSt15iterator_traitsISI_E10value_typeEPNSO_ISJ_E10value_typeEPSK_NS1_7vsmem_tEENKUlT_SI_SJ_SK_E_clISD_PtSD_S10_EESH_SX_SI_SJ_SK_EUlSX_E1_NS1_11comp_targetILNS1_3genE5ELNS1_11target_archE942ELNS1_3gpuE9ELNS1_3repE0EEENS1_36merge_oddeven_config_static_selectorELNS0_4arch9wavefront6targetE1EEEvSJ_.kd
    .uniform_work_group_size: 1
    .uses_dynamic_stack: false
    .vgpr_count:     0
    .vgpr_spill_count: 0
    .wavefront_size: 64
  - .agpr_count:     0
    .args:
      - .offset:         0
        .size:           48
        .value_kind:     by_value
    .group_segment_fixed_size: 0
    .kernarg_segment_align: 8
    .kernarg_segment_size: 48
    .language:       OpenCL C
    .language_version:
      - 2
      - 0
    .max_flat_workgroup_size: 256
    .name:           _ZN7rocprim17ROCPRIM_400000_NS6detail17trampoline_kernelINS0_14default_configENS1_38merge_sort_block_merge_config_selectorIttEEZZNS1_27merge_sort_block_merge_implIS3_N6thrust23THRUST_200600_302600_NS6detail15normal_iteratorINS8_10device_ptrItEEEESD_jNS1_19radix_merge_compareILb0ELb0EtNS0_19identity_decomposerEEEEE10hipError_tT0_T1_T2_jT3_P12ihipStream_tbPNSt15iterator_traitsISI_E10value_typeEPNSO_ISJ_E10value_typeEPSK_NS1_7vsmem_tEENKUlT_SI_SJ_SK_E_clISD_PtSD_S10_EESH_SX_SI_SJ_SK_EUlSX_E1_NS1_11comp_targetILNS1_3genE4ELNS1_11target_archE910ELNS1_3gpuE8ELNS1_3repE0EEENS1_36merge_oddeven_config_static_selectorELNS0_4arch9wavefront6targetE1EEEvSJ_
    .private_segment_fixed_size: 0
    .sgpr_count:     6
    .sgpr_spill_count: 0
    .symbol:         _ZN7rocprim17ROCPRIM_400000_NS6detail17trampoline_kernelINS0_14default_configENS1_38merge_sort_block_merge_config_selectorIttEEZZNS1_27merge_sort_block_merge_implIS3_N6thrust23THRUST_200600_302600_NS6detail15normal_iteratorINS8_10device_ptrItEEEESD_jNS1_19radix_merge_compareILb0ELb0EtNS0_19identity_decomposerEEEEE10hipError_tT0_T1_T2_jT3_P12ihipStream_tbPNSt15iterator_traitsISI_E10value_typeEPNSO_ISJ_E10value_typeEPSK_NS1_7vsmem_tEENKUlT_SI_SJ_SK_E_clISD_PtSD_S10_EESH_SX_SI_SJ_SK_EUlSX_E1_NS1_11comp_targetILNS1_3genE4ELNS1_11target_archE910ELNS1_3gpuE8ELNS1_3repE0EEENS1_36merge_oddeven_config_static_selectorELNS0_4arch9wavefront6targetE1EEEvSJ_.kd
    .uniform_work_group_size: 1
    .uses_dynamic_stack: false
    .vgpr_count:     0
    .vgpr_spill_count: 0
    .wavefront_size: 64
  - .agpr_count:     0
    .args:
      - .offset:         0
        .size:           48
        .value_kind:     by_value
    .group_segment_fixed_size: 0
    .kernarg_segment_align: 8
    .kernarg_segment_size: 48
    .language:       OpenCL C
    .language_version:
      - 2
      - 0
    .max_flat_workgroup_size: 256
    .name:           _ZN7rocprim17ROCPRIM_400000_NS6detail17trampoline_kernelINS0_14default_configENS1_38merge_sort_block_merge_config_selectorIttEEZZNS1_27merge_sort_block_merge_implIS3_N6thrust23THRUST_200600_302600_NS6detail15normal_iteratorINS8_10device_ptrItEEEESD_jNS1_19radix_merge_compareILb0ELb0EtNS0_19identity_decomposerEEEEE10hipError_tT0_T1_T2_jT3_P12ihipStream_tbPNSt15iterator_traitsISI_E10value_typeEPNSO_ISJ_E10value_typeEPSK_NS1_7vsmem_tEENKUlT_SI_SJ_SK_E_clISD_PtSD_S10_EESH_SX_SI_SJ_SK_EUlSX_E1_NS1_11comp_targetILNS1_3genE3ELNS1_11target_archE908ELNS1_3gpuE7ELNS1_3repE0EEENS1_36merge_oddeven_config_static_selectorELNS0_4arch9wavefront6targetE1EEEvSJ_
    .private_segment_fixed_size: 0
    .sgpr_count:     6
    .sgpr_spill_count: 0
    .symbol:         _ZN7rocprim17ROCPRIM_400000_NS6detail17trampoline_kernelINS0_14default_configENS1_38merge_sort_block_merge_config_selectorIttEEZZNS1_27merge_sort_block_merge_implIS3_N6thrust23THRUST_200600_302600_NS6detail15normal_iteratorINS8_10device_ptrItEEEESD_jNS1_19radix_merge_compareILb0ELb0EtNS0_19identity_decomposerEEEEE10hipError_tT0_T1_T2_jT3_P12ihipStream_tbPNSt15iterator_traitsISI_E10value_typeEPNSO_ISJ_E10value_typeEPSK_NS1_7vsmem_tEENKUlT_SI_SJ_SK_E_clISD_PtSD_S10_EESH_SX_SI_SJ_SK_EUlSX_E1_NS1_11comp_targetILNS1_3genE3ELNS1_11target_archE908ELNS1_3gpuE7ELNS1_3repE0EEENS1_36merge_oddeven_config_static_selectorELNS0_4arch9wavefront6targetE1EEEvSJ_.kd
    .uniform_work_group_size: 1
    .uses_dynamic_stack: false
    .vgpr_count:     0
    .vgpr_spill_count: 0
    .wavefront_size: 64
  - .agpr_count:     0
    .args:
      - .offset:         0
        .size:           48
        .value_kind:     by_value
    .group_segment_fixed_size: 0
    .kernarg_segment_align: 8
    .kernarg_segment_size: 48
    .language:       OpenCL C
    .language_version:
      - 2
      - 0
    .max_flat_workgroup_size: 256
    .name:           _ZN7rocprim17ROCPRIM_400000_NS6detail17trampoline_kernelINS0_14default_configENS1_38merge_sort_block_merge_config_selectorIttEEZZNS1_27merge_sort_block_merge_implIS3_N6thrust23THRUST_200600_302600_NS6detail15normal_iteratorINS8_10device_ptrItEEEESD_jNS1_19radix_merge_compareILb0ELb0EtNS0_19identity_decomposerEEEEE10hipError_tT0_T1_T2_jT3_P12ihipStream_tbPNSt15iterator_traitsISI_E10value_typeEPNSO_ISJ_E10value_typeEPSK_NS1_7vsmem_tEENKUlT_SI_SJ_SK_E_clISD_PtSD_S10_EESH_SX_SI_SJ_SK_EUlSX_E1_NS1_11comp_targetILNS1_3genE2ELNS1_11target_archE906ELNS1_3gpuE6ELNS1_3repE0EEENS1_36merge_oddeven_config_static_selectorELNS0_4arch9wavefront6targetE1EEEvSJ_
    .private_segment_fixed_size: 0
    .sgpr_count:     6
    .sgpr_spill_count: 0
    .symbol:         _ZN7rocprim17ROCPRIM_400000_NS6detail17trampoline_kernelINS0_14default_configENS1_38merge_sort_block_merge_config_selectorIttEEZZNS1_27merge_sort_block_merge_implIS3_N6thrust23THRUST_200600_302600_NS6detail15normal_iteratorINS8_10device_ptrItEEEESD_jNS1_19radix_merge_compareILb0ELb0EtNS0_19identity_decomposerEEEEE10hipError_tT0_T1_T2_jT3_P12ihipStream_tbPNSt15iterator_traitsISI_E10value_typeEPNSO_ISJ_E10value_typeEPSK_NS1_7vsmem_tEENKUlT_SI_SJ_SK_E_clISD_PtSD_S10_EESH_SX_SI_SJ_SK_EUlSX_E1_NS1_11comp_targetILNS1_3genE2ELNS1_11target_archE906ELNS1_3gpuE6ELNS1_3repE0EEENS1_36merge_oddeven_config_static_selectorELNS0_4arch9wavefront6targetE1EEEvSJ_.kd
    .uniform_work_group_size: 1
    .uses_dynamic_stack: false
    .vgpr_count:     0
    .vgpr_spill_count: 0
    .wavefront_size: 64
  - .agpr_count:     0
    .args:
      - .offset:         0
        .size:           48
        .value_kind:     by_value
    .group_segment_fixed_size: 0
    .kernarg_segment_align: 8
    .kernarg_segment_size: 48
    .language:       OpenCL C
    .language_version:
      - 2
      - 0
    .max_flat_workgroup_size: 256
    .name:           _ZN7rocprim17ROCPRIM_400000_NS6detail17trampoline_kernelINS0_14default_configENS1_38merge_sort_block_merge_config_selectorIttEEZZNS1_27merge_sort_block_merge_implIS3_N6thrust23THRUST_200600_302600_NS6detail15normal_iteratorINS8_10device_ptrItEEEESD_jNS1_19radix_merge_compareILb0ELb0EtNS0_19identity_decomposerEEEEE10hipError_tT0_T1_T2_jT3_P12ihipStream_tbPNSt15iterator_traitsISI_E10value_typeEPNSO_ISJ_E10value_typeEPSK_NS1_7vsmem_tEENKUlT_SI_SJ_SK_E_clISD_PtSD_S10_EESH_SX_SI_SJ_SK_EUlSX_E1_NS1_11comp_targetILNS1_3genE9ELNS1_11target_archE1100ELNS1_3gpuE3ELNS1_3repE0EEENS1_36merge_oddeven_config_static_selectorELNS0_4arch9wavefront6targetE1EEEvSJ_
    .private_segment_fixed_size: 0
    .sgpr_count:     6
    .sgpr_spill_count: 0
    .symbol:         _ZN7rocprim17ROCPRIM_400000_NS6detail17trampoline_kernelINS0_14default_configENS1_38merge_sort_block_merge_config_selectorIttEEZZNS1_27merge_sort_block_merge_implIS3_N6thrust23THRUST_200600_302600_NS6detail15normal_iteratorINS8_10device_ptrItEEEESD_jNS1_19radix_merge_compareILb0ELb0EtNS0_19identity_decomposerEEEEE10hipError_tT0_T1_T2_jT3_P12ihipStream_tbPNSt15iterator_traitsISI_E10value_typeEPNSO_ISJ_E10value_typeEPSK_NS1_7vsmem_tEENKUlT_SI_SJ_SK_E_clISD_PtSD_S10_EESH_SX_SI_SJ_SK_EUlSX_E1_NS1_11comp_targetILNS1_3genE9ELNS1_11target_archE1100ELNS1_3gpuE3ELNS1_3repE0EEENS1_36merge_oddeven_config_static_selectorELNS0_4arch9wavefront6targetE1EEEvSJ_.kd
    .uniform_work_group_size: 1
    .uses_dynamic_stack: false
    .vgpr_count:     0
    .vgpr_spill_count: 0
    .wavefront_size: 64
  - .agpr_count:     0
    .args:
      - .offset:         0
        .size:           48
        .value_kind:     by_value
    .group_segment_fixed_size: 0
    .kernarg_segment_align: 8
    .kernarg_segment_size: 48
    .language:       OpenCL C
    .language_version:
      - 2
      - 0
    .max_flat_workgroup_size: 256
    .name:           _ZN7rocprim17ROCPRIM_400000_NS6detail17trampoline_kernelINS0_14default_configENS1_38merge_sort_block_merge_config_selectorIttEEZZNS1_27merge_sort_block_merge_implIS3_N6thrust23THRUST_200600_302600_NS6detail15normal_iteratorINS8_10device_ptrItEEEESD_jNS1_19radix_merge_compareILb0ELb0EtNS0_19identity_decomposerEEEEE10hipError_tT0_T1_T2_jT3_P12ihipStream_tbPNSt15iterator_traitsISI_E10value_typeEPNSO_ISJ_E10value_typeEPSK_NS1_7vsmem_tEENKUlT_SI_SJ_SK_E_clISD_PtSD_S10_EESH_SX_SI_SJ_SK_EUlSX_E1_NS1_11comp_targetILNS1_3genE8ELNS1_11target_archE1030ELNS1_3gpuE2ELNS1_3repE0EEENS1_36merge_oddeven_config_static_selectorELNS0_4arch9wavefront6targetE1EEEvSJ_
    .private_segment_fixed_size: 0
    .sgpr_count:     6
    .sgpr_spill_count: 0
    .symbol:         _ZN7rocprim17ROCPRIM_400000_NS6detail17trampoline_kernelINS0_14default_configENS1_38merge_sort_block_merge_config_selectorIttEEZZNS1_27merge_sort_block_merge_implIS3_N6thrust23THRUST_200600_302600_NS6detail15normal_iteratorINS8_10device_ptrItEEEESD_jNS1_19radix_merge_compareILb0ELb0EtNS0_19identity_decomposerEEEEE10hipError_tT0_T1_T2_jT3_P12ihipStream_tbPNSt15iterator_traitsISI_E10value_typeEPNSO_ISJ_E10value_typeEPSK_NS1_7vsmem_tEENKUlT_SI_SJ_SK_E_clISD_PtSD_S10_EESH_SX_SI_SJ_SK_EUlSX_E1_NS1_11comp_targetILNS1_3genE8ELNS1_11target_archE1030ELNS1_3gpuE2ELNS1_3repE0EEENS1_36merge_oddeven_config_static_selectorELNS0_4arch9wavefront6targetE1EEEvSJ_.kd
    .uniform_work_group_size: 1
    .uses_dynamic_stack: false
    .vgpr_count:     0
    .vgpr_spill_count: 0
    .wavefront_size: 64
  - .agpr_count:     0
    .args:
      - .offset:         0
        .size:           40
        .value_kind:     by_value
      - .offset:         40
        .size:           4
        .value_kind:     hidden_block_count_x
      - .offset:         44
        .size:           4
        .value_kind:     hidden_block_count_y
      - .offset:         48
        .size:           4
        .value_kind:     hidden_block_count_z
      - .offset:         52
        .size:           2
        .value_kind:     hidden_group_size_x
      - .offset:         54
        .size:           2
        .value_kind:     hidden_group_size_y
      - .offset:         56
        .size:           2
        .value_kind:     hidden_group_size_z
      - .offset:         58
        .size:           2
        .value_kind:     hidden_remainder_x
      - .offset:         60
        .size:           2
        .value_kind:     hidden_remainder_y
      - .offset:         62
        .size:           2
        .value_kind:     hidden_remainder_z
      - .offset:         80
        .size:           8
        .value_kind:     hidden_global_offset_x
      - .offset:         88
        .size:           8
        .value_kind:     hidden_global_offset_y
      - .offset:         96
        .size:           8
        .value_kind:     hidden_global_offset_z
      - .offset:         104
        .size:           2
        .value_kind:     hidden_grid_dims
    .group_segment_fixed_size: 0
    .kernarg_segment_align: 8
    .kernarg_segment_size: 296
    .language:       OpenCL C
    .language_version:
      - 2
      - 0
    .max_flat_workgroup_size: 128
    .name:           _ZN7rocprim17ROCPRIM_400000_NS6detail17trampoline_kernelINS0_14default_configENS1_25transform_config_selectorItLb0EEEZNS1_14transform_implILb0ES3_S5_PtN6thrust23THRUST_200600_302600_NS6detail15normal_iteratorINS9_10device_ptrItEEEENS0_8identityItEEEE10hipError_tT2_T3_mT4_P12ihipStream_tbEUlT_E_NS1_11comp_targetILNS1_3genE0ELNS1_11target_archE4294967295ELNS1_3gpuE0ELNS1_3repE0EEENS1_30default_config_static_selectorELNS0_4arch9wavefront6targetE1EEEvT1_
    .private_segment_fixed_size: 0
    .sgpr_count:     26
    .sgpr_spill_count: 0
    .symbol:         _ZN7rocprim17ROCPRIM_400000_NS6detail17trampoline_kernelINS0_14default_configENS1_25transform_config_selectorItLb0EEEZNS1_14transform_implILb0ES3_S5_PtN6thrust23THRUST_200600_302600_NS6detail15normal_iteratorINS9_10device_ptrItEEEENS0_8identityItEEEE10hipError_tT2_T3_mT4_P12ihipStream_tbEUlT_E_NS1_11comp_targetILNS1_3genE0ELNS1_11target_archE4294967295ELNS1_3gpuE0ELNS1_3repE0EEENS1_30default_config_static_selectorELNS0_4arch9wavefront6targetE1EEEvT1_.kd
    .uniform_work_group_size: 1
    .uses_dynamic_stack: false
    .vgpr_count:     9
    .vgpr_spill_count: 0
    .wavefront_size: 64
  - .agpr_count:     0
    .args:
      - .offset:         0
        .size:           40
        .value_kind:     by_value
    .group_segment_fixed_size: 0
    .kernarg_segment_align: 8
    .kernarg_segment_size: 40
    .language:       OpenCL C
    .language_version:
      - 2
      - 0
    .max_flat_workgroup_size: 256
    .name:           _ZN7rocprim17ROCPRIM_400000_NS6detail17trampoline_kernelINS0_14default_configENS1_25transform_config_selectorItLb0EEEZNS1_14transform_implILb0ES3_S5_PtN6thrust23THRUST_200600_302600_NS6detail15normal_iteratorINS9_10device_ptrItEEEENS0_8identityItEEEE10hipError_tT2_T3_mT4_P12ihipStream_tbEUlT_E_NS1_11comp_targetILNS1_3genE5ELNS1_11target_archE942ELNS1_3gpuE9ELNS1_3repE0EEENS1_30default_config_static_selectorELNS0_4arch9wavefront6targetE1EEEvT1_
    .private_segment_fixed_size: 0
    .sgpr_count:     6
    .sgpr_spill_count: 0
    .symbol:         _ZN7rocprim17ROCPRIM_400000_NS6detail17trampoline_kernelINS0_14default_configENS1_25transform_config_selectorItLb0EEEZNS1_14transform_implILb0ES3_S5_PtN6thrust23THRUST_200600_302600_NS6detail15normal_iteratorINS9_10device_ptrItEEEENS0_8identityItEEEE10hipError_tT2_T3_mT4_P12ihipStream_tbEUlT_E_NS1_11comp_targetILNS1_3genE5ELNS1_11target_archE942ELNS1_3gpuE9ELNS1_3repE0EEENS1_30default_config_static_selectorELNS0_4arch9wavefront6targetE1EEEvT1_.kd
    .uniform_work_group_size: 1
    .uses_dynamic_stack: false
    .vgpr_count:     0
    .vgpr_spill_count: 0
    .wavefront_size: 64
  - .agpr_count:     0
    .args:
      - .offset:         0
        .size:           40
        .value_kind:     by_value
    .group_segment_fixed_size: 0
    .kernarg_segment_align: 8
    .kernarg_segment_size: 40
    .language:       OpenCL C
    .language_version:
      - 2
      - 0
    .max_flat_workgroup_size: 64
    .name:           _ZN7rocprim17ROCPRIM_400000_NS6detail17trampoline_kernelINS0_14default_configENS1_25transform_config_selectorItLb0EEEZNS1_14transform_implILb0ES3_S5_PtN6thrust23THRUST_200600_302600_NS6detail15normal_iteratorINS9_10device_ptrItEEEENS0_8identityItEEEE10hipError_tT2_T3_mT4_P12ihipStream_tbEUlT_E_NS1_11comp_targetILNS1_3genE4ELNS1_11target_archE910ELNS1_3gpuE8ELNS1_3repE0EEENS1_30default_config_static_selectorELNS0_4arch9wavefront6targetE1EEEvT1_
    .private_segment_fixed_size: 0
    .sgpr_count:     6
    .sgpr_spill_count: 0
    .symbol:         _ZN7rocprim17ROCPRIM_400000_NS6detail17trampoline_kernelINS0_14default_configENS1_25transform_config_selectorItLb0EEEZNS1_14transform_implILb0ES3_S5_PtN6thrust23THRUST_200600_302600_NS6detail15normal_iteratorINS9_10device_ptrItEEEENS0_8identityItEEEE10hipError_tT2_T3_mT4_P12ihipStream_tbEUlT_E_NS1_11comp_targetILNS1_3genE4ELNS1_11target_archE910ELNS1_3gpuE8ELNS1_3repE0EEENS1_30default_config_static_selectorELNS0_4arch9wavefront6targetE1EEEvT1_.kd
    .uniform_work_group_size: 1
    .uses_dynamic_stack: false
    .vgpr_count:     0
    .vgpr_spill_count: 0
    .wavefront_size: 64
  - .agpr_count:     0
    .args:
      - .offset:         0
        .size:           40
        .value_kind:     by_value
    .group_segment_fixed_size: 0
    .kernarg_segment_align: 8
    .kernarg_segment_size: 40
    .language:       OpenCL C
    .language_version:
      - 2
      - 0
    .max_flat_workgroup_size: 128
    .name:           _ZN7rocprim17ROCPRIM_400000_NS6detail17trampoline_kernelINS0_14default_configENS1_25transform_config_selectorItLb0EEEZNS1_14transform_implILb0ES3_S5_PtN6thrust23THRUST_200600_302600_NS6detail15normal_iteratorINS9_10device_ptrItEEEENS0_8identityItEEEE10hipError_tT2_T3_mT4_P12ihipStream_tbEUlT_E_NS1_11comp_targetILNS1_3genE3ELNS1_11target_archE908ELNS1_3gpuE7ELNS1_3repE0EEENS1_30default_config_static_selectorELNS0_4arch9wavefront6targetE1EEEvT1_
    .private_segment_fixed_size: 0
    .sgpr_count:     6
    .sgpr_spill_count: 0
    .symbol:         _ZN7rocprim17ROCPRIM_400000_NS6detail17trampoline_kernelINS0_14default_configENS1_25transform_config_selectorItLb0EEEZNS1_14transform_implILb0ES3_S5_PtN6thrust23THRUST_200600_302600_NS6detail15normal_iteratorINS9_10device_ptrItEEEENS0_8identityItEEEE10hipError_tT2_T3_mT4_P12ihipStream_tbEUlT_E_NS1_11comp_targetILNS1_3genE3ELNS1_11target_archE908ELNS1_3gpuE7ELNS1_3repE0EEENS1_30default_config_static_selectorELNS0_4arch9wavefront6targetE1EEEvT1_.kd
    .uniform_work_group_size: 1
    .uses_dynamic_stack: false
    .vgpr_count:     0
    .vgpr_spill_count: 0
    .wavefront_size: 64
  - .agpr_count:     0
    .args:
      - .offset:         0
        .size:           40
        .value_kind:     by_value
    .group_segment_fixed_size: 0
    .kernarg_segment_align: 8
    .kernarg_segment_size: 40
    .language:       OpenCL C
    .language_version:
      - 2
      - 0
    .max_flat_workgroup_size: 512
    .name:           _ZN7rocprim17ROCPRIM_400000_NS6detail17trampoline_kernelINS0_14default_configENS1_25transform_config_selectorItLb0EEEZNS1_14transform_implILb0ES3_S5_PtN6thrust23THRUST_200600_302600_NS6detail15normal_iteratorINS9_10device_ptrItEEEENS0_8identityItEEEE10hipError_tT2_T3_mT4_P12ihipStream_tbEUlT_E_NS1_11comp_targetILNS1_3genE2ELNS1_11target_archE906ELNS1_3gpuE6ELNS1_3repE0EEENS1_30default_config_static_selectorELNS0_4arch9wavefront6targetE1EEEvT1_
    .private_segment_fixed_size: 0
    .sgpr_count:     6
    .sgpr_spill_count: 0
    .symbol:         _ZN7rocprim17ROCPRIM_400000_NS6detail17trampoline_kernelINS0_14default_configENS1_25transform_config_selectorItLb0EEEZNS1_14transform_implILb0ES3_S5_PtN6thrust23THRUST_200600_302600_NS6detail15normal_iteratorINS9_10device_ptrItEEEENS0_8identityItEEEE10hipError_tT2_T3_mT4_P12ihipStream_tbEUlT_E_NS1_11comp_targetILNS1_3genE2ELNS1_11target_archE906ELNS1_3gpuE6ELNS1_3repE0EEENS1_30default_config_static_selectorELNS0_4arch9wavefront6targetE1EEEvT1_.kd
    .uniform_work_group_size: 1
    .uses_dynamic_stack: false
    .vgpr_count:     0
    .vgpr_spill_count: 0
    .wavefront_size: 64
  - .agpr_count:     0
    .args:
      - .offset:         0
        .size:           40
        .value_kind:     by_value
    .group_segment_fixed_size: 0
    .kernarg_segment_align: 8
    .kernarg_segment_size: 40
    .language:       OpenCL C
    .language_version:
      - 2
      - 0
    .max_flat_workgroup_size: 1024
    .name:           _ZN7rocprim17ROCPRIM_400000_NS6detail17trampoline_kernelINS0_14default_configENS1_25transform_config_selectorItLb0EEEZNS1_14transform_implILb0ES3_S5_PtN6thrust23THRUST_200600_302600_NS6detail15normal_iteratorINS9_10device_ptrItEEEENS0_8identityItEEEE10hipError_tT2_T3_mT4_P12ihipStream_tbEUlT_E_NS1_11comp_targetILNS1_3genE10ELNS1_11target_archE1201ELNS1_3gpuE5ELNS1_3repE0EEENS1_30default_config_static_selectorELNS0_4arch9wavefront6targetE1EEEvT1_
    .private_segment_fixed_size: 0
    .sgpr_count:     6
    .sgpr_spill_count: 0
    .symbol:         _ZN7rocprim17ROCPRIM_400000_NS6detail17trampoline_kernelINS0_14default_configENS1_25transform_config_selectorItLb0EEEZNS1_14transform_implILb0ES3_S5_PtN6thrust23THRUST_200600_302600_NS6detail15normal_iteratorINS9_10device_ptrItEEEENS0_8identityItEEEE10hipError_tT2_T3_mT4_P12ihipStream_tbEUlT_E_NS1_11comp_targetILNS1_3genE10ELNS1_11target_archE1201ELNS1_3gpuE5ELNS1_3repE0EEENS1_30default_config_static_selectorELNS0_4arch9wavefront6targetE1EEEvT1_.kd
    .uniform_work_group_size: 1
    .uses_dynamic_stack: false
    .vgpr_count:     0
    .vgpr_spill_count: 0
    .wavefront_size: 64
  - .agpr_count:     0
    .args:
      - .offset:         0
        .size:           40
        .value_kind:     by_value
    .group_segment_fixed_size: 0
    .kernarg_segment_align: 8
    .kernarg_segment_size: 40
    .language:       OpenCL C
    .language_version:
      - 2
      - 0
    .max_flat_workgroup_size: 512
    .name:           _ZN7rocprim17ROCPRIM_400000_NS6detail17trampoline_kernelINS0_14default_configENS1_25transform_config_selectorItLb0EEEZNS1_14transform_implILb0ES3_S5_PtN6thrust23THRUST_200600_302600_NS6detail15normal_iteratorINS9_10device_ptrItEEEENS0_8identityItEEEE10hipError_tT2_T3_mT4_P12ihipStream_tbEUlT_E_NS1_11comp_targetILNS1_3genE10ELNS1_11target_archE1200ELNS1_3gpuE4ELNS1_3repE0EEENS1_30default_config_static_selectorELNS0_4arch9wavefront6targetE1EEEvT1_
    .private_segment_fixed_size: 0
    .sgpr_count:     6
    .sgpr_spill_count: 0
    .symbol:         _ZN7rocprim17ROCPRIM_400000_NS6detail17trampoline_kernelINS0_14default_configENS1_25transform_config_selectorItLb0EEEZNS1_14transform_implILb0ES3_S5_PtN6thrust23THRUST_200600_302600_NS6detail15normal_iteratorINS9_10device_ptrItEEEENS0_8identityItEEEE10hipError_tT2_T3_mT4_P12ihipStream_tbEUlT_E_NS1_11comp_targetILNS1_3genE10ELNS1_11target_archE1200ELNS1_3gpuE4ELNS1_3repE0EEENS1_30default_config_static_selectorELNS0_4arch9wavefront6targetE1EEEvT1_.kd
    .uniform_work_group_size: 1
    .uses_dynamic_stack: false
    .vgpr_count:     0
    .vgpr_spill_count: 0
    .wavefront_size: 64
  - .agpr_count:     0
    .args:
      - .offset:         0
        .size:           40
        .value_kind:     by_value
    .group_segment_fixed_size: 0
    .kernarg_segment_align: 8
    .kernarg_segment_size: 40
    .language:       OpenCL C
    .language_version:
      - 2
      - 0
    .max_flat_workgroup_size: 1024
    .name:           _ZN7rocprim17ROCPRIM_400000_NS6detail17trampoline_kernelINS0_14default_configENS1_25transform_config_selectorItLb0EEEZNS1_14transform_implILb0ES3_S5_PtN6thrust23THRUST_200600_302600_NS6detail15normal_iteratorINS9_10device_ptrItEEEENS0_8identityItEEEE10hipError_tT2_T3_mT4_P12ihipStream_tbEUlT_E_NS1_11comp_targetILNS1_3genE9ELNS1_11target_archE1100ELNS1_3gpuE3ELNS1_3repE0EEENS1_30default_config_static_selectorELNS0_4arch9wavefront6targetE1EEEvT1_
    .private_segment_fixed_size: 0
    .sgpr_count:     6
    .sgpr_spill_count: 0
    .symbol:         _ZN7rocprim17ROCPRIM_400000_NS6detail17trampoline_kernelINS0_14default_configENS1_25transform_config_selectorItLb0EEEZNS1_14transform_implILb0ES3_S5_PtN6thrust23THRUST_200600_302600_NS6detail15normal_iteratorINS9_10device_ptrItEEEENS0_8identityItEEEE10hipError_tT2_T3_mT4_P12ihipStream_tbEUlT_E_NS1_11comp_targetILNS1_3genE9ELNS1_11target_archE1100ELNS1_3gpuE3ELNS1_3repE0EEENS1_30default_config_static_selectorELNS0_4arch9wavefront6targetE1EEEvT1_.kd
    .uniform_work_group_size: 1
    .uses_dynamic_stack: false
    .vgpr_count:     0
    .vgpr_spill_count: 0
    .wavefront_size: 64
  - .agpr_count:     0
    .args:
      - .offset:         0
        .size:           40
        .value_kind:     by_value
    .group_segment_fixed_size: 0
    .kernarg_segment_align: 8
    .kernarg_segment_size: 40
    .language:       OpenCL C
    .language_version:
      - 2
      - 0
    .max_flat_workgroup_size: 1024
    .name:           _ZN7rocprim17ROCPRIM_400000_NS6detail17trampoline_kernelINS0_14default_configENS1_25transform_config_selectorItLb0EEEZNS1_14transform_implILb0ES3_S5_PtN6thrust23THRUST_200600_302600_NS6detail15normal_iteratorINS9_10device_ptrItEEEENS0_8identityItEEEE10hipError_tT2_T3_mT4_P12ihipStream_tbEUlT_E_NS1_11comp_targetILNS1_3genE8ELNS1_11target_archE1030ELNS1_3gpuE2ELNS1_3repE0EEENS1_30default_config_static_selectorELNS0_4arch9wavefront6targetE1EEEvT1_
    .private_segment_fixed_size: 0
    .sgpr_count:     6
    .sgpr_spill_count: 0
    .symbol:         _ZN7rocprim17ROCPRIM_400000_NS6detail17trampoline_kernelINS0_14default_configENS1_25transform_config_selectorItLb0EEEZNS1_14transform_implILb0ES3_S5_PtN6thrust23THRUST_200600_302600_NS6detail15normal_iteratorINS9_10device_ptrItEEEENS0_8identityItEEEE10hipError_tT2_T3_mT4_P12ihipStream_tbEUlT_E_NS1_11comp_targetILNS1_3genE8ELNS1_11target_archE1030ELNS1_3gpuE2ELNS1_3repE0EEENS1_30default_config_static_selectorELNS0_4arch9wavefront6targetE1EEEvT1_.kd
    .uniform_work_group_size: 1
    .uses_dynamic_stack: false
    .vgpr_count:     0
    .vgpr_spill_count: 0
    .wavefront_size: 64
  - .agpr_count:     0
    .args:
      - .offset:         0
        .size:           40
        .value_kind:     by_value
    .group_segment_fixed_size: 0
    .kernarg_segment_align: 8
    .kernarg_segment_size: 40
    .language:       OpenCL C
    .language_version:
      - 2
      - 0
    .max_flat_workgroup_size: 128
    .name:           _ZN7rocprim17ROCPRIM_400000_NS6detail17trampoline_kernelINS0_14default_configENS1_38merge_sort_block_merge_config_selectorIttEEZZNS1_27merge_sort_block_merge_implIS3_N6thrust23THRUST_200600_302600_NS6detail15normal_iteratorINS8_10device_ptrItEEEESD_jNS1_19radix_merge_compareILb0ELb1EtNS0_19identity_decomposerEEEEE10hipError_tT0_T1_T2_jT3_P12ihipStream_tbPNSt15iterator_traitsISI_E10value_typeEPNSO_ISJ_E10value_typeEPSK_NS1_7vsmem_tEENKUlT_SI_SJ_SK_E_clIPtSD_S10_SD_EESH_SX_SI_SJ_SK_EUlSX_E_NS1_11comp_targetILNS1_3genE0ELNS1_11target_archE4294967295ELNS1_3gpuE0ELNS1_3repE0EEENS1_48merge_mergepath_partition_config_static_selectorELNS0_4arch9wavefront6targetE1EEEvSJ_
    .private_segment_fixed_size: 0
    .sgpr_count:     16
    .sgpr_spill_count: 0
    .symbol:         _ZN7rocprim17ROCPRIM_400000_NS6detail17trampoline_kernelINS0_14default_configENS1_38merge_sort_block_merge_config_selectorIttEEZZNS1_27merge_sort_block_merge_implIS3_N6thrust23THRUST_200600_302600_NS6detail15normal_iteratorINS8_10device_ptrItEEEESD_jNS1_19radix_merge_compareILb0ELb1EtNS0_19identity_decomposerEEEEE10hipError_tT0_T1_T2_jT3_P12ihipStream_tbPNSt15iterator_traitsISI_E10value_typeEPNSO_ISJ_E10value_typeEPSK_NS1_7vsmem_tEENKUlT_SI_SJ_SK_E_clIPtSD_S10_SD_EESH_SX_SI_SJ_SK_EUlSX_E_NS1_11comp_targetILNS1_3genE0ELNS1_11target_archE4294967295ELNS1_3gpuE0ELNS1_3repE0EEENS1_48merge_mergepath_partition_config_static_selectorELNS0_4arch9wavefront6targetE1EEEvSJ_.kd
    .uniform_work_group_size: 1
    .uses_dynamic_stack: false
    .vgpr_count:     17
    .vgpr_spill_count: 0
    .wavefront_size: 64
  - .agpr_count:     0
    .args:
      - .offset:         0
        .size:           40
        .value_kind:     by_value
    .group_segment_fixed_size: 0
    .kernarg_segment_align: 8
    .kernarg_segment_size: 40
    .language:       OpenCL C
    .language_version:
      - 2
      - 0
    .max_flat_workgroup_size: 128
    .name:           _ZN7rocprim17ROCPRIM_400000_NS6detail17trampoline_kernelINS0_14default_configENS1_38merge_sort_block_merge_config_selectorIttEEZZNS1_27merge_sort_block_merge_implIS3_N6thrust23THRUST_200600_302600_NS6detail15normal_iteratorINS8_10device_ptrItEEEESD_jNS1_19radix_merge_compareILb0ELb1EtNS0_19identity_decomposerEEEEE10hipError_tT0_T1_T2_jT3_P12ihipStream_tbPNSt15iterator_traitsISI_E10value_typeEPNSO_ISJ_E10value_typeEPSK_NS1_7vsmem_tEENKUlT_SI_SJ_SK_E_clIPtSD_S10_SD_EESH_SX_SI_SJ_SK_EUlSX_E_NS1_11comp_targetILNS1_3genE10ELNS1_11target_archE1201ELNS1_3gpuE5ELNS1_3repE0EEENS1_48merge_mergepath_partition_config_static_selectorELNS0_4arch9wavefront6targetE1EEEvSJ_
    .private_segment_fixed_size: 0
    .sgpr_count:     6
    .sgpr_spill_count: 0
    .symbol:         _ZN7rocprim17ROCPRIM_400000_NS6detail17trampoline_kernelINS0_14default_configENS1_38merge_sort_block_merge_config_selectorIttEEZZNS1_27merge_sort_block_merge_implIS3_N6thrust23THRUST_200600_302600_NS6detail15normal_iteratorINS8_10device_ptrItEEEESD_jNS1_19radix_merge_compareILb0ELb1EtNS0_19identity_decomposerEEEEE10hipError_tT0_T1_T2_jT3_P12ihipStream_tbPNSt15iterator_traitsISI_E10value_typeEPNSO_ISJ_E10value_typeEPSK_NS1_7vsmem_tEENKUlT_SI_SJ_SK_E_clIPtSD_S10_SD_EESH_SX_SI_SJ_SK_EUlSX_E_NS1_11comp_targetILNS1_3genE10ELNS1_11target_archE1201ELNS1_3gpuE5ELNS1_3repE0EEENS1_48merge_mergepath_partition_config_static_selectorELNS0_4arch9wavefront6targetE1EEEvSJ_.kd
    .uniform_work_group_size: 1
    .uses_dynamic_stack: false
    .vgpr_count:     0
    .vgpr_spill_count: 0
    .wavefront_size: 64
  - .agpr_count:     0
    .args:
      - .offset:         0
        .size:           40
        .value_kind:     by_value
    .group_segment_fixed_size: 0
    .kernarg_segment_align: 8
    .kernarg_segment_size: 40
    .language:       OpenCL C
    .language_version:
      - 2
      - 0
    .max_flat_workgroup_size: 128
    .name:           _ZN7rocprim17ROCPRIM_400000_NS6detail17trampoline_kernelINS0_14default_configENS1_38merge_sort_block_merge_config_selectorIttEEZZNS1_27merge_sort_block_merge_implIS3_N6thrust23THRUST_200600_302600_NS6detail15normal_iteratorINS8_10device_ptrItEEEESD_jNS1_19radix_merge_compareILb0ELb1EtNS0_19identity_decomposerEEEEE10hipError_tT0_T1_T2_jT3_P12ihipStream_tbPNSt15iterator_traitsISI_E10value_typeEPNSO_ISJ_E10value_typeEPSK_NS1_7vsmem_tEENKUlT_SI_SJ_SK_E_clIPtSD_S10_SD_EESH_SX_SI_SJ_SK_EUlSX_E_NS1_11comp_targetILNS1_3genE5ELNS1_11target_archE942ELNS1_3gpuE9ELNS1_3repE0EEENS1_48merge_mergepath_partition_config_static_selectorELNS0_4arch9wavefront6targetE1EEEvSJ_
    .private_segment_fixed_size: 0
    .sgpr_count:     6
    .sgpr_spill_count: 0
    .symbol:         _ZN7rocprim17ROCPRIM_400000_NS6detail17trampoline_kernelINS0_14default_configENS1_38merge_sort_block_merge_config_selectorIttEEZZNS1_27merge_sort_block_merge_implIS3_N6thrust23THRUST_200600_302600_NS6detail15normal_iteratorINS8_10device_ptrItEEEESD_jNS1_19radix_merge_compareILb0ELb1EtNS0_19identity_decomposerEEEEE10hipError_tT0_T1_T2_jT3_P12ihipStream_tbPNSt15iterator_traitsISI_E10value_typeEPNSO_ISJ_E10value_typeEPSK_NS1_7vsmem_tEENKUlT_SI_SJ_SK_E_clIPtSD_S10_SD_EESH_SX_SI_SJ_SK_EUlSX_E_NS1_11comp_targetILNS1_3genE5ELNS1_11target_archE942ELNS1_3gpuE9ELNS1_3repE0EEENS1_48merge_mergepath_partition_config_static_selectorELNS0_4arch9wavefront6targetE1EEEvSJ_.kd
    .uniform_work_group_size: 1
    .uses_dynamic_stack: false
    .vgpr_count:     0
    .vgpr_spill_count: 0
    .wavefront_size: 64
  - .agpr_count:     0
    .args:
      - .offset:         0
        .size:           40
        .value_kind:     by_value
    .group_segment_fixed_size: 0
    .kernarg_segment_align: 8
    .kernarg_segment_size: 40
    .language:       OpenCL C
    .language_version:
      - 2
      - 0
    .max_flat_workgroup_size: 128
    .name:           _ZN7rocprim17ROCPRIM_400000_NS6detail17trampoline_kernelINS0_14default_configENS1_38merge_sort_block_merge_config_selectorIttEEZZNS1_27merge_sort_block_merge_implIS3_N6thrust23THRUST_200600_302600_NS6detail15normal_iteratorINS8_10device_ptrItEEEESD_jNS1_19radix_merge_compareILb0ELb1EtNS0_19identity_decomposerEEEEE10hipError_tT0_T1_T2_jT3_P12ihipStream_tbPNSt15iterator_traitsISI_E10value_typeEPNSO_ISJ_E10value_typeEPSK_NS1_7vsmem_tEENKUlT_SI_SJ_SK_E_clIPtSD_S10_SD_EESH_SX_SI_SJ_SK_EUlSX_E_NS1_11comp_targetILNS1_3genE4ELNS1_11target_archE910ELNS1_3gpuE8ELNS1_3repE0EEENS1_48merge_mergepath_partition_config_static_selectorELNS0_4arch9wavefront6targetE1EEEvSJ_
    .private_segment_fixed_size: 0
    .sgpr_count:     6
    .sgpr_spill_count: 0
    .symbol:         _ZN7rocprim17ROCPRIM_400000_NS6detail17trampoline_kernelINS0_14default_configENS1_38merge_sort_block_merge_config_selectorIttEEZZNS1_27merge_sort_block_merge_implIS3_N6thrust23THRUST_200600_302600_NS6detail15normal_iteratorINS8_10device_ptrItEEEESD_jNS1_19radix_merge_compareILb0ELb1EtNS0_19identity_decomposerEEEEE10hipError_tT0_T1_T2_jT3_P12ihipStream_tbPNSt15iterator_traitsISI_E10value_typeEPNSO_ISJ_E10value_typeEPSK_NS1_7vsmem_tEENKUlT_SI_SJ_SK_E_clIPtSD_S10_SD_EESH_SX_SI_SJ_SK_EUlSX_E_NS1_11comp_targetILNS1_3genE4ELNS1_11target_archE910ELNS1_3gpuE8ELNS1_3repE0EEENS1_48merge_mergepath_partition_config_static_selectorELNS0_4arch9wavefront6targetE1EEEvSJ_.kd
    .uniform_work_group_size: 1
    .uses_dynamic_stack: false
    .vgpr_count:     0
    .vgpr_spill_count: 0
    .wavefront_size: 64
  - .agpr_count:     0
    .args:
      - .offset:         0
        .size:           40
        .value_kind:     by_value
    .group_segment_fixed_size: 0
    .kernarg_segment_align: 8
    .kernarg_segment_size: 40
    .language:       OpenCL C
    .language_version:
      - 2
      - 0
    .max_flat_workgroup_size: 128
    .name:           _ZN7rocprim17ROCPRIM_400000_NS6detail17trampoline_kernelINS0_14default_configENS1_38merge_sort_block_merge_config_selectorIttEEZZNS1_27merge_sort_block_merge_implIS3_N6thrust23THRUST_200600_302600_NS6detail15normal_iteratorINS8_10device_ptrItEEEESD_jNS1_19radix_merge_compareILb0ELb1EtNS0_19identity_decomposerEEEEE10hipError_tT0_T1_T2_jT3_P12ihipStream_tbPNSt15iterator_traitsISI_E10value_typeEPNSO_ISJ_E10value_typeEPSK_NS1_7vsmem_tEENKUlT_SI_SJ_SK_E_clIPtSD_S10_SD_EESH_SX_SI_SJ_SK_EUlSX_E_NS1_11comp_targetILNS1_3genE3ELNS1_11target_archE908ELNS1_3gpuE7ELNS1_3repE0EEENS1_48merge_mergepath_partition_config_static_selectorELNS0_4arch9wavefront6targetE1EEEvSJ_
    .private_segment_fixed_size: 0
    .sgpr_count:     6
    .sgpr_spill_count: 0
    .symbol:         _ZN7rocprim17ROCPRIM_400000_NS6detail17trampoline_kernelINS0_14default_configENS1_38merge_sort_block_merge_config_selectorIttEEZZNS1_27merge_sort_block_merge_implIS3_N6thrust23THRUST_200600_302600_NS6detail15normal_iteratorINS8_10device_ptrItEEEESD_jNS1_19radix_merge_compareILb0ELb1EtNS0_19identity_decomposerEEEEE10hipError_tT0_T1_T2_jT3_P12ihipStream_tbPNSt15iterator_traitsISI_E10value_typeEPNSO_ISJ_E10value_typeEPSK_NS1_7vsmem_tEENKUlT_SI_SJ_SK_E_clIPtSD_S10_SD_EESH_SX_SI_SJ_SK_EUlSX_E_NS1_11comp_targetILNS1_3genE3ELNS1_11target_archE908ELNS1_3gpuE7ELNS1_3repE0EEENS1_48merge_mergepath_partition_config_static_selectorELNS0_4arch9wavefront6targetE1EEEvSJ_.kd
    .uniform_work_group_size: 1
    .uses_dynamic_stack: false
    .vgpr_count:     0
    .vgpr_spill_count: 0
    .wavefront_size: 64
  - .agpr_count:     0
    .args:
      - .offset:         0
        .size:           40
        .value_kind:     by_value
    .group_segment_fixed_size: 0
    .kernarg_segment_align: 8
    .kernarg_segment_size: 40
    .language:       OpenCL C
    .language_version:
      - 2
      - 0
    .max_flat_workgroup_size: 128
    .name:           _ZN7rocprim17ROCPRIM_400000_NS6detail17trampoline_kernelINS0_14default_configENS1_38merge_sort_block_merge_config_selectorIttEEZZNS1_27merge_sort_block_merge_implIS3_N6thrust23THRUST_200600_302600_NS6detail15normal_iteratorINS8_10device_ptrItEEEESD_jNS1_19radix_merge_compareILb0ELb1EtNS0_19identity_decomposerEEEEE10hipError_tT0_T1_T2_jT3_P12ihipStream_tbPNSt15iterator_traitsISI_E10value_typeEPNSO_ISJ_E10value_typeEPSK_NS1_7vsmem_tEENKUlT_SI_SJ_SK_E_clIPtSD_S10_SD_EESH_SX_SI_SJ_SK_EUlSX_E_NS1_11comp_targetILNS1_3genE2ELNS1_11target_archE906ELNS1_3gpuE6ELNS1_3repE0EEENS1_48merge_mergepath_partition_config_static_selectorELNS0_4arch9wavefront6targetE1EEEvSJ_
    .private_segment_fixed_size: 0
    .sgpr_count:     6
    .sgpr_spill_count: 0
    .symbol:         _ZN7rocprim17ROCPRIM_400000_NS6detail17trampoline_kernelINS0_14default_configENS1_38merge_sort_block_merge_config_selectorIttEEZZNS1_27merge_sort_block_merge_implIS3_N6thrust23THRUST_200600_302600_NS6detail15normal_iteratorINS8_10device_ptrItEEEESD_jNS1_19radix_merge_compareILb0ELb1EtNS0_19identity_decomposerEEEEE10hipError_tT0_T1_T2_jT3_P12ihipStream_tbPNSt15iterator_traitsISI_E10value_typeEPNSO_ISJ_E10value_typeEPSK_NS1_7vsmem_tEENKUlT_SI_SJ_SK_E_clIPtSD_S10_SD_EESH_SX_SI_SJ_SK_EUlSX_E_NS1_11comp_targetILNS1_3genE2ELNS1_11target_archE906ELNS1_3gpuE6ELNS1_3repE0EEENS1_48merge_mergepath_partition_config_static_selectorELNS0_4arch9wavefront6targetE1EEEvSJ_.kd
    .uniform_work_group_size: 1
    .uses_dynamic_stack: false
    .vgpr_count:     0
    .vgpr_spill_count: 0
    .wavefront_size: 64
  - .agpr_count:     0
    .args:
      - .offset:         0
        .size:           40
        .value_kind:     by_value
    .group_segment_fixed_size: 0
    .kernarg_segment_align: 8
    .kernarg_segment_size: 40
    .language:       OpenCL C
    .language_version:
      - 2
      - 0
    .max_flat_workgroup_size: 128
    .name:           _ZN7rocprim17ROCPRIM_400000_NS6detail17trampoline_kernelINS0_14default_configENS1_38merge_sort_block_merge_config_selectorIttEEZZNS1_27merge_sort_block_merge_implIS3_N6thrust23THRUST_200600_302600_NS6detail15normal_iteratorINS8_10device_ptrItEEEESD_jNS1_19radix_merge_compareILb0ELb1EtNS0_19identity_decomposerEEEEE10hipError_tT0_T1_T2_jT3_P12ihipStream_tbPNSt15iterator_traitsISI_E10value_typeEPNSO_ISJ_E10value_typeEPSK_NS1_7vsmem_tEENKUlT_SI_SJ_SK_E_clIPtSD_S10_SD_EESH_SX_SI_SJ_SK_EUlSX_E_NS1_11comp_targetILNS1_3genE9ELNS1_11target_archE1100ELNS1_3gpuE3ELNS1_3repE0EEENS1_48merge_mergepath_partition_config_static_selectorELNS0_4arch9wavefront6targetE1EEEvSJ_
    .private_segment_fixed_size: 0
    .sgpr_count:     6
    .sgpr_spill_count: 0
    .symbol:         _ZN7rocprim17ROCPRIM_400000_NS6detail17trampoline_kernelINS0_14default_configENS1_38merge_sort_block_merge_config_selectorIttEEZZNS1_27merge_sort_block_merge_implIS3_N6thrust23THRUST_200600_302600_NS6detail15normal_iteratorINS8_10device_ptrItEEEESD_jNS1_19radix_merge_compareILb0ELb1EtNS0_19identity_decomposerEEEEE10hipError_tT0_T1_T2_jT3_P12ihipStream_tbPNSt15iterator_traitsISI_E10value_typeEPNSO_ISJ_E10value_typeEPSK_NS1_7vsmem_tEENKUlT_SI_SJ_SK_E_clIPtSD_S10_SD_EESH_SX_SI_SJ_SK_EUlSX_E_NS1_11comp_targetILNS1_3genE9ELNS1_11target_archE1100ELNS1_3gpuE3ELNS1_3repE0EEENS1_48merge_mergepath_partition_config_static_selectorELNS0_4arch9wavefront6targetE1EEEvSJ_.kd
    .uniform_work_group_size: 1
    .uses_dynamic_stack: false
    .vgpr_count:     0
    .vgpr_spill_count: 0
    .wavefront_size: 64
  - .agpr_count:     0
    .args:
      - .offset:         0
        .size:           40
        .value_kind:     by_value
    .group_segment_fixed_size: 0
    .kernarg_segment_align: 8
    .kernarg_segment_size: 40
    .language:       OpenCL C
    .language_version:
      - 2
      - 0
    .max_flat_workgroup_size: 128
    .name:           _ZN7rocprim17ROCPRIM_400000_NS6detail17trampoline_kernelINS0_14default_configENS1_38merge_sort_block_merge_config_selectorIttEEZZNS1_27merge_sort_block_merge_implIS3_N6thrust23THRUST_200600_302600_NS6detail15normal_iteratorINS8_10device_ptrItEEEESD_jNS1_19radix_merge_compareILb0ELb1EtNS0_19identity_decomposerEEEEE10hipError_tT0_T1_T2_jT3_P12ihipStream_tbPNSt15iterator_traitsISI_E10value_typeEPNSO_ISJ_E10value_typeEPSK_NS1_7vsmem_tEENKUlT_SI_SJ_SK_E_clIPtSD_S10_SD_EESH_SX_SI_SJ_SK_EUlSX_E_NS1_11comp_targetILNS1_3genE8ELNS1_11target_archE1030ELNS1_3gpuE2ELNS1_3repE0EEENS1_48merge_mergepath_partition_config_static_selectorELNS0_4arch9wavefront6targetE1EEEvSJ_
    .private_segment_fixed_size: 0
    .sgpr_count:     6
    .sgpr_spill_count: 0
    .symbol:         _ZN7rocprim17ROCPRIM_400000_NS6detail17trampoline_kernelINS0_14default_configENS1_38merge_sort_block_merge_config_selectorIttEEZZNS1_27merge_sort_block_merge_implIS3_N6thrust23THRUST_200600_302600_NS6detail15normal_iteratorINS8_10device_ptrItEEEESD_jNS1_19radix_merge_compareILb0ELb1EtNS0_19identity_decomposerEEEEE10hipError_tT0_T1_T2_jT3_P12ihipStream_tbPNSt15iterator_traitsISI_E10value_typeEPNSO_ISJ_E10value_typeEPSK_NS1_7vsmem_tEENKUlT_SI_SJ_SK_E_clIPtSD_S10_SD_EESH_SX_SI_SJ_SK_EUlSX_E_NS1_11comp_targetILNS1_3genE8ELNS1_11target_archE1030ELNS1_3gpuE2ELNS1_3repE0EEENS1_48merge_mergepath_partition_config_static_selectorELNS0_4arch9wavefront6targetE1EEEvSJ_.kd
    .uniform_work_group_size: 1
    .uses_dynamic_stack: false
    .vgpr_count:     0
    .vgpr_spill_count: 0
    .wavefront_size: 64
  - .agpr_count:     0
    .args:
      - .offset:         0
        .size:           64
        .value_kind:     by_value
      - .offset:         64
        .size:           4
        .value_kind:     hidden_block_count_x
      - .offset:         68
        .size:           4
        .value_kind:     hidden_block_count_y
      - .offset:         72
        .size:           4
        .value_kind:     hidden_block_count_z
      - .offset:         76
        .size:           2
        .value_kind:     hidden_group_size_x
      - .offset:         78
        .size:           2
        .value_kind:     hidden_group_size_y
      - .offset:         80
        .size:           2
        .value_kind:     hidden_group_size_z
      - .offset:         82
        .size:           2
        .value_kind:     hidden_remainder_x
      - .offset:         84
        .size:           2
        .value_kind:     hidden_remainder_y
      - .offset:         86
        .size:           2
        .value_kind:     hidden_remainder_z
      - .offset:         104
        .size:           8
        .value_kind:     hidden_global_offset_x
      - .offset:         112
        .size:           8
        .value_kind:     hidden_global_offset_y
      - .offset:         120
        .size:           8
        .value_kind:     hidden_global_offset_z
      - .offset:         128
        .size:           2
        .value_kind:     hidden_grid_dims
    .group_segment_fixed_size: 2112
    .kernarg_segment_align: 8
    .kernarg_segment_size: 320
    .language:       OpenCL C
    .language_version:
      - 2
      - 0
    .max_flat_workgroup_size: 128
    .name:           _ZN7rocprim17ROCPRIM_400000_NS6detail17trampoline_kernelINS0_14default_configENS1_38merge_sort_block_merge_config_selectorIttEEZZNS1_27merge_sort_block_merge_implIS3_N6thrust23THRUST_200600_302600_NS6detail15normal_iteratorINS8_10device_ptrItEEEESD_jNS1_19radix_merge_compareILb0ELb1EtNS0_19identity_decomposerEEEEE10hipError_tT0_T1_T2_jT3_P12ihipStream_tbPNSt15iterator_traitsISI_E10value_typeEPNSO_ISJ_E10value_typeEPSK_NS1_7vsmem_tEENKUlT_SI_SJ_SK_E_clIPtSD_S10_SD_EESH_SX_SI_SJ_SK_EUlSX_E0_NS1_11comp_targetILNS1_3genE0ELNS1_11target_archE4294967295ELNS1_3gpuE0ELNS1_3repE0EEENS1_38merge_mergepath_config_static_selectorELNS0_4arch9wavefront6targetE1EEEvSJ_
    .private_segment_fixed_size: 0
    .sgpr_count:     38
    .sgpr_spill_count: 0
    .symbol:         _ZN7rocprim17ROCPRIM_400000_NS6detail17trampoline_kernelINS0_14default_configENS1_38merge_sort_block_merge_config_selectorIttEEZZNS1_27merge_sort_block_merge_implIS3_N6thrust23THRUST_200600_302600_NS6detail15normal_iteratorINS8_10device_ptrItEEEESD_jNS1_19radix_merge_compareILb0ELb1EtNS0_19identity_decomposerEEEEE10hipError_tT0_T1_T2_jT3_P12ihipStream_tbPNSt15iterator_traitsISI_E10value_typeEPNSO_ISJ_E10value_typeEPSK_NS1_7vsmem_tEENKUlT_SI_SJ_SK_E_clIPtSD_S10_SD_EESH_SX_SI_SJ_SK_EUlSX_E0_NS1_11comp_targetILNS1_3genE0ELNS1_11target_archE4294967295ELNS1_3gpuE0ELNS1_3repE0EEENS1_38merge_mergepath_config_static_selectorELNS0_4arch9wavefront6targetE1EEEvSJ_.kd
    .uniform_work_group_size: 1
    .uses_dynamic_stack: false
    .vgpr_count:     36
    .vgpr_spill_count: 0
    .wavefront_size: 64
  - .agpr_count:     0
    .args:
      - .offset:         0
        .size:           64
        .value_kind:     by_value
    .group_segment_fixed_size: 0
    .kernarg_segment_align: 8
    .kernarg_segment_size: 64
    .language:       OpenCL C
    .language_version:
      - 2
      - 0
    .max_flat_workgroup_size: 128
    .name:           _ZN7rocprim17ROCPRIM_400000_NS6detail17trampoline_kernelINS0_14default_configENS1_38merge_sort_block_merge_config_selectorIttEEZZNS1_27merge_sort_block_merge_implIS3_N6thrust23THRUST_200600_302600_NS6detail15normal_iteratorINS8_10device_ptrItEEEESD_jNS1_19radix_merge_compareILb0ELb1EtNS0_19identity_decomposerEEEEE10hipError_tT0_T1_T2_jT3_P12ihipStream_tbPNSt15iterator_traitsISI_E10value_typeEPNSO_ISJ_E10value_typeEPSK_NS1_7vsmem_tEENKUlT_SI_SJ_SK_E_clIPtSD_S10_SD_EESH_SX_SI_SJ_SK_EUlSX_E0_NS1_11comp_targetILNS1_3genE10ELNS1_11target_archE1201ELNS1_3gpuE5ELNS1_3repE0EEENS1_38merge_mergepath_config_static_selectorELNS0_4arch9wavefront6targetE1EEEvSJ_
    .private_segment_fixed_size: 0
    .sgpr_count:     6
    .sgpr_spill_count: 0
    .symbol:         _ZN7rocprim17ROCPRIM_400000_NS6detail17trampoline_kernelINS0_14default_configENS1_38merge_sort_block_merge_config_selectorIttEEZZNS1_27merge_sort_block_merge_implIS3_N6thrust23THRUST_200600_302600_NS6detail15normal_iteratorINS8_10device_ptrItEEEESD_jNS1_19radix_merge_compareILb0ELb1EtNS0_19identity_decomposerEEEEE10hipError_tT0_T1_T2_jT3_P12ihipStream_tbPNSt15iterator_traitsISI_E10value_typeEPNSO_ISJ_E10value_typeEPSK_NS1_7vsmem_tEENKUlT_SI_SJ_SK_E_clIPtSD_S10_SD_EESH_SX_SI_SJ_SK_EUlSX_E0_NS1_11comp_targetILNS1_3genE10ELNS1_11target_archE1201ELNS1_3gpuE5ELNS1_3repE0EEENS1_38merge_mergepath_config_static_selectorELNS0_4arch9wavefront6targetE1EEEvSJ_.kd
    .uniform_work_group_size: 1
    .uses_dynamic_stack: false
    .vgpr_count:     0
    .vgpr_spill_count: 0
    .wavefront_size: 64
  - .agpr_count:     0
    .args:
      - .offset:         0
        .size:           64
        .value_kind:     by_value
    .group_segment_fixed_size: 0
    .kernarg_segment_align: 8
    .kernarg_segment_size: 64
    .language:       OpenCL C
    .language_version:
      - 2
      - 0
    .max_flat_workgroup_size: 128
    .name:           _ZN7rocprim17ROCPRIM_400000_NS6detail17trampoline_kernelINS0_14default_configENS1_38merge_sort_block_merge_config_selectorIttEEZZNS1_27merge_sort_block_merge_implIS3_N6thrust23THRUST_200600_302600_NS6detail15normal_iteratorINS8_10device_ptrItEEEESD_jNS1_19radix_merge_compareILb0ELb1EtNS0_19identity_decomposerEEEEE10hipError_tT0_T1_T2_jT3_P12ihipStream_tbPNSt15iterator_traitsISI_E10value_typeEPNSO_ISJ_E10value_typeEPSK_NS1_7vsmem_tEENKUlT_SI_SJ_SK_E_clIPtSD_S10_SD_EESH_SX_SI_SJ_SK_EUlSX_E0_NS1_11comp_targetILNS1_3genE5ELNS1_11target_archE942ELNS1_3gpuE9ELNS1_3repE0EEENS1_38merge_mergepath_config_static_selectorELNS0_4arch9wavefront6targetE1EEEvSJ_
    .private_segment_fixed_size: 0
    .sgpr_count:     6
    .sgpr_spill_count: 0
    .symbol:         _ZN7rocprim17ROCPRIM_400000_NS6detail17trampoline_kernelINS0_14default_configENS1_38merge_sort_block_merge_config_selectorIttEEZZNS1_27merge_sort_block_merge_implIS3_N6thrust23THRUST_200600_302600_NS6detail15normal_iteratorINS8_10device_ptrItEEEESD_jNS1_19radix_merge_compareILb0ELb1EtNS0_19identity_decomposerEEEEE10hipError_tT0_T1_T2_jT3_P12ihipStream_tbPNSt15iterator_traitsISI_E10value_typeEPNSO_ISJ_E10value_typeEPSK_NS1_7vsmem_tEENKUlT_SI_SJ_SK_E_clIPtSD_S10_SD_EESH_SX_SI_SJ_SK_EUlSX_E0_NS1_11comp_targetILNS1_3genE5ELNS1_11target_archE942ELNS1_3gpuE9ELNS1_3repE0EEENS1_38merge_mergepath_config_static_selectorELNS0_4arch9wavefront6targetE1EEEvSJ_.kd
    .uniform_work_group_size: 1
    .uses_dynamic_stack: false
    .vgpr_count:     0
    .vgpr_spill_count: 0
    .wavefront_size: 64
  - .agpr_count:     0
    .args:
      - .offset:         0
        .size:           64
        .value_kind:     by_value
    .group_segment_fixed_size: 0
    .kernarg_segment_align: 8
    .kernarg_segment_size: 64
    .language:       OpenCL C
    .language_version:
      - 2
      - 0
    .max_flat_workgroup_size: 128
    .name:           _ZN7rocprim17ROCPRIM_400000_NS6detail17trampoline_kernelINS0_14default_configENS1_38merge_sort_block_merge_config_selectorIttEEZZNS1_27merge_sort_block_merge_implIS3_N6thrust23THRUST_200600_302600_NS6detail15normal_iteratorINS8_10device_ptrItEEEESD_jNS1_19radix_merge_compareILb0ELb1EtNS0_19identity_decomposerEEEEE10hipError_tT0_T1_T2_jT3_P12ihipStream_tbPNSt15iterator_traitsISI_E10value_typeEPNSO_ISJ_E10value_typeEPSK_NS1_7vsmem_tEENKUlT_SI_SJ_SK_E_clIPtSD_S10_SD_EESH_SX_SI_SJ_SK_EUlSX_E0_NS1_11comp_targetILNS1_3genE4ELNS1_11target_archE910ELNS1_3gpuE8ELNS1_3repE0EEENS1_38merge_mergepath_config_static_selectorELNS0_4arch9wavefront6targetE1EEEvSJ_
    .private_segment_fixed_size: 0
    .sgpr_count:     6
    .sgpr_spill_count: 0
    .symbol:         _ZN7rocprim17ROCPRIM_400000_NS6detail17trampoline_kernelINS0_14default_configENS1_38merge_sort_block_merge_config_selectorIttEEZZNS1_27merge_sort_block_merge_implIS3_N6thrust23THRUST_200600_302600_NS6detail15normal_iteratorINS8_10device_ptrItEEEESD_jNS1_19radix_merge_compareILb0ELb1EtNS0_19identity_decomposerEEEEE10hipError_tT0_T1_T2_jT3_P12ihipStream_tbPNSt15iterator_traitsISI_E10value_typeEPNSO_ISJ_E10value_typeEPSK_NS1_7vsmem_tEENKUlT_SI_SJ_SK_E_clIPtSD_S10_SD_EESH_SX_SI_SJ_SK_EUlSX_E0_NS1_11comp_targetILNS1_3genE4ELNS1_11target_archE910ELNS1_3gpuE8ELNS1_3repE0EEENS1_38merge_mergepath_config_static_selectorELNS0_4arch9wavefront6targetE1EEEvSJ_.kd
    .uniform_work_group_size: 1
    .uses_dynamic_stack: false
    .vgpr_count:     0
    .vgpr_spill_count: 0
    .wavefront_size: 64
  - .agpr_count:     0
    .args:
      - .offset:         0
        .size:           64
        .value_kind:     by_value
    .group_segment_fixed_size: 0
    .kernarg_segment_align: 8
    .kernarg_segment_size: 64
    .language:       OpenCL C
    .language_version:
      - 2
      - 0
    .max_flat_workgroup_size: 128
    .name:           _ZN7rocprim17ROCPRIM_400000_NS6detail17trampoline_kernelINS0_14default_configENS1_38merge_sort_block_merge_config_selectorIttEEZZNS1_27merge_sort_block_merge_implIS3_N6thrust23THRUST_200600_302600_NS6detail15normal_iteratorINS8_10device_ptrItEEEESD_jNS1_19radix_merge_compareILb0ELb1EtNS0_19identity_decomposerEEEEE10hipError_tT0_T1_T2_jT3_P12ihipStream_tbPNSt15iterator_traitsISI_E10value_typeEPNSO_ISJ_E10value_typeEPSK_NS1_7vsmem_tEENKUlT_SI_SJ_SK_E_clIPtSD_S10_SD_EESH_SX_SI_SJ_SK_EUlSX_E0_NS1_11comp_targetILNS1_3genE3ELNS1_11target_archE908ELNS1_3gpuE7ELNS1_3repE0EEENS1_38merge_mergepath_config_static_selectorELNS0_4arch9wavefront6targetE1EEEvSJ_
    .private_segment_fixed_size: 0
    .sgpr_count:     6
    .sgpr_spill_count: 0
    .symbol:         _ZN7rocprim17ROCPRIM_400000_NS6detail17trampoline_kernelINS0_14default_configENS1_38merge_sort_block_merge_config_selectorIttEEZZNS1_27merge_sort_block_merge_implIS3_N6thrust23THRUST_200600_302600_NS6detail15normal_iteratorINS8_10device_ptrItEEEESD_jNS1_19radix_merge_compareILb0ELb1EtNS0_19identity_decomposerEEEEE10hipError_tT0_T1_T2_jT3_P12ihipStream_tbPNSt15iterator_traitsISI_E10value_typeEPNSO_ISJ_E10value_typeEPSK_NS1_7vsmem_tEENKUlT_SI_SJ_SK_E_clIPtSD_S10_SD_EESH_SX_SI_SJ_SK_EUlSX_E0_NS1_11comp_targetILNS1_3genE3ELNS1_11target_archE908ELNS1_3gpuE7ELNS1_3repE0EEENS1_38merge_mergepath_config_static_selectorELNS0_4arch9wavefront6targetE1EEEvSJ_.kd
    .uniform_work_group_size: 1
    .uses_dynamic_stack: false
    .vgpr_count:     0
    .vgpr_spill_count: 0
    .wavefront_size: 64
  - .agpr_count:     0
    .args:
      - .offset:         0
        .size:           64
        .value_kind:     by_value
    .group_segment_fixed_size: 0
    .kernarg_segment_align: 8
    .kernarg_segment_size: 64
    .language:       OpenCL C
    .language_version:
      - 2
      - 0
    .max_flat_workgroup_size: 128
    .name:           _ZN7rocprim17ROCPRIM_400000_NS6detail17trampoline_kernelINS0_14default_configENS1_38merge_sort_block_merge_config_selectorIttEEZZNS1_27merge_sort_block_merge_implIS3_N6thrust23THRUST_200600_302600_NS6detail15normal_iteratorINS8_10device_ptrItEEEESD_jNS1_19radix_merge_compareILb0ELb1EtNS0_19identity_decomposerEEEEE10hipError_tT0_T1_T2_jT3_P12ihipStream_tbPNSt15iterator_traitsISI_E10value_typeEPNSO_ISJ_E10value_typeEPSK_NS1_7vsmem_tEENKUlT_SI_SJ_SK_E_clIPtSD_S10_SD_EESH_SX_SI_SJ_SK_EUlSX_E0_NS1_11comp_targetILNS1_3genE2ELNS1_11target_archE906ELNS1_3gpuE6ELNS1_3repE0EEENS1_38merge_mergepath_config_static_selectorELNS0_4arch9wavefront6targetE1EEEvSJ_
    .private_segment_fixed_size: 0
    .sgpr_count:     6
    .sgpr_spill_count: 0
    .symbol:         _ZN7rocprim17ROCPRIM_400000_NS6detail17trampoline_kernelINS0_14default_configENS1_38merge_sort_block_merge_config_selectorIttEEZZNS1_27merge_sort_block_merge_implIS3_N6thrust23THRUST_200600_302600_NS6detail15normal_iteratorINS8_10device_ptrItEEEESD_jNS1_19radix_merge_compareILb0ELb1EtNS0_19identity_decomposerEEEEE10hipError_tT0_T1_T2_jT3_P12ihipStream_tbPNSt15iterator_traitsISI_E10value_typeEPNSO_ISJ_E10value_typeEPSK_NS1_7vsmem_tEENKUlT_SI_SJ_SK_E_clIPtSD_S10_SD_EESH_SX_SI_SJ_SK_EUlSX_E0_NS1_11comp_targetILNS1_3genE2ELNS1_11target_archE906ELNS1_3gpuE6ELNS1_3repE0EEENS1_38merge_mergepath_config_static_selectorELNS0_4arch9wavefront6targetE1EEEvSJ_.kd
    .uniform_work_group_size: 1
    .uses_dynamic_stack: false
    .vgpr_count:     0
    .vgpr_spill_count: 0
    .wavefront_size: 64
  - .agpr_count:     0
    .args:
      - .offset:         0
        .size:           64
        .value_kind:     by_value
    .group_segment_fixed_size: 0
    .kernarg_segment_align: 8
    .kernarg_segment_size: 64
    .language:       OpenCL C
    .language_version:
      - 2
      - 0
    .max_flat_workgroup_size: 128
    .name:           _ZN7rocprim17ROCPRIM_400000_NS6detail17trampoline_kernelINS0_14default_configENS1_38merge_sort_block_merge_config_selectorIttEEZZNS1_27merge_sort_block_merge_implIS3_N6thrust23THRUST_200600_302600_NS6detail15normal_iteratorINS8_10device_ptrItEEEESD_jNS1_19radix_merge_compareILb0ELb1EtNS0_19identity_decomposerEEEEE10hipError_tT0_T1_T2_jT3_P12ihipStream_tbPNSt15iterator_traitsISI_E10value_typeEPNSO_ISJ_E10value_typeEPSK_NS1_7vsmem_tEENKUlT_SI_SJ_SK_E_clIPtSD_S10_SD_EESH_SX_SI_SJ_SK_EUlSX_E0_NS1_11comp_targetILNS1_3genE9ELNS1_11target_archE1100ELNS1_3gpuE3ELNS1_3repE0EEENS1_38merge_mergepath_config_static_selectorELNS0_4arch9wavefront6targetE1EEEvSJ_
    .private_segment_fixed_size: 0
    .sgpr_count:     6
    .sgpr_spill_count: 0
    .symbol:         _ZN7rocprim17ROCPRIM_400000_NS6detail17trampoline_kernelINS0_14default_configENS1_38merge_sort_block_merge_config_selectorIttEEZZNS1_27merge_sort_block_merge_implIS3_N6thrust23THRUST_200600_302600_NS6detail15normal_iteratorINS8_10device_ptrItEEEESD_jNS1_19radix_merge_compareILb0ELb1EtNS0_19identity_decomposerEEEEE10hipError_tT0_T1_T2_jT3_P12ihipStream_tbPNSt15iterator_traitsISI_E10value_typeEPNSO_ISJ_E10value_typeEPSK_NS1_7vsmem_tEENKUlT_SI_SJ_SK_E_clIPtSD_S10_SD_EESH_SX_SI_SJ_SK_EUlSX_E0_NS1_11comp_targetILNS1_3genE9ELNS1_11target_archE1100ELNS1_3gpuE3ELNS1_3repE0EEENS1_38merge_mergepath_config_static_selectorELNS0_4arch9wavefront6targetE1EEEvSJ_.kd
    .uniform_work_group_size: 1
    .uses_dynamic_stack: false
    .vgpr_count:     0
    .vgpr_spill_count: 0
    .wavefront_size: 64
  - .agpr_count:     0
    .args:
      - .offset:         0
        .size:           64
        .value_kind:     by_value
    .group_segment_fixed_size: 0
    .kernarg_segment_align: 8
    .kernarg_segment_size: 64
    .language:       OpenCL C
    .language_version:
      - 2
      - 0
    .max_flat_workgroup_size: 256
    .name:           _ZN7rocprim17ROCPRIM_400000_NS6detail17trampoline_kernelINS0_14default_configENS1_38merge_sort_block_merge_config_selectorIttEEZZNS1_27merge_sort_block_merge_implIS3_N6thrust23THRUST_200600_302600_NS6detail15normal_iteratorINS8_10device_ptrItEEEESD_jNS1_19radix_merge_compareILb0ELb1EtNS0_19identity_decomposerEEEEE10hipError_tT0_T1_T2_jT3_P12ihipStream_tbPNSt15iterator_traitsISI_E10value_typeEPNSO_ISJ_E10value_typeEPSK_NS1_7vsmem_tEENKUlT_SI_SJ_SK_E_clIPtSD_S10_SD_EESH_SX_SI_SJ_SK_EUlSX_E0_NS1_11comp_targetILNS1_3genE8ELNS1_11target_archE1030ELNS1_3gpuE2ELNS1_3repE0EEENS1_38merge_mergepath_config_static_selectorELNS0_4arch9wavefront6targetE1EEEvSJ_
    .private_segment_fixed_size: 0
    .sgpr_count:     6
    .sgpr_spill_count: 0
    .symbol:         _ZN7rocprim17ROCPRIM_400000_NS6detail17trampoline_kernelINS0_14default_configENS1_38merge_sort_block_merge_config_selectorIttEEZZNS1_27merge_sort_block_merge_implIS3_N6thrust23THRUST_200600_302600_NS6detail15normal_iteratorINS8_10device_ptrItEEEESD_jNS1_19radix_merge_compareILb0ELb1EtNS0_19identity_decomposerEEEEE10hipError_tT0_T1_T2_jT3_P12ihipStream_tbPNSt15iterator_traitsISI_E10value_typeEPNSO_ISJ_E10value_typeEPSK_NS1_7vsmem_tEENKUlT_SI_SJ_SK_E_clIPtSD_S10_SD_EESH_SX_SI_SJ_SK_EUlSX_E0_NS1_11comp_targetILNS1_3genE8ELNS1_11target_archE1030ELNS1_3gpuE2ELNS1_3repE0EEENS1_38merge_mergepath_config_static_selectorELNS0_4arch9wavefront6targetE1EEEvSJ_.kd
    .uniform_work_group_size: 1
    .uses_dynamic_stack: false
    .vgpr_count:     0
    .vgpr_spill_count: 0
    .wavefront_size: 64
  - .agpr_count:     0
    .args:
      - .offset:         0
        .size:           48
        .value_kind:     by_value
    .group_segment_fixed_size: 0
    .kernarg_segment_align: 8
    .kernarg_segment_size: 48
    .language:       OpenCL C
    .language_version:
      - 2
      - 0
    .max_flat_workgroup_size: 256
    .name:           _ZN7rocprim17ROCPRIM_400000_NS6detail17trampoline_kernelINS0_14default_configENS1_38merge_sort_block_merge_config_selectorIttEEZZNS1_27merge_sort_block_merge_implIS3_N6thrust23THRUST_200600_302600_NS6detail15normal_iteratorINS8_10device_ptrItEEEESD_jNS1_19radix_merge_compareILb0ELb1EtNS0_19identity_decomposerEEEEE10hipError_tT0_T1_T2_jT3_P12ihipStream_tbPNSt15iterator_traitsISI_E10value_typeEPNSO_ISJ_E10value_typeEPSK_NS1_7vsmem_tEENKUlT_SI_SJ_SK_E_clIPtSD_S10_SD_EESH_SX_SI_SJ_SK_EUlSX_E1_NS1_11comp_targetILNS1_3genE0ELNS1_11target_archE4294967295ELNS1_3gpuE0ELNS1_3repE0EEENS1_36merge_oddeven_config_static_selectorELNS0_4arch9wavefront6targetE1EEEvSJ_
    .private_segment_fixed_size: 0
    .sgpr_count:     30
    .sgpr_spill_count: 0
    .symbol:         _ZN7rocprim17ROCPRIM_400000_NS6detail17trampoline_kernelINS0_14default_configENS1_38merge_sort_block_merge_config_selectorIttEEZZNS1_27merge_sort_block_merge_implIS3_N6thrust23THRUST_200600_302600_NS6detail15normal_iteratorINS8_10device_ptrItEEEESD_jNS1_19radix_merge_compareILb0ELb1EtNS0_19identity_decomposerEEEEE10hipError_tT0_T1_T2_jT3_P12ihipStream_tbPNSt15iterator_traitsISI_E10value_typeEPNSO_ISJ_E10value_typeEPSK_NS1_7vsmem_tEENKUlT_SI_SJ_SK_E_clIPtSD_S10_SD_EESH_SX_SI_SJ_SK_EUlSX_E1_NS1_11comp_targetILNS1_3genE0ELNS1_11target_archE4294967295ELNS1_3gpuE0ELNS1_3repE0EEENS1_36merge_oddeven_config_static_selectorELNS0_4arch9wavefront6targetE1EEEvSJ_.kd
    .uniform_work_group_size: 1
    .uses_dynamic_stack: false
    .vgpr_count:     10
    .vgpr_spill_count: 0
    .wavefront_size: 64
  - .agpr_count:     0
    .args:
      - .offset:         0
        .size:           48
        .value_kind:     by_value
    .group_segment_fixed_size: 0
    .kernarg_segment_align: 8
    .kernarg_segment_size: 48
    .language:       OpenCL C
    .language_version:
      - 2
      - 0
    .max_flat_workgroup_size: 256
    .name:           _ZN7rocprim17ROCPRIM_400000_NS6detail17trampoline_kernelINS0_14default_configENS1_38merge_sort_block_merge_config_selectorIttEEZZNS1_27merge_sort_block_merge_implIS3_N6thrust23THRUST_200600_302600_NS6detail15normal_iteratorINS8_10device_ptrItEEEESD_jNS1_19radix_merge_compareILb0ELb1EtNS0_19identity_decomposerEEEEE10hipError_tT0_T1_T2_jT3_P12ihipStream_tbPNSt15iterator_traitsISI_E10value_typeEPNSO_ISJ_E10value_typeEPSK_NS1_7vsmem_tEENKUlT_SI_SJ_SK_E_clIPtSD_S10_SD_EESH_SX_SI_SJ_SK_EUlSX_E1_NS1_11comp_targetILNS1_3genE10ELNS1_11target_archE1201ELNS1_3gpuE5ELNS1_3repE0EEENS1_36merge_oddeven_config_static_selectorELNS0_4arch9wavefront6targetE1EEEvSJ_
    .private_segment_fixed_size: 0
    .sgpr_count:     6
    .sgpr_spill_count: 0
    .symbol:         _ZN7rocprim17ROCPRIM_400000_NS6detail17trampoline_kernelINS0_14default_configENS1_38merge_sort_block_merge_config_selectorIttEEZZNS1_27merge_sort_block_merge_implIS3_N6thrust23THRUST_200600_302600_NS6detail15normal_iteratorINS8_10device_ptrItEEEESD_jNS1_19radix_merge_compareILb0ELb1EtNS0_19identity_decomposerEEEEE10hipError_tT0_T1_T2_jT3_P12ihipStream_tbPNSt15iterator_traitsISI_E10value_typeEPNSO_ISJ_E10value_typeEPSK_NS1_7vsmem_tEENKUlT_SI_SJ_SK_E_clIPtSD_S10_SD_EESH_SX_SI_SJ_SK_EUlSX_E1_NS1_11comp_targetILNS1_3genE10ELNS1_11target_archE1201ELNS1_3gpuE5ELNS1_3repE0EEENS1_36merge_oddeven_config_static_selectorELNS0_4arch9wavefront6targetE1EEEvSJ_.kd
    .uniform_work_group_size: 1
    .uses_dynamic_stack: false
    .vgpr_count:     0
    .vgpr_spill_count: 0
    .wavefront_size: 64
  - .agpr_count:     0
    .args:
      - .offset:         0
        .size:           48
        .value_kind:     by_value
    .group_segment_fixed_size: 0
    .kernarg_segment_align: 8
    .kernarg_segment_size: 48
    .language:       OpenCL C
    .language_version:
      - 2
      - 0
    .max_flat_workgroup_size: 256
    .name:           _ZN7rocprim17ROCPRIM_400000_NS6detail17trampoline_kernelINS0_14default_configENS1_38merge_sort_block_merge_config_selectorIttEEZZNS1_27merge_sort_block_merge_implIS3_N6thrust23THRUST_200600_302600_NS6detail15normal_iteratorINS8_10device_ptrItEEEESD_jNS1_19radix_merge_compareILb0ELb1EtNS0_19identity_decomposerEEEEE10hipError_tT0_T1_T2_jT3_P12ihipStream_tbPNSt15iterator_traitsISI_E10value_typeEPNSO_ISJ_E10value_typeEPSK_NS1_7vsmem_tEENKUlT_SI_SJ_SK_E_clIPtSD_S10_SD_EESH_SX_SI_SJ_SK_EUlSX_E1_NS1_11comp_targetILNS1_3genE5ELNS1_11target_archE942ELNS1_3gpuE9ELNS1_3repE0EEENS1_36merge_oddeven_config_static_selectorELNS0_4arch9wavefront6targetE1EEEvSJ_
    .private_segment_fixed_size: 0
    .sgpr_count:     6
    .sgpr_spill_count: 0
    .symbol:         _ZN7rocprim17ROCPRIM_400000_NS6detail17trampoline_kernelINS0_14default_configENS1_38merge_sort_block_merge_config_selectorIttEEZZNS1_27merge_sort_block_merge_implIS3_N6thrust23THRUST_200600_302600_NS6detail15normal_iteratorINS8_10device_ptrItEEEESD_jNS1_19radix_merge_compareILb0ELb1EtNS0_19identity_decomposerEEEEE10hipError_tT0_T1_T2_jT3_P12ihipStream_tbPNSt15iterator_traitsISI_E10value_typeEPNSO_ISJ_E10value_typeEPSK_NS1_7vsmem_tEENKUlT_SI_SJ_SK_E_clIPtSD_S10_SD_EESH_SX_SI_SJ_SK_EUlSX_E1_NS1_11comp_targetILNS1_3genE5ELNS1_11target_archE942ELNS1_3gpuE9ELNS1_3repE0EEENS1_36merge_oddeven_config_static_selectorELNS0_4arch9wavefront6targetE1EEEvSJ_.kd
    .uniform_work_group_size: 1
    .uses_dynamic_stack: false
    .vgpr_count:     0
    .vgpr_spill_count: 0
    .wavefront_size: 64
  - .agpr_count:     0
    .args:
      - .offset:         0
        .size:           48
        .value_kind:     by_value
    .group_segment_fixed_size: 0
    .kernarg_segment_align: 8
    .kernarg_segment_size: 48
    .language:       OpenCL C
    .language_version:
      - 2
      - 0
    .max_flat_workgroup_size: 256
    .name:           _ZN7rocprim17ROCPRIM_400000_NS6detail17trampoline_kernelINS0_14default_configENS1_38merge_sort_block_merge_config_selectorIttEEZZNS1_27merge_sort_block_merge_implIS3_N6thrust23THRUST_200600_302600_NS6detail15normal_iteratorINS8_10device_ptrItEEEESD_jNS1_19radix_merge_compareILb0ELb1EtNS0_19identity_decomposerEEEEE10hipError_tT0_T1_T2_jT3_P12ihipStream_tbPNSt15iterator_traitsISI_E10value_typeEPNSO_ISJ_E10value_typeEPSK_NS1_7vsmem_tEENKUlT_SI_SJ_SK_E_clIPtSD_S10_SD_EESH_SX_SI_SJ_SK_EUlSX_E1_NS1_11comp_targetILNS1_3genE4ELNS1_11target_archE910ELNS1_3gpuE8ELNS1_3repE0EEENS1_36merge_oddeven_config_static_selectorELNS0_4arch9wavefront6targetE1EEEvSJ_
    .private_segment_fixed_size: 0
    .sgpr_count:     6
    .sgpr_spill_count: 0
    .symbol:         _ZN7rocprim17ROCPRIM_400000_NS6detail17trampoline_kernelINS0_14default_configENS1_38merge_sort_block_merge_config_selectorIttEEZZNS1_27merge_sort_block_merge_implIS3_N6thrust23THRUST_200600_302600_NS6detail15normal_iteratorINS8_10device_ptrItEEEESD_jNS1_19radix_merge_compareILb0ELb1EtNS0_19identity_decomposerEEEEE10hipError_tT0_T1_T2_jT3_P12ihipStream_tbPNSt15iterator_traitsISI_E10value_typeEPNSO_ISJ_E10value_typeEPSK_NS1_7vsmem_tEENKUlT_SI_SJ_SK_E_clIPtSD_S10_SD_EESH_SX_SI_SJ_SK_EUlSX_E1_NS1_11comp_targetILNS1_3genE4ELNS1_11target_archE910ELNS1_3gpuE8ELNS1_3repE0EEENS1_36merge_oddeven_config_static_selectorELNS0_4arch9wavefront6targetE1EEEvSJ_.kd
    .uniform_work_group_size: 1
    .uses_dynamic_stack: false
    .vgpr_count:     0
    .vgpr_spill_count: 0
    .wavefront_size: 64
  - .agpr_count:     0
    .args:
      - .offset:         0
        .size:           48
        .value_kind:     by_value
    .group_segment_fixed_size: 0
    .kernarg_segment_align: 8
    .kernarg_segment_size: 48
    .language:       OpenCL C
    .language_version:
      - 2
      - 0
    .max_flat_workgroup_size: 256
    .name:           _ZN7rocprim17ROCPRIM_400000_NS6detail17trampoline_kernelINS0_14default_configENS1_38merge_sort_block_merge_config_selectorIttEEZZNS1_27merge_sort_block_merge_implIS3_N6thrust23THRUST_200600_302600_NS6detail15normal_iteratorINS8_10device_ptrItEEEESD_jNS1_19radix_merge_compareILb0ELb1EtNS0_19identity_decomposerEEEEE10hipError_tT0_T1_T2_jT3_P12ihipStream_tbPNSt15iterator_traitsISI_E10value_typeEPNSO_ISJ_E10value_typeEPSK_NS1_7vsmem_tEENKUlT_SI_SJ_SK_E_clIPtSD_S10_SD_EESH_SX_SI_SJ_SK_EUlSX_E1_NS1_11comp_targetILNS1_3genE3ELNS1_11target_archE908ELNS1_3gpuE7ELNS1_3repE0EEENS1_36merge_oddeven_config_static_selectorELNS0_4arch9wavefront6targetE1EEEvSJ_
    .private_segment_fixed_size: 0
    .sgpr_count:     6
    .sgpr_spill_count: 0
    .symbol:         _ZN7rocprim17ROCPRIM_400000_NS6detail17trampoline_kernelINS0_14default_configENS1_38merge_sort_block_merge_config_selectorIttEEZZNS1_27merge_sort_block_merge_implIS3_N6thrust23THRUST_200600_302600_NS6detail15normal_iteratorINS8_10device_ptrItEEEESD_jNS1_19radix_merge_compareILb0ELb1EtNS0_19identity_decomposerEEEEE10hipError_tT0_T1_T2_jT3_P12ihipStream_tbPNSt15iterator_traitsISI_E10value_typeEPNSO_ISJ_E10value_typeEPSK_NS1_7vsmem_tEENKUlT_SI_SJ_SK_E_clIPtSD_S10_SD_EESH_SX_SI_SJ_SK_EUlSX_E1_NS1_11comp_targetILNS1_3genE3ELNS1_11target_archE908ELNS1_3gpuE7ELNS1_3repE0EEENS1_36merge_oddeven_config_static_selectorELNS0_4arch9wavefront6targetE1EEEvSJ_.kd
    .uniform_work_group_size: 1
    .uses_dynamic_stack: false
    .vgpr_count:     0
    .vgpr_spill_count: 0
    .wavefront_size: 64
  - .agpr_count:     0
    .args:
      - .offset:         0
        .size:           48
        .value_kind:     by_value
    .group_segment_fixed_size: 0
    .kernarg_segment_align: 8
    .kernarg_segment_size: 48
    .language:       OpenCL C
    .language_version:
      - 2
      - 0
    .max_flat_workgroup_size: 256
    .name:           _ZN7rocprim17ROCPRIM_400000_NS6detail17trampoline_kernelINS0_14default_configENS1_38merge_sort_block_merge_config_selectorIttEEZZNS1_27merge_sort_block_merge_implIS3_N6thrust23THRUST_200600_302600_NS6detail15normal_iteratorINS8_10device_ptrItEEEESD_jNS1_19radix_merge_compareILb0ELb1EtNS0_19identity_decomposerEEEEE10hipError_tT0_T1_T2_jT3_P12ihipStream_tbPNSt15iterator_traitsISI_E10value_typeEPNSO_ISJ_E10value_typeEPSK_NS1_7vsmem_tEENKUlT_SI_SJ_SK_E_clIPtSD_S10_SD_EESH_SX_SI_SJ_SK_EUlSX_E1_NS1_11comp_targetILNS1_3genE2ELNS1_11target_archE906ELNS1_3gpuE6ELNS1_3repE0EEENS1_36merge_oddeven_config_static_selectorELNS0_4arch9wavefront6targetE1EEEvSJ_
    .private_segment_fixed_size: 0
    .sgpr_count:     6
    .sgpr_spill_count: 0
    .symbol:         _ZN7rocprim17ROCPRIM_400000_NS6detail17trampoline_kernelINS0_14default_configENS1_38merge_sort_block_merge_config_selectorIttEEZZNS1_27merge_sort_block_merge_implIS3_N6thrust23THRUST_200600_302600_NS6detail15normal_iteratorINS8_10device_ptrItEEEESD_jNS1_19radix_merge_compareILb0ELb1EtNS0_19identity_decomposerEEEEE10hipError_tT0_T1_T2_jT3_P12ihipStream_tbPNSt15iterator_traitsISI_E10value_typeEPNSO_ISJ_E10value_typeEPSK_NS1_7vsmem_tEENKUlT_SI_SJ_SK_E_clIPtSD_S10_SD_EESH_SX_SI_SJ_SK_EUlSX_E1_NS1_11comp_targetILNS1_3genE2ELNS1_11target_archE906ELNS1_3gpuE6ELNS1_3repE0EEENS1_36merge_oddeven_config_static_selectorELNS0_4arch9wavefront6targetE1EEEvSJ_.kd
    .uniform_work_group_size: 1
    .uses_dynamic_stack: false
    .vgpr_count:     0
    .vgpr_spill_count: 0
    .wavefront_size: 64
  - .agpr_count:     0
    .args:
      - .offset:         0
        .size:           48
        .value_kind:     by_value
    .group_segment_fixed_size: 0
    .kernarg_segment_align: 8
    .kernarg_segment_size: 48
    .language:       OpenCL C
    .language_version:
      - 2
      - 0
    .max_flat_workgroup_size: 256
    .name:           _ZN7rocprim17ROCPRIM_400000_NS6detail17trampoline_kernelINS0_14default_configENS1_38merge_sort_block_merge_config_selectorIttEEZZNS1_27merge_sort_block_merge_implIS3_N6thrust23THRUST_200600_302600_NS6detail15normal_iteratorINS8_10device_ptrItEEEESD_jNS1_19radix_merge_compareILb0ELb1EtNS0_19identity_decomposerEEEEE10hipError_tT0_T1_T2_jT3_P12ihipStream_tbPNSt15iterator_traitsISI_E10value_typeEPNSO_ISJ_E10value_typeEPSK_NS1_7vsmem_tEENKUlT_SI_SJ_SK_E_clIPtSD_S10_SD_EESH_SX_SI_SJ_SK_EUlSX_E1_NS1_11comp_targetILNS1_3genE9ELNS1_11target_archE1100ELNS1_3gpuE3ELNS1_3repE0EEENS1_36merge_oddeven_config_static_selectorELNS0_4arch9wavefront6targetE1EEEvSJ_
    .private_segment_fixed_size: 0
    .sgpr_count:     6
    .sgpr_spill_count: 0
    .symbol:         _ZN7rocprim17ROCPRIM_400000_NS6detail17trampoline_kernelINS0_14default_configENS1_38merge_sort_block_merge_config_selectorIttEEZZNS1_27merge_sort_block_merge_implIS3_N6thrust23THRUST_200600_302600_NS6detail15normal_iteratorINS8_10device_ptrItEEEESD_jNS1_19radix_merge_compareILb0ELb1EtNS0_19identity_decomposerEEEEE10hipError_tT0_T1_T2_jT3_P12ihipStream_tbPNSt15iterator_traitsISI_E10value_typeEPNSO_ISJ_E10value_typeEPSK_NS1_7vsmem_tEENKUlT_SI_SJ_SK_E_clIPtSD_S10_SD_EESH_SX_SI_SJ_SK_EUlSX_E1_NS1_11comp_targetILNS1_3genE9ELNS1_11target_archE1100ELNS1_3gpuE3ELNS1_3repE0EEENS1_36merge_oddeven_config_static_selectorELNS0_4arch9wavefront6targetE1EEEvSJ_.kd
    .uniform_work_group_size: 1
    .uses_dynamic_stack: false
    .vgpr_count:     0
    .vgpr_spill_count: 0
    .wavefront_size: 64
  - .agpr_count:     0
    .args:
      - .offset:         0
        .size:           48
        .value_kind:     by_value
    .group_segment_fixed_size: 0
    .kernarg_segment_align: 8
    .kernarg_segment_size: 48
    .language:       OpenCL C
    .language_version:
      - 2
      - 0
    .max_flat_workgroup_size: 256
    .name:           _ZN7rocprim17ROCPRIM_400000_NS6detail17trampoline_kernelINS0_14default_configENS1_38merge_sort_block_merge_config_selectorIttEEZZNS1_27merge_sort_block_merge_implIS3_N6thrust23THRUST_200600_302600_NS6detail15normal_iteratorINS8_10device_ptrItEEEESD_jNS1_19radix_merge_compareILb0ELb1EtNS0_19identity_decomposerEEEEE10hipError_tT0_T1_T2_jT3_P12ihipStream_tbPNSt15iterator_traitsISI_E10value_typeEPNSO_ISJ_E10value_typeEPSK_NS1_7vsmem_tEENKUlT_SI_SJ_SK_E_clIPtSD_S10_SD_EESH_SX_SI_SJ_SK_EUlSX_E1_NS1_11comp_targetILNS1_3genE8ELNS1_11target_archE1030ELNS1_3gpuE2ELNS1_3repE0EEENS1_36merge_oddeven_config_static_selectorELNS0_4arch9wavefront6targetE1EEEvSJ_
    .private_segment_fixed_size: 0
    .sgpr_count:     6
    .sgpr_spill_count: 0
    .symbol:         _ZN7rocprim17ROCPRIM_400000_NS6detail17trampoline_kernelINS0_14default_configENS1_38merge_sort_block_merge_config_selectorIttEEZZNS1_27merge_sort_block_merge_implIS3_N6thrust23THRUST_200600_302600_NS6detail15normal_iteratorINS8_10device_ptrItEEEESD_jNS1_19radix_merge_compareILb0ELb1EtNS0_19identity_decomposerEEEEE10hipError_tT0_T1_T2_jT3_P12ihipStream_tbPNSt15iterator_traitsISI_E10value_typeEPNSO_ISJ_E10value_typeEPSK_NS1_7vsmem_tEENKUlT_SI_SJ_SK_E_clIPtSD_S10_SD_EESH_SX_SI_SJ_SK_EUlSX_E1_NS1_11comp_targetILNS1_3genE8ELNS1_11target_archE1030ELNS1_3gpuE2ELNS1_3repE0EEENS1_36merge_oddeven_config_static_selectorELNS0_4arch9wavefront6targetE1EEEvSJ_.kd
    .uniform_work_group_size: 1
    .uses_dynamic_stack: false
    .vgpr_count:     0
    .vgpr_spill_count: 0
    .wavefront_size: 64
  - .agpr_count:     0
    .args:
      - .offset:         0
        .size:           40
        .value_kind:     by_value
    .group_segment_fixed_size: 0
    .kernarg_segment_align: 8
    .kernarg_segment_size: 40
    .language:       OpenCL C
    .language_version:
      - 2
      - 0
    .max_flat_workgroup_size: 128
    .name:           _ZN7rocprim17ROCPRIM_400000_NS6detail17trampoline_kernelINS0_14default_configENS1_38merge_sort_block_merge_config_selectorIttEEZZNS1_27merge_sort_block_merge_implIS3_N6thrust23THRUST_200600_302600_NS6detail15normal_iteratorINS8_10device_ptrItEEEESD_jNS1_19radix_merge_compareILb0ELb1EtNS0_19identity_decomposerEEEEE10hipError_tT0_T1_T2_jT3_P12ihipStream_tbPNSt15iterator_traitsISI_E10value_typeEPNSO_ISJ_E10value_typeEPSK_NS1_7vsmem_tEENKUlT_SI_SJ_SK_E_clISD_PtSD_S10_EESH_SX_SI_SJ_SK_EUlSX_E_NS1_11comp_targetILNS1_3genE0ELNS1_11target_archE4294967295ELNS1_3gpuE0ELNS1_3repE0EEENS1_48merge_mergepath_partition_config_static_selectorELNS0_4arch9wavefront6targetE1EEEvSJ_
    .private_segment_fixed_size: 0
    .sgpr_count:     16
    .sgpr_spill_count: 0
    .symbol:         _ZN7rocprim17ROCPRIM_400000_NS6detail17trampoline_kernelINS0_14default_configENS1_38merge_sort_block_merge_config_selectorIttEEZZNS1_27merge_sort_block_merge_implIS3_N6thrust23THRUST_200600_302600_NS6detail15normal_iteratorINS8_10device_ptrItEEEESD_jNS1_19radix_merge_compareILb0ELb1EtNS0_19identity_decomposerEEEEE10hipError_tT0_T1_T2_jT3_P12ihipStream_tbPNSt15iterator_traitsISI_E10value_typeEPNSO_ISJ_E10value_typeEPSK_NS1_7vsmem_tEENKUlT_SI_SJ_SK_E_clISD_PtSD_S10_EESH_SX_SI_SJ_SK_EUlSX_E_NS1_11comp_targetILNS1_3genE0ELNS1_11target_archE4294967295ELNS1_3gpuE0ELNS1_3repE0EEENS1_48merge_mergepath_partition_config_static_selectorELNS0_4arch9wavefront6targetE1EEEvSJ_.kd
    .uniform_work_group_size: 1
    .uses_dynamic_stack: false
    .vgpr_count:     17
    .vgpr_spill_count: 0
    .wavefront_size: 64
  - .agpr_count:     0
    .args:
      - .offset:         0
        .size:           40
        .value_kind:     by_value
    .group_segment_fixed_size: 0
    .kernarg_segment_align: 8
    .kernarg_segment_size: 40
    .language:       OpenCL C
    .language_version:
      - 2
      - 0
    .max_flat_workgroup_size: 128
    .name:           _ZN7rocprim17ROCPRIM_400000_NS6detail17trampoline_kernelINS0_14default_configENS1_38merge_sort_block_merge_config_selectorIttEEZZNS1_27merge_sort_block_merge_implIS3_N6thrust23THRUST_200600_302600_NS6detail15normal_iteratorINS8_10device_ptrItEEEESD_jNS1_19radix_merge_compareILb0ELb1EtNS0_19identity_decomposerEEEEE10hipError_tT0_T1_T2_jT3_P12ihipStream_tbPNSt15iterator_traitsISI_E10value_typeEPNSO_ISJ_E10value_typeEPSK_NS1_7vsmem_tEENKUlT_SI_SJ_SK_E_clISD_PtSD_S10_EESH_SX_SI_SJ_SK_EUlSX_E_NS1_11comp_targetILNS1_3genE10ELNS1_11target_archE1201ELNS1_3gpuE5ELNS1_3repE0EEENS1_48merge_mergepath_partition_config_static_selectorELNS0_4arch9wavefront6targetE1EEEvSJ_
    .private_segment_fixed_size: 0
    .sgpr_count:     6
    .sgpr_spill_count: 0
    .symbol:         _ZN7rocprim17ROCPRIM_400000_NS6detail17trampoline_kernelINS0_14default_configENS1_38merge_sort_block_merge_config_selectorIttEEZZNS1_27merge_sort_block_merge_implIS3_N6thrust23THRUST_200600_302600_NS6detail15normal_iteratorINS8_10device_ptrItEEEESD_jNS1_19radix_merge_compareILb0ELb1EtNS0_19identity_decomposerEEEEE10hipError_tT0_T1_T2_jT3_P12ihipStream_tbPNSt15iterator_traitsISI_E10value_typeEPNSO_ISJ_E10value_typeEPSK_NS1_7vsmem_tEENKUlT_SI_SJ_SK_E_clISD_PtSD_S10_EESH_SX_SI_SJ_SK_EUlSX_E_NS1_11comp_targetILNS1_3genE10ELNS1_11target_archE1201ELNS1_3gpuE5ELNS1_3repE0EEENS1_48merge_mergepath_partition_config_static_selectorELNS0_4arch9wavefront6targetE1EEEvSJ_.kd
    .uniform_work_group_size: 1
    .uses_dynamic_stack: false
    .vgpr_count:     0
    .vgpr_spill_count: 0
    .wavefront_size: 64
  - .agpr_count:     0
    .args:
      - .offset:         0
        .size:           40
        .value_kind:     by_value
    .group_segment_fixed_size: 0
    .kernarg_segment_align: 8
    .kernarg_segment_size: 40
    .language:       OpenCL C
    .language_version:
      - 2
      - 0
    .max_flat_workgroup_size: 128
    .name:           _ZN7rocprim17ROCPRIM_400000_NS6detail17trampoline_kernelINS0_14default_configENS1_38merge_sort_block_merge_config_selectorIttEEZZNS1_27merge_sort_block_merge_implIS3_N6thrust23THRUST_200600_302600_NS6detail15normal_iteratorINS8_10device_ptrItEEEESD_jNS1_19radix_merge_compareILb0ELb1EtNS0_19identity_decomposerEEEEE10hipError_tT0_T1_T2_jT3_P12ihipStream_tbPNSt15iterator_traitsISI_E10value_typeEPNSO_ISJ_E10value_typeEPSK_NS1_7vsmem_tEENKUlT_SI_SJ_SK_E_clISD_PtSD_S10_EESH_SX_SI_SJ_SK_EUlSX_E_NS1_11comp_targetILNS1_3genE5ELNS1_11target_archE942ELNS1_3gpuE9ELNS1_3repE0EEENS1_48merge_mergepath_partition_config_static_selectorELNS0_4arch9wavefront6targetE1EEEvSJ_
    .private_segment_fixed_size: 0
    .sgpr_count:     6
    .sgpr_spill_count: 0
    .symbol:         _ZN7rocprim17ROCPRIM_400000_NS6detail17trampoline_kernelINS0_14default_configENS1_38merge_sort_block_merge_config_selectorIttEEZZNS1_27merge_sort_block_merge_implIS3_N6thrust23THRUST_200600_302600_NS6detail15normal_iteratorINS8_10device_ptrItEEEESD_jNS1_19radix_merge_compareILb0ELb1EtNS0_19identity_decomposerEEEEE10hipError_tT0_T1_T2_jT3_P12ihipStream_tbPNSt15iterator_traitsISI_E10value_typeEPNSO_ISJ_E10value_typeEPSK_NS1_7vsmem_tEENKUlT_SI_SJ_SK_E_clISD_PtSD_S10_EESH_SX_SI_SJ_SK_EUlSX_E_NS1_11comp_targetILNS1_3genE5ELNS1_11target_archE942ELNS1_3gpuE9ELNS1_3repE0EEENS1_48merge_mergepath_partition_config_static_selectorELNS0_4arch9wavefront6targetE1EEEvSJ_.kd
    .uniform_work_group_size: 1
    .uses_dynamic_stack: false
    .vgpr_count:     0
    .vgpr_spill_count: 0
    .wavefront_size: 64
  - .agpr_count:     0
    .args:
      - .offset:         0
        .size:           40
        .value_kind:     by_value
    .group_segment_fixed_size: 0
    .kernarg_segment_align: 8
    .kernarg_segment_size: 40
    .language:       OpenCL C
    .language_version:
      - 2
      - 0
    .max_flat_workgroup_size: 128
    .name:           _ZN7rocprim17ROCPRIM_400000_NS6detail17trampoline_kernelINS0_14default_configENS1_38merge_sort_block_merge_config_selectorIttEEZZNS1_27merge_sort_block_merge_implIS3_N6thrust23THRUST_200600_302600_NS6detail15normal_iteratorINS8_10device_ptrItEEEESD_jNS1_19radix_merge_compareILb0ELb1EtNS0_19identity_decomposerEEEEE10hipError_tT0_T1_T2_jT3_P12ihipStream_tbPNSt15iterator_traitsISI_E10value_typeEPNSO_ISJ_E10value_typeEPSK_NS1_7vsmem_tEENKUlT_SI_SJ_SK_E_clISD_PtSD_S10_EESH_SX_SI_SJ_SK_EUlSX_E_NS1_11comp_targetILNS1_3genE4ELNS1_11target_archE910ELNS1_3gpuE8ELNS1_3repE0EEENS1_48merge_mergepath_partition_config_static_selectorELNS0_4arch9wavefront6targetE1EEEvSJ_
    .private_segment_fixed_size: 0
    .sgpr_count:     6
    .sgpr_spill_count: 0
    .symbol:         _ZN7rocprim17ROCPRIM_400000_NS6detail17trampoline_kernelINS0_14default_configENS1_38merge_sort_block_merge_config_selectorIttEEZZNS1_27merge_sort_block_merge_implIS3_N6thrust23THRUST_200600_302600_NS6detail15normal_iteratorINS8_10device_ptrItEEEESD_jNS1_19radix_merge_compareILb0ELb1EtNS0_19identity_decomposerEEEEE10hipError_tT0_T1_T2_jT3_P12ihipStream_tbPNSt15iterator_traitsISI_E10value_typeEPNSO_ISJ_E10value_typeEPSK_NS1_7vsmem_tEENKUlT_SI_SJ_SK_E_clISD_PtSD_S10_EESH_SX_SI_SJ_SK_EUlSX_E_NS1_11comp_targetILNS1_3genE4ELNS1_11target_archE910ELNS1_3gpuE8ELNS1_3repE0EEENS1_48merge_mergepath_partition_config_static_selectorELNS0_4arch9wavefront6targetE1EEEvSJ_.kd
    .uniform_work_group_size: 1
    .uses_dynamic_stack: false
    .vgpr_count:     0
    .vgpr_spill_count: 0
    .wavefront_size: 64
  - .agpr_count:     0
    .args:
      - .offset:         0
        .size:           40
        .value_kind:     by_value
    .group_segment_fixed_size: 0
    .kernarg_segment_align: 8
    .kernarg_segment_size: 40
    .language:       OpenCL C
    .language_version:
      - 2
      - 0
    .max_flat_workgroup_size: 128
    .name:           _ZN7rocprim17ROCPRIM_400000_NS6detail17trampoline_kernelINS0_14default_configENS1_38merge_sort_block_merge_config_selectorIttEEZZNS1_27merge_sort_block_merge_implIS3_N6thrust23THRUST_200600_302600_NS6detail15normal_iteratorINS8_10device_ptrItEEEESD_jNS1_19radix_merge_compareILb0ELb1EtNS0_19identity_decomposerEEEEE10hipError_tT0_T1_T2_jT3_P12ihipStream_tbPNSt15iterator_traitsISI_E10value_typeEPNSO_ISJ_E10value_typeEPSK_NS1_7vsmem_tEENKUlT_SI_SJ_SK_E_clISD_PtSD_S10_EESH_SX_SI_SJ_SK_EUlSX_E_NS1_11comp_targetILNS1_3genE3ELNS1_11target_archE908ELNS1_3gpuE7ELNS1_3repE0EEENS1_48merge_mergepath_partition_config_static_selectorELNS0_4arch9wavefront6targetE1EEEvSJ_
    .private_segment_fixed_size: 0
    .sgpr_count:     6
    .sgpr_spill_count: 0
    .symbol:         _ZN7rocprim17ROCPRIM_400000_NS6detail17trampoline_kernelINS0_14default_configENS1_38merge_sort_block_merge_config_selectorIttEEZZNS1_27merge_sort_block_merge_implIS3_N6thrust23THRUST_200600_302600_NS6detail15normal_iteratorINS8_10device_ptrItEEEESD_jNS1_19radix_merge_compareILb0ELb1EtNS0_19identity_decomposerEEEEE10hipError_tT0_T1_T2_jT3_P12ihipStream_tbPNSt15iterator_traitsISI_E10value_typeEPNSO_ISJ_E10value_typeEPSK_NS1_7vsmem_tEENKUlT_SI_SJ_SK_E_clISD_PtSD_S10_EESH_SX_SI_SJ_SK_EUlSX_E_NS1_11comp_targetILNS1_3genE3ELNS1_11target_archE908ELNS1_3gpuE7ELNS1_3repE0EEENS1_48merge_mergepath_partition_config_static_selectorELNS0_4arch9wavefront6targetE1EEEvSJ_.kd
    .uniform_work_group_size: 1
    .uses_dynamic_stack: false
    .vgpr_count:     0
    .vgpr_spill_count: 0
    .wavefront_size: 64
  - .agpr_count:     0
    .args:
      - .offset:         0
        .size:           40
        .value_kind:     by_value
    .group_segment_fixed_size: 0
    .kernarg_segment_align: 8
    .kernarg_segment_size: 40
    .language:       OpenCL C
    .language_version:
      - 2
      - 0
    .max_flat_workgroup_size: 128
    .name:           _ZN7rocprim17ROCPRIM_400000_NS6detail17trampoline_kernelINS0_14default_configENS1_38merge_sort_block_merge_config_selectorIttEEZZNS1_27merge_sort_block_merge_implIS3_N6thrust23THRUST_200600_302600_NS6detail15normal_iteratorINS8_10device_ptrItEEEESD_jNS1_19radix_merge_compareILb0ELb1EtNS0_19identity_decomposerEEEEE10hipError_tT0_T1_T2_jT3_P12ihipStream_tbPNSt15iterator_traitsISI_E10value_typeEPNSO_ISJ_E10value_typeEPSK_NS1_7vsmem_tEENKUlT_SI_SJ_SK_E_clISD_PtSD_S10_EESH_SX_SI_SJ_SK_EUlSX_E_NS1_11comp_targetILNS1_3genE2ELNS1_11target_archE906ELNS1_3gpuE6ELNS1_3repE0EEENS1_48merge_mergepath_partition_config_static_selectorELNS0_4arch9wavefront6targetE1EEEvSJ_
    .private_segment_fixed_size: 0
    .sgpr_count:     6
    .sgpr_spill_count: 0
    .symbol:         _ZN7rocprim17ROCPRIM_400000_NS6detail17trampoline_kernelINS0_14default_configENS1_38merge_sort_block_merge_config_selectorIttEEZZNS1_27merge_sort_block_merge_implIS3_N6thrust23THRUST_200600_302600_NS6detail15normal_iteratorINS8_10device_ptrItEEEESD_jNS1_19radix_merge_compareILb0ELb1EtNS0_19identity_decomposerEEEEE10hipError_tT0_T1_T2_jT3_P12ihipStream_tbPNSt15iterator_traitsISI_E10value_typeEPNSO_ISJ_E10value_typeEPSK_NS1_7vsmem_tEENKUlT_SI_SJ_SK_E_clISD_PtSD_S10_EESH_SX_SI_SJ_SK_EUlSX_E_NS1_11comp_targetILNS1_3genE2ELNS1_11target_archE906ELNS1_3gpuE6ELNS1_3repE0EEENS1_48merge_mergepath_partition_config_static_selectorELNS0_4arch9wavefront6targetE1EEEvSJ_.kd
    .uniform_work_group_size: 1
    .uses_dynamic_stack: false
    .vgpr_count:     0
    .vgpr_spill_count: 0
    .wavefront_size: 64
  - .agpr_count:     0
    .args:
      - .offset:         0
        .size:           40
        .value_kind:     by_value
    .group_segment_fixed_size: 0
    .kernarg_segment_align: 8
    .kernarg_segment_size: 40
    .language:       OpenCL C
    .language_version:
      - 2
      - 0
    .max_flat_workgroup_size: 128
    .name:           _ZN7rocprim17ROCPRIM_400000_NS6detail17trampoline_kernelINS0_14default_configENS1_38merge_sort_block_merge_config_selectorIttEEZZNS1_27merge_sort_block_merge_implIS3_N6thrust23THRUST_200600_302600_NS6detail15normal_iteratorINS8_10device_ptrItEEEESD_jNS1_19radix_merge_compareILb0ELb1EtNS0_19identity_decomposerEEEEE10hipError_tT0_T1_T2_jT3_P12ihipStream_tbPNSt15iterator_traitsISI_E10value_typeEPNSO_ISJ_E10value_typeEPSK_NS1_7vsmem_tEENKUlT_SI_SJ_SK_E_clISD_PtSD_S10_EESH_SX_SI_SJ_SK_EUlSX_E_NS1_11comp_targetILNS1_3genE9ELNS1_11target_archE1100ELNS1_3gpuE3ELNS1_3repE0EEENS1_48merge_mergepath_partition_config_static_selectorELNS0_4arch9wavefront6targetE1EEEvSJ_
    .private_segment_fixed_size: 0
    .sgpr_count:     6
    .sgpr_spill_count: 0
    .symbol:         _ZN7rocprim17ROCPRIM_400000_NS6detail17trampoline_kernelINS0_14default_configENS1_38merge_sort_block_merge_config_selectorIttEEZZNS1_27merge_sort_block_merge_implIS3_N6thrust23THRUST_200600_302600_NS6detail15normal_iteratorINS8_10device_ptrItEEEESD_jNS1_19radix_merge_compareILb0ELb1EtNS0_19identity_decomposerEEEEE10hipError_tT0_T1_T2_jT3_P12ihipStream_tbPNSt15iterator_traitsISI_E10value_typeEPNSO_ISJ_E10value_typeEPSK_NS1_7vsmem_tEENKUlT_SI_SJ_SK_E_clISD_PtSD_S10_EESH_SX_SI_SJ_SK_EUlSX_E_NS1_11comp_targetILNS1_3genE9ELNS1_11target_archE1100ELNS1_3gpuE3ELNS1_3repE0EEENS1_48merge_mergepath_partition_config_static_selectorELNS0_4arch9wavefront6targetE1EEEvSJ_.kd
    .uniform_work_group_size: 1
    .uses_dynamic_stack: false
    .vgpr_count:     0
    .vgpr_spill_count: 0
    .wavefront_size: 64
  - .agpr_count:     0
    .args:
      - .offset:         0
        .size:           40
        .value_kind:     by_value
    .group_segment_fixed_size: 0
    .kernarg_segment_align: 8
    .kernarg_segment_size: 40
    .language:       OpenCL C
    .language_version:
      - 2
      - 0
    .max_flat_workgroup_size: 128
    .name:           _ZN7rocprim17ROCPRIM_400000_NS6detail17trampoline_kernelINS0_14default_configENS1_38merge_sort_block_merge_config_selectorIttEEZZNS1_27merge_sort_block_merge_implIS3_N6thrust23THRUST_200600_302600_NS6detail15normal_iteratorINS8_10device_ptrItEEEESD_jNS1_19radix_merge_compareILb0ELb1EtNS0_19identity_decomposerEEEEE10hipError_tT0_T1_T2_jT3_P12ihipStream_tbPNSt15iterator_traitsISI_E10value_typeEPNSO_ISJ_E10value_typeEPSK_NS1_7vsmem_tEENKUlT_SI_SJ_SK_E_clISD_PtSD_S10_EESH_SX_SI_SJ_SK_EUlSX_E_NS1_11comp_targetILNS1_3genE8ELNS1_11target_archE1030ELNS1_3gpuE2ELNS1_3repE0EEENS1_48merge_mergepath_partition_config_static_selectorELNS0_4arch9wavefront6targetE1EEEvSJ_
    .private_segment_fixed_size: 0
    .sgpr_count:     6
    .sgpr_spill_count: 0
    .symbol:         _ZN7rocprim17ROCPRIM_400000_NS6detail17trampoline_kernelINS0_14default_configENS1_38merge_sort_block_merge_config_selectorIttEEZZNS1_27merge_sort_block_merge_implIS3_N6thrust23THRUST_200600_302600_NS6detail15normal_iteratorINS8_10device_ptrItEEEESD_jNS1_19radix_merge_compareILb0ELb1EtNS0_19identity_decomposerEEEEE10hipError_tT0_T1_T2_jT3_P12ihipStream_tbPNSt15iterator_traitsISI_E10value_typeEPNSO_ISJ_E10value_typeEPSK_NS1_7vsmem_tEENKUlT_SI_SJ_SK_E_clISD_PtSD_S10_EESH_SX_SI_SJ_SK_EUlSX_E_NS1_11comp_targetILNS1_3genE8ELNS1_11target_archE1030ELNS1_3gpuE2ELNS1_3repE0EEENS1_48merge_mergepath_partition_config_static_selectorELNS0_4arch9wavefront6targetE1EEEvSJ_.kd
    .uniform_work_group_size: 1
    .uses_dynamic_stack: false
    .vgpr_count:     0
    .vgpr_spill_count: 0
    .wavefront_size: 64
  - .agpr_count:     0
    .args:
      - .offset:         0
        .size:           64
        .value_kind:     by_value
      - .offset:         64
        .size:           4
        .value_kind:     hidden_block_count_x
      - .offset:         68
        .size:           4
        .value_kind:     hidden_block_count_y
      - .offset:         72
        .size:           4
        .value_kind:     hidden_block_count_z
      - .offset:         76
        .size:           2
        .value_kind:     hidden_group_size_x
      - .offset:         78
        .size:           2
        .value_kind:     hidden_group_size_y
      - .offset:         80
        .size:           2
        .value_kind:     hidden_group_size_z
      - .offset:         82
        .size:           2
        .value_kind:     hidden_remainder_x
      - .offset:         84
        .size:           2
        .value_kind:     hidden_remainder_y
      - .offset:         86
        .size:           2
        .value_kind:     hidden_remainder_z
      - .offset:         104
        .size:           8
        .value_kind:     hidden_global_offset_x
      - .offset:         112
        .size:           8
        .value_kind:     hidden_global_offset_y
      - .offset:         120
        .size:           8
        .value_kind:     hidden_global_offset_z
      - .offset:         128
        .size:           2
        .value_kind:     hidden_grid_dims
    .group_segment_fixed_size: 2112
    .kernarg_segment_align: 8
    .kernarg_segment_size: 320
    .language:       OpenCL C
    .language_version:
      - 2
      - 0
    .max_flat_workgroup_size: 128
    .name:           _ZN7rocprim17ROCPRIM_400000_NS6detail17trampoline_kernelINS0_14default_configENS1_38merge_sort_block_merge_config_selectorIttEEZZNS1_27merge_sort_block_merge_implIS3_N6thrust23THRUST_200600_302600_NS6detail15normal_iteratorINS8_10device_ptrItEEEESD_jNS1_19radix_merge_compareILb0ELb1EtNS0_19identity_decomposerEEEEE10hipError_tT0_T1_T2_jT3_P12ihipStream_tbPNSt15iterator_traitsISI_E10value_typeEPNSO_ISJ_E10value_typeEPSK_NS1_7vsmem_tEENKUlT_SI_SJ_SK_E_clISD_PtSD_S10_EESH_SX_SI_SJ_SK_EUlSX_E0_NS1_11comp_targetILNS1_3genE0ELNS1_11target_archE4294967295ELNS1_3gpuE0ELNS1_3repE0EEENS1_38merge_mergepath_config_static_selectorELNS0_4arch9wavefront6targetE1EEEvSJ_
    .private_segment_fixed_size: 0
    .sgpr_count:     38
    .sgpr_spill_count: 0
    .symbol:         _ZN7rocprim17ROCPRIM_400000_NS6detail17trampoline_kernelINS0_14default_configENS1_38merge_sort_block_merge_config_selectorIttEEZZNS1_27merge_sort_block_merge_implIS3_N6thrust23THRUST_200600_302600_NS6detail15normal_iteratorINS8_10device_ptrItEEEESD_jNS1_19radix_merge_compareILb0ELb1EtNS0_19identity_decomposerEEEEE10hipError_tT0_T1_T2_jT3_P12ihipStream_tbPNSt15iterator_traitsISI_E10value_typeEPNSO_ISJ_E10value_typeEPSK_NS1_7vsmem_tEENKUlT_SI_SJ_SK_E_clISD_PtSD_S10_EESH_SX_SI_SJ_SK_EUlSX_E0_NS1_11comp_targetILNS1_3genE0ELNS1_11target_archE4294967295ELNS1_3gpuE0ELNS1_3repE0EEENS1_38merge_mergepath_config_static_selectorELNS0_4arch9wavefront6targetE1EEEvSJ_.kd
    .uniform_work_group_size: 1
    .uses_dynamic_stack: false
    .vgpr_count:     36
    .vgpr_spill_count: 0
    .wavefront_size: 64
  - .agpr_count:     0
    .args:
      - .offset:         0
        .size:           64
        .value_kind:     by_value
    .group_segment_fixed_size: 0
    .kernarg_segment_align: 8
    .kernarg_segment_size: 64
    .language:       OpenCL C
    .language_version:
      - 2
      - 0
    .max_flat_workgroup_size: 128
    .name:           _ZN7rocprim17ROCPRIM_400000_NS6detail17trampoline_kernelINS0_14default_configENS1_38merge_sort_block_merge_config_selectorIttEEZZNS1_27merge_sort_block_merge_implIS3_N6thrust23THRUST_200600_302600_NS6detail15normal_iteratorINS8_10device_ptrItEEEESD_jNS1_19radix_merge_compareILb0ELb1EtNS0_19identity_decomposerEEEEE10hipError_tT0_T1_T2_jT3_P12ihipStream_tbPNSt15iterator_traitsISI_E10value_typeEPNSO_ISJ_E10value_typeEPSK_NS1_7vsmem_tEENKUlT_SI_SJ_SK_E_clISD_PtSD_S10_EESH_SX_SI_SJ_SK_EUlSX_E0_NS1_11comp_targetILNS1_3genE10ELNS1_11target_archE1201ELNS1_3gpuE5ELNS1_3repE0EEENS1_38merge_mergepath_config_static_selectorELNS0_4arch9wavefront6targetE1EEEvSJ_
    .private_segment_fixed_size: 0
    .sgpr_count:     6
    .sgpr_spill_count: 0
    .symbol:         _ZN7rocprim17ROCPRIM_400000_NS6detail17trampoline_kernelINS0_14default_configENS1_38merge_sort_block_merge_config_selectorIttEEZZNS1_27merge_sort_block_merge_implIS3_N6thrust23THRUST_200600_302600_NS6detail15normal_iteratorINS8_10device_ptrItEEEESD_jNS1_19radix_merge_compareILb0ELb1EtNS0_19identity_decomposerEEEEE10hipError_tT0_T1_T2_jT3_P12ihipStream_tbPNSt15iterator_traitsISI_E10value_typeEPNSO_ISJ_E10value_typeEPSK_NS1_7vsmem_tEENKUlT_SI_SJ_SK_E_clISD_PtSD_S10_EESH_SX_SI_SJ_SK_EUlSX_E0_NS1_11comp_targetILNS1_3genE10ELNS1_11target_archE1201ELNS1_3gpuE5ELNS1_3repE0EEENS1_38merge_mergepath_config_static_selectorELNS0_4arch9wavefront6targetE1EEEvSJ_.kd
    .uniform_work_group_size: 1
    .uses_dynamic_stack: false
    .vgpr_count:     0
    .vgpr_spill_count: 0
    .wavefront_size: 64
  - .agpr_count:     0
    .args:
      - .offset:         0
        .size:           64
        .value_kind:     by_value
    .group_segment_fixed_size: 0
    .kernarg_segment_align: 8
    .kernarg_segment_size: 64
    .language:       OpenCL C
    .language_version:
      - 2
      - 0
    .max_flat_workgroup_size: 128
    .name:           _ZN7rocprim17ROCPRIM_400000_NS6detail17trampoline_kernelINS0_14default_configENS1_38merge_sort_block_merge_config_selectorIttEEZZNS1_27merge_sort_block_merge_implIS3_N6thrust23THRUST_200600_302600_NS6detail15normal_iteratorINS8_10device_ptrItEEEESD_jNS1_19radix_merge_compareILb0ELb1EtNS0_19identity_decomposerEEEEE10hipError_tT0_T1_T2_jT3_P12ihipStream_tbPNSt15iterator_traitsISI_E10value_typeEPNSO_ISJ_E10value_typeEPSK_NS1_7vsmem_tEENKUlT_SI_SJ_SK_E_clISD_PtSD_S10_EESH_SX_SI_SJ_SK_EUlSX_E0_NS1_11comp_targetILNS1_3genE5ELNS1_11target_archE942ELNS1_3gpuE9ELNS1_3repE0EEENS1_38merge_mergepath_config_static_selectorELNS0_4arch9wavefront6targetE1EEEvSJ_
    .private_segment_fixed_size: 0
    .sgpr_count:     6
    .sgpr_spill_count: 0
    .symbol:         _ZN7rocprim17ROCPRIM_400000_NS6detail17trampoline_kernelINS0_14default_configENS1_38merge_sort_block_merge_config_selectorIttEEZZNS1_27merge_sort_block_merge_implIS3_N6thrust23THRUST_200600_302600_NS6detail15normal_iteratorINS8_10device_ptrItEEEESD_jNS1_19radix_merge_compareILb0ELb1EtNS0_19identity_decomposerEEEEE10hipError_tT0_T1_T2_jT3_P12ihipStream_tbPNSt15iterator_traitsISI_E10value_typeEPNSO_ISJ_E10value_typeEPSK_NS1_7vsmem_tEENKUlT_SI_SJ_SK_E_clISD_PtSD_S10_EESH_SX_SI_SJ_SK_EUlSX_E0_NS1_11comp_targetILNS1_3genE5ELNS1_11target_archE942ELNS1_3gpuE9ELNS1_3repE0EEENS1_38merge_mergepath_config_static_selectorELNS0_4arch9wavefront6targetE1EEEvSJ_.kd
    .uniform_work_group_size: 1
    .uses_dynamic_stack: false
    .vgpr_count:     0
    .vgpr_spill_count: 0
    .wavefront_size: 64
  - .agpr_count:     0
    .args:
      - .offset:         0
        .size:           64
        .value_kind:     by_value
    .group_segment_fixed_size: 0
    .kernarg_segment_align: 8
    .kernarg_segment_size: 64
    .language:       OpenCL C
    .language_version:
      - 2
      - 0
    .max_flat_workgroup_size: 128
    .name:           _ZN7rocprim17ROCPRIM_400000_NS6detail17trampoline_kernelINS0_14default_configENS1_38merge_sort_block_merge_config_selectorIttEEZZNS1_27merge_sort_block_merge_implIS3_N6thrust23THRUST_200600_302600_NS6detail15normal_iteratorINS8_10device_ptrItEEEESD_jNS1_19radix_merge_compareILb0ELb1EtNS0_19identity_decomposerEEEEE10hipError_tT0_T1_T2_jT3_P12ihipStream_tbPNSt15iterator_traitsISI_E10value_typeEPNSO_ISJ_E10value_typeEPSK_NS1_7vsmem_tEENKUlT_SI_SJ_SK_E_clISD_PtSD_S10_EESH_SX_SI_SJ_SK_EUlSX_E0_NS1_11comp_targetILNS1_3genE4ELNS1_11target_archE910ELNS1_3gpuE8ELNS1_3repE0EEENS1_38merge_mergepath_config_static_selectorELNS0_4arch9wavefront6targetE1EEEvSJ_
    .private_segment_fixed_size: 0
    .sgpr_count:     6
    .sgpr_spill_count: 0
    .symbol:         _ZN7rocprim17ROCPRIM_400000_NS6detail17trampoline_kernelINS0_14default_configENS1_38merge_sort_block_merge_config_selectorIttEEZZNS1_27merge_sort_block_merge_implIS3_N6thrust23THRUST_200600_302600_NS6detail15normal_iteratorINS8_10device_ptrItEEEESD_jNS1_19radix_merge_compareILb0ELb1EtNS0_19identity_decomposerEEEEE10hipError_tT0_T1_T2_jT3_P12ihipStream_tbPNSt15iterator_traitsISI_E10value_typeEPNSO_ISJ_E10value_typeEPSK_NS1_7vsmem_tEENKUlT_SI_SJ_SK_E_clISD_PtSD_S10_EESH_SX_SI_SJ_SK_EUlSX_E0_NS1_11comp_targetILNS1_3genE4ELNS1_11target_archE910ELNS1_3gpuE8ELNS1_3repE0EEENS1_38merge_mergepath_config_static_selectorELNS0_4arch9wavefront6targetE1EEEvSJ_.kd
    .uniform_work_group_size: 1
    .uses_dynamic_stack: false
    .vgpr_count:     0
    .vgpr_spill_count: 0
    .wavefront_size: 64
  - .agpr_count:     0
    .args:
      - .offset:         0
        .size:           64
        .value_kind:     by_value
    .group_segment_fixed_size: 0
    .kernarg_segment_align: 8
    .kernarg_segment_size: 64
    .language:       OpenCL C
    .language_version:
      - 2
      - 0
    .max_flat_workgroup_size: 128
    .name:           _ZN7rocprim17ROCPRIM_400000_NS6detail17trampoline_kernelINS0_14default_configENS1_38merge_sort_block_merge_config_selectorIttEEZZNS1_27merge_sort_block_merge_implIS3_N6thrust23THRUST_200600_302600_NS6detail15normal_iteratorINS8_10device_ptrItEEEESD_jNS1_19radix_merge_compareILb0ELb1EtNS0_19identity_decomposerEEEEE10hipError_tT0_T1_T2_jT3_P12ihipStream_tbPNSt15iterator_traitsISI_E10value_typeEPNSO_ISJ_E10value_typeEPSK_NS1_7vsmem_tEENKUlT_SI_SJ_SK_E_clISD_PtSD_S10_EESH_SX_SI_SJ_SK_EUlSX_E0_NS1_11comp_targetILNS1_3genE3ELNS1_11target_archE908ELNS1_3gpuE7ELNS1_3repE0EEENS1_38merge_mergepath_config_static_selectorELNS0_4arch9wavefront6targetE1EEEvSJ_
    .private_segment_fixed_size: 0
    .sgpr_count:     6
    .sgpr_spill_count: 0
    .symbol:         _ZN7rocprim17ROCPRIM_400000_NS6detail17trampoline_kernelINS0_14default_configENS1_38merge_sort_block_merge_config_selectorIttEEZZNS1_27merge_sort_block_merge_implIS3_N6thrust23THRUST_200600_302600_NS6detail15normal_iteratorINS8_10device_ptrItEEEESD_jNS1_19radix_merge_compareILb0ELb1EtNS0_19identity_decomposerEEEEE10hipError_tT0_T1_T2_jT3_P12ihipStream_tbPNSt15iterator_traitsISI_E10value_typeEPNSO_ISJ_E10value_typeEPSK_NS1_7vsmem_tEENKUlT_SI_SJ_SK_E_clISD_PtSD_S10_EESH_SX_SI_SJ_SK_EUlSX_E0_NS1_11comp_targetILNS1_3genE3ELNS1_11target_archE908ELNS1_3gpuE7ELNS1_3repE0EEENS1_38merge_mergepath_config_static_selectorELNS0_4arch9wavefront6targetE1EEEvSJ_.kd
    .uniform_work_group_size: 1
    .uses_dynamic_stack: false
    .vgpr_count:     0
    .vgpr_spill_count: 0
    .wavefront_size: 64
  - .agpr_count:     0
    .args:
      - .offset:         0
        .size:           64
        .value_kind:     by_value
    .group_segment_fixed_size: 0
    .kernarg_segment_align: 8
    .kernarg_segment_size: 64
    .language:       OpenCL C
    .language_version:
      - 2
      - 0
    .max_flat_workgroup_size: 128
    .name:           _ZN7rocprim17ROCPRIM_400000_NS6detail17trampoline_kernelINS0_14default_configENS1_38merge_sort_block_merge_config_selectorIttEEZZNS1_27merge_sort_block_merge_implIS3_N6thrust23THRUST_200600_302600_NS6detail15normal_iteratorINS8_10device_ptrItEEEESD_jNS1_19radix_merge_compareILb0ELb1EtNS0_19identity_decomposerEEEEE10hipError_tT0_T1_T2_jT3_P12ihipStream_tbPNSt15iterator_traitsISI_E10value_typeEPNSO_ISJ_E10value_typeEPSK_NS1_7vsmem_tEENKUlT_SI_SJ_SK_E_clISD_PtSD_S10_EESH_SX_SI_SJ_SK_EUlSX_E0_NS1_11comp_targetILNS1_3genE2ELNS1_11target_archE906ELNS1_3gpuE6ELNS1_3repE0EEENS1_38merge_mergepath_config_static_selectorELNS0_4arch9wavefront6targetE1EEEvSJ_
    .private_segment_fixed_size: 0
    .sgpr_count:     6
    .sgpr_spill_count: 0
    .symbol:         _ZN7rocprim17ROCPRIM_400000_NS6detail17trampoline_kernelINS0_14default_configENS1_38merge_sort_block_merge_config_selectorIttEEZZNS1_27merge_sort_block_merge_implIS3_N6thrust23THRUST_200600_302600_NS6detail15normal_iteratorINS8_10device_ptrItEEEESD_jNS1_19radix_merge_compareILb0ELb1EtNS0_19identity_decomposerEEEEE10hipError_tT0_T1_T2_jT3_P12ihipStream_tbPNSt15iterator_traitsISI_E10value_typeEPNSO_ISJ_E10value_typeEPSK_NS1_7vsmem_tEENKUlT_SI_SJ_SK_E_clISD_PtSD_S10_EESH_SX_SI_SJ_SK_EUlSX_E0_NS1_11comp_targetILNS1_3genE2ELNS1_11target_archE906ELNS1_3gpuE6ELNS1_3repE0EEENS1_38merge_mergepath_config_static_selectorELNS0_4arch9wavefront6targetE1EEEvSJ_.kd
    .uniform_work_group_size: 1
    .uses_dynamic_stack: false
    .vgpr_count:     0
    .vgpr_spill_count: 0
    .wavefront_size: 64
  - .agpr_count:     0
    .args:
      - .offset:         0
        .size:           64
        .value_kind:     by_value
    .group_segment_fixed_size: 0
    .kernarg_segment_align: 8
    .kernarg_segment_size: 64
    .language:       OpenCL C
    .language_version:
      - 2
      - 0
    .max_flat_workgroup_size: 128
    .name:           _ZN7rocprim17ROCPRIM_400000_NS6detail17trampoline_kernelINS0_14default_configENS1_38merge_sort_block_merge_config_selectorIttEEZZNS1_27merge_sort_block_merge_implIS3_N6thrust23THRUST_200600_302600_NS6detail15normal_iteratorINS8_10device_ptrItEEEESD_jNS1_19radix_merge_compareILb0ELb1EtNS0_19identity_decomposerEEEEE10hipError_tT0_T1_T2_jT3_P12ihipStream_tbPNSt15iterator_traitsISI_E10value_typeEPNSO_ISJ_E10value_typeEPSK_NS1_7vsmem_tEENKUlT_SI_SJ_SK_E_clISD_PtSD_S10_EESH_SX_SI_SJ_SK_EUlSX_E0_NS1_11comp_targetILNS1_3genE9ELNS1_11target_archE1100ELNS1_3gpuE3ELNS1_3repE0EEENS1_38merge_mergepath_config_static_selectorELNS0_4arch9wavefront6targetE1EEEvSJ_
    .private_segment_fixed_size: 0
    .sgpr_count:     6
    .sgpr_spill_count: 0
    .symbol:         _ZN7rocprim17ROCPRIM_400000_NS6detail17trampoline_kernelINS0_14default_configENS1_38merge_sort_block_merge_config_selectorIttEEZZNS1_27merge_sort_block_merge_implIS3_N6thrust23THRUST_200600_302600_NS6detail15normal_iteratorINS8_10device_ptrItEEEESD_jNS1_19radix_merge_compareILb0ELb1EtNS0_19identity_decomposerEEEEE10hipError_tT0_T1_T2_jT3_P12ihipStream_tbPNSt15iterator_traitsISI_E10value_typeEPNSO_ISJ_E10value_typeEPSK_NS1_7vsmem_tEENKUlT_SI_SJ_SK_E_clISD_PtSD_S10_EESH_SX_SI_SJ_SK_EUlSX_E0_NS1_11comp_targetILNS1_3genE9ELNS1_11target_archE1100ELNS1_3gpuE3ELNS1_3repE0EEENS1_38merge_mergepath_config_static_selectorELNS0_4arch9wavefront6targetE1EEEvSJ_.kd
    .uniform_work_group_size: 1
    .uses_dynamic_stack: false
    .vgpr_count:     0
    .vgpr_spill_count: 0
    .wavefront_size: 64
  - .agpr_count:     0
    .args:
      - .offset:         0
        .size:           64
        .value_kind:     by_value
    .group_segment_fixed_size: 0
    .kernarg_segment_align: 8
    .kernarg_segment_size: 64
    .language:       OpenCL C
    .language_version:
      - 2
      - 0
    .max_flat_workgroup_size: 256
    .name:           _ZN7rocprim17ROCPRIM_400000_NS6detail17trampoline_kernelINS0_14default_configENS1_38merge_sort_block_merge_config_selectorIttEEZZNS1_27merge_sort_block_merge_implIS3_N6thrust23THRUST_200600_302600_NS6detail15normal_iteratorINS8_10device_ptrItEEEESD_jNS1_19radix_merge_compareILb0ELb1EtNS0_19identity_decomposerEEEEE10hipError_tT0_T1_T2_jT3_P12ihipStream_tbPNSt15iterator_traitsISI_E10value_typeEPNSO_ISJ_E10value_typeEPSK_NS1_7vsmem_tEENKUlT_SI_SJ_SK_E_clISD_PtSD_S10_EESH_SX_SI_SJ_SK_EUlSX_E0_NS1_11comp_targetILNS1_3genE8ELNS1_11target_archE1030ELNS1_3gpuE2ELNS1_3repE0EEENS1_38merge_mergepath_config_static_selectorELNS0_4arch9wavefront6targetE1EEEvSJ_
    .private_segment_fixed_size: 0
    .sgpr_count:     6
    .sgpr_spill_count: 0
    .symbol:         _ZN7rocprim17ROCPRIM_400000_NS6detail17trampoline_kernelINS0_14default_configENS1_38merge_sort_block_merge_config_selectorIttEEZZNS1_27merge_sort_block_merge_implIS3_N6thrust23THRUST_200600_302600_NS6detail15normal_iteratorINS8_10device_ptrItEEEESD_jNS1_19radix_merge_compareILb0ELb1EtNS0_19identity_decomposerEEEEE10hipError_tT0_T1_T2_jT3_P12ihipStream_tbPNSt15iterator_traitsISI_E10value_typeEPNSO_ISJ_E10value_typeEPSK_NS1_7vsmem_tEENKUlT_SI_SJ_SK_E_clISD_PtSD_S10_EESH_SX_SI_SJ_SK_EUlSX_E0_NS1_11comp_targetILNS1_3genE8ELNS1_11target_archE1030ELNS1_3gpuE2ELNS1_3repE0EEENS1_38merge_mergepath_config_static_selectorELNS0_4arch9wavefront6targetE1EEEvSJ_.kd
    .uniform_work_group_size: 1
    .uses_dynamic_stack: false
    .vgpr_count:     0
    .vgpr_spill_count: 0
    .wavefront_size: 64
  - .agpr_count:     0
    .args:
      - .offset:         0
        .size:           48
        .value_kind:     by_value
    .group_segment_fixed_size: 0
    .kernarg_segment_align: 8
    .kernarg_segment_size: 48
    .language:       OpenCL C
    .language_version:
      - 2
      - 0
    .max_flat_workgroup_size: 256
    .name:           _ZN7rocprim17ROCPRIM_400000_NS6detail17trampoline_kernelINS0_14default_configENS1_38merge_sort_block_merge_config_selectorIttEEZZNS1_27merge_sort_block_merge_implIS3_N6thrust23THRUST_200600_302600_NS6detail15normal_iteratorINS8_10device_ptrItEEEESD_jNS1_19radix_merge_compareILb0ELb1EtNS0_19identity_decomposerEEEEE10hipError_tT0_T1_T2_jT3_P12ihipStream_tbPNSt15iterator_traitsISI_E10value_typeEPNSO_ISJ_E10value_typeEPSK_NS1_7vsmem_tEENKUlT_SI_SJ_SK_E_clISD_PtSD_S10_EESH_SX_SI_SJ_SK_EUlSX_E1_NS1_11comp_targetILNS1_3genE0ELNS1_11target_archE4294967295ELNS1_3gpuE0ELNS1_3repE0EEENS1_36merge_oddeven_config_static_selectorELNS0_4arch9wavefront6targetE1EEEvSJ_
    .private_segment_fixed_size: 0
    .sgpr_count:     30
    .sgpr_spill_count: 0
    .symbol:         _ZN7rocprim17ROCPRIM_400000_NS6detail17trampoline_kernelINS0_14default_configENS1_38merge_sort_block_merge_config_selectorIttEEZZNS1_27merge_sort_block_merge_implIS3_N6thrust23THRUST_200600_302600_NS6detail15normal_iteratorINS8_10device_ptrItEEEESD_jNS1_19radix_merge_compareILb0ELb1EtNS0_19identity_decomposerEEEEE10hipError_tT0_T1_T2_jT3_P12ihipStream_tbPNSt15iterator_traitsISI_E10value_typeEPNSO_ISJ_E10value_typeEPSK_NS1_7vsmem_tEENKUlT_SI_SJ_SK_E_clISD_PtSD_S10_EESH_SX_SI_SJ_SK_EUlSX_E1_NS1_11comp_targetILNS1_3genE0ELNS1_11target_archE4294967295ELNS1_3gpuE0ELNS1_3repE0EEENS1_36merge_oddeven_config_static_selectorELNS0_4arch9wavefront6targetE1EEEvSJ_.kd
    .uniform_work_group_size: 1
    .uses_dynamic_stack: false
    .vgpr_count:     10
    .vgpr_spill_count: 0
    .wavefront_size: 64
  - .agpr_count:     0
    .args:
      - .offset:         0
        .size:           48
        .value_kind:     by_value
    .group_segment_fixed_size: 0
    .kernarg_segment_align: 8
    .kernarg_segment_size: 48
    .language:       OpenCL C
    .language_version:
      - 2
      - 0
    .max_flat_workgroup_size: 256
    .name:           _ZN7rocprim17ROCPRIM_400000_NS6detail17trampoline_kernelINS0_14default_configENS1_38merge_sort_block_merge_config_selectorIttEEZZNS1_27merge_sort_block_merge_implIS3_N6thrust23THRUST_200600_302600_NS6detail15normal_iteratorINS8_10device_ptrItEEEESD_jNS1_19radix_merge_compareILb0ELb1EtNS0_19identity_decomposerEEEEE10hipError_tT0_T1_T2_jT3_P12ihipStream_tbPNSt15iterator_traitsISI_E10value_typeEPNSO_ISJ_E10value_typeEPSK_NS1_7vsmem_tEENKUlT_SI_SJ_SK_E_clISD_PtSD_S10_EESH_SX_SI_SJ_SK_EUlSX_E1_NS1_11comp_targetILNS1_3genE10ELNS1_11target_archE1201ELNS1_3gpuE5ELNS1_3repE0EEENS1_36merge_oddeven_config_static_selectorELNS0_4arch9wavefront6targetE1EEEvSJ_
    .private_segment_fixed_size: 0
    .sgpr_count:     6
    .sgpr_spill_count: 0
    .symbol:         _ZN7rocprim17ROCPRIM_400000_NS6detail17trampoline_kernelINS0_14default_configENS1_38merge_sort_block_merge_config_selectorIttEEZZNS1_27merge_sort_block_merge_implIS3_N6thrust23THRUST_200600_302600_NS6detail15normal_iteratorINS8_10device_ptrItEEEESD_jNS1_19radix_merge_compareILb0ELb1EtNS0_19identity_decomposerEEEEE10hipError_tT0_T1_T2_jT3_P12ihipStream_tbPNSt15iterator_traitsISI_E10value_typeEPNSO_ISJ_E10value_typeEPSK_NS1_7vsmem_tEENKUlT_SI_SJ_SK_E_clISD_PtSD_S10_EESH_SX_SI_SJ_SK_EUlSX_E1_NS1_11comp_targetILNS1_3genE10ELNS1_11target_archE1201ELNS1_3gpuE5ELNS1_3repE0EEENS1_36merge_oddeven_config_static_selectorELNS0_4arch9wavefront6targetE1EEEvSJ_.kd
    .uniform_work_group_size: 1
    .uses_dynamic_stack: false
    .vgpr_count:     0
    .vgpr_spill_count: 0
    .wavefront_size: 64
  - .agpr_count:     0
    .args:
      - .offset:         0
        .size:           48
        .value_kind:     by_value
    .group_segment_fixed_size: 0
    .kernarg_segment_align: 8
    .kernarg_segment_size: 48
    .language:       OpenCL C
    .language_version:
      - 2
      - 0
    .max_flat_workgroup_size: 256
    .name:           _ZN7rocprim17ROCPRIM_400000_NS6detail17trampoline_kernelINS0_14default_configENS1_38merge_sort_block_merge_config_selectorIttEEZZNS1_27merge_sort_block_merge_implIS3_N6thrust23THRUST_200600_302600_NS6detail15normal_iteratorINS8_10device_ptrItEEEESD_jNS1_19radix_merge_compareILb0ELb1EtNS0_19identity_decomposerEEEEE10hipError_tT0_T1_T2_jT3_P12ihipStream_tbPNSt15iterator_traitsISI_E10value_typeEPNSO_ISJ_E10value_typeEPSK_NS1_7vsmem_tEENKUlT_SI_SJ_SK_E_clISD_PtSD_S10_EESH_SX_SI_SJ_SK_EUlSX_E1_NS1_11comp_targetILNS1_3genE5ELNS1_11target_archE942ELNS1_3gpuE9ELNS1_3repE0EEENS1_36merge_oddeven_config_static_selectorELNS0_4arch9wavefront6targetE1EEEvSJ_
    .private_segment_fixed_size: 0
    .sgpr_count:     6
    .sgpr_spill_count: 0
    .symbol:         _ZN7rocprim17ROCPRIM_400000_NS6detail17trampoline_kernelINS0_14default_configENS1_38merge_sort_block_merge_config_selectorIttEEZZNS1_27merge_sort_block_merge_implIS3_N6thrust23THRUST_200600_302600_NS6detail15normal_iteratorINS8_10device_ptrItEEEESD_jNS1_19radix_merge_compareILb0ELb1EtNS0_19identity_decomposerEEEEE10hipError_tT0_T1_T2_jT3_P12ihipStream_tbPNSt15iterator_traitsISI_E10value_typeEPNSO_ISJ_E10value_typeEPSK_NS1_7vsmem_tEENKUlT_SI_SJ_SK_E_clISD_PtSD_S10_EESH_SX_SI_SJ_SK_EUlSX_E1_NS1_11comp_targetILNS1_3genE5ELNS1_11target_archE942ELNS1_3gpuE9ELNS1_3repE0EEENS1_36merge_oddeven_config_static_selectorELNS0_4arch9wavefront6targetE1EEEvSJ_.kd
    .uniform_work_group_size: 1
    .uses_dynamic_stack: false
    .vgpr_count:     0
    .vgpr_spill_count: 0
    .wavefront_size: 64
  - .agpr_count:     0
    .args:
      - .offset:         0
        .size:           48
        .value_kind:     by_value
    .group_segment_fixed_size: 0
    .kernarg_segment_align: 8
    .kernarg_segment_size: 48
    .language:       OpenCL C
    .language_version:
      - 2
      - 0
    .max_flat_workgroup_size: 256
    .name:           _ZN7rocprim17ROCPRIM_400000_NS6detail17trampoline_kernelINS0_14default_configENS1_38merge_sort_block_merge_config_selectorIttEEZZNS1_27merge_sort_block_merge_implIS3_N6thrust23THRUST_200600_302600_NS6detail15normal_iteratorINS8_10device_ptrItEEEESD_jNS1_19radix_merge_compareILb0ELb1EtNS0_19identity_decomposerEEEEE10hipError_tT0_T1_T2_jT3_P12ihipStream_tbPNSt15iterator_traitsISI_E10value_typeEPNSO_ISJ_E10value_typeEPSK_NS1_7vsmem_tEENKUlT_SI_SJ_SK_E_clISD_PtSD_S10_EESH_SX_SI_SJ_SK_EUlSX_E1_NS1_11comp_targetILNS1_3genE4ELNS1_11target_archE910ELNS1_3gpuE8ELNS1_3repE0EEENS1_36merge_oddeven_config_static_selectorELNS0_4arch9wavefront6targetE1EEEvSJ_
    .private_segment_fixed_size: 0
    .sgpr_count:     6
    .sgpr_spill_count: 0
    .symbol:         _ZN7rocprim17ROCPRIM_400000_NS6detail17trampoline_kernelINS0_14default_configENS1_38merge_sort_block_merge_config_selectorIttEEZZNS1_27merge_sort_block_merge_implIS3_N6thrust23THRUST_200600_302600_NS6detail15normal_iteratorINS8_10device_ptrItEEEESD_jNS1_19radix_merge_compareILb0ELb1EtNS0_19identity_decomposerEEEEE10hipError_tT0_T1_T2_jT3_P12ihipStream_tbPNSt15iterator_traitsISI_E10value_typeEPNSO_ISJ_E10value_typeEPSK_NS1_7vsmem_tEENKUlT_SI_SJ_SK_E_clISD_PtSD_S10_EESH_SX_SI_SJ_SK_EUlSX_E1_NS1_11comp_targetILNS1_3genE4ELNS1_11target_archE910ELNS1_3gpuE8ELNS1_3repE0EEENS1_36merge_oddeven_config_static_selectorELNS0_4arch9wavefront6targetE1EEEvSJ_.kd
    .uniform_work_group_size: 1
    .uses_dynamic_stack: false
    .vgpr_count:     0
    .vgpr_spill_count: 0
    .wavefront_size: 64
  - .agpr_count:     0
    .args:
      - .offset:         0
        .size:           48
        .value_kind:     by_value
    .group_segment_fixed_size: 0
    .kernarg_segment_align: 8
    .kernarg_segment_size: 48
    .language:       OpenCL C
    .language_version:
      - 2
      - 0
    .max_flat_workgroup_size: 256
    .name:           _ZN7rocprim17ROCPRIM_400000_NS6detail17trampoline_kernelINS0_14default_configENS1_38merge_sort_block_merge_config_selectorIttEEZZNS1_27merge_sort_block_merge_implIS3_N6thrust23THRUST_200600_302600_NS6detail15normal_iteratorINS8_10device_ptrItEEEESD_jNS1_19radix_merge_compareILb0ELb1EtNS0_19identity_decomposerEEEEE10hipError_tT0_T1_T2_jT3_P12ihipStream_tbPNSt15iterator_traitsISI_E10value_typeEPNSO_ISJ_E10value_typeEPSK_NS1_7vsmem_tEENKUlT_SI_SJ_SK_E_clISD_PtSD_S10_EESH_SX_SI_SJ_SK_EUlSX_E1_NS1_11comp_targetILNS1_3genE3ELNS1_11target_archE908ELNS1_3gpuE7ELNS1_3repE0EEENS1_36merge_oddeven_config_static_selectorELNS0_4arch9wavefront6targetE1EEEvSJ_
    .private_segment_fixed_size: 0
    .sgpr_count:     6
    .sgpr_spill_count: 0
    .symbol:         _ZN7rocprim17ROCPRIM_400000_NS6detail17trampoline_kernelINS0_14default_configENS1_38merge_sort_block_merge_config_selectorIttEEZZNS1_27merge_sort_block_merge_implIS3_N6thrust23THRUST_200600_302600_NS6detail15normal_iteratorINS8_10device_ptrItEEEESD_jNS1_19radix_merge_compareILb0ELb1EtNS0_19identity_decomposerEEEEE10hipError_tT0_T1_T2_jT3_P12ihipStream_tbPNSt15iterator_traitsISI_E10value_typeEPNSO_ISJ_E10value_typeEPSK_NS1_7vsmem_tEENKUlT_SI_SJ_SK_E_clISD_PtSD_S10_EESH_SX_SI_SJ_SK_EUlSX_E1_NS1_11comp_targetILNS1_3genE3ELNS1_11target_archE908ELNS1_3gpuE7ELNS1_3repE0EEENS1_36merge_oddeven_config_static_selectorELNS0_4arch9wavefront6targetE1EEEvSJ_.kd
    .uniform_work_group_size: 1
    .uses_dynamic_stack: false
    .vgpr_count:     0
    .vgpr_spill_count: 0
    .wavefront_size: 64
  - .agpr_count:     0
    .args:
      - .offset:         0
        .size:           48
        .value_kind:     by_value
    .group_segment_fixed_size: 0
    .kernarg_segment_align: 8
    .kernarg_segment_size: 48
    .language:       OpenCL C
    .language_version:
      - 2
      - 0
    .max_flat_workgroup_size: 256
    .name:           _ZN7rocprim17ROCPRIM_400000_NS6detail17trampoline_kernelINS0_14default_configENS1_38merge_sort_block_merge_config_selectorIttEEZZNS1_27merge_sort_block_merge_implIS3_N6thrust23THRUST_200600_302600_NS6detail15normal_iteratorINS8_10device_ptrItEEEESD_jNS1_19radix_merge_compareILb0ELb1EtNS0_19identity_decomposerEEEEE10hipError_tT0_T1_T2_jT3_P12ihipStream_tbPNSt15iterator_traitsISI_E10value_typeEPNSO_ISJ_E10value_typeEPSK_NS1_7vsmem_tEENKUlT_SI_SJ_SK_E_clISD_PtSD_S10_EESH_SX_SI_SJ_SK_EUlSX_E1_NS1_11comp_targetILNS1_3genE2ELNS1_11target_archE906ELNS1_3gpuE6ELNS1_3repE0EEENS1_36merge_oddeven_config_static_selectorELNS0_4arch9wavefront6targetE1EEEvSJ_
    .private_segment_fixed_size: 0
    .sgpr_count:     6
    .sgpr_spill_count: 0
    .symbol:         _ZN7rocprim17ROCPRIM_400000_NS6detail17trampoline_kernelINS0_14default_configENS1_38merge_sort_block_merge_config_selectorIttEEZZNS1_27merge_sort_block_merge_implIS3_N6thrust23THRUST_200600_302600_NS6detail15normal_iteratorINS8_10device_ptrItEEEESD_jNS1_19radix_merge_compareILb0ELb1EtNS0_19identity_decomposerEEEEE10hipError_tT0_T1_T2_jT3_P12ihipStream_tbPNSt15iterator_traitsISI_E10value_typeEPNSO_ISJ_E10value_typeEPSK_NS1_7vsmem_tEENKUlT_SI_SJ_SK_E_clISD_PtSD_S10_EESH_SX_SI_SJ_SK_EUlSX_E1_NS1_11comp_targetILNS1_3genE2ELNS1_11target_archE906ELNS1_3gpuE6ELNS1_3repE0EEENS1_36merge_oddeven_config_static_selectorELNS0_4arch9wavefront6targetE1EEEvSJ_.kd
    .uniform_work_group_size: 1
    .uses_dynamic_stack: false
    .vgpr_count:     0
    .vgpr_spill_count: 0
    .wavefront_size: 64
  - .agpr_count:     0
    .args:
      - .offset:         0
        .size:           48
        .value_kind:     by_value
    .group_segment_fixed_size: 0
    .kernarg_segment_align: 8
    .kernarg_segment_size: 48
    .language:       OpenCL C
    .language_version:
      - 2
      - 0
    .max_flat_workgroup_size: 256
    .name:           _ZN7rocprim17ROCPRIM_400000_NS6detail17trampoline_kernelINS0_14default_configENS1_38merge_sort_block_merge_config_selectorIttEEZZNS1_27merge_sort_block_merge_implIS3_N6thrust23THRUST_200600_302600_NS6detail15normal_iteratorINS8_10device_ptrItEEEESD_jNS1_19radix_merge_compareILb0ELb1EtNS0_19identity_decomposerEEEEE10hipError_tT0_T1_T2_jT3_P12ihipStream_tbPNSt15iterator_traitsISI_E10value_typeEPNSO_ISJ_E10value_typeEPSK_NS1_7vsmem_tEENKUlT_SI_SJ_SK_E_clISD_PtSD_S10_EESH_SX_SI_SJ_SK_EUlSX_E1_NS1_11comp_targetILNS1_3genE9ELNS1_11target_archE1100ELNS1_3gpuE3ELNS1_3repE0EEENS1_36merge_oddeven_config_static_selectorELNS0_4arch9wavefront6targetE1EEEvSJ_
    .private_segment_fixed_size: 0
    .sgpr_count:     6
    .sgpr_spill_count: 0
    .symbol:         _ZN7rocprim17ROCPRIM_400000_NS6detail17trampoline_kernelINS0_14default_configENS1_38merge_sort_block_merge_config_selectorIttEEZZNS1_27merge_sort_block_merge_implIS3_N6thrust23THRUST_200600_302600_NS6detail15normal_iteratorINS8_10device_ptrItEEEESD_jNS1_19radix_merge_compareILb0ELb1EtNS0_19identity_decomposerEEEEE10hipError_tT0_T1_T2_jT3_P12ihipStream_tbPNSt15iterator_traitsISI_E10value_typeEPNSO_ISJ_E10value_typeEPSK_NS1_7vsmem_tEENKUlT_SI_SJ_SK_E_clISD_PtSD_S10_EESH_SX_SI_SJ_SK_EUlSX_E1_NS1_11comp_targetILNS1_3genE9ELNS1_11target_archE1100ELNS1_3gpuE3ELNS1_3repE0EEENS1_36merge_oddeven_config_static_selectorELNS0_4arch9wavefront6targetE1EEEvSJ_.kd
    .uniform_work_group_size: 1
    .uses_dynamic_stack: false
    .vgpr_count:     0
    .vgpr_spill_count: 0
    .wavefront_size: 64
  - .agpr_count:     0
    .args:
      - .offset:         0
        .size:           48
        .value_kind:     by_value
    .group_segment_fixed_size: 0
    .kernarg_segment_align: 8
    .kernarg_segment_size: 48
    .language:       OpenCL C
    .language_version:
      - 2
      - 0
    .max_flat_workgroup_size: 256
    .name:           _ZN7rocprim17ROCPRIM_400000_NS6detail17trampoline_kernelINS0_14default_configENS1_38merge_sort_block_merge_config_selectorIttEEZZNS1_27merge_sort_block_merge_implIS3_N6thrust23THRUST_200600_302600_NS6detail15normal_iteratorINS8_10device_ptrItEEEESD_jNS1_19radix_merge_compareILb0ELb1EtNS0_19identity_decomposerEEEEE10hipError_tT0_T1_T2_jT3_P12ihipStream_tbPNSt15iterator_traitsISI_E10value_typeEPNSO_ISJ_E10value_typeEPSK_NS1_7vsmem_tEENKUlT_SI_SJ_SK_E_clISD_PtSD_S10_EESH_SX_SI_SJ_SK_EUlSX_E1_NS1_11comp_targetILNS1_3genE8ELNS1_11target_archE1030ELNS1_3gpuE2ELNS1_3repE0EEENS1_36merge_oddeven_config_static_selectorELNS0_4arch9wavefront6targetE1EEEvSJ_
    .private_segment_fixed_size: 0
    .sgpr_count:     6
    .sgpr_spill_count: 0
    .symbol:         _ZN7rocprim17ROCPRIM_400000_NS6detail17trampoline_kernelINS0_14default_configENS1_38merge_sort_block_merge_config_selectorIttEEZZNS1_27merge_sort_block_merge_implIS3_N6thrust23THRUST_200600_302600_NS6detail15normal_iteratorINS8_10device_ptrItEEEESD_jNS1_19radix_merge_compareILb0ELb1EtNS0_19identity_decomposerEEEEE10hipError_tT0_T1_T2_jT3_P12ihipStream_tbPNSt15iterator_traitsISI_E10value_typeEPNSO_ISJ_E10value_typeEPSK_NS1_7vsmem_tEENKUlT_SI_SJ_SK_E_clISD_PtSD_S10_EESH_SX_SI_SJ_SK_EUlSX_E1_NS1_11comp_targetILNS1_3genE8ELNS1_11target_archE1030ELNS1_3gpuE2ELNS1_3repE0EEENS1_36merge_oddeven_config_static_selectorELNS0_4arch9wavefront6targetE1EEEvSJ_.kd
    .uniform_work_group_size: 1
    .uses_dynamic_stack: false
    .vgpr_count:     0
    .vgpr_spill_count: 0
    .wavefront_size: 64
  - .agpr_count:     0
    .args:
      - .offset:         0
        .size:           40
        .value_kind:     by_value
    .group_segment_fixed_size: 0
    .kernarg_segment_align: 8
    .kernarg_segment_size: 40
    .language:       OpenCL C
    .language_version:
      - 2
      - 0
    .max_flat_workgroup_size: 256
    .name:           _ZN7rocprim17ROCPRIM_400000_NS6detail17trampoline_kernelINS0_14default_configENS1_35radix_sort_onesweep_config_selectorIttEEZNS1_34radix_sort_onesweep_global_offsetsIS3_Lb0EN6thrust23THRUST_200600_302600_NS6detail15normal_iteratorINS8_10device_ptrItEEEESD_jNS0_19identity_decomposerEEE10hipError_tT1_T2_PT3_SI_jT4_jjP12ihipStream_tbEUlT_E_NS1_11comp_targetILNS1_3genE0ELNS1_11target_archE4294967295ELNS1_3gpuE0ELNS1_3repE0EEENS1_52radix_sort_onesweep_histogram_config_static_selectorELNS0_4arch9wavefront6targetE1EEEvSG_
    .private_segment_fixed_size: 0
    .sgpr_count:     6
    .sgpr_spill_count: 0
    .symbol:         _ZN7rocprim17ROCPRIM_400000_NS6detail17trampoline_kernelINS0_14default_configENS1_35radix_sort_onesweep_config_selectorIttEEZNS1_34radix_sort_onesweep_global_offsetsIS3_Lb0EN6thrust23THRUST_200600_302600_NS6detail15normal_iteratorINS8_10device_ptrItEEEESD_jNS0_19identity_decomposerEEE10hipError_tT1_T2_PT3_SI_jT4_jjP12ihipStream_tbEUlT_E_NS1_11comp_targetILNS1_3genE0ELNS1_11target_archE4294967295ELNS1_3gpuE0ELNS1_3repE0EEENS1_52radix_sort_onesweep_histogram_config_static_selectorELNS0_4arch9wavefront6targetE1EEEvSG_.kd
    .uniform_work_group_size: 1
    .uses_dynamic_stack: false
    .vgpr_count:     0
    .vgpr_spill_count: 0
    .wavefront_size: 64
  - .agpr_count:     0
    .args:
      - .offset:         0
        .size:           40
        .value_kind:     by_value
    .group_segment_fixed_size: 3072
    .kernarg_segment_align: 8
    .kernarg_segment_size: 40
    .language:       OpenCL C
    .language_version:
      - 2
      - 0
    .max_flat_workgroup_size: 512
    .name:           _ZN7rocprim17ROCPRIM_400000_NS6detail17trampoline_kernelINS0_14default_configENS1_35radix_sort_onesweep_config_selectorIttEEZNS1_34radix_sort_onesweep_global_offsetsIS3_Lb0EN6thrust23THRUST_200600_302600_NS6detail15normal_iteratorINS8_10device_ptrItEEEESD_jNS0_19identity_decomposerEEE10hipError_tT1_T2_PT3_SI_jT4_jjP12ihipStream_tbEUlT_E_NS1_11comp_targetILNS1_3genE6ELNS1_11target_archE950ELNS1_3gpuE13ELNS1_3repE0EEENS1_52radix_sort_onesweep_histogram_config_static_selectorELNS0_4arch9wavefront6targetE1EEEvSG_
    .private_segment_fixed_size: 0
    .sgpr_count:     26
    .sgpr_spill_count: 0
    .symbol:         _ZN7rocprim17ROCPRIM_400000_NS6detail17trampoline_kernelINS0_14default_configENS1_35radix_sort_onesweep_config_selectorIttEEZNS1_34radix_sort_onesweep_global_offsetsIS3_Lb0EN6thrust23THRUST_200600_302600_NS6detail15normal_iteratorINS8_10device_ptrItEEEESD_jNS0_19identity_decomposerEEE10hipError_tT1_T2_PT3_SI_jT4_jjP12ihipStream_tbEUlT_E_NS1_11comp_targetILNS1_3genE6ELNS1_11target_archE950ELNS1_3gpuE13ELNS1_3repE0EEENS1_52radix_sort_onesweep_histogram_config_static_selectorELNS0_4arch9wavefront6targetE1EEEvSG_.kd
    .uniform_work_group_size: 1
    .uses_dynamic_stack: false
    .vgpr_count:     68
    .vgpr_spill_count: 0
    .wavefront_size: 64
  - .agpr_count:     0
    .args:
      - .offset:         0
        .size:           40
        .value_kind:     by_value
    .group_segment_fixed_size: 0
    .kernarg_segment_align: 8
    .kernarg_segment_size: 40
    .language:       OpenCL C
    .language_version:
      - 2
      - 0
    .max_flat_workgroup_size: 512
    .name:           _ZN7rocprim17ROCPRIM_400000_NS6detail17trampoline_kernelINS0_14default_configENS1_35radix_sort_onesweep_config_selectorIttEEZNS1_34radix_sort_onesweep_global_offsetsIS3_Lb0EN6thrust23THRUST_200600_302600_NS6detail15normal_iteratorINS8_10device_ptrItEEEESD_jNS0_19identity_decomposerEEE10hipError_tT1_T2_PT3_SI_jT4_jjP12ihipStream_tbEUlT_E_NS1_11comp_targetILNS1_3genE5ELNS1_11target_archE942ELNS1_3gpuE9ELNS1_3repE0EEENS1_52radix_sort_onesweep_histogram_config_static_selectorELNS0_4arch9wavefront6targetE1EEEvSG_
    .private_segment_fixed_size: 0
    .sgpr_count:     6
    .sgpr_spill_count: 0
    .symbol:         _ZN7rocprim17ROCPRIM_400000_NS6detail17trampoline_kernelINS0_14default_configENS1_35radix_sort_onesweep_config_selectorIttEEZNS1_34radix_sort_onesweep_global_offsetsIS3_Lb0EN6thrust23THRUST_200600_302600_NS6detail15normal_iteratorINS8_10device_ptrItEEEESD_jNS0_19identity_decomposerEEE10hipError_tT1_T2_PT3_SI_jT4_jjP12ihipStream_tbEUlT_E_NS1_11comp_targetILNS1_3genE5ELNS1_11target_archE942ELNS1_3gpuE9ELNS1_3repE0EEENS1_52radix_sort_onesweep_histogram_config_static_selectorELNS0_4arch9wavefront6targetE1EEEvSG_.kd
    .uniform_work_group_size: 1
    .uses_dynamic_stack: false
    .vgpr_count:     0
    .vgpr_spill_count: 0
    .wavefront_size: 64
  - .agpr_count:     0
    .args:
      - .offset:         0
        .size:           40
        .value_kind:     by_value
    .group_segment_fixed_size: 0
    .kernarg_segment_align: 8
    .kernarg_segment_size: 40
    .language:       OpenCL C
    .language_version:
      - 2
      - 0
    .max_flat_workgroup_size: 256
    .name:           _ZN7rocprim17ROCPRIM_400000_NS6detail17trampoline_kernelINS0_14default_configENS1_35radix_sort_onesweep_config_selectorIttEEZNS1_34radix_sort_onesweep_global_offsetsIS3_Lb0EN6thrust23THRUST_200600_302600_NS6detail15normal_iteratorINS8_10device_ptrItEEEESD_jNS0_19identity_decomposerEEE10hipError_tT1_T2_PT3_SI_jT4_jjP12ihipStream_tbEUlT_E_NS1_11comp_targetILNS1_3genE2ELNS1_11target_archE906ELNS1_3gpuE6ELNS1_3repE0EEENS1_52radix_sort_onesweep_histogram_config_static_selectorELNS0_4arch9wavefront6targetE1EEEvSG_
    .private_segment_fixed_size: 0
    .sgpr_count:     6
    .sgpr_spill_count: 0
    .symbol:         _ZN7rocprim17ROCPRIM_400000_NS6detail17trampoline_kernelINS0_14default_configENS1_35radix_sort_onesweep_config_selectorIttEEZNS1_34radix_sort_onesweep_global_offsetsIS3_Lb0EN6thrust23THRUST_200600_302600_NS6detail15normal_iteratorINS8_10device_ptrItEEEESD_jNS0_19identity_decomposerEEE10hipError_tT1_T2_PT3_SI_jT4_jjP12ihipStream_tbEUlT_E_NS1_11comp_targetILNS1_3genE2ELNS1_11target_archE906ELNS1_3gpuE6ELNS1_3repE0EEENS1_52radix_sort_onesweep_histogram_config_static_selectorELNS0_4arch9wavefront6targetE1EEEvSG_.kd
    .uniform_work_group_size: 1
    .uses_dynamic_stack: false
    .vgpr_count:     0
    .vgpr_spill_count: 0
    .wavefront_size: 64
  - .agpr_count:     0
    .args:
      - .offset:         0
        .size:           40
        .value_kind:     by_value
    .group_segment_fixed_size: 0
    .kernarg_segment_align: 8
    .kernarg_segment_size: 40
    .language:       OpenCL C
    .language_version:
      - 2
      - 0
    .max_flat_workgroup_size: 512
    .name:           _ZN7rocprim17ROCPRIM_400000_NS6detail17trampoline_kernelINS0_14default_configENS1_35radix_sort_onesweep_config_selectorIttEEZNS1_34radix_sort_onesweep_global_offsetsIS3_Lb0EN6thrust23THRUST_200600_302600_NS6detail15normal_iteratorINS8_10device_ptrItEEEESD_jNS0_19identity_decomposerEEE10hipError_tT1_T2_PT3_SI_jT4_jjP12ihipStream_tbEUlT_E_NS1_11comp_targetILNS1_3genE4ELNS1_11target_archE910ELNS1_3gpuE8ELNS1_3repE0EEENS1_52radix_sort_onesweep_histogram_config_static_selectorELNS0_4arch9wavefront6targetE1EEEvSG_
    .private_segment_fixed_size: 0
    .sgpr_count:     6
    .sgpr_spill_count: 0
    .symbol:         _ZN7rocprim17ROCPRIM_400000_NS6detail17trampoline_kernelINS0_14default_configENS1_35radix_sort_onesweep_config_selectorIttEEZNS1_34radix_sort_onesweep_global_offsetsIS3_Lb0EN6thrust23THRUST_200600_302600_NS6detail15normal_iteratorINS8_10device_ptrItEEEESD_jNS0_19identity_decomposerEEE10hipError_tT1_T2_PT3_SI_jT4_jjP12ihipStream_tbEUlT_E_NS1_11comp_targetILNS1_3genE4ELNS1_11target_archE910ELNS1_3gpuE8ELNS1_3repE0EEENS1_52radix_sort_onesweep_histogram_config_static_selectorELNS0_4arch9wavefront6targetE1EEEvSG_.kd
    .uniform_work_group_size: 1
    .uses_dynamic_stack: false
    .vgpr_count:     0
    .vgpr_spill_count: 0
    .wavefront_size: 64
  - .agpr_count:     0
    .args:
      - .offset:         0
        .size:           40
        .value_kind:     by_value
    .group_segment_fixed_size: 0
    .kernarg_segment_align: 8
    .kernarg_segment_size: 40
    .language:       OpenCL C
    .language_version:
      - 2
      - 0
    .max_flat_workgroup_size: 256
    .name:           _ZN7rocprim17ROCPRIM_400000_NS6detail17trampoline_kernelINS0_14default_configENS1_35radix_sort_onesweep_config_selectorIttEEZNS1_34radix_sort_onesweep_global_offsetsIS3_Lb0EN6thrust23THRUST_200600_302600_NS6detail15normal_iteratorINS8_10device_ptrItEEEESD_jNS0_19identity_decomposerEEE10hipError_tT1_T2_PT3_SI_jT4_jjP12ihipStream_tbEUlT_E_NS1_11comp_targetILNS1_3genE3ELNS1_11target_archE908ELNS1_3gpuE7ELNS1_3repE0EEENS1_52radix_sort_onesweep_histogram_config_static_selectorELNS0_4arch9wavefront6targetE1EEEvSG_
    .private_segment_fixed_size: 0
    .sgpr_count:     6
    .sgpr_spill_count: 0
    .symbol:         _ZN7rocprim17ROCPRIM_400000_NS6detail17trampoline_kernelINS0_14default_configENS1_35radix_sort_onesweep_config_selectorIttEEZNS1_34radix_sort_onesweep_global_offsetsIS3_Lb0EN6thrust23THRUST_200600_302600_NS6detail15normal_iteratorINS8_10device_ptrItEEEESD_jNS0_19identity_decomposerEEE10hipError_tT1_T2_PT3_SI_jT4_jjP12ihipStream_tbEUlT_E_NS1_11comp_targetILNS1_3genE3ELNS1_11target_archE908ELNS1_3gpuE7ELNS1_3repE0EEENS1_52radix_sort_onesweep_histogram_config_static_selectorELNS0_4arch9wavefront6targetE1EEEvSG_.kd
    .uniform_work_group_size: 1
    .uses_dynamic_stack: false
    .vgpr_count:     0
    .vgpr_spill_count: 0
    .wavefront_size: 64
  - .agpr_count:     0
    .args:
      - .offset:         0
        .size:           40
        .value_kind:     by_value
    .group_segment_fixed_size: 0
    .kernarg_segment_align: 8
    .kernarg_segment_size: 40
    .language:       OpenCL C
    .language_version:
      - 2
      - 0
    .max_flat_workgroup_size: 512
    .name:           _ZN7rocprim17ROCPRIM_400000_NS6detail17trampoline_kernelINS0_14default_configENS1_35radix_sort_onesweep_config_selectorIttEEZNS1_34radix_sort_onesweep_global_offsetsIS3_Lb0EN6thrust23THRUST_200600_302600_NS6detail15normal_iteratorINS8_10device_ptrItEEEESD_jNS0_19identity_decomposerEEE10hipError_tT1_T2_PT3_SI_jT4_jjP12ihipStream_tbEUlT_E_NS1_11comp_targetILNS1_3genE10ELNS1_11target_archE1201ELNS1_3gpuE5ELNS1_3repE0EEENS1_52radix_sort_onesweep_histogram_config_static_selectorELNS0_4arch9wavefront6targetE1EEEvSG_
    .private_segment_fixed_size: 0
    .sgpr_count:     6
    .sgpr_spill_count: 0
    .symbol:         _ZN7rocprim17ROCPRIM_400000_NS6detail17trampoline_kernelINS0_14default_configENS1_35radix_sort_onesweep_config_selectorIttEEZNS1_34radix_sort_onesweep_global_offsetsIS3_Lb0EN6thrust23THRUST_200600_302600_NS6detail15normal_iteratorINS8_10device_ptrItEEEESD_jNS0_19identity_decomposerEEE10hipError_tT1_T2_PT3_SI_jT4_jjP12ihipStream_tbEUlT_E_NS1_11comp_targetILNS1_3genE10ELNS1_11target_archE1201ELNS1_3gpuE5ELNS1_3repE0EEENS1_52radix_sort_onesweep_histogram_config_static_selectorELNS0_4arch9wavefront6targetE1EEEvSG_.kd
    .uniform_work_group_size: 1
    .uses_dynamic_stack: false
    .vgpr_count:     0
    .vgpr_spill_count: 0
    .wavefront_size: 64
  - .agpr_count:     0
    .args:
      - .offset:         0
        .size:           40
        .value_kind:     by_value
    .group_segment_fixed_size: 0
    .kernarg_segment_align: 8
    .kernarg_segment_size: 40
    .language:       OpenCL C
    .language_version:
      - 2
      - 0
    .max_flat_workgroup_size: 1024
    .name:           _ZN7rocprim17ROCPRIM_400000_NS6detail17trampoline_kernelINS0_14default_configENS1_35radix_sort_onesweep_config_selectorIttEEZNS1_34radix_sort_onesweep_global_offsetsIS3_Lb0EN6thrust23THRUST_200600_302600_NS6detail15normal_iteratorINS8_10device_ptrItEEEESD_jNS0_19identity_decomposerEEE10hipError_tT1_T2_PT3_SI_jT4_jjP12ihipStream_tbEUlT_E_NS1_11comp_targetILNS1_3genE9ELNS1_11target_archE1100ELNS1_3gpuE3ELNS1_3repE0EEENS1_52radix_sort_onesweep_histogram_config_static_selectorELNS0_4arch9wavefront6targetE1EEEvSG_
    .private_segment_fixed_size: 0
    .sgpr_count:     6
    .sgpr_spill_count: 0
    .symbol:         _ZN7rocprim17ROCPRIM_400000_NS6detail17trampoline_kernelINS0_14default_configENS1_35radix_sort_onesweep_config_selectorIttEEZNS1_34radix_sort_onesweep_global_offsetsIS3_Lb0EN6thrust23THRUST_200600_302600_NS6detail15normal_iteratorINS8_10device_ptrItEEEESD_jNS0_19identity_decomposerEEE10hipError_tT1_T2_PT3_SI_jT4_jjP12ihipStream_tbEUlT_E_NS1_11comp_targetILNS1_3genE9ELNS1_11target_archE1100ELNS1_3gpuE3ELNS1_3repE0EEENS1_52radix_sort_onesweep_histogram_config_static_selectorELNS0_4arch9wavefront6targetE1EEEvSG_.kd
    .uniform_work_group_size: 1
    .uses_dynamic_stack: false
    .vgpr_count:     0
    .vgpr_spill_count: 0
    .wavefront_size: 64
  - .agpr_count:     0
    .args:
      - .offset:         0
        .size:           40
        .value_kind:     by_value
    .group_segment_fixed_size: 0
    .kernarg_segment_align: 8
    .kernarg_segment_size: 40
    .language:       OpenCL C
    .language_version:
      - 2
      - 0
    .max_flat_workgroup_size: 1024
    .name:           _ZN7rocprim17ROCPRIM_400000_NS6detail17trampoline_kernelINS0_14default_configENS1_35radix_sort_onesweep_config_selectorIttEEZNS1_34radix_sort_onesweep_global_offsetsIS3_Lb0EN6thrust23THRUST_200600_302600_NS6detail15normal_iteratorINS8_10device_ptrItEEEESD_jNS0_19identity_decomposerEEE10hipError_tT1_T2_PT3_SI_jT4_jjP12ihipStream_tbEUlT_E_NS1_11comp_targetILNS1_3genE8ELNS1_11target_archE1030ELNS1_3gpuE2ELNS1_3repE0EEENS1_52radix_sort_onesweep_histogram_config_static_selectorELNS0_4arch9wavefront6targetE1EEEvSG_
    .private_segment_fixed_size: 0
    .sgpr_count:     6
    .sgpr_spill_count: 0
    .symbol:         _ZN7rocprim17ROCPRIM_400000_NS6detail17trampoline_kernelINS0_14default_configENS1_35radix_sort_onesweep_config_selectorIttEEZNS1_34radix_sort_onesweep_global_offsetsIS3_Lb0EN6thrust23THRUST_200600_302600_NS6detail15normal_iteratorINS8_10device_ptrItEEEESD_jNS0_19identity_decomposerEEE10hipError_tT1_T2_PT3_SI_jT4_jjP12ihipStream_tbEUlT_E_NS1_11comp_targetILNS1_3genE8ELNS1_11target_archE1030ELNS1_3gpuE2ELNS1_3repE0EEENS1_52radix_sort_onesweep_histogram_config_static_selectorELNS0_4arch9wavefront6targetE1EEEvSG_.kd
    .uniform_work_group_size: 1
    .uses_dynamic_stack: false
    .vgpr_count:     0
    .vgpr_spill_count: 0
    .wavefront_size: 64
  - .agpr_count:     0
    .args:
      - .address_space:  global
        .offset:         0
        .size:           8
        .value_kind:     global_buffer
    .group_segment_fixed_size: 0
    .kernarg_segment_align: 8
    .kernarg_segment_size: 8
    .language:       OpenCL C
    .language_version:
      - 2
      - 0
    .max_flat_workgroup_size: 256
    .name:           _ZN7rocprim17ROCPRIM_400000_NS6detail17trampoline_kernelINS0_14default_configENS1_35radix_sort_onesweep_config_selectorIttEEZNS1_34radix_sort_onesweep_global_offsetsIS3_Lb0EN6thrust23THRUST_200600_302600_NS6detail15normal_iteratorINS8_10device_ptrItEEEESD_jNS0_19identity_decomposerEEE10hipError_tT1_T2_PT3_SI_jT4_jjP12ihipStream_tbEUlT_E0_NS1_11comp_targetILNS1_3genE0ELNS1_11target_archE4294967295ELNS1_3gpuE0ELNS1_3repE0EEENS1_52radix_sort_onesweep_histogram_config_static_selectorELNS0_4arch9wavefront6targetE1EEEvSG_
    .private_segment_fixed_size: 0
    .sgpr_count:     6
    .sgpr_spill_count: 0
    .symbol:         _ZN7rocprim17ROCPRIM_400000_NS6detail17trampoline_kernelINS0_14default_configENS1_35radix_sort_onesweep_config_selectorIttEEZNS1_34radix_sort_onesweep_global_offsetsIS3_Lb0EN6thrust23THRUST_200600_302600_NS6detail15normal_iteratorINS8_10device_ptrItEEEESD_jNS0_19identity_decomposerEEE10hipError_tT1_T2_PT3_SI_jT4_jjP12ihipStream_tbEUlT_E0_NS1_11comp_targetILNS1_3genE0ELNS1_11target_archE4294967295ELNS1_3gpuE0ELNS1_3repE0EEENS1_52radix_sort_onesweep_histogram_config_static_selectorELNS0_4arch9wavefront6targetE1EEEvSG_.kd
    .uniform_work_group_size: 1
    .uses_dynamic_stack: false
    .vgpr_count:     0
    .vgpr_spill_count: 0
    .wavefront_size: 64
  - .agpr_count:     0
    .args:
      - .address_space:  global
        .offset:         0
        .size:           8
        .value_kind:     global_buffer
    .group_segment_fixed_size: 32
    .kernarg_segment_align: 8
    .kernarg_segment_size: 8
    .language:       OpenCL C
    .language_version:
      - 2
      - 0
    .max_flat_workgroup_size: 512
    .name:           _ZN7rocprim17ROCPRIM_400000_NS6detail17trampoline_kernelINS0_14default_configENS1_35radix_sort_onesweep_config_selectorIttEEZNS1_34radix_sort_onesweep_global_offsetsIS3_Lb0EN6thrust23THRUST_200600_302600_NS6detail15normal_iteratorINS8_10device_ptrItEEEESD_jNS0_19identity_decomposerEEE10hipError_tT1_T2_PT3_SI_jT4_jjP12ihipStream_tbEUlT_E0_NS1_11comp_targetILNS1_3genE6ELNS1_11target_archE950ELNS1_3gpuE13ELNS1_3repE0EEENS1_52radix_sort_onesweep_histogram_config_static_selectorELNS0_4arch9wavefront6targetE1EEEvSG_
    .private_segment_fixed_size: 0
    .sgpr_count:     14
    .sgpr_spill_count: 0
    .symbol:         _ZN7rocprim17ROCPRIM_400000_NS6detail17trampoline_kernelINS0_14default_configENS1_35radix_sort_onesweep_config_selectorIttEEZNS1_34radix_sort_onesweep_global_offsetsIS3_Lb0EN6thrust23THRUST_200600_302600_NS6detail15normal_iteratorINS8_10device_ptrItEEEESD_jNS0_19identity_decomposerEEE10hipError_tT1_T2_PT3_SI_jT4_jjP12ihipStream_tbEUlT_E0_NS1_11comp_targetILNS1_3genE6ELNS1_11target_archE950ELNS1_3gpuE13ELNS1_3repE0EEENS1_52radix_sort_onesweep_histogram_config_static_selectorELNS0_4arch9wavefront6targetE1EEEvSG_.kd
    .uniform_work_group_size: 1
    .uses_dynamic_stack: false
    .vgpr_count:     7
    .vgpr_spill_count: 0
    .wavefront_size: 64
  - .agpr_count:     0
    .args:
      - .address_space:  global
        .offset:         0
        .size:           8
        .value_kind:     global_buffer
    .group_segment_fixed_size: 0
    .kernarg_segment_align: 8
    .kernarg_segment_size: 8
    .language:       OpenCL C
    .language_version:
      - 2
      - 0
    .max_flat_workgroup_size: 512
    .name:           _ZN7rocprim17ROCPRIM_400000_NS6detail17trampoline_kernelINS0_14default_configENS1_35radix_sort_onesweep_config_selectorIttEEZNS1_34radix_sort_onesweep_global_offsetsIS3_Lb0EN6thrust23THRUST_200600_302600_NS6detail15normal_iteratorINS8_10device_ptrItEEEESD_jNS0_19identity_decomposerEEE10hipError_tT1_T2_PT3_SI_jT4_jjP12ihipStream_tbEUlT_E0_NS1_11comp_targetILNS1_3genE5ELNS1_11target_archE942ELNS1_3gpuE9ELNS1_3repE0EEENS1_52radix_sort_onesweep_histogram_config_static_selectorELNS0_4arch9wavefront6targetE1EEEvSG_
    .private_segment_fixed_size: 0
    .sgpr_count:     6
    .sgpr_spill_count: 0
    .symbol:         _ZN7rocprim17ROCPRIM_400000_NS6detail17trampoline_kernelINS0_14default_configENS1_35radix_sort_onesweep_config_selectorIttEEZNS1_34radix_sort_onesweep_global_offsetsIS3_Lb0EN6thrust23THRUST_200600_302600_NS6detail15normal_iteratorINS8_10device_ptrItEEEESD_jNS0_19identity_decomposerEEE10hipError_tT1_T2_PT3_SI_jT4_jjP12ihipStream_tbEUlT_E0_NS1_11comp_targetILNS1_3genE5ELNS1_11target_archE942ELNS1_3gpuE9ELNS1_3repE0EEENS1_52radix_sort_onesweep_histogram_config_static_selectorELNS0_4arch9wavefront6targetE1EEEvSG_.kd
    .uniform_work_group_size: 1
    .uses_dynamic_stack: false
    .vgpr_count:     0
    .vgpr_spill_count: 0
    .wavefront_size: 64
  - .agpr_count:     0
    .args:
      - .address_space:  global
        .offset:         0
        .size:           8
        .value_kind:     global_buffer
    .group_segment_fixed_size: 0
    .kernarg_segment_align: 8
    .kernarg_segment_size: 8
    .language:       OpenCL C
    .language_version:
      - 2
      - 0
    .max_flat_workgroup_size: 256
    .name:           _ZN7rocprim17ROCPRIM_400000_NS6detail17trampoline_kernelINS0_14default_configENS1_35radix_sort_onesweep_config_selectorIttEEZNS1_34radix_sort_onesweep_global_offsetsIS3_Lb0EN6thrust23THRUST_200600_302600_NS6detail15normal_iteratorINS8_10device_ptrItEEEESD_jNS0_19identity_decomposerEEE10hipError_tT1_T2_PT3_SI_jT4_jjP12ihipStream_tbEUlT_E0_NS1_11comp_targetILNS1_3genE2ELNS1_11target_archE906ELNS1_3gpuE6ELNS1_3repE0EEENS1_52radix_sort_onesweep_histogram_config_static_selectorELNS0_4arch9wavefront6targetE1EEEvSG_
    .private_segment_fixed_size: 0
    .sgpr_count:     6
    .sgpr_spill_count: 0
    .symbol:         _ZN7rocprim17ROCPRIM_400000_NS6detail17trampoline_kernelINS0_14default_configENS1_35radix_sort_onesweep_config_selectorIttEEZNS1_34radix_sort_onesweep_global_offsetsIS3_Lb0EN6thrust23THRUST_200600_302600_NS6detail15normal_iteratorINS8_10device_ptrItEEEESD_jNS0_19identity_decomposerEEE10hipError_tT1_T2_PT3_SI_jT4_jjP12ihipStream_tbEUlT_E0_NS1_11comp_targetILNS1_3genE2ELNS1_11target_archE906ELNS1_3gpuE6ELNS1_3repE0EEENS1_52radix_sort_onesweep_histogram_config_static_selectorELNS0_4arch9wavefront6targetE1EEEvSG_.kd
    .uniform_work_group_size: 1
    .uses_dynamic_stack: false
    .vgpr_count:     0
    .vgpr_spill_count: 0
    .wavefront_size: 64
  - .agpr_count:     0
    .args:
      - .address_space:  global
        .offset:         0
        .size:           8
        .value_kind:     global_buffer
    .group_segment_fixed_size: 0
    .kernarg_segment_align: 8
    .kernarg_segment_size: 8
    .language:       OpenCL C
    .language_version:
      - 2
      - 0
    .max_flat_workgroup_size: 512
    .name:           _ZN7rocprim17ROCPRIM_400000_NS6detail17trampoline_kernelINS0_14default_configENS1_35radix_sort_onesweep_config_selectorIttEEZNS1_34radix_sort_onesweep_global_offsetsIS3_Lb0EN6thrust23THRUST_200600_302600_NS6detail15normal_iteratorINS8_10device_ptrItEEEESD_jNS0_19identity_decomposerEEE10hipError_tT1_T2_PT3_SI_jT4_jjP12ihipStream_tbEUlT_E0_NS1_11comp_targetILNS1_3genE4ELNS1_11target_archE910ELNS1_3gpuE8ELNS1_3repE0EEENS1_52radix_sort_onesweep_histogram_config_static_selectorELNS0_4arch9wavefront6targetE1EEEvSG_
    .private_segment_fixed_size: 0
    .sgpr_count:     6
    .sgpr_spill_count: 0
    .symbol:         _ZN7rocprim17ROCPRIM_400000_NS6detail17trampoline_kernelINS0_14default_configENS1_35radix_sort_onesweep_config_selectorIttEEZNS1_34radix_sort_onesweep_global_offsetsIS3_Lb0EN6thrust23THRUST_200600_302600_NS6detail15normal_iteratorINS8_10device_ptrItEEEESD_jNS0_19identity_decomposerEEE10hipError_tT1_T2_PT3_SI_jT4_jjP12ihipStream_tbEUlT_E0_NS1_11comp_targetILNS1_3genE4ELNS1_11target_archE910ELNS1_3gpuE8ELNS1_3repE0EEENS1_52radix_sort_onesweep_histogram_config_static_selectorELNS0_4arch9wavefront6targetE1EEEvSG_.kd
    .uniform_work_group_size: 1
    .uses_dynamic_stack: false
    .vgpr_count:     0
    .vgpr_spill_count: 0
    .wavefront_size: 64
  - .agpr_count:     0
    .args:
      - .address_space:  global
        .offset:         0
        .size:           8
        .value_kind:     global_buffer
    .group_segment_fixed_size: 0
    .kernarg_segment_align: 8
    .kernarg_segment_size: 8
    .language:       OpenCL C
    .language_version:
      - 2
      - 0
    .max_flat_workgroup_size: 256
    .name:           _ZN7rocprim17ROCPRIM_400000_NS6detail17trampoline_kernelINS0_14default_configENS1_35radix_sort_onesweep_config_selectorIttEEZNS1_34radix_sort_onesweep_global_offsetsIS3_Lb0EN6thrust23THRUST_200600_302600_NS6detail15normal_iteratorINS8_10device_ptrItEEEESD_jNS0_19identity_decomposerEEE10hipError_tT1_T2_PT3_SI_jT4_jjP12ihipStream_tbEUlT_E0_NS1_11comp_targetILNS1_3genE3ELNS1_11target_archE908ELNS1_3gpuE7ELNS1_3repE0EEENS1_52radix_sort_onesweep_histogram_config_static_selectorELNS0_4arch9wavefront6targetE1EEEvSG_
    .private_segment_fixed_size: 0
    .sgpr_count:     6
    .sgpr_spill_count: 0
    .symbol:         _ZN7rocprim17ROCPRIM_400000_NS6detail17trampoline_kernelINS0_14default_configENS1_35radix_sort_onesweep_config_selectorIttEEZNS1_34radix_sort_onesweep_global_offsetsIS3_Lb0EN6thrust23THRUST_200600_302600_NS6detail15normal_iteratorINS8_10device_ptrItEEEESD_jNS0_19identity_decomposerEEE10hipError_tT1_T2_PT3_SI_jT4_jjP12ihipStream_tbEUlT_E0_NS1_11comp_targetILNS1_3genE3ELNS1_11target_archE908ELNS1_3gpuE7ELNS1_3repE0EEENS1_52radix_sort_onesweep_histogram_config_static_selectorELNS0_4arch9wavefront6targetE1EEEvSG_.kd
    .uniform_work_group_size: 1
    .uses_dynamic_stack: false
    .vgpr_count:     0
    .vgpr_spill_count: 0
    .wavefront_size: 64
  - .agpr_count:     0
    .args:
      - .address_space:  global
        .offset:         0
        .size:           8
        .value_kind:     global_buffer
    .group_segment_fixed_size: 0
    .kernarg_segment_align: 8
    .kernarg_segment_size: 8
    .language:       OpenCL C
    .language_version:
      - 2
      - 0
    .max_flat_workgroup_size: 512
    .name:           _ZN7rocprim17ROCPRIM_400000_NS6detail17trampoline_kernelINS0_14default_configENS1_35radix_sort_onesweep_config_selectorIttEEZNS1_34radix_sort_onesweep_global_offsetsIS3_Lb0EN6thrust23THRUST_200600_302600_NS6detail15normal_iteratorINS8_10device_ptrItEEEESD_jNS0_19identity_decomposerEEE10hipError_tT1_T2_PT3_SI_jT4_jjP12ihipStream_tbEUlT_E0_NS1_11comp_targetILNS1_3genE10ELNS1_11target_archE1201ELNS1_3gpuE5ELNS1_3repE0EEENS1_52radix_sort_onesweep_histogram_config_static_selectorELNS0_4arch9wavefront6targetE1EEEvSG_
    .private_segment_fixed_size: 0
    .sgpr_count:     6
    .sgpr_spill_count: 0
    .symbol:         _ZN7rocprim17ROCPRIM_400000_NS6detail17trampoline_kernelINS0_14default_configENS1_35radix_sort_onesweep_config_selectorIttEEZNS1_34radix_sort_onesweep_global_offsetsIS3_Lb0EN6thrust23THRUST_200600_302600_NS6detail15normal_iteratorINS8_10device_ptrItEEEESD_jNS0_19identity_decomposerEEE10hipError_tT1_T2_PT3_SI_jT4_jjP12ihipStream_tbEUlT_E0_NS1_11comp_targetILNS1_3genE10ELNS1_11target_archE1201ELNS1_3gpuE5ELNS1_3repE0EEENS1_52radix_sort_onesweep_histogram_config_static_selectorELNS0_4arch9wavefront6targetE1EEEvSG_.kd
    .uniform_work_group_size: 1
    .uses_dynamic_stack: false
    .vgpr_count:     0
    .vgpr_spill_count: 0
    .wavefront_size: 64
  - .agpr_count:     0
    .args:
      - .address_space:  global
        .offset:         0
        .size:           8
        .value_kind:     global_buffer
    .group_segment_fixed_size: 0
    .kernarg_segment_align: 8
    .kernarg_segment_size: 8
    .language:       OpenCL C
    .language_version:
      - 2
      - 0
    .max_flat_workgroup_size: 1024
    .name:           _ZN7rocprim17ROCPRIM_400000_NS6detail17trampoline_kernelINS0_14default_configENS1_35radix_sort_onesweep_config_selectorIttEEZNS1_34radix_sort_onesweep_global_offsetsIS3_Lb0EN6thrust23THRUST_200600_302600_NS6detail15normal_iteratorINS8_10device_ptrItEEEESD_jNS0_19identity_decomposerEEE10hipError_tT1_T2_PT3_SI_jT4_jjP12ihipStream_tbEUlT_E0_NS1_11comp_targetILNS1_3genE9ELNS1_11target_archE1100ELNS1_3gpuE3ELNS1_3repE0EEENS1_52radix_sort_onesweep_histogram_config_static_selectorELNS0_4arch9wavefront6targetE1EEEvSG_
    .private_segment_fixed_size: 0
    .sgpr_count:     6
    .sgpr_spill_count: 0
    .symbol:         _ZN7rocprim17ROCPRIM_400000_NS6detail17trampoline_kernelINS0_14default_configENS1_35radix_sort_onesweep_config_selectorIttEEZNS1_34radix_sort_onesweep_global_offsetsIS3_Lb0EN6thrust23THRUST_200600_302600_NS6detail15normal_iteratorINS8_10device_ptrItEEEESD_jNS0_19identity_decomposerEEE10hipError_tT1_T2_PT3_SI_jT4_jjP12ihipStream_tbEUlT_E0_NS1_11comp_targetILNS1_3genE9ELNS1_11target_archE1100ELNS1_3gpuE3ELNS1_3repE0EEENS1_52radix_sort_onesweep_histogram_config_static_selectorELNS0_4arch9wavefront6targetE1EEEvSG_.kd
    .uniform_work_group_size: 1
    .uses_dynamic_stack: false
    .vgpr_count:     0
    .vgpr_spill_count: 0
    .wavefront_size: 64
  - .agpr_count:     0
    .args:
      - .address_space:  global
        .offset:         0
        .size:           8
        .value_kind:     global_buffer
    .group_segment_fixed_size: 0
    .kernarg_segment_align: 8
    .kernarg_segment_size: 8
    .language:       OpenCL C
    .language_version:
      - 2
      - 0
    .max_flat_workgroup_size: 1024
    .name:           _ZN7rocprim17ROCPRIM_400000_NS6detail17trampoline_kernelINS0_14default_configENS1_35radix_sort_onesweep_config_selectorIttEEZNS1_34radix_sort_onesweep_global_offsetsIS3_Lb0EN6thrust23THRUST_200600_302600_NS6detail15normal_iteratorINS8_10device_ptrItEEEESD_jNS0_19identity_decomposerEEE10hipError_tT1_T2_PT3_SI_jT4_jjP12ihipStream_tbEUlT_E0_NS1_11comp_targetILNS1_3genE8ELNS1_11target_archE1030ELNS1_3gpuE2ELNS1_3repE0EEENS1_52radix_sort_onesweep_histogram_config_static_selectorELNS0_4arch9wavefront6targetE1EEEvSG_
    .private_segment_fixed_size: 0
    .sgpr_count:     6
    .sgpr_spill_count: 0
    .symbol:         _ZN7rocprim17ROCPRIM_400000_NS6detail17trampoline_kernelINS0_14default_configENS1_35radix_sort_onesweep_config_selectorIttEEZNS1_34radix_sort_onesweep_global_offsetsIS3_Lb0EN6thrust23THRUST_200600_302600_NS6detail15normal_iteratorINS8_10device_ptrItEEEESD_jNS0_19identity_decomposerEEE10hipError_tT1_T2_PT3_SI_jT4_jjP12ihipStream_tbEUlT_E0_NS1_11comp_targetILNS1_3genE8ELNS1_11target_archE1030ELNS1_3gpuE2ELNS1_3repE0EEENS1_52radix_sort_onesweep_histogram_config_static_selectorELNS0_4arch9wavefront6targetE1EEEvSG_.kd
    .uniform_work_group_size: 1
    .uses_dynamic_stack: false
    .vgpr_count:     0
    .vgpr_spill_count: 0
    .wavefront_size: 64
  - .agpr_count:     0
    .args:
      - .offset:         0
        .size:           40
        .value_kind:     by_value
      - .offset:         40
        .size:           4
        .value_kind:     hidden_block_count_x
      - .offset:         44
        .size:           4
        .value_kind:     hidden_block_count_y
      - .offset:         48
        .size:           4
        .value_kind:     hidden_block_count_z
      - .offset:         52
        .size:           2
        .value_kind:     hidden_group_size_x
      - .offset:         54
        .size:           2
        .value_kind:     hidden_group_size_y
      - .offset:         56
        .size:           2
        .value_kind:     hidden_group_size_z
      - .offset:         58
        .size:           2
        .value_kind:     hidden_remainder_x
      - .offset:         60
        .size:           2
        .value_kind:     hidden_remainder_y
      - .offset:         62
        .size:           2
        .value_kind:     hidden_remainder_z
      - .offset:         80
        .size:           8
        .value_kind:     hidden_global_offset_x
      - .offset:         88
        .size:           8
        .value_kind:     hidden_global_offset_y
      - .offset:         96
        .size:           8
        .value_kind:     hidden_global_offset_z
      - .offset:         104
        .size:           2
        .value_kind:     hidden_grid_dims
    .group_segment_fixed_size: 0
    .kernarg_segment_align: 8
    .kernarg_segment_size: 296
    .language:       OpenCL C
    .language_version:
      - 2
      - 0
    .max_flat_workgroup_size: 128
    .name:           _ZN7rocprim17ROCPRIM_400000_NS6detail17trampoline_kernelINS0_14default_configENS1_25transform_config_selectorItLb0EEEZNS1_14transform_implILb0ES3_S5_N6thrust23THRUST_200600_302600_NS6detail15normal_iteratorINS8_10device_ptrItEEEEPtNS0_8identityItEEEE10hipError_tT2_T3_mT4_P12ihipStream_tbEUlT_E_NS1_11comp_targetILNS1_3genE0ELNS1_11target_archE4294967295ELNS1_3gpuE0ELNS1_3repE0EEENS1_30default_config_static_selectorELNS0_4arch9wavefront6targetE1EEEvT1_
    .private_segment_fixed_size: 0
    .sgpr_count:     26
    .sgpr_spill_count: 0
    .symbol:         _ZN7rocprim17ROCPRIM_400000_NS6detail17trampoline_kernelINS0_14default_configENS1_25transform_config_selectorItLb0EEEZNS1_14transform_implILb0ES3_S5_N6thrust23THRUST_200600_302600_NS6detail15normal_iteratorINS8_10device_ptrItEEEEPtNS0_8identityItEEEE10hipError_tT2_T3_mT4_P12ihipStream_tbEUlT_E_NS1_11comp_targetILNS1_3genE0ELNS1_11target_archE4294967295ELNS1_3gpuE0ELNS1_3repE0EEENS1_30default_config_static_selectorELNS0_4arch9wavefront6targetE1EEEvT1_.kd
    .uniform_work_group_size: 1
    .uses_dynamic_stack: false
    .vgpr_count:     11
    .vgpr_spill_count: 0
    .wavefront_size: 64
  - .agpr_count:     0
    .args:
      - .offset:         0
        .size:           40
        .value_kind:     by_value
    .group_segment_fixed_size: 0
    .kernarg_segment_align: 8
    .kernarg_segment_size: 40
    .language:       OpenCL C
    .language_version:
      - 2
      - 0
    .max_flat_workgroup_size: 256
    .name:           _ZN7rocprim17ROCPRIM_400000_NS6detail17trampoline_kernelINS0_14default_configENS1_25transform_config_selectorItLb0EEEZNS1_14transform_implILb0ES3_S5_N6thrust23THRUST_200600_302600_NS6detail15normal_iteratorINS8_10device_ptrItEEEEPtNS0_8identityItEEEE10hipError_tT2_T3_mT4_P12ihipStream_tbEUlT_E_NS1_11comp_targetILNS1_3genE5ELNS1_11target_archE942ELNS1_3gpuE9ELNS1_3repE0EEENS1_30default_config_static_selectorELNS0_4arch9wavefront6targetE1EEEvT1_
    .private_segment_fixed_size: 0
    .sgpr_count:     6
    .sgpr_spill_count: 0
    .symbol:         _ZN7rocprim17ROCPRIM_400000_NS6detail17trampoline_kernelINS0_14default_configENS1_25transform_config_selectorItLb0EEEZNS1_14transform_implILb0ES3_S5_N6thrust23THRUST_200600_302600_NS6detail15normal_iteratorINS8_10device_ptrItEEEEPtNS0_8identityItEEEE10hipError_tT2_T3_mT4_P12ihipStream_tbEUlT_E_NS1_11comp_targetILNS1_3genE5ELNS1_11target_archE942ELNS1_3gpuE9ELNS1_3repE0EEENS1_30default_config_static_selectorELNS0_4arch9wavefront6targetE1EEEvT1_.kd
    .uniform_work_group_size: 1
    .uses_dynamic_stack: false
    .vgpr_count:     0
    .vgpr_spill_count: 0
    .wavefront_size: 64
  - .agpr_count:     0
    .args:
      - .offset:         0
        .size:           40
        .value_kind:     by_value
    .group_segment_fixed_size: 0
    .kernarg_segment_align: 8
    .kernarg_segment_size: 40
    .language:       OpenCL C
    .language_version:
      - 2
      - 0
    .max_flat_workgroup_size: 64
    .name:           _ZN7rocprim17ROCPRIM_400000_NS6detail17trampoline_kernelINS0_14default_configENS1_25transform_config_selectorItLb0EEEZNS1_14transform_implILb0ES3_S5_N6thrust23THRUST_200600_302600_NS6detail15normal_iteratorINS8_10device_ptrItEEEEPtNS0_8identityItEEEE10hipError_tT2_T3_mT4_P12ihipStream_tbEUlT_E_NS1_11comp_targetILNS1_3genE4ELNS1_11target_archE910ELNS1_3gpuE8ELNS1_3repE0EEENS1_30default_config_static_selectorELNS0_4arch9wavefront6targetE1EEEvT1_
    .private_segment_fixed_size: 0
    .sgpr_count:     6
    .sgpr_spill_count: 0
    .symbol:         _ZN7rocprim17ROCPRIM_400000_NS6detail17trampoline_kernelINS0_14default_configENS1_25transform_config_selectorItLb0EEEZNS1_14transform_implILb0ES3_S5_N6thrust23THRUST_200600_302600_NS6detail15normal_iteratorINS8_10device_ptrItEEEEPtNS0_8identityItEEEE10hipError_tT2_T3_mT4_P12ihipStream_tbEUlT_E_NS1_11comp_targetILNS1_3genE4ELNS1_11target_archE910ELNS1_3gpuE8ELNS1_3repE0EEENS1_30default_config_static_selectorELNS0_4arch9wavefront6targetE1EEEvT1_.kd
    .uniform_work_group_size: 1
    .uses_dynamic_stack: false
    .vgpr_count:     0
    .vgpr_spill_count: 0
    .wavefront_size: 64
  - .agpr_count:     0
    .args:
      - .offset:         0
        .size:           40
        .value_kind:     by_value
    .group_segment_fixed_size: 0
    .kernarg_segment_align: 8
    .kernarg_segment_size: 40
    .language:       OpenCL C
    .language_version:
      - 2
      - 0
    .max_flat_workgroup_size: 128
    .name:           _ZN7rocprim17ROCPRIM_400000_NS6detail17trampoline_kernelINS0_14default_configENS1_25transform_config_selectorItLb0EEEZNS1_14transform_implILb0ES3_S5_N6thrust23THRUST_200600_302600_NS6detail15normal_iteratorINS8_10device_ptrItEEEEPtNS0_8identityItEEEE10hipError_tT2_T3_mT4_P12ihipStream_tbEUlT_E_NS1_11comp_targetILNS1_3genE3ELNS1_11target_archE908ELNS1_3gpuE7ELNS1_3repE0EEENS1_30default_config_static_selectorELNS0_4arch9wavefront6targetE1EEEvT1_
    .private_segment_fixed_size: 0
    .sgpr_count:     6
    .sgpr_spill_count: 0
    .symbol:         _ZN7rocprim17ROCPRIM_400000_NS6detail17trampoline_kernelINS0_14default_configENS1_25transform_config_selectorItLb0EEEZNS1_14transform_implILb0ES3_S5_N6thrust23THRUST_200600_302600_NS6detail15normal_iteratorINS8_10device_ptrItEEEEPtNS0_8identityItEEEE10hipError_tT2_T3_mT4_P12ihipStream_tbEUlT_E_NS1_11comp_targetILNS1_3genE3ELNS1_11target_archE908ELNS1_3gpuE7ELNS1_3repE0EEENS1_30default_config_static_selectorELNS0_4arch9wavefront6targetE1EEEvT1_.kd
    .uniform_work_group_size: 1
    .uses_dynamic_stack: false
    .vgpr_count:     0
    .vgpr_spill_count: 0
    .wavefront_size: 64
  - .agpr_count:     0
    .args:
      - .offset:         0
        .size:           40
        .value_kind:     by_value
    .group_segment_fixed_size: 0
    .kernarg_segment_align: 8
    .kernarg_segment_size: 40
    .language:       OpenCL C
    .language_version:
      - 2
      - 0
    .max_flat_workgroup_size: 512
    .name:           _ZN7rocprim17ROCPRIM_400000_NS6detail17trampoline_kernelINS0_14default_configENS1_25transform_config_selectorItLb0EEEZNS1_14transform_implILb0ES3_S5_N6thrust23THRUST_200600_302600_NS6detail15normal_iteratorINS8_10device_ptrItEEEEPtNS0_8identityItEEEE10hipError_tT2_T3_mT4_P12ihipStream_tbEUlT_E_NS1_11comp_targetILNS1_3genE2ELNS1_11target_archE906ELNS1_3gpuE6ELNS1_3repE0EEENS1_30default_config_static_selectorELNS0_4arch9wavefront6targetE1EEEvT1_
    .private_segment_fixed_size: 0
    .sgpr_count:     6
    .sgpr_spill_count: 0
    .symbol:         _ZN7rocprim17ROCPRIM_400000_NS6detail17trampoline_kernelINS0_14default_configENS1_25transform_config_selectorItLb0EEEZNS1_14transform_implILb0ES3_S5_N6thrust23THRUST_200600_302600_NS6detail15normal_iteratorINS8_10device_ptrItEEEEPtNS0_8identityItEEEE10hipError_tT2_T3_mT4_P12ihipStream_tbEUlT_E_NS1_11comp_targetILNS1_3genE2ELNS1_11target_archE906ELNS1_3gpuE6ELNS1_3repE0EEENS1_30default_config_static_selectorELNS0_4arch9wavefront6targetE1EEEvT1_.kd
    .uniform_work_group_size: 1
    .uses_dynamic_stack: false
    .vgpr_count:     0
    .vgpr_spill_count: 0
    .wavefront_size: 64
  - .agpr_count:     0
    .args:
      - .offset:         0
        .size:           40
        .value_kind:     by_value
    .group_segment_fixed_size: 0
    .kernarg_segment_align: 8
    .kernarg_segment_size: 40
    .language:       OpenCL C
    .language_version:
      - 2
      - 0
    .max_flat_workgroup_size: 1024
    .name:           _ZN7rocprim17ROCPRIM_400000_NS6detail17trampoline_kernelINS0_14default_configENS1_25transform_config_selectorItLb0EEEZNS1_14transform_implILb0ES3_S5_N6thrust23THRUST_200600_302600_NS6detail15normal_iteratorINS8_10device_ptrItEEEEPtNS0_8identityItEEEE10hipError_tT2_T3_mT4_P12ihipStream_tbEUlT_E_NS1_11comp_targetILNS1_3genE10ELNS1_11target_archE1201ELNS1_3gpuE5ELNS1_3repE0EEENS1_30default_config_static_selectorELNS0_4arch9wavefront6targetE1EEEvT1_
    .private_segment_fixed_size: 0
    .sgpr_count:     6
    .sgpr_spill_count: 0
    .symbol:         _ZN7rocprim17ROCPRIM_400000_NS6detail17trampoline_kernelINS0_14default_configENS1_25transform_config_selectorItLb0EEEZNS1_14transform_implILb0ES3_S5_N6thrust23THRUST_200600_302600_NS6detail15normal_iteratorINS8_10device_ptrItEEEEPtNS0_8identityItEEEE10hipError_tT2_T3_mT4_P12ihipStream_tbEUlT_E_NS1_11comp_targetILNS1_3genE10ELNS1_11target_archE1201ELNS1_3gpuE5ELNS1_3repE0EEENS1_30default_config_static_selectorELNS0_4arch9wavefront6targetE1EEEvT1_.kd
    .uniform_work_group_size: 1
    .uses_dynamic_stack: false
    .vgpr_count:     0
    .vgpr_spill_count: 0
    .wavefront_size: 64
  - .agpr_count:     0
    .args:
      - .offset:         0
        .size:           40
        .value_kind:     by_value
    .group_segment_fixed_size: 0
    .kernarg_segment_align: 8
    .kernarg_segment_size: 40
    .language:       OpenCL C
    .language_version:
      - 2
      - 0
    .max_flat_workgroup_size: 512
    .name:           _ZN7rocprim17ROCPRIM_400000_NS6detail17trampoline_kernelINS0_14default_configENS1_25transform_config_selectorItLb0EEEZNS1_14transform_implILb0ES3_S5_N6thrust23THRUST_200600_302600_NS6detail15normal_iteratorINS8_10device_ptrItEEEEPtNS0_8identityItEEEE10hipError_tT2_T3_mT4_P12ihipStream_tbEUlT_E_NS1_11comp_targetILNS1_3genE10ELNS1_11target_archE1200ELNS1_3gpuE4ELNS1_3repE0EEENS1_30default_config_static_selectorELNS0_4arch9wavefront6targetE1EEEvT1_
    .private_segment_fixed_size: 0
    .sgpr_count:     6
    .sgpr_spill_count: 0
    .symbol:         _ZN7rocprim17ROCPRIM_400000_NS6detail17trampoline_kernelINS0_14default_configENS1_25transform_config_selectorItLb0EEEZNS1_14transform_implILb0ES3_S5_N6thrust23THRUST_200600_302600_NS6detail15normal_iteratorINS8_10device_ptrItEEEEPtNS0_8identityItEEEE10hipError_tT2_T3_mT4_P12ihipStream_tbEUlT_E_NS1_11comp_targetILNS1_3genE10ELNS1_11target_archE1200ELNS1_3gpuE4ELNS1_3repE0EEENS1_30default_config_static_selectorELNS0_4arch9wavefront6targetE1EEEvT1_.kd
    .uniform_work_group_size: 1
    .uses_dynamic_stack: false
    .vgpr_count:     0
    .vgpr_spill_count: 0
    .wavefront_size: 64
  - .agpr_count:     0
    .args:
      - .offset:         0
        .size:           40
        .value_kind:     by_value
    .group_segment_fixed_size: 0
    .kernarg_segment_align: 8
    .kernarg_segment_size: 40
    .language:       OpenCL C
    .language_version:
      - 2
      - 0
    .max_flat_workgroup_size: 1024
    .name:           _ZN7rocprim17ROCPRIM_400000_NS6detail17trampoline_kernelINS0_14default_configENS1_25transform_config_selectorItLb0EEEZNS1_14transform_implILb0ES3_S5_N6thrust23THRUST_200600_302600_NS6detail15normal_iteratorINS8_10device_ptrItEEEEPtNS0_8identityItEEEE10hipError_tT2_T3_mT4_P12ihipStream_tbEUlT_E_NS1_11comp_targetILNS1_3genE9ELNS1_11target_archE1100ELNS1_3gpuE3ELNS1_3repE0EEENS1_30default_config_static_selectorELNS0_4arch9wavefront6targetE1EEEvT1_
    .private_segment_fixed_size: 0
    .sgpr_count:     6
    .sgpr_spill_count: 0
    .symbol:         _ZN7rocprim17ROCPRIM_400000_NS6detail17trampoline_kernelINS0_14default_configENS1_25transform_config_selectorItLb0EEEZNS1_14transform_implILb0ES3_S5_N6thrust23THRUST_200600_302600_NS6detail15normal_iteratorINS8_10device_ptrItEEEEPtNS0_8identityItEEEE10hipError_tT2_T3_mT4_P12ihipStream_tbEUlT_E_NS1_11comp_targetILNS1_3genE9ELNS1_11target_archE1100ELNS1_3gpuE3ELNS1_3repE0EEENS1_30default_config_static_selectorELNS0_4arch9wavefront6targetE1EEEvT1_.kd
    .uniform_work_group_size: 1
    .uses_dynamic_stack: false
    .vgpr_count:     0
    .vgpr_spill_count: 0
    .wavefront_size: 64
  - .agpr_count:     0
    .args:
      - .offset:         0
        .size:           40
        .value_kind:     by_value
    .group_segment_fixed_size: 0
    .kernarg_segment_align: 8
    .kernarg_segment_size: 40
    .language:       OpenCL C
    .language_version:
      - 2
      - 0
    .max_flat_workgroup_size: 1024
    .name:           _ZN7rocprim17ROCPRIM_400000_NS6detail17trampoline_kernelINS0_14default_configENS1_25transform_config_selectorItLb0EEEZNS1_14transform_implILb0ES3_S5_N6thrust23THRUST_200600_302600_NS6detail15normal_iteratorINS8_10device_ptrItEEEEPtNS0_8identityItEEEE10hipError_tT2_T3_mT4_P12ihipStream_tbEUlT_E_NS1_11comp_targetILNS1_3genE8ELNS1_11target_archE1030ELNS1_3gpuE2ELNS1_3repE0EEENS1_30default_config_static_selectorELNS0_4arch9wavefront6targetE1EEEvT1_
    .private_segment_fixed_size: 0
    .sgpr_count:     6
    .sgpr_spill_count: 0
    .symbol:         _ZN7rocprim17ROCPRIM_400000_NS6detail17trampoline_kernelINS0_14default_configENS1_25transform_config_selectorItLb0EEEZNS1_14transform_implILb0ES3_S5_N6thrust23THRUST_200600_302600_NS6detail15normal_iteratorINS8_10device_ptrItEEEEPtNS0_8identityItEEEE10hipError_tT2_T3_mT4_P12ihipStream_tbEUlT_E_NS1_11comp_targetILNS1_3genE8ELNS1_11target_archE1030ELNS1_3gpuE2ELNS1_3repE0EEENS1_30default_config_static_selectorELNS0_4arch9wavefront6targetE1EEEvT1_.kd
    .uniform_work_group_size: 1
    .uses_dynamic_stack: false
    .vgpr_count:     0
    .vgpr_spill_count: 0
    .wavefront_size: 64
  - .agpr_count:     0
    .args:
      - .offset:         0
        .size:           88
        .value_kind:     by_value
    .group_segment_fixed_size: 0
    .kernarg_segment_align: 8
    .kernarg_segment_size: 88
    .language:       OpenCL C
    .language_version:
      - 2
      - 0
    .max_flat_workgroup_size: 256
    .name:           _ZN7rocprim17ROCPRIM_400000_NS6detail17trampoline_kernelINS0_14default_configENS1_35radix_sort_onesweep_config_selectorIttEEZZNS1_29radix_sort_onesweep_iterationIS3_Lb0EN6thrust23THRUST_200600_302600_NS6detail15normal_iteratorINS8_10device_ptrItEEEESD_SD_SD_jNS0_19identity_decomposerENS1_16block_id_wrapperIjLb1EEEEE10hipError_tT1_PNSt15iterator_traitsISI_E10value_typeET2_T3_PNSJ_ISO_E10value_typeET4_T5_PST_SU_PNS1_23onesweep_lookback_stateEbbT6_jjT7_P12ihipStream_tbENKUlT_T0_SI_SN_E_clISD_SD_SD_SD_EEDaS11_S12_SI_SN_EUlS11_E_NS1_11comp_targetILNS1_3genE0ELNS1_11target_archE4294967295ELNS1_3gpuE0ELNS1_3repE0EEENS1_47radix_sort_onesweep_sort_config_static_selectorELNS0_4arch9wavefront6targetE1EEEvSI_
    .private_segment_fixed_size: 0
    .sgpr_count:     6
    .sgpr_spill_count: 0
    .symbol:         _ZN7rocprim17ROCPRIM_400000_NS6detail17trampoline_kernelINS0_14default_configENS1_35radix_sort_onesweep_config_selectorIttEEZZNS1_29radix_sort_onesweep_iterationIS3_Lb0EN6thrust23THRUST_200600_302600_NS6detail15normal_iteratorINS8_10device_ptrItEEEESD_SD_SD_jNS0_19identity_decomposerENS1_16block_id_wrapperIjLb1EEEEE10hipError_tT1_PNSt15iterator_traitsISI_E10value_typeET2_T3_PNSJ_ISO_E10value_typeET4_T5_PST_SU_PNS1_23onesweep_lookback_stateEbbT6_jjT7_P12ihipStream_tbENKUlT_T0_SI_SN_E_clISD_SD_SD_SD_EEDaS11_S12_SI_SN_EUlS11_E_NS1_11comp_targetILNS1_3genE0ELNS1_11target_archE4294967295ELNS1_3gpuE0ELNS1_3repE0EEENS1_47radix_sort_onesweep_sort_config_static_selectorELNS0_4arch9wavefront6targetE1EEEvSI_.kd
    .uniform_work_group_size: 1
    .uses_dynamic_stack: false
    .vgpr_count:     0
    .vgpr_spill_count: 0
    .wavefront_size: 64
  - .agpr_count:     0
    .args:
      - .offset:         0
        .size:           88
        .value_kind:     by_value
      - .offset:         88
        .size:           4
        .value_kind:     hidden_block_count_x
      - .offset:         92
        .size:           4
        .value_kind:     hidden_block_count_y
      - .offset:         96
        .size:           4
        .value_kind:     hidden_block_count_z
      - .offset:         100
        .size:           2
        .value_kind:     hidden_group_size_x
      - .offset:         102
        .size:           2
        .value_kind:     hidden_group_size_y
      - .offset:         104
        .size:           2
        .value_kind:     hidden_group_size_z
      - .offset:         106
        .size:           2
        .value_kind:     hidden_remainder_x
      - .offset:         108
        .size:           2
        .value_kind:     hidden_remainder_y
      - .offset:         110
        .size:           2
        .value_kind:     hidden_remainder_z
      - .offset:         128
        .size:           8
        .value_kind:     hidden_global_offset_x
      - .offset:         136
        .size:           8
        .value_kind:     hidden_global_offset_y
      - .offset:         144
        .size:           8
        .value_kind:     hidden_global_offset_z
      - .offset:         152
        .size:           2
        .value_kind:     hidden_grid_dims
    .group_segment_fixed_size: 22792
    .kernarg_segment_align: 8
    .kernarg_segment_size: 344
    .language:       OpenCL C
    .language_version:
      - 2
      - 0
    .max_flat_workgroup_size: 512
    .name:           _ZN7rocprim17ROCPRIM_400000_NS6detail17trampoline_kernelINS0_14default_configENS1_35radix_sort_onesweep_config_selectorIttEEZZNS1_29radix_sort_onesweep_iterationIS3_Lb0EN6thrust23THRUST_200600_302600_NS6detail15normal_iteratorINS8_10device_ptrItEEEESD_SD_SD_jNS0_19identity_decomposerENS1_16block_id_wrapperIjLb1EEEEE10hipError_tT1_PNSt15iterator_traitsISI_E10value_typeET2_T3_PNSJ_ISO_E10value_typeET4_T5_PST_SU_PNS1_23onesweep_lookback_stateEbbT6_jjT7_P12ihipStream_tbENKUlT_T0_SI_SN_E_clISD_SD_SD_SD_EEDaS11_S12_SI_SN_EUlS11_E_NS1_11comp_targetILNS1_3genE6ELNS1_11target_archE950ELNS1_3gpuE13ELNS1_3repE0EEENS1_47radix_sort_onesweep_sort_config_static_selectorELNS0_4arch9wavefront6targetE1EEEvSI_
    .private_segment_fixed_size: 0
    .sgpr_count:     106
    .sgpr_spill_count: 20
    .symbol:         _ZN7rocprim17ROCPRIM_400000_NS6detail17trampoline_kernelINS0_14default_configENS1_35radix_sort_onesweep_config_selectorIttEEZZNS1_29radix_sort_onesweep_iterationIS3_Lb0EN6thrust23THRUST_200600_302600_NS6detail15normal_iteratorINS8_10device_ptrItEEEESD_SD_SD_jNS0_19identity_decomposerENS1_16block_id_wrapperIjLb1EEEEE10hipError_tT1_PNSt15iterator_traitsISI_E10value_typeET2_T3_PNSJ_ISO_E10value_typeET4_T5_PST_SU_PNS1_23onesweep_lookback_stateEbbT6_jjT7_P12ihipStream_tbENKUlT_T0_SI_SN_E_clISD_SD_SD_SD_EEDaS11_S12_SI_SN_EUlS11_E_NS1_11comp_targetILNS1_3genE6ELNS1_11target_archE950ELNS1_3gpuE13ELNS1_3repE0EEENS1_47radix_sort_onesweep_sort_config_static_selectorELNS0_4arch9wavefront6targetE1EEEvSI_.kd
    .uniform_work_group_size: 1
    .uses_dynamic_stack: false
    .vgpr_count:     118
    .vgpr_spill_count: 0
    .wavefront_size: 64
  - .agpr_count:     0
    .args:
      - .offset:         0
        .size:           88
        .value_kind:     by_value
    .group_segment_fixed_size: 0
    .kernarg_segment_align: 8
    .kernarg_segment_size: 88
    .language:       OpenCL C
    .language_version:
      - 2
      - 0
    .max_flat_workgroup_size: 512
    .name:           _ZN7rocprim17ROCPRIM_400000_NS6detail17trampoline_kernelINS0_14default_configENS1_35radix_sort_onesweep_config_selectorIttEEZZNS1_29radix_sort_onesweep_iterationIS3_Lb0EN6thrust23THRUST_200600_302600_NS6detail15normal_iteratorINS8_10device_ptrItEEEESD_SD_SD_jNS0_19identity_decomposerENS1_16block_id_wrapperIjLb1EEEEE10hipError_tT1_PNSt15iterator_traitsISI_E10value_typeET2_T3_PNSJ_ISO_E10value_typeET4_T5_PST_SU_PNS1_23onesweep_lookback_stateEbbT6_jjT7_P12ihipStream_tbENKUlT_T0_SI_SN_E_clISD_SD_SD_SD_EEDaS11_S12_SI_SN_EUlS11_E_NS1_11comp_targetILNS1_3genE5ELNS1_11target_archE942ELNS1_3gpuE9ELNS1_3repE0EEENS1_47radix_sort_onesweep_sort_config_static_selectorELNS0_4arch9wavefront6targetE1EEEvSI_
    .private_segment_fixed_size: 0
    .sgpr_count:     6
    .sgpr_spill_count: 0
    .symbol:         _ZN7rocprim17ROCPRIM_400000_NS6detail17trampoline_kernelINS0_14default_configENS1_35radix_sort_onesweep_config_selectorIttEEZZNS1_29radix_sort_onesweep_iterationIS3_Lb0EN6thrust23THRUST_200600_302600_NS6detail15normal_iteratorINS8_10device_ptrItEEEESD_SD_SD_jNS0_19identity_decomposerENS1_16block_id_wrapperIjLb1EEEEE10hipError_tT1_PNSt15iterator_traitsISI_E10value_typeET2_T3_PNSJ_ISO_E10value_typeET4_T5_PST_SU_PNS1_23onesweep_lookback_stateEbbT6_jjT7_P12ihipStream_tbENKUlT_T0_SI_SN_E_clISD_SD_SD_SD_EEDaS11_S12_SI_SN_EUlS11_E_NS1_11comp_targetILNS1_3genE5ELNS1_11target_archE942ELNS1_3gpuE9ELNS1_3repE0EEENS1_47radix_sort_onesweep_sort_config_static_selectorELNS0_4arch9wavefront6targetE1EEEvSI_.kd
    .uniform_work_group_size: 1
    .uses_dynamic_stack: false
    .vgpr_count:     0
    .vgpr_spill_count: 0
    .wavefront_size: 64
  - .agpr_count:     0
    .args:
      - .offset:         0
        .size:           88
        .value_kind:     by_value
    .group_segment_fixed_size: 0
    .kernarg_segment_align: 8
    .kernarg_segment_size: 88
    .language:       OpenCL C
    .language_version:
      - 2
      - 0
    .max_flat_workgroup_size: 256
    .name:           _ZN7rocprim17ROCPRIM_400000_NS6detail17trampoline_kernelINS0_14default_configENS1_35radix_sort_onesweep_config_selectorIttEEZZNS1_29radix_sort_onesweep_iterationIS3_Lb0EN6thrust23THRUST_200600_302600_NS6detail15normal_iteratorINS8_10device_ptrItEEEESD_SD_SD_jNS0_19identity_decomposerENS1_16block_id_wrapperIjLb1EEEEE10hipError_tT1_PNSt15iterator_traitsISI_E10value_typeET2_T3_PNSJ_ISO_E10value_typeET4_T5_PST_SU_PNS1_23onesweep_lookback_stateEbbT6_jjT7_P12ihipStream_tbENKUlT_T0_SI_SN_E_clISD_SD_SD_SD_EEDaS11_S12_SI_SN_EUlS11_E_NS1_11comp_targetILNS1_3genE2ELNS1_11target_archE906ELNS1_3gpuE6ELNS1_3repE0EEENS1_47radix_sort_onesweep_sort_config_static_selectorELNS0_4arch9wavefront6targetE1EEEvSI_
    .private_segment_fixed_size: 0
    .sgpr_count:     6
    .sgpr_spill_count: 0
    .symbol:         _ZN7rocprim17ROCPRIM_400000_NS6detail17trampoline_kernelINS0_14default_configENS1_35radix_sort_onesweep_config_selectorIttEEZZNS1_29radix_sort_onesweep_iterationIS3_Lb0EN6thrust23THRUST_200600_302600_NS6detail15normal_iteratorINS8_10device_ptrItEEEESD_SD_SD_jNS0_19identity_decomposerENS1_16block_id_wrapperIjLb1EEEEE10hipError_tT1_PNSt15iterator_traitsISI_E10value_typeET2_T3_PNSJ_ISO_E10value_typeET4_T5_PST_SU_PNS1_23onesweep_lookback_stateEbbT6_jjT7_P12ihipStream_tbENKUlT_T0_SI_SN_E_clISD_SD_SD_SD_EEDaS11_S12_SI_SN_EUlS11_E_NS1_11comp_targetILNS1_3genE2ELNS1_11target_archE906ELNS1_3gpuE6ELNS1_3repE0EEENS1_47radix_sort_onesweep_sort_config_static_selectorELNS0_4arch9wavefront6targetE1EEEvSI_.kd
    .uniform_work_group_size: 1
    .uses_dynamic_stack: false
    .vgpr_count:     0
    .vgpr_spill_count: 0
    .wavefront_size: 64
  - .agpr_count:     0
    .args:
      - .offset:         0
        .size:           88
        .value_kind:     by_value
    .group_segment_fixed_size: 0
    .kernarg_segment_align: 8
    .kernarg_segment_size: 88
    .language:       OpenCL C
    .language_version:
      - 2
      - 0
    .max_flat_workgroup_size: 512
    .name:           _ZN7rocprim17ROCPRIM_400000_NS6detail17trampoline_kernelINS0_14default_configENS1_35radix_sort_onesweep_config_selectorIttEEZZNS1_29radix_sort_onesweep_iterationIS3_Lb0EN6thrust23THRUST_200600_302600_NS6detail15normal_iteratorINS8_10device_ptrItEEEESD_SD_SD_jNS0_19identity_decomposerENS1_16block_id_wrapperIjLb1EEEEE10hipError_tT1_PNSt15iterator_traitsISI_E10value_typeET2_T3_PNSJ_ISO_E10value_typeET4_T5_PST_SU_PNS1_23onesweep_lookback_stateEbbT6_jjT7_P12ihipStream_tbENKUlT_T0_SI_SN_E_clISD_SD_SD_SD_EEDaS11_S12_SI_SN_EUlS11_E_NS1_11comp_targetILNS1_3genE4ELNS1_11target_archE910ELNS1_3gpuE8ELNS1_3repE0EEENS1_47radix_sort_onesweep_sort_config_static_selectorELNS0_4arch9wavefront6targetE1EEEvSI_
    .private_segment_fixed_size: 0
    .sgpr_count:     6
    .sgpr_spill_count: 0
    .symbol:         _ZN7rocprim17ROCPRIM_400000_NS6detail17trampoline_kernelINS0_14default_configENS1_35radix_sort_onesweep_config_selectorIttEEZZNS1_29radix_sort_onesweep_iterationIS3_Lb0EN6thrust23THRUST_200600_302600_NS6detail15normal_iteratorINS8_10device_ptrItEEEESD_SD_SD_jNS0_19identity_decomposerENS1_16block_id_wrapperIjLb1EEEEE10hipError_tT1_PNSt15iterator_traitsISI_E10value_typeET2_T3_PNSJ_ISO_E10value_typeET4_T5_PST_SU_PNS1_23onesweep_lookback_stateEbbT6_jjT7_P12ihipStream_tbENKUlT_T0_SI_SN_E_clISD_SD_SD_SD_EEDaS11_S12_SI_SN_EUlS11_E_NS1_11comp_targetILNS1_3genE4ELNS1_11target_archE910ELNS1_3gpuE8ELNS1_3repE0EEENS1_47radix_sort_onesweep_sort_config_static_selectorELNS0_4arch9wavefront6targetE1EEEvSI_.kd
    .uniform_work_group_size: 1
    .uses_dynamic_stack: false
    .vgpr_count:     0
    .vgpr_spill_count: 0
    .wavefront_size: 64
  - .agpr_count:     0
    .args:
      - .offset:         0
        .size:           88
        .value_kind:     by_value
    .group_segment_fixed_size: 0
    .kernarg_segment_align: 8
    .kernarg_segment_size: 88
    .language:       OpenCL C
    .language_version:
      - 2
      - 0
    .max_flat_workgroup_size: 256
    .name:           _ZN7rocprim17ROCPRIM_400000_NS6detail17trampoline_kernelINS0_14default_configENS1_35radix_sort_onesweep_config_selectorIttEEZZNS1_29radix_sort_onesweep_iterationIS3_Lb0EN6thrust23THRUST_200600_302600_NS6detail15normal_iteratorINS8_10device_ptrItEEEESD_SD_SD_jNS0_19identity_decomposerENS1_16block_id_wrapperIjLb1EEEEE10hipError_tT1_PNSt15iterator_traitsISI_E10value_typeET2_T3_PNSJ_ISO_E10value_typeET4_T5_PST_SU_PNS1_23onesweep_lookback_stateEbbT6_jjT7_P12ihipStream_tbENKUlT_T0_SI_SN_E_clISD_SD_SD_SD_EEDaS11_S12_SI_SN_EUlS11_E_NS1_11comp_targetILNS1_3genE3ELNS1_11target_archE908ELNS1_3gpuE7ELNS1_3repE0EEENS1_47radix_sort_onesweep_sort_config_static_selectorELNS0_4arch9wavefront6targetE1EEEvSI_
    .private_segment_fixed_size: 0
    .sgpr_count:     6
    .sgpr_spill_count: 0
    .symbol:         _ZN7rocprim17ROCPRIM_400000_NS6detail17trampoline_kernelINS0_14default_configENS1_35radix_sort_onesweep_config_selectorIttEEZZNS1_29radix_sort_onesweep_iterationIS3_Lb0EN6thrust23THRUST_200600_302600_NS6detail15normal_iteratorINS8_10device_ptrItEEEESD_SD_SD_jNS0_19identity_decomposerENS1_16block_id_wrapperIjLb1EEEEE10hipError_tT1_PNSt15iterator_traitsISI_E10value_typeET2_T3_PNSJ_ISO_E10value_typeET4_T5_PST_SU_PNS1_23onesweep_lookback_stateEbbT6_jjT7_P12ihipStream_tbENKUlT_T0_SI_SN_E_clISD_SD_SD_SD_EEDaS11_S12_SI_SN_EUlS11_E_NS1_11comp_targetILNS1_3genE3ELNS1_11target_archE908ELNS1_3gpuE7ELNS1_3repE0EEENS1_47radix_sort_onesweep_sort_config_static_selectorELNS0_4arch9wavefront6targetE1EEEvSI_.kd
    .uniform_work_group_size: 1
    .uses_dynamic_stack: false
    .vgpr_count:     0
    .vgpr_spill_count: 0
    .wavefront_size: 64
  - .agpr_count:     0
    .args:
      - .offset:         0
        .size:           88
        .value_kind:     by_value
    .group_segment_fixed_size: 0
    .kernarg_segment_align: 8
    .kernarg_segment_size: 88
    .language:       OpenCL C
    .language_version:
      - 2
      - 0
    .max_flat_workgroup_size: 512
    .name:           _ZN7rocprim17ROCPRIM_400000_NS6detail17trampoline_kernelINS0_14default_configENS1_35radix_sort_onesweep_config_selectorIttEEZZNS1_29radix_sort_onesweep_iterationIS3_Lb0EN6thrust23THRUST_200600_302600_NS6detail15normal_iteratorINS8_10device_ptrItEEEESD_SD_SD_jNS0_19identity_decomposerENS1_16block_id_wrapperIjLb1EEEEE10hipError_tT1_PNSt15iterator_traitsISI_E10value_typeET2_T3_PNSJ_ISO_E10value_typeET4_T5_PST_SU_PNS1_23onesweep_lookback_stateEbbT6_jjT7_P12ihipStream_tbENKUlT_T0_SI_SN_E_clISD_SD_SD_SD_EEDaS11_S12_SI_SN_EUlS11_E_NS1_11comp_targetILNS1_3genE10ELNS1_11target_archE1201ELNS1_3gpuE5ELNS1_3repE0EEENS1_47radix_sort_onesweep_sort_config_static_selectorELNS0_4arch9wavefront6targetE1EEEvSI_
    .private_segment_fixed_size: 0
    .sgpr_count:     6
    .sgpr_spill_count: 0
    .symbol:         _ZN7rocprim17ROCPRIM_400000_NS6detail17trampoline_kernelINS0_14default_configENS1_35radix_sort_onesweep_config_selectorIttEEZZNS1_29radix_sort_onesweep_iterationIS3_Lb0EN6thrust23THRUST_200600_302600_NS6detail15normal_iteratorINS8_10device_ptrItEEEESD_SD_SD_jNS0_19identity_decomposerENS1_16block_id_wrapperIjLb1EEEEE10hipError_tT1_PNSt15iterator_traitsISI_E10value_typeET2_T3_PNSJ_ISO_E10value_typeET4_T5_PST_SU_PNS1_23onesweep_lookback_stateEbbT6_jjT7_P12ihipStream_tbENKUlT_T0_SI_SN_E_clISD_SD_SD_SD_EEDaS11_S12_SI_SN_EUlS11_E_NS1_11comp_targetILNS1_3genE10ELNS1_11target_archE1201ELNS1_3gpuE5ELNS1_3repE0EEENS1_47radix_sort_onesweep_sort_config_static_selectorELNS0_4arch9wavefront6targetE1EEEvSI_.kd
    .uniform_work_group_size: 1
    .uses_dynamic_stack: false
    .vgpr_count:     0
    .vgpr_spill_count: 0
    .wavefront_size: 64
  - .agpr_count:     0
    .args:
      - .offset:         0
        .size:           88
        .value_kind:     by_value
    .group_segment_fixed_size: 0
    .kernarg_segment_align: 8
    .kernarg_segment_size: 88
    .language:       OpenCL C
    .language_version:
      - 2
      - 0
    .max_flat_workgroup_size: 1024
    .name:           _ZN7rocprim17ROCPRIM_400000_NS6detail17trampoline_kernelINS0_14default_configENS1_35radix_sort_onesweep_config_selectorIttEEZZNS1_29radix_sort_onesweep_iterationIS3_Lb0EN6thrust23THRUST_200600_302600_NS6detail15normal_iteratorINS8_10device_ptrItEEEESD_SD_SD_jNS0_19identity_decomposerENS1_16block_id_wrapperIjLb1EEEEE10hipError_tT1_PNSt15iterator_traitsISI_E10value_typeET2_T3_PNSJ_ISO_E10value_typeET4_T5_PST_SU_PNS1_23onesweep_lookback_stateEbbT6_jjT7_P12ihipStream_tbENKUlT_T0_SI_SN_E_clISD_SD_SD_SD_EEDaS11_S12_SI_SN_EUlS11_E_NS1_11comp_targetILNS1_3genE9ELNS1_11target_archE1100ELNS1_3gpuE3ELNS1_3repE0EEENS1_47radix_sort_onesweep_sort_config_static_selectorELNS0_4arch9wavefront6targetE1EEEvSI_
    .private_segment_fixed_size: 0
    .sgpr_count:     6
    .sgpr_spill_count: 0
    .symbol:         _ZN7rocprim17ROCPRIM_400000_NS6detail17trampoline_kernelINS0_14default_configENS1_35radix_sort_onesweep_config_selectorIttEEZZNS1_29radix_sort_onesweep_iterationIS3_Lb0EN6thrust23THRUST_200600_302600_NS6detail15normal_iteratorINS8_10device_ptrItEEEESD_SD_SD_jNS0_19identity_decomposerENS1_16block_id_wrapperIjLb1EEEEE10hipError_tT1_PNSt15iterator_traitsISI_E10value_typeET2_T3_PNSJ_ISO_E10value_typeET4_T5_PST_SU_PNS1_23onesweep_lookback_stateEbbT6_jjT7_P12ihipStream_tbENKUlT_T0_SI_SN_E_clISD_SD_SD_SD_EEDaS11_S12_SI_SN_EUlS11_E_NS1_11comp_targetILNS1_3genE9ELNS1_11target_archE1100ELNS1_3gpuE3ELNS1_3repE0EEENS1_47radix_sort_onesweep_sort_config_static_selectorELNS0_4arch9wavefront6targetE1EEEvSI_.kd
    .uniform_work_group_size: 1
    .uses_dynamic_stack: false
    .vgpr_count:     0
    .vgpr_spill_count: 0
    .wavefront_size: 64
  - .agpr_count:     0
    .args:
      - .offset:         0
        .size:           88
        .value_kind:     by_value
    .group_segment_fixed_size: 0
    .kernarg_segment_align: 8
    .kernarg_segment_size: 88
    .language:       OpenCL C
    .language_version:
      - 2
      - 0
    .max_flat_workgroup_size: 1024
    .name:           _ZN7rocprim17ROCPRIM_400000_NS6detail17trampoline_kernelINS0_14default_configENS1_35radix_sort_onesweep_config_selectorIttEEZZNS1_29radix_sort_onesweep_iterationIS3_Lb0EN6thrust23THRUST_200600_302600_NS6detail15normal_iteratorINS8_10device_ptrItEEEESD_SD_SD_jNS0_19identity_decomposerENS1_16block_id_wrapperIjLb1EEEEE10hipError_tT1_PNSt15iterator_traitsISI_E10value_typeET2_T3_PNSJ_ISO_E10value_typeET4_T5_PST_SU_PNS1_23onesweep_lookback_stateEbbT6_jjT7_P12ihipStream_tbENKUlT_T0_SI_SN_E_clISD_SD_SD_SD_EEDaS11_S12_SI_SN_EUlS11_E_NS1_11comp_targetILNS1_3genE8ELNS1_11target_archE1030ELNS1_3gpuE2ELNS1_3repE0EEENS1_47radix_sort_onesweep_sort_config_static_selectorELNS0_4arch9wavefront6targetE1EEEvSI_
    .private_segment_fixed_size: 0
    .sgpr_count:     6
    .sgpr_spill_count: 0
    .symbol:         _ZN7rocprim17ROCPRIM_400000_NS6detail17trampoline_kernelINS0_14default_configENS1_35radix_sort_onesweep_config_selectorIttEEZZNS1_29radix_sort_onesweep_iterationIS3_Lb0EN6thrust23THRUST_200600_302600_NS6detail15normal_iteratorINS8_10device_ptrItEEEESD_SD_SD_jNS0_19identity_decomposerENS1_16block_id_wrapperIjLb1EEEEE10hipError_tT1_PNSt15iterator_traitsISI_E10value_typeET2_T3_PNSJ_ISO_E10value_typeET4_T5_PST_SU_PNS1_23onesweep_lookback_stateEbbT6_jjT7_P12ihipStream_tbENKUlT_T0_SI_SN_E_clISD_SD_SD_SD_EEDaS11_S12_SI_SN_EUlS11_E_NS1_11comp_targetILNS1_3genE8ELNS1_11target_archE1030ELNS1_3gpuE2ELNS1_3repE0EEENS1_47radix_sort_onesweep_sort_config_static_selectorELNS0_4arch9wavefront6targetE1EEEvSI_.kd
    .uniform_work_group_size: 1
    .uses_dynamic_stack: false
    .vgpr_count:     0
    .vgpr_spill_count: 0
    .wavefront_size: 64
  - .agpr_count:     0
    .args:
      - .offset:         0
        .size:           88
        .value_kind:     by_value
    .group_segment_fixed_size: 0
    .kernarg_segment_align: 8
    .kernarg_segment_size: 88
    .language:       OpenCL C
    .language_version:
      - 2
      - 0
    .max_flat_workgroup_size: 256
    .name:           _ZN7rocprim17ROCPRIM_400000_NS6detail17trampoline_kernelINS0_14default_configENS1_35radix_sort_onesweep_config_selectorIttEEZZNS1_29radix_sort_onesweep_iterationIS3_Lb0EN6thrust23THRUST_200600_302600_NS6detail15normal_iteratorINS8_10device_ptrItEEEESD_SD_SD_jNS0_19identity_decomposerENS1_16block_id_wrapperIjLb1EEEEE10hipError_tT1_PNSt15iterator_traitsISI_E10value_typeET2_T3_PNSJ_ISO_E10value_typeET4_T5_PST_SU_PNS1_23onesweep_lookback_stateEbbT6_jjT7_P12ihipStream_tbENKUlT_T0_SI_SN_E_clISD_PtSD_S15_EEDaS11_S12_SI_SN_EUlS11_E_NS1_11comp_targetILNS1_3genE0ELNS1_11target_archE4294967295ELNS1_3gpuE0ELNS1_3repE0EEENS1_47radix_sort_onesweep_sort_config_static_selectorELNS0_4arch9wavefront6targetE1EEEvSI_
    .private_segment_fixed_size: 0
    .sgpr_count:     6
    .sgpr_spill_count: 0
    .symbol:         _ZN7rocprim17ROCPRIM_400000_NS6detail17trampoline_kernelINS0_14default_configENS1_35radix_sort_onesweep_config_selectorIttEEZZNS1_29radix_sort_onesweep_iterationIS3_Lb0EN6thrust23THRUST_200600_302600_NS6detail15normal_iteratorINS8_10device_ptrItEEEESD_SD_SD_jNS0_19identity_decomposerENS1_16block_id_wrapperIjLb1EEEEE10hipError_tT1_PNSt15iterator_traitsISI_E10value_typeET2_T3_PNSJ_ISO_E10value_typeET4_T5_PST_SU_PNS1_23onesweep_lookback_stateEbbT6_jjT7_P12ihipStream_tbENKUlT_T0_SI_SN_E_clISD_PtSD_S15_EEDaS11_S12_SI_SN_EUlS11_E_NS1_11comp_targetILNS1_3genE0ELNS1_11target_archE4294967295ELNS1_3gpuE0ELNS1_3repE0EEENS1_47radix_sort_onesweep_sort_config_static_selectorELNS0_4arch9wavefront6targetE1EEEvSI_.kd
    .uniform_work_group_size: 1
    .uses_dynamic_stack: false
    .vgpr_count:     0
    .vgpr_spill_count: 0
    .wavefront_size: 64
  - .agpr_count:     0
    .args:
      - .offset:         0
        .size:           88
        .value_kind:     by_value
      - .offset:         88
        .size:           4
        .value_kind:     hidden_block_count_x
      - .offset:         92
        .size:           4
        .value_kind:     hidden_block_count_y
      - .offset:         96
        .size:           4
        .value_kind:     hidden_block_count_z
      - .offset:         100
        .size:           2
        .value_kind:     hidden_group_size_x
      - .offset:         102
        .size:           2
        .value_kind:     hidden_group_size_y
      - .offset:         104
        .size:           2
        .value_kind:     hidden_group_size_z
      - .offset:         106
        .size:           2
        .value_kind:     hidden_remainder_x
      - .offset:         108
        .size:           2
        .value_kind:     hidden_remainder_y
      - .offset:         110
        .size:           2
        .value_kind:     hidden_remainder_z
      - .offset:         128
        .size:           8
        .value_kind:     hidden_global_offset_x
      - .offset:         136
        .size:           8
        .value_kind:     hidden_global_offset_y
      - .offset:         144
        .size:           8
        .value_kind:     hidden_global_offset_z
      - .offset:         152
        .size:           2
        .value_kind:     hidden_grid_dims
    .group_segment_fixed_size: 22792
    .kernarg_segment_align: 8
    .kernarg_segment_size: 344
    .language:       OpenCL C
    .language_version:
      - 2
      - 0
    .max_flat_workgroup_size: 512
    .name:           _ZN7rocprim17ROCPRIM_400000_NS6detail17trampoline_kernelINS0_14default_configENS1_35radix_sort_onesweep_config_selectorIttEEZZNS1_29radix_sort_onesweep_iterationIS3_Lb0EN6thrust23THRUST_200600_302600_NS6detail15normal_iteratorINS8_10device_ptrItEEEESD_SD_SD_jNS0_19identity_decomposerENS1_16block_id_wrapperIjLb1EEEEE10hipError_tT1_PNSt15iterator_traitsISI_E10value_typeET2_T3_PNSJ_ISO_E10value_typeET4_T5_PST_SU_PNS1_23onesweep_lookback_stateEbbT6_jjT7_P12ihipStream_tbENKUlT_T0_SI_SN_E_clISD_PtSD_S15_EEDaS11_S12_SI_SN_EUlS11_E_NS1_11comp_targetILNS1_3genE6ELNS1_11target_archE950ELNS1_3gpuE13ELNS1_3repE0EEENS1_47radix_sort_onesweep_sort_config_static_selectorELNS0_4arch9wavefront6targetE1EEEvSI_
    .private_segment_fixed_size: 0
    .sgpr_count:     106
    .sgpr_spill_count: 20
    .symbol:         _ZN7rocprim17ROCPRIM_400000_NS6detail17trampoline_kernelINS0_14default_configENS1_35radix_sort_onesweep_config_selectorIttEEZZNS1_29radix_sort_onesweep_iterationIS3_Lb0EN6thrust23THRUST_200600_302600_NS6detail15normal_iteratorINS8_10device_ptrItEEEESD_SD_SD_jNS0_19identity_decomposerENS1_16block_id_wrapperIjLb1EEEEE10hipError_tT1_PNSt15iterator_traitsISI_E10value_typeET2_T3_PNSJ_ISO_E10value_typeET4_T5_PST_SU_PNS1_23onesweep_lookback_stateEbbT6_jjT7_P12ihipStream_tbENKUlT_T0_SI_SN_E_clISD_PtSD_S15_EEDaS11_S12_SI_SN_EUlS11_E_NS1_11comp_targetILNS1_3genE6ELNS1_11target_archE950ELNS1_3gpuE13ELNS1_3repE0EEENS1_47radix_sort_onesweep_sort_config_static_selectorELNS0_4arch9wavefront6targetE1EEEvSI_.kd
    .uniform_work_group_size: 1
    .uses_dynamic_stack: false
    .vgpr_count:     118
    .vgpr_spill_count: 0
    .wavefront_size: 64
  - .agpr_count:     0
    .args:
      - .offset:         0
        .size:           88
        .value_kind:     by_value
    .group_segment_fixed_size: 0
    .kernarg_segment_align: 8
    .kernarg_segment_size: 88
    .language:       OpenCL C
    .language_version:
      - 2
      - 0
    .max_flat_workgroup_size: 512
    .name:           _ZN7rocprim17ROCPRIM_400000_NS6detail17trampoline_kernelINS0_14default_configENS1_35radix_sort_onesweep_config_selectorIttEEZZNS1_29radix_sort_onesweep_iterationIS3_Lb0EN6thrust23THRUST_200600_302600_NS6detail15normal_iteratorINS8_10device_ptrItEEEESD_SD_SD_jNS0_19identity_decomposerENS1_16block_id_wrapperIjLb1EEEEE10hipError_tT1_PNSt15iterator_traitsISI_E10value_typeET2_T3_PNSJ_ISO_E10value_typeET4_T5_PST_SU_PNS1_23onesweep_lookback_stateEbbT6_jjT7_P12ihipStream_tbENKUlT_T0_SI_SN_E_clISD_PtSD_S15_EEDaS11_S12_SI_SN_EUlS11_E_NS1_11comp_targetILNS1_3genE5ELNS1_11target_archE942ELNS1_3gpuE9ELNS1_3repE0EEENS1_47radix_sort_onesweep_sort_config_static_selectorELNS0_4arch9wavefront6targetE1EEEvSI_
    .private_segment_fixed_size: 0
    .sgpr_count:     6
    .sgpr_spill_count: 0
    .symbol:         _ZN7rocprim17ROCPRIM_400000_NS6detail17trampoline_kernelINS0_14default_configENS1_35radix_sort_onesweep_config_selectorIttEEZZNS1_29radix_sort_onesweep_iterationIS3_Lb0EN6thrust23THRUST_200600_302600_NS6detail15normal_iteratorINS8_10device_ptrItEEEESD_SD_SD_jNS0_19identity_decomposerENS1_16block_id_wrapperIjLb1EEEEE10hipError_tT1_PNSt15iterator_traitsISI_E10value_typeET2_T3_PNSJ_ISO_E10value_typeET4_T5_PST_SU_PNS1_23onesweep_lookback_stateEbbT6_jjT7_P12ihipStream_tbENKUlT_T0_SI_SN_E_clISD_PtSD_S15_EEDaS11_S12_SI_SN_EUlS11_E_NS1_11comp_targetILNS1_3genE5ELNS1_11target_archE942ELNS1_3gpuE9ELNS1_3repE0EEENS1_47radix_sort_onesweep_sort_config_static_selectorELNS0_4arch9wavefront6targetE1EEEvSI_.kd
    .uniform_work_group_size: 1
    .uses_dynamic_stack: false
    .vgpr_count:     0
    .vgpr_spill_count: 0
    .wavefront_size: 64
  - .agpr_count:     0
    .args:
      - .offset:         0
        .size:           88
        .value_kind:     by_value
    .group_segment_fixed_size: 0
    .kernarg_segment_align: 8
    .kernarg_segment_size: 88
    .language:       OpenCL C
    .language_version:
      - 2
      - 0
    .max_flat_workgroup_size: 256
    .name:           _ZN7rocprim17ROCPRIM_400000_NS6detail17trampoline_kernelINS0_14default_configENS1_35radix_sort_onesweep_config_selectorIttEEZZNS1_29radix_sort_onesweep_iterationIS3_Lb0EN6thrust23THRUST_200600_302600_NS6detail15normal_iteratorINS8_10device_ptrItEEEESD_SD_SD_jNS0_19identity_decomposerENS1_16block_id_wrapperIjLb1EEEEE10hipError_tT1_PNSt15iterator_traitsISI_E10value_typeET2_T3_PNSJ_ISO_E10value_typeET4_T5_PST_SU_PNS1_23onesweep_lookback_stateEbbT6_jjT7_P12ihipStream_tbENKUlT_T0_SI_SN_E_clISD_PtSD_S15_EEDaS11_S12_SI_SN_EUlS11_E_NS1_11comp_targetILNS1_3genE2ELNS1_11target_archE906ELNS1_3gpuE6ELNS1_3repE0EEENS1_47radix_sort_onesweep_sort_config_static_selectorELNS0_4arch9wavefront6targetE1EEEvSI_
    .private_segment_fixed_size: 0
    .sgpr_count:     6
    .sgpr_spill_count: 0
    .symbol:         _ZN7rocprim17ROCPRIM_400000_NS6detail17trampoline_kernelINS0_14default_configENS1_35radix_sort_onesweep_config_selectorIttEEZZNS1_29radix_sort_onesweep_iterationIS3_Lb0EN6thrust23THRUST_200600_302600_NS6detail15normal_iteratorINS8_10device_ptrItEEEESD_SD_SD_jNS0_19identity_decomposerENS1_16block_id_wrapperIjLb1EEEEE10hipError_tT1_PNSt15iterator_traitsISI_E10value_typeET2_T3_PNSJ_ISO_E10value_typeET4_T5_PST_SU_PNS1_23onesweep_lookback_stateEbbT6_jjT7_P12ihipStream_tbENKUlT_T0_SI_SN_E_clISD_PtSD_S15_EEDaS11_S12_SI_SN_EUlS11_E_NS1_11comp_targetILNS1_3genE2ELNS1_11target_archE906ELNS1_3gpuE6ELNS1_3repE0EEENS1_47radix_sort_onesweep_sort_config_static_selectorELNS0_4arch9wavefront6targetE1EEEvSI_.kd
    .uniform_work_group_size: 1
    .uses_dynamic_stack: false
    .vgpr_count:     0
    .vgpr_spill_count: 0
    .wavefront_size: 64
  - .agpr_count:     0
    .args:
      - .offset:         0
        .size:           88
        .value_kind:     by_value
    .group_segment_fixed_size: 0
    .kernarg_segment_align: 8
    .kernarg_segment_size: 88
    .language:       OpenCL C
    .language_version:
      - 2
      - 0
    .max_flat_workgroup_size: 512
    .name:           _ZN7rocprim17ROCPRIM_400000_NS6detail17trampoline_kernelINS0_14default_configENS1_35radix_sort_onesweep_config_selectorIttEEZZNS1_29radix_sort_onesweep_iterationIS3_Lb0EN6thrust23THRUST_200600_302600_NS6detail15normal_iteratorINS8_10device_ptrItEEEESD_SD_SD_jNS0_19identity_decomposerENS1_16block_id_wrapperIjLb1EEEEE10hipError_tT1_PNSt15iterator_traitsISI_E10value_typeET2_T3_PNSJ_ISO_E10value_typeET4_T5_PST_SU_PNS1_23onesweep_lookback_stateEbbT6_jjT7_P12ihipStream_tbENKUlT_T0_SI_SN_E_clISD_PtSD_S15_EEDaS11_S12_SI_SN_EUlS11_E_NS1_11comp_targetILNS1_3genE4ELNS1_11target_archE910ELNS1_3gpuE8ELNS1_3repE0EEENS1_47radix_sort_onesweep_sort_config_static_selectorELNS0_4arch9wavefront6targetE1EEEvSI_
    .private_segment_fixed_size: 0
    .sgpr_count:     6
    .sgpr_spill_count: 0
    .symbol:         _ZN7rocprim17ROCPRIM_400000_NS6detail17trampoline_kernelINS0_14default_configENS1_35radix_sort_onesweep_config_selectorIttEEZZNS1_29radix_sort_onesweep_iterationIS3_Lb0EN6thrust23THRUST_200600_302600_NS6detail15normal_iteratorINS8_10device_ptrItEEEESD_SD_SD_jNS0_19identity_decomposerENS1_16block_id_wrapperIjLb1EEEEE10hipError_tT1_PNSt15iterator_traitsISI_E10value_typeET2_T3_PNSJ_ISO_E10value_typeET4_T5_PST_SU_PNS1_23onesweep_lookback_stateEbbT6_jjT7_P12ihipStream_tbENKUlT_T0_SI_SN_E_clISD_PtSD_S15_EEDaS11_S12_SI_SN_EUlS11_E_NS1_11comp_targetILNS1_3genE4ELNS1_11target_archE910ELNS1_3gpuE8ELNS1_3repE0EEENS1_47radix_sort_onesweep_sort_config_static_selectorELNS0_4arch9wavefront6targetE1EEEvSI_.kd
    .uniform_work_group_size: 1
    .uses_dynamic_stack: false
    .vgpr_count:     0
    .vgpr_spill_count: 0
    .wavefront_size: 64
  - .agpr_count:     0
    .args:
      - .offset:         0
        .size:           88
        .value_kind:     by_value
    .group_segment_fixed_size: 0
    .kernarg_segment_align: 8
    .kernarg_segment_size: 88
    .language:       OpenCL C
    .language_version:
      - 2
      - 0
    .max_flat_workgroup_size: 256
    .name:           _ZN7rocprim17ROCPRIM_400000_NS6detail17trampoline_kernelINS0_14default_configENS1_35radix_sort_onesweep_config_selectorIttEEZZNS1_29radix_sort_onesweep_iterationIS3_Lb0EN6thrust23THRUST_200600_302600_NS6detail15normal_iteratorINS8_10device_ptrItEEEESD_SD_SD_jNS0_19identity_decomposerENS1_16block_id_wrapperIjLb1EEEEE10hipError_tT1_PNSt15iterator_traitsISI_E10value_typeET2_T3_PNSJ_ISO_E10value_typeET4_T5_PST_SU_PNS1_23onesweep_lookback_stateEbbT6_jjT7_P12ihipStream_tbENKUlT_T0_SI_SN_E_clISD_PtSD_S15_EEDaS11_S12_SI_SN_EUlS11_E_NS1_11comp_targetILNS1_3genE3ELNS1_11target_archE908ELNS1_3gpuE7ELNS1_3repE0EEENS1_47radix_sort_onesweep_sort_config_static_selectorELNS0_4arch9wavefront6targetE1EEEvSI_
    .private_segment_fixed_size: 0
    .sgpr_count:     6
    .sgpr_spill_count: 0
    .symbol:         _ZN7rocprim17ROCPRIM_400000_NS6detail17trampoline_kernelINS0_14default_configENS1_35radix_sort_onesweep_config_selectorIttEEZZNS1_29radix_sort_onesweep_iterationIS3_Lb0EN6thrust23THRUST_200600_302600_NS6detail15normal_iteratorINS8_10device_ptrItEEEESD_SD_SD_jNS0_19identity_decomposerENS1_16block_id_wrapperIjLb1EEEEE10hipError_tT1_PNSt15iterator_traitsISI_E10value_typeET2_T3_PNSJ_ISO_E10value_typeET4_T5_PST_SU_PNS1_23onesweep_lookback_stateEbbT6_jjT7_P12ihipStream_tbENKUlT_T0_SI_SN_E_clISD_PtSD_S15_EEDaS11_S12_SI_SN_EUlS11_E_NS1_11comp_targetILNS1_3genE3ELNS1_11target_archE908ELNS1_3gpuE7ELNS1_3repE0EEENS1_47radix_sort_onesweep_sort_config_static_selectorELNS0_4arch9wavefront6targetE1EEEvSI_.kd
    .uniform_work_group_size: 1
    .uses_dynamic_stack: false
    .vgpr_count:     0
    .vgpr_spill_count: 0
    .wavefront_size: 64
  - .agpr_count:     0
    .args:
      - .offset:         0
        .size:           88
        .value_kind:     by_value
    .group_segment_fixed_size: 0
    .kernarg_segment_align: 8
    .kernarg_segment_size: 88
    .language:       OpenCL C
    .language_version:
      - 2
      - 0
    .max_flat_workgroup_size: 512
    .name:           _ZN7rocprim17ROCPRIM_400000_NS6detail17trampoline_kernelINS0_14default_configENS1_35radix_sort_onesweep_config_selectorIttEEZZNS1_29radix_sort_onesweep_iterationIS3_Lb0EN6thrust23THRUST_200600_302600_NS6detail15normal_iteratorINS8_10device_ptrItEEEESD_SD_SD_jNS0_19identity_decomposerENS1_16block_id_wrapperIjLb1EEEEE10hipError_tT1_PNSt15iterator_traitsISI_E10value_typeET2_T3_PNSJ_ISO_E10value_typeET4_T5_PST_SU_PNS1_23onesweep_lookback_stateEbbT6_jjT7_P12ihipStream_tbENKUlT_T0_SI_SN_E_clISD_PtSD_S15_EEDaS11_S12_SI_SN_EUlS11_E_NS1_11comp_targetILNS1_3genE10ELNS1_11target_archE1201ELNS1_3gpuE5ELNS1_3repE0EEENS1_47radix_sort_onesweep_sort_config_static_selectorELNS0_4arch9wavefront6targetE1EEEvSI_
    .private_segment_fixed_size: 0
    .sgpr_count:     6
    .sgpr_spill_count: 0
    .symbol:         _ZN7rocprim17ROCPRIM_400000_NS6detail17trampoline_kernelINS0_14default_configENS1_35radix_sort_onesweep_config_selectorIttEEZZNS1_29radix_sort_onesweep_iterationIS3_Lb0EN6thrust23THRUST_200600_302600_NS6detail15normal_iteratorINS8_10device_ptrItEEEESD_SD_SD_jNS0_19identity_decomposerENS1_16block_id_wrapperIjLb1EEEEE10hipError_tT1_PNSt15iterator_traitsISI_E10value_typeET2_T3_PNSJ_ISO_E10value_typeET4_T5_PST_SU_PNS1_23onesweep_lookback_stateEbbT6_jjT7_P12ihipStream_tbENKUlT_T0_SI_SN_E_clISD_PtSD_S15_EEDaS11_S12_SI_SN_EUlS11_E_NS1_11comp_targetILNS1_3genE10ELNS1_11target_archE1201ELNS1_3gpuE5ELNS1_3repE0EEENS1_47radix_sort_onesweep_sort_config_static_selectorELNS0_4arch9wavefront6targetE1EEEvSI_.kd
    .uniform_work_group_size: 1
    .uses_dynamic_stack: false
    .vgpr_count:     0
    .vgpr_spill_count: 0
    .wavefront_size: 64
  - .agpr_count:     0
    .args:
      - .offset:         0
        .size:           88
        .value_kind:     by_value
    .group_segment_fixed_size: 0
    .kernarg_segment_align: 8
    .kernarg_segment_size: 88
    .language:       OpenCL C
    .language_version:
      - 2
      - 0
    .max_flat_workgroup_size: 1024
    .name:           _ZN7rocprim17ROCPRIM_400000_NS6detail17trampoline_kernelINS0_14default_configENS1_35radix_sort_onesweep_config_selectorIttEEZZNS1_29radix_sort_onesweep_iterationIS3_Lb0EN6thrust23THRUST_200600_302600_NS6detail15normal_iteratorINS8_10device_ptrItEEEESD_SD_SD_jNS0_19identity_decomposerENS1_16block_id_wrapperIjLb1EEEEE10hipError_tT1_PNSt15iterator_traitsISI_E10value_typeET2_T3_PNSJ_ISO_E10value_typeET4_T5_PST_SU_PNS1_23onesweep_lookback_stateEbbT6_jjT7_P12ihipStream_tbENKUlT_T0_SI_SN_E_clISD_PtSD_S15_EEDaS11_S12_SI_SN_EUlS11_E_NS1_11comp_targetILNS1_3genE9ELNS1_11target_archE1100ELNS1_3gpuE3ELNS1_3repE0EEENS1_47radix_sort_onesweep_sort_config_static_selectorELNS0_4arch9wavefront6targetE1EEEvSI_
    .private_segment_fixed_size: 0
    .sgpr_count:     6
    .sgpr_spill_count: 0
    .symbol:         _ZN7rocprim17ROCPRIM_400000_NS6detail17trampoline_kernelINS0_14default_configENS1_35radix_sort_onesweep_config_selectorIttEEZZNS1_29radix_sort_onesweep_iterationIS3_Lb0EN6thrust23THRUST_200600_302600_NS6detail15normal_iteratorINS8_10device_ptrItEEEESD_SD_SD_jNS0_19identity_decomposerENS1_16block_id_wrapperIjLb1EEEEE10hipError_tT1_PNSt15iterator_traitsISI_E10value_typeET2_T3_PNSJ_ISO_E10value_typeET4_T5_PST_SU_PNS1_23onesweep_lookback_stateEbbT6_jjT7_P12ihipStream_tbENKUlT_T0_SI_SN_E_clISD_PtSD_S15_EEDaS11_S12_SI_SN_EUlS11_E_NS1_11comp_targetILNS1_3genE9ELNS1_11target_archE1100ELNS1_3gpuE3ELNS1_3repE0EEENS1_47radix_sort_onesweep_sort_config_static_selectorELNS0_4arch9wavefront6targetE1EEEvSI_.kd
    .uniform_work_group_size: 1
    .uses_dynamic_stack: false
    .vgpr_count:     0
    .vgpr_spill_count: 0
    .wavefront_size: 64
  - .agpr_count:     0
    .args:
      - .offset:         0
        .size:           88
        .value_kind:     by_value
    .group_segment_fixed_size: 0
    .kernarg_segment_align: 8
    .kernarg_segment_size: 88
    .language:       OpenCL C
    .language_version:
      - 2
      - 0
    .max_flat_workgroup_size: 1024
    .name:           _ZN7rocprim17ROCPRIM_400000_NS6detail17trampoline_kernelINS0_14default_configENS1_35radix_sort_onesweep_config_selectorIttEEZZNS1_29radix_sort_onesweep_iterationIS3_Lb0EN6thrust23THRUST_200600_302600_NS6detail15normal_iteratorINS8_10device_ptrItEEEESD_SD_SD_jNS0_19identity_decomposerENS1_16block_id_wrapperIjLb1EEEEE10hipError_tT1_PNSt15iterator_traitsISI_E10value_typeET2_T3_PNSJ_ISO_E10value_typeET4_T5_PST_SU_PNS1_23onesweep_lookback_stateEbbT6_jjT7_P12ihipStream_tbENKUlT_T0_SI_SN_E_clISD_PtSD_S15_EEDaS11_S12_SI_SN_EUlS11_E_NS1_11comp_targetILNS1_3genE8ELNS1_11target_archE1030ELNS1_3gpuE2ELNS1_3repE0EEENS1_47radix_sort_onesweep_sort_config_static_selectorELNS0_4arch9wavefront6targetE1EEEvSI_
    .private_segment_fixed_size: 0
    .sgpr_count:     6
    .sgpr_spill_count: 0
    .symbol:         _ZN7rocprim17ROCPRIM_400000_NS6detail17trampoline_kernelINS0_14default_configENS1_35radix_sort_onesweep_config_selectorIttEEZZNS1_29radix_sort_onesweep_iterationIS3_Lb0EN6thrust23THRUST_200600_302600_NS6detail15normal_iteratorINS8_10device_ptrItEEEESD_SD_SD_jNS0_19identity_decomposerENS1_16block_id_wrapperIjLb1EEEEE10hipError_tT1_PNSt15iterator_traitsISI_E10value_typeET2_T3_PNSJ_ISO_E10value_typeET4_T5_PST_SU_PNS1_23onesweep_lookback_stateEbbT6_jjT7_P12ihipStream_tbENKUlT_T0_SI_SN_E_clISD_PtSD_S15_EEDaS11_S12_SI_SN_EUlS11_E_NS1_11comp_targetILNS1_3genE8ELNS1_11target_archE1030ELNS1_3gpuE2ELNS1_3repE0EEENS1_47radix_sort_onesweep_sort_config_static_selectorELNS0_4arch9wavefront6targetE1EEEvSI_.kd
    .uniform_work_group_size: 1
    .uses_dynamic_stack: false
    .vgpr_count:     0
    .vgpr_spill_count: 0
    .wavefront_size: 64
  - .agpr_count:     0
    .args:
      - .offset:         0
        .size:           88
        .value_kind:     by_value
    .group_segment_fixed_size: 0
    .kernarg_segment_align: 8
    .kernarg_segment_size: 88
    .language:       OpenCL C
    .language_version:
      - 2
      - 0
    .max_flat_workgroup_size: 256
    .name:           _ZN7rocprim17ROCPRIM_400000_NS6detail17trampoline_kernelINS0_14default_configENS1_35radix_sort_onesweep_config_selectorIttEEZZNS1_29radix_sort_onesweep_iterationIS3_Lb0EN6thrust23THRUST_200600_302600_NS6detail15normal_iteratorINS8_10device_ptrItEEEESD_SD_SD_jNS0_19identity_decomposerENS1_16block_id_wrapperIjLb1EEEEE10hipError_tT1_PNSt15iterator_traitsISI_E10value_typeET2_T3_PNSJ_ISO_E10value_typeET4_T5_PST_SU_PNS1_23onesweep_lookback_stateEbbT6_jjT7_P12ihipStream_tbENKUlT_T0_SI_SN_E_clIPtSD_S15_SD_EEDaS11_S12_SI_SN_EUlS11_E_NS1_11comp_targetILNS1_3genE0ELNS1_11target_archE4294967295ELNS1_3gpuE0ELNS1_3repE0EEENS1_47radix_sort_onesweep_sort_config_static_selectorELNS0_4arch9wavefront6targetE1EEEvSI_
    .private_segment_fixed_size: 0
    .sgpr_count:     6
    .sgpr_spill_count: 0
    .symbol:         _ZN7rocprim17ROCPRIM_400000_NS6detail17trampoline_kernelINS0_14default_configENS1_35radix_sort_onesweep_config_selectorIttEEZZNS1_29radix_sort_onesweep_iterationIS3_Lb0EN6thrust23THRUST_200600_302600_NS6detail15normal_iteratorINS8_10device_ptrItEEEESD_SD_SD_jNS0_19identity_decomposerENS1_16block_id_wrapperIjLb1EEEEE10hipError_tT1_PNSt15iterator_traitsISI_E10value_typeET2_T3_PNSJ_ISO_E10value_typeET4_T5_PST_SU_PNS1_23onesweep_lookback_stateEbbT6_jjT7_P12ihipStream_tbENKUlT_T0_SI_SN_E_clIPtSD_S15_SD_EEDaS11_S12_SI_SN_EUlS11_E_NS1_11comp_targetILNS1_3genE0ELNS1_11target_archE4294967295ELNS1_3gpuE0ELNS1_3repE0EEENS1_47radix_sort_onesweep_sort_config_static_selectorELNS0_4arch9wavefront6targetE1EEEvSI_.kd
    .uniform_work_group_size: 1
    .uses_dynamic_stack: false
    .vgpr_count:     0
    .vgpr_spill_count: 0
    .wavefront_size: 64
  - .agpr_count:     0
    .args:
      - .offset:         0
        .size:           88
        .value_kind:     by_value
      - .offset:         88
        .size:           4
        .value_kind:     hidden_block_count_x
      - .offset:         92
        .size:           4
        .value_kind:     hidden_block_count_y
      - .offset:         96
        .size:           4
        .value_kind:     hidden_block_count_z
      - .offset:         100
        .size:           2
        .value_kind:     hidden_group_size_x
      - .offset:         102
        .size:           2
        .value_kind:     hidden_group_size_y
      - .offset:         104
        .size:           2
        .value_kind:     hidden_group_size_z
      - .offset:         106
        .size:           2
        .value_kind:     hidden_remainder_x
      - .offset:         108
        .size:           2
        .value_kind:     hidden_remainder_y
      - .offset:         110
        .size:           2
        .value_kind:     hidden_remainder_z
      - .offset:         128
        .size:           8
        .value_kind:     hidden_global_offset_x
      - .offset:         136
        .size:           8
        .value_kind:     hidden_global_offset_y
      - .offset:         144
        .size:           8
        .value_kind:     hidden_global_offset_z
      - .offset:         152
        .size:           2
        .value_kind:     hidden_grid_dims
    .group_segment_fixed_size: 22792
    .kernarg_segment_align: 8
    .kernarg_segment_size: 344
    .language:       OpenCL C
    .language_version:
      - 2
      - 0
    .max_flat_workgroup_size: 512
    .name:           _ZN7rocprim17ROCPRIM_400000_NS6detail17trampoline_kernelINS0_14default_configENS1_35radix_sort_onesweep_config_selectorIttEEZZNS1_29radix_sort_onesweep_iterationIS3_Lb0EN6thrust23THRUST_200600_302600_NS6detail15normal_iteratorINS8_10device_ptrItEEEESD_SD_SD_jNS0_19identity_decomposerENS1_16block_id_wrapperIjLb1EEEEE10hipError_tT1_PNSt15iterator_traitsISI_E10value_typeET2_T3_PNSJ_ISO_E10value_typeET4_T5_PST_SU_PNS1_23onesweep_lookback_stateEbbT6_jjT7_P12ihipStream_tbENKUlT_T0_SI_SN_E_clIPtSD_S15_SD_EEDaS11_S12_SI_SN_EUlS11_E_NS1_11comp_targetILNS1_3genE6ELNS1_11target_archE950ELNS1_3gpuE13ELNS1_3repE0EEENS1_47radix_sort_onesweep_sort_config_static_selectorELNS0_4arch9wavefront6targetE1EEEvSI_
    .private_segment_fixed_size: 0
    .sgpr_count:     106
    .sgpr_spill_count: 20
    .symbol:         _ZN7rocprim17ROCPRIM_400000_NS6detail17trampoline_kernelINS0_14default_configENS1_35radix_sort_onesweep_config_selectorIttEEZZNS1_29radix_sort_onesweep_iterationIS3_Lb0EN6thrust23THRUST_200600_302600_NS6detail15normal_iteratorINS8_10device_ptrItEEEESD_SD_SD_jNS0_19identity_decomposerENS1_16block_id_wrapperIjLb1EEEEE10hipError_tT1_PNSt15iterator_traitsISI_E10value_typeET2_T3_PNSJ_ISO_E10value_typeET4_T5_PST_SU_PNS1_23onesweep_lookback_stateEbbT6_jjT7_P12ihipStream_tbENKUlT_T0_SI_SN_E_clIPtSD_S15_SD_EEDaS11_S12_SI_SN_EUlS11_E_NS1_11comp_targetILNS1_3genE6ELNS1_11target_archE950ELNS1_3gpuE13ELNS1_3repE0EEENS1_47radix_sort_onesweep_sort_config_static_selectorELNS0_4arch9wavefront6targetE1EEEvSI_.kd
    .uniform_work_group_size: 1
    .uses_dynamic_stack: false
    .vgpr_count:     118
    .vgpr_spill_count: 0
    .wavefront_size: 64
  - .agpr_count:     0
    .args:
      - .offset:         0
        .size:           88
        .value_kind:     by_value
    .group_segment_fixed_size: 0
    .kernarg_segment_align: 8
    .kernarg_segment_size: 88
    .language:       OpenCL C
    .language_version:
      - 2
      - 0
    .max_flat_workgroup_size: 512
    .name:           _ZN7rocprim17ROCPRIM_400000_NS6detail17trampoline_kernelINS0_14default_configENS1_35radix_sort_onesweep_config_selectorIttEEZZNS1_29radix_sort_onesweep_iterationIS3_Lb0EN6thrust23THRUST_200600_302600_NS6detail15normal_iteratorINS8_10device_ptrItEEEESD_SD_SD_jNS0_19identity_decomposerENS1_16block_id_wrapperIjLb1EEEEE10hipError_tT1_PNSt15iterator_traitsISI_E10value_typeET2_T3_PNSJ_ISO_E10value_typeET4_T5_PST_SU_PNS1_23onesweep_lookback_stateEbbT6_jjT7_P12ihipStream_tbENKUlT_T0_SI_SN_E_clIPtSD_S15_SD_EEDaS11_S12_SI_SN_EUlS11_E_NS1_11comp_targetILNS1_3genE5ELNS1_11target_archE942ELNS1_3gpuE9ELNS1_3repE0EEENS1_47radix_sort_onesweep_sort_config_static_selectorELNS0_4arch9wavefront6targetE1EEEvSI_
    .private_segment_fixed_size: 0
    .sgpr_count:     6
    .sgpr_spill_count: 0
    .symbol:         _ZN7rocprim17ROCPRIM_400000_NS6detail17trampoline_kernelINS0_14default_configENS1_35radix_sort_onesweep_config_selectorIttEEZZNS1_29radix_sort_onesweep_iterationIS3_Lb0EN6thrust23THRUST_200600_302600_NS6detail15normal_iteratorINS8_10device_ptrItEEEESD_SD_SD_jNS0_19identity_decomposerENS1_16block_id_wrapperIjLb1EEEEE10hipError_tT1_PNSt15iterator_traitsISI_E10value_typeET2_T3_PNSJ_ISO_E10value_typeET4_T5_PST_SU_PNS1_23onesweep_lookback_stateEbbT6_jjT7_P12ihipStream_tbENKUlT_T0_SI_SN_E_clIPtSD_S15_SD_EEDaS11_S12_SI_SN_EUlS11_E_NS1_11comp_targetILNS1_3genE5ELNS1_11target_archE942ELNS1_3gpuE9ELNS1_3repE0EEENS1_47radix_sort_onesweep_sort_config_static_selectorELNS0_4arch9wavefront6targetE1EEEvSI_.kd
    .uniform_work_group_size: 1
    .uses_dynamic_stack: false
    .vgpr_count:     0
    .vgpr_spill_count: 0
    .wavefront_size: 64
  - .agpr_count:     0
    .args:
      - .offset:         0
        .size:           88
        .value_kind:     by_value
    .group_segment_fixed_size: 0
    .kernarg_segment_align: 8
    .kernarg_segment_size: 88
    .language:       OpenCL C
    .language_version:
      - 2
      - 0
    .max_flat_workgroup_size: 256
    .name:           _ZN7rocprim17ROCPRIM_400000_NS6detail17trampoline_kernelINS0_14default_configENS1_35radix_sort_onesweep_config_selectorIttEEZZNS1_29radix_sort_onesweep_iterationIS3_Lb0EN6thrust23THRUST_200600_302600_NS6detail15normal_iteratorINS8_10device_ptrItEEEESD_SD_SD_jNS0_19identity_decomposerENS1_16block_id_wrapperIjLb1EEEEE10hipError_tT1_PNSt15iterator_traitsISI_E10value_typeET2_T3_PNSJ_ISO_E10value_typeET4_T5_PST_SU_PNS1_23onesweep_lookback_stateEbbT6_jjT7_P12ihipStream_tbENKUlT_T0_SI_SN_E_clIPtSD_S15_SD_EEDaS11_S12_SI_SN_EUlS11_E_NS1_11comp_targetILNS1_3genE2ELNS1_11target_archE906ELNS1_3gpuE6ELNS1_3repE0EEENS1_47radix_sort_onesweep_sort_config_static_selectorELNS0_4arch9wavefront6targetE1EEEvSI_
    .private_segment_fixed_size: 0
    .sgpr_count:     6
    .sgpr_spill_count: 0
    .symbol:         _ZN7rocprim17ROCPRIM_400000_NS6detail17trampoline_kernelINS0_14default_configENS1_35radix_sort_onesweep_config_selectorIttEEZZNS1_29radix_sort_onesweep_iterationIS3_Lb0EN6thrust23THRUST_200600_302600_NS6detail15normal_iteratorINS8_10device_ptrItEEEESD_SD_SD_jNS0_19identity_decomposerENS1_16block_id_wrapperIjLb1EEEEE10hipError_tT1_PNSt15iterator_traitsISI_E10value_typeET2_T3_PNSJ_ISO_E10value_typeET4_T5_PST_SU_PNS1_23onesweep_lookback_stateEbbT6_jjT7_P12ihipStream_tbENKUlT_T0_SI_SN_E_clIPtSD_S15_SD_EEDaS11_S12_SI_SN_EUlS11_E_NS1_11comp_targetILNS1_3genE2ELNS1_11target_archE906ELNS1_3gpuE6ELNS1_3repE0EEENS1_47radix_sort_onesweep_sort_config_static_selectorELNS0_4arch9wavefront6targetE1EEEvSI_.kd
    .uniform_work_group_size: 1
    .uses_dynamic_stack: false
    .vgpr_count:     0
    .vgpr_spill_count: 0
    .wavefront_size: 64
  - .agpr_count:     0
    .args:
      - .offset:         0
        .size:           88
        .value_kind:     by_value
    .group_segment_fixed_size: 0
    .kernarg_segment_align: 8
    .kernarg_segment_size: 88
    .language:       OpenCL C
    .language_version:
      - 2
      - 0
    .max_flat_workgroup_size: 512
    .name:           _ZN7rocprim17ROCPRIM_400000_NS6detail17trampoline_kernelINS0_14default_configENS1_35radix_sort_onesweep_config_selectorIttEEZZNS1_29radix_sort_onesweep_iterationIS3_Lb0EN6thrust23THRUST_200600_302600_NS6detail15normal_iteratorINS8_10device_ptrItEEEESD_SD_SD_jNS0_19identity_decomposerENS1_16block_id_wrapperIjLb1EEEEE10hipError_tT1_PNSt15iterator_traitsISI_E10value_typeET2_T3_PNSJ_ISO_E10value_typeET4_T5_PST_SU_PNS1_23onesweep_lookback_stateEbbT6_jjT7_P12ihipStream_tbENKUlT_T0_SI_SN_E_clIPtSD_S15_SD_EEDaS11_S12_SI_SN_EUlS11_E_NS1_11comp_targetILNS1_3genE4ELNS1_11target_archE910ELNS1_3gpuE8ELNS1_3repE0EEENS1_47radix_sort_onesweep_sort_config_static_selectorELNS0_4arch9wavefront6targetE1EEEvSI_
    .private_segment_fixed_size: 0
    .sgpr_count:     6
    .sgpr_spill_count: 0
    .symbol:         _ZN7rocprim17ROCPRIM_400000_NS6detail17trampoline_kernelINS0_14default_configENS1_35radix_sort_onesweep_config_selectorIttEEZZNS1_29radix_sort_onesweep_iterationIS3_Lb0EN6thrust23THRUST_200600_302600_NS6detail15normal_iteratorINS8_10device_ptrItEEEESD_SD_SD_jNS0_19identity_decomposerENS1_16block_id_wrapperIjLb1EEEEE10hipError_tT1_PNSt15iterator_traitsISI_E10value_typeET2_T3_PNSJ_ISO_E10value_typeET4_T5_PST_SU_PNS1_23onesweep_lookback_stateEbbT6_jjT7_P12ihipStream_tbENKUlT_T0_SI_SN_E_clIPtSD_S15_SD_EEDaS11_S12_SI_SN_EUlS11_E_NS1_11comp_targetILNS1_3genE4ELNS1_11target_archE910ELNS1_3gpuE8ELNS1_3repE0EEENS1_47radix_sort_onesweep_sort_config_static_selectorELNS0_4arch9wavefront6targetE1EEEvSI_.kd
    .uniform_work_group_size: 1
    .uses_dynamic_stack: false
    .vgpr_count:     0
    .vgpr_spill_count: 0
    .wavefront_size: 64
  - .agpr_count:     0
    .args:
      - .offset:         0
        .size:           88
        .value_kind:     by_value
    .group_segment_fixed_size: 0
    .kernarg_segment_align: 8
    .kernarg_segment_size: 88
    .language:       OpenCL C
    .language_version:
      - 2
      - 0
    .max_flat_workgroup_size: 256
    .name:           _ZN7rocprim17ROCPRIM_400000_NS6detail17trampoline_kernelINS0_14default_configENS1_35radix_sort_onesweep_config_selectorIttEEZZNS1_29radix_sort_onesweep_iterationIS3_Lb0EN6thrust23THRUST_200600_302600_NS6detail15normal_iteratorINS8_10device_ptrItEEEESD_SD_SD_jNS0_19identity_decomposerENS1_16block_id_wrapperIjLb1EEEEE10hipError_tT1_PNSt15iterator_traitsISI_E10value_typeET2_T3_PNSJ_ISO_E10value_typeET4_T5_PST_SU_PNS1_23onesweep_lookback_stateEbbT6_jjT7_P12ihipStream_tbENKUlT_T0_SI_SN_E_clIPtSD_S15_SD_EEDaS11_S12_SI_SN_EUlS11_E_NS1_11comp_targetILNS1_3genE3ELNS1_11target_archE908ELNS1_3gpuE7ELNS1_3repE0EEENS1_47radix_sort_onesweep_sort_config_static_selectorELNS0_4arch9wavefront6targetE1EEEvSI_
    .private_segment_fixed_size: 0
    .sgpr_count:     6
    .sgpr_spill_count: 0
    .symbol:         _ZN7rocprim17ROCPRIM_400000_NS6detail17trampoline_kernelINS0_14default_configENS1_35radix_sort_onesweep_config_selectorIttEEZZNS1_29radix_sort_onesweep_iterationIS3_Lb0EN6thrust23THRUST_200600_302600_NS6detail15normal_iteratorINS8_10device_ptrItEEEESD_SD_SD_jNS0_19identity_decomposerENS1_16block_id_wrapperIjLb1EEEEE10hipError_tT1_PNSt15iterator_traitsISI_E10value_typeET2_T3_PNSJ_ISO_E10value_typeET4_T5_PST_SU_PNS1_23onesweep_lookback_stateEbbT6_jjT7_P12ihipStream_tbENKUlT_T0_SI_SN_E_clIPtSD_S15_SD_EEDaS11_S12_SI_SN_EUlS11_E_NS1_11comp_targetILNS1_3genE3ELNS1_11target_archE908ELNS1_3gpuE7ELNS1_3repE0EEENS1_47radix_sort_onesweep_sort_config_static_selectorELNS0_4arch9wavefront6targetE1EEEvSI_.kd
    .uniform_work_group_size: 1
    .uses_dynamic_stack: false
    .vgpr_count:     0
    .vgpr_spill_count: 0
    .wavefront_size: 64
  - .agpr_count:     0
    .args:
      - .offset:         0
        .size:           88
        .value_kind:     by_value
    .group_segment_fixed_size: 0
    .kernarg_segment_align: 8
    .kernarg_segment_size: 88
    .language:       OpenCL C
    .language_version:
      - 2
      - 0
    .max_flat_workgroup_size: 512
    .name:           _ZN7rocprim17ROCPRIM_400000_NS6detail17trampoline_kernelINS0_14default_configENS1_35radix_sort_onesweep_config_selectorIttEEZZNS1_29radix_sort_onesweep_iterationIS3_Lb0EN6thrust23THRUST_200600_302600_NS6detail15normal_iteratorINS8_10device_ptrItEEEESD_SD_SD_jNS0_19identity_decomposerENS1_16block_id_wrapperIjLb1EEEEE10hipError_tT1_PNSt15iterator_traitsISI_E10value_typeET2_T3_PNSJ_ISO_E10value_typeET4_T5_PST_SU_PNS1_23onesweep_lookback_stateEbbT6_jjT7_P12ihipStream_tbENKUlT_T0_SI_SN_E_clIPtSD_S15_SD_EEDaS11_S12_SI_SN_EUlS11_E_NS1_11comp_targetILNS1_3genE10ELNS1_11target_archE1201ELNS1_3gpuE5ELNS1_3repE0EEENS1_47radix_sort_onesweep_sort_config_static_selectorELNS0_4arch9wavefront6targetE1EEEvSI_
    .private_segment_fixed_size: 0
    .sgpr_count:     6
    .sgpr_spill_count: 0
    .symbol:         _ZN7rocprim17ROCPRIM_400000_NS6detail17trampoline_kernelINS0_14default_configENS1_35radix_sort_onesweep_config_selectorIttEEZZNS1_29radix_sort_onesweep_iterationIS3_Lb0EN6thrust23THRUST_200600_302600_NS6detail15normal_iteratorINS8_10device_ptrItEEEESD_SD_SD_jNS0_19identity_decomposerENS1_16block_id_wrapperIjLb1EEEEE10hipError_tT1_PNSt15iterator_traitsISI_E10value_typeET2_T3_PNSJ_ISO_E10value_typeET4_T5_PST_SU_PNS1_23onesweep_lookback_stateEbbT6_jjT7_P12ihipStream_tbENKUlT_T0_SI_SN_E_clIPtSD_S15_SD_EEDaS11_S12_SI_SN_EUlS11_E_NS1_11comp_targetILNS1_3genE10ELNS1_11target_archE1201ELNS1_3gpuE5ELNS1_3repE0EEENS1_47radix_sort_onesweep_sort_config_static_selectorELNS0_4arch9wavefront6targetE1EEEvSI_.kd
    .uniform_work_group_size: 1
    .uses_dynamic_stack: false
    .vgpr_count:     0
    .vgpr_spill_count: 0
    .wavefront_size: 64
  - .agpr_count:     0
    .args:
      - .offset:         0
        .size:           88
        .value_kind:     by_value
    .group_segment_fixed_size: 0
    .kernarg_segment_align: 8
    .kernarg_segment_size: 88
    .language:       OpenCL C
    .language_version:
      - 2
      - 0
    .max_flat_workgroup_size: 1024
    .name:           _ZN7rocprim17ROCPRIM_400000_NS6detail17trampoline_kernelINS0_14default_configENS1_35radix_sort_onesweep_config_selectorIttEEZZNS1_29radix_sort_onesweep_iterationIS3_Lb0EN6thrust23THRUST_200600_302600_NS6detail15normal_iteratorINS8_10device_ptrItEEEESD_SD_SD_jNS0_19identity_decomposerENS1_16block_id_wrapperIjLb1EEEEE10hipError_tT1_PNSt15iterator_traitsISI_E10value_typeET2_T3_PNSJ_ISO_E10value_typeET4_T5_PST_SU_PNS1_23onesweep_lookback_stateEbbT6_jjT7_P12ihipStream_tbENKUlT_T0_SI_SN_E_clIPtSD_S15_SD_EEDaS11_S12_SI_SN_EUlS11_E_NS1_11comp_targetILNS1_3genE9ELNS1_11target_archE1100ELNS1_3gpuE3ELNS1_3repE0EEENS1_47radix_sort_onesweep_sort_config_static_selectorELNS0_4arch9wavefront6targetE1EEEvSI_
    .private_segment_fixed_size: 0
    .sgpr_count:     6
    .sgpr_spill_count: 0
    .symbol:         _ZN7rocprim17ROCPRIM_400000_NS6detail17trampoline_kernelINS0_14default_configENS1_35radix_sort_onesweep_config_selectorIttEEZZNS1_29radix_sort_onesweep_iterationIS3_Lb0EN6thrust23THRUST_200600_302600_NS6detail15normal_iteratorINS8_10device_ptrItEEEESD_SD_SD_jNS0_19identity_decomposerENS1_16block_id_wrapperIjLb1EEEEE10hipError_tT1_PNSt15iterator_traitsISI_E10value_typeET2_T3_PNSJ_ISO_E10value_typeET4_T5_PST_SU_PNS1_23onesweep_lookback_stateEbbT6_jjT7_P12ihipStream_tbENKUlT_T0_SI_SN_E_clIPtSD_S15_SD_EEDaS11_S12_SI_SN_EUlS11_E_NS1_11comp_targetILNS1_3genE9ELNS1_11target_archE1100ELNS1_3gpuE3ELNS1_3repE0EEENS1_47radix_sort_onesweep_sort_config_static_selectorELNS0_4arch9wavefront6targetE1EEEvSI_.kd
    .uniform_work_group_size: 1
    .uses_dynamic_stack: false
    .vgpr_count:     0
    .vgpr_spill_count: 0
    .wavefront_size: 64
  - .agpr_count:     0
    .args:
      - .offset:         0
        .size:           88
        .value_kind:     by_value
    .group_segment_fixed_size: 0
    .kernarg_segment_align: 8
    .kernarg_segment_size: 88
    .language:       OpenCL C
    .language_version:
      - 2
      - 0
    .max_flat_workgroup_size: 1024
    .name:           _ZN7rocprim17ROCPRIM_400000_NS6detail17trampoline_kernelINS0_14default_configENS1_35radix_sort_onesweep_config_selectorIttEEZZNS1_29radix_sort_onesweep_iterationIS3_Lb0EN6thrust23THRUST_200600_302600_NS6detail15normal_iteratorINS8_10device_ptrItEEEESD_SD_SD_jNS0_19identity_decomposerENS1_16block_id_wrapperIjLb1EEEEE10hipError_tT1_PNSt15iterator_traitsISI_E10value_typeET2_T3_PNSJ_ISO_E10value_typeET4_T5_PST_SU_PNS1_23onesweep_lookback_stateEbbT6_jjT7_P12ihipStream_tbENKUlT_T0_SI_SN_E_clIPtSD_S15_SD_EEDaS11_S12_SI_SN_EUlS11_E_NS1_11comp_targetILNS1_3genE8ELNS1_11target_archE1030ELNS1_3gpuE2ELNS1_3repE0EEENS1_47radix_sort_onesweep_sort_config_static_selectorELNS0_4arch9wavefront6targetE1EEEvSI_
    .private_segment_fixed_size: 0
    .sgpr_count:     6
    .sgpr_spill_count: 0
    .symbol:         _ZN7rocprim17ROCPRIM_400000_NS6detail17trampoline_kernelINS0_14default_configENS1_35radix_sort_onesweep_config_selectorIttEEZZNS1_29radix_sort_onesweep_iterationIS3_Lb0EN6thrust23THRUST_200600_302600_NS6detail15normal_iteratorINS8_10device_ptrItEEEESD_SD_SD_jNS0_19identity_decomposerENS1_16block_id_wrapperIjLb1EEEEE10hipError_tT1_PNSt15iterator_traitsISI_E10value_typeET2_T3_PNSJ_ISO_E10value_typeET4_T5_PST_SU_PNS1_23onesweep_lookback_stateEbbT6_jjT7_P12ihipStream_tbENKUlT_T0_SI_SN_E_clIPtSD_S15_SD_EEDaS11_S12_SI_SN_EUlS11_E_NS1_11comp_targetILNS1_3genE8ELNS1_11target_archE1030ELNS1_3gpuE2ELNS1_3repE0EEENS1_47radix_sort_onesweep_sort_config_static_selectorELNS0_4arch9wavefront6targetE1EEEvSI_.kd
    .uniform_work_group_size: 1
    .uses_dynamic_stack: false
    .vgpr_count:     0
    .vgpr_spill_count: 0
    .wavefront_size: 64
  - .agpr_count:     0
    .args:
      - .offset:         0
        .size:           88
        .value_kind:     by_value
    .group_segment_fixed_size: 0
    .kernarg_segment_align: 8
    .kernarg_segment_size: 88
    .language:       OpenCL C
    .language_version:
      - 2
      - 0
    .max_flat_workgroup_size: 256
    .name:           _ZN7rocprim17ROCPRIM_400000_NS6detail17trampoline_kernelINS0_14default_configENS1_35radix_sort_onesweep_config_selectorIttEEZZNS1_29radix_sort_onesweep_iterationIS3_Lb0EN6thrust23THRUST_200600_302600_NS6detail15normal_iteratorINS8_10device_ptrItEEEESD_SD_SD_jNS0_19identity_decomposerENS1_16block_id_wrapperIjLb0EEEEE10hipError_tT1_PNSt15iterator_traitsISI_E10value_typeET2_T3_PNSJ_ISO_E10value_typeET4_T5_PST_SU_PNS1_23onesweep_lookback_stateEbbT6_jjT7_P12ihipStream_tbENKUlT_T0_SI_SN_E_clISD_SD_SD_SD_EEDaS11_S12_SI_SN_EUlS11_E_NS1_11comp_targetILNS1_3genE0ELNS1_11target_archE4294967295ELNS1_3gpuE0ELNS1_3repE0EEENS1_47radix_sort_onesweep_sort_config_static_selectorELNS0_4arch9wavefront6targetE1EEEvSI_
    .private_segment_fixed_size: 0
    .sgpr_count:     6
    .sgpr_spill_count: 0
    .symbol:         _ZN7rocprim17ROCPRIM_400000_NS6detail17trampoline_kernelINS0_14default_configENS1_35radix_sort_onesweep_config_selectorIttEEZZNS1_29radix_sort_onesweep_iterationIS3_Lb0EN6thrust23THRUST_200600_302600_NS6detail15normal_iteratorINS8_10device_ptrItEEEESD_SD_SD_jNS0_19identity_decomposerENS1_16block_id_wrapperIjLb0EEEEE10hipError_tT1_PNSt15iterator_traitsISI_E10value_typeET2_T3_PNSJ_ISO_E10value_typeET4_T5_PST_SU_PNS1_23onesweep_lookback_stateEbbT6_jjT7_P12ihipStream_tbENKUlT_T0_SI_SN_E_clISD_SD_SD_SD_EEDaS11_S12_SI_SN_EUlS11_E_NS1_11comp_targetILNS1_3genE0ELNS1_11target_archE4294967295ELNS1_3gpuE0ELNS1_3repE0EEENS1_47radix_sort_onesweep_sort_config_static_selectorELNS0_4arch9wavefront6targetE1EEEvSI_.kd
    .uniform_work_group_size: 1
    .uses_dynamic_stack: false
    .vgpr_count:     0
    .vgpr_spill_count: 0
    .wavefront_size: 64
  - .agpr_count:     0
    .args:
      - .offset:         0
        .size:           88
        .value_kind:     by_value
      - .offset:         88
        .size:           4
        .value_kind:     hidden_block_count_x
      - .offset:         92
        .size:           4
        .value_kind:     hidden_block_count_y
      - .offset:         96
        .size:           4
        .value_kind:     hidden_block_count_z
      - .offset:         100
        .size:           2
        .value_kind:     hidden_group_size_x
      - .offset:         102
        .size:           2
        .value_kind:     hidden_group_size_y
      - .offset:         104
        .size:           2
        .value_kind:     hidden_group_size_z
      - .offset:         106
        .size:           2
        .value_kind:     hidden_remainder_x
      - .offset:         108
        .size:           2
        .value_kind:     hidden_remainder_y
      - .offset:         110
        .size:           2
        .value_kind:     hidden_remainder_z
      - .offset:         128
        .size:           8
        .value_kind:     hidden_global_offset_x
      - .offset:         136
        .size:           8
        .value_kind:     hidden_global_offset_y
      - .offset:         144
        .size:           8
        .value_kind:     hidden_global_offset_z
      - .offset:         152
        .size:           2
        .value_kind:     hidden_grid_dims
    .group_segment_fixed_size: 22792
    .kernarg_segment_align: 8
    .kernarg_segment_size: 344
    .language:       OpenCL C
    .language_version:
      - 2
      - 0
    .max_flat_workgroup_size: 512
    .name:           _ZN7rocprim17ROCPRIM_400000_NS6detail17trampoline_kernelINS0_14default_configENS1_35radix_sort_onesweep_config_selectorIttEEZZNS1_29radix_sort_onesweep_iterationIS3_Lb0EN6thrust23THRUST_200600_302600_NS6detail15normal_iteratorINS8_10device_ptrItEEEESD_SD_SD_jNS0_19identity_decomposerENS1_16block_id_wrapperIjLb0EEEEE10hipError_tT1_PNSt15iterator_traitsISI_E10value_typeET2_T3_PNSJ_ISO_E10value_typeET4_T5_PST_SU_PNS1_23onesweep_lookback_stateEbbT6_jjT7_P12ihipStream_tbENKUlT_T0_SI_SN_E_clISD_SD_SD_SD_EEDaS11_S12_SI_SN_EUlS11_E_NS1_11comp_targetILNS1_3genE6ELNS1_11target_archE950ELNS1_3gpuE13ELNS1_3repE0EEENS1_47radix_sort_onesweep_sort_config_static_selectorELNS0_4arch9wavefront6targetE1EEEvSI_
    .private_segment_fixed_size: 0
    .sgpr_count:     106
    .sgpr_spill_count: 18
    .symbol:         _ZN7rocprim17ROCPRIM_400000_NS6detail17trampoline_kernelINS0_14default_configENS1_35radix_sort_onesweep_config_selectorIttEEZZNS1_29radix_sort_onesweep_iterationIS3_Lb0EN6thrust23THRUST_200600_302600_NS6detail15normal_iteratorINS8_10device_ptrItEEEESD_SD_SD_jNS0_19identity_decomposerENS1_16block_id_wrapperIjLb0EEEEE10hipError_tT1_PNSt15iterator_traitsISI_E10value_typeET2_T3_PNSJ_ISO_E10value_typeET4_T5_PST_SU_PNS1_23onesweep_lookback_stateEbbT6_jjT7_P12ihipStream_tbENKUlT_T0_SI_SN_E_clISD_SD_SD_SD_EEDaS11_S12_SI_SN_EUlS11_E_NS1_11comp_targetILNS1_3genE6ELNS1_11target_archE950ELNS1_3gpuE13ELNS1_3repE0EEENS1_47radix_sort_onesweep_sort_config_static_selectorELNS0_4arch9wavefront6targetE1EEEvSI_.kd
    .uniform_work_group_size: 1
    .uses_dynamic_stack: false
    .vgpr_count:     119
    .vgpr_spill_count: 0
    .wavefront_size: 64
  - .agpr_count:     0
    .args:
      - .offset:         0
        .size:           88
        .value_kind:     by_value
    .group_segment_fixed_size: 0
    .kernarg_segment_align: 8
    .kernarg_segment_size: 88
    .language:       OpenCL C
    .language_version:
      - 2
      - 0
    .max_flat_workgroup_size: 512
    .name:           _ZN7rocprim17ROCPRIM_400000_NS6detail17trampoline_kernelINS0_14default_configENS1_35radix_sort_onesweep_config_selectorIttEEZZNS1_29radix_sort_onesweep_iterationIS3_Lb0EN6thrust23THRUST_200600_302600_NS6detail15normal_iteratorINS8_10device_ptrItEEEESD_SD_SD_jNS0_19identity_decomposerENS1_16block_id_wrapperIjLb0EEEEE10hipError_tT1_PNSt15iterator_traitsISI_E10value_typeET2_T3_PNSJ_ISO_E10value_typeET4_T5_PST_SU_PNS1_23onesweep_lookback_stateEbbT6_jjT7_P12ihipStream_tbENKUlT_T0_SI_SN_E_clISD_SD_SD_SD_EEDaS11_S12_SI_SN_EUlS11_E_NS1_11comp_targetILNS1_3genE5ELNS1_11target_archE942ELNS1_3gpuE9ELNS1_3repE0EEENS1_47radix_sort_onesweep_sort_config_static_selectorELNS0_4arch9wavefront6targetE1EEEvSI_
    .private_segment_fixed_size: 0
    .sgpr_count:     6
    .sgpr_spill_count: 0
    .symbol:         _ZN7rocprim17ROCPRIM_400000_NS6detail17trampoline_kernelINS0_14default_configENS1_35radix_sort_onesweep_config_selectorIttEEZZNS1_29radix_sort_onesweep_iterationIS3_Lb0EN6thrust23THRUST_200600_302600_NS6detail15normal_iteratorINS8_10device_ptrItEEEESD_SD_SD_jNS0_19identity_decomposerENS1_16block_id_wrapperIjLb0EEEEE10hipError_tT1_PNSt15iterator_traitsISI_E10value_typeET2_T3_PNSJ_ISO_E10value_typeET4_T5_PST_SU_PNS1_23onesweep_lookback_stateEbbT6_jjT7_P12ihipStream_tbENKUlT_T0_SI_SN_E_clISD_SD_SD_SD_EEDaS11_S12_SI_SN_EUlS11_E_NS1_11comp_targetILNS1_3genE5ELNS1_11target_archE942ELNS1_3gpuE9ELNS1_3repE0EEENS1_47radix_sort_onesweep_sort_config_static_selectorELNS0_4arch9wavefront6targetE1EEEvSI_.kd
    .uniform_work_group_size: 1
    .uses_dynamic_stack: false
    .vgpr_count:     0
    .vgpr_spill_count: 0
    .wavefront_size: 64
  - .agpr_count:     0
    .args:
      - .offset:         0
        .size:           88
        .value_kind:     by_value
    .group_segment_fixed_size: 0
    .kernarg_segment_align: 8
    .kernarg_segment_size: 88
    .language:       OpenCL C
    .language_version:
      - 2
      - 0
    .max_flat_workgroup_size: 256
    .name:           _ZN7rocprim17ROCPRIM_400000_NS6detail17trampoline_kernelINS0_14default_configENS1_35radix_sort_onesweep_config_selectorIttEEZZNS1_29radix_sort_onesweep_iterationIS3_Lb0EN6thrust23THRUST_200600_302600_NS6detail15normal_iteratorINS8_10device_ptrItEEEESD_SD_SD_jNS0_19identity_decomposerENS1_16block_id_wrapperIjLb0EEEEE10hipError_tT1_PNSt15iterator_traitsISI_E10value_typeET2_T3_PNSJ_ISO_E10value_typeET4_T5_PST_SU_PNS1_23onesweep_lookback_stateEbbT6_jjT7_P12ihipStream_tbENKUlT_T0_SI_SN_E_clISD_SD_SD_SD_EEDaS11_S12_SI_SN_EUlS11_E_NS1_11comp_targetILNS1_3genE2ELNS1_11target_archE906ELNS1_3gpuE6ELNS1_3repE0EEENS1_47radix_sort_onesweep_sort_config_static_selectorELNS0_4arch9wavefront6targetE1EEEvSI_
    .private_segment_fixed_size: 0
    .sgpr_count:     6
    .sgpr_spill_count: 0
    .symbol:         _ZN7rocprim17ROCPRIM_400000_NS6detail17trampoline_kernelINS0_14default_configENS1_35radix_sort_onesweep_config_selectorIttEEZZNS1_29radix_sort_onesweep_iterationIS3_Lb0EN6thrust23THRUST_200600_302600_NS6detail15normal_iteratorINS8_10device_ptrItEEEESD_SD_SD_jNS0_19identity_decomposerENS1_16block_id_wrapperIjLb0EEEEE10hipError_tT1_PNSt15iterator_traitsISI_E10value_typeET2_T3_PNSJ_ISO_E10value_typeET4_T5_PST_SU_PNS1_23onesweep_lookback_stateEbbT6_jjT7_P12ihipStream_tbENKUlT_T0_SI_SN_E_clISD_SD_SD_SD_EEDaS11_S12_SI_SN_EUlS11_E_NS1_11comp_targetILNS1_3genE2ELNS1_11target_archE906ELNS1_3gpuE6ELNS1_3repE0EEENS1_47radix_sort_onesweep_sort_config_static_selectorELNS0_4arch9wavefront6targetE1EEEvSI_.kd
    .uniform_work_group_size: 1
    .uses_dynamic_stack: false
    .vgpr_count:     0
    .vgpr_spill_count: 0
    .wavefront_size: 64
  - .agpr_count:     0
    .args:
      - .offset:         0
        .size:           88
        .value_kind:     by_value
    .group_segment_fixed_size: 0
    .kernarg_segment_align: 8
    .kernarg_segment_size: 88
    .language:       OpenCL C
    .language_version:
      - 2
      - 0
    .max_flat_workgroup_size: 512
    .name:           _ZN7rocprim17ROCPRIM_400000_NS6detail17trampoline_kernelINS0_14default_configENS1_35radix_sort_onesweep_config_selectorIttEEZZNS1_29radix_sort_onesweep_iterationIS3_Lb0EN6thrust23THRUST_200600_302600_NS6detail15normal_iteratorINS8_10device_ptrItEEEESD_SD_SD_jNS0_19identity_decomposerENS1_16block_id_wrapperIjLb0EEEEE10hipError_tT1_PNSt15iterator_traitsISI_E10value_typeET2_T3_PNSJ_ISO_E10value_typeET4_T5_PST_SU_PNS1_23onesweep_lookback_stateEbbT6_jjT7_P12ihipStream_tbENKUlT_T0_SI_SN_E_clISD_SD_SD_SD_EEDaS11_S12_SI_SN_EUlS11_E_NS1_11comp_targetILNS1_3genE4ELNS1_11target_archE910ELNS1_3gpuE8ELNS1_3repE0EEENS1_47radix_sort_onesweep_sort_config_static_selectorELNS0_4arch9wavefront6targetE1EEEvSI_
    .private_segment_fixed_size: 0
    .sgpr_count:     6
    .sgpr_spill_count: 0
    .symbol:         _ZN7rocprim17ROCPRIM_400000_NS6detail17trampoline_kernelINS0_14default_configENS1_35radix_sort_onesweep_config_selectorIttEEZZNS1_29radix_sort_onesweep_iterationIS3_Lb0EN6thrust23THRUST_200600_302600_NS6detail15normal_iteratorINS8_10device_ptrItEEEESD_SD_SD_jNS0_19identity_decomposerENS1_16block_id_wrapperIjLb0EEEEE10hipError_tT1_PNSt15iterator_traitsISI_E10value_typeET2_T3_PNSJ_ISO_E10value_typeET4_T5_PST_SU_PNS1_23onesweep_lookback_stateEbbT6_jjT7_P12ihipStream_tbENKUlT_T0_SI_SN_E_clISD_SD_SD_SD_EEDaS11_S12_SI_SN_EUlS11_E_NS1_11comp_targetILNS1_3genE4ELNS1_11target_archE910ELNS1_3gpuE8ELNS1_3repE0EEENS1_47radix_sort_onesweep_sort_config_static_selectorELNS0_4arch9wavefront6targetE1EEEvSI_.kd
    .uniform_work_group_size: 1
    .uses_dynamic_stack: false
    .vgpr_count:     0
    .vgpr_spill_count: 0
    .wavefront_size: 64
  - .agpr_count:     0
    .args:
      - .offset:         0
        .size:           88
        .value_kind:     by_value
    .group_segment_fixed_size: 0
    .kernarg_segment_align: 8
    .kernarg_segment_size: 88
    .language:       OpenCL C
    .language_version:
      - 2
      - 0
    .max_flat_workgroup_size: 256
    .name:           _ZN7rocprim17ROCPRIM_400000_NS6detail17trampoline_kernelINS0_14default_configENS1_35radix_sort_onesweep_config_selectorIttEEZZNS1_29radix_sort_onesweep_iterationIS3_Lb0EN6thrust23THRUST_200600_302600_NS6detail15normal_iteratorINS8_10device_ptrItEEEESD_SD_SD_jNS0_19identity_decomposerENS1_16block_id_wrapperIjLb0EEEEE10hipError_tT1_PNSt15iterator_traitsISI_E10value_typeET2_T3_PNSJ_ISO_E10value_typeET4_T5_PST_SU_PNS1_23onesweep_lookback_stateEbbT6_jjT7_P12ihipStream_tbENKUlT_T0_SI_SN_E_clISD_SD_SD_SD_EEDaS11_S12_SI_SN_EUlS11_E_NS1_11comp_targetILNS1_3genE3ELNS1_11target_archE908ELNS1_3gpuE7ELNS1_3repE0EEENS1_47radix_sort_onesweep_sort_config_static_selectorELNS0_4arch9wavefront6targetE1EEEvSI_
    .private_segment_fixed_size: 0
    .sgpr_count:     6
    .sgpr_spill_count: 0
    .symbol:         _ZN7rocprim17ROCPRIM_400000_NS6detail17trampoline_kernelINS0_14default_configENS1_35radix_sort_onesweep_config_selectorIttEEZZNS1_29radix_sort_onesweep_iterationIS3_Lb0EN6thrust23THRUST_200600_302600_NS6detail15normal_iteratorINS8_10device_ptrItEEEESD_SD_SD_jNS0_19identity_decomposerENS1_16block_id_wrapperIjLb0EEEEE10hipError_tT1_PNSt15iterator_traitsISI_E10value_typeET2_T3_PNSJ_ISO_E10value_typeET4_T5_PST_SU_PNS1_23onesweep_lookback_stateEbbT6_jjT7_P12ihipStream_tbENKUlT_T0_SI_SN_E_clISD_SD_SD_SD_EEDaS11_S12_SI_SN_EUlS11_E_NS1_11comp_targetILNS1_3genE3ELNS1_11target_archE908ELNS1_3gpuE7ELNS1_3repE0EEENS1_47radix_sort_onesweep_sort_config_static_selectorELNS0_4arch9wavefront6targetE1EEEvSI_.kd
    .uniform_work_group_size: 1
    .uses_dynamic_stack: false
    .vgpr_count:     0
    .vgpr_spill_count: 0
    .wavefront_size: 64
  - .agpr_count:     0
    .args:
      - .offset:         0
        .size:           88
        .value_kind:     by_value
    .group_segment_fixed_size: 0
    .kernarg_segment_align: 8
    .kernarg_segment_size: 88
    .language:       OpenCL C
    .language_version:
      - 2
      - 0
    .max_flat_workgroup_size: 512
    .name:           _ZN7rocprim17ROCPRIM_400000_NS6detail17trampoline_kernelINS0_14default_configENS1_35radix_sort_onesweep_config_selectorIttEEZZNS1_29radix_sort_onesweep_iterationIS3_Lb0EN6thrust23THRUST_200600_302600_NS6detail15normal_iteratorINS8_10device_ptrItEEEESD_SD_SD_jNS0_19identity_decomposerENS1_16block_id_wrapperIjLb0EEEEE10hipError_tT1_PNSt15iterator_traitsISI_E10value_typeET2_T3_PNSJ_ISO_E10value_typeET4_T5_PST_SU_PNS1_23onesweep_lookback_stateEbbT6_jjT7_P12ihipStream_tbENKUlT_T0_SI_SN_E_clISD_SD_SD_SD_EEDaS11_S12_SI_SN_EUlS11_E_NS1_11comp_targetILNS1_3genE10ELNS1_11target_archE1201ELNS1_3gpuE5ELNS1_3repE0EEENS1_47radix_sort_onesweep_sort_config_static_selectorELNS0_4arch9wavefront6targetE1EEEvSI_
    .private_segment_fixed_size: 0
    .sgpr_count:     6
    .sgpr_spill_count: 0
    .symbol:         _ZN7rocprim17ROCPRIM_400000_NS6detail17trampoline_kernelINS0_14default_configENS1_35radix_sort_onesweep_config_selectorIttEEZZNS1_29radix_sort_onesweep_iterationIS3_Lb0EN6thrust23THRUST_200600_302600_NS6detail15normal_iteratorINS8_10device_ptrItEEEESD_SD_SD_jNS0_19identity_decomposerENS1_16block_id_wrapperIjLb0EEEEE10hipError_tT1_PNSt15iterator_traitsISI_E10value_typeET2_T3_PNSJ_ISO_E10value_typeET4_T5_PST_SU_PNS1_23onesweep_lookback_stateEbbT6_jjT7_P12ihipStream_tbENKUlT_T0_SI_SN_E_clISD_SD_SD_SD_EEDaS11_S12_SI_SN_EUlS11_E_NS1_11comp_targetILNS1_3genE10ELNS1_11target_archE1201ELNS1_3gpuE5ELNS1_3repE0EEENS1_47radix_sort_onesweep_sort_config_static_selectorELNS0_4arch9wavefront6targetE1EEEvSI_.kd
    .uniform_work_group_size: 1
    .uses_dynamic_stack: false
    .vgpr_count:     0
    .vgpr_spill_count: 0
    .wavefront_size: 64
  - .agpr_count:     0
    .args:
      - .offset:         0
        .size:           88
        .value_kind:     by_value
    .group_segment_fixed_size: 0
    .kernarg_segment_align: 8
    .kernarg_segment_size: 88
    .language:       OpenCL C
    .language_version:
      - 2
      - 0
    .max_flat_workgroup_size: 1024
    .name:           _ZN7rocprim17ROCPRIM_400000_NS6detail17trampoline_kernelINS0_14default_configENS1_35radix_sort_onesweep_config_selectorIttEEZZNS1_29radix_sort_onesweep_iterationIS3_Lb0EN6thrust23THRUST_200600_302600_NS6detail15normal_iteratorINS8_10device_ptrItEEEESD_SD_SD_jNS0_19identity_decomposerENS1_16block_id_wrapperIjLb0EEEEE10hipError_tT1_PNSt15iterator_traitsISI_E10value_typeET2_T3_PNSJ_ISO_E10value_typeET4_T5_PST_SU_PNS1_23onesweep_lookback_stateEbbT6_jjT7_P12ihipStream_tbENKUlT_T0_SI_SN_E_clISD_SD_SD_SD_EEDaS11_S12_SI_SN_EUlS11_E_NS1_11comp_targetILNS1_3genE9ELNS1_11target_archE1100ELNS1_3gpuE3ELNS1_3repE0EEENS1_47radix_sort_onesweep_sort_config_static_selectorELNS0_4arch9wavefront6targetE1EEEvSI_
    .private_segment_fixed_size: 0
    .sgpr_count:     6
    .sgpr_spill_count: 0
    .symbol:         _ZN7rocprim17ROCPRIM_400000_NS6detail17trampoline_kernelINS0_14default_configENS1_35radix_sort_onesweep_config_selectorIttEEZZNS1_29radix_sort_onesweep_iterationIS3_Lb0EN6thrust23THRUST_200600_302600_NS6detail15normal_iteratorINS8_10device_ptrItEEEESD_SD_SD_jNS0_19identity_decomposerENS1_16block_id_wrapperIjLb0EEEEE10hipError_tT1_PNSt15iterator_traitsISI_E10value_typeET2_T3_PNSJ_ISO_E10value_typeET4_T5_PST_SU_PNS1_23onesweep_lookback_stateEbbT6_jjT7_P12ihipStream_tbENKUlT_T0_SI_SN_E_clISD_SD_SD_SD_EEDaS11_S12_SI_SN_EUlS11_E_NS1_11comp_targetILNS1_3genE9ELNS1_11target_archE1100ELNS1_3gpuE3ELNS1_3repE0EEENS1_47radix_sort_onesweep_sort_config_static_selectorELNS0_4arch9wavefront6targetE1EEEvSI_.kd
    .uniform_work_group_size: 1
    .uses_dynamic_stack: false
    .vgpr_count:     0
    .vgpr_spill_count: 0
    .wavefront_size: 64
  - .agpr_count:     0
    .args:
      - .offset:         0
        .size:           88
        .value_kind:     by_value
    .group_segment_fixed_size: 0
    .kernarg_segment_align: 8
    .kernarg_segment_size: 88
    .language:       OpenCL C
    .language_version:
      - 2
      - 0
    .max_flat_workgroup_size: 1024
    .name:           _ZN7rocprim17ROCPRIM_400000_NS6detail17trampoline_kernelINS0_14default_configENS1_35radix_sort_onesweep_config_selectorIttEEZZNS1_29radix_sort_onesweep_iterationIS3_Lb0EN6thrust23THRUST_200600_302600_NS6detail15normal_iteratorINS8_10device_ptrItEEEESD_SD_SD_jNS0_19identity_decomposerENS1_16block_id_wrapperIjLb0EEEEE10hipError_tT1_PNSt15iterator_traitsISI_E10value_typeET2_T3_PNSJ_ISO_E10value_typeET4_T5_PST_SU_PNS1_23onesweep_lookback_stateEbbT6_jjT7_P12ihipStream_tbENKUlT_T0_SI_SN_E_clISD_SD_SD_SD_EEDaS11_S12_SI_SN_EUlS11_E_NS1_11comp_targetILNS1_3genE8ELNS1_11target_archE1030ELNS1_3gpuE2ELNS1_3repE0EEENS1_47radix_sort_onesweep_sort_config_static_selectorELNS0_4arch9wavefront6targetE1EEEvSI_
    .private_segment_fixed_size: 0
    .sgpr_count:     6
    .sgpr_spill_count: 0
    .symbol:         _ZN7rocprim17ROCPRIM_400000_NS6detail17trampoline_kernelINS0_14default_configENS1_35radix_sort_onesweep_config_selectorIttEEZZNS1_29radix_sort_onesweep_iterationIS3_Lb0EN6thrust23THRUST_200600_302600_NS6detail15normal_iteratorINS8_10device_ptrItEEEESD_SD_SD_jNS0_19identity_decomposerENS1_16block_id_wrapperIjLb0EEEEE10hipError_tT1_PNSt15iterator_traitsISI_E10value_typeET2_T3_PNSJ_ISO_E10value_typeET4_T5_PST_SU_PNS1_23onesweep_lookback_stateEbbT6_jjT7_P12ihipStream_tbENKUlT_T0_SI_SN_E_clISD_SD_SD_SD_EEDaS11_S12_SI_SN_EUlS11_E_NS1_11comp_targetILNS1_3genE8ELNS1_11target_archE1030ELNS1_3gpuE2ELNS1_3repE0EEENS1_47radix_sort_onesweep_sort_config_static_selectorELNS0_4arch9wavefront6targetE1EEEvSI_.kd
    .uniform_work_group_size: 1
    .uses_dynamic_stack: false
    .vgpr_count:     0
    .vgpr_spill_count: 0
    .wavefront_size: 64
  - .agpr_count:     0
    .args:
      - .offset:         0
        .size:           88
        .value_kind:     by_value
    .group_segment_fixed_size: 0
    .kernarg_segment_align: 8
    .kernarg_segment_size: 88
    .language:       OpenCL C
    .language_version:
      - 2
      - 0
    .max_flat_workgroup_size: 256
    .name:           _ZN7rocprim17ROCPRIM_400000_NS6detail17trampoline_kernelINS0_14default_configENS1_35radix_sort_onesweep_config_selectorIttEEZZNS1_29radix_sort_onesweep_iterationIS3_Lb0EN6thrust23THRUST_200600_302600_NS6detail15normal_iteratorINS8_10device_ptrItEEEESD_SD_SD_jNS0_19identity_decomposerENS1_16block_id_wrapperIjLb0EEEEE10hipError_tT1_PNSt15iterator_traitsISI_E10value_typeET2_T3_PNSJ_ISO_E10value_typeET4_T5_PST_SU_PNS1_23onesweep_lookback_stateEbbT6_jjT7_P12ihipStream_tbENKUlT_T0_SI_SN_E_clISD_PtSD_S15_EEDaS11_S12_SI_SN_EUlS11_E_NS1_11comp_targetILNS1_3genE0ELNS1_11target_archE4294967295ELNS1_3gpuE0ELNS1_3repE0EEENS1_47radix_sort_onesweep_sort_config_static_selectorELNS0_4arch9wavefront6targetE1EEEvSI_
    .private_segment_fixed_size: 0
    .sgpr_count:     6
    .sgpr_spill_count: 0
    .symbol:         _ZN7rocprim17ROCPRIM_400000_NS6detail17trampoline_kernelINS0_14default_configENS1_35radix_sort_onesweep_config_selectorIttEEZZNS1_29radix_sort_onesweep_iterationIS3_Lb0EN6thrust23THRUST_200600_302600_NS6detail15normal_iteratorINS8_10device_ptrItEEEESD_SD_SD_jNS0_19identity_decomposerENS1_16block_id_wrapperIjLb0EEEEE10hipError_tT1_PNSt15iterator_traitsISI_E10value_typeET2_T3_PNSJ_ISO_E10value_typeET4_T5_PST_SU_PNS1_23onesweep_lookback_stateEbbT6_jjT7_P12ihipStream_tbENKUlT_T0_SI_SN_E_clISD_PtSD_S15_EEDaS11_S12_SI_SN_EUlS11_E_NS1_11comp_targetILNS1_3genE0ELNS1_11target_archE4294967295ELNS1_3gpuE0ELNS1_3repE0EEENS1_47radix_sort_onesweep_sort_config_static_selectorELNS0_4arch9wavefront6targetE1EEEvSI_.kd
    .uniform_work_group_size: 1
    .uses_dynamic_stack: false
    .vgpr_count:     0
    .vgpr_spill_count: 0
    .wavefront_size: 64
  - .agpr_count:     0
    .args:
      - .offset:         0
        .size:           88
        .value_kind:     by_value
      - .offset:         88
        .size:           4
        .value_kind:     hidden_block_count_x
      - .offset:         92
        .size:           4
        .value_kind:     hidden_block_count_y
      - .offset:         96
        .size:           4
        .value_kind:     hidden_block_count_z
      - .offset:         100
        .size:           2
        .value_kind:     hidden_group_size_x
      - .offset:         102
        .size:           2
        .value_kind:     hidden_group_size_y
      - .offset:         104
        .size:           2
        .value_kind:     hidden_group_size_z
      - .offset:         106
        .size:           2
        .value_kind:     hidden_remainder_x
      - .offset:         108
        .size:           2
        .value_kind:     hidden_remainder_y
      - .offset:         110
        .size:           2
        .value_kind:     hidden_remainder_z
      - .offset:         128
        .size:           8
        .value_kind:     hidden_global_offset_x
      - .offset:         136
        .size:           8
        .value_kind:     hidden_global_offset_y
      - .offset:         144
        .size:           8
        .value_kind:     hidden_global_offset_z
      - .offset:         152
        .size:           2
        .value_kind:     hidden_grid_dims
    .group_segment_fixed_size: 22792
    .kernarg_segment_align: 8
    .kernarg_segment_size: 344
    .language:       OpenCL C
    .language_version:
      - 2
      - 0
    .max_flat_workgroup_size: 512
    .name:           _ZN7rocprim17ROCPRIM_400000_NS6detail17trampoline_kernelINS0_14default_configENS1_35radix_sort_onesweep_config_selectorIttEEZZNS1_29radix_sort_onesweep_iterationIS3_Lb0EN6thrust23THRUST_200600_302600_NS6detail15normal_iteratorINS8_10device_ptrItEEEESD_SD_SD_jNS0_19identity_decomposerENS1_16block_id_wrapperIjLb0EEEEE10hipError_tT1_PNSt15iterator_traitsISI_E10value_typeET2_T3_PNSJ_ISO_E10value_typeET4_T5_PST_SU_PNS1_23onesweep_lookback_stateEbbT6_jjT7_P12ihipStream_tbENKUlT_T0_SI_SN_E_clISD_PtSD_S15_EEDaS11_S12_SI_SN_EUlS11_E_NS1_11comp_targetILNS1_3genE6ELNS1_11target_archE950ELNS1_3gpuE13ELNS1_3repE0EEENS1_47radix_sort_onesweep_sort_config_static_selectorELNS0_4arch9wavefront6targetE1EEEvSI_
    .private_segment_fixed_size: 0
    .sgpr_count:     106
    .sgpr_spill_count: 18
    .symbol:         _ZN7rocprim17ROCPRIM_400000_NS6detail17trampoline_kernelINS0_14default_configENS1_35radix_sort_onesweep_config_selectorIttEEZZNS1_29radix_sort_onesweep_iterationIS3_Lb0EN6thrust23THRUST_200600_302600_NS6detail15normal_iteratorINS8_10device_ptrItEEEESD_SD_SD_jNS0_19identity_decomposerENS1_16block_id_wrapperIjLb0EEEEE10hipError_tT1_PNSt15iterator_traitsISI_E10value_typeET2_T3_PNSJ_ISO_E10value_typeET4_T5_PST_SU_PNS1_23onesweep_lookback_stateEbbT6_jjT7_P12ihipStream_tbENKUlT_T0_SI_SN_E_clISD_PtSD_S15_EEDaS11_S12_SI_SN_EUlS11_E_NS1_11comp_targetILNS1_3genE6ELNS1_11target_archE950ELNS1_3gpuE13ELNS1_3repE0EEENS1_47radix_sort_onesweep_sort_config_static_selectorELNS0_4arch9wavefront6targetE1EEEvSI_.kd
    .uniform_work_group_size: 1
    .uses_dynamic_stack: false
    .vgpr_count:     119
    .vgpr_spill_count: 0
    .wavefront_size: 64
  - .agpr_count:     0
    .args:
      - .offset:         0
        .size:           88
        .value_kind:     by_value
    .group_segment_fixed_size: 0
    .kernarg_segment_align: 8
    .kernarg_segment_size: 88
    .language:       OpenCL C
    .language_version:
      - 2
      - 0
    .max_flat_workgroup_size: 512
    .name:           _ZN7rocprim17ROCPRIM_400000_NS6detail17trampoline_kernelINS0_14default_configENS1_35radix_sort_onesweep_config_selectorIttEEZZNS1_29radix_sort_onesweep_iterationIS3_Lb0EN6thrust23THRUST_200600_302600_NS6detail15normal_iteratorINS8_10device_ptrItEEEESD_SD_SD_jNS0_19identity_decomposerENS1_16block_id_wrapperIjLb0EEEEE10hipError_tT1_PNSt15iterator_traitsISI_E10value_typeET2_T3_PNSJ_ISO_E10value_typeET4_T5_PST_SU_PNS1_23onesweep_lookback_stateEbbT6_jjT7_P12ihipStream_tbENKUlT_T0_SI_SN_E_clISD_PtSD_S15_EEDaS11_S12_SI_SN_EUlS11_E_NS1_11comp_targetILNS1_3genE5ELNS1_11target_archE942ELNS1_3gpuE9ELNS1_3repE0EEENS1_47radix_sort_onesweep_sort_config_static_selectorELNS0_4arch9wavefront6targetE1EEEvSI_
    .private_segment_fixed_size: 0
    .sgpr_count:     6
    .sgpr_spill_count: 0
    .symbol:         _ZN7rocprim17ROCPRIM_400000_NS6detail17trampoline_kernelINS0_14default_configENS1_35radix_sort_onesweep_config_selectorIttEEZZNS1_29radix_sort_onesweep_iterationIS3_Lb0EN6thrust23THRUST_200600_302600_NS6detail15normal_iteratorINS8_10device_ptrItEEEESD_SD_SD_jNS0_19identity_decomposerENS1_16block_id_wrapperIjLb0EEEEE10hipError_tT1_PNSt15iterator_traitsISI_E10value_typeET2_T3_PNSJ_ISO_E10value_typeET4_T5_PST_SU_PNS1_23onesweep_lookback_stateEbbT6_jjT7_P12ihipStream_tbENKUlT_T0_SI_SN_E_clISD_PtSD_S15_EEDaS11_S12_SI_SN_EUlS11_E_NS1_11comp_targetILNS1_3genE5ELNS1_11target_archE942ELNS1_3gpuE9ELNS1_3repE0EEENS1_47radix_sort_onesweep_sort_config_static_selectorELNS0_4arch9wavefront6targetE1EEEvSI_.kd
    .uniform_work_group_size: 1
    .uses_dynamic_stack: false
    .vgpr_count:     0
    .vgpr_spill_count: 0
    .wavefront_size: 64
  - .agpr_count:     0
    .args:
      - .offset:         0
        .size:           88
        .value_kind:     by_value
    .group_segment_fixed_size: 0
    .kernarg_segment_align: 8
    .kernarg_segment_size: 88
    .language:       OpenCL C
    .language_version:
      - 2
      - 0
    .max_flat_workgroup_size: 256
    .name:           _ZN7rocprim17ROCPRIM_400000_NS6detail17trampoline_kernelINS0_14default_configENS1_35radix_sort_onesweep_config_selectorIttEEZZNS1_29radix_sort_onesweep_iterationIS3_Lb0EN6thrust23THRUST_200600_302600_NS6detail15normal_iteratorINS8_10device_ptrItEEEESD_SD_SD_jNS0_19identity_decomposerENS1_16block_id_wrapperIjLb0EEEEE10hipError_tT1_PNSt15iterator_traitsISI_E10value_typeET2_T3_PNSJ_ISO_E10value_typeET4_T5_PST_SU_PNS1_23onesweep_lookback_stateEbbT6_jjT7_P12ihipStream_tbENKUlT_T0_SI_SN_E_clISD_PtSD_S15_EEDaS11_S12_SI_SN_EUlS11_E_NS1_11comp_targetILNS1_3genE2ELNS1_11target_archE906ELNS1_3gpuE6ELNS1_3repE0EEENS1_47radix_sort_onesweep_sort_config_static_selectorELNS0_4arch9wavefront6targetE1EEEvSI_
    .private_segment_fixed_size: 0
    .sgpr_count:     6
    .sgpr_spill_count: 0
    .symbol:         _ZN7rocprim17ROCPRIM_400000_NS6detail17trampoline_kernelINS0_14default_configENS1_35radix_sort_onesweep_config_selectorIttEEZZNS1_29radix_sort_onesweep_iterationIS3_Lb0EN6thrust23THRUST_200600_302600_NS6detail15normal_iteratorINS8_10device_ptrItEEEESD_SD_SD_jNS0_19identity_decomposerENS1_16block_id_wrapperIjLb0EEEEE10hipError_tT1_PNSt15iterator_traitsISI_E10value_typeET2_T3_PNSJ_ISO_E10value_typeET4_T5_PST_SU_PNS1_23onesweep_lookback_stateEbbT6_jjT7_P12ihipStream_tbENKUlT_T0_SI_SN_E_clISD_PtSD_S15_EEDaS11_S12_SI_SN_EUlS11_E_NS1_11comp_targetILNS1_3genE2ELNS1_11target_archE906ELNS1_3gpuE6ELNS1_3repE0EEENS1_47radix_sort_onesweep_sort_config_static_selectorELNS0_4arch9wavefront6targetE1EEEvSI_.kd
    .uniform_work_group_size: 1
    .uses_dynamic_stack: false
    .vgpr_count:     0
    .vgpr_spill_count: 0
    .wavefront_size: 64
  - .agpr_count:     0
    .args:
      - .offset:         0
        .size:           88
        .value_kind:     by_value
    .group_segment_fixed_size: 0
    .kernarg_segment_align: 8
    .kernarg_segment_size: 88
    .language:       OpenCL C
    .language_version:
      - 2
      - 0
    .max_flat_workgroup_size: 512
    .name:           _ZN7rocprim17ROCPRIM_400000_NS6detail17trampoline_kernelINS0_14default_configENS1_35radix_sort_onesweep_config_selectorIttEEZZNS1_29radix_sort_onesweep_iterationIS3_Lb0EN6thrust23THRUST_200600_302600_NS6detail15normal_iteratorINS8_10device_ptrItEEEESD_SD_SD_jNS0_19identity_decomposerENS1_16block_id_wrapperIjLb0EEEEE10hipError_tT1_PNSt15iterator_traitsISI_E10value_typeET2_T3_PNSJ_ISO_E10value_typeET4_T5_PST_SU_PNS1_23onesweep_lookback_stateEbbT6_jjT7_P12ihipStream_tbENKUlT_T0_SI_SN_E_clISD_PtSD_S15_EEDaS11_S12_SI_SN_EUlS11_E_NS1_11comp_targetILNS1_3genE4ELNS1_11target_archE910ELNS1_3gpuE8ELNS1_3repE0EEENS1_47radix_sort_onesweep_sort_config_static_selectorELNS0_4arch9wavefront6targetE1EEEvSI_
    .private_segment_fixed_size: 0
    .sgpr_count:     6
    .sgpr_spill_count: 0
    .symbol:         _ZN7rocprim17ROCPRIM_400000_NS6detail17trampoline_kernelINS0_14default_configENS1_35radix_sort_onesweep_config_selectorIttEEZZNS1_29radix_sort_onesweep_iterationIS3_Lb0EN6thrust23THRUST_200600_302600_NS6detail15normal_iteratorINS8_10device_ptrItEEEESD_SD_SD_jNS0_19identity_decomposerENS1_16block_id_wrapperIjLb0EEEEE10hipError_tT1_PNSt15iterator_traitsISI_E10value_typeET2_T3_PNSJ_ISO_E10value_typeET4_T5_PST_SU_PNS1_23onesweep_lookback_stateEbbT6_jjT7_P12ihipStream_tbENKUlT_T0_SI_SN_E_clISD_PtSD_S15_EEDaS11_S12_SI_SN_EUlS11_E_NS1_11comp_targetILNS1_3genE4ELNS1_11target_archE910ELNS1_3gpuE8ELNS1_3repE0EEENS1_47radix_sort_onesweep_sort_config_static_selectorELNS0_4arch9wavefront6targetE1EEEvSI_.kd
    .uniform_work_group_size: 1
    .uses_dynamic_stack: false
    .vgpr_count:     0
    .vgpr_spill_count: 0
    .wavefront_size: 64
  - .agpr_count:     0
    .args:
      - .offset:         0
        .size:           88
        .value_kind:     by_value
    .group_segment_fixed_size: 0
    .kernarg_segment_align: 8
    .kernarg_segment_size: 88
    .language:       OpenCL C
    .language_version:
      - 2
      - 0
    .max_flat_workgroup_size: 256
    .name:           _ZN7rocprim17ROCPRIM_400000_NS6detail17trampoline_kernelINS0_14default_configENS1_35radix_sort_onesweep_config_selectorIttEEZZNS1_29radix_sort_onesweep_iterationIS3_Lb0EN6thrust23THRUST_200600_302600_NS6detail15normal_iteratorINS8_10device_ptrItEEEESD_SD_SD_jNS0_19identity_decomposerENS1_16block_id_wrapperIjLb0EEEEE10hipError_tT1_PNSt15iterator_traitsISI_E10value_typeET2_T3_PNSJ_ISO_E10value_typeET4_T5_PST_SU_PNS1_23onesweep_lookback_stateEbbT6_jjT7_P12ihipStream_tbENKUlT_T0_SI_SN_E_clISD_PtSD_S15_EEDaS11_S12_SI_SN_EUlS11_E_NS1_11comp_targetILNS1_3genE3ELNS1_11target_archE908ELNS1_3gpuE7ELNS1_3repE0EEENS1_47radix_sort_onesweep_sort_config_static_selectorELNS0_4arch9wavefront6targetE1EEEvSI_
    .private_segment_fixed_size: 0
    .sgpr_count:     6
    .sgpr_spill_count: 0
    .symbol:         _ZN7rocprim17ROCPRIM_400000_NS6detail17trampoline_kernelINS0_14default_configENS1_35radix_sort_onesweep_config_selectorIttEEZZNS1_29radix_sort_onesweep_iterationIS3_Lb0EN6thrust23THRUST_200600_302600_NS6detail15normal_iteratorINS8_10device_ptrItEEEESD_SD_SD_jNS0_19identity_decomposerENS1_16block_id_wrapperIjLb0EEEEE10hipError_tT1_PNSt15iterator_traitsISI_E10value_typeET2_T3_PNSJ_ISO_E10value_typeET4_T5_PST_SU_PNS1_23onesweep_lookback_stateEbbT6_jjT7_P12ihipStream_tbENKUlT_T0_SI_SN_E_clISD_PtSD_S15_EEDaS11_S12_SI_SN_EUlS11_E_NS1_11comp_targetILNS1_3genE3ELNS1_11target_archE908ELNS1_3gpuE7ELNS1_3repE0EEENS1_47radix_sort_onesweep_sort_config_static_selectorELNS0_4arch9wavefront6targetE1EEEvSI_.kd
    .uniform_work_group_size: 1
    .uses_dynamic_stack: false
    .vgpr_count:     0
    .vgpr_spill_count: 0
    .wavefront_size: 64
  - .agpr_count:     0
    .args:
      - .offset:         0
        .size:           88
        .value_kind:     by_value
    .group_segment_fixed_size: 0
    .kernarg_segment_align: 8
    .kernarg_segment_size: 88
    .language:       OpenCL C
    .language_version:
      - 2
      - 0
    .max_flat_workgroup_size: 512
    .name:           _ZN7rocprim17ROCPRIM_400000_NS6detail17trampoline_kernelINS0_14default_configENS1_35radix_sort_onesweep_config_selectorIttEEZZNS1_29radix_sort_onesweep_iterationIS3_Lb0EN6thrust23THRUST_200600_302600_NS6detail15normal_iteratorINS8_10device_ptrItEEEESD_SD_SD_jNS0_19identity_decomposerENS1_16block_id_wrapperIjLb0EEEEE10hipError_tT1_PNSt15iterator_traitsISI_E10value_typeET2_T3_PNSJ_ISO_E10value_typeET4_T5_PST_SU_PNS1_23onesweep_lookback_stateEbbT6_jjT7_P12ihipStream_tbENKUlT_T0_SI_SN_E_clISD_PtSD_S15_EEDaS11_S12_SI_SN_EUlS11_E_NS1_11comp_targetILNS1_3genE10ELNS1_11target_archE1201ELNS1_3gpuE5ELNS1_3repE0EEENS1_47radix_sort_onesweep_sort_config_static_selectorELNS0_4arch9wavefront6targetE1EEEvSI_
    .private_segment_fixed_size: 0
    .sgpr_count:     6
    .sgpr_spill_count: 0
    .symbol:         _ZN7rocprim17ROCPRIM_400000_NS6detail17trampoline_kernelINS0_14default_configENS1_35radix_sort_onesweep_config_selectorIttEEZZNS1_29radix_sort_onesweep_iterationIS3_Lb0EN6thrust23THRUST_200600_302600_NS6detail15normal_iteratorINS8_10device_ptrItEEEESD_SD_SD_jNS0_19identity_decomposerENS1_16block_id_wrapperIjLb0EEEEE10hipError_tT1_PNSt15iterator_traitsISI_E10value_typeET2_T3_PNSJ_ISO_E10value_typeET4_T5_PST_SU_PNS1_23onesweep_lookback_stateEbbT6_jjT7_P12ihipStream_tbENKUlT_T0_SI_SN_E_clISD_PtSD_S15_EEDaS11_S12_SI_SN_EUlS11_E_NS1_11comp_targetILNS1_3genE10ELNS1_11target_archE1201ELNS1_3gpuE5ELNS1_3repE0EEENS1_47radix_sort_onesweep_sort_config_static_selectorELNS0_4arch9wavefront6targetE1EEEvSI_.kd
    .uniform_work_group_size: 1
    .uses_dynamic_stack: false
    .vgpr_count:     0
    .vgpr_spill_count: 0
    .wavefront_size: 64
  - .agpr_count:     0
    .args:
      - .offset:         0
        .size:           88
        .value_kind:     by_value
    .group_segment_fixed_size: 0
    .kernarg_segment_align: 8
    .kernarg_segment_size: 88
    .language:       OpenCL C
    .language_version:
      - 2
      - 0
    .max_flat_workgroup_size: 1024
    .name:           _ZN7rocprim17ROCPRIM_400000_NS6detail17trampoline_kernelINS0_14default_configENS1_35radix_sort_onesweep_config_selectorIttEEZZNS1_29radix_sort_onesweep_iterationIS3_Lb0EN6thrust23THRUST_200600_302600_NS6detail15normal_iteratorINS8_10device_ptrItEEEESD_SD_SD_jNS0_19identity_decomposerENS1_16block_id_wrapperIjLb0EEEEE10hipError_tT1_PNSt15iterator_traitsISI_E10value_typeET2_T3_PNSJ_ISO_E10value_typeET4_T5_PST_SU_PNS1_23onesweep_lookback_stateEbbT6_jjT7_P12ihipStream_tbENKUlT_T0_SI_SN_E_clISD_PtSD_S15_EEDaS11_S12_SI_SN_EUlS11_E_NS1_11comp_targetILNS1_3genE9ELNS1_11target_archE1100ELNS1_3gpuE3ELNS1_3repE0EEENS1_47radix_sort_onesweep_sort_config_static_selectorELNS0_4arch9wavefront6targetE1EEEvSI_
    .private_segment_fixed_size: 0
    .sgpr_count:     6
    .sgpr_spill_count: 0
    .symbol:         _ZN7rocprim17ROCPRIM_400000_NS6detail17trampoline_kernelINS0_14default_configENS1_35radix_sort_onesweep_config_selectorIttEEZZNS1_29radix_sort_onesweep_iterationIS3_Lb0EN6thrust23THRUST_200600_302600_NS6detail15normal_iteratorINS8_10device_ptrItEEEESD_SD_SD_jNS0_19identity_decomposerENS1_16block_id_wrapperIjLb0EEEEE10hipError_tT1_PNSt15iterator_traitsISI_E10value_typeET2_T3_PNSJ_ISO_E10value_typeET4_T5_PST_SU_PNS1_23onesweep_lookback_stateEbbT6_jjT7_P12ihipStream_tbENKUlT_T0_SI_SN_E_clISD_PtSD_S15_EEDaS11_S12_SI_SN_EUlS11_E_NS1_11comp_targetILNS1_3genE9ELNS1_11target_archE1100ELNS1_3gpuE3ELNS1_3repE0EEENS1_47radix_sort_onesweep_sort_config_static_selectorELNS0_4arch9wavefront6targetE1EEEvSI_.kd
    .uniform_work_group_size: 1
    .uses_dynamic_stack: false
    .vgpr_count:     0
    .vgpr_spill_count: 0
    .wavefront_size: 64
  - .agpr_count:     0
    .args:
      - .offset:         0
        .size:           88
        .value_kind:     by_value
    .group_segment_fixed_size: 0
    .kernarg_segment_align: 8
    .kernarg_segment_size: 88
    .language:       OpenCL C
    .language_version:
      - 2
      - 0
    .max_flat_workgroup_size: 1024
    .name:           _ZN7rocprim17ROCPRIM_400000_NS6detail17trampoline_kernelINS0_14default_configENS1_35radix_sort_onesweep_config_selectorIttEEZZNS1_29radix_sort_onesweep_iterationIS3_Lb0EN6thrust23THRUST_200600_302600_NS6detail15normal_iteratorINS8_10device_ptrItEEEESD_SD_SD_jNS0_19identity_decomposerENS1_16block_id_wrapperIjLb0EEEEE10hipError_tT1_PNSt15iterator_traitsISI_E10value_typeET2_T3_PNSJ_ISO_E10value_typeET4_T5_PST_SU_PNS1_23onesweep_lookback_stateEbbT6_jjT7_P12ihipStream_tbENKUlT_T0_SI_SN_E_clISD_PtSD_S15_EEDaS11_S12_SI_SN_EUlS11_E_NS1_11comp_targetILNS1_3genE8ELNS1_11target_archE1030ELNS1_3gpuE2ELNS1_3repE0EEENS1_47radix_sort_onesweep_sort_config_static_selectorELNS0_4arch9wavefront6targetE1EEEvSI_
    .private_segment_fixed_size: 0
    .sgpr_count:     6
    .sgpr_spill_count: 0
    .symbol:         _ZN7rocprim17ROCPRIM_400000_NS6detail17trampoline_kernelINS0_14default_configENS1_35radix_sort_onesweep_config_selectorIttEEZZNS1_29radix_sort_onesweep_iterationIS3_Lb0EN6thrust23THRUST_200600_302600_NS6detail15normal_iteratorINS8_10device_ptrItEEEESD_SD_SD_jNS0_19identity_decomposerENS1_16block_id_wrapperIjLb0EEEEE10hipError_tT1_PNSt15iterator_traitsISI_E10value_typeET2_T3_PNSJ_ISO_E10value_typeET4_T5_PST_SU_PNS1_23onesweep_lookback_stateEbbT6_jjT7_P12ihipStream_tbENKUlT_T0_SI_SN_E_clISD_PtSD_S15_EEDaS11_S12_SI_SN_EUlS11_E_NS1_11comp_targetILNS1_3genE8ELNS1_11target_archE1030ELNS1_3gpuE2ELNS1_3repE0EEENS1_47radix_sort_onesweep_sort_config_static_selectorELNS0_4arch9wavefront6targetE1EEEvSI_.kd
    .uniform_work_group_size: 1
    .uses_dynamic_stack: false
    .vgpr_count:     0
    .vgpr_spill_count: 0
    .wavefront_size: 64
  - .agpr_count:     0
    .args:
      - .offset:         0
        .size:           88
        .value_kind:     by_value
    .group_segment_fixed_size: 0
    .kernarg_segment_align: 8
    .kernarg_segment_size: 88
    .language:       OpenCL C
    .language_version:
      - 2
      - 0
    .max_flat_workgroup_size: 256
    .name:           _ZN7rocprim17ROCPRIM_400000_NS6detail17trampoline_kernelINS0_14default_configENS1_35radix_sort_onesweep_config_selectorIttEEZZNS1_29radix_sort_onesweep_iterationIS3_Lb0EN6thrust23THRUST_200600_302600_NS6detail15normal_iteratorINS8_10device_ptrItEEEESD_SD_SD_jNS0_19identity_decomposerENS1_16block_id_wrapperIjLb0EEEEE10hipError_tT1_PNSt15iterator_traitsISI_E10value_typeET2_T3_PNSJ_ISO_E10value_typeET4_T5_PST_SU_PNS1_23onesweep_lookback_stateEbbT6_jjT7_P12ihipStream_tbENKUlT_T0_SI_SN_E_clIPtSD_S15_SD_EEDaS11_S12_SI_SN_EUlS11_E_NS1_11comp_targetILNS1_3genE0ELNS1_11target_archE4294967295ELNS1_3gpuE0ELNS1_3repE0EEENS1_47radix_sort_onesweep_sort_config_static_selectorELNS0_4arch9wavefront6targetE1EEEvSI_
    .private_segment_fixed_size: 0
    .sgpr_count:     6
    .sgpr_spill_count: 0
    .symbol:         _ZN7rocprim17ROCPRIM_400000_NS6detail17trampoline_kernelINS0_14default_configENS1_35radix_sort_onesweep_config_selectorIttEEZZNS1_29radix_sort_onesweep_iterationIS3_Lb0EN6thrust23THRUST_200600_302600_NS6detail15normal_iteratorINS8_10device_ptrItEEEESD_SD_SD_jNS0_19identity_decomposerENS1_16block_id_wrapperIjLb0EEEEE10hipError_tT1_PNSt15iterator_traitsISI_E10value_typeET2_T3_PNSJ_ISO_E10value_typeET4_T5_PST_SU_PNS1_23onesweep_lookback_stateEbbT6_jjT7_P12ihipStream_tbENKUlT_T0_SI_SN_E_clIPtSD_S15_SD_EEDaS11_S12_SI_SN_EUlS11_E_NS1_11comp_targetILNS1_3genE0ELNS1_11target_archE4294967295ELNS1_3gpuE0ELNS1_3repE0EEENS1_47radix_sort_onesweep_sort_config_static_selectorELNS0_4arch9wavefront6targetE1EEEvSI_.kd
    .uniform_work_group_size: 1
    .uses_dynamic_stack: false
    .vgpr_count:     0
    .vgpr_spill_count: 0
    .wavefront_size: 64
  - .agpr_count:     0
    .args:
      - .offset:         0
        .size:           88
        .value_kind:     by_value
      - .offset:         88
        .size:           4
        .value_kind:     hidden_block_count_x
      - .offset:         92
        .size:           4
        .value_kind:     hidden_block_count_y
      - .offset:         96
        .size:           4
        .value_kind:     hidden_block_count_z
      - .offset:         100
        .size:           2
        .value_kind:     hidden_group_size_x
      - .offset:         102
        .size:           2
        .value_kind:     hidden_group_size_y
      - .offset:         104
        .size:           2
        .value_kind:     hidden_group_size_z
      - .offset:         106
        .size:           2
        .value_kind:     hidden_remainder_x
      - .offset:         108
        .size:           2
        .value_kind:     hidden_remainder_y
      - .offset:         110
        .size:           2
        .value_kind:     hidden_remainder_z
      - .offset:         128
        .size:           8
        .value_kind:     hidden_global_offset_x
      - .offset:         136
        .size:           8
        .value_kind:     hidden_global_offset_y
      - .offset:         144
        .size:           8
        .value_kind:     hidden_global_offset_z
      - .offset:         152
        .size:           2
        .value_kind:     hidden_grid_dims
    .group_segment_fixed_size: 22792
    .kernarg_segment_align: 8
    .kernarg_segment_size: 344
    .language:       OpenCL C
    .language_version:
      - 2
      - 0
    .max_flat_workgroup_size: 512
    .name:           _ZN7rocprim17ROCPRIM_400000_NS6detail17trampoline_kernelINS0_14default_configENS1_35radix_sort_onesweep_config_selectorIttEEZZNS1_29radix_sort_onesweep_iterationIS3_Lb0EN6thrust23THRUST_200600_302600_NS6detail15normal_iteratorINS8_10device_ptrItEEEESD_SD_SD_jNS0_19identity_decomposerENS1_16block_id_wrapperIjLb0EEEEE10hipError_tT1_PNSt15iterator_traitsISI_E10value_typeET2_T3_PNSJ_ISO_E10value_typeET4_T5_PST_SU_PNS1_23onesweep_lookback_stateEbbT6_jjT7_P12ihipStream_tbENKUlT_T0_SI_SN_E_clIPtSD_S15_SD_EEDaS11_S12_SI_SN_EUlS11_E_NS1_11comp_targetILNS1_3genE6ELNS1_11target_archE950ELNS1_3gpuE13ELNS1_3repE0EEENS1_47radix_sort_onesweep_sort_config_static_selectorELNS0_4arch9wavefront6targetE1EEEvSI_
    .private_segment_fixed_size: 0
    .sgpr_count:     106
    .sgpr_spill_count: 18
    .symbol:         _ZN7rocprim17ROCPRIM_400000_NS6detail17trampoline_kernelINS0_14default_configENS1_35radix_sort_onesweep_config_selectorIttEEZZNS1_29radix_sort_onesweep_iterationIS3_Lb0EN6thrust23THRUST_200600_302600_NS6detail15normal_iteratorINS8_10device_ptrItEEEESD_SD_SD_jNS0_19identity_decomposerENS1_16block_id_wrapperIjLb0EEEEE10hipError_tT1_PNSt15iterator_traitsISI_E10value_typeET2_T3_PNSJ_ISO_E10value_typeET4_T5_PST_SU_PNS1_23onesweep_lookback_stateEbbT6_jjT7_P12ihipStream_tbENKUlT_T0_SI_SN_E_clIPtSD_S15_SD_EEDaS11_S12_SI_SN_EUlS11_E_NS1_11comp_targetILNS1_3genE6ELNS1_11target_archE950ELNS1_3gpuE13ELNS1_3repE0EEENS1_47radix_sort_onesweep_sort_config_static_selectorELNS0_4arch9wavefront6targetE1EEEvSI_.kd
    .uniform_work_group_size: 1
    .uses_dynamic_stack: false
    .vgpr_count:     119
    .vgpr_spill_count: 0
    .wavefront_size: 64
  - .agpr_count:     0
    .args:
      - .offset:         0
        .size:           88
        .value_kind:     by_value
    .group_segment_fixed_size: 0
    .kernarg_segment_align: 8
    .kernarg_segment_size: 88
    .language:       OpenCL C
    .language_version:
      - 2
      - 0
    .max_flat_workgroup_size: 512
    .name:           _ZN7rocprim17ROCPRIM_400000_NS6detail17trampoline_kernelINS0_14default_configENS1_35radix_sort_onesweep_config_selectorIttEEZZNS1_29radix_sort_onesweep_iterationIS3_Lb0EN6thrust23THRUST_200600_302600_NS6detail15normal_iteratorINS8_10device_ptrItEEEESD_SD_SD_jNS0_19identity_decomposerENS1_16block_id_wrapperIjLb0EEEEE10hipError_tT1_PNSt15iterator_traitsISI_E10value_typeET2_T3_PNSJ_ISO_E10value_typeET4_T5_PST_SU_PNS1_23onesweep_lookback_stateEbbT6_jjT7_P12ihipStream_tbENKUlT_T0_SI_SN_E_clIPtSD_S15_SD_EEDaS11_S12_SI_SN_EUlS11_E_NS1_11comp_targetILNS1_3genE5ELNS1_11target_archE942ELNS1_3gpuE9ELNS1_3repE0EEENS1_47radix_sort_onesweep_sort_config_static_selectorELNS0_4arch9wavefront6targetE1EEEvSI_
    .private_segment_fixed_size: 0
    .sgpr_count:     6
    .sgpr_spill_count: 0
    .symbol:         _ZN7rocprim17ROCPRIM_400000_NS6detail17trampoline_kernelINS0_14default_configENS1_35radix_sort_onesweep_config_selectorIttEEZZNS1_29radix_sort_onesweep_iterationIS3_Lb0EN6thrust23THRUST_200600_302600_NS6detail15normal_iteratorINS8_10device_ptrItEEEESD_SD_SD_jNS0_19identity_decomposerENS1_16block_id_wrapperIjLb0EEEEE10hipError_tT1_PNSt15iterator_traitsISI_E10value_typeET2_T3_PNSJ_ISO_E10value_typeET4_T5_PST_SU_PNS1_23onesweep_lookback_stateEbbT6_jjT7_P12ihipStream_tbENKUlT_T0_SI_SN_E_clIPtSD_S15_SD_EEDaS11_S12_SI_SN_EUlS11_E_NS1_11comp_targetILNS1_3genE5ELNS1_11target_archE942ELNS1_3gpuE9ELNS1_3repE0EEENS1_47radix_sort_onesweep_sort_config_static_selectorELNS0_4arch9wavefront6targetE1EEEvSI_.kd
    .uniform_work_group_size: 1
    .uses_dynamic_stack: false
    .vgpr_count:     0
    .vgpr_spill_count: 0
    .wavefront_size: 64
  - .agpr_count:     0
    .args:
      - .offset:         0
        .size:           88
        .value_kind:     by_value
    .group_segment_fixed_size: 0
    .kernarg_segment_align: 8
    .kernarg_segment_size: 88
    .language:       OpenCL C
    .language_version:
      - 2
      - 0
    .max_flat_workgroup_size: 256
    .name:           _ZN7rocprim17ROCPRIM_400000_NS6detail17trampoline_kernelINS0_14default_configENS1_35radix_sort_onesweep_config_selectorIttEEZZNS1_29radix_sort_onesweep_iterationIS3_Lb0EN6thrust23THRUST_200600_302600_NS6detail15normal_iteratorINS8_10device_ptrItEEEESD_SD_SD_jNS0_19identity_decomposerENS1_16block_id_wrapperIjLb0EEEEE10hipError_tT1_PNSt15iterator_traitsISI_E10value_typeET2_T3_PNSJ_ISO_E10value_typeET4_T5_PST_SU_PNS1_23onesweep_lookback_stateEbbT6_jjT7_P12ihipStream_tbENKUlT_T0_SI_SN_E_clIPtSD_S15_SD_EEDaS11_S12_SI_SN_EUlS11_E_NS1_11comp_targetILNS1_3genE2ELNS1_11target_archE906ELNS1_3gpuE6ELNS1_3repE0EEENS1_47radix_sort_onesweep_sort_config_static_selectorELNS0_4arch9wavefront6targetE1EEEvSI_
    .private_segment_fixed_size: 0
    .sgpr_count:     6
    .sgpr_spill_count: 0
    .symbol:         _ZN7rocprim17ROCPRIM_400000_NS6detail17trampoline_kernelINS0_14default_configENS1_35radix_sort_onesweep_config_selectorIttEEZZNS1_29radix_sort_onesweep_iterationIS3_Lb0EN6thrust23THRUST_200600_302600_NS6detail15normal_iteratorINS8_10device_ptrItEEEESD_SD_SD_jNS0_19identity_decomposerENS1_16block_id_wrapperIjLb0EEEEE10hipError_tT1_PNSt15iterator_traitsISI_E10value_typeET2_T3_PNSJ_ISO_E10value_typeET4_T5_PST_SU_PNS1_23onesweep_lookback_stateEbbT6_jjT7_P12ihipStream_tbENKUlT_T0_SI_SN_E_clIPtSD_S15_SD_EEDaS11_S12_SI_SN_EUlS11_E_NS1_11comp_targetILNS1_3genE2ELNS1_11target_archE906ELNS1_3gpuE6ELNS1_3repE0EEENS1_47radix_sort_onesweep_sort_config_static_selectorELNS0_4arch9wavefront6targetE1EEEvSI_.kd
    .uniform_work_group_size: 1
    .uses_dynamic_stack: false
    .vgpr_count:     0
    .vgpr_spill_count: 0
    .wavefront_size: 64
  - .agpr_count:     0
    .args:
      - .offset:         0
        .size:           88
        .value_kind:     by_value
    .group_segment_fixed_size: 0
    .kernarg_segment_align: 8
    .kernarg_segment_size: 88
    .language:       OpenCL C
    .language_version:
      - 2
      - 0
    .max_flat_workgroup_size: 512
    .name:           _ZN7rocprim17ROCPRIM_400000_NS6detail17trampoline_kernelINS0_14default_configENS1_35radix_sort_onesweep_config_selectorIttEEZZNS1_29radix_sort_onesweep_iterationIS3_Lb0EN6thrust23THRUST_200600_302600_NS6detail15normal_iteratorINS8_10device_ptrItEEEESD_SD_SD_jNS0_19identity_decomposerENS1_16block_id_wrapperIjLb0EEEEE10hipError_tT1_PNSt15iterator_traitsISI_E10value_typeET2_T3_PNSJ_ISO_E10value_typeET4_T5_PST_SU_PNS1_23onesweep_lookback_stateEbbT6_jjT7_P12ihipStream_tbENKUlT_T0_SI_SN_E_clIPtSD_S15_SD_EEDaS11_S12_SI_SN_EUlS11_E_NS1_11comp_targetILNS1_3genE4ELNS1_11target_archE910ELNS1_3gpuE8ELNS1_3repE0EEENS1_47radix_sort_onesweep_sort_config_static_selectorELNS0_4arch9wavefront6targetE1EEEvSI_
    .private_segment_fixed_size: 0
    .sgpr_count:     6
    .sgpr_spill_count: 0
    .symbol:         _ZN7rocprim17ROCPRIM_400000_NS6detail17trampoline_kernelINS0_14default_configENS1_35radix_sort_onesweep_config_selectorIttEEZZNS1_29radix_sort_onesweep_iterationIS3_Lb0EN6thrust23THRUST_200600_302600_NS6detail15normal_iteratorINS8_10device_ptrItEEEESD_SD_SD_jNS0_19identity_decomposerENS1_16block_id_wrapperIjLb0EEEEE10hipError_tT1_PNSt15iterator_traitsISI_E10value_typeET2_T3_PNSJ_ISO_E10value_typeET4_T5_PST_SU_PNS1_23onesweep_lookback_stateEbbT6_jjT7_P12ihipStream_tbENKUlT_T0_SI_SN_E_clIPtSD_S15_SD_EEDaS11_S12_SI_SN_EUlS11_E_NS1_11comp_targetILNS1_3genE4ELNS1_11target_archE910ELNS1_3gpuE8ELNS1_3repE0EEENS1_47radix_sort_onesweep_sort_config_static_selectorELNS0_4arch9wavefront6targetE1EEEvSI_.kd
    .uniform_work_group_size: 1
    .uses_dynamic_stack: false
    .vgpr_count:     0
    .vgpr_spill_count: 0
    .wavefront_size: 64
  - .agpr_count:     0
    .args:
      - .offset:         0
        .size:           88
        .value_kind:     by_value
    .group_segment_fixed_size: 0
    .kernarg_segment_align: 8
    .kernarg_segment_size: 88
    .language:       OpenCL C
    .language_version:
      - 2
      - 0
    .max_flat_workgroup_size: 256
    .name:           _ZN7rocprim17ROCPRIM_400000_NS6detail17trampoline_kernelINS0_14default_configENS1_35radix_sort_onesweep_config_selectorIttEEZZNS1_29radix_sort_onesweep_iterationIS3_Lb0EN6thrust23THRUST_200600_302600_NS6detail15normal_iteratorINS8_10device_ptrItEEEESD_SD_SD_jNS0_19identity_decomposerENS1_16block_id_wrapperIjLb0EEEEE10hipError_tT1_PNSt15iterator_traitsISI_E10value_typeET2_T3_PNSJ_ISO_E10value_typeET4_T5_PST_SU_PNS1_23onesweep_lookback_stateEbbT6_jjT7_P12ihipStream_tbENKUlT_T0_SI_SN_E_clIPtSD_S15_SD_EEDaS11_S12_SI_SN_EUlS11_E_NS1_11comp_targetILNS1_3genE3ELNS1_11target_archE908ELNS1_3gpuE7ELNS1_3repE0EEENS1_47radix_sort_onesweep_sort_config_static_selectorELNS0_4arch9wavefront6targetE1EEEvSI_
    .private_segment_fixed_size: 0
    .sgpr_count:     6
    .sgpr_spill_count: 0
    .symbol:         _ZN7rocprim17ROCPRIM_400000_NS6detail17trampoline_kernelINS0_14default_configENS1_35radix_sort_onesweep_config_selectorIttEEZZNS1_29radix_sort_onesweep_iterationIS3_Lb0EN6thrust23THRUST_200600_302600_NS6detail15normal_iteratorINS8_10device_ptrItEEEESD_SD_SD_jNS0_19identity_decomposerENS1_16block_id_wrapperIjLb0EEEEE10hipError_tT1_PNSt15iterator_traitsISI_E10value_typeET2_T3_PNSJ_ISO_E10value_typeET4_T5_PST_SU_PNS1_23onesweep_lookback_stateEbbT6_jjT7_P12ihipStream_tbENKUlT_T0_SI_SN_E_clIPtSD_S15_SD_EEDaS11_S12_SI_SN_EUlS11_E_NS1_11comp_targetILNS1_3genE3ELNS1_11target_archE908ELNS1_3gpuE7ELNS1_3repE0EEENS1_47radix_sort_onesweep_sort_config_static_selectorELNS0_4arch9wavefront6targetE1EEEvSI_.kd
    .uniform_work_group_size: 1
    .uses_dynamic_stack: false
    .vgpr_count:     0
    .vgpr_spill_count: 0
    .wavefront_size: 64
  - .agpr_count:     0
    .args:
      - .offset:         0
        .size:           88
        .value_kind:     by_value
    .group_segment_fixed_size: 0
    .kernarg_segment_align: 8
    .kernarg_segment_size: 88
    .language:       OpenCL C
    .language_version:
      - 2
      - 0
    .max_flat_workgroup_size: 512
    .name:           _ZN7rocprim17ROCPRIM_400000_NS6detail17trampoline_kernelINS0_14default_configENS1_35radix_sort_onesweep_config_selectorIttEEZZNS1_29radix_sort_onesweep_iterationIS3_Lb0EN6thrust23THRUST_200600_302600_NS6detail15normal_iteratorINS8_10device_ptrItEEEESD_SD_SD_jNS0_19identity_decomposerENS1_16block_id_wrapperIjLb0EEEEE10hipError_tT1_PNSt15iterator_traitsISI_E10value_typeET2_T3_PNSJ_ISO_E10value_typeET4_T5_PST_SU_PNS1_23onesweep_lookback_stateEbbT6_jjT7_P12ihipStream_tbENKUlT_T0_SI_SN_E_clIPtSD_S15_SD_EEDaS11_S12_SI_SN_EUlS11_E_NS1_11comp_targetILNS1_3genE10ELNS1_11target_archE1201ELNS1_3gpuE5ELNS1_3repE0EEENS1_47radix_sort_onesweep_sort_config_static_selectorELNS0_4arch9wavefront6targetE1EEEvSI_
    .private_segment_fixed_size: 0
    .sgpr_count:     6
    .sgpr_spill_count: 0
    .symbol:         _ZN7rocprim17ROCPRIM_400000_NS6detail17trampoline_kernelINS0_14default_configENS1_35radix_sort_onesweep_config_selectorIttEEZZNS1_29radix_sort_onesweep_iterationIS3_Lb0EN6thrust23THRUST_200600_302600_NS6detail15normal_iteratorINS8_10device_ptrItEEEESD_SD_SD_jNS0_19identity_decomposerENS1_16block_id_wrapperIjLb0EEEEE10hipError_tT1_PNSt15iterator_traitsISI_E10value_typeET2_T3_PNSJ_ISO_E10value_typeET4_T5_PST_SU_PNS1_23onesweep_lookback_stateEbbT6_jjT7_P12ihipStream_tbENKUlT_T0_SI_SN_E_clIPtSD_S15_SD_EEDaS11_S12_SI_SN_EUlS11_E_NS1_11comp_targetILNS1_3genE10ELNS1_11target_archE1201ELNS1_3gpuE5ELNS1_3repE0EEENS1_47radix_sort_onesweep_sort_config_static_selectorELNS0_4arch9wavefront6targetE1EEEvSI_.kd
    .uniform_work_group_size: 1
    .uses_dynamic_stack: false
    .vgpr_count:     0
    .vgpr_spill_count: 0
    .wavefront_size: 64
  - .agpr_count:     0
    .args:
      - .offset:         0
        .size:           88
        .value_kind:     by_value
    .group_segment_fixed_size: 0
    .kernarg_segment_align: 8
    .kernarg_segment_size: 88
    .language:       OpenCL C
    .language_version:
      - 2
      - 0
    .max_flat_workgroup_size: 1024
    .name:           _ZN7rocprim17ROCPRIM_400000_NS6detail17trampoline_kernelINS0_14default_configENS1_35radix_sort_onesweep_config_selectorIttEEZZNS1_29radix_sort_onesweep_iterationIS3_Lb0EN6thrust23THRUST_200600_302600_NS6detail15normal_iteratorINS8_10device_ptrItEEEESD_SD_SD_jNS0_19identity_decomposerENS1_16block_id_wrapperIjLb0EEEEE10hipError_tT1_PNSt15iterator_traitsISI_E10value_typeET2_T3_PNSJ_ISO_E10value_typeET4_T5_PST_SU_PNS1_23onesweep_lookback_stateEbbT6_jjT7_P12ihipStream_tbENKUlT_T0_SI_SN_E_clIPtSD_S15_SD_EEDaS11_S12_SI_SN_EUlS11_E_NS1_11comp_targetILNS1_3genE9ELNS1_11target_archE1100ELNS1_3gpuE3ELNS1_3repE0EEENS1_47radix_sort_onesweep_sort_config_static_selectorELNS0_4arch9wavefront6targetE1EEEvSI_
    .private_segment_fixed_size: 0
    .sgpr_count:     6
    .sgpr_spill_count: 0
    .symbol:         _ZN7rocprim17ROCPRIM_400000_NS6detail17trampoline_kernelINS0_14default_configENS1_35radix_sort_onesweep_config_selectorIttEEZZNS1_29radix_sort_onesweep_iterationIS3_Lb0EN6thrust23THRUST_200600_302600_NS6detail15normal_iteratorINS8_10device_ptrItEEEESD_SD_SD_jNS0_19identity_decomposerENS1_16block_id_wrapperIjLb0EEEEE10hipError_tT1_PNSt15iterator_traitsISI_E10value_typeET2_T3_PNSJ_ISO_E10value_typeET4_T5_PST_SU_PNS1_23onesweep_lookback_stateEbbT6_jjT7_P12ihipStream_tbENKUlT_T0_SI_SN_E_clIPtSD_S15_SD_EEDaS11_S12_SI_SN_EUlS11_E_NS1_11comp_targetILNS1_3genE9ELNS1_11target_archE1100ELNS1_3gpuE3ELNS1_3repE0EEENS1_47radix_sort_onesweep_sort_config_static_selectorELNS0_4arch9wavefront6targetE1EEEvSI_.kd
    .uniform_work_group_size: 1
    .uses_dynamic_stack: false
    .vgpr_count:     0
    .vgpr_spill_count: 0
    .wavefront_size: 64
  - .agpr_count:     0
    .args:
      - .offset:         0
        .size:           88
        .value_kind:     by_value
    .group_segment_fixed_size: 0
    .kernarg_segment_align: 8
    .kernarg_segment_size: 88
    .language:       OpenCL C
    .language_version:
      - 2
      - 0
    .max_flat_workgroup_size: 1024
    .name:           _ZN7rocprim17ROCPRIM_400000_NS6detail17trampoline_kernelINS0_14default_configENS1_35radix_sort_onesweep_config_selectorIttEEZZNS1_29radix_sort_onesweep_iterationIS3_Lb0EN6thrust23THRUST_200600_302600_NS6detail15normal_iteratorINS8_10device_ptrItEEEESD_SD_SD_jNS0_19identity_decomposerENS1_16block_id_wrapperIjLb0EEEEE10hipError_tT1_PNSt15iterator_traitsISI_E10value_typeET2_T3_PNSJ_ISO_E10value_typeET4_T5_PST_SU_PNS1_23onesweep_lookback_stateEbbT6_jjT7_P12ihipStream_tbENKUlT_T0_SI_SN_E_clIPtSD_S15_SD_EEDaS11_S12_SI_SN_EUlS11_E_NS1_11comp_targetILNS1_3genE8ELNS1_11target_archE1030ELNS1_3gpuE2ELNS1_3repE0EEENS1_47radix_sort_onesweep_sort_config_static_selectorELNS0_4arch9wavefront6targetE1EEEvSI_
    .private_segment_fixed_size: 0
    .sgpr_count:     6
    .sgpr_spill_count: 0
    .symbol:         _ZN7rocprim17ROCPRIM_400000_NS6detail17trampoline_kernelINS0_14default_configENS1_35radix_sort_onesweep_config_selectorIttEEZZNS1_29radix_sort_onesweep_iterationIS3_Lb0EN6thrust23THRUST_200600_302600_NS6detail15normal_iteratorINS8_10device_ptrItEEEESD_SD_SD_jNS0_19identity_decomposerENS1_16block_id_wrapperIjLb0EEEEE10hipError_tT1_PNSt15iterator_traitsISI_E10value_typeET2_T3_PNSJ_ISO_E10value_typeET4_T5_PST_SU_PNS1_23onesweep_lookback_stateEbbT6_jjT7_P12ihipStream_tbENKUlT_T0_SI_SN_E_clIPtSD_S15_SD_EEDaS11_S12_SI_SN_EUlS11_E_NS1_11comp_targetILNS1_3genE8ELNS1_11target_archE1030ELNS1_3gpuE2ELNS1_3repE0EEENS1_47radix_sort_onesweep_sort_config_static_selectorELNS0_4arch9wavefront6targetE1EEEvSI_.kd
    .uniform_work_group_size: 1
    .uses_dynamic_stack: false
    .vgpr_count:     0
    .vgpr_spill_count: 0
    .wavefront_size: 64
  - .agpr_count:     0
    .args:
      - .offset:         0
        .size:           104
        .value_kind:     by_value
    .group_segment_fixed_size: 64
    .kernarg_segment_align: 8
    .kernarg_segment_size: 104
    .language:       OpenCL C
    .language_version:
      - 2
      - 0
    .max_flat_workgroup_size: 128
    .name:           _ZN7rocprim17ROCPRIM_400000_NS6detail17trampoline_kernelINS0_14default_configENS1_22reduce_config_selectorIN6thrust23THRUST_200600_302600_NS5tupleIblNS6_9null_typeES8_S8_S8_S8_S8_S8_S8_EEEEZNS1_11reduce_implILb1ES3_NS6_12zip_iteratorINS7_INS6_11hip_rocprim26transform_input_iterator_tIbNSD_35transform_pair_of_input_iterators_tIbNS6_6detail15normal_iteratorINS6_10device_ptrIKtEEEESL_NS6_8equal_toItEEEENSG_9not_fun_tINSD_8identityEEEEENSD_19counting_iterator_tIlEES8_S8_S8_S8_S8_S8_S8_S8_EEEEPS9_S9_NSD_9__find_if7functorIS9_EEEE10hipError_tPvRmT1_T2_T3_mT4_P12ihipStream_tbEUlT_E0_NS1_11comp_targetILNS1_3genE0ELNS1_11target_archE4294967295ELNS1_3gpuE0ELNS1_3repE0EEENS1_30default_config_static_selectorELNS0_4arch9wavefront6targetE1EEEvS14_
    .private_segment_fixed_size: 0
    .sgpr_count:     34
    .sgpr_spill_count: 0
    .symbol:         _ZN7rocprim17ROCPRIM_400000_NS6detail17trampoline_kernelINS0_14default_configENS1_22reduce_config_selectorIN6thrust23THRUST_200600_302600_NS5tupleIblNS6_9null_typeES8_S8_S8_S8_S8_S8_S8_EEEEZNS1_11reduce_implILb1ES3_NS6_12zip_iteratorINS7_INS6_11hip_rocprim26transform_input_iterator_tIbNSD_35transform_pair_of_input_iterators_tIbNS6_6detail15normal_iteratorINS6_10device_ptrIKtEEEESL_NS6_8equal_toItEEEENSG_9not_fun_tINSD_8identityEEEEENSD_19counting_iterator_tIlEES8_S8_S8_S8_S8_S8_S8_S8_EEEEPS9_S9_NSD_9__find_if7functorIS9_EEEE10hipError_tPvRmT1_T2_T3_mT4_P12ihipStream_tbEUlT_E0_NS1_11comp_targetILNS1_3genE0ELNS1_11target_archE4294967295ELNS1_3gpuE0ELNS1_3repE0EEENS1_30default_config_static_selectorELNS0_4arch9wavefront6targetE1EEEvS14_.kd
    .uniform_work_group_size: 1
    .uses_dynamic_stack: false
    .vgpr_count:     14
    .vgpr_spill_count: 0
    .wavefront_size: 64
  - .agpr_count:     0
    .args:
      - .offset:         0
        .size:           104
        .value_kind:     by_value
    .group_segment_fixed_size: 0
    .kernarg_segment_align: 8
    .kernarg_segment_size: 104
    .language:       OpenCL C
    .language_version:
      - 2
      - 0
    .max_flat_workgroup_size: 256
    .name:           _ZN7rocprim17ROCPRIM_400000_NS6detail17trampoline_kernelINS0_14default_configENS1_22reduce_config_selectorIN6thrust23THRUST_200600_302600_NS5tupleIblNS6_9null_typeES8_S8_S8_S8_S8_S8_S8_EEEEZNS1_11reduce_implILb1ES3_NS6_12zip_iteratorINS7_INS6_11hip_rocprim26transform_input_iterator_tIbNSD_35transform_pair_of_input_iterators_tIbNS6_6detail15normal_iteratorINS6_10device_ptrIKtEEEESL_NS6_8equal_toItEEEENSG_9not_fun_tINSD_8identityEEEEENSD_19counting_iterator_tIlEES8_S8_S8_S8_S8_S8_S8_S8_EEEEPS9_S9_NSD_9__find_if7functorIS9_EEEE10hipError_tPvRmT1_T2_T3_mT4_P12ihipStream_tbEUlT_E0_NS1_11comp_targetILNS1_3genE5ELNS1_11target_archE942ELNS1_3gpuE9ELNS1_3repE0EEENS1_30default_config_static_selectorELNS0_4arch9wavefront6targetE1EEEvS14_
    .private_segment_fixed_size: 0
    .sgpr_count:     6
    .sgpr_spill_count: 0
    .symbol:         _ZN7rocprim17ROCPRIM_400000_NS6detail17trampoline_kernelINS0_14default_configENS1_22reduce_config_selectorIN6thrust23THRUST_200600_302600_NS5tupleIblNS6_9null_typeES8_S8_S8_S8_S8_S8_S8_EEEEZNS1_11reduce_implILb1ES3_NS6_12zip_iteratorINS7_INS6_11hip_rocprim26transform_input_iterator_tIbNSD_35transform_pair_of_input_iterators_tIbNS6_6detail15normal_iteratorINS6_10device_ptrIKtEEEESL_NS6_8equal_toItEEEENSG_9not_fun_tINSD_8identityEEEEENSD_19counting_iterator_tIlEES8_S8_S8_S8_S8_S8_S8_S8_EEEEPS9_S9_NSD_9__find_if7functorIS9_EEEE10hipError_tPvRmT1_T2_T3_mT4_P12ihipStream_tbEUlT_E0_NS1_11comp_targetILNS1_3genE5ELNS1_11target_archE942ELNS1_3gpuE9ELNS1_3repE0EEENS1_30default_config_static_selectorELNS0_4arch9wavefront6targetE1EEEvS14_.kd
    .uniform_work_group_size: 1
    .uses_dynamic_stack: false
    .vgpr_count:     0
    .vgpr_spill_count: 0
    .wavefront_size: 64
  - .agpr_count:     0
    .args:
      - .offset:         0
        .size:           104
        .value_kind:     by_value
    .group_segment_fixed_size: 0
    .kernarg_segment_align: 8
    .kernarg_segment_size: 104
    .language:       OpenCL C
    .language_version:
      - 2
      - 0
    .max_flat_workgroup_size: 256
    .name:           _ZN7rocprim17ROCPRIM_400000_NS6detail17trampoline_kernelINS0_14default_configENS1_22reduce_config_selectorIN6thrust23THRUST_200600_302600_NS5tupleIblNS6_9null_typeES8_S8_S8_S8_S8_S8_S8_EEEEZNS1_11reduce_implILb1ES3_NS6_12zip_iteratorINS7_INS6_11hip_rocprim26transform_input_iterator_tIbNSD_35transform_pair_of_input_iterators_tIbNS6_6detail15normal_iteratorINS6_10device_ptrIKtEEEESL_NS6_8equal_toItEEEENSG_9not_fun_tINSD_8identityEEEEENSD_19counting_iterator_tIlEES8_S8_S8_S8_S8_S8_S8_S8_EEEEPS9_S9_NSD_9__find_if7functorIS9_EEEE10hipError_tPvRmT1_T2_T3_mT4_P12ihipStream_tbEUlT_E0_NS1_11comp_targetILNS1_3genE4ELNS1_11target_archE910ELNS1_3gpuE8ELNS1_3repE0EEENS1_30default_config_static_selectorELNS0_4arch9wavefront6targetE1EEEvS14_
    .private_segment_fixed_size: 0
    .sgpr_count:     6
    .sgpr_spill_count: 0
    .symbol:         _ZN7rocprim17ROCPRIM_400000_NS6detail17trampoline_kernelINS0_14default_configENS1_22reduce_config_selectorIN6thrust23THRUST_200600_302600_NS5tupleIblNS6_9null_typeES8_S8_S8_S8_S8_S8_S8_EEEEZNS1_11reduce_implILb1ES3_NS6_12zip_iteratorINS7_INS6_11hip_rocprim26transform_input_iterator_tIbNSD_35transform_pair_of_input_iterators_tIbNS6_6detail15normal_iteratorINS6_10device_ptrIKtEEEESL_NS6_8equal_toItEEEENSG_9not_fun_tINSD_8identityEEEEENSD_19counting_iterator_tIlEES8_S8_S8_S8_S8_S8_S8_S8_EEEEPS9_S9_NSD_9__find_if7functorIS9_EEEE10hipError_tPvRmT1_T2_T3_mT4_P12ihipStream_tbEUlT_E0_NS1_11comp_targetILNS1_3genE4ELNS1_11target_archE910ELNS1_3gpuE8ELNS1_3repE0EEENS1_30default_config_static_selectorELNS0_4arch9wavefront6targetE1EEEvS14_.kd
    .uniform_work_group_size: 1
    .uses_dynamic_stack: false
    .vgpr_count:     0
    .vgpr_spill_count: 0
    .wavefront_size: 64
  - .agpr_count:     0
    .args:
      - .offset:         0
        .size:           104
        .value_kind:     by_value
    .group_segment_fixed_size: 0
    .kernarg_segment_align: 8
    .kernarg_segment_size: 104
    .language:       OpenCL C
    .language_version:
      - 2
      - 0
    .max_flat_workgroup_size: 128
    .name:           _ZN7rocprim17ROCPRIM_400000_NS6detail17trampoline_kernelINS0_14default_configENS1_22reduce_config_selectorIN6thrust23THRUST_200600_302600_NS5tupleIblNS6_9null_typeES8_S8_S8_S8_S8_S8_S8_EEEEZNS1_11reduce_implILb1ES3_NS6_12zip_iteratorINS7_INS6_11hip_rocprim26transform_input_iterator_tIbNSD_35transform_pair_of_input_iterators_tIbNS6_6detail15normal_iteratorINS6_10device_ptrIKtEEEESL_NS6_8equal_toItEEEENSG_9not_fun_tINSD_8identityEEEEENSD_19counting_iterator_tIlEES8_S8_S8_S8_S8_S8_S8_S8_EEEEPS9_S9_NSD_9__find_if7functorIS9_EEEE10hipError_tPvRmT1_T2_T3_mT4_P12ihipStream_tbEUlT_E0_NS1_11comp_targetILNS1_3genE3ELNS1_11target_archE908ELNS1_3gpuE7ELNS1_3repE0EEENS1_30default_config_static_selectorELNS0_4arch9wavefront6targetE1EEEvS14_
    .private_segment_fixed_size: 0
    .sgpr_count:     6
    .sgpr_spill_count: 0
    .symbol:         _ZN7rocprim17ROCPRIM_400000_NS6detail17trampoline_kernelINS0_14default_configENS1_22reduce_config_selectorIN6thrust23THRUST_200600_302600_NS5tupleIblNS6_9null_typeES8_S8_S8_S8_S8_S8_S8_EEEEZNS1_11reduce_implILb1ES3_NS6_12zip_iteratorINS7_INS6_11hip_rocprim26transform_input_iterator_tIbNSD_35transform_pair_of_input_iterators_tIbNS6_6detail15normal_iteratorINS6_10device_ptrIKtEEEESL_NS6_8equal_toItEEEENSG_9not_fun_tINSD_8identityEEEEENSD_19counting_iterator_tIlEES8_S8_S8_S8_S8_S8_S8_S8_EEEEPS9_S9_NSD_9__find_if7functorIS9_EEEE10hipError_tPvRmT1_T2_T3_mT4_P12ihipStream_tbEUlT_E0_NS1_11comp_targetILNS1_3genE3ELNS1_11target_archE908ELNS1_3gpuE7ELNS1_3repE0EEENS1_30default_config_static_selectorELNS0_4arch9wavefront6targetE1EEEvS14_.kd
    .uniform_work_group_size: 1
    .uses_dynamic_stack: false
    .vgpr_count:     0
    .vgpr_spill_count: 0
    .wavefront_size: 64
  - .agpr_count:     0
    .args:
      - .offset:         0
        .size:           104
        .value_kind:     by_value
    .group_segment_fixed_size: 0
    .kernarg_segment_align: 8
    .kernarg_segment_size: 104
    .language:       OpenCL C
    .language_version:
      - 2
      - 0
    .max_flat_workgroup_size: 128
    .name:           _ZN7rocprim17ROCPRIM_400000_NS6detail17trampoline_kernelINS0_14default_configENS1_22reduce_config_selectorIN6thrust23THRUST_200600_302600_NS5tupleIblNS6_9null_typeES8_S8_S8_S8_S8_S8_S8_EEEEZNS1_11reduce_implILb1ES3_NS6_12zip_iteratorINS7_INS6_11hip_rocprim26transform_input_iterator_tIbNSD_35transform_pair_of_input_iterators_tIbNS6_6detail15normal_iteratorINS6_10device_ptrIKtEEEESL_NS6_8equal_toItEEEENSG_9not_fun_tINSD_8identityEEEEENSD_19counting_iterator_tIlEES8_S8_S8_S8_S8_S8_S8_S8_EEEEPS9_S9_NSD_9__find_if7functorIS9_EEEE10hipError_tPvRmT1_T2_T3_mT4_P12ihipStream_tbEUlT_E0_NS1_11comp_targetILNS1_3genE2ELNS1_11target_archE906ELNS1_3gpuE6ELNS1_3repE0EEENS1_30default_config_static_selectorELNS0_4arch9wavefront6targetE1EEEvS14_
    .private_segment_fixed_size: 0
    .sgpr_count:     6
    .sgpr_spill_count: 0
    .symbol:         _ZN7rocprim17ROCPRIM_400000_NS6detail17trampoline_kernelINS0_14default_configENS1_22reduce_config_selectorIN6thrust23THRUST_200600_302600_NS5tupleIblNS6_9null_typeES8_S8_S8_S8_S8_S8_S8_EEEEZNS1_11reduce_implILb1ES3_NS6_12zip_iteratorINS7_INS6_11hip_rocprim26transform_input_iterator_tIbNSD_35transform_pair_of_input_iterators_tIbNS6_6detail15normal_iteratorINS6_10device_ptrIKtEEEESL_NS6_8equal_toItEEEENSG_9not_fun_tINSD_8identityEEEEENSD_19counting_iterator_tIlEES8_S8_S8_S8_S8_S8_S8_S8_EEEEPS9_S9_NSD_9__find_if7functorIS9_EEEE10hipError_tPvRmT1_T2_T3_mT4_P12ihipStream_tbEUlT_E0_NS1_11comp_targetILNS1_3genE2ELNS1_11target_archE906ELNS1_3gpuE6ELNS1_3repE0EEENS1_30default_config_static_selectorELNS0_4arch9wavefront6targetE1EEEvS14_.kd
    .uniform_work_group_size: 1
    .uses_dynamic_stack: false
    .vgpr_count:     0
    .vgpr_spill_count: 0
    .wavefront_size: 64
  - .agpr_count:     0
    .args:
      - .offset:         0
        .size:           104
        .value_kind:     by_value
    .group_segment_fixed_size: 0
    .kernarg_segment_align: 8
    .kernarg_segment_size: 104
    .language:       OpenCL C
    .language_version:
      - 2
      - 0
    .max_flat_workgroup_size: 256
    .name:           _ZN7rocprim17ROCPRIM_400000_NS6detail17trampoline_kernelINS0_14default_configENS1_22reduce_config_selectorIN6thrust23THRUST_200600_302600_NS5tupleIblNS6_9null_typeES8_S8_S8_S8_S8_S8_S8_EEEEZNS1_11reduce_implILb1ES3_NS6_12zip_iteratorINS7_INS6_11hip_rocprim26transform_input_iterator_tIbNSD_35transform_pair_of_input_iterators_tIbNS6_6detail15normal_iteratorINS6_10device_ptrIKtEEEESL_NS6_8equal_toItEEEENSG_9not_fun_tINSD_8identityEEEEENSD_19counting_iterator_tIlEES8_S8_S8_S8_S8_S8_S8_S8_EEEEPS9_S9_NSD_9__find_if7functorIS9_EEEE10hipError_tPvRmT1_T2_T3_mT4_P12ihipStream_tbEUlT_E0_NS1_11comp_targetILNS1_3genE10ELNS1_11target_archE1201ELNS1_3gpuE5ELNS1_3repE0EEENS1_30default_config_static_selectorELNS0_4arch9wavefront6targetE1EEEvS14_
    .private_segment_fixed_size: 0
    .sgpr_count:     6
    .sgpr_spill_count: 0
    .symbol:         _ZN7rocprim17ROCPRIM_400000_NS6detail17trampoline_kernelINS0_14default_configENS1_22reduce_config_selectorIN6thrust23THRUST_200600_302600_NS5tupleIblNS6_9null_typeES8_S8_S8_S8_S8_S8_S8_EEEEZNS1_11reduce_implILb1ES3_NS6_12zip_iteratorINS7_INS6_11hip_rocprim26transform_input_iterator_tIbNSD_35transform_pair_of_input_iterators_tIbNS6_6detail15normal_iteratorINS6_10device_ptrIKtEEEESL_NS6_8equal_toItEEEENSG_9not_fun_tINSD_8identityEEEEENSD_19counting_iterator_tIlEES8_S8_S8_S8_S8_S8_S8_S8_EEEEPS9_S9_NSD_9__find_if7functorIS9_EEEE10hipError_tPvRmT1_T2_T3_mT4_P12ihipStream_tbEUlT_E0_NS1_11comp_targetILNS1_3genE10ELNS1_11target_archE1201ELNS1_3gpuE5ELNS1_3repE0EEENS1_30default_config_static_selectorELNS0_4arch9wavefront6targetE1EEEvS14_.kd
    .uniform_work_group_size: 1
    .uses_dynamic_stack: false
    .vgpr_count:     0
    .vgpr_spill_count: 0
    .wavefront_size: 64
  - .agpr_count:     0
    .args:
      - .offset:         0
        .size:           104
        .value_kind:     by_value
    .group_segment_fixed_size: 0
    .kernarg_segment_align: 8
    .kernarg_segment_size: 104
    .language:       OpenCL C
    .language_version:
      - 2
      - 0
    .max_flat_workgroup_size: 256
    .name:           _ZN7rocprim17ROCPRIM_400000_NS6detail17trampoline_kernelINS0_14default_configENS1_22reduce_config_selectorIN6thrust23THRUST_200600_302600_NS5tupleIblNS6_9null_typeES8_S8_S8_S8_S8_S8_S8_EEEEZNS1_11reduce_implILb1ES3_NS6_12zip_iteratorINS7_INS6_11hip_rocprim26transform_input_iterator_tIbNSD_35transform_pair_of_input_iterators_tIbNS6_6detail15normal_iteratorINS6_10device_ptrIKtEEEESL_NS6_8equal_toItEEEENSG_9not_fun_tINSD_8identityEEEEENSD_19counting_iterator_tIlEES8_S8_S8_S8_S8_S8_S8_S8_EEEEPS9_S9_NSD_9__find_if7functorIS9_EEEE10hipError_tPvRmT1_T2_T3_mT4_P12ihipStream_tbEUlT_E0_NS1_11comp_targetILNS1_3genE10ELNS1_11target_archE1200ELNS1_3gpuE4ELNS1_3repE0EEENS1_30default_config_static_selectorELNS0_4arch9wavefront6targetE1EEEvS14_
    .private_segment_fixed_size: 0
    .sgpr_count:     6
    .sgpr_spill_count: 0
    .symbol:         _ZN7rocprim17ROCPRIM_400000_NS6detail17trampoline_kernelINS0_14default_configENS1_22reduce_config_selectorIN6thrust23THRUST_200600_302600_NS5tupleIblNS6_9null_typeES8_S8_S8_S8_S8_S8_S8_EEEEZNS1_11reduce_implILb1ES3_NS6_12zip_iteratorINS7_INS6_11hip_rocprim26transform_input_iterator_tIbNSD_35transform_pair_of_input_iterators_tIbNS6_6detail15normal_iteratorINS6_10device_ptrIKtEEEESL_NS6_8equal_toItEEEENSG_9not_fun_tINSD_8identityEEEEENSD_19counting_iterator_tIlEES8_S8_S8_S8_S8_S8_S8_S8_EEEEPS9_S9_NSD_9__find_if7functorIS9_EEEE10hipError_tPvRmT1_T2_T3_mT4_P12ihipStream_tbEUlT_E0_NS1_11comp_targetILNS1_3genE10ELNS1_11target_archE1200ELNS1_3gpuE4ELNS1_3repE0EEENS1_30default_config_static_selectorELNS0_4arch9wavefront6targetE1EEEvS14_.kd
    .uniform_work_group_size: 1
    .uses_dynamic_stack: false
    .vgpr_count:     0
    .vgpr_spill_count: 0
    .wavefront_size: 64
  - .agpr_count:     0
    .args:
      - .offset:         0
        .size:           104
        .value_kind:     by_value
    .group_segment_fixed_size: 0
    .kernarg_segment_align: 8
    .kernarg_segment_size: 104
    .language:       OpenCL C
    .language_version:
      - 2
      - 0
    .max_flat_workgroup_size: 256
    .name:           _ZN7rocprim17ROCPRIM_400000_NS6detail17trampoline_kernelINS0_14default_configENS1_22reduce_config_selectorIN6thrust23THRUST_200600_302600_NS5tupleIblNS6_9null_typeES8_S8_S8_S8_S8_S8_S8_EEEEZNS1_11reduce_implILb1ES3_NS6_12zip_iteratorINS7_INS6_11hip_rocprim26transform_input_iterator_tIbNSD_35transform_pair_of_input_iterators_tIbNS6_6detail15normal_iteratorINS6_10device_ptrIKtEEEESL_NS6_8equal_toItEEEENSG_9not_fun_tINSD_8identityEEEEENSD_19counting_iterator_tIlEES8_S8_S8_S8_S8_S8_S8_S8_EEEEPS9_S9_NSD_9__find_if7functorIS9_EEEE10hipError_tPvRmT1_T2_T3_mT4_P12ihipStream_tbEUlT_E0_NS1_11comp_targetILNS1_3genE9ELNS1_11target_archE1100ELNS1_3gpuE3ELNS1_3repE0EEENS1_30default_config_static_selectorELNS0_4arch9wavefront6targetE1EEEvS14_
    .private_segment_fixed_size: 0
    .sgpr_count:     6
    .sgpr_spill_count: 0
    .symbol:         _ZN7rocprim17ROCPRIM_400000_NS6detail17trampoline_kernelINS0_14default_configENS1_22reduce_config_selectorIN6thrust23THRUST_200600_302600_NS5tupleIblNS6_9null_typeES8_S8_S8_S8_S8_S8_S8_EEEEZNS1_11reduce_implILb1ES3_NS6_12zip_iteratorINS7_INS6_11hip_rocprim26transform_input_iterator_tIbNSD_35transform_pair_of_input_iterators_tIbNS6_6detail15normal_iteratorINS6_10device_ptrIKtEEEESL_NS6_8equal_toItEEEENSG_9not_fun_tINSD_8identityEEEEENSD_19counting_iterator_tIlEES8_S8_S8_S8_S8_S8_S8_S8_EEEEPS9_S9_NSD_9__find_if7functorIS9_EEEE10hipError_tPvRmT1_T2_T3_mT4_P12ihipStream_tbEUlT_E0_NS1_11comp_targetILNS1_3genE9ELNS1_11target_archE1100ELNS1_3gpuE3ELNS1_3repE0EEENS1_30default_config_static_selectorELNS0_4arch9wavefront6targetE1EEEvS14_.kd
    .uniform_work_group_size: 1
    .uses_dynamic_stack: false
    .vgpr_count:     0
    .vgpr_spill_count: 0
    .wavefront_size: 64
  - .agpr_count:     0
    .args:
      - .offset:         0
        .size:           104
        .value_kind:     by_value
    .group_segment_fixed_size: 0
    .kernarg_segment_align: 8
    .kernarg_segment_size: 104
    .language:       OpenCL C
    .language_version:
      - 2
      - 0
    .max_flat_workgroup_size: 256
    .name:           _ZN7rocprim17ROCPRIM_400000_NS6detail17trampoline_kernelINS0_14default_configENS1_22reduce_config_selectorIN6thrust23THRUST_200600_302600_NS5tupleIblNS6_9null_typeES8_S8_S8_S8_S8_S8_S8_EEEEZNS1_11reduce_implILb1ES3_NS6_12zip_iteratorINS7_INS6_11hip_rocprim26transform_input_iterator_tIbNSD_35transform_pair_of_input_iterators_tIbNS6_6detail15normal_iteratorINS6_10device_ptrIKtEEEESL_NS6_8equal_toItEEEENSG_9not_fun_tINSD_8identityEEEEENSD_19counting_iterator_tIlEES8_S8_S8_S8_S8_S8_S8_S8_EEEEPS9_S9_NSD_9__find_if7functorIS9_EEEE10hipError_tPvRmT1_T2_T3_mT4_P12ihipStream_tbEUlT_E0_NS1_11comp_targetILNS1_3genE8ELNS1_11target_archE1030ELNS1_3gpuE2ELNS1_3repE0EEENS1_30default_config_static_selectorELNS0_4arch9wavefront6targetE1EEEvS14_
    .private_segment_fixed_size: 0
    .sgpr_count:     6
    .sgpr_spill_count: 0
    .symbol:         _ZN7rocprim17ROCPRIM_400000_NS6detail17trampoline_kernelINS0_14default_configENS1_22reduce_config_selectorIN6thrust23THRUST_200600_302600_NS5tupleIblNS6_9null_typeES8_S8_S8_S8_S8_S8_S8_EEEEZNS1_11reduce_implILb1ES3_NS6_12zip_iteratorINS7_INS6_11hip_rocprim26transform_input_iterator_tIbNSD_35transform_pair_of_input_iterators_tIbNS6_6detail15normal_iteratorINS6_10device_ptrIKtEEEESL_NS6_8equal_toItEEEENSG_9not_fun_tINSD_8identityEEEEENSD_19counting_iterator_tIlEES8_S8_S8_S8_S8_S8_S8_S8_EEEEPS9_S9_NSD_9__find_if7functorIS9_EEEE10hipError_tPvRmT1_T2_T3_mT4_P12ihipStream_tbEUlT_E0_NS1_11comp_targetILNS1_3genE8ELNS1_11target_archE1030ELNS1_3gpuE2ELNS1_3repE0EEENS1_30default_config_static_selectorELNS0_4arch9wavefront6targetE1EEEvS14_.kd
    .uniform_work_group_size: 1
    .uses_dynamic_stack: false
    .vgpr_count:     0
    .vgpr_spill_count: 0
    .wavefront_size: 64
  - .agpr_count:     0
    .args:
      - .offset:         0
        .size:           88
        .value_kind:     by_value
    .group_segment_fixed_size: 160
    .kernarg_segment_align: 8
    .kernarg_segment_size: 88
    .language:       OpenCL C
    .language_version:
      - 2
      - 0
    .max_flat_workgroup_size: 128
    .name:           _ZN7rocprim17ROCPRIM_400000_NS6detail17trampoline_kernelINS0_14default_configENS1_22reduce_config_selectorIN6thrust23THRUST_200600_302600_NS5tupleIblNS6_9null_typeES8_S8_S8_S8_S8_S8_S8_EEEEZNS1_11reduce_implILb1ES3_NS6_12zip_iteratorINS7_INS6_11hip_rocprim26transform_input_iterator_tIbNSD_35transform_pair_of_input_iterators_tIbNS6_6detail15normal_iteratorINS6_10device_ptrIKtEEEESL_NS6_8equal_toItEEEENSG_9not_fun_tINSD_8identityEEEEENSD_19counting_iterator_tIlEES8_S8_S8_S8_S8_S8_S8_S8_EEEEPS9_S9_NSD_9__find_if7functorIS9_EEEE10hipError_tPvRmT1_T2_T3_mT4_P12ihipStream_tbEUlT_E1_NS1_11comp_targetILNS1_3genE0ELNS1_11target_archE4294967295ELNS1_3gpuE0ELNS1_3repE0EEENS1_30default_config_static_selectorELNS0_4arch9wavefront6targetE1EEEvS14_
    .private_segment_fixed_size: 0
    .sgpr_count:     48
    .sgpr_spill_count: 0
    .symbol:         _ZN7rocprim17ROCPRIM_400000_NS6detail17trampoline_kernelINS0_14default_configENS1_22reduce_config_selectorIN6thrust23THRUST_200600_302600_NS5tupleIblNS6_9null_typeES8_S8_S8_S8_S8_S8_S8_EEEEZNS1_11reduce_implILb1ES3_NS6_12zip_iteratorINS7_INS6_11hip_rocprim26transform_input_iterator_tIbNSD_35transform_pair_of_input_iterators_tIbNS6_6detail15normal_iteratorINS6_10device_ptrIKtEEEESL_NS6_8equal_toItEEEENSG_9not_fun_tINSD_8identityEEEEENSD_19counting_iterator_tIlEES8_S8_S8_S8_S8_S8_S8_S8_EEEEPS9_S9_NSD_9__find_if7functorIS9_EEEE10hipError_tPvRmT1_T2_T3_mT4_P12ihipStream_tbEUlT_E1_NS1_11comp_targetILNS1_3genE0ELNS1_11target_archE4294967295ELNS1_3gpuE0ELNS1_3repE0EEENS1_30default_config_static_selectorELNS0_4arch9wavefront6targetE1EEEvS14_.kd
    .uniform_work_group_size: 1
    .uses_dynamic_stack: false
    .vgpr_count:     29
    .vgpr_spill_count: 0
    .wavefront_size: 64
  - .agpr_count:     0
    .args:
      - .offset:         0
        .size:           88
        .value_kind:     by_value
    .group_segment_fixed_size: 0
    .kernarg_segment_align: 8
    .kernarg_segment_size: 88
    .language:       OpenCL C
    .language_version:
      - 2
      - 0
    .max_flat_workgroup_size: 256
    .name:           _ZN7rocprim17ROCPRIM_400000_NS6detail17trampoline_kernelINS0_14default_configENS1_22reduce_config_selectorIN6thrust23THRUST_200600_302600_NS5tupleIblNS6_9null_typeES8_S8_S8_S8_S8_S8_S8_EEEEZNS1_11reduce_implILb1ES3_NS6_12zip_iteratorINS7_INS6_11hip_rocprim26transform_input_iterator_tIbNSD_35transform_pair_of_input_iterators_tIbNS6_6detail15normal_iteratorINS6_10device_ptrIKtEEEESL_NS6_8equal_toItEEEENSG_9not_fun_tINSD_8identityEEEEENSD_19counting_iterator_tIlEES8_S8_S8_S8_S8_S8_S8_S8_EEEEPS9_S9_NSD_9__find_if7functorIS9_EEEE10hipError_tPvRmT1_T2_T3_mT4_P12ihipStream_tbEUlT_E1_NS1_11comp_targetILNS1_3genE5ELNS1_11target_archE942ELNS1_3gpuE9ELNS1_3repE0EEENS1_30default_config_static_selectorELNS0_4arch9wavefront6targetE1EEEvS14_
    .private_segment_fixed_size: 0
    .sgpr_count:     6
    .sgpr_spill_count: 0
    .symbol:         _ZN7rocprim17ROCPRIM_400000_NS6detail17trampoline_kernelINS0_14default_configENS1_22reduce_config_selectorIN6thrust23THRUST_200600_302600_NS5tupleIblNS6_9null_typeES8_S8_S8_S8_S8_S8_S8_EEEEZNS1_11reduce_implILb1ES3_NS6_12zip_iteratorINS7_INS6_11hip_rocprim26transform_input_iterator_tIbNSD_35transform_pair_of_input_iterators_tIbNS6_6detail15normal_iteratorINS6_10device_ptrIKtEEEESL_NS6_8equal_toItEEEENSG_9not_fun_tINSD_8identityEEEEENSD_19counting_iterator_tIlEES8_S8_S8_S8_S8_S8_S8_S8_EEEEPS9_S9_NSD_9__find_if7functorIS9_EEEE10hipError_tPvRmT1_T2_T3_mT4_P12ihipStream_tbEUlT_E1_NS1_11comp_targetILNS1_3genE5ELNS1_11target_archE942ELNS1_3gpuE9ELNS1_3repE0EEENS1_30default_config_static_selectorELNS0_4arch9wavefront6targetE1EEEvS14_.kd
    .uniform_work_group_size: 1
    .uses_dynamic_stack: false
    .vgpr_count:     0
    .vgpr_spill_count: 0
    .wavefront_size: 64
  - .agpr_count:     0
    .args:
      - .offset:         0
        .size:           88
        .value_kind:     by_value
    .group_segment_fixed_size: 0
    .kernarg_segment_align: 8
    .kernarg_segment_size: 88
    .language:       OpenCL C
    .language_version:
      - 2
      - 0
    .max_flat_workgroup_size: 256
    .name:           _ZN7rocprim17ROCPRIM_400000_NS6detail17trampoline_kernelINS0_14default_configENS1_22reduce_config_selectorIN6thrust23THRUST_200600_302600_NS5tupleIblNS6_9null_typeES8_S8_S8_S8_S8_S8_S8_EEEEZNS1_11reduce_implILb1ES3_NS6_12zip_iteratorINS7_INS6_11hip_rocprim26transform_input_iterator_tIbNSD_35transform_pair_of_input_iterators_tIbNS6_6detail15normal_iteratorINS6_10device_ptrIKtEEEESL_NS6_8equal_toItEEEENSG_9not_fun_tINSD_8identityEEEEENSD_19counting_iterator_tIlEES8_S8_S8_S8_S8_S8_S8_S8_EEEEPS9_S9_NSD_9__find_if7functorIS9_EEEE10hipError_tPvRmT1_T2_T3_mT4_P12ihipStream_tbEUlT_E1_NS1_11comp_targetILNS1_3genE4ELNS1_11target_archE910ELNS1_3gpuE8ELNS1_3repE0EEENS1_30default_config_static_selectorELNS0_4arch9wavefront6targetE1EEEvS14_
    .private_segment_fixed_size: 0
    .sgpr_count:     6
    .sgpr_spill_count: 0
    .symbol:         _ZN7rocprim17ROCPRIM_400000_NS6detail17trampoline_kernelINS0_14default_configENS1_22reduce_config_selectorIN6thrust23THRUST_200600_302600_NS5tupleIblNS6_9null_typeES8_S8_S8_S8_S8_S8_S8_EEEEZNS1_11reduce_implILb1ES3_NS6_12zip_iteratorINS7_INS6_11hip_rocprim26transform_input_iterator_tIbNSD_35transform_pair_of_input_iterators_tIbNS6_6detail15normal_iteratorINS6_10device_ptrIKtEEEESL_NS6_8equal_toItEEEENSG_9not_fun_tINSD_8identityEEEEENSD_19counting_iterator_tIlEES8_S8_S8_S8_S8_S8_S8_S8_EEEEPS9_S9_NSD_9__find_if7functorIS9_EEEE10hipError_tPvRmT1_T2_T3_mT4_P12ihipStream_tbEUlT_E1_NS1_11comp_targetILNS1_3genE4ELNS1_11target_archE910ELNS1_3gpuE8ELNS1_3repE0EEENS1_30default_config_static_selectorELNS0_4arch9wavefront6targetE1EEEvS14_.kd
    .uniform_work_group_size: 1
    .uses_dynamic_stack: false
    .vgpr_count:     0
    .vgpr_spill_count: 0
    .wavefront_size: 64
  - .agpr_count:     0
    .args:
      - .offset:         0
        .size:           88
        .value_kind:     by_value
    .group_segment_fixed_size: 0
    .kernarg_segment_align: 8
    .kernarg_segment_size: 88
    .language:       OpenCL C
    .language_version:
      - 2
      - 0
    .max_flat_workgroup_size: 128
    .name:           _ZN7rocprim17ROCPRIM_400000_NS6detail17trampoline_kernelINS0_14default_configENS1_22reduce_config_selectorIN6thrust23THRUST_200600_302600_NS5tupleIblNS6_9null_typeES8_S8_S8_S8_S8_S8_S8_EEEEZNS1_11reduce_implILb1ES3_NS6_12zip_iteratorINS7_INS6_11hip_rocprim26transform_input_iterator_tIbNSD_35transform_pair_of_input_iterators_tIbNS6_6detail15normal_iteratorINS6_10device_ptrIKtEEEESL_NS6_8equal_toItEEEENSG_9not_fun_tINSD_8identityEEEEENSD_19counting_iterator_tIlEES8_S8_S8_S8_S8_S8_S8_S8_EEEEPS9_S9_NSD_9__find_if7functorIS9_EEEE10hipError_tPvRmT1_T2_T3_mT4_P12ihipStream_tbEUlT_E1_NS1_11comp_targetILNS1_3genE3ELNS1_11target_archE908ELNS1_3gpuE7ELNS1_3repE0EEENS1_30default_config_static_selectorELNS0_4arch9wavefront6targetE1EEEvS14_
    .private_segment_fixed_size: 0
    .sgpr_count:     6
    .sgpr_spill_count: 0
    .symbol:         _ZN7rocprim17ROCPRIM_400000_NS6detail17trampoline_kernelINS0_14default_configENS1_22reduce_config_selectorIN6thrust23THRUST_200600_302600_NS5tupleIblNS6_9null_typeES8_S8_S8_S8_S8_S8_S8_EEEEZNS1_11reduce_implILb1ES3_NS6_12zip_iteratorINS7_INS6_11hip_rocprim26transform_input_iterator_tIbNSD_35transform_pair_of_input_iterators_tIbNS6_6detail15normal_iteratorINS6_10device_ptrIKtEEEESL_NS6_8equal_toItEEEENSG_9not_fun_tINSD_8identityEEEEENSD_19counting_iterator_tIlEES8_S8_S8_S8_S8_S8_S8_S8_EEEEPS9_S9_NSD_9__find_if7functorIS9_EEEE10hipError_tPvRmT1_T2_T3_mT4_P12ihipStream_tbEUlT_E1_NS1_11comp_targetILNS1_3genE3ELNS1_11target_archE908ELNS1_3gpuE7ELNS1_3repE0EEENS1_30default_config_static_selectorELNS0_4arch9wavefront6targetE1EEEvS14_.kd
    .uniform_work_group_size: 1
    .uses_dynamic_stack: false
    .vgpr_count:     0
    .vgpr_spill_count: 0
    .wavefront_size: 64
  - .agpr_count:     0
    .args:
      - .offset:         0
        .size:           88
        .value_kind:     by_value
    .group_segment_fixed_size: 0
    .kernarg_segment_align: 8
    .kernarg_segment_size: 88
    .language:       OpenCL C
    .language_version:
      - 2
      - 0
    .max_flat_workgroup_size: 128
    .name:           _ZN7rocprim17ROCPRIM_400000_NS6detail17trampoline_kernelINS0_14default_configENS1_22reduce_config_selectorIN6thrust23THRUST_200600_302600_NS5tupleIblNS6_9null_typeES8_S8_S8_S8_S8_S8_S8_EEEEZNS1_11reduce_implILb1ES3_NS6_12zip_iteratorINS7_INS6_11hip_rocprim26transform_input_iterator_tIbNSD_35transform_pair_of_input_iterators_tIbNS6_6detail15normal_iteratorINS6_10device_ptrIKtEEEESL_NS6_8equal_toItEEEENSG_9not_fun_tINSD_8identityEEEEENSD_19counting_iterator_tIlEES8_S8_S8_S8_S8_S8_S8_S8_EEEEPS9_S9_NSD_9__find_if7functorIS9_EEEE10hipError_tPvRmT1_T2_T3_mT4_P12ihipStream_tbEUlT_E1_NS1_11comp_targetILNS1_3genE2ELNS1_11target_archE906ELNS1_3gpuE6ELNS1_3repE0EEENS1_30default_config_static_selectorELNS0_4arch9wavefront6targetE1EEEvS14_
    .private_segment_fixed_size: 0
    .sgpr_count:     6
    .sgpr_spill_count: 0
    .symbol:         _ZN7rocprim17ROCPRIM_400000_NS6detail17trampoline_kernelINS0_14default_configENS1_22reduce_config_selectorIN6thrust23THRUST_200600_302600_NS5tupleIblNS6_9null_typeES8_S8_S8_S8_S8_S8_S8_EEEEZNS1_11reduce_implILb1ES3_NS6_12zip_iteratorINS7_INS6_11hip_rocprim26transform_input_iterator_tIbNSD_35transform_pair_of_input_iterators_tIbNS6_6detail15normal_iteratorINS6_10device_ptrIKtEEEESL_NS6_8equal_toItEEEENSG_9not_fun_tINSD_8identityEEEEENSD_19counting_iterator_tIlEES8_S8_S8_S8_S8_S8_S8_S8_EEEEPS9_S9_NSD_9__find_if7functorIS9_EEEE10hipError_tPvRmT1_T2_T3_mT4_P12ihipStream_tbEUlT_E1_NS1_11comp_targetILNS1_3genE2ELNS1_11target_archE906ELNS1_3gpuE6ELNS1_3repE0EEENS1_30default_config_static_selectorELNS0_4arch9wavefront6targetE1EEEvS14_.kd
    .uniform_work_group_size: 1
    .uses_dynamic_stack: false
    .vgpr_count:     0
    .vgpr_spill_count: 0
    .wavefront_size: 64
  - .agpr_count:     0
    .args:
      - .offset:         0
        .size:           88
        .value_kind:     by_value
    .group_segment_fixed_size: 0
    .kernarg_segment_align: 8
    .kernarg_segment_size: 88
    .language:       OpenCL C
    .language_version:
      - 2
      - 0
    .max_flat_workgroup_size: 256
    .name:           _ZN7rocprim17ROCPRIM_400000_NS6detail17trampoline_kernelINS0_14default_configENS1_22reduce_config_selectorIN6thrust23THRUST_200600_302600_NS5tupleIblNS6_9null_typeES8_S8_S8_S8_S8_S8_S8_EEEEZNS1_11reduce_implILb1ES3_NS6_12zip_iteratorINS7_INS6_11hip_rocprim26transform_input_iterator_tIbNSD_35transform_pair_of_input_iterators_tIbNS6_6detail15normal_iteratorINS6_10device_ptrIKtEEEESL_NS6_8equal_toItEEEENSG_9not_fun_tINSD_8identityEEEEENSD_19counting_iterator_tIlEES8_S8_S8_S8_S8_S8_S8_S8_EEEEPS9_S9_NSD_9__find_if7functorIS9_EEEE10hipError_tPvRmT1_T2_T3_mT4_P12ihipStream_tbEUlT_E1_NS1_11comp_targetILNS1_3genE10ELNS1_11target_archE1201ELNS1_3gpuE5ELNS1_3repE0EEENS1_30default_config_static_selectorELNS0_4arch9wavefront6targetE1EEEvS14_
    .private_segment_fixed_size: 0
    .sgpr_count:     6
    .sgpr_spill_count: 0
    .symbol:         _ZN7rocprim17ROCPRIM_400000_NS6detail17trampoline_kernelINS0_14default_configENS1_22reduce_config_selectorIN6thrust23THRUST_200600_302600_NS5tupleIblNS6_9null_typeES8_S8_S8_S8_S8_S8_S8_EEEEZNS1_11reduce_implILb1ES3_NS6_12zip_iteratorINS7_INS6_11hip_rocprim26transform_input_iterator_tIbNSD_35transform_pair_of_input_iterators_tIbNS6_6detail15normal_iteratorINS6_10device_ptrIKtEEEESL_NS6_8equal_toItEEEENSG_9not_fun_tINSD_8identityEEEEENSD_19counting_iterator_tIlEES8_S8_S8_S8_S8_S8_S8_S8_EEEEPS9_S9_NSD_9__find_if7functorIS9_EEEE10hipError_tPvRmT1_T2_T3_mT4_P12ihipStream_tbEUlT_E1_NS1_11comp_targetILNS1_3genE10ELNS1_11target_archE1201ELNS1_3gpuE5ELNS1_3repE0EEENS1_30default_config_static_selectorELNS0_4arch9wavefront6targetE1EEEvS14_.kd
    .uniform_work_group_size: 1
    .uses_dynamic_stack: false
    .vgpr_count:     0
    .vgpr_spill_count: 0
    .wavefront_size: 64
  - .agpr_count:     0
    .args:
      - .offset:         0
        .size:           88
        .value_kind:     by_value
    .group_segment_fixed_size: 0
    .kernarg_segment_align: 8
    .kernarg_segment_size: 88
    .language:       OpenCL C
    .language_version:
      - 2
      - 0
    .max_flat_workgroup_size: 256
    .name:           _ZN7rocprim17ROCPRIM_400000_NS6detail17trampoline_kernelINS0_14default_configENS1_22reduce_config_selectorIN6thrust23THRUST_200600_302600_NS5tupleIblNS6_9null_typeES8_S8_S8_S8_S8_S8_S8_EEEEZNS1_11reduce_implILb1ES3_NS6_12zip_iteratorINS7_INS6_11hip_rocprim26transform_input_iterator_tIbNSD_35transform_pair_of_input_iterators_tIbNS6_6detail15normal_iteratorINS6_10device_ptrIKtEEEESL_NS6_8equal_toItEEEENSG_9not_fun_tINSD_8identityEEEEENSD_19counting_iterator_tIlEES8_S8_S8_S8_S8_S8_S8_S8_EEEEPS9_S9_NSD_9__find_if7functorIS9_EEEE10hipError_tPvRmT1_T2_T3_mT4_P12ihipStream_tbEUlT_E1_NS1_11comp_targetILNS1_3genE10ELNS1_11target_archE1200ELNS1_3gpuE4ELNS1_3repE0EEENS1_30default_config_static_selectorELNS0_4arch9wavefront6targetE1EEEvS14_
    .private_segment_fixed_size: 0
    .sgpr_count:     6
    .sgpr_spill_count: 0
    .symbol:         _ZN7rocprim17ROCPRIM_400000_NS6detail17trampoline_kernelINS0_14default_configENS1_22reduce_config_selectorIN6thrust23THRUST_200600_302600_NS5tupleIblNS6_9null_typeES8_S8_S8_S8_S8_S8_S8_EEEEZNS1_11reduce_implILb1ES3_NS6_12zip_iteratorINS7_INS6_11hip_rocprim26transform_input_iterator_tIbNSD_35transform_pair_of_input_iterators_tIbNS6_6detail15normal_iteratorINS6_10device_ptrIKtEEEESL_NS6_8equal_toItEEEENSG_9not_fun_tINSD_8identityEEEEENSD_19counting_iterator_tIlEES8_S8_S8_S8_S8_S8_S8_S8_EEEEPS9_S9_NSD_9__find_if7functorIS9_EEEE10hipError_tPvRmT1_T2_T3_mT4_P12ihipStream_tbEUlT_E1_NS1_11comp_targetILNS1_3genE10ELNS1_11target_archE1200ELNS1_3gpuE4ELNS1_3repE0EEENS1_30default_config_static_selectorELNS0_4arch9wavefront6targetE1EEEvS14_.kd
    .uniform_work_group_size: 1
    .uses_dynamic_stack: false
    .vgpr_count:     0
    .vgpr_spill_count: 0
    .wavefront_size: 64
  - .agpr_count:     0
    .args:
      - .offset:         0
        .size:           88
        .value_kind:     by_value
    .group_segment_fixed_size: 0
    .kernarg_segment_align: 8
    .kernarg_segment_size: 88
    .language:       OpenCL C
    .language_version:
      - 2
      - 0
    .max_flat_workgroup_size: 256
    .name:           _ZN7rocprim17ROCPRIM_400000_NS6detail17trampoline_kernelINS0_14default_configENS1_22reduce_config_selectorIN6thrust23THRUST_200600_302600_NS5tupleIblNS6_9null_typeES8_S8_S8_S8_S8_S8_S8_EEEEZNS1_11reduce_implILb1ES3_NS6_12zip_iteratorINS7_INS6_11hip_rocprim26transform_input_iterator_tIbNSD_35transform_pair_of_input_iterators_tIbNS6_6detail15normal_iteratorINS6_10device_ptrIKtEEEESL_NS6_8equal_toItEEEENSG_9not_fun_tINSD_8identityEEEEENSD_19counting_iterator_tIlEES8_S8_S8_S8_S8_S8_S8_S8_EEEEPS9_S9_NSD_9__find_if7functorIS9_EEEE10hipError_tPvRmT1_T2_T3_mT4_P12ihipStream_tbEUlT_E1_NS1_11comp_targetILNS1_3genE9ELNS1_11target_archE1100ELNS1_3gpuE3ELNS1_3repE0EEENS1_30default_config_static_selectorELNS0_4arch9wavefront6targetE1EEEvS14_
    .private_segment_fixed_size: 0
    .sgpr_count:     6
    .sgpr_spill_count: 0
    .symbol:         _ZN7rocprim17ROCPRIM_400000_NS6detail17trampoline_kernelINS0_14default_configENS1_22reduce_config_selectorIN6thrust23THRUST_200600_302600_NS5tupleIblNS6_9null_typeES8_S8_S8_S8_S8_S8_S8_EEEEZNS1_11reduce_implILb1ES3_NS6_12zip_iteratorINS7_INS6_11hip_rocprim26transform_input_iterator_tIbNSD_35transform_pair_of_input_iterators_tIbNS6_6detail15normal_iteratorINS6_10device_ptrIKtEEEESL_NS6_8equal_toItEEEENSG_9not_fun_tINSD_8identityEEEEENSD_19counting_iterator_tIlEES8_S8_S8_S8_S8_S8_S8_S8_EEEEPS9_S9_NSD_9__find_if7functorIS9_EEEE10hipError_tPvRmT1_T2_T3_mT4_P12ihipStream_tbEUlT_E1_NS1_11comp_targetILNS1_3genE9ELNS1_11target_archE1100ELNS1_3gpuE3ELNS1_3repE0EEENS1_30default_config_static_selectorELNS0_4arch9wavefront6targetE1EEEvS14_.kd
    .uniform_work_group_size: 1
    .uses_dynamic_stack: false
    .vgpr_count:     0
    .vgpr_spill_count: 0
    .wavefront_size: 64
  - .agpr_count:     0
    .args:
      - .offset:         0
        .size:           88
        .value_kind:     by_value
    .group_segment_fixed_size: 0
    .kernarg_segment_align: 8
    .kernarg_segment_size: 88
    .language:       OpenCL C
    .language_version:
      - 2
      - 0
    .max_flat_workgroup_size: 256
    .name:           _ZN7rocprim17ROCPRIM_400000_NS6detail17trampoline_kernelINS0_14default_configENS1_22reduce_config_selectorIN6thrust23THRUST_200600_302600_NS5tupleIblNS6_9null_typeES8_S8_S8_S8_S8_S8_S8_EEEEZNS1_11reduce_implILb1ES3_NS6_12zip_iteratorINS7_INS6_11hip_rocprim26transform_input_iterator_tIbNSD_35transform_pair_of_input_iterators_tIbNS6_6detail15normal_iteratorINS6_10device_ptrIKtEEEESL_NS6_8equal_toItEEEENSG_9not_fun_tINSD_8identityEEEEENSD_19counting_iterator_tIlEES8_S8_S8_S8_S8_S8_S8_S8_EEEEPS9_S9_NSD_9__find_if7functorIS9_EEEE10hipError_tPvRmT1_T2_T3_mT4_P12ihipStream_tbEUlT_E1_NS1_11comp_targetILNS1_3genE8ELNS1_11target_archE1030ELNS1_3gpuE2ELNS1_3repE0EEENS1_30default_config_static_selectorELNS0_4arch9wavefront6targetE1EEEvS14_
    .private_segment_fixed_size: 0
    .sgpr_count:     6
    .sgpr_spill_count: 0
    .symbol:         _ZN7rocprim17ROCPRIM_400000_NS6detail17trampoline_kernelINS0_14default_configENS1_22reduce_config_selectorIN6thrust23THRUST_200600_302600_NS5tupleIblNS6_9null_typeES8_S8_S8_S8_S8_S8_S8_EEEEZNS1_11reduce_implILb1ES3_NS6_12zip_iteratorINS7_INS6_11hip_rocprim26transform_input_iterator_tIbNSD_35transform_pair_of_input_iterators_tIbNS6_6detail15normal_iteratorINS6_10device_ptrIKtEEEESL_NS6_8equal_toItEEEENSG_9not_fun_tINSD_8identityEEEEENSD_19counting_iterator_tIlEES8_S8_S8_S8_S8_S8_S8_S8_EEEEPS9_S9_NSD_9__find_if7functorIS9_EEEE10hipError_tPvRmT1_T2_T3_mT4_P12ihipStream_tbEUlT_E1_NS1_11comp_targetILNS1_3genE8ELNS1_11target_archE1030ELNS1_3gpuE2ELNS1_3repE0EEENS1_30default_config_static_selectorELNS0_4arch9wavefront6targetE1EEEvS14_.kd
    .uniform_work_group_size: 1
    .uses_dynamic_stack: false
    .vgpr_count:     0
    .vgpr_spill_count: 0
    .wavefront_size: 64
  - .agpr_count:     0
    .args:
      - .offset:         0
        .size:           16
        .value_kind:     by_value
      - .offset:         16
        .size:           8
        .value_kind:     by_value
      - .offset:         24
        .size:           8
        .value_kind:     by_value
    .group_segment_fixed_size: 0
    .kernarg_segment_align: 8
    .kernarg_segment_size: 32
    .language:       OpenCL C
    .language_version:
      - 2
      - 0
    .max_flat_workgroup_size: 256
    .name:           _ZN6thrust23THRUST_200600_302600_NS11hip_rocprim14__parallel_for6kernelILj256ENS1_20__uninitialized_fill7functorINS0_10device_ptrIxEExEEmLj1EEEvT0_T1_SA_
    .private_segment_fixed_size: 0
    .sgpr_count:     18
    .sgpr_spill_count: 0
    .symbol:         _ZN6thrust23THRUST_200600_302600_NS11hip_rocprim14__parallel_for6kernelILj256ENS1_20__uninitialized_fill7functorINS0_10device_ptrIxEExEEmLj1EEEvT0_T1_SA_.kd
    .uniform_work_group_size: 1
    .uses_dynamic_stack: false
    .vgpr_count:     6
    .vgpr_spill_count: 0
    .wavefront_size: 64
  - .agpr_count:     0
    .args:
      - .offset:         0
        .size:           48
        .value_kind:     by_value
      - .offset:         48
        .size:           4
        .value_kind:     hidden_block_count_x
      - .offset:         52
        .size:           4
        .value_kind:     hidden_block_count_y
      - .offset:         56
        .size:           4
        .value_kind:     hidden_block_count_z
      - .offset:         60
        .size:           2
        .value_kind:     hidden_group_size_x
      - .offset:         62
        .size:           2
        .value_kind:     hidden_group_size_y
      - .offset:         64
        .size:           2
        .value_kind:     hidden_group_size_z
      - .offset:         66
        .size:           2
        .value_kind:     hidden_remainder_x
      - .offset:         68
        .size:           2
        .value_kind:     hidden_remainder_y
      - .offset:         70
        .size:           2
        .value_kind:     hidden_remainder_z
      - .offset:         88
        .size:           8
        .value_kind:     hidden_global_offset_x
      - .offset:         96
        .size:           8
        .value_kind:     hidden_global_offset_y
      - .offset:         104
        .size:           8
        .value_kind:     hidden_global_offset_z
      - .offset:         112
        .size:           2
        .value_kind:     hidden_grid_dims
    .group_segment_fixed_size: 8192
    .kernarg_segment_align: 8
    .kernarg_segment_size: 304
    .language:       OpenCL C
    .language_version:
      - 2
      - 0
    .max_flat_workgroup_size: 256
    .name:           _ZN7rocprim17ROCPRIM_400000_NS6detail17trampoline_kernelINS0_13kernel_configILj256ELj4ELj4294967295EEENS1_37radix_sort_block_sort_config_selectorIxxEEZNS1_21radix_sort_block_sortIS4_Lb0EN6thrust23THRUST_200600_302600_NS6detail15normal_iteratorINS9_10device_ptrIxEEEESE_SE_SE_NS0_19identity_decomposerEEE10hipError_tT1_T2_T3_T4_jRjT5_jjP12ihipStream_tbEUlT_E_NS1_11comp_targetILNS1_3genE0ELNS1_11target_archE4294967295ELNS1_3gpuE0ELNS1_3repE0EEENS1_44radix_sort_block_sort_config_static_selectorELNS0_4arch9wavefront6targetE1EEEvSH_
    .private_segment_fixed_size: 0
    .sgpr_count:     52
    .sgpr_spill_count: 0
    .symbol:         _ZN7rocprim17ROCPRIM_400000_NS6detail17trampoline_kernelINS0_13kernel_configILj256ELj4ELj4294967295EEENS1_37radix_sort_block_sort_config_selectorIxxEEZNS1_21radix_sort_block_sortIS4_Lb0EN6thrust23THRUST_200600_302600_NS6detail15normal_iteratorINS9_10device_ptrIxEEEESE_SE_SE_NS0_19identity_decomposerEEE10hipError_tT1_T2_T3_T4_jRjT5_jjP12ihipStream_tbEUlT_E_NS1_11comp_targetILNS1_3genE0ELNS1_11target_archE4294967295ELNS1_3gpuE0ELNS1_3repE0EEENS1_44radix_sort_block_sort_config_static_selectorELNS0_4arch9wavefront6targetE1EEEvSH_.kd
    .uniform_work_group_size: 1
    .uses_dynamic_stack: false
    .vgpr_count:     50
    .vgpr_spill_count: 0
    .wavefront_size: 64
  - .agpr_count:     0
    .args:
      - .offset:         0
        .size:           48
        .value_kind:     by_value
    .group_segment_fixed_size: 0
    .kernarg_segment_align: 8
    .kernarg_segment_size: 48
    .language:       OpenCL C
    .language_version:
      - 2
      - 0
    .max_flat_workgroup_size: 256
    .name:           _ZN7rocprim17ROCPRIM_400000_NS6detail17trampoline_kernelINS0_13kernel_configILj256ELj4ELj4294967295EEENS1_37radix_sort_block_sort_config_selectorIxxEEZNS1_21radix_sort_block_sortIS4_Lb0EN6thrust23THRUST_200600_302600_NS6detail15normal_iteratorINS9_10device_ptrIxEEEESE_SE_SE_NS0_19identity_decomposerEEE10hipError_tT1_T2_T3_T4_jRjT5_jjP12ihipStream_tbEUlT_E_NS1_11comp_targetILNS1_3genE5ELNS1_11target_archE942ELNS1_3gpuE9ELNS1_3repE0EEENS1_44radix_sort_block_sort_config_static_selectorELNS0_4arch9wavefront6targetE1EEEvSH_
    .private_segment_fixed_size: 0
    .sgpr_count:     6
    .sgpr_spill_count: 0
    .symbol:         _ZN7rocprim17ROCPRIM_400000_NS6detail17trampoline_kernelINS0_13kernel_configILj256ELj4ELj4294967295EEENS1_37radix_sort_block_sort_config_selectorIxxEEZNS1_21radix_sort_block_sortIS4_Lb0EN6thrust23THRUST_200600_302600_NS6detail15normal_iteratorINS9_10device_ptrIxEEEESE_SE_SE_NS0_19identity_decomposerEEE10hipError_tT1_T2_T3_T4_jRjT5_jjP12ihipStream_tbEUlT_E_NS1_11comp_targetILNS1_3genE5ELNS1_11target_archE942ELNS1_3gpuE9ELNS1_3repE0EEENS1_44radix_sort_block_sort_config_static_selectorELNS0_4arch9wavefront6targetE1EEEvSH_.kd
    .uniform_work_group_size: 1
    .uses_dynamic_stack: false
    .vgpr_count:     0
    .vgpr_spill_count: 0
    .wavefront_size: 64
  - .agpr_count:     0
    .args:
      - .offset:         0
        .size:           48
        .value_kind:     by_value
    .group_segment_fixed_size: 0
    .kernarg_segment_align: 8
    .kernarg_segment_size: 48
    .language:       OpenCL C
    .language_version:
      - 2
      - 0
    .max_flat_workgroup_size: 256
    .name:           _ZN7rocprim17ROCPRIM_400000_NS6detail17trampoline_kernelINS0_13kernel_configILj256ELj4ELj4294967295EEENS1_37radix_sort_block_sort_config_selectorIxxEEZNS1_21radix_sort_block_sortIS4_Lb0EN6thrust23THRUST_200600_302600_NS6detail15normal_iteratorINS9_10device_ptrIxEEEESE_SE_SE_NS0_19identity_decomposerEEE10hipError_tT1_T2_T3_T4_jRjT5_jjP12ihipStream_tbEUlT_E_NS1_11comp_targetILNS1_3genE4ELNS1_11target_archE910ELNS1_3gpuE8ELNS1_3repE0EEENS1_44radix_sort_block_sort_config_static_selectorELNS0_4arch9wavefront6targetE1EEEvSH_
    .private_segment_fixed_size: 0
    .sgpr_count:     6
    .sgpr_spill_count: 0
    .symbol:         _ZN7rocprim17ROCPRIM_400000_NS6detail17trampoline_kernelINS0_13kernel_configILj256ELj4ELj4294967295EEENS1_37radix_sort_block_sort_config_selectorIxxEEZNS1_21radix_sort_block_sortIS4_Lb0EN6thrust23THRUST_200600_302600_NS6detail15normal_iteratorINS9_10device_ptrIxEEEESE_SE_SE_NS0_19identity_decomposerEEE10hipError_tT1_T2_T3_T4_jRjT5_jjP12ihipStream_tbEUlT_E_NS1_11comp_targetILNS1_3genE4ELNS1_11target_archE910ELNS1_3gpuE8ELNS1_3repE0EEENS1_44radix_sort_block_sort_config_static_selectorELNS0_4arch9wavefront6targetE1EEEvSH_.kd
    .uniform_work_group_size: 1
    .uses_dynamic_stack: false
    .vgpr_count:     0
    .vgpr_spill_count: 0
    .wavefront_size: 64
  - .agpr_count:     0
    .args:
      - .offset:         0
        .size:           48
        .value_kind:     by_value
    .group_segment_fixed_size: 0
    .kernarg_segment_align: 8
    .kernarg_segment_size: 48
    .language:       OpenCL C
    .language_version:
      - 2
      - 0
    .max_flat_workgroup_size: 256
    .name:           _ZN7rocprim17ROCPRIM_400000_NS6detail17trampoline_kernelINS0_13kernel_configILj256ELj4ELj4294967295EEENS1_37radix_sort_block_sort_config_selectorIxxEEZNS1_21radix_sort_block_sortIS4_Lb0EN6thrust23THRUST_200600_302600_NS6detail15normal_iteratorINS9_10device_ptrIxEEEESE_SE_SE_NS0_19identity_decomposerEEE10hipError_tT1_T2_T3_T4_jRjT5_jjP12ihipStream_tbEUlT_E_NS1_11comp_targetILNS1_3genE3ELNS1_11target_archE908ELNS1_3gpuE7ELNS1_3repE0EEENS1_44radix_sort_block_sort_config_static_selectorELNS0_4arch9wavefront6targetE1EEEvSH_
    .private_segment_fixed_size: 0
    .sgpr_count:     6
    .sgpr_spill_count: 0
    .symbol:         _ZN7rocprim17ROCPRIM_400000_NS6detail17trampoline_kernelINS0_13kernel_configILj256ELj4ELj4294967295EEENS1_37radix_sort_block_sort_config_selectorIxxEEZNS1_21radix_sort_block_sortIS4_Lb0EN6thrust23THRUST_200600_302600_NS6detail15normal_iteratorINS9_10device_ptrIxEEEESE_SE_SE_NS0_19identity_decomposerEEE10hipError_tT1_T2_T3_T4_jRjT5_jjP12ihipStream_tbEUlT_E_NS1_11comp_targetILNS1_3genE3ELNS1_11target_archE908ELNS1_3gpuE7ELNS1_3repE0EEENS1_44radix_sort_block_sort_config_static_selectorELNS0_4arch9wavefront6targetE1EEEvSH_.kd
    .uniform_work_group_size: 1
    .uses_dynamic_stack: false
    .vgpr_count:     0
    .vgpr_spill_count: 0
    .wavefront_size: 64
  - .agpr_count:     0
    .args:
      - .offset:         0
        .size:           48
        .value_kind:     by_value
    .group_segment_fixed_size: 0
    .kernarg_segment_align: 8
    .kernarg_segment_size: 48
    .language:       OpenCL C
    .language_version:
      - 2
      - 0
    .max_flat_workgroup_size: 256
    .name:           _ZN7rocprim17ROCPRIM_400000_NS6detail17trampoline_kernelINS0_13kernel_configILj256ELj4ELj4294967295EEENS1_37radix_sort_block_sort_config_selectorIxxEEZNS1_21radix_sort_block_sortIS4_Lb0EN6thrust23THRUST_200600_302600_NS6detail15normal_iteratorINS9_10device_ptrIxEEEESE_SE_SE_NS0_19identity_decomposerEEE10hipError_tT1_T2_T3_T4_jRjT5_jjP12ihipStream_tbEUlT_E_NS1_11comp_targetILNS1_3genE2ELNS1_11target_archE906ELNS1_3gpuE6ELNS1_3repE0EEENS1_44radix_sort_block_sort_config_static_selectorELNS0_4arch9wavefront6targetE1EEEvSH_
    .private_segment_fixed_size: 0
    .sgpr_count:     6
    .sgpr_spill_count: 0
    .symbol:         _ZN7rocprim17ROCPRIM_400000_NS6detail17trampoline_kernelINS0_13kernel_configILj256ELj4ELj4294967295EEENS1_37radix_sort_block_sort_config_selectorIxxEEZNS1_21radix_sort_block_sortIS4_Lb0EN6thrust23THRUST_200600_302600_NS6detail15normal_iteratorINS9_10device_ptrIxEEEESE_SE_SE_NS0_19identity_decomposerEEE10hipError_tT1_T2_T3_T4_jRjT5_jjP12ihipStream_tbEUlT_E_NS1_11comp_targetILNS1_3genE2ELNS1_11target_archE906ELNS1_3gpuE6ELNS1_3repE0EEENS1_44radix_sort_block_sort_config_static_selectorELNS0_4arch9wavefront6targetE1EEEvSH_.kd
    .uniform_work_group_size: 1
    .uses_dynamic_stack: false
    .vgpr_count:     0
    .vgpr_spill_count: 0
    .wavefront_size: 64
  - .agpr_count:     0
    .args:
      - .offset:         0
        .size:           48
        .value_kind:     by_value
    .group_segment_fixed_size: 0
    .kernarg_segment_align: 8
    .kernarg_segment_size: 48
    .language:       OpenCL C
    .language_version:
      - 2
      - 0
    .max_flat_workgroup_size: 256
    .name:           _ZN7rocprim17ROCPRIM_400000_NS6detail17trampoline_kernelINS0_13kernel_configILj256ELj4ELj4294967295EEENS1_37radix_sort_block_sort_config_selectorIxxEEZNS1_21radix_sort_block_sortIS4_Lb0EN6thrust23THRUST_200600_302600_NS6detail15normal_iteratorINS9_10device_ptrIxEEEESE_SE_SE_NS0_19identity_decomposerEEE10hipError_tT1_T2_T3_T4_jRjT5_jjP12ihipStream_tbEUlT_E_NS1_11comp_targetILNS1_3genE10ELNS1_11target_archE1201ELNS1_3gpuE5ELNS1_3repE0EEENS1_44radix_sort_block_sort_config_static_selectorELNS0_4arch9wavefront6targetE1EEEvSH_
    .private_segment_fixed_size: 0
    .sgpr_count:     6
    .sgpr_spill_count: 0
    .symbol:         _ZN7rocprim17ROCPRIM_400000_NS6detail17trampoline_kernelINS0_13kernel_configILj256ELj4ELj4294967295EEENS1_37radix_sort_block_sort_config_selectorIxxEEZNS1_21radix_sort_block_sortIS4_Lb0EN6thrust23THRUST_200600_302600_NS6detail15normal_iteratorINS9_10device_ptrIxEEEESE_SE_SE_NS0_19identity_decomposerEEE10hipError_tT1_T2_T3_T4_jRjT5_jjP12ihipStream_tbEUlT_E_NS1_11comp_targetILNS1_3genE10ELNS1_11target_archE1201ELNS1_3gpuE5ELNS1_3repE0EEENS1_44radix_sort_block_sort_config_static_selectorELNS0_4arch9wavefront6targetE1EEEvSH_.kd
    .uniform_work_group_size: 1
    .uses_dynamic_stack: false
    .vgpr_count:     0
    .vgpr_spill_count: 0
    .wavefront_size: 64
  - .agpr_count:     0
    .args:
      - .offset:         0
        .size:           48
        .value_kind:     by_value
    .group_segment_fixed_size: 0
    .kernarg_segment_align: 8
    .kernarg_segment_size: 48
    .language:       OpenCL C
    .language_version:
      - 2
      - 0
    .max_flat_workgroup_size: 256
    .name:           _ZN7rocprim17ROCPRIM_400000_NS6detail17trampoline_kernelINS0_13kernel_configILj256ELj4ELj4294967295EEENS1_37radix_sort_block_sort_config_selectorIxxEEZNS1_21radix_sort_block_sortIS4_Lb0EN6thrust23THRUST_200600_302600_NS6detail15normal_iteratorINS9_10device_ptrIxEEEESE_SE_SE_NS0_19identity_decomposerEEE10hipError_tT1_T2_T3_T4_jRjT5_jjP12ihipStream_tbEUlT_E_NS1_11comp_targetILNS1_3genE10ELNS1_11target_archE1200ELNS1_3gpuE4ELNS1_3repE0EEENS1_44radix_sort_block_sort_config_static_selectorELNS0_4arch9wavefront6targetE1EEEvSH_
    .private_segment_fixed_size: 0
    .sgpr_count:     6
    .sgpr_spill_count: 0
    .symbol:         _ZN7rocprim17ROCPRIM_400000_NS6detail17trampoline_kernelINS0_13kernel_configILj256ELj4ELj4294967295EEENS1_37radix_sort_block_sort_config_selectorIxxEEZNS1_21radix_sort_block_sortIS4_Lb0EN6thrust23THRUST_200600_302600_NS6detail15normal_iteratorINS9_10device_ptrIxEEEESE_SE_SE_NS0_19identity_decomposerEEE10hipError_tT1_T2_T3_T4_jRjT5_jjP12ihipStream_tbEUlT_E_NS1_11comp_targetILNS1_3genE10ELNS1_11target_archE1200ELNS1_3gpuE4ELNS1_3repE0EEENS1_44radix_sort_block_sort_config_static_selectorELNS0_4arch9wavefront6targetE1EEEvSH_.kd
    .uniform_work_group_size: 1
    .uses_dynamic_stack: false
    .vgpr_count:     0
    .vgpr_spill_count: 0
    .wavefront_size: 64
  - .agpr_count:     0
    .args:
      - .offset:         0
        .size:           48
        .value_kind:     by_value
    .group_segment_fixed_size: 0
    .kernarg_segment_align: 8
    .kernarg_segment_size: 48
    .language:       OpenCL C
    .language_version:
      - 2
      - 0
    .max_flat_workgroup_size: 256
    .name:           _ZN7rocprim17ROCPRIM_400000_NS6detail17trampoline_kernelINS0_13kernel_configILj256ELj4ELj4294967295EEENS1_37radix_sort_block_sort_config_selectorIxxEEZNS1_21radix_sort_block_sortIS4_Lb0EN6thrust23THRUST_200600_302600_NS6detail15normal_iteratorINS9_10device_ptrIxEEEESE_SE_SE_NS0_19identity_decomposerEEE10hipError_tT1_T2_T3_T4_jRjT5_jjP12ihipStream_tbEUlT_E_NS1_11comp_targetILNS1_3genE9ELNS1_11target_archE1100ELNS1_3gpuE3ELNS1_3repE0EEENS1_44radix_sort_block_sort_config_static_selectorELNS0_4arch9wavefront6targetE1EEEvSH_
    .private_segment_fixed_size: 0
    .sgpr_count:     6
    .sgpr_spill_count: 0
    .symbol:         _ZN7rocprim17ROCPRIM_400000_NS6detail17trampoline_kernelINS0_13kernel_configILj256ELj4ELj4294967295EEENS1_37radix_sort_block_sort_config_selectorIxxEEZNS1_21radix_sort_block_sortIS4_Lb0EN6thrust23THRUST_200600_302600_NS6detail15normal_iteratorINS9_10device_ptrIxEEEESE_SE_SE_NS0_19identity_decomposerEEE10hipError_tT1_T2_T3_T4_jRjT5_jjP12ihipStream_tbEUlT_E_NS1_11comp_targetILNS1_3genE9ELNS1_11target_archE1100ELNS1_3gpuE3ELNS1_3repE0EEENS1_44radix_sort_block_sort_config_static_selectorELNS0_4arch9wavefront6targetE1EEEvSH_.kd
    .uniform_work_group_size: 1
    .uses_dynamic_stack: false
    .vgpr_count:     0
    .vgpr_spill_count: 0
    .wavefront_size: 64
  - .agpr_count:     0
    .args:
      - .offset:         0
        .size:           48
        .value_kind:     by_value
    .group_segment_fixed_size: 0
    .kernarg_segment_align: 8
    .kernarg_segment_size: 48
    .language:       OpenCL C
    .language_version:
      - 2
      - 0
    .max_flat_workgroup_size: 256
    .name:           _ZN7rocprim17ROCPRIM_400000_NS6detail17trampoline_kernelINS0_13kernel_configILj256ELj4ELj4294967295EEENS1_37radix_sort_block_sort_config_selectorIxxEEZNS1_21radix_sort_block_sortIS4_Lb0EN6thrust23THRUST_200600_302600_NS6detail15normal_iteratorINS9_10device_ptrIxEEEESE_SE_SE_NS0_19identity_decomposerEEE10hipError_tT1_T2_T3_T4_jRjT5_jjP12ihipStream_tbEUlT_E_NS1_11comp_targetILNS1_3genE8ELNS1_11target_archE1030ELNS1_3gpuE2ELNS1_3repE0EEENS1_44radix_sort_block_sort_config_static_selectorELNS0_4arch9wavefront6targetE1EEEvSH_
    .private_segment_fixed_size: 0
    .sgpr_count:     6
    .sgpr_spill_count: 0
    .symbol:         _ZN7rocprim17ROCPRIM_400000_NS6detail17trampoline_kernelINS0_13kernel_configILj256ELj4ELj4294967295EEENS1_37radix_sort_block_sort_config_selectorIxxEEZNS1_21radix_sort_block_sortIS4_Lb0EN6thrust23THRUST_200600_302600_NS6detail15normal_iteratorINS9_10device_ptrIxEEEESE_SE_SE_NS0_19identity_decomposerEEE10hipError_tT1_T2_T3_T4_jRjT5_jjP12ihipStream_tbEUlT_E_NS1_11comp_targetILNS1_3genE8ELNS1_11target_archE1030ELNS1_3gpuE2ELNS1_3repE0EEENS1_44radix_sort_block_sort_config_static_selectorELNS0_4arch9wavefront6targetE1EEEvSH_.kd
    .uniform_work_group_size: 1
    .uses_dynamic_stack: false
    .vgpr_count:     0
    .vgpr_spill_count: 0
    .wavefront_size: 64
  - .agpr_count:     0
    .args:           []
    .group_segment_fixed_size: 0
    .kernarg_segment_align: 4
    .kernarg_segment_size: 0
    .language:       OpenCL C
    .language_version:
      - 2
      - 0
    .max_flat_workgroup_size: 1024
    .name:           _ZN7rocprim17ROCPRIM_400000_NS6detail44device_merge_sort_compile_time_verifier_archINS1_11comp_targetILNS1_3genE0ELNS1_11target_archE4294967295ELNS1_3gpuE0ELNS1_3repE0EEES8_NS1_28merge_sort_block_sort_configILj256ELj4ELNS0_20block_sort_algorithmE0EEENS0_14default_configENS1_37merge_sort_block_sort_config_selectorIxxEENS1_38merge_sort_block_merge_config_selectorIxxEEEEvv
    .private_segment_fixed_size: 0
    .sgpr_count:     6
    .sgpr_spill_count: 0
    .symbol:         _ZN7rocprim17ROCPRIM_400000_NS6detail44device_merge_sort_compile_time_verifier_archINS1_11comp_targetILNS1_3genE0ELNS1_11target_archE4294967295ELNS1_3gpuE0ELNS1_3repE0EEES8_NS1_28merge_sort_block_sort_configILj256ELj4ELNS0_20block_sort_algorithmE0EEENS0_14default_configENS1_37merge_sort_block_sort_config_selectorIxxEENS1_38merge_sort_block_merge_config_selectorIxxEEEEvv.kd
    .uniform_work_group_size: 1
    .uses_dynamic_stack: false
    .vgpr_count:     0
    .vgpr_spill_count: 0
    .wavefront_size: 64
  - .agpr_count:     0
    .args:           []
    .group_segment_fixed_size: 0
    .kernarg_segment_align: 4
    .kernarg_segment_size: 0
    .language:       OpenCL C
    .language_version:
      - 2
      - 0
    .max_flat_workgroup_size: 1024
    .name:           _ZN7rocprim17ROCPRIM_400000_NS6detail44device_merge_sort_compile_time_verifier_archINS1_11comp_targetILNS1_3genE5ELNS1_11target_archE942ELNS1_3gpuE9ELNS1_3repE0EEES8_NS1_28merge_sort_block_sort_configILj256ELj4ELNS0_20block_sort_algorithmE0EEENS0_14default_configENS1_37merge_sort_block_sort_config_selectorIxxEENS1_38merge_sort_block_merge_config_selectorIxxEEEEvv
    .private_segment_fixed_size: 0
    .sgpr_count:     6
    .sgpr_spill_count: 0
    .symbol:         _ZN7rocprim17ROCPRIM_400000_NS6detail44device_merge_sort_compile_time_verifier_archINS1_11comp_targetILNS1_3genE5ELNS1_11target_archE942ELNS1_3gpuE9ELNS1_3repE0EEES8_NS1_28merge_sort_block_sort_configILj256ELj4ELNS0_20block_sort_algorithmE0EEENS0_14default_configENS1_37merge_sort_block_sort_config_selectorIxxEENS1_38merge_sort_block_merge_config_selectorIxxEEEEvv.kd
    .uniform_work_group_size: 1
    .uses_dynamic_stack: false
    .vgpr_count:     0
    .vgpr_spill_count: 0
    .wavefront_size: 64
  - .agpr_count:     0
    .args:           []
    .group_segment_fixed_size: 0
    .kernarg_segment_align: 4
    .kernarg_segment_size: 0
    .language:       OpenCL C
    .language_version:
      - 2
      - 0
    .max_flat_workgroup_size: 1024
    .name:           _ZN7rocprim17ROCPRIM_400000_NS6detail44device_merge_sort_compile_time_verifier_archINS1_11comp_targetILNS1_3genE4ELNS1_11target_archE910ELNS1_3gpuE8ELNS1_3repE0EEES8_NS1_28merge_sort_block_sort_configILj256ELj4ELNS0_20block_sort_algorithmE0EEENS0_14default_configENS1_37merge_sort_block_sort_config_selectorIxxEENS1_38merge_sort_block_merge_config_selectorIxxEEEEvv
    .private_segment_fixed_size: 0
    .sgpr_count:     6
    .sgpr_spill_count: 0
    .symbol:         _ZN7rocprim17ROCPRIM_400000_NS6detail44device_merge_sort_compile_time_verifier_archINS1_11comp_targetILNS1_3genE4ELNS1_11target_archE910ELNS1_3gpuE8ELNS1_3repE0EEES8_NS1_28merge_sort_block_sort_configILj256ELj4ELNS0_20block_sort_algorithmE0EEENS0_14default_configENS1_37merge_sort_block_sort_config_selectorIxxEENS1_38merge_sort_block_merge_config_selectorIxxEEEEvv.kd
    .uniform_work_group_size: 1
    .uses_dynamic_stack: false
    .vgpr_count:     0
    .vgpr_spill_count: 0
    .wavefront_size: 64
  - .agpr_count:     0
    .args:           []
    .group_segment_fixed_size: 0
    .kernarg_segment_align: 4
    .kernarg_segment_size: 0
    .language:       OpenCL C
    .language_version:
      - 2
      - 0
    .max_flat_workgroup_size: 1024
    .name:           _ZN7rocprim17ROCPRIM_400000_NS6detail44device_merge_sort_compile_time_verifier_archINS1_11comp_targetILNS1_3genE3ELNS1_11target_archE908ELNS1_3gpuE7ELNS1_3repE0EEES8_NS1_28merge_sort_block_sort_configILj256ELj4ELNS0_20block_sort_algorithmE0EEENS0_14default_configENS1_37merge_sort_block_sort_config_selectorIxxEENS1_38merge_sort_block_merge_config_selectorIxxEEEEvv
    .private_segment_fixed_size: 0
    .sgpr_count:     6
    .sgpr_spill_count: 0
    .symbol:         _ZN7rocprim17ROCPRIM_400000_NS6detail44device_merge_sort_compile_time_verifier_archINS1_11comp_targetILNS1_3genE3ELNS1_11target_archE908ELNS1_3gpuE7ELNS1_3repE0EEES8_NS1_28merge_sort_block_sort_configILj256ELj4ELNS0_20block_sort_algorithmE0EEENS0_14default_configENS1_37merge_sort_block_sort_config_selectorIxxEENS1_38merge_sort_block_merge_config_selectorIxxEEEEvv.kd
    .uniform_work_group_size: 1
    .uses_dynamic_stack: false
    .vgpr_count:     0
    .vgpr_spill_count: 0
    .wavefront_size: 64
  - .agpr_count:     0
    .args:           []
    .group_segment_fixed_size: 0
    .kernarg_segment_align: 4
    .kernarg_segment_size: 0
    .language:       OpenCL C
    .language_version:
      - 2
      - 0
    .max_flat_workgroup_size: 1024
    .name:           _ZN7rocprim17ROCPRIM_400000_NS6detail44device_merge_sort_compile_time_verifier_archINS1_11comp_targetILNS1_3genE2ELNS1_11target_archE906ELNS1_3gpuE6ELNS1_3repE0EEES8_NS1_28merge_sort_block_sort_configILj256ELj4ELNS0_20block_sort_algorithmE0EEENS0_14default_configENS1_37merge_sort_block_sort_config_selectorIxxEENS1_38merge_sort_block_merge_config_selectorIxxEEEEvv
    .private_segment_fixed_size: 0
    .sgpr_count:     6
    .sgpr_spill_count: 0
    .symbol:         _ZN7rocprim17ROCPRIM_400000_NS6detail44device_merge_sort_compile_time_verifier_archINS1_11comp_targetILNS1_3genE2ELNS1_11target_archE906ELNS1_3gpuE6ELNS1_3repE0EEES8_NS1_28merge_sort_block_sort_configILj256ELj4ELNS0_20block_sort_algorithmE0EEENS0_14default_configENS1_37merge_sort_block_sort_config_selectorIxxEENS1_38merge_sort_block_merge_config_selectorIxxEEEEvv.kd
    .uniform_work_group_size: 1
    .uses_dynamic_stack: false
    .vgpr_count:     0
    .vgpr_spill_count: 0
    .wavefront_size: 64
  - .agpr_count:     0
    .args:           []
    .group_segment_fixed_size: 0
    .kernarg_segment_align: 4
    .kernarg_segment_size: 0
    .language:       OpenCL C
    .language_version:
      - 2
      - 0
    .max_flat_workgroup_size: 1024
    .name:           _ZN7rocprim17ROCPRIM_400000_NS6detail44device_merge_sort_compile_time_verifier_archINS1_11comp_targetILNS1_3genE10ELNS1_11target_archE1201ELNS1_3gpuE5ELNS1_3repE0EEES8_NS1_28merge_sort_block_sort_configILj256ELj4ELNS0_20block_sort_algorithmE0EEENS0_14default_configENS1_37merge_sort_block_sort_config_selectorIxxEENS1_38merge_sort_block_merge_config_selectorIxxEEEEvv
    .private_segment_fixed_size: 0
    .sgpr_count:     6
    .sgpr_spill_count: 0
    .symbol:         _ZN7rocprim17ROCPRIM_400000_NS6detail44device_merge_sort_compile_time_verifier_archINS1_11comp_targetILNS1_3genE10ELNS1_11target_archE1201ELNS1_3gpuE5ELNS1_3repE0EEES8_NS1_28merge_sort_block_sort_configILj256ELj4ELNS0_20block_sort_algorithmE0EEENS0_14default_configENS1_37merge_sort_block_sort_config_selectorIxxEENS1_38merge_sort_block_merge_config_selectorIxxEEEEvv.kd
    .uniform_work_group_size: 1
    .uses_dynamic_stack: false
    .vgpr_count:     0
    .vgpr_spill_count: 0
    .wavefront_size: 64
  - .agpr_count:     0
    .args:           []
    .group_segment_fixed_size: 0
    .kernarg_segment_align: 4
    .kernarg_segment_size: 0
    .language:       OpenCL C
    .language_version:
      - 2
      - 0
    .max_flat_workgroup_size: 1024
    .name:           _ZN7rocprim17ROCPRIM_400000_NS6detail44device_merge_sort_compile_time_verifier_archINS1_11comp_targetILNS1_3genE10ELNS1_11target_archE1200ELNS1_3gpuE4ELNS1_3repE0EEENS3_ILS4_10ELS5_1201ELS6_5ELS7_0EEENS1_28merge_sort_block_sort_configILj256ELj4ELNS0_20block_sort_algorithmE0EEENS0_14default_configENS1_37merge_sort_block_sort_config_selectorIxxEENS1_38merge_sort_block_merge_config_selectorIxxEEEEvv
    .private_segment_fixed_size: 0
    .sgpr_count:     6
    .sgpr_spill_count: 0
    .symbol:         _ZN7rocprim17ROCPRIM_400000_NS6detail44device_merge_sort_compile_time_verifier_archINS1_11comp_targetILNS1_3genE10ELNS1_11target_archE1200ELNS1_3gpuE4ELNS1_3repE0EEENS3_ILS4_10ELS5_1201ELS6_5ELS7_0EEENS1_28merge_sort_block_sort_configILj256ELj4ELNS0_20block_sort_algorithmE0EEENS0_14default_configENS1_37merge_sort_block_sort_config_selectorIxxEENS1_38merge_sort_block_merge_config_selectorIxxEEEEvv.kd
    .uniform_work_group_size: 1
    .uses_dynamic_stack: false
    .vgpr_count:     0
    .vgpr_spill_count: 0
    .wavefront_size: 64
  - .agpr_count:     0
    .args:           []
    .group_segment_fixed_size: 0
    .kernarg_segment_align: 4
    .kernarg_segment_size: 0
    .language:       OpenCL C
    .language_version:
      - 2
      - 0
    .max_flat_workgroup_size: 1024
    .name:           _ZN7rocprim17ROCPRIM_400000_NS6detail44device_merge_sort_compile_time_verifier_archINS1_11comp_targetILNS1_3genE9ELNS1_11target_archE1100ELNS1_3gpuE3ELNS1_3repE0EEES8_NS1_28merge_sort_block_sort_configILj256ELj4ELNS0_20block_sort_algorithmE0EEENS0_14default_configENS1_37merge_sort_block_sort_config_selectorIxxEENS1_38merge_sort_block_merge_config_selectorIxxEEEEvv
    .private_segment_fixed_size: 0
    .sgpr_count:     6
    .sgpr_spill_count: 0
    .symbol:         _ZN7rocprim17ROCPRIM_400000_NS6detail44device_merge_sort_compile_time_verifier_archINS1_11comp_targetILNS1_3genE9ELNS1_11target_archE1100ELNS1_3gpuE3ELNS1_3repE0EEES8_NS1_28merge_sort_block_sort_configILj256ELj4ELNS0_20block_sort_algorithmE0EEENS0_14default_configENS1_37merge_sort_block_sort_config_selectorIxxEENS1_38merge_sort_block_merge_config_selectorIxxEEEEvv.kd
    .uniform_work_group_size: 1
    .uses_dynamic_stack: false
    .vgpr_count:     0
    .vgpr_spill_count: 0
    .wavefront_size: 64
  - .agpr_count:     0
    .args:           []
    .group_segment_fixed_size: 0
    .kernarg_segment_align: 4
    .kernarg_segment_size: 0
    .language:       OpenCL C
    .language_version:
      - 2
      - 0
    .max_flat_workgroup_size: 1024
    .name:           _ZN7rocprim17ROCPRIM_400000_NS6detail44device_merge_sort_compile_time_verifier_archINS1_11comp_targetILNS1_3genE8ELNS1_11target_archE1030ELNS1_3gpuE2ELNS1_3repE0EEES8_NS1_28merge_sort_block_sort_configILj256ELj4ELNS0_20block_sort_algorithmE0EEENS0_14default_configENS1_37merge_sort_block_sort_config_selectorIxxEENS1_38merge_sort_block_merge_config_selectorIxxEEEEvv
    .private_segment_fixed_size: 0
    .sgpr_count:     6
    .sgpr_spill_count: 0
    .symbol:         _ZN7rocprim17ROCPRIM_400000_NS6detail44device_merge_sort_compile_time_verifier_archINS1_11comp_targetILNS1_3genE8ELNS1_11target_archE1030ELNS1_3gpuE2ELNS1_3repE0EEES8_NS1_28merge_sort_block_sort_configILj256ELj4ELNS0_20block_sort_algorithmE0EEENS0_14default_configENS1_37merge_sort_block_sort_config_selectorIxxEENS1_38merge_sort_block_merge_config_selectorIxxEEEEvv.kd
    .uniform_work_group_size: 1
    .uses_dynamic_stack: false
    .vgpr_count:     0
    .vgpr_spill_count: 0
    .wavefront_size: 64
  - .agpr_count:     0
    .args:
      - .offset:         0
        .size:           40
        .value_kind:     by_value
    .group_segment_fixed_size: 0
    .kernarg_segment_align: 8
    .kernarg_segment_size: 40
    .language:       OpenCL C
    .language_version:
      - 2
      - 0
    .max_flat_workgroup_size: 128
    .name:           _ZN7rocprim17ROCPRIM_400000_NS6detail17trampoline_kernelINS0_14default_configENS1_38merge_sort_block_merge_config_selectorIxxEEZZNS1_27merge_sort_block_merge_implIS3_N6thrust23THRUST_200600_302600_NS6detail15normal_iteratorINS8_10device_ptrIxEEEESD_jNS1_19radix_merge_compareILb0ELb0ExNS0_19identity_decomposerEEEEE10hipError_tT0_T1_T2_jT3_P12ihipStream_tbPNSt15iterator_traitsISI_E10value_typeEPNSO_ISJ_E10value_typeEPSK_NS1_7vsmem_tEENKUlT_SI_SJ_SK_E_clIPxSD_S10_SD_EESH_SX_SI_SJ_SK_EUlSX_E_NS1_11comp_targetILNS1_3genE0ELNS1_11target_archE4294967295ELNS1_3gpuE0ELNS1_3repE0EEENS1_48merge_mergepath_partition_config_static_selectorELNS0_4arch9wavefront6targetE1EEEvSJ_
    .private_segment_fixed_size: 0
    .sgpr_count:     14
    .sgpr_spill_count: 0
    .symbol:         _ZN7rocprim17ROCPRIM_400000_NS6detail17trampoline_kernelINS0_14default_configENS1_38merge_sort_block_merge_config_selectorIxxEEZZNS1_27merge_sort_block_merge_implIS3_N6thrust23THRUST_200600_302600_NS6detail15normal_iteratorINS8_10device_ptrIxEEEESD_jNS1_19radix_merge_compareILb0ELb0ExNS0_19identity_decomposerEEEEE10hipError_tT0_T1_T2_jT3_P12ihipStream_tbPNSt15iterator_traitsISI_E10value_typeEPNSO_ISJ_E10value_typeEPSK_NS1_7vsmem_tEENKUlT_SI_SJ_SK_E_clIPxSD_S10_SD_EESH_SX_SI_SJ_SK_EUlSX_E_NS1_11comp_targetILNS1_3genE0ELNS1_11target_archE4294967295ELNS1_3gpuE0ELNS1_3repE0EEENS1_48merge_mergepath_partition_config_static_selectorELNS0_4arch9wavefront6targetE1EEEvSJ_.kd
    .uniform_work_group_size: 1
    .uses_dynamic_stack: false
    .vgpr_count:     20
    .vgpr_spill_count: 0
    .wavefront_size: 64
  - .agpr_count:     0
    .args:
      - .offset:         0
        .size:           40
        .value_kind:     by_value
    .group_segment_fixed_size: 0
    .kernarg_segment_align: 8
    .kernarg_segment_size: 40
    .language:       OpenCL C
    .language_version:
      - 2
      - 0
    .max_flat_workgroup_size: 128
    .name:           _ZN7rocprim17ROCPRIM_400000_NS6detail17trampoline_kernelINS0_14default_configENS1_38merge_sort_block_merge_config_selectorIxxEEZZNS1_27merge_sort_block_merge_implIS3_N6thrust23THRUST_200600_302600_NS6detail15normal_iteratorINS8_10device_ptrIxEEEESD_jNS1_19radix_merge_compareILb0ELb0ExNS0_19identity_decomposerEEEEE10hipError_tT0_T1_T2_jT3_P12ihipStream_tbPNSt15iterator_traitsISI_E10value_typeEPNSO_ISJ_E10value_typeEPSK_NS1_7vsmem_tEENKUlT_SI_SJ_SK_E_clIPxSD_S10_SD_EESH_SX_SI_SJ_SK_EUlSX_E_NS1_11comp_targetILNS1_3genE10ELNS1_11target_archE1201ELNS1_3gpuE5ELNS1_3repE0EEENS1_48merge_mergepath_partition_config_static_selectorELNS0_4arch9wavefront6targetE1EEEvSJ_
    .private_segment_fixed_size: 0
    .sgpr_count:     6
    .sgpr_spill_count: 0
    .symbol:         _ZN7rocprim17ROCPRIM_400000_NS6detail17trampoline_kernelINS0_14default_configENS1_38merge_sort_block_merge_config_selectorIxxEEZZNS1_27merge_sort_block_merge_implIS3_N6thrust23THRUST_200600_302600_NS6detail15normal_iteratorINS8_10device_ptrIxEEEESD_jNS1_19radix_merge_compareILb0ELb0ExNS0_19identity_decomposerEEEEE10hipError_tT0_T1_T2_jT3_P12ihipStream_tbPNSt15iterator_traitsISI_E10value_typeEPNSO_ISJ_E10value_typeEPSK_NS1_7vsmem_tEENKUlT_SI_SJ_SK_E_clIPxSD_S10_SD_EESH_SX_SI_SJ_SK_EUlSX_E_NS1_11comp_targetILNS1_3genE10ELNS1_11target_archE1201ELNS1_3gpuE5ELNS1_3repE0EEENS1_48merge_mergepath_partition_config_static_selectorELNS0_4arch9wavefront6targetE1EEEvSJ_.kd
    .uniform_work_group_size: 1
    .uses_dynamic_stack: false
    .vgpr_count:     0
    .vgpr_spill_count: 0
    .wavefront_size: 64
  - .agpr_count:     0
    .args:
      - .offset:         0
        .size:           40
        .value_kind:     by_value
    .group_segment_fixed_size: 0
    .kernarg_segment_align: 8
    .kernarg_segment_size: 40
    .language:       OpenCL C
    .language_version:
      - 2
      - 0
    .max_flat_workgroup_size: 128
    .name:           _ZN7rocprim17ROCPRIM_400000_NS6detail17trampoline_kernelINS0_14default_configENS1_38merge_sort_block_merge_config_selectorIxxEEZZNS1_27merge_sort_block_merge_implIS3_N6thrust23THRUST_200600_302600_NS6detail15normal_iteratorINS8_10device_ptrIxEEEESD_jNS1_19radix_merge_compareILb0ELb0ExNS0_19identity_decomposerEEEEE10hipError_tT0_T1_T2_jT3_P12ihipStream_tbPNSt15iterator_traitsISI_E10value_typeEPNSO_ISJ_E10value_typeEPSK_NS1_7vsmem_tEENKUlT_SI_SJ_SK_E_clIPxSD_S10_SD_EESH_SX_SI_SJ_SK_EUlSX_E_NS1_11comp_targetILNS1_3genE5ELNS1_11target_archE942ELNS1_3gpuE9ELNS1_3repE0EEENS1_48merge_mergepath_partition_config_static_selectorELNS0_4arch9wavefront6targetE1EEEvSJ_
    .private_segment_fixed_size: 0
    .sgpr_count:     6
    .sgpr_spill_count: 0
    .symbol:         _ZN7rocprim17ROCPRIM_400000_NS6detail17trampoline_kernelINS0_14default_configENS1_38merge_sort_block_merge_config_selectorIxxEEZZNS1_27merge_sort_block_merge_implIS3_N6thrust23THRUST_200600_302600_NS6detail15normal_iteratorINS8_10device_ptrIxEEEESD_jNS1_19radix_merge_compareILb0ELb0ExNS0_19identity_decomposerEEEEE10hipError_tT0_T1_T2_jT3_P12ihipStream_tbPNSt15iterator_traitsISI_E10value_typeEPNSO_ISJ_E10value_typeEPSK_NS1_7vsmem_tEENKUlT_SI_SJ_SK_E_clIPxSD_S10_SD_EESH_SX_SI_SJ_SK_EUlSX_E_NS1_11comp_targetILNS1_3genE5ELNS1_11target_archE942ELNS1_3gpuE9ELNS1_3repE0EEENS1_48merge_mergepath_partition_config_static_selectorELNS0_4arch9wavefront6targetE1EEEvSJ_.kd
    .uniform_work_group_size: 1
    .uses_dynamic_stack: false
    .vgpr_count:     0
    .vgpr_spill_count: 0
    .wavefront_size: 64
  - .agpr_count:     0
    .args:
      - .offset:         0
        .size:           40
        .value_kind:     by_value
    .group_segment_fixed_size: 0
    .kernarg_segment_align: 8
    .kernarg_segment_size: 40
    .language:       OpenCL C
    .language_version:
      - 2
      - 0
    .max_flat_workgroup_size: 128
    .name:           _ZN7rocprim17ROCPRIM_400000_NS6detail17trampoline_kernelINS0_14default_configENS1_38merge_sort_block_merge_config_selectorIxxEEZZNS1_27merge_sort_block_merge_implIS3_N6thrust23THRUST_200600_302600_NS6detail15normal_iteratorINS8_10device_ptrIxEEEESD_jNS1_19radix_merge_compareILb0ELb0ExNS0_19identity_decomposerEEEEE10hipError_tT0_T1_T2_jT3_P12ihipStream_tbPNSt15iterator_traitsISI_E10value_typeEPNSO_ISJ_E10value_typeEPSK_NS1_7vsmem_tEENKUlT_SI_SJ_SK_E_clIPxSD_S10_SD_EESH_SX_SI_SJ_SK_EUlSX_E_NS1_11comp_targetILNS1_3genE4ELNS1_11target_archE910ELNS1_3gpuE8ELNS1_3repE0EEENS1_48merge_mergepath_partition_config_static_selectorELNS0_4arch9wavefront6targetE1EEEvSJ_
    .private_segment_fixed_size: 0
    .sgpr_count:     6
    .sgpr_spill_count: 0
    .symbol:         _ZN7rocprim17ROCPRIM_400000_NS6detail17trampoline_kernelINS0_14default_configENS1_38merge_sort_block_merge_config_selectorIxxEEZZNS1_27merge_sort_block_merge_implIS3_N6thrust23THRUST_200600_302600_NS6detail15normal_iteratorINS8_10device_ptrIxEEEESD_jNS1_19radix_merge_compareILb0ELb0ExNS0_19identity_decomposerEEEEE10hipError_tT0_T1_T2_jT3_P12ihipStream_tbPNSt15iterator_traitsISI_E10value_typeEPNSO_ISJ_E10value_typeEPSK_NS1_7vsmem_tEENKUlT_SI_SJ_SK_E_clIPxSD_S10_SD_EESH_SX_SI_SJ_SK_EUlSX_E_NS1_11comp_targetILNS1_3genE4ELNS1_11target_archE910ELNS1_3gpuE8ELNS1_3repE0EEENS1_48merge_mergepath_partition_config_static_selectorELNS0_4arch9wavefront6targetE1EEEvSJ_.kd
    .uniform_work_group_size: 1
    .uses_dynamic_stack: false
    .vgpr_count:     0
    .vgpr_spill_count: 0
    .wavefront_size: 64
  - .agpr_count:     0
    .args:
      - .offset:         0
        .size:           40
        .value_kind:     by_value
    .group_segment_fixed_size: 0
    .kernarg_segment_align: 8
    .kernarg_segment_size: 40
    .language:       OpenCL C
    .language_version:
      - 2
      - 0
    .max_flat_workgroup_size: 128
    .name:           _ZN7rocprim17ROCPRIM_400000_NS6detail17trampoline_kernelINS0_14default_configENS1_38merge_sort_block_merge_config_selectorIxxEEZZNS1_27merge_sort_block_merge_implIS3_N6thrust23THRUST_200600_302600_NS6detail15normal_iteratorINS8_10device_ptrIxEEEESD_jNS1_19radix_merge_compareILb0ELb0ExNS0_19identity_decomposerEEEEE10hipError_tT0_T1_T2_jT3_P12ihipStream_tbPNSt15iterator_traitsISI_E10value_typeEPNSO_ISJ_E10value_typeEPSK_NS1_7vsmem_tEENKUlT_SI_SJ_SK_E_clIPxSD_S10_SD_EESH_SX_SI_SJ_SK_EUlSX_E_NS1_11comp_targetILNS1_3genE3ELNS1_11target_archE908ELNS1_3gpuE7ELNS1_3repE0EEENS1_48merge_mergepath_partition_config_static_selectorELNS0_4arch9wavefront6targetE1EEEvSJ_
    .private_segment_fixed_size: 0
    .sgpr_count:     6
    .sgpr_spill_count: 0
    .symbol:         _ZN7rocprim17ROCPRIM_400000_NS6detail17trampoline_kernelINS0_14default_configENS1_38merge_sort_block_merge_config_selectorIxxEEZZNS1_27merge_sort_block_merge_implIS3_N6thrust23THRUST_200600_302600_NS6detail15normal_iteratorINS8_10device_ptrIxEEEESD_jNS1_19radix_merge_compareILb0ELb0ExNS0_19identity_decomposerEEEEE10hipError_tT0_T1_T2_jT3_P12ihipStream_tbPNSt15iterator_traitsISI_E10value_typeEPNSO_ISJ_E10value_typeEPSK_NS1_7vsmem_tEENKUlT_SI_SJ_SK_E_clIPxSD_S10_SD_EESH_SX_SI_SJ_SK_EUlSX_E_NS1_11comp_targetILNS1_3genE3ELNS1_11target_archE908ELNS1_3gpuE7ELNS1_3repE0EEENS1_48merge_mergepath_partition_config_static_selectorELNS0_4arch9wavefront6targetE1EEEvSJ_.kd
    .uniform_work_group_size: 1
    .uses_dynamic_stack: false
    .vgpr_count:     0
    .vgpr_spill_count: 0
    .wavefront_size: 64
  - .agpr_count:     0
    .args:
      - .offset:         0
        .size:           40
        .value_kind:     by_value
    .group_segment_fixed_size: 0
    .kernarg_segment_align: 8
    .kernarg_segment_size: 40
    .language:       OpenCL C
    .language_version:
      - 2
      - 0
    .max_flat_workgroup_size: 128
    .name:           _ZN7rocprim17ROCPRIM_400000_NS6detail17trampoline_kernelINS0_14default_configENS1_38merge_sort_block_merge_config_selectorIxxEEZZNS1_27merge_sort_block_merge_implIS3_N6thrust23THRUST_200600_302600_NS6detail15normal_iteratorINS8_10device_ptrIxEEEESD_jNS1_19radix_merge_compareILb0ELb0ExNS0_19identity_decomposerEEEEE10hipError_tT0_T1_T2_jT3_P12ihipStream_tbPNSt15iterator_traitsISI_E10value_typeEPNSO_ISJ_E10value_typeEPSK_NS1_7vsmem_tEENKUlT_SI_SJ_SK_E_clIPxSD_S10_SD_EESH_SX_SI_SJ_SK_EUlSX_E_NS1_11comp_targetILNS1_3genE2ELNS1_11target_archE906ELNS1_3gpuE6ELNS1_3repE0EEENS1_48merge_mergepath_partition_config_static_selectorELNS0_4arch9wavefront6targetE1EEEvSJ_
    .private_segment_fixed_size: 0
    .sgpr_count:     6
    .sgpr_spill_count: 0
    .symbol:         _ZN7rocprim17ROCPRIM_400000_NS6detail17trampoline_kernelINS0_14default_configENS1_38merge_sort_block_merge_config_selectorIxxEEZZNS1_27merge_sort_block_merge_implIS3_N6thrust23THRUST_200600_302600_NS6detail15normal_iteratorINS8_10device_ptrIxEEEESD_jNS1_19radix_merge_compareILb0ELb0ExNS0_19identity_decomposerEEEEE10hipError_tT0_T1_T2_jT3_P12ihipStream_tbPNSt15iterator_traitsISI_E10value_typeEPNSO_ISJ_E10value_typeEPSK_NS1_7vsmem_tEENKUlT_SI_SJ_SK_E_clIPxSD_S10_SD_EESH_SX_SI_SJ_SK_EUlSX_E_NS1_11comp_targetILNS1_3genE2ELNS1_11target_archE906ELNS1_3gpuE6ELNS1_3repE0EEENS1_48merge_mergepath_partition_config_static_selectorELNS0_4arch9wavefront6targetE1EEEvSJ_.kd
    .uniform_work_group_size: 1
    .uses_dynamic_stack: false
    .vgpr_count:     0
    .vgpr_spill_count: 0
    .wavefront_size: 64
  - .agpr_count:     0
    .args:
      - .offset:         0
        .size:           40
        .value_kind:     by_value
    .group_segment_fixed_size: 0
    .kernarg_segment_align: 8
    .kernarg_segment_size: 40
    .language:       OpenCL C
    .language_version:
      - 2
      - 0
    .max_flat_workgroup_size: 128
    .name:           _ZN7rocprim17ROCPRIM_400000_NS6detail17trampoline_kernelINS0_14default_configENS1_38merge_sort_block_merge_config_selectorIxxEEZZNS1_27merge_sort_block_merge_implIS3_N6thrust23THRUST_200600_302600_NS6detail15normal_iteratorINS8_10device_ptrIxEEEESD_jNS1_19radix_merge_compareILb0ELb0ExNS0_19identity_decomposerEEEEE10hipError_tT0_T1_T2_jT3_P12ihipStream_tbPNSt15iterator_traitsISI_E10value_typeEPNSO_ISJ_E10value_typeEPSK_NS1_7vsmem_tEENKUlT_SI_SJ_SK_E_clIPxSD_S10_SD_EESH_SX_SI_SJ_SK_EUlSX_E_NS1_11comp_targetILNS1_3genE9ELNS1_11target_archE1100ELNS1_3gpuE3ELNS1_3repE0EEENS1_48merge_mergepath_partition_config_static_selectorELNS0_4arch9wavefront6targetE1EEEvSJ_
    .private_segment_fixed_size: 0
    .sgpr_count:     6
    .sgpr_spill_count: 0
    .symbol:         _ZN7rocprim17ROCPRIM_400000_NS6detail17trampoline_kernelINS0_14default_configENS1_38merge_sort_block_merge_config_selectorIxxEEZZNS1_27merge_sort_block_merge_implIS3_N6thrust23THRUST_200600_302600_NS6detail15normal_iteratorINS8_10device_ptrIxEEEESD_jNS1_19radix_merge_compareILb0ELb0ExNS0_19identity_decomposerEEEEE10hipError_tT0_T1_T2_jT3_P12ihipStream_tbPNSt15iterator_traitsISI_E10value_typeEPNSO_ISJ_E10value_typeEPSK_NS1_7vsmem_tEENKUlT_SI_SJ_SK_E_clIPxSD_S10_SD_EESH_SX_SI_SJ_SK_EUlSX_E_NS1_11comp_targetILNS1_3genE9ELNS1_11target_archE1100ELNS1_3gpuE3ELNS1_3repE0EEENS1_48merge_mergepath_partition_config_static_selectorELNS0_4arch9wavefront6targetE1EEEvSJ_.kd
    .uniform_work_group_size: 1
    .uses_dynamic_stack: false
    .vgpr_count:     0
    .vgpr_spill_count: 0
    .wavefront_size: 64
  - .agpr_count:     0
    .args:
      - .offset:         0
        .size:           40
        .value_kind:     by_value
    .group_segment_fixed_size: 0
    .kernarg_segment_align: 8
    .kernarg_segment_size: 40
    .language:       OpenCL C
    .language_version:
      - 2
      - 0
    .max_flat_workgroup_size: 128
    .name:           _ZN7rocprim17ROCPRIM_400000_NS6detail17trampoline_kernelINS0_14default_configENS1_38merge_sort_block_merge_config_selectorIxxEEZZNS1_27merge_sort_block_merge_implIS3_N6thrust23THRUST_200600_302600_NS6detail15normal_iteratorINS8_10device_ptrIxEEEESD_jNS1_19radix_merge_compareILb0ELb0ExNS0_19identity_decomposerEEEEE10hipError_tT0_T1_T2_jT3_P12ihipStream_tbPNSt15iterator_traitsISI_E10value_typeEPNSO_ISJ_E10value_typeEPSK_NS1_7vsmem_tEENKUlT_SI_SJ_SK_E_clIPxSD_S10_SD_EESH_SX_SI_SJ_SK_EUlSX_E_NS1_11comp_targetILNS1_3genE8ELNS1_11target_archE1030ELNS1_3gpuE2ELNS1_3repE0EEENS1_48merge_mergepath_partition_config_static_selectorELNS0_4arch9wavefront6targetE1EEEvSJ_
    .private_segment_fixed_size: 0
    .sgpr_count:     6
    .sgpr_spill_count: 0
    .symbol:         _ZN7rocprim17ROCPRIM_400000_NS6detail17trampoline_kernelINS0_14default_configENS1_38merge_sort_block_merge_config_selectorIxxEEZZNS1_27merge_sort_block_merge_implIS3_N6thrust23THRUST_200600_302600_NS6detail15normal_iteratorINS8_10device_ptrIxEEEESD_jNS1_19radix_merge_compareILb0ELb0ExNS0_19identity_decomposerEEEEE10hipError_tT0_T1_T2_jT3_P12ihipStream_tbPNSt15iterator_traitsISI_E10value_typeEPNSO_ISJ_E10value_typeEPSK_NS1_7vsmem_tEENKUlT_SI_SJ_SK_E_clIPxSD_S10_SD_EESH_SX_SI_SJ_SK_EUlSX_E_NS1_11comp_targetILNS1_3genE8ELNS1_11target_archE1030ELNS1_3gpuE2ELNS1_3repE0EEENS1_48merge_mergepath_partition_config_static_selectorELNS0_4arch9wavefront6targetE1EEEvSJ_.kd
    .uniform_work_group_size: 1
    .uses_dynamic_stack: false
    .vgpr_count:     0
    .vgpr_spill_count: 0
    .wavefront_size: 64
  - .agpr_count:     0
    .args:
      - .offset:         0
        .size:           64
        .value_kind:     by_value
      - .offset:         64
        .size:           4
        .value_kind:     hidden_block_count_x
      - .offset:         68
        .size:           4
        .value_kind:     hidden_block_count_y
      - .offset:         72
        .size:           4
        .value_kind:     hidden_block_count_z
      - .offset:         76
        .size:           2
        .value_kind:     hidden_group_size_x
      - .offset:         78
        .size:           2
        .value_kind:     hidden_group_size_y
      - .offset:         80
        .size:           2
        .value_kind:     hidden_group_size_z
      - .offset:         82
        .size:           2
        .value_kind:     hidden_remainder_x
      - .offset:         84
        .size:           2
        .value_kind:     hidden_remainder_y
      - .offset:         86
        .size:           2
        .value_kind:     hidden_remainder_z
      - .offset:         104
        .size:           8
        .value_kind:     hidden_global_offset_x
      - .offset:         112
        .size:           8
        .value_kind:     hidden_global_offset_y
      - .offset:         120
        .size:           8
        .value_kind:     hidden_global_offset_z
      - .offset:         128
        .size:           2
        .value_kind:     hidden_grid_dims
    .group_segment_fixed_size: 8448
    .kernarg_segment_align: 8
    .kernarg_segment_size: 320
    .language:       OpenCL C
    .language_version:
      - 2
      - 0
    .max_flat_workgroup_size: 512
    .name:           _ZN7rocprim17ROCPRIM_400000_NS6detail17trampoline_kernelINS0_14default_configENS1_38merge_sort_block_merge_config_selectorIxxEEZZNS1_27merge_sort_block_merge_implIS3_N6thrust23THRUST_200600_302600_NS6detail15normal_iteratorINS8_10device_ptrIxEEEESD_jNS1_19radix_merge_compareILb0ELb0ExNS0_19identity_decomposerEEEEE10hipError_tT0_T1_T2_jT3_P12ihipStream_tbPNSt15iterator_traitsISI_E10value_typeEPNSO_ISJ_E10value_typeEPSK_NS1_7vsmem_tEENKUlT_SI_SJ_SK_E_clIPxSD_S10_SD_EESH_SX_SI_SJ_SK_EUlSX_E0_NS1_11comp_targetILNS1_3genE0ELNS1_11target_archE4294967295ELNS1_3gpuE0ELNS1_3repE0EEENS1_38merge_mergepath_config_static_selectorELNS0_4arch9wavefront6targetE1EEEvSJ_
    .private_segment_fixed_size: 0
    .sgpr_count:     36
    .sgpr_spill_count: 0
    .symbol:         _ZN7rocprim17ROCPRIM_400000_NS6detail17trampoline_kernelINS0_14default_configENS1_38merge_sort_block_merge_config_selectorIxxEEZZNS1_27merge_sort_block_merge_implIS3_N6thrust23THRUST_200600_302600_NS6detail15normal_iteratorINS8_10device_ptrIxEEEESD_jNS1_19radix_merge_compareILb0ELb0ExNS0_19identity_decomposerEEEEE10hipError_tT0_T1_T2_jT3_P12ihipStream_tbPNSt15iterator_traitsISI_E10value_typeEPNSO_ISJ_E10value_typeEPSK_NS1_7vsmem_tEENKUlT_SI_SJ_SK_E_clIPxSD_S10_SD_EESH_SX_SI_SJ_SK_EUlSX_E0_NS1_11comp_targetILNS1_3genE0ELNS1_11target_archE4294967295ELNS1_3gpuE0ELNS1_3repE0EEENS1_38merge_mergepath_config_static_selectorELNS0_4arch9wavefront6targetE1EEEvSJ_.kd
    .uniform_work_group_size: 1
    .uses_dynamic_stack: false
    .vgpr_count:     21
    .vgpr_spill_count: 0
    .wavefront_size: 64
  - .agpr_count:     0
    .args:
      - .offset:         0
        .size:           64
        .value_kind:     by_value
    .group_segment_fixed_size: 0
    .kernarg_segment_align: 8
    .kernarg_segment_size: 64
    .language:       OpenCL C
    .language_version:
      - 2
      - 0
    .max_flat_workgroup_size: 512
    .name:           _ZN7rocprim17ROCPRIM_400000_NS6detail17trampoline_kernelINS0_14default_configENS1_38merge_sort_block_merge_config_selectorIxxEEZZNS1_27merge_sort_block_merge_implIS3_N6thrust23THRUST_200600_302600_NS6detail15normal_iteratorINS8_10device_ptrIxEEEESD_jNS1_19radix_merge_compareILb0ELb0ExNS0_19identity_decomposerEEEEE10hipError_tT0_T1_T2_jT3_P12ihipStream_tbPNSt15iterator_traitsISI_E10value_typeEPNSO_ISJ_E10value_typeEPSK_NS1_7vsmem_tEENKUlT_SI_SJ_SK_E_clIPxSD_S10_SD_EESH_SX_SI_SJ_SK_EUlSX_E0_NS1_11comp_targetILNS1_3genE10ELNS1_11target_archE1201ELNS1_3gpuE5ELNS1_3repE0EEENS1_38merge_mergepath_config_static_selectorELNS0_4arch9wavefront6targetE1EEEvSJ_
    .private_segment_fixed_size: 0
    .sgpr_count:     6
    .sgpr_spill_count: 0
    .symbol:         _ZN7rocprim17ROCPRIM_400000_NS6detail17trampoline_kernelINS0_14default_configENS1_38merge_sort_block_merge_config_selectorIxxEEZZNS1_27merge_sort_block_merge_implIS3_N6thrust23THRUST_200600_302600_NS6detail15normal_iteratorINS8_10device_ptrIxEEEESD_jNS1_19radix_merge_compareILb0ELb0ExNS0_19identity_decomposerEEEEE10hipError_tT0_T1_T2_jT3_P12ihipStream_tbPNSt15iterator_traitsISI_E10value_typeEPNSO_ISJ_E10value_typeEPSK_NS1_7vsmem_tEENKUlT_SI_SJ_SK_E_clIPxSD_S10_SD_EESH_SX_SI_SJ_SK_EUlSX_E0_NS1_11comp_targetILNS1_3genE10ELNS1_11target_archE1201ELNS1_3gpuE5ELNS1_3repE0EEENS1_38merge_mergepath_config_static_selectorELNS0_4arch9wavefront6targetE1EEEvSJ_.kd
    .uniform_work_group_size: 1
    .uses_dynamic_stack: false
    .vgpr_count:     0
    .vgpr_spill_count: 0
    .wavefront_size: 64
  - .agpr_count:     0
    .args:
      - .offset:         0
        .size:           64
        .value_kind:     by_value
    .group_segment_fixed_size: 0
    .kernarg_segment_align: 8
    .kernarg_segment_size: 64
    .language:       OpenCL C
    .language_version:
      - 2
      - 0
    .max_flat_workgroup_size: 256
    .name:           _ZN7rocprim17ROCPRIM_400000_NS6detail17trampoline_kernelINS0_14default_configENS1_38merge_sort_block_merge_config_selectorIxxEEZZNS1_27merge_sort_block_merge_implIS3_N6thrust23THRUST_200600_302600_NS6detail15normal_iteratorINS8_10device_ptrIxEEEESD_jNS1_19radix_merge_compareILb0ELb0ExNS0_19identity_decomposerEEEEE10hipError_tT0_T1_T2_jT3_P12ihipStream_tbPNSt15iterator_traitsISI_E10value_typeEPNSO_ISJ_E10value_typeEPSK_NS1_7vsmem_tEENKUlT_SI_SJ_SK_E_clIPxSD_S10_SD_EESH_SX_SI_SJ_SK_EUlSX_E0_NS1_11comp_targetILNS1_3genE5ELNS1_11target_archE942ELNS1_3gpuE9ELNS1_3repE0EEENS1_38merge_mergepath_config_static_selectorELNS0_4arch9wavefront6targetE1EEEvSJ_
    .private_segment_fixed_size: 0
    .sgpr_count:     6
    .sgpr_spill_count: 0
    .symbol:         _ZN7rocprim17ROCPRIM_400000_NS6detail17trampoline_kernelINS0_14default_configENS1_38merge_sort_block_merge_config_selectorIxxEEZZNS1_27merge_sort_block_merge_implIS3_N6thrust23THRUST_200600_302600_NS6detail15normal_iteratorINS8_10device_ptrIxEEEESD_jNS1_19radix_merge_compareILb0ELb0ExNS0_19identity_decomposerEEEEE10hipError_tT0_T1_T2_jT3_P12ihipStream_tbPNSt15iterator_traitsISI_E10value_typeEPNSO_ISJ_E10value_typeEPSK_NS1_7vsmem_tEENKUlT_SI_SJ_SK_E_clIPxSD_S10_SD_EESH_SX_SI_SJ_SK_EUlSX_E0_NS1_11comp_targetILNS1_3genE5ELNS1_11target_archE942ELNS1_3gpuE9ELNS1_3repE0EEENS1_38merge_mergepath_config_static_selectorELNS0_4arch9wavefront6targetE1EEEvSJ_.kd
    .uniform_work_group_size: 1
    .uses_dynamic_stack: false
    .vgpr_count:     0
    .vgpr_spill_count: 0
    .wavefront_size: 64
  - .agpr_count:     0
    .args:
      - .offset:         0
        .size:           64
        .value_kind:     by_value
    .group_segment_fixed_size: 0
    .kernarg_segment_align: 8
    .kernarg_segment_size: 64
    .language:       OpenCL C
    .language_version:
      - 2
      - 0
    .max_flat_workgroup_size: 512
    .name:           _ZN7rocprim17ROCPRIM_400000_NS6detail17trampoline_kernelINS0_14default_configENS1_38merge_sort_block_merge_config_selectorIxxEEZZNS1_27merge_sort_block_merge_implIS3_N6thrust23THRUST_200600_302600_NS6detail15normal_iteratorINS8_10device_ptrIxEEEESD_jNS1_19radix_merge_compareILb0ELb0ExNS0_19identity_decomposerEEEEE10hipError_tT0_T1_T2_jT3_P12ihipStream_tbPNSt15iterator_traitsISI_E10value_typeEPNSO_ISJ_E10value_typeEPSK_NS1_7vsmem_tEENKUlT_SI_SJ_SK_E_clIPxSD_S10_SD_EESH_SX_SI_SJ_SK_EUlSX_E0_NS1_11comp_targetILNS1_3genE4ELNS1_11target_archE910ELNS1_3gpuE8ELNS1_3repE0EEENS1_38merge_mergepath_config_static_selectorELNS0_4arch9wavefront6targetE1EEEvSJ_
    .private_segment_fixed_size: 0
    .sgpr_count:     6
    .sgpr_spill_count: 0
    .symbol:         _ZN7rocprim17ROCPRIM_400000_NS6detail17trampoline_kernelINS0_14default_configENS1_38merge_sort_block_merge_config_selectorIxxEEZZNS1_27merge_sort_block_merge_implIS3_N6thrust23THRUST_200600_302600_NS6detail15normal_iteratorINS8_10device_ptrIxEEEESD_jNS1_19radix_merge_compareILb0ELb0ExNS0_19identity_decomposerEEEEE10hipError_tT0_T1_T2_jT3_P12ihipStream_tbPNSt15iterator_traitsISI_E10value_typeEPNSO_ISJ_E10value_typeEPSK_NS1_7vsmem_tEENKUlT_SI_SJ_SK_E_clIPxSD_S10_SD_EESH_SX_SI_SJ_SK_EUlSX_E0_NS1_11comp_targetILNS1_3genE4ELNS1_11target_archE910ELNS1_3gpuE8ELNS1_3repE0EEENS1_38merge_mergepath_config_static_selectorELNS0_4arch9wavefront6targetE1EEEvSJ_.kd
    .uniform_work_group_size: 1
    .uses_dynamic_stack: false
    .vgpr_count:     0
    .vgpr_spill_count: 0
    .wavefront_size: 64
  - .agpr_count:     0
    .args:
      - .offset:         0
        .size:           64
        .value_kind:     by_value
    .group_segment_fixed_size: 0
    .kernarg_segment_align: 8
    .kernarg_segment_size: 64
    .language:       OpenCL C
    .language_version:
      - 2
      - 0
    .max_flat_workgroup_size: 512
    .name:           _ZN7rocprim17ROCPRIM_400000_NS6detail17trampoline_kernelINS0_14default_configENS1_38merge_sort_block_merge_config_selectorIxxEEZZNS1_27merge_sort_block_merge_implIS3_N6thrust23THRUST_200600_302600_NS6detail15normal_iteratorINS8_10device_ptrIxEEEESD_jNS1_19radix_merge_compareILb0ELb0ExNS0_19identity_decomposerEEEEE10hipError_tT0_T1_T2_jT3_P12ihipStream_tbPNSt15iterator_traitsISI_E10value_typeEPNSO_ISJ_E10value_typeEPSK_NS1_7vsmem_tEENKUlT_SI_SJ_SK_E_clIPxSD_S10_SD_EESH_SX_SI_SJ_SK_EUlSX_E0_NS1_11comp_targetILNS1_3genE3ELNS1_11target_archE908ELNS1_3gpuE7ELNS1_3repE0EEENS1_38merge_mergepath_config_static_selectorELNS0_4arch9wavefront6targetE1EEEvSJ_
    .private_segment_fixed_size: 0
    .sgpr_count:     6
    .sgpr_spill_count: 0
    .symbol:         _ZN7rocprim17ROCPRIM_400000_NS6detail17trampoline_kernelINS0_14default_configENS1_38merge_sort_block_merge_config_selectorIxxEEZZNS1_27merge_sort_block_merge_implIS3_N6thrust23THRUST_200600_302600_NS6detail15normal_iteratorINS8_10device_ptrIxEEEESD_jNS1_19radix_merge_compareILb0ELb0ExNS0_19identity_decomposerEEEEE10hipError_tT0_T1_T2_jT3_P12ihipStream_tbPNSt15iterator_traitsISI_E10value_typeEPNSO_ISJ_E10value_typeEPSK_NS1_7vsmem_tEENKUlT_SI_SJ_SK_E_clIPxSD_S10_SD_EESH_SX_SI_SJ_SK_EUlSX_E0_NS1_11comp_targetILNS1_3genE3ELNS1_11target_archE908ELNS1_3gpuE7ELNS1_3repE0EEENS1_38merge_mergepath_config_static_selectorELNS0_4arch9wavefront6targetE1EEEvSJ_.kd
    .uniform_work_group_size: 1
    .uses_dynamic_stack: false
    .vgpr_count:     0
    .vgpr_spill_count: 0
    .wavefront_size: 64
  - .agpr_count:     0
    .args:
      - .offset:         0
        .size:           64
        .value_kind:     by_value
    .group_segment_fixed_size: 0
    .kernarg_segment_align: 8
    .kernarg_segment_size: 64
    .language:       OpenCL C
    .language_version:
      - 2
      - 0
    .max_flat_workgroup_size: 128
    .name:           _ZN7rocprim17ROCPRIM_400000_NS6detail17trampoline_kernelINS0_14default_configENS1_38merge_sort_block_merge_config_selectorIxxEEZZNS1_27merge_sort_block_merge_implIS3_N6thrust23THRUST_200600_302600_NS6detail15normal_iteratorINS8_10device_ptrIxEEEESD_jNS1_19radix_merge_compareILb0ELb0ExNS0_19identity_decomposerEEEEE10hipError_tT0_T1_T2_jT3_P12ihipStream_tbPNSt15iterator_traitsISI_E10value_typeEPNSO_ISJ_E10value_typeEPSK_NS1_7vsmem_tEENKUlT_SI_SJ_SK_E_clIPxSD_S10_SD_EESH_SX_SI_SJ_SK_EUlSX_E0_NS1_11comp_targetILNS1_3genE2ELNS1_11target_archE906ELNS1_3gpuE6ELNS1_3repE0EEENS1_38merge_mergepath_config_static_selectorELNS0_4arch9wavefront6targetE1EEEvSJ_
    .private_segment_fixed_size: 0
    .sgpr_count:     6
    .sgpr_spill_count: 0
    .symbol:         _ZN7rocprim17ROCPRIM_400000_NS6detail17trampoline_kernelINS0_14default_configENS1_38merge_sort_block_merge_config_selectorIxxEEZZNS1_27merge_sort_block_merge_implIS3_N6thrust23THRUST_200600_302600_NS6detail15normal_iteratorINS8_10device_ptrIxEEEESD_jNS1_19radix_merge_compareILb0ELb0ExNS0_19identity_decomposerEEEEE10hipError_tT0_T1_T2_jT3_P12ihipStream_tbPNSt15iterator_traitsISI_E10value_typeEPNSO_ISJ_E10value_typeEPSK_NS1_7vsmem_tEENKUlT_SI_SJ_SK_E_clIPxSD_S10_SD_EESH_SX_SI_SJ_SK_EUlSX_E0_NS1_11comp_targetILNS1_3genE2ELNS1_11target_archE906ELNS1_3gpuE6ELNS1_3repE0EEENS1_38merge_mergepath_config_static_selectorELNS0_4arch9wavefront6targetE1EEEvSJ_.kd
    .uniform_work_group_size: 1
    .uses_dynamic_stack: false
    .vgpr_count:     0
    .vgpr_spill_count: 0
    .wavefront_size: 64
  - .agpr_count:     0
    .args:
      - .offset:         0
        .size:           64
        .value_kind:     by_value
    .group_segment_fixed_size: 0
    .kernarg_segment_align: 8
    .kernarg_segment_size: 64
    .language:       OpenCL C
    .language_version:
      - 2
      - 0
    .max_flat_workgroup_size: 1024
    .name:           _ZN7rocprim17ROCPRIM_400000_NS6detail17trampoline_kernelINS0_14default_configENS1_38merge_sort_block_merge_config_selectorIxxEEZZNS1_27merge_sort_block_merge_implIS3_N6thrust23THRUST_200600_302600_NS6detail15normal_iteratorINS8_10device_ptrIxEEEESD_jNS1_19radix_merge_compareILb0ELb0ExNS0_19identity_decomposerEEEEE10hipError_tT0_T1_T2_jT3_P12ihipStream_tbPNSt15iterator_traitsISI_E10value_typeEPNSO_ISJ_E10value_typeEPSK_NS1_7vsmem_tEENKUlT_SI_SJ_SK_E_clIPxSD_S10_SD_EESH_SX_SI_SJ_SK_EUlSX_E0_NS1_11comp_targetILNS1_3genE9ELNS1_11target_archE1100ELNS1_3gpuE3ELNS1_3repE0EEENS1_38merge_mergepath_config_static_selectorELNS0_4arch9wavefront6targetE1EEEvSJ_
    .private_segment_fixed_size: 0
    .sgpr_count:     6
    .sgpr_spill_count: 0
    .symbol:         _ZN7rocprim17ROCPRIM_400000_NS6detail17trampoline_kernelINS0_14default_configENS1_38merge_sort_block_merge_config_selectorIxxEEZZNS1_27merge_sort_block_merge_implIS3_N6thrust23THRUST_200600_302600_NS6detail15normal_iteratorINS8_10device_ptrIxEEEESD_jNS1_19radix_merge_compareILb0ELb0ExNS0_19identity_decomposerEEEEE10hipError_tT0_T1_T2_jT3_P12ihipStream_tbPNSt15iterator_traitsISI_E10value_typeEPNSO_ISJ_E10value_typeEPSK_NS1_7vsmem_tEENKUlT_SI_SJ_SK_E_clIPxSD_S10_SD_EESH_SX_SI_SJ_SK_EUlSX_E0_NS1_11comp_targetILNS1_3genE9ELNS1_11target_archE1100ELNS1_3gpuE3ELNS1_3repE0EEENS1_38merge_mergepath_config_static_selectorELNS0_4arch9wavefront6targetE1EEEvSJ_.kd
    .uniform_work_group_size: 1
    .uses_dynamic_stack: false
    .vgpr_count:     0
    .vgpr_spill_count: 0
    .wavefront_size: 64
  - .agpr_count:     0
    .args:
      - .offset:         0
        .size:           64
        .value_kind:     by_value
    .group_segment_fixed_size: 0
    .kernarg_segment_align: 8
    .kernarg_segment_size: 64
    .language:       OpenCL C
    .language_version:
      - 2
      - 0
    .max_flat_workgroup_size: 1024
    .name:           _ZN7rocprim17ROCPRIM_400000_NS6detail17trampoline_kernelINS0_14default_configENS1_38merge_sort_block_merge_config_selectorIxxEEZZNS1_27merge_sort_block_merge_implIS3_N6thrust23THRUST_200600_302600_NS6detail15normal_iteratorINS8_10device_ptrIxEEEESD_jNS1_19radix_merge_compareILb0ELb0ExNS0_19identity_decomposerEEEEE10hipError_tT0_T1_T2_jT3_P12ihipStream_tbPNSt15iterator_traitsISI_E10value_typeEPNSO_ISJ_E10value_typeEPSK_NS1_7vsmem_tEENKUlT_SI_SJ_SK_E_clIPxSD_S10_SD_EESH_SX_SI_SJ_SK_EUlSX_E0_NS1_11comp_targetILNS1_3genE8ELNS1_11target_archE1030ELNS1_3gpuE2ELNS1_3repE0EEENS1_38merge_mergepath_config_static_selectorELNS0_4arch9wavefront6targetE1EEEvSJ_
    .private_segment_fixed_size: 0
    .sgpr_count:     6
    .sgpr_spill_count: 0
    .symbol:         _ZN7rocprim17ROCPRIM_400000_NS6detail17trampoline_kernelINS0_14default_configENS1_38merge_sort_block_merge_config_selectorIxxEEZZNS1_27merge_sort_block_merge_implIS3_N6thrust23THRUST_200600_302600_NS6detail15normal_iteratorINS8_10device_ptrIxEEEESD_jNS1_19radix_merge_compareILb0ELb0ExNS0_19identity_decomposerEEEEE10hipError_tT0_T1_T2_jT3_P12ihipStream_tbPNSt15iterator_traitsISI_E10value_typeEPNSO_ISJ_E10value_typeEPSK_NS1_7vsmem_tEENKUlT_SI_SJ_SK_E_clIPxSD_S10_SD_EESH_SX_SI_SJ_SK_EUlSX_E0_NS1_11comp_targetILNS1_3genE8ELNS1_11target_archE1030ELNS1_3gpuE2ELNS1_3repE0EEENS1_38merge_mergepath_config_static_selectorELNS0_4arch9wavefront6targetE1EEEvSJ_.kd
    .uniform_work_group_size: 1
    .uses_dynamic_stack: false
    .vgpr_count:     0
    .vgpr_spill_count: 0
    .wavefront_size: 64
  - .agpr_count:     0
    .args:
      - .offset:         0
        .size:           48
        .value_kind:     by_value
    .group_segment_fixed_size: 0
    .kernarg_segment_align: 8
    .kernarg_segment_size: 48
    .language:       OpenCL C
    .language_version:
      - 2
      - 0
    .max_flat_workgroup_size: 256
    .name:           _ZN7rocprim17ROCPRIM_400000_NS6detail17trampoline_kernelINS0_14default_configENS1_38merge_sort_block_merge_config_selectorIxxEEZZNS1_27merge_sort_block_merge_implIS3_N6thrust23THRUST_200600_302600_NS6detail15normal_iteratorINS8_10device_ptrIxEEEESD_jNS1_19radix_merge_compareILb0ELb0ExNS0_19identity_decomposerEEEEE10hipError_tT0_T1_T2_jT3_P12ihipStream_tbPNSt15iterator_traitsISI_E10value_typeEPNSO_ISJ_E10value_typeEPSK_NS1_7vsmem_tEENKUlT_SI_SJ_SK_E_clIPxSD_S10_SD_EESH_SX_SI_SJ_SK_EUlSX_E1_NS1_11comp_targetILNS1_3genE0ELNS1_11target_archE4294967295ELNS1_3gpuE0ELNS1_3repE0EEENS1_36merge_oddeven_config_static_selectorELNS0_4arch9wavefront6targetE1EEEvSJ_
    .private_segment_fixed_size: 0
    .sgpr_count:     30
    .sgpr_spill_count: 0
    .symbol:         _ZN7rocprim17ROCPRIM_400000_NS6detail17trampoline_kernelINS0_14default_configENS1_38merge_sort_block_merge_config_selectorIxxEEZZNS1_27merge_sort_block_merge_implIS3_N6thrust23THRUST_200600_302600_NS6detail15normal_iteratorINS8_10device_ptrIxEEEESD_jNS1_19radix_merge_compareILb0ELb0ExNS0_19identity_decomposerEEEEE10hipError_tT0_T1_T2_jT3_P12ihipStream_tbPNSt15iterator_traitsISI_E10value_typeEPNSO_ISJ_E10value_typeEPSK_NS1_7vsmem_tEENKUlT_SI_SJ_SK_E_clIPxSD_S10_SD_EESH_SX_SI_SJ_SK_EUlSX_E1_NS1_11comp_targetILNS1_3genE0ELNS1_11target_archE4294967295ELNS1_3gpuE0ELNS1_3repE0EEENS1_36merge_oddeven_config_static_selectorELNS0_4arch9wavefront6targetE1EEEvSJ_.kd
    .uniform_work_group_size: 1
    .uses_dynamic_stack: false
    .vgpr_count:     13
    .vgpr_spill_count: 0
    .wavefront_size: 64
  - .agpr_count:     0
    .args:
      - .offset:         0
        .size:           48
        .value_kind:     by_value
    .group_segment_fixed_size: 0
    .kernarg_segment_align: 8
    .kernarg_segment_size: 48
    .language:       OpenCL C
    .language_version:
      - 2
      - 0
    .max_flat_workgroup_size: 256
    .name:           _ZN7rocprim17ROCPRIM_400000_NS6detail17trampoline_kernelINS0_14default_configENS1_38merge_sort_block_merge_config_selectorIxxEEZZNS1_27merge_sort_block_merge_implIS3_N6thrust23THRUST_200600_302600_NS6detail15normal_iteratorINS8_10device_ptrIxEEEESD_jNS1_19radix_merge_compareILb0ELb0ExNS0_19identity_decomposerEEEEE10hipError_tT0_T1_T2_jT3_P12ihipStream_tbPNSt15iterator_traitsISI_E10value_typeEPNSO_ISJ_E10value_typeEPSK_NS1_7vsmem_tEENKUlT_SI_SJ_SK_E_clIPxSD_S10_SD_EESH_SX_SI_SJ_SK_EUlSX_E1_NS1_11comp_targetILNS1_3genE10ELNS1_11target_archE1201ELNS1_3gpuE5ELNS1_3repE0EEENS1_36merge_oddeven_config_static_selectorELNS0_4arch9wavefront6targetE1EEEvSJ_
    .private_segment_fixed_size: 0
    .sgpr_count:     6
    .sgpr_spill_count: 0
    .symbol:         _ZN7rocprim17ROCPRIM_400000_NS6detail17trampoline_kernelINS0_14default_configENS1_38merge_sort_block_merge_config_selectorIxxEEZZNS1_27merge_sort_block_merge_implIS3_N6thrust23THRUST_200600_302600_NS6detail15normal_iteratorINS8_10device_ptrIxEEEESD_jNS1_19radix_merge_compareILb0ELb0ExNS0_19identity_decomposerEEEEE10hipError_tT0_T1_T2_jT3_P12ihipStream_tbPNSt15iterator_traitsISI_E10value_typeEPNSO_ISJ_E10value_typeEPSK_NS1_7vsmem_tEENKUlT_SI_SJ_SK_E_clIPxSD_S10_SD_EESH_SX_SI_SJ_SK_EUlSX_E1_NS1_11comp_targetILNS1_3genE10ELNS1_11target_archE1201ELNS1_3gpuE5ELNS1_3repE0EEENS1_36merge_oddeven_config_static_selectorELNS0_4arch9wavefront6targetE1EEEvSJ_.kd
    .uniform_work_group_size: 1
    .uses_dynamic_stack: false
    .vgpr_count:     0
    .vgpr_spill_count: 0
    .wavefront_size: 64
  - .agpr_count:     0
    .args:
      - .offset:         0
        .size:           48
        .value_kind:     by_value
    .group_segment_fixed_size: 0
    .kernarg_segment_align: 8
    .kernarg_segment_size: 48
    .language:       OpenCL C
    .language_version:
      - 2
      - 0
    .max_flat_workgroup_size: 256
    .name:           _ZN7rocprim17ROCPRIM_400000_NS6detail17trampoline_kernelINS0_14default_configENS1_38merge_sort_block_merge_config_selectorIxxEEZZNS1_27merge_sort_block_merge_implIS3_N6thrust23THRUST_200600_302600_NS6detail15normal_iteratorINS8_10device_ptrIxEEEESD_jNS1_19radix_merge_compareILb0ELb0ExNS0_19identity_decomposerEEEEE10hipError_tT0_T1_T2_jT3_P12ihipStream_tbPNSt15iterator_traitsISI_E10value_typeEPNSO_ISJ_E10value_typeEPSK_NS1_7vsmem_tEENKUlT_SI_SJ_SK_E_clIPxSD_S10_SD_EESH_SX_SI_SJ_SK_EUlSX_E1_NS1_11comp_targetILNS1_3genE5ELNS1_11target_archE942ELNS1_3gpuE9ELNS1_3repE0EEENS1_36merge_oddeven_config_static_selectorELNS0_4arch9wavefront6targetE1EEEvSJ_
    .private_segment_fixed_size: 0
    .sgpr_count:     6
    .sgpr_spill_count: 0
    .symbol:         _ZN7rocprim17ROCPRIM_400000_NS6detail17trampoline_kernelINS0_14default_configENS1_38merge_sort_block_merge_config_selectorIxxEEZZNS1_27merge_sort_block_merge_implIS3_N6thrust23THRUST_200600_302600_NS6detail15normal_iteratorINS8_10device_ptrIxEEEESD_jNS1_19radix_merge_compareILb0ELb0ExNS0_19identity_decomposerEEEEE10hipError_tT0_T1_T2_jT3_P12ihipStream_tbPNSt15iterator_traitsISI_E10value_typeEPNSO_ISJ_E10value_typeEPSK_NS1_7vsmem_tEENKUlT_SI_SJ_SK_E_clIPxSD_S10_SD_EESH_SX_SI_SJ_SK_EUlSX_E1_NS1_11comp_targetILNS1_3genE5ELNS1_11target_archE942ELNS1_3gpuE9ELNS1_3repE0EEENS1_36merge_oddeven_config_static_selectorELNS0_4arch9wavefront6targetE1EEEvSJ_.kd
    .uniform_work_group_size: 1
    .uses_dynamic_stack: false
    .vgpr_count:     0
    .vgpr_spill_count: 0
    .wavefront_size: 64
  - .agpr_count:     0
    .args:
      - .offset:         0
        .size:           48
        .value_kind:     by_value
    .group_segment_fixed_size: 0
    .kernarg_segment_align: 8
    .kernarg_segment_size: 48
    .language:       OpenCL C
    .language_version:
      - 2
      - 0
    .max_flat_workgroup_size: 256
    .name:           _ZN7rocprim17ROCPRIM_400000_NS6detail17trampoline_kernelINS0_14default_configENS1_38merge_sort_block_merge_config_selectorIxxEEZZNS1_27merge_sort_block_merge_implIS3_N6thrust23THRUST_200600_302600_NS6detail15normal_iteratorINS8_10device_ptrIxEEEESD_jNS1_19radix_merge_compareILb0ELb0ExNS0_19identity_decomposerEEEEE10hipError_tT0_T1_T2_jT3_P12ihipStream_tbPNSt15iterator_traitsISI_E10value_typeEPNSO_ISJ_E10value_typeEPSK_NS1_7vsmem_tEENKUlT_SI_SJ_SK_E_clIPxSD_S10_SD_EESH_SX_SI_SJ_SK_EUlSX_E1_NS1_11comp_targetILNS1_3genE4ELNS1_11target_archE910ELNS1_3gpuE8ELNS1_3repE0EEENS1_36merge_oddeven_config_static_selectorELNS0_4arch9wavefront6targetE1EEEvSJ_
    .private_segment_fixed_size: 0
    .sgpr_count:     6
    .sgpr_spill_count: 0
    .symbol:         _ZN7rocprim17ROCPRIM_400000_NS6detail17trampoline_kernelINS0_14default_configENS1_38merge_sort_block_merge_config_selectorIxxEEZZNS1_27merge_sort_block_merge_implIS3_N6thrust23THRUST_200600_302600_NS6detail15normal_iteratorINS8_10device_ptrIxEEEESD_jNS1_19radix_merge_compareILb0ELb0ExNS0_19identity_decomposerEEEEE10hipError_tT0_T1_T2_jT3_P12ihipStream_tbPNSt15iterator_traitsISI_E10value_typeEPNSO_ISJ_E10value_typeEPSK_NS1_7vsmem_tEENKUlT_SI_SJ_SK_E_clIPxSD_S10_SD_EESH_SX_SI_SJ_SK_EUlSX_E1_NS1_11comp_targetILNS1_3genE4ELNS1_11target_archE910ELNS1_3gpuE8ELNS1_3repE0EEENS1_36merge_oddeven_config_static_selectorELNS0_4arch9wavefront6targetE1EEEvSJ_.kd
    .uniform_work_group_size: 1
    .uses_dynamic_stack: false
    .vgpr_count:     0
    .vgpr_spill_count: 0
    .wavefront_size: 64
  - .agpr_count:     0
    .args:
      - .offset:         0
        .size:           48
        .value_kind:     by_value
    .group_segment_fixed_size: 0
    .kernarg_segment_align: 8
    .kernarg_segment_size: 48
    .language:       OpenCL C
    .language_version:
      - 2
      - 0
    .max_flat_workgroup_size: 256
    .name:           _ZN7rocprim17ROCPRIM_400000_NS6detail17trampoline_kernelINS0_14default_configENS1_38merge_sort_block_merge_config_selectorIxxEEZZNS1_27merge_sort_block_merge_implIS3_N6thrust23THRUST_200600_302600_NS6detail15normal_iteratorINS8_10device_ptrIxEEEESD_jNS1_19radix_merge_compareILb0ELb0ExNS0_19identity_decomposerEEEEE10hipError_tT0_T1_T2_jT3_P12ihipStream_tbPNSt15iterator_traitsISI_E10value_typeEPNSO_ISJ_E10value_typeEPSK_NS1_7vsmem_tEENKUlT_SI_SJ_SK_E_clIPxSD_S10_SD_EESH_SX_SI_SJ_SK_EUlSX_E1_NS1_11comp_targetILNS1_3genE3ELNS1_11target_archE908ELNS1_3gpuE7ELNS1_3repE0EEENS1_36merge_oddeven_config_static_selectorELNS0_4arch9wavefront6targetE1EEEvSJ_
    .private_segment_fixed_size: 0
    .sgpr_count:     6
    .sgpr_spill_count: 0
    .symbol:         _ZN7rocprim17ROCPRIM_400000_NS6detail17trampoline_kernelINS0_14default_configENS1_38merge_sort_block_merge_config_selectorIxxEEZZNS1_27merge_sort_block_merge_implIS3_N6thrust23THRUST_200600_302600_NS6detail15normal_iteratorINS8_10device_ptrIxEEEESD_jNS1_19radix_merge_compareILb0ELb0ExNS0_19identity_decomposerEEEEE10hipError_tT0_T1_T2_jT3_P12ihipStream_tbPNSt15iterator_traitsISI_E10value_typeEPNSO_ISJ_E10value_typeEPSK_NS1_7vsmem_tEENKUlT_SI_SJ_SK_E_clIPxSD_S10_SD_EESH_SX_SI_SJ_SK_EUlSX_E1_NS1_11comp_targetILNS1_3genE3ELNS1_11target_archE908ELNS1_3gpuE7ELNS1_3repE0EEENS1_36merge_oddeven_config_static_selectorELNS0_4arch9wavefront6targetE1EEEvSJ_.kd
    .uniform_work_group_size: 1
    .uses_dynamic_stack: false
    .vgpr_count:     0
    .vgpr_spill_count: 0
    .wavefront_size: 64
  - .agpr_count:     0
    .args:
      - .offset:         0
        .size:           48
        .value_kind:     by_value
    .group_segment_fixed_size: 0
    .kernarg_segment_align: 8
    .kernarg_segment_size: 48
    .language:       OpenCL C
    .language_version:
      - 2
      - 0
    .max_flat_workgroup_size: 256
    .name:           _ZN7rocprim17ROCPRIM_400000_NS6detail17trampoline_kernelINS0_14default_configENS1_38merge_sort_block_merge_config_selectorIxxEEZZNS1_27merge_sort_block_merge_implIS3_N6thrust23THRUST_200600_302600_NS6detail15normal_iteratorINS8_10device_ptrIxEEEESD_jNS1_19radix_merge_compareILb0ELb0ExNS0_19identity_decomposerEEEEE10hipError_tT0_T1_T2_jT3_P12ihipStream_tbPNSt15iterator_traitsISI_E10value_typeEPNSO_ISJ_E10value_typeEPSK_NS1_7vsmem_tEENKUlT_SI_SJ_SK_E_clIPxSD_S10_SD_EESH_SX_SI_SJ_SK_EUlSX_E1_NS1_11comp_targetILNS1_3genE2ELNS1_11target_archE906ELNS1_3gpuE6ELNS1_3repE0EEENS1_36merge_oddeven_config_static_selectorELNS0_4arch9wavefront6targetE1EEEvSJ_
    .private_segment_fixed_size: 0
    .sgpr_count:     6
    .sgpr_spill_count: 0
    .symbol:         _ZN7rocprim17ROCPRIM_400000_NS6detail17trampoline_kernelINS0_14default_configENS1_38merge_sort_block_merge_config_selectorIxxEEZZNS1_27merge_sort_block_merge_implIS3_N6thrust23THRUST_200600_302600_NS6detail15normal_iteratorINS8_10device_ptrIxEEEESD_jNS1_19radix_merge_compareILb0ELb0ExNS0_19identity_decomposerEEEEE10hipError_tT0_T1_T2_jT3_P12ihipStream_tbPNSt15iterator_traitsISI_E10value_typeEPNSO_ISJ_E10value_typeEPSK_NS1_7vsmem_tEENKUlT_SI_SJ_SK_E_clIPxSD_S10_SD_EESH_SX_SI_SJ_SK_EUlSX_E1_NS1_11comp_targetILNS1_3genE2ELNS1_11target_archE906ELNS1_3gpuE6ELNS1_3repE0EEENS1_36merge_oddeven_config_static_selectorELNS0_4arch9wavefront6targetE1EEEvSJ_.kd
    .uniform_work_group_size: 1
    .uses_dynamic_stack: false
    .vgpr_count:     0
    .vgpr_spill_count: 0
    .wavefront_size: 64
  - .agpr_count:     0
    .args:
      - .offset:         0
        .size:           48
        .value_kind:     by_value
    .group_segment_fixed_size: 0
    .kernarg_segment_align: 8
    .kernarg_segment_size: 48
    .language:       OpenCL C
    .language_version:
      - 2
      - 0
    .max_flat_workgroup_size: 256
    .name:           _ZN7rocprim17ROCPRIM_400000_NS6detail17trampoline_kernelINS0_14default_configENS1_38merge_sort_block_merge_config_selectorIxxEEZZNS1_27merge_sort_block_merge_implIS3_N6thrust23THRUST_200600_302600_NS6detail15normal_iteratorINS8_10device_ptrIxEEEESD_jNS1_19radix_merge_compareILb0ELb0ExNS0_19identity_decomposerEEEEE10hipError_tT0_T1_T2_jT3_P12ihipStream_tbPNSt15iterator_traitsISI_E10value_typeEPNSO_ISJ_E10value_typeEPSK_NS1_7vsmem_tEENKUlT_SI_SJ_SK_E_clIPxSD_S10_SD_EESH_SX_SI_SJ_SK_EUlSX_E1_NS1_11comp_targetILNS1_3genE9ELNS1_11target_archE1100ELNS1_3gpuE3ELNS1_3repE0EEENS1_36merge_oddeven_config_static_selectorELNS0_4arch9wavefront6targetE1EEEvSJ_
    .private_segment_fixed_size: 0
    .sgpr_count:     6
    .sgpr_spill_count: 0
    .symbol:         _ZN7rocprim17ROCPRIM_400000_NS6detail17trampoline_kernelINS0_14default_configENS1_38merge_sort_block_merge_config_selectorIxxEEZZNS1_27merge_sort_block_merge_implIS3_N6thrust23THRUST_200600_302600_NS6detail15normal_iteratorINS8_10device_ptrIxEEEESD_jNS1_19radix_merge_compareILb0ELb0ExNS0_19identity_decomposerEEEEE10hipError_tT0_T1_T2_jT3_P12ihipStream_tbPNSt15iterator_traitsISI_E10value_typeEPNSO_ISJ_E10value_typeEPSK_NS1_7vsmem_tEENKUlT_SI_SJ_SK_E_clIPxSD_S10_SD_EESH_SX_SI_SJ_SK_EUlSX_E1_NS1_11comp_targetILNS1_3genE9ELNS1_11target_archE1100ELNS1_3gpuE3ELNS1_3repE0EEENS1_36merge_oddeven_config_static_selectorELNS0_4arch9wavefront6targetE1EEEvSJ_.kd
    .uniform_work_group_size: 1
    .uses_dynamic_stack: false
    .vgpr_count:     0
    .vgpr_spill_count: 0
    .wavefront_size: 64
  - .agpr_count:     0
    .args:
      - .offset:         0
        .size:           48
        .value_kind:     by_value
    .group_segment_fixed_size: 0
    .kernarg_segment_align: 8
    .kernarg_segment_size: 48
    .language:       OpenCL C
    .language_version:
      - 2
      - 0
    .max_flat_workgroup_size: 256
    .name:           _ZN7rocprim17ROCPRIM_400000_NS6detail17trampoline_kernelINS0_14default_configENS1_38merge_sort_block_merge_config_selectorIxxEEZZNS1_27merge_sort_block_merge_implIS3_N6thrust23THRUST_200600_302600_NS6detail15normal_iteratorINS8_10device_ptrIxEEEESD_jNS1_19radix_merge_compareILb0ELb0ExNS0_19identity_decomposerEEEEE10hipError_tT0_T1_T2_jT3_P12ihipStream_tbPNSt15iterator_traitsISI_E10value_typeEPNSO_ISJ_E10value_typeEPSK_NS1_7vsmem_tEENKUlT_SI_SJ_SK_E_clIPxSD_S10_SD_EESH_SX_SI_SJ_SK_EUlSX_E1_NS1_11comp_targetILNS1_3genE8ELNS1_11target_archE1030ELNS1_3gpuE2ELNS1_3repE0EEENS1_36merge_oddeven_config_static_selectorELNS0_4arch9wavefront6targetE1EEEvSJ_
    .private_segment_fixed_size: 0
    .sgpr_count:     6
    .sgpr_spill_count: 0
    .symbol:         _ZN7rocprim17ROCPRIM_400000_NS6detail17trampoline_kernelINS0_14default_configENS1_38merge_sort_block_merge_config_selectorIxxEEZZNS1_27merge_sort_block_merge_implIS3_N6thrust23THRUST_200600_302600_NS6detail15normal_iteratorINS8_10device_ptrIxEEEESD_jNS1_19radix_merge_compareILb0ELb0ExNS0_19identity_decomposerEEEEE10hipError_tT0_T1_T2_jT3_P12ihipStream_tbPNSt15iterator_traitsISI_E10value_typeEPNSO_ISJ_E10value_typeEPSK_NS1_7vsmem_tEENKUlT_SI_SJ_SK_E_clIPxSD_S10_SD_EESH_SX_SI_SJ_SK_EUlSX_E1_NS1_11comp_targetILNS1_3genE8ELNS1_11target_archE1030ELNS1_3gpuE2ELNS1_3repE0EEENS1_36merge_oddeven_config_static_selectorELNS0_4arch9wavefront6targetE1EEEvSJ_.kd
    .uniform_work_group_size: 1
    .uses_dynamic_stack: false
    .vgpr_count:     0
    .vgpr_spill_count: 0
    .wavefront_size: 64
  - .agpr_count:     0
    .args:
      - .offset:         0
        .size:           40
        .value_kind:     by_value
    .group_segment_fixed_size: 0
    .kernarg_segment_align: 8
    .kernarg_segment_size: 40
    .language:       OpenCL C
    .language_version:
      - 2
      - 0
    .max_flat_workgroup_size: 128
    .name:           _ZN7rocprim17ROCPRIM_400000_NS6detail17trampoline_kernelINS0_14default_configENS1_38merge_sort_block_merge_config_selectorIxxEEZZNS1_27merge_sort_block_merge_implIS3_N6thrust23THRUST_200600_302600_NS6detail15normal_iteratorINS8_10device_ptrIxEEEESD_jNS1_19radix_merge_compareILb0ELb0ExNS0_19identity_decomposerEEEEE10hipError_tT0_T1_T2_jT3_P12ihipStream_tbPNSt15iterator_traitsISI_E10value_typeEPNSO_ISJ_E10value_typeEPSK_NS1_7vsmem_tEENKUlT_SI_SJ_SK_E_clISD_PxSD_S10_EESH_SX_SI_SJ_SK_EUlSX_E_NS1_11comp_targetILNS1_3genE0ELNS1_11target_archE4294967295ELNS1_3gpuE0ELNS1_3repE0EEENS1_48merge_mergepath_partition_config_static_selectorELNS0_4arch9wavefront6targetE1EEEvSJ_
    .private_segment_fixed_size: 0
    .sgpr_count:     14
    .sgpr_spill_count: 0
    .symbol:         _ZN7rocprim17ROCPRIM_400000_NS6detail17trampoline_kernelINS0_14default_configENS1_38merge_sort_block_merge_config_selectorIxxEEZZNS1_27merge_sort_block_merge_implIS3_N6thrust23THRUST_200600_302600_NS6detail15normal_iteratorINS8_10device_ptrIxEEEESD_jNS1_19radix_merge_compareILb0ELb0ExNS0_19identity_decomposerEEEEE10hipError_tT0_T1_T2_jT3_P12ihipStream_tbPNSt15iterator_traitsISI_E10value_typeEPNSO_ISJ_E10value_typeEPSK_NS1_7vsmem_tEENKUlT_SI_SJ_SK_E_clISD_PxSD_S10_EESH_SX_SI_SJ_SK_EUlSX_E_NS1_11comp_targetILNS1_3genE0ELNS1_11target_archE4294967295ELNS1_3gpuE0ELNS1_3repE0EEENS1_48merge_mergepath_partition_config_static_selectorELNS0_4arch9wavefront6targetE1EEEvSJ_.kd
    .uniform_work_group_size: 1
    .uses_dynamic_stack: false
    .vgpr_count:     20
    .vgpr_spill_count: 0
    .wavefront_size: 64
  - .agpr_count:     0
    .args:
      - .offset:         0
        .size:           40
        .value_kind:     by_value
    .group_segment_fixed_size: 0
    .kernarg_segment_align: 8
    .kernarg_segment_size: 40
    .language:       OpenCL C
    .language_version:
      - 2
      - 0
    .max_flat_workgroup_size: 128
    .name:           _ZN7rocprim17ROCPRIM_400000_NS6detail17trampoline_kernelINS0_14default_configENS1_38merge_sort_block_merge_config_selectorIxxEEZZNS1_27merge_sort_block_merge_implIS3_N6thrust23THRUST_200600_302600_NS6detail15normal_iteratorINS8_10device_ptrIxEEEESD_jNS1_19radix_merge_compareILb0ELb0ExNS0_19identity_decomposerEEEEE10hipError_tT0_T1_T2_jT3_P12ihipStream_tbPNSt15iterator_traitsISI_E10value_typeEPNSO_ISJ_E10value_typeEPSK_NS1_7vsmem_tEENKUlT_SI_SJ_SK_E_clISD_PxSD_S10_EESH_SX_SI_SJ_SK_EUlSX_E_NS1_11comp_targetILNS1_3genE10ELNS1_11target_archE1201ELNS1_3gpuE5ELNS1_3repE0EEENS1_48merge_mergepath_partition_config_static_selectorELNS0_4arch9wavefront6targetE1EEEvSJ_
    .private_segment_fixed_size: 0
    .sgpr_count:     6
    .sgpr_spill_count: 0
    .symbol:         _ZN7rocprim17ROCPRIM_400000_NS6detail17trampoline_kernelINS0_14default_configENS1_38merge_sort_block_merge_config_selectorIxxEEZZNS1_27merge_sort_block_merge_implIS3_N6thrust23THRUST_200600_302600_NS6detail15normal_iteratorINS8_10device_ptrIxEEEESD_jNS1_19radix_merge_compareILb0ELb0ExNS0_19identity_decomposerEEEEE10hipError_tT0_T1_T2_jT3_P12ihipStream_tbPNSt15iterator_traitsISI_E10value_typeEPNSO_ISJ_E10value_typeEPSK_NS1_7vsmem_tEENKUlT_SI_SJ_SK_E_clISD_PxSD_S10_EESH_SX_SI_SJ_SK_EUlSX_E_NS1_11comp_targetILNS1_3genE10ELNS1_11target_archE1201ELNS1_3gpuE5ELNS1_3repE0EEENS1_48merge_mergepath_partition_config_static_selectorELNS0_4arch9wavefront6targetE1EEEvSJ_.kd
    .uniform_work_group_size: 1
    .uses_dynamic_stack: false
    .vgpr_count:     0
    .vgpr_spill_count: 0
    .wavefront_size: 64
  - .agpr_count:     0
    .args:
      - .offset:         0
        .size:           40
        .value_kind:     by_value
    .group_segment_fixed_size: 0
    .kernarg_segment_align: 8
    .kernarg_segment_size: 40
    .language:       OpenCL C
    .language_version:
      - 2
      - 0
    .max_flat_workgroup_size: 128
    .name:           _ZN7rocprim17ROCPRIM_400000_NS6detail17trampoline_kernelINS0_14default_configENS1_38merge_sort_block_merge_config_selectorIxxEEZZNS1_27merge_sort_block_merge_implIS3_N6thrust23THRUST_200600_302600_NS6detail15normal_iteratorINS8_10device_ptrIxEEEESD_jNS1_19radix_merge_compareILb0ELb0ExNS0_19identity_decomposerEEEEE10hipError_tT0_T1_T2_jT3_P12ihipStream_tbPNSt15iterator_traitsISI_E10value_typeEPNSO_ISJ_E10value_typeEPSK_NS1_7vsmem_tEENKUlT_SI_SJ_SK_E_clISD_PxSD_S10_EESH_SX_SI_SJ_SK_EUlSX_E_NS1_11comp_targetILNS1_3genE5ELNS1_11target_archE942ELNS1_3gpuE9ELNS1_3repE0EEENS1_48merge_mergepath_partition_config_static_selectorELNS0_4arch9wavefront6targetE1EEEvSJ_
    .private_segment_fixed_size: 0
    .sgpr_count:     6
    .sgpr_spill_count: 0
    .symbol:         _ZN7rocprim17ROCPRIM_400000_NS6detail17trampoline_kernelINS0_14default_configENS1_38merge_sort_block_merge_config_selectorIxxEEZZNS1_27merge_sort_block_merge_implIS3_N6thrust23THRUST_200600_302600_NS6detail15normal_iteratorINS8_10device_ptrIxEEEESD_jNS1_19radix_merge_compareILb0ELb0ExNS0_19identity_decomposerEEEEE10hipError_tT0_T1_T2_jT3_P12ihipStream_tbPNSt15iterator_traitsISI_E10value_typeEPNSO_ISJ_E10value_typeEPSK_NS1_7vsmem_tEENKUlT_SI_SJ_SK_E_clISD_PxSD_S10_EESH_SX_SI_SJ_SK_EUlSX_E_NS1_11comp_targetILNS1_3genE5ELNS1_11target_archE942ELNS1_3gpuE9ELNS1_3repE0EEENS1_48merge_mergepath_partition_config_static_selectorELNS0_4arch9wavefront6targetE1EEEvSJ_.kd
    .uniform_work_group_size: 1
    .uses_dynamic_stack: false
    .vgpr_count:     0
    .vgpr_spill_count: 0
    .wavefront_size: 64
  - .agpr_count:     0
    .args:
      - .offset:         0
        .size:           40
        .value_kind:     by_value
    .group_segment_fixed_size: 0
    .kernarg_segment_align: 8
    .kernarg_segment_size: 40
    .language:       OpenCL C
    .language_version:
      - 2
      - 0
    .max_flat_workgroup_size: 128
    .name:           _ZN7rocprim17ROCPRIM_400000_NS6detail17trampoline_kernelINS0_14default_configENS1_38merge_sort_block_merge_config_selectorIxxEEZZNS1_27merge_sort_block_merge_implIS3_N6thrust23THRUST_200600_302600_NS6detail15normal_iteratorINS8_10device_ptrIxEEEESD_jNS1_19radix_merge_compareILb0ELb0ExNS0_19identity_decomposerEEEEE10hipError_tT0_T1_T2_jT3_P12ihipStream_tbPNSt15iterator_traitsISI_E10value_typeEPNSO_ISJ_E10value_typeEPSK_NS1_7vsmem_tEENKUlT_SI_SJ_SK_E_clISD_PxSD_S10_EESH_SX_SI_SJ_SK_EUlSX_E_NS1_11comp_targetILNS1_3genE4ELNS1_11target_archE910ELNS1_3gpuE8ELNS1_3repE0EEENS1_48merge_mergepath_partition_config_static_selectorELNS0_4arch9wavefront6targetE1EEEvSJ_
    .private_segment_fixed_size: 0
    .sgpr_count:     6
    .sgpr_spill_count: 0
    .symbol:         _ZN7rocprim17ROCPRIM_400000_NS6detail17trampoline_kernelINS0_14default_configENS1_38merge_sort_block_merge_config_selectorIxxEEZZNS1_27merge_sort_block_merge_implIS3_N6thrust23THRUST_200600_302600_NS6detail15normal_iteratorINS8_10device_ptrIxEEEESD_jNS1_19radix_merge_compareILb0ELb0ExNS0_19identity_decomposerEEEEE10hipError_tT0_T1_T2_jT3_P12ihipStream_tbPNSt15iterator_traitsISI_E10value_typeEPNSO_ISJ_E10value_typeEPSK_NS1_7vsmem_tEENKUlT_SI_SJ_SK_E_clISD_PxSD_S10_EESH_SX_SI_SJ_SK_EUlSX_E_NS1_11comp_targetILNS1_3genE4ELNS1_11target_archE910ELNS1_3gpuE8ELNS1_3repE0EEENS1_48merge_mergepath_partition_config_static_selectorELNS0_4arch9wavefront6targetE1EEEvSJ_.kd
    .uniform_work_group_size: 1
    .uses_dynamic_stack: false
    .vgpr_count:     0
    .vgpr_spill_count: 0
    .wavefront_size: 64
  - .agpr_count:     0
    .args:
      - .offset:         0
        .size:           40
        .value_kind:     by_value
    .group_segment_fixed_size: 0
    .kernarg_segment_align: 8
    .kernarg_segment_size: 40
    .language:       OpenCL C
    .language_version:
      - 2
      - 0
    .max_flat_workgroup_size: 128
    .name:           _ZN7rocprim17ROCPRIM_400000_NS6detail17trampoline_kernelINS0_14default_configENS1_38merge_sort_block_merge_config_selectorIxxEEZZNS1_27merge_sort_block_merge_implIS3_N6thrust23THRUST_200600_302600_NS6detail15normal_iteratorINS8_10device_ptrIxEEEESD_jNS1_19radix_merge_compareILb0ELb0ExNS0_19identity_decomposerEEEEE10hipError_tT0_T1_T2_jT3_P12ihipStream_tbPNSt15iterator_traitsISI_E10value_typeEPNSO_ISJ_E10value_typeEPSK_NS1_7vsmem_tEENKUlT_SI_SJ_SK_E_clISD_PxSD_S10_EESH_SX_SI_SJ_SK_EUlSX_E_NS1_11comp_targetILNS1_3genE3ELNS1_11target_archE908ELNS1_3gpuE7ELNS1_3repE0EEENS1_48merge_mergepath_partition_config_static_selectorELNS0_4arch9wavefront6targetE1EEEvSJ_
    .private_segment_fixed_size: 0
    .sgpr_count:     6
    .sgpr_spill_count: 0
    .symbol:         _ZN7rocprim17ROCPRIM_400000_NS6detail17trampoline_kernelINS0_14default_configENS1_38merge_sort_block_merge_config_selectorIxxEEZZNS1_27merge_sort_block_merge_implIS3_N6thrust23THRUST_200600_302600_NS6detail15normal_iteratorINS8_10device_ptrIxEEEESD_jNS1_19radix_merge_compareILb0ELb0ExNS0_19identity_decomposerEEEEE10hipError_tT0_T1_T2_jT3_P12ihipStream_tbPNSt15iterator_traitsISI_E10value_typeEPNSO_ISJ_E10value_typeEPSK_NS1_7vsmem_tEENKUlT_SI_SJ_SK_E_clISD_PxSD_S10_EESH_SX_SI_SJ_SK_EUlSX_E_NS1_11comp_targetILNS1_3genE3ELNS1_11target_archE908ELNS1_3gpuE7ELNS1_3repE0EEENS1_48merge_mergepath_partition_config_static_selectorELNS0_4arch9wavefront6targetE1EEEvSJ_.kd
    .uniform_work_group_size: 1
    .uses_dynamic_stack: false
    .vgpr_count:     0
    .vgpr_spill_count: 0
    .wavefront_size: 64
  - .agpr_count:     0
    .args:
      - .offset:         0
        .size:           40
        .value_kind:     by_value
    .group_segment_fixed_size: 0
    .kernarg_segment_align: 8
    .kernarg_segment_size: 40
    .language:       OpenCL C
    .language_version:
      - 2
      - 0
    .max_flat_workgroup_size: 128
    .name:           _ZN7rocprim17ROCPRIM_400000_NS6detail17trampoline_kernelINS0_14default_configENS1_38merge_sort_block_merge_config_selectorIxxEEZZNS1_27merge_sort_block_merge_implIS3_N6thrust23THRUST_200600_302600_NS6detail15normal_iteratorINS8_10device_ptrIxEEEESD_jNS1_19radix_merge_compareILb0ELb0ExNS0_19identity_decomposerEEEEE10hipError_tT0_T1_T2_jT3_P12ihipStream_tbPNSt15iterator_traitsISI_E10value_typeEPNSO_ISJ_E10value_typeEPSK_NS1_7vsmem_tEENKUlT_SI_SJ_SK_E_clISD_PxSD_S10_EESH_SX_SI_SJ_SK_EUlSX_E_NS1_11comp_targetILNS1_3genE2ELNS1_11target_archE906ELNS1_3gpuE6ELNS1_3repE0EEENS1_48merge_mergepath_partition_config_static_selectorELNS0_4arch9wavefront6targetE1EEEvSJ_
    .private_segment_fixed_size: 0
    .sgpr_count:     6
    .sgpr_spill_count: 0
    .symbol:         _ZN7rocprim17ROCPRIM_400000_NS6detail17trampoline_kernelINS0_14default_configENS1_38merge_sort_block_merge_config_selectorIxxEEZZNS1_27merge_sort_block_merge_implIS3_N6thrust23THRUST_200600_302600_NS6detail15normal_iteratorINS8_10device_ptrIxEEEESD_jNS1_19radix_merge_compareILb0ELb0ExNS0_19identity_decomposerEEEEE10hipError_tT0_T1_T2_jT3_P12ihipStream_tbPNSt15iterator_traitsISI_E10value_typeEPNSO_ISJ_E10value_typeEPSK_NS1_7vsmem_tEENKUlT_SI_SJ_SK_E_clISD_PxSD_S10_EESH_SX_SI_SJ_SK_EUlSX_E_NS1_11comp_targetILNS1_3genE2ELNS1_11target_archE906ELNS1_3gpuE6ELNS1_3repE0EEENS1_48merge_mergepath_partition_config_static_selectorELNS0_4arch9wavefront6targetE1EEEvSJ_.kd
    .uniform_work_group_size: 1
    .uses_dynamic_stack: false
    .vgpr_count:     0
    .vgpr_spill_count: 0
    .wavefront_size: 64
  - .agpr_count:     0
    .args:
      - .offset:         0
        .size:           40
        .value_kind:     by_value
    .group_segment_fixed_size: 0
    .kernarg_segment_align: 8
    .kernarg_segment_size: 40
    .language:       OpenCL C
    .language_version:
      - 2
      - 0
    .max_flat_workgroup_size: 128
    .name:           _ZN7rocprim17ROCPRIM_400000_NS6detail17trampoline_kernelINS0_14default_configENS1_38merge_sort_block_merge_config_selectorIxxEEZZNS1_27merge_sort_block_merge_implIS3_N6thrust23THRUST_200600_302600_NS6detail15normal_iteratorINS8_10device_ptrIxEEEESD_jNS1_19radix_merge_compareILb0ELb0ExNS0_19identity_decomposerEEEEE10hipError_tT0_T1_T2_jT3_P12ihipStream_tbPNSt15iterator_traitsISI_E10value_typeEPNSO_ISJ_E10value_typeEPSK_NS1_7vsmem_tEENKUlT_SI_SJ_SK_E_clISD_PxSD_S10_EESH_SX_SI_SJ_SK_EUlSX_E_NS1_11comp_targetILNS1_3genE9ELNS1_11target_archE1100ELNS1_3gpuE3ELNS1_3repE0EEENS1_48merge_mergepath_partition_config_static_selectorELNS0_4arch9wavefront6targetE1EEEvSJ_
    .private_segment_fixed_size: 0
    .sgpr_count:     6
    .sgpr_spill_count: 0
    .symbol:         _ZN7rocprim17ROCPRIM_400000_NS6detail17trampoline_kernelINS0_14default_configENS1_38merge_sort_block_merge_config_selectorIxxEEZZNS1_27merge_sort_block_merge_implIS3_N6thrust23THRUST_200600_302600_NS6detail15normal_iteratorINS8_10device_ptrIxEEEESD_jNS1_19radix_merge_compareILb0ELb0ExNS0_19identity_decomposerEEEEE10hipError_tT0_T1_T2_jT3_P12ihipStream_tbPNSt15iterator_traitsISI_E10value_typeEPNSO_ISJ_E10value_typeEPSK_NS1_7vsmem_tEENKUlT_SI_SJ_SK_E_clISD_PxSD_S10_EESH_SX_SI_SJ_SK_EUlSX_E_NS1_11comp_targetILNS1_3genE9ELNS1_11target_archE1100ELNS1_3gpuE3ELNS1_3repE0EEENS1_48merge_mergepath_partition_config_static_selectorELNS0_4arch9wavefront6targetE1EEEvSJ_.kd
    .uniform_work_group_size: 1
    .uses_dynamic_stack: false
    .vgpr_count:     0
    .vgpr_spill_count: 0
    .wavefront_size: 64
  - .agpr_count:     0
    .args:
      - .offset:         0
        .size:           40
        .value_kind:     by_value
    .group_segment_fixed_size: 0
    .kernarg_segment_align: 8
    .kernarg_segment_size: 40
    .language:       OpenCL C
    .language_version:
      - 2
      - 0
    .max_flat_workgroup_size: 128
    .name:           _ZN7rocprim17ROCPRIM_400000_NS6detail17trampoline_kernelINS0_14default_configENS1_38merge_sort_block_merge_config_selectorIxxEEZZNS1_27merge_sort_block_merge_implIS3_N6thrust23THRUST_200600_302600_NS6detail15normal_iteratorINS8_10device_ptrIxEEEESD_jNS1_19radix_merge_compareILb0ELb0ExNS0_19identity_decomposerEEEEE10hipError_tT0_T1_T2_jT3_P12ihipStream_tbPNSt15iterator_traitsISI_E10value_typeEPNSO_ISJ_E10value_typeEPSK_NS1_7vsmem_tEENKUlT_SI_SJ_SK_E_clISD_PxSD_S10_EESH_SX_SI_SJ_SK_EUlSX_E_NS1_11comp_targetILNS1_3genE8ELNS1_11target_archE1030ELNS1_3gpuE2ELNS1_3repE0EEENS1_48merge_mergepath_partition_config_static_selectorELNS0_4arch9wavefront6targetE1EEEvSJ_
    .private_segment_fixed_size: 0
    .sgpr_count:     6
    .sgpr_spill_count: 0
    .symbol:         _ZN7rocprim17ROCPRIM_400000_NS6detail17trampoline_kernelINS0_14default_configENS1_38merge_sort_block_merge_config_selectorIxxEEZZNS1_27merge_sort_block_merge_implIS3_N6thrust23THRUST_200600_302600_NS6detail15normal_iteratorINS8_10device_ptrIxEEEESD_jNS1_19radix_merge_compareILb0ELb0ExNS0_19identity_decomposerEEEEE10hipError_tT0_T1_T2_jT3_P12ihipStream_tbPNSt15iterator_traitsISI_E10value_typeEPNSO_ISJ_E10value_typeEPSK_NS1_7vsmem_tEENKUlT_SI_SJ_SK_E_clISD_PxSD_S10_EESH_SX_SI_SJ_SK_EUlSX_E_NS1_11comp_targetILNS1_3genE8ELNS1_11target_archE1030ELNS1_3gpuE2ELNS1_3repE0EEENS1_48merge_mergepath_partition_config_static_selectorELNS0_4arch9wavefront6targetE1EEEvSJ_.kd
    .uniform_work_group_size: 1
    .uses_dynamic_stack: false
    .vgpr_count:     0
    .vgpr_spill_count: 0
    .wavefront_size: 64
  - .agpr_count:     0
    .args:
      - .offset:         0
        .size:           64
        .value_kind:     by_value
      - .offset:         64
        .size:           4
        .value_kind:     hidden_block_count_x
      - .offset:         68
        .size:           4
        .value_kind:     hidden_block_count_y
      - .offset:         72
        .size:           4
        .value_kind:     hidden_block_count_z
      - .offset:         76
        .size:           2
        .value_kind:     hidden_group_size_x
      - .offset:         78
        .size:           2
        .value_kind:     hidden_group_size_y
      - .offset:         80
        .size:           2
        .value_kind:     hidden_group_size_z
      - .offset:         82
        .size:           2
        .value_kind:     hidden_remainder_x
      - .offset:         84
        .size:           2
        .value_kind:     hidden_remainder_y
      - .offset:         86
        .size:           2
        .value_kind:     hidden_remainder_z
      - .offset:         104
        .size:           8
        .value_kind:     hidden_global_offset_x
      - .offset:         112
        .size:           8
        .value_kind:     hidden_global_offset_y
      - .offset:         120
        .size:           8
        .value_kind:     hidden_global_offset_z
      - .offset:         128
        .size:           2
        .value_kind:     hidden_grid_dims
    .group_segment_fixed_size: 8448
    .kernarg_segment_align: 8
    .kernarg_segment_size: 320
    .language:       OpenCL C
    .language_version:
      - 2
      - 0
    .max_flat_workgroup_size: 512
    .name:           _ZN7rocprim17ROCPRIM_400000_NS6detail17trampoline_kernelINS0_14default_configENS1_38merge_sort_block_merge_config_selectorIxxEEZZNS1_27merge_sort_block_merge_implIS3_N6thrust23THRUST_200600_302600_NS6detail15normal_iteratorINS8_10device_ptrIxEEEESD_jNS1_19radix_merge_compareILb0ELb0ExNS0_19identity_decomposerEEEEE10hipError_tT0_T1_T2_jT3_P12ihipStream_tbPNSt15iterator_traitsISI_E10value_typeEPNSO_ISJ_E10value_typeEPSK_NS1_7vsmem_tEENKUlT_SI_SJ_SK_E_clISD_PxSD_S10_EESH_SX_SI_SJ_SK_EUlSX_E0_NS1_11comp_targetILNS1_3genE0ELNS1_11target_archE4294967295ELNS1_3gpuE0ELNS1_3repE0EEENS1_38merge_mergepath_config_static_selectorELNS0_4arch9wavefront6targetE1EEEvSJ_
    .private_segment_fixed_size: 0
    .sgpr_count:     36
    .sgpr_spill_count: 0
    .symbol:         _ZN7rocprim17ROCPRIM_400000_NS6detail17trampoline_kernelINS0_14default_configENS1_38merge_sort_block_merge_config_selectorIxxEEZZNS1_27merge_sort_block_merge_implIS3_N6thrust23THRUST_200600_302600_NS6detail15normal_iteratorINS8_10device_ptrIxEEEESD_jNS1_19radix_merge_compareILb0ELb0ExNS0_19identity_decomposerEEEEE10hipError_tT0_T1_T2_jT3_P12ihipStream_tbPNSt15iterator_traitsISI_E10value_typeEPNSO_ISJ_E10value_typeEPSK_NS1_7vsmem_tEENKUlT_SI_SJ_SK_E_clISD_PxSD_S10_EESH_SX_SI_SJ_SK_EUlSX_E0_NS1_11comp_targetILNS1_3genE0ELNS1_11target_archE4294967295ELNS1_3gpuE0ELNS1_3repE0EEENS1_38merge_mergepath_config_static_selectorELNS0_4arch9wavefront6targetE1EEEvSJ_.kd
    .uniform_work_group_size: 1
    .uses_dynamic_stack: false
    .vgpr_count:     22
    .vgpr_spill_count: 0
    .wavefront_size: 64
  - .agpr_count:     0
    .args:
      - .offset:         0
        .size:           64
        .value_kind:     by_value
    .group_segment_fixed_size: 0
    .kernarg_segment_align: 8
    .kernarg_segment_size: 64
    .language:       OpenCL C
    .language_version:
      - 2
      - 0
    .max_flat_workgroup_size: 512
    .name:           _ZN7rocprim17ROCPRIM_400000_NS6detail17trampoline_kernelINS0_14default_configENS1_38merge_sort_block_merge_config_selectorIxxEEZZNS1_27merge_sort_block_merge_implIS3_N6thrust23THRUST_200600_302600_NS6detail15normal_iteratorINS8_10device_ptrIxEEEESD_jNS1_19radix_merge_compareILb0ELb0ExNS0_19identity_decomposerEEEEE10hipError_tT0_T1_T2_jT3_P12ihipStream_tbPNSt15iterator_traitsISI_E10value_typeEPNSO_ISJ_E10value_typeEPSK_NS1_7vsmem_tEENKUlT_SI_SJ_SK_E_clISD_PxSD_S10_EESH_SX_SI_SJ_SK_EUlSX_E0_NS1_11comp_targetILNS1_3genE10ELNS1_11target_archE1201ELNS1_3gpuE5ELNS1_3repE0EEENS1_38merge_mergepath_config_static_selectorELNS0_4arch9wavefront6targetE1EEEvSJ_
    .private_segment_fixed_size: 0
    .sgpr_count:     6
    .sgpr_spill_count: 0
    .symbol:         _ZN7rocprim17ROCPRIM_400000_NS6detail17trampoline_kernelINS0_14default_configENS1_38merge_sort_block_merge_config_selectorIxxEEZZNS1_27merge_sort_block_merge_implIS3_N6thrust23THRUST_200600_302600_NS6detail15normal_iteratorINS8_10device_ptrIxEEEESD_jNS1_19radix_merge_compareILb0ELb0ExNS0_19identity_decomposerEEEEE10hipError_tT0_T1_T2_jT3_P12ihipStream_tbPNSt15iterator_traitsISI_E10value_typeEPNSO_ISJ_E10value_typeEPSK_NS1_7vsmem_tEENKUlT_SI_SJ_SK_E_clISD_PxSD_S10_EESH_SX_SI_SJ_SK_EUlSX_E0_NS1_11comp_targetILNS1_3genE10ELNS1_11target_archE1201ELNS1_3gpuE5ELNS1_3repE0EEENS1_38merge_mergepath_config_static_selectorELNS0_4arch9wavefront6targetE1EEEvSJ_.kd
    .uniform_work_group_size: 1
    .uses_dynamic_stack: false
    .vgpr_count:     0
    .vgpr_spill_count: 0
    .wavefront_size: 64
  - .agpr_count:     0
    .args:
      - .offset:         0
        .size:           64
        .value_kind:     by_value
    .group_segment_fixed_size: 0
    .kernarg_segment_align: 8
    .kernarg_segment_size: 64
    .language:       OpenCL C
    .language_version:
      - 2
      - 0
    .max_flat_workgroup_size: 256
    .name:           _ZN7rocprim17ROCPRIM_400000_NS6detail17trampoline_kernelINS0_14default_configENS1_38merge_sort_block_merge_config_selectorIxxEEZZNS1_27merge_sort_block_merge_implIS3_N6thrust23THRUST_200600_302600_NS6detail15normal_iteratorINS8_10device_ptrIxEEEESD_jNS1_19radix_merge_compareILb0ELb0ExNS0_19identity_decomposerEEEEE10hipError_tT0_T1_T2_jT3_P12ihipStream_tbPNSt15iterator_traitsISI_E10value_typeEPNSO_ISJ_E10value_typeEPSK_NS1_7vsmem_tEENKUlT_SI_SJ_SK_E_clISD_PxSD_S10_EESH_SX_SI_SJ_SK_EUlSX_E0_NS1_11comp_targetILNS1_3genE5ELNS1_11target_archE942ELNS1_3gpuE9ELNS1_3repE0EEENS1_38merge_mergepath_config_static_selectorELNS0_4arch9wavefront6targetE1EEEvSJ_
    .private_segment_fixed_size: 0
    .sgpr_count:     6
    .sgpr_spill_count: 0
    .symbol:         _ZN7rocprim17ROCPRIM_400000_NS6detail17trampoline_kernelINS0_14default_configENS1_38merge_sort_block_merge_config_selectorIxxEEZZNS1_27merge_sort_block_merge_implIS3_N6thrust23THRUST_200600_302600_NS6detail15normal_iteratorINS8_10device_ptrIxEEEESD_jNS1_19radix_merge_compareILb0ELb0ExNS0_19identity_decomposerEEEEE10hipError_tT0_T1_T2_jT3_P12ihipStream_tbPNSt15iterator_traitsISI_E10value_typeEPNSO_ISJ_E10value_typeEPSK_NS1_7vsmem_tEENKUlT_SI_SJ_SK_E_clISD_PxSD_S10_EESH_SX_SI_SJ_SK_EUlSX_E0_NS1_11comp_targetILNS1_3genE5ELNS1_11target_archE942ELNS1_3gpuE9ELNS1_3repE0EEENS1_38merge_mergepath_config_static_selectorELNS0_4arch9wavefront6targetE1EEEvSJ_.kd
    .uniform_work_group_size: 1
    .uses_dynamic_stack: false
    .vgpr_count:     0
    .vgpr_spill_count: 0
    .wavefront_size: 64
  - .agpr_count:     0
    .args:
      - .offset:         0
        .size:           64
        .value_kind:     by_value
    .group_segment_fixed_size: 0
    .kernarg_segment_align: 8
    .kernarg_segment_size: 64
    .language:       OpenCL C
    .language_version:
      - 2
      - 0
    .max_flat_workgroup_size: 512
    .name:           _ZN7rocprim17ROCPRIM_400000_NS6detail17trampoline_kernelINS0_14default_configENS1_38merge_sort_block_merge_config_selectorIxxEEZZNS1_27merge_sort_block_merge_implIS3_N6thrust23THRUST_200600_302600_NS6detail15normal_iteratorINS8_10device_ptrIxEEEESD_jNS1_19radix_merge_compareILb0ELb0ExNS0_19identity_decomposerEEEEE10hipError_tT0_T1_T2_jT3_P12ihipStream_tbPNSt15iterator_traitsISI_E10value_typeEPNSO_ISJ_E10value_typeEPSK_NS1_7vsmem_tEENKUlT_SI_SJ_SK_E_clISD_PxSD_S10_EESH_SX_SI_SJ_SK_EUlSX_E0_NS1_11comp_targetILNS1_3genE4ELNS1_11target_archE910ELNS1_3gpuE8ELNS1_3repE0EEENS1_38merge_mergepath_config_static_selectorELNS0_4arch9wavefront6targetE1EEEvSJ_
    .private_segment_fixed_size: 0
    .sgpr_count:     6
    .sgpr_spill_count: 0
    .symbol:         _ZN7rocprim17ROCPRIM_400000_NS6detail17trampoline_kernelINS0_14default_configENS1_38merge_sort_block_merge_config_selectorIxxEEZZNS1_27merge_sort_block_merge_implIS3_N6thrust23THRUST_200600_302600_NS6detail15normal_iteratorINS8_10device_ptrIxEEEESD_jNS1_19radix_merge_compareILb0ELb0ExNS0_19identity_decomposerEEEEE10hipError_tT0_T1_T2_jT3_P12ihipStream_tbPNSt15iterator_traitsISI_E10value_typeEPNSO_ISJ_E10value_typeEPSK_NS1_7vsmem_tEENKUlT_SI_SJ_SK_E_clISD_PxSD_S10_EESH_SX_SI_SJ_SK_EUlSX_E0_NS1_11comp_targetILNS1_3genE4ELNS1_11target_archE910ELNS1_3gpuE8ELNS1_3repE0EEENS1_38merge_mergepath_config_static_selectorELNS0_4arch9wavefront6targetE1EEEvSJ_.kd
    .uniform_work_group_size: 1
    .uses_dynamic_stack: false
    .vgpr_count:     0
    .vgpr_spill_count: 0
    .wavefront_size: 64
  - .agpr_count:     0
    .args:
      - .offset:         0
        .size:           64
        .value_kind:     by_value
    .group_segment_fixed_size: 0
    .kernarg_segment_align: 8
    .kernarg_segment_size: 64
    .language:       OpenCL C
    .language_version:
      - 2
      - 0
    .max_flat_workgroup_size: 512
    .name:           _ZN7rocprim17ROCPRIM_400000_NS6detail17trampoline_kernelINS0_14default_configENS1_38merge_sort_block_merge_config_selectorIxxEEZZNS1_27merge_sort_block_merge_implIS3_N6thrust23THRUST_200600_302600_NS6detail15normal_iteratorINS8_10device_ptrIxEEEESD_jNS1_19radix_merge_compareILb0ELb0ExNS0_19identity_decomposerEEEEE10hipError_tT0_T1_T2_jT3_P12ihipStream_tbPNSt15iterator_traitsISI_E10value_typeEPNSO_ISJ_E10value_typeEPSK_NS1_7vsmem_tEENKUlT_SI_SJ_SK_E_clISD_PxSD_S10_EESH_SX_SI_SJ_SK_EUlSX_E0_NS1_11comp_targetILNS1_3genE3ELNS1_11target_archE908ELNS1_3gpuE7ELNS1_3repE0EEENS1_38merge_mergepath_config_static_selectorELNS0_4arch9wavefront6targetE1EEEvSJ_
    .private_segment_fixed_size: 0
    .sgpr_count:     6
    .sgpr_spill_count: 0
    .symbol:         _ZN7rocprim17ROCPRIM_400000_NS6detail17trampoline_kernelINS0_14default_configENS1_38merge_sort_block_merge_config_selectorIxxEEZZNS1_27merge_sort_block_merge_implIS3_N6thrust23THRUST_200600_302600_NS6detail15normal_iteratorINS8_10device_ptrIxEEEESD_jNS1_19radix_merge_compareILb0ELb0ExNS0_19identity_decomposerEEEEE10hipError_tT0_T1_T2_jT3_P12ihipStream_tbPNSt15iterator_traitsISI_E10value_typeEPNSO_ISJ_E10value_typeEPSK_NS1_7vsmem_tEENKUlT_SI_SJ_SK_E_clISD_PxSD_S10_EESH_SX_SI_SJ_SK_EUlSX_E0_NS1_11comp_targetILNS1_3genE3ELNS1_11target_archE908ELNS1_3gpuE7ELNS1_3repE0EEENS1_38merge_mergepath_config_static_selectorELNS0_4arch9wavefront6targetE1EEEvSJ_.kd
    .uniform_work_group_size: 1
    .uses_dynamic_stack: false
    .vgpr_count:     0
    .vgpr_spill_count: 0
    .wavefront_size: 64
  - .agpr_count:     0
    .args:
      - .offset:         0
        .size:           64
        .value_kind:     by_value
    .group_segment_fixed_size: 0
    .kernarg_segment_align: 8
    .kernarg_segment_size: 64
    .language:       OpenCL C
    .language_version:
      - 2
      - 0
    .max_flat_workgroup_size: 128
    .name:           _ZN7rocprim17ROCPRIM_400000_NS6detail17trampoline_kernelINS0_14default_configENS1_38merge_sort_block_merge_config_selectorIxxEEZZNS1_27merge_sort_block_merge_implIS3_N6thrust23THRUST_200600_302600_NS6detail15normal_iteratorINS8_10device_ptrIxEEEESD_jNS1_19radix_merge_compareILb0ELb0ExNS0_19identity_decomposerEEEEE10hipError_tT0_T1_T2_jT3_P12ihipStream_tbPNSt15iterator_traitsISI_E10value_typeEPNSO_ISJ_E10value_typeEPSK_NS1_7vsmem_tEENKUlT_SI_SJ_SK_E_clISD_PxSD_S10_EESH_SX_SI_SJ_SK_EUlSX_E0_NS1_11comp_targetILNS1_3genE2ELNS1_11target_archE906ELNS1_3gpuE6ELNS1_3repE0EEENS1_38merge_mergepath_config_static_selectorELNS0_4arch9wavefront6targetE1EEEvSJ_
    .private_segment_fixed_size: 0
    .sgpr_count:     6
    .sgpr_spill_count: 0
    .symbol:         _ZN7rocprim17ROCPRIM_400000_NS6detail17trampoline_kernelINS0_14default_configENS1_38merge_sort_block_merge_config_selectorIxxEEZZNS1_27merge_sort_block_merge_implIS3_N6thrust23THRUST_200600_302600_NS6detail15normal_iteratorINS8_10device_ptrIxEEEESD_jNS1_19radix_merge_compareILb0ELb0ExNS0_19identity_decomposerEEEEE10hipError_tT0_T1_T2_jT3_P12ihipStream_tbPNSt15iterator_traitsISI_E10value_typeEPNSO_ISJ_E10value_typeEPSK_NS1_7vsmem_tEENKUlT_SI_SJ_SK_E_clISD_PxSD_S10_EESH_SX_SI_SJ_SK_EUlSX_E0_NS1_11comp_targetILNS1_3genE2ELNS1_11target_archE906ELNS1_3gpuE6ELNS1_3repE0EEENS1_38merge_mergepath_config_static_selectorELNS0_4arch9wavefront6targetE1EEEvSJ_.kd
    .uniform_work_group_size: 1
    .uses_dynamic_stack: false
    .vgpr_count:     0
    .vgpr_spill_count: 0
    .wavefront_size: 64
  - .agpr_count:     0
    .args:
      - .offset:         0
        .size:           64
        .value_kind:     by_value
    .group_segment_fixed_size: 0
    .kernarg_segment_align: 8
    .kernarg_segment_size: 64
    .language:       OpenCL C
    .language_version:
      - 2
      - 0
    .max_flat_workgroup_size: 1024
    .name:           _ZN7rocprim17ROCPRIM_400000_NS6detail17trampoline_kernelINS0_14default_configENS1_38merge_sort_block_merge_config_selectorIxxEEZZNS1_27merge_sort_block_merge_implIS3_N6thrust23THRUST_200600_302600_NS6detail15normal_iteratorINS8_10device_ptrIxEEEESD_jNS1_19radix_merge_compareILb0ELb0ExNS0_19identity_decomposerEEEEE10hipError_tT0_T1_T2_jT3_P12ihipStream_tbPNSt15iterator_traitsISI_E10value_typeEPNSO_ISJ_E10value_typeEPSK_NS1_7vsmem_tEENKUlT_SI_SJ_SK_E_clISD_PxSD_S10_EESH_SX_SI_SJ_SK_EUlSX_E0_NS1_11comp_targetILNS1_3genE9ELNS1_11target_archE1100ELNS1_3gpuE3ELNS1_3repE0EEENS1_38merge_mergepath_config_static_selectorELNS0_4arch9wavefront6targetE1EEEvSJ_
    .private_segment_fixed_size: 0
    .sgpr_count:     6
    .sgpr_spill_count: 0
    .symbol:         _ZN7rocprim17ROCPRIM_400000_NS6detail17trampoline_kernelINS0_14default_configENS1_38merge_sort_block_merge_config_selectorIxxEEZZNS1_27merge_sort_block_merge_implIS3_N6thrust23THRUST_200600_302600_NS6detail15normal_iteratorINS8_10device_ptrIxEEEESD_jNS1_19radix_merge_compareILb0ELb0ExNS0_19identity_decomposerEEEEE10hipError_tT0_T1_T2_jT3_P12ihipStream_tbPNSt15iterator_traitsISI_E10value_typeEPNSO_ISJ_E10value_typeEPSK_NS1_7vsmem_tEENKUlT_SI_SJ_SK_E_clISD_PxSD_S10_EESH_SX_SI_SJ_SK_EUlSX_E0_NS1_11comp_targetILNS1_3genE9ELNS1_11target_archE1100ELNS1_3gpuE3ELNS1_3repE0EEENS1_38merge_mergepath_config_static_selectorELNS0_4arch9wavefront6targetE1EEEvSJ_.kd
    .uniform_work_group_size: 1
    .uses_dynamic_stack: false
    .vgpr_count:     0
    .vgpr_spill_count: 0
    .wavefront_size: 64
  - .agpr_count:     0
    .args:
      - .offset:         0
        .size:           64
        .value_kind:     by_value
    .group_segment_fixed_size: 0
    .kernarg_segment_align: 8
    .kernarg_segment_size: 64
    .language:       OpenCL C
    .language_version:
      - 2
      - 0
    .max_flat_workgroup_size: 1024
    .name:           _ZN7rocprim17ROCPRIM_400000_NS6detail17trampoline_kernelINS0_14default_configENS1_38merge_sort_block_merge_config_selectorIxxEEZZNS1_27merge_sort_block_merge_implIS3_N6thrust23THRUST_200600_302600_NS6detail15normal_iteratorINS8_10device_ptrIxEEEESD_jNS1_19radix_merge_compareILb0ELb0ExNS0_19identity_decomposerEEEEE10hipError_tT0_T1_T2_jT3_P12ihipStream_tbPNSt15iterator_traitsISI_E10value_typeEPNSO_ISJ_E10value_typeEPSK_NS1_7vsmem_tEENKUlT_SI_SJ_SK_E_clISD_PxSD_S10_EESH_SX_SI_SJ_SK_EUlSX_E0_NS1_11comp_targetILNS1_3genE8ELNS1_11target_archE1030ELNS1_3gpuE2ELNS1_3repE0EEENS1_38merge_mergepath_config_static_selectorELNS0_4arch9wavefront6targetE1EEEvSJ_
    .private_segment_fixed_size: 0
    .sgpr_count:     6
    .sgpr_spill_count: 0
    .symbol:         _ZN7rocprim17ROCPRIM_400000_NS6detail17trampoline_kernelINS0_14default_configENS1_38merge_sort_block_merge_config_selectorIxxEEZZNS1_27merge_sort_block_merge_implIS3_N6thrust23THRUST_200600_302600_NS6detail15normal_iteratorINS8_10device_ptrIxEEEESD_jNS1_19radix_merge_compareILb0ELb0ExNS0_19identity_decomposerEEEEE10hipError_tT0_T1_T2_jT3_P12ihipStream_tbPNSt15iterator_traitsISI_E10value_typeEPNSO_ISJ_E10value_typeEPSK_NS1_7vsmem_tEENKUlT_SI_SJ_SK_E_clISD_PxSD_S10_EESH_SX_SI_SJ_SK_EUlSX_E0_NS1_11comp_targetILNS1_3genE8ELNS1_11target_archE1030ELNS1_3gpuE2ELNS1_3repE0EEENS1_38merge_mergepath_config_static_selectorELNS0_4arch9wavefront6targetE1EEEvSJ_.kd
    .uniform_work_group_size: 1
    .uses_dynamic_stack: false
    .vgpr_count:     0
    .vgpr_spill_count: 0
    .wavefront_size: 64
  - .agpr_count:     0
    .args:
      - .offset:         0
        .size:           48
        .value_kind:     by_value
    .group_segment_fixed_size: 0
    .kernarg_segment_align: 8
    .kernarg_segment_size: 48
    .language:       OpenCL C
    .language_version:
      - 2
      - 0
    .max_flat_workgroup_size: 256
    .name:           _ZN7rocprim17ROCPRIM_400000_NS6detail17trampoline_kernelINS0_14default_configENS1_38merge_sort_block_merge_config_selectorIxxEEZZNS1_27merge_sort_block_merge_implIS3_N6thrust23THRUST_200600_302600_NS6detail15normal_iteratorINS8_10device_ptrIxEEEESD_jNS1_19radix_merge_compareILb0ELb0ExNS0_19identity_decomposerEEEEE10hipError_tT0_T1_T2_jT3_P12ihipStream_tbPNSt15iterator_traitsISI_E10value_typeEPNSO_ISJ_E10value_typeEPSK_NS1_7vsmem_tEENKUlT_SI_SJ_SK_E_clISD_PxSD_S10_EESH_SX_SI_SJ_SK_EUlSX_E1_NS1_11comp_targetILNS1_3genE0ELNS1_11target_archE4294967295ELNS1_3gpuE0ELNS1_3repE0EEENS1_36merge_oddeven_config_static_selectorELNS0_4arch9wavefront6targetE1EEEvSJ_
    .private_segment_fixed_size: 0
    .sgpr_count:     30
    .sgpr_spill_count: 0
    .symbol:         _ZN7rocprim17ROCPRIM_400000_NS6detail17trampoline_kernelINS0_14default_configENS1_38merge_sort_block_merge_config_selectorIxxEEZZNS1_27merge_sort_block_merge_implIS3_N6thrust23THRUST_200600_302600_NS6detail15normal_iteratorINS8_10device_ptrIxEEEESD_jNS1_19radix_merge_compareILb0ELb0ExNS0_19identity_decomposerEEEEE10hipError_tT0_T1_T2_jT3_P12ihipStream_tbPNSt15iterator_traitsISI_E10value_typeEPNSO_ISJ_E10value_typeEPSK_NS1_7vsmem_tEENKUlT_SI_SJ_SK_E_clISD_PxSD_S10_EESH_SX_SI_SJ_SK_EUlSX_E1_NS1_11comp_targetILNS1_3genE0ELNS1_11target_archE4294967295ELNS1_3gpuE0ELNS1_3repE0EEENS1_36merge_oddeven_config_static_selectorELNS0_4arch9wavefront6targetE1EEEvSJ_.kd
    .uniform_work_group_size: 1
    .uses_dynamic_stack: false
    .vgpr_count:     13
    .vgpr_spill_count: 0
    .wavefront_size: 64
  - .agpr_count:     0
    .args:
      - .offset:         0
        .size:           48
        .value_kind:     by_value
    .group_segment_fixed_size: 0
    .kernarg_segment_align: 8
    .kernarg_segment_size: 48
    .language:       OpenCL C
    .language_version:
      - 2
      - 0
    .max_flat_workgroup_size: 256
    .name:           _ZN7rocprim17ROCPRIM_400000_NS6detail17trampoline_kernelINS0_14default_configENS1_38merge_sort_block_merge_config_selectorIxxEEZZNS1_27merge_sort_block_merge_implIS3_N6thrust23THRUST_200600_302600_NS6detail15normal_iteratorINS8_10device_ptrIxEEEESD_jNS1_19radix_merge_compareILb0ELb0ExNS0_19identity_decomposerEEEEE10hipError_tT0_T1_T2_jT3_P12ihipStream_tbPNSt15iterator_traitsISI_E10value_typeEPNSO_ISJ_E10value_typeEPSK_NS1_7vsmem_tEENKUlT_SI_SJ_SK_E_clISD_PxSD_S10_EESH_SX_SI_SJ_SK_EUlSX_E1_NS1_11comp_targetILNS1_3genE10ELNS1_11target_archE1201ELNS1_3gpuE5ELNS1_3repE0EEENS1_36merge_oddeven_config_static_selectorELNS0_4arch9wavefront6targetE1EEEvSJ_
    .private_segment_fixed_size: 0
    .sgpr_count:     6
    .sgpr_spill_count: 0
    .symbol:         _ZN7rocprim17ROCPRIM_400000_NS6detail17trampoline_kernelINS0_14default_configENS1_38merge_sort_block_merge_config_selectorIxxEEZZNS1_27merge_sort_block_merge_implIS3_N6thrust23THRUST_200600_302600_NS6detail15normal_iteratorINS8_10device_ptrIxEEEESD_jNS1_19radix_merge_compareILb0ELb0ExNS0_19identity_decomposerEEEEE10hipError_tT0_T1_T2_jT3_P12ihipStream_tbPNSt15iterator_traitsISI_E10value_typeEPNSO_ISJ_E10value_typeEPSK_NS1_7vsmem_tEENKUlT_SI_SJ_SK_E_clISD_PxSD_S10_EESH_SX_SI_SJ_SK_EUlSX_E1_NS1_11comp_targetILNS1_3genE10ELNS1_11target_archE1201ELNS1_3gpuE5ELNS1_3repE0EEENS1_36merge_oddeven_config_static_selectorELNS0_4arch9wavefront6targetE1EEEvSJ_.kd
    .uniform_work_group_size: 1
    .uses_dynamic_stack: false
    .vgpr_count:     0
    .vgpr_spill_count: 0
    .wavefront_size: 64
  - .agpr_count:     0
    .args:
      - .offset:         0
        .size:           48
        .value_kind:     by_value
    .group_segment_fixed_size: 0
    .kernarg_segment_align: 8
    .kernarg_segment_size: 48
    .language:       OpenCL C
    .language_version:
      - 2
      - 0
    .max_flat_workgroup_size: 256
    .name:           _ZN7rocprim17ROCPRIM_400000_NS6detail17trampoline_kernelINS0_14default_configENS1_38merge_sort_block_merge_config_selectorIxxEEZZNS1_27merge_sort_block_merge_implIS3_N6thrust23THRUST_200600_302600_NS6detail15normal_iteratorINS8_10device_ptrIxEEEESD_jNS1_19radix_merge_compareILb0ELb0ExNS0_19identity_decomposerEEEEE10hipError_tT0_T1_T2_jT3_P12ihipStream_tbPNSt15iterator_traitsISI_E10value_typeEPNSO_ISJ_E10value_typeEPSK_NS1_7vsmem_tEENKUlT_SI_SJ_SK_E_clISD_PxSD_S10_EESH_SX_SI_SJ_SK_EUlSX_E1_NS1_11comp_targetILNS1_3genE5ELNS1_11target_archE942ELNS1_3gpuE9ELNS1_3repE0EEENS1_36merge_oddeven_config_static_selectorELNS0_4arch9wavefront6targetE1EEEvSJ_
    .private_segment_fixed_size: 0
    .sgpr_count:     6
    .sgpr_spill_count: 0
    .symbol:         _ZN7rocprim17ROCPRIM_400000_NS6detail17trampoline_kernelINS0_14default_configENS1_38merge_sort_block_merge_config_selectorIxxEEZZNS1_27merge_sort_block_merge_implIS3_N6thrust23THRUST_200600_302600_NS6detail15normal_iteratorINS8_10device_ptrIxEEEESD_jNS1_19radix_merge_compareILb0ELb0ExNS0_19identity_decomposerEEEEE10hipError_tT0_T1_T2_jT3_P12ihipStream_tbPNSt15iterator_traitsISI_E10value_typeEPNSO_ISJ_E10value_typeEPSK_NS1_7vsmem_tEENKUlT_SI_SJ_SK_E_clISD_PxSD_S10_EESH_SX_SI_SJ_SK_EUlSX_E1_NS1_11comp_targetILNS1_3genE5ELNS1_11target_archE942ELNS1_3gpuE9ELNS1_3repE0EEENS1_36merge_oddeven_config_static_selectorELNS0_4arch9wavefront6targetE1EEEvSJ_.kd
    .uniform_work_group_size: 1
    .uses_dynamic_stack: false
    .vgpr_count:     0
    .vgpr_spill_count: 0
    .wavefront_size: 64
  - .agpr_count:     0
    .args:
      - .offset:         0
        .size:           48
        .value_kind:     by_value
    .group_segment_fixed_size: 0
    .kernarg_segment_align: 8
    .kernarg_segment_size: 48
    .language:       OpenCL C
    .language_version:
      - 2
      - 0
    .max_flat_workgroup_size: 256
    .name:           _ZN7rocprim17ROCPRIM_400000_NS6detail17trampoline_kernelINS0_14default_configENS1_38merge_sort_block_merge_config_selectorIxxEEZZNS1_27merge_sort_block_merge_implIS3_N6thrust23THRUST_200600_302600_NS6detail15normal_iteratorINS8_10device_ptrIxEEEESD_jNS1_19radix_merge_compareILb0ELb0ExNS0_19identity_decomposerEEEEE10hipError_tT0_T1_T2_jT3_P12ihipStream_tbPNSt15iterator_traitsISI_E10value_typeEPNSO_ISJ_E10value_typeEPSK_NS1_7vsmem_tEENKUlT_SI_SJ_SK_E_clISD_PxSD_S10_EESH_SX_SI_SJ_SK_EUlSX_E1_NS1_11comp_targetILNS1_3genE4ELNS1_11target_archE910ELNS1_3gpuE8ELNS1_3repE0EEENS1_36merge_oddeven_config_static_selectorELNS0_4arch9wavefront6targetE1EEEvSJ_
    .private_segment_fixed_size: 0
    .sgpr_count:     6
    .sgpr_spill_count: 0
    .symbol:         _ZN7rocprim17ROCPRIM_400000_NS6detail17trampoline_kernelINS0_14default_configENS1_38merge_sort_block_merge_config_selectorIxxEEZZNS1_27merge_sort_block_merge_implIS3_N6thrust23THRUST_200600_302600_NS6detail15normal_iteratorINS8_10device_ptrIxEEEESD_jNS1_19radix_merge_compareILb0ELb0ExNS0_19identity_decomposerEEEEE10hipError_tT0_T1_T2_jT3_P12ihipStream_tbPNSt15iterator_traitsISI_E10value_typeEPNSO_ISJ_E10value_typeEPSK_NS1_7vsmem_tEENKUlT_SI_SJ_SK_E_clISD_PxSD_S10_EESH_SX_SI_SJ_SK_EUlSX_E1_NS1_11comp_targetILNS1_3genE4ELNS1_11target_archE910ELNS1_3gpuE8ELNS1_3repE0EEENS1_36merge_oddeven_config_static_selectorELNS0_4arch9wavefront6targetE1EEEvSJ_.kd
    .uniform_work_group_size: 1
    .uses_dynamic_stack: false
    .vgpr_count:     0
    .vgpr_spill_count: 0
    .wavefront_size: 64
  - .agpr_count:     0
    .args:
      - .offset:         0
        .size:           48
        .value_kind:     by_value
    .group_segment_fixed_size: 0
    .kernarg_segment_align: 8
    .kernarg_segment_size: 48
    .language:       OpenCL C
    .language_version:
      - 2
      - 0
    .max_flat_workgroup_size: 256
    .name:           _ZN7rocprim17ROCPRIM_400000_NS6detail17trampoline_kernelINS0_14default_configENS1_38merge_sort_block_merge_config_selectorIxxEEZZNS1_27merge_sort_block_merge_implIS3_N6thrust23THRUST_200600_302600_NS6detail15normal_iteratorINS8_10device_ptrIxEEEESD_jNS1_19radix_merge_compareILb0ELb0ExNS0_19identity_decomposerEEEEE10hipError_tT0_T1_T2_jT3_P12ihipStream_tbPNSt15iterator_traitsISI_E10value_typeEPNSO_ISJ_E10value_typeEPSK_NS1_7vsmem_tEENKUlT_SI_SJ_SK_E_clISD_PxSD_S10_EESH_SX_SI_SJ_SK_EUlSX_E1_NS1_11comp_targetILNS1_3genE3ELNS1_11target_archE908ELNS1_3gpuE7ELNS1_3repE0EEENS1_36merge_oddeven_config_static_selectorELNS0_4arch9wavefront6targetE1EEEvSJ_
    .private_segment_fixed_size: 0
    .sgpr_count:     6
    .sgpr_spill_count: 0
    .symbol:         _ZN7rocprim17ROCPRIM_400000_NS6detail17trampoline_kernelINS0_14default_configENS1_38merge_sort_block_merge_config_selectorIxxEEZZNS1_27merge_sort_block_merge_implIS3_N6thrust23THRUST_200600_302600_NS6detail15normal_iteratorINS8_10device_ptrIxEEEESD_jNS1_19radix_merge_compareILb0ELb0ExNS0_19identity_decomposerEEEEE10hipError_tT0_T1_T2_jT3_P12ihipStream_tbPNSt15iterator_traitsISI_E10value_typeEPNSO_ISJ_E10value_typeEPSK_NS1_7vsmem_tEENKUlT_SI_SJ_SK_E_clISD_PxSD_S10_EESH_SX_SI_SJ_SK_EUlSX_E1_NS1_11comp_targetILNS1_3genE3ELNS1_11target_archE908ELNS1_3gpuE7ELNS1_3repE0EEENS1_36merge_oddeven_config_static_selectorELNS0_4arch9wavefront6targetE1EEEvSJ_.kd
    .uniform_work_group_size: 1
    .uses_dynamic_stack: false
    .vgpr_count:     0
    .vgpr_spill_count: 0
    .wavefront_size: 64
  - .agpr_count:     0
    .args:
      - .offset:         0
        .size:           48
        .value_kind:     by_value
    .group_segment_fixed_size: 0
    .kernarg_segment_align: 8
    .kernarg_segment_size: 48
    .language:       OpenCL C
    .language_version:
      - 2
      - 0
    .max_flat_workgroup_size: 256
    .name:           _ZN7rocprim17ROCPRIM_400000_NS6detail17trampoline_kernelINS0_14default_configENS1_38merge_sort_block_merge_config_selectorIxxEEZZNS1_27merge_sort_block_merge_implIS3_N6thrust23THRUST_200600_302600_NS6detail15normal_iteratorINS8_10device_ptrIxEEEESD_jNS1_19radix_merge_compareILb0ELb0ExNS0_19identity_decomposerEEEEE10hipError_tT0_T1_T2_jT3_P12ihipStream_tbPNSt15iterator_traitsISI_E10value_typeEPNSO_ISJ_E10value_typeEPSK_NS1_7vsmem_tEENKUlT_SI_SJ_SK_E_clISD_PxSD_S10_EESH_SX_SI_SJ_SK_EUlSX_E1_NS1_11comp_targetILNS1_3genE2ELNS1_11target_archE906ELNS1_3gpuE6ELNS1_3repE0EEENS1_36merge_oddeven_config_static_selectorELNS0_4arch9wavefront6targetE1EEEvSJ_
    .private_segment_fixed_size: 0
    .sgpr_count:     6
    .sgpr_spill_count: 0
    .symbol:         _ZN7rocprim17ROCPRIM_400000_NS6detail17trampoline_kernelINS0_14default_configENS1_38merge_sort_block_merge_config_selectorIxxEEZZNS1_27merge_sort_block_merge_implIS3_N6thrust23THRUST_200600_302600_NS6detail15normal_iteratorINS8_10device_ptrIxEEEESD_jNS1_19radix_merge_compareILb0ELb0ExNS0_19identity_decomposerEEEEE10hipError_tT0_T1_T2_jT3_P12ihipStream_tbPNSt15iterator_traitsISI_E10value_typeEPNSO_ISJ_E10value_typeEPSK_NS1_7vsmem_tEENKUlT_SI_SJ_SK_E_clISD_PxSD_S10_EESH_SX_SI_SJ_SK_EUlSX_E1_NS1_11comp_targetILNS1_3genE2ELNS1_11target_archE906ELNS1_3gpuE6ELNS1_3repE0EEENS1_36merge_oddeven_config_static_selectorELNS0_4arch9wavefront6targetE1EEEvSJ_.kd
    .uniform_work_group_size: 1
    .uses_dynamic_stack: false
    .vgpr_count:     0
    .vgpr_spill_count: 0
    .wavefront_size: 64
  - .agpr_count:     0
    .args:
      - .offset:         0
        .size:           48
        .value_kind:     by_value
    .group_segment_fixed_size: 0
    .kernarg_segment_align: 8
    .kernarg_segment_size: 48
    .language:       OpenCL C
    .language_version:
      - 2
      - 0
    .max_flat_workgroup_size: 256
    .name:           _ZN7rocprim17ROCPRIM_400000_NS6detail17trampoline_kernelINS0_14default_configENS1_38merge_sort_block_merge_config_selectorIxxEEZZNS1_27merge_sort_block_merge_implIS3_N6thrust23THRUST_200600_302600_NS6detail15normal_iteratorINS8_10device_ptrIxEEEESD_jNS1_19radix_merge_compareILb0ELb0ExNS0_19identity_decomposerEEEEE10hipError_tT0_T1_T2_jT3_P12ihipStream_tbPNSt15iterator_traitsISI_E10value_typeEPNSO_ISJ_E10value_typeEPSK_NS1_7vsmem_tEENKUlT_SI_SJ_SK_E_clISD_PxSD_S10_EESH_SX_SI_SJ_SK_EUlSX_E1_NS1_11comp_targetILNS1_3genE9ELNS1_11target_archE1100ELNS1_3gpuE3ELNS1_3repE0EEENS1_36merge_oddeven_config_static_selectorELNS0_4arch9wavefront6targetE1EEEvSJ_
    .private_segment_fixed_size: 0
    .sgpr_count:     6
    .sgpr_spill_count: 0
    .symbol:         _ZN7rocprim17ROCPRIM_400000_NS6detail17trampoline_kernelINS0_14default_configENS1_38merge_sort_block_merge_config_selectorIxxEEZZNS1_27merge_sort_block_merge_implIS3_N6thrust23THRUST_200600_302600_NS6detail15normal_iteratorINS8_10device_ptrIxEEEESD_jNS1_19radix_merge_compareILb0ELb0ExNS0_19identity_decomposerEEEEE10hipError_tT0_T1_T2_jT3_P12ihipStream_tbPNSt15iterator_traitsISI_E10value_typeEPNSO_ISJ_E10value_typeEPSK_NS1_7vsmem_tEENKUlT_SI_SJ_SK_E_clISD_PxSD_S10_EESH_SX_SI_SJ_SK_EUlSX_E1_NS1_11comp_targetILNS1_3genE9ELNS1_11target_archE1100ELNS1_3gpuE3ELNS1_3repE0EEENS1_36merge_oddeven_config_static_selectorELNS0_4arch9wavefront6targetE1EEEvSJ_.kd
    .uniform_work_group_size: 1
    .uses_dynamic_stack: false
    .vgpr_count:     0
    .vgpr_spill_count: 0
    .wavefront_size: 64
  - .agpr_count:     0
    .args:
      - .offset:         0
        .size:           48
        .value_kind:     by_value
    .group_segment_fixed_size: 0
    .kernarg_segment_align: 8
    .kernarg_segment_size: 48
    .language:       OpenCL C
    .language_version:
      - 2
      - 0
    .max_flat_workgroup_size: 256
    .name:           _ZN7rocprim17ROCPRIM_400000_NS6detail17trampoline_kernelINS0_14default_configENS1_38merge_sort_block_merge_config_selectorIxxEEZZNS1_27merge_sort_block_merge_implIS3_N6thrust23THRUST_200600_302600_NS6detail15normal_iteratorINS8_10device_ptrIxEEEESD_jNS1_19radix_merge_compareILb0ELb0ExNS0_19identity_decomposerEEEEE10hipError_tT0_T1_T2_jT3_P12ihipStream_tbPNSt15iterator_traitsISI_E10value_typeEPNSO_ISJ_E10value_typeEPSK_NS1_7vsmem_tEENKUlT_SI_SJ_SK_E_clISD_PxSD_S10_EESH_SX_SI_SJ_SK_EUlSX_E1_NS1_11comp_targetILNS1_3genE8ELNS1_11target_archE1030ELNS1_3gpuE2ELNS1_3repE0EEENS1_36merge_oddeven_config_static_selectorELNS0_4arch9wavefront6targetE1EEEvSJ_
    .private_segment_fixed_size: 0
    .sgpr_count:     6
    .sgpr_spill_count: 0
    .symbol:         _ZN7rocprim17ROCPRIM_400000_NS6detail17trampoline_kernelINS0_14default_configENS1_38merge_sort_block_merge_config_selectorIxxEEZZNS1_27merge_sort_block_merge_implIS3_N6thrust23THRUST_200600_302600_NS6detail15normal_iteratorINS8_10device_ptrIxEEEESD_jNS1_19radix_merge_compareILb0ELb0ExNS0_19identity_decomposerEEEEE10hipError_tT0_T1_T2_jT3_P12ihipStream_tbPNSt15iterator_traitsISI_E10value_typeEPNSO_ISJ_E10value_typeEPSK_NS1_7vsmem_tEENKUlT_SI_SJ_SK_E_clISD_PxSD_S10_EESH_SX_SI_SJ_SK_EUlSX_E1_NS1_11comp_targetILNS1_3genE8ELNS1_11target_archE1030ELNS1_3gpuE2ELNS1_3repE0EEENS1_36merge_oddeven_config_static_selectorELNS0_4arch9wavefront6targetE1EEEvSJ_.kd
    .uniform_work_group_size: 1
    .uses_dynamic_stack: false
    .vgpr_count:     0
    .vgpr_spill_count: 0
    .wavefront_size: 64
  - .agpr_count:     0
    .args:
      - .offset:         0
        .size:           40
        .value_kind:     by_value
      - .offset:         40
        .size:           4
        .value_kind:     hidden_block_count_x
      - .offset:         44
        .size:           4
        .value_kind:     hidden_block_count_y
      - .offset:         48
        .size:           4
        .value_kind:     hidden_block_count_z
      - .offset:         52
        .size:           2
        .value_kind:     hidden_group_size_x
      - .offset:         54
        .size:           2
        .value_kind:     hidden_group_size_y
      - .offset:         56
        .size:           2
        .value_kind:     hidden_group_size_z
      - .offset:         58
        .size:           2
        .value_kind:     hidden_remainder_x
      - .offset:         60
        .size:           2
        .value_kind:     hidden_remainder_y
      - .offset:         62
        .size:           2
        .value_kind:     hidden_remainder_z
      - .offset:         80
        .size:           8
        .value_kind:     hidden_global_offset_x
      - .offset:         88
        .size:           8
        .value_kind:     hidden_global_offset_y
      - .offset:         96
        .size:           8
        .value_kind:     hidden_global_offset_z
      - .offset:         104
        .size:           2
        .value_kind:     hidden_grid_dims
    .group_segment_fixed_size: 0
    .kernarg_segment_align: 8
    .kernarg_segment_size: 296
    .language:       OpenCL C
    .language_version:
      - 2
      - 0
    .max_flat_workgroup_size: 128
    .name:           _ZN7rocprim17ROCPRIM_400000_NS6detail17trampoline_kernelINS0_14default_configENS1_25transform_config_selectorIxLb0EEEZNS1_14transform_implILb0ES3_S5_PxN6thrust23THRUST_200600_302600_NS6detail15normal_iteratorINS9_10device_ptrIxEEEENS0_8identityIxEEEE10hipError_tT2_T3_mT4_P12ihipStream_tbEUlT_E_NS1_11comp_targetILNS1_3genE0ELNS1_11target_archE4294967295ELNS1_3gpuE0ELNS1_3repE0EEENS1_30default_config_static_selectorELNS0_4arch9wavefront6targetE1EEEvT1_
    .private_segment_fixed_size: 0
    .sgpr_count:     18
    .sgpr_spill_count: 0
    .symbol:         _ZN7rocprim17ROCPRIM_400000_NS6detail17trampoline_kernelINS0_14default_configENS1_25transform_config_selectorIxLb0EEEZNS1_14transform_implILb0ES3_S5_PxN6thrust23THRUST_200600_302600_NS6detail15normal_iteratorINS9_10device_ptrIxEEEENS0_8identityIxEEEE10hipError_tT2_T3_mT4_P12ihipStream_tbEUlT_E_NS1_11comp_targetILNS1_3genE0ELNS1_11target_archE4294967295ELNS1_3gpuE0ELNS1_3repE0EEENS1_30default_config_static_selectorELNS0_4arch9wavefront6targetE1EEEvT1_.kd
    .uniform_work_group_size: 1
    .uses_dynamic_stack: false
    .vgpr_count:     4
    .vgpr_spill_count: 0
    .wavefront_size: 64
  - .agpr_count:     0
    .args:
      - .offset:         0
        .size:           40
        .value_kind:     by_value
    .group_segment_fixed_size: 0
    .kernarg_segment_align: 8
    .kernarg_segment_size: 40
    .language:       OpenCL C
    .language_version:
      - 2
      - 0
    .max_flat_workgroup_size: 512
    .name:           _ZN7rocprim17ROCPRIM_400000_NS6detail17trampoline_kernelINS0_14default_configENS1_25transform_config_selectorIxLb0EEEZNS1_14transform_implILb0ES3_S5_PxN6thrust23THRUST_200600_302600_NS6detail15normal_iteratorINS9_10device_ptrIxEEEENS0_8identityIxEEEE10hipError_tT2_T3_mT4_P12ihipStream_tbEUlT_E_NS1_11comp_targetILNS1_3genE5ELNS1_11target_archE942ELNS1_3gpuE9ELNS1_3repE0EEENS1_30default_config_static_selectorELNS0_4arch9wavefront6targetE1EEEvT1_
    .private_segment_fixed_size: 0
    .sgpr_count:     6
    .sgpr_spill_count: 0
    .symbol:         _ZN7rocprim17ROCPRIM_400000_NS6detail17trampoline_kernelINS0_14default_configENS1_25transform_config_selectorIxLb0EEEZNS1_14transform_implILb0ES3_S5_PxN6thrust23THRUST_200600_302600_NS6detail15normal_iteratorINS9_10device_ptrIxEEEENS0_8identityIxEEEE10hipError_tT2_T3_mT4_P12ihipStream_tbEUlT_E_NS1_11comp_targetILNS1_3genE5ELNS1_11target_archE942ELNS1_3gpuE9ELNS1_3repE0EEENS1_30default_config_static_selectorELNS0_4arch9wavefront6targetE1EEEvT1_.kd
    .uniform_work_group_size: 1
    .uses_dynamic_stack: false
    .vgpr_count:     0
    .vgpr_spill_count: 0
    .wavefront_size: 64
  - .agpr_count:     0
    .args:
      - .offset:         0
        .size:           40
        .value_kind:     by_value
    .group_segment_fixed_size: 0
    .kernarg_segment_align: 8
    .kernarg_segment_size: 40
    .language:       OpenCL C
    .language_version:
      - 2
      - 0
    .max_flat_workgroup_size: 256
    .name:           _ZN7rocprim17ROCPRIM_400000_NS6detail17trampoline_kernelINS0_14default_configENS1_25transform_config_selectorIxLb0EEEZNS1_14transform_implILb0ES3_S5_PxN6thrust23THRUST_200600_302600_NS6detail15normal_iteratorINS9_10device_ptrIxEEEENS0_8identityIxEEEE10hipError_tT2_T3_mT4_P12ihipStream_tbEUlT_E_NS1_11comp_targetILNS1_3genE4ELNS1_11target_archE910ELNS1_3gpuE8ELNS1_3repE0EEENS1_30default_config_static_selectorELNS0_4arch9wavefront6targetE1EEEvT1_
    .private_segment_fixed_size: 0
    .sgpr_count:     6
    .sgpr_spill_count: 0
    .symbol:         _ZN7rocprim17ROCPRIM_400000_NS6detail17trampoline_kernelINS0_14default_configENS1_25transform_config_selectorIxLb0EEEZNS1_14transform_implILb0ES3_S5_PxN6thrust23THRUST_200600_302600_NS6detail15normal_iteratorINS9_10device_ptrIxEEEENS0_8identityIxEEEE10hipError_tT2_T3_mT4_P12ihipStream_tbEUlT_E_NS1_11comp_targetILNS1_3genE4ELNS1_11target_archE910ELNS1_3gpuE8ELNS1_3repE0EEENS1_30default_config_static_selectorELNS0_4arch9wavefront6targetE1EEEvT1_.kd
    .uniform_work_group_size: 1
    .uses_dynamic_stack: false
    .vgpr_count:     0
    .vgpr_spill_count: 0
    .wavefront_size: 64
  - .agpr_count:     0
    .args:
      - .offset:         0
        .size:           40
        .value_kind:     by_value
    .group_segment_fixed_size: 0
    .kernarg_segment_align: 8
    .kernarg_segment_size: 40
    .language:       OpenCL C
    .language_version:
      - 2
      - 0
    .max_flat_workgroup_size: 128
    .name:           _ZN7rocprim17ROCPRIM_400000_NS6detail17trampoline_kernelINS0_14default_configENS1_25transform_config_selectorIxLb0EEEZNS1_14transform_implILb0ES3_S5_PxN6thrust23THRUST_200600_302600_NS6detail15normal_iteratorINS9_10device_ptrIxEEEENS0_8identityIxEEEE10hipError_tT2_T3_mT4_P12ihipStream_tbEUlT_E_NS1_11comp_targetILNS1_3genE3ELNS1_11target_archE908ELNS1_3gpuE7ELNS1_3repE0EEENS1_30default_config_static_selectorELNS0_4arch9wavefront6targetE1EEEvT1_
    .private_segment_fixed_size: 0
    .sgpr_count:     6
    .sgpr_spill_count: 0
    .symbol:         _ZN7rocprim17ROCPRIM_400000_NS6detail17trampoline_kernelINS0_14default_configENS1_25transform_config_selectorIxLb0EEEZNS1_14transform_implILb0ES3_S5_PxN6thrust23THRUST_200600_302600_NS6detail15normal_iteratorINS9_10device_ptrIxEEEENS0_8identityIxEEEE10hipError_tT2_T3_mT4_P12ihipStream_tbEUlT_E_NS1_11comp_targetILNS1_3genE3ELNS1_11target_archE908ELNS1_3gpuE7ELNS1_3repE0EEENS1_30default_config_static_selectorELNS0_4arch9wavefront6targetE1EEEvT1_.kd
    .uniform_work_group_size: 1
    .uses_dynamic_stack: false
    .vgpr_count:     0
    .vgpr_spill_count: 0
    .wavefront_size: 64
  - .agpr_count:     0
    .args:
      - .offset:         0
        .size:           40
        .value_kind:     by_value
    .group_segment_fixed_size: 0
    .kernarg_segment_align: 8
    .kernarg_segment_size: 40
    .language:       OpenCL C
    .language_version:
      - 2
      - 0
    .max_flat_workgroup_size: 512
    .name:           _ZN7rocprim17ROCPRIM_400000_NS6detail17trampoline_kernelINS0_14default_configENS1_25transform_config_selectorIxLb0EEEZNS1_14transform_implILb0ES3_S5_PxN6thrust23THRUST_200600_302600_NS6detail15normal_iteratorINS9_10device_ptrIxEEEENS0_8identityIxEEEE10hipError_tT2_T3_mT4_P12ihipStream_tbEUlT_E_NS1_11comp_targetILNS1_3genE2ELNS1_11target_archE906ELNS1_3gpuE6ELNS1_3repE0EEENS1_30default_config_static_selectorELNS0_4arch9wavefront6targetE1EEEvT1_
    .private_segment_fixed_size: 0
    .sgpr_count:     6
    .sgpr_spill_count: 0
    .symbol:         _ZN7rocprim17ROCPRIM_400000_NS6detail17trampoline_kernelINS0_14default_configENS1_25transform_config_selectorIxLb0EEEZNS1_14transform_implILb0ES3_S5_PxN6thrust23THRUST_200600_302600_NS6detail15normal_iteratorINS9_10device_ptrIxEEEENS0_8identityIxEEEE10hipError_tT2_T3_mT4_P12ihipStream_tbEUlT_E_NS1_11comp_targetILNS1_3genE2ELNS1_11target_archE906ELNS1_3gpuE6ELNS1_3repE0EEENS1_30default_config_static_selectorELNS0_4arch9wavefront6targetE1EEEvT1_.kd
    .uniform_work_group_size: 1
    .uses_dynamic_stack: false
    .vgpr_count:     0
    .vgpr_spill_count: 0
    .wavefront_size: 64
  - .agpr_count:     0
    .args:
      - .offset:         0
        .size:           40
        .value_kind:     by_value
    .group_segment_fixed_size: 0
    .kernarg_segment_align: 8
    .kernarg_segment_size: 40
    .language:       OpenCL C
    .language_version:
      - 2
      - 0
    .max_flat_workgroup_size: 1024
    .name:           _ZN7rocprim17ROCPRIM_400000_NS6detail17trampoline_kernelINS0_14default_configENS1_25transform_config_selectorIxLb0EEEZNS1_14transform_implILb0ES3_S5_PxN6thrust23THRUST_200600_302600_NS6detail15normal_iteratorINS9_10device_ptrIxEEEENS0_8identityIxEEEE10hipError_tT2_T3_mT4_P12ihipStream_tbEUlT_E_NS1_11comp_targetILNS1_3genE10ELNS1_11target_archE1201ELNS1_3gpuE5ELNS1_3repE0EEENS1_30default_config_static_selectorELNS0_4arch9wavefront6targetE1EEEvT1_
    .private_segment_fixed_size: 0
    .sgpr_count:     6
    .sgpr_spill_count: 0
    .symbol:         _ZN7rocprim17ROCPRIM_400000_NS6detail17trampoline_kernelINS0_14default_configENS1_25transform_config_selectorIxLb0EEEZNS1_14transform_implILb0ES3_S5_PxN6thrust23THRUST_200600_302600_NS6detail15normal_iteratorINS9_10device_ptrIxEEEENS0_8identityIxEEEE10hipError_tT2_T3_mT4_P12ihipStream_tbEUlT_E_NS1_11comp_targetILNS1_3genE10ELNS1_11target_archE1201ELNS1_3gpuE5ELNS1_3repE0EEENS1_30default_config_static_selectorELNS0_4arch9wavefront6targetE1EEEvT1_.kd
    .uniform_work_group_size: 1
    .uses_dynamic_stack: false
    .vgpr_count:     0
    .vgpr_spill_count: 0
    .wavefront_size: 64
  - .agpr_count:     0
    .args:
      - .offset:         0
        .size:           40
        .value_kind:     by_value
    .group_segment_fixed_size: 0
    .kernarg_segment_align: 8
    .kernarg_segment_size: 40
    .language:       OpenCL C
    .language_version:
      - 2
      - 0
    .max_flat_workgroup_size: 512
    .name:           _ZN7rocprim17ROCPRIM_400000_NS6detail17trampoline_kernelINS0_14default_configENS1_25transform_config_selectorIxLb0EEEZNS1_14transform_implILb0ES3_S5_PxN6thrust23THRUST_200600_302600_NS6detail15normal_iteratorINS9_10device_ptrIxEEEENS0_8identityIxEEEE10hipError_tT2_T3_mT4_P12ihipStream_tbEUlT_E_NS1_11comp_targetILNS1_3genE10ELNS1_11target_archE1200ELNS1_3gpuE4ELNS1_3repE0EEENS1_30default_config_static_selectorELNS0_4arch9wavefront6targetE1EEEvT1_
    .private_segment_fixed_size: 0
    .sgpr_count:     6
    .sgpr_spill_count: 0
    .symbol:         _ZN7rocprim17ROCPRIM_400000_NS6detail17trampoline_kernelINS0_14default_configENS1_25transform_config_selectorIxLb0EEEZNS1_14transform_implILb0ES3_S5_PxN6thrust23THRUST_200600_302600_NS6detail15normal_iteratorINS9_10device_ptrIxEEEENS0_8identityIxEEEE10hipError_tT2_T3_mT4_P12ihipStream_tbEUlT_E_NS1_11comp_targetILNS1_3genE10ELNS1_11target_archE1200ELNS1_3gpuE4ELNS1_3repE0EEENS1_30default_config_static_selectorELNS0_4arch9wavefront6targetE1EEEvT1_.kd
    .uniform_work_group_size: 1
    .uses_dynamic_stack: false
    .vgpr_count:     0
    .vgpr_spill_count: 0
    .wavefront_size: 64
  - .agpr_count:     0
    .args:
      - .offset:         0
        .size:           40
        .value_kind:     by_value
    .group_segment_fixed_size: 0
    .kernarg_segment_align: 8
    .kernarg_segment_size: 40
    .language:       OpenCL C
    .language_version:
      - 2
      - 0
    .max_flat_workgroup_size: 512
    .name:           _ZN7rocprim17ROCPRIM_400000_NS6detail17trampoline_kernelINS0_14default_configENS1_25transform_config_selectorIxLb0EEEZNS1_14transform_implILb0ES3_S5_PxN6thrust23THRUST_200600_302600_NS6detail15normal_iteratorINS9_10device_ptrIxEEEENS0_8identityIxEEEE10hipError_tT2_T3_mT4_P12ihipStream_tbEUlT_E_NS1_11comp_targetILNS1_3genE9ELNS1_11target_archE1100ELNS1_3gpuE3ELNS1_3repE0EEENS1_30default_config_static_selectorELNS0_4arch9wavefront6targetE1EEEvT1_
    .private_segment_fixed_size: 0
    .sgpr_count:     6
    .sgpr_spill_count: 0
    .symbol:         _ZN7rocprim17ROCPRIM_400000_NS6detail17trampoline_kernelINS0_14default_configENS1_25transform_config_selectorIxLb0EEEZNS1_14transform_implILb0ES3_S5_PxN6thrust23THRUST_200600_302600_NS6detail15normal_iteratorINS9_10device_ptrIxEEEENS0_8identityIxEEEE10hipError_tT2_T3_mT4_P12ihipStream_tbEUlT_E_NS1_11comp_targetILNS1_3genE9ELNS1_11target_archE1100ELNS1_3gpuE3ELNS1_3repE0EEENS1_30default_config_static_selectorELNS0_4arch9wavefront6targetE1EEEvT1_.kd
    .uniform_work_group_size: 1
    .uses_dynamic_stack: false
    .vgpr_count:     0
    .vgpr_spill_count: 0
    .wavefront_size: 64
  - .agpr_count:     0
    .args:
      - .offset:         0
        .size:           40
        .value_kind:     by_value
    .group_segment_fixed_size: 0
    .kernarg_segment_align: 8
    .kernarg_segment_size: 40
    .language:       OpenCL C
    .language_version:
      - 2
      - 0
    .max_flat_workgroup_size: 512
    .name:           _ZN7rocprim17ROCPRIM_400000_NS6detail17trampoline_kernelINS0_14default_configENS1_25transform_config_selectorIxLb0EEEZNS1_14transform_implILb0ES3_S5_PxN6thrust23THRUST_200600_302600_NS6detail15normal_iteratorINS9_10device_ptrIxEEEENS0_8identityIxEEEE10hipError_tT2_T3_mT4_P12ihipStream_tbEUlT_E_NS1_11comp_targetILNS1_3genE8ELNS1_11target_archE1030ELNS1_3gpuE2ELNS1_3repE0EEENS1_30default_config_static_selectorELNS0_4arch9wavefront6targetE1EEEvT1_
    .private_segment_fixed_size: 0
    .sgpr_count:     6
    .sgpr_spill_count: 0
    .symbol:         _ZN7rocprim17ROCPRIM_400000_NS6detail17trampoline_kernelINS0_14default_configENS1_25transform_config_selectorIxLb0EEEZNS1_14transform_implILb0ES3_S5_PxN6thrust23THRUST_200600_302600_NS6detail15normal_iteratorINS9_10device_ptrIxEEEENS0_8identityIxEEEE10hipError_tT2_T3_mT4_P12ihipStream_tbEUlT_E_NS1_11comp_targetILNS1_3genE8ELNS1_11target_archE1030ELNS1_3gpuE2ELNS1_3repE0EEENS1_30default_config_static_selectorELNS0_4arch9wavefront6targetE1EEEvT1_.kd
    .uniform_work_group_size: 1
    .uses_dynamic_stack: false
    .vgpr_count:     0
    .vgpr_spill_count: 0
    .wavefront_size: 64
  - .agpr_count:     0
    .args:
      - .offset:         0
        .size:           40
        .value_kind:     by_value
    .group_segment_fixed_size: 0
    .kernarg_segment_align: 8
    .kernarg_segment_size: 40
    .language:       OpenCL C
    .language_version:
      - 2
      - 0
    .max_flat_workgroup_size: 128
    .name:           _ZN7rocprim17ROCPRIM_400000_NS6detail17trampoline_kernelINS0_14default_configENS1_38merge_sort_block_merge_config_selectorIxxEEZZNS1_27merge_sort_block_merge_implIS3_N6thrust23THRUST_200600_302600_NS6detail15normal_iteratorINS8_10device_ptrIxEEEESD_jNS1_19radix_merge_compareILb0ELb1ExNS0_19identity_decomposerEEEEE10hipError_tT0_T1_T2_jT3_P12ihipStream_tbPNSt15iterator_traitsISI_E10value_typeEPNSO_ISJ_E10value_typeEPSK_NS1_7vsmem_tEENKUlT_SI_SJ_SK_E_clIPxSD_S10_SD_EESH_SX_SI_SJ_SK_EUlSX_E_NS1_11comp_targetILNS1_3genE0ELNS1_11target_archE4294967295ELNS1_3gpuE0ELNS1_3repE0EEENS1_48merge_mergepath_partition_config_static_selectorELNS0_4arch9wavefront6targetE1EEEvSJ_
    .private_segment_fixed_size: 0
    .sgpr_count:     16
    .sgpr_spill_count: 0
    .symbol:         _ZN7rocprim17ROCPRIM_400000_NS6detail17trampoline_kernelINS0_14default_configENS1_38merge_sort_block_merge_config_selectorIxxEEZZNS1_27merge_sort_block_merge_implIS3_N6thrust23THRUST_200600_302600_NS6detail15normal_iteratorINS8_10device_ptrIxEEEESD_jNS1_19radix_merge_compareILb0ELb1ExNS0_19identity_decomposerEEEEE10hipError_tT0_T1_T2_jT3_P12ihipStream_tbPNSt15iterator_traitsISI_E10value_typeEPNSO_ISJ_E10value_typeEPSK_NS1_7vsmem_tEENKUlT_SI_SJ_SK_E_clIPxSD_S10_SD_EESH_SX_SI_SJ_SK_EUlSX_E_NS1_11comp_targetILNS1_3genE0ELNS1_11target_archE4294967295ELNS1_3gpuE0ELNS1_3repE0EEENS1_48merge_mergepath_partition_config_static_selectorELNS0_4arch9wavefront6targetE1EEEvSJ_.kd
    .uniform_work_group_size: 1
    .uses_dynamic_stack: false
    .vgpr_count:     16
    .vgpr_spill_count: 0
    .wavefront_size: 64
  - .agpr_count:     0
    .args:
      - .offset:         0
        .size:           40
        .value_kind:     by_value
    .group_segment_fixed_size: 0
    .kernarg_segment_align: 8
    .kernarg_segment_size: 40
    .language:       OpenCL C
    .language_version:
      - 2
      - 0
    .max_flat_workgroup_size: 128
    .name:           _ZN7rocprim17ROCPRIM_400000_NS6detail17trampoline_kernelINS0_14default_configENS1_38merge_sort_block_merge_config_selectorIxxEEZZNS1_27merge_sort_block_merge_implIS3_N6thrust23THRUST_200600_302600_NS6detail15normal_iteratorINS8_10device_ptrIxEEEESD_jNS1_19radix_merge_compareILb0ELb1ExNS0_19identity_decomposerEEEEE10hipError_tT0_T1_T2_jT3_P12ihipStream_tbPNSt15iterator_traitsISI_E10value_typeEPNSO_ISJ_E10value_typeEPSK_NS1_7vsmem_tEENKUlT_SI_SJ_SK_E_clIPxSD_S10_SD_EESH_SX_SI_SJ_SK_EUlSX_E_NS1_11comp_targetILNS1_3genE10ELNS1_11target_archE1201ELNS1_3gpuE5ELNS1_3repE0EEENS1_48merge_mergepath_partition_config_static_selectorELNS0_4arch9wavefront6targetE1EEEvSJ_
    .private_segment_fixed_size: 0
    .sgpr_count:     6
    .sgpr_spill_count: 0
    .symbol:         _ZN7rocprim17ROCPRIM_400000_NS6detail17trampoline_kernelINS0_14default_configENS1_38merge_sort_block_merge_config_selectorIxxEEZZNS1_27merge_sort_block_merge_implIS3_N6thrust23THRUST_200600_302600_NS6detail15normal_iteratorINS8_10device_ptrIxEEEESD_jNS1_19radix_merge_compareILb0ELb1ExNS0_19identity_decomposerEEEEE10hipError_tT0_T1_T2_jT3_P12ihipStream_tbPNSt15iterator_traitsISI_E10value_typeEPNSO_ISJ_E10value_typeEPSK_NS1_7vsmem_tEENKUlT_SI_SJ_SK_E_clIPxSD_S10_SD_EESH_SX_SI_SJ_SK_EUlSX_E_NS1_11comp_targetILNS1_3genE10ELNS1_11target_archE1201ELNS1_3gpuE5ELNS1_3repE0EEENS1_48merge_mergepath_partition_config_static_selectorELNS0_4arch9wavefront6targetE1EEEvSJ_.kd
    .uniform_work_group_size: 1
    .uses_dynamic_stack: false
    .vgpr_count:     0
    .vgpr_spill_count: 0
    .wavefront_size: 64
  - .agpr_count:     0
    .args:
      - .offset:         0
        .size:           40
        .value_kind:     by_value
    .group_segment_fixed_size: 0
    .kernarg_segment_align: 8
    .kernarg_segment_size: 40
    .language:       OpenCL C
    .language_version:
      - 2
      - 0
    .max_flat_workgroup_size: 128
    .name:           _ZN7rocprim17ROCPRIM_400000_NS6detail17trampoline_kernelINS0_14default_configENS1_38merge_sort_block_merge_config_selectorIxxEEZZNS1_27merge_sort_block_merge_implIS3_N6thrust23THRUST_200600_302600_NS6detail15normal_iteratorINS8_10device_ptrIxEEEESD_jNS1_19radix_merge_compareILb0ELb1ExNS0_19identity_decomposerEEEEE10hipError_tT0_T1_T2_jT3_P12ihipStream_tbPNSt15iterator_traitsISI_E10value_typeEPNSO_ISJ_E10value_typeEPSK_NS1_7vsmem_tEENKUlT_SI_SJ_SK_E_clIPxSD_S10_SD_EESH_SX_SI_SJ_SK_EUlSX_E_NS1_11comp_targetILNS1_3genE5ELNS1_11target_archE942ELNS1_3gpuE9ELNS1_3repE0EEENS1_48merge_mergepath_partition_config_static_selectorELNS0_4arch9wavefront6targetE1EEEvSJ_
    .private_segment_fixed_size: 0
    .sgpr_count:     6
    .sgpr_spill_count: 0
    .symbol:         _ZN7rocprim17ROCPRIM_400000_NS6detail17trampoline_kernelINS0_14default_configENS1_38merge_sort_block_merge_config_selectorIxxEEZZNS1_27merge_sort_block_merge_implIS3_N6thrust23THRUST_200600_302600_NS6detail15normal_iteratorINS8_10device_ptrIxEEEESD_jNS1_19radix_merge_compareILb0ELb1ExNS0_19identity_decomposerEEEEE10hipError_tT0_T1_T2_jT3_P12ihipStream_tbPNSt15iterator_traitsISI_E10value_typeEPNSO_ISJ_E10value_typeEPSK_NS1_7vsmem_tEENKUlT_SI_SJ_SK_E_clIPxSD_S10_SD_EESH_SX_SI_SJ_SK_EUlSX_E_NS1_11comp_targetILNS1_3genE5ELNS1_11target_archE942ELNS1_3gpuE9ELNS1_3repE0EEENS1_48merge_mergepath_partition_config_static_selectorELNS0_4arch9wavefront6targetE1EEEvSJ_.kd
    .uniform_work_group_size: 1
    .uses_dynamic_stack: false
    .vgpr_count:     0
    .vgpr_spill_count: 0
    .wavefront_size: 64
  - .agpr_count:     0
    .args:
      - .offset:         0
        .size:           40
        .value_kind:     by_value
    .group_segment_fixed_size: 0
    .kernarg_segment_align: 8
    .kernarg_segment_size: 40
    .language:       OpenCL C
    .language_version:
      - 2
      - 0
    .max_flat_workgroup_size: 128
    .name:           _ZN7rocprim17ROCPRIM_400000_NS6detail17trampoline_kernelINS0_14default_configENS1_38merge_sort_block_merge_config_selectorIxxEEZZNS1_27merge_sort_block_merge_implIS3_N6thrust23THRUST_200600_302600_NS6detail15normal_iteratorINS8_10device_ptrIxEEEESD_jNS1_19radix_merge_compareILb0ELb1ExNS0_19identity_decomposerEEEEE10hipError_tT0_T1_T2_jT3_P12ihipStream_tbPNSt15iterator_traitsISI_E10value_typeEPNSO_ISJ_E10value_typeEPSK_NS1_7vsmem_tEENKUlT_SI_SJ_SK_E_clIPxSD_S10_SD_EESH_SX_SI_SJ_SK_EUlSX_E_NS1_11comp_targetILNS1_3genE4ELNS1_11target_archE910ELNS1_3gpuE8ELNS1_3repE0EEENS1_48merge_mergepath_partition_config_static_selectorELNS0_4arch9wavefront6targetE1EEEvSJ_
    .private_segment_fixed_size: 0
    .sgpr_count:     6
    .sgpr_spill_count: 0
    .symbol:         _ZN7rocprim17ROCPRIM_400000_NS6detail17trampoline_kernelINS0_14default_configENS1_38merge_sort_block_merge_config_selectorIxxEEZZNS1_27merge_sort_block_merge_implIS3_N6thrust23THRUST_200600_302600_NS6detail15normal_iteratorINS8_10device_ptrIxEEEESD_jNS1_19radix_merge_compareILb0ELb1ExNS0_19identity_decomposerEEEEE10hipError_tT0_T1_T2_jT3_P12ihipStream_tbPNSt15iterator_traitsISI_E10value_typeEPNSO_ISJ_E10value_typeEPSK_NS1_7vsmem_tEENKUlT_SI_SJ_SK_E_clIPxSD_S10_SD_EESH_SX_SI_SJ_SK_EUlSX_E_NS1_11comp_targetILNS1_3genE4ELNS1_11target_archE910ELNS1_3gpuE8ELNS1_3repE0EEENS1_48merge_mergepath_partition_config_static_selectorELNS0_4arch9wavefront6targetE1EEEvSJ_.kd
    .uniform_work_group_size: 1
    .uses_dynamic_stack: false
    .vgpr_count:     0
    .vgpr_spill_count: 0
    .wavefront_size: 64
  - .agpr_count:     0
    .args:
      - .offset:         0
        .size:           40
        .value_kind:     by_value
    .group_segment_fixed_size: 0
    .kernarg_segment_align: 8
    .kernarg_segment_size: 40
    .language:       OpenCL C
    .language_version:
      - 2
      - 0
    .max_flat_workgroup_size: 128
    .name:           _ZN7rocprim17ROCPRIM_400000_NS6detail17trampoline_kernelINS0_14default_configENS1_38merge_sort_block_merge_config_selectorIxxEEZZNS1_27merge_sort_block_merge_implIS3_N6thrust23THRUST_200600_302600_NS6detail15normal_iteratorINS8_10device_ptrIxEEEESD_jNS1_19radix_merge_compareILb0ELb1ExNS0_19identity_decomposerEEEEE10hipError_tT0_T1_T2_jT3_P12ihipStream_tbPNSt15iterator_traitsISI_E10value_typeEPNSO_ISJ_E10value_typeEPSK_NS1_7vsmem_tEENKUlT_SI_SJ_SK_E_clIPxSD_S10_SD_EESH_SX_SI_SJ_SK_EUlSX_E_NS1_11comp_targetILNS1_3genE3ELNS1_11target_archE908ELNS1_3gpuE7ELNS1_3repE0EEENS1_48merge_mergepath_partition_config_static_selectorELNS0_4arch9wavefront6targetE1EEEvSJ_
    .private_segment_fixed_size: 0
    .sgpr_count:     6
    .sgpr_spill_count: 0
    .symbol:         _ZN7rocprim17ROCPRIM_400000_NS6detail17trampoline_kernelINS0_14default_configENS1_38merge_sort_block_merge_config_selectorIxxEEZZNS1_27merge_sort_block_merge_implIS3_N6thrust23THRUST_200600_302600_NS6detail15normal_iteratorINS8_10device_ptrIxEEEESD_jNS1_19radix_merge_compareILb0ELb1ExNS0_19identity_decomposerEEEEE10hipError_tT0_T1_T2_jT3_P12ihipStream_tbPNSt15iterator_traitsISI_E10value_typeEPNSO_ISJ_E10value_typeEPSK_NS1_7vsmem_tEENKUlT_SI_SJ_SK_E_clIPxSD_S10_SD_EESH_SX_SI_SJ_SK_EUlSX_E_NS1_11comp_targetILNS1_3genE3ELNS1_11target_archE908ELNS1_3gpuE7ELNS1_3repE0EEENS1_48merge_mergepath_partition_config_static_selectorELNS0_4arch9wavefront6targetE1EEEvSJ_.kd
    .uniform_work_group_size: 1
    .uses_dynamic_stack: false
    .vgpr_count:     0
    .vgpr_spill_count: 0
    .wavefront_size: 64
  - .agpr_count:     0
    .args:
      - .offset:         0
        .size:           40
        .value_kind:     by_value
    .group_segment_fixed_size: 0
    .kernarg_segment_align: 8
    .kernarg_segment_size: 40
    .language:       OpenCL C
    .language_version:
      - 2
      - 0
    .max_flat_workgroup_size: 128
    .name:           _ZN7rocprim17ROCPRIM_400000_NS6detail17trampoline_kernelINS0_14default_configENS1_38merge_sort_block_merge_config_selectorIxxEEZZNS1_27merge_sort_block_merge_implIS3_N6thrust23THRUST_200600_302600_NS6detail15normal_iteratorINS8_10device_ptrIxEEEESD_jNS1_19radix_merge_compareILb0ELb1ExNS0_19identity_decomposerEEEEE10hipError_tT0_T1_T2_jT3_P12ihipStream_tbPNSt15iterator_traitsISI_E10value_typeEPNSO_ISJ_E10value_typeEPSK_NS1_7vsmem_tEENKUlT_SI_SJ_SK_E_clIPxSD_S10_SD_EESH_SX_SI_SJ_SK_EUlSX_E_NS1_11comp_targetILNS1_3genE2ELNS1_11target_archE906ELNS1_3gpuE6ELNS1_3repE0EEENS1_48merge_mergepath_partition_config_static_selectorELNS0_4arch9wavefront6targetE1EEEvSJ_
    .private_segment_fixed_size: 0
    .sgpr_count:     6
    .sgpr_spill_count: 0
    .symbol:         _ZN7rocprim17ROCPRIM_400000_NS6detail17trampoline_kernelINS0_14default_configENS1_38merge_sort_block_merge_config_selectorIxxEEZZNS1_27merge_sort_block_merge_implIS3_N6thrust23THRUST_200600_302600_NS6detail15normal_iteratorINS8_10device_ptrIxEEEESD_jNS1_19radix_merge_compareILb0ELb1ExNS0_19identity_decomposerEEEEE10hipError_tT0_T1_T2_jT3_P12ihipStream_tbPNSt15iterator_traitsISI_E10value_typeEPNSO_ISJ_E10value_typeEPSK_NS1_7vsmem_tEENKUlT_SI_SJ_SK_E_clIPxSD_S10_SD_EESH_SX_SI_SJ_SK_EUlSX_E_NS1_11comp_targetILNS1_3genE2ELNS1_11target_archE906ELNS1_3gpuE6ELNS1_3repE0EEENS1_48merge_mergepath_partition_config_static_selectorELNS0_4arch9wavefront6targetE1EEEvSJ_.kd
    .uniform_work_group_size: 1
    .uses_dynamic_stack: false
    .vgpr_count:     0
    .vgpr_spill_count: 0
    .wavefront_size: 64
  - .agpr_count:     0
    .args:
      - .offset:         0
        .size:           40
        .value_kind:     by_value
    .group_segment_fixed_size: 0
    .kernarg_segment_align: 8
    .kernarg_segment_size: 40
    .language:       OpenCL C
    .language_version:
      - 2
      - 0
    .max_flat_workgroup_size: 128
    .name:           _ZN7rocprim17ROCPRIM_400000_NS6detail17trampoline_kernelINS0_14default_configENS1_38merge_sort_block_merge_config_selectorIxxEEZZNS1_27merge_sort_block_merge_implIS3_N6thrust23THRUST_200600_302600_NS6detail15normal_iteratorINS8_10device_ptrIxEEEESD_jNS1_19radix_merge_compareILb0ELb1ExNS0_19identity_decomposerEEEEE10hipError_tT0_T1_T2_jT3_P12ihipStream_tbPNSt15iterator_traitsISI_E10value_typeEPNSO_ISJ_E10value_typeEPSK_NS1_7vsmem_tEENKUlT_SI_SJ_SK_E_clIPxSD_S10_SD_EESH_SX_SI_SJ_SK_EUlSX_E_NS1_11comp_targetILNS1_3genE9ELNS1_11target_archE1100ELNS1_3gpuE3ELNS1_3repE0EEENS1_48merge_mergepath_partition_config_static_selectorELNS0_4arch9wavefront6targetE1EEEvSJ_
    .private_segment_fixed_size: 0
    .sgpr_count:     6
    .sgpr_spill_count: 0
    .symbol:         _ZN7rocprim17ROCPRIM_400000_NS6detail17trampoline_kernelINS0_14default_configENS1_38merge_sort_block_merge_config_selectorIxxEEZZNS1_27merge_sort_block_merge_implIS3_N6thrust23THRUST_200600_302600_NS6detail15normal_iteratorINS8_10device_ptrIxEEEESD_jNS1_19radix_merge_compareILb0ELb1ExNS0_19identity_decomposerEEEEE10hipError_tT0_T1_T2_jT3_P12ihipStream_tbPNSt15iterator_traitsISI_E10value_typeEPNSO_ISJ_E10value_typeEPSK_NS1_7vsmem_tEENKUlT_SI_SJ_SK_E_clIPxSD_S10_SD_EESH_SX_SI_SJ_SK_EUlSX_E_NS1_11comp_targetILNS1_3genE9ELNS1_11target_archE1100ELNS1_3gpuE3ELNS1_3repE0EEENS1_48merge_mergepath_partition_config_static_selectorELNS0_4arch9wavefront6targetE1EEEvSJ_.kd
    .uniform_work_group_size: 1
    .uses_dynamic_stack: false
    .vgpr_count:     0
    .vgpr_spill_count: 0
    .wavefront_size: 64
  - .agpr_count:     0
    .args:
      - .offset:         0
        .size:           40
        .value_kind:     by_value
    .group_segment_fixed_size: 0
    .kernarg_segment_align: 8
    .kernarg_segment_size: 40
    .language:       OpenCL C
    .language_version:
      - 2
      - 0
    .max_flat_workgroup_size: 128
    .name:           _ZN7rocprim17ROCPRIM_400000_NS6detail17trampoline_kernelINS0_14default_configENS1_38merge_sort_block_merge_config_selectorIxxEEZZNS1_27merge_sort_block_merge_implIS3_N6thrust23THRUST_200600_302600_NS6detail15normal_iteratorINS8_10device_ptrIxEEEESD_jNS1_19radix_merge_compareILb0ELb1ExNS0_19identity_decomposerEEEEE10hipError_tT0_T1_T2_jT3_P12ihipStream_tbPNSt15iterator_traitsISI_E10value_typeEPNSO_ISJ_E10value_typeEPSK_NS1_7vsmem_tEENKUlT_SI_SJ_SK_E_clIPxSD_S10_SD_EESH_SX_SI_SJ_SK_EUlSX_E_NS1_11comp_targetILNS1_3genE8ELNS1_11target_archE1030ELNS1_3gpuE2ELNS1_3repE0EEENS1_48merge_mergepath_partition_config_static_selectorELNS0_4arch9wavefront6targetE1EEEvSJ_
    .private_segment_fixed_size: 0
    .sgpr_count:     6
    .sgpr_spill_count: 0
    .symbol:         _ZN7rocprim17ROCPRIM_400000_NS6detail17trampoline_kernelINS0_14default_configENS1_38merge_sort_block_merge_config_selectorIxxEEZZNS1_27merge_sort_block_merge_implIS3_N6thrust23THRUST_200600_302600_NS6detail15normal_iteratorINS8_10device_ptrIxEEEESD_jNS1_19radix_merge_compareILb0ELb1ExNS0_19identity_decomposerEEEEE10hipError_tT0_T1_T2_jT3_P12ihipStream_tbPNSt15iterator_traitsISI_E10value_typeEPNSO_ISJ_E10value_typeEPSK_NS1_7vsmem_tEENKUlT_SI_SJ_SK_E_clIPxSD_S10_SD_EESH_SX_SI_SJ_SK_EUlSX_E_NS1_11comp_targetILNS1_3genE8ELNS1_11target_archE1030ELNS1_3gpuE2ELNS1_3repE0EEENS1_48merge_mergepath_partition_config_static_selectorELNS0_4arch9wavefront6targetE1EEEvSJ_.kd
    .uniform_work_group_size: 1
    .uses_dynamic_stack: false
    .vgpr_count:     0
    .vgpr_spill_count: 0
    .wavefront_size: 64
  - .agpr_count:     0
    .args:
      - .offset:         0
        .size:           72
        .value_kind:     by_value
      - .offset:         72
        .size:           4
        .value_kind:     hidden_block_count_x
      - .offset:         76
        .size:           4
        .value_kind:     hidden_block_count_y
      - .offset:         80
        .size:           4
        .value_kind:     hidden_block_count_z
      - .offset:         84
        .size:           2
        .value_kind:     hidden_group_size_x
      - .offset:         86
        .size:           2
        .value_kind:     hidden_group_size_y
      - .offset:         88
        .size:           2
        .value_kind:     hidden_group_size_z
      - .offset:         90
        .size:           2
        .value_kind:     hidden_remainder_x
      - .offset:         92
        .size:           2
        .value_kind:     hidden_remainder_y
      - .offset:         94
        .size:           2
        .value_kind:     hidden_remainder_z
      - .offset:         112
        .size:           8
        .value_kind:     hidden_global_offset_x
      - .offset:         120
        .size:           8
        .value_kind:     hidden_global_offset_y
      - .offset:         128
        .size:           8
        .value_kind:     hidden_global_offset_z
      - .offset:         136
        .size:           2
        .value_kind:     hidden_grid_dims
    .group_segment_fixed_size: 8448
    .kernarg_segment_align: 8
    .kernarg_segment_size: 328
    .language:       OpenCL C
    .language_version:
      - 2
      - 0
    .max_flat_workgroup_size: 512
    .name:           _ZN7rocprim17ROCPRIM_400000_NS6detail17trampoline_kernelINS0_14default_configENS1_38merge_sort_block_merge_config_selectorIxxEEZZNS1_27merge_sort_block_merge_implIS3_N6thrust23THRUST_200600_302600_NS6detail15normal_iteratorINS8_10device_ptrIxEEEESD_jNS1_19radix_merge_compareILb0ELb1ExNS0_19identity_decomposerEEEEE10hipError_tT0_T1_T2_jT3_P12ihipStream_tbPNSt15iterator_traitsISI_E10value_typeEPNSO_ISJ_E10value_typeEPSK_NS1_7vsmem_tEENKUlT_SI_SJ_SK_E_clIPxSD_S10_SD_EESH_SX_SI_SJ_SK_EUlSX_E0_NS1_11comp_targetILNS1_3genE0ELNS1_11target_archE4294967295ELNS1_3gpuE0ELNS1_3repE0EEENS1_38merge_mergepath_config_static_selectorELNS0_4arch9wavefront6targetE1EEEvSJ_
    .private_segment_fixed_size: 0
    .sgpr_count:     38
    .sgpr_spill_count: 0
    .symbol:         _ZN7rocprim17ROCPRIM_400000_NS6detail17trampoline_kernelINS0_14default_configENS1_38merge_sort_block_merge_config_selectorIxxEEZZNS1_27merge_sort_block_merge_implIS3_N6thrust23THRUST_200600_302600_NS6detail15normal_iteratorINS8_10device_ptrIxEEEESD_jNS1_19radix_merge_compareILb0ELb1ExNS0_19identity_decomposerEEEEE10hipError_tT0_T1_T2_jT3_P12ihipStream_tbPNSt15iterator_traitsISI_E10value_typeEPNSO_ISJ_E10value_typeEPSK_NS1_7vsmem_tEENKUlT_SI_SJ_SK_E_clIPxSD_S10_SD_EESH_SX_SI_SJ_SK_EUlSX_E0_NS1_11comp_targetILNS1_3genE0ELNS1_11target_archE4294967295ELNS1_3gpuE0ELNS1_3repE0EEENS1_38merge_mergepath_config_static_selectorELNS0_4arch9wavefront6targetE1EEEvSJ_.kd
    .uniform_work_group_size: 1
    .uses_dynamic_stack: false
    .vgpr_count:     21
    .vgpr_spill_count: 0
    .wavefront_size: 64
  - .agpr_count:     0
    .args:
      - .offset:         0
        .size:           72
        .value_kind:     by_value
    .group_segment_fixed_size: 0
    .kernarg_segment_align: 8
    .kernarg_segment_size: 72
    .language:       OpenCL C
    .language_version:
      - 2
      - 0
    .max_flat_workgroup_size: 512
    .name:           _ZN7rocprim17ROCPRIM_400000_NS6detail17trampoline_kernelINS0_14default_configENS1_38merge_sort_block_merge_config_selectorIxxEEZZNS1_27merge_sort_block_merge_implIS3_N6thrust23THRUST_200600_302600_NS6detail15normal_iteratorINS8_10device_ptrIxEEEESD_jNS1_19radix_merge_compareILb0ELb1ExNS0_19identity_decomposerEEEEE10hipError_tT0_T1_T2_jT3_P12ihipStream_tbPNSt15iterator_traitsISI_E10value_typeEPNSO_ISJ_E10value_typeEPSK_NS1_7vsmem_tEENKUlT_SI_SJ_SK_E_clIPxSD_S10_SD_EESH_SX_SI_SJ_SK_EUlSX_E0_NS1_11comp_targetILNS1_3genE10ELNS1_11target_archE1201ELNS1_3gpuE5ELNS1_3repE0EEENS1_38merge_mergepath_config_static_selectorELNS0_4arch9wavefront6targetE1EEEvSJ_
    .private_segment_fixed_size: 0
    .sgpr_count:     6
    .sgpr_spill_count: 0
    .symbol:         _ZN7rocprim17ROCPRIM_400000_NS6detail17trampoline_kernelINS0_14default_configENS1_38merge_sort_block_merge_config_selectorIxxEEZZNS1_27merge_sort_block_merge_implIS3_N6thrust23THRUST_200600_302600_NS6detail15normal_iteratorINS8_10device_ptrIxEEEESD_jNS1_19radix_merge_compareILb0ELb1ExNS0_19identity_decomposerEEEEE10hipError_tT0_T1_T2_jT3_P12ihipStream_tbPNSt15iterator_traitsISI_E10value_typeEPNSO_ISJ_E10value_typeEPSK_NS1_7vsmem_tEENKUlT_SI_SJ_SK_E_clIPxSD_S10_SD_EESH_SX_SI_SJ_SK_EUlSX_E0_NS1_11comp_targetILNS1_3genE10ELNS1_11target_archE1201ELNS1_3gpuE5ELNS1_3repE0EEENS1_38merge_mergepath_config_static_selectorELNS0_4arch9wavefront6targetE1EEEvSJ_.kd
    .uniform_work_group_size: 1
    .uses_dynamic_stack: false
    .vgpr_count:     0
    .vgpr_spill_count: 0
    .wavefront_size: 64
  - .agpr_count:     0
    .args:
      - .offset:         0
        .size:           72
        .value_kind:     by_value
    .group_segment_fixed_size: 0
    .kernarg_segment_align: 8
    .kernarg_segment_size: 72
    .language:       OpenCL C
    .language_version:
      - 2
      - 0
    .max_flat_workgroup_size: 256
    .name:           _ZN7rocprim17ROCPRIM_400000_NS6detail17trampoline_kernelINS0_14default_configENS1_38merge_sort_block_merge_config_selectorIxxEEZZNS1_27merge_sort_block_merge_implIS3_N6thrust23THRUST_200600_302600_NS6detail15normal_iteratorINS8_10device_ptrIxEEEESD_jNS1_19radix_merge_compareILb0ELb1ExNS0_19identity_decomposerEEEEE10hipError_tT0_T1_T2_jT3_P12ihipStream_tbPNSt15iterator_traitsISI_E10value_typeEPNSO_ISJ_E10value_typeEPSK_NS1_7vsmem_tEENKUlT_SI_SJ_SK_E_clIPxSD_S10_SD_EESH_SX_SI_SJ_SK_EUlSX_E0_NS1_11comp_targetILNS1_3genE5ELNS1_11target_archE942ELNS1_3gpuE9ELNS1_3repE0EEENS1_38merge_mergepath_config_static_selectorELNS0_4arch9wavefront6targetE1EEEvSJ_
    .private_segment_fixed_size: 0
    .sgpr_count:     6
    .sgpr_spill_count: 0
    .symbol:         _ZN7rocprim17ROCPRIM_400000_NS6detail17trampoline_kernelINS0_14default_configENS1_38merge_sort_block_merge_config_selectorIxxEEZZNS1_27merge_sort_block_merge_implIS3_N6thrust23THRUST_200600_302600_NS6detail15normal_iteratorINS8_10device_ptrIxEEEESD_jNS1_19radix_merge_compareILb0ELb1ExNS0_19identity_decomposerEEEEE10hipError_tT0_T1_T2_jT3_P12ihipStream_tbPNSt15iterator_traitsISI_E10value_typeEPNSO_ISJ_E10value_typeEPSK_NS1_7vsmem_tEENKUlT_SI_SJ_SK_E_clIPxSD_S10_SD_EESH_SX_SI_SJ_SK_EUlSX_E0_NS1_11comp_targetILNS1_3genE5ELNS1_11target_archE942ELNS1_3gpuE9ELNS1_3repE0EEENS1_38merge_mergepath_config_static_selectorELNS0_4arch9wavefront6targetE1EEEvSJ_.kd
    .uniform_work_group_size: 1
    .uses_dynamic_stack: false
    .vgpr_count:     0
    .vgpr_spill_count: 0
    .wavefront_size: 64
  - .agpr_count:     0
    .args:
      - .offset:         0
        .size:           72
        .value_kind:     by_value
    .group_segment_fixed_size: 0
    .kernarg_segment_align: 8
    .kernarg_segment_size: 72
    .language:       OpenCL C
    .language_version:
      - 2
      - 0
    .max_flat_workgroup_size: 512
    .name:           _ZN7rocprim17ROCPRIM_400000_NS6detail17trampoline_kernelINS0_14default_configENS1_38merge_sort_block_merge_config_selectorIxxEEZZNS1_27merge_sort_block_merge_implIS3_N6thrust23THRUST_200600_302600_NS6detail15normal_iteratorINS8_10device_ptrIxEEEESD_jNS1_19radix_merge_compareILb0ELb1ExNS0_19identity_decomposerEEEEE10hipError_tT0_T1_T2_jT3_P12ihipStream_tbPNSt15iterator_traitsISI_E10value_typeEPNSO_ISJ_E10value_typeEPSK_NS1_7vsmem_tEENKUlT_SI_SJ_SK_E_clIPxSD_S10_SD_EESH_SX_SI_SJ_SK_EUlSX_E0_NS1_11comp_targetILNS1_3genE4ELNS1_11target_archE910ELNS1_3gpuE8ELNS1_3repE0EEENS1_38merge_mergepath_config_static_selectorELNS0_4arch9wavefront6targetE1EEEvSJ_
    .private_segment_fixed_size: 0
    .sgpr_count:     6
    .sgpr_spill_count: 0
    .symbol:         _ZN7rocprim17ROCPRIM_400000_NS6detail17trampoline_kernelINS0_14default_configENS1_38merge_sort_block_merge_config_selectorIxxEEZZNS1_27merge_sort_block_merge_implIS3_N6thrust23THRUST_200600_302600_NS6detail15normal_iteratorINS8_10device_ptrIxEEEESD_jNS1_19radix_merge_compareILb0ELb1ExNS0_19identity_decomposerEEEEE10hipError_tT0_T1_T2_jT3_P12ihipStream_tbPNSt15iterator_traitsISI_E10value_typeEPNSO_ISJ_E10value_typeEPSK_NS1_7vsmem_tEENKUlT_SI_SJ_SK_E_clIPxSD_S10_SD_EESH_SX_SI_SJ_SK_EUlSX_E0_NS1_11comp_targetILNS1_3genE4ELNS1_11target_archE910ELNS1_3gpuE8ELNS1_3repE0EEENS1_38merge_mergepath_config_static_selectorELNS0_4arch9wavefront6targetE1EEEvSJ_.kd
    .uniform_work_group_size: 1
    .uses_dynamic_stack: false
    .vgpr_count:     0
    .vgpr_spill_count: 0
    .wavefront_size: 64
  - .agpr_count:     0
    .args:
      - .offset:         0
        .size:           72
        .value_kind:     by_value
    .group_segment_fixed_size: 0
    .kernarg_segment_align: 8
    .kernarg_segment_size: 72
    .language:       OpenCL C
    .language_version:
      - 2
      - 0
    .max_flat_workgroup_size: 512
    .name:           _ZN7rocprim17ROCPRIM_400000_NS6detail17trampoline_kernelINS0_14default_configENS1_38merge_sort_block_merge_config_selectorIxxEEZZNS1_27merge_sort_block_merge_implIS3_N6thrust23THRUST_200600_302600_NS6detail15normal_iteratorINS8_10device_ptrIxEEEESD_jNS1_19radix_merge_compareILb0ELb1ExNS0_19identity_decomposerEEEEE10hipError_tT0_T1_T2_jT3_P12ihipStream_tbPNSt15iterator_traitsISI_E10value_typeEPNSO_ISJ_E10value_typeEPSK_NS1_7vsmem_tEENKUlT_SI_SJ_SK_E_clIPxSD_S10_SD_EESH_SX_SI_SJ_SK_EUlSX_E0_NS1_11comp_targetILNS1_3genE3ELNS1_11target_archE908ELNS1_3gpuE7ELNS1_3repE0EEENS1_38merge_mergepath_config_static_selectorELNS0_4arch9wavefront6targetE1EEEvSJ_
    .private_segment_fixed_size: 0
    .sgpr_count:     6
    .sgpr_spill_count: 0
    .symbol:         _ZN7rocprim17ROCPRIM_400000_NS6detail17trampoline_kernelINS0_14default_configENS1_38merge_sort_block_merge_config_selectorIxxEEZZNS1_27merge_sort_block_merge_implIS3_N6thrust23THRUST_200600_302600_NS6detail15normal_iteratorINS8_10device_ptrIxEEEESD_jNS1_19radix_merge_compareILb0ELb1ExNS0_19identity_decomposerEEEEE10hipError_tT0_T1_T2_jT3_P12ihipStream_tbPNSt15iterator_traitsISI_E10value_typeEPNSO_ISJ_E10value_typeEPSK_NS1_7vsmem_tEENKUlT_SI_SJ_SK_E_clIPxSD_S10_SD_EESH_SX_SI_SJ_SK_EUlSX_E0_NS1_11comp_targetILNS1_3genE3ELNS1_11target_archE908ELNS1_3gpuE7ELNS1_3repE0EEENS1_38merge_mergepath_config_static_selectorELNS0_4arch9wavefront6targetE1EEEvSJ_.kd
    .uniform_work_group_size: 1
    .uses_dynamic_stack: false
    .vgpr_count:     0
    .vgpr_spill_count: 0
    .wavefront_size: 64
  - .agpr_count:     0
    .args:
      - .offset:         0
        .size:           72
        .value_kind:     by_value
    .group_segment_fixed_size: 0
    .kernarg_segment_align: 8
    .kernarg_segment_size: 72
    .language:       OpenCL C
    .language_version:
      - 2
      - 0
    .max_flat_workgroup_size: 128
    .name:           _ZN7rocprim17ROCPRIM_400000_NS6detail17trampoline_kernelINS0_14default_configENS1_38merge_sort_block_merge_config_selectorIxxEEZZNS1_27merge_sort_block_merge_implIS3_N6thrust23THRUST_200600_302600_NS6detail15normal_iteratorINS8_10device_ptrIxEEEESD_jNS1_19radix_merge_compareILb0ELb1ExNS0_19identity_decomposerEEEEE10hipError_tT0_T1_T2_jT3_P12ihipStream_tbPNSt15iterator_traitsISI_E10value_typeEPNSO_ISJ_E10value_typeEPSK_NS1_7vsmem_tEENKUlT_SI_SJ_SK_E_clIPxSD_S10_SD_EESH_SX_SI_SJ_SK_EUlSX_E0_NS1_11comp_targetILNS1_3genE2ELNS1_11target_archE906ELNS1_3gpuE6ELNS1_3repE0EEENS1_38merge_mergepath_config_static_selectorELNS0_4arch9wavefront6targetE1EEEvSJ_
    .private_segment_fixed_size: 0
    .sgpr_count:     6
    .sgpr_spill_count: 0
    .symbol:         _ZN7rocprim17ROCPRIM_400000_NS6detail17trampoline_kernelINS0_14default_configENS1_38merge_sort_block_merge_config_selectorIxxEEZZNS1_27merge_sort_block_merge_implIS3_N6thrust23THRUST_200600_302600_NS6detail15normal_iteratorINS8_10device_ptrIxEEEESD_jNS1_19radix_merge_compareILb0ELb1ExNS0_19identity_decomposerEEEEE10hipError_tT0_T1_T2_jT3_P12ihipStream_tbPNSt15iterator_traitsISI_E10value_typeEPNSO_ISJ_E10value_typeEPSK_NS1_7vsmem_tEENKUlT_SI_SJ_SK_E_clIPxSD_S10_SD_EESH_SX_SI_SJ_SK_EUlSX_E0_NS1_11comp_targetILNS1_3genE2ELNS1_11target_archE906ELNS1_3gpuE6ELNS1_3repE0EEENS1_38merge_mergepath_config_static_selectorELNS0_4arch9wavefront6targetE1EEEvSJ_.kd
    .uniform_work_group_size: 1
    .uses_dynamic_stack: false
    .vgpr_count:     0
    .vgpr_spill_count: 0
    .wavefront_size: 64
  - .agpr_count:     0
    .args:
      - .offset:         0
        .size:           72
        .value_kind:     by_value
    .group_segment_fixed_size: 0
    .kernarg_segment_align: 8
    .kernarg_segment_size: 72
    .language:       OpenCL C
    .language_version:
      - 2
      - 0
    .max_flat_workgroup_size: 1024
    .name:           _ZN7rocprim17ROCPRIM_400000_NS6detail17trampoline_kernelINS0_14default_configENS1_38merge_sort_block_merge_config_selectorIxxEEZZNS1_27merge_sort_block_merge_implIS3_N6thrust23THRUST_200600_302600_NS6detail15normal_iteratorINS8_10device_ptrIxEEEESD_jNS1_19radix_merge_compareILb0ELb1ExNS0_19identity_decomposerEEEEE10hipError_tT0_T1_T2_jT3_P12ihipStream_tbPNSt15iterator_traitsISI_E10value_typeEPNSO_ISJ_E10value_typeEPSK_NS1_7vsmem_tEENKUlT_SI_SJ_SK_E_clIPxSD_S10_SD_EESH_SX_SI_SJ_SK_EUlSX_E0_NS1_11comp_targetILNS1_3genE9ELNS1_11target_archE1100ELNS1_3gpuE3ELNS1_3repE0EEENS1_38merge_mergepath_config_static_selectorELNS0_4arch9wavefront6targetE1EEEvSJ_
    .private_segment_fixed_size: 0
    .sgpr_count:     6
    .sgpr_spill_count: 0
    .symbol:         _ZN7rocprim17ROCPRIM_400000_NS6detail17trampoline_kernelINS0_14default_configENS1_38merge_sort_block_merge_config_selectorIxxEEZZNS1_27merge_sort_block_merge_implIS3_N6thrust23THRUST_200600_302600_NS6detail15normal_iteratorINS8_10device_ptrIxEEEESD_jNS1_19radix_merge_compareILb0ELb1ExNS0_19identity_decomposerEEEEE10hipError_tT0_T1_T2_jT3_P12ihipStream_tbPNSt15iterator_traitsISI_E10value_typeEPNSO_ISJ_E10value_typeEPSK_NS1_7vsmem_tEENKUlT_SI_SJ_SK_E_clIPxSD_S10_SD_EESH_SX_SI_SJ_SK_EUlSX_E0_NS1_11comp_targetILNS1_3genE9ELNS1_11target_archE1100ELNS1_3gpuE3ELNS1_3repE0EEENS1_38merge_mergepath_config_static_selectorELNS0_4arch9wavefront6targetE1EEEvSJ_.kd
    .uniform_work_group_size: 1
    .uses_dynamic_stack: false
    .vgpr_count:     0
    .vgpr_spill_count: 0
    .wavefront_size: 64
  - .agpr_count:     0
    .args:
      - .offset:         0
        .size:           72
        .value_kind:     by_value
    .group_segment_fixed_size: 0
    .kernarg_segment_align: 8
    .kernarg_segment_size: 72
    .language:       OpenCL C
    .language_version:
      - 2
      - 0
    .max_flat_workgroup_size: 1024
    .name:           _ZN7rocprim17ROCPRIM_400000_NS6detail17trampoline_kernelINS0_14default_configENS1_38merge_sort_block_merge_config_selectorIxxEEZZNS1_27merge_sort_block_merge_implIS3_N6thrust23THRUST_200600_302600_NS6detail15normal_iteratorINS8_10device_ptrIxEEEESD_jNS1_19radix_merge_compareILb0ELb1ExNS0_19identity_decomposerEEEEE10hipError_tT0_T1_T2_jT3_P12ihipStream_tbPNSt15iterator_traitsISI_E10value_typeEPNSO_ISJ_E10value_typeEPSK_NS1_7vsmem_tEENKUlT_SI_SJ_SK_E_clIPxSD_S10_SD_EESH_SX_SI_SJ_SK_EUlSX_E0_NS1_11comp_targetILNS1_3genE8ELNS1_11target_archE1030ELNS1_3gpuE2ELNS1_3repE0EEENS1_38merge_mergepath_config_static_selectorELNS0_4arch9wavefront6targetE1EEEvSJ_
    .private_segment_fixed_size: 0
    .sgpr_count:     6
    .sgpr_spill_count: 0
    .symbol:         _ZN7rocprim17ROCPRIM_400000_NS6detail17trampoline_kernelINS0_14default_configENS1_38merge_sort_block_merge_config_selectorIxxEEZZNS1_27merge_sort_block_merge_implIS3_N6thrust23THRUST_200600_302600_NS6detail15normal_iteratorINS8_10device_ptrIxEEEESD_jNS1_19radix_merge_compareILb0ELb1ExNS0_19identity_decomposerEEEEE10hipError_tT0_T1_T2_jT3_P12ihipStream_tbPNSt15iterator_traitsISI_E10value_typeEPNSO_ISJ_E10value_typeEPSK_NS1_7vsmem_tEENKUlT_SI_SJ_SK_E_clIPxSD_S10_SD_EESH_SX_SI_SJ_SK_EUlSX_E0_NS1_11comp_targetILNS1_3genE8ELNS1_11target_archE1030ELNS1_3gpuE2ELNS1_3repE0EEENS1_38merge_mergepath_config_static_selectorELNS0_4arch9wavefront6targetE1EEEvSJ_.kd
    .uniform_work_group_size: 1
    .uses_dynamic_stack: false
    .vgpr_count:     0
    .vgpr_spill_count: 0
    .wavefront_size: 64
  - .agpr_count:     0
    .args:
      - .offset:         0
        .size:           48
        .value_kind:     by_value
    .group_segment_fixed_size: 0
    .kernarg_segment_align: 8
    .kernarg_segment_size: 48
    .language:       OpenCL C
    .language_version:
      - 2
      - 0
    .max_flat_workgroup_size: 256
    .name:           _ZN7rocprim17ROCPRIM_400000_NS6detail17trampoline_kernelINS0_14default_configENS1_38merge_sort_block_merge_config_selectorIxxEEZZNS1_27merge_sort_block_merge_implIS3_N6thrust23THRUST_200600_302600_NS6detail15normal_iteratorINS8_10device_ptrIxEEEESD_jNS1_19radix_merge_compareILb0ELb1ExNS0_19identity_decomposerEEEEE10hipError_tT0_T1_T2_jT3_P12ihipStream_tbPNSt15iterator_traitsISI_E10value_typeEPNSO_ISJ_E10value_typeEPSK_NS1_7vsmem_tEENKUlT_SI_SJ_SK_E_clIPxSD_S10_SD_EESH_SX_SI_SJ_SK_EUlSX_E1_NS1_11comp_targetILNS1_3genE0ELNS1_11target_archE4294967295ELNS1_3gpuE0ELNS1_3repE0EEENS1_36merge_oddeven_config_static_selectorELNS0_4arch9wavefront6targetE1EEEvSJ_
    .private_segment_fixed_size: 0
    .sgpr_count:     30
    .sgpr_spill_count: 0
    .symbol:         _ZN7rocprim17ROCPRIM_400000_NS6detail17trampoline_kernelINS0_14default_configENS1_38merge_sort_block_merge_config_selectorIxxEEZZNS1_27merge_sort_block_merge_implIS3_N6thrust23THRUST_200600_302600_NS6detail15normal_iteratorINS8_10device_ptrIxEEEESD_jNS1_19radix_merge_compareILb0ELb1ExNS0_19identity_decomposerEEEEE10hipError_tT0_T1_T2_jT3_P12ihipStream_tbPNSt15iterator_traitsISI_E10value_typeEPNSO_ISJ_E10value_typeEPSK_NS1_7vsmem_tEENKUlT_SI_SJ_SK_E_clIPxSD_S10_SD_EESH_SX_SI_SJ_SK_EUlSX_E1_NS1_11comp_targetILNS1_3genE0ELNS1_11target_archE4294967295ELNS1_3gpuE0ELNS1_3repE0EEENS1_36merge_oddeven_config_static_selectorELNS0_4arch9wavefront6targetE1EEEvSJ_.kd
    .uniform_work_group_size: 1
    .uses_dynamic_stack: false
    .vgpr_count:     15
    .vgpr_spill_count: 0
    .wavefront_size: 64
  - .agpr_count:     0
    .args:
      - .offset:         0
        .size:           48
        .value_kind:     by_value
    .group_segment_fixed_size: 0
    .kernarg_segment_align: 8
    .kernarg_segment_size: 48
    .language:       OpenCL C
    .language_version:
      - 2
      - 0
    .max_flat_workgroup_size: 256
    .name:           _ZN7rocprim17ROCPRIM_400000_NS6detail17trampoline_kernelINS0_14default_configENS1_38merge_sort_block_merge_config_selectorIxxEEZZNS1_27merge_sort_block_merge_implIS3_N6thrust23THRUST_200600_302600_NS6detail15normal_iteratorINS8_10device_ptrIxEEEESD_jNS1_19radix_merge_compareILb0ELb1ExNS0_19identity_decomposerEEEEE10hipError_tT0_T1_T2_jT3_P12ihipStream_tbPNSt15iterator_traitsISI_E10value_typeEPNSO_ISJ_E10value_typeEPSK_NS1_7vsmem_tEENKUlT_SI_SJ_SK_E_clIPxSD_S10_SD_EESH_SX_SI_SJ_SK_EUlSX_E1_NS1_11comp_targetILNS1_3genE10ELNS1_11target_archE1201ELNS1_3gpuE5ELNS1_3repE0EEENS1_36merge_oddeven_config_static_selectorELNS0_4arch9wavefront6targetE1EEEvSJ_
    .private_segment_fixed_size: 0
    .sgpr_count:     6
    .sgpr_spill_count: 0
    .symbol:         _ZN7rocprim17ROCPRIM_400000_NS6detail17trampoline_kernelINS0_14default_configENS1_38merge_sort_block_merge_config_selectorIxxEEZZNS1_27merge_sort_block_merge_implIS3_N6thrust23THRUST_200600_302600_NS6detail15normal_iteratorINS8_10device_ptrIxEEEESD_jNS1_19radix_merge_compareILb0ELb1ExNS0_19identity_decomposerEEEEE10hipError_tT0_T1_T2_jT3_P12ihipStream_tbPNSt15iterator_traitsISI_E10value_typeEPNSO_ISJ_E10value_typeEPSK_NS1_7vsmem_tEENKUlT_SI_SJ_SK_E_clIPxSD_S10_SD_EESH_SX_SI_SJ_SK_EUlSX_E1_NS1_11comp_targetILNS1_3genE10ELNS1_11target_archE1201ELNS1_3gpuE5ELNS1_3repE0EEENS1_36merge_oddeven_config_static_selectorELNS0_4arch9wavefront6targetE1EEEvSJ_.kd
    .uniform_work_group_size: 1
    .uses_dynamic_stack: false
    .vgpr_count:     0
    .vgpr_spill_count: 0
    .wavefront_size: 64
  - .agpr_count:     0
    .args:
      - .offset:         0
        .size:           48
        .value_kind:     by_value
    .group_segment_fixed_size: 0
    .kernarg_segment_align: 8
    .kernarg_segment_size: 48
    .language:       OpenCL C
    .language_version:
      - 2
      - 0
    .max_flat_workgroup_size: 256
    .name:           _ZN7rocprim17ROCPRIM_400000_NS6detail17trampoline_kernelINS0_14default_configENS1_38merge_sort_block_merge_config_selectorIxxEEZZNS1_27merge_sort_block_merge_implIS3_N6thrust23THRUST_200600_302600_NS6detail15normal_iteratorINS8_10device_ptrIxEEEESD_jNS1_19radix_merge_compareILb0ELb1ExNS0_19identity_decomposerEEEEE10hipError_tT0_T1_T2_jT3_P12ihipStream_tbPNSt15iterator_traitsISI_E10value_typeEPNSO_ISJ_E10value_typeEPSK_NS1_7vsmem_tEENKUlT_SI_SJ_SK_E_clIPxSD_S10_SD_EESH_SX_SI_SJ_SK_EUlSX_E1_NS1_11comp_targetILNS1_3genE5ELNS1_11target_archE942ELNS1_3gpuE9ELNS1_3repE0EEENS1_36merge_oddeven_config_static_selectorELNS0_4arch9wavefront6targetE1EEEvSJ_
    .private_segment_fixed_size: 0
    .sgpr_count:     6
    .sgpr_spill_count: 0
    .symbol:         _ZN7rocprim17ROCPRIM_400000_NS6detail17trampoline_kernelINS0_14default_configENS1_38merge_sort_block_merge_config_selectorIxxEEZZNS1_27merge_sort_block_merge_implIS3_N6thrust23THRUST_200600_302600_NS6detail15normal_iteratorINS8_10device_ptrIxEEEESD_jNS1_19radix_merge_compareILb0ELb1ExNS0_19identity_decomposerEEEEE10hipError_tT0_T1_T2_jT3_P12ihipStream_tbPNSt15iterator_traitsISI_E10value_typeEPNSO_ISJ_E10value_typeEPSK_NS1_7vsmem_tEENKUlT_SI_SJ_SK_E_clIPxSD_S10_SD_EESH_SX_SI_SJ_SK_EUlSX_E1_NS1_11comp_targetILNS1_3genE5ELNS1_11target_archE942ELNS1_3gpuE9ELNS1_3repE0EEENS1_36merge_oddeven_config_static_selectorELNS0_4arch9wavefront6targetE1EEEvSJ_.kd
    .uniform_work_group_size: 1
    .uses_dynamic_stack: false
    .vgpr_count:     0
    .vgpr_spill_count: 0
    .wavefront_size: 64
  - .agpr_count:     0
    .args:
      - .offset:         0
        .size:           48
        .value_kind:     by_value
    .group_segment_fixed_size: 0
    .kernarg_segment_align: 8
    .kernarg_segment_size: 48
    .language:       OpenCL C
    .language_version:
      - 2
      - 0
    .max_flat_workgroup_size: 256
    .name:           _ZN7rocprim17ROCPRIM_400000_NS6detail17trampoline_kernelINS0_14default_configENS1_38merge_sort_block_merge_config_selectorIxxEEZZNS1_27merge_sort_block_merge_implIS3_N6thrust23THRUST_200600_302600_NS6detail15normal_iteratorINS8_10device_ptrIxEEEESD_jNS1_19radix_merge_compareILb0ELb1ExNS0_19identity_decomposerEEEEE10hipError_tT0_T1_T2_jT3_P12ihipStream_tbPNSt15iterator_traitsISI_E10value_typeEPNSO_ISJ_E10value_typeEPSK_NS1_7vsmem_tEENKUlT_SI_SJ_SK_E_clIPxSD_S10_SD_EESH_SX_SI_SJ_SK_EUlSX_E1_NS1_11comp_targetILNS1_3genE4ELNS1_11target_archE910ELNS1_3gpuE8ELNS1_3repE0EEENS1_36merge_oddeven_config_static_selectorELNS0_4arch9wavefront6targetE1EEEvSJ_
    .private_segment_fixed_size: 0
    .sgpr_count:     6
    .sgpr_spill_count: 0
    .symbol:         _ZN7rocprim17ROCPRIM_400000_NS6detail17trampoline_kernelINS0_14default_configENS1_38merge_sort_block_merge_config_selectorIxxEEZZNS1_27merge_sort_block_merge_implIS3_N6thrust23THRUST_200600_302600_NS6detail15normal_iteratorINS8_10device_ptrIxEEEESD_jNS1_19radix_merge_compareILb0ELb1ExNS0_19identity_decomposerEEEEE10hipError_tT0_T1_T2_jT3_P12ihipStream_tbPNSt15iterator_traitsISI_E10value_typeEPNSO_ISJ_E10value_typeEPSK_NS1_7vsmem_tEENKUlT_SI_SJ_SK_E_clIPxSD_S10_SD_EESH_SX_SI_SJ_SK_EUlSX_E1_NS1_11comp_targetILNS1_3genE4ELNS1_11target_archE910ELNS1_3gpuE8ELNS1_3repE0EEENS1_36merge_oddeven_config_static_selectorELNS0_4arch9wavefront6targetE1EEEvSJ_.kd
    .uniform_work_group_size: 1
    .uses_dynamic_stack: false
    .vgpr_count:     0
    .vgpr_spill_count: 0
    .wavefront_size: 64
  - .agpr_count:     0
    .args:
      - .offset:         0
        .size:           48
        .value_kind:     by_value
    .group_segment_fixed_size: 0
    .kernarg_segment_align: 8
    .kernarg_segment_size: 48
    .language:       OpenCL C
    .language_version:
      - 2
      - 0
    .max_flat_workgroup_size: 256
    .name:           _ZN7rocprim17ROCPRIM_400000_NS6detail17trampoline_kernelINS0_14default_configENS1_38merge_sort_block_merge_config_selectorIxxEEZZNS1_27merge_sort_block_merge_implIS3_N6thrust23THRUST_200600_302600_NS6detail15normal_iteratorINS8_10device_ptrIxEEEESD_jNS1_19radix_merge_compareILb0ELb1ExNS0_19identity_decomposerEEEEE10hipError_tT0_T1_T2_jT3_P12ihipStream_tbPNSt15iterator_traitsISI_E10value_typeEPNSO_ISJ_E10value_typeEPSK_NS1_7vsmem_tEENKUlT_SI_SJ_SK_E_clIPxSD_S10_SD_EESH_SX_SI_SJ_SK_EUlSX_E1_NS1_11comp_targetILNS1_3genE3ELNS1_11target_archE908ELNS1_3gpuE7ELNS1_3repE0EEENS1_36merge_oddeven_config_static_selectorELNS0_4arch9wavefront6targetE1EEEvSJ_
    .private_segment_fixed_size: 0
    .sgpr_count:     6
    .sgpr_spill_count: 0
    .symbol:         _ZN7rocprim17ROCPRIM_400000_NS6detail17trampoline_kernelINS0_14default_configENS1_38merge_sort_block_merge_config_selectorIxxEEZZNS1_27merge_sort_block_merge_implIS3_N6thrust23THRUST_200600_302600_NS6detail15normal_iteratorINS8_10device_ptrIxEEEESD_jNS1_19radix_merge_compareILb0ELb1ExNS0_19identity_decomposerEEEEE10hipError_tT0_T1_T2_jT3_P12ihipStream_tbPNSt15iterator_traitsISI_E10value_typeEPNSO_ISJ_E10value_typeEPSK_NS1_7vsmem_tEENKUlT_SI_SJ_SK_E_clIPxSD_S10_SD_EESH_SX_SI_SJ_SK_EUlSX_E1_NS1_11comp_targetILNS1_3genE3ELNS1_11target_archE908ELNS1_3gpuE7ELNS1_3repE0EEENS1_36merge_oddeven_config_static_selectorELNS0_4arch9wavefront6targetE1EEEvSJ_.kd
    .uniform_work_group_size: 1
    .uses_dynamic_stack: false
    .vgpr_count:     0
    .vgpr_spill_count: 0
    .wavefront_size: 64
  - .agpr_count:     0
    .args:
      - .offset:         0
        .size:           48
        .value_kind:     by_value
    .group_segment_fixed_size: 0
    .kernarg_segment_align: 8
    .kernarg_segment_size: 48
    .language:       OpenCL C
    .language_version:
      - 2
      - 0
    .max_flat_workgroup_size: 256
    .name:           _ZN7rocprim17ROCPRIM_400000_NS6detail17trampoline_kernelINS0_14default_configENS1_38merge_sort_block_merge_config_selectorIxxEEZZNS1_27merge_sort_block_merge_implIS3_N6thrust23THRUST_200600_302600_NS6detail15normal_iteratorINS8_10device_ptrIxEEEESD_jNS1_19radix_merge_compareILb0ELb1ExNS0_19identity_decomposerEEEEE10hipError_tT0_T1_T2_jT3_P12ihipStream_tbPNSt15iterator_traitsISI_E10value_typeEPNSO_ISJ_E10value_typeEPSK_NS1_7vsmem_tEENKUlT_SI_SJ_SK_E_clIPxSD_S10_SD_EESH_SX_SI_SJ_SK_EUlSX_E1_NS1_11comp_targetILNS1_3genE2ELNS1_11target_archE906ELNS1_3gpuE6ELNS1_3repE0EEENS1_36merge_oddeven_config_static_selectorELNS0_4arch9wavefront6targetE1EEEvSJ_
    .private_segment_fixed_size: 0
    .sgpr_count:     6
    .sgpr_spill_count: 0
    .symbol:         _ZN7rocprim17ROCPRIM_400000_NS6detail17trampoline_kernelINS0_14default_configENS1_38merge_sort_block_merge_config_selectorIxxEEZZNS1_27merge_sort_block_merge_implIS3_N6thrust23THRUST_200600_302600_NS6detail15normal_iteratorINS8_10device_ptrIxEEEESD_jNS1_19radix_merge_compareILb0ELb1ExNS0_19identity_decomposerEEEEE10hipError_tT0_T1_T2_jT3_P12ihipStream_tbPNSt15iterator_traitsISI_E10value_typeEPNSO_ISJ_E10value_typeEPSK_NS1_7vsmem_tEENKUlT_SI_SJ_SK_E_clIPxSD_S10_SD_EESH_SX_SI_SJ_SK_EUlSX_E1_NS1_11comp_targetILNS1_3genE2ELNS1_11target_archE906ELNS1_3gpuE6ELNS1_3repE0EEENS1_36merge_oddeven_config_static_selectorELNS0_4arch9wavefront6targetE1EEEvSJ_.kd
    .uniform_work_group_size: 1
    .uses_dynamic_stack: false
    .vgpr_count:     0
    .vgpr_spill_count: 0
    .wavefront_size: 64
  - .agpr_count:     0
    .args:
      - .offset:         0
        .size:           48
        .value_kind:     by_value
    .group_segment_fixed_size: 0
    .kernarg_segment_align: 8
    .kernarg_segment_size: 48
    .language:       OpenCL C
    .language_version:
      - 2
      - 0
    .max_flat_workgroup_size: 256
    .name:           _ZN7rocprim17ROCPRIM_400000_NS6detail17trampoline_kernelINS0_14default_configENS1_38merge_sort_block_merge_config_selectorIxxEEZZNS1_27merge_sort_block_merge_implIS3_N6thrust23THRUST_200600_302600_NS6detail15normal_iteratorINS8_10device_ptrIxEEEESD_jNS1_19radix_merge_compareILb0ELb1ExNS0_19identity_decomposerEEEEE10hipError_tT0_T1_T2_jT3_P12ihipStream_tbPNSt15iterator_traitsISI_E10value_typeEPNSO_ISJ_E10value_typeEPSK_NS1_7vsmem_tEENKUlT_SI_SJ_SK_E_clIPxSD_S10_SD_EESH_SX_SI_SJ_SK_EUlSX_E1_NS1_11comp_targetILNS1_3genE9ELNS1_11target_archE1100ELNS1_3gpuE3ELNS1_3repE0EEENS1_36merge_oddeven_config_static_selectorELNS0_4arch9wavefront6targetE1EEEvSJ_
    .private_segment_fixed_size: 0
    .sgpr_count:     6
    .sgpr_spill_count: 0
    .symbol:         _ZN7rocprim17ROCPRIM_400000_NS6detail17trampoline_kernelINS0_14default_configENS1_38merge_sort_block_merge_config_selectorIxxEEZZNS1_27merge_sort_block_merge_implIS3_N6thrust23THRUST_200600_302600_NS6detail15normal_iteratorINS8_10device_ptrIxEEEESD_jNS1_19radix_merge_compareILb0ELb1ExNS0_19identity_decomposerEEEEE10hipError_tT0_T1_T2_jT3_P12ihipStream_tbPNSt15iterator_traitsISI_E10value_typeEPNSO_ISJ_E10value_typeEPSK_NS1_7vsmem_tEENKUlT_SI_SJ_SK_E_clIPxSD_S10_SD_EESH_SX_SI_SJ_SK_EUlSX_E1_NS1_11comp_targetILNS1_3genE9ELNS1_11target_archE1100ELNS1_3gpuE3ELNS1_3repE0EEENS1_36merge_oddeven_config_static_selectorELNS0_4arch9wavefront6targetE1EEEvSJ_.kd
    .uniform_work_group_size: 1
    .uses_dynamic_stack: false
    .vgpr_count:     0
    .vgpr_spill_count: 0
    .wavefront_size: 64
  - .agpr_count:     0
    .args:
      - .offset:         0
        .size:           48
        .value_kind:     by_value
    .group_segment_fixed_size: 0
    .kernarg_segment_align: 8
    .kernarg_segment_size: 48
    .language:       OpenCL C
    .language_version:
      - 2
      - 0
    .max_flat_workgroup_size: 256
    .name:           _ZN7rocprim17ROCPRIM_400000_NS6detail17trampoline_kernelINS0_14default_configENS1_38merge_sort_block_merge_config_selectorIxxEEZZNS1_27merge_sort_block_merge_implIS3_N6thrust23THRUST_200600_302600_NS6detail15normal_iteratorINS8_10device_ptrIxEEEESD_jNS1_19radix_merge_compareILb0ELb1ExNS0_19identity_decomposerEEEEE10hipError_tT0_T1_T2_jT3_P12ihipStream_tbPNSt15iterator_traitsISI_E10value_typeEPNSO_ISJ_E10value_typeEPSK_NS1_7vsmem_tEENKUlT_SI_SJ_SK_E_clIPxSD_S10_SD_EESH_SX_SI_SJ_SK_EUlSX_E1_NS1_11comp_targetILNS1_3genE8ELNS1_11target_archE1030ELNS1_3gpuE2ELNS1_3repE0EEENS1_36merge_oddeven_config_static_selectorELNS0_4arch9wavefront6targetE1EEEvSJ_
    .private_segment_fixed_size: 0
    .sgpr_count:     6
    .sgpr_spill_count: 0
    .symbol:         _ZN7rocprim17ROCPRIM_400000_NS6detail17trampoline_kernelINS0_14default_configENS1_38merge_sort_block_merge_config_selectorIxxEEZZNS1_27merge_sort_block_merge_implIS3_N6thrust23THRUST_200600_302600_NS6detail15normal_iteratorINS8_10device_ptrIxEEEESD_jNS1_19radix_merge_compareILb0ELb1ExNS0_19identity_decomposerEEEEE10hipError_tT0_T1_T2_jT3_P12ihipStream_tbPNSt15iterator_traitsISI_E10value_typeEPNSO_ISJ_E10value_typeEPSK_NS1_7vsmem_tEENKUlT_SI_SJ_SK_E_clIPxSD_S10_SD_EESH_SX_SI_SJ_SK_EUlSX_E1_NS1_11comp_targetILNS1_3genE8ELNS1_11target_archE1030ELNS1_3gpuE2ELNS1_3repE0EEENS1_36merge_oddeven_config_static_selectorELNS0_4arch9wavefront6targetE1EEEvSJ_.kd
    .uniform_work_group_size: 1
    .uses_dynamic_stack: false
    .vgpr_count:     0
    .vgpr_spill_count: 0
    .wavefront_size: 64
  - .agpr_count:     0
    .args:
      - .offset:         0
        .size:           40
        .value_kind:     by_value
    .group_segment_fixed_size: 0
    .kernarg_segment_align: 8
    .kernarg_segment_size: 40
    .language:       OpenCL C
    .language_version:
      - 2
      - 0
    .max_flat_workgroup_size: 128
    .name:           _ZN7rocprim17ROCPRIM_400000_NS6detail17trampoline_kernelINS0_14default_configENS1_38merge_sort_block_merge_config_selectorIxxEEZZNS1_27merge_sort_block_merge_implIS3_N6thrust23THRUST_200600_302600_NS6detail15normal_iteratorINS8_10device_ptrIxEEEESD_jNS1_19radix_merge_compareILb0ELb1ExNS0_19identity_decomposerEEEEE10hipError_tT0_T1_T2_jT3_P12ihipStream_tbPNSt15iterator_traitsISI_E10value_typeEPNSO_ISJ_E10value_typeEPSK_NS1_7vsmem_tEENKUlT_SI_SJ_SK_E_clISD_PxSD_S10_EESH_SX_SI_SJ_SK_EUlSX_E_NS1_11comp_targetILNS1_3genE0ELNS1_11target_archE4294967295ELNS1_3gpuE0ELNS1_3repE0EEENS1_48merge_mergepath_partition_config_static_selectorELNS0_4arch9wavefront6targetE1EEEvSJ_
    .private_segment_fixed_size: 0
    .sgpr_count:     16
    .sgpr_spill_count: 0
    .symbol:         _ZN7rocprim17ROCPRIM_400000_NS6detail17trampoline_kernelINS0_14default_configENS1_38merge_sort_block_merge_config_selectorIxxEEZZNS1_27merge_sort_block_merge_implIS3_N6thrust23THRUST_200600_302600_NS6detail15normal_iteratorINS8_10device_ptrIxEEEESD_jNS1_19radix_merge_compareILb0ELb1ExNS0_19identity_decomposerEEEEE10hipError_tT0_T1_T2_jT3_P12ihipStream_tbPNSt15iterator_traitsISI_E10value_typeEPNSO_ISJ_E10value_typeEPSK_NS1_7vsmem_tEENKUlT_SI_SJ_SK_E_clISD_PxSD_S10_EESH_SX_SI_SJ_SK_EUlSX_E_NS1_11comp_targetILNS1_3genE0ELNS1_11target_archE4294967295ELNS1_3gpuE0ELNS1_3repE0EEENS1_48merge_mergepath_partition_config_static_selectorELNS0_4arch9wavefront6targetE1EEEvSJ_.kd
    .uniform_work_group_size: 1
    .uses_dynamic_stack: false
    .vgpr_count:     16
    .vgpr_spill_count: 0
    .wavefront_size: 64
  - .agpr_count:     0
    .args:
      - .offset:         0
        .size:           40
        .value_kind:     by_value
    .group_segment_fixed_size: 0
    .kernarg_segment_align: 8
    .kernarg_segment_size: 40
    .language:       OpenCL C
    .language_version:
      - 2
      - 0
    .max_flat_workgroup_size: 128
    .name:           _ZN7rocprim17ROCPRIM_400000_NS6detail17trampoline_kernelINS0_14default_configENS1_38merge_sort_block_merge_config_selectorIxxEEZZNS1_27merge_sort_block_merge_implIS3_N6thrust23THRUST_200600_302600_NS6detail15normal_iteratorINS8_10device_ptrIxEEEESD_jNS1_19radix_merge_compareILb0ELb1ExNS0_19identity_decomposerEEEEE10hipError_tT0_T1_T2_jT3_P12ihipStream_tbPNSt15iterator_traitsISI_E10value_typeEPNSO_ISJ_E10value_typeEPSK_NS1_7vsmem_tEENKUlT_SI_SJ_SK_E_clISD_PxSD_S10_EESH_SX_SI_SJ_SK_EUlSX_E_NS1_11comp_targetILNS1_3genE10ELNS1_11target_archE1201ELNS1_3gpuE5ELNS1_3repE0EEENS1_48merge_mergepath_partition_config_static_selectorELNS0_4arch9wavefront6targetE1EEEvSJ_
    .private_segment_fixed_size: 0
    .sgpr_count:     6
    .sgpr_spill_count: 0
    .symbol:         _ZN7rocprim17ROCPRIM_400000_NS6detail17trampoline_kernelINS0_14default_configENS1_38merge_sort_block_merge_config_selectorIxxEEZZNS1_27merge_sort_block_merge_implIS3_N6thrust23THRUST_200600_302600_NS6detail15normal_iteratorINS8_10device_ptrIxEEEESD_jNS1_19radix_merge_compareILb0ELb1ExNS0_19identity_decomposerEEEEE10hipError_tT0_T1_T2_jT3_P12ihipStream_tbPNSt15iterator_traitsISI_E10value_typeEPNSO_ISJ_E10value_typeEPSK_NS1_7vsmem_tEENKUlT_SI_SJ_SK_E_clISD_PxSD_S10_EESH_SX_SI_SJ_SK_EUlSX_E_NS1_11comp_targetILNS1_3genE10ELNS1_11target_archE1201ELNS1_3gpuE5ELNS1_3repE0EEENS1_48merge_mergepath_partition_config_static_selectorELNS0_4arch9wavefront6targetE1EEEvSJ_.kd
    .uniform_work_group_size: 1
    .uses_dynamic_stack: false
    .vgpr_count:     0
    .vgpr_spill_count: 0
    .wavefront_size: 64
  - .agpr_count:     0
    .args:
      - .offset:         0
        .size:           40
        .value_kind:     by_value
    .group_segment_fixed_size: 0
    .kernarg_segment_align: 8
    .kernarg_segment_size: 40
    .language:       OpenCL C
    .language_version:
      - 2
      - 0
    .max_flat_workgroup_size: 128
    .name:           _ZN7rocprim17ROCPRIM_400000_NS6detail17trampoline_kernelINS0_14default_configENS1_38merge_sort_block_merge_config_selectorIxxEEZZNS1_27merge_sort_block_merge_implIS3_N6thrust23THRUST_200600_302600_NS6detail15normal_iteratorINS8_10device_ptrIxEEEESD_jNS1_19radix_merge_compareILb0ELb1ExNS0_19identity_decomposerEEEEE10hipError_tT0_T1_T2_jT3_P12ihipStream_tbPNSt15iterator_traitsISI_E10value_typeEPNSO_ISJ_E10value_typeEPSK_NS1_7vsmem_tEENKUlT_SI_SJ_SK_E_clISD_PxSD_S10_EESH_SX_SI_SJ_SK_EUlSX_E_NS1_11comp_targetILNS1_3genE5ELNS1_11target_archE942ELNS1_3gpuE9ELNS1_3repE0EEENS1_48merge_mergepath_partition_config_static_selectorELNS0_4arch9wavefront6targetE1EEEvSJ_
    .private_segment_fixed_size: 0
    .sgpr_count:     6
    .sgpr_spill_count: 0
    .symbol:         _ZN7rocprim17ROCPRIM_400000_NS6detail17trampoline_kernelINS0_14default_configENS1_38merge_sort_block_merge_config_selectorIxxEEZZNS1_27merge_sort_block_merge_implIS3_N6thrust23THRUST_200600_302600_NS6detail15normal_iteratorINS8_10device_ptrIxEEEESD_jNS1_19radix_merge_compareILb0ELb1ExNS0_19identity_decomposerEEEEE10hipError_tT0_T1_T2_jT3_P12ihipStream_tbPNSt15iterator_traitsISI_E10value_typeEPNSO_ISJ_E10value_typeEPSK_NS1_7vsmem_tEENKUlT_SI_SJ_SK_E_clISD_PxSD_S10_EESH_SX_SI_SJ_SK_EUlSX_E_NS1_11comp_targetILNS1_3genE5ELNS1_11target_archE942ELNS1_3gpuE9ELNS1_3repE0EEENS1_48merge_mergepath_partition_config_static_selectorELNS0_4arch9wavefront6targetE1EEEvSJ_.kd
    .uniform_work_group_size: 1
    .uses_dynamic_stack: false
    .vgpr_count:     0
    .vgpr_spill_count: 0
    .wavefront_size: 64
  - .agpr_count:     0
    .args:
      - .offset:         0
        .size:           40
        .value_kind:     by_value
    .group_segment_fixed_size: 0
    .kernarg_segment_align: 8
    .kernarg_segment_size: 40
    .language:       OpenCL C
    .language_version:
      - 2
      - 0
    .max_flat_workgroup_size: 128
    .name:           _ZN7rocprim17ROCPRIM_400000_NS6detail17trampoline_kernelINS0_14default_configENS1_38merge_sort_block_merge_config_selectorIxxEEZZNS1_27merge_sort_block_merge_implIS3_N6thrust23THRUST_200600_302600_NS6detail15normal_iteratorINS8_10device_ptrIxEEEESD_jNS1_19radix_merge_compareILb0ELb1ExNS0_19identity_decomposerEEEEE10hipError_tT0_T1_T2_jT3_P12ihipStream_tbPNSt15iterator_traitsISI_E10value_typeEPNSO_ISJ_E10value_typeEPSK_NS1_7vsmem_tEENKUlT_SI_SJ_SK_E_clISD_PxSD_S10_EESH_SX_SI_SJ_SK_EUlSX_E_NS1_11comp_targetILNS1_3genE4ELNS1_11target_archE910ELNS1_3gpuE8ELNS1_3repE0EEENS1_48merge_mergepath_partition_config_static_selectorELNS0_4arch9wavefront6targetE1EEEvSJ_
    .private_segment_fixed_size: 0
    .sgpr_count:     6
    .sgpr_spill_count: 0
    .symbol:         _ZN7rocprim17ROCPRIM_400000_NS6detail17trampoline_kernelINS0_14default_configENS1_38merge_sort_block_merge_config_selectorIxxEEZZNS1_27merge_sort_block_merge_implIS3_N6thrust23THRUST_200600_302600_NS6detail15normal_iteratorINS8_10device_ptrIxEEEESD_jNS1_19radix_merge_compareILb0ELb1ExNS0_19identity_decomposerEEEEE10hipError_tT0_T1_T2_jT3_P12ihipStream_tbPNSt15iterator_traitsISI_E10value_typeEPNSO_ISJ_E10value_typeEPSK_NS1_7vsmem_tEENKUlT_SI_SJ_SK_E_clISD_PxSD_S10_EESH_SX_SI_SJ_SK_EUlSX_E_NS1_11comp_targetILNS1_3genE4ELNS1_11target_archE910ELNS1_3gpuE8ELNS1_3repE0EEENS1_48merge_mergepath_partition_config_static_selectorELNS0_4arch9wavefront6targetE1EEEvSJ_.kd
    .uniform_work_group_size: 1
    .uses_dynamic_stack: false
    .vgpr_count:     0
    .vgpr_spill_count: 0
    .wavefront_size: 64
  - .agpr_count:     0
    .args:
      - .offset:         0
        .size:           40
        .value_kind:     by_value
    .group_segment_fixed_size: 0
    .kernarg_segment_align: 8
    .kernarg_segment_size: 40
    .language:       OpenCL C
    .language_version:
      - 2
      - 0
    .max_flat_workgroup_size: 128
    .name:           _ZN7rocprim17ROCPRIM_400000_NS6detail17trampoline_kernelINS0_14default_configENS1_38merge_sort_block_merge_config_selectorIxxEEZZNS1_27merge_sort_block_merge_implIS3_N6thrust23THRUST_200600_302600_NS6detail15normal_iteratorINS8_10device_ptrIxEEEESD_jNS1_19radix_merge_compareILb0ELb1ExNS0_19identity_decomposerEEEEE10hipError_tT0_T1_T2_jT3_P12ihipStream_tbPNSt15iterator_traitsISI_E10value_typeEPNSO_ISJ_E10value_typeEPSK_NS1_7vsmem_tEENKUlT_SI_SJ_SK_E_clISD_PxSD_S10_EESH_SX_SI_SJ_SK_EUlSX_E_NS1_11comp_targetILNS1_3genE3ELNS1_11target_archE908ELNS1_3gpuE7ELNS1_3repE0EEENS1_48merge_mergepath_partition_config_static_selectorELNS0_4arch9wavefront6targetE1EEEvSJ_
    .private_segment_fixed_size: 0
    .sgpr_count:     6
    .sgpr_spill_count: 0
    .symbol:         _ZN7rocprim17ROCPRIM_400000_NS6detail17trampoline_kernelINS0_14default_configENS1_38merge_sort_block_merge_config_selectorIxxEEZZNS1_27merge_sort_block_merge_implIS3_N6thrust23THRUST_200600_302600_NS6detail15normal_iteratorINS8_10device_ptrIxEEEESD_jNS1_19radix_merge_compareILb0ELb1ExNS0_19identity_decomposerEEEEE10hipError_tT0_T1_T2_jT3_P12ihipStream_tbPNSt15iterator_traitsISI_E10value_typeEPNSO_ISJ_E10value_typeEPSK_NS1_7vsmem_tEENKUlT_SI_SJ_SK_E_clISD_PxSD_S10_EESH_SX_SI_SJ_SK_EUlSX_E_NS1_11comp_targetILNS1_3genE3ELNS1_11target_archE908ELNS1_3gpuE7ELNS1_3repE0EEENS1_48merge_mergepath_partition_config_static_selectorELNS0_4arch9wavefront6targetE1EEEvSJ_.kd
    .uniform_work_group_size: 1
    .uses_dynamic_stack: false
    .vgpr_count:     0
    .vgpr_spill_count: 0
    .wavefront_size: 64
  - .agpr_count:     0
    .args:
      - .offset:         0
        .size:           40
        .value_kind:     by_value
    .group_segment_fixed_size: 0
    .kernarg_segment_align: 8
    .kernarg_segment_size: 40
    .language:       OpenCL C
    .language_version:
      - 2
      - 0
    .max_flat_workgroup_size: 128
    .name:           _ZN7rocprim17ROCPRIM_400000_NS6detail17trampoline_kernelINS0_14default_configENS1_38merge_sort_block_merge_config_selectorIxxEEZZNS1_27merge_sort_block_merge_implIS3_N6thrust23THRUST_200600_302600_NS6detail15normal_iteratorINS8_10device_ptrIxEEEESD_jNS1_19radix_merge_compareILb0ELb1ExNS0_19identity_decomposerEEEEE10hipError_tT0_T1_T2_jT3_P12ihipStream_tbPNSt15iterator_traitsISI_E10value_typeEPNSO_ISJ_E10value_typeEPSK_NS1_7vsmem_tEENKUlT_SI_SJ_SK_E_clISD_PxSD_S10_EESH_SX_SI_SJ_SK_EUlSX_E_NS1_11comp_targetILNS1_3genE2ELNS1_11target_archE906ELNS1_3gpuE6ELNS1_3repE0EEENS1_48merge_mergepath_partition_config_static_selectorELNS0_4arch9wavefront6targetE1EEEvSJ_
    .private_segment_fixed_size: 0
    .sgpr_count:     6
    .sgpr_spill_count: 0
    .symbol:         _ZN7rocprim17ROCPRIM_400000_NS6detail17trampoline_kernelINS0_14default_configENS1_38merge_sort_block_merge_config_selectorIxxEEZZNS1_27merge_sort_block_merge_implIS3_N6thrust23THRUST_200600_302600_NS6detail15normal_iteratorINS8_10device_ptrIxEEEESD_jNS1_19radix_merge_compareILb0ELb1ExNS0_19identity_decomposerEEEEE10hipError_tT0_T1_T2_jT3_P12ihipStream_tbPNSt15iterator_traitsISI_E10value_typeEPNSO_ISJ_E10value_typeEPSK_NS1_7vsmem_tEENKUlT_SI_SJ_SK_E_clISD_PxSD_S10_EESH_SX_SI_SJ_SK_EUlSX_E_NS1_11comp_targetILNS1_3genE2ELNS1_11target_archE906ELNS1_3gpuE6ELNS1_3repE0EEENS1_48merge_mergepath_partition_config_static_selectorELNS0_4arch9wavefront6targetE1EEEvSJ_.kd
    .uniform_work_group_size: 1
    .uses_dynamic_stack: false
    .vgpr_count:     0
    .vgpr_spill_count: 0
    .wavefront_size: 64
  - .agpr_count:     0
    .args:
      - .offset:         0
        .size:           40
        .value_kind:     by_value
    .group_segment_fixed_size: 0
    .kernarg_segment_align: 8
    .kernarg_segment_size: 40
    .language:       OpenCL C
    .language_version:
      - 2
      - 0
    .max_flat_workgroup_size: 128
    .name:           _ZN7rocprim17ROCPRIM_400000_NS6detail17trampoline_kernelINS0_14default_configENS1_38merge_sort_block_merge_config_selectorIxxEEZZNS1_27merge_sort_block_merge_implIS3_N6thrust23THRUST_200600_302600_NS6detail15normal_iteratorINS8_10device_ptrIxEEEESD_jNS1_19radix_merge_compareILb0ELb1ExNS0_19identity_decomposerEEEEE10hipError_tT0_T1_T2_jT3_P12ihipStream_tbPNSt15iterator_traitsISI_E10value_typeEPNSO_ISJ_E10value_typeEPSK_NS1_7vsmem_tEENKUlT_SI_SJ_SK_E_clISD_PxSD_S10_EESH_SX_SI_SJ_SK_EUlSX_E_NS1_11comp_targetILNS1_3genE9ELNS1_11target_archE1100ELNS1_3gpuE3ELNS1_3repE0EEENS1_48merge_mergepath_partition_config_static_selectorELNS0_4arch9wavefront6targetE1EEEvSJ_
    .private_segment_fixed_size: 0
    .sgpr_count:     6
    .sgpr_spill_count: 0
    .symbol:         _ZN7rocprim17ROCPRIM_400000_NS6detail17trampoline_kernelINS0_14default_configENS1_38merge_sort_block_merge_config_selectorIxxEEZZNS1_27merge_sort_block_merge_implIS3_N6thrust23THRUST_200600_302600_NS6detail15normal_iteratorINS8_10device_ptrIxEEEESD_jNS1_19radix_merge_compareILb0ELb1ExNS0_19identity_decomposerEEEEE10hipError_tT0_T1_T2_jT3_P12ihipStream_tbPNSt15iterator_traitsISI_E10value_typeEPNSO_ISJ_E10value_typeEPSK_NS1_7vsmem_tEENKUlT_SI_SJ_SK_E_clISD_PxSD_S10_EESH_SX_SI_SJ_SK_EUlSX_E_NS1_11comp_targetILNS1_3genE9ELNS1_11target_archE1100ELNS1_3gpuE3ELNS1_3repE0EEENS1_48merge_mergepath_partition_config_static_selectorELNS0_4arch9wavefront6targetE1EEEvSJ_.kd
    .uniform_work_group_size: 1
    .uses_dynamic_stack: false
    .vgpr_count:     0
    .vgpr_spill_count: 0
    .wavefront_size: 64
  - .agpr_count:     0
    .args:
      - .offset:         0
        .size:           40
        .value_kind:     by_value
    .group_segment_fixed_size: 0
    .kernarg_segment_align: 8
    .kernarg_segment_size: 40
    .language:       OpenCL C
    .language_version:
      - 2
      - 0
    .max_flat_workgroup_size: 128
    .name:           _ZN7rocprim17ROCPRIM_400000_NS6detail17trampoline_kernelINS0_14default_configENS1_38merge_sort_block_merge_config_selectorIxxEEZZNS1_27merge_sort_block_merge_implIS3_N6thrust23THRUST_200600_302600_NS6detail15normal_iteratorINS8_10device_ptrIxEEEESD_jNS1_19radix_merge_compareILb0ELb1ExNS0_19identity_decomposerEEEEE10hipError_tT0_T1_T2_jT3_P12ihipStream_tbPNSt15iterator_traitsISI_E10value_typeEPNSO_ISJ_E10value_typeEPSK_NS1_7vsmem_tEENKUlT_SI_SJ_SK_E_clISD_PxSD_S10_EESH_SX_SI_SJ_SK_EUlSX_E_NS1_11comp_targetILNS1_3genE8ELNS1_11target_archE1030ELNS1_3gpuE2ELNS1_3repE0EEENS1_48merge_mergepath_partition_config_static_selectorELNS0_4arch9wavefront6targetE1EEEvSJ_
    .private_segment_fixed_size: 0
    .sgpr_count:     6
    .sgpr_spill_count: 0
    .symbol:         _ZN7rocprim17ROCPRIM_400000_NS6detail17trampoline_kernelINS0_14default_configENS1_38merge_sort_block_merge_config_selectorIxxEEZZNS1_27merge_sort_block_merge_implIS3_N6thrust23THRUST_200600_302600_NS6detail15normal_iteratorINS8_10device_ptrIxEEEESD_jNS1_19radix_merge_compareILb0ELb1ExNS0_19identity_decomposerEEEEE10hipError_tT0_T1_T2_jT3_P12ihipStream_tbPNSt15iterator_traitsISI_E10value_typeEPNSO_ISJ_E10value_typeEPSK_NS1_7vsmem_tEENKUlT_SI_SJ_SK_E_clISD_PxSD_S10_EESH_SX_SI_SJ_SK_EUlSX_E_NS1_11comp_targetILNS1_3genE8ELNS1_11target_archE1030ELNS1_3gpuE2ELNS1_3repE0EEENS1_48merge_mergepath_partition_config_static_selectorELNS0_4arch9wavefront6targetE1EEEvSJ_.kd
    .uniform_work_group_size: 1
    .uses_dynamic_stack: false
    .vgpr_count:     0
    .vgpr_spill_count: 0
    .wavefront_size: 64
  - .agpr_count:     0
    .args:
      - .offset:         0
        .size:           72
        .value_kind:     by_value
      - .offset:         72
        .size:           4
        .value_kind:     hidden_block_count_x
      - .offset:         76
        .size:           4
        .value_kind:     hidden_block_count_y
      - .offset:         80
        .size:           4
        .value_kind:     hidden_block_count_z
      - .offset:         84
        .size:           2
        .value_kind:     hidden_group_size_x
      - .offset:         86
        .size:           2
        .value_kind:     hidden_group_size_y
      - .offset:         88
        .size:           2
        .value_kind:     hidden_group_size_z
      - .offset:         90
        .size:           2
        .value_kind:     hidden_remainder_x
      - .offset:         92
        .size:           2
        .value_kind:     hidden_remainder_y
      - .offset:         94
        .size:           2
        .value_kind:     hidden_remainder_z
      - .offset:         112
        .size:           8
        .value_kind:     hidden_global_offset_x
      - .offset:         120
        .size:           8
        .value_kind:     hidden_global_offset_y
      - .offset:         128
        .size:           8
        .value_kind:     hidden_global_offset_z
      - .offset:         136
        .size:           2
        .value_kind:     hidden_grid_dims
    .group_segment_fixed_size: 8448
    .kernarg_segment_align: 8
    .kernarg_segment_size: 328
    .language:       OpenCL C
    .language_version:
      - 2
      - 0
    .max_flat_workgroup_size: 512
    .name:           _ZN7rocprim17ROCPRIM_400000_NS6detail17trampoline_kernelINS0_14default_configENS1_38merge_sort_block_merge_config_selectorIxxEEZZNS1_27merge_sort_block_merge_implIS3_N6thrust23THRUST_200600_302600_NS6detail15normal_iteratorINS8_10device_ptrIxEEEESD_jNS1_19radix_merge_compareILb0ELb1ExNS0_19identity_decomposerEEEEE10hipError_tT0_T1_T2_jT3_P12ihipStream_tbPNSt15iterator_traitsISI_E10value_typeEPNSO_ISJ_E10value_typeEPSK_NS1_7vsmem_tEENKUlT_SI_SJ_SK_E_clISD_PxSD_S10_EESH_SX_SI_SJ_SK_EUlSX_E0_NS1_11comp_targetILNS1_3genE0ELNS1_11target_archE4294967295ELNS1_3gpuE0ELNS1_3repE0EEENS1_38merge_mergepath_config_static_selectorELNS0_4arch9wavefront6targetE1EEEvSJ_
    .private_segment_fixed_size: 0
    .sgpr_count:     38
    .sgpr_spill_count: 0
    .symbol:         _ZN7rocprim17ROCPRIM_400000_NS6detail17trampoline_kernelINS0_14default_configENS1_38merge_sort_block_merge_config_selectorIxxEEZZNS1_27merge_sort_block_merge_implIS3_N6thrust23THRUST_200600_302600_NS6detail15normal_iteratorINS8_10device_ptrIxEEEESD_jNS1_19radix_merge_compareILb0ELb1ExNS0_19identity_decomposerEEEEE10hipError_tT0_T1_T2_jT3_P12ihipStream_tbPNSt15iterator_traitsISI_E10value_typeEPNSO_ISJ_E10value_typeEPSK_NS1_7vsmem_tEENKUlT_SI_SJ_SK_E_clISD_PxSD_S10_EESH_SX_SI_SJ_SK_EUlSX_E0_NS1_11comp_targetILNS1_3genE0ELNS1_11target_archE4294967295ELNS1_3gpuE0ELNS1_3repE0EEENS1_38merge_mergepath_config_static_selectorELNS0_4arch9wavefront6targetE1EEEvSJ_.kd
    .uniform_work_group_size: 1
    .uses_dynamic_stack: false
    .vgpr_count:     22
    .vgpr_spill_count: 0
    .wavefront_size: 64
  - .agpr_count:     0
    .args:
      - .offset:         0
        .size:           72
        .value_kind:     by_value
    .group_segment_fixed_size: 0
    .kernarg_segment_align: 8
    .kernarg_segment_size: 72
    .language:       OpenCL C
    .language_version:
      - 2
      - 0
    .max_flat_workgroup_size: 512
    .name:           _ZN7rocprim17ROCPRIM_400000_NS6detail17trampoline_kernelINS0_14default_configENS1_38merge_sort_block_merge_config_selectorIxxEEZZNS1_27merge_sort_block_merge_implIS3_N6thrust23THRUST_200600_302600_NS6detail15normal_iteratorINS8_10device_ptrIxEEEESD_jNS1_19radix_merge_compareILb0ELb1ExNS0_19identity_decomposerEEEEE10hipError_tT0_T1_T2_jT3_P12ihipStream_tbPNSt15iterator_traitsISI_E10value_typeEPNSO_ISJ_E10value_typeEPSK_NS1_7vsmem_tEENKUlT_SI_SJ_SK_E_clISD_PxSD_S10_EESH_SX_SI_SJ_SK_EUlSX_E0_NS1_11comp_targetILNS1_3genE10ELNS1_11target_archE1201ELNS1_3gpuE5ELNS1_3repE0EEENS1_38merge_mergepath_config_static_selectorELNS0_4arch9wavefront6targetE1EEEvSJ_
    .private_segment_fixed_size: 0
    .sgpr_count:     6
    .sgpr_spill_count: 0
    .symbol:         _ZN7rocprim17ROCPRIM_400000_NS6detail17trampoline_kernelINS0_14default_configENS1_38merge_sort_block_merge_config_selectorIxxEEZZNS1_27merge_sort_block_merge_implIS3_N6thrust23THRUST_200600_302600_NS6detail15normal_iteratorINS8_10device_ptrIxEEEESD_jNS1_19radix_merge_compareILb0ELb1ExNS0_19identity_decomposerEEEEE10hipError_tT0_T1_T2_jT3_P12ihipStream_tbPNSt15iterator_traitsISI_E10value_typeEPNSO_ISJ_E10value_typeEPSK_NS1_7vsmem_tEENKUlT_SI_SJ_SK_E_clISD_PxSD_S10_EESH_SX_SI_SJ_SK_EUlSX_E0_NS1_11comp_targetILNS1_3genE10ELNS1_11target_archE1201ELNS1_3gpuE5ELNS1_3repE0EEENS1_38merge_mergepath_config_static_selectorELNS0_4arch9wavefront6targetE1EEEvSJ_.kd
    .uniform_work_group_size: 1
    .uses_dynamic_stack: false
    .vgpr_count:     0
    .vgpr_spill_count: 0
    .wavefront_size: 64
  - .agpr_count:     0
    .args:
      - .offset:         0
        .size:           72
        .value_kind:     by_value
    .group_segment_fixed_size: 0
    .kernarg_segment_align: 8
    .kernarg_segment_size: 72
    .language:       OpenCL C
    .language_version:
      - 2
      - 0
    .max_flat_workgroup_size: 256
    .name:           _ZN7rocprim17ROCPRIM_400000_NS6detail17trampoline_kernelINS0_14default_configENS1_38merge_sort_block_merge_config_selectorIxxEEZZNS1_27merge_sort_block_merge_implIS3_N6thrust23THRUST_200600_302600_NS6detail15normal_iteratorINS8_10device_ptrIxEEEESD_jNS1_19radix_merge_compareILb0ELb1ExNS0_19identity_decomposerEEEEE10hipError_tT0_T1_T2_jT3_P12ihipStream_tbPNSt15iterator_traitsISI_E10value_typeEPNSO_ISJ_E10value_typeEPSK_NS1_7vsmem_tEENKUlT_SI_SJ_SK_E_clISD_PxSD_S10_EESH_SX_SI_SJ_SK_EUlSX_E0_NS1_11comp_targetILNS1_3genE5ELNS1_11target_archE942ELNS1_3gpuE9ELNS1_3repE0EEENS1_38merge_mergepath_config_static_selectorELNS0_4arch9wavefront6targetE1EEEvSJ_
    .private_segment_fixed_size: 0
    .sgpr_count:     6
    .sgpr_spill_count: 0
    .symbol:         _ZN7rocprim17ROCPRIM_400000_NS6detail17trampoline_kernelINS0_14default_configENS1_38merge_sort_block_merge_config_selectorIxxEEZZNS1_27merge_sort_block_merge_implIS3_N6thrust23THRUST_200600_302600_NS6detail15normal_iteratorINS8_10device_ptrIxEEEESD_jNS1_19radix_merge_compareILb0ELb1ExNS0_19identity_decomposerEEEEE10hipError_tT0_T1_T2_jT3_P12ihipStream_tbPNSt15iterator_traitsISI_E10value_typeEPNSO_ISJ_E10value_typeEPSK_NS1_7vsmem_tEENKUlT_SI_SJ_SK_E_clISD_PxSD_S10_EESH_SX_SI_SJ_SK_EUlSX_E0_NS1_11comp_targetILNS1_3genE5ELNS1_11target_archE942ELNS1_3gpuE9ELNS1_3repE0EEENS1_38merge_mergepath_config_static_selectorELNS0_4arch9wavefront6targetE1EEEvSJ_.kd
    .uniform_work_group_size: 1
    .uses_dynamic_stack: false
    .vgpr_count:     0
    .vgpr_spill_count: 0
    .wavefront_size: 64
  - .agpr_count:     0
    .args:
      - .offset:         0
        .size:           72
        .value_kind:     by_value
    .group_segment_fixed_size: 0
    .kernarg_segment_align: 8
    .kernarg_segment_size: 72
    .language:       OpenCL C
    .language_version:
      - 2
      - 0
    .max_flat_workgroup_size: 512
    .name:           _ZN7rocprim17ROCPRIM_400000_NS6detail17trampoline_kernelINS0_14default_configENS1_38merge_sort_block_merge_config_selectorIxxEEZZNS1_27merge_sort_block_merge_implIS3_N6thrust23THRUST_200600_302600_NS6detail15normal_iteratorINS8_10device_ptrIxEEEESD_jNS1_19radix_merge_compareILb0ELb1ExNS0_19identity_decomposerEEEEE10hipError_tT0_T1_T2_jT3_P12ihipStream_tbPNSt15iterator_traitsISI_E10value_typeEPNSO_ISJ_E10value_typeEPSK_NS1_7vsmem_tEENKUlT_SI_SJ_SK_E_clISD_PxSD_S10_EESH_SX_SI_SJ_SK_EUlSX_E0_NS1_11comp_targetILNS1_3genE4ELNS1_11target_archE910ELNS1_3gpuE8ELNS1_3repE0EEENS1_38merge_mergepath_config_static_selectorELNS0_4arch9wavefront6targetE1EEEvSJ_
    .private_segment_fixed_size: 0
    .sgpr_count:     6
    .sgpr_spill_count: 0
    .symbol:         _ZN7rocprim17ROCPRIM_400000_NS6detail17trampoline_kernelINS0_14default_configENS1_38merge_sort_block_merge_config_selectorIxxEEZZNS1_27merge_sort_block_merge_implIS3_N6thrust23THRUST_200600_302600_NS6detail15normal_iteratorINS8_10device_ptrIxEEEESD_jNS1_19radix_merge_compareILb0ELb1ExNS0_19identity_decomposerEEEEE10hipError_tT0_T1_T2_jT3_P12ihipStream_tbPNSt15iterator_traitsISI_E10value_typeEPNSO_ISJ_E10value_typeEPSK_NS1_7vsmem_tEENKUlT_SI_SJ_SK_E_clISD_PxSD_S10_EESH_SX_SI_SJ_SK_EUlSX_E0_NS1_11comp_targetILNS1_3genE4ELNS1_11target_archE910ELNS1_3gpuE8ELNS1_3repE0EEENS1_38merge_mergepath_config_static_selectorELNS0_4arch9wavefront6targetE1EEEvSJ_.kd
    .uniform_work_group_size: 1
    .uses_dynamic_stack: false
    .vgpr_count:     0
    .vgpr_spill_count: 0
    .wavefront_size: 64
  - .agpr_count:     0
    .args:
      - .offset:         0
        .size:           72
        .value_kind:     by_value
    .group_segment_fixed_size: 0
    .kernarg_segment_align: 8
    .kernarg_segment_size: 72
    .language:       OpenCL C
    .language_version:
      - 2
      - 0
    .max_flat_workgroup_size: 512
    .name:           _ZN7rocprim17ROCPRIM_400000_NS6detail17trampoline_kernelINS0_14default_configENS1_38merge_sort_block_merge_config_selectorIxxEEZZNS1_27merge_sort_block_merge_implIS3_N6thrust23THRUST_200600_302600_NS6detail15normal_iteratorINS8_10device_ptrIxEEEESD_jNS1_19radix_merge_compareILb0ELb1ExNS0_19identity_decomposerEEEEE10hipError_tT0_T1_T2_jT3_P12ihipStream_tbPNSt15iterator_traitsISI_E10value_typeEPNSO_ISJ_E10value_typeEPSK_NS1_7vsmem_tEENKUlT_SI_SJ_SK_E_clISD_PxSD_S10_EESH_SX_SI_SJ_SK_EUlSX_E0_NS1_11comp_targetILNS1_3genE3ELNS1_11target_archE908ELNS1_3gpuE7ELNS1_3repE0EEENS1_38merge_mergepath_config_static_selectorELNS0_4arch9wavefront6targetE1EEEvSJ_
    .private_segment_fixed_size: 0
    .sgpr_count:     6
    .sgpr_spill_count: 0
    .symbol:         _ZN7rocprim17ROCPRIM_400000_NS6detail17trampoline_kernelINS0_14default_configENS1_38merge_sort_block_merge_config_selectorIxxEEZZNS1_27merge_sort_block_merge_implIS3_N6thrust23THRUST_200600_302600_NS6detail15normal_iteratorINS8_10device_ptrIxEEEESD_jNS1_19radix_merge_compareILb0ELb1ExNS0_19identity_decomposerEEEEE10hipError_tT0_T1_T2_jT3_P12ihipStream_tbPNSt15iterator_traitsISI_E10value_typeEPNSO_ISJ_E10value_typeEPSK_NS1_7vsmem_tEENKUlT_SI_SJ_SK_E_clISD_PxSD_S10_EESH_SX_SI_SJ_SK_EUlSX_E0_NS1_11comp_targetILNS1_3genE3ELNS1_11target_archE908ELNS1_3gpuE7ELNS1_3repE0EEENS1_38merge_mergepath_config_static_selectorELNS0_4arch9wavefront6targetE1EEEvSJ_.kd
    .uniform_work_group_size: 1
    .uses_dynamic_stack: false
    .vgpr_count:     0
    .vgpr_spill_count: 0
    .wavefront_size: 64
  - .agpr_count:     0
    .args:
      - .offset:         0
        .size:           72
        .value_kind:     by_value
    .group_segment_fixed_size: 0
    .kernarg_segment_align: 8
    .kernarg_segment_size: 72
    .language:       OpenCL C
    .language_version:
      - 2
      - 0
    .max_flat_workgroup_size: 128
    .name:           _ZN7rocprim17ROCPRIM_400000_NS6detail17trampoline_kernelINS0_14default_configENS1_38merge_sort_block_merge_config_selectorIxxEEZZNS1_27merge_sort_block_merge_implIS3_N6thrust23THRUST_200600_302600_NS6detail15normal_iteratorINS8_10device_ptrIxEEEESD_jNS1_19radix_merge_compareILb0ELb1ExNS0_19identity_decomposerEEEEE10hipError_tT0_T1_T2_jT3_P12ihipStream_tbPNSt15iterator_traitsISI_E10value_typeEPNSO_ISJ_E10value_typeEPSK_NS1_7vsmem_tEENKUlT_SI_SJ_SK_E_clISD_PxSD_S10_EESH_SX_SI_SJ_SK_EUlSX_E0_NS1_11comp_targetILNS1_3genE2ELNS1_11target_archE906ELNS1_3gpuE6ELNS1_3repE0EEENS1_38merge_mergepath_config_static_selectorELNS0_4arch9wavefront6targetE1EEEvSJ_
    .private_segment_fixed_size: 0
    .sgpr_count:     6
    .sgpr_spill_count: 0
    .symbol:         _ZN7rocprim17ROCPRIM_400000_NS6detail17trampoline_kernelINS0_14default_configENS1_38merge_sort_block_merge_config_selectorIxxEEZZNS1_27merge_sort_block_merge_implIS3_N6thrust23THRUST_200600_302600_NS6detail15normal_iteratorINS8_10device_ptrIxEEEESD_jNS1_19radix_merge_compareILb0ELb1ExNS0_19identity_decomposerEEEEE10hipError_tT0_T1_T2_jT3_P12ihipStream_tbPNSt15iterator_traitsISI_E10value_typeEPNSO_ISJ_E10value_typeEPSK_NS1_7vsmem_tEENKUlT_SI_SJ_SK_E_clISD_PxSD_S10_EESH_SX_SI_SJ_SK_EUlSX_E0_NS1_11comp_targetILNS1_3genE2ELNS1_11target_archE906ELNS1_3gpuE6ELNS1_3repE0EEENS1_38merge_mergepath_config_static_selectorELNS0_4arch9wavefront6targetE1EEEvSJ_.kd
    .uniform_work_group_size: 1
    .uses_dynamic_stack: false
    .vgpr_count:     0
    .vgpr_spill_count: 0
    .wavefront_size: 64
  - .agpr_count:     0
    .args:
      - .offset:         0
        .size:           72
        .value_kind:     by_value
    .group_segment_fixed_size: 0
    .kernarg_segment_align: 8
    .kernarg_segment_size: 72
    .language:       OpenCL C
    .language_version:
      - 2
      - 0
    .max_flat_workgroup_size: 1024
    .name:           _ZN7rocprim17ROCPRIM_400000_NS6detail17trampoline_kernelINS0_14default_configENS1_38merge_sort_block_merge_config_selectorIxxEEZZNS1_27merge_sort_block_merge_implIS3_N6thrust23THRUST_200600_302600_NS6detail15normal_iteratorINS8_10device_ptrIxEEEESD_jNS1_19radix_merge_compareILb0ELb1ExNS0_19identity_decomposerEEEEE10hipError_tT0_T1_T2_jT3_P12ihipStream_tbPNSt15iterator_traitsISI_E10value_typeEPNSO_ISJ_E10value_typeEPSK_NS1_7vsmem_tEENKUlT_SI_SJ_SK_E_clISD_PxSD_S10_EESH_SX_SI_SJ_SK_EUlSX_E0_NS1_11comp_targetILNS1_3genE9ELNS1_11target_archE1100ELNS1_3gpuE3ELNS1_3repE0EEENS1_38merge_mergepath_config_static_selectorELNS0_4arch9wavefront6targetE1EEEvSJ_
    .private_segment_fixed_size: 0
    .sgpr_count:     6
    .sgpr_spill_count: 0
    .symbol:         _ZN7rocprim17ROCPRIM_400000_NS6detail17trampoline_kernelINS0_14default_configENS1_38merge_sort_block_merge_config_selectorIxxEEZZNS1_27merge_sort_block_merge_implIS3_N6thrust23THRUST_200600_302600_NS6detail15normal_iteratorINS8_10device_ptrIxEEEESD_jNS1_19radix_merge_compareILb0ELb1ExNS0_19identity_decomposerEEEEE10hipError_tT0_T1_T2_jT3_P12ihipStream_tbPNSt15iterator_traitsISI_E10value_typeEPNSO_ISJ_E10value_typeEPSK_NS1_7vsmem_tEENKUlT_SI_SJ_SK_E_clISD_PxSD_S10_EESH_SX_SI_SJ_SK_EUlSX_E0_NS1_11comp_targetILNS1_3genE9ELNS1_11target_archE1100ELNS1_3gpuE3ELNS1_3repE0EEENS1_38merge_mergepath_config_static_selectorELNS0_4arch9wavefront6targetE1EEEvSJ_.kd
    .uniform_work_group_size: 1
    .uses_dynamic_stack: false
    .vgpr_count:     0
    .vgpr_spill_count: 0
    .wavefront_size: 64
  - .agpr_count:     0
    .args:
      - .offset:         0
        .size:           72
        .value_kind:     by_value
    .group_segment_fixed_size: 0
    .kernarg_segment_align: 8
    .kernarg_segment_size: 72
    .language:       OpenCL C
    .language_version:
      - 2
      - 0
    .max_flat_workgroup_size: 1024
    .name:           _ZN7rocprim17ROCPRIM_400000_NS6detail17trampoline_kernelINS0_14default_configENS1_38merge_sort_block_merge_config_selectorIxxEEZZNS1_27merge_sort_block_merge_implIS3_N6thrust23THRUST_200600_302600_NS6detail15normal_iteratorINS8_10device_ptrIxEEEESD_jNS1_19radix_merge_compareILb0ELb1ExNS0_19identity_decomposerEEEEE10hipError_tT0_T1_T2_jT3_P12ihipStream_tbPNSt15iterator_traitsISI_E10value_typeEPNSO_ISJ_E10value_typeEPSK_NS1_7vsmem_tEENKUlT_SI_SJ_SK_E_clISD_PxSD_S10_EESH_SX_SI_SJ_SK_EUlSX_E0_NS1_11comp_targetILNS1_3genE8ELNS1_11target_archE1030ELNS1_3gpuE2ELNS1_3repE0EEENS1_38merge_mergepath_config_static_selectorELNS0_4arch9wavefront6targetE1EEEvSJ_
    .private_segment_fixed_size: 0
    .sgpr_count:     6
    .sgpr_spill_count: 0
    .symbol:         _ZN7rocprim17ROCPRIM_400000_NS6detail17trampoline_kernelINS0_14default_configENS1_38merge_sort_block_merge_config_selectorIxxEEZZNS1_27merge_sort_block_merge_implIS3_N6thrust23THRUST_200600_302600_NS6detail15normal_iteratorINS8_10device_ptrIxEEEESD_jNS1_19radix_merge_compareILb0ELb1ExNS0_19identity_decomposerEEEEE10hipError_tT0_T1_T2_jT3_P12ihipStream_tbPNSt15iterator_traitsISI_E10value_typeEPNSO_ISJ_E10value_typeEPSK_NS1_7vsmem_tEENKUlT_SI_SJ_SK_E_clISD_PxSD_S10_EESH_SX_SI_SJ_SK_EUlSX_E0_NS1_11comp_targetILNS1_3genE8ELNS1_11target_archE1030ELNS1_3gpuE2ELNS1_3repE0EEENS1_38merge_mergepath_config_static_selectorELNS0_4arch9wavefront6targetE1EEEvSJ_.kd
    .uniform_work_group_size: 1
    .uses_dynamic_stack: false
    .vgpr_count:     0
    .vgpr_spill_count: 0
    .wavefront_size: 64
  - .agpr_count:     0
    .args:
      - .offset:         0
        .size:           48
        .value_kind:     by_value
    .group_segment_fixed_size: 0
    .kernarg_segment_align: 8
    .kernarg_segment_size: 48
    .language:       OpenCL C
    .language_version:
      - 2
      - 0
    .max_flat_workgroup_size: 256
    .name:           _ZN7rocprim17ROCPRIM_400000_NS6detail17trampoline_kernelINS0_14default_configENS1_38merge_sort_block_merge_config_selectorIxxEEZZNS1_27merge_sort_block_merge_implIS3_N6thrust23THRUST_200600_302600_NS6detail15normal_iteratorINS8_10device_ptrIxEEEESD_jNS1_19radix_merge_compareILb0ELb1ExNS0_19identity_decomposerEEEEE10hipError_tT0_T1_T2_jT3_P12ihipStream_tbPNSt15iterator_traitsISI_E10value_typeEPNSO_ISJ_E10value_typeEPSK_NS1_7vsmem_tEENKUlT_SI_SJ_SK_E_clISD_PxSD_S10_EESH_SX_SI_SJ_SK_EUlSX_E1_NS1_11comp_targetILNS1_3genE0ELNS1_11target_archE4294967295ELNS1_3gpuE0ELNS1_3repE0EEENS1_36merge_oddeven_config_static_selectorELNS0_4arch9wavefront6targetE1EEEvSJ_
    .private_segment_fixed_size: 0
    .sgpr_count:     30
    .sgpr_spill_count: 0
    .symbol:         _ZN7rocprim17ROCPRIM_400000_NS6detail17trampoline_kernelINS0_14default_configENS1_38merge_sort_block_merge_config_selectorIxxEEZZNS1_27merge_sort_block_merge_implIS3_N6thrust23THRUST_200600_302600_NS6detail15normal_iteratorINS8_10device_ptrIxEEEESD_jNS1_19radix_merge_compareILb0ELb1ExNS0_19identity_decomposerEEEEE10hipError_tT0_T1_T2_jT3_P12ihipStream_tbPNSt15iterator_traitsISI_E10value_typeEPNSO_ISJ_E10value_typeEPSK_NS1_7vsmem_tEENKUlT_SI_SJ_SK_E_clISD_PxSD_S10_EESH_SX_SI_SJ_SK_EUlSX_E1_NS1_11comp_targetILNS1_3genE0ELNS1_11target_archE4294967295ELNS1_3gpuE0ELNS1_3repE0EEENS1_36merge_oddeven_config_static_selectorELNS0_4arch9wavefront6targetE1EEEvSJ_.kd
    .uniform_work_group_size: 1
    .uses_dynamic_stack: false
    .vgpr_count:     15
    .vgpr_spill_count: 0
    .wavefront_size: 64
  - .agpr_count:     0
    .args:
      - .offset:         0
        .size:           48
        .value_kind:     by_value
    .group_segment_fixed_size: 0
    .kernarg_segment_align: 8
    .kernarg_segment_size: 48
    .language:       OpenCL C
    .language_version:
      - 2
      - 0
    .max_flat_workgroup_size: 256
    .name:           _ZN7rocprim17ROCPRIM_400000_NS6detail17trampoline_kernelINS0_14default_configENS1_38merge_sort_block_merge_config_selectorIxxEEZZNS1_27merge_sort_block_merge_implIS3_N6thrust23THRUST_200600_302600_NS6detail15normal_iteratorINS8_10device_ptrIxEEEESD_jNS1_19radix_merge_compareILb0ELb1ExNS0_19identity_decomposerEEEEE10hipError_tT0_T1_T2_jT3_P12ihipStream_tbPNSt15iterator_traitsISI_E10value_typeEPNSO_ISJ_E10value_typeEPSK_NS1_7vsmem_tEENKUlT_SI_SJ_SK_E_clISD_PxSD_S10_EESH_SX_SI_SJ_SK_EUlSX_E1_NS1_11comp_targetILNS1_3genE10ELNS1_11target_archE1201ELNS1_3gpuE5ELNS1_3repE0EEENS1_36merge_oddeven_config_static_selectorELNS0_4arch9wavefront6targetE1EEEvSJ_
    .private_segment_fixed_size: 0
    .sgpr_count:     6
    .sgpr_spill_count: 0
    .symbol:         _ZN7rocprim17ROCPRIM_400000_NS6detail17trampoline_kernelINS0_14default_configENS1_38merge_sort_block_merge_config_selectorIxxEEZZNS1_27merge_sort_block_merge_implIS3_N6thrust23THRUST_200600_302600_NS6detail15normal_iteratorINS8_10device_ptrIxEEEESD_jNS1_19radix_merge_compareILb0ELb1ExNS0_19identity_decomposerEEEEE10hipError_tT0_T1_T2_jT3_P12ihipStream_tbPNSt15iterator_traitsISI_E10value_typeEPNSO_ISJ_E10value_typeEPSK_NS1_7vsmem_tEENKUlT_SI_SJ_SK_E_clISD_PxSD_S10_EESH_SX_SI_SJ_SK_EUlSX_E1_NS1_11comp_targetILNS1_3genE10ELNS1_11target_archE1201ELNS1_3gpuE5ELNS1_3repE0EEENS1_36merge_oddeven_config_static_selectorELNS0_4arch9wavefront6targetE1EEEvSJ_.kd
    .uniform_work_group_size: 1
    .uses_dynamic_stack: false
    .vgpr_count:     0
    .vgpr_spill_count: 0
    .wavefront_size: 64
  - .agpr_count:     0
    .args:
      - .offset:         0
        .size:           48
        .value_kind:     by_value
    .group_segment_fixed_size: 0
    .kernarg_segment_align: 8
    .kernarg_segment_size: 48
    .language:       OpenCL C
    .language_version:
      - 2
      - 0
    .max_flat_workgroup_size: 256
    .name:           _ZN7rocprim17ROCPRIM_400000_NS6detail17trampoline_kernelINS0_14default_configENS1_38merge_sort_block_merge_config_selectorIxxEEZZNS1_27merge_sort_block_merge_implIS3_N6thrust23THRUST_200600_302600_NS6detail15normal_iteratorINS8_10device_ptrIxEEEESD_jNS1_19radix_merge_compareILb0ELb1ExNS0_19identity_decomposerEEEEE10hipError_tT0_T1_T2_jT3_P12ihipStream_tbPNSt15iterator_traitsISI_E10value_typeEPNSO_ISJ_E10value_typeEPSK_NS1_7vsmem_tEENKUlT_SI_SJ_SK_E_clISD_PxSD_S10_EESH_SX_SI_SJ_SK_EUlSX_E1_NS1_11comp_targetILNS1_3genE5ELNS1_11target_archE942ELNS1_3gpuE9ELNS1_3repE0EEENS1_36merge_oddeven_config_static_selectorELNS0_4arch9wavefront6targetE1EEEvSJ_
    .private_segment_fixed_size: 0
    .sgpr_count:     6
    .sgpr_spill_count: 0
    .symbol:         _ZN7rocprim17ROCPRIM_400000_NS6detail17trampoline_kernelINS0_14default_configENS1_38merge_sort_block_merge_config_selectorIxxEEZZNS1_27merge_sort_block_merge_implIS3_N6thrust23THRUST_200600_302600_NS6detail15normal_iteratorINS8_10device_ptrIxEEEESD_jNS1_19radix_merge_compareILb0ELb1ExNS0_19identity_decomposerEEEEE10hipError_tT0_T1_T2_jT3_P12ihipStream_tbPNSt15iterator_traitsISI_E10value_typeEPNSO_ISJ_E10value_typeEPSK_NS1_7vsmem_tEENKUlT_SI_SJ_SK_E_clISD_PxSD_S10_EESH_SX_SI_SJ_SK_EUlSX_E1_NS1_11comp_targetILNS1_3genE5ELNS1_11target_archE942ELNS1_3gpuE9ELNS1_3repE0EEENS1_36merge_oddeven_config_static_selectorELNS0_4arch9wavefront6targetE1EEEvSJ_.kd
    .uniform_work_group_size: 1
    .uses_dynamic_stack: false
    .vgpr_count:     0
    .vgpr_spill_count: 0
    .wavefront_size: 64
  - .agpr_count:     0
    .args:
      - .offset:         0
        .size:           48
        .value_kind:     by_value
    .group_segment_fixed_size: 0
    .kernarg_segment_align: 8
    .kernarg_segment_size: 48
    .language:       OpenCL C
    .language_version:
      - 2
      - 0
    .max_flat_workgroup_size: 256
    .name:           _ZN7rocprim17ROCPRIM_400000_NS6detail17trampoline_kernelINS0_14default_configENS1_38merge_sort_block_merge_config_selectorIxxEEZZNS1_27merge_sort_block_merge_implIS3_N6thrust23THRUST_200600_302600_NS6detail15normal_iteratorINS8_10device_ptrIxEEEESD_jNS1_19radix_merge_compareILb0ELb1ExNS0_19identity_decomposerEEEEE10hipError_tT0_T1_T2_jT3_P12ihipStream_tbPNSt15iterator_traitsISI_E10value_typeEPNSO_ISJ_E10value_typeEPSK_NS1_7vsmem_tEENKUlT_SI_SJ_SK_E_clISD_PxSD_S10_EESH_SX_SI_SJ_SK_EUlSX_E1_NS1_11comp_targetILNS1_3genE4ELNS1_11target_archE910ELNS1_3gpuE8ELNS1_3repE0EEENS1_36merge_oddeven_config_static_selectorELNS0_4arch9wavefront6targetE1EEEvSJ_
    .private_segment_fixed_size: 0
    .sgpr_count:     6
    .sgpr_spill_count: 0
    .symbol:         _ZN7rocprim17ROCPRIM_400000_NS6detail17trampoline_kernelINS0_14default_configENS1_38merge_sort_block_merge_config_selectorIxxEEZZNS1_27merge_sort_block_merge_implIS3_N6thrust23THRUST_200600_302600_NS6detail15normal_iteratorINS8_10device_ptrIxEEEESD_jNS1_19radix_merge_compareILb0ELb1ExNS0_19identity_decomposerEEEEE10hipError_tT0_T1_T2_jT3_P12ihipStream_tbPNSt15iterator_traitsISI_E10value_typeEPNSO_ISJ_E10value_typeEPSK_NS1_7vsmem_tEENKUlT_SI_SJ_SK_E_clISD_PxSD_S10_EESH_SX_SI_SJ_SK_EUlSX_E1_NS1_11comp_targetILNS1_3genE4ELNS1_11target_archE910ELNS1_3gpuE8ELNS1_3repE0EEENS1_36merge_oddeven_config_static_selectorELNS0_4arch9wavefront6targetE1EEEvSJ_.kd
    .uniform_work_group_size: 1
    .uses_dynamic_stack: false
    .vgpr_count:     0
    .vgpr_spill_count: 0
    .wavefront_size: 64
  - .agpr_count:     0
    .args:
      - .offset:         0
        .size:           48
        .value_kind:     by_value
    .group_segment_fixed_size: 0
    .kernarg_segment_align: 8
    .kernarg_segment_size: 48
    .language:       OpenCL C
    .language_version:
      - 2
      - 0
    .max_flat_workgroup_size: 256
    .name:           _ZN7rocprim17ROCPRIM_400000_NS6detail17trampoline_kernelINS0_14default_configENS1_38merge_sort_block_merge_config_selectorIxxEEZZNS1_27merge_sort_block_merge_implIS3_N6thrust23THRUST_200600_302600_NS6detail15normal_iteratorINS8_10device_ptrIxEEEESD_jNS1_19radix_merge_compareILb0ELb1ExNS0_19identity_decomposerEEEEE10hipError_tT0_T1_T2_jT3_P12ihipStream_tbPNSt15iterator_traitsISI_E10value_typeEPNSO_ISJ_E10value_typeEPSK_NS1_7vsmem_tEENKUlT_SI_SJ_SK_E_clISD_PxSD_S10_EESH_SX_SI_SJ_SK_EUlSX_E1_NS1_11comp_targetILNS1_3genE3ELNS1_11target_archE908ELNS1_3gpuE7ELNS1_3repE0EEENS1_36merge_oddeven_config_static_selectorELNS0_4arch9wavefront6targetE1EEEvSJ_
    .private_segment_fixed_size: 0
    .sgpr_count:     6
    .sgpr_spill_count: 0
    .symbol:         _ZN7rocprim17ROCPRIM_400000_NS6detail17trampoline_kernelINS0_14default_configENS1_38merge_sort_block_merge_config_selectorIxxEEZZNS1_27merge_sort_block_merge_implIS3_N6thrust23THRUST_200600_302600_NS6detail15normal_iteratorINS8_10device_ptrIxEEEESD_jNS1_19radix_merge_compareILb0ELb1ExNS0_19identity_decomposerEEEEE10hipError_tT0_T1_T2_jT3_P12ihipStream_tbPNSt15iterator_traitsISI_E10value_typeEPNSO_ISJ_E10value_typeEPSK_NS1_7vsmem_tEENKUlT_SI_SJ_SK_E_clISD_PxSD_S10_EESH_SX_SI_SJ_SK_EUlSX_E1_NS1_11comp_targetILNS1_3genE3ELNS1_11target_archE908ELNS1_3gpuE7ELNS1_3repE0EEENS1_36merge_oddeven_config_static_selectorELNS0_4arch9wavefront6targetE1EEEvSJ_.kd
    .uniform_work_group_size: 1
    .uses_dynamic_stack: false
    .vgpr_count:     0
    .vgpr_spill_count: 0
    .wavefront_size: 64
  - .agpr_count:     0
    .args:
      - .offset:         0
        .size:           48
        .value_kind:     by_value
    .group_segment_fixed_size: 0
    .kernarg_segment_align: 8
    .kernarg_segment_size: 48
    .language:       OpenCL C
    .language_version:
      - 2
      - 0
    .max_flat_workgroup_size: 256
    .name:           _ZN7rocprim17ROCPRIM_400000_NS6detail17trampoline_kernelINS0_14default_configENS1_38merge_sort_block_merge_config_selectorIxxEEZZNS1_27merge_sort_block_merge_implIS3_N6thrust23THRUST_200600_302600_NS6detail15normal_iteratorINS8_10device_ptrIxEEEESD_jNS1_19radix_merge_compareILb0ELb1ExNS0_19identity_decomposerEEEEE10hipError_tT0_T1_T2_jT3_P12ihipStream_tbPNSt15iterator_traitsISI_E10value_typeEPNSO_ISJ_E10value_typeEPSK_NS1_7vsmem_tEENKUlT_SI_SJ_SK_E_clISD_PxSD_S10_EESH_SX_SI_SJ_SK_EUlSX_E1_NS1_11comp_targetILNS1_3genE2ELNS1_11target_archE906ELNS1_3gpuE6ELNS1_3repE0EEENS1_36merge_oddeven_config_static_selectorELNS0_4arch9wavefront6targetE1EEEvSJ_
    .private_segment_fixed_size: 0
    .sgpr_count:     6
    .sgpr_spill_count: 0
    .symbol:         _ZN7rocprim17ROCPRIM_400000_NS6detail17trampoline_kernelINS0_14default_configENS1_38merge_sort_block_merge_config_selectorIxxEEZZNS1_27merge_sort_block_merge_implIS3_N6thrust23THRUST_200600_302600_NS6detail15normal_iteratorINS8_10device_ptrIxEEEESD_jNS1_19radix_merge_compareILb0ELb1ExNS0_19identity_decomposerEEEEE10hipError_tT0_T1_T2_jT3_P12ihipStream_tbPNSt15iterator_traitsISI_E10value_typeEPNSO_ISJ_E10value_typeEPSK_NS1_7vsmem_tEENKUlT_SI_SJ_SK_E_clISD_PxSD_S10_EESH_SX_SI_SJ_SK_EUlSX_E1_NS1_11comp_targetILNS1_3genE2ELNS1_11target_archE906ELNS1_3gpuE6ELNS1_3repE0EEENS1_36merge_oddeven_config_static_selectorELNS0_4arch9wavefront6targetE1EEEvSJ_.kd
    .uniform_work_group_size: 1
    .uses_dynamic_stack: false
    .vgpr_count:     0
    .vgpr_spill_count: 0
    .wavefront_size: 64
  - .agpr_count:     0
    .args:
      - .offset:         0
        .size:           48
        .value_kind:     by_value
    .group_segment_fixed_size: 0
    .kernarg_segment_align: 8
    .kernarg_segment_size: 48
    .language:       OpenCL C
    .language_version:
      - 2
      - 0
    .max_flat_workgroup_size: 256
    .name:           _ZN7rocprim17ROCPRIM_400000_NS6detail17trampoline_kernelINS0_14default_configENS1_38merge_sort_block_merge_config_selectorIxxEEZZNS1_27merge_sort_block_merge_implIS3_N6thrust23THRUST_200600_302600_NS6detail15normal_iteratorINS8_10device_ptrIxEEEESD_jNS1_19radix_merge_compareILb0ELb1ExNS0_19identity_decomposerEEEEE10hipError_tT0_T1_T2_jT3_P12ihipStream_tbPNSt15iterator_traitsISI_E10value_typeEPNSO_ISJ_E10value_typeEPSK_NS1_7vsmem_tEENKUlT_SI_SJ_SK_E_clISD_PxSD_S10_EESH_SX_SI_SJ_SK_EUlSX_E1_NS1_11comp_targetILNS1_3genE9ELNS1_11target_archE1100ELNS1_3gpuE3ELNS1_3repE0EEENS1_36merge_oddeven_config_static_selectorELNS0_4arch9wavefront6targetE1EEEvSJ_
    .private_segment_fixed_size: 0
    .sgpr_count:     6
    .sgpr_spill_count: 0
    .symbol:         _ZN7rocprim17ROCPRIM_400000_NS6detail17trampoline_kernelINS0_14default_configENS1_38merge_sort_block_merge_config_selectorIxxEEZZNS1_27merge_sort_block_merge_implIS3_N6thrust23THRUST_200600_302600_NS6detail15normal_iteratorINS8_10device_ptrIxEEEESD_jNS1_19radix_merge_compareILb0ELb1ExNS0_19identity_decomposerEEEEE10hipError_tT0_T1_T2_jT3_P12ihipStream_tbPNSt15iterator_traitsISI_E10value_typeEPNSO_ISJ_E10value_typeEPSK_NS1_7vsmem_tEENKUlT_SI_SJ_SK_E_clISD_PxSD_S10_EESH_SX_SI_SJ_SK_EUlSX_E1_NS1_11comp_targetILNS1_3genE9ELNS1_11target_archE1100ELNS1_3gpuE3ELNS1_3repE0EEENS1_36merge_oddeven_config_static_selectorELNS0_4arch9wavefront6targetE1EEEvSJ_.kd
    .uniform_work_group_size: 1
    .uses_dynamic_stack: false
    .vgpr_count:     0
    .vgpr_spill_count: 0
    .wavefront_size: 64
  - .agpr_count:     0
    .args:
      - .offset:         0
        .size:           48
        .value_kind:     by_value
    .group_segment_fixed_size: 0
    .kernarg_segment_align: 8
    .kernarg_segment_size: 48
    .language:       OpenCL C
    .language_version:
      - 2
      - 0
    .max_flat_workgroup_size: 256
    .name:           _ZN7rocprim17ROCPRIM_400000_NS6detail17trampoline_kernelINS0_14default_configENS1_38merge_sort_block_merge_config_selectorIxxEEZZNS1_27merge_sort_block_merge_implIS3_N6thrust23THRUST_200600_302600_NS6detail15normal_iteratorINS8_10device_ptrIxEEEESD_jNS1_19radix_merge_compareILb0ELb1ExNS0_19identity_decomposerEEEEE10hipError_tT0_T1_T2_jT3_P12ihipStream_tbPNSt15iterator_traitsISI_E10value_typeEPNSO_ISJ_E10value_typeEPSK_NS1_7vsmem_tEENKUlT_SI_SJ_SK_E_clISD_PxSD_S10_EESH_SX_SI_SJ_SK_EUlSX_E1_NS1_11comp_targetILNS1_3genE8ELNS1_11target_archE1030ELNS1_3gpuE2ELNS1_3repE0EEENS1_36merge_oddeven_config_static_selectorELNS0_4arch9wavefront6targetE1EEEvSJ_
    .private_segment_fixed_size: 0
    .sgpr_count:     6
    .sgpr_spill_count: 0
    .symbol:         _ZN7rocprim17ROCPRIM_400000_NS6detail17trampoline_kernelINS0_14default_configENS1_38merge_sort_block_merge_config_selectorIxxEEZZNS1_27merge_sort_block_merge_implIS3_N6thrust23THRUST_200600_302600_NS6detail15normal_iteratorINS8_10device_ptrIxEEEESD_jNS1_19radix_merge_compareILb0ELb1ExNS0_19identity_decomposerEEEEE10hipError_tT0_T1_T2_jT3_P12ihipStream_tbPNSt15iterator_traitsISI_E10value_typeEPNSO_ISJ_E10value_typeEPSK_NS1_7vsmem_tEENKUlT_SI_SJ_SK_E_clISD_PxSD_S10_EESH_SX_SI_SJ_SK_EUlSX_E1_NS1_11comp_targetILNS1_3genE8ELNS1_11target_archE1030ELNS1_3gpuE2ELNS1_3repE0EEENS1_36merge_oddeven_config_static_selectorELNS0_4arch9wavefront6targetE1EEEvSJ_.kd
    .uniform_work_group_size: 1
    .uses_dynamic_stack: false
    .vgpr_count:     0
    .vgpr_spill_count: 0
    .wavefront_size: 64
  - .agpr_count:     0
    .args:
      - .offset:         0
        .size:           40
        .value_kind:     by_value
    .group_segment_fixed_size: 0
    .kernarg_segment_align: 8
    .kernarg_segment_size: 40
    .language:       OpenCL C
    .language_version:
      - 2
      - 0
    .max_flat_workgroup_size: 512
    .name:           _ZN7rocprim17ROCPRIM_400000_NS6detail17trampoline_kernelINS0_14default_configENS1_35radix_sort_onesweep_config_selectorIxxEEZNS1_34radix_sort_onesweep_global_offsetsIS3_Lb0EN6thrust23THRUST_200600_302600_NS6detail15normal_iteratorINS8_10device_ptrIxEEEESD_jNS0_19identity_decomposerEEE10hipError_tT1_T2_PT3_SI_jT4_jjP12ihipStream_tbEUlT_E_NS1_11comp_targetILNS1_3genE0ELNS1_11target_archE4294967295ELNS1_3gpuE0ELNS1_3repE0EEENS1_52radix_sort_onesweep_histogram_config_static_selectorELNS0_4arch9wavefront6targetE1EEEvSG_
    .private_segment_fixed_size: 0
    .sgpr_count:     6
    .sgpr_spill_count: 0
    .symbol:         _ZN7rocprim17ROCPRIM_400000_NS6detail17trampoline_kernelINS0_14default_configENS1_35radix_sort_onesweep_config_selectorIxxEEZNS1_34radix_sort_onesweep_global_offsetsIS3_Lb0EN6thrust23THRUST_200600_302600_NS6detail15normal_iteratorINS8_10device_ptrIxEEEESD_jNS0_19identity_decomposerEEE10hipError_tT1_T2_PT3_SI_jT4_jjP12ihipStream_tbEUlT_E_NS1_11comp_targetILNS1_3genE0ELNS1_11target_archE4294967295ELNS1_3gpuE0ELNS1_3repE0EEENS1_52radix_sort_onesweep_histogram_config_static_selectorELNS0_4arch9wavefront6targetE1EEEvSG_.kd
    .uniform_work_group_size: 1
    .uses_dynamic_stack: false
    .vgpr_count:     0
    .vgpr_spill_count: 0
    .wavefront_size: 64
  - .agpr_count:     0
    .args:
      - .offset:         0
        .size:           40
        .value_kind:     by_value
    .group_segment_fixed_size: 32768
    .kernarg_segment_align: 8
    .kernarg_segment_size: 40
    .language:       OpenCL C
    .language_version:
      - 2
      - 0
    .max_flat_workgroup_size: 1024
    .name:           _ZN7rocprim17ROCPRIM_400000_NS6detail17trampoline_kernelINS0_14default_configENS1_35radix_sort_onesweep_config_selectorIxxEEZNS1_34radix_sort_onesweep_global_offsetsIS3_Lb0EN6thrust23THRUST_200600_302600_NS6detail15normal_iteratorINS8_10device_ptrIxEEEESD_jNS0_19identity_decomposerEEE10hipError_tT1_T2_PT3_SI_jT4_jjP12ihipStream_tbEUlT_E_NS1_11comp_targetILNS1_3genE6ELNS1_11target_archE950ELNS1_3gpuE13ELNS1_3repE0EEENS1_52radix_sort_onesweep_histogram_config_static_selectorELNS0_4arch9wavefront6targetE1EEEvSG_
    .private_segment_fixed_size: 0
    .sgpr_count:     25
    .sgpr_spill_count: 0
    .symbol:         _ZN7rocprim17ROCPRIM_400000_NS6detail17trampoline_kernelINS0_14default_configENS1_35radix_sort_onesweep_config_selectorIxxEEZNS1_34radix_sort_onesweep_global_offsetsIS3_Lb0EN6thrust23THRUST_200600_302600_NS6detail15normal_iteratorINS8_10device_ptrIxEEEESD_jNS0_19identity_decomposerEEE10hipError_tT1_T2_PT3_SI_jT4_jjP12ihipStream_tbEUlT_E_NS1_11comp_targetILNS1_3genE6ELNS1_11target_archE950ELNS1_3gpuE13ELNS1_3repE0EEENS1_52radix_sort_onesweep_histogram_config_static_selectorELNS0_4arch9wavefront6targetE1EEEvSG_.kd
    .uniform_work_group_size: 1
    .uses_dynamic_stack: false
    .vgpr_count:     30
    .vgpr_spill_count: 0
    .wavefront_size: 64
  - .agpr_count:     0
    .args:
      - .offset:         0
        .size:           40
        .value_kind:     by_value
    .group_segment_fixed_size: 0
    .kernarg_segment_align: 8
    .kernarg_segment_size: 40
    .language:       OpenCL C
    .language_version:
      - 2
      - 0
    .max_flat_workgroup_size: 1024
    .name:           _ZN7rocprim17ROCPRIM_400000_NS6detail17trampoline_kernelINS0_14default_configENS1_35radix_sort_onesweep_config_selectorIxxEEZNS1_34radix_sort_onesweep_global_offsetsIS3_Lb0EN6thrust23THRUST_200600_302600_NS6detail15normal_iteratorINS8_10device_ptrIxEEEESD_jNS0_19identity_decomposerEEE10hipError_tT1_T2_PT3_SI_jT4_jjP12ihipStream_tbEUlT_E_NS1_11comp_targetILNS1_3genE5ELNS1_11target_archE942ELNS1_3gpuE9ELNS1_3repE0EEENS1_52radix_sort_onesweep_histogram_config_static_selectorELNS0_4arch9wavefront6targetE1EEEvSG_
    .private_segment_fixed_size: 0
    .sgpr_count:     6
    .sgpr_spill_count: 0
    .symbol:         _ZN7rocprim17ROCPRIM_400000_NS6detail17trampoline_kernelINS0_14default_configENS1_35radix_sort_onesweep_config_selectorIxxEEZNS1_34radix_sort_onesweep_global_offsetsIS3_Lb0EN6thrust23THRUST_200600_302600_NS6detail15normal_iteratorINS8_10device_ptrIxEEEESD_jNS0_19identity_decomposerEEE10hipError_tT1_T2_PT3_SI_jT4_jjP12ihipStream_tbEUlT_E_NS1_11comp_targetILNS1_3genE5ELNS1_11target_archE942ELNS1_3gpuE9ELNS1_3repE0EEENS1_52radix_sort_onesweep_histogram_config_static_selectorELNS0_4arch9wavefront6targetE1EEEvSG_.kd
    .uniform_work_group_size: 1
    .uses_dynamic_stack: false
    .vgpr_count:     0
    .vgpr_spill_count: 0
    .wavefront_size: 64
  - .agpr_count:     0
    .args:
      - .offset:         0
        .size:           40
        .value_kind:     by_value
    .group_segment_fixed_size: 0
    .kernarg_segment_align: 8
    .kernarg_segment_size: 40
    .language:       OpenCL C
    .language_version:
      - 2
      - 0
    .max_flat_workgroup_size: 512
    .name:           _ZN7rocprim17ROCPRIM_400000_NS6detail17trampoline_kernelINS0_14default_configENS1_35radix_sort_onesweep_config_selectorIxxEEZNS1_34radix_sort_onesweep_global_offsetsIS3_Lb0EN6thrust23THRUST_200600_302600_NS6detail15normal_iteratorINS8_10device_ptrIxEEEESD_jNS0_19identity_decomposerEEE10hipError_tT1_T2_PT3_SI_jT4_jjP12ihipStream_tbEUlT_E_NS1_11comp_targetILNS1_3genE2ELNS1_11target_archE906ELNS1_3gpuE6ELNS1_3repE0EEENS1_52radix_sort_onesweep_histogram_config_static_selectorELNS0_4arch9wavefront6targetE1EEEvSG_
    .private_segment_fixed_size: 0
    .sgpr_count:     6
    .sgpr_spill_count: 0
    .symbol:         _ZN7rocprim17ROCPRIM_400000_NS6detail17trampoline_kernelINS0_14default_configENS1_35radix_sort_onesweep_config_selectorIxxEEZNS1_34radix_sort_onesweep_global_offsetsIS3_Lb0EN6thrust23THRUST_200600_302600_NS6detail15normal_iteratorINS8_10device_ptrIxEEEESD_jNS0_19identity_decomposerEEE10hipError_tT1_T2_PT3_SI_jT4_jjP12ihipStream_tbEUlT_E_NS1_11comp_targetILNS1_3genE2ELNS1_11target_archE906ELNS1_3gpuE6ELNS1_3repE0EEENS1_52radix_sort_onesweep_histogram_config_static_selectorELNS0_4arch9wavefront6targetE1EEEvSG_.kd
    .uniform_work_group_size: 1
    .uses_dynamic_stack: false
    .vgpr_count:     0
    .vgpr_spill_count: 0
    .wavefront_size: 64
  - .agpr_count:     0
    .args:
      - .offset:         0
        .size:           40
        .value_kind:     by_value
    .group_segment_fixed_size: 0
    .kernarg_segment_align: 8
    .kernarg_segment_size: 40
    .language:       OpenCL C
    .language_version:
      - 2
      - 0
    .max_flat_workgroup_size: 1024
    .name:           _ZN7rocprim17ROCPRIM_400000_NS6detail17trampoline_kernelINS0_14default_configENS1_35radix_sort_onesweep_config_selectorIxxEEZNS1_34radix_sort_onesweep_global_offsetsIS3_Lb0EN6thrust23THRUST_200600_302600_NS6detail15normal_iteratorINS8_10device_ptrIxEEEESD_jNS0_19identity_decomposerEEE10hipError_tT1_T2_PT3_SI_jT4_jjP12ihipStream_tbEUlT_E_NS1_11comp_targetILNS1_3genE4ELNS1_11target_archE910ELNS1_3gpuE8ELNS1_3repE0EEENS1_52radix_sort_onesweep_histogram_config_static_selectorELNS0_4arch9wavefront6targetE1EEEvSG_
    .private_segment_fixed_size: 0
    .sgpr_count:     6
    .sgpr_spill_count: 0
    .symbol:         _ZN7rocprim17ROCPRIM_400000_NS6detail17trampoline_kernelINS0_14default_configENS1_35radix_sort_onesweep_config_selectorIxxEEZNS1_34radix_sort_onesweep_global_offsetsIS3_Lb0EN6thrust23THRUST_200600_302600_NS6detail15normal_iteratorINS8_10device_ptrIxEEEESD_jNS0_19identity_decomposerEEE10hipError_tT1_T2_PT3_SI_jT4_jjP12ihipStream_tbEUlT_E_NS1_11comp_targetILNS1_3genE4ELNS1_11target_archE910ELNS1_3gpuE8ELNS1_3repE0EEENS1_52radix_sort_onesweep_histogram_config_static_selectorELNS0_4arch9wavefront6targetE1EEEvSG_.kd
    .uniform_work_group_size: 1
    .uses_dynamic_stack: false
    .vgpr_count:     0
    .vgpr_spill_count: 0
    .wavefront_size: 64
  - .agpr_count:     0
    .args:
      - .offset:         0
        .size:           40
        .value_kind:     by_value
    .group_segment_fixed_size: 0
    .kernarg_segment_align: 8
    .kernarg_segment_size: 40
    .language:       OpenCL C
    .language_version:
      - 2
      - 0
    .max_flat_workgroup_size: 512
    .name:           _ZN7rocprim17ROCPRIM_400000_NS6detail17trampoline_kernelINS0_14default_configENS1_35radix_sort_onesweep_config_selectorIxxEEZNS1_34radix_sort_onesweep_global_offsetsIS3_Lb0EN6thrust23THRUST_200600_302600_NS6detail15normal_iteratorINS8_10device_ptrIxEEEESD_jNS0_19identity_decomposerEEE10hipError_tT1_T2_PT3_SI_jT4_jjP12ihipStream_tbEUlT_E_NS1_11comp_targetILNS1_3genE3ELNS1_11target_archE908ELNS1_3gpuE7ELNS1_3repE0EEENS1_52radix_sort_onesweep_histogram_config_static_selectorELNS0_4arch9wavefront6targetE1EEEvSG_
    .private_segment_fixed_size: 0
    .sgpr_count:     6
    .sgpr_spill_count: 0
    .symbol:         _ZN7rocprim17ROCPRIM_400000_NS6detail17trampoline_kernelINS0_14default_configENS1_35radix_sort_onesweep_config_selectorIxxEEZNS1_34radix_sort_onesweep_global_offsetsIS3_Lb0EN6thrust23THRUST_200600_302600_NS6detail15normal_iteratorINS8_10device_ptrIxEEEESD_jNS0_19identity_decomposerEEE10hipError_tT1_T2_PT3_SI_jT4_jjP12ihipStream_tbEUlT_E_NS1_11comp_targetILNS1_3genE3ELNS1_11target_archE908ELNS1_3gpuE7ELNS1_3repE0EEENS1_52radix_sort_onesweep_histogram_config_static_selectorELNS0_4arch9wavefront6targetE1EEEvSG_.kd
    .uniform_work_group_size: 1
    .uses_dynamic_stack: false
    .vgpr_count:     0
    .vgpr_spill_count: 0
    .wavefront_size: 64
  - .agpr_count:     0
    .args:
      - .offset:         0
        .size:           40
        .value_kind:     by_value
    .group_segment_fixed_size: 0
    .kernarg_segment_align: 8
    .kernarg_segment_size: 40
    .language:       OpenCL C
    .language_version:
      - 2
      - 0
    .max_flat_workgroup_size: 1024
    .name:           _ZN7rocprim17ROCPRIM_400000_NS6detail17trampoline_kernelINS0_14default_configENS1_35radix_sort_onesweep_config_selectorIxxEEZNS1_34radix_sort_onesweep_global_offsetsIS3_Lb0EN6thrust23THRUST_200600_302600_NS6detail15normal_iteratorINS8_10device_ptrIxEEEESD_jNS0_19identity_decomposerEEE10hipError_tT1_T2_PT3_SI_jT4_jjP12ihipStream_tbEUlT_E_NS1_11comp_targetILNS1_3genE10ELNS1_11target_archE1201ELNS1_3gpuE5ELNS1_3repE0EEENS1_52radix_sort_onesweep_histogram_config_static_selectorELNS0_4arch9wavefront6targetE1EEEvSG_
    .private_segment_fixed_size: 0
    .sgpr_count:     6
    .sgpr_spill_count: 0
    .symbol:         _ZN7rocprim17ROCPRIM_400000_NS6detail17trampoline_kernelINS0_14default_configENS1_35radix_sort_onesweep_config_selectorIxxEEZNS1_34radix_sort_onesweep_global_offsetsIS3_Lb0EN6thrust23THRUST_200600_302600_NS6detail15normal_iteratorINS8_10device_ptrIxEEEESD_jNS0_19identity_decomposerEEE10hipError_tT1_T2_PT3_SI_jT4_jjP12ihipStream_tbEUlT_E_NS1_11comp_targetILNS1_3genE10ELNS1_11target_archE1201ELNS1_3gpuE5ELNS1_3repE0EEENS1_52radix_sort_onesweep_histogram_config_static_selectorELNS0_4arch9wavefront6targetE1EEEvSG_.kd
    .uniform_work_group_size: 1
    .uses_dynamic_stack: false
    .vgpr_count:     0
    .vgpr_spill_count: 0
    .wavefront_size: 64
  - .agpr_count:     0
    .args:
      - .offset:         0
        .size:           40
        .value_kind:     by_value
    .group_segment_fixed_size: 0
    .kernarg_segment_align: 8
    .kernarg_segment_size: 40
    .language:       OpenCL C
    .language_version:
      - 2
      - 0
    .max_flat_workgroup_size: 1024
    .name:           _ZN7rocprim17ROCPRIM_400000_NS6detail17trampoline_kernelINS0_14default_configENS1_35radix_sort_onesweep_config_selectorIxxEEZNS1_34radix_sort_onesweep_global_offsetsIS3_Lb0EN6thrust23THRUST_200600_302600_NS6detail15normal_iteratorINS8_10device_ptrIxEEEESD_jNS0_19identity_decomposerEEE10hipError_tT1_T2_PT3_SI_jT4_jjP12ihipStream_tbEUlT_E_NS1_11comp_targetILNS1_3genE9ELNS1_11target_archE1100ELNS1_3gpuE3ELNS1_3repE0EEENS1_52radix_sort_onesweep_histogram_config_static_selectorELNS0_4arch9wavefront6targetE1EEEvSG_
    .private_segment_fixed_size: 0
    .sgpr_count:     6
    .sgpr_spill_count: 0
    .symbol:         _ZN7rocprim17ROCPRIM_400000_NS6detail17trampoline_kernelINS0_14default_configENS1_35radix_sort_onesweep_config_selectorIxxEEZNS1_34radix_sort_onesweep_global_offsetsIS3_Lb0EN6thrust23THRUST_200600_302600_NS6detail15normal_iteratorINS8_10device_ptrIxEEEESD_jNS0_19identity_decomposerEEE10hipError_tT1_T2_PT3_SI_jT4_jjP12ihipStream_tbEUlT_E_NS1_11comp_targetILNS1_3genE9ELNS1_11target_archE1100ELNS1_3gpuE3ELNS1_3repE0EEENS1_52radix_sort_onesweep_histogram_config_static_selectorELNS0_4arch9wavefront6targetE1EEEvSG_.kd
    .uniform_work_group_size: 1
    .uses_dynamic_stack: false
    .vgpr_count:     0
    .vgpr_spill_count: 0
    .wavefront_size: 64
  - .agpr_count:     0
    .args:
      - .offset:         0
        .size:           40
        .value_kind:     by_value
    .group_segment_fixed_size: 0
    .kernarg_segment_align: 8
    .kernarg_segment_size: 40
    .language:       OpenCL C
    .language_version:
      - 2
      - 0
    .max_flat_workgroup_size: 1024
    .name:           _ZN7rocprim17ROCPRIM_400000_NS6detail17trampoline_kernelINS0_14default_configENS1_35radix_sort_onesweep_config_selectorIxxEEZNS1_34radix_sort_onesweep_global_offsetsIS3_Lb0EN6thrust23THRUST_200600_302600_NS6detail15normal_iteratorINS8_10device_ptrIxEEEESD_jNS0_19identity_decomposerEEE10hipError_tT1_T2_PT3_SI_jT4_jjP12ihipStream_tbEUlT_E_NS1_11comp_targetILNS1_3genE8ELNS1_11target_archE1030ELNS1_3gpuE2ELNS1_3repE0EEENS1_52radix_sort_onesweep_histogram_config_static_selectorELNS0_4arch9wavefront6targetE1EEEvSG_
    .private_segment_fixed_size: 0
    .sgpr_count:     6
    .sgpr_spill_count: 0
    .symbol:         _ZN7rocprim17ROCPRIM_400000_NS6detail17trampoline_kernelINS0_14default_configENS1_35radix_sort_onesweep_config_selectorIxxEEZNS1_34radix_sort_onesweep_global_offsetsIS3_Lb0EN6thrust23THRUST_200600_302600_NS6detail15normal_iteratorINS8_10device_ptrIxEEEESD_jNS0_19identity_decomposerEEE10hipError_tT1_T2_PT3_SI_jT4_jjP12ihipStream_tbEUlT_E_NS1_11comp_targetILNS1_3genE8ELNS1_11target_archE1030ELNS1_3gpuE2ELNS1_3repE0EEENS1_52radix_sort_onesweep_histogram_config_static_selectorELNS0_4arch9wavefront6targetE1EEEvSG_.kd
    .uniform_work_group_size: 1
    .uses_dynamic_stack: false
    .vgpr_count:     0
    .vgpr_spill_count: 0
    .wavefront_size: 64
  - .agpr_count:     0
    .args:
      - .address_space:  global
        .offset:         0
        .size:           8
        .value_kind:     global_buffer
    .group_segment_fixed_size: 0
    .kernarg_segment_align: 8
    .kernarg_segment_size: 8
    .language:       OpenCL C
    .language_version:
      - 2
      - 0
    .max_flat_workgroup_size: 512
    .name:           _ZN7rocprim17ROCPRIM_400000_NS6detail17trampoline_kernelINS0_14default_configENS1_35radix_sort_onesweep_config_selectorIxxEEZNS1_34radix_sort_onesweep_global_offsetsIS3_Lb0EN6thrust23THRUST_200600_302600_NS6detail15normal_iteratorINS8_10device_ptrIxEEEESD_jNS0_19identity_decomposerEEE10hipError_tT1_T2_PT3_SI_jT4_jjP12ihipStream_tbEUlT_E0_NS1_11comp_targetILNS1_3genE0ELNS1_11target_archE4294967295ELNS1_3gpuE0ELNS1_3repE0EEENS1_52radix_sort_onesweep_histogram_config_static_selectorELNS0_4arch9wavefront6targetE1EEEvSG_
    .private_segment_fixed_size: 0
    .sgpr_count:     6
    .sgpr_spill_count: 0
    .symbol:         _ZN7rocprim17ROCPRIM_400000_NS6detail17trampoline_kernelINS0_14default_configENS1_35radix_sort_onesweep_config_selectorIxxEEZNS1_34radix_sort_onesweep_global_offsetsIS3_Lb0EN6thrust23THRUST_200600_302600_NS6detail15normal_iteratorINS8_10device_ptrIxEEEESD_jNS0_19identity_decomposerEEE10hipError_tT1_T2_PT3_SI_jT4_jjP12ihipStream_tbEUlT_E0_NS1_11comp_targetILNS1_3genE0ELNS1_11target_archE4294967295ELNS1_3gpuE0ELNS1_3repE0EEENS1_52radix_sort_onesweep_histogram_config_static_selectorELNS0_4arch9wavefront6targetE1EEEvSG_.kd
    .uniform_work_group_size: 1
    .uses_dynamic_stack: false
    .vgpr_count:     0
    .vgpr_spill_count: 0
    .wavefront_size: 64
  - .agpr_count:     0
    .args:
      - .address_space:  global
        .offset:         0
        .size:           8
        .value_kind:     global_buffer
    .group_segment_fixed_size: 64
    .kernarg_segment_align: 8
    .kernarg_segment_size: 8
    .language:       OpenCL C
    .language_version:
      - 2
      - 0
    .max_flat_workgroup_size: 1024
    .name:           _ZN7rocprim17ROCPRIM_400000_NS6detail17trampoline_kernelINS0_14default_configENS1_35radix_sort_onesweep_config_selectorIxxEEZNS1_34radix_sort_onesweep_global_offsetsIS3_Lb0EN6thrust23THRUST_200600_302600_NS6detail15normal_iteratorINS8_10device_ptrIxEEEESD_jNS0_19identity_decomposerEEE10hipError_tT1_T2_PT3_SI_jT4_jjP12ihipStream_tbEUlT_E0_NS1_11comp_targetILNS1_3genE6ELNS1_11target_archE950ELNS1_3gpuE13ELNS1_3repE0EEENS1_52radix_sort_onesweep_histogram_config_static_selectorELNS0_4arch9wavefront6targetE1EEEvSG_
    .private_segment_fixed_size: 0
    .sgpr_count:     20
    .sgpr_spill_count: 0
    .symbol:         _ZN7rocprim17ROCPRIM_400000_NS6detail17trampoline_kernelINS0_14default_configENS1_35radix_sort_onesweep_config_selectorIxxEEZNS1_34radix_sort_onesweep_global_offsetsIS3_Lb0EN6thrust23THRUST_200600_302600_NS6detail15normal_iteratorINS8_10device_ptrIxEEEESD_jNS0_19identity_decomposerEEE10hipError_tT1_T2_PT3_SI_jT4_jjP12ihipStream_tbEUlT_E0_NS1_11comp_targetILNS1_3genE6ELNS1_11target_archE950ELNS1_3gpuE13ELNS1_3repE0EEENS1_52radix_sort_onesweep_histogram_config_static_selectorELNS0_4arch9wavefront6targetE1EEEvSG_.kd
    .uniform_work_group_size: 1
    .uses_dynamic_stack: false
    .vgpr_count:     7
    .vgpr_spill_count: 0
    .wavefront_size: 64
  - .agpr_count:     0
    .args:
      - .address_space:  global
        .offset:         0
        .size:           8
        .value_kind:     global_buffer
    .group_segment_fixed_size: 0
    .kernarg_segment_align: 8
    .kernarg_segment_size: 8
    .language:       OpenCL C
    .language_version:
      - 2
      - 0
    .max_flat_workgroup_size: 1024
    .name:           _ZN7rocprim17ROCPRIM_400000_NS6detail17trampoline_kernelINS0_14default_configENS1_35radix_sort_onesweep_config_selectorIxxEEZNS1_34radix_sort_onesweep_global_offsetsIS3_Lb0EN6thrust23THRUST_200600_302600_NS6detail15normal_iteratorINS8_10device_ptrIxEEEESD_jNS0_19identity_decomposerEEE10hipError_tT1_T2_PT3_SI_jT4_jjP12ihipStream_tbEUlT_E0_NS1_11comp_targetILNS1_3genE5ELNS1_11target_archE942ELNS1_3gpuE9ELNS1_3repE0EEENS1_52radix_sort_onesweep_histogram_config_static_selectorELNS0_4arch9wavefront6targetE1EEEvSG_
    .private_segment_fixed_size: 0
    .sgpr_count:     6
    .sgpr_spill_count: 0
    .symbol:         _ZN7rocprim17ROCPRIM_400000_NS6detail17trampoline_kernelINS0_14default_configENS1_35radix_sort_onesweep_config_selectorIxxEEZNS1_34radix_sort_onesweep_global_offsetsIS3_Lb0EN6thrust23THRUST_200600_302600_NS6detail15normal_iteratorINS8_10device_ptrIxEEEESD_jNS0_19identity_decomposerEEE10hipError_tT1_T2_PT3_SI_jT4_jjP12ihipStream_tbEUlT_E0_NS1_11comp_targetILNS1_3genE5ELNS1_11target_archE942ELNS1_3gpuE9ELNS1_3repE0EEENS1_52radix_sort_onesweep_histogram_config_static_selectorELNS0_4arch9wavefront6targetE1EEEvSG_.kd
    .uniform_work_group_size: 1
    .uses_dynamic_stack: false
    .vgpr_count:     0
    .vgpr_spill_count: 0
    .wavefront_size: 64
  - .agpr_count:     0
    .args:
      - .address_space:  global
        .offset:         0
        .size:           8
        .value_kind:     global_buffer
    .group_segment_fixed_size: 0
    .kernarg_segment_align: 8
    .kernarg_segment_size: 8
    .language:       OpenCL C
    .language_version:
      - 2
      - 0
    .max_flat_workgroup_size: 512
    .name:           _ZN7rocprim17ROCPRIM_400000_NS6detail17trampoline_kernelINS0_14default_configENS1_35radix_sort_onesweep_config_selectorIxxEEZNS1_34radix_sort_onesweep_global_offsetsIS3_Lb0EN6thrust23THRUST_200600_302600_NS6detail15normal_iteratorINS8_10device_ptrIxEEEESD_jNS0_19identity_decomposerEEE10hipError_tT1_T2_PT3_SI_jT4_jjP12ihipStream_tbEUlT_E0_NS1_11comp_targetILNS1_3genE2ELNS1_11target_archE906ELNS1_3gpuE6ELNS1_3repE0EEENS1_52radix_sort_onesweep_histogram_config_static_selectorELNS0_4arch9wavefront6targetE1EEEvSG_
    .private_segment_fixed_size: 0
    .sgpr_count:     6
    .sgpr_spill_count: 0
    .symbol:         _ZN7rocprim17ROCPRIM_400000_NS6detail17trampoline_kernelINS0_14default_configENS1_35radix_sort_onesweep_config_selectorIxxEEZNS1_34radix_sort_onesweep_global_offsetsIS3_Lb0EN6thrust23THRUST_200600_302600_NS6detail15normal_iteratorINS8_10device_ptrIxEEEESD_jNS0_19identity_decomposerEEE10hipError_tT1_T2_PT3_SI_jT4_jjP12ihipStream_tbEUlT_E0_NS1_11comp_targetILNS1_3genE2ELNS1_11target_archE906ELNS1_3gpuE6ELNS1_3repE0EEENS1_52radix_sort_onesweep_histogram_config_static_selectorELNS0_4arch9wavefront6targetE1EEEvSG_.kd
    .uniform_work_group_size: 1
    .uses_dynamic_stack: false
    .vgpr_count:     0
    .vgpr_spill_count: 0
    .wavefront_size: 64
  - .agpr_count:     0
    .args:
      - .address_space:  global
        .offset:         0
        .size:           8
        .value_kind:     global_buffer
    .group_segment_fixed_size: 0
    .kernarg_segment_align: 8
    .kernarg_segment_size: 8
    .language:       OpenCL C
    .language_version:
      - 2
      - 0
    .max_flat_workgroup_size: 1024
    .name:           _ZN7rocprim17ROCPRIM_400000_NS6detail17trampoline_kernelINS0_14default_configENS1_35radix_sort_onesweep_config_selectorIxxEEZNS1_34radix_sort_onesweep_global_offsetsIS3_Lb0EN6thrust23THRUST_200600_302600_NS6detail15normal_iteratorINS8_10device_ptrIxEEEESD_jNS0_19identity_decomposerEEE10hipError_tT1_T2_PT3_SI_jT4_jjP12ihipStream_tbEUlT_E0_NS1_11comp_targetILNS1_3genE4ELNS1_11target_archE910ELNS1_3gpuE8ELNS1_3repE0EEENS1_52radix_sort_onesweep_histogram_config_static_selectorELNS0_4arch9wavefront6targetE1EEEvSG_
    .private_segment_fixed_size: 0
    .sgpr_count:     6
    .sgpr_spill_count: 0
    .symbol:         _ZN7rocprim17ROCPRIM_400000_NS6detail17trampoline_kernelINS0_14default_configENS1_35radix_sort_onesweep_config_selectorIxxEEZNS1_34radix_sort_onesweep_global_offsetsIS3_Lb0EN6thrust23THRUST_200600_302600_NS6detail15normal_iteratorINS8_10device_ptrIxEEEESD_jNS0_19identity_decomposerEEE10hipError_tT1_T2_PT3_SI_jT4_jjP12ihipStream_tbEUlT_E0_NS1_11comp_targetILNS1_3genE4ELNS1_11target_archE910ELNS1_3gpuE8ELNS1_3repE0EEENS1_52radix_sort_onesweep_histogram_config_static_selectorELNS0_4arch9wavefront6targetE1EEEvSG_.kd
    .uniform_work_group_size: 1
    .uses_dynamic_stack: false
    .vgpr_count:     0
    .vgpr_spill_count: 0
    .wavefront_size: 64
  - .agpr_count:     0
    .args:
      - .address_space:  global
        .offset:         0
        .size:           8
        .value_kind:     global_buffer
    .group_segment_fixed_size: 0
    .kernarg_segment_align: 8
    .kernarg_segment_size: 8
    .language:       OpenCL C
    .language_version:
      - 2
      - 0
    .max_flat_workgroup_size: 512
    .name:           _ZN7rocprim17ROCPRIM_400000_NS6detail17trampoline_kernelINS0_14default_configENS1_35radix_sort_onesweep_config_selectorIxxEEZNS1_34radix_sort_onesweep_global_offsetsIS3_Lb0EN6thrust23THRUST_200600_302600_NS6detail15normal_iteratorINS8_10device_ptrIxEEEESD_jNS0_19identity_decomposerEEE10hipError_tT1_T2_PT3_SI_jT4_jjP12ihipStream_tbEUlT_E0_NS1_11comp_targetILNS1_3genE3ELNS1_11target_archE908ELNS1_3gpuE7ELNS1_3repE0EEENS1_52radix_sort_onesweep_histogram_config_static_selectorELNS0_4arch9wavefront6targetE1EEEvSG_
    .private_segment_fixed_size: 0
    .sgpr_count:     6
    .sgpr_spill_count: 0
    .symbol:         _ZN7rocprim17ROCPRIM_400000_NS6detail17trampoline_kernelINS0_14default_configENS1_35radix_sort_onesweep_config_selectorIxxEEZNS1_34radix_sort_onesweep_global_offsetsIS3_Lb0EN6thrust23THRUST_200600_302600_NS6detail15normal_iteratorINS8_10device_ptrIxEEEESD_jNS0_19identity_decomposerEEE10hipError_tT1_T2_PT3_SI_jT4_jjP12ihipStream_tbEUlT_E0_NS1_11comp_targetILNS1_3genE3ELNS1_11target_archE908ELNS1_3gpuE7ELNS1_3repE0EEENS1_52radix_sort_onesweep_histogram_config_static_selectorELNS0_4arch9wavefront6targetE1EEEvSG_.kd
    .uniform_work_group_size: 1
    .uses_dynamic_stack: false
    .vgpr_count:     0
    .vgpr_spill_count: 0
    .wavefront_size: 64
  - .agpr_count:     0
    .args:
      - .address_space:  global
        .offset:         0
        .size:           8
        .value_kind:     global_buffer
    .group_segment_fixed_size: 0
    .kernarg_segment_align: 8
    .kernarg_segment_size: 8
    .language:       OpenCL C
    .language_version:
      - 2
      - 0
    .max_flat_workgroup_size: 1024
    .name:           _ZN7rocprim17ROCPRIM_400000_NS6detail17trampoline_kernelINS0_14default_configENS1_35radix_sort_onesweep_config_selectorIxxEEZNS1_34radix_sort_onesweep_global_offsetsIS3_Lb0EN6thrust23THRUST_200600_302600_NS6detail15normal_iteratorINS8_10device_ptrIxEEEESD_jNS0_19identity_decomposerEEE10hipError_tT1_T2_PT3_SI_jT4_jjP12ihipStream_tbEUlT_E0_NS1_11comp_targetILNS1_3genE10ELNS1_11target_archE1201ELNS1_3gpuE5ELNS1_3repE0EEENS1_52radix_sort_onesweep_histogram_config_static_selectorELNS0_4arch9wavefront6targetE1EEEvSG_
    .private_segment_fixed_size: 0
    .sgpr_count:     6
    .sgpr_spill_count: 0
    .symbol:         _ZN7rocprim17ROCPRIM_400000_NS6detail17trampoline_kernelINS0_14default_configENS1_35radix_sort_onesweep_config_selectorIxxEEZNS1_34radix_sort_onesweep_global_offsetsIS3_Lb0EN6thrust23THRUST_200600_302600_NS6detail15normal_iteratorINS8_10device_ptrIxEEEESD_jNS0_19identity_decomposerEEE10hipError_tT1_T2_PT3_SI_jT4_jjP12ihipStream_tbEUlT_E0_NS1_11comp_targetILNS1_3genE10ELNS1_11target_archE1201ELNS1_3gpuE5ELNS1_3repE0EEENS1_52radix_sort_onesweep_histogram_config_static_selectorELNS0_4arch9wavefront6targetE1EEEvSG_.kd
    .uniform_work_group_size: 1
    .uses_dynamic_stack: false
    .vgpr_count:     0
    .vgpr_spill_count: 0
    .wavefront_size: 64
  - .agpr_count:     0
    .args:
      - .address_space:  global
        .offset:         0
        .size:           8
        .value_kind:     global_buffer
    .group_segment_fixed_size: 0
    .kernarg_segment_align: 8
    .kernarg_segment_size: 8
    .language:       OpenCL C
    .language_version:
      - 2
      - 0
    .max_flat_workgroup_size: 1024
    .name:           _ZN7rocprim17ROCPRIM_400000_NS6detail17trampoline_kernelINS0_14default_configENS1_35radix_sort_onesweep_config_selectorIxxEEZNS1_34radix_sort_onesweep_global_offsetsIS3_Lb0EN6thrust23THRUST_200600_302600_NS6detail15normal_iteratorINS8_10device_ptrIxEEEESD_jNS0_19identity_decomposerEEE10hipError_tT1_T2_PT3_SI_jT4_jjP12ihipStream_tbEUlT_E0_NS1_11comp_targetILNS1_3genE9ELNS1_11target_archE1100ELNS1_3gpuE3ELNS1_3repE0EEENS1_52radix_sort_onesweep_histogram_config_static_selectorELNS0_4arch9wavefront6targetE1EEEvSG_
    .private_segment_fixed_size: 0
    .sgpr_count:     6
    .sgpr_spill_count: 0
    .symbol:         _ZN7rocprim17ROCPRIM_400000_NS6detail17trampoline_kernelINS0_14default_configENS1_35radix_sort_onesweep_config_selectorIxxEEZNS1_34radix_sort_onesweep_global_offsetsIS3_Lb0EN6thrust23THRUST_200600_302600_NS6detail15normal_iteratorINS8_10device_ptrIxEEEESD_jNS0_19identity_decomposerEEE10hipError_tT1_T2_PT3_SI_jT4_jjP12ihipStream_tbEUlT_E0_NS1_11comp_targetILNS1_3genE9ELNS1_11target_archE1100ELNS1_3gpuE3ELNS1_3repE0EEENS1_52radix_sort_onesweep_histogram_config_static_selectorELNS0_4arch9wavefront6targetE1EEEvSG_.kd
    .uniform_work_group_size: 1
    .uses_dynamic_stack: false
    .vgpr_count:     0
    .vgpr_spill_count: 0
    .wavefront_size: 64
  - .agpr_count:     0
    .args:
      - .address_space:  global
        .offset:         0
        .size:           8
        .value_kind:     global_buffer
    .group_segment_fixed_size: 0
    .kernarg_segment_align: 8
    .kernarg_segment_size: 8
    .language:       OpenCL C
    .language_version:
      - 2
      - 0
    .max_flat_workgroup_size: 1024
    .name:           _ZN7rocprim17ROCPRIM_400000_NS6detail17trampoline_kernelINS0_14default_configENS1_35radix_sort_onesweep_config_selectorIxxEEZNS1_34radix_sort_onesweep_global_offsetsIS3_Lb0EN6thrust23THRUST_200600_302600_NS6detail15normal_iteratorINS8_10device_ptrIxEEEESD_jNS0_19identity_decomposerEEE10hipError_tT1_T2_PT3_SI_jT4_jjP12ihipStream_tbEUlT_E0_NS1_11comp_targetILNS1_3genE8ELNS1_11target_archE1030ELNS1_3gpuE2ELNS1_3repE0EEENS1_52radix_sort_onesweep_histogram_config_static_selectorELNS0_4arch9wavefront6targetE1EEEvSG_
    .private_segment_fixed_size: 0
    .sgpr_count:     6
    .sgpr_spill_count: 0
    .symbol:         _ZN7rocprim17ROCPRIM_400000_NS6detail17trampoline_kernelINS0_14default_configENS1_35radix_sort_onesweep_config_selectorIxxEEZNS1_34radix_sort_onesweep_global_offsetsIS3_Lb0EN6thrust23THRUST_200600_302600_NS6detail15normal_iteratorINS8_10device_ptrIxEEEESD_jNS0_19identity_decomposerEEE10hipError_tT1_T2_PT3_SI_jT4_jjP12ihipStream_tbEUlT_E0_NS1_11comp_targetILNS1_3genE8ELNS1_11target_archE1030ELNS1_3gpuE2ELNS1_3repE0EEENS1_52radix_sort_onesweep_histogram_config_static_selectorELNS0_4arch9wavefront6targetE1EEEvSG_.kd
    .uniform_work_group_size: 1
    .uses_dynamic_stack: false
    .vgpr_count:     0
    .vgpr_spill_count: 0
    .wavefront_size: 64
  - .agpr_count:     0
    .args:
      - .offset:         0
        .size:           40
        .value_kind:     by_value
      - .offset:         40
        .size:           4
        .value_kind:     hidden_block_count_x
      - .offset:         44
        .size:           4
        .value_kind:     hidden_block_count_y
      - .offset:         48
        .size:           4
        .value_kind:     hidden_block_count_z
      - .offset:         52
        .size:           2
        .value_kind:     hidden_group_size_x
      - .offset:         54
        .size:           2
        .value_kind:     hidden_group_size_y
      - .offset:         56
        .size:           2
        .value_kind:     hidden_group_size_z
      - .offset:         58
        .size:           2
        .value_kind:     hidden_remainder_x
      - .offset:         60
        .size:           2
        .value_kind:     hidden_remainder_y
      - .offset:         62
        .size:           2
        .value_kind:     hidden_remainder_z
      - .offset:         80
        .size:           8
        .value_kind:     hidden_global_offset_x
      - .offset:         88
        .size:           8
        .value_kind:     hidden_global_offset_y
      - .offset:         96
        .size:           8
        .value_kind:     hidden_global_offset_z
      - .offset:         104
        .size:           2
        .value_kind:     hidden_grid_dims
    .group_segment_fixed_size: 0
    .kernarg_segment_align: 8
    .kernarg_segment_size: 296
    .language:       OpenCL C
    .language_version:
      - 2
      - 0
    .max_flat_workgroup_size: 128
    .name:           _ZN7rocprim17ROCPRIM_400000_NS6detail17trampoline_kernelINS0_14default_configENS1_25transform_config_selectorIxLb0EEEZNS1_14transform_implILb0ES3_S5_N6thrust23THRUST_200600_302600_NS6detail15normal_iteratorINS8_10device_ptrIxEEEEPxNS0_8identityIxEEEE10hipError_tT2_T3_mT4_P12ihipStream_tbEUlT_E_NS1_11comp_targetILNS1_3genE0ELNS1_11target_archE4294967295ELNS1_3gpuE0ELNS1_3repE0EEENS1_30default_config_static_selectorELNS0_4arch9wavefront6targetE1EEEvT1_
    .private_segment_fixed_size: 0
    .sgpr_count:     18
    .sgpr_spill_count: 0
    .symbol:         _ZN7rocprim17ROCPRIM_400000_NS6detail17trampoline_kernelINS0_14default_configENS1_25transform_config_selectorIxLb0EEEZNS1_14transform_implILb0ES3_S5_N6thrust23THRUST_200600_302600_NS6detail15normal_iteratorINS8_10device_ptrIxEEEEPxNS0_8identityIxEEEE10hipError_tT2_T3_mT4_P12ihipStream_tbEUlT_E_NS1_11comp_targetILNS1_3genE0ELNS1_11target_archE4294967295ELNS1_3gpuE0ELNS1_3repE0EEENS1_30default_config_static_selectorELNS0_4arch9wavefront6targetE1EEEvT1_.kd
    .uniform_work_group_size: 1
    .uses_dynamic_stack: false
    .vgpr_count:     4
    .vgpr_spill_count: 0
    .wavefront_size: 64
  - .agpr_count:     0
    .args:
      - .offset:         0
        .size:           40
        .value_kind:     by_value
    .group_segment_fixed_size: 0
    .kernarg_segment_align: 8
    .kernarg_segment_size: 40
    .language:       OpenCL C
    .language_version:
      - 2
      - 0
    .max_flat_workgroup_size: 512
    .name:           _ZN7rocprim17ROCPRIM_400000_NS6detail17trampoline_kernelINS0_14default_configENS1_25transform_config_selectorIxLb0EEEZNS1_14transform_implILb0ES3_S5_N6thrust23THRUST_200600_302600_NS6detail15normal_iteratorINS8_10device_ptrIxEEEEPxNS0_8identityIxEEEE10hipError_tT2_T3_mT4_P12ihipStream_tbEUlT_E_NS1_11comp_targetILNS1_3genE5ELNS1_11target_archE942ELNS1_3gpuE9ELNS1_3repE0EEENS1_30default_config_static_selectorELNS0_4arch9wavefront6targetE1EEEvT1_
    .private_segment_fixed_size: 0
    .sgpr_count:     6
    .sgpr_spill_count: 0
    .symbol:         _ZN7rocprim17ROCPRIM_400000_NS6detail17trampoline_kernelINS0_14default_configENS1_25transform_config_selectorIxLb0EEEZNS1_14transform_implILb0ES3_S5_N6thrust23THRUST_200600_302600_NS6detail15normal_iteratorINS8_10device_ptrIxEEEEPxNS0_8identityIxEEEE10hipError_tT2_T3_mT4_P12ihipStream_tbEUlT_E_NS1_11comp_targetILNS1_3genE5ELNS1_11target_archE942ELNS1_3gpuE9ELNS1_3repE0EEENS1_30default_config_static_selectorELNS0_4arch9wavefront6targetE1EEEvT1_.kd
    .uniform_work_group_size: 1
    .uses_dynamic_stack: false
    .vgpr_count:     0
    .vgpr_spill_count: 0
    .wavefront_size: 64
  - .agpr_count:     0
    .args:
      - .offset:         0
        .size:           40
        .value_kind:     by_value
    .group_segment_fixed_size: 0
    .kernarg_segment_align: 8
    .kernarg_segment_size: 40
    .language:       OpenCL C
    .language_version:
      - 2
      - 0
    .max_flat_workgroup_size: 256
    .name:           _ZN7rocprim17ROCPRIM_400000_NS6detail17trampoline_kernelINS0_14default_configENS1_25transform_config_selectorIxLb0EEEZNS1_14transform_implILb0ES3_S5_N6thrust23THRUST_200600_302600_NS6detail15normal_iteratorINS8_10device_ptrIxEEEEPxNS0_8identityIxEEEE10hipError_tT2_T3_mT4_P12ihipStream_tbEUlT_E_NS1_11comp_targetILNS1_3genE4ELNS1_11target_archE910ELNS1_3gpuE8ELNS1_3repE0EEENS1_30default_config_static_selectorELNS0_4arch9wavefront6targetE1EEEvT1_
    .private_segment_fixed_size: 0
    .sgpr_count:     6
    .sgpr_spill_count: 0
    .symbol:         _ZN7rocprim17ROCPRIM_400000_NS6detail17trampoline_kernelINS0_14default_configENS1_25transform_config_selectorIxLb0EEEZNS1_14transform_implILb0ES3_S5_N6thrust23THRUST_200600_302600_NS6detail15normal_iteratorINS8_10device_ptrIxEEEEPxNS0_8identityIxEEEE10hipError_tT2_T3_mT4_P12ihipStream_tbEUlT_E_NS1_11comp_targetILNS1_3genE4ELNS1_11target_archE910ELNS1_3gpuE8ELNS1_3repE0EEENS1_30default_config_static_selectorELNS0_4arch9wavefront6targetE1EEEvT1_.kd
    .uniform_work_group_size: 1
    .uses_dynamic_stack: false
    .vgpr_count:     0
    .vgpr_spill_count: 0
    .wavefront_size: 64
  - .agpr_count:     0
    .args:
      - .offset:         0
        .size:           40
        .value_kind:     by_value
    .group_segment_fixed_size: 0
    .kernarg_segment_align: 8
    .kernarg_segment_size: 40
    .language:       OpenCL C
    .language_version:
      - 2
      - 0
    .max_flat_workgroup_size: 128
    .name:           _ZN7rocprim17ROCPRIM_400000_NS6detail17trampoline_kernelINS0_14default_configENS1_25transform_config_selectorIxLb0EEEZNS1_14transform_implILb0ES3_S5_N6thrust23THRUST_200600_302600_NS6detail15normal_iteratorINS8_10device_ptrIxEEEEPxNS0_8identityIxEEEE10hipError_tT2_T3_mT4_P12ihipStream_tbEUlT_E_NS1_11comp_targetILNS1_3genE3ELNS1_11target_archE908ELNS1_3gpuE7ELNS1_3repE0EEENS1_30default_config_static_selectorELNS0_4arch9wavefront6targetE1EEEvT1_
    .private_segment_fixed_size: 0
    .sgpr_count:     6
    .sgpr_spill_count: 0
    .symbol:         _ZN7rocprim17ROCPRIM_400000_NS6detail17trampoline_kernelINS0_14default_configENS1_25transform_config_selectorIxLb0EEEZNS1_14transform_implILb0ES3_S5_N6thrust23THRUST_200600_302600_NS6detail15normal_iteratorINS8_10device_ptrIxEEEEPxNS0_8identityIxEEEE10hipError_tT2_T3_mT4_P12ihipStream_tbEUlT_E_NS1_11comp_targetILNS1_3genE3ELNS1_11target_archE908ELNS1_3gpuE7ELNS1_3repE0EEENS1_30default_config_static_selectorELNS0_4arch9wavefront6targetE1EEEvT1_.kd
    .uniform_work_group_size: 1
    .uses_dynamic_stack: false
    .vgpr_count:     0
    .vgpr_spill_count: 0
    .wavefront_size: 64
  - .agpr_count:     0
    .args:
      - .offset:         0
        .size:           40
        .value_kind:     by_value
    .group_segment_fixed_size: 0
    .kernarg_segment_align: 8
    .kernarg_segment_size: 40
    .language:       OpenCL C
    .language_version:
      - 2
      - 0
    .max_flat_workgroup_size: 512
    .name:           _ZN7rocprim17ROCPRIM_400000_NS6detail17trampoline_kernelINS0_14default_configENS1_25transform_config_selectorIxLb0EEEZNS1_14transform_implILb0ES3_S5_N6thrust23THRUST_200600_302600_NS6detail15normal_iteratorINS8_10device_ptrIxEEEEPxNS0_8identityIxEEEE10hipError_tT2_T3_mT4_P12ihipStream_tbEUlT_E_NS1_11comp_targetILNS1_3genE2ELNS1_11target_archE906ELNS1_3gpuE6ELNS1_3repE0EEENS1_30default_config_static_selectorELNS0_4arch9wavefront6targetE1EEEvT1_
    .private_segment_fixed_size: 0
    .sgpr_count:     6
    .sgpr_spill_count: 0
    .symbol:         _ZN7rocprim17ROCPRIM_400000_NS6detail17trampoline_kernelINS0_14default_configENS1_25transform_config_selectorIxLb0EEEZNS1_14transform_implILb0ES3_S5_N6thrust23THRUST_200600_302600_NS6detail15normal_iteratorINS8_10device_ptrIxEEEEPxNS0_8identityIxEEEE10hipError_tT2_T3_mT4_P12ihipStream_tbEUlT_E_NS1_11comp_targetILNS1_3genE2ELNS1_11target_archE906ELNS1_3gpuE6ELNS1_3repE0EEENS1_30default_config_static_selectorELNS0_4arch9wavefront6targetE1EEEvT1_.kd
    .uniform_work_group_size: 1
    .uses_dynamic_stack: false
    .vgpr_count:     0
    .vgpr_spill_count: 0
    .wavefront_size: 64
  - .agpr_count:     0
    .args:
      - .offset:         0
        .size:           40
        .value_kind:     by_value
    .group_segment_fixed_size: 0
    .kernarg_segment_align: 8
    .kernarg_segment_size: 40
    .language:       OpenCL C
    .language_version:
      - 2
      - 0
    .max_flat_workgroup_size: 1024
    .name:           _ZN7rocprim17ROCPRIM_400000_NS6detail17trampoline_kernelINS0_14default_configENS1_25transform_config_selectorIxLb0EEEZNS1_14transform_implILb0ES3_S5_N6thrust23THRUST_200600_302600_NS6detail15normal_iteratorINS8_10device_ptrIxEEEEPxNS0_8identityIxEEEE10hipError_tT2_T3_mT4_P12ihipStream_tbEUlT_E_NS1_11comp_targetILNS1_3genE10ELNS1_11target_archE1201ELNS1_3gpuE5ELNS1_3repE0EEENS1_30default_config_static_selectorELNS0_4arch9wavefront6targetE1EEEvT1_
    .private_segment_fixed_size: 0
    .sgpr_count:     6
    .sgpr_spill_count: 0
    .symbol:         _ZN7rocprim17ROCPRIM_400000_NS6detail17trampoline_kernelINS0_14default_configENS1_25transform_config_selectorIxLb0EEEZNS1_14transform_implILb0ES3_S5_N6thrust23THRUST_200600_302600_NS6detail15normal_iteratorINS8_10device_ptrIxEEEEPxNS0_8identityIxEEEE10hipError_tT2_T3_mT4_P12ihipStream_tbEUlT_E_NS1_11comp_targetILNS1_3genE10ELNS1_11target_archE1201ELNS1_3gpuE5ELNS1_3repE0EEENS1_30default_config_static_selectorELNS0_4arch9wavefront6targetE1EEEvT1_.kd
    .uniform_work_group_size: 1
    .uses_dynamic_stack: false
    .vgpr_count:     0
    .vgpr_spill_count: 0
    .wavefront_size: 64
  - .agpr_count:     0
    .args:
      - .offset:         0
        .size:           40
        .value_kind:     by_value
    .group_segment_fixed_size: 0
    .kernarg_segment_align: 8
    .kernarg_segment_size: 40
    .language:       OpenCL C
    .language_version:
      - 2
      - 0
    .max_flat_workgroup_size: 512
    .name:           _ZN7rocprim17ROCPRIM_400000_NS6detail17trampoline_kernelINS0_14default_configENS1_25transform_config_selectorIxLb0EEEZNS1_14transform_implILb0ES3_S5_N6thrust23THRUST_200600_302600_NS6detail15normal_iteratorINS8_10device_ptrIxEEEEPxNS0_8identityIxEEEE10hipError_tT2_T3_mT4_P12ihipStream_tbEUlT_E_NS1_11comp_targetILNS1_3genE10ELNS1_11target_archE1200ELNS1_3gpuE4ELNS1_3repE0EEENS1_30default_config_static_selectorELNS0_4arch9wavefront6targetE1EEEvT1_
    .private_segment_fixed_size: 0
    .sgpr_count:     6
    .sgpr_spill_count: 0
    .symbol:         _ZN7rocprim17ROCPRIM_400000_NS6detail17trampoline_kernelINS0_14default_configENS1_25transform_config_selectorIxLb0EEEZNS1_14transform_implILb0ES3_S5_N6thrust23THRUST_200600_302600_NS6detail15normal_iteratorINS8_10device_ptrIxEEEEPxNS0_8identityIxEEEE10hipError_tT2_T3_mT4_P12ihipStream_tbEUlT_E_NS1_11comp_targetILNS1_3genE10ELNS1_11target_archE1200ELNS1_3gpuE4ELNS1_3repE0EEENS1_30default_config_static_selectorELNS0_4arch9wavefront6targetE1EEEvT1_.kd
    .uniform_work_group_size: 1
    .uses_dynamic_stack: false
    .vgpr_count:     0
    .vgpr_spill_count: 0
    .wavefront_size: 64
  - .agpr_count:     0
    .args:
      - .offset:         0
        .size:           40
        .value_kind:     by_value
    .group_segment_fixed_size: 0
    .kernarg_segment_align: 8
    .kernarg_segment_size: 40
    .language:       OpenCL C
    .language_version:
      - 2
      - 0
    .max_flat_workgroup_size: 512
    .name:           _ZN7rocprim17ROCPRIM_400000_NS6detail17trampoline_kernelINS0_14default_configENS1_25transform_config_selectorIxLb0EEEZNS1_14transform_implILb0ES3_S5_N6thrust23THRUST_200600_302600_NS6detail15normal_iteratorINS8_10device_ptrIxEEEEPxNS0_8identityIxEEEE10hipError_tT2_T3_mT4_P12ihipStream_tbEUlT_E_NS1_11comp_targetILNS1_3genE9ELNS1_11target_archE1100ELNS1_3gpuE3ELNS1_3repE0EEENS1_30default_config_static_selectorELNS0_4arch9wavefront6targetE1EEEvT1_
    .private_segment_fixed_size: 0
    .sgpr_count:     6
    .sgpr_spill_count: 0
    .symbol:         _ZN7rocprim17ROCPRIM_400000_NS6detail17trampoline_kernelINS0_14default_configENS1_25transform_config_selectorIxLb0EEEZNS1_14transform_implILb0ES3_S5_N6thrust23THRUST_200600_302600_NS6detail15normal_iteratorINS8_10device_ptrIxEEEEPxNS0_8identityIxEEEE10hipError_tT2_T3_mT4_P12ihipStream_tbEUlT_E_NS1_11comp_targetILNS1_3genE9ELNS1_11target_archE1100ELNS1_3gpuE3ELNS1_3repE0EEENS1_30default_config_static_selectorELNS0_4arch9wavefront6targetE1EEEvT1_.kd
    .uniform_work_group_size: 1
    .uses_dynamic_stack: false
    .vgpr_count:     0
    .vgpr_spill_count: 0
    .wavefront_size: 64
  - .agpr_count:     0
    .args:
      - .offset:         0
        .size:           40
        .value_kind:     by_value
    .group_segment_fixed_size: 0
    .kernarg_segment_align: 8
    .kernarg_segment_size: 40
    .language:       OpenCL C
    .language_version:
      - 2
      - 0
    .max_flat_workgroup_size: 512
    .name:           _ZN7rocprim17ROCPRIM_400000_NS6detail17trampoline_kernelINS0_14default_configENS1_25transform_config_selectorIxLb0EEEZNS1_14transform_implILb0ES3_S5_N6thrust23THRUST_200600_302600_NS6detail15normal_iteratorINS8_10device_ptrIxEEEEPxNS0_8identityIxEEEE10hipError_tT2_T3_mT4_P12ihipStream_tbEUlT_E_NS1_11comp_targetILNS1_3genE8ELNS1_11target_archE1030ELNS1_3gpuE2ELNS1_3repE0EEENS1_30default_config_static_selectorELNS0_4arch9wavefront6targetE1EEEvT1_
    .private_segment_fixed_size: 0
    .sgpr_count:     6
    .sgpr_spill_count: 0
    .symbol:         _ZN7rocprim17ROCPRIM_400000_NS6detail17trampoline_kernelINS0_14default_configENS1_25transform_config_selectorIxLb0EEEZNS1_14transform_implILb0ES3_S5_N6thrust23THRUST_200600_302600_NS6detail15normal_iteratorINS8_10device_ptrIxEEEEPxNS0_8identityIxEEEE10hipError_tT2_T3_mT4_P12ihipStream_tbEUlT_E_NS1_11comp_targetILNS1_3genE8ELNS1_11target_archE1030ELNS1_3gpuE2ELNS1_3repE0EEENS1_30default_config_static_selectorELNS0_4arch9wavefront6targetE1EEEvT1_.kd
    .uniform_work_group_size: 1
    .uses_dynamic_stack: false
    .vgpr_count:     0
    .vgpr_spill_count: 0
    .wavefront_size: 64
  - .agpr_count:     0
    .args:
      - .offset:         0
        .size:           88
        .value_kind:     by_value
    .group_segment_fixed_size: 0
    .kernarg_segment_align: 8
    .kernarg_segment_size: 88
    .language:       OpenCL C
    .language_version:
      - 2
      - 0
    .max_flat_workgroup_size: 512
    .name:           _ZN7rocprim17ROCPRIM_400000_NS6detail17trampoline_kernelINS0_14default_configENS1_35radix_sort_onesweep_config_selectorIxxEEZZNS1_29radix_sort_onesweep_iterationIS3_Lb0EN6thrust23THRUST_200600_302600_NS6detail15normal_iteratorINS8_10device_ptrIxEEEESD_SD_SD_jNS0_19identity_decomposerENS1_16block_id_wrapperIjLb1EEEEE10hipError_tT1_PNSt15iterator_traitsISI_E10value_typeET2_T3_PNSJ_ISO_E10value_typeET4_T5_PST_SU_PNS1_23onesweep_lookback_stateEbbT6_jjT7_P12ihipStream_tbENKUlT_T0_SI_SN_E_clISD_SD_SD_SD_EEDaS11_S12_SI_SN_EUlS11_E_NS1_11comp_targetILNS1_3genE0ELNS1_11target_archE4294967295ELNS1_3gpuE0ELNS1_3repE0EEENS1_47radix_sort_onesweep_sort_config_static_selectorELNS0_4arch9wavefront6targetE1EEEvSI_
    .private_segment_fixed_size: 0
    .sgpr_count:     6
    .sgpr_spill_count: 0
    .symbol:         _ZN7rocprim17ROCPRIM_400000_NS6detail17trampoline_kernelINS0_14default_configENS1_35radix_sort_onesweep_config_selectorIxxEEZZNS1_29radix_sort_onesweep_iterationIS3_Lb0EN6thrust23THRUST_200600_302600_NS6detail15normal_iteratorINS8_10device_ptrIxEEEESD_SD_SD_jNS0_19identity_decomposerENS1_16block_id_wrapperIjLb1EEEEE10hipError_tT1_PNSt15iterator_traitsISI_E10value_typeET2_T3_PNSJ_ISO_E10value_typeET4_T5_PST_SU_PNS1_23onesweep_lookback_stateEbbT6_jjT7_P12ihipStream_tbENKUlT_T0_SI_SN_E_clISD_SD_SD_SD_EEDaS11_S12_SI_SN_EUlS11_E_NS1_11comp_targetILNS1_3genE0ELNS1_11target_archE4294967295ELNS1_3gpuE0ELNS1_3repE0EEENS1_47radix_sort_onesweep_sort_config_static_selectorELNS0_4arch9wavefront6targetE1EEEvSI_.kd
    .uniform_work_group_size: 1
    .uses_dynamic_stack: false
    .vgpr_count:     0
    .vgpr_spill_count: 0
    .wavefront_size: 64
  - .agpr_count:     0
    .args:
      - .offset:         0
        .size:           88
        .value_kind:     by_value
      - .offset:         88
        .size:           4
        .value_kind:     hidden_block_count_x
      - .offset:         92
        .size:           4
        .value_kind:     hidden_block_count_y
      - .offset:         96
        .size:           4
        .value_kind:     hidden_block_count_z
      - .offset:         100
        .size:           2
        .value_kind:     hidden_group_size_x
      - .offset:         102
        .size:           2
        .value_kind:     hidden_group_size_y
      - .offset:         104
        .size:           2
        .value_kind:     hidden_group_size_z
      - .offset:         106
        .size:           2
        .value_kind:     hidden_remainder_x
      - .offset:         108
        .size:           2
        .value_kind:     hidden_remainder_y
      - .offset:         110
        .size:           2
        .value_kind:     hidden_remainder_z
      - .offset:         128
        .size:           8
        .value_kind:     hidden_global_offset_x
      - .offset:         136
        .size:           8
        .value_kind:     hidden_global_offset_y
      - .offset:         144
        .size:           8
        .value_kind:     hidden_global_offset_z
      - .offset:         152
        .size:           2
        .value_kind:     hidden_grid_dims
    .group_segment_fixed_size: 53328
    .kernarg_segment_align: 8
    .kernarg_segment_size: 344
    .language:       OpenCL C
    .language_version:
      - 2
      - 0
    .max_flat_workgroup_size: 1024
    .name:           _ZN7rocprim17ROCPRIM_400000_NS6detail17trampoline_kernelINS0_14default_configENS1_35radix_sort_onesweep_config_selectorIxxEEZZNS1_29radix_sort_onesweep_iterationIS3_Lb0EN6thrust23THRUST_200600_302600_NS6detail15normal_iteratorINS8_10device_ptrIxEEEESD_SD_SD_jNS0_19identity_decomposerENS1_16block_id_wrapperIjLb1EEEEE10hipError_tT1_PNSt15iterator_traitsISI_E10value_typeET2_T3_PNSJ_ISO_E10value_typeET4_T5_PST_SU_PNS1_23onesweep_lookback_stateEbbT6_jjT7_P12ihipStream_tbENKUlT_T0_SI_SN_E_clISD_SD_SD_SD_EEDaS11_S12_SI_SN_EUlS11_E_NS1_11comp_targetILNS1_3genE6ELNS1_11target_archE950ELNS1_3gpuE13ELNS1_3repE0EEENS1_47radix_sort_onesweep_sort_config_static_selectorELNS0_4arch9wavefront6targetE1EEEvSI_
    .private_segment_fixed_size: 48
    .sgpr_count:     67
    .sgpr_spill_count: 0
    .symbol:         _ZN7rocprim17ROCPRIM_400000_NS6detail17trampoline_kernelINS0_14default_configENS1_35radix_sort_onesweep_config_selectorIxxEEZZNS1_29radix_sort_onesweep_iterationIS3_Lb0EN6thrust23THRUST_200600_302600_NS6detail15normal_iteratorINS8_10device_ptrIxEEEESD_SD_SD_jNS0_19identity_decomposerENS1_16block_id_wrapperIjLb1EEEEE10hipError_tT1_PNSt15iterator_traitsISI_E10value_typeET2_T3_PNSJ_ISO_E10value_typeET4_T5_PST_SU_PNS1_23onesweep_lookback_stateEbbT6_jjT7_P12ihipStream_tbENKUlT_T0_SI_SN_E_clISD_SD_SD_SD_EEDaS11_S12_SI_SN_EUlS11_E_NS1_11comp_targetILNS1_3genE6ELNS1_11target_archE950ELNS1_3gpuE13ELNS1_3repE0EEENS1_47radix_sort_onesweep_sort_config_static_selectorELNS0_4arch9wavefront6targetE1EEEvSI_.kd
    .uniform_work_group_size: 1
    .uses_dynamic_stack: false
    .vgpr_count:     58
    .vgpr_spill_count: 0
    .wavefront_size: 64
  - .agpr_count:     0
    .args:
      - .offset:         0
        .size:           88
        .value_kind:     by_value
    .group_segment_fixed_size: 0
    .kernarg_segment_align: 8
    .kernarg_segment_size: 88
    .language:       OpenCL C
    .language_version:
      - 2
      - 0
    .max_flat_workgroup_size: 1024
    .name:           _ZN7rocprim17ROCPRIM_400000_NS6detail17trampoline_kernelINS0_14default_configENS1_35radix_sort_onesweep_config_selectorIxxEEZZNS1_29radix_sort_onesweep_iterationIS3_Lb0EN6thrust23THRUST_200600_302600_NS6detail15normal_iteratorINS8_10device_ptrIxEEEESD_SD_SD_jNS0_19identity_decomposerENS1_16block_id_wrapperIjLb1EEEEE10hipError_tT1_PNSt15iterator_traitsISI_E10value_typeET2_T3_PNSJ_ISO_E10value_typeET4_T5_PST_SU_PNS1_23onesweep_lookback_stateEbbT6_jjT7_P12ihipStream_tbENKUlT_T0_SI_SN_E_clISD_SD_SD_SD_EEDaS11_S12_SI_SN_EUlS11_E_NS1_11comp_targetILNS1_3genE5ELNS1_11target_archE942ELNS1_3gpuE9ELNS1_3repE0EEENS1_47radix_sort_onesweep_sort_config_static_selectorELNS0_4arch9wavefront6targetE1EEEvSI_
    .private_segment_fixed_size: 0
    .sgpr_count:     6
    .sgpr_spill_count: 0
    .symbol:         _ZN7rocprim17ROCPRIM_400000_NS6detail17trampoline_kernelINS0_14default_configENS1_35radix_sort_onesweep_config_selectorIxxEEZZNS1_29radix_sort_onesweep_iterationIS3_Lb0EN6thrust23THRUST_200600_302600_NS6detail15normal_iteratorINS8_10device_ptrIxEEEESD_SD_SD_jNS0_19identity_decomposerENS1_16block_id_wrapperIjLb1EEEEE10hipError_tT1_PNSt15iterator_traitsISI_E10value_typeET2_T3_PNSJ_ISO_E10value_typeET4_T5_PST_SU_PNS1_23onesweep_lookback_stateEbbT6_jjT7_P12ihipStream_tbENKUlT_T0_SI_SN_E_clISD_SD_SD_SD_EEDaS11_S12_SI_SN_EUlS11_E_NS1_11comp_targetILNS1_3genE5ELNS1_11target_archE942ELNS1_3gpuE9ELNS1_3repE0EEENS1_47radix_sort_onesweep_sort_config_static_selectorELNS0_4arch9wavefront6targetE1EEEvSI_.kd
    .uniform_work_group_size: 1
    .uses_dynamic_stack: false
    .vgpr_count:     0
    .vgpr_spill_count: 0
    .wavefront_size: 64
  - .agpr_count:     0
    .args:
      - .offset:         0
        .size:           88
        .value_kind:     by_value
    .group_segment_fixed_size: 0
    .kernarg_segment_align: 8
    .kernarg_segment_size: 88
    .language:       OpenCL C
    .language_version:
      - 2
      - 0
    .max_flat_workgroup_size: 512
    .name:           _ZN7rocprim17ROCPRIM_400000_NS6detail17trampoline_kernelINS0_14default_configENS1_35radix_sort_onesweep_config_selectorIxxEEZZNS1_29radix_sort_onesweep_iterationIS3_Lb0EN6thrust23THRUST_200600_302600_NS6detail15normal_iteratorINS8_10device_ptrIxEEEESD_SD_SD_jNS0_19identity_decomposerENS1_16block_id_wrapperIjLb1EEEEE10hipError_tT1_PNSt15iterator_traitsISI_E10value_typeET2_T3_PNSJ_ISO_E10value_typeET4_T5_PST_SU_PNS1_23onesweep_lookback_stateEbbT6_jjT7_P12ihipStream_tbENKUlT_T0_SI_SN_E_clISD_SD_SD_SD_EEDaS11_S12_SI_SN_EUlS11_E_NS1_11comp_targetILNS1_3genE2ELNS1_11target_archE906ELNS1_3gpuE6ELNS1_3repE0EEENS1_47radix_sort_onesweep_sort_config_static_selectorELNS0_4arch9wavefront6targetE1EEEvSI_
    .private_segment_fixed_size: 0
    .sgpr_count:     6
    .sgpr_spill_count: 0
    .symbol:         _ZN7rocprim17ROCPRIM_400000_NS6detail17trampoline_kernelINS0_14default_configENS1_35radix_sort_onesweep_config_selectorIxxEEZZNS1_29radix_sort_onesweep_iterationIS3_Lb0EN6thrust23THRUST_200600_302600_NS6detail15normal_iteratorINS8_10device_ptrIxEEEESD_SD_SD_jNS0_19identity_decomposerENS1_16block_id_wrapperIjLb1EEEEE10hipError_tT1_PNSt15iterator_traitsISI_E10value_typeET2_T3_PNSJ_ISO_E10value_typeET4_T5_PST_SU_PNS1_23onesweep_lookback_stateEbbT6_jjT7_P12ihipStream_tbENKUlT_T0_SI_SN_E_clISD_SD_SD_SD_EEDaS11_S12_SI_SN_EUlS11_E_NS1_11comp_targetILNS1_3genE2ELNS1_11target_archE906ELNS1_3gpuE6ELNS1_3repE0EEENS1_47radix_sort_onesweep_sort_config_static_selectorELNS0_4arch9wavefront6targetE1EEEvSI_.kd
    .uniform_work_group_size: 1
    .uses_dynamic_stack: false
    .vgpr_count:     0
    .vgpr_spill_count: 0
    .wavefront_size: 64
  - .agpr_count:     0
    .args:
      - .offset:         0
        .size:           88
        .value_kind:     by_value
    .group_segment_fixed_size: 0
    .kernarg_segment_align: 8
    .kernarg_segment_size: 88
    .language:       OpenCL C
    .language_version:
      - 2
      - 0
    .max_flat_workgroup_size: 1024
    .name:           _ZN7rocprim17ROCPRIM_400000_NS6detail17trampoline_kernelINS0_14default_configENS1_35radix_sort_onesweep_config_selectorIxxEEZZNS1_29radix_sort_onesweep_iterationIS3_Lb0EN6thrust23THRUST_200600_302600_NS6detail15normal_iteratorINS8_10device_ptrIxEEEESD_SD_SD_jNS0_19identity_decomposerENS1_16block_id_wrapperIjLb1EEEEE10hipError_tT1_PNSt15iterator_traitsISI_E10value_typeET2_T3_PNSJ_ISO_E10value_typeET4_T5_PST_SU_PNS1_23onesweep_lookback_stateEbbT6_jjT7_P12ihipStream_tbENKUlT_T0_SI_SN_E_clISD_SD_SD_SD_EEDaS11_S12_SI_SN_EUlS11_E_NS1_11comp_targetILNS1_3genE4ELNS1_11target_archE910ELNS1_3gpuE8ELNS1_3repE0EEENS1_47radix_sort_onesweep_sort_config_static_selectorELNS0_4arch9wavefront6targetE1EEEvSI_
    .private_segment_fixed_size: 0
    .sgpr_count:     6
    .sgpr_spill_count: 0
    .symbol:         _ZN7rocprim17ROCPRIM_400000_NS6detail17trampoline_kernelINS0_14default_configENS1_35radix_sort_onesweep_config_selectorIxxEEZZNS1_29radix_sort_onesweep_iterationIS3_Lb0EN6thrust23THRUST_200600_302600_NS6detail15normal_iteratorINS8_10device_ptrIxEEEESD_SD_SD_jNS0_19identity_decomposerENS1_16block_id_wrapperIjLb1EEEEE10hipError_tT1_PNSt15iterator_traitsISI_E10value_typeET2_T3_PNSJ_ISO_E10value_typeET4_T5_PST_SU_PNS1_23onesweep_lookback_stateEbbT6_jjT7_P12ihipStream_tbENKUlT_T0_SI_SN_E_clISD_SD_SD_SD_EEDaS11_S12_SI_SN_EUlS11_E_NS1_11comp_targetILNS1_3genE4ELNS1_11target_archE910ELNS1_3gpuE8ELNS1_3repE0EEENS1_47radix_sort_onesweep_sort_config_static_selectorELNS0_4arch9wavefront6targetE1EEEvSI_.kd
    .uniform_work_group_size: 1
    .uses_dynamic_stack: false
    .vgpr_count:     0
    .vgpr_spill_count: 0
    .wavefront_size: 64
  - .agpr_count:     0
    .args:
      - .offset:         0
        .size:           88
        .value_kind:     by_value
    .group_segment_fixed_size: 0
    .kernarg_segment_align: 8
    .kernarg_segment_size: 88
    .language:       OpenCL C
    .language_version:
      - 2
      - 0
    .max_flat_workgroup_size: 512
    .name:           _ZN7rocprim17ROCPRIM_400000_NS6detail17trampoline_kernelINS0_14default_configENS1_35radix_sort_onesweep_config_selectorIxxEEZZNS1_29radix_sort_onesweep_iterationIS3_Lb0EN6thrust23THRUST_200600_302600_NS6detail15normal_iteratorINS8_10device_ptrIxEEEESD_SD_SD_jNS0_19identity_decomposerENS1_16block_id_wrapperIjLb1EEEEE10hipError_tT1_PNSt15iterator_traitsISI_E10value_typeET2_T3_PNSJ_ISO_E10value_typeET4_T5_PST_SU_PNS1_23onesweep_lookback_stateEbbT6_jjT7_P12ihipStream_tbENKUlT_T0_SI_SN_E_clISD_SD_SD_SD_EEDaS11_S12_SI_SN_EUlS11_E_NS1_11comp_targetILNS1_3genE3ELNS1_11target_archE908ELNS1_3gpuE7ELNS1_3repE0EEENS1_47radix_sort_onesweep_sort_config_static_selectorELNS0_4arch9wavefront6targetE1EEEvSI_
    .private_segment_fixed_size: 0
    .sgpr_count:     6
    .sgpr_spill_count: 0
    .symbol:         _ZN7rocprim17ROCPRIM_400000_NS6detail17trampoline_kernelINS0_14default_configENS1_35radix_sort_onesweep_config_selectorIxxEEZZNS1_29radix_sort_onesweep_iterationIS3_Lb0EN6thrust23THRUST_200600_302600_NS6detail15normal_iteratorINS8_10device_ptrIxEEEESD_SD_SD_jNS0_19identity_decomposerENS1_16block_id_wrapperIjLb1EEEEE10hipError_tT1_PNSt15iterator_traitsISI_E10value_typeET2_T3_PNSJ_ISO_E10value_typeET4_T5_PST_SU_PNS1_23onesweep_lookback_stateEbbT6_jjT7_P12ihipStream_tbENKUlT_T0_SI_SN_E_clISD_SD_SD_SD_EEDaS11_S12_SI_SN_EUlS11_E_NS1_11comp_targetILNS1_3genE3ELNS1_11target_archE908ELNS1_3gpuE7ELNS1_3repE0EEENS1_47radix_sort_onesweep_sort_config_static_selectorELNS0_4arch9wavefront6targetE1EEEvSI_.kd
    .uniform_work_group_size: 1
    .uses_dynamic_stack: false
    .vgpr_count:     0
    .vgpr_spill_count: 0
    .wavefront_size: 64
  - .agpr_count:     0
    .args:
      - .offset:         0
        .size:           88
        .value_kind:     by_value
    .group_segment_fixed_size: 0
    .kernarg_segment_align: 8
    .kernarg_segment_size: 88
    .language:       OpenCL C
    .language_version:
      - 2
      - 0
    .max_flat_workgroup_size: 1024
    .name:           _ZN7rocprim17ROCPRIM_400000_NS6detail17trampoline_kernelINS0_14default_configENS1_35radix_sort_onesweep_config_selectorIxxEEZZNS1_29radix_sort_onesweep_iterationIS3_Lb0EN6thrust23THRUST_200600_302600_NS6detail15normal_iteratorINS8_10device_ptrIxEEEESD_SD_SD_jNS0_19identity_decomposerENS1_16block_id_wrapperIjLb1EEEEE10hipError_tT1_PNSt15iterator_traitsISI_E10value_typeET2_T3_PNSJ_ISO_E10value_typeET4_T5_PST_SU_PNS1_23onesweep_lookback_stateEbbT6_jjT7_P12ihipStream_tbENKUlT_T0_SI_SN_E_clISD_SD_SD_SD_EEDaS11_S12_SI_SN_EUlS11_E_NS1_11comp_targetILNS1_3genE10ELNS1_11target_archE1201ELNS1_3gpuE5ELNS1_3repE0EEENS1_47radix_sort_onesweep_sort_config_static_selectorELNS0_4arch9wavefront6targetE1EEEvSI_
    .private_segment_fixed_size: 0
    .sgpr_count:     6
    .sgpr_spill_count: 0
    .symbol:         _ZN7rocprim17ROCPRIM_400000_NS6detail17trampoline_kernelINS0_14default_configENS1_35radix_sort_onesweep_config_selectorIxxEEZZNS1_29radix_sort_onesweep_iterationIS3_Lb0EN6thrust23THRUST_200600_302600_NS6detail15normal_iteratorINS8_10device_ptrIxEEEESD_SD_SD_jNS0_19identity_decomposerENS1_16block_id_wrapperIjLb1EEEEE10hipError_tT1_PNSt15iterator_traitsISI_E10value_typeET2_T3_PNSJ_ISO_E10value_typeET4_T5_PST_SU_PNS1_23onesweep_lookback_stateEbbT6_jjT7_P12ihipStream_tbENKUlT_T0_SI_SN_E_clISD_SD_SD_SD_EEDaS11_S12_SI_SN_EUlS11_E_NS1_11comp_targetILNS1_3genE10ELNS1_11target_archE1201ELNS1_3gpuE5ELNS1_3repE0EEENS1_47radix_sort_onesweep_sort_config_static_selectorELNS0_4arch9wavefront6targetE1EEEvSI_.kd
    .uniform_work_group_size: 1
    .uses_dynamic_stack: false
    .vgpr_count:     0
    .vgpr_spill_count: 0
    .wavefront_size: 64
  - .agpr_count:     0
    .args:
      - .offset:         0
        .size:           88
        .value_kind:     by_value
    .group_segment_fixed_size: 0
    .kernarg_segment_align: 8
    .kernarg_segment_size: 88
    .language:       OpenCL C
    .language_version:
      - 2
      - 0
    .max_flat_workgroup_size: 1024
    .name:           _ZN7rocprim17ROCPRIM_400000_NS6detail17trampoline_kernelINS0_14default_configENS1_35radix_sort_onesweep_config_selectorIxxEEZZNS1_29radix_sort_onesweep_iterationIS3_Lb0EN6thrust23THRUST_200600_302600_NS6detail15normal_iteratorINS8_10device_ptrIxEEEESD_SD_SD_jNS0_19identity_decomposerENS1_16block_id_wrapperIjLb1EEEEE10hipError_tT1_PNSt15iterator_traitsISI_E10value_typeET2_T3_PNSJ_ISO_E10value_typeET4_T5_PST_SU_PNS1_23onesweep_lookback_stateEbbT6_jjT7_P12ihipStream_tbENKUlT_T0_SI_SN_E_clISD_SD_SD_SD_EEDaS11_S12_SI_SN_EUlS11_E_NS1_11comp_targetILNS1_3genE9ELNS1_11target_archE1100ELNS1_3gpuE3ELNS1_3repE0EEENS1_47radix_sort_onesweep_sort_config_static_selectorELNS0_4arch9wavefront6targetE1EEEvSI_
    .private_segment_fixed_size: 0
    .sgpr_count:     6
    .sgpr_spill_count: 0
    .symbol:         _ZN7rocprim17ROCPRIM_400000_NS6detail17trampoline_kernelINS0_14default_configENS1_35radix_sort_onesweep_config_selectorIxxEEZZNS1_29radix_sort_onesweep_iterationIS3_Lb0EN6thrust23THRUST_200600_302600_NS6detail15normal_iteratorINS8_10device_ptrIxEEEESD_SD_SD_jNS0_19identity_decomposerENS1_16block_id_wrapperIjLb1EEEEE10hipError_tT1_PNSt15iterator_traitsISI_E10value_typeET2_T3_PNSJ_ISO_E10value_typeET4_T5_PST_SU_PNS1_23onesweep_lookback_stateEbbT6_jjT7_P12ihipStream_tbENKUlT_T0_SI_SN_E_clISD_SD_SD_SD_EEDaS11_S12_SI_SN_EUlS11_E_NS1_11comp_targetILNS1_3genE9ELNS1_11target_archE1100ELNS1_3gpuE3ELNS1_3repE0EEENS1_47radix_sort_onesweep_sort_config_static_selectorELNS0_4arch9wavefront6targetE1EEEvSI_.kd
    .uniform_work_group_size: 1
    .uses_dynamic_stack: false
    .vgpr_count:     0
    .vgpr_spill_count: 0
    .wavefront_size: 64
  - .agpr_count:     0
    .args:
      - .offset:         0
        .size:           88
        .value_kind:     by_value
    .group_segment_fixed_size: 0
    .kernarg_segment_align: 8
    .kernarg_segment_size: 88
    .language:       OpenCL C
    .language_version:
      - 2
      - 0
    .max_flat_workgroup_size: 1024
    .name:           _ZN7rocprim17ROCPRIM_400000_NS6detail17trampoline_kernelINS0_14default_configENS1_35radix_sort_onesweep_config_selectorIxxEEZZNS1_29radix_sort_onesweep_iterationIS3_Lb0EN6thrust23THRUST_200600_302600_NS6detail15normal_iteratorINS8_10device_ptrIxEEEESD_SD_SD_jNS0_19identity_decomposerENS1_16block_id_wrapperIjLb1EEEEE10hipError_tT1_PNSt15iterator_traitsISI_E10value_typeET2_T3_PNSJ_ISO_E10value_typeET4_T5_PST_SU_PNS1_23onesweep_lookback_stateEbbT6_jjT7_P12ihipStream_tbENKUlT_T0_SI_SN_E_clISD_SD_SD_SD_EEDaS11_S12_SI_SN_EUlS11_E_NS1_11comp_targetILNS1_3genE8ELNS1_11target_archE1030ELNS1_3gpuE2ELNS1_3repE0EEENS1_47radix_sort_onesweep_sort_config_static_selectorELNS0_4arch9wavefront6targetE1EEEvSI_
    .private_segment_fixed_size: 0
    .sgpr_count:     6
    .sgpr_spill_count: 0
    .symbol:         _ZN7rocprim17ROCPRIM_400000_NS6detail17trampoline_kernelINS0_14default_configENS1_35radix_sort_onesweep_config_selectorIxxEEZZNS1_29radix_sort_onesweep_iterationIS3_Lb0EN6thrust23THRUST_200600_302600_NS6detail15normal_iteratorINS8_10device_ptrIxEEEESD_SD_SD_jNS0_19identity_decomposerENS1_16block_id_wrapperIjLb1EEEEE10hipError_tT1_PNSt15iterator_traitsISI_E10value_typeET2_T3_PNSJ_ISO_E10value_typeET4_T5_PST_SU_PNS1_23onesweep_lookback_stateEbbT6_jjT7_P12ihipStream_tbENKUlT_T0_SI_SN_E_clISD_SD_SD_SD_EEDaS11_S12_SI_SN_EUlS11_E_NS1_11comp_targetILNS1_3genE8ELNS1_11target_archE1030ELNS1_3gpuE2ELNS1_3repE0EEENS1_47radix_sort_onesweep_sort_config_static_selectorELNS0_4arch9wavefront6targetE1EEEvSI_.kd
    .uniform_work_group_size: 1
    .uses_dynamic_stack: false
    .vgpr_count:     0
    .vgpr_spill_count: 0
    .wavefront_size: 64
  - .agpr_count:     0
    .args:
      - .offset:         0
        .size:           88
        .value_kind:     by_value
    .group_segment_fixed_size: 0
    .kernarg_segment_align: 8
    .kernarg_segment_size: 88
    .language:       OpenCL C
    .language_version:
      - 2
      - 0
    .max_flat_workgroup_size: 512
    .name:           _ZN7rocprim17ROCPRIM_400000_NS6detail17trampoline_kernelINS0_14default_configENS1_35radix_sort_onesweep_config_selectorIxxEEZZNS1_29radix_sort_onesweep_iterationIS3_Lb0EN6thrust23THRUST_200600_302600_NS6detail15normal_iteratorINS8_10device_ptrIxEEEESD_SD_SD_jNS0_19identity_decomposerENS1_16block_id_wrapperIjLb1EEEEE10hipError_tT1_PNSt15iterator_traitsISI_E10value_typeET2_T3_PNSJ_ISO_E10value_typeET4_T5_PST_SU_PNS1_23onesweep_lookback_stateEbbT6_jjT7_P12ihipStream_tbENKUlT_T0_SI_SN_E_clISD_PxSD_S15_EEDaS11_S12_SI_SN_EUlS11_E_NS1_11comp_targetILNS1_3genE0ELNS1_11target_archE4294967295ELNS1_3gpuE0ELNS1_3repE0EEENS1_47radix_sort_onesweep_sort_config_static_selectorELNS0_4arch9wavefront6targetE1EEEvSI_
    .private_segment_fixed_size: 0
    .sgpr_count:     6
    .sgpr_spill_count: 0
    .symbol:         _ZN7rocprim17ROCPRIM_400000_NS6detail17trampoline_kernelINS0_14default_configENS1_35radix_sort_onesweep_config_selectorIxxEEZZNS1_29radix_sort_onesweep_iterationIS3_Lb0EN6thrust23THRUST_200600_302600_NS6detail15normal_iteratorINS8_10device_ptrIxEEEESD_SD_SD_jNS0_19identity_decomposerENS1_16block_id_wrapperIjLb1EEEEE10hipError_tT1_PNSt15iterator_traitsISI_E10value_typeET2_T3_PNSJ_ISO_E10value_typeET4_T5_PST_SU_PNS1_23onesweep_lookback_stateEbbT6_jjT7_P12ihipStream_tbENKUlT_T0_SI_SN_E_clISD_PxSD_S15_EEDaS11_S12_SI_SN_EUlS11_E_NS1_11comp_targetILNS1_3genE0ELNS1_11target_archE4294967295ELNS1_3gpuE0ELNS1_3repE0EEENS1_47radix_sort_onesweep_sort_config_static_selectorELNS0_4arch9wavefront6targetE1EEEvSI_.kd
    .uniform_work_group_size: 1
    .uses_dynamic_stack: false
    .vgpr_count:     0
    .vgpr_spill_count: 0
    .wavefront_size: 64
  - .agpr_count:     0
    .args:
      - .offset:         0
        .size:           88
        .value_kind:     by_value
      - .offset:         88
        .size:           4
        .value_kind:     hidden_block_count_x
      - .offset:         92
        .size:           4
        .value_kind:     hidden_block_count_y
      - .offset:         96
        .size:           4
        .value_kind:     hidden_block_count_z
      - .offset:         100
        .size:           2
        .value_kind:     hidden_group_size_x
      - .offset:         102
        .size:           2
        .value_kind:     hidden_group_size_y
      - .offset:         104
        .size:           2
        .value_kind:     hidden_group_size_z
      - .offset:         106
        .size:           2
        .value_kind:     hidden_remainder_x
      - .offset:         108
        .size:           2
        .value_kind:     hidden_remainder_y
      - .offset:         110
        .size:           2
        .value_kind:     hidden_remainder_z
      - .offset:         128
        .size:           8
        .value_kind:     hidden_global_offset_x
      - .offset:         136
        .size:           8
        .value_kind:     hidden_global_offset_y
      - .offset:         144
        .size:           8
        .value_kind:     hidden_global_offset_z
      - .offset:         152
        .size:           2
        .value_kind:     hidden_grid_dims
    .group_segment_fixed_size: 53328
    .kernarg_segment_align: 8
    .kernarg_segment_size: 344
    .language:       OpenCL C
    .language_version:
      - 2
      - 0
    .max_flat_workgroup_size: 1024
    .name:           _ZN7rocprim17ROCPRIM_400000_NS6detail17trampoline_kernelINS0_14default_configENS1_35radix_sort_onesweep_config_selectorIxxEEZZNS1_29radix_sort_onesweep_iterationIS3_Lb0EN6thrust23THRUST_200600_302600_NS6detail15normal_iteratorINS8_10device_ptrIxEEEESD_SD_SD_jNS0_19identity_decomposerENS1_16block_id_wrapperIjLb1EEEEE10hipError_tT1_PNSt15iterator_traitsISI_E10value_typeET2_T3_PNSJ_ISO_E10value_typeET4_T5_PST_SU_PNS1_23onesweep_lookback_stateEbbT6_jjT7_P12ihipStream_tbENKUlT_T0_SI_SN_E_clISD_PxSD_S15_EEDaS11_S12_SI_SN_EUlS11_E_NS1_11comp_targetILNS1_3genE6ELNS1_11target_archE950ELNS1_3gpuE13ELNS1_3repE0EEENS1_47radix_sort_onesweep_sort_config_static_selectorELNS0_4arch9wavefront6targetE1EEEvSI_
    .private_segment_fixed_size: 48
    .sgpr_count:     67
    .sgpr_spill_count: 0
    .symbol:         _ZN7rocprim17ROCPRIM_400000_NS6detail17trampoline_kernelINS0_14default_configENS1_35radix_sort_onesweep_config_selectorIxxEEZZNS1_29radix_sort_onesweep_iterationIS3_Lb0EN6thrust23THRUST_200600_302600_NS6detail15normal_iteratorINS8_10device_ptrIxEEEESD_SD_SD_jNS0_19identity_decomposerENS1_16block_id_wrapperIjLb1EEEEE10hipError_tT1_PNSt15iterator_traitsISI_E10value_typeET2_T3_PNSJ_ISO_E10value_typeET4_T5_PST_SU_PNS1_23onesweep_lookback_stateEbbT6_jjT7_P12ihipStream_tbENKUlT_T0_SI_SN_E_clISD_PxSD_S15_EEDaS11_S12_SI_SN_EUlS11_E_NS1_11comp_targetILNS1_3genE6ELNS1_11target_archE950ELNS1_3gpuE13ELNS1_3repE0EEENS1_47radix_sort_onesweep_sort_config_static_selectorELNS0_4arch9wavefront6targetE1EEEvSI_.kd
    .uniform_work_group_size: 1
    .uses_dynamic_stack: false
    .vgpr_count:     58
    .vgpr_spill_count: 0
    .wavefront_size: 64
  - .agpr_count:     0
    .args:
      - .offset:         0
        .size:           88
        .value_kind:     by_value
    .group_segment_fixed_size: 0
    .kernarg_segment_align: 8
    .kernarg_segment_size: 88
    .language:       OpenCL C
    .language_version:
      - 2
      - 0
    .max_flat_workgroup_size: 1024
    .name:           _ZN7rocprim17ROCPRIM_400000_NS6detail17trampoline_kernelINS0_14default_configENS1_35radix_sort_onesweep_config_selectorIxxEEZZNS1_29radix_sort_onesweep_iterationIS3_Lb0EN6thrust23THRUST_200600_302600_NS6detail15normal_iteratorINS8_10device_ptrIxEEEESD_SD_SD_jNS0_19identity_decomposerENS1_16block_id_wrapperIjLb1EEEEE10hipError_tT1_PNSt15iterator_traitsISI_E10value_typeET2_T3_PNSJ_ISO_E10value_typeET4_T5_PST_SU_PNS1_23onesweep_lookback_stateEbbT6_jjT7_P12ihipStream_tbENKUlT_T0_SI_SN_E_clISD_PxSD_S15_EEDaS11_S12_SI_SN_EUlS11_E_NS1_11comp_targetILNS1_3genE5ELNS1_11target_archE942ELNS1_3gpuE9ELNS1_3repE0EEENS1_47radix_sort_onesweep_sort_config_static_selectorELNS0_4arch9wavefront6targetE1EEEvSI_
    .private_segment_fixed_size: 0
    .sgpr_count:     6
    .sgpr_spill_count: 0
    .symbol:         _ZN7rocprim17ROCPRIM_400000_NS6detail17trampoline_kernelINS0_14default_configENS1_35radix_sort_onesweep_config_selectorIxxEEZZNS1_29radix_sort_onesweep_iterationIS3_Lb0EN6thrust23THRUST_200600_302600_NS6detail15normal_iteratorINS8_10device_ptrIxEEEESD_SD_SD_jNS0_19identity_decomposerENS1_16block_id_wrapperIjLb1EEEEE10hipError_tT1_PNSt15iterator_traitsISI_E10value_typeET2_T3_PNSJ_ISO_E10value_typeET4_T5_PST_SU_PNS1_23onesweep_lookback_stateEbbT6_jjT7_P12ihipStream_tbENKUlT_T0_SI_SN_E_clISD_PxSD_S15_EEDaS11_S12_SI_SN_EUlS11_E_NS1_11comp_targetILNS1_3genE5ELNS1_11target_archE942ELNS1_3gpuE9ELNS1_3repE0EEENS1_47radix_sort_onesweep_sort_config_static_selectorELNS0_4arch9wavefront6targetE1EEEvSI_.kd
    .uniform_work_group_size: 1
    .uses_dynamic_stack: false
    .vgpr_count:     0
    .vgpr_spill_count: 0
    .wavefront_size: 64
  - .agpr_count:     0
    .args:
      - .offset:         0
        .size:           88
        .value_kind:     by_value
    .group_segment_fixed_size: 0
    .kernarg_segment_align: 8
    .kernarg_segment_size: 88
    .language:       OpenCL C
    .language_version:
      - 2
      - 0
    .max_flat_workgroup_size: 512
    .name:           _ZN7rocprim17ROCPRIM_400000_NS6detail17trampoline_kernelINS0_14default_configENS1_35radix_sort_onesweep_config_selectorIxxEEZZNS1_29radix_sort_onesweep_iterationIS3_Lb0EN6thrust23THRUST_200600_302600_NS6detail15normal_iteratorINS8_10device_ptrIxEEEESD_SD_SD_jNS0_19identity_decomposerENS1_16block_id_wrapperIjLb1EEEEE10hipError_tT1_PNSt15iterator_traitsISI_E10value_typeET2_T3_PNSJ_ISO_E10value_typeET4_T5_PST_SU_PNS1_23onesweep_lookback_stateEbbT6_jjT7_P12ihipStream_tbENKUlT_T0_SI_SN_E_clISD_PxSD_S15_EEDaS11_S12_SI_SN_EUlS11_E_NS1_11comp_targetILNS1_3genE2ELNS1_11target_archE906ELNS1_3gpuE6ELNS1_3repE0EEENS1_47radix_sort_onesweep_sort_config_static_selectorELNS0_4arch9wavefront6targetE1EEEvSI_
    .private_segment_fixed_size: 0
    .sgpr_count:     6
    .sgpr_spill_count: 0
    .symbol:         _ZN7rocprim17ROCPRIM_400000_NS6detail17trampoline_kernelINS0_14default_configENS1_35radix_sort_onesweep_config_selectorIxxEEZZNS1_29radix_sort_onesweep_iterationIS3_Lb0EN6thrust23THRUST_200600_302600_NS6detail15normal_iteratorINS8_10device_ptrIxEEEESD_SD_SD_jNS0_19identity_decomposerENS1_16block_id_wrapperIjLb1EEEEE10hipError_tT1_PNSt15iterator_traitsISI_E10value_typeET2_T3_PNSJ_ISO_E10value_typeET4_T5_PST_SU_PNS1_23onesweep_lookback_stateEbbT6_jjT7_P12ihipStream_tbENKUlT_T0_SI_SN_E_clISD_PxSD_S15_EEDaS11_S12_SI_SN_EUlS11_E_NS1_11comp_targetILNS1_3genE2ELNS1_11target_archE906ELNS1_3gpuE6ELNS1_3repE0EEENS1_47radix_sort_onesweep_sort_config_static_selectorELNS0_4arch9wavefront6targetE1EEEvSI_.kd
    .uniform_work_group_size: 1
    .uses_dynamic_stack: false
    .vgpr_count:     0
    .vgpr_spill_count: 0
    .wavefront_size: 64
  - .agpr_count:     0
    .args:
      - .offset:         0
        .size:           88
        .value_kind:     by_value
    .group_segment_fixed_size: 0
    .kernarg_segment_align: 8
    .kernarg_segment_size: 88
    .language:       OpenCL C
    .language_version:
      - 2
      - 0
    .max_flat_workgroup_size: 1024
    .name:           _ZN7rocprim17ROCPRIM_400000_NS6detail17trampoline_kernelINS0_14default_configENS1_35radix_sort_onesweep_config_selectorIxxEEZZNS1_29radix_sort_onesweep_iterationIS3_Lb0EN6thrust23THRUST_200600_302600_NS6detail15normal_iteratorINS8_10device_ptrIxEEEESD_SD_SD_jNS0_19identity_decomposerENS1_16block_id_wrapperIjLb1EEEEE10hipError_tT1_PNSt15iterator_traitsISI_E10value_typeET2_T3_PNSJ_ISO_E10value_typeET4_T5_PST_SU_PNS1_23onesweep_lookback_stateEbbT6_jjT7_P12ihipStream_tbENKUlT_T0_SI_SN_E_clISD_PxSD_S15_EEDaS11_S12_SI_SN_EUlS11_E_NS1_11comp_targetILNS1_3genE4ELNS1_11target_archE910ELNS1_3gpuE8ELNS1_3repE0EEENS1_47radix_sort_onesweep_sort_config_static_selectorELNS0_4arch9wavefront6targetE1EEEvSI_
    .private_segment_fixed_size: 0
    .sgpr_count:     6
    .sgpr_spill_count: 0
    .symbol:         _ZN7rocprim17ROCPRIM_400000_NS6detail17trampoline_kernelINS0_14default_configENS1_35radix_sort_onesweep_config_selectorIxxEEZZNS1_29radix_sort_onesweep_iterationIS3_Lb0EN6thrust23THRUST_200600_302600_NS6detail15normal_iteratorINS8_10device_ptrIxEEEESD_SD_SD_jNS0_19identity_decomposerENS1_16block_id_wrapperIjLb1EEEEE10hipError_tT1_PNSt15iterator_traitsISI_E10value_typeET2_T3_PNSJ_ISO_E10value_typeET4_T5_PST_SU_PNS1_23onesweep_lookback_stateEbbT6_jjT7_P12ihipStream_tbENKUlT_T0_SI_SN_E_clISD_PxSD_S15_EEDaS11_S12_SI_SN_EUlS11_E_NS1_11comp_targetILNS1_3genE4ELNS1_11target_archE910ELNS1_3gpuE8ELNS1_3repE0EEENS1_47radix_sort_onesweep_sort_config_static_selectorELNS0_4arch9wavefront6targetE1EEEvSI_.kd
    .uniform_work_group_size: 1
    .uses_dynamic_stack: false
    .vgpr_count:     0
    .vgpr_spill_count: 0
    .wavefront_size: 64
  - .agpr_count:     0
    .args:
      - .offset:         0
        .size:           88
        .value_kind:     by_value
    .group_segment_fixed_size: 0
    .kernarg_segment_align: 8
    .kernarg_segment_size: 88
    .language:       OpenCL C
    .language_version:
      - 2
      - 0
    .max_flat_workgroup_size: 512
    .name:           _ZN7rocprim17ROCPRIM_400000_NS6detail17trampoline_kernelINS0_14default_configENS1_35radix_sort_onesweep_config_selectorIxxEEZZNS1_29radix_sort_onesweep_iterationIS3_Lb0EN6thrust23THRUST_200600_302600_NS6detail15normal_iteratorINS8_10device_ptrIxEEEESD_SD_SD_jNS0_19identity_decomposerENS1_16block_id_wrapperIjLb1EEEEE10hipError_tT1_PNSt15iterator_traitsISI_E10value_typeET2_T3_PNSJ_ISO_E10value_typeET4_T5_PST_SU_PNS1_23onesweep_lookback_stateEbbT6_jjT7_P12ihipStream_tbENKUlT_T0_SI_SN_E_clISD_PxSD_S15_EEDaS11_S12_SI_SN_EUlS11_E_NS1_11comp_targetILNS1_3genE3ELNS1_11target_archE908ELNS1_3gpuE7ELNS1_3repE0EEENS1_47radix_sort_onesweep_sort_config_static_selectorELNS0_4arch9wavefront6targetE1EEEvSI_
    .private_segment_fixed_size: 0
    .sgpr_count:     6
    .sgpr_spill_count: 0
    .symbol:         _ZN7rocprim17ROCPRIM_400000_NS6detail17trampoline_kernelINS0_14default_configENS1_35radix_sort_onesweep_config_selectorIxxEEZZNS1_29radix_sort_onesweep_iterationIS3_Lb0EN6thrust23THRUST_200600_302600_NS6detail15normal_iteratorINS8_10device_ptrIxEEEESD_SD_SD_jNS0_19identity_decomposerENS1_16block_id_wrapperIjLb1EEEEE10hipError_tT1_PNSt15iterator_traitsISI_E10value_typeET2_T3_PNSJ_ISO_E10value_typeET4_T5_PST_SU_PNS1_23onesweep_lookback_stateEbbT6_jjT7_P12ihipStream_tbENKUlT_T0_SI_SN_E_clISD_PxSD_S15_EEDaS11_S12_SI_SN_EUlS11_E_NS1_11comp_targetILNS1_3genE3ELNS1_11target_archE908ELNS1_3gpuE7ELNS1_3repE0EEENS1_47radix_sort_onesweep_sort_config_static_selectorELNS0_4arch9wavefront6targetE1EEEvSI_.kd
    .uniform_work_group_size: 1
    .uses_dynamic_stack: false
    .vgpr_count:     0
    .vgpr_spill_count: 0
    .wavefront_size: 64
  - .agpr_count:     0
    .args:
      - .offset:         0
        .size:           88
        .value_kind:     by_value
    .group_segment_fixed_size: 0
    .kernarg_segment_align: 8
    .kernarg_segment_size: 88
    .language:       OpenCL C
    .language_version:
      - 2
      - 0
    .max_flat_workgroup_size: 1024
    .name:           _ZN7rocprim17ROCPRIM_400000_NS6detail17trampoline_kernelINS0_14default_configENS1_35radix_sort_onesweep_config_selectorIxxEEZZNS1_29radix_sort_onesweep_iterationIS3_Lb0EN6thrust23THRUST_200600_302600_NS6detail15normal_iteratorINS8_10device_ptrIxEEEESD_SD_SD_jNS0_19identity_decomposerENS1_16block_id_wrapperIjLb1EEEEE10hipError_tT1_PNSt15iterator_traitsISI_E10value_typeET2_T3_PNSJ_ISO_E10value_typeET4_T5_PST_SU_PNS1_23onesweep_lookback_stateEbbT6_jjT7_P12ihipStream_tbENKUlT_T0_SI_SN_E_clISD_PxSD_S15_EEDaS11_S12_SI_SN_EUlS11_E_NS1_11comp_targetILNS1_3genE10ELNS1_11target_archE1201ELNS1_3gpuE5ELNS1_3repE0EEENS1_47radix_sort_onesweep_sort_config_static_selectorELNS0_4arch9wavefront6targetE1EEEvSI_
    .private_segment_fixed_size: 0
    .sgpr_count:     6
    .sgpr_spill_count: 0
    .symbol:         _ZN7rocprim17ROCPRIM_400000_NS6detail17trampoline_kernelINS0_14default_configENS1_35radix_sort_onesweep_config_selectorIxxEEZZNS1_29radix_sort_onesweep_iterationIS3_Lb0EN6thrust23THRUST_200600_302600_NS6detail15normal_iteratorINS8_10device_ptrIxEEEESD_SD_SD_jNS0_19identity_decomposerENS1_16block_id_wrapperIjLb1EEEEE10hipError_tT1_PNSt15iterator_traitsISI_E10value_typeET2_T3_PNSJ_ISO_E10value_typeET4_T5_PST_SU_PNS1_23onesweep_lookback_stateEbbT6_jjT7_P12ihipStream_tbENKUlT_T0_SI_SN_E_clISD_PxSD_S15_EEDaS11_S12_SI_SN_EUlS11_E_NS1_11comp_targetILNS1_3genE10ELNS1_11target_archE1201ELNS1_3gpuE5ELNS1_3repE0EEENS1_47radix_sort_onesweep_sort_config_static_selectorELNS0_4arch9wavefront6targetE1EEEvSI_.kd
    .uniform_work_group_size: 1
    .uses_dynamic_stack: false
    .vgpr_count:     0
    .vgpr_spill_count: 0
    .wavefront_size: 64
  - .agpr_count:     0
    .args:
      - .offset:         0
        .size:           88
        .value_kind:     by_value
    .group_segment_fixed_size: 0
    .kernarg_segment_align: 8
    .kernarg_segment_size: 88
    .language:       OpenCL C
    .language_version:
      - 2
      - 0
    .max_flat_workgroup_size: 1024
    .name:           _ZN7rocprim17ROCPRIM_400000_NS6detail17trampoline_kernelINS0_14default_configENS1_35radix_sort_onesweep_config_selectorIxxEEZZNS1_29radix_sort_onesweep_iterationIS3_Lb0EN6thrust23THRUST_200600_302600_NS6detail15normal_iteratorINS8_10device_ptrIxEEEESD_SD_SD_jNS0_19identity_decomposerENS1_16block_id_wrapperIjLb1EEEEE10hipError_tT1_PNSt15iterator_traitsISI_E10value_typeET2_T3_PNSJ_ISO_E10value_typeET4_T5_PST_SU_PNS1_23onesweep_lookback_stateEbbT6_jjT7_P12ihipStream_tbENKUlT_T0_SI_SN_E_clISD_PxSD_S15_EEDaS11_S12_SI_SN_EUlS11_E_NS1_11comp_targetILNS1_3genE9ELNS1_11target_archE1100ELNS1_3gpuE3ELNS1_3repE0EEENS1_47radix_sort_onesweep_sort_config_static_selectorELNS0_4arch9wavefront6targetE1EEEvSI_
    .private_segment_fixed_size: 0
    .sgpr_count:     6
    .sgpr_spill_count: 0
    .symbol:         _ZN7rocprim17ROCPRIM_400000_NS6detail17trampoline_kernelINS0_14default_configENS1_35radix_sort_onesweep_config_selectorIxxEEZZNS1_29radix_sort_onesweep_iterationIS3_Lb0EN6thrust23THRUST_200600_302600_NS6detail15normal_iteratorINS8_10device_ptrIxEEEESD_SD_SD_jNS0_19identity_decomposerENS1_16block_id_wrapperIjLb1EEEEE10hipError_tT1_PNSt15iterator_traitsISI_E10value_typeET2_T3_PNSJ_ISO_E10value_typeET4_T5_PST_SU_PNS1_23onesweep_lookback_stateEbbT6_jjT7_P12ihipStream_tbENKUlT_T0_SI_SN_E_clISD_PxSD_S15_EEDaS11_S12_SI_SN_EUlS11_E_NS1_11comp_targetILNS1_3genE9ELNS1_11target_archE1100ELNS1_3gpuE3ELNS1_3repE0EEENS1_47radix_sort_onesweep_sort_config_static_selectorELNS0_4arch9wavefront6targetE1EEEvSI_.kd
    .uniform_work_group_size: 1
    .uses_dynamic_stack: false
    .vgpr_count:     0
    .vgpr_spill_count: 0
    .wavefront_size: 64
  - .agpr_count:     0
    .args:
      - .offset:         0
        .size:           88
        .value_kind:     by_value
    .group_segment_fixed_size: 0
    .kernarg_segment_align: 8
    .kernarg_segment_size: 88
    .language:       OpenCL C
    .language_version:
      - 2
      - 0
    .max_flat_workgroup_size: 1024
    .name:           _ZN7rocprim17ROCPRIM_400000_NS6detail17trampoline_kernelINS0_14default_configENS1_35radix_sort_onesweep_config_selectorIxxEEZZNS1_29radix_sort_onesweep_iterationIS3_Lb0EN6thrust23THRUST_200600_302600_NS6detail15normal_iteratorINS8_10device_ptrIxEEEESD_SD_SD_jNS0_19identity_decomposerENS1_16block_id_wrapperIjLb1EEEEE10hipError_tT1_PNSt15iterator_traitsISI_E10value_typeET2_T3_PNSJ_ISO_E10value_typeET4_T5_PST_SU_PNS1_23onesweep_lookback_stateEbbT6_jjT7_P12ihipStream_tbENKUlT_T0_SI_SN_E_clISD_PxSD_S15_EEDaS11_S12_SI_SN_EUlS11_E_NS1_11comp_targetILNS1_3genE8ELNS1_11target_archE1030ELNS1_3gpuE2ELNS1_3repE0EEENS1_47radix_sort_onesweep_sort_config_static_selectorELNS0_4arch9wavefront6targetE1EEEvSI_
    .private_segment_fixed_size: 0
    .sgpr_count:     6
    .sgpr_spill_count: 0
    .symbol:         _ZN7rocprim17ROCPRIM_400000_NS6detail17trampoline_kernelINS0_14default_configENS1_35radix_sort_onesweep_config_selectorIxxEEZZNS1_29radix_sort_onesweep_iterationIS3_Lb0EN6thrust23THRUST_200600_302600_NS6detail15normal_iteratorINS8_10device_ptrIxEEEESD_SD_SD_jNS0_19identity_decomposerENS1_16block_id_wrapperIjLb1EEEEE10hipError_tT1_PNSt15iterator_traitsISI_E10value_typeET2_T3_PNSJ_ISO_E10value_typeET4_T5_PST_SU_PNS1_23onesweep_lookback_stateEbbT6_jjT7_P12ihipStream_tbENKUlT_T0_SI_SN_E_clISD_PxSD_S15_EEDaS11_S12_SI_SN_EUlS11_E_NS1_11comp_targetILNS1_3genE8ELNS1_11target_archE1030ELNS1_3gpuE2ELNS1_3repE0EEENS1_47radix_sort_onesweep_sort_config_static_selectorELNS0_4arch9wavefront6targetE1EEEvSI_.kd
    .uniform_work_group_size: 1
    .uses_dynamic_stack: false
    .vgpr_count:     0
    .vgpr_spill_count: 0
    .wavefront_size: 64
  - .agpr_count:     0
    .args:
      - .offset:         0
        .size:           88
        .value_kind:     by_value
    .group_segment_fixed_size: 0
    .kernarg_segment_align: 8
    .kernarg_segment_size: 88
    .language:       OpenCL C
    .language_version:
      - 2
      - 0
    .max_flat_workgroup_size: 512
    .name:           _ZN7rocprim17ROCPRIM_400000_NS6detail17trampoline_kernelINS0_14default_configENS1_35radix_sort_onesweep_config_selectorIxxEEZZNS1_29radix_sort_onesweep_iterationIS3_Lb0EN6thrust23THRUST_200600_302600_NS6detail15normal_iteratorINS8_10device_ptrIxEEEESD_SD_SD_jNS0_19identity_decomposerENS1_16block_id_wrapperIjLb1EEEEE10hipError_tT1_PNSt15iterator_traitsISI_E10value_typeET2_T3_PNSJ_ISO_E10value_typeET4_T5_PST_SU_PNS1_23onesweep_lookback_stateEbbT6_jjT7_P12ihipStream_tbENKUlT_T0_SI_SN_E_clIPxSD_S15_SD_EEDaS11_S12_SI_SN_EUlS11_E_NS1_11comp_targetILNS1_3genE0ELNS1_11target_archE4294967295ELNS1_3gpuE0ELNS1_3repE0EEENS1_47radix_sort_onesweep_sort_config_static_selectorELNS0_4arch9wavefront6targetE1EEEvSI_
    .private_segment_fixed_size: 0
    .sgpr_count:     6
    .sgpr_spill_count: 0
    .symbol:         _ZN7rocprim17ROCPRIM_400000_NS6detail17trampoline_kernelINS0_14default_configENS1_35radix_sort_onesweep_config_selectorIxxEEZZNS1_29radix_sort_onesweep_iterationIS3_Lb0EN6thrust23THRUST_200600_302600_NS6detail15normal_iteratorINS8_10device_ptrIxEEEESD_SD_SD_jNS0_19identity_decomposerENS1_16block_id_wrapperIjLb1EEEEE10hipError_tT1_PNSt15iterator_traitsISI_E10value_typeET2_T3_PNSJ_ISO_E10value_typeET4_T5_PST_SU_PNS1_23onesweep_lookback_stateEbbT6_jjT7_P12ihipStream_tbENKUlT_T0_SI_SN_E_clIPxSD_S15_SD_EEDaS11_S12_SI_SN_EUlS11_E_NS1_11comp_targetILNS1_3genE0ELNS1_11target_archE4294967295ELNS1_3gpuE0ELNS1_3repE0EEENS1_47radix_sort_onesweep_sort_config_static_selectorELNS0_4arch9wavefront6targetE1EEEvSI_.kd
    .uniform_work_group_size: 1
    .uses_dynamic_stack: false
    .vgpr_count:     0
    .vgpr_spill_count: 0
    .wavefront_size: 64
  - .agpr_count:     0
    .args:
      - .offset:         0
        .size:           88
        .value_kind:     by_value
      - .offset:         88
        .size:           4
        .value_kind:     hidden_block_count_x
      - .offset:         92
        .size:           4
        .value_kind:     hidden_block_count_y
      - .offset:         96
        .size:           4
        .value_kind:     hidden_block_count_z
      - .offset:         100
        .size:           2
        .value_kind:     hidden_group_size_x
      - .offset:         102
        .size:           2
        .value_kind:     hidden_group_size_y
      - .offset:         104
        .size:           2
        .value_kind:     hidden_group_size_z
      - .offset:         106
        .size:           2
        .value_kind:     hidden_remainder_x
      - .offset:         108
        .size:           2
        .value_kind:     hidden_remainder_y
      - .offset:         110
        .size:           2
        .value_kind:     hidden_remainder_z
      - .offset:         128
        .size:           8
        .value_kind:     hidden_global_offset_x
      - .offset:         136
        .size:           8
        .value_kind:     hidden_global_offset_y
      - .offset:         144
        .size:           8
        .value_kind:     hidden_global_offset_z
      - .offset:         152
        .size:           2
        .value_kind:     hidden_grid_dims
    .group_segment_fixed_size: 53328
    .kernarg_segment_align: 8
    .kernarg_segment_size: 344
    .language:       OpenCL C
    .language_version:
      - 2
      - 0
    .max_flat_workgroup_size: 1024
    .name:           _ZN7rocprim17ROCPRIM_400000_NS6detail17trampoline_kernelINS0_14default_configENS1_35radix_sort_onesweep_config_selectorIxxEEZZNS1_29radix_sort_onesweep_iterationIS3_Lb0EN6thrust23THRUST_200600_302600_NS6detail15normal_iteratorINS8_10device_ptrIxEEEESD_SD_SD_jNS0_19identity_decomposerENS1_16block_id_wrapperIjLb1EEEEE10hipError_tT1_PNSt15iterator_traitsISI_E10value_typeET2_T3_PNSJ_ISO_E10value_typeET4_T5_PST_SU_PNS1_23onesweep_lookback_stateEbbT6_jjT7_P12ihipStream_tbENKUlT_T0_SI_SN_E_clIPxSD_S15_SD_EEDaS11_S12_SI_SN_EUlS11_E_NS1_11comp_targetILNS1_3genE6ELNS1_11target_archE950ELNS1_3gpuE13ELNS1_3repE0EEENS1_47radix_sort_onesweep_sort_config_static_selectorELNS0_4arch9wavefront6targetE1EEEvSI_
    .private_segment_fixed_size: 48
    .sgpr_count:     67
    .sgpr_spill_count: 0
    .symbol:         _ZN7rocprim17ROCPRIM_400000_NS6detail17trampoline_kernelINS0_14default_configENS1_35radix_sort_onesweep_config_selectorIxxEEZZNS1_29radix_sort_onesweep_iterationIS3_Lb0EN6thrust23THRUST_200600_302600_NS6detail15normal_iteratorINS8_10device_ptrIxEEEESD_SD_SD_jNS0_19identity_decomposerENS1_16block_id_wrapperIjLb1EEEEE10hipError_tT1_PNSt15iterator_traitsISI_E10value_typeET2_T3_PNSJ_ISO_E10value_typeET4_T5_PST_SU_PNS1_23onesweep_lookback_stateEbbT6_jjT7_P12ihipStream_tbENKUlT_T0_SI_SN_E_clIPxSD_S15_SD_EEDaS11_S12_SI_SN_EUlS11_E_NS1_11comp_targetILNS1_3genE6ELNS1_11target_archE950ELNS1_3gpuE13ELNS1_3repE0EEENS1_47radix_sort_onesweep_sort_config_static_selectorELNS0_4arch9wavefront6targetE1EEEvSI_.kd
    .uniform_work_group_size: 1
    .uses_dynamic_stack: false
    .vgpr_count:     58
    .vgpr_spill_count: 0
    .wavefront_size: 64
  - .agpr_count:     0
    .args:
      - .offset:         0
        .size:           88
        .value_kind:     by_value
    .group_segment_fixed_size: 0
    .kernarg_segment_align: 8
    .kernarg_segment_size: 88
    .language:       OpenCL C
    .language_version:
      - 2
      - 0
    .max_flat_workgroup_size: 1024
    .name:           _ZN7rocprim17ROCPRIM_400000_NS6detail17trampoline_kernelINS0_14default_configENS1_35radix_sort_onesweep_config_selectorIxxEEZZNS1_29radix_sort_onesweep_iterationIS3_Lb0EN6thrust23THRUST_200600_302600_NS6detail15normal_iteratorINS8_10device_ptrIxEEEESD_SD_SD_jNS0_19identity_decomposerENS1_16block_id_wrapperIjLb1EEEEE10hipError_tT1_PNSt15iterator_traitsISI_E10value_typeET2_T3_PNSJ_ISO_E10value_typeET4_T5_PST_SU_PNS1_23onesweep_lookback_stateEbbT6_jjT7_P12ihipStream_tbENKUlT_T0_SI_SN_E_clIPxSD_S15_SD_EEDaS11_S12_SI_SN_EUlS11_E_NS1_11comp_targetILNS1_3genE5ELNS1_11target_archE942ELNS1_3gpuE9ELNS1_3repE0EEENS1_47radix_sort_onesweep_sort_config_static_selectorELNS0_4arch9wavefront6targetE1EEEvSI_
    .private_segment_fixed_size: 0
    .sgpr_count:     6
    .sgpr_spill_count: 0
    .symbol:         _ZN7rocprim17ROCPRIM_400000_NS6detail17trampoline_kernelINS0_14default_configENS1_35radix_sort_onesweep_config_selectorIxxEEZZNS1_29radix_sort_onesweep_iterationIS3_Lb0EN6thrust23THRUST_200600_302600_NS6detail15normal_iteratorINS8_10device_ptrIxEEEESD_SD_SD_jNS0_19identity_decomposerENS1_16block_id_wrapperIjLb1EEEEE10hipError_tT1_PNSt15iterator_traitsISI_E10value_typeET2_T3_PNSJ_ISO_E10value_typeET4_T5_PST_SU_PNS1_23onesweep_lookback_stateEbbT6_jjT7_P12ihipStream_tbENKUlT_T0_SI_SN_E_clIPxSD_S15_SD_EEDaS11_S12_SI_SN_EUlS11_E_NS1_11comp_targetILNS1_3genE5ELNS1_11target_archE942ELNS1_3gpuE9ELNS1_3repE0EEENS1_47radix_sort_onesweep_sort_config_static_selectorELNS0_4arch9wavefront6targetE1EEEvSI_.kd
    .uniform_work_group_size: 1
    .uses_dynamic_stack: false
    .vgpr_count:     0
    .vgpr_spill_count: 0
    .wavefront_size: 64
  - .agpr_count:     0
    .args:
      - .offset:         0
        .size:           88
        .value_kind:     by_value
    .group_segment_fixed_size: 0
    .kernarg_segment_align: 8
    .kernarg_segment_size: 88
    .language:       OpenCL C
    .language_version:
      - 2
      - 0
    .max_flat_workgroup_size: 512
    .name:           _ZN7rocprim17ROCPRIM_400000_NS6detail17trampoline_kernelINS0_14default_configENS1_35radix_sort_onesweep_config_selectorIxxEEZZNS1_29radix_sort_onesweep_iterationIS3_Lb0EN6thrust23THRUST_200600_302600_NS6detail15normal_iteratorINS8_10device_ptrIxEEEESD_SD_SD_jNS0_19identity_decomposerENS1_16block_id_wrapperIjLb1EEEEE10hipError_tT1_PNSt15iterator_traitsISI_E10value_typeET2_T3_PNSJ_ISO_E10value_typeET4_T5_PST_SU_PNS1_23onesweep_lookback_stateEbbT6_jjT7_P12ihipStream_tbENKUlT_T0_SI_SN_E_clIPxSD_S15_SD_EEDaS11_S12_SI_SN_EUlS11_E_NS1_11comp_targetILNS1_3genE2ELNS1_11target_archE906ELNS1_3gpuE6ELNS1_3repE0EEENS1_47radix_sort_onesweep_sort_config_static_selectorELNS0_4arch9wavefront6targetE1EEEvSI_
    .private_segment_fixed_size: 0
    .sgpr_count:     6
    .sgpr_spill_count: 0
    .symbol:         _ZN7rocprim17ROCPRIM_400000_NS6detail17trampoline_kernelINS0_14default_configENS1_35radix_sort_onesweep_config_selectorIxxEEZZNS1_29radix_sort_onesweep_iterationIS3_Lb0EN6thrust23THRUST_200600_302600_NS6detail15normal_iteratorINS8_10device_ptrIxEEEESD_SD_SD_jNS0_19identity_decomposerENS1_16block_id_wrapperIjLb1EEEEE10hipError_tT1_PNSt15iterator_traitsISI_E10value_typeET2_T3_PNSJ_ISO_E10value_typeET4_T5_PST_SU_PNS1_23onesweep_lookback_stateEbbT6_jjT7_P12ihipStream_tbENKUlT_T0_SI_SN_E_clIPxSD_S15_SD_EEDaS11_S12_SI_SN_EUlS11_E_NS1_11comp_targetILNS1_3genE2ELNS1_11target_archE906ELNS1_3gpuE6ELNS1_3repE0EEENS1_47radix_sort_onesweep_sort_config_static_selectorELNS0_4arch9wavefront6targetE1EEEvSI_.kd
    .uniform_work_group_size: 1
    .uses_dynamic_stack: false
    .vgpr_count:     0
    .vgpr_spill_count: 0
    .wavefront_size: 64
  - .agpr_count:     0
    .args:
      - .offset:         0
        .size:           88
        .value_kind:     by_value
    .group_segment_fixed_size: 0
    .kernarg_segment_align: 8
    .kernarg_segment_size: 88
    .language:       OpenCL C
    .language_version:
      - 2
      - 0
    .max_flat_workgroup_size: 1024
    .name:           _ZN7rocprim17ROCPRIM_400000_NS6detail17trampoline_kernelINS0_14default_configENS1_35radix_sort_onesweep_config_selectorIxxEEZZNS1_29radix_sort_onesweep_iterationIS3_Lb0EN6thrust23THRUST_200600_302600_NS6detail15normal_iteratorINS8_10device_ptrIxEEEESD_SD_SD_jNS0_19identity_decomposerENS1_16block_id_wrapperIjLb1EEEEE10hipError_tT1_PNSt15iterator_traitsISI_E10value_typeET2_T3_PNSJ_ISO_E10value_typeET4_T5_PST_SU_PNS1_23onesweep_lookback_stateEbbT6_jjT7_P12ihipStream_tbENKUlT_T0_SI_SN_E_clIPxSD_S15_SD_EEDaS11_S12_SI_SN_EUlS11_E_NS1_11comp_targetILNS1_3genE4ELNS1_11target_archE910ELNS1_3gpuE8ELNS1_3repE0EEENS1_47radix_sort_onesweep_sort_config_static_selectorELNS0_4arch9wavefront6targetE1EEEvSI_
    .private_segment_fixed_size: 0
    .sgpr_count:     6
    .sgpr_spill_count: 0
    .symbol:         _ZN7rocprim17ROCPRIM_400000_NS6detail17trampoline_kernelINS0_14default_configENS1_35radix_sort_onesweep_config_selectorIxxEEZZNS1_29radix_sort_onesweep_iterationIS3_Lb0EN6thrust23THRUST_200600_302600_NS6detail15normal_iteratorINS8_10device_ptrIxEEEESD_SD_SD_jNS0_19identity_decomposerENS1_16block_id_wrapperIjLb1EEEEE10hipError_tT1_PNSt15iterator_traitsISI_E10value_typeET2_T3_PNSJ_ISO_E10value_typeET4_T5_PST_SU_PNS1_23onesweep_lookback_stateEbbT6_jjT7_P12ihipStream_tbENKUlT_T0_SI_SN_E_clIPxSD_S15_SD_EEDaS11_S12_SI_SN_EUlS11_E_NS1_11comp_targetILNS1_3genE4ELNS1_11target_archE910ELNS1_3gpuE8ELNS1_3repE0EEENS1_47radix_sort_onesweep_sort_config_static_selectorELNS0_4arch9wavefront6targetE1EEEvSI_.kd
    .uniform_work_group_size: 1
    .uses_dynamic_stack: false
    .vgpr_count:     0
    .vgpr_spill_count: 0
    .wavefront_size: 64
  - .agpr_count:     0
    .args:
      - .offset:         0
        .size:           88
        .value_kind:     by_value
    .group_segment_fixed_size: 0
    .kernarg_segment_align: 8
    .kernarg_segment_size: 88
    .language:       OpenCL C
    .language_version:
      - 2
      - 0
    .max_flat_workgroup_size: 512
    .name:           _ZN7rocprim17ROCPRIM_400000_NS6detail17trampoline_kernelINS0_14default_configENS1_35radix_sort_onesweep_config_selectorIxxEEZZNS1_29radix_sort_onesweep_iterationIS3_Lb0EN6thrust23THRUST_200600_302600_NS6detail15normal_iteratorINS8_10device_ptrIxEEEESD_SD_SD_jNS0_19identity_decomposerENS1_16block_id_wrapperIjLb1EEEEE10hipError_tT1_PNSt15iterator_traitsISI_E10value_typeET2_T3_PNSJ_ISO_E10value_typeET4_T5_PST_SU_PNS1_23onesweep_lookback_stateEbbT6_jjT7_P12ihipStream_tbENKUlT_T0_SI_SN_E_clIPxSD_S15_SD_EEDaS11_S12_SI_SN_EUlS11_E_NS1_11comp_targetILNS1_3genE3ELNS1_11target_archE908ELNS1_3gpuE7ELNS1_3repE0EEENS1_47radix_sort_onesweep_sort_config_static_selectorELNS0_4arch9wavefront6targetE1EEEvSI_
    .private_segment_fixed_size: 0
    .sgpr_count:     6
    .sgpr_spill_count: 0
    .symbol:         _ZN7rocprim17ROCPRIM_400000_NS6detail17trampoline_kernelINS0_14default_configENS1_35radix_sort_onesweep_config_selectorIxxEEZZNS1_29radix_sort_onesweep_iterationIS3_Lb0EN6thrust23THRUST_200600_302600_NS6detail15normal_iteratorINS8_10device_ptrIxEEEESD_SD_SD_jNS0_19identity_decomposerENS1_16block_id_wrapperIjLb1EEEEE10hipError_tT1_PNSt15iterator_traitsISI_E10value_typeET2_T3_PNSJ_ISO_E10value_typeET4_T5_PST_SU_PNS1_23onesweep_lookback_stateEbbT6_jjT7_P12ihipStream_tbENKUlT_T0_SI_SN_E_clIPxSD_S15_SD_EEDaS11_S12_SI_SN_EUlS11_E_NS1_11comp_targetILNS1_3genE3ELNS1_11target_archE908ELNS1_3gpuE7ELNS1_3repE0EEENS1_47radix_sort_onesweep_sort_config_static_selectorELNS0_4arch9wavefront6targetE1EEEvSI_.kd
    .uniform_work_group_size: 1
    .uses_dynamic_stack: false
    .vgpr_count:     0
    .vgpr_spill_count: 0
    .wavefront_size: 64
  - .agpr_count:     0
    .args:
      - .offset:         0
        .size:           88
        .value_kind:     by_value
    .group_segment_fixed_size: 0
    .kernarg_segment_align: 8
    .kernarg_segment_size: 88
    .language:       OpenCL C
    .language_version:
      - 2
      - 0
    .max_flat_workgroup_size: 1024
    .name:           _ZN7rocprim17ROCPRIM_400000_NS6detail17trampoline_kernelINS0_14default_configENS1_35radix_sort_onesweep_config_selectorIxxEEZZNS1_29radix_sort_onesweep_iterationIS3_Lb0EN6thrust23THRUST_200600_302600_NS6detail15normal_iteratorINS8_10device_ptrIxEEEESD_SD_SD_jNS0_19identity_decomposerENS1_16block_id_wrapperIjLb1EEEEE10hipError_tT1_PNSt15iterator_traitsISI_E10value_typeET2_T3_PNSJ_ISO_E10value_typeET4_T5_PST_SU_PNS1_23onesweep_lookback_stateEbbT6_jjT7_P12ihipStream_tbENKUlT_T0_SI_SN_E_clIPxSD_S15_SD_EEDaS11_S12_SI_SN_EUlS11_E_NS1_11comp_targetILNS1_3genE10ELNS1_11target_archE1201ELNS1_3gpuE5ELNS1_3repE0EEENS1_47radix_sort_onesweep_sort_config_static_selectorELNS0_4arch9wavefront6targetE1EEEvSI_
    .private_segment_fixed_size: 0
    .sgpr_count:     6
    .sgpr_spill_count: 0
    .symbol:         _ZN7rocprim17ROCPRIM_400000_NS6detail17trampoline_kernelINS0_14default_configENS1_35radix_sort_onesweep_config_selectorIxxEEZZNS1_29radix_sort_onesweep_iterationIS3_Lb0EN6thrust23THRUST_200600_302600_NS6detail15normal_iteratorINS8_10device_ptrIxEEEESD_SD_SD_jNS0_19identity_decomposerENS1_16block_id_wrapperIjLb1EEEEE10hipError_tT1_PNSt15iterator_traitsISI_E10value_typeET2_T3_PNSJ_ISO_E10value_typeET4_T5_PST_SU_PNS1_23onesweep_lookback_stateEbbT6_jjT7_P12ihipStream_tbENKUlT_T0_SI_SN_E_clIPxSD_S15_SD_EEDaS11_S12_SI_SN_EUlS11_E_NS1_11comp_targetILNS1_3genE10ELNS1_11target_archE1201ELNS1_3gpuE5ELNS1_3repE0EEENS1_47radix_sort_onesweep_sort_config_static_selectorELNS0_4arch9wavefront6targetE1EEEvSI_.kd
    .uniform_work_group_size: 1
    .uses_dynamic_stack: false
    .vgpr_count:     0
    .vgpr_spill_count: 0
    .wavefront_size: 64
  - .agpr_count:     0
    .args:
      - .offset:         0
        .size:           88
        .value_kind:     by_value
    .group_segment_fixed_size: 0
    .kernarg_segment_align: 8
    .kernarg_segment_size: 88
    .language:       OpenCL C
    .language_version:
      - 2
      - 0
    .max_flat_workgroup_size: 1024
    .name:           _ZN7rocprim17ROCPRIM_400000_NS6detail17trampoline_kernelINS0_14default_configENS1_35radix_sort_onesweep_config_selectorIxxEEZZNS1_29radix_sort_onesweep_iterationIS3_Lb0EN6thrust23THRUST_200600_302600_NS6detail15normal_iteratorINS8_10device_ptrIxEEEESD_SD_SD_jNS0_19identity_decomposerENS1_16block_id_wrapperIjLb1EEEEE10hipError_tT1_PNSt15iterator_traitsISI_E10value_typeET2_T3_PNSJ_ISO_E10value_typeET4_T5_PST_SU_PNS1_23onesweep_lookback_stateEbbT6_jjT7_P12ihipStream_tbENKUlT_T0_SI_SN_E_clIPxSD_S15_SD_EEDaS11_S12_SI_SN_EUlS11_E_NS1_11comp_targetILNS1_3genE9ELNS1_11target_archE1100ELNS1_3gpuE3ELNS1_3repE0EEENS1_47radix_sort_onesweep_sort_config_static_selectorELNS0_4arch9wavefront6targetE1EEEvSI_
    .private_segment_fixed_size: 0
    .sgpr_count:     6
    .sgpr_spill_count: 0
    .symbol:         _ZN7rocprim17ROCPRIM_400000_NS6detail17trampoline_kernelINS0_14default_configENS1_35radix_sort_onesweep_config_selectorIxxEEZZNS1_29radix_sort_onesweep_iterationIS3_Lb0EN6thrust23THRUST_200600_302600_NS6detail15normal_iteratorINS8_10device_ptrIxEEEESD_SD_SD_jNS0_19identity_decomposerENS1_16block_id_wrapperIjLb1EEEEE10hipError_tT1_PNSt15iterator_traitsISI_E10value_typeET2_T3_PNSJ_ISO_E10value_typeET4_T5_PST_SU_PNS1_23onesweep_lookback_stateEbbT6_jjT7_P12ihipStream_tbENKUlT_T0_SI_SN_E_clIPxSD_S15_SD_EEDaS11_S12_SI_SN_EUlS11_E_NS1_11comp_targetILNS1_3genE9ELNS1_11target_archE1100ELNS1_3gpuE3ELNS1_3repE0EEENS1_47radix_sort_onesweep_sort_config_static_selectorELNS0_4arch9wavefront6targetE1EEEvSI_.kd
    .uniform_work_group_size: 1
    .uses_dynamic_stack: false
    .vgpr_count:     0
    .vgpr_spill_count: 0
    .wavefront_size: 64
  - .agpr_count:     0
    .args:
      - .offset:         0
        .size:           88
        .value_kind:     by_value
    .group_segment_fixed_size: 0
    .kernarg_segment_align: 8
    .kernarg_segment_size: 88
    .language:       OpenCL C
    .language_version:
      - 2
      - 0
    .max_flat_workgroup_size: 1024
    .name:           _ZN7rocprim17ROCPRIM_400000_NS6detail17trampoline_kernelINS0_14default_configENS1_35radix_sort_onesweep_config_selectorIxxEEZZNS1_29radix_sort_onesweep_iterationIS3_Lb0EN6thrust23THRUST_200600_302600_NS6detail15normal_iteratorINS8_10device_ptrIxEEEESD_SD_SD_jNS0_19identity_decomposerENS1_16block_id_wrapperIjLb1EEEEE10hipError_tT1_PNSt15iterator_traitsISI_E10value_typeET2_T3_PNSJ_ISO_E10value_typeET4_T5_PST_SU_PNS1_23onesweep_lookback_stateEbbT6_jjT7_P12ihipStream_tbENKUlT_T0_SI_SN_E_clIPxSD_S15_SD_EEDaS11_S12_SI_SN_EUlS11_E_NS1_11comp_targetILNS1_3genE8ELNS1_11target_archE1030ELNS1_3gpuE2ELNS1_3repE0EEENS1_47radix_sort_onesweep_sort_config_static_selectorELNS0_4arch9wavefront6targetE1EEEvSI_
    .private_segment_fixed_size: 0
    .sgpr_count:     6
    .sgpr_spill_count: 0
    .symbol:         _ZN7rocprim17ROCPRIM_400000_NS6detail17trampoline_kernelINS0_14default_configENS1_35radix_sort_onesweep_config_selectorIxxEEZZNS1_29radix_sort_onesweep_iterationIS3_Lb0EN6thrust23THRUST_200600_302600_NS6detail15normal_iteratorINS8_10device_ptrIxEEEESD_SD_SD_jNS0_19identity_decomposerENS1_16block_id_wrapperIjLb1EEEEE10hipError_tT1_PNSt15iterator_traitsISI_E10value_typeET2_T3_PNSJ_ISO_E10value_typeET4_T5_PST_SU_PNS1_23onesweep_lookback_stateEbbT6_jjT7_P12ihipStream_tbENKUlT_T0_SI_SN_E_clIPxSD_S15_SD_EEDaS11_S12_SI_SN_EUlS11_E_NS1_11comp_targetILNS1_3genE8ELNS1_11target_archE1030ELNS1_3gpuE2ELNS1_3repE0EEENS1_47radix_sort_onesweep_sort_config_static_selectorELNS0_4arch9wavefront6targetE1EEEvSI_.kd
    .uniform_work_group_size: 1
    .uses_dynamic_stack: false
    .vgpr_count:     0
    .vgpr_spill_count: 0
    .wavefront_size: 64
  - .agpr_count:     0
    .args:
      - .offset:         0
        .size:           88
        .value_kind:     by_value
    .group_segment_fixed_size: 0
    .kernarg_segment_align: 8
    .kernarg_segment_size: 88
    .language:       OpenCL C
    .language_version:
      - 2
      - 0
    .max_flat_workgroup_size: 512
    .name:           _ZN7rocprim17ROCPRIM_400000_NS6detail17trampoline_kernelINS0_14default_configENS1_35radix_sort_onesweep_config_selectorIxxEEZZNS1_29radix_sort_onesweep_iterationIS3_Lb0EN6thrust23THRUST_200600_302600_NS6detail15normal_iteratorINS8_10device_ptrIxEEEESD_SD_SD_jNS0_19identity_decomposerENS1_16block_id_wrapperIjLb0EEEEE10hipError_tT1_PNSt15iterator_traitsISI_E10value_typeET2_T3_PNSJ_ISO_E10value_typeET4_T5_PST_SU_PNS1_23onesweep_lookback_stateEbbT6_jjT7_P12ihipStream_tbENKUlT_T0_SI_SN_E_clISD_SD_SD_SD_EEDaS11_S12_SI_SN_EUlS11_E_NS1_11comp_targetILNS1_3genE0ELNS1_11target_archE4294967295ELNS1_3gpuE0ELNS1_3repE0EEENS1_47radix_sort_onesweep_sort_config_static_selectorELNS0_4arch9wavefront6targetE1EEEvSI_
    .private_segment_fixed_size: 0
    .sgpr_count:     6
    .sgpr_spill_count: 0
    .symbol:         _ZN7rocprim17ROCPRIM_400000_NS6detail17trampoline_kernelINS0_14default_configENS1_35radix_sort_onesweep_config_selectorIxxEEZZNS1_29radix_sort_onesweep_iterationIS3_Lb0EN6thrust23THRUST_200600_302600_NS6detail15normal_iteratorINS8_10device_ptrIxEEEESD_SD_SD_jNS0_19identity_decomposerENS1_16block_id_wrapperIjLb0EEEEE10hipError_tT1_PNSt15iterator_traitsISI_E10value_typeET2_T3_PNSJ_ISO_E10value_typeET4_T5_PST_SU_PNS1_23onesweep_lookback_stateEbbT6_jjT7_P12ihipStream_tbENKUlT_T0_SI_SN_E_clISD_SD_SD_SD_EEDaS11_S12_SI_SN_EUlS11_E_NS1_11comp_targetILNS1_3genE0ELNS1_11target_archE4294967295ELNS1_3gpuE0ELNS1_3repE0EEENS1_47radix_sort_onesweep_sort_config_static_selectorELNS0_4arch9wavefront6targetE1EEEvSI_.kd
    .uniform_work_group_size: 1
    .uses_dynamic_stack: false
    .vgpr_count:     0
    .vgpr_spill_count: 0
    .wavefront_size: 64
  - .agpr_count:     0
    .args:
      - .offset:         0
        .size:           88
        .value_kind:     by_value
      - .offset:         88
        .size:           4
        .value_kind:     hidden_block_count_x
      - .offset:         92
        .size:           4
        .value_kind:     hidden_block_count_y
      - .offset:         96
        .size:           4
        .value_kind:     hidden_block_count_z
      - .offset:         100
        .size:           2
        .value_kind:     hidden_group_size_x
      - .offset:         102
        .size:           2
        .value_kind:     hidden_group_size_y
      - .offset:         104
        .size:           2
        .value_kind:     hidden_group_size_z
      - .offset:         106
        .size:           2
        .value_kind:     hidden_remainder_x
      - .offset:         108
        .size:           2
        .value_kind:     hidden_remainder_y
      - .offset:         110
        .size:           2
        .value_kind:     hidden_remainder_z
      - .offset:         128
        .size:           8
        .value_kind:     hidden_global_offset_x
      - .offset:         136
        .size:           8
        .value_kind:     hidden_global_offset_y
      - .offset:         144
        .size:           8
        .value_kind:     hidden_global_offset_z
      - .offset:         152
        .size:           2
        .value_kind:     hidden_grid_dims
    .group_segment_fixed_size: 53328
    .kernarg_segment_align: 8
    .kernarg_segment_size: 344
    .language:       OpenCL C
    .language_version:
      - 2
      - 0
    .max_flat_workgroup_size: 1024
    .name:           _ZN7rocprim17ROCPRIM_400000_NS6detail17trampoline_kernelINS0_14default_configENS1_35radix_sort_onesweep_config_selectorIxxEEZZNS1_29radix_sort_onesweep_iterationIS3_Lb0EN6thrust23THRUST_200600_302600_NS6detail15normal_iteratorINS8_10device_ptrIxEEEESD_SD_SD_jNS0_19identity_decomposerENS1_16block_id_wrapperIjLb0EEEEE10hipError_tT1_PNSt15iterator_traitsISI_E10value_typeET2_T3_PNSJ_ISO_E10value_typeET4_T5_PST_SU_PNS1_23onesweep_lookback_stateEbbT6_jjT7_P12ihipStream_tbENKUlT_T0_SI_SN_E_clISD_SD_SD_SD_EEDaS11_S12_SI_SN_EUlS11_E_NS1_11comp_targetILNS1_3genE6ELNS1_11target_archE950ELNS1_3gpuE13ELNS1_3repE0EEENS1_47radix_sort_onesweep_sort_config_static_selectorELNS0_4arch9wavefront6targetE1EEEvSI_
    .private_segment_fixed_size: 48
    .sgpr_count:     64
    .sgpr_spill_count: 0
    .symbol:         _ZN7rocprim17ROCPRIM_400000_NS6detail17trampoline_kernelINS0_14default_configENS1_35radix_sort_onesweep_config_selectorIxxEEZZNS1_29radix_sort_onesweep_iterationIS3_Lb0EN6thrust23THRUST_200600_302600_NS6detail15normal_iteratorINS8_10device_ptrIxEEEESD_SD_SD_jNS0_19identity_decomposerENS1_16block_id_wrapperIjLb0EEEEE10hipError_tT1_PNSt15iterator_traitsISI_E10value_typeET2_T3_PNSJ_ISO_E10value_typeET4_T5_PST_SU_PNS1_23onesweep_lookback_stateEbbT6_jjT7_P12ihipStream_tbENKUlT_T0_SI_SN_E_clISD_SD_SD_SD_EEDaS11_S12_SI_SN_EUlS11_E_NS1_11comp_targetILNS1_3genE6ELNS1_11target_archE950ELNS1_3gpuE13ELNS1_3repE0EEENS1_47radix_sort_onesweep_sort_config_static_selectorELNS0_4arch9wavefront6targetE1EEEvSI_.kd
    .uniform_work_group_size: 1
    .uses_dynamic_stack: false
    .vgpr_count:     58
    .vgpr_spill_count: 0
    .wavefront_size: 64
  - .agpr_count:     0
    .args:
      - .offset:         0
        .size:           88
        .value_kind:     by_value
    .group_segment_fixed_size: 0
    .kernarg_segment_align: 8
    .kernarg_segment_size: 88
    .language:       OpenCL C
    .language_version:
      - 2
      - 0
    .max_flat_workgroup_size: 1024
    .name:           _ZN7rocprim17ROCPRIM_400000_NS6detail17trampoline_kernelINS0_14default_configENS1_35radix_sort_onesweep_config_selectorIxxEEZZNS1_29radix_sort_onesweep_iterationIS3_Lb0EN6thrust23THRUST_200600_302600_NS6detail15normal_iteratorINS8_10device_ptrIxEEEESD_SD_SD_jNS0_19identity_decomposerENS1_16block_id_wrapperIjLb0EEEEE10hipError_tT1_PNSt15iterator_traitsISI_E10value_typeET2_T3_PNSJ_ISO_E10value_typeET4_T5_PST_SU_PNS1_23onesweep_lookback_stateEbbT6_jjT7_P12ihipStream_tbENKUlT_T0_SI_SN_E_clISD_SD_SD_SD_EEDaS11_S12_SI_SN_EUlS11_E_NS1_11comp_targetILNS1_3genE5ELNS1_11target_archE942ELNS1_3gpuE9ELNS1_3repE0EEENS1_47radix_sort_onesweep_sort_config_static_selectorELNS0_4arch9wavefront6targetE1EEEvSI_
    .private_segment_fixed_size: 0
    .sgpr_count:     6
    .sgpr_spill_count: 0
    .symbol:         _ZN7rocprim17ROCPRIM_400000_NS6detail17trampoline_kernelINS0_14default_configENS1_35radix_sort_onesweep_config_selectorIxxEEZZNS1_29radix_sort_onesweep_iterationIS3_Lb0EN6thrust23THRUST_200600_302600_NS6detail15normal_iteratorINS8_10device_ptrIxEEEESD_SD_SD_jNS0_19identity_decomposerENS1_16block_id_wrapperIjLb0EEEEE10hipError_tT1_PNSt15iterator_traitsISI_E10value_typeET2_T3_PNSJ_ISO_E10value_typeET4_T5_PST_SU_PNS1_23onesweep_lookback_stateEbbT6_jjT7_P12ihipStream_tbENKUlT_T0_SI_SN_E_clISD_SD_SD_SD_EEDaS11_S12_SI_SN_EUlS11_E_NS1_11comp_targetILNS1_3genE5ELNS1_11target_archE942ELNS1_3gpuE9ELNS1_3repE0EEENS1_47radix_sort_onesweep_sort_config_static_selectorELNS0_4arch9wavefront6targetE1EEEvSI_.kd
    .uniform_work_group_size: 1
    .uses_dynamic_stack: false
    .vgpr_count:     0
    .vgpr_spill_count: 0
    .wavefront_size: 64
  - .agpr_count:     0
    .args:
      - .offset:         0
        .size:           88
        .value_kind:     by_value
    .group_segment_fixed_size: 0
    .kernarg_segment_align: 8
    .kernarg_segment_size: 88
    .language:       OpenCL C
    .language_version:
      - 2
      - 0
    .max_flat_workgroup_size: 512
    .name:           _ZN7rocprim17ROCPRIM_400000_NS6detail17trampoline_kernelINS0_14default_configENS1_35radix_sort_onesweep_config_selectorIxxEEZZNS1_29radix_sort_onesweep_iterationIS3_Lb0EN6thrust23THRUST_200600_302600_NS6detail15normal_iteratorINS8_10device_ptrIxEEEESD_SD_SD_jNS0_19identity_decomposerENS1_16block_id_wrapperIjLb0EEEEE10hipError_tT1_PNSt15iterator_traitsISI_E10value_typeET2_T3_PNSJ_ISO_E10value_typeET4_T5_PST_SU_PNS1_23onesweep_lookback_stateEbbT6_jjT7_P12ihipStream_tbENKUlT_T0_SI_SN_E_clISD_SD_SD_SD_EEDaS11_S12_SI_SN_EUlS11_E_NS1_11comp_targetILNS1_3genE2ELNS1_11target_archE906ELNS1_3gpuE6ELNS1_3repE0EEENS1_47radix_sort_onesweep_sort_config_static_selectorELNS0_4arch9wavefront6targetE1EEEvSI_
    .private_segment_fixed_size: 0
    .sgpr_count:     6
    .sgpr_spill_count: 0
    .symbol:         _ZN7rocprim17ROCPRIM_400000_NS6detail17trampoline_kernelINS0_14default_configENS1_35radix_sort_onesweep_config_selectorIxxEEZZNS1_29radix_sort_onesweep_iterationIS3_Lb0EN6thrust23THRUST_200600_302600_NS6detail15normal_iteratorINS8_10device_ptrIxEEEESD_SD_SD_jNS0_19identity_decomposerENS1_16block_id_wrapperIjLb0EEEEE10hipError_tT1_PNSt15iterator_traitsISI_E10value_typeET2_T3_PNSJ_ISO_E10value_typeET4_T5_PST_SU_PNS1_23onesweep_lookback_stateEbbT6_jjT7_P12ihipStream_tbENKUlT_T0_SI_SN_E_clISD_SD_SD_SD_EEDaS11_S12_SI_SN_EUlS11_E_NS1_11comp_targetILNS1_3genE2ELNS1_11target_archE906ELNS1_3gpuE6ELNS1_3repE0EEENS1_47radix_sort_onesweep_sort_config_static_selectorELNS0_4arch9wavefront6targetE1EEEvSI_.kd
    .uniform_work_group_size: 1
    .uses_dynamic_stack: false
    .vgpr_count:     0
    .vgpr_spill_count: 0
    .wavefront_size: 64
  - .agpr_count:     0
    .args:
      - .offset:         0
        .size:           88
        .value_kind:     by_value
    .group_segment_fixed_size: 0
    .kernarg_segment_align: 8
    .kernarg_segment_size: 88
    .language:       OpenCL C
    .language_version:
      - 2
      - 0
    .max_flat_workgroup_size: 1024
    .name:           _ZN7rocprim17ROCPRIM_400000_NS6detail17trampoline_kernelINS0_14default_configENS1_35radix_sort_onesweep_config_selectorIxxEEZZNS1_29radix_sort_onesweep_iterationIS3_Lb0EN6thrust23THRUST_200600_302600_NS6detail15normal_iteratorINS8_10device_ptrIxEEEESD_SD_SD_jNS0_19identity_decomposerENS1_16block_id_wrapperIjLb0EEEEE10hipError_tT1_PNSt15iterator_traitsISI_E10value_typeET2_T3_PNSJ_ISO_E10value_typeET4_T5_PST_SU_PNS1_23onesweep_lookback_stateEbbT6_jjT7_P12ihipStream_tbENKUlT_T0_SI_SN_E_clISD_SD_SD_SD_EEDaS11_S12_SI_SN_EUlS11_E_NS1_11comp_targetILNS1_3genE4ELNS1_11target_archE910ELNS1_3gpuE8ELNS1_3repE0EEENS1_47radix_sort_onesweep_sort_config_static_selectorELNS0_4arch9wavefront6targetE1EEEvSI_
    .private_segment_fixed_size: 0
    .sgpr_count:     6
    .sgpr_spill_count: 0
    .symbol:         _ZN7rocprim17ROCPRIM_400000_NS6detail17trampoline_kernelINS0_14default_configENS1_35radix_sort_onesweep_config_selectorIxxEEZZNS1_29radix_sort_onesweep_iterationIS3_Lb0EN6thrust23THRUST_200600_302600_NS6detail15normal_iteratorINS8_10device_ptrIxEEEESD_SD_SD_jNS0_19identity_decomposerENS1_16block_id_wrapperIjLb0EEEEE10hipError_tT1_PNSt15iterator_traitsISI_E10value_typeET2_T3_PNSJ_ISO_E10value_typeET4_T5_PST_SU_PNS1_23onesweep_lookback_stateEbbT6_jjT7_P12ihipStream_tbENKUlT_T0_SI_SN_E_clISD_SD_SD_SD_EEDaS11_S12_SI_SN_EUlS11_E_NS1_11comp_targetILNS1_3genE4ELNS1_11target_archE910ELNS1_3gpuE8ELNS1_3repE0EEENS1_47radix_sort_onesweep_sort_config_static_selectorELNS0_4arch9wavefront6targetE1EEEvSI_.kd
    .uniform_work_group_size: 1
    .uses_dynamic_stack: false
    .vgpr_count:     0
    .vgpr_spill_count: 0
    .wavefront_size: 64
  - .agpr_count:     0
    .args:
      - .offset:         0
        .size:           88
        .value_kind:     by_value
    .group_segment_fixed_size: 0
    .kernarg_segment_align: 8
    .kernarg_segment_size: 88
    .language:       OpenCL C
    .language_version:
      - 2
      - 0
    .max_flat_workgroup_size: 512
    .name:           _ZN7rocprim17ROCPRIM_400000_NS6detail17trampoline_kernelINS0_14default_configENS1_35radix_sort_onesweep_config_selectorIxxEEZZNS1_29radix_sort_onesweep_iterationIS3_Lb0EN6thrust23THRUST_200600_302600_NS6detail15normal_iteratorINS8_10device_ptrIxEEEESD_SD_SD_jNS0_19identity_decomposerENS1_16block_id_wrapperIjLb0EEEEE10hipError_tT1_PNSt15iterator_traitsISI_E10value_typeET2_T3_PNSJ_ISO_E10value_typeET4_T5_PST_SU_PNS1_23onesweep_lookback_stateEbbT6_jjT7_P12ihipStream_tbENKUlT_T0_SI_SN_E_clISD_SD_SD_SD_EEDaS11_S12_SI_SN_EUlS11_E_NS1_11comp_targetILNS1_3genE3ELNS1_11target_archE908ELNS1_3gpuE7ELNS1_3repE0EEENS1_47radix_sort_onesweep_sort_config_static_selectorELNS0_4arch9wavefront6targetE1EEEvSI_
    .private_segment_fixed_size: 0
    .sgpr_count:     6
    .sgpr_spill_count: 0
    .symbol:         _ZN7rocprim17ROCPRIM_400000_NS6detail17trampoline_kernelINS0_14default_configENS1_35radix_sort_onesweep_config_selectorIxxEEZZNS1_29radix_sort_onesweep_iterationIS3_Lb0EN6thrust23THRUST_200600_302600_NS6detail15normal_iteratorINS8_10device_ptrIxEEEESD_SD_SD_jNS0_19identity_decomposerENS1_16block_id_wrapperIjLb0EEEEE10hipError_tT1_PNSt15iterator_traitsISI_E10value_typeET2_T3_PNSJ_ISO_E10value_typeET4_T5_PST_SU_PNS1_23onesweep_lookback_stateEbbT6_jjT7_P12ihipStream_tbENKUlT_T0_SI_SN_E_clISD_SD_SD_SD_EEDaS11_S12_SI_SN_EUlS11_E_NS1_11comp_targetILNS1_3genE3ELNS1_11target_archE908ELNS1_3gpuE7ELNS1_3repE0EEENS1_47radix_sort_onesweep_sort_config_static_selectorELNS0_4arch9wavefront6targetE1EEEvSI_.kd
    .uniform_work_group_size: 1
    .uses_dynamic_stack: false
    .vgpr_count:     0
    .vgpr_spill_count: 0
    .wavefront_size: 64
  - .agpr_count:     0
    .args:
      - .offset:         0
        .size:           88
        .value_kind:     by_value
    .group_segment_fixed_size: 0
    .kernarg_segment_align: 8
    .kernarg_segment_size: 88
    .language:       OpenCL C
    .language_version:
      - 2
      - 0
    .max_flat_workgroup_size: 1024
    .name:           _ZN7rocprim17ROCPRIM_400000_NS6detail17trampoline_kernelINS0_14default_configENS1_35radix_sort_onesweep_config_selectorIxxEEZZNS1_29radix_sort_onesweep_iterationIS3_Lb0EN6thrust23THRUST_200600_302600_NS6detail15normal_iteratorINS8_10device_ptrIxEEEESD_SD_SD_jNS0_19identity_decomposerENS1_16block_id_wrapperIjLb0EEEEE10hipError_tT1_PNSt15iterator_traitsISI_E10value_typeET2_T3_PNSJ_ISO_E10value_typeET4_T5_PST_SU_PNS1_23onesweep_lookback_stateEbbT6_jjT7_P12ihipStream_tbENKUlT_T0_SI_SN_E_clISD_SD_SD_SD_EEDaS11_S12_SI_SN_EUlS11_E_NS1_11comp_targetILNS1_3genE10ELNS1_11target_archE1201ELNS1_3gpuE5ELNS1_3repE0EEENS1_47radix_sort_onesweep_sort_config_static_selectorELNS0_4arch9wavefront6targetE1EEEvSI_
    .private_segment_fixed_size: 0
    .sgpr_count:     6
    .sgpr_spill_count: 0
    .symbol:         _ZN7rocprim17ROCPRIM_400000_NS6detail17trampoline_kernelINS0_14default_configENS1_35radix_sort_onesweep_config_selectorIxxEEZZNS1_29radix_sort_onesweep_iterationIS3_Lb0EN6thrust23THRUST_200600_302600_NS6detail15normal_iteratorINS8_10device_ptrIxEEEESD_SD_SD_jNS0_19identity_decomposerENS1_16block_id_wrapperIjLb0EEEEE10hipError_tT1_PNSt15iterator_traitsISI_E10value_typeET2_T3_PNSJ_ISO_E10value_typeET4_T5_PST_SU_PNS1_23onesweep_lookback_stateEbbT6_jjT7_P12ihipStream_tbENKUlT_T0_SI_SN_E_clISD_SD_SD_SD_EEDaS11_S12_SI_SN_EUlS11_E_NS1_11comp_targetILNS1_3genE10ELNS1_11target_archE1201ELNS1_3gpuE5ELNS1_3repE0EEENS1_47radix_sort_onesweep_sort_config_static_selectorELNS0_4arch9wavefront6targetE1EEEvSI_.kd
    .uniform_work_group_size: 1
    .uses_dynamic_stack: false
    .vgpr_count:     0
    .vgpr_spill_count: 0
    .wavefront_size: 64
  - .agpr_count:     0
    .args:
      - .offset:         0
        .size:           88
        .value_kind:     by_value
    .group_segment_fixed_size: 0
    .kernarg_segment_align: 8
    .kernarg_segment_size: 88
    .language:       OpenCL C
    .language_version:
      - 2
      - 0
    .max_flat_workgroup_size: 1024
    .name:           _ZN7rocprim17ROCPRIM_400000_NS6detail17trampoline_kernelINS0_14default_configENS1_35radix_sort_onesweep_config_selectorIxxEEZZNS1_29radix_sort_onesweep_iterationIS3_Lb0EN6thrust23THRUST_200600_302600_NS6detail15normal_iteratorINS8_10device_ptrIxEEEESD_SD_SD_jNS0_19identity_decomposerENS1_16block_id_wrapperIjLb0EEEEE10hipError_tT1_PNSt15iterator_traitsISI_E10value_typeET2_T3_PNSJ_ISO_E10value_typeET4_T5_PST_SU_PNS1_23onesweep_lookback_stateEbbT6_jjT7_P12ihipStream_tbENKUlT_T0_SI_SN_E_clISD_SD_SD_SD_EEDaS11_S12_SI_SN_EUlS11_E_NS1_11comp_targetILNS1_3genE9ELNS1_11target_archE1100ELNS1_3gpuE3ELNS1_3repE0EEENS1_47radix_sort_onesweep_sort_config_static_selectorELNS0_4arch9wavefront6targetE1EEEvSI_
    .private_segment_fixed_size: 0
    .sgpr_count:     6
    .sgpr_spill_count: 0
    .symbol:         _ZN7rocprim17ROCPRIM_400000_NS6detail17trampoline_kernelINS0_14default_configENS1_35radix_sort_onesweep_config_selectorIxxEEZZNS1_29radix_sort_onesweep_iterationIS3_Lb0EN6thrust23THRUST_200600_302600_NS6detail15normal_iteratorINS8_10device_ptrIxEEEESD_SD_SD_jNS0_19identity_decomposerENS1_16block_id_wrapperIjLb0EEEEE10hipError_tT1_PNSt15iterator_traitsISI_E10value_typeET2_T3_PNSJ_ISO_E10value_typeET4_T5_PST_SU_PNS1_23onesweep_lookback_stateEbbT6_jjT7_P12ihipStream_tbENKUlT_T0_SI_SN_E_clISD_SD_SD_SD_EEDaS11_S12_SI_SN_EUlS11_E_NS1_11comp_targetILNS1_3genE9ELNS1_11target_archE1100ELNS1_3gpuE3ELNS1_3repE0EEENS1_47radix_sort_onesweep_sort_config_static_selectorELNS0_4arch9wavefront6targetE1EEEvSI_.kd
    .uniform_work_group_size: 1
    .uses_dynamic_stack: false
    .vgpr_count:     0
    .vgpr_spill_count: 0
    .wavefront_size: 64
  - .agpr_count:     0
    .args:
      - .offset:         0
        .size:           88
        .value_kind:     by_value
    .group_segment_fixed_size: 0
    .kernarg_segment_align: 8
    .kernarg_segment_size: 88
    .language:       OpenCL C
    .language_version:
      - 2
      - 0
    .max_flat_workgroup_size: 1024
    .name:           _ZN7rocprim17ROCPRIM_400000_NS6detail17trampoline_kernelINS0_14default_configENS1_35radix_sort_onesweep_config_selectorIxxEEZZNS1_29radix_sort_onesweep_iterationIS3_Lb0EN6thrust23THRUST_200600_302600_NS6detail15normal_iteratorINS8_10device_ptrIxEEEESD_SD_SD_jNS0_19identity_decomposerENS1_16block_id_wrapperIjLb0EEEEE10hipError_tT1_PNSt15iterator_traitsISI_E10value_typeET2_T3_PNSJ_ISO_E10value_typeET4_T5_PST_SU_PNS1_23onesweep_lookback_stateEbbT6_jjT7_P12ihipStream_tbENKUlT_T0_SI_SN_E_clISD_SD_SD_SD_EEDaS11_S12_SI_SN_EUlS11_E_NS1_11comp_targetILNS1_3genE8ELNS1_11target_archE1030ELNS1_3gpuE2ELNS1_3repE0EEENS1_47radix_sort_onesweep_sort_config_static_selectorELNS0_4arch9wavefront6targetE1EEEvSI_
    .private_segment_fixed_size: 0
    .sgpr_count:     6
    .sgpr_spill_count: 0
    .symbol:         _ZN7rocprim17ROCPRIM_400000_NS6detail17trampoline_kernelINS0_14default_configENS1_35radix_sort_onesweep_config_selectorIxxEEZZNS1_29radix_sort_onesweep_iterationIS3_Lb0EN6thrust23THRUST_200600_302600_NS6detail15normal_iteratorINS8_10device_ptrIxEEEESD_SD_SD_jNS0_19identity_decomposerENS1_16block_id_wrapperIjLb0EEEEE10hipError_tT1_PNSt15iterator_traitsISI_E10value_typeET2_T3_PNSJ_ISO_E10value_typeET4_T5_PST_SU_PNS1_23onesweep_lookback_stateEbbT6_jjT7_P12ihipStream_tbENKUlT_T0_SI_SN_E_clISD_SD_SD_SD_EEDaS11_S12_SI_SN_EUlS11_E_NS1_11comp_targetILNS1_3genE8ELNS1_11target_archE1030ELNS1_3gpuE2ELNS1_3repE0EEENS1_47radix_sort_onesweep_sort_config_static_selectorELNS0_4arch9wavefront6targetE1EEEvSI_.kd
    .uniform_work_group_size: 1
    .uses_dynamic_stack: false
    .vgpr_count:     0
    .vgpr_spill_count: 0
    .wavefront_size: 64
  - .agpr_count:     0
    .args:
      - .offset:         0
        .size:           88
        .value_kind:     by_value
    .group_segment_fixed_size: 0
    .kernarg_segment_align: 8
    .kernarg_segment_size: 88
    .language:       OpenCL C
    .language_version:
      - 2
      - 0
    .max_flat_workgroup_size: 512
    .name:           _ZN7rocprim17ROCPRIM_400000_NS6detail17trampoline_kernelINS0_14default_configENS1_35radix_sort_onesweep_config_selectorIxxEEZZNS1_29radix_sort_onesweep_iterationIS3_Lb0EN6thrust23THRUST_200600_302600_NS6detail15normal_iteratorINS8_10device_ptrIxEEEESD_SD_SD_jNS0_19identity_decomposerENS1_16block_id_wrapperIjLb0EEEEE10hipError_tT1_PNSt15iterator_traitsISI_E10value_typeET2_T3_PNSJ_ISO_E10value_typeET4_T5_PST_SU_PNS1_23onesweep_lookback_stateEbbT6_jjT7_P12ihipStream_tbENKUlT_T0_SI_SN_E_clISD_PxSD_S15_EEDaS11_S12_SI_SN_EUlS11_E_NS1_11comp_targetILNS1_3genE0ELNS1_11target_archE4294967295ELNS1_3gpuE0ELNS1_3repE0EEENS1_47radix_sort_onesweep_sort_config_static_selectorELNS0_4arch9wavefront6targetE1EEEvSI_
    .private_segment_fixed_size: 0
    .sgpr_count:     6
    .sgpr_spill_count: 0
    .symbol:         _ZN7rocprim17ROCPRIM_400000_NS6detail17trampoline_kernelINS0_14default_configENS1_35radix_sort_onesweep_config_selectorIxxEEZZNS1_29radix_sort_onesweep_iterationIS3_Lb0EN6thrust23THRUST_200600_302600_NS6detail15normal_iteratorINS8_10device_ptrIxEEEESD_SD_SD_jNS0_19identity_decomposerENS1_16block_id_wrapperIjLb0EEEEE10hipError_tT1_PNSt15iterator_traitsISI_E10value_typeET2_T3_PNSJ_ISO_E10value_typeET4_T5_PST_SU_PNS1_23onesweep_lookback_stateEbbT6_jjT7_P12ihipStream_tbENKUlT_T0_SI_SN_E_clISD_PxSD_S15_EEDaS11_S12_SI_SN_EUlS11_E_NS1_11comp_targetILNS1_3genE0ELNS1_11target_archE4294967295ELNS1_3gpuE0ELNS1_3repE0EEENS1_47radix_sort_onesweep_sort_config_static_selectorELNS0_4arch9wavefront6targetE1EEEvSI_.kd
    .uniform_work_group_size: 1
    .uses_dynamic_stack: false
    .vgpr_count:     0
    .vgpr_spill_count: 0
    .wavefront_size: 64
  - .agpr_count:     0
    .args:
      - .offset:         0
        .size:           88
        .value_kind:     by_value
      - .offset:         88
        .size:           4
        .value_kind:     hidden_block_count_x
      - .offset:         92
        .size:           4
        .value_kind:     hidden_block_count_y
      - .offset:         96
        .size:           4
        .value_kind:     hidden_block_count_z
      - .offset:         100
        .size:           2
        .value_kind:     hidden_group_size_x
      - .offset:         102
        .size:           2
        .value_kind:     hidden_group_size_y
      - .offset:         104
        .size:           2
        .value_kind:     hidden_group_size_z
      - .offset:         106
        .size:           2
        .value_kind:     hidden_remainder_x
      - .offset:         108
        .size:           2
        .value_kind:     hidden_remainder_y
      - .offset:         110
        .size:           2
        .value_kind:     hidden_remainder_z
      - .offset:         128
        .size:           8
        .value_kind:     hidden_global_offset_x
      - .offset:         136
        .size:           8
        .value_kind:     hidden_global_offset_y
      - .offset:         144
        .size:           8
        .value_kind:     hidden_global_offset_z
      - .offset:         152
        .size:           2
        .value_kind:     hidden_grid_dims
    .group_segment_fixed_size: 53328
    .kernarg_segment_align: 8
    .kernarg_segment_size: 344
    .language:       OpenCL C
    .language_version:
      - 2
      - 0
    .max_flat_workgroup_size: 1024
    .name:           _ZN7rocprim17ROCPRIM_400000_NS6detail17trampoline_kernelINS0_14default_configENS1_35radix_sort_onesweep_config_selectorIxxEEZZNS1_29radix_sort_onesweep_iterationIS3_Lb0EN6thrust23THRUST_200600_302600_NS6detail15normal_iteratorINS8_10device_ptrIxEEEESD_SD_SD_jNS0_19identity_decomposerENS1_16block_id_wrapperIjLb0EEEEE10hipError_tT1_PNSt15iterator_traitsISI_E10value_typeET2_T3_PNSJ_ISO_E10value_typeET4_T5_PST_SU_PNS1_23onesweep_lookback_stateEbbT6_jjT7_P12ihipStream_tbENKUlT_T0_SI_SN_E_clISD_PxSD_S15_EEDaS11_S12_SI_SN_EUlS11_E_NS1_11comp_targetILNS1_3genE6ELNS1_11target_archE950ELNS1_3gpuE13ELNS1_3repE0EEENS1_47radix_sort_onesweep_sort_config_static_selectorELNS0_4arch9wavefront6targetE1EEEvSI_
    .private_segment_fixed_size: 48
    .sgpr_count:     64
    .sgpr_spill_count: 0
    .symbol:         _ZN7rocprim17ROCPRIM_400000_NS6detail17trampoline_kernelINS0_14default_configENS1_35radix_sort_onesweep_config_selectorIxxEEZZNS1_29radix_sort_onesweep_iterationIS3_Lb0EN6thrust23THRUST_200600_302600_NS6detail15normal_iteratorINS8_10device_ptrIxEEEESD_SD_SD_jNS0_19identity_decomposerENS1_16block_id_wrapperIjLb0EEEEE10hipError_tT1_PNSt15iterator_traitsISI_E10value_typeET2_T3_PNSJ_ISO_E10value_typeET4_T5_PST_SU_PNS1_23onesweep_lookback_stateEbbT6_jjT7_P12ihipStream_tbENKUlT_T0_SI_SN_E_clISD_PxSD_S15_EEDaS11_S12_SI_SN_EUlS11_E_NS1_11comp_targetILNS1_3genE6ELNS1_11target_archE950ELNS1_3gpuE13ELNS1_3repE0EEENS1_47radix_sort_onesweep_sort_config_static_selectorELNS0_4arch9wavefront6targetE1EEEvSI_.kd
    .uniform_work_group_size: 1
    .uses_dynamic_stack: false
    .vgpr_count:     58
    .vgpr_spill_count: 0
    .wavefront_size: 64
  - .agpr_count:     0
    .args:
      - .offset:         0
        .size:           88
        .value_kind:     by_value
    .group_segment_fixed_size: 0
    .kernarg_segment_align: 8
    .kernarg_segment_size: 88
    .language:       OpenCL C
    .language_version:
      - 2
      - 0
    .max_flat_workgroup_size: 1024
    .name:           _ZN7rocprim17ROCPRIM_400000_NS6detail17trampoline_kernelINS0_14default_configENS1_35radix_sort_onesweep_config_selectorIxxEEZZNS1_29radix_sort_onesweep_iterationIS3_Lb0EN6thrust23THRUST_200600_302600_NS6detail15normal_iteratorINS8_10device_ptrIxEEEESD_SD_SD_jNS0_19identity_decomposerENS1_16block_id_wrapperIjLb0EEEEE10hipError_tT1_PNSt15iterator_traitsISI_E10value_typeET2_T3_PNSJ_ISO_E10value_typeET4_T5_PST_SU_PNS1_23onesweep_lookback_stateEbbT6_jjT7_P12ihipStream_tbENKUlT_T0_SI_SN_E_clISD_PxSD_S15_EEDaS11_S12_SI_SN_EUlS11_E_NS1_11comp_targetILNS1_3genE5ELNS1_11target_archE942ELNS1_3gpuE9ELNS1_3repE0EEENS1_47radix_sort_onesweep_sort_config_static_selectorELNS0_4arch9wavefront6targetE1EEEvSI_
    .private_segment_fixed_size: 0
    .sgpr_count:     6
    .sgpr_spill_count: 0
    .symbol:         _ZN7rocprim17ROCPRIM_400000_NS6detail17trampoline_kernelINS0_14default_configENS1_35radix_sort_onesweep_config_selectorIxxEEZZNS1_29radix_sort_onesweep_iterationIS3_Lb0EN6thrust23THRUST_200600_302600_NS6detail15normal_iteratorINS8_10device_ptrIxEEEESD_SD_SD_jNS0_19identity_decomposerENS1_16block_id_wrapperIjLb0EEEEE10hipError_tT1_PNSt15iterator_traitsISI_E10value_typeET2_T3_PNSJ_ISO_E10value_typeET4_T5_PST_SU_PNS1_23onesweep_lookback_stateEbbT6_jjT7_P12ihipStream_tbENKUlT_T0_SI_SN_E_clISD_PxSD_S15_EEDaS11_S12_SI_SN_EUlS11_E_NS1_11comp_targetILNS1_3genE5ELNS1_11target_archE942ELNS1_3gpuE9ELNS1_3repE0EEENS1_47radix_sort_onesweep_sort_config_static_selectorELNS0_4arch9wavefront6targetE1EEEvSI_.kd
    .uniform_work_group_size: 1
    .uses_dynamic_stack: false
    .vgpr_count:     0
    .vgpr_spill_count: 0
    .wavefront_size: 64
  - .agpr_count:     0
    .args:
      - .offset:         0
        .size:           88
        .value_kind:     by_value
    .group_segment_fixed_size: 0
    .kernarg_segment_align: 8
    .kernarg_segment_size: 88
    .language:       OpenCL C
    .language_version:
      - 2
      - 0
    .max_flat_workgroup_size: 512
    .name:           _ZN7rocprim17ROCPRIM_400000_NS6detail17trampoline_kernelINS0_14default_configENS1_35radix_sort_onesweep_config_selectorIxxEEZZNS1_29radix_sort_onesweep_iterationIS3_Lb0EN6thrust23THRUST_200600_302600_NS6detail15normal_iteratorINS8_10device_ptrIxEEEESD_SD_SD_jNS0_19identity_decomposerENS1_16block_id_wrapperIjLb0EEEEE10hipError_tT1_PNSt15iterator_traitsISI_E10value_typeET2_T3_PNSJ_ISO_E10value_typeET4_T5_PST_SU_PNS1_23onesweep_lookback_stateEbbT6_jjT7_P12ihipStream_tbENKUlT_T0_SI_SN_E_clISD_PxSD_S15_EEDaS11_S12_SI_SN_EUlS11_E_NS1_11comp_targetILNS1_3genE2ELNS1_11target_archE906ELNS1_3gpuE6ELNS1_3repE0EEENS1_47radix_sort_onesweep_sort_config_static_selectorELNS0_4arch9wavefront6targetE1EEEvSI_
    .private_segment_fixed_size: 0
    .sgpr_count:     6
    .sgpr_spill_count: 0
    .symbol:         _ZN7rocprim17ROCPRIM_400000_NS6detail17trampoline_kernelINS0_14default_configENS1_35radix_sort_onesweep_config_selectorIxxEEZZNS1_29radix_sort_onesweep_iterationIS3_Lb0EN6thrust23THRUST_200600_302600_NS6detail15normal_iteratorINS8_10device_ptrIxEEEESD_SD_SD_jNS0_19identity_decomposerENS1_16block_id_wrapperIjLb0EEEEE10hipError_tT1_PNSt15iterator_traitsISI_E10value_typeET2_T3_PNSJ_ISO_E10value_typeET4_T5_PST_SU_PNS1_23onesweep_lookback_stateEbbT6_jjT7_P12ihipStream_tbENKUlT_T0_SI_SN_E_clISD_PxSD_S15_EEDaS11_S12_SI_SN_EUlS11_E_NS1_11comp_targetILNS1_3genE2ELNS1_11target_archE906ELNS1_3gpuE6ELNS1_3repE0EEENS1_47radix_sort_onesweep_sort_config_static_selectorELNS0_4arch9wavefront6targetE1EEEvSI_.kd
    .uniform_work_group_size: 1
    .uses_dynamic_stack: false
    .vgpr_count:     0
    .vgpr_spill_count: 0
    .wavefront_size: 64
  - .agpr_count:     0
    .args:
      - .offset:         0
        .size:           88
        .value_kind:     by_value
    .group_segment_fixed_size: 0
    .kernarg_segment_align: 8
    .kernarg_segment_size: 88
    .language:       OpenCL C
    .language_version:
      - 2
      - 0
    .max_flat_workgroup_size: 1024
    .name:           _ZN7rocprim17ROCPRIM_400000_NS6detail17trampoline_kernelINS0_14default_configENS1_35radix_sort_onesweep_config_selectorIxxEEZZNS1_29radix_sort_onesweep_iterationIS3_Lb0EN6thrust23THRUST_200600_302600_NS6detail15normal_iteratorINS8_10device_ptrIxEEEESD_SD_SD_jNS0_19identity_decomposerENS1_16block_id_wrapperIjLb0EEEEE10hipError_tT1_PNSt15iterator_traitsISI_E10value_typeET2_T3_PNSJ_ISO_E10value_typeET4_T5_PST_SU_PNS1_23onesweep_lookback_stateEbbT6_jjT7_P12ihipStream_tbENKUlT_T0_SI_SN_E_clISD_PxSD_S15_EEDaS11_S12_SI_SN_EUlS11_E_NS1_11comp_targetILNS1_3genE4ELNS1_11target_archE910ELNS1_3gpuE8ELNS1_3repE0EEENS1_47radix_sort_onesweep_sort_config_static_selectorELNS0_4arch9wavefront6targetE1EEEvSI_
    .private_segment_fixed_size: 0
    .sgpr_count:     6
    .sgpr_spill_count: 0
    .symbol:         _ZN7rocprim17ROCPRIM_400000_NS6detail17trampoline_kernelINS0_14default_configENS1_35radix_sort_onesweep_config_selectorIxxEEZZNS1_29radix_sort_onesweep_iterationIS3_Lb0EN6thrust23THRUST_200600_302600_NS6detail15normal_iteratorINS8_10device_ptrIxEEEESD_SD_SD_jNS0_19identity_decomposerENS1_16block_id_wrapperIjLb0EEEEE10hipError_tT1_PNSt15iterator_traitsISI_E10value_typeET2_T3_PNSJ_ISO_E10value_typeET4_T5_PST_SU_PNS1_23onesweep_lookback_stateEbbT6_jjT7_P12ihipStream_tbENKUlT_T0_SI_SN_E_clISD_PxSD_S15_EEDaS11_S12_SI_SN_EUlS11_E_NS1_11comp_targetILNS1_3genE4ELNS1_11target_archE910ELNS1_3gpuE8ELNS1_3repE0EEENS1_47radix_sort_onesweep_sort_config_static_selectorELNS0_4arch9wavefront6targetE1EEEvSI_.kd
    .uniform_work_group_size: 1
    .uses_dynamic_stack: false
    .vgpr_count:     0
    .vgpr_spill_count: 0
    .wavefront_size: 64
  - .agpr_count:     0
    .args:
      - .offset:         0
        .size:           88
        .value_kind:     by_value
    .group_segment_fixed_size: 0
    .kernarg_segment_align: 8
    .kernarg_segment_size: 88
    .language:       OpenCL C
    .language_version:
      - 2
      - 0
    .max_flat_workgroup_size: 512
    .name:           _ZN7rocprim17ROCPRIM_400000_NS6detail17trampoline_kernelINS0_14default_configENS1_35radix_sort_onesweep_config_selectorIxxEEZZNS1_29radix_sort_onesweep_iterationIS3_Lb0EN6thrust23THRUST_200600_302600_NS6detail15normal_iteratorINS8_10device_ptrIxEEEESD_SD_SD_jNS0_19identity_decomposerENS1_16block_id_wrapperIjLb0EEEEE10hipError_tT1_PNSt15iterator_traitsISI_E10value_typeET2_T3_PNSJ_ISO_E10value_typeET4_T5_PST_SU_PNS1_23onesweep_lookback_stateEbbT6_jjT7_P12ihipStream_tbENKUlT_T0_SI_SN_E_clISD_PxSD_S15_EEDaS11_S12_SI_SN_EUlS11_E_NS1_11comp_targetILNS1_3genE3ELNS1_11target_archE908ELNS1_3gpuE7ELNS1_3repE0EEENS1_47radix_sort_onesweep_sort_config_static_selectorELNS0_4arch9wavefront6targetE1EEEvSI_
    .private_segment_fixed_size: 0
    .sgpr_count:     6
    .sgpr_spill_count: 0
    .symbol:         _ZN7rocprim17ROCPRIM_400000_NS6detail17trampoline_kernelINS0_14default_configENS1_35radix_sort_onesweep_config_selectorIxxEEZZNS1_29radix_sort_onesweep_iterationIS3_Lb0EN6thrust23THRUST_200600_302600_NS6detail15normal_iteratorINS8_10device_ptrIxEEEESD_SD_SD_jNS0_19identity_decomposerENS1_16block_id_wrapperIjLb0EEEEE10hipError_tT1_PNSt15iterator_traitsISI_E10value_typeET2_T3_PNSJ_ISO_E10value_typeET4_T5_PST_SU_PNS1_23onesweep_lookback_stateEbbT6_jjT7_P12ihipStream_tbENKUlT_T0_SI_SN_E_clISD_PxSD_S15_EEDaS11_S12_SI_SN_EUlS11_E_NS1_11comp_targetILNS1_3genE3ELNS1_11target_archE908ELNS1_3gpuE7ELNS1_3repE0EEENS1_47radix_sort_onesweep_sort_config_static_selectorELNS0_4arch9wavefront6targetE1EEEvSI_.kd
    .uniform_work_group_size: 1
    .uses_dynamic_stack: false
    .vgpr_count:     0
    .vgpr_spill_count: 0
    .wavefront_size: 64
  - .agpr_count:     0
    .args:
      - .offset:         0
        .size:           88
        .value_kind:     by_value
    .group_segment_fixed_size: 0
    .kernarg_segment_align: 8
    .kernarg_segment_size: 88
    .language:       OpenCL C
    .language_version:
      - 2
      - 0
    .max_flat_workgroup_size: 1024
    .name:           _ZN7rocprim17ROCPRIM_400000_NS6detail17trampoline_kernelINS0_14default_configENS1_35radix_sort_onesweep_config_selectorIxxEEZZNS1_29radix_sort_onesweep_iterationIS3_Lb0EN6thrust23THRUST_200600_302600_NS6detail15normal_iteratorINS8_10device_ptrIxEEEESD_SD_SD_jNS0_19identity_decomposerENS1_16block_id_wrapperIjLb0EEEEE10hipError_tT1_PNSt15iterator_traitsISI_E10value_typeET2_T3_PNSJ_ISO_E10value_typeET4_T5_PST_SU_PNS1_23onesweep_lookback_stateEbbT6_jjT7_P12ihipStream_tbENKUlT_T0_SI_SN_E_clISD_PxSD_S15_EEDaS11_S12_SI_SN_EUlS11_E_NS1_11comp_targetILNS1_3genE10ELNS1_11target_archE1201ELNS1_3gpuE5ELNS1_3repE0EEENS1_47radix_sort_onesweep_sort_config_static_selectorELNS0_4arch9wavefront6targetE1EEEvSI_
    .private_segment_fixed_size: 0
    .sgpr_count:     6
    .sgpr_spill_count: 0
    .symbol:         _ZN7rocprim17ROCPRIM_400000_NS6detail17trampoline_kernelINS0_14default_configENS1_35radix_sort_onesweep_config_selectorIxxEEZZNS1_29radix_sort_onesweep_iterationIS3_Lb0EN6thrust23THRUST_200600_302600_NS6detail15normal_iteratorINS8_10device_ptrIxEEEESD_SD_SD_jNS0_19identity_decomposerENS1_16block_id_wrapperIjLb0EEEEE10hipError_tT1_PNSt15iterator_traitsISI_E10value_typeET2_T3_PNSJ_ISO_E10value_typeET4_T5_PST_SU_PNS1_23onesweep_lookback_stateEbbT6_jjT7_P12ihipStream_tbENKUlT_T0_SI_SN_E_clISD_PxSD_S15_EEDaS11_S12_SI_SN_EUlS11_E_NS1_11comp_targetILNS1_3genE10ELNS1_11target_archE1201ELNS1_3gpuE5ELNS1_3repE0EEENS1_47radix_sort_onesweep_sort_config_static_selectorELNS0_4arch9wavefront6targetE1EEEvSI_.kd
    .uniform_work_group_size: 1
    .uses_dynamic_stack: false
    .vgpr_count:     0
    .vgpr_spill_count: 0
    .wavefront_size: 64
  - .agpr_count:     0
    .args:
      - .offset:         0
        .size:           88
        .value_kind:     by_value
    .group_segment_fixed_size: 0
    .kernarg_segment_align: 8
    .kernarg_segment_size: 88
    .language:       OpenCL C
    .language_version:
      - 2
      - 0
    .max_flat_workgroup_size: 1024
    .name:           _ZN7rocprim17ROCPRIM_400000_NS6detail17trampoline_kernelINS0_14default_configENS1_35radix_sort_onesweep_config_selectorIxxEEZZNS1_29radix_sort_onesweep_iterationIS3_Lb0EN6thrust23THRUST_200600_302600_NS6detail15normal_iteratorINS8_10device_ptrIxEEEESD_SD_SD_jNS0_19identity_decomposerENS1_16block_id_wrapperIjLb0EEEEE10hipError_tT1_PNSt15iterator_traitsISI_E10value_typeET2_T3_PNSJ_ISO_E10value_typeET4_T5_PST_SU_PNS1_23onesweep_lookback_stateEbbT6_jjT7_P12ihipStream_tbENKUlT_T0_SI_SN_E_clISD_PxSD_S15_EEDaS11_S12_SI_SN_EUlS11_E_NS1_11comp_targetILNS1_3genE9ELNS1_11target_archE1100ELNS1_3gpuE3ELNS1_3repE0EEENS1_47radix_sort_onesweep_sort_config_static_selectorELNS0_4arch9wavefront6targetE1EEEvSI_
    .private_segment_fixed_size: 0
    .sgpr_count:     6
    .sgpr_spill_count: 0
    .symbol:         _ZN7rocprim17ROCPRIM_400000_NS6detail17trampoline_kernelINS0_14default_configENS1_35radix_sort_onesweep_config_selectorIxxEEZZNS1_29radix_sort_onesweep_iterationIS3_Lb0EN6thrust23THRUST_200600_302600_NS6detail15normal_iteratorINS8_10device_ptrIxEEEESD_SD_SD_jNS0_19identity_decomposerENS1_16block_id_wrapperIjLb0EEEEE10hipError_tT1_PNSt15iterator_traitsISI_E10value_typeET2_T3_PNSJ_ISO_E10value_typeET4_T5_PST_SU_PNS1_23onesweep_lookback_stateEbbT6_jjT7_P12ihipStream_tbENKUlT_T0_SI_SN_E_clISD_PxSD_S15_EEDaS11_S12_SI_SN_EUlS11_E_NS1_11comp_targetILNS1_3genE9ELNS1_11target_archE1100ELNS1_3gpuE3ELNS1_3repE0EEENS1_47radix_sort_onesweep_sort_config_static_selectorELNS0_4arch9wavefront6targetE1EEEvSI_.kd
    .uniform_work_group_size: 1
    .uses_dynamic_stack: false
    .vgpr_count:     0
    .vgpr_spill_count: 0
    .wavefront_size: 64
  - .agpr_count:     0
    .args:
      - .offset:         0
        .size:           88
        .value_kind:     by_value
    .group_segment_fixed_size: 0
    .kernarg_segment_align: 8
    .kernarg_segment_size: 88
    .language:       OpenCL C
    .language_version:
      - 2
      - 0
    .max_flat_workgroup_size: 1024
    .name:           _ZN7rocprim17ROCPRIM_400000_NS6detail17trampoline_kernelINS0_14default_configENS1_35radix_sort_onesweep_config_selectorIxxEEZZNS1_29radix_sort_onesweep_iterationIS3_Lb0EN6thrust23THRUST_200600_302600_NS6detail15normal_iteratorINS8_10device_ptrIxEEEESD_SD_SD_jNS0_19identity_decomposerENS1_16block_id_wrapperIjLb0EEEEE10hipError_tT1_PNSt15iterator_traitsISI_E10value_typeET2_T3_PNSJ_ISO_E10value_typeET4_T5_PST_SU_PNS1_23onesweep_lookback_stateEbbT6_jjT7_P12ihipStream_tbENKUlT_T0_SI_SN_E_clISD_PxSD_S15_EEDaS11_S12_SI_SN_EUlS11_E_NS1_11comp_targetILNS1_3genE8ELNS1_11target_archE1030ELNS1_3gpuE2ELNS1_3repE0EEENS1_47radix_sort_onesweep_sort_config_static_selectorELNS0_4arch9wavefront6targetE1EEEvSI_
    .private_segment_fixed_size: 0
    .sgpr_count:     6
    .sgpr_spill_count: 0
    .symbol:         _ZN7rocprim17ROCPRIM_400000_NS6detail17trampoline_kernelINS0_14default_configENS1_35radix_sort_onesweep_config_selectorIxxEEZZNS1_29radix_sort_onesweep_iterationIS3_Lb0EN6thrust23THRUST_200600_302600_NS6detail15normal_iteratorINS8_10device_ptrIxEEEESD_SD_SD_jNS0_19identity_decomposerENS1_16block_id_wrapperIjLb0EEEEE10hipError_tT1_PNSt15iterator_traitsISI_E10value_typeET2_T3_PNSJ_ISO_E10value_typeET4_T5_PST_SU_PNS1_23onesweep_lookback_stateEbbT6_jjT7_P12ihipStream_tbENKUlT_T0_SI_SN_E_clISD_PxSD_S15_EEDaS11_S12_SI_SN_EUlS11_E_NS1_11comp_targetILNS1_3genE8ELNS1_11target_archE1030ELNS1_3gpuE2ELNS1_3repE0EEENS1_47radix_sort_onesweep_sort_config_static_selectorELNS0_4arch9wavefront6targetE1EEEvSI_.kd
    .uniform_work_group_size: 1
    .uses_dynamic_stack: false
    .vgpr_count:     0
    .vgpr_spill_count: 0
    .wavefront_size: 64
  - .agpr_count:     0
    .args:
      - .offset:         0
        .size:           88
        .value_kind:     by_value
    .group_segment_fixed_size: 0
    .kernarg_segment_align: 8
    .kernarg_segment_size: 88
    .language:       OpenCL C
    .language_version:
      - 2
      - 0
    .max_flat_workgroup_size: 512
    .name:           _ZN7rocprim17ROCPRIM_400000_NS6detail17trampoline_kernelINS0_14default_configENS1_35radix_sort_onesweep_config_selectorIxxEEZZNS1_29radix_sort_onesweep_iterationIS3_Lb0EN6thrust23THRUST_200600_302600_NS6detail15normal_iteratorINS8_10device_ptrIxEEEESD_SD_SD_jNS0_19identity_decomposerENS1_16block_id_wrapperIjLb0EEEEE10hipError_tT1_PNSt15iterator_traitsISI_E10value_typeET2_T3_PNSJ_ISO_E10value_typeET4_T5_PST_SU_PNS1_23onesweep_lookback_stateEbbT6_jjT7_P12ihipStream_tbENKUlT_T0_SI_SN_E_clIPxSD_S15_SD_EEDaS11_S12_SI_SN_EUlS11_E_NS1_11comp_targetILNS1_3genE0ELNS1_11target_archE4294967295ELNS1_3gpuE0ELNS1_3repE0EEENS1_47radix_sort_onesweep_sort_config_static_selectorELNS0_4arch9wavefront6targetE1EEEvSI_
    .private_segment_fixed_size: 0
    .sgpr_count:     6
    .sgpr_spill_count: 0
    .symbol:         _ZN7rocprim17ROCPRIM_400000_NS6detail17trampoline_kernelINS0_14default_configENS1_35radix_sort_onesweep_config_selectorIxxEEZZNS1_29radix_sort_onesweep_iterationIS3_Lb0EN6thrust23THRUST_200600_302600_NS6detail15normal_iteratorINS8_10device_ptrIxEEEESD_SD_SD_jNS0_19identity_decomposerENS1_16block_id_wrapperIjLb0EEEEE10hipError_tT1_PNSt15iterator_traitsISI_E10value_typeET2_T3_PNSJ_ISO_E10value_typeET4_T5_PST_SU_PNS1_23onesweep_lookback_stateEbbT6_jjT7_P12ihipStream_tbENKUlT_T0_SI_SN_E_clIPxSD_S15_SD_EEDaS11_S12_SI_SN_EUlS11_E_NS1_11comp_targetILNS1_3genE0ELNS1_11target_archE4294967295ELNS1_3gpuE0ELNS1_3repE0EEENS1_47radix_sort_onesweep_sort_config_static_selectorELNS0_4arch9wavefront6targetE1EEEvSI_.kd
    .uniform_work_group_size: 1
    .uses_dynamic_stack: false
    .vgpr_count:     0
    .vgpr_spill_count: 0
    .wavefront_size: 64
  - .agpr_count:     0
    .args:
      - .offset:         0
        .size:           88
        .value_kind:     by_value
      - .offset:         88
        .size:           4
        .value_kind:     hidden_block_count_x
      - .offset:         92
        .size:           4
        .value_kind:     hidden_block_count_y
      - .offset:         96
        .size:           4
        .value_kind:     hidden_block_count_z
      - .offset:         100
        .size:           2
        .value_kind:     hidden_group_size_x
      - .offset:         102
        .size:           2
        .value_kind:     hidden_group_size_y
      - .offset:         104
        .size:           2
        .value_kind:     hidden_group_size_z
      - .offset:         106
        .size:           2
        .value_kind:     hidden_remainder_x
      - .offset:         108
        .size:           2
        .value_kind:     hidden_remainder_y
      - .offset:         110
        .size:           2
        .value_kind:     hidden_remainder_z
      - .offset:         128
        .size:           8
        .value_kind:     hidden_global_offset_x
      - .offset:         136
        .size:           8
        .value_kind:     hidden_global_offset_y
      - .offset:         144
        .size:           8
        .value_kind:     hidden_global_offset_z
      - .offset:         152
        .size:           2
        .value_kind:     hidden_grid_dims
    .group_segment_fixed_size: 53328
    .kernarg_segment_align: 8
    .kernarg_segment_size: 344
    .language:       OpenCL C
    .language_version:
      - 2
      - 0
    .max_flat_workgroup_size: 1024
    .name:           _ZN7rocprim17ROCPRIM_400000_NS6detail17trampoline_kernelINS0_14default_configENS1_35radix_sort_onesweep_config_selectorIxxEEZZNS1_29radix_sort_onesweep_iterationIS3_Lb0EN6thrust23THRUST_200600_302600_NS6detail15normal_iteratorINS8_10device_ptrIxEEEESD_SD_SD_jNS0_19identity_decomposerENS1_16block_id_wrapperIjLb0EEEEE10hipError_tT1_PNSt15iterator_traitsISI_E10value_typeET2_T3_PNSJ_ISO_E10value_typeET4_T5_PST_SU_PNS1_23onesweep_lookback_stateEbbT6_jjT7_P12ihipStream_tbENKUlT_T0_SI_SN_E_clIPxSD_S15_SD_EEDaS11_S12_SI_SN_EUlS11_E_NS1_11comp_targetILNS1_3genE6ELNS1_11target_archE950ELNS1_3gpuE13ELNS1_3repE0EEENS1_47radix_sort_onesweep_sort_config_static_selectorELNS0_4arch9wavefront6targetE1EEEvSI_
    .private_segment_fixed_size: 48
    .sgpr_count:     64
    .sgpr_spill_count: 0
    .symbol:         _ZN7rocprim17ROCPRIM_400000_NS6detail17trampoline_kernelINS0_14default_configENS1_35radix_sort_onesweep_config_selectorIxxEEZZNS1_29radix_sort_onesweep_iterationIS3_Lb0EN6thrust23THRUST_200600_302600_NS6detail15normal_iteratorINS8_10device_ptrIxEEEESD_SD_SD_jNS0_19identity_decomposerENS1_16block_id_wrapperIjLb0EEEEE10hipError_tT1_PNSt15iterator_traitsISI_E10value_typeET2_T3_PNSJ_ISO_E10value_typeET4_T5_PST_SU_PNS1_23onesweep_lookback_stateEbbT6_jjT7_P12ihipStream_tbENKUlT_T0_SI_SN_E_clIPxSD_S15_SD_EEDaS11_S12_SI_SN_EUlS11_E_NS1_11comp_targetILNS1_3genE6ELNS1_11target_archE950ELNS1_3gpuE13ELNS1_3repE0EEENS1_47radix_sort_onesweep_sort_config_static_selectorELNS0_4arch9wavefront6targetE1EEEvSI_.kd
    .uniform_work_group_size: 1
    .uses_dynamic_stack: false
    .vgpr_count:     58
    .vgpr_spill_count: 0
    .wavefront_size: 64
  - .agpr_count:     0
    .args:
      - .offset:         0
        .size:           88
        .value_kind:     by_value
    .group_segment_fixed_size: 0
    .kernarg_segment_align: 8
    .kernarg_segment_size: 88
    .language:       OpenCL C
    .language_version:
      - 2
      - 0
    .max_flat_workgroup_size: 1024
    .name:           _ZN7rocprim17ROCPRIM_400000_NS6detail17trampoline_kernelINS0_14default_configENS1_35radix_sort_onesweep_config_selectorIxxEEZZNS1_29radix_sort_onesweep_iterationIS3_Lb0EN6thrust23THRUST_200600_302600_NS6detail15normal_iteratorINS8_10device_ptrIxEEEESD_SD_SD_jNS0_19identity_decomposerENS1_16block_id_wrapperIjLb0EEEEE10hipError_tT1_PNSt15iterator_traitsISI_E10value_typeET2_T3_PNSJ_ISO_E10value_typeET4_T5_PST_SU_PNS1_23onesweep_lookback_stateEbbT6_jjT7_P12ihipStream_tbENKUlT_T0_SI_SN_E_clIPxSD_S15_SD_EEDaS11_S12_SI_SN_EUlS11_E_NS1_11comp_targetILNS1_3genE5ELNS1_11target_archE942ELNS1_3gpuE9ELNS1_3repE0EEENS1_47radix_sort_onesweep_sort_config_static_selectorELNS0_4arch9wavefront6targetE1EEEvSI_
    .private_segment_fixed_size: 0
    .sgpr_count:     6
    .sgpr_spill_count: 0
    .symbol:         _ZN7rocprim17ROCPRIM_400000_NS6detail17trampoline_kernelINS0_14default_configENS1_35radix_sort_onesweep_config_selectorIxxEEZZNS1_29radix_sort_onesweep_iterationIS3_Lb0EN6thrust23THRUST_200600_302600_NS6detail15normal_iteratorINS8_10device_ptrIxEEEESD_SD_SD_jNS0_19identity_decomposerENS1_16block_id_wrapperIjLb0EEEEE10hipError_tT1_PNSt15iterator_traitsISI_E10value_typeET2_T3_PNSJ_ISO_E10value_typeET4_T5_PST_SU_PNS1_23onesweep_lookback_stateEbbT6_jjT7_P12ihipStream_tbENKUlT_T0_SI_SN_E_clIPxSD_S15_SD_EEDaS11_S12_SI_SN_EUlS11_E_NS1_11comp_targetILNS1_3genE5ELNS1_11target_archE942ELNS1_3gpuE9ELNS1_3repE0EEENS1_47radix_sort_onesweep_sort_config_static_selectorELNS0_4arch9wavefront6targetE1EEEvSI_.kd
    .uniform_work_group_size: 1
    .uses_dynamic_stack: false
    .vgpr_count:     0
    .vgpr_spill_count: 0
    .wavefront_size: 64
  - .agpr_count:     0
    .args:
      - .offset:         0
        .size:           88
        .value_kind:     by_value
    .group_segment_fixed_size: 0
    .kernarg_segment_align: 8
    .kernarg_segment_size: 88
    .language:       OpenCL C
    .language_version:
      - 2
      - 0
    .max_flat_workgroup_size: 512
    .name:           _ZN7rocprim17ROCPRIM_400000_NS6detail17trampoline_kernelINS0_14default_configENS1_35radix_sort_onesweep_config_selectorIxxEEZZNS1_29radix_sort_onesweep_iterationIS3_Lb0EN6thrust23THRUST_200600_302600_NS6detail15normal_iteratorINS8_10device_ptrIxEEEESD_SD_SD_jNS0_19identity_decomposerENS1_16block_id_wrapperIjLb0EEEEE10hipError_tT1_PNSt15iterator_traitsISI_E10value_typeET2_T3_PNSJ_ISO_E10value_typeET4_T5_PST_SU_PNS1_23onesweep_lookback_stateEbbT6_jjT7_P12ihipStream_tbENKUlT_T0_SI_SN_E_clIPxSD_S15_SD_EEDaS11_S12_SI_SN_EUlS11_E_NS1_11comp_targetILNS1_3genE2ELNS1_11target_archE906ELNS1_3gpuE6ELNS1_3repE0EEENS1_47radix_sort_onesweep_sort_config_static_selectorELNS0_4arch9wavefront6targetE1EEEvSI_
    .private_segment_fixed_size: 0
    .sgpr_count:     6
    .sgpr_spill_count: 0
    .symbol:         _ZN7rocprim17ROCPRIM_400000_NS6detail17trampoline_kernelINS0_14default_configENS1_35radix_sort_onesweep_config_selectorIxxEEZZNS1_29radix_sort_onesweep_iterationIS3_Lb0EN6thrust23THRUST_200600_302600_NS6detail15normal_iteratorINS8_10device_ptrIxEEEESD_SD_SD_jNS0_19identity_decomposerENS1_16block_id_wrapperIjLb0EEEEE10hipError_tT1_PNSt15iterator_traitsISI_E10value_typeET2_T3_PNSJ_ISO_E10value_typeET4_T5_PST_SU_PNS1_23onesweep_lookback_stateEbbT6_jjT7_P12ihipStream_tbENKUlT_T0_SI_SN_E_clIPxSD_S15_SD_EEDaS11_S12_SI_SN_EUlS11_E_NS1_11comp_targetILNS1_3genE2ELNS1_11target_archE906ELNS1_3gpuE6ELNS1_3repE0EEENS1_47radix_sort_onesweep_sort_config_static_selectorELNS0_4arch9wavefront6targetE1EEEvSI_.kd
    .uniform_work_group_size: 1
    .uses_dynamic_stack: false
    .vgpr_count:     0
    .vgpr_spill_count: 0
    .wavefront_size: 64
  - .agpr_count:     0
    .args:
      - .offset:         0
        .size:           88
        .value_kind:     by_value
    .group_segment_fixed_size: 0
    .kernarg_segment_align: 8
    .kernarg_segment_size: 88
    .language:       OpenCL C
    .language_version:
      - 2
      - 0
    .max_flat_workgroup_size: 1024
    .name:           _ZN7rocprim17ROCPRIM_400000_NS6detail17trampoline_kernelINS0_14default_configENS1_35radix_sort_onesweep_config_selectorIxxEEZZNS1_29radix_sort_onesweep_iterationIS3_Lb0EN6thrust23THRUST_200600_302600_NS6detail15normal_iteratorINS8_10device_ptrIxEEEESD_SD_SD_jNS0_19identity_decomposerENS1_16block_id_wrapperIjLb0EEEEE10hipError_tT1_PNSt15iterator_traitsISI_E10value_typeET2_T3_PNSJ_ISO_E10value_typeET4_T5_PST_SU_PNS1_23onesweep_lookback_stateEbbT6_jjT7_P12ihipStream_tbENKUlT_T0_SI_SN_E_clIPxSD_S15_SD_EEDaS11_S12_SI_SN_EUlS11_E_NS1_11comp_targetILNS1_3genE4ELNS1_11target_archE910ELNS1_3gpuE8ELNS1_3repE0EEENS1_47radix_sort_onesweep_sort_config_static_selectorELNS0_4arch9wavefront6targetE1EEEvSI_
    .private_segment_fixed_size: 0
    .sgpr_count:     6
    .sgpr_spill_count: 0
    .symbol:         _ZN7rocprim17ROCPRIM_400000_NS6detail17trampoline_kernelINS0_14default_configENS1_35radix_sort_onesweep_config_selectorIxxEEZZNS1_29radix_sort_onesweep_iterationIS3_Lb0EN6thrust23THRUST_200600_302600_NS6detail15normal_iteratorINS8_10device_ptrIxEEEESD_SD_SD_jNS0_19identity_decomposerENS1_16block_id_wrapperIjLb0EEEEE10hipError_tT1_PNSt15iterator_traitsISI_E10value_typeET2_T3_PNSJ_ISO_E10value_typeET4_T5_PST_SU_PNS1_23onesweep_lookback_stateEbbT6_jjT7_P12ihipStream_tbENKUlT_T0_SI_SN_E_clIPxSD_S15_SD_EEDaS11_S12_SI_SN_EUlS11_E_NS1_11comp_targetILNS1_3genE4ELNS1_11target_archE910ELNS1_3gpuE8ELNS1_3repE0EEENS1_47radix_sort_onesweep_sort_config_static_selectorELNS0_4arch9wavefront6targetE1EEEvSI_.kd
    .uniform_work_group_size: 1
    .uses_dynamic_stack: false
    .vgpr_count:     0
    .vgpr_spill_count: 0
    .wavefront_size: 64
  - .agpr_count:     0
    .args:
      - .offset:         0
        .size:           88
        .value_kind:     by_value
    .group_segment_fixed_size: 0
    .kernarg_segment_align: 8
    .kernarg_segment_size: 88
    .language:       OpenCL C
    .language_version:
      - 2
      - 0
    .max_flat_workgroup_size: 512
    .name:           _ZN7rocprim17ROCPRIM_400000_NS6detail17trampoline_kernelINS0_14default_configENS1_35radix_sort_onesweep_config_selectorIxxEEZZNS1_29radix_sort_onesweep_iterationIS3_Lb0EN6thrust23THRUST_200600_302600_NS6detail15normal_iteratorINS8_10device_ptrIxEEEESD_SD_SD_jNS0_19identity_decomposerENS1_16block_id_wrapperIjLb0EEEEE10hipError_tT1_PNSt15iterator_traitsISI_E10value_typeET2_T3_PNSJ_ISO_E10value_typeET4_T5_PST_SU_PNS1_23onesweep_lookback_stateEbbT6_jjT7_P12ihipStream_tbENKUlT_T0_SI_SN_E_clIPxSD_S15_SD_EEDaS11_S12_SI_SN_EUlS11_E_NS1_11comp_targetILNS1_3genE3ELNS1_11target_archE908ELNS1_3gpuE7ELNS1_3repE0EEENS1_47radix_sort_onesweep_sort_config_static_selectorELNS0_4arch9wavefront6targetE1EEEvSI_
    .private_segment_fixed_size: 0
    .sgpr_count:     6
    .sgpr_spill_count: 0
    .symbol:         _ZN7rocprim17ROCPRIM_400000_NS6detail17trampoline_kernelINS0_14default_configENS1_35radix_sort_onesweep_config_selectorIxxEEZZNS1_29radix_sort_onesweep_iterationIS3_Lb0EN6thrust23THRUST_200600_302600_NS6detail15normal_iteratorINS8_10device_ptrIxEEEESD_SD_SD_jNS0_19identity_decomposerENS1_16block_id_wrapperIjLb0EEEEE10hipError_tT1_PNSt15iterator_traitsISI_E10value_typeET2_T3_PNSJ_ISO_E10value_typeET4_T5_PST_SU_PNS1_23onesweep_lookback_stateEbbT6_jjT7_P12ihipStream_tbENKUlT_T0_SI_SN_E_clIPxSD_S15_SD_EEDaS11_S12_SI_SN_EUlS11_E_NS1_11comp_targetILNS1_3genE3ELNS1_11target_archE908ELNS1_3gpuE7ELNS1_3repE0EEENS1_47radix_sort_onesweep_sort_config_static_selectorELNS0_4arch9wavefront6targetE1EEEvSI_.kd
    .uniform_work_group_size: 1
    .uses_dynamic_stack: false
    .vgpr_count:     0
    .vgpr_spill_count: 0
    .wavefront_size: 64
  - .agpr_count:     0
    .args:
      - .offset:         0
        .size:           88
        .value_kind:     by_value
    .group_segment_fixed_size: 0
    .kernarg_segment_align: 8
    .kernarg_segment_size: 88
    .language:       OpenCL C
    .language_version:
      - 2
      - 0
    .max_flat_workgroup_size: 1024
    .name:           _ZN7rocprim17ROCPRIM_400000_NS6detail17trampoline_kernelINS0_14default_configENS1_35radix_sort_onesweep_config_selectorIxxEEZZNS1_29radix_sort_onesweep_iterationIS3_Lb0EN6thrust23THRUST_200600_302600_NS6detail15normal_iteratorINS8_10device_ptrIxEEEESD_SD_SD_jNS0_19identity_decomposerENS1_16block_id_wrapperIjLb0EEEEE10hipError_tT1_PNSt15iterator_traitsISI_E10value_typeET2_T3_PNSJ_ISO_E10value_typeET4_T5_PST_SU_PNS1_23onesweep_lookback_stateEbbT6_jjT7_P12ihipStream_tbENKUlT_T0_SI_SN_E_clIPxSD_S15_SD_EEDaS11_S12_SI_SN_EUlS11_E_NS1_11comp_targetILNS1_3genE10ELNS1_11target_archE1201ELNS1_3gpuE5ELNS1_3repE0EEENS1_47radix_sort_onesweep_sort_config_static_selectorELNS0_4arch9wavefront6targetE1EEEvSI_
    .private_segment_fixed_size: 0
    .sgpr_count:     6
    .sgpr_spill_count: 0
    .symbol:         _ZN7rocprim17ROCPRIM_400000_NS6detail17trampoline_kernelINS0_14default_configENS1_35radix_sort_onesweep_config_selectorIxxEEZZNS1_29radix_sort_onesweep_iterationIS3_Lb0EN6thrust23THRUST_200600_302600_NS6detail15normal_iteratorINS8_10device_ptrIxEEEESD_SD_SD_jNS0_19identity_decomposerENS1_16block_id_wrapperIjLb0EEEEE10hipError_tT1_PNSt15iterator_traitsISI_E10value_typeET2_T3_PNSJ_ISO_E10value_typeET4_T5_PST_SU_PNS1_23onesweep_lookback_stateEbbT6_jjT7_P12ihipStream_tbENKUlT_T0_SI_SN_E_clIPxSD_S15_SD_EEDaS11_S12_SI_SN_EUlS11_E_NS1_11comp_targetILNS1_3genE10ELNS1_11target_archE1201ELNS1_3gpuE5ELNS1_3repE0EEENS1_47radix_sort_onesweep_sort_config_static_selectorELNS0_4arch9wavefront6targetE1EEEvSI_.kd
    .uniform_work_group_size: 1
    .uses_dynamic_stack: false
    .vgpr_count:     0
    .vgpr_spill_count: 0
    .wavefront_size: 64
  - .agpr_count:     0
    .args:
      - .offset:         0
        .size:           88
        .value_kind:     by_value
    .group_segment_fixed_size: 0
    .kernarg_segment_align: 8
    .kernarg_segment_size: 88
    .language:       OpenCL C
    .language_version:
      - 2
      - 0
    .max_flat_workgroup_size: 1024
    .name:           _ZN7rocprim17ROCPRIM_400000_NS6detail17trampoline_kernelINS0_14default_configENS1_35radix_sort_onesweep_config_selectorIxxEEZZNS1_29radix_sort_onesweep_iterationIS3_Lb0EN6thrust23THRUST_200600_302600_NS6detail15normal_iteratorINS8_10device_ptrIxEEEESD_SD_SD_jNS0_19identity_decomposerENS1_16block_id_wrapperIjLb0EEEEE10hipError_tT1_PNSt15iterator_traitsISI_E10value_typeET2_T3_PNSJ_ISO_E10value_typeET4_T5_PST_SU_PNS1_23onesweep_lookback_stateEbbT6_jjT7_P12ihipStream_tbENKUlT_T0_SI_SN_E_clIPxSD_S15_SD_EEDaS11_S12_SI_SN_EUlS11_E_NS1_11comp_targetILNS1_3genE9ELNS1_11target_archE1100ELNS1_3gpuE3ELNS1_3repE0EEENS1_47radix_sort_onesweep_sort_config_static_selectorELNS0_4arch9wavefront6targetE1EEEvSI_
    .private_segment_fixed_size: 0
    .sgpr_count:     6
    .sgpr_spill_count: 0
    .symbol:         _ZN7rocprim17ROCPRIM_400000_NS6detail17trampoline_kernelINS0_14default_configENS1_35radix_sort_onesweep_config_selectorIxxEEZZNS1_29radix_sort_onesweep_iterationIS3_Lb0EN6thrust23THRUST_200600_302600_NS6detail15normal_iteratorINS8_10device_ptrIxEEEESD_SD_SD_jNS0_19identity_decomposerENS1_16block_id_wrapperIjLb0EEEEE10hipError_tT1_PNSt15iterator_traitsISI_E10value_typeET2_T3_PNSJ_ISO_E10value_typeET4_T5_PST_SU_PNS1_23onesweep_lookback_stateEbbT6_jjT7_P12ihipStream_tbENKUlT_T0_SI_SN_E_clIPxSD_S15_SD_EEDaS11_S12_SI_SN_EUlS11_E_NS1_11comp_targetILNS1_3genE9ELNS1_11target_archE1100ELNS1_3gpuE3ELNS1_3repE0EEENS1_47radix_sort_onesweep_sort_config_static_selectorELNS0_4arch9wavefront6targetE1EEEvSI_.kd
    .uniform_work_group_size: 1
    .uses_dynamic_stack: false
    .vgpr_count:     0
    .vgpr_spill_count: 0
    .wavefront_size: 64
  - .agpr_count:     0
    .args:
      - .offset:         0
        .size:           88
        .value_kind:     by_value
    .group_segment_fixed_size: 0
    .kernarg_segment_align: 8
    .kernarg_segment_size: 88
    .language:       OpenCL C
    .language_version:
      - 2
      - 0
    .max_flat_workgroup_size: 1024
    .name:           _ZN7rocprim17ROCPRIM_400000_NS6detail17trampoline_kernelINS0_14default_configENS1_35radix_sort_onesweep_config_selectorIxxEEZZNS1_29radix_sort_onesweep_iterationIS3_Lb0EN6thrust23THRUST_200600_302600_NS6detail15normal_iteratorINS8_10device_ptrIxEEEESD_SD_SD_jNS0_19identity_decomposerENS1_16block_id_wrapperIjLb0EEEEE10hipError_tT1_PNSt15iterator_traitsISI_E10value_typeET2_T3_PNSJ_ISO_E10value_typeET4_T5_PST_SU_PNS1_23onesweep_lookback_stateEbbT6_jjT7_P12ihipStream_tbENKUlT_T0_SI_SN_E_clIPxSD_S15_SD_EEDaS11_S12_SI_SN_EUlS11_E_NS1_11comp_targetILNS1_3genE8ELNS1_11target_archE1030ELNS1_3gpuE2ELNS1_3repE0EEENS1_47radix_sort_onesweep_sort_config_static_selectorELNS0_4arch9wavefront6targetE1EEEvSI_
    .private_segment_fixed_size: 0
    .sgpr_count:     6
    .sgpr_spill_count: 0
    .symbol:         _ZN7rocprim17ROCPRIM_400000_NS6detail17trampoline_kernelINS0_14default_configENS1_35radix_sort_onesweep_config_selectorIxxEEZZNS1_29radix_sort_onesweep_iterationIS3_Lb0EN6thrust23THRUST_200600_302600_NS6detail15normal_iteratorINS8_10device_ptrIxEEEESD_SD_SD_jNS0_19identity_decomposerENS1_16block_id_wrapperIjLb0EEEEE10hipError_tT1_PNSt15iterator_traitsISI_E10value_typeET2_T3_PNSJ_ISO_E10value_typeET4_T5_PST_SU_PNS1_23onesweep_lookback_stateEbbT6_jjT7_P12ihipStream_tbENKUlT_T0_SI_SN_E_clIPxSD_S15_SD_EEDaS11_S12_SI_SN_EUlS11_E_NS1_11comp_targetILNS1_3genE8ELNS1_11target_archE1030ELNS1_3gpuE2ELNS1_3repE0EEENS1_47radix_sort_onesweep_sort_config_static_selectorELNS0_4arch9wavefront6targetE1EEEvSI_.kd
    .uniform_work_group_size: 1
    .uses_dynamic_stack: false
    .vgpr_count:     0
    .vgpr_spill_count: 0
    .wavefront_size: 64
  - .agpr_count:     0
    .args:
      - .offset:         0
        .size:           104
        .value_kind:     by_value
    .group_segment_fixed_size: 64
    .kernarg_segment_align: 8
    .kernarg_segment_size: 104
    .language:       OpenCL C
    .language_version:
      - 2
      - 0
    .max_flat_workgroup_size: 128
    .name:           _ZN7rocprim17ROCPRIM_400000_NS6detail17trampoline_kernelINS0_14default_configENS1_22reduce_config_selectorIN6thrust23THRUST_200600_302600_NS5tupleIblNS6_9null_typeES8_S8_S8_S8_S8_S8_S8_EEEEZNS1_11reduce_implILb1ES3_NS6_12zip_iteratorINS7_INS6_11hip_rocprim26transform_input_iterator_tIbNSD_35transform_pair_of_input_iterators_tIbNS6_6detail15normal_iteratorINS6_10device_ptrIKxEEEESL_NS6_8equal_toIxEEEENSG_9not_fun_tINSD_8identityEEEEENSD_19counting_iterator_tIlEES8_S8_S8_S8_S8_S8_S8_S8_EEEEPS9_S9_NSD_9__find_if7functorIS9_EEEE10hipError_tPvRmT1_T2_T3_mT4_P12ihipStream_tbEUlT_E0_NS1_11comp_targetILNS1_3genE0ELNS1_11target_archE4294967295ELNS1_3gpuE0ELNS1_3repE0EEENS1_30default_config_static_selectorELNS0_4arch9wavefront6targetE1EEEvS14_
    .private_segment_fixed_size: 0
    .sgpr_count:     34
    .sgpr_spill_count: 0
    .symbol:         _ZN7rocprim17ROCPRIM_400000_NS6detail17trampoline_kernelINS0_14default_configENS1_22reduce_config_selectorIN6thrust23THRUST_200600_302600_NS5tupleIblNS6_9null_typeES8_S8_S8_S8_S8_S8_S8_EEEEZNS1_11reduce_implILb1ES3_NS6_12zip_iteratorINS7_INS6_11hip_rocprim26transform_input_iterator_tIbNSD_35transform_pair_of_input_iterators_tIbNS6_6detail15normal_iteratorINS6_10device_ptrIKxEEEESL_NS6_8equal_toIxEEEENSG_9not_fun_tINSD_8identityEEEEENSD_19counting_iterator_tIlEES8_S8_S8_S8_S8_S8_S8_S8_EEEEPS9_S9_NSD_9__find_if7functorIS9_EEEE10hipError_tPvRmT1_T2_T3_mT4_P12ihipStream_tbEUlT_E0_NS1_11comp_targetILNS1_3genE0ELNS1_11target_archE4294967295ELNS1_3gpuE0ELNS1_3repE0EEENS1_30default_config_static_selectorELNS0_4arch9wavefront6targetE1EEEvS14_.kd
    .uniform_work_group_size: 1
    .uses_dynamic_stack: false
    .vgpr_count:     20
    .vgpr_spill_count: 0
    .wavefront_size: 64
  - .agpr_count:     0
    .args:
      - .offset:         0
        .size:           104
        .value_kind:     by_value
    .group_segment_fixed_size: 0
    .kernarg_segment_align: 8
    .kernarg_segment_size: 104
    .language:       OpenCL C
    .language_version:
      - 2
      - 0
    .max_flat_workgroup_size: 256
    .name:           _ZN7rocprim17ROCPRIM_400000_NS6detail17trampoline_kernelINS0_14default_configENS1_22reduce_config_selectorIN6thrust23THRUST_200600_302600_NS5tupleIblNS6_9null_typeES8_S8_S8_S8_S8_S8_S8_EEEEZNS1_11reduce_implILb1ES3_NS6_12zip_iteratorINS7_INS6_11hip_rocprim26transform_input_iterator_tIbNSD_35transform_pair_of_input_iterators_tIbNS6_6detail15normal_iteratorINS6_10device_ptrIKxEEEESL_NS6_8equal_toIxEEEENSG_9not_fun_tINSD_8identityEEEEENSD_19counting_iterator_tIlEES8_S8_S8_S8_S8_S8_S8_S8_EEEEPS9_S9_NSD_9__find_if7functorIS9_EEEE10hipError_tPvRmT1_T2_T3_mT4_P12ihipStream_tbEUlT_E0_NS1_11comp_targetILNS1_3genE5ELNS1_11target_archE942ELNS1_3gpuE9ELNS1_3repE0EEENS1_30default_config_static_selectorELNS0_4arch9wavefront6targetE1EEEvS14_
    .private_segment_fixed_size: 0
    .sgpr_count:     6
    .sgpr_spill_count: 0
    .symbol:         _ZN7rocprim17ROCPRIM_400000_NS6detail17trampoline_kernelINS0_14default_configENS1_22reduce_config_selectorIN6thrust23THRUST_200600_302600_NS5tupleIblNS6_9null_typeES8_S8_S8_S8_S8_S8_S8_EEEEZNS1_11reduce_implILb1ES3_NS6_12zip_iteratorINS7_INS6_11hip_rocprim26transform_input_iterator_tIbNSD_35transform_pair_of_input_iterators_tIbNS6_6detail15normal_iteratorINS6_10device_ptrIKxEEEESL_NS6_8equal_toIxEEEENSG_9not_fun_tINSD_8identityEEEEENSD_19counting_iterator_tIlEES8_S8_S8_S8_S8_S8_S8_S8_EEEEPS9_S9_NSD_9__find_if7functorIS9_EEEE10hipError_tPvRmT1_T2_T3_mT4_P12ihipStream_tbEUlT_E0_NS1_11comp_targetILNS1_3genE5ELNS1_11target_archE942ELNS1_3gpuE9ELNS1_3repE0EEENS1_30default_config_static_selectorELNS0_4arch9wavefront6targetE1EEEvS14_.kd
    .uniform_work_group_size: 1
    .uses_dynamic_stack: false
    .vgpr_count:     0
    .vgpr_spill_count: 0
    .wavefront_size: 64
  - .agpr_count:     0
    .args:
      - .offset:         0
        .size:           104
        .value_kind:     by_value
    .group_segment_fixed_size: 0
    .kernarg_segment_align: 8
    .kernarg_segment_size: 104
    .language:       OpenCL C
    .language_version:
      - 2
      - 0
    .max_flat_workgroup_size: 256
    .name:           _ZN7rocprim17ROCPRIM_400000_NS6detail17trampoline_kernelINS0_14default_configENS1_22reduce_config_selectorIN6thrust23THRUST_200600_302600_NS5tupleIblNS6_9null_typeES8_S8_S8_S8_S8_S8_S8_EEEEZNS1_11reduce_implILb1ES3_NS6_12zip_iteratorINS7_INS6_11hip_rocprim26transform_input_iterator_tIbNSD_35transform_pair_of_input_iterators_tIbNS6_6detail15normal_iteratorINS6_10device_ptrIKxEEEESL_NS6_8equal_toIxEEEENSG_9not_fun_tINSD_8identityEEEEENSD_19counting_iterator_tIlEES8_S8_S8_S8_S8_S8_S8_S8_EEEEPS9_S9_NSD_9__find_if7functorIS9_EEEE10hipError_tPvRmT1_T2_T3_mT4_P12ihipStream_tbEUlT_E0_NS1_11comp_targetILNS1_3genE4ELNS1_11target_archE910ELNS1_3gpuE8ELNS1_3repE0EEENS1_30default_config_static_selectorELNS0_4arch9wavefront6targetE1EEEvS14_
    .private_segment_fixed_size: 0
    .sgpr_count:     6
    .sgpr_spill_count: 0
    .symbol:         _ZN7rocprim17ROCPRIM_400000_NS6detail17trampoline_kernelINS0_14default_configENS1_22reduce_config_selectorIN6thrust23THRUST_200600_302600_NS5tupleIblNS6_9null_typeES8_S8_S8_S8_S8_S8_S8_EEEEZNS1_11reduce_implILb1ES3_NS6_12zip_iteratorINS7_INS6_11hip_rocprim26transform_input_iterator_tIbNSD_35transform_pair_of_input_iterators_tIbNS6_6detail15normal_iteratorINS6_10device_ptrIKxEEEESL_NS6_8equal_toIxEEEENSG_9not_fun_tINSD_8identityEEEEENSD_19counting_iterator_tIlEES8_S8_S8_S8_S8_S8_S8_S8_EEEEPS9_S9_NSD_9__find_if7functorIS9_EEEE10hipError_tPvRmT1_T2_T3_mT4_P12ihipStream_tbEUlT_E0_NS1_11comp_targetILNS1_3genE4ELNS1_11target_archE910ELNS1_3gpuE8ELNS1_3repE0EEENS1_30default_config_static_selectorELNS0_4arch9wavefront6targetE1EEEvS14_.kd
    .uniform_work_group_size: 1
    .uses_dynamic_stack: false
    .vgpr_count:     0
    .vgpr_spill_count: 0
    .wavefront_size: 64
  - .agpr_count:     0
    .args:
      - .offset:         0
        .size:           104
        .value_kind:     by_value
    .group_segment_fixed_size: 0
    .kernarg_segment_align: 8
    .kernarg_segment_size: 104
    .language:       OpenCL C
    .language_version:
      - 2
      - 0
    .max_flat_workgroup_size: 128
    .name:           _ZN7rocprim17ROCPRIM_400000_NS6detail17trampoline_kernelINS0_14default_configENS1_22reduce_config_selectorIN6thrust23THRUST_200600_302600_NS5tupleIblNS6_9null_typeES8_S8_S8_S8_S8_S8_S8_EEEEZNS1_11reduce_implILb1ES3_NS6_12zip_iteratorINS7_INS6_11hip_rocprim26transform_input_iterator_tIbNSD_35transform_pair_of_input_iterators_tIbNS6_6detail15normal_iteratorINS6_10device_ptrIKxEEEESL_NS6_8equal_toIxEEEENSG_9not_fun_tINSD_8identityEEEEENSD_19counting_iterator_tIlEES8_S8_S8_S8_S8_S8_S8_S8_EEEEPS9_S9_NSD_9__find_if7functorIS9_EEEE10hipError_tPvRmT1_T2_T3_mT4_P12ihipStream_tbEUlT_E0_NS1_11comp_targetILNS1_3genE3ELNS1_11target_archE908ELNS1_3gpuE7ELNS1_3repE0EEENS1_30default_config_static_selectorELNS0_4arch9wavefront6targetE1EEEvS14_
    .private_segment_fixed_size: 0
    .sgpr_count:     6
    .sgpr_spill_count: 0
    .symbol:         _ZN7rocprim17ROCPRIM_400000_NS6detail17trampoline_kernelINS0_14default_configENS1_22reduce_config_selectorIN6thrust23THRUST_200600_302600_NS5tupleIblNS6_9null_typeES8_S8_S8_S8_S8_S8_S8_EEEEZNS1_11reduce_implILb1ES3_NS6_12zip_iteratorINS7_INS6_11hip_rocprim26transform_input_iterator_tIbNSD_35transform_pair_of_input_iterators_tIbNS6_6detail15normal_iteratorINS6_10device_ptrIKxEEEESL_NS6_8equal_toIxEEEENSG_9not_fun_tINSD_8identityEEEEENSD_19counting_iterator_tIlEES8_S8_S8_S8_S8_S8_S8_S8_EEEEPS9_S9_NSD_9__find_if7functorIS9_EEEE10hipError_tPvRmT1_T2_T3_mT4_P12ihipStream_tbEUlT_E0_NS1_11comp_targetILNS1_3genE3ELNS1_11target_archE908ELNS1_3gpuE7ELNS1_3repE0EEENS1_30default_config_static_selectorELNS0_4arch9wavefront6targetE1EEEvS14_.kd
    .uniform_work_group_size: 1
    .uses_dynamic_stack: false
    .vgpr_count:     0
    .vgpr_spill_count: 0
    .wavefront_size: 64
  - .agpr_count:     0
    .args:
      - .offset:         0
        .size:           104
        .value_kind:     by_value
    .group_segment_fixed_size: 0
    .kernarg_segment_align: 8
    .kernarg_segment_size: 104
    .language:       OpenCL C
    .language_version:
      - 2
      - 0
    .max_flat_workgroup_size: 128
    .name:           _ZN7rocprim17ROCPRIM_400000_NS6detail17trampoline_kernelINS0_14default_configENS1_22reduce_config_selectorIN6thrust23THRUST_200600_302600_NS5tupleIblNS6_9null_typeES8_S8_S8_S8_S8_S8_S8_EEEEZNS1_11reduce_implILb1ES3_NS6_12zip_iteratorINS7_INS6_11hip_rocprim26transform_input_iterator_tIbNSD_35transform_pair_of_input_iterators_tIbNS6_6detail15normal_iteratorINS6_10device_ptrIKxEEEESL_NS6_8equal_toIxEEEENSG_9not_fun_tINSD_8identityEEEEENSD_19counting_iterator_tIlEES8_S8_S8_S8_S8_S8_S8_S8_EEEEPS9_S9_NSD_9__find_if7functorIS9_EEEE10hipError_tPvRmT1_T2_T3_mT4_P12ihipStream_tbEUlT_E0_NS1_11comp_targetILNS1_3genE2ELNS1_11target_archE906ELNS1_3gpuE6ELNS1_3repE0EEENS1_30default_config_static_selectorELNS0_4arch9wavefront6targetE1EEEvS14_
    .private_segment_fixed_size: 0
    .sgpr_count:     6
    .sgpr_spill_count: 0
    .symbol:         _ZN7rocprim17ROCPRIM_400000_NS6detail17trampoline_kernelINS0_14default_configENS1_22reduce_config_selectorIN6thrust23THRUST_200600_302600_NS5tupleIblNS6_9null_typeES8_S8_S8_S8_S8_S8_S8_EEEEZNS1_11reduce_implILb1ES3_NS6_12zip_iteratorINS7_INS6_11hip_rocprim26transform_input_iterator_tIbNSD_35transform_pair_of_input_iterators_tIbNS6_6detail15normal_iteratorINS6_10device_ptrIKxEEEESL_NS6_8equal_toIxEEEENSG_9not_fun_tINSD_8identityEEEEENSD_19counting_iterator_tIlEES8_S8_S8_S8_S8_S8_S8_S8_EEEEPS9_S9_NSD_9__find_if7functorIS9_EEEE10hipError_tPvRmT1_T2_T3_mT4_P12ihipStream_tbEUlT_E0_NS1_11comp_targetILNS1_3genE2ELNS1_11target_archE906ELNS1_3gpuE6ELNS1_3repE0EEENS1_30default_config_static_selectorELNS0_4arch9wavefront6targetE1EEEvS14_.kd
    .uniform_work_group_size: 1
    .uses_dynamic_stack: false
    .vgpr_count:     0
    .vgpr_spill_count: 0
    .wavefront_size: 64
  - .agpr_count:     0
    .args:
      - .offset:         0
        .size:           104
        .value_kind:     by_value
    .group_segment_fixed_size: 0
    .kernarg_segment_align: 8
    .kernarg_segment_size: 104
    .language:       OpenCL C
    .language_version:
      - 2
      - 0
    .max_flat_workgroup_size: 256
    .name:           _ZN7rocprim17ROCPRIM_400000_NS6detail17trampoline_kernelINS0_14default_configENS1_22reduce_config_selectorIN6thrust23THRUST_200600_302600_NS5tupleIblNS6_9null_typeES8_S8_S8_S8_S8_S8_S8_EEEEZNS1_11reduce_implILb1ES3_NS6_12zip_iteratorINS7_INS6_11hip_rocprim26transform_input_iterator_tIbNSD_35transform_pair_of_input_iterators_tIbNS6_6detail15normal_iteratorINS6_10device_ptrIKxEEEESL_NS6_8equal_toIxEEEENSG_9not_fun_tINSD_8identityEEEEENSD_19counting_iterator_tIlEES8_S8_S8_S8_S8_S8_S8_S8_EEEEPS9_S9_NSD_9__find_if7functorIS9_EEEE10hipError_tPvRmT1_T2_T3_mT4_P12ihipStream_tbEUlT_E0_NS1_11comp_targetILNS1_3genE10ELNS1_11target_archE1201ELNS1_3gpuE5ELNS1_3repE0EEENS1_30default_config_static_selectorELNS0_4arch9wavefront6targetE1EEEvS14_
    .private_segment_fixed_size: 0
    .sgpr_count:     6
    .sgpr_spill_count: 0
    .symbol:         _ZN7rocprim17ROCPRIM_400000_NS6detail17trampoline_kernelINS0_14default_configENS1_22reduce_config_selectorIN6thrust23THRUST_200600_302600_NS5tupleIblNS6_9null_typeES8_S8_S8_S8_S8_S8_S8_EEEEZNS1_11reduce_implILb1ES3_NS6_12zip_iteratorINS7_INS6_11hip_rocprim26transform_input_iterator_tIbNSD_35transform_pair_of_input_iterators_tIbNS6_6detail15normal_iteratorINS6_10device_ptrIKxEEEESL_NS6_8equal_toIxEEEENSG_9not_fun_tINSD_8identityEEEEENSD_19counting_iterator_tIlEES8_S8_S8_S8_S8_S8_S8_S8_EEEEPS9_S9_NSD_9__find_if7functorIS9_EEEE10hipError_tPvRmT1_T2_T3_mT4_P12ihipStream_tbEUlT_E0_NS1_11comp_targetILNS1_3genE10ELNS1_11target_archE1201ELNS1_3gpuE5ELNS1_3repE0EEENS1_30default_config_static_selectorELNS0_4arch9wavefront6targetE1EEEvS14_.kd
    .uniform_work_group_size: 1
    .uses_dynamic_stack: false
    .vgpr_count:     0
    .vgpr_spill_count: 0
    .wavefront_size: 64
  - .agpr_count:     0
    .args:
      - .offset:         0
        .size:           104
        .value_kind:     by_value
    .group_segment_fixed_size: 0
    .kernarg_segment_align: 8
    .kernarg_segment_size: 104
    .language:       OpenCL C
    .language_version:
      - 2
      - 0
    .max_flat_workgroup_size: 256
    .name:           _ZN7rocprim17ROCPRIM_400000_NS6detail17trampoline_kernelINS0_14default_configENS1_22reduce_config_selectorIN6thrust23THRUST_200600_302600_NS5tupleIblNS6_9null_typeES8_S8_S8_S8_S8_S8_S8_EEEEZNS1_11reduce_implILb1ES3_NS6_12zip_iteratorINS7_INS6_11hip_rocprim26transform_input_iterator_tIbNSD_35transform_pair_of_input_iterators_tIbNS6_6detail15normal_iteratorINS6_10device_ptrIKxEEEESL_NS6_8equal_toIxEEEENSG_9not_fun_tINSD_8identityEEEEENSD_19counting_iterator_tIlEES8_S8_S8_S8_S8_S8_S8_S8_EEEEPS9_S9_NSD_9__find_if7functorIS9_EEEE10hipError_tPvRmT1_T2_T3_mT4_P12ihipStream_tbEUlT_E0_NS1_11comp_targetILNS1_3genE10ELNS1_11target_archE1200ELNS1_3gpuE4ELNS1_3repE0EEENS1_30default_config_static_selectorELNS0_4arch9wavefront6targetE1EEEvS14_
    .private_segment_fixed_size: 0
    .sgpr_count:     6
    .sgpr_spill_count: 0
    .symbol:         _ZN7rocprim17ROCPRIM_400000_NS6detail17trampoline_kernelINS0_14default_configENS1_22reduce_config_selectorIN6thrust23THRUST_200600_302600_NS5tupleIblNS6_9null_typeES8_S8_S8_S8_S8_S8_S8_EEEEZNS1_11reduce_implILb1ES3_NS6_12zip_iteratorINS7_INS6_11hip_rocprim26transform_input_iterator_tIbNSD_35transform_pair_of_input_iterators_tIbNS6_6detail15normal_iteratorINS6_10device_ptrIKxEEEESL_NS6_8equal_toIxEEEENSG_9not_fun_tINSD_8identityEEEEENSD_19counting_iterator_tIlEES8_S8_S8_S8_S8_S8_S8_S8_EEEEPS9_S9_NSD_9__find_if7functorIS9_EEEE10hipError_tPvRmT1_T2_T3_mT4_P12ihipStream_tbEUlT_E0_NS1_11comp_targetILNS1_3genE10ELNS1_11target_archE1200ELNS1_3gpuE4ELNS1_3repE0EEENS1_30default_config_static_selectorELNS0_4arch9wavefront6targetE1EEEvS14_.kd
    .uniform_work_group_size: 1
    .uses_dynamic_stack: false
    .vgpr_count:     0
    .vgpr_spill_count: 0
    .wavefront_size: 64
  - .agpr_count:     0
    .args:
      - .offset:         0
        .size:           104
        .value_kind:     by_value
    .group_segment_fixed_size: 0
    .kernarg_segment_align: 8
    .kernarg_segment_size: 104
    .language:       OpenCL C
    .language_version:
      - 2
      - 0
    .max_flat_workgroup_size: 256
    .name:           _ZN7rocprim17ROCPRIM_400000_NS6detail17trampoline_kernelINS0_14default_configENS1_22reduce_config_selectorIN6thrust23THRUST_200600_302600_NS5tupleIblNS6_9null_typeES8_S8_S8_S8_S8_S8_S8_EEEEZNS1_11reduce_implILb1ES3_NS6_12zip_iteratorINS7_INS6_11hip_rocprim26transform_input_iterator_tIbNSD_35transform_pair_of_input_iterators_tIbNS6_6detail15normal_iteratorINS6_10device_ptrIKxEEEESL_NS6_8equal_toIxEEEENSG_9not_fun_tINSD_8identityEEEEENSD_19counting_iterator_tIlEES8_S8_S8_S8_S8_S8_S8_S8_EEEEPS9_S9_NSD_9__find_if7functorIS9_EEEE10hipError_tPvRmT1_T2_T3_mT4_P12ihipStream_tbEUlT_E0_NS1_11comp_targetILNS1_3genE9ELNS1_11target_archE1100ELNS1_3gpuE3ELNS1_3repE0EEENS1_30default_config_static_selectorELNS0_4arch9wavefront6targetE1EEEvS14_
    .private_segment_fixed_size: 0
    .sgpr_count:     6
    .sgpr_spill_count: 0
    .symbol:         _ZN7rocprim17ROCPRIM_400000_NS6detail17trampoline_kernelINS0_14default_configENS1_22reduce_config_selectorIN6thrust23THRUST_200600_302600_NS5tupleIblNS6_9null_typeES8_S8_S8_S8_S8_S8_S8_EEEEZNS1_11reduce_implILb1ES3_NS6_12zip_iteratorINS7_INS6_11hip_rocprim26transform_input_iterator_tIbNSD_35transform_pair_of_input_iterators_tIbNS6_6detail15normal_iteratorINS6_10device_ptrIKxEEEESL_NS6_8equal_toIxEEEENSG_9not_fun_tINSD_8identityEEEEENSD_19counting_iterator_tIlEES8_S8_S8_S8_S8_S8_S8_S8_EEEEPS9_S9_NSD_9__find_if7functorIS9_EEEE10hipError_tPvRmT1_T2_T3_mT4_P12ihipStream_tbEUlT_E0_NS1_11comp_targetILNS1_3genE9ELNS1_11target_archE1100ELNS1_3gpuE3ELNS1_3repE0EEENS1_30default_config_static_selectorELNS0_4arch9wavefront6targetE1EEEvS14_.kd
    .uniform_work_group_size: 1
    .uses_dynamic_stack: false
    .vgpr_count:     0
    .vgpr_spill_count: 0
    .wavefront_size: 64
  - .agpr_count:     0
    .args:
      - .offset:         0
        .size:           104
        .value_kind:     by_value
    .group_segment_fixed_size: 0
    .kernarg_segment_align: 8
    .kernarg_segment_size: 104
    .language:       OpenCL C
    .language_version:
      - 2
      - 0
    .max_flat_workgroup_size: 256
    .name:           _ZN7rocprim17ROCPRIM_400000_NS6detail17trampoline_kernelINS0_14default_configENS1_22reduce_config_selectorIN6thrust23THRUST_200600_302600_NS5tupleIblNS6_9null_typeES8_S8_S8_S8_S8_S8_S8_EEEEZNS1_11reduce_implILb1ES3_NS6_12zip_iteratorINS7_INS6_11hip_rocprim26transform_input_iterator_tIbNSD_35transform_pair_of_input_iterators_tIbNS6_6detail15normal_iteratorINS6_10device_ptrIKxEEEESL_NS6_8equal_toIxEEEENSG_9not_fun_tINSD_8identityEEEEENSD_19counting_iterator_tIlEES8_S8_S8_S8_S8_S8_S8_S8_EEEEPS9_S9_NSD_9__find_if7functorIS9_EEEE10hipError_tPvRmT1_T2_T3_mT4_P12ihipStream_tbEUlT_E0_NS1_11comp_targetILNS1_3genE8ELNS1_11target_archE1030ELNS1_3gpuE2ELNS1_3repE0EEENS1_30default_config_static_selectorELNS0_4arch9wavefront6targetE1EEEvS14_
    .private_segment_fixed_size: 0
    .sgpr_count:     6
    .sgpr_spill_count: 0
    .symbol:         _ZN7rocprim17ROCPRIM_400000_NS6detail17trampoline_kernelINS0_14default_configENS1_22reduce_config_selectorIN6thrust23THRUST_200600_302600_NS5tupleIblNS6_9null_typeES8_S8_S8_S8_S8_S8_S8_EEEEZNS1_11reduce_implILb1ES3_NS6_12zip_iteratorINS7_INS6_11hip_rocprim26transform_input_iterator_tIbNSD_35transform_pair_of_input_iterators_tIbNS6_6detail15normal_iteratorINS6_10device_ptrIKxEEEESL_NS6_8equal_toIxEEEENSG_9not_fun_tINSD_8identityEEEEENSD_19counting_iterator_tIlEES8_S8_S8_S8_S8_S8_S8_S8_EEEEPS9_S9_NSD_9__find_if7functorIS9_EEEE10hipError_tPvRmT1_T2_T3_mT4_P12ihipStream_tbEUlT_E0_NS1_11comp_targetILNS1_3genE8ELNS1_11target_archE1030ELNS1_3gpuE2ELNS1_3repE0EEENS1_30default_config_static_selectorELNS0_4arch9wavefront6targetE1EEEvS14_.kd
    .uniform_work_group_size: 1
    .uses_dynamic_stack: false
    .vgpr_count:     0
    .vgpr_spill_count: 0
    .wavefront_size: 64
  - .agpr_count:     0
    .args:
      - .offset:         0
        .size:           88
        .value_kind:     by_value
    .group_segment_fixed_size: 160
    .kernarg_segment_align: 8
    .kernarg_segment_size: 88
    .language:       OpenCL C
    .language_version:
      - 2
      - 0
    .max_flat_workgroup_size: 128
    .name:           _ZN7rocprim17ROCPRIM_400000_NS6detail17trampoline_kernelINS0_14default_configENS1_22reduce_config_selectorIN6thrust23THRUST_200600_302600_NS5tupleIblNS6_9null_typeES8_S8_S8_S8_S8_S8_S8_EEEEZNS1_11reduce_implILb1ES3_NS6_12zip_iteratorINS7_INS6_11hip_rocprim26transform_input_iterator_tIbNSD_35transform_pair_of_input_iterators_tIbNS6_6detail15normal_iteratorINS6_10device_ptrIKxEEEESL_NS6_8equal_toIxEEEENSG_9not_fun_tINSD_8identityEEEEENSD_19counting_iterator_tIlEES8_S8_S8_S8_S8_S8_S8_S8_EEEEPS9_S9_NSD_9__find_if7functorIS9_EEEE10hipError_tPvRmT1_T2_T3_mT4_P12ihipStream_tbEUlT_E1_NS1_11comp_targetILNS1_3genE0ELNS1_11target_archE4294967295ELNS1_3gpuE0ELNS1_3repE0EEENS1_30default_config_static_selectorELNS0_4arch9wavefront6targetE1EEEvS14_
    .private_segment_fixed_size: 0
    .sgpr_count:     46
    .sgpr_spill_count: 0
    .symbol:         _ZN7rocprim17ROCPRIM_400000_NS6detail17trampoline_kernelINS0_14default_configENS1_22reduce_config_selectorIN6thrust23THRUST_200600_302600_NS5tupleIblNS6_9null_typeES8_S8_S8_S8_S8_S8_S8_EEEEZNS1_11reduce_implILb1ES3_NS6_12zip_iteratorINS7_INS6_11hip_rocprim26transform_input_iterator_tIbNSD_35transform_pair_of_input_iterators_tIbNS6_6detail15normal_iteratorINS6_10device_ptrIKxEEEESL_NS6_8equal_toIxEEEENSG_9not_fun_tINSD_8identityEEEEENSD_19counting_iterator_tIlEES8_S8_S8_S8_S8_S8_S8_S8_EEEEPS9_S9_NSD_9__find_if7functorIS9_EEEE10hipError_tPvRmT1_T2_T3_mT4_P12ihipStream_tbEUlT_E1_NS1_11comp_targetILNS1_3genE0ELNS1_11target_archE4294967295ELNS1_3gpuE0ELNS1_3repE0EEENS1_30default_config_static_selectorELNS0_4arch9wavefront6targetE1EEEvS14_.kd
    .uniform_work_group_size: 1
    .uses_dynamic_stack: false
    .vgpr_count:     45
    .vgpr_spill_count: 0
    .wavefront_size: 64
  - .agpr_count:     0
    .args:
      - .offset:         0
        .size:           88
        .value_kind:     by_value
    .group_segment_fixed_size: 0
    .kernarg_segment_align: 8
    .kernarg_segment_size: 88
    .language:       OpenCL C
    .language_version:
      - 2
      - 0
    .max_flat_workgroup_size: 256
    .name:           _ZN7rocprim17ROCPRIM_400000_NS6detail17trampoline_kernelINS0_14default_configENS1_22reduce_config_selectorIN6thrust23THRUST_200600_302600_NS5tupleIblNS6_9null_typeES8_S8_S8_S8_S8_S8_S8_EEEEZNS1_11reduce_implILb1ES3_NS6_12zip_iteratorINS7_INS6_11hip_rocprim26transform_input_iterator_tIbNSD_35transform_pair_of_input_iterators_tIbNS6_6detail15normal_iteratorINS6_10device_ptrIKxEEEESL_NS6_8equal_toIxEEEENSG_9not_fun_tINSD_8identityEEEEENSD_19counting_iterator_tIlEES8_S8_S8_S8_S8_S8_S8_S8_EEEEPS9_S9_NSD_9__find_if7functorIS9_EEEE10hipError_tPvRmT1_T2_T3_mT4_P12ihipStream_tbEUlT_E1_NS1_11comp_targetILNS1_3genE5ELNS1_11target_archE942ELNS1_3gpuE9ELNS1_3repE0EEENS1_30default_config_static_selectorELNS0_4arch9wavefront6targetE1EEEvS14_
    .private_segment_fixed_size: 0
    .sgpr_count:     6
    .sgpr_spill_count: 0
    .symbol:         _ZN7rocprim17ROCPRIM_400000_NS6detail17trampoline_kernelINS0_14default_configENS1_22reduce_config_selectorIN6thrust23THRUST_200600_302600_NS5tupleIblNS6_9null_typeES8_S8_S8_S8_S8_S8_S8_EEEEZNS1_11reduce_implILb1ES3_NS6_12zip_iteratorINS7_INS6_11hip_rocprim26transform_input_iterator_tIbNSD_35transform_pair_of_input_iterators_tIbNS6_6detail15normal_iteratorINS6_10device_ptrIKxEEEESL_NS6_8equal_toIxEEEENSG_9not_fun_tINSD_8identityEEEEENSD_19counting_iterator_tIlEES8_S8_S8_S8_S8_S8_S8_S8_EEEEPS9_S9_NSD_9__find_if7functorIS9_EEEE10hipError_tPvRmT1_T2_T3_mT4_P12ihipStream_tbEUlT_E1_NS1_11comp_targetILNS1_3genE5ELNS1_11target_archE942ELNS1_3gpuE9ELNS1_3repE0EEENS1_30default_config_static_selectorELNS0_4arch9wavefront6targetE1EEEvS14_.kd
    .uniform_work_group_size: 1
    .uses_dynamic_stack: false
    .vgpr_count:     0
    .vgpr_spill_count: 0
    .wavefront_size: 64
  - .agpr_count:     0
    .args:
      - .offset:         0
        .size:           88
        .value_kind:     by_value
    .group_segment_fixed_size: 0
    .kernarg_segment_align: 8
    .kernarg_segment_size: 88
    .language:       OpenCL C
    .language_version:
      - 2
      - 0
    .max_flat_workgroup_size: 256
    .name:           _ZN7rocprim17ROCPRIM_400000_NS6detail17trampoline_kernelINS0_14default_configENS1_22reduce_config_selectorIN6thrust23THRUST_200600_302600_NS5tupleIblNS6_9null_typeES8_S8_S8_S8_S8_S8_S8_EEEEZNS1_11reduce_implILb1ES3_NS6_12zip_iteratorINS7_INS6_11hip_rocprim26transform_input_iterator_tIbNSD_35transform_pair_of_input_iterators_tIbNS6_6detail15normal_iteratorINS6_10device_ptrIKxEEEESL_NS6_8equal_toIxEEEENSG_9not_fun_tINSD_8identityEEEEENSD_19counting_iterator_tIlEES8_S8_S8_S8_S8_S8_S8_S8_EEEEPS9_S9_NSD_9__find_if7functorIS9_EEEE10hipError_tPvRmT1_T2_T3_mT4_P12ihipStream_tbEUlT_E1_NS1_11comp_targetILNS1_3genE4ELNS1_11target_archE910ELNS1_3gpuE8ELNS1_3repE0EEENS1_30default_config_static_selectorELNS0_4arch9wavefront6targetE1EEEvS14_
    .private_segment_fixed_size: 0
    .sgpr_count:     6
    .sgpr_spill_count: 0
    .symbol:         _ZN7rocprim17ROCPRIM_400000_NS6detail17trampoline_kernelINS0_14default_configENS1_22reduce_config_selectorIN6thrust23THRUST_200600_302600_NS5tupleIblNS6_9null_typeES8_S8_S8_S8_S8_S8_S8_EEEEZNS1_11reduce_implILb1ES3_NS6_12zip_iteratorINS7_INS6_11hip_rocprim26transform_input_iterator_tIbNSD_35transform_pair_of_input_iterators_tIbNS6_6detail15normal_iteratorINS6_10device_ptrIKxEEEESL_NS6_8equal_toIxEEEENSG_9not_fun_tINSD_8identityEEEEENSD_19counting_iterator_tIlEES8_S8_S8_S8_S8_S8_S8_S8_EEEEPS9_S9_NSD_9__find_if7functorIS9_EEEE10hipError_tPvRmT1_T2_T3_mT4_P12ihipStream_tbEUlT_E1_NS1_11comp_targetILNS1_3genE4ELNS1_11target_archE910ELNS1_3gpuE8ELNS1_3repE0EEENS1_30default_config_static_selectorELNS0_4arch9wavefront6targetE1EEEvS14_.kd
    .uniform_work_group_size: 1
    .uses_dynamic_stack: false
    .vgpr_count:     0
    .vgpr_spill_count: 0
    .wavefront_size: 64
  - .agpr_count:     0
    .args:
      - .offset:         0
        .size:           88
        .value_kind:     by_value
    .group_segment_fixed_size: 0
    .kernarg_segment_align: 8
    .kernarg_segment_size: 88
    .language:       OpenCL C
    .language_version:
      - 2
      - 0
    .max_flat_workgroup_size: 128
    .name:           _ZN7rocprim17ROCPRIM_400000_NS6detail17trampoline_kernelINS0_14default_configENS1_22reduce_config_selectorIN6thrust23THRUST_200600_302600_NS5tupleIblNS6_9null_typeES8_S8_S8_S8_S8_S8_S8_EEEEZNS1_11reduce_implILb1ES3_NS6_12zip_iteratorINS7_INS6_11hip_rocprim26transform_input_iterator_tIbNSD_35transform_pair_of_input_iterators_tIbNS6_6detail15normal_iteratorINS6_10device_ptrIKxEEEESL_NS6_8equal_toIxEEEENSG_9not_fun_tINSD_8identityEEEEENSD_19counting_iterator_tIlEES8_S8_S8_S8_S8_S8_S8_S8_EEEEPS9_S9_NSD_9__find_if7functorIS9_EEEE10hipError_tPvRmT1_T2_T3_mT4_P12ihipStream_tbEUlT_E1_NS1_11comp_targetILNS1_3genE3ELNS1_11target_archE908ELNS1_3gpuE7ELNS1_3repE0EEENS1_30default_config_static_selectorELNS0_4arch9wavefront6targetE1EEEvS14_
    .private_segment_fixed_size: 0
    .sgpr_count:     6
    .sgpr_spill_count: 0
    .symbol:         _ZN7rocprim17ROCPRIM_400000_NS6detail17trampoline_kernelINS0_14default_configENS1_22reduce_config_selectorIN6thrust23THRUST_200600_302600_NS5tupleIblNS6_9null_typeES8_S8_S8_S8_S8_S8_S8_EEEEZNS1_11reduce_implILb1ES3_NS6_12zip_iteratorINS7_INS6_11hip_rocprim26transform_input_iterator_tIbNSD_35transform_pair_of_input_iterators_tIbNS6_6detail15normal_iteratorINS6_10device_ptrIKxEEEESL_NS6_8equal_toIxEEEENSG_9not_fun_tINSD_8identityEEEEENSD_19counting_iterator_tIlEES8_S8_S8_S8_S8_S8_S8_S8_EEEEPS9_S9_NSD_9__find_if7functorIS9_EEEE10hipError_tPvRmT1_T2_T3_mT4_P12ihipStream_tbEUlT_E1_NS1_11comp_targetILNS1_3genE3ELNS1_11target_archE908ELNS1_3gpuE7ELNS1_3repE0EEENS1_30default_config_static_selectorELNS0_4arch9wavefront6targetE1EEEvS14_.kd
    .uniform_work_group_size: 1
    .uses_dynamic_stack: false
    .vgpr_count:     0
    .vgpr_spill_count: 0
    .wavefront_size: 64
  - .agpr_count:     0
    .args:
      - .offset:         0
        .size:           88
        .value_kind:     by_value
    .group_segment_fixed_size: 0
    .kernarg_segment_align: 8
    .kernarg_segment_size: 88
    .language:       OpenCL C
    .language_version:
      - 2
      - 0
    .max_flat_workgroup_size: 128
    .name:           _ZN7rocprim17ROCPRIM_400000_NS6detail17trampoline_kernelINS0_14default_configENS1_22reduce_config_selectorIN6thrust23THRUST_200600_302600_NS5tupleIblNS6_9null_typeES8_S8_S8_S8_S8_S8_S8_EEEEZNS1_11reduce_implILb1ES3_NS6_12zip_iteratorINS7_INS6_11hip_rocprim26transform_input_iterator_tIbNSD_35transform_pair_of_input_iterators_tIbNS6_6detail15normal_iteratorINS6_10device_ptrIKxEEEESL_NS6_8equal_toIxEEEENSG_9not_fun_tINSD_8identityEEEEENSD_19counting_iterator_tIlEES8_S8_S8_S8_S8_S8_S8_S8_EEEEPS9_S9_NSD_9__find_if7functorIS9_EEEE10hipError_tPvRmT1_T2_T3_mT4_P12ihipStream_tbEUlT_E1_NS1_11comp_targetILNS1_3genE2ELNS1_11target_archE906ELNS1_3gpuE6ELNS1_3repE0EEENS1_30default_config_static_selectorELNS0_4arch9wavefront6targetE1EEEvS14_
    .private_segment_fixed_size: 0
    .sgpr_count:     6
    .sgpr_spill_count: 0
    .symbol:         _ZN7rocprim17ROCPRIM_400000_NS6detail17trampoline_kernelINS0_14default_configENS1_22reduce_config_selectorIN6thrust23THRUST_200600_302600_NS5tupleIblNS6_9null_typeES8_S8_S8_S8_S8_S8_S8_EEEEZNS1_11reduce_implILb1ES3_NS6_12zip_iteratorINS7_INS6_11hip_rocprim26transform_input_iterator_tIbNSD_35transform_pair_of_input_iterators_tIbNS6_6detail15normal_iteratorINS6_10device_ptrIKxEEEESL_NS6_8equal_toIxEEEENSG_9not_fun_tINSD_8identityEEEEENSD_19counting_iterator_tIlEES8_S8_S8_S8_S8_S8_S8_S8_EEEEPS9_S9_NSD_9__find_if7functorIS9_EEEE10hipError_tPvRmT1_T2_T3_mT4_P12ihipStream_tbEUlT_E1_NS1_11comp_targetILNS1_3genE2ELNS1_11target_archE906ELNS1_3gpuE6ELNS1_3repE0EEENS1_30default_config_static_selectorELNS0_4arch9wavefront6targetE1EEEvS14_.kd
    .uniform_work_group_size: 1
    .uses_dynamic_stack: false
    .vgpr_count:     0
    .vgpr_spill_count: 0
    .wavefront_size: 64
  - .agpr_count:     0
    .args:
      - .offset:         0
        .size:           88
        .value_kind:     by_value
    .group_segment_fixed_size: 0
    .kernarg_segment_align: 8
    .kernarg_segment_size: 88
    .language:       OpenCL C
    .language_version:
      - 2
      - 0
    .max_flat_workgroup_size: 256
    .name:           _ZN7rocprim17ROCPRIM_400000_NS6detail17trampoline_kernelINS0_14default_configENS1_22reduce_config_selectorIN6thrust23THRUST_200600_302600_NS5tupleIblNS6_9null_typeES8_S8_S8_S8_S8_S8_S8_EEEEZNS1_11reduce_implILb1ES3_NS6_12zip_iteratorINS7_INS6_11hip_rocprim26transform_input_iterator_tIbNSD_35transform_pair_of_input_iterators_tIbNS6_6detail15normal_iteratorINS6_10device_ptrIKxEEEESL_NS6_8equal_toIxEEEENSG_9not_fun_tINSD_8identityEEEEENSD_19counting_iterator_tIlEES8_S8_S8_S8_S8_S8_S8_S8_EEEEPS9_S9_NSD_9__find_if7functorIS9_EEEE10hipError_tPvRmT1_T2_T3_mT4_P12ihipStream_tbEUlT_E1_NS1_11comp_targetILNS1_3genE10ELNS1_11target_archE1201ELNS1_3gpuE5ELNS1_3repE0EEENS1_30default_config_static_selectorELNS0_4arch9wavefront6targetE1EEEvS14_
    .private_segment_fixed_size: 0
    .sgpr_count:     6
    .sgpr_spill_count: 0
    .symbol:         _ZN7rocprim17ROCPRIM_400000_NS6detail17trampoline_kernelINS0_14default_configENS1_22reduce_config_selectorIN6thrust23THRUST_200600_302600_NS5tupleIblNS6_9null_typeES8_S8_S8_S8_S8_S8_S8_EEEEZNS1_11reduce_implILb1ES3_NS6_12zip_iteratorINS7_INS6_11hip_rocprim26transform_input_iterator_tIbNSD_35transform_pair_of_input_iterators_tIbNS6_6detail15normal_iteratorINS6_10device_ptrIKxEEEESL_NS6_8equal_toIxEEEENSG_9not_fun_tINSD_8identityEEEEENSD_19counting_iterator_tIlEES8_S8_S8_S8_S8_S8_S8_S8_EEEEPS9_S9_NSD_9__find_if7functorIS9_EEEE10hipError_tPvRmT1_T2_T3_mT4_P12ihipStream_tbEUlT_E1_NS1_11comp_targetILNS1_3genE10ELNS1_11target_archE1201ELNS1_3gpuE5ELNS1_3repE0EEENS1_30default_config_static_selectorELNS0_4arch9wavefront6targetE1EEEvS14_.kd
    .uniform_work_group_size: 1
    .uses_dynamic_stack: false
    .vgpr_count:     0
    .vgpr_spill_count: 0
    .wavefront_size: 64
  - .agpr_count:     0
    .args:
      - .offset:         0
        .size:           88
        .value_kind:     by_value
    .group_segment_fixed_size: 0
    .kernarg_segment_align: 8
    .kernarg_segment_size: 88
    .language:       OpenCL C
    .language_version:
      - 2
      - 0
    .max_flat_workgroup_size: 256
    .name:           _ZN7rocprim17ROCPRIM_400000_NS6detail17trampoline_kernelINS0_14default_configENS1_22reduce_config_selectorIN6thrust23THRUST_200600_302600_NS5tupleIblNS6_9null_typeES8_S8_S8_S8_S8_S8_S8_EEEEZNS1_11reduce_implILb1ES3_NS6_12zip_iteratorINS7_INS6_11hip_rocprim26transform_input_iterator_tIbNSD_35transform_pair_of_input_iterators_tIbNS6_6detail15normal_iteratorINS6_10device_ptrIKxEEEESL_NS6_8equal_toIxEEEENSG_9not_fun_tINSD_8identityEEEEENSD_19counting_iterator_tIlEES8_S8_S8_S8_S8_S8_S8_S8_EEEEPS9_S9_NSD_9__find_if7functorIS9_EEEE10hipError_tPvRmT1_T2_T3_mT4_P12ihipStream_tbEUlT_E1_NS1_11comp_targetILNS1_3genE10ELNS1_11target_archE1200ELNS1_3gpuE4ELNS1_3repE0EEENS1_30default_config_static_selectorELNS0_4arch9wavefront6targetE1EEEvS14_
    .private_segment_fixed_size: 0
    .sgpr_count:     6
    .sgpr_spill_count: 0
    .symbol:         _ZN7rocprim17ROCPRIM_400000_NS6detail17trampoline_kernelINS0_14default_configENS1_22reduce_config_selectorIN6thrust23THRUST_200600_302600_NS5tupleIblNS6_9null_typeES8_S8_S8_S8_S8_S8_S8_EEEEZNS1_11reduce_implILb1ES3_NS6_12zip_iteratorINS7_INS6_11hip_rocprim26transform_input_iterator_tIbNSD_35transform_pair_of_input_iterators_tIbNS6_6detail15normal_iteratorINS6_10device_ptrIKxEEEESL_NS6_8equal_toIxEEEENSG_9not_fun_tINSD_8identityEEEEENSD_19counting_iterator_tIlEES8_S8_S8_S8_S8_S8_S8_S8_EEEEPS9_S9_NSD_9__find_if7functorIS9_EEEE10hipError_tPvRmT1_T2_T3_mT4_P12ihipStream_tbEUlT_E1_NS1_11comp_targetILNS1_3genE10ELNS1_11target_archE1200ELNS1_3gpuE4ELNS1_3repE0EEENS1_30default_config_static_selectorELNS0_4arch9wavefront6targetE1EEEvS14_.kd
    .uniform_work_group_size: 1
    .uses_dynamic_stack: false
    .vgpr_count:     0
    .vgpr_spill_count: 0
    .wavefront_size: 64
  - .agpr_count:     0
    .args:
      - .offset:         0
        .size:           88
        .value_kind:     by_value
    .group_segment_fixed_size: 0
    .kernarg_segment_align: 8
    .kernarg_segment_size: 88
    .language:       OpenCL C
    .language_version:
      - 2
      - 0
    .max_flat_workgroup_size: 256
    .name:           _ZN7rocprim17ROCPRIM_400000_NS6detail17trampoline_kernelINS0_14default_configENS1_22reduce_config_selectorIN6thrust23THRUST_200600_302600_NS5tupleIblNS6_9null_typeES8_S8_S8_S8_S8_S8_S8_EEEEZNS1_11reduce_implILb1ES3_NS6_12zip_iteratorINS7_INS6_11hip_rocprim26transform_input_iterator_tIbNSD_35transform_pair_of_input_iterators_tIbNS6_6detail15normal_iteratorINS6_10device_ptrIKxEEEESL_NS6_8equal_toIxEEEENSG_9not_fun_tINSD_8identityEEEEENSD_19counting_iterator_tIlEES8_S8_S8_S8_S8_S8_S8_S8_EEEEPS9_S9_NSD_9__find_if7functorIS9_EEEE10hipError_tPvRmT1_T2_T3_mT4_P12ihipStream_tbEUlT_E1_NS1_11comp_targetILNS1_3genE9ELNS1_11target_archE1100ELNS1_3gpuE3ELNS1_3repE0EEENS1_30default_config_static_selectorELNS0_4arch9wavefront6targetE1EEEvS14_
    .private_segment_fixed_size: 0
    .sgpr_count:     6
    .sgpr_spill_count: 0
    .symbol:         _ZN7rocprim17ROCPRIM_400000_NS6detail17trampoline_kernelINS0_14default_configENS1_22reduce_config_selectorIN6thrust23THRUST_200600_302600_NS5tupleIblNS6_9null_typeES8_S8_S8_S8_S8_S8_S8_EEEEZNS1_11reduce_implILb1ES3_NS6_12zip_iteratorINS7_INS6_11hip_rocprim26transform_input_iterator_tIbNSD_35transform_pair_of_input_iterators_tIbNS6_6detail15normal_iteratorINS6_10device_ptrIKxEEEESL_NS6_8equal_toIxEEEENSG_9not_fun_tINSD_8identityEEEEENSD_19counting_iterator_tIlEES8_S8_S8_S8_S8_S8_S8_S8_EEEEPS9_S9_NSD_9__find_if7functorIS9_EEEE10hipError_tPvRmT1_T2_T3_mT4_P12ihipStream_tbEUlT_E1_NS1_11comp_targetILNS1_3genE9ELNS1_11target_archE1100ELNS1_3gpuE3ELNS1_3repE0EEENS1_30default_config_static_selectorELNS0_4arch9wavefront6targetE1EEEvS14_.kd
    .uniform_work_group_size: 1
    .uses_dynamic_stack: false
    .vgpr_count:     0
    .vgpr_spill_count: 0
    .wavefront_size: 64
  - .agpr_count:     0
    .args:
      - .offset:         0
        .size:           88
        .value_kind:     by_value
    .group_segment_fixed_size: 0
    .kernarg_segment_align: 8
    .kernarg_segment_size: 88
    .language:       OpenCL C
    .language_version:
      - 2
      - 0
    .max_flat_workgroup_size: 256
    .name:           _ZN7rocprim17ROCPRIM_400000_NS6detail17trampoline_kernelINS0_14default_configENS1_22reduce_config_selectorIN6thrust23THRUST_200600_302600_NS5tupleIblNS6_9null_typeES8_S8_S8_S8_S8_S8_S8_EEEEZNS1_11reduce_implILb1ES3_NS6_12zip_iteratorINS7_INS6_11hip_rocprim26transform_input_iterator_tIbNSD_35transform_pair_of_input_iterators_tIbNS6_6detail15normal_iteratorINS6_10device_ptrIKxEEEESL_NS6_8equal_toIxEEEENSG_9not_fun_tINSD_8identityEEEEENSD_19counting_iterator_tIlEES8_S8_S8_S8_S8_S8_S8_S8_EEEEPS9_S9_NSD_9__find_if7functorIS9_EEEE10hipError_tPvRmT1_T2_T3_mT4_P12ihipStream_tbEUlT_E1_NS1_11comp_targetILNS1_3genE8ELNS1_11target_archE1030ELNS1_3gpuE2ELNS1_3repE0EEENS1_30default_config_static_selectorELNS0_4arch9wavefront6targetE1EEEvS14_
    .private_segment_fixed_size: 0
    .sgpr_count:     6
    .sgpr_spill_count: 0
    .symbol:         _ZN7rocprim17ROCPRIM_400000_NS6detail17trampoline_kernelINS0_14default_configENS1_22reduce_config_selectorIN6thrust23THRUST_200600_302600_NS5tupleIblNS6_9null_typeES8_S8_S8_S8_S8_S8_S8_EEEEZNS1_11reduce_implILb1ES3_NS6_12zip_iteratorINS7_INS6_11hip_rocprim26transform_input_iterator_tIbNSD_35transform_pair_of_input_iterators_tIbNS6_6detail15normal_iteratorINS6_10device_ptrIKxEEEESL_NS6_8equal_toIxEEEENSG_9not_fun_tINSD_8identityEEEEENSD_19counting_iterator_tIlEES8_S8_S8_S8_S8_S8_S8_S8_EEEEPS9_S9_NSD_9__find_if7functorIS9_EEEE10hipError_tPvRmT1_T2_T3_mT4_P12ihipStream_tbEUlT_E1_NS1_11comp_targetILNS1_3genE8ELNS1_11target_archE1030ELNS1_3gpuE2ELNS1_3repE0EEENS1_30default_config_static_selectorELNS0_4arch9wavefront6targetE1EEEvS14_.kd
    .uniform_work_group_size: 1
    .uses_dynamic_stack: false
    .vgpr_count:     0
    .vgpr_spill_count: 0
    .wavefront_size: 64
  - .agpr_count:     0
    .args:
      - .offset:         0
        .size:           48
        .value_kind:     by_value
      - .offset:         48
        .size:           4
        .value_kind:     hidden_block_count_x
      - .offset:         52
        .size:           4
        .value_kind:     hidden_block_count_y
      - .offset:         56
        .size:           4
        .value_kind:     hidden_block_count_z
      - .offset:         60
        .size:           2
        .value_kind:     hidden_group_size_x
      - .offset:         62
        .size:           2
        .value_kind:     hidden_group_size_y
      - .offset:         64
        .size:           2
        .value_kind:     hidden_group_size_z
      - .offset:         66
        .size:           2
        .value_kind:     hidden_remainder_x
      - .offset:         68
        .size:           2
        .value_kind:     hidden_remainder_y
      - .offset:         70
        .size:           2
        .value_kind:     hidden_remainder_z
      - .offset:         88
        .size:           8
        .value_kind:     hidden_global_offset_x
      - .offset:         96
        .size:           8
        .value_kind:     hidden_global_offset_y
      - .offset:         104
        .size:           8
        .value_kind:     hidden_global_offset_z
      - .offset:         112
        .size:           2
        .value_kind:     hidden_grid_dims
    .group_segment_fixed_size: 4112
    .kernarg_segment_align: 8
    .kernarg_segment_size: 304
    .language:       OpenCL C
    .language_version:
      - 2
      - 0
    .max_flat_workgroup_size: 256
    .name:           _ZN7rocprim17ROCPRIM_400000_NS6detail17trampoline_kernelINS0_13kernel_configILj256ELj4ELj4294967295EEENS1_37radix_sort_block_sort_config_selectorIiiEEZNS1_21radix_sort_block_sortIS4_Lb0EN6thrust23THRUST_200600_302600_NS6detail15normal_iteratorINS9_10device_ptrIiEEEESE_SE_SE_NS0_19identity_decomposerEEE10hipError_tT1_T2_T3_T4_jRjT5_jjP12ihipStream_tbEUlT_E_NS1_11comp_targetILNS1_3genE0ELNS1_11target_archE4294967295ELNS1_3gpuE0ELNS1_3repE0EEENS1_44radix_sort_block_sort_config_static_selectorELNS0_4arch9wavefront6targetE1EEEvSH_
    .private_segment_fixed_size: 0
    .sgpr_count:     52
    .sgpr_spill_count: 0
    .symbol:         _ZN7rocprim17ROCPRIM_400000_NS6detail17trampoline_kernelINS0_13kernel_configILj256ELj4ELj4294967295EEENS1_37radix_sort_block_sort_config_selectorIiiEEZNS1_21radix_sort_block_sortIS4_Lb0EN6thrust23THRUST_200600_302600_NS6detail15normal_iteratorINS9_10device_ptrIiEEEESE_SE_SE_NS0_19identity_decomposerEEE10hipError_tT1_T2_T3_T4_jRjT5_jjP12ihipStream_tbEUlT_E_NS1_11comp_targetILNS1_3genE0ELNS1_11target_archE4294967295ELNS1_3gpuE0ELNS1_3repE0EEENS1_44radix_sort_block_sort_config_static_selectorELNS0_4arch9wavefront6targetE1EEEvSH_.kd
    .uniform_work_group_size: 1
    .uses_dynamic_stack: false
    .vgpr_count:     40
    .vgpr_spill_count: 0
    .wavefront_size: 64
  - .agpr_count:     0
    .args:
      - .offset:         0
        .size:           48
        .value_kind:     by_value
    .group_segment_fixed_size: 0
    .kernarg_segment_align: 8
    .kernarg_segment_size: 48
    .language:       OpenCL C
    .language_version:
      - 2
      - 0
    .max_flat_workgroup_size: 256
    .name:           _ZN7rocprim17ROCPRIM_400000_NS6detail17trampoline_kernelINS0_13kernel_configILj256ELj4ELj4294967295EEENS1_37radix_sort_block_sort_config_selectorIiiEEZNS1_21radix_sort_block_sortIS4_Lb0EN6thrust23THRUST_200600_302600_NS6detail15normal_iteratorINS9_10device_ptrIiEEEESE_SE_SE_NS0_19identity_decomposerEEE10hipError_tT1_T2_T3_T4_jRjT5_jjP12ihipStream_tbEUlT_E_NS1_11comp_targetILNS1_3genE5ELNS1_11target_archE942ELNS1_3gpuE9ELNS1_3repE0EEENS1_44radix_sort_block_sort_config_static_selectorELNS0_4arch9wavefront6targetE1EEEvSH_
    .private_segment_fixed_size: 0
    .sgpr_count:     6
    .sgpr_spill_count: 0
    .symbol:         _ZN7rocprim17ROCPRIM_400000_NS6detail17trampoline_kernelINS0_13kernel_configILj256ELj4ELj4294967295EEENS1_37radix_sort_block_sort_config_selectorIiiEEZNS1_21radix_sort_block_sortIS4_Lb0EN6thrust23THRUST_200600_302600_NS6detail15normal_iteratorINS9_10device_ptrIiEEEESE_SE_SE_NS0_19identity_decomposerEEE10hipError_tT1_T2_T3_T4_jRjT5_jjP12ihipStream_tbEUlT_E_NS1_11comp_targetILNS1_3genE5ELNS1_11target_archE942ELNS1_3gpuE9ELNS1_3repE0EEENS1_44radix_sort_block_sort_config_static_selectorELNS0_4arch9wavefront6targetE1EEEvSH_.kd
    .uniform_work_group_size: 1
    .uses_dynamic_stack: false
    .vgpr_count:     0
    .vgpr_spill_count: 0
    .wavefront_size: 64
  - .agpr_count:     0
    .args:
      - .offset:         0
        .size:           48
        .value_kind:     by_value
    .group_segment_fixed_size: 0
    .kernarg_segment_align: 8
    .kernarg_segment_size: 48
    .language:       OpenCL C
    .language_version:
      - 2
      - 0
    .max_flat_workgroup_size: 256
    .name:           _ZN7rocprim17ROCPRIM_400000_NS6detail17trampoline_kernelINS0_13kernel_configILj256ELj4ELj4294967295EEENS1_37radix_sort_block_sort_config_selectorIiiEEZNS1_21radix_sort_block_sortIS4_Lb0EN6thrust23THRUST_200600_302600_NS6detail15normal_iteratorINS9_10device_ptrIiEEEESE_SE_SE_NS0_19identity_decomposerEEE10hipError_tT1_T2_T3_T4_jRjT5_jjP12ihipStream_tbEUlT_E_NS1_11comp_targetILNS1_3genE4ELNS1_11target_archE910ELNS1_3gpuE8ELNS1_3repE0EEENS1_44radix_sort_block_sort_config_static_selectorELNS0_4arch9wavefront6targetE1EEEvSH_
    .private_segment_fixed_size: 0
    .sgpr_count:     6
    .sgpr_spill_count: 0
    .symbol:         _ZN7rocprim17ROCPRIM_400000_NS6detail17trampoline_kernelINS0_13kernel_configILj256ELj4ELj4294967295EEENS1_37radix_sort_block_sort_config_selectorIiiEEZNS1_21radix_sort_block_sortIS4_Lb0EN6thrust23THRUST_200600_302600_NS6detail15normal_iteratorINS9_10device_ptrIiEEEESE_SE_SE_NS0_19identity_decomposerEEE10hipError_tT1_T2_T3_T4_jRjT5_jjP12ihipStream_tbEUlT_E_NS1_11comp_targetILNS1_3genE4ELNS1_11target_archE910ELNS1_3gpuE8ELNS1_3repE0EEENS1_44radix_sort_block_sort_config_static_selectorELNS0_4arch9wavefront6targetE1EEEvSH_.kd
    .uniform_work_group_size: 1
    .uses_dynamic_stack: false
    .vgpr_count:     0
    .vgpr_spill_count: 0
    .wavefront_size: 64
  - .agpr_count:     0
    .args:
      - .offset:         0
        .size:           48
        .value_kind:     by_value
    .group_segment_fixed_size: 0
    .kernarg_segment_align: 8
    .kernarg_segment_size: 48
    .language:       OpenCL C
    .language_version:
      - 2
      - 0
    .max_flat_workgroup_size: 256
    .name:           _ZN7rocprim17ROCPRIM_400000_NS6detail17trampoline_kernelINS0_13kernel_configILj256ELj4ELj4294967295EEENS1_37radix_sort_block_sort_config_selectorIiiEEZNS1_21radix_sort_block_sortIS4_Lb0EN6thrust23THRUST_200600_302600_NS6detail15normal_iteratorINS9_10device_ptrIiEEEESE_SE_SE_NS0_19identity_decomposerEEE10hipError_tT1_T2_T3_T4_jRjT5_jjP12ihipStream_tbEUlT_E_NS1_11comp_targetILNS1_3genE3ELNS1_11target_archE908ELNS1_3gpuE7ELNS1_3repE0EEENS1_44radix_sort_block_sort_config_static_selectorELNS0_4arch9wavefront6targetE1EEEvSH_
    .private_segment_fixed_size: 0
    .sgpr_count:     6
    .sgpr_spill_count: 0
    .symbol:         _ZN7rocprim17ROCPRIM_400000_NS6detail17trampoline_kernelINS0_13kernel_configILj256ELj4ELj4294967295EEENS1_37radix_sort_block_sort_config_selectorIiiEEZNS1_21radix_sort_block_sortIS4_Lb0EN6thrust23THRUST_200600_302600_NS6detail15normal_iteratorINS9_10device_ptrIiEEEESE_SE_SE_NS0_19identity_decomposerEEE10hipError_tT1_T2_T3_T4_jRjT5_jjP12ihipStream_tbEUlT_E_NS1_11comp_targetILNS1_3genE3ELNS1_11target_archE908ELNS1_3gpuE7ELNS1_3repE0EEENS1_44radix_sort_block_sort_config_static_selectorELNS0_4arch9wavefront6targetE1EEEvSH_.kd
    .uniform_work_group_size: 1
    .uses_dynamic_stack: false
    .vgpr_count:     0
    .vgpr_spill_count: 0
    .wavefront_size: 64
  - .agpr_count:     0
    .args:
      - .offset:         0
        .size:           48
        .value_kind:     by_value
    .group_segment_fixed_size: 0
    .kernarg_segment_align: 8
    .kernarg_segment_size: 48
    .language:       OpenCL C
    .language_version:
      - 2
      - 0
    .max_flat_workgroup_size: 256
    .name:           _ZN7rocprim17ROCPRIM_400000_NS6detail17trampoline_kernelINS0_13kernel_configILj256ELj4ELj4294967295EEENS1_37radix_sort_block_sort_config_selectorIiiEEZNS1_21radix_sort_block_sortIS4_Lb0EN6thrust23THRUST_200600_302600_NS6detail15normal_iteratorINS9_10device_ptrIiEEEESE_SE_SE_NS0_19identity_decomposerEEE10hipError_tT1_T2_T3_T4_jRjT5_jjP12ihipStream_tbEUlT_E_NS1_11comp_targetILNS1_3genE2ELNS1_11target_archE906ELNS1_3gpuE6ELNS1_3repE0EEENS1_44radix_sort_block_sort_config_static_selectorELNS0_4arch9wavefront6targetE1EEEvSH_
    .private_segment_fixed_size: 0
    .sgpr_count:     6
    .sgpr_spill_count: 0
    .symbol:         _ZN7rocprim17ROCPRIM_400000_NS6detail17trampoline_kernelINS0_13kernel_configILj256ELj4ELj4294967295EEENS1_37radix_sort_block_sort_config_selectorIiiEEZNS1_21radix_sort_block_sortIS4_Lb0EN6thrust23THRUST_200600_302600_NS6detail15normal_iteratorINS9_10device_ptrIiEEEESE_SE_SE_NS0_19identity_decomposerEEE10hipError_tT1_T2_T3_T4_jRjT5_jjP12ihipStream_tbEUlT_E_NS1_11comp_targetILNS1_3genE2ELNS1_11target_archE906ELNS1_3gpuE6ELNS1_3repE0EEENS1_44radix_sort_block_sort_config_static_selectorELNS0_4arch9wavefront6targetE1EEEvSH_.kd
    .uniform_work_group_size: 1
    .uses_dynamic_stack: false
    .vgpr_count:     0
    .vgpr_spill_count: 0
    .wavefront_size: 64
  - .agpr_count:     0
    .args:
      - .offset:         0
        .size:           48
        .value_kind:     by_value
    .group_segment_fixed_size: 0
    .kernarg_segment_align: 8
    .kernarg_segment_size: 48
    .language:       OpenCL C
    .language_version:
      - 2
      - 0
    .max_flat_workgroup_size: 256
    .name:           _ZN7rocprim17ROCPRIM_400000_NS6detail17trampoline_kernelINS0_13kernel_configILj256ELj4ELj4294967295EEENS1_37radix_sort_block_sort_config_selectorIiiEEZNS1_21radix_sort_block_sortIS4_Lb0EN6thrust23THRUST_200600_302600_NS6detail15normal_iteratorINS9_10device_ptrIiEEEESE_SE_SE_NS0_19identity_decomposerEEE10hipError_tT1_T2_T3_T4_jRjT5_jjP12ihipStream_tbEUlT_E_NS1_11comp_targetILNS1_3genE10ELNS1_11target_archE1201ELNS1_3gpuE5ELNS1_3repE0EEENS1_44radix_sort_block_sort_config_static_selectorELNS0_4arch9wavefront6targetE1EEEvSH_
    .private_segment_fixed_size: 0
    .sgpr_count:     6
    .sgpr_spill_count: 0
    .symbol:         _ZN7rocprim17ROCPRIM_400000_NS6detail17trampoline_kernelINS0_13kernel_configILj256ELj4ELj4294967295EEENS1_37radix_sort_block_sort_config_selectorIiiEEZNS1_21radix_sort_block_sortIS4_Lb0EN6thrust23THRUST_200600_302600_NS6detail15normal_iteratorINS9_10device_ptrIiEEEESE_SE_SE_NS0_19identity_decomposerEEE10hipError_tT1_T2_T3_T4_jRjT5_jjP12ihipStream_tbEUlT_E_NS1_11comp_targetILNS1_3genE10ELNS1_11target_archE1201ELNS1_3gpuE5ELNS1_3repE0EEENS1_44radix_sort_block_sort_config_static_selectorELNS0_4arch9wavefront6targetE1EEEvSH_.kd
    .uniform_work_group_size: 1
    .uses_dynamic_stack: false
    .vgpr_count:     0
    .vgpr_spill_count: 0
    .wavefront_size: 64
  - .agpr_count:     0
    .args:
      - .offset:         0
        .size:           48
        .value_kind:     by_value
    .group_segment_fixed_size: 0
    .kernarg_segment_align: 8
    .kernarg_segment_size: 48
    .language:       OpenCL C
    .language_version:
      - 2
      - 0
    .max_flat_workgroup_size: 256
    .name:           _ZN7rocprim17ROCPRIM_400000_NS6detail17trampoline_kernelINS0_13kernel_configILj256ELj4ELj4294967295EEENS1_37radix_sort_block_sort_config_selectorIiiEEZNS1_21radix_sort_block_sortIS4_Lb0EN6thrust23THRUST_200600_302600_NS6detail15normal_iteratorINS9_10device_ptrIiEEEESE_SE_SE_NS0_19identity_decomposerEEE10hipError_tT1_T2_T3_T4_jRjT5_jjP12ihipStream_tbEUlT_E_NS1_11comp_targetILNS1_3genE10ELNS1_11target_archE1200ELNS1_3gpuE4ELNS1_3repE0EEENS1_44radix_sort_block_sort_config_static_selectorELNS0_4arch9wavefront6targetE1EEEvSH_
    .private_segment_fixed_size: 0
    .sgpr_count:     6
    .sgpr_spill_count: 0
    .symbol:         _ZN7rocprim17ROCPRIM_400000_NS6detail17trampoline_kernelINS0_13kernel_configILj256ELj4ELj4294967295EEENS1_37radix_sort_block_sort_config_selectorIiiEEZNS1_21radix_sort_block_sortIS4_Lb0EN6thrust23THRUST_200600_302600_NS6detail15normal_iteratorINS9_10device_ptrIiEEEESE_SE_SE_NS0_19identity_decomposerEEE10hipError_tT1_T2_T3_T4_jRjT5_jjP12ihipStream_tbEUlT_E_NS1_11comp_targetILNS1_3genE10ELNS1_11target_archE1200ELNS1_3gpuE4ELNS1_3repE0EEENS1_44radix_sort_block_sort_config_static_selectorELNS0_4arch9wavefront6targetE1EEEvSH_.kd
    .uniform_work_group_size: 1
    .uses_dynamic_stack: false
    .vgpr_count:     0
    .vgpr_spill_count: 0
    .wavefront_size: 64
  - .agpr_count:     0
    .args:
      - .offset:         0
        .size:           48
        .value_kind:     by_value
    .group_segment_fixed_size: 0
    .kernarg_segment_align: 8
    .kernarg_segment_size: 48
    .language:       OpenCL C
    .language_version:
      - 2
      - 0
    .max_flat_workgroup_size: 256
    .name:           _ZN7rocprim17ROCPRIM_400000_NS6detail17trampoline_kernelINS0_13kernel_configILj256ELj4ELj4294967295EEENS1_37radix_sort_block_sort_config_selectorIiiEEZNS1_21radix_sort_block_sortIS4_Lb0EN6thrust23THRUST_200600_302600_NS6detail15normal_iteratorINS9_10device_ptrIiEEEESE_SE_SE_NS0_19identity_decomposerEEE10hipError_tT1_T2_T3_T4_jRjT5_jjP12ihipStream_tbEUlT_E_NS1_11comp_targetILNS1_3genE9ELNS1_11target_archE1100ELNS1_3gpuE3ELNS1_3repE0EEENS1_44radix_sort_block_sort_config_static_selectorELNS0_4arch9wavefront6targetE1EEEvSH_
    .private_segment_fixed_size: 0
    .sgpr_count:     6
    .sgpr_spill_count: 0
    .symbol:         _ZN7rocprim17ROCPRIM_400000_NS6detail17trampoline_kernelINS0_13kernel_configILj256ELj4ELj4294967295EEENS1_37radix_sort_block_sort_config_selectorIiiEEZNS1_21radix_sort_block_sortIS4_Lb0EN6thrust23THRUST_200600_302600_NS6detail15normal_iteratorINS9_10device_ptrIiEEEESE_SE_SE_NS0_19identity_decomposerEEE10hipError_tT1_T2_T3_T4_jRjT5_jjP12ihipStream_tbEUlT_E_NS1_11comp_targetILNS1_3genE9ELNS1_11target_archE1100ELNS1_3gpuE3ELNS1_3repE0EEENS1_44radix_sort_block_sort_config_static_selectorELNS0_4arch9wavefront6targetE1EEEvSH_.kd
    .uniform_work_group_size: 1
    .uses_dynamic_stack: false
    .vgpr_count:     0
    .vgpr_spill_count: 0
    .wavefront_size: 64
  - .agpr_count:     0
    .args:
      - .offset:         0
        .size:           48
        .value_kind:     by_value
    .group_segment_fixed_size: 0
    .kernarg_segment_align: 8
    .kernarg_segment_size: 48
    .language:       OpenCL C
    .language_version:
      - 2
      - 0
    .max_flat_workgroup_size: 256
    .name:           _ZN7rocprim17ROCPRIM_400000_NS6detail17trampoline_kernelINS0_13kernel_configILj256ELj4ELj4294967295EEENS1_37radix_sort_block_sort_config_selectorIiiEEZNS1_21radix_sort_block_sortIS4_Lb0EN6thrust23THRUST_200600_302600_NS6detail15normal_iteratorINS9_10device_ptrIiEEEESE_SE_SE_NS0_19identity_decomposerEEE10hipError_tT1_T2_T3_T4_jRjT5_jjP12ihipStream_tbEUlT_E_NS1_11comp_targetILNS1_3genE8ELNS1_11target_archE1030ELNS1_3gpuE2ELNS1_3repE0EEENS1_44radix_sort_block_sort_config_static_selectorELNS0_4arch9wavefront6targetE1EEEvSH_
    .private_segment_fixed_size: 0
    .sgpr_count:     6
    .sgpr_spill_count: 0
    .symbol:         _ZN7rocprim17ROCPRIM_400000_NS6detail17trampoline_kernelINS0_13kernel_configILj256ELj4ELj4294967295EEENS1_37radix_sort_block_sort_config_selectorIiiEEZNS1_21radix_sort_block_sortIS4_Lb0EN6thrust23THRUST_200600_302600_NS6detail15normal_iteratorINS9_10device_ptrIiEEEESE_SE_SE_NS0_19identity_decomposerEEE10hipError_tT1_T2_T3_T4_jRjT5_jjP12ihipStream_tbEUlT_E_NS1_11comp_targetILNS1_3genE8ELNS1_11target_archE1030ELNS1_3gpuE2ELNS1_3repE0EEENS1_44radix_sort_block_sort_config_static_selectorELNS0_4arch9wavefront6targetE1EEEvSH_.kd
    .uniform_work_group_size: 1
    .uses_dynamic_stack: false
    .vgpr_count:     0
    .vgpr_spill_count: 0
    .wavefront_size: 64
  - .agpr_count:     0
    .args:           []
    .group_segment_fixed_size: 0
    .kernarg_segment_align: 4
    .kernarg_segment_size: 0
    .language:       OpenCL C
    .language_version:
      - 2
      - 0
    .max_flat_workgroup_size: 1024
    .name:           _ZN7rocprim17ROCPRIM_400000_NS6detail44device_merge_sort_compile_time_verifier_archINS1_11comp_targetILNS1_3genE0ELNS1_11target_archE4294967295ELNS1_3gpuE0ELNS1_3repE0EEES8_NS1_28merge_sort_block_sort_configILj256ELj4ELNS0_20block_sort_algorithmE0EEENS0_14default_configENS1_37merge_sort_block_sort_config_selectorIiiEENS1_38merge_sort_block_merge_config_selectorIiiEEEEvv
    .private_segment_fixed_size: 0
    .sgpr_count:     6
    .sgpr_spill_count: 0
    .symbol:         _ZN7rocprim17ROCPRIM_400000_NS6detail44device_merge_sort_compile_time_verifier_archINS1_11comp_targetILNS1_3genE0ELNS1_11target_archE4294967295ELNS1_3gpuE0ELNS1_3repE0EEES8_NS1_28merge_sort_block_sort_configILj256ELj4ELNS0_20block_sort_algorithmE0EEENS0_14default_configENS1_37merge_sort_block_sort_config_selectorIiiEENS1_38merge_sort_block_merge_config_selectorIiiEEEEvv.kd
    .uniform_work_group_size: 1
    .uses_dynamic_stack: false
    .vgpr_count:     0
    .vgpr_spill_count: 0
    .wavefront_size: 64
  - .agpr_count:     0
    .args:           []
    .group_segment_fixed_size: 0
    .kernarg_segment_align: 4
    .kernarg_segment_size: 0
    .language:       OpenCL C
    .language_version:
      - 2
      - 0
    .max_flat_workgroup_size: 1024
    .name:           _ZN7rocprim17ROCPRIM_400000_NS6detail44device_merge_sort_compile_time_verifier_archINS1_11comp_targetILNS1_3genE5ELNS1_11target_archE942ELNS1_3gpuE9ELNS1_3repE0EEES8_NS1_28merge_sort_block_sort_configILj256ELj4ELNS0_20block_sort_algorithmE0EEENS0_14default_configENS1_37merge_sort_block_sort_config_selectorIiiEENS1_38merge_sort_block_merge_config_selectorIiiEEEEvv
    .private_segment_fixed_size: 0
    .sgpr_count:     6
    .sgpr_spill_count: 0
    .symbol:         _ZN7rocprim17ROCPRIM_400000_NS6detail44device_merge_sort_compile_time_verifier_archINS1_11comp_targetILNS1_3genE5ELNS1_11target_archE942ELNS1_3gpuE9ELNS1_3repE0EEES8_NS1_28merge_sort_block_sort_configILj256ELj4ELNS0_20block_sort_algorithmE0EEENS0_14default_configENS1_37merge_sort_block_sort_config_selectorIiiEENS1_38merge_sort_block_merge_config_selectorIiiEEEEvv.kd
    .uniform_work_group_size: 1
    .uses_dynamic_stack: false
    .vgpr_count:     0
    .vgpr_spill_count: 0
    .wavefront_size: 64
  - .agpr_count:     0
    .args:           []
    .group_segment_fixed_size: 0
    .kernarg_segment_align: 4
    .kernarg_segment_size: 0
    .language:       OpenCL C
    .language_version:
      - 2
      - 0
    .max_flat_workgroup_size: 1024
    .name:           _ZN7rocprim17ROCPRIM_400000_NS6detail44device_merge_sort_compile_time_verifier_archINS1_11comp_targetILNS1_3genE4ELNS1_11target_archE910ELNS1_3gpuE8ELNS1_3repE0EEES8_NS1_28merge_sort_block_sort_configILj256ELj4ELNS0_20block_sort_algorithmE0EEENS0_14default_configENS1_37merge_sort_block_sort_config_selectorIiiEENS1_38merge_sort_block_merge_config_selectorIiiEEEEvv
    .private_segment_fixed_size: 0
    .sgpr_count:     6
    .sgpr_spill_count: 0
    .symbol:         _ZN7rocprim17ROCPRIM_400000_NS6detail44device_merge_sort_compile_time_verifier_archINS1_11comp_targetILNS1_3genE4ELNS1_11target_archE910ELNS1_3gpuE8ELNS1_3repE0EEES8_NS1_28merge_sort_block_sort_configILj256ELj4ELNS0_20block_sort_algorithmE0EEENS0_14default_configENS1_37merge_sort_block_sort_config_selectorIiiEENS1_38merge_sort_block_merge_config_selectorIiiEEEEvv.kd
    .uniform_work_group_size: 1
    .uses_dynamic_stack: false
    .vgpr_count:     0
    .vgpr_spill_count: 0
    .wavefront_size: 64
  - .agpr_count:     0
    .args:           []
    .group_segment_fixed_size: 0
    .kernarg_segment_align: 4
    .kernarg_segment_size: 0
    .language:       OpenCL C
    .language_version:
      - 2
      - 0
    .max_flat_workgroup_size: 1024
    .name:           _ZN7rocprim17ROCPRIM_400000_NS6detail44device_merge_sort_compile_time_verifier_archINS1_11comp_targetILNS1_3genE3ELNS1_11target_archE908ELNS1_3gpuE7ELNS1_3repE0EEES8_NS1_28merge_sort_block_sort_configILj256ELj4ELNS0_20block_sort_algorithmE0EEENS0_14default_configENS1_37merge_sort_block_sort_config_selectorIiiEENS1_38merge_sort_block_merge_config_selectorIiiEEEEvv
    .private_segment_fixed_size: 0
    .sgpr_count:     6
    .sgpr_spill_count: 0
    .symbol:         _ZN7rocprim17ROCPRIM_400000_NS6detail44device_merge_sort_compile_time_verifier_archINS1_11comp_targetILNS1_3genE3ELNS1_11target_archE908ELNS1_3gpuE7ELNS1_3repE0EEES8_NS1_28merge_sort_block_sort_configILj256ELj4ELNS0_20block_sort_algorithmE0EEENS0_14default_configENS1_37merge_sort_block_sort_config_selectorIiiEENS1_38merge_sort_block_merge_config_selectorIiiEEEEvv.kd
    .uniform_work_group_size: 1
    .uses_dynamic_stack: false
    .vgpr_count:     0
    .vgpr_spill_count: 0
    .wavefront_size: 64
  - .agpr_count:     0
    .args:           []
    .group_segment_fixed_size: 0
    .kernarg_segment_align: 4
    .kernarg_segment_size: 0
    .language:       OpenCL C
    .language_version:
      - 2
      - 0
    .max_flat_workgroup_size: 1024
    .name:           _ZN7rocprim17ROCPRIM_400000_NS6detail44device_merge_sort_compile_time_verifier_archINS1_11comp_targetILNS1_3genE2ELNS1_11target_archE906ELNS1_3gpuE6ELNS1_3repE0EEES8_NS1_28merge_sort_block_sort_configILj256ELj4ELNS0_20block_sort_algorithmE0EEENS0_14default_configENS1_37merge_sort_block_sort_config_selectorIiiEENS1_38merge_sort_block_merge_config_selectorIiiEEEEvv
    .private_segment_fixed_size: 0
    .sgpr_count:     6
    .sgpr_spill_count: 0
    .symbol:         _ZN7rocprim17ROCPRIM_400000_NS6detail44device_merge_sort_compile_time_verifier_archINS1_11comp_targetILNS1_3genE2ELNS1_11target_archE906ELNS1_3gpuE6ELNS1_3repE0EEES8_NS1_28merge_sort_block_sort_configILj256ELj4ELNS0_20block_sort_algorithmE0EEENS0_14default_configENS1_37merge_sort_block_sort_config_selectorIiiEENS1_38merge_sort_block_merge_config_selectorIiiEEEEvv.kd
    .uniform_work_group_size: 1
    .uses_dynamic_stack: false
    .vgpr_count:     0
    .vgpr_spill_count: 0
    .wavefront_size: 64
  - .agpr_count:     0
    .args:           []
    .group_segment_fixed_size: 0
    .kernarg_segment_align: 4
    .kernarg_segment_size: 0
    .language:       OpenCL C
    .language_version:
      - 2
      - 0
    .max_flat_workgroup_size: 1024
    .name:           _ZN7rocprim17ROCPRIM_400000_NS6detail44device_merge_sort_compile_time_verifier_archINS1_11comp_targetILNS1_3genE10ELNS1_11target_archE1201ELNS1_3gpuE5ELNS1_3repE0EEES8_NS1_28merge_sort_block_sort_configILj256ELj4ELNS0_20block_sort_algorithmE0EEENS0_14default_configENS1_37merge_sort_block_sort_config_selectorIiiEENS1_38merge_sort_block_merge_config_selectorIiiEEEEvv
    .private_segment_fixed_size: 0
    .sgpr_count:     6
    .sgpr_spill_count: 0
    .symbol:         _ZN7rocprim17ROCPRIM_400000_NS6detail44device_merge_sort_compile_time_verifier_archINS1_11comp_targetILNS1_3genE10ELNS1_11target_archE1201ELNS1_3gpuE5ELNS1_3repE0EEES8_NS1_28merge_sort_block_sort_configILj256ELj4ELNS0_20block_sort_algorithmE0EEENS0_14default_configENS1_37merge_sort_block_sort_config_selectorIiiEENS1_38merge_sort_block_merge_config_selectorIiiEEEEvv.kd
    .uniform_work_group_size: 1
    .uses_dynamic_stack: false
    .vgpr_count:     0
    .vgpr_spill_count: 0
    .wavefront_size: 64
  - .agpr_count:     0
    .args:           []
    .group_segment_fixed_size: 0
    .kernarg_segment_align: 4
    .kernarg_segment_size: 0
    .language:       OpenCL C
    .language_version:
      - 2
      - 0
    .max_flat_workgroup_size: 1024
    .name:           _ZN7rocprim17ROCPRIM_400000_NS6detail44device_merge_sort_compile_time_verifier_archINS1_11comp_targetILNS1_3genE10ELNS1_11target_archE1200ELNS1_3gpuE4ELNS1_3repE0EEENS3_ILS4_10ELS5_1201ELS6_5ELS7_0EEENS1_28merge_sort_block_sort_configILj256ELj4ELNS0_20block_sort_algorithmE0EEENS0_14default_configENS1_37merge_sort_block_sort_config_selectorIiiEENS1_38merge_sort_block_merge_config_selectorIiiEEEEvv
    .private_segment_fixed_size: 0
    .sgpr_count:     6
    .sgpr_spill_count: 0
    .symbol:         _ZN7rocprim17ROCPRIM_400000_NS6detail44device_merge_sort_compile_time_verifier_archINS1_11comp_targetILNS1_3genE10ELNS1_11target_archE1200ELNS1_3gpuE4ELNS1_3repE0EEENS3_ILS4_10ELS5_1201ELS6_5ELS7_0EEENS1_28merge_sort_block_sort_configILj256ELj4ELNS0_20block_sort_algorithmE0EEENS0_14default_configENS1_37merge_sort_block_sort_config_selectorIiiEENS1_38merge_sort_block_merge_config_selectorIiiEEEEvv.kd
    .uniform_work_group_size: 1
    .uses_dynamic_stack: false
    .vgpr_count:     0
    .vgpr_spill_count: 0
    .wavefront_size: 64
  - .agpr_count:     0
    .args:           []
    .group_segment_fixed_size: 0
    .kernarg_segment_align: 4
    .kernarg_segment_size: 0
    .language:       OpenCL C
    .language_version:
      - 2
      - 0
    .max_flat_workgroup_size: 1024
    .name:           _ZN7rocprim17ROCPRIM_400000_NS6detail44device_merge_sort_compile_time_verifier_archINS1_11comp_targetILNS1_3genE9ELNS1_11target_archE1100ELNS1_3gpuE3ELNS1_3repE0EEES8_NS1_28merge_sort_block_sort_configILj256ELj4ELNS0_20block_sort_algorithmE0EEENS0_14default_configENS1_37merge_sort_block_sort_config_selectorIiiEENS1_38merge_sort_block_merge_config_selectorIiiEEEEvv
    .private_segment_fixed_size: 0
    .sgpr_count:     6
    .sgpr_spill_count: 0
    .symbol:         _ZN7rocprim17ROCPRIM_400000_NS6detail44device_merge_sort_compile_time_verifier_archINS1_11comp_targetILNS1_3genE9ELNS1_11target_archE1100ELNS1_3gpuE3ELNS1_3repE0EEES8_NS1_28merge_sort_block_sort_configILj256ELj4ELNS0_20block_sort_algorithmE0EEENS0_14default_configENS1_37merge_sort_block_sort_config_selectorIiiEENS1_38merge_sort_block_merge_config_selectorIiiEEEEvv.kd
    .uniform_work_group_size: 1
    .uses_dynamic_stack: false
    .vgpr_count:     0
    .vgpr_spill_count: 0
    .wavefront_size: 64
  - .agpr_count:     0
    .args:           []
    .group_segment_fixed_size: 0
    .kernarg_segment_align: 4
    .kernarg_segment_size: 0
    .language:       OpenCL C
    .language_version:
      - 2
      - 0
    .max_flat_workgroup_size: 1024
    .name:           _ZN7rocprim17ROCPRIM_400000_NS6detail44device_merge_sort_compile_time_verifier_archINS1_11comp_targetILNS1_3genE8ELNS1_11target_archE1030ELNS1_3gpuE2ELNS1_3repE0EEES8_NS1_28merge_sort_block_sort_configILj256ELj4ELNS0_20block_sort_algorithmE0EEENS0_14default_configENS1_37merge_sort_block_sort_config_selectorIiiEENS1_38merge_sort_block_merge_config_selectorIiiEEEEvv
    .private_segment_fixed_size: 0
    .sgpr_count:     6
    .sgpr_spill_count: 0
    .symbol:         _ZN7rocprim17ROCPRIM_400000_NS6detail44device_merge_sort_compile_time_verifier_archINS1_11comp_targetILNS1_3genE8ELNS1_11target_archE1030ELNS1_3gpuE2ELNS1_3repE0EEES8_NS1_28merge_sort_block_sort_configILj256ELj4ELNS0_20block_sort_algorithmE0EEENS0_14default_configENS1_37merge_sort_block_sort_config_selectorIiiEENS1_38merge_sort_block_merge_config_selectorIiiEEEEvv.kd
    .uniform_work_group_size: 1
    .uses_dynamic_stack: false
    .vgpr_count:     0
    .vgpr_spill_count: 0
    .wavefront_size: 64
  - .agpr_count:     0
    .args:
      - .offset:         0
        .size:           40
        .value_kind:     by_value
    .group_segment_fixed_size: 0
    .kernarg_segment_align: 8
    .kernarg_segment_size: 40
    .language:       OpenCL C
    .language_version:
      - 2
      - 0
    .max_flat_workgroup_size: 128
    .name:           _ZN7rocprim17ROCPRIM_400000_NS6detail17trampoline_kernelINS0_14default_configENS1_38merge_sort_block_merge_config_selectorIiiEEZZNS1_27merge_sort_block_merge_implIS3_N6thrust23THRUST_200600_302600_NS6detail15normal_iteratorINS8_10device_ptrIiEEEESD_jNS1_19radix_merge_compareILb0ELb0EiNS0_19identity_decomposerEEEEE10hipError_tT0_T1_T2_jT3_P12ihipStream_tbPNSt15iterator_traitsISI_E10value_typeEPNSO_ISJ_E10value_typeEPSK_NS1_7vsmem_tEENKUlT_SI_SJ_SK_E_clIPiSD_S10_SD_EESH_SX_SI_SJ_SK_EUlSX_E_NS1_11comp_targetILNS1_3genE0ELNS1_11target_archE4294967295ELNS1_3gpuE0ELNS1_3repE0EEENS1_48merge_mergepath_partition_config_static_selectorELNS0_4arch9wavefront6targetE1EEEvSJ_
    .private_segment_fixed_size: 0
    .sgpr_count:     14
    .sgpr_spill_count: 0
    .symbol:         _ZN7rocprim17ROCPRIM_400000_NS6detail17trampoline_kernelINS0_14default_configENS1_38merge_sort_block_merge_config_selectorIiiEEZZNS1_27merge_sort_block_merge_implIS3_N6thrust23THRUST_200600_302600_NS6detail15normal_iteratorINS8_10device_ptrIiEEEESD_jNS1_19radix_merge_compareILb0ELb0EiNS0_19identity_decomposerEEEEE10hipError_tT0_T1_T2_jT3_P12ihipStream_tbPNSt15iterator_traitsISI_E10value_typeEPNSO_ISJ_E10value_typeEPSK_NS1_7vsmem_tEENKUlT_SI_SJ_SK_E_clIPiSD_S10_SD_EESH_SX_SI_SJ_SK_EUlSX_E_NS1_11comp_targetILNS1_3genE0ELNS1_11target_archE4294967295ELNS1_3gpuE0ELNS1_3repE0EEENS1_48merge_mergepath_partition_config_static_selectorELNS0_4arch9wavefront6targetE1EEEvSJ_.kd
    .uniform_work_group_size: 1
    .uses_dynamic_stack: false
    .vgpr_count:     17
    .vgpr_spill_count: 0
    .wavefront_size: 64
  - .agpr_count:     0
    .args:
      - .offset:         0
        .size:           40
        .value_kind:     by_value
    .group_segment_fixed_size: 0
    .kernarg_segment_align: 8
    .kernarg_segment_size: 40
    .language:       OpenCL C
    .language_version:
      - 2
      - 0
    .max_flat_workgroup_size: 128
    .name:           _ZN7rocprim17ROCPRIM_400000_NS6detail17trampoline_kernelINS0_14default_configENS1_38merge_sort_block_merge_config_selectorIiiEEZZNS1_27merge_sort_block_merge_implIS3_N6thrust23THRUST_200600_302600_NS6detail15normal_iteratorINS8_10device_ptrIiEEEESD_jNS1_19radix_merge_compareILb0ELb0EiNS0_19identity_decomposerEEEEE10hipError_tT0_T1_T2_jT3_P12ihipStream_tbPNSt15iterator_traitsISI_E10value_typeEPNSO_ISJ_E10value_typeEPSK_NS1_7vsmem_tEENKUlT_SI_SJ_SK_E_clIPiSD_S10_SD_EESH_SX_SI_SJ_SK_EUlSX_E_NS1_11comp_targetILNS1_3genE10ELNS1_11target_archE1201ELNS1_3gpuE5ELNS1_3repE0EEENS1_48merge_mergepath_partition_config_static_selectorELNS0_4arch9wavefront6targetE1EEEvSJ_
    .private_segment_fixed_size: 0
    .sgpr_count:     6
    .sgpr_spill_count: 0
    .symbol:         _ZN7rocprim17ROCPRIM_400000_NS6detail17trampoline_kernelINS0_14default_configENS1_38merge_sort_block_merge_config_selectorIiiEEZZNS1_27merge_sort_block_merge_implIS3_N6thrust23THRUST_200600_302600_NS6detail15normal_iteratorINS8_10device_ptrIiEEEESD_jNS1_19radix_merge_compareILb0ELb0EiNS0_19identity_decomposerEEEEE10hipError_tT0_T1_T2_jT3_P12ihipStream_tbPNSt15iterator_traitsISI_E10value_typeEPNSO_ISJ_E10value_typeEPSK_NS1_7vsmem_tEENKUlT_SI_SJ_SK_E_clIPiSD_S10_SD_EESH_SX_SI_SJ_SK_EUlSX_E_NS1_11comp_targetILNS1_3genE10ELNS1_11target_archE1201ELNS1_3gpuE5ELNS1_3repE0EEENS1_48merge_mergepath_partition_config_static_selectorELNS0_4arch9wavefront6targetE1EEEvSJ_.kd
    .uniform_work_group_size: 1
    .uses_dynamic_stack: false
    .vgpr_count:     0
    .vgpr_spill_count: 0
    .wavefront_size: 64
  - .agpr_count:     0
    .args:
      - .offset:         0
        .size:           40
        .value_kind:     by_value
    .group_segment_fixed_size: 0
    .kernarg_segment_align: 8
    .kernarg_segment_size: 40
    .language:       OpenCL C
    .language_version:
      - 2
      - 0
    .max_flat_workgroup_size: 128
    .name:           _ZN7rocprim17ROCPRIM_400000_NS6detail17trampoline_kernelINS0_14default_configENS1_38merge_sort_block_merge_config_selectorIiiEEZZNS1_27merge_sort_block_merge_implIS3_N6thrust23THRUST_200600_302600_NS6detail15normal_iteratorINS8_10device_ptrIiEEEESD_jNS1_19radix_merge_compareILb0ELb0EiNS0_19identity_decomposerEEEEE10hipError_tT0_T1_T2_jT3_P12ihipStream_tbPNSt15iterator_traitsISI_E10value_typeEPNSO_ISJ_E10value_typeEPSK_NS1_7vsmem_tEENKUlT_SI_SJ_SK_E_clIPiSD_S10_SD_EESH_SX_SI_SJ_SK_EUlSX_E_NS1_11comp_targetILNS1_3genE5ELNS1_11target_archE942ELNS1_3gpuE9ELNS1_3repE0EEENS1_48merge_mergepath_partition_config_static_selectorELNS0_4arch9wavefront6targetE1EEEvSJ_
    .private_segment_fixed_size: 0
    .sgpr_count:     6
    .sgpr_spill_count: 0
    .symbol:         _ZN7rocprim17ROCPRIM_400000_NS6detail17trampoline_kernelINS0_14default_configENS1_38merge_sort_block_merge_config_selectorIiiEEZZNS1_27merge_sort_block_merge_implIS3_N6thrust23THRUST_200600_302600_NS6detail15normal_iteratorINS8_10device_ptrIiEEEESD_jNS1_19radix_merge_compareILb0ELb0EiNS0_19identity_decomposerEEEEE10hipError_tT0_T1_T2_jT3_P12ihipStream_tbPNSt15iterator_traitsISI_E10value_typeEPNSO_ISJ_E10value_typeEPSK_NS1_7vsmem_tEENKUlT_SI_SJ_SK_E_clIPiSD_S10_SD_EESH_SX_SI_SJ_SK_EUlSX_E_NS1_11comp_targetILNS1_3genE5ELNS1_11target_archE942ELNS1_3gpuE9ELNS1_3repE0EEENS1_48merge_mergepath_partition_config_static_selectorELNS0_4arch9wavefront6targetE1EEEvSJ_.kd
    .uniform_work_group_size: 1
    .uses_dynamic_stack: false
    .vgpr_count:     0
    .vgpr_spill_count: 0
    .wavefront_size: 64
  - .agpr_count:     0
    .args:
      - .offset:         0
        .size:           40
        .value_kind:     by_value
    .group_segment_fixed_size: 0
    .kernarg_segment_align: 8
    .kernarg_segment_size: 40
    .language:       OpenCL C
    .language_version:
      - 2
      - 0
    .max_flat_workgroup_size: 128
    .name:           _ZN7rocprim17ROCPRIM_400000_NS6detail17trampoline_kernelINS0_14default_configENS1_38merge_sort_block_merge_config_selectorIiiEEZZNS1_27merge_sort_block_merge_implIS3_N6thrust23THRUST_200600_302600_NS6detail15normal_iteratorINS8_10device_ptrIiEEEESD_jNS1_19radix_merge_compareILb0ELb0EiNS0_19identity_decomposerEEEEE10hipError_tT0_T1_T2_jT3_P12ihipStream_tbPNSt15iterator_traitsISI_E10value_typeEPNSO_ISJ_E10value_typeEPSK_NS1_7vsmem_tEENKUlT_SI_SJ_SK_E_clIPiSD_S10_SD_EESH_SX_SI_SJ_SK_EUlSX_E_NS1_11comp_targetILNS1_3genE4ELNS1_11target_archE910ELNS1_3gpuE8ELNS1_3repE0EEENS1_48merge_mergepath_partition_config_static_selectorELNS0_4arch9wavefront6targetE1EEEvSJ_
    .private_segment_fixed_size: 0
    .sgpr_count:     6
    .sgpr_spill_count: 0
    .symbol:         _ZN7rocprim17ROCPRIM_400000_NS6detail17trampoline_kernelINS0_14default_configENS1_38merge_sort_block_merge_config_selectorIiiEEZZNS1_27merge_sort_block_merge_implIS3_N6thrust23THRUST_200600_302600_NS6detail15normal_iteratorINS8_10device_ptrIiEEEESD_jNS1_19radix_merge_compareILb0ELb0EiNS0_19identity_decomposerEEEEE10hipError_tT0_T1_T2_jT3_P12ihipStream_tbPNSt15iterator_traitsISI_E10value_typeEPNSO_ISJ_E10value_typeEPSK_NS1_7vsmem_tEENKUlT_SI_SJ_SK_E_clIPiSD_S10_SD_EESH_SX_SI_SJ_SK_EUlSX_E_NS1_11comp_targetILNS1_3genE4ELNS1_11target_archE910ELNS1_3gpuE8ELNS1_3repE0EEENS1_48merge_mergepath_partition_config_static_selectorELNS0_4arch9wavefront6targetE1EEEvSJ_.kd
    .uniform_work_group_size: 1
    .uses_dynamic_stack: false
    .vgpr_count:     0
    .vgpr_spill_count: 0
    .wavefront_size: 64
  - .agpr_count:     0
    .args:
      - .offset:         0
        .size:           40
        .value_kind:     by_value
    .group_segment_fixed_size: 0
    .kernarg_segment_align: 8
    .kernarg_segment_size: 40
    .language:       OpenCL C
    .language_version:
      - 2
      - 0
    .max_flat_workgroup_size: 128
    .name:           _ZN7rocprim17ROCPRIM_400000_NS6detail17trampoline_kernelINS0_14default_configENS1_38merge_sort_block_merge_config_selectorIiiEEZZNS1_27merge_sort_block_merge_implIS3_N6thrust23THRUST_200600_302600_NS6detail15normal_iteratorINS8_10device_ptrIiEEEESD_jNS1_19radix_merge_compareILb0ELb0EiNS0_19identity_decomposerEEEEE10hipError_tT0_T1_T2_jT3_P12ihipStream_tbPNSt15iterator_traitsISI_E10value_typeEPNSO_ISJ_E10value_typeEPSK_NS1_7vsmem_tEENKUlT_SI_SJ_SK_E_clIPiSD_S10_SD_EESH_SX_SI_SJ_SK_EUlSX_E_NS1_11comp_targetILNS1_3genE3ELNS1_11target_archE908ELNS1_3gpuE7ELNS1_3repE0EEENS1_48merge_mergepath_partition_config_static_selectorELNS0_4arch9wavefront6targetE1EEEvSJ_
    .private_segment_fixed_size: 0
    .sgpr_count:     6
    .sgpr_spill_count: 0
    .symbol:         _ZN7rocprim17ROCPRIM_400000_NS6detail17trampoline_kernelINS0_14default_configENS1_38merge_sort_block_merge_config_selectorIiiEEZZNS1_27merge_sort_block_merge_implIS3_N6thrust23THRUST_200600_302600_NS6detail15normal_iteratorINS8_10device_ptrIiEEEESD_jNS1_19radix_merge_compareILb0ELb0EiNS0_19identity_decomposerEEEEE10hipError_tT0_T1_T2_jT3_P12ihipStream_tbPNSt15iterator_traitsISI_E10value_typeEPNSO_ISJ_E10value_typeEPSK_NS1_7vsmem_tEENKUlT_SI_SJ_SK_E_clIPiSD_S10_SD_EESH_SX_SI_SJ_SK_EUlSX_E_NS1_11comp_targetILNS1_3genE3ELNS1_11target_archE908ELNS1_3gpuE7ELNS1_3repE0EEENS1_48merge_mergepath_partition_config_static_selectorELNS0_4arch9wavefront6targetE1EEEvSJ_.kd
    .uniform_work_group_size: 1
    .uses_dynamic_stack: false
    .vgpr_count:     0
    .vgpr_spill_count: 0
    .wavefront_size: 64
  - .agpr_count:     0
    .args:
      - .offset:         0
        .size:           40
        .value_kind:     by_value
    .group_segment_fixed_size: 0
    .kernarg_segment_align: 8
    .kernarg_segment_size: 40
    .language:       OpenCL C
    .language_version:
      - 2
      - 0
    .max_flat_workgroup_size: 128
    .name:           _ZN7rocprim17ROCPRIM_400000_NS6detail17trampoline_kernelINS0_14default_configENS1_38merge_sort_block_merge_config_selectorIiiEEZZNS1_27merge_sort_block_merge_implIS3_N6thrust23THRUST_200600_302600_NS6detail15normal_iteratorINS8_10device_ptrIiEEEESD_jNS1_19radix_merge_compareILb0ELb0EiNS0_19identity_decomposerEEEEE10hipError_tT0_T1_T2_jT3_P12ihipStream_tbPNSt15iterator_traitsISI_E10value_typeEPNSO_ISJ_E10value_typeEPSK_NS1_7vsmem_tEENKUlT_SI_SJ_SK_E_clIPiSD_S10_SD_EESH_SX_SI_SJ_SK_EUlSX_E_NS1_11comp_targetILNS1_3genE2ELNS1_11target_archE906ELNS1_3gpuE6ELNS1_3repE0EEENS1_48merge_mergepath_partition_config_static_selectorELNS0_4arch9wavefront6targetE1EEEvSJ_
    .private_segment_fixed_size: 0
    .sgpr_count:     6
    .sgpr_spill_count: 0
    .symbol:         _ZN7rocprim17ROCPRIM_400000_NS6detail17trampoline_kernelINS0_14default_configENS1_38merge_sort_block_merge_config_selectorIiiEEZZNS1_27merge_sort_block_merge_implIS3_N6thrust23THRUST_200600_302600_NS6detail15normal_iteratorINS8_10device_ptrIiEEEESD_jNS1_19radix_merge_compareILb0ELb0EiNS0_19identity_decomposerEEEEE10hipError_tT0_T1_T2_jT3_P12ihipStream_tbPNSt15iterator_traitsISI_E10value_typeEPNSO_ISJ_E10value_typeEPSK_NS1_7vsmem_tEENKUlT_SI_SJ_SK_E_clIPiSD_S10_SD_EESH_SX_SI_SJ_SK_EUlSX_E_NS1_11comp_targetILNS1_3genE2ELNS1_11target_archE906ELNS1_3gpuE6ELNS1_3repE0EEENS1_48merge_mergepath_partition_config_static_selectorELNS0_4arch9wavefront6targetE1EEEvSJ_.kd
    .uniform_work_group_size: 1
    .uses_dynamic_stack: false
    .vgpr_count:     0
    .vgpr_spill_count: 0
    .wavefront_size: 64
  - .agpr_count:     0
    .args:
      - .offset:         0
        .size:           40
        .value_kind:     by_value
    .group_segment_fixed_size: 0
    .kernarg_segment_align: 8
    .kernarg_segment_size: 40
    .language:       OpenCL C
    .language_version:
      - 2
      - 0
    .max_flat_workgroup_size: 128
    .name:           _ZN7rocprim17ROCPRIM_400000_NS6detail17trampoline_kernelINS0_14default_configENS1_38merge_sort_block_merge_config_selectorIiiEEZZNS1_27merge_sort_block_merge_implIS3_N6thrust23THRUST_200600_302600_NS6detail15normal_iteratorINS8_10device_ptrIiEEEESD_jNS1_19radix_merge_compareILb0ELb0EiNS0_19identity_decomposerEEEEE10hipError_tT0_T1_T2_jT3_P12ihipStream_tbPNSt15iterator_traitsISI_E10value_typeEPNSO_ISJ_E10value_typeEPSK_NS1_7vsmem_tEENKUlT_SI_SJ_SK_E_clIPiSD_S10_SD_EESH_SX_SI_SJ_SK_EUlSX_E_NS1_11comp_targetILNS1_3genE9ELNS1_11target_archE1100ELNS1_3gpuE3ELNS1_3repE0EEENS1_48merge_mergepath_partition_config_static_selectorELNS0_4arch9wavefront6targetE1EEEvSJ_
    .private_segment_fixed_size: 0
    .sgpr_count:     6
    .sgpr_spill_count: 0
    .symbol:         _ZN7rocprim17ROCPRIM_400000_NS6detail17trampoline_kernelINS0_14default_configENS1_38merge_sort_block_merge_config_selectorIiiEEZZNS1_27merge_sort_block_merge_implIS3_N6thrust23THRUST_200600_302600_NS6detail15normal_iteratorINS8_10device_ptrIiEEEESD_jNS1_19radix_merge_compareILb0ELb0EiNS0_19identity_decomposerEEEEE10hipError_tT0_T1_T2_jT3_P12ihipStream_tbPNSt15iterator_traitsISI_E10value_typeEPNSO_ISJ_E10value_typeEPSK_NS1_7vsmem_tEENKUlT_SI_SJ_SK_E_clIPiSD_S10_SD_EESH_SX_SI_SJ_SK_EUlSX_E_NS1_11comp_targetILNS1_3genE9ELNS1_11target_archE1100ELNS1_3gpuE3ELNS1_3repE0EEENS1_48merge_mergepath_partition_config_static_selectorELNS0_4arch9wavefront6targetE1EEEvSJ_.kd
    .uniform_work_group_size: 1
    .uses_dynamic_stack: false
    .vgpr_count:     0
    .vgpr_spill_count: 0
    .wavefront_size: 64
  - .agpr_count:     0
    .args:
      - .offset:         0
        .size:           40
        .value_kind:     by_value
    .group_segment_fixed_size: 0
    .kernarg_segment_align: 8
    .kernarg_segment_size: 40
    .language:       OpenCL C
    .language_version:
      - 2
      - 0
    .max_flat_workgroup_size: 128
    .name:           _ZN7rocprim17ROCPRIM_400000_NS6detail17trampoline_kernelINS0_14default_configENS1_38merge_sort_block_merge_config_selectorIiiEEZZNS1_27merge_sort_block_merge_implIS3_N6thrust23THRUST_200600_302600_NS6detail15normal_iteratorINS8_10device_ptrIiEEEESD_jNS1_19radix_merge_compareILb0ELb0EiNS0_19identity_decomposerEEEEE10hipError_tT0_T1_T2_jT3_P12ihipStream_tbPNSt15iterator_traitsISI_E10value_typeEPNSO_ISJ_E10value_typeEPSK_NS1_7vsmem_tEENKUlT_SI_SJ_SK_E_clIPiSD_S10_SD_EESH_SX_SI_SJ_SK_EUlSX_E_NS1_11comp_targetILNS1_3genE8ELNS1_11target_archE1030ELNS1_3gpuE2ELNS1_3repE0EEENS1_48merge_mergepath_partition_config_static_selectorELNS0_4arch9wavefront6targetE1EEEvSJ_
    .private_segment_fixed_size: 0
    .sgpr_count:     6
    .sgpr_spill_count: 0
    .symbol:         _ZN7rocprim17ROCPRIM_400000_NS6detail17trampoline_kernelINS0_14default_configENS1_38merge_sort_block_merge_config_selectorIiiEEZZNS1_27merge_sort_block_merge_implIS3_N6thrust23THRUST_200600_302600_NS6detail15normal_iteratorINS8_10device_ptrIiEEEESD_jNS1_19radix_merge_compareILb0ELb0EiNS0_19identity_decomposerEEEEE10hipError_tT0_T1_T2_jT3_P12ihipStream_tbPNSt15iterator_traitsISI_E10value_typeEPNSO_ISJ_E10value_typeEPSK_NS1_7vsmem_tEENKUlT_SI_SJ_SK_E_clIPiSD_S10_SD_EESH_SX_SI_SJ_SK_EUlSX_E_NS1_11comp_targetILNS1_3genE8ELNS1_11target_archE1030ELNS1_3gpuE2ELNS1_3repE0EEENS1_48merge_mergepath_partition_config_static_selectorELNS0_4arch9wavefront6targetE1EEEvSJ_.kd
    .uniform_work_group_size: 1
    .uses_dynamic_stack: false
    .vgpr_count:     0
    .vgpr_spill_count: 0
    .wavefront_size: 64
  - .agpr_count:     0
    .args:
      - .offset:         0
        .size:           64
        .value_kind:     by_value
      - .offset:         64
        .size:           4
        .value_kind:     hidden_block_count_x
      - .offset:         68
        .size:           4
        .value_kind:     hidden_block_count_y
      - .offset:         72
        .size:           4
        .value_kind:     hidden_block_count_z
      - .offset:         76
        .size:           2
        .value_kind:     hidden_group_size_x
      - .offset:         78
        .size:           2
        .value_kind:     hidden_group_size_y
      - .offset:         80
        .size:           2
        .value_kind:     hidden_group_size_z
      - .offset:         82
        .size:           2
        .value_kind:     hidden_remainder_x
      - .offset:         84
        .size:           2
        .value_kind:     hidden_remainder_y
      - .offset:         86
        .size:           2
        .value_kind:     hidden_remainder_z
      - .offset:         104
        .size:           8
        .value_kind:     hidden_global_offset_x
      - .offset:         112
        .size:           8
        .value_kind:     hidden_global_offset_y
      - .offset:         120
        .size:           8
        .value_kind:     hidden_global_offset_z
      - .offset:         128
        .size:           2
        .value_kind:     hidden_grid_dims
    .group_segment_fixed_size: 4224
    .kernarg_segment_align: 8
    .kernarg_segment_size: 320
    .language:       OpenCL C
    .language_version:
      - 2
      - 0
    .max_flat_workgroup_size: 256
    .name:           _ZN7rocprim17ROCPRIM_400000_NS6detail17trampoline_kernelINS0_14default_configENS1_38merge_sort_block_merge_config_selectorIiiEEZZNS1_27merge_sort_block_merge_implIS3_N6thrust23THRUST_200600_302600_NS6detail15normal_iteratorINS8_10device_ptrIiEEEESD_jNS1_19radix_merge_compareILb0ELb0EiNS0_19identity_decomposerEEEEE10hipError_tT0_T1_T2_jT3_P12ihipStream_tbPNSt15iterator_traitsISI_E10value_typeEPNSO_ISJ_E10value_typeEPSK_NS1_7vsmem_tEENKUlT_SI_SJ_SK_E_clIPiSD_S10_SD_EESH_SX_SI_SJ_SK_EUlSX_E0_NS1_11comp_targetILNS1_3genE0ELNS1_11target_archE4294967295ELNS1_3gpuE0ELNS1_3repE0EEENS1_38merge_mergepath_config_static_selectorELNS0_4arch9wavefront6targetE1EEEvSJ_
    .private_segment_fixed_size: 0
    .sgpr_count:     36
    .sgpr_spill_count: 0
    .symbol:         _ZN7rocprim17ROCPRIM_400000_NS6detail17trampoline_kernelINS0_14default_configENS1_38merge_sort_block_merge_config_selectorIiiEEZZNS1_27merge_sort_block_merge_implIS3_N6thrust23THRUST_200600_302600_NS6detail15normal_iteratorINS8_10device_ptrIiEEEESD_jNS1_19radix_merge_compareILb0ELb0EiNS0_19identity_decomposerEEEEE10hipError_tT0_T1_T2_jT3_P12ihipStream_tbPNSt15iterator_traitsISI_E10value_typeEPNSO_ISJ_E10value_typeEPSK_NS1_7vsmem_tEENKUlT_SI_SJ_SK_E_clIPiSD_S10_SD_EESH_SX_SI_SJ_SK_EUlSX_E0_NS1_11comp_targetILNS1_3genE0ELNS1_11target_archE4294967295ELNS1_3gpuE0ELNS1_3repE0EEENS1_38merge_mergepath_config_static_selectorELNS0_4arch9wavefront6targetE1EEEvSJ_.kd
    .uniform_work_group_size: 1
    .uses_dynamic_stack: false
    .vgpr_count:     20
    .vgpr_spill_count: 0
    .wavefront_size: 64
  - .agpr_count:     0
    .args:
      - .offset:         0
        .size:           64
        .value_kind:     by_value
    .group_segment_fixed_size: 0
    .kernarg_segment_align: 8
    .kernarg_segment_size: 64
    .language:       OpenCL C
    .language_version:
      - 2
      - 0
    .max_flat_workgroup_size: 256
    .name:           _ZN7rocprim17ROCPRIM_400000_NS6detail17trampoline_kernelINS0_14default_configENS1_38merge_sort_block_merge_config_selectorIiiEEZZNS1_27merge_sort_block_merge_implIS3_N6thrust23THRUST_200600_302600_NS6detail15normal_iteratorINS8_10device_ptrIiEEEESD_jNS1_19radix_merge_compareILb0ELb0EiNS0_19identity_decomposerEEEEE10hipError_tT0_T1_T2_jT3_P12ihipStream_tbPNSt15iterator_traitsISI_E10value_typeEPNSO_ISJ_E10value_typeEPSK_NS1_7vsmem_tEENKUlT_SI_SJ_SK_E_clIPiSD_S10_SD_EESH_SX_SI_SJ_SK_EUlSX_E0_NS1_11comp_targetILNS1_3genE10ELNS1_11target_archE1201ELNS1_3gpuE5ELNS1_3repE0EEENS1_38merge_mergepath_config_static_selectorELNS0_4arch9wavefront6targetE1EEEvSJ_
    .private_segment_fixed_size: 0
    .sgpr_count:     6
    .sgpr_spill_count: 0
    .symbol:         _ZN7rocprim17ROCPRIM_400000_NS6detail17trampoline_kernelINS0_14default_configENS1_38merge_sort_block_merge_config_selectorIiiEEZZNS1_27merge_sort_block_merge_implIS3_N6thrust23THRUST_200600_302600_NS6detail15normal_iteratorINS8_10device_ptrIiEEEESD_jNS1_19radix_merge_compareILb0ELb0EiNS0_19identity_decomposerEEEEE10hipError_tT0_T1_T2_jT3_P12ihipStream_tbPNSt15iterator_traitsISI_E10value_typeEPNSO_ISJ_E10value_typeEPSK_NS1_7vsmem_tEENKUlT_SI_SJ_SK_E_clIPiSD_S10_SD_EESH_SX_SI_SJ_SK_EUlSX_E0_NS1_11comp_targetILNS1_3genE10ELNS1_11target_archE1201ELNS1_3gpuE5ELNS1_3repE0EEENS1_38merge_mergepath_config_static_selectorELNS0_4arch9wavefront6targetE1EEEvSJ_.kd
    .uniform_work_group_size: 1
    .uses_dynamic_stack: false
    .vgpr_count:     0
    .vgpr_spill_count: 0
    .wavefront_size: 64
  - .agpr_count:     0
    .args:
      - .offset:         0
        .size:           64
        .value_kind:     by_value
    .group_segment_fixed_size: 0
    .kernarg_segment_align: 8
    .kernarg_segment_size: 64
    .language:       OpenCL C
    .language_version:
      - 2
      - 0
    .max_flat_workgroup_size: 128
    .name:           _ZN7rocprim17ROCPRIM_400000_NS6detail17trampoline_kernelINS0_14default_configENS1_38merge_sort_block_merge_config_selectorIiiEEZZNS1_27merge_sort_block_merge_implIS3_N6thrust23THRUST_200600_302600_NS6detail15normal_iteratorINS8_10device_ptrIiEEEESD_jNS1_19radix_merge_compareILb0ELb0EiNS0_19identity_decomposerEEEEE10hipError_tT0_T1_T2_jT3_P12ihipStream_tbPNSt15iterator_traitsISI_E10value_typeEPNSO_ISJ_E10value_typeEPSK_NS1_7vsmem_tEENKUlT_SI_SJ_SK_E_clIPiSD_S10_SD_EESH_SX_SI_SJ_SK_EUlSX_E0_NS1_11comp_targetILNS1_3genE5ELNS1_11target_archE942ELNS1_3gpuE9ELNS1_3repE0EEENS1_38merge_mergepath_config_static_selectorELNS0_4arch9wavefront6targetE1EEEvSJ_
    .private_segment_fixed_size: 0
    .sgpr_count:     6
    .sgpr_spill_count: 0
    .symbol:         _ZN7rocprim17ROCPRIM_400000_NS6detail17trampoline_kernelINS0_14default_configENS1_38merge_sort_block_merge_config_selectorIiiEEZZNS1_27merge_sort_block_merge_implIS3_N6thrust23THRUST_200600_302600_NS6detail15normal_iteratorINS8_10device_ptrIiEEEESD_jNS1_19radix_merge_compareILb0ELb0EiNS0_19identity_decomposerEEEEE10hipError_tT0_T1_T2_jT3_P12ihipStream_tbPNSt15iterator_traitsISI_E10value_typeEPNSO_ISJ_E10value_typeEPSK_NS1_7vsmem_tEENKUlT_SI_SJ_SK_E_clIPiSD_S10_SD_EESH_SX_SI_SJ_SK_EUlSX_E0_NS1_11comp_targetILNS1_3genE5ELNS1_11target_archE942ELNS1_3gpuE9ELNS1_3repE0EEENS1_38merge_mergepath_config_static_selectorELNS0_4arch9wavefront6targetE1EEEvSJ_.kd
    .uniform_work_group_size: 1
    .uses_dynamic_stack: false
    .vgpr_count:     0
    .vgpr_spill_count: 0
    .wavefront_size: 64
  - .agpr_count:     0
    .args:
      - .offset:         0
        .size:           64
        .value_kind:     by_value
    .group_segment_fixed_size: 0
    .kernarg_segment_align: 8
    .kernarg_segment_size: 64
    .language:       OpenCL C
    .language_version:
      - 2
      - 0
    .max_flat_workgroup_size: 256
    .name:           _ZN7rocprim17ROCPRIM_400000_NS6detail17trampoline_kernelINS0_14default_configENS1_38merge_sort_block_merge_config_selectorIiiEEZZNS1_27merge_sort_block_merge_implIS3_N6thrust23THRUST_200600_302600_NS6detail15normal_iteratorINS8_10device_ptrIiEEEESD_jNS1_19radix_merge_compareILb0ELb0EiNS0_19identity_decomposerEEEEE10hipError_tT0_T1_T2_jT3_P12ihipStream_tbPNSt15iterator_traitsISI_E10value_typeEPNSO_ISJ_E10value_typeEPSK_NS1_7vsmem_tEENKUlT_SI_SJ_SK_E_clIPiSD_S10_SD_EESH_SX_SI_SJ_SK_EUlSX_E0_NS1_11comp_targetILNS1_3genE4ELNS1_11target_archE910ELNS1_3gpuE8ELNS1_3repE0EEENS1_38merge_mergepath_config_static_selectorELNS0_4arch9wavefront6targetE1EEEvSJ_
    .private_segment_fixed_size: 0
    .sgpr_count:     6
    .sgpr_spill_count: 0
    .symbol:         _ZN7rocprim17ROCPRIM_400000_NS6detail17trampoline_kernelINS0_14default_configENS1_38merge_sort_block_merge_config_selectorIiiEEZZNS1_27merge_sort_block_merge_implIS3_N6thrust23THRUST_200600_302600_NS6detail15normal_iteratorINS8_10device_ptrIiEEEESD_jNS1_19radix_merge_compareILb0ELb0EiNS0_19identity_decomposerEEEEE10hipError_tT0_T1_T2_jT3_P12ihipStream_tbPNSt15iterator_traitsISI_E10value_typeEPNSO_ISJ_E10value_typeEPSK_NS1_7vsmem_tEENKUlT_SI_SJ_SK_E_clIPiSD_S10_SD_EESH_SX_SI_SJ_SK_EUlSX_E0_NS1_11comp_targetILNS1_3genE4ELNS1_11target_archE910ELNS1_3gpuE8ELNS1_3repE0EEENS1_38merge_mergepath_config_static_selectorELNS0_4arch9wavefront6targetE1EEEvSJ_.kd
    .uniform_work_group_size: 1
    .uses_dynamic_stack: false
    .vgpr_count:     0
    .vgpr_spill_count: 0
    .wavefront_size: 64
  - .agpr_count:     0
    .args:
      - .offset:         0
        .size:           64
        .value_kind:     by_value
    .group_segment_fixed_size: 0
    .kernarg_segment_align: 8
    .kernarg_segment_size: 64
    .language:       OpenCL C
    .language_version:
      - 2
      - 0
    .max_flat_workgroup_size: 256
    .name:           _ZN7rocprim17ROCPRIM_400000_NS6detail17trampoline_kernelINS0_14default_configENS1_38merge_sort_block_merge_config_selectorIiiEEZZNS1_27merge_sort_block_merge_implIS3_N6thrust23THRUST_200600_302600_NS6detail15normal_iteratorINS8_10device_ptrIiEEEESD_jNS1_19radix_merge_compareILb0ELb0EiNS0_19identity_decomposerEEEEE10hipError_tT0_T1_T2_jT3_P12ihipStream_tbPNSt15iterator_traitsISI_E10value_typeEPNSO_ISJ_E10value_typeEPSK_NS1_7vsmem_tEENKUlT_SI_SJ_SK_E_clIPiSD_S10_SD_EESH_SX_SI_SJ_SK_EUlSX_E0_NS1_11comp_targetILNS1_3genE3ELNS1_11target_archE908ELNS1_3gpuE7ELNS1_3repE0EEENS1_38merge_mergepath_config_static_selectorELNS0_4arch9wavefront6targetE1EEEvSJ_
    .private_segment_fixed_size: 0
    .sgpr_count:     6
    .sgpr_spill_count: 0
    .symbol:         _ZN7rocprim17ROCPRIM_400000_NS6detail17trampoline_kernelINS0_14default_configENS1_38merge_sort_block_merge_config_selectorIiiEEZZNS1_27merge_sort_block_merge_implIS3_N6thrust23THRUST_200600_302600_NS6detail15normal_iteratorINS8_10device_ptrIiEEEESD_jNS1_19radix_merge_compareILb0ELb0EiNS0_19identity_decomposerEEEEE10hipError_tT0_T1_T2_jT3_P12ihipStream_tbPNSt15iterator_traitsISI_E10value_typeEPNSO_ISJ_E10value_typeEPSK_NS1_7vsmem_tEENKUlT_SI_SJ_SK_E_clIPiSD_S10_SD_EESH_SX_SI_SJ_SK_EUlSX_E0_NS1_11comp_targetILNS1_3genE3ELNS1_11target_archE908ELNS1_3gpuE7ELNS1_3repE0EEENS1_38merge_mergepath_config_static_selectorELNS0_4arch9wavefront6targetE1EEEvSJ_.kd
    .uniform_work_group_size: 1
    .uses_dynamic_stack: false
    .vgpr_count:     0
    .vgpr_spill_count: 0
    .wavefront_size: 64
  - .agpr_count:     0
    .args:
      - .offset:         0
        .size:           64
        .value_kind:     by_value
    .group_segment_fixed_size: 0
    .kernarg_segment_align: 8
    .kernarg_segment_size: 64
    .language:       OpenCL C
    .language_version:
      - 2
      - 0
    .max_flat_workgroup_size: 256
    .name:           _ZN7rocprim17ROCPRIM_400000_NS6detail17trampoline_kernelINS0_14default_configENS1_38merge_sort_block_merge_config_selectorIiiEEZZNS1_27merge_sort_block_merge_implIS3_N6thrust23THRUST_200600_302600_NS6detail15normal_iteratorINS8_10device_ptrIiEEEESD_jNS1_19radix_merge_compareILb0ELb0EiNS0_19identity_decomposerEEEEE10hipError_tT0_T1_T2_jT3_P12ihipStream_tbPNSt15iterator_traitsISI_E10value_typeEPNSO_ISJ_E10value_typeEPSK_NS1_7vsmem_tEENKUlT_SI_SJ_SK_E_clIPiSD_S10_SD_EESH_SX_SI_SJ_SK_EUlSX_E0_NS1_11comp_targetILNS1_3genE2ELNS1_11target_archE906ELNS1_3gpuE6ELNS1_3repE0EEENS1_38merge_mergepath_config_static_selectorELNS0_4arch9wavefront6targetE1EEEvSJ_
    .private_segment_fixed_size: 0
    .sgpr_count:     6
    .sgpr_spill_count: 0
    .symbol:         _ZN7rocprim17ROCPRIM_400000_NS6detail17trampoline_kernelINS0_14default_configENS1_38merge_sort_block_merge_config_selectorIiiEEZZNS1_27merge_sort_block_merge_implIS3_N6thrust23THRUST_200600_302600_NS6detail15normal_iteratorINS8_10device_ptrIiEEEESD_jNS1_19radix_merge_compareILb0ELb0EiNS0_19identity_decomposerEEEEE10hipError_tT0_T1_T2_jT3_P12ihipStream_tbPNSt15iterator_traitsISI_E10value_typeEPNSO_ISJ_E10value_typeEPSK_NS1_7vsmem_tEENKUlT_SI_SJ_SK_E_clIPiSD_S10_SD_EESH_SX_SI_SJ_SK_EUlSX_E0_NS1_11comp_targetILNS1_3genE2ELNS1_11target_archE906ELNS1_3gpuE6ELNS1_3repE0EEENS1_38merge_mergepath_config_static_selectorELNS0_4arch9wavefront6targetE1EEEvSJ_.kd
    .uniform_work_group_size: 1
    .uses_dynamic_stack: false
    .vgpr_count:     0
    .vgpr_spill_count: 0
    .wavefront_size: 64
  - .agpr_count:     0
    .args:
      - .offset:         0
        .size:           64
        .value_kind:     by_value
    .group_segment_fixed_size: 0
    .kernarg_segment_align: 8
    .kernarg_segment_size: 64
    .language:       OpenCL C
    .language_version:
      - 2
      - 0
    .max_flat_workgroup_size: 512
    .name:           _ZN7rocprim17ROCPRIM_400000_NS6detail17trampoline_kernelINS0_14default_configENS1_38merge_sort_block_merge_config_selectorIiiEEZZNS1_27merge_sort_block_merge_implIS3_N6thrust23THRUST_200600_302600_NS6detail15normal_iteratorINS8_10device_ptrIiEEEESD_jNS1_19radix_merge_compareILb0ELb0EiNS0_19identity_decomposerEEEEE10hipError_tT0_T1_T2_jT3_P12ihipStream_tbPNSt15iterator_traitsISI_E10value_typeEPNSO_ISJ_E10value_typeEPSK_NS1_7vsmem_tEENKUlT_SI_SJ_SK_E_clIPiSD_S10_SD_EESH_SX_SI_SJ_SK_EUlSX_E0_NS1_11comp_targetILNS1_3genE9ELNS1_11target_archE1100ELNS1_3gpuE3ELNS1_3repE0EEENS1_38merge_mergepath_config_static_selectorELNS0_4arch9wavefront6targetE1EEEvSJ_
    .private_segment_fixed_size: 0
    .sgpr_count:     6
    .sgpr_spill_count: 0
    .symbol:         _ZN7rocprim17ROCPRIM_400000_NS6detail17trampoline_kernelINS0_14default_configENS1_38merge_sort_block_merge_config_selectorIiiEEZZNS1_27merge_sort_block_merge_implIS3_N6thrust23THRUST_200600_302600_NS6detail15normal_iteratorINS8_10device_ptrIiEEEESD_jNS1_19radix_merge_compareILb0ELb0EiNS0_19identity_decomposerEEEEE10hipError_tT0_T1_T2_jT3_P12ihipStream_tbPNSt15iterator_traitsISI_E10value_typeEPNSO_ISJ_E10value_typeEPSK_NS1_7vsmem_tEENKUlT_SI_SJ_SK_E_clIPiSD_S10_SD_EESH_SX_SI_SJ_SK_EUlSX_E0_NS1_11comp_targetILNS1_3genE9ELNS1_11target_archE1100ELNS1_3gpuE3ELNS1_3repE0EEENS1_38merge_mergepath_config_static_selectorELNS0_4arch9wavefront6targetE1EEEvSJ_.kd
    .uniform_work_group_size: 1
    .uses_dynamic_stack: false
    .vgpr_count:     0
    .vgpr_spill_count: 0
    .wavefront_size: 64
  - .agpr_count:     0
    .args:
      - .offset:         0
        .size:           64
        .value_kind:     by_value
    .group_segment_fixed_size: 0
    .kernarg_segment_align: 8
    .kernarg_segment_size: 64
    .language:       OpenCL C
    .language_version:
      - 2
      - 0
    .max_flat_workgroup_size: 1024
    .name:           _ZN7rocprim17ROCPRIM_400000_NS6detail17trampoline_kernelINS0_14default_configENS1_38merge_sort_block_merge_config_selectorIiiEEZZNS1_27merge_sort_block_merge_implIS3_N6thrust23THRUST_200600_302600_NS6detail15normal_iteratorINS8_10device_ptrIiEEEESD_jNS1_19radix_merge_compareILb0ELb0EiNS0_19identity_decomposerEEEEE10hipError_tT0_T1_T2_jT3_P12ihipStream_tbPNSt15iterator_traitsISI_E10value_typeEPNSO_ISJ_E10value_typeEPSK_NS1_7vsmem_tEENKUlT_SI_SJ_SK_E_clIPiSD_S10_SD_EESH_SX_SI_SJ_SK_EUlSX_E0_NS1_11comp_targetILNS1_3genE8ELNS1_11target_archE1030ELNS1_3gpuE2ELNS1_3repE0EEENS1_38merge_mergepath_config_static_selectorELNS0_4arch9wavefront6targetE1EEEvSJ_
    .private_segment_fixed_size: 0
    .sgpr_count:     6
    .sgpr_spill_count: 0
    .symbol:         _ZN7rocprim17ROCPRIM_400000_NS6detail17trampoline_kernelINS0_14default_configENS1_38merge_sort_block_merge_config_selectorIiiEEZZNS1_27merge_sort_block_merge_implIS3_N6thrust23THRUST_200600_302600_NS6detail15normal_iteratorINS8_10device_ptrIiEEEESD_jNS1_19radix_merge_compareILb0ELb0EiNS0_19identity_decomposerEEEEE10hipError_tT0_T1_T2_jT3_P12ihipStream_tbPNSt15iterator_traitsISI_E10value_typeEPNSO_ISJ_E10value_typeEPSK_NS1_7vsmem_tEENKUlT_SI_SJ_SK_E_clIPiSD_S10_SD_EESH_SX_SI_SJ_SK_EUlSX_E0_NS1_11comp_targetILNS1_3genE8ELNS1_11target_archE1030ELNS1_3gpuE2ELNS1_3repE0EEENS1_38merge_mergepath_config_static_selectorELNS0_4arch9wavefront6targetE1EEEvSJ_.kd
    .uniform_work_group_size: 1
    .uses_dynamic_stack: false
    .vgpr_count:     0
    .vgpr_spill_count: 0
    .wavefront_size: 64
  - .agpr_count:     0
    .args:
      - .offset:         0
        .size:           48
        .value_kind:     by_value
    .group_segment_fixed_size: 0
    .kernarg_segment_align: 8
    .kernarg_segment_size: 48
    .language:       OpenCL C
    .language_version:
      - 2
      - 0
    .max_flat_workgroup_size: 256
    .name:           _ZN7rocprim17ROCPRIM_400000_NS6detail17trampoline_kernelINS0_14default_configENS1_38merge_sort_block_merge_config_selectorIiiEEZZNS1_27merge_sort_block_merge_implIS3_N6thrust23THRUST_200600_302600_NS6detail15normal_iteratorINS8_10device_ptrIiEEEESD_jNS1_19radix_merge_compareILb0ELb0EiNS0_19identity_decomposerEEEEE10hipError_tT0_T1_T2_jT3_P12ihipStream_tbPNSt15iterator_traitsISI_E10value_typeEPNSO_ISJ_E10value_typeEPSK_NS1_7vsmem_tEENKUlT_SI_SJ_SK_E_clIPiSD_S10_SD_EESH_SX_SI_SJ_SK_EUlSX_E1_NS1_11comp_targetILNS1_3genE0ELNS1_11target_archE4294967295ELNS1_3gpuE0ELNS1_3repE0EEENS1_36merge_oddeven_config_static_selectorELNS0_4arch9wavefront6targetE1EEEvSJ_
    .private_segment_fixed_size: 0
    .sgpr_count:     30
    .sgpr_spill_count: 0
    .symbol:         _ZN7rocprim17ROCPRIM_400000_NS6detail17trampoline_kernelINS0_14default_configENS1_38merge_sort_block_merge_config_selectorIiiEEZZNS1_27merge_sort_block_merge_implIS3_N6thrust23THRUST_200600_302600_NS6detail15normal_iteratorINS8_10device_ptrIiEEEESD_jNS1_19radix_merge_compareILb0ELb0EiNS0_19identity_decomposerEEEEE10hipError_tT0_T1_T2_jT3_P12ihipStream_tbPNSt15iterator_traitsISI_E10value_typeEPNSO_ISJ_E10value_typeEPSK_NS1_7vsmem_tEENKUlT_SI_SJ_SK_E_clIPiSD_S10_SD_EESH_SX_SI_SJ_SK_EUlSX_E1_NS1_11comp_targetILNS1_3genE0ELNS1_11target_archE4294967295ELNS1_3gpuE0ELNS1_3repE0EEENS1_36merge_oddeven_config_static_selectorELNS0_4arch9wavefront6targetE1EEEvSJ_.kd
    .uniform_work_group_size: 1
    .uses_dynamic_stack: false
    .vgpr_count:     10
    .vgpr_spill_count: 0
    .wavefront_size: 64
  - .agpr_count:     0
    .args:
      - .offset:         0
        .size:           48
        .value_kind:     by_value
    .group_segment_fixed_size: 0
    .kernarg_segment_align: 8
    .kernarg_segment_size: 48
    .language:       OpenCL C
    .language_version:
      - 2
      - 0
    .max_flat_workgroup_size: 256
    .name:           _ZN7rocprim17ROCPRIM_400000_NS6detail17trampoline_kernelINS0_14default_configENS1_38merge_sort_block_merge_config_selectorIiiEEZZNS1_27merge_sort_block_merge_implIS3_N6thrust23THRUST_200600_302600_NS6detail15normal_iteratorINS8_10device_ptrIiEEEESD_jNS1_19radix_merge_compareILb0ELb0EiNS0_19identity_decomposerEEEEE10hipError_tT0_T1_T2_jT3_P12ihipStream_tbPNSt15iterator_traitsISI_E10value_typeEPNSO_ISJ_E10value_typeEPSK_NS1_7vsmem_tEENKUlT_SI_SJ_SK_E_clIPiSD_S10_SD_EESH_SX_SI_SJ_SK_EUlSX_E1_NS1_11comp_targetILNS1_3genE10ELNS1_11target_archE1201ELNS1_3gpuE5ELNS1_3repE0EEENS1_36merge_oddeven_config_static_selectorELNS0_4arch9wavefront6targetE1EEEvSJ_
    .private_segment_fixed_size: 0
    .sgpr_count:     6
    .sgpr_spill_count: 0
    .symbol:         _ZN7rocprim17ROCPRIM_400000_NS6detail17trampoline_kernelINS0_14default_configENS1_38merge_sort_block_merge_config_selectorIiiEEZZNS1_27merge_sort_block_merge_implIS3_N6thrust23THRUST_200600_302600_NS6detail15normal_iteratorINS8_10device_ptrIiEEEESD_jNS1_19radix_merge_compareILb0ELb0EiNS0_19identity_decomposerEEEEE10hipError_tT0_T1_T2_jT3_P12ihipStream_tbPNSt15iterator_traitsISI_E10value_typeEPNSO_ISJ_E10value_typeEPSK_NS1_7vsmem_tEENKUlT_SI_SJ_SK_E_clIPiSD_S10_SD_EESH_SX_SI_SJ_SK_EUlSX_E1_NS1_11comp_targetILNS1_3genE10ELNS1_11target_archE1201ELNS1_3gpuE5ELNS1_3repE0EEENS1_36merge_oddeven_config_static_selectorELNS0_4arch9wavefront6targetE1EEEvSJ_.kd
    .uniform_work_group_size: 1
    .uses_dynamic_stack: false
    .vgpr_count:     0
    .vgpr_spill_count: 0
    .wavefront_size: 64
  - .agpr_count:     0
    .args:
      - .offset:         0
        .size:           48
        .value_kind:     by_value
    .group_segment_fixed_size: 0
    .kernarg_segment_align: 8
    .kernarg_segment_size: 48
    .language:       OpenCL C
    .language_version:
      - 2
      - 0
    .max_flat_workgroup_size: 256
    .name:           _ZN7rocprim17ROCPRIM_400000_NS6detail17trampoline_kernelINS0_14default_configENS1_38merge_sort_block_merge_config_selectorIiiEEZZNS1_27merge_sort_block_merge_implIS3_N6thrust23THRUST_200600_302600_NS6detail15normal_iteratorINS8_10device_ptrIiEEEESD_jNS1_19radix_merge_compareILb0ELb0EiNS0_19identity_decomposerEEEEE10hipError_tT0_T1_T2_jT3_P12ihipStream_tbPNSt15iterator_traitsISI_E10value_typeEPNSO_ISJ_E10value_typeEPSK_NS1_7vsmem_tEENKUlT_SI_SJ_SK_E_clIPiSD_S10_SD_EESH_SX_SI_SJ_SK_EUlSX_E1_NS1_11comp_targetILNS1_3genE5ELNS1_11target_archE942ELNS1_3gpuE9ELNS1_3repE0EEENS1_36merge_oddeven_config_static_selectorELNS0_4arch9wavefront6targetE1EEEvSJ_
    .private_segment_fixed_size: 0
    .sgpr_count:     6
    .sgpr_spill_count: 0
    .symbol:         _ZN7rocprim17ROCPRIM_400000_NS6detail17trampoline_kernelINS0_14default_configENS1_38merge_sort_block_merge_config_selectorIiiEEZZNS1_27merge_sort_block_merge_implIS3_N6thrust23THRUST_200600_302600_NS6detail15normal_iteratorINS8_10device_ptrIiEEEESD_jNS1_19radix_merge_compareILb0ELb0EiNS0_19identity_decomposerEEEEE10hipError_tT0_T1_T2_jT3_P12ihipStream_tbPNSt15iterator_traitsISI_E10value_typeEPNSO_ISJ_E10value_typeEPSK_NS1_7vsmem_tEENKUlT_SI_SJ_SK_E_clIPiSD_S10_SD_EESH_SX_SI_SJ_SK_EUlSX_E1_NS1_11comp_targetILNS1_3genE5ELNS1_11target_archE942ELNS1_3gpuE9ELNS1_3repE0EEENS1_36merge_oddeven_config_static_selectorELNS0_4arch9wavefront6targetE1EEEvSJ_.kd
    .uniform_work_group_size: 1
    .uses_dynamic_stack: false
    .vgpr_count:     0
    .vgpr_spill_count: 0
    .wavefront_size: 64
  - .agpr_count:     0
    .args:
      - .offset:         0
        .size:           48
        .value_kind:     by_value
    .group_segment_fixed_size: 0
    .kernarg_segment_align: 8
    .kernarg_segment_size: 48
    .language:       OpenCL C
    .language_version:
      - 2
      - 0
    .max_flat_workgroup_size: 256
    .name:           _ZN7rocprim17ROCPRIM_400000_NS6detail17trampoline_kernelINS0_14default_configENS1_38merge_sort_block_merge_config_selectorIiiEEZZNS1_27merge_sort_block_merge_implIS3_N6thrust23THRUST_200600_302600_NS6detail15normal_iteratorINS8_10device_ptrIiEEEESD_jNS1_19radix_merge_compareILb0ELb0EiNS0_19identity_decomposerEEEEE10hipError_tT0_T1_T2_jT3_P12ihipStream_tbPNSt15iterator_traitsISI_E10value_typeEPNSO_ISJ_E10value_typeEPSK_NS1_7vsmem_tEENKUlT_SI_SJ_SK_E_clIPiSD_S10_SD_EESH_SX_SI_SJ_SK_EUlSX_E1_NS1_11comp_targetILNS1_3genE4ELNS1_11target_archE910ELNS1_3gpuE8ELNS1_3repE0EEENS1_36merge_oddeven_config_static_selectorELNS0_4arch9wavefront6targetE1EEEvSJ_
    .private_segment_fixed_size: 0
    .sgpr_count:     6
    .sgpr_spill_count: 0
    .symbol:         _ZN7rocprim17ROCPRIM_400000_NS6detail17trampoline_kernelINS0_14default_configENS1_38merge_sort_block_merge_config_selectorIiiEEZZNS1_27merge_sort_block_merge_implIS3_N6thrust23THRUST_200600_302600_NS6detail15normal_iteratorINS8_10device_ptrIiEEEESD_jNS1_19radix_merge_compareILb0ELb0EiNS0_19identity_decomposerEEEEE10hipError_tT0_T1_T2_jT3_P12ihipStream_tbPNSt15iterator_traitsISI_E10value_typeEPNSO_ISJ_E10value_typeEPSK_NS1_7vsmem_tEENKUlT_SI_SJ_SK_E_clIPiSD_S10_SD_EESH_SX_SI_SJ_SK_EUlSX_E1_NS1_11comp_targetILNS1_3genE4ELNS1_11target_archE910ELNS1_3gpuE8ELNS1_3repE0EEENS1_36merge_oddeven_config_static_selectorELNS0_4arch9wavefront6targetE1EEEvSJ_.kd
    .uniform_work_group_size: 1
    .uses_dynamic_stack: false
    .vgpr_count:     0
    .vgpr_spill_count: 0
    .wavefront_size: 64
  - .agpr_count:     0
    .args:
      - .offset:         0
        .size:           48
        .value_kind:     by_value
    .group_segment_fixed_size: 0
    .kernarg_segment_align: 8
    .kernarg_segment_size: 48
    .language:       OpenCL C
    .language_version:
      - 2
      - 0
    .max_flat_workgroup_size: 256
    .name:           _ZN7rocprim17ROCPRIM_400000_NS6detail17trampoline_kernelINS0_14default_configENS1_38merge_sort_block_merge_config_selectorIiiEEZZNS1_27merge_sort_block_merge_implIS3_N6thrust23THRUST_200600_302600_NS6detail15normal_iteratorINS8_10device_ptrIiEEEESD_jNS1_19radix_merge_compareILb0ELb0EiNS0_19identity_decomposerEEEEE10hipError_tT0_T1_T2_jT3_P12ihipStream_tbPNSt15iterator_traitsISI_E10value_typeEPNSO_ISJ_E10value_typeEPSK_NS1_7vsmem_tEENKUlT_SI_SJ_SK_E_clIPiSD_S10_SD_EESH_SX_SI_SJ_SK_EUlSX_E1_NS1_11comp_targetILNS1_3genE3ELNS1_11target_archE908ELNS1_3gpuE7ELNS1_3repE0EEENS1_36merge_oddeven_config_static_selectorELNS0_4arch9wavefront6targetE1EEEvSJ_
    .private_segment_fixed_size: 0
    .sgpr_count:     6
    .sgpr_spill_count: 0
    .symbol:         _ZN7rocprim17ROCPRIM_400000_NS6detail17trampoline_kernelINS0_14default_configENS1_38merge_sort_block_merge_config_selectorIiiEEZZNS1_27merge_sort_block_merge_implIS3_N6thrust23THRUST_200600_302600_NS6detail15normal_iteratorINS8_10device_ptrIiEEEESD_jNS1_19radix_merge_compareILb0ELb0EiNS0_19identity_decomposerEEEEE10hipError_tT0_T1_T2_jT3_P12ihipStream_tbPNSt15iterator_traitsISI_E10value_typeEPNSO_ISJ_E10value_typeEPSK_NS1_7vsmem_tEENKUlT_SI_SJ_SK_E_clIPiSD_S10_SD_EESH_SX_SI_SJ_SK_EUlSX_E1_NS1_11comp_targetILNS1_3genE3ELNS1_11target_archE908ELNS1_3gpuE7ELNS1_3repE0EEENS1_36merge_oddeven_config_static_selectorELNS0_4arch9wavefront6targetE1EEEvSJ_.kd
    .uniform_work_group_size: 1
    .uses_dynamic_stack: false
    .vgpr_count:     0
    .vgpr_spill_count: 0
    .wavefront_size: 64
  - .agpr_count:     0
    .args:
      - .offset:         0
        .size:           48
        .value_kind:     by_value
    .group_segment_fixed_size: 0
    .kernarg_segment_align: 8
    .kernarg_segment_size: 48
    .language:       OpenCL C
    .language_version:
      - 2
      - 0
    .max_flat_workgroup_size: 256
    .name:           _ZN7rocprim17ROCPRIM_400000_NS6detail17trampoline_kernelINS0_14default_configENS1_38merge_sort_block_merge_config_selectorIiiEEZZNS1_27merge_sort_block_merge_implIS3_N6thrust23THRUST_200600_302600_NS6detail15normal_iteratorINS8_10device_ptrIiEEEESD_jNS1_19radix_merge_compareILb0ELb0EiNS0_19identity_decomposerEEEEE10hipError_tT0_T1_T2_jT3_P12ihipStream_tbPNSt15iterator_traitsISI_E10value_typeEPNSO_ISJ_E10value_typeEPSK_NS1_7vsmem_tEENKUlT_SI_SJ_SK_E_clIPiSD_S10_SD_EESH_SX_SI_SJ_SK_EUlSX_E1_NS1_11comp_targetILNS1_3genE2ELNS1_11target_archE906ELNS1_3gpuE6ELNS1_3repE0EEENS1_36merge_oddeven_config_static_selectorELNS0_4arch9wavefront6targetE1EEEvSJ_
    .private_segment_fixed_size: 0
    .sgpr_count:     6
    .sgpr_spill_count: 0
    .symbol:         _ZN7rocprim17ROCPRIM_400000_NS6detail17trampoline_kernelINS0_14default_configENS1_38merge_sort_block_merge_config_selectorIiiEEZZNS1_27merge_sort_block_merge_implIS3_N6thrust23THRUST_200600_302600_NS6detail15normal_iteratorINS8_10device_ptrIiEEEESD_jNS1_19radix_merge_compareILb0ELb0EiNS0_19identity_decomposerEEEEE10hipError_tT0_T1_T2_jT3_P12ihipStream_tbPNSt15iterator_traitsISI_E10value_typeEPNSO_ISJ_E10value_typeEPSK_NS1_7vsmem_tEENKUlT_SI_SJ_SK_E_clIPiSD_S10_SD_EESH_SX_SI_SJ_SK_EUlSX_E1_NS1_11comp_targetILNS1_3genE2ELNS1_11target_archE906ELNS1_3gpuE6ELNS1_3repE0EEENS1_36merge_oddeven_config_static_selectorELNS0_4arch9wavefront6targetE1EEEvSJ_.kd
    .uniform_work_group_size: 1
    .uses_dynamic_stack: false
    .vgpr_count:     0
    .vgpr_spill_count: 0
    .wavefront_size: 64
  - .agpr_count:     0
    .args:
      - .offset:         0
        .size:           48
        .value_kind:     by_value
    .group_segment_fixed_size: 0
    .kernarg_segment_align: 8
    .kernarg_segment_size: 48
    .language:       OpenCL C
    .language_version:
      - 2
      - 0
    .max_flat_workgroup_size: 256
    .name:           _ZN7rocprim17ROCPRIM_400000_NS6detail17trampoline_kernelINS0_14default_configENS1_38merge_sort_block_merge_config_selectorIiiEEZZNS1_27merge_sort_block_merge_implIS3_N6thrust23THRUST_200600_302600_NS6detail15normal_iteratorINS8_10device_ptrIiEEEESD_jNS1_19radix_merge_compareILb0ELb0EiNS0_19identity_decomposerEEEEE10hipError_tT0_T1_T2_jT3_P12ihipStream_tbPNSt15iterator_traitsISI_E10value_typeEPNSO_ISJ_E10value_typeEPSK_NS1_7vsmem_tEENKUlT_SI_SJ_SK_E_clIPiSD_S10_SD_EESH_SX_SI_SJ_SK_EUlSX_E1_NS1_11comp_targetILNS1_3genE9ELNS1_11target_archE1100ELNS1_3gpuE3ELNS1_3repE0EEENS1_36merge_oddeven_config_static_selectorELNS0_4arch9wavefront6targetE1EEEvSJ_
    .private_segment_fixed_size: 0
    .sgpr_count:     6
    .sgpr_spill_count: 0
    .symbol:         _ZN7rocprim17ROCPRIM_400000_NS6detail17trampoline_kernelINS0_14default_configENS1_38merge_sort_block_merge_config_selectorIiiEEZZNS1_27merge_sort_block_merge_implIS3_N6thrust23THRUST_200600_302600_NS6detail15normal_iteratorINS8_10device_ptrIiEEEESD_jNS1_19radix_merge_compareILb0ELb0EiNS0_19identity_decomposerEEEEE10hipError_tT0_T1_T2_jT3_P12ihipStream_tbPNSt15iterator_traitsISI_E10value_typeEPNSO_ISJ_E10value_typeEPSK_NS1_7vsmem_tEENKUlT_SI_SJ_SK_E_clIPiSD_S10_SD_EESH_SX_SI_SJ_SK_EUlSX_E1_NS1_11comp_targetILNS1_3genE9ELNS1_11target_archE1100ELNS1_3gpuE3ELNS1_3repE0EEENS1_36merge_oddeven_config_static_selectorELNS0_4arch9wavefront6targetE1EEEvSJ_.kd
    .uniform_work_group_size: 1
    .uses_dynamic_stack: false
    .vgpr_count:     0
    .vgpr_spill_count: 0
    .wavefront_size: 64
  - .agpr_count:     0
    .args:
      - .offset:         0
        .size:           48
        .value_kind:     by_value
    .group_segment_fixed_size: 0
    .kernarg_segment_align: 8
    .kernarg_segment_size: 48
    .language:       OpenCL C
    .language_version:
      - 2
      - 0
    .max_flat_workgroup_size: 256
    .name:           _ZN7rocprim17ROCPRIM_400000_NS6detail17trampoline_kernelINS0_14default_configENS1_38merge_sort_block_merge_config_selectorIiiEEZZNS1_27merge_sort_block_merge_implIS3_N6thrust23THRUST_200600_302600_NS6detail15normal_iteratorINS8_10device_ptrIiEEEESD_jNS1_19radix_merge_compareILb0ELb0EiNS0_19identity_decomposerEEEEE10hipError_tT0_T1_T2_jT3_P12ihipStream_tbPNSt15iterator_traitsISI_E10value_typeEPNSO_ISJ_E10value_typeEPSK_NS1_7vsmem_tEENKUlT_SI_SJ_SK_E_clIPiSD_S10_SD_EESH_SX_SI_SJ_SK_EUlSX_E1_NS1_11comp_targetILNS1_3genE8ELNS1_11target_archE1030ELNS1_3gpuE2ELNS1_3repE0EEENS1_36merge_oddeven_config_static_selectorELNS0_4arch9wavefront6targetE1EEEvSJ_
    .private_segment_fixed_size: 0
    .sgpr_count:     6
    .sgpr_spill_count: 0
    .symbol:         _ZN7rocprim17ROCPRIM_400000_NS6detail17trampoline_kernelINS0_14default_configENS1_38merge_sort_block_merge_config_selectorIiiEEZZNS1_27merge_sort_block_merge_implIS3_N6thrust23THRUST_200600_302600_NS6detail15normal_iteratorINS8_10device_ptrIiEEEESD_jNS1_19radix_merge_compareILb0ELb0EiNS0_19identity_decomposerEEEEE10hipError_tT0_T1_T2_jT3_P12ihipStream_tbPNSt15iterator_traitsISI_E10value_typeEPNSO_ISJ_E10value_typeEPSK_NS1_7vsmem_tEENKUlT_SI_SJ_SK_E_clIPiSD_S10_SD_EESH_SX_SI_SJ_SK_EUlSX_E1_NS1_11comp_targetILNS1_3genE8ELNS1_11target_archE1030ELNS1_3gpuE2ELNS1_3repE0EEENS1_36merge_oddeven_config_static_selectorELNS0_4arch9wavefront6targetE1EEEvSJ_.kd
    .uniform_work_group_size: 1
    .uses_dynamic_stack: false
    .vgpr_count:     0
    .vgpr_spill_count: 0
    .wavefront_size: 64
  - .agpr_count:     0
    .args:
      - .offset:         0
        .size:           40
        .value_kind:     by_value
    .group_segment_fixed_size: 0
    .kernarg_segment_align: 8
    .kernarg_segment_size: 40
    .language:       OpenCL C
    .language_version:
      - 2
      - 0
    .max_flat_workgroup_size: 128
    .name:           _ZN7rocprim17ROCPRIM_400000_NS6detail17trampoline_kernelINS0_14default_configENS1_38merge_sort_block_merge_config_selectorIiiEEZZNS1_27merge_sort_block_merge_implIS3_N6thrust23THRUST_200600_302600_NS6detail15normal_iteratorINS8_10device_ptrIiEEEESD_jNS1_19radix_merge_compareILb0ELb0EiNS0_19identity_decomposerEEEEE10hipError_tT0_T1_T2_jT3_P12ihipStream_tbPNSt15iterator_traitsISI_E10value_typeEPNSO_ISJ_E10value_typeEPSK_NS1_7vsmem_tEENKUlT_SI_SJ_SK_E_clISD_PiSD_S10_EESH_SX_SI_SJ_SK_EUlSX_E_NS1_11comp_targetILNS1_3genE0ELNS1_11target_archE4294967295ELNS1_3gpuE0ELNS1_3repE0EEENS1_48merge_mergepath_partition_config_static_selectorELNS0_4arch9wavefront6targetE1EEEvSJ_
    .private_segment_fixed_size: 0
    .sgpr_count:     14
    .sgpr_spill_count: 0
    .symbol:         _ZN7rocprim17ROCPRIM_400000_NS6detail17trampoline_kernelINS0_14default_configENS1_38merge_sort_block_merge_config_selectorIiiEEZZNS1_27merge_sort_block_merge_implIS3_N6thrust23THRUST_200600_302600_NS6detail15normal_iteratorINS8_10device_ptrIiEEEESD_jNS1_19radix_merge_compareILb0ELb0EiNS0_19identity_decomposerEEEEE10hipError_tT0_T1_T2_jT3_P12ihipStream_tbPNSt15iterator_traitsISI_E10value_typeEPNSO_ISJ_E10value_typeEPSK_NS1_7vsmem_tEENKUlT_SI_SJ_SK_E_clISD_PiSD_S10_EESH_SX_SI_SJ_SK_EUlSX_E_NS1_11comp_targetILNS1_3genE0ELNS1_11target_archE4294967295ELNS1_3gpuE0ELNS1_3repE0EEENS1_48merge_mergepath_partition_config_static_selectorELNS0_4arch9wavefront6targetE1EEEvSJ_.kd
    .uniform_work_group_size: 1
    .uses_dynamic_stack: false
    .vgpr_count:     17
    .vgpr_spill_count: 0
    .wavefront_size: 64
  - .agpr_count:     0
    .args:
      - .offset:         0
        .size:           40
        .value_kind:     by_value
    .group_segment_fixed_size: 0
    .kernarg_segment_align: 8
    .kernarg_segment_size: 40
    .language:       OpenCL C
    .language_version:
      - 2
      - 0
    .max_flat_workgroup_size: 128
    .name:           _ZN7rocprim17ROCPRIM_400000_NS6detail17trampoline_kernelINS0_14default_configENS1_38merge_sort_block_merge_config_selectorIiiEEZZNS1_27merge_sort_block_merge_implIS3_N6thrust23THRUST_200600_302600_NS6detail15normal_iteratorINS8_10device_ptrIiEEEESD_jNS1_19radix_merge_compareILb0ELb0EiNS0_19identity_decomposerEEEEE10hipError_tT0_T1_T2_jT3_P12ihipStream_tbPNSt15iterator_traitsISI_E10value_typeEPNSO_ISJ_E10value_typeEPSK_NS1_7vsmem_tEENKUlT_SI_SJ_SK_E_clISD_PiSD_S10_EESH_SX_SI_SJ_SK_EUlSX_E_NS1_11comp_targetILNS1_3genE10ELNS1_11target_archE1201ELNS1_3gpuE5ELNS1_3repE0EEENS1_48merge_mergepath_partition_config_static_selectorELNS0_4arch9wavefront6targetE1EEEvSJ_
    .private_segment_fixed_size: 0
    .sgpr_count:     6
    .sgpr_spill_count: 0
    .symbol:         _ZN7rocprim17ROCPRIM_400000_NS6detail17trampoline_kernelINS0_14default_configENS1_38merge_sort_block_merge_config_selectorIiiEEZZNS1_27merge_sort_block_merge_implIS3_N6thrust23THRUST_200600_302600_NS6detail15normal_iteratorINS8_10device_ptrIiEEEESD_jNS1_19radix_merge_compareILb0ELb0EiNS0_19identity_decomposerEEEEE10hipError_tT0_T1_T2_jT3_P12ihipStream_tbPNSt15iterator_traitsISI_E10value_typeEPNSO_ISJ_E10value_typeEPSK_NS1_7vsmem_tEENKUlT_SI_SJ_SK_E_clISD_PiSD_S10_EESH_SX_SI_SJ_SK_EUlSX_E_NS1_11comp_targetILNS1_3genE10ELNS1_11target_archE1201ELNS1_3gpuE5ELNS1_3repE0EEENS1_48merge_mergepath_partition_config_static_selectorELNS0_4arch9wavefront6targetE1EEEvSJ_.kd
    .uniform_work_group_size: 1
    .uses_dynamic_stack: false
    .vgpr_count:     0
    .vgpr_spill_count: 0
    .wavefront_size: 64
  - .agpr_count:     0
    .args:
      - .offset:         0
        .size:           40
        .value_kind:     by_value
    .group_segment_fixed_size: 0
    .kernarg_segment_align: 8
    .kernarg_segment_size: 40
    .language:       OpenCL C
    .language_version:
      - 2
      - 0
    .max_flat_workgroup_size: 128
    .name:           _ZN7rocprim17ROCPRIM_400000_NS6detail17trampoline_kernelINS0_14default_configENS1_38merge_sort_block_merge_config_selectorIiiEEZZNS1_27merge_sort_block_merge_implIS3_N6thrust23THRUST_200600_302600_NS6detail15normal_iteratorINS8_10device_ptrIiEEEESD_jNS1_19radix_merge_compareILb0ELb0EiNS0_19identity_decomposerEEEEE10hipError_tT0_T1_T2_jT3_P12ihipStream_tbPNSt15iterator_traitsISI_E10value_typeEPNSO_ISJ_E10value_typeEPSK_NS1_7vsmem_tEENKUlT_SI_SJ_SK_E_clISD_PiSD_S10_EESH_SX_SI_SJ_SK_EUlSX_E_NS1_11comp_targetILNS1_3genE5ELNS1_11target_archE942ELNS1_3gpuE9ELNS1_3repE0EEENS1_48merge_mergepath_partition_config_static_selectorELNS0_4arch9wavefront6targetE1EEEvSJ_
    .private_segment_fixed_size: 0
    .sgpr_count:     6
    .sgpr_spill_count: 0
    .symbol:         _ZN7rocprim17ROCPRIM_400000_NS6detail17trampoline_kernelINS0_14default_configENS1_38merge_sort_block_merge_config_selectorIiiEEZZNS1_27merge_sort_block_merge_implIS3_N6thrust23THRUST_200600_302600_NS6detail15normal_iteratorINS8_10device_ptrIiEEEESD_jNS1_19radix_merge_compareILb0ELb0EiNS0_19identity_decomposerEEEEE10hipError_tT0_T1_T2_jT3_P12ihipStream_tbPNSt15iterator_traitsISI_E10value_typeEPNSO_ISJ_E10value_typeEPSK_NS1_7vsmem_tEENKUlT_SI_SJ_SK_E_clISD_PiSD_S10_EESH_SX_SI_SJ_SK_EUlSX_E_NS1_11comp_targetILNS1_3genE5ELNS1_11target_archE942ELNS1_3gpuE9ELNS1_3repE0EEENS1_48merge_mergepath_partition_config_static_selectorELNS0_4arch9wavefront6targetE1EEEvSJ_.kd
    .uniform_work_group_size: 1
    .uses_dynamic_stack: false
    .vgpr_count:     0
    .vgpr_spill_count: 0
    .wavefront_size: 64
  - .agpr_count:     0
    .args:
      - .offset:         0
        .size:           40
        .value_kind:     by_value
    .group_segment_fixed_size: 0
    .kernarg_segment_align: 8
    .kernarg_segment_size: 40
    .language:       OpenCL C
    .language_version:
      - 2
      - 0
    .max_flat_workgroup_size: 128
    .name:           _ZN7rocprim17ROCPRIM_400000_NS6detail17trampoline_kernelINS0_14default_configENS1_38merge_sort_block_merge_config_selectorIiiEEZZNS1_27merge_sort_block_merge_implIS3_N6thrust23THRUST_200600_302600_NS6detail15normal_iteratorINS8_10device_ptrIiEEEESD_jNS1_19radix_merge_compareILb0ELb0EiNS0_19identity_decomposerEEEEE10hipError_tT0_T1_T2_jT3_P12ihipStream_tbPNSt15iterator_traitsISI_E10value_typeEPNSO_ISJ_E10value_typeEPSK_NS1_7vsmem_tEENKUlT_SI_SJ_SK_E_clISD_PiSD_S10_EESH_SX_SI_SJ_SK_EUlSX_E_NS1_11comp_targetILNS1_3genE4ELNS1_11target_archE910ELNS1_3gpuE8ELNS1_3repE0EEENS1_48merge_mergepath_partition_config_static_selectorELNS0_4arch9wavefront6targetE1EEEvSJ_
    .private_segment_fixed_size: 0
    .sgpr_count:     6
    .sgpr_spill_count: 0
    .symbol:         _ZN7rocprim17ROCPRIM_400000_NS6detail17trampoline_kernelINS0_14default_configENS1_38merge_sort_block_merge_config_selectorIiiEEZZNS1_27merge_sort_block_merge_implIS3_N6thrust23THRUST_200600_302600_NS6detail15normal_iteratorINS8_10device_ptrIiEEEESD_jNS1_19radix_merge_compareILb0ELb0EiNS0_19identity_decomposerEEEEE10hipError_tT0_T1_T2_jT3_P12ihipStream_tbPNSt15iterator_traitsISI_E10value_typeEPNSO_ISJ_E10value_typeEPSK_NS1_7vsmem_tEENKUlT_SI_SJ_SK_E_clISD_PiSD_S10_EESH_SX_SI_SJ_SK_EUlSX_E_NS1_11comp_targetILNS1_3genE4ELNS1_11target_archE910ELNS1_3gpuE8ELNS1_3repE0EEENS1_48merge_mergepath_partition_config_static_selectorELNS0_4arch9wavefront6targetE1EEEvSJ_.kd
    .uniform_work_group_size: 1
    .uses_dynamic_stack: false
    .vgpr_count:     0
    .vgpr_spill_count: 0
    .wavefront_size: 64
  - .agpr_count:     0
    .args:
      - .offset:         0
        .size:           40
        .value_kind:     by_value
    .group_segment_fixed_size: 0
    .kernarg_segment_align: 8
    .kernarg_segment_size: 40
    .language:       OpenCL C
    .language_version:
      - 2
      - 0
    .max_flat_workgroup_size: 128
    .name:           _ZN7rocprim17ROCPRIM_400000_NS6detail17trampoline_kernelINS0_14default_configENS1_38merge_sort_block_merge_config_selectorIiiEEZZNS1_27merge_sort_block_merge_implIS3_N6thrust23THRUST_200600_302600_NS6detail15normal_iteratorINS8_10device_ptrIiEEEESD_jNS1_19radix_merge_compareILb0ELb0EiNS0_19identity_decomposerEEEEE10hipError_tT0_T1_T2_jT3_P12ihipStream_tbPNSt15iterator_traitsISI_E10value_typeEPNSO_ISJ_E10value_typeEPSK_NS1_7vsmem_tEENKUlT_SI_SJ_SK_E_clISD_PiSD_S10_EESH_SX_SI_SJ_SK_EUlSX_E_NS1_11comp_targetILNS1_3genE3ELNS1_11target_archE908ELNS1_3gpuE7ELNS1_3repE0EEENS1_48merge_mergepath_partition_config_static_selectorELNS0_4arch9wavefront6targetE1EEEvSJ_
    .private_segment_fixed_size: 0
    .sgpr_count:     6
    .sgpr_spill_count: 0
    .symbol:         _ZN7rocprim17ROCPRIM_400000_NS6detail17trampoline_kernelINS0_14default_configENS1_38merge_sort_block_merge_config_selectorIiiEEZZNS1_27merge_sort_block_merge_implIS3_N6thrust23THRUST_200600_302600_NS6detail15normal_iteratorINS8_10device_ptrIiEEEESD_jNS1_19radix_merge_compareILb0ELb0EiNS0_19identity_decomposerEEEEE10hipError_tT0_T1_T2_jT3_P12ihipStream_tbPNSt15iterator_traitsISI_E10value_typeEPNSO_ISJ_E10value_typeEPSK_NS1_7vsmem_tEENKUlT_SI_SJ_SK_E_clISD_PiSD_S10_EESH_SX_SI_SJ_SK_EUlSX_E_NS1_11comp_targetILNS1_3genE3ELNS1_11target_archE908ELNS1_3gpuE7ELNS1_3repE0EEENS1_48merge_mergepath_partition_config_static_selectorELNS0_4arch9wavefront6targetE1EEEvSJ_.kd
    .uniform_work_group_size: 1
    .uses_dynamic_stack: false
    .vgpr_count:     0
    .vgpr_spill_count: 0
    .wavefront_size: 64
  - .agpr_count:     0
    .args:
      - .offset:         0
        .size:           40
        .value_kind:     by_value
    .group_segment_fixed_size: 0
    .kernarg_segment_align: 8
    .kernarg_segment_size: 40
    .language:       OpenCL C
    .language_version:
      - 2
      - 0
    .max_flat_workgroup_size: 128
    .name:           _ZN7rocprim17ROCPRIM_400000_NS6detail17trampoline_kernelINS0_14default_configENS1_38merge_sort_block_merge_config_selectorIiiEEZZNS1_27merge_sort_block_merge_implIS3_N6thrust23THRUST_200600_302600_NS6detail15normal_iteratorINS8_10device_ptrIiEEEESD_jNS1_19radix_merge_compareILb0ELb0EiNS0_19identity_decomposerEEEEE10hipError_tT0_T1_T2_jT3_P12ihipStream_tbPNSt15iterator_traitsISI_E10value_typeEPNSO_ISJ_E10value_typeEPSK_NS1_7vsmem_tEENKUlT_SI_SJ_SK_E_clISD_PiSD_S10_EESH_SX_SI_SJ_SK_EUlSX_E_NS1_11comp_targetILNS1_3genE2ELNS1_11target_archE906ELNS1_3gpuE6ELNS1_3repE0EEENS1_48merge_mergepath_partition_config_static_selectorELNS0_4arch9wavefront6targetE1EEEvSJ_
    .private_segment_fixed_size: 0
    .sgpr_count:     6
    .sgpr_spill_count: 0
    .symbol:         _ZN7rocprim17ROCPRIM_400000_NS6detail17trampoline_kernelINS0_14default_configENS1_38merge_sort_block_merge_config_selectorIiiEEZZNS1_27merge_sort_block_merge_implIS3_N6thrust23THRUST_200600_302600_NS6detail15normal_iteratorINS8_10device_ptrIiEEEESD_jNS1_19radix_merge_compareILb0ELb0EiNS0_19identity_decomposerEEEEE10hipError_tT0_T1_T2_jT3_P12ihipStream_tbPNSt15iterator_traitsISI_E10value_typeEPNSO_ISJ_E10value_typeEPSK_NS1_7vsmem_tEENKUlT_SI_SJ_SK_E_clISD_PiSD_S10_EESH_SX_SI_SJ_SK_EUlSX_E_NS1_11comp_targetILNS1_3genE2ELNS1_11target_archE906ELNS1_3gpuE6ELNS1_3repE0EEENS1_48merge_mergepath_partition_config_static_selectorELNS0_4arch9wavefront6targetE1EEEvSJ_.kd
    .uniform_work_group_size: 1
    .uses_dynamic_stack: false
    .vgpr_count:     0
    .vgpr_spill_count: 0
    .wavefront_size: 64
  - .agpr_count:     0
    .args:
      - .offset:         0
        .size:           40
        .value_kind:     by_value
    .group_segment_fixed_size: 0
    .kernarg_segment_align: 8
    .kernarg_segment_size: 40
    .language:       OpenCL C
    .language_version:
      - 2
      - 0
    .max_flat_workgroup_size: 128
    .name:           _ZN7rocprim17ROCPRIM_400000_NS6detail17trampoline_kernelINS0_14default_configENS1_38merge_sort_block_merge_config_selectorIiiEEZZNS1_27merge_sort_block_merge_implIS3_N6thrust23THRUST_200600_302600_NS6detail15normal_iteratorINS8_10device_ptrIiEEEESD_jNS1_19radix_merge_compareILb0ELb0EiNS0_19identity_decomposerEEEEE10hipError_tT0_T1_T2_jT3_P12ihipStream_tbPNSt15iterator_traitsISI_E10value_typeEPNSO_ISJ_E10value_typeEPSK_NS1_7vsmem_tEENKUlT_SI_SJ_SK_E_clISD_PiSD_S10_EESH_SX_SI_SJ_SK_EUlSX_E_NS1_11comp_targetILNS1_3genE9ELNS1_11target_archE1100ELNS1_3gpuE3ELNS1_3repE0EEENS1_48merge_mergepath_partition_config_static_selectorELNS0_4arch9wavefront6targetE1EEEvSJ_
    .private_segment_fixed_size: 0
    .sgpr_count:     6
    .sgpr_spill_count: 0
    .symbol:         _ZN7rocprim17ROCPRIM_400000_NS6detail17trampoline_kernelINS0_14default_configENS1_38merge_sort_block_merge_config_selectorIiiEEZZNS1_27merge_sort_block_merge_implIS3_N6thrust23THRUST_200600_302600_NS6detail15normal_iteratorINS8_10device_ptrIiEEEESD_jNS1_19radix_merge_compareILb0ELb0EiNS0_19identity_decomposerEEEEE10hipError_tT0_T1_T2_jT3_P12ihipStream_tbPNSt15iterator_traitsISI_E10value_typeEPNSO_ISJ_E10value_typeEPSK_NS1_7vsmem_tEENKUlT_SI_SJ_SK_E_clISD_PiSD_S10_EESH_SX_SI_SJ_SK_EUlSX_E_NS1_11comp_targetILNS1_3genE9ELNS1_11target_archE1100ELNS1_3gpuE3ELNS1_3repE0EEENS1_48merge_mergepath_partition_config_static_selectorELNS0_4arch9wavefront6targetE1EEEvSJ_.kd
    .uniform_work_group_size: 1
    .uses_dynamic_stack: false
    .vgpr_count:     0
    .vgpr_spill_count: 0
    .wavefront_size: 64
  - .agpr_count:     0
    .args:
      - .offset:         0
        .size:           40
        .value_kind:     by_value
    .group_segment_fixed_size: 0
    .kernarg_segment_align: 8
    .kernarg_segment_size: 40
    .language:       OpenCL C
    .language_version:
      - 2
      - 0
    .max_flat_workgroup_size: 128
    .name:           _ZN7rocprim17ROCPRIM_400000_NS6detail17trampoline_kernelINS0_14default_configENS1_38merge_sort_block_merge_config_selectorIiiEEZZNS1_27merge_sort_block_merge_implIS3_N6thrust23THRUST_200600_302600_NS6detail15normal_iteratorINS8_10device_ptrIiEEEESD_jNS1_19radix_merge_compareILb0ELb0EiNS0_19identity_decomposerEEEEE10hipError_tT0_T1_T2_jT3_P12ihipStream_tbPNSt15iterator_traitsISI_E10value_typeEPNSO_ISJ_E10value_typeEPSK_NS1_7vsmem_tEENKUlT_SI_SJ_SK_E_clISD_PiSD_S10_EESH_SX_SI_SJ_SK_EUlSX_E_NS1_11comp_targetILNS1_3genE8ELNS1_11target_archE1030ELNS1_3gpuE2ELNS1_3repE0EEENS1_48merge_mergepath_partition_config_static_selectorELNS0_4arch9wavefront6targetE1EEEvSJ_
    .private_segment_fixed_size: 0
    .sgpr_count:     6
    .sgpr_spill_count: 0
    .symbol:         _ZN7rocprim17ROCPRIM_400000_NS6detail17trampoline_kernelINS0_14default_configENS1_38merge_sort_block_merge_config_selectorIiiEEZZNS1_27merge_sort_block_merge_implIS3_N6thrust23THRUST_200600_302600_NS6detail15normal_iteratorINS8_10device_ptrIiEEEESD_jNS1_19radix_merge_compareILb0ELb0EiNS0_19identity_decomposerEEEEE10hipError_tT0_T1_T2_jT3_P12ihipStream_tbPNSt15iterator_traitsISI_E10value_typeEPNSO_ISJ_E10value_typeEPSK_NS1_7vsmem_tEENKUlT_SI_SJ_SK_E_clISD_PiSD_S10_EESH_SX_SI_SJ_SK_EUlSX_E_NS1_11comp_targetILNS1_3genE8ELNS1_11target_archE1030ELNS1_3gpuE2ELNS1_3repE0EEENS1_48merge_mergepath_partition_config_static_selectorELNS0_4arch9wavefront6targetE1EEEvSJ_.kd
    .uniform_work_group_size: 1
    .uses_dynamic_stack: false
    .vgpr_count:     0
    .vgpr_spill_count: 0
    .wavefront_size: 64
  - .agpr_count:     0
    .args:
      - .offset:         0
        .size:           64
        .value_kind:     by_value
      - .offset:         64
        .size:           4
        .value_kind:     hidden_block_count_x
      - .offset:         68
        .size:           4
        .value_kind:     hidden_block_count_y
      - .offset:         72
        .size:           4
        .value_kind:     hidden_block_count_z
      - .offset:         76
        .size:           2
        .value_kind:     hidden_group_size_x
      - .offset:         78
        .size:           2
        .value_kind:     hidden_group_size_y
      - .offset:         80
        .size:           2
        .value_kind:     hidden_group_size_z
      - .offset:         82
        .size:           2
        .value_kind:     hidden_remainder_x
      - .offset:         84
        .size:           2
        .value_kind:     hidden_remainder_y
      - .offset:         86
        .size:           2
        .value_kind:     hidden_remainder_z
      - .offset:         104
        .size:           8
        .value_kind:     hidden_global_offset_x
      - .offset:         112
        .size:           8
        .value_kind:     hidden_global_offset_y
      - .offset:         120
        .size:           8
        .value_kind:     hidden_global_offset_z
      - .offset:         128
        .size:           2
        .value_kind:     hidden_grid_dims
    .group_segment_fixed_size: 4224
    .kernarg_segment_align: 8
    .kernarg_segment_size: 320
    .language:       OpenCL C
    .language_version:
      - 2
      - 0
    .max_flat_workgroup_size: 256
    .name:           _ZN7rocprim17ROCPRIM_400000_NS6detail17trampoline_kernelINS0_14default_configENS1_38merge_sort_block_merge_config_selectorIiiEEZZNS1_27merge_sort_block_merge_implIS3_N6thrust23THRUST_200600_302600_NS6detail15normal_iteratorINS8_10device_ptrIiEEEESD_jNS1_19radix_merge_compareILb0ELb0EiNS0_19identity_decomposerEEEEE10hipError_tT0_T1_T2_jT3_P12ihipStream_tbPNSt15iterator_traitsISI_E10value_typeEPNSO_ISJ_E10value_typeEPSK_NS1_7vsmem_tEENKUlT_SI_SJ_SK_E_clISD_PiSD_S10_EESH_SX_SI_SJ_SK_EUlSX_E0_NS1_11comp_targetILNS1_3genE0ELNS1_11target_archE4294967295ELNS1_3gpuE0ELNS1_3repE0EEENS1_38merge_mergepath_config_static_selectorELNS0_4arch9wavefront6targetE1EEEvSJ_
    .private_segment_fixed_size: 0
    .sgpr_count:     36
    .sgpr_spill_count: 0
    .symbol:         _ZN7rocprim17ROCPRIM_400000_NS6detail17trampoline_kernelINS0_14default_configENS1_38merge_sort_block_merge_config_selectorIiiEEZZNS1_27merge_sort_block_merge_implIS3_N6thrust23THRUST_200600_302600_NS6detail15normal_iteratorINS8_10device_ptrIiEEEESD_jNS1_19radix_merge_compareILb0ELb0EiNS0_19identity_decomposerEEEEE10hipError_tT0_T1_T2_jT3_P12ihipStream_tbPNSt15iterator_traitsISI_E10value_typeEPNSO_ISJ_E10value_typeEPSK_NS1_7vsmem_tEENKUlT_SI_SJ_SK_E_clISD_PiSD_S10_EESH_SX_SI_SJ_SK_EUlSX_E0_NS1_11comp_targetILNS1_3genE0ELNS1_11target_archE4294967295ELNS1_3gpuE0ELNS1_3repE0EEENS1_38merge_mergepath_config_static_selectorELNS0_4arch9wavefront6targetE1EEEvSJ_.kd
    .uniform_work_group_size: 1
    .uses_dynamic_stack: false
    .vgpr_count:     21
    .vgpr_spill_count: 0
    .wavefront_size: 64
  - .agpr_count:     0
    .args:
      - .offset:         0
        .size:           64
        .value_kind:     by_value
    .group_segment_fixed_size: 0
    .kernarg_segment_align: 8
    .kernarg_segment_size: 64
    .language:       OpenCL C
    .language_version:
      - 2
      - 0
    .max_flat_workgroup_size: 256
    .name:           _ZN7rocprim17ROCPRIM_400000_NS6detail17trampoline_kernelINS0_14default_configENS1_38merge_sort_block_merge_config_selectorIiiEEZZNS1_27merge_sort_block_merge_implIS3_N6thrust23THRUST_200600_302600_NS6detail15normal_iteratorINS8_10device_ptrIiEEEESD_jNS1_19radix_merge_compareILb0ELb0EiNS0_19identity_decomposerEEEEE10hipError_tT0_T1_T2_jT3_P12ihipStream_tbPNSt15iterator_traitsISI_E10value_typeEPNSO_ISJ_E10value_typeEPSK_NS1_7vsmem_tEENKUlT_SI_SJ_SK_E_clISD_PiSD_S10_EESH_SX_SI_SJ_SK_EUlSX_E0_NS1_11comp_targetILNS1_3genE10ELNS1_11target_archE1201ELNS1_3gpuE5ELNS1_3repE0EEENS1_38merge_mergepath_config_static_selectorELNS0_4arch9wavefront6targetE1EEEvSJ_
    .private_segment_fixed_size: 0
    .sgpr_count:     6
    .sgpr_spill_count: 0
    .symbol:         _ZN7rocprim17ROCPRIM_400000_NS6detail17trampoline_kernelINS0_14default_configENS1_38merge_sort_block_merge_config_selectorIiiEEZZNS1_27merge_sort_block_merge_implIS3_N6thrust23THRUST_200600_302600_NS6detail15normal_iteratorINS8_10device_ptrIiEEEESD_jNS1_19radix_merge_compareILb0ELb0EiNS0_19identity_decomposerEEEEE10hipError_tT0_T1_T2_jT3_P12ihipStream_tbPNSt15iterator_traitsISI_E10value_typeEPNSO_ISJ_E10value_typeEPSK_NS1_7vsmem_tEENKUlT_SI_SJ_SK_E_clISD_PiSD_S10_EESH_SX_SI_SJ_SK_EUlSX_E0_NS1_11comp_targetILNS1_3genE10ELNS1_11target_archE1201ELNS1_3gpuE5ELNS1_3repE0EEENS1_38merge_mergepath_config_static_selectorELNS0_4arch9wavefront6targetE1EEEvSJ_.kd
    .uniform_work_group_size: 1
    .uses_dynamic_stack: false
    .vgpr_count:     0
    .vgpr_spill_count: 0
    .wavefront_size: 64
  - .agpr_count:     0
    .args:
      - .offset:         0
        .size:           64
        .value_kind:     by_value
    .group_segment_fixed_size: 0
    .kernarg_segment_align: 8
    .kernarg_segment_size: 64
    .language:       OpenCL C
    .language_version:
      - 2
      - 0
    .max_flat_workgroup_size: 128
    .name:           _ZN7rocprim17ROCPRIM_400000_NS6detail17trampoline_kernelINS0_14default_configENS1_38merge_sort_block_merge_config_selectorIiiEEZZNS1_27merge_sort_block_merge_implIS3_N6thrust23THRUST_200600_302600_NS6detail15normal_iteratorINS8_10device_ptrIiEEEESD_jNS1_19radix_merge_compareILb0ELb0EiNS0_19identity_decomposerEEEEE10hipError_tT0_T1_T2_jT3_P12ihipStream_tbPNSt15iterator_traitsISI_E10value_typeEPNSO_ISJ_E10value_typeEPSK_NS1_7vsmem_tEENKUlT_SI_SJ_SK_E_clISD_PiSD_S10_EESH_SX_SI_SJ_SK_EUlSX_E0_NS1_11comp_targetILNS1_3genE5ELNS1_11target_archE942ELNS1_3gpuE9ELNS1_3repE0EEENS1_38merge_mergepath_config_static_selectorELNS0_4arch9wavefront6targetE1EEEvSJ_
    .private_segment_fixed_size: 0
    .sgpr_count:     6
    .sgpr_spill_count: 0
    .symbol:         _ZN7rocprim17ROCPRIM_400000_NS6detail17trampoline_kernelINS0_14default_configENS1_38merge_sort_block_merge_config_selectorIiiEEZZNS1_27merge_sort_block_merge_implIS3_N6thrust23THRUST_200600_302600_NS6detail15normal_iteratorINS8_10device_ptrIiEEEESD_jNS1_19radix_merge_compareILb0ELb0EiNS0_19identity_decomposerEEEEE10hipError_tT0_T1_T2_jT3_P12ihipStream_tbPNSt15iterator_traitsISI_E10value_typeEPNSO_ISJ_E10value_typeEPSK_NS1_7vsmem_tEENKUlT_SI_SJ_SK_E_clISD_PiSD_S10_EESH_SX_SI_SJ_SK_EUlSX_E0_NS1_11comp_targetILNS1_3genE5ELNS1_11target_archE942ELNS1_3gpuE9ELNS1_3repE0EEENS1_38merge_mergepath_config_static_selectorELNS0_4arch9wavefront6targetE1EEEvSJ_.kd
    .uniform_work_group_size: 1
    .uses_dynamic_stack: false
    .vgpr_count:     0
    .vgpr_spill_count: 0
    .wavefront_size: 64
  - .agpr_count:     0
    .args:
      - .offset:         0
        .size:           64
        .value_kind:     by_value
    .group_segment_fixed_size: 0
    .kernarg_segment_align: 8
    .kernarg_segment_size: 64
    .language:       OpenCL C
    .language_version:
      - 2
      - 0
    .max_flat_workgroup_size: 256
    .name:           _ZN7rocprim17ROCPRIM_400000_NS6detail17trampoline_kernelINS0_14default_configENS1_38merge_sort_block_merge_config_selectorIiiEEZZNS1_27merge_sort_block_merge_implIS3_N6thrust23THRUST_200600_302600_NS6detail15normal_iteratorINS8_10device_ptrIiEEEESD_jNS1_19radix_merge_compareILb0ELb0EiNS0_19identity_decomposerEEEEE10hipError_tT0_T1_T2_jT3_P12ihipStream_tbPNSt15iterator_traitsISI_E10value_typeEPNSO_ISJ_E10value_typeEPSK_NS1_7vsmem_tEENKUlT_SI_SJ_SK_E_clISD_PiSD_S10_EESH_SX_SI_SJ_SK_EUlSX_E0_NS1_11comp_targetILNS1_3genE4ELNS1_11target_archE910ELNS1_3gpuE8ELNS1_3repE0EEENS1_38merge_mergepath_config_static_selectorELNS0_4arch9wavefront6targetE1EEEvSJ_
    .private_segment_fixed_size: 0
    .sgpr_count:     6
    .sgpr_spill_count: 0
    .symbol:         _ZN7rocprim17ROCPRIM_400000_NS6detail17trampoline_kernelINS0_14default_configENS1_38merge_sort_block_merge_config_selectorIiiEEZZNS1_27merge_sort_block_merge_implIS3_N6thrust23THRUST_200600_302600_NS6detail15normal_iteratorINS8_10device_ptrIiEEEESD_jNS1_19radix_merge_compareILb0ELb0EiNS0_19identity_decomposerEEEEE10hipError_tT0_T1_T2_jT3_P12ihipStream_tbPNSt15iterator_traitsISI_E10value_typeEPNSO_ISJ_E10value_typeEPSK_NS1_7vsmem_tEENKUlT_SI_SJ_SK_E_clISD_PiSD_S10_EESH_SX_SI_SJ_SK_EUlSX_E0_NS1_11comp_targetILNS1_3genE4ELNS1_11target_archE910ELNS1_3gpuE8ELNS1_3repE0EEENS1_38merge_mergepath_config_static_selectorELNS0_4arch9wavefront6targetE1EEEvSJ_.kd
    .uniform_work_group_size: 1
    .uses_dynamic_stack: false
    .vgpr_count:     0
    .vgpr_spill_count: 0
    .wavefront_size: 64
  - .agpr_count:     0
    .args:
      - .offset:         0
        .size:           64
        .value_kind:     by_value
    .group_segment_fixed_size: 0
    .kernarg_segment_align: 8
    .kernarg_segment_size: 64
    .language:       OpenCL C
    .language_version:
      - 2
      - 0
    .max_flat_workgroup_size: 256
    .name:           _ZN7rocprim17ROCPRIM_400000_NS6detail17trampoline_kernelINS0_14default_configENS1_38merge_sort_block_merge_config_selectorIiiEEZZNS1_27merge_sort_block_merge_implIS3_N6thrust23THRUST_200600_302600_NS6detail15normal_iteratorINS8_10device_ptrIiEEEESD_jNS1_19radix_merge_compareILb0ELb0EiNS0_19identity_decomposerEEEEE10hipError_tT0_T1_T2_jT3_P12ihipStream_tbPNSt15iterator_traitsISI_E10value_typeEPNSO_ISJ_E10value_typeEPSK_NS1_7vsmem_tEENKUlT_SI_SJ_SK_E_clISD_PiSD_S10_EESH_SX_SI_SJ_SK_EUlSX_E0_NS1_11comp_targetILNS1_3genE3ELNS1_11target_archE908ELNS1_3gpuE7ELNS1_3repE0EEENS1_38merge_mergepath_config_static_selectorELNS0_4arch9wavefront6targetE1EEEvSJ_
    .private_segment_fixed_size: 0
    .sgpr_count:     6
    .sgpr_spill_count: 0
    .symbol:         _ZN7rocprim17ROCPRIM_400000_NS6detail17trampoline_kernelINS0_14default_configENS1_38merge_sort_block_merge_config_selectorIiiEEZZNS1_27merge_sort_block_merge_implIS3_N6thrust23THRUST_200600_302600_NS6detail15normal_iteratorINS8_10device_ptrIiEEEESD_jNS1_19radix_merge_compareILb0ELb0EiNS0_19identity_decomposerEEEEE10hipError_tT0_T1_T2_jT3_P12ihipStream_tbPNSt15iterator_traitsISI_E10value_typeEPNSO_ISJ_E10value_typeEPSK_NS1_7vsmem_tEENKUlT_SI_SJ_SK_E_clISD_PiSD_S10_EESH_SX_SI_SJ_SK_EUlSX_E0_NS1_11comp_targetILNS1_3genE3ELNS1_11target_archE908ELNS1_3gpuE7ELNS1_3repE0EEENS1_38merge_mergepath_config_static_selectorELNS0_4arch9wavefront6targetE1EEEvSJ_.kd
    .uniform_work_group_size: 1
    .uses_dynamic_stack: false
    .vgpr_count:     0
    .vgpr_spill_count: 0
    .wavefront_size: 64
  - .agpr_count:     0
    .args:
      - .offset:         0
        .size:           64
        .value_kind:     by_value
    .group_segment_fixed_size: 0
    .kernarg_segment_align: 8
    .kernarg_segment_size: 64
    .language:       OpenCL C
    .language_version:
      - 2
      - 0
    .max_flat_workgroup_size: 256
    .name:           _ZN7rocprim17ROCPRIM_400000_NS6detail17trampoline_kernelINS0_14default_configENS1_38merge_sort_block_merge_config_selectorIiiEEZZNS1_27merge_sort_block_merge_implIS3_N6thrust23THRUST_200600_302600_NS6detail15normal_iteratorINS8_10device_ptrIiEEEESD_jNS1_19radix_merge_compareILb0ELb0EiNS0_19identity_decomposerEEEEE10hipError_tT0_T1_T2_jT3_P12ihipStream_tbPNSt15iterator_traitsISI_E10value_typeEPNSO_ISJ_E10value_typeEPSK_NS1_7vsmem_tEENKUlT_SI_SJ_SK_E_clISD_PiSD_S10_EESH_SX_SI_SJ_SK_EUlSX_E0_NS1_11comp_targetILNS1_3genE2ELNS1_11target_archE906ELNS1_3gpuE6ELNS1_3repE0EEENS1_38merge_mergepath_config_static_selectorELNS0_4arch9wavefront6targetE1EEEvSJ_
    .private_segment_fixed_size: 0
    .sgpr_count:     6
    .sgpr_spill_count: 0
    .symbol:         _ZN7rocprim17ROCPRIM_400000_NS6detail17trampoline_kernelINS0_14default_configENS1_38merge_sort_block_merge_config_selectorIiiEEZZNS1_27merge_sort_block_merge_implIS3_N6thrust23THRUST_200600_302600_NS6detail15normal_iteratorINS8_10device_ptrIiEEEESD_jNS1_19radix_merge_compareILb0ELb0EiNS0_19identity_decomposerEEEEE10hipError_tT0_T1_T2_jT3_P12ihipStream_tbPNSt15iterator_traitsISI_E10value_typeEPNSO_ISJ_E10value_typeEPSK_NS1_7vsmem_tEENKUlT_SI_SJ_SK_E_clISD_PiSD_S10_EESH_SX_SI_SJ_SK_EUlSX_E0_NS1_11comp_targetILNS1_3genE2ELNS1_11target_archE906ELNS1_3gpuE6ELNS1_3repE0EEENS1_38merge_mergepath_config_static_selectorELNS0_4arch9wavefront6targetE1EEEvSJ_.kd
    .uniform_work_group_size: 1
    .uses_dynamic_stack: false
    .vgpr_count:     0
    .vgpr_spill_count: 0
    .wavefront_size: 64
  - .agpr_count:     0
    .args:
      - .offset:         0
        .size:           64
        .value_kind:     by_value
    .group_segment_fixed_size: 0
    .kernarg_segment_align: 8
    .kernarg_segment_size: 64
    .language:       OpenCL C
    .language_version:
      - 2
      - 0
    .max_flat_workgroup_size: 512
    .name:           _ZN7rocprim17ROCPRIM_400000_NS6detail17trampoline_kernelINS0_14default_configENS1_38merge_sort_block_merge_config_selectorIiiEEZZNS1_27merge_sort_block_merge_implIS3_N6thrust23THRUST_200600_302600_NS6detail15normal_iteratorINS8_10device_ptrIiEEEESD_jNS1_19radix_merge_compareILb0ELb0EiNS0_19identity_decomposerEEEEE10hipError_tT0_T1_T2_jT3_P12ihipStream_tbPNSt15iterator_traitsISI_E10value_typeEPNSO_ISJ_E10value_typeEPSK_NS1_7vsmem_tEENKUlT_SI_SJ_SK_E_clISD_PiSD_S10_EESH_SX_SI_SJ_SK_EUlSX_E0_NS1_11comp_targetILNS1_3genE9ELNS1_11target_archE1100ELNS1_3gpuE3ELNS1_3repE0EEENS1_38merge_mergepath_config_static_selectorELNS0_4arch9wavefront6targetE1EEEvSJ_
    .private_segment_fixed_size: 0
    .sgpr_count:     6
    .sgpr_spill_count: 0
    .symbol:         _ZN7rocprim17ROCPRIM_400000_NS6detail17trampoline_kernelINS0_14default_configENS1_38merge_sort_block_merge_config_selectorIiiEEZZNS1_27merge_sort_block_merge_implIS3_N6thrust23THRUST_200600_302600_NS6detail15normal_iteratorINS8_10device_ptrIiEEEESD_jNS1_19radix_merge_compareILb0ELb0EiNS0_19identity_decomposerEEEEE10hipError_tT0_T1_T2_jT3_P12ihipStream_tbPNSt15iterator_traitsISI_E10value_typeEPNSO_ISJ_E10value_typeEPSK_NS1_7vsmem_tEENKUlT_SI_SJ_SK_E_clISD_PiSD_S10_EESH_SX_SI_SJ_SK_EUlSX_E0_NS1_11comp_targetILNS1_3genE9ELNS1_11target_archE1100ELNS1_3gpuE3ELNS1_3repE0EEENS1_38merge_mergepath_config_static_selectorELNS0_4arch9wavefront6targetE1EEEvSJ_.kd
    .uniform_work_group_size: 1
    .uses_dynamic_stack: false
    .vgpr_count:     0
    .vgpr_spill_count: 0
    .wavefront_size: 64
  - .agpr_count:     0
    .args:
      - .offset:         0
        .size:           64
        .value_kind:     by_value
    .group_segment_fixed_size: 0
    .kernarg_segment_align: 8
    .kernarg_segment_size: 64
    .language:       OpenCL C
    .language_version:
      - 2
      - 0
    .max_flat_workgroup_size: 1024
    .name:           _ZN7rocprim17ROCPRIM_400000_NS6detail17trampoline_kernelINS0_14default_configENS1_38merge_sort_block_merge_config_selectorIiiEEZZNS1_27merge_sort_block_merge_implIS3_N6thrust23THRUST_200600_302600_NS6detail15normal_iteratorINS8_10device_ptrIiEEEESD_jNS1_19radix_merge_compareILb0ELb0EiNS0_19identity_decomposerEEEEE10hipError_tT0_T1_T2_jT3_P12ihipStream_tbPNSt15iterator_traitsISI_E10value_typeEPNSO_ISJ_E10value_typeEPSK_NS1_7vsmem_tEENKUlT_SI_SJ_SK_E_clISD_PiSD_S10_EESH_SX_SI_SJ_SK_EUlSX_E0_NS1_11comp_targetILNS1_3genE8ELNS1_11target_archE1030ELNS1_3gpuE2ELNS1_3repE0EEENS1_38merge_mergepath_config_static_selectorELNS0_4arch9wavefront6targetE1EEEvSJ_
    .private_segment_fixed_size: 0
    .sgpr_count:     6
    .sgpr_spill_count: 0
    .symbol:         _ZN7rocprim17ROCPRIM_400000_NS6detail17trampoline_kernelINS0_14default_configENS1_38merge_sort_block_merge_config_selectorIiiEEZZNS1_27merge_sort_block_merge_implIS3_N6thrust23THRUST_200600_302600_NS6detail15normal_iteratorINS8_10device_ptrIiEEEESD_jNS1_19radix_merge_compareILb0ELb0EiNS0_19identity_decomposerEEEEE10hipError_tT0_T1_T2_jT3_P12ihipStream_tbPNSt15iterator_traitsISI_E10value_typeEPNSO_ISJ_E10value_typeEPSK_NS1_7vsmem_tEENKUlT_SI_SJ_SK_E_clISD_PiSD_S10_EESH_SX_SI_SJ_SK_EUlSX_E0_NS1_11comp_targetILNS1_3genE8ELNS1_11target_archE1030ELNS1_3gpuE2ELNS1_3repE0EEENS1_38merge_mergepath_config_static_selectorELNS0_4arch9wavefront6targetE1EEEvSJ_.kd
    .uniform_work_group_size: 1
    .uses_dynamic_stack: false
    .vgpr_count:     0
    .vgpr_spill_count: 0
    .wavefront_size: 64
  - .agpr_count:     0
    .args:
      - .offset:         0
        .size:           48
        .value_kind:     by_value
    .group_segment_fixed_size: 0
    .kernarg_segment_align: 8
    .kernarg_segment_size: 48
    .language:       OpenCL C
    .language_version:
      - 2
      - 0
    .max_flat_workgroup_size: 256
    .name:           _ZN7rocprim17ROCPRIM_400000_NS6detail17trampoline_kernelINS0_14default_configENS1_38merge_sort_block_merge_config_selectorIiiEEZZNS1_27merge_sort_block_merge_implIS3_N6thrust23THRUST_200600_302600_NS6detail15normal_iteratorINS8_10device_ptrIiEEEESD_jNS1_19radix_merge_compareILb0ELb0EiNS0_19identity_decomposerEEEEE10hipError_tT0_T1_T2_jT3_P12ihipStream_tbPNSt15iterator_traitsISI_E10value_typeEPNSO_ISJ_E10value_typeEPSK_NS1_7vsmem_tEENKUlT_SI_SJ_SK_E_clISD_PiSD_S10_EESH_SX_SI_SJ_SK_EUlSX_E1_NS1_11comp_targetILNS1_3genE0ELNS1_11target_archE4294967295ELNS1_3gpuE0ELNS1_3repE0EEENS1_36merge_oddeven_config_static_selectorELNS0_4arch9wavefront6targetE1EEEvSJ_
    .private_segment_fixed_size: 0
    .sgpr_count:     30
    .sgpr_spill_count: 0
    .symbol:         _ZN7rocprim17ROCPRIM_400000_NS6detail17trampoline_kernelINS0_14default_configENS1_38merge_sort_block_merge_config_selectorIiiEEZZNS1_27merge_sort_block_merge_implIS3_N6thrust23THRUST_200600_302600_NS6detail15normal_iteratorINS8_10device_ptrIiEEEESD_jNS1_19radix_merge_compareILb0ELb0EiNS0_19identity_decomposerEEEEE10hipError_tT0_T1_T2_jT3_P12ihipStream_tbPNSt15iterator_traitsISI_E10value_typeEPNSO_ISJ_E10value_typeEPSK_NS1_7vsmem_tEENKUlT_SI_SJ_SK_E_clISD_PiSD_S10_EESH_SX_SI_SJ_SK_EUlSX_E1_NS1_11comp_targetILNS1_3genE0ELNS1_11target_archE4294967295ELNS1_3gpuE0ELNS1_3repE0EEENS1_36merge_oddeven_config_static_selectorELNS0_4arch9wavefront6targetE1EEEvSJ_.kd
    .uniform_work_group_size: 1
    .uses_dynamic_stack: false
    .vgpr_count:     10
    .vgpr_spill_count: 0
    .wavefront_size: 64
  - .agpr_count:     0
    .args:
      - .offset:         0
        .size:           48
        .value_kind:     by_value
    .group_segment_fixed_size: 0
    .kernarg_segment_align: 8
    .kernarg_segment_size: 48
    .language:       OpenCL C
    .language_version:
      - 2
      - 0
    .max_flat_workgroup_size: 256
    .name:           _ZN7rocprim17ROCPRIM_400000_NS6detail17trampoline_kernelINS0_14default_configENS1_38merge_sort_block_merge_config_selectorIiiEEZZNS1_27merge_sort_block_merge_implIS3_N6thrust23THRUST_200600_302600_NS6detail15normal_iteratorINS8_10device_ptrIiEEEESD_jNS1_19radix_merge_compareILb0ELb0EiNS0_19identity_decomposerEEEEE10hipError_tT0_T1_T2_jT3_P12ihipStream_tbPNSt15iterator_traitsISI_E10value_typeEPNSO_ISJ_E10value_typeEPSK_NS1_7vsmem_tEENKUlT_SI_SJ_SK_E_clISD_PiSD_S10_EESH_SX_SI_SJ_SK_EUlSX_E1_NS1_11comp_targetILNS1_3genE10ELNS1_11target_archE1201ELNS1_3gpuE5ELNS1_3repE0EEENS1_36merge_oddeven_config_static_selectorELNS0_4arch9wavefront6targetE1EEEvSJ_
    .private_segment_fixed_size: 0
    .sgpr_count:     6
    .sgpr_spill_count: 0
    .symbol:         _ZN7rocprim17ROCPRIM_400000_NS6detail17trampoline_kernelINS0_14default_configENS1_38merge_sort_block_merge_config_selectorIiiEEZZNS1_27merge_sort_block_merge_implIS3_N6thrust23THRUST_200600_302600_NS6detail15normal_iteratorINS8_10device_ptrIiEEEESD_jNS1_19radix_merge_compareILb0ELb0EiNS0_19identity_decomposerEEEEE10hipError_tT0_T1_T2_jT3_P12ihipStream_tbPNSt15iterator_traitsISI_E10value_typeEPNSO_ISJ_E10value_typeEPSK_NS1_7vsmem_tEENKUlT_SI_SJ_SK_E_clISD_PiSD_S10_EESH_SX_SI_SJ_SK_EUlSX_E1_NS1_11comp_targetILNS1_3genE10ELNS1_11target_archE1201ELNS1_3gpuE5ELNS1_3repE0EEENS1_36merge_oddeven_config_static_selectorELNS0_4arch9wavefront6targetE1EEEvSJ_.kd
    .uniform_work_group_size: 1
    .uses_dynamic_stack: false
    .vgpr_count:     0
    .vgpr_spill_count: 0
    .wavefront_size: 64
  - .agpr_count:     0
    .args:
      - .offset:         0
        .size:           48
        .value_kind:     by_value
    .group_segment_fixed_size: 0
    .kernarg_segment_align: 8
    .kernarg_segment_size: 48
    .language:       OpenCL C
    .language_version:
      - 2
      - 0
    .max_flat_workgroup_size: 256
    .name:           _ZN7rocprim17ROCPRIM_400000_NS6detail17trampoline_kernelINS0_14default_configENS1_38merge_sort_block_merge_config_selectorIiiEEZZNS1_27merge_sort_block_merge_implIS3_N6thrust23THRUST_200600_302600_NS6detail15normal_iteratorINS8_10device_ptrIiEEEESD_jNS1_19radix_merge_compareILb0ELb0EiNS0_19identity_decomposerEEEEE10hipError_tT0_T1_T2_jT3_P12ihipStream_tbPNSt15iterator_traitsISI_E10value_typeEPNSO_ISJ_E10value_typeEPSK_NS1_7vsmem_tEENKUlT_SI_SJ_SK_E_clISD_PiSD_S10_EESH_SX_SI_SJ_SK_EUlSX_E1_NS1_11comp_targetILNS1_3genE5ELNS1_11target_archE942ELNS1_3gpuE9ELNS1_3repE0EEENS1_36merge_oddeven_config_static_selectorELNS0_4arch9wavefront6targetE1EEEvSJ_
    .private_segment_fixed_size: 0
    .sgpr_count:     6
    .sgpr_spill_count: 0
    .symbol:         _ZN7rocprim17ROCPRIM_400000_NS6detail17trampoline_kernelINS0_14default_configENS1_38merge_sort_block_merge_config_selectorIiiEEZZNS1_27merge_sort_block_merge_implIS3_N6thrust23THRUST_200600_302600_NS6detail15normal_iteratorINS8_10device_ptrIiEEEESD_jNS1_19radix_merge_compareILb0ELb0EiNS0_19identity_decomposerEEEEE10hipError_tT0_T1_T2_jT3_P12ihipStream_tbPNSt15iterator_traitsISI_E10value_typeEPNSO_ISJ_E10value_typeEPSK_NS1_7vsmem_tEENKUlT_SI_SJ_SK_E_clISD_PiSD_S10_EESH_SX_SI_SJ_SK_EUlSX_E1_NS1_11comp_targetILNS1_3genE5ELNS1_11target_archE942ELNS1_3gpuE9ELNS1_3repE0EEENS1_36merge_oddeven_config_static_selectorELNS0_4arch9wavefront6targetE1EEEvSJ_.kd
    .uniform_work_group_size: 1
    .uses_dynamic_stack: false
    .vgpr_count:     0
    .vgpr_spill_count: 0
    .wavefront_size: 64
  - .agpr_count:     0
    .args:
      - .offset:         0
        .size:           48
        .value_kind:     by_value
    .group_segment_fixed_size: 0
    .kernarg_segment_align: 8
    .kernarg_segment_size: 48
    .language:       OpenCL C
    .language_version:
      - 2
      - 0
    .max_flat_workgroup_size: 256
    .name:           _ZN7rocprim17ROCPRIM_400000_NS6detail17trampoline_kernelINS0_14default_configENS1_38merge_sort_block_merge_config_selectorIiiEEZZNS1_27merge_sort_block_merge_implIS3_N6thrust23THRUST_200600_302600_NS6detail15normal_iteratorINS8_10device_ptrIiEEEESD_jNS1_19radix_merge_compareILb0ELb0EiNS0_19identity_decomposerEEEEE10hipError_tT0_T1_T2_jT3_P12ihipStream_tbPNSt15iterator_traitsISI_E10value_typeEPNSO_ISJ_E10value_typeEPSK_NS1_7vsmem_tEENKUlT_SI_SJ_SK_E_clISD_PiSD_S10_EESH_SX_SI_SJ_SK_EUlSX_E1_NS1_11comp_targetILNS1_3genE4ELNS1_11target_archE910ELNS1_3gpuE8ELNS1_3repE0EEENS1_36merge_oddeven_config_static_selectorELNS0_4arch9wavefront6targetE1EEEvSJ_
    .private_segment_fixed_size: 0
    .sgpr_count:     6
    .sgpr_spill_count: 0
    .symbol:         _ZN7rocprim17ROCPRIM_400000_NS6detail17trampoline_kernelINS0_14default_configENS1_38merge_sort_block_merge_config_selectorIiiEEZZNS1_27merge_sort_block_merge_implIS3_N6thrust23THRUST_200600_302600_NS6detail15normal_iteratorINS8_10device_ptrIiEEEESD_jNS1_19radix_merge_compareILb0ELb0EiNS0_19identity_decomposerEEEEE10hipError_tT0_T1_T2_jT3_P12ihipStream_tbPNSt15iterator_traitsISI_E10value_typeEPNSO_ISJ_E10value_typeEPSK_NS1_7vsmem_tEENKUlT_SI_SJ_SK_E_clISD_PiSD_S10_EESH_SX_SI_SJ_SK_EUlSX_E1_NS1_11comp_targetILNS1_3genE4ELNS1_11target_archE910ELNS1_3gpuE8ELNS1_3repE0EEENS1_36merge_oddeven_config_static_selectorELNS0_4arch9wavefront6targetE1EEEvSJ_.kd
    .uniform_work_group_size: 1
    .uses_dynamic_stack: false
    .vgpr_count:     0
    .vgpr_spill_count: 0
    .wavefront_size: 64
  - .agpr_count:     0
    .args:
      - .offset:         0
        .size:           48
        .value_kind:     by_value
    .group_segment_fixed_size: 0
    .kernarg_segment_align: 8
    .kernarg_segment_size: 48
    .language:       OpenCL C
    .language_version:
      - 2
      - 0
    .max_flat_workgroup_size: 256
    .name:           _ZN7rocprim17ROCPRIM_400000_NS6detail17trampoline_kernelINS0_14default_configENS1_38merge_sort_block_merge_config_selectorIiiEEZZNS1_27merge_sort_block_merge_implIS3_N6thrust23THRUST_200600_302600_NS6detail15normal_iteratorINS8_10device_ptrIiEEEESD_jNS1_19radix_merge_compareILb0ELb0EiNS0_19identity_decomposerEEEEE10hipError_tT0_T1_T2_jT3_P12ihipStream_tbPNSt15iterator_traitsISI_E10value_typeEPNSO_ISJ_E10value_typeEPSK_NS1_7vsmem_tEENKUlT_SI_SJ_SK_E_clISD_PiSD_S10_EESH_SX_SI_SJ_SK_EUlSX_E1_NS1_11comp_targetILNS1_3genE3ELNS1_11target_archE908ELNS1_3gpuE7ELNS1_3repE0EEENS1_36merge_oddeven_config_static_selectorELNS0_4arch9wavefront6targetE1EEEvSJ_
    .private_segment_fixed_size: 0
    .sgpr_count:     6
    .sgpr_spill_count: 0
    .symbol:         _ZN7rocprim17ROCPRIM_400000_NS6detail17trampoline_kernelINS0_14default_configENS1_38merge_sort_block_merge_config_selectorIiiEEZZNS1_27merge_sort_block_merge_implIS3_N6thrust23THRUST_200600_302600_NS6detail15normal_iteratorINS8_10device_ptrIiEEEESD_jNS1_19radix_merge_compareILb0ELb0EiNS0_19identity_decomposerEEEEE10hipError_tT0_T1_T2_jT3_P12ihipStream_tbPNSt15iterator_traitsISI_E10value_typeEPNSO_ISJ_E10value_typeEPSK_NS1_7vsmem_tEENKUlT_SI_SJ_SK_E_clISD_PiSD_S10_EESH_SX_SI_SJ_SK_EUlSX_E1_NS1_11comp_targetILNS1_3genE3ELNS1_11target_archE908ELNS1_3gpuE7ELNS1_3repE0EEENS1_36merge_oddeven_config_static_selectorELNS0_4arch9wavefront6targetE1EEEvSJ_.kd
    .uniform_work_group_size: 1
    .uses_dynamic_stack: false
    .vgpr_count:     0
    .vgpr_spill_count: 0
    .wavefront_size: 64
  - .agpr_count:     0
    .args:
      - .offset:         0
        .size:           48
        .value_kind:     by_value
    .group_segment_fixed_size: 0
    .kernarg_segment_align: 8
    .kernarg_segment_size: 48
    .language:       OpenCL C
    .language_version:
      - 2
      - 0
    .max_flat_workgroup_size: 256
    .name:           _ZN7rocprim17ROCPRIM_400000_NS6detail17trampoline_kernelINS0_14default_configENS1_38merge_sort_block_merge_config_selectorIiiEEZZNS1_27merge_sort_block_merge_implIS3_N6thrust23THRUST_200600_302600_NS6detail15normal_iteratorINS8_10device_ptrIiEEEESD_jNS1_19radix_merge_compareILb0ELb0EiNS0_19identity_decomposerEEEEE10hipError_tT0_T1_T2_jT3_P12ihipStream_tbPNSt15iterator_traitsISI_E10value_typeEPNSO_ISJ_E10value_typeEPSK_NS1_7vsmem_tEENKUlT_SI_SJ_SK_E_clISD_PiSD_S10_EESH_SX_SI_SJ_SK_EUlSX_E1_NS1_11comp_targetILNS1_3genE2ELNS1_11target_archE906ELNS1_3gpuE6ELNS1_3repE0EEENS1_36merge_oddeven_config_static_selectorELNS0_4arch9wavefront6targetE1EEEvSJ_
    .private_segment_fixed_size: 0
    .sgpr_count:     6
    .sgpr_spill_count: 0
    .symbol:         _ZN7rocprim17ROCPRIM_400000_NS6detail17trampoline_kernelINS0_14default_configENS1_38merge_sort_block_merge_config_selectorIiiEEZZNS1_27merge_sort_block_merge_implIS3_N6thrust23THRUST_200600_302600_NS6detail15normal_iteratorINS8_10device_ptrIiEEEESD_jNS1_19radix_merge_compareILb0ELb0EiNS0_19identity_decomposerEEEEE10hipError_tT0_T1_T2_jT3_P12ihipStream_tbPNSt15iterator_traitsISI_E10value_typeEPNSO_ISJ_E10value_typeEPSK_NS1_7vsmem_tEENKUlT_SI_SJ_SK_E_clISD_PiSD_S10_EESH_SX_SI_SJ_SK_EUlSX_E1_NS1_11comp_targetILNS1_3genE2ELNS1_11target_archE906ELNS1_3gpuE6ELNS1_3repE0EEENS1_36merge_oddeven_config_static_selectorELNS0_4arch9wavefront6targetE1EEEvSJ_.kd
    .uniform_work_group_size: 1
    .uses_dynamic_stack: false
    .vgpr_count:     0
    .vgpr_spill_count: 0
    .wavefront_size: 64
  - .agpr_count:     0
    .args:
      - .offset:         0
        .size:           48
        .value_kind:     by_value
    .group_segment_fixed_size: 0
    .kernarg_segment_align: 8
    .kernarg_segment_size: 48
    .language:       OpenCL C
    .language_version:
      - 2
      - 0
    .max_flat_workgroup_size: 256
    .name:           _ZN7rocprim17ROCPRIM_400000_NS6detail17trampoline_kernelINS0_14default_configENS1_38merge_sort_block_merge_config_selectorIiiEEZZNS1_27merge_sort_block_merge_implIS3_N6thrust23THRUST_200600_302600_NS6detail15normal_iteratorINS8_10device_ptrIiEEEESD_jNS1_19radix_merge_compareILb0ELb0EiNS0_19identity_decomposerEEEEE10hipError_tT0_T1_T2_jT3_P12ihipStream_tbPNSt15iterator_traitsISI_E10value_typeEPNSO_ISJ_E10value_typeEPSK_NS1_7vsmem_tEENKUlT_SI_SJ_SK_E_clISD_PiSD_S10_EESH_SX_SI_SJ_SK_EUlSX_E1_NS1_11comp_targetILNS1_3genE9ELNS1_11target_archE1100ELNS1_3gpuE3ELNS1_3repE0EEENS1_36merge_oddeven_config_static_selectorELNS0_4arch9wavefront6targetE1EEEvSJ_
    .private_segment_fixed_size: 0
    .sgpr_count:     6
    .sgpr_spill_count: 0
    .symbol:         _ZN7rocprim17ROCPRIM_400000_NS6detail17trampoline_kernelINS0_14default_configENS1_38merge_sort_block_merge_config_selectorIiiEEZZNS1_27merge_sort_block_merge_implIS3_N6thrust23THRUST_200600_302600_NS6detail15normal_iteratorINS8_10device_ptrIiEEEESD_jNS1_19radix_merge_compareILb0ELb0EiNS0_19identity_decomposerEEEEE10hipError_tT0_T1_T2_jT3_P12ihipStream_tbPNSt15iterator_traitsISI_E10value_typeEPNSO_ISJ_E10value_typeEPSK_NS1_7vsmem_tEENKUlT_SI_SJ_SK_E_clISD_PiSD_S10_EESH_SX_SI_SJ_SK_EUlSX_E1_NS1_11comp_targetILNS1_3genE9ELNS1_11target_archE1100ELNS1_3gpuE3ELNS1_3repE0EEENS1_36merge_oddeven_config_static_selectorELNS0_4arch9wavefront6targetE1EEEvSJ_.kd
    .uniform_work_group_size: 1
    .uses_dynamic_stack: false
    .vgpr_count:     0
    .vgpr_spill_count: 0
    .wavefront_size: 64
  - .agpr_count:     0
    .args:
      - .offset:         0
        .size:           48
        .value_kind:     by_value
    .group_segment_fixed_size: 0
    .kernarg_segment_align: 8
    .kernarg_segment_size: 48
    .language:       OpenCL C
    .language_version:
      - 2
      - 0
    .max_flat_workgroup_size: 256
    .name:           _ZN7rocprim17ROCPRIM_400000_NS6detail17trampoline_kernelINS0_14default_configENS1_38merge_sort_block_merge_config_selectorIiiEEZZNS1_27merge_sort_block_merge_implIS3_N6thrust23THRUST_200600_302600_NS6detail15normal_iteratorINS8_10device_ptrIiEEEESD_jNS1_19radix_merge_compareILb0ELb0EiNS0_19identity_decomposerEEEEE10hipError_tT0_T1_T2_jT3_P12ihipStream_tbPNSt15iterator_traitsISI_E10value_typeEPNSO_ISJ_E10value_typeEPSK_NS1_7vsmem_tEENKUlT_SI_SJ_SK_E_clISD_PiSD_S10_EESH_SX_SI_SJ_SK_EUlSX_E1_NS1_11comp_targetILNS1_3genE8ELNS1_11target_archE1030ELNS1_3gpuE2ELNS1_3repE0EEENS1_36merge_oddeven_config_static_selectorELNS0_4arch9wavefront6targetE1EEEvSJ_
    .private_segment_fixed_size: 0
    .sgpr_count:     6
    .sgpr_spill_count: 0
    .symbol:         _ZN7rocprim17ROCPRIM_400000_NS6detail17trampoline_kernelINS0_14default_configENS1_38merge_sort_block_merge_config_selectorIiiEEZZNS1_27merge_sort_block_merge_implIS3_N6thrust23THRUST_200600_302600_NS6detail15normal_iteratorINS8_10device_ptrIiEEEESD_jNS1_19radix_merge_compareILb0ELb0EiNS0_19identity_decomposerEEEEE10hipError_tT0_T1_T2_jT3_P12ihipStream_tbPNSt15iterator_traitsISI_E10value_typeEPNSO_ISJ_E10value_typeEPSK_NS1_7vsmem_tEENKUlT_SI_SJ_SK_E_clISD_PiSD_S10_EESH_SX_SI_SJ_SK_EUlSX_E1_NS1_11comp_targetILNS1_3genE8ELNS1_11target_archE1030ELNS1_3gpuE2ELNS1_3repE0EEENS1_36merge_oddeven_config_static_selectorELNS0_4arch9wavefront6targetE1EEEvSJ_.kd
    .uniform_work_group_size: 1
    .uses_dynamic_stack: false
    .vgpr_count:     0
    .vgpr_spill_count: 0
    .wavefront_size: 64
  - .agpr_count:     0
    .args:
      - .offset:         0
        .size:           40
        .value_kind:     by_value
      - .offset:         40
        .size:           4
        .value_kind:     hidden_block_count_x
      - .offset:         44
        .size:           4
        .value_kind:     hidden_block_count_y
      - .offset:         48
        .size:           4
        .value_kind:     hidden_block_count_z
      - .offset:         52
        .size:           2
        .value_kind:     hidden_group_size_x
      - .offset:         54
        .size:           2
        .value_kind:     hidden_group_size_y
      - .offset:         56
        .size:           2
        .value_kind:     hidden_group_size_z
      - .offset:         58
        .size:           2
        .value_kind:     hidden_remainder_x
      - .offset:         60
        .size:           2
        .value_kind:     hidden_remainder_y
      - .offset:         62
        .size:           2
        .value_kind:     hidden_remainder_z
      - .offset:         80
        .size:           8
        .value_kind:     hidden_global_offset_x
      - .offset:         88
        .size:           8
        .value_kind:     hidden_global_offset_y
      - .offset:         96
        .size:           8
        .value_kind:     hidden_global_offset_z
      - .offset:         104
        .size:           2
        .value_kind:     hidden_grid_dims
    .group_segment_fixed_size: 0
    .kernarg_segment_align: 8
    .kernarg_segment_size: 296
    .language:       OpenCL C
    .language_version:
      - 2
      - 0
    .max_flat_workgroup_size: 128
    .name:           _ZN7rocprim17ROCPRIM_400000_NS6detail17trampoline_kernelINS0_14default_configENS1_25transform_config_selectorIiLb0EEEZNS1_14transform_implILb0ES3_S5_PiN6thrust23THRUST_200600_302600_NS6detail15normal_iteratorINS9_10device_ptrIiEEEENS0_8identityIiEEEE10hipError_tT2_T3_mT4_P12ihipStream_tbEUlT_E_NS1_11comp_targetILNS1_3genE0ELNS1_11target_archE4294967295ELNS1_3gpuE0ELNS1_3repE0EEENS1_30default_config_static_selectorELNS0_4arch9wavefront6targetE1EEEvT1_
    .private_segment_fixed_size: 0
    .sgpr_count:     22
    .sgpr_spill_count: 0
    .symbol:         _ZN7rocprim17ROCPRIM_400000_NS6detail17trampoline_kernelINS0_14default_configENS1_25transform_config_selectorIiLb0EEEZNS1_14transform_implILb0ES3_S5_PiN6thrust23THRUST_200600_302600_NS6detail15normal_iteratorINS9_10device_ptrIiEEEENS0_8identityIiEEEE10hipError_tT2_T3_mT4_P12ihipStream_tbEUlT_E_NS1_11comp_targetILNS1_3genE0ELNS1_11target_archE4294967295ELNS1_3gpuE0ELNS1_3repE0EEENS1_30default_config_static_selectorELNS0_4arch9wavefront6targetE1EEEvT1_.kd
    .uniform_work_group_size: 1
    .uses_dynamic_stack: false
    .vgpr_count:     7
    .vgpr_spill_count: 0
    .wavefront_size: 64
  - .agpr_count:     0
    .args:
      - .offset:         0
        .size:           40
        .value_kind:     by_value
    .group_segment_fixed_size: 0
    .kernarg_segment_align: 8
    .kernarg_segment_size: 40
    .language:       OpenCL C
    .language_version:
      - 2
      - 0
    .max_flat_workgroup_size: 512
    .name:           _ZN7rocprim17ROCPRIM_400000_NS6detail17trampoline_kernelINS0_14default_configENS1_25transform_config_selectorIiLb0EEEZNS1_14transform_implILb0ES3_S5_PiN6thrust23THRUST_200600_302600_NS6detail15normal_iteratorINS9_10device_ptrIiEEEENS0_8identityIiEEEE10hipError_tT2_T3_mT4_P12ihipStream_tbEUlT_E_NS1_11comp_targetILNS1_3genE5ELNS1_11target_archE942ELNS1_3gpuE9ELNS1_3repE0EEENS1_30default_config_static_selectorELNS0_4arch9wavefront6targetE1EEEvT1_
    .private_segment_fixed_size: 0
    .sgpr_count:     6
    .sgpr_spill_count: 0
    .symbol:         _ZN7rocprim17ROCPRIM_400000_NS6detail17trampoline_kernelINS0_14default_configENS1_25transform_config_selectorIiLb0EEEZNS1_14transform_implILb0ES3_S5_PiN6thrust23THRUST_200600_302600_NS6detail15normal_iteratorINS9_10device_ptrIiEEEENS0_8identityIiEEEE10hipError_tT2_T3_mT4_P12ihipStream_tbEUlT_E_NS1_11comp_targetILNS1_3genE5ELNS1_11target_archE942ELNS1_3gpuE9ELNS1_3repE0EEENS1_30default_config_static_selectorELNS0_4arch9wavefront6targetE1EEEvT1_.kd
    .uniform_work_group_size: 1
    .uses_dynamic_stack: false
    .vgpr_count:     0
    .vgpr_spill_count: 0
    .wavefront_size: 64
  - .agpr_count:     0
    .args:
      - .offset:         0
        .size:           40
        .value_kind:     by_value
    .group_segment_fixed_size: 0
    .kernarg_segment_align: 8
    .kernarg_segment_size: 40
    .language:       OpenCL C
    .language_version:
      - 2
      - 0
    .max_flat_workgroup_size: 1024
    .name:           _ZN7rocprim17ROCPRIM_400000_NS6detail17trampoline_kernelINS0_14default_configENS1_25transform_config_selectorIiLb0EEEZNS1_14transform_implILb0ES3_S5_PiN6thrust23THRUST_200600_302600_NS6detail15normal_iteratorINS9_10device_ptrIiEEEENS0_8identityIiEEEE10hipError_tT2_T3_mT4_P12ihipStream_tbEUlT_E_NS1_11comp_targetILNS1_3genE4ELNS1_11target_archE910ELNS1_3gpuE8ELNS1_3repE0EEENS1_30default_config_static_selectorELNS0_4arch9wavefront6targetE1EEEvT1_
    .private_segment_fixed_size: 0
    .sgpr_count:     6
    .sgpr_spill_count: 0
    .symbol:         _ZN7rocprim17ROCPRIM_400000_NS6detail17trampoline_kernelINS0_14default_configENS1_25transform_config_selectorIiLb0EEEZNS1_14transform_implILb0ES3_S5_PiN6thrust23THRUST_200600_302600_NS6detail15normal_iteratorINS9_10device_ptrIiEEEENS0_8identityIiEEEE10hipError_tT2_T3_mT4_P12ihipStream_tbEUlT_E_NS1_11comp_targetILNS1_3genE4ELNS1_11target_archE910ELNS1_3gpuE8ELNS1_3repE0EEENS1_30default_config_static_selectorELNS0_4arch9wavefront6targetE1EEEvT1_.kd
    .uniform_work_group_size: 1
    .uses_dynamic_stack: false
    .vgpr_count:     0
    .vgpr_spill_count: 0
    .wavefront_size: 64
  - .agpr_count:     0
    .args:
      - .offset:         0
        .size:           40
        .value_kind:     by_value
    .group_segment_fixed_size: 0
    .kernarg_segment_align: 8
    .kernarg_segment_size: 40
    .language:       OpenCL C
    .language_version:
      - 2
      - 0
    .max_flat_workgroup_size: 128
    .name:           _ZN7rocprim17ROCPRIM_400000_NS6detail17trampoline_kernelINS0_14default_configENS1_25transform_config_selectorIiLb0EEEZNS1_14transform_implILb0ES3_S5_PiN6thrust23THRUST_200600_302600_NS6detail15normal_iteratorINS9_10device_ptrIiEEEENS0_8identityIiEEEE10hipError_tT2_T3_mT4_P12ihipStream_tbEUlT_E_NS1_11comp_targetILNS1_3genE3ELNS1_11target_archE908ELNS1_3gpuE7ELNS1_3repE0EEENS1_30default_config_static_selectorELNS0_4arch9wavefront6targetE1EEEvT1_
    .private_segment_fixed_size: 0
    .sgpr_count:     6
    .sgpr_spill_count: 0
    .symbol:         _ZN7rocprim17ROCPRIM_400000_NS6detail17trampoline_kernelINS0_14default_configENS1_25transform_config_selectorIiLb0EEEZNS1_14transform_implILb0ES3_S5_PiN6thrust23THRUST_200600_302600_NS6detail15normal_iteratorINS9_10device_ptrIiEEEENS0_8identityIiEEEE10hipError_tT2_T3_mT4_P12ihipStream_tbEUlT_E_NS1_11comp_targetILNS1_3genE3ELNS1_11target_archE908ELNS1_3gpuE7ELNS1_3repE0EEENS1_30default_config_static_selectorELNS0_4arch9wavefront6targetE1EEEvT1_.kd
    .uniform_work_group_size: 1
    .uses_dynamic_stack: false
    .vgpr_count:     0
    .vgpr_spill_count: 0
    .wavefront_size: 64
  - .agpr_count:     0
    .args:
      - .offset:         0
        .size:           40
        .value_kind:     by_value
    .group_segment_fixed_size: 0
    .kernarg_segment_align: 8
    .kernarg_segment_size: 40
    .language:       OpenCL C
    .language_version:
      - 2
      - 0
    .max_flat_workgroup_size: 1024
    .name:           _ZN7rocprim17ROCPRIM_400000_NS6detail17trampoline_kernelINS0_14default_configENS1_25transform_config_selectorIiLb0EEEZNS1_14transform_implILb0ES3_S5_PiN6thrust23THRUST_200600_302600_NS6detail15normal_iteratorINS9_10device_ptrIiEEEENS0_8identityIiEEEE10hipError_tT2_T3_mT4_P12ihipStream_tbEUlT_E_NS1_11comp_targetILNS1_3genE2ELNS1_11target_archE906ELNS1_3gpuE6ELNS1_3repE0EEENS1_30default_config_static_selectorELNS0_4arch9wavefront6targetE1EEEvT1_
    .private_segment_fixed_size: 0
    .sgpr_count:     6
    .sgpr_spill_count: 0
    .symbol:         _ZN7rocprim17ROCPRIM_400000_NS6detail17trampoline_kernelINS0_14default_configENS1_25transform_config_selectorIiLb0EEEZNS1_14transform_implILb0ES3_S5_PiN6thrust23THRUST_200600_302600_NS6detail15normal_iteratorINS9_10device_ptrIiEEEENS0_8identityIiEEEE10hipError_tT2_T3_mT4_P12ihipStream_tbEUlT_E_NS1_11comp_targetILNS1_3genE2ELNS1_11target_archE906ELNS1_3gpuE6ELNS1_3repE0EEENS1_30default_config_static_selectorELNS0_4arch9wavefront6targetE1EEEvT1_.kd
    .uniform_work_group_size: 1
    .uses_dynamic_stack: false
    .vgpr_count:     0
    .vgpr_spill_count: 0
    .wavefront_size: 64
  - .agpr_count:     0
    .args:
      - .offset:         0
        .size:           40
        .value_kind:     by_value
    .group_segment_fixed_size: 0
    .kernarg_segment_align: 8
    .kernarg_segment_size: 40
    .language:       OpenCL C
    .language_version:
      - 2
      - 0
    .max_flat_workgroup_size: 1024
    .name:           _ZN7rocprim17ROCPRIM_400000_NS6detail17trampoline_kernelINS0_14default_configENS1_25transform_config_selectorIiLb0EEEZNS1_14transform_implILb0ES3_S5_PiN6thrust23THRUST_200600_302600_NS6detail15normal_iteratorINS9_10device_ptrIiEEEENS0_8identityIiEEEE10hipError_tT2_T3_mT4_P12ihipStream_tbEUlT_E_NS1_11comp_targetILNS1_3genE10ELNS1_11target_archE1201ELNS1_3gpuE5ELNS1_3repE0EEENS1_30default_config_static_selectorELNS0_4arch9wavefront6targetE1EEEvT1_
    .private_segment_fixed_size: 0
    .sgpr_count:     6
    .sgpr_spill_count: 0
    .symbol:         _ZN7rocprim17ROCPRIM_400000_NS6detail17trampoline_kernelINS0_14default_configENS1_25transform_config_selectorIiLb0EEEZNS1_14transform_implILb0ES3_S5_PiN6thrust23THRUST_200600_302600_NS6detail15normal_iteratorINS9_10device_ptrIiEEEENS0_8identityIiEEEE10hipError_tT2_T3_mT4_P12ihipStream_tbEUlT_E_NS1_11comp_targetILNS1_3genE10ELNS1_11target_archE1201ELNS1_3gpuE5ELNS1_3repE0EEENS1_30default_config_static_selectorELNS0_4arch9wavefront6targetE1EEEvT1_.kd
    .uniform_work_group_size: 1
    .uses_dynamic_stack: false
    .vgpr_count:     0
    .vgpr_spill_count: 0
    .wavefront_size: 64
  - .agpr_count:     0
    .args:
      - .offset:         0
        .size:           40
        .value_kind:     by_value
    .group_segment_fixed_size: 0
    .kernarg_segment_align: 8
    .kernarg_segment_size: 40
    .language:       OpenCL C
    .language_version:
      - 2
      - 0
    .max_flat_workgroup_size: 512
    .name:           _ZN7rocprim17ROCPRIM_400000_NS6detail17trampoline_kernelINS0_14default_configENS1_25transform_config_selectorIiLb0EEEZNS1_14transform_implILb0ES3_S5_PiN6thrust23THRUST_200600_302600_NS6detail15normal_iteratorINS9_10device_ptrIiEEEENS0_8identityIiEEEE10hipError_tT2_T3_mT4_P12ihipStream_tbEUlT_E_NS1_11comp_targetILNS1_3genE10ELNS1_11target_archE1200ELNS1_3gpuE4ELNS1_3repE0EEENS1_30default_config_static_selectorELNS0_4arch9wavefront6targetE1EEEvT1_
    .private_segment_fixed_size: 0
    .sgpr_count:     6
    .sgpr_spill_count: 0
    .symbol:         _ZN7rocprim17ROCPRIM_400000_NS6detail17trampoline_kernelINS0_14default_configENS1_25transform_config_selectorIiLb0EEEZNS1_14transform_implILb0ES3_S5_PiN6thrust23THRUST_200600_302600_NS6detail15normal_iteratorINS9_10device_ptrIiEEEENS0_8identityIiEEEE10hipError_tT2_T3_mT4_P12ihipStream_tbEUlT_E_NS1_11comp_targetILNS1_3genE10ELNS1_11target_archE1200ELNS1_3gpuE4ELNS1_3repE0EEENS1_30default_config_static_selectorELNS0_4arch9wavefront6targetE1EEEvT1_.kd
    .uniform_work_group_size: 1
    .uses_dynamic_stack: false
    .vgpr_count:     0
    .vgpr_spill_count: 0
    .wavefront_size: 64
  - .agpr_count:     0
    .args:
      - .offset:         0
        .size:           40
        .value_kind:     by_value
    .group_segment_fixed_size: 0
    .kernarg_segment_align: 8
    .kernarg_segment_size: 40
    .language:       OpenCL C
    .language_version:
      - 2
      - 0
    .max_flat_workgroup_size: 64
    .name:           _ZN7rocprim17ROCPRIM_400000_NS6detail17trampoline_kernelINS0_14default_configENS1_25transform_config_selectorIiLb0EEEZNS1_14transform_implILb0ES3_S5_PiN6thrust23THRUST_200600_302600_NS6detail15normal_iteratorINS9_10device_ptrIiEEEENS0_8identityIiEEEE10hipError_tT2_T3_mT4_P12ihipStream_tbEUlT_E_NS1_11comp_targetILNS1_3genE9ELNS1_11target_archE1100ELNS1_3gpuE3ELNS1_3repE0EEENS1_30default_config_static_selectorELNS0_4arch9wavefront6targetE1EEEvT1_
    .private_segment_fixed_size: 0
    .sgpr_count:     6
    .sgpr_spill_count: 0
    .symbol:         _ZN7rocprim17ROCPRIM_400000_NS6detail17trampoline_kernelINS0_14default_configENS1_25transform_config_selectorIiLb0EEEZNS1_14transform_implILb0ES3_S5_PiN6thrust23THRUST_200600_302600_NS6detail15normal_iteratorINS9_10device_ptrIiEEEENS0_8identityIiEEEE10hipError_tT2_T3_mT4_P12ihipStream_tbEUlT_E_NS1_11comp_targetILNS1_3genE9ELNS1_11target_archE1100ELNS1_3gpuE3ELNS1_3repE0EEENS1_30default_config_static_selectorELNS0_4arch9wavefront6targetE1EEEvT1_.kd
    .uniform_work_group_size: 1
    .uses_dynamic_stack: false
    .vgpr_count:     0
    .vgpr_spill_count: 0
    .wavefront_size: 64
  - .agpr_count:     0
    .args:
      - .offset:         0
        .size:           40
        .value_kind:     by_value
    .group_segment_fixed_size: 0
    .kernarg_segment_align: 8
    .kernarg_segment_size: 40
    .language:       OpenCL C
    .language_version:
      - 2
      - 0
    .max_flat_workgroup_size: 256
    .name:           _ZN7rocprim17ROCPRIM_400000_NS6detail17trampoline_kernelINS0_14default_configENS1_25transform_config_selectorIiLb0EEEZNS1_14transform_implILb0ES3_S5_PiN6thrust23THRUST_200600_302600_NS6detail15normal_iteratorINS9_10device_ptrIiEEEENS0_8identityIiEEEE10hipError_tT2_T3_mT4_P12ihipStream_tbEUlT_E_NS1_11comp_targetILNS1_3genE8ELNS1_11target_archE1030ELNS1_3gpuE2ELNS1_3repE0EEENS1_30default_config_static_selectorELNS0_4arch9wavefront6targetE1EEEvT1_
    .private_segment_fixed_size: 0
    .sgpr_count:     6
    .sgpr_spill_count: 0
    .symbol:         _ZN7rocprim17ROCPRIM_400000_NS6detail17trampoline_kernelINS0_14default_configENS1_25transform_config_selectorIiLb0EEEZNS1_14transform_implILb0ES3_S5_PiN6thrust23THRUST_200600_302600_NS6detail15normal_iteratorINS9_10device_ptrIiEEEENS0_8identityIiEEEE10hipError_tT2_T3_mT4_P12ihipStream_tbEUlT_E_NS1_11comp_targetILNS1_3genE8ELNS1_11target_archE1030ELNS1_3gpuE2ELNS1_3repE0EEENS1_30default_config_static_selectorELNS0_4arch9wavefront6targetE1EEEvT1_.kd
    .uniform_work_group_size: 1
    .uses_dynamic_stack: false
    .vgpr_count:     0
    .vgpr_spill_count: 0
    .wavefront_size: 64
  - .agpr_count:     0
    .args:
      - .offset:         0
        .size:           40
        .value_kind:     by_value
    .group_segment_fixed_size: 0
    .kernarg_segment_align: 8
    .kernarg_segment_size: 40
    .language:       OpenCL C
    .language_version:
      - 2
      - 0
    .max_flat_workgroup_size: 128
    .name:           _ZN7rocprim17ROCPRIM_400000_NS6detail17trampoline_kernelINS0_14default_configENS1_38merge_sort_block_merge_config_selectorIiiEEZZNS1_27merge_sort_block_merge_implIS3_N6thrust23THRUST_200600_302600_NS6detail15normal_iteratorINS8_10device_ptrIiEEEESD_jNS1_19radix_merge_compareILb0ELb1EiNS0_19identity_decomposerEEEEE10hipError_tT0_T1_T2_jT3_P12ihipStream_tbPNSt15iterator_traitsISI_E10value_typeEPNSO_ISJ_E10value_typeEPSK_NS1_7vsmem_tEENKUlT_SI_SJ_SK_E_clIPiSD_S10_SD_EESH_SX_SI_SJ_SK_EUlSX_E_NS1_11comp_targetILNS1_3genE0ELNS1_11target_archE4294967295ELNS1_3gpuE0ELNS1_3repE0EEENS1_48merge_mergepath_partition_config_static_selectorELNS0_4arch9wavefront6targetE1EEEvSJ_
    .private_segment_fixed_size: 0
    .sgpr_count:     16
    .sgpr_spill_count: 0
    .symbol:         _ZN7rocprim17ROCPRIM_400000_NS6detail17trampoline_kernelINS0_14default_configENS1_38merge_sort_block_merge_config_selectorIiiEEZZNS1_27merge_sort_block_merge_implIS3_N6thrust23THRUST_200600_302600_NS6detail15normal_iteratorINS8_10device_ptrIiEEEESD_jNS1_19radix_merge_compareILb0ELb1EiNS0_19identity_decomposerEEEEE10hipError_tT0_T1_T2_jT3_P12ihipStream_tbPNSt15iterator_traitsISI_E10value_typeEPNSO_ISJ_E10value_typeEPSK_NS1_7vsmem_tEENKUlT_SI_SJ_SK_E_clIPiSD_S10_SD_EESH_SX_SI_SJ_SK_EUlSX_E_NS1_11comp_targetILNS1_3genE0ELNS1_11target_archE4294967295ELNS1_3gpuE0ELNS1_3repE0EEENS1_48merge_mergepath_partition_config_static_selectorELNS0_4arch9wavefront6targetE1EEEvSJ_.kd
    .uniform_work_group_size: 1
    .uses_dynamic_stack: false
    .vgpr_count:     17
    .vgpr_spill_count: 0
    .wavefront_size: 64
  - .agpr_count:     0
    .args:
      - .offset:         0
        .size:           40
        .value_kind:     by_value
    .group_segment_fixed_size: 0
    .kernarg_segment_align: 8
    .kernarg_segment_size: 40
    .language:       OpenCL C
    .language_version:
      - 2
      - 0
    .max_flat_workgroup_size: 128
    .name:           _ZN7rocprim17ROCPRIM_400000_NS6detail17trampoline_kernelINS0_14default_configENS1_38merge_sort_block_merge_config_selectorIiiEEZZNS1_27merge_sort_block_merge_implIS3_N6thrust23THRUST_200600_302600_NS6detail15normal_iteratorINS8_10device_ptrIiEEEESD_jNS1_19radix_merge_compareILb0ELb1EiNS0_19identity_decomposerEEEEE10hipError_tT0_T1_T2_jT3_P12ihipStream_tbPNSt15iterator_traitsISI_E10value_typeEPNSO_ISJ_E10value_typeEPSK_NS1_7vsmem_tEENKUlT_SI_SJ_SK_E_clIPiSD_S10_SD_EESH_SX_SI_SJ_SK_EUlSX_E_NS1_11comp_targetILNS1_3genE10ELNS1_11target_archE1201ELNS1_3gpuE5ELNS1_3repE0EEENS1_48merge_mergepath_partition_config_static_selectorELNS0_4arch9wavefront6targetE1EEEvSJ_
    .private_segment_fixed_size: 0
    .sgpr_count:     6
    .sgpr_spill_count: 0
    .symbol:         _ZN7rocprim17ROCPRIM_400000_NS6detail17trampoline_kernelINS0_14default_configENS1_38merge_sort_block_merge_config_selectorIiiEEZZNS1_27merge_sort_block_merge_implIS3_N6thrust23THRUST_200600_302600_NS6detail15normal_iteratorINS8_10device_ptrIiEEEESD_jNS1_19radix_merge_compareILb0ELb1EiNS0_19identity_decomposerEEEEE10hipError_tT0_T1_T2_jT3_P12ihipStream_tbPNSt15iterator_traitsISI_E10value_typeEPNSO_ISJ_E10value_typeEPSK_NS1_7vsmem_tEENKUlT_SI_SJ_SK_E_clIPiSD_S10_SD_EESH_SX_SI_SJ_SK_EUlSX_E_NS1_11comp_targetILNS1_3genE10ELNS1_11target_archE1201ELNS1_3gpuE5ELNS1_3repE0EEENS1_48merge_mergepath_partition_config_static_selectorELNS0_4arch9wavefront6targetE1EEEvSJ_.kd
    .uniform_work_group_size: 1
    .uses_dynamic_stack: false
    .vgpr_count:     0
    .vgpr_spill_count: 0
    .wavefront_size: 64
  - .agpr_count:     0
    .args:
      - .offset:         0
        .size:           40
        .value_kind:     by_value
    .group_segment_fixed_size: 0
    .kernarg_segment_align: 8
    .kernarg_segment_size: 40
    .language:       OpenCL C
    .language_version:
      - 2
      - 0
    .max_flat_workgroup_size: 128
    .name:           _ZN7rocprim17ROCPRIM_400000_NS6detail17trampoline_kernelINS0_14default_configENS1_38merge_sort_block_merge_config_selectorIiiEEZZNS1_27merge_sort_block_merge_implIS3_N6thrust23THRUST_200600_302600_NS6detail15normal_iteratorINS8_10device_ptrIiEEEESD_jNS1_19radix_merge_compareILb0ELb1EiNS0_19identity_decomposerEEEEE10hipError_tT0_T1_T2_jT3_P12ihipStream_tbPNSt15iterator_traitsISI_E10value_typeEPNSO_ISJ_E10value_typeEPSK_NS1_7vsmem_tEENKUlT_SI_SJ_SK_E_clIPiSD_S10_SD_EESH_SX_SI_SJ_SK_EUlSX_E_NS1_11comp_targetILNS1_3genE5ELNS1_11target_archE942ELNS1_3gpuE9ELNS1_3repE0EEENS1_48merge_mergepath_partition_config_static_selectorELNS0_4arch9wavefront6targetE1EEEvSJ_
    .private_segment_fixed_size: 0
    .sgpr_count:     6
    .sgpr_spill_count: 0
    .symbol:         _ZN7rocprim17ROCPRIM_400000_NS6detail17trampoline_kernelINS0_14default_configENS1_38merge_sort_block_merge_config_selectorIiiEEZZNS1_27merge_sort_block_merge_implIS3_N6thrust23THRUST_200600_302600_NS6detail15normal_iteratorINS8_10device_ptrIiEEEESD_jNS1_19radix_merge_compareILb0ELb1EiNS0_19identity_decomposerEEEEE10hipError_tT0_T1_T2_jT3_P12ihipStream_tbPNSt15iterator_traitsISI_E10value_typeEPNSO_ISJ_E10value_typeEPSK_NS1_7vsmem_tEENKUlT_SI_SJ_SK_E_clIPiSD_S10_SD_EESH_SX_SI_SJ_SK_EUlSX_E_NS1_11comp_targetILNS1_3genE5ELNS1_11target_archE942ELNS1_3gpuE9ELNS1_3repE0EEENS1_48merge_mergepath_partition_config_static_selectorELNS0_4arch9wavefront6targetE1EEEvSJ_.kd
    .uniform_work_group_size: 1
    .uses_dynamic_stack: false
    .vgpr_count:     0
    .vgpr_spill_count: 0
    .wavefront_size: 64
  - .agpr_count:     0
    .args:
      - .offset:         0
        .size:           40
        .value_kind:     by_value
    .group_segment_fixed_size: 0
    .kernarg_segment_align: 8
    .kernarg_segment_size: 40
    .language:       OpenCL C
    .language_version:
      - 2
      - 0
    .max_flat_workgroup_size: 128
    .name:           _ZN7rocprim17ROCPRIM_400000_NS6detail17trampoline_kernelINS0_14default_configENS1_38merge_sort_block_merge_config_selectorIiiEEZZNS1_27merge_sort_block_merge_implIS3_N6thrust23THRUST_200600_302600_NS6detail15normal_iteratorINS8_10device_ptrIiEEEESD_jNS1_19radix_merge_compareILb0ELb1EiNS0_19identity_decomposerEEEEE10hipError_tT0_T1_T2_jT3_P12ihipStream_tbPNSt15iterator_traitsISI_E10value_typeEPNSO_ISJ_E10value_typeEPSK_NS1_7vsmem_tEENKUlT_SI_SJ_SK_E_clIPiSD_S10_SD_EESH_SX_SI_SJ_SK_EUlSX_E_NS1_11comp_targetILNS1_3genE4ELNS1_11target_archE910ELNS1_3gpuE8ELNS1_3repE0EEENS1_48merge_mergepath_partition_config_static_selectorELNS0_4arch9wavefront6targetE1EEEvSJ_
    .private_segment_fixed_size: 0
    .sgpr_count:     6
    .sgpr_spill_count: 0
    .symbol:         _ZN7rocprim17ROCPRIM_400000_NS6detail17trampoline_kernelINS0_14default_configENS1_38merge_sort_block_merge_config_selectorIiiEEZZNS1_27merge_sort_block_merge_implIS3_N6thrust23THRUST_200600_302600_NS6detail15normal_iteratorINS8_10device_ptrIiEEEESD_jNS1_19radix_merge_compareILb0ELb1EiNS0_19identity_decomposerEEEEE10hipError_tT0_T1_T2_jT3_P12ihipStream_tbPNSt15iterator_traitsISI_E10value_typeEPNSO_ISJ_E10value_typeEPSK_NS1_7vsmem_tEENKUlT_SI_SJ_SK_E_clIPiSD_S10_SD_EESH_SX_SI_SJ_SK_EUlSX_E_NS1_11comp_targetILNS1_3genE4ELNS1_11target_archE910ELNS1_3gpuE8ELNS1_3repE0EEENS1_48merge_mergepath_partition_config_static_selectorELNS0_4arch9wavefront6targetE1EEEvSJ_.kd
    .uniform_work_group_size: 1
    .uses_dynamic_stack: false
    .vgpr_count:     0
    .vgpr_spill_count: 0
    .wavefront_size: 64
  - .agpr_count:     0
    .args:
      - .offset:         0
        .size:           40
        .value_kind:     by_value
    .group_segment_fixed_size: 0
    .kernarg_segment_align: 8
    .kernarg_segment_size: 40
    .language:       OpenCL C
    .language_version:
      - 2
      - 0
    .max_flat_workgroup_size: 128
    .name:           _ZN7rocprim17ROCPRIM_400000_NS6detail17trampoline_kernelINS0_14default_configENS1_38merge_sort_block_merge_config_selectorIiiEEZZNS1_27merge_sort_block_merge_implIS3_N6thrust23THRUST_200600_302600_NS6detail15normal_iteratorINS8_10device_ptrIiEEEESD_jNS1_19radix_merge_compareILb0ELb1EiNS0_19identity_decomposerEEEEE10hipError_tT0_T1_T2_jT3_P12ihipStream_tbPNSt15iterator_traitsISI_E10value_typeEPNSO_ISJ_E10value_typeEPSK_NS1_7vsmem_tEENKUlT_SI_SJ_SK_E_clIPiSD_S10_SD_EESH_SX_SI_SJ_SK_EUlSX_E_NS1_11comp_targetILNS1_3genE3ELNS1_11target_archE908ELNS1_3gpuE7ELNS1_3repE0EEENS1_48merge_mergepath_partition_config_static_selectorELNS0_4arch9wavefront6targetE1EEEvSJ_
    .private_segment_fixed_size: 0
    .sgpr_count:     6
    .sgpr_spill_count: 0
    .symbol:         _ZN7rocprim17ROCPRIM_400000_NS6detail17trampoline_kernelINS0_14default_configENS1_38merge_sort_block_merge_config_selectorIiiEEZZNS1_27merge_sort_block_merge_implIS3_N6thrust23THRUST_200600_302600_NS6detail15normal_iteratorINS8_10device_ptrIiEEEESD_jNS1_19radix_merge_compareILb0ELb1EiNS0_19identity_decomposerEEEEE10hipError_tT0_T1_T2_jT3_P12ihipStream_tbPNSt15iterator_traitsISI_E10value_typeEPNSO_ISJ_E10value_typeEPSK_NS1_7vsmem_tEENKUlT_SI_SJ_SK_E_clIPiSD_S10_SD_EESH_SX_SI_SJ_SK_EUlSX_E_NS1_11comp_targetILNS1_3genE3ELNS1_11target_archE908ELNS1_3gpuE7ELNS1_3repE0EEENS1_48merge_mergepath_partition_config_static_selectorELNS0_4arch9wavefront6targetE1EEEvSJ_.kd
    .uniform_work_group_size: 1
    .uses_dynamic_stack: false
    .vgpr_count:     0
    .vgpr_spill_count: 0
    .wavefront_size: 64
  - .agpr_count:     0
    .args:
      - .offset:         0
        .size:           40
        .value_kind:     by_value
    .group_segment_fixed_size: 0
    .kernarg_segment_align: 8
    .kernarg_segment_size: 40
    .language:       OpenCL C
    .language_version:
      - 2
      - 0
    .max_flat_workgroup_size: 128
    .name:           _ZN7rocprim17ROCPRIM_400000_NS6detail17trampoline_kernelINS0_14default_configENS1_38merge_sort_block_merge_config_selectorIiiEEZZNS1_27merge_sort_block_merge_implIS3_N6thrust23THRUST_200600_302600_NS6detail15normal_iteratorINS8_10device_ptrIiEEEESD_jNS1_19radix_merge_compareILb0ELb1EiNS0_19identity_decomposerEEEEE10hipError_tT0_T1_T2_jT3_P12ihipStream_tbPNSt15iterator_traitsISI_E10value_typeEPNSO_ISJ_E10value_typeEPSK_NS1_7vsmem_tEENKUlT_SI_SJ_SK_E_clIPiSD_S10_SD_EESH_SX_SI_SJ_SK_EUlSX_E_NS1_11comp_targetILNS1_3genE2ELNS1_11target_archE906ELNS1_3gpuE6ELNS1_3repE0EEENS1_48merge_mergepath_partition_config_static_selectorELNS0_4arch9wavefront6targetE1EEEvSJ_
    .private_segment_fixed_size: 0
    .sgpr_count:     6
    .sgpr_spill_count: 0
    .symbol:         _ZN7rocprim17ROCPRIM_400000_NS6detail17trampoline_kernelINS0_14default_configENS1_38merge_sort_block_merge_config_selectorIiiEEZZNS1_27merge_sort_block_merge_implIS3_N6thrust23THRUST_200600_302600_NS6detail15normal_iteratorINS8_10device_ptrIiEEEESD_jNS1_19radix_merge_compareILb0ELb1EiNS0_19identity_decomposerEEEEE10hipError_tT0_T1_T2_jT3_P12ihipStream_tbPNSt15iterator_traitsISI_E10value_typeEPNSO_ISJ_E10value_typeEPSK_NS1_7vsmem_tEENKUlT_SI_SJ_SK_E_clIPiSD_S10_SD_EESH_SX_SI_SJ_SK_EUlSX_E_NS1_11comp_targetILNS1_3genE2ELNS1_11target_archE906ELNS1_3gpuE6ELNS1_3repE0EEENS1_48merge_mergepath_partition_config_static_selectorELNS0_4arch9wavefront6targetE1EEEvSJ_.kd
    .uniform_work_group_size: 1
    .uses_dynamic_stack: false
    .vgpr_count:     0
    .vgpr_spill_count: 0
    .wavefront_size: 64
  - .agpr_count:     0
    .args:
      - .offset:         0
        .size:           40
        .value_kind:     by_value
    .group_segment_fixed_size: 0
    .kernarg_segment_align: 8
    .kernarg_segment_size: 40
    .language:       OpenCL C
    .language_version:
      - 2
      - 0
    .max_flat_workgroup_size: 128
    .name:           _ZN7rocprim17ROCPRIM_400000_NS6detail17trampoline_kernelINS0_14default_configENS1_38merge_sort_block_merge_config_selectorIiiEEZZNS1_27merge_sort_block_merge_implIS3_N6thrust23THRUST_200600_302600_NS6detail15normal_iteratorINS8_10device_ptrIiEEEESD_jNS1_19radix_merge_compareILb0ELb1EiNS0_19identity_decomposerEEEEE10hipError_tT0_T1_T2_jT3_P12ihipStream_tbPNSt15iterator_traitsISI_E10value_typeEPNSO_ISJ_E10value_typeEPSK_NS1_7vsmem_tEENKUlT_SI_SJ_SK_E_clIPiSD_S10_SD_EESH_SX_SI_SJ_SK_EUlSX_E_NS1_11comp_targetILNS1_3genE9ELNS1_11target_archE1100ELNS1_3gpuE3ELNS1_3repE0EEENS1_48merge_mergepath_partition_config_static_selectorELNS0_4arch9wavefront6targetE1EEEvSJ_
    .private_segment_fixed_size: 0
    .sgpr_count:     6
    .sgpr_spill_count: 0
    .symbol:         _ZN7rocprim17ROCPRIM_400000_NS6detail17trampoline_kernelINS0_14default_configENS1_38merge_sort_block_merge_config_selectorIiiEEZZNS1_27merge_sort_block_merge_implIS3_N6thrust23THRUST_200600_302600_NS6detail15normal_iteratorINS8_10device_ptrIiEEEESD_jNS1_19radix_merge_compareILb0ELb1EiNS0_19identity_decomposerEEEEE10hipError_tT0_T1_T2_jT3_P12ihipStream_tbPNSt15iterator_traitsISI_E10value_typeEPNSO_ISJ_E10value_typeEPSK_NS1_7vsmem_tEENKUlT_SI_SJ_SK_E_clIPiSD_S10_SD_EESH_SX_SI_SJ_SK_EUlSX_E_NS1_11comp_targetILNS1_3genE9ELNS1_11target_archE1100ELNS1_3gpuE3ELNS1_3repE0EEENS1_48merge_mergepath_partition_config_static_selectorELNS0_4arch9wavefront6targetE1EEEvSJ_.kd
    .uniform_work_group_size: 1
    .uses_dynamic_stack: false
    .vgpr_count:     0
    .vgpr_spill_count: 0
    .wavefront_size: 64
  - .agpr_count:     0
    .args:
      - .offset:         0
        .size:           40
        .value_kind:     by_value
    .group_segment_fixed_size: 0
    .kernarg_segment_align: 8
    .kernarg_segment_size: 40
    .language:       OpenCL C
    .language_version:
      - 2
      - 0
    .max_flat_workgroup_size: 128
    .name:           _ZN7rocprim17ROCPRIM_400000_NS6detail17trampoline_kernelINS0_14default_configENS1_38merge_sort_block_merge_config_selectorIiiEEZZNS1_27merge_sort_block_merge_implIS3_N6thrust23THRUST_200600_302600_NS6detail15normal_iteratorINS8_10device_ptrIiEEEESD_jNS1_19radix_merge_compareILb0ELb1EiNS0_19identity_decomposerEEEEE10hipError_tT0_T1_T2_jT3_P12ihipStream_tbPNSt15iterator_traitsISI_E10value_typeEPNSO_ISJ_E10value_typeEPSK_NS1_7vsmem_tEENKUlT_SI_SJ_SK_E_clIPiSD_S10_SD_EESH_SX_SI_SJ_SK_EUlSX_E_NS1_11comp_targetILNS1_3genE8ELNS1_11target_archE1030ELNS1_3gpuE2ELNS1_3repE0EEENS1_48merge_mergepath_partition_config_static_selectorELNS0_4arch9wavefront6targetE1EEEvSJ_
    .private_segment_fixed_size: 0
    .sgpr_count:     6
    .sgpr_spill_count: 0
    .symbol:         _ZN7rocprim17ROCPRIM_400000_NS6detail17trampoline_kernelINS0_14default_configENS1_38merge_sort_block_merge_config_selectorIiiEEZZNS1_27merge_sort_block_merge_implIS3_N6thrust23THRUST_200600_302600_NS6detail15normal_iteratorINS8_10device_ptrIiEEEESD_jNS1_19radix_merge_compareILb0ELb1EiNS0_19identity_decomposerEEEEE10hipError_tT0_T1_T2_jT3_P12ihipStream_tbPNSt15iterator_traitsISI_E10value_typeEPNSO_ISJ_E10value_typeEPSK_NS1_7vsmem_tEENKUlT_SI_SJ_SK_E_clIPiSD_S10_SD_EESH_SX_SI_SJ_SK_EUlSX_E_NS1_11comp_targetILNS1_3genE8ELNS1_11target_archE1030ELNS1_3gpuE2ELNS1_3repE0EEENS1_48merge_mergepath_partition_config_static_selectorELNS0_4arch9wavefront6targetE1EEEvSJ_.kd
    .uniform_work_group_size: 1
    .uses_dynamic_stack: false
    .vgpr_count:     0
    .vgpr_spill_count: 0
    .wavefront_size: 64
  - .agpr_count:     0
    .args:
      - .offset:         0
        .size:           64
        .value_kind:     by_value
      - .offset:         64
        .size:           4
        .value_kind:     hidden_block_count_x
      - .offset:         68
        .size:           4
        .value_kind:     hidden_block_count_y
      - .offset:         72
        .size:           4
        .value_kind:     hidden_block_count_z
      - .offset:         76
        .size:           2
        .value_kind:     hidden_group_size_x
      - .offset:         78
        .size:           2
        .value_kind:     hidden_group_size_y
      - .offset:         80
        .size:           2
        .value_kind:     hidden_group_size_z
      - .offset:         82
        .size:           2
        .value_kind:     hidden_remainder_x
      - .offset:         84
        .size:           2
        .value_kind:     hidden_remainder_y
      - .offset:         86
        .size:           2
        .value_kind:     hidden_remainder_z
      - .offset:         104
        .size:           8
        .value_kind:     hidden_global_offset_x
      - .offset:         112
        .size:           8
        .value_kind:     hidden_global_offset_y
      - .offset:         120
        .size:           8
        .value_kind:     hidden_global_offset_z
      - .offset:         128
        .size:           2
        .value_kind:     hidden_grid_dims
    .group_segment_fixed_size: 4224
    .kernarg_segment_align: 8
    .kernarg_segment_size: 320
    .language:       OpenCL C
    .language_version:
      - 2
      - 0
    .max_flat_workgroup_size: 256
    .name:           _ZN7rocprim17ROCPRIM_400000_NS6detail17trampoline_kernelINS0_14default_configENS1_38merge_sort_block_merge_config_selectorIiiEEZZNS1_27merge_sort_block_merge_implIS3_N6thrust23THRUST_200600_302600_NS6detail15normal_iteratorINS8_10device_ptrIiEEEESD_jNS1_19radix_merge_compareILb0ELb1EiNS0_19identity_decomposerEEEEE10hipError_tT0_T1_T2_jT3_P12ihipStream_tbPNSt15iterator_traitsISI_E10value_typeEPNSO_ISJ_E10value_typeEPSK_NS1_7vsmem_tEENKUlT_SI_SJ_SK_E_clIPiSD_S10_SD_EESH_SX_SI_SJ_SK_EUlSX_E0_NS1_11comp_targetILNS1_3genE0ELNS1_11target_archE4294967295ELNS1_3gpuE0ELNS1_3repE0EEENS1_38merge_mergepath_config_static_selectorELNS0_4arch9wavefront6targetE1EEEvSJ_
    .private_segment_fixed_size: 0
    .sgpr_count:     37
    .sgpr_spill_count: 0
    .symbol:         _ZN7rocprim17ROCPRIM_400000_NS6detail17trampoline_kernelINS0_14default_configENS1_38merge_sort_block_merge_config_selectorIiiEEZZNS1_27merge_sort_block_merge_implIS3_N6thrust23THRUST_200600_302600_NS6detail15normal_iteratorINS8_10device_ptrIiEEEESD_jNS1_19radix_merge_compareILb0ELb1EiNS0_19identity_decomposerEEEEE10hipError_tT0_T1_T2_jT3_P12ihipStream_tbPNSt15iterator_traitsISI_E10value_typeEPNSO_ISJ_E10value_typeEPSK_NS1_7vsmem_tEENKUlT_SI_SJ_SK_E_clIPiSD_S10_SD_EESH_SX_SI_SJ_SK_EUlSX_E0_NS1_11comp_targetILNS1_3genE0ELNS1_11target_archE4294967295ELNS1_3gpuE0ELNS1_3repE0EEENS1_38merge_mergepath_config_static_selectorELNS0_4arch9wavefront6targetE1EEEvSJ_.kd
    .uniform_work_group_size: 1
    .uses_dynamic_stack: false
    .vgpr_count:     20
    .vgpr_spill_count: 0
    .wavefront_size: 64
  - .agpr_count:     0
    .args:
      - .offset:         0
        .size:           64
        .value_kind:     by_value
    .group_segment_fixed_size: 0
    .kernarg_segment_align: 8
    .kernarg_segment_size: 64
    .language:       OpenCL C
    .language_version:
      - 2
      - 0
    .max_flat_workgroup_size: 256
    .name:           _ZN7rocprim17ROCPRIM_400000_NS6detail17trampoline_kernelINS0_14default_configENS1_38merge_sort_block_merge_config_selectorIiiEEZZNS1_27merge_sort_block_merge_implIS3_N6thrust23THRUST_200600_302600_NS6detail15normal_iteratorINS8_10device_ptrIiEEEESD_jNS1_19radix_merge_compareILb0ELb1EiNS0_19identity_decomposerEEEEE10hipError_tT0_T1_T2_jT3_P12ihipStream_tbPNSt15iterator_traitsISI_E10value_typeEPNSO_ISJ_E10value_typeEPSK_NS1_7vsmem_tEENKUlT_SI_SJ_SK_E_clIPiSD_S10_SD_EESH_SX_SI_SJ_SK_EUlSX_E0_NS1_11comp_targetILNS1_3genE10ELNS1_11target_archE1201ELNS1_3gpuE5ELNS1_3repE0EEENS1_38merge_mergepath_config_static_selectorELNS0_4arch9wavefront6targetE1EEEvSJ_
    .private_segment_fixed_size: 0
    .sgpr_count:     6
    .sgpr_spill_count: 0
    .symbol:         _ZN7rocprim17ROCPRIM_400000_NS6detail17trampoline_kernelINS0_14default_configENS1_38merge_sort_block_merge_config_selectorIiiEEZZNS1_27merge_sort_block_merge_implIS3_N6thrust23THRUST_200600_302600_NS6detail15normal_iteratorINS8_10device_ptrIiEEEESD_jNS1_19radix_merge_compareILb0ELb1EiNS0_19identity_decomposerEEEEE10hipError_tT0_T1_T2_jT3_P12ihipStream_tbPNSt15iterator_traitsISI_E10value_typeEPNSO_ISJ_E10value_typeEPSK_NS1_7vsmem_tEENKUlT_SI_SJ_SK_E_clIPiSD_S10_SD_EESH_SX_SI_SJ_SK_EUlSX_E0_NS1_11comp_targetILNS1_3genE10ELNS1_11target_archE1201ELNS1_3gpuE5ELNS1_3repE0EEENS1_38merge_mergepath_config_static_selectorELNS0_4arch9wavefront6targetE1EEEvSJ_.kd
    .uniform_work_group_size: 1
    .uses_dynamic_stack: false
    .vgpr_count:     0
    .vgpr_spill_count: 0
    .wavefront_size: 64
  - .agpr_count:     0
    .args:
      - .offset:         0
        .size:           64
        .value_kind:     by_value
    .group_segment_fixed_size: 0
    .kernarg_segment_align: 8
    .kernarg_segment_size: 64
    .language:       OpenCL C
    .language_version:
      - 2
      - 0
    .max_flat_workgroup_size: 128
    .name:           _ZN7rocprim17ROCPRIM_400000_NS6detail17trampoline_kernelINS0_14default_configENS1_38merge_sort_block_merge_config_selectorIiiEEZZNS1_27merge_sort_block_merge_implIS3_N6thrust23THRUST_200600_302600_NS6detail15normal_iteratorINS8_10device_ptrIiEEEESD_jNS1_19radix_merge_compareILb0ELb1EiNS0_19identity_decomposerEEEEE10hipError_tT0_T1_T2_jT3_P12ihipStream_tbPNSt15iterator_traitsISI_E10value_typeEPNSO_ISJ_E10value_typeEPSK_NS1_7vsmem_tEENKUlT_SI_SJ_SK_E_clIPiSD_S10_SD_EESH_SX_SI_SJ_SK_EUlSX_E0_NS1_11comp_targetILNS1_3genE5ELNS1_11target_archE942ELNS1_3gpuE9ELNS1_3repE0EEENS1_38merge_mergepath_config_static_selectorELNS0_4arch9wavefront6targetE1EEEvSJ_
    .private_segment_fixed_size: 0
    .sgpr_count:     6
    .sgpr_spill_count: 0
    .symbol:         _ZN7rocprim17ROCPRIM_400000_NS6detail17trampoline_kernelINS0_14default_configENS1_38merge_sort_block_merge_config_selectorIiiEEZZNS1_27merge_sort_block_merge_implIS3_N6thrust23THRUST_200600_302600_NS6detail15normal_iteratorINS8_10device_ptrIiEEEESD_jNS1_19radix_merge_compareILb0ELb1EiNS0_19identity_decomposerEEEEE10hipError_tT0_T1_T2_jT3_P12ihipStream_tbPNSt15iterator_traitsISI_E10value_typeEPNSO_ISJ_E10value_typeEPSK_NS1_7vsmem_tEENKUlT_SI_SJ_SK_E_clIPiSD_S10_SD_EESH_SX_SI_SJ_SK_EUlSX_E0_NS1_11comp_targetILNS1_3genE5ELNS1_11target_archE942ELNS1_3gpuE9ELNS1_3repE0EEENS1_38merge_mergepath_config_static_selectorELNS0_4arch9wavefront6targetE1EEEvSJ_.kd
    .uniform_work_group_size: 1
    .uses_dynamic_stack: false
    .vgpr_count:     0
    .vgpr_spill_count: 0
    .wavefront_size: 64
  - .agpr_count:     0
    .args:
      - .offset:         0
        .size:           64
        .value_kind:     by_value
    .group_segment_fixed_size: 0
    .kernarg_segment_align: 8
    .kernarg_segment_size: 64
    .language:       OpenCL C
    .language_version:
      - 2
      - 0
    .max_flat_workgroup_size: 256
    .name:           _ZN7rocprim17ROCPRIM_400000_NS6detail17trampoline_kernelINS0_14default_configENS1_38merge_sort_block_merge_config_selectorIiiEEZZNS1_27merge_sort_block_merge_implIS3_N6thrust23THRUST_200600_302600_NS6detail15normal_iteratorINS8_10device_ptrIiEEEESD_jNS1_19radix_merge_compareILb0ELb1EiNS0_19identity_decomposerEEEEE10hipError_tT0_T1_T2_jT3_P12ihipStream_tbPNSt15iterator_traitsISI_E10value_typeEPNSO_ISJ_E10value_typeEPSK_NS1_7vsmem_tEENKUlT_SI_SJ_SK_E_clIPiSD_S10_SD_EESH_SX_SI_SJ_SK_EUlSX_E0_NS1_11comp_targetILNS1_3genE4ELNS1_11target_archE910ELNS1_3gpuE8ELNS1_3repE0EEENS1_38merge_mergepath_config_static_selectorELNS0_4arch9wavefront6targetE1EEEvSJ_
    .private_segment_fixed_size: 0
    .sgpr_count:     6
    .sgpr_spill_count: 0
    .symbol:         _ZN7rocprim17ROCPRIM_400000_NS6detail17trampoline_kernelINS0_14default_configENS1_38merge_sort_block_merge_config_selectorIiiEEZZNS1_27merge_sort_block_merge_implIS3_N6thrust23THRUST_200600_302600_NS6detail15normal_iteratorINS8_10device_ptrIiEEEESD_jNS1_19radix_merge_compareILb0ELb1EiNS0_19identity_decomposerEEEEE10hipError_tT0_T1_T2_jT3_P12ihipStream_tbPNSt15iterator_traitsISI_E10value_typeEPNSO_ISJ_E10value_typeEPSK_NS1_7vsmem_tEENKUlT_SI_SJ_SK_E_clIPiSD_S10_SD_EESH_SX_SI_SJ_SK_EUlSX_E0_NS1_11comp_targetILNS1_3genE4ELNS1_11target_archE910ELNS1_3gpuE8ELNS1_3repE0EEENS1_38merge_mergepath_config_static_selectorELNS0_4arch9wavefront6targetE1EEEvSJ_.kd
    .uniform_work_group_size: 1
    .uses_dynamic_stack: false
    .vgpr_count:     0
    .vgpr_spill_count: 0
    .wavefront_size: 64
  - .agpr_count:     0
    .args:
      - .offset:         0
        .size:           64
        .value_kind:     by_value
    .group_segment_fixed_size: 0
    .kernarg_segment_align: 8
    .kernarg_segment_size: 64
    .language:       OpenCL C
    .language_version:
      - 2
      - 0
    .max_flat_workgroup_size: 256
    .name:           _ZN7rocprim17ROCPRIM_400000_NS6detail17trampoline_kernelINS0_14default_configENS1_38merge_sort_block_merge_config_selectorIiiEEZZNS1_27merge_sort_block_merge_implIS3_N6thrust23THRUST_200600_302600_NS6detail15normal_iteratorINS8_10device_ptrIiEEEESD_jNS1_19radix_merge_compareILb0ELb1EiNS0_19identity_decomposerEEEEE10hipError_tT0_T1_T2_jT3_P12ihipStream_tbPNSt15iterator_traitsISI_E10value_typeEPNSO_ISJ_E10value_typeEPSK_NS1_7vsmem_tEENKUlT_SI_SJ_SK_E_clIPiSD_S10_SD_EESH_SX_SI_SJ_SK_EUlSX_E0_NS1_11comp_targetILNS1_3genE3ELNS1_11target_archE908ELNS1_3gpuE7ELNS1_3repE0EEENS1_38merge_mergepath_config_static_selectorELNS0_4arch9wavefront6targetE1EEEvSJ_
    .private_segment_fixed_size: 0
    .sgpr_count:     6
    .sgpr_spill_count: 0
    .symbol:         _ZN7rocprim17ROCPRIM_400000_NS6detail17trampoline_kernelINS0_14default_configENS1_38merge_sort_block_merge_config_selectorIiiEEZZNS1_27merge_sort_block_merge_implIS3_N6thrust23THRUST_200600_302600_NS6detail15normal_iteratorINS8_10device_ptrIiEEEESD_jNS1_19radix_merge_compareILb0ELb1EiNS0_19identity_decomposerEEEEE10hipError_tT0_T1_T2_jT3_P12ihipStream_tbPNSt15iterator_traitsISI_E10value_typeEPNSO_ISJ_E10value_typeEPSK_NS1_7vsmem_tEENKUlT_SI_SJ_SK_E_clIPiSD_S10_SD_EESH_SX_SI_SJ_SK_EUlSX_E0_NS1_11comp_targetILNS1_3genE3ELNS1_11target_archE908ELNS1_3gpuE7ELNS1_3repE0EEENS1_38merge_mergepath_config_static_selectorELNS0_4arch9wavefront6targetE1EEEvSJ_.kd
    .uniform_work_group_size: 1
    .uses_dynamic_stack: false
    .vgpr_count:     0
    .vgpr_spill_count: 0
    .wavefront_size: 64
  - .agpr_count:     0
    .args:
      - .offset:         0
        .size:           64
        .value_kind:     by_value
    .group_segment_fixed_size: 0
    .kernarg_segment_align: 8
    .kernarg_segment_size: 64
    .language:       OpenCL C
    .language_version:
      - 2
      - 0
    .max_flat_workgroup_size: 256
    .name:           _ZN7rocprim17ROCPRIM_400000_NS6detail17trampoline_kernelINS0_14default_configENS1_38merge_sort_block_merge_config_selectorIiiEEZZNS1_27merge_sort_block_merge_implIS3_N6thrust23THRUST_200600_302600_NS6detail15normal_iteratorINS8_10device_ptrIiEEEESD_jNS1_19radix_merge_compareILb0ELb1EiNS0_19identity_decomposerEEEEE10hipError_tT0_T1_T2_jT3_P12ihipStream_tbPNSt15iterator_traitsISI_E10value_typeEPNSO_ISJ_E10value_typeEPSK_NS1_7vsmem_tEENKUlT_SI_SJ_SK_E_clIPiSD_S10_SD_EESH_SX_SI_SJ_SK_EUlSX_E0_NS1_11comp_targetILNS1_3genE2ELNS1_11target_archE906ELNS1_3gpuE6ELNS1_3repE0EEENS1_38merge_mergepath_config_static_selectorELNS0_4arch9wavefront6targetE1EEEvSJ_
    .private_segment_fixed_size: 0
    .sgpr_count:     6
    .sgpr_spill_count: 0
    .symbol:         _ZN7rocprim17ROCPRIM_400000_NS6detail17trampoline_kernelINS0_14default_configENS1_38merge_sort_block_merge_config_selectorIiiEEZZNS1_27merge_sort_block_merge_implIS3_N6thrust23THRUST_200600_302600_NS6detail15normal_iteratorINS8_10device_ptrIiEEEESD_jNS1_19radix_merge_compareILb0ELb1EiNS0_19identity_decomposerEEEEE10hipError_tT0_T1_T2_jT3_P12ihipStream_tbPNSt15iterator_traitsISI_E10value_typeEPNSO_ISJ_E10value_typeEPSK_NS1_7vsmem_tEENKUlT_SI_SJ_SK_E_clIPiSD_S10_SD_EESH_SX_SI_SJ_SK_EUlSX_E0_NS1_11comp_targetILNS1_3genE2ELNS1_11target_archE906ELNS1_3gpuE6ELNS1_3repE0EEENS1_38merge_mergepath_config_static_selectorELNS0_4arch9wavefront6targetE1EEEvSJ_.kd
    .uniform_work_group_size: 1
    .uses_dynamic_stack: false
    .vgpr_count:     0
    .vgpr_spill_count: 0
    .wavefront_size: 64
  - .agpr_count:     0
    .args:
      - .offset:         0
        .size:           64
        .value_kind:     by_value
    .group_segment_fixed_size: 0
    .kernarg_segment_align: 8
    .kernarg_segment_size: 64
    .language:       OpenCL C
    .language_version:
      - 2
      - 0
    .max_flat_workgroup_size: 512
    .name:           _ZN7rocprim17ROCPRIM_400000_NS6detail17trampoline_kernelINS0_14default_configENS1_38merge_sort_block_merge_config_selectorIiiEEZZNS1_27merge_sort_block_merge_implIS3_N6thrust23THRUST_200600_302600_NS6detail15normal_iteratorINS8_10device_ptrIiEEEESD_jNS1_19radix_merge_compareILb0ELb1EiNS0_19identity_decomposerEEEEE10hipError_tT0_T1_T2_jT3_P12ihipStream_tbPNSt15iterator_traitsISI_E10value_typeEPNSO_ISJ_E10value_typeEPSK_NS1_7vsmem_tEENKUlT_SI_SJ_SK_E_clIPiSD_S10_SD_EESH_SX_SI_SJ_SK_EUlSX_E0_NS1_11comp_targetILNS1_3genE9ELNS1_11target_archE1100ELNS1_3gpuE3ELNS1_3repE0EEENS1_38merge_mergepath_config_static_selectorELNS0_4arch9wavefront6targetE1EEEvSJ_
    .private_segment_fixed_size: 0
    .sgpr_count:     6
    .sgpr_spill_count: 0
    .symbol:         _ZN7rocprim17ROCPRIM_400000_NS6detail17trampoline_kernelINS0_14default_configENS1_38merge_sort_block_merge_config_selectorIiiEEZZNS1_27merge_sort_block_merge_implIS3_N6thrust23THRUST_200600_302600_NS6detail15normal_iteratorINS8_10device_ptrIiEEEESD_jNS1_19radix_merge_compareILb0ELb1EiNS0_19identity_decomposerEEEEE10hipError_tT0_T1_T2_jT3_P12ihipStream_tbPNSt15iterator_traitsISI_E10value_typeEPNSO_ISJ_E10value_typeEPSK_NS1_7vsmem_tEENKUlT_SI_SJ_SK_E_clIPiSD_S10_SD_EESH_SX_SI_SJ_SK_EUlSX_E0_NS1_11comp_targetILNS1_3genE9ELNS1_11target_archE1100ELNS1_3gpuE3ELNS1_3repE0EEENS1_38merge_mergepath_config_static_selectorELNS0_4arch9wavefront6targetE1EEEvSJ_.kd
    .uniform_work_group_size: 1
    .uses_dynamic_stack: false
    .vgpr_count:     0
    .vgpr_spill_count: 0
    .wavefront_size: 64
  - .agpr_count:     0
    .args:
      - .offset:         0
        .size:           64
        .value_kind:     by_value
    .group_segment_fixed_size: 0
    .kernarg_segment_align: 8
    .kernarg_segment_size: 64
    .language:       OpenCL C
    .language_version:
      - 2
      - 0
    .max_flat_workgroup_size: 1024
    .name:           _ZN7rocprim17ROCPRIM_400000_NS6detail17trampoline_kernelINS0_14default_configENS1_38merge_sort_block_merge_config_selectorIiiEEZZNS1_27merge_sort_block_merge_implIS3_N6thrust23THRUST_200600_302600_NS6detail15normal_iteratorINS8_10device_ptrIiEEEESD_jNS1_19radix_merge_compareILb0ELb1EiNS0_19identity_decomposerEEEEE10hipError_tT0_T1_T2_jT3_P12ihipStream_tbPNSt15iterator_traitsISI_E10value_typeEPNSO_ISJ_E10value_typeEPSK_NS1_7vsmem_tEENKUlT_SI_SJ_SK_E_clIPiSD_S10_SD_EESH_SX_SI_SJ_SK_EUlSX_E0_NS1_11comp_targetILNS1_3genE8ELNS1_11target_archE1030ELNS1_3gpuE2ELNS1_3repE0EEENS1_38merge_mergepath_config_static_selectorELNS0_4arch9wavefront6targetE1EEEvSJ_
    .private_segment_fixed_size: 0
    .sgpr_count:     6
    .sgpr_spill_count: 0
    .symbol:         _ZN7rocprim17ROCPRIM_400000_NS6detail17trampoline_kernelINS0_14default_configENS1_38merge_sort_block_merge_config_selectorIiiEEZZNS1_27merge_sort_block_merge_implIS3_N6thrust23THRUST_200600_302600_NS6detail15normal_iteratorINS8_10device_ptrIiEEEESD_jNS1_19radix_merge_compareILb0ELb1EiNS0_19identity_decomposerEEEEE10hipError_tT0_T1_T2_jT3_P12ihipStream_tbPNSt15iterator_traitsISI_E10value_typeEPNSO_ISJ_E10value_typeEPSK_NS1_7vsmem_tEENKUlT_SI_SJ_SK_E_clIPiSD_S10_SD_EESH_SX_SI_SJ_SK_EUlSX_E0_NS1_11comp_targetILNS1_3genE8ELNS1_11target_archE1030ELNS1_3gpuE2ELNS1_3repE0EEENS1_38merge_mergepath_config_static_selectorELNS0_4arch9wavefront6targetE1EEEvSJ_.kd
    .uniform_work_group_size: 1
    .uses_dynamic_stack: false
    .vgpr_count:     0
    .vgpr_spill_count: 0
    .wavefront_size: 64
  - .agpr_count:     0
    .args:
      - .offset:         0
        .size:           48
        .value_kind:     by_value
    .group_segment_fixed_size: 0
    .kernarg_segment_align: 8
    .kernarg_segment_size: 48
    .language:       OpenCL C
    .language_version:
      - 2
      - 0
    .max_flat_workgroup_size: 256
    .name:           _ZN7rocprim17ROCPRIM_400000_NS6detail17trampoline_kernelINS0_14default_configENS1_38merge_sort_block_merge_config_selectorIiiEEZZNS1_27merge_sort_block_merge_implIS3_N6thrust23THRUST_200600_302600_NS6detail15normal_iteratorINS8_10device_ptrIiEEEESD_jNS1_19radix_merge_compareILb0ELb1EiNS0_19identity_decomposerEEEEE10hipError_tT0_T1_T2_jT3_P12ihipStream_tbPNSt15iterator_traitsISI_E10value_typeEPNSO_ISJ_E10value_typeEPSK_NS1_7vsmem_tEENKUlT_SI_SJ_SK_E_clIPiSD_S10_SD_EESH_SX_SI_SJ_SK_EUlSX_E1_NS1_11comp_targetILNS1_3genE0ELNS1_11target_archE4294967295ELNS1_3gpuE0ELNS1_3repE0EEENS1_36merge_oddeven_config_static_selectorELNS0_4arch9wavefront6targetE1EEEvSJ_
    .private_segment_fixed_size: 0
    .sgpr_count:     30
    .sgpr_spill_count: 0
    .symbol:         _ZN7rocprim17ROCPRIM_400000_NS6detail17trampoline_kernelINS0_14default_configENS1_38merge_sort_block_merge_config_selectorIiiEEZZNS1_27merge_sort_block_merge_implIS3_N6thrust23THRUST_200600_302600_NS6detail15normal_iteratorINS8_10device_ptrIiEEEESD_jNS1_19radix_merge_compareILb0ELb1EiNS0_19identity_decomposerEEEEE10hipError_tT0_T1_T2_jT3_P12ihipStream_tbPNSt15iterator_traitsISI_E10value_typeEPNSO_ISJ_E10value_typeEPSK_NS1_7vsmem_tEENKUlT_SI_SJ_SK_E_clIPiSD_S10_SD_EESH_SX_SI_SJ_SK_EUlSX_E1_NS1_11comp_targetILNS1_3genE0ELNS1_11target_archE4294967295ELNS1_3gpuE0ELNS1_3repE0EEENS1_36merge_oddeven_config_static_selectorELNS0_4arch9wavefront6targetE1EEEvSJ_.kd
    .uniform_work_group_size: 1
    .uses_dynamic_stack: false
    .vgpr_count:     11
    .vgpr_spill_count: 0
    .wavefront_size: 64
  - .agpr_count:     0
    .args:
      - .offset:         0
        .size:           48
        .value_kind:     by_value
    .group_segment_fixed_size: 0
    .kernarg_segment_align: 8
    .kernarg_segment_size: 48
    .language:       OpenCL C
    .language_version:
      - 2
      - 0
    .max_flat_workgroup_size: 256
    .name:           _ZN7rocprim17ROCPRIM_400000_NS6detail17trampoline_kernelINS0_14default_configENS1_38merge_sort_block_merge_config_selectorIiiEEZZNS1_27merge_sort_block_merge_implIS3_N6thrust23THRUST_200600_302600_NS6detail15normal_iteratorINS8_10device_ptrIiEEEESD_jNS1_19radix_merge_compareILb0ELb1EiNS0_19identity_decomposerEEEEE10hipError_tT0_T1_T2_jT3_P12ihipStream_tbPNSt15iterator_traitsISI_E10value_typeEPNSO_ISJ_E10value_typeEPSK_NS1_7vsmem_tEENKUlT_SI_SJ_SK_E_clIPiSD_S10_SD_EESH_SX_SI_SJ_SK_EUlSX_E1_NS1_11comp_targetILNS1_3genE10ELNS1_11target_archE1201ELNS1_3gpuE5ELNS1_3repE0EEENS1_36merge_oddeven_config_static_selectorELNS0_4arch9wavefront6targetE1EEEvSJ_
    .private_segment_fixed_size: 0
    .sgpr_count:     6
    .sgpr_spill_count: 0
    .symbol:         _ZN7rocprim17ROCPRIM_400000_NS6detail17trampoline_kernelINS0_14default_configENS1_38merge_sort_block_merge_config_selectorIiiEEZZNS1_27merge_sort_block_merge_implIS3_N6thrust23THRUST_200600_302600_NS6detail15normal_iteratorINS8_10device_ptrIiEEEESD_jNS1_19radix_merge_compareILb0ELb1EiNS0_19identity_decomposerEEEEE10hipError_tT0_T1_T2_jT3_P12ihipStream_tbPNSt15iterator_traitsISI_E10value_typeEPNSO_ISJ_E10value_typeEPSK_NS1_7vsmem_tEENKUlT_SI_SJ_SK_E_clIPiSD_S10_SD_EESH_SX_SI_SJ_SK_EUlSX_E1_NS1_11comp_targetILNS1_3genE10ELNS1_11target_archE1201ELNS1_3gpuE5ELNS1_3repE0EEENS1_36merge_oddeven_config_static_selectorELNS0_4arch9wavefront6targetE1EEEvSJ_.kd
    .uniform_work_group_size: 1
    .uses_dynamic_stack: false
    .vgpr_count:     0
    .vgpr_spill_count: 0
    .wavefront_size: 64
  - .agpr_count:     0
    .args:
      - .offset:         0
        .size:           48
        .value_kind:     by_value
    .group_segment_fixed_size: 0
    .kernarg_segment_align: 8
    .kernarg_segment_size: 48
    .language:       OpenCL C
    .language_version:
      - 2
      - 0
    .max_flat_workgroup_size: 256
    .name:           _ZN7rocprim17ROCPRIM_400000_NS6detail17trampoline_kernelINS0_14default_configENS1_38merge_sort_block_merge_config_selectorIiiEEZZNS1_27merge_sort_block_merge_implIS3_N6thrust23THRUST_200600_302600_NS6detail15normal_iteratorINS8_10device_ptrIiEEEESD_jNS1_19radix_merge_compareILb0ELb1EiNS0_19identity_decomposerEEEEE10hipError_tT0_T1_T2_jT3_P12ihipStream_tbPNSt15iterator_traitsISI_E10value_typeEPNSO_ISJ_E10value_typeEPSK_NS1_7vsmem_tEENKUlT_SI_SJ_SK_E_clIPiSD_S10_SD_EESH_SX_SI_SJ_SK_EUlSX_E1_NS1_11comp_targetILNS1_3genE5ELNS1_11target_archE942ELNS1_3gpuE9ELNS1_3repE0EEENS1_36merge_oddeven_config_static_selectorELNS0_4arch9wavefront6targetE1EEEvSJ_
    .private_segment_fixed_size: 0
    .sgpr_count:     6
    .sgpr_spill_count: 0
    .symbol:         _ZN7rocprim17ROCPRIM_400000_NS6detail17trampoline_kernelINS0_14default_configENS1_38merge_sort_block_merge_config_selectorIiiEEZZNS1_27merge_sort_block_merge_implIS3_N6thrust23THRUST_200600_302600_NS6detail15normal_iteratorINS8_10device_ptrIiEEEESD_jNS1_19radix_merge_compareILb0ELb1EiNS0_19identity_decomposerEEEEE10hipError_tT0_T1_T2_jT3_P12ihipStream_tbPNSt15iterator_traitsISI_E10value_typeEPNSO_ISJ_E10value_typeEPSK_NS1_7vsmem_tEENKUlT_SI_SJ_SK_E_clIPiSD_S10_SD_EESH_SX_SI_SJ_SK_EUlSX_E1_NS1_11comp_targetILNS1_3genE5ELNS1_11target_archE942ELNS1_3gpuE9ELNS1_3repE0EEENS1_36merge_oddeven_config_static_selectorELNS0_4arch9wavefront6targetE1EEEvSJ_.kd
    .uniform_work_group_size: 1
    .uses_dynamic_stack: false
    .vgpr_count:     0
    .vgpr_spill_count: 0
    .wavefront_size: 64
  - .agpr_count:     0
    .args:
      - .offset:         0
        .size:           48
        .value_kind:     by_value
    .group_segment_fixed_size: 0
    .kernarg_segment_align: 8
    .kernarg_segment_size: 48
    .language:       OpenCL C
    .language_version:
      - 2
      - 0
    .max_flat_workgroup_size: 256
    .name:           _ZN7rocprim17ROCPRIM_400000_NS6detail17trampoline_kernelINS0_14default_configENS1_38merge_sort_block_merge_config_selectorIiiEEZZNS1_27merge_sort_block_merge_implIS3_N6thrust23THRUST_200600_302600_NS6detail15normal_iteratorINS8_10device_ptrIiEEEESD_jNS1_19radix_merge_compareILb0ELb1EiNS0_19identity_decomposerEEEEE10hipError_tT0_T1_T2_jT3_P12ihipStream_tbPNSt15iterator_traitsISI_E10value_typeEPNSO_ISJ_E10value_typeEPSK_NS1_7vsmem_tEENKUlT_SI_SJ_SK_E_clIPiSD_S10_SD_EESH_SX_SI_SJ_SK_EUlSX_E1_NS1_11comp_targetILNS1_3genE4ELNS1_11target_archE910ELNS1_3gpuE8ELNS1_3repE0EEENS1_36merge_oddeven_config_static_selectorELNS0_4arch9wavefront6targetE1EEEvSJ_
    .private_segment_fixed_size: 0
    .sgpr_count:     6
    .sgpr_spill_count: 0
    .symbol:         _ZN7rocprim17ROCPRIM_400000_NS6detail17trampoline_kernelINS0_14default_configENS1_38merge_sort_block_merge_config_selectorIiiEEZZNS1_27merge_sort_block_merge_implIS3_N6thrust23THRUST_200600_302600_NS6detail15normal_iteratorINS8_10device_ptrIiEEEESD_jNS1_19radix_merge_compareILb0ELb1EiNS0_19identity_decomposerEEEEE10hipError_tT0_T1_T2_jT3_P12ihipStream_tbPNSt15iterator_traitsISI_E10value_typeEPNSO_ISJ_E10value_typeEPSK_NS1_7vsmem_tEENKUlT_SI_SJ_SK_E_clIPiSD_S10_SD_EESH_SX_SI_SJ_SK_EUlSX_E1_NS1_11comp_targetILNS1_3genE4ELNS1_11target_archE910ELNS1_3gpuE8ELNS1_3repE0EEENS1_36merge_oddeven_config_static_selectorELNS0_4arch9wavefront6targetE1EEEvSJ_.kd
    .uniform_work_group_size: 1
    .uses_dynamic_stack: false
    .vgpr_count:     0
    .vgpr_spill_count: 0
    .wavefront_size: 64
  - .agpr_count:     0
    .args:
      - .offset:         0
        .size:           48
        .value_kind:     by_value
    .group_segment_fixed_size: 0
    .kernarg_segment_align: 8
    .kernarg_segment_size: 48
    .language:       OpenCL C
    .language_version:
      - 2
      - 0
    .max_flat_workgroup_size: 256
    .name:           _ZN7rocprim17ROCPRIM_400000_NS6detail17trampoline_kernelINS0_14default_configENS1_38merge_sort_block_merge_config_selectorIiiEEZZNS1_27merge_sort_block_merge_implIS3_N6thrust23THRUST_200600_302600_NS6detail15normal_iteratorINS8_10device_ptrIiEEEESD_jNS1_19radix_merge_compareILb0ELb1EiNS0_19identity_decomposerEEEEE10hipError_tT0_T1_T2_jT3_P12ihipStream_tbPNSt15iterator_traitsISI_E10value_typeEPNSO_ISJ_E10value_typeEPSK_NS1_7vsmem_tEENKUlT_SI_SJ_SK_E_clIPiSD_S10_SD_EESH_SX_SI_SJ_SK_EUlSX_E1_NS1_11comp_targetILNS1_3genE3ELNS1_11target_archE908ELNS1_3gpuE7ELNS1_3repE0EEENS1_36merge_oddeven_config_static_selectorELNS0_4arch9wavefront6targetE1EEEvSJ_
    .private_segment_fixed_size: 0
    .sgpr_count:     6
    .sgpr_spill_count: 0
    .symbol:         _ZN7rocprim17ROCPRIM_400000_NS6detail17trampoline_kernelINS0_14default_configENS1_38merge_sort_block_merge_config_selectorIiiEEZZNS1_27merge_sort_block_merge_implIS3_N6thrust23THRUST_200600_302600_NS6detail15normal_iteratorINS8_10device_ptrIiEEEESD_jNS1_19radix_merge_compareILb0ELb1EiNS0_19identity_decomposerEEEEE10hipError_tT0_T1_T2_jT3_P12ihipStream_tbPNSt15iterator_traitsISI_E10value_typeEPNSO_ISJ_E10value_typeEPSK_NS1_7vsmem_tEENKUlT_SI_SJ_SK_E_clIPiSD_S10_SD_EESH_SX_SI_SJ_SK_EUlSX_E1_NS1_11comp_targetILNS1_3genE3ELNS1_11target_archE908ELNS1_3gpuE7ELNS1_3repE0EEENS1_36merge_oddeven_config_static_selectorELNS0_4arch9wavefront6targetE1EEEvSJ_.kd
    .uniform_work_group_size: 1
    .uses_dynamic_stack: false
    .vgpr_count:     0
    .vgpr_spill_count: 0
    .wavefront_size: 64
  - .agpr_count:     0
    .args:
      - .offset:         0
        .size:           48
        .value_kind:     by_value
    .group_segment_fixed_size: 0
    .kernarg_segment_align: 8
    .kernarg_segment_size: 48
    .language:       OpenCL C
    .language_version:
      - 2
      - 0
    .max_flat_workgroup_size: 256
    .name:           _ZN7rocprim17ROCPRIM_400000_NS6detail17trampoline_kernelINS0_14default_configENS1_38merge_sort_block_merge_config_selectorIiiEEZZNS1_27merge_sort_block_merge_implIS3_N6thrust23THRUST_200600_302600_NS6detail15normal_iteratorINS8_10device_ptrIiEEEESD_jNS1_19radix_merge_compareILb0ELb1EiNS0_19identity_decomposerEEEEE10hipError_tT0_T1_T2_jT3_P12ihipStream_tbPNSt15iterator_traitsISI_E10value_typeEPNSO_ISJ_E10value_typeEPSK_NS1_7vsmem_tEENKUlT_SI_SJ_SK_E_clIPiSD_S10_SD_EESH_SX_SI_SJ_SK_EUlSX_E1_NS1_11comp_targetILNS1_3genE2ELNS1_11target_archE906ELNS1_3gpuE6ELNS1_3repE0EEENS1_36merge_oddeven_config_static_selectorELNS0_4arch9wavefront6targetE1EEEvSJ_
    .private_segment_fixed_size: 0
    .sgpr_count:     6
    .sgpr_spill_count: 0
    .symbol:         _ZN7rocprim17ROCPRIM_400000_NS6detail17trampoline_kernelINS0_14default_configENS1_38merge_sort_block_merge_config_selectorIiiEEZZNS1_27merge_sort_block_merge_implIS3_N6thrust23THRUST_200600_302600_NS6detail15normal_iteratorINS8_10device_ptrIiEEEESD_jNS1_19radix_merge_compareILb0ELb1EiNS0_19identity_decomposerEEEEE10hipError_tT0_T1_T2_jT3_P12ihipStream_tbPNSt15iterator_traitsISI_E10value_typeEPNSO_ISJ_E10value_typeEPSK_NS1_7vsmem_tEENKUlT_SI_SJ_SK_E_clIPiSD_S10_SD_EESH_SX_SI_SJ_SK_EUlSX_E1_NS1_11comp_targetILNS1_3genE2ELNS1_11target_archE906ELNS1_3gpuE6ELNS1_3repE0EEENS1_36merge_oddeven_config_static_selectorELNS0_4arch9wavefront6targetE1EEEvSJ_.kd
    .uniform_work_group_size: 1
    .uses_dynamic_stack: false
    .vgpr_count:     0
    .vgpr_spill_count: 0
    .wavefront_size: 64
  - .agpr_count:     0
    .args:
      - .offset:         0
        .size:           48
        .value_kind:     by_value
    .group_segment_fixed_size: 0
    .kernarg_segment_align: 8
    .kernarg_segment_size: 48
    .language:       OpenCL C
    .language_version:
      - 2
      - 0
    .max_flat_workgroup_size: 256
    .name:           _ZN7rocprim17ROCPRIM_400000_NS6detail17trampoline_kernelINS0_14default_configENS1_38merge_sort_block_merge_config_selectorIiiEEZZNS1_27merge_sort_block_merge_implIS3_N6thrust23THRUST_200600_302600_NS6detail15normal_iteratorINS8_10device_ptrIiEEEESD_jNS1_19radix_merge_compareILb0ELb1EiNS0_19identity_decomposerEEEEE10hipError_tT0_T1_T2_jT3_P12ihipStream_tbPNSt15iterator_traitsISI_E10value_typeEPNSO_ISJ_E10value_typeEPSK_NS1_7vsmem_tEENKUlT_SI_SJ_SK_E_clIPiSD_S10_SD_EESH_SX_SI_SJ_SK_EUlSX_E1_NS1_11comp_targetILNS1_3genE9ELNS1_11target_archE1100ELNS1_3gpuE3ELNS1_3repE0EEENS1_36merge_oddeven_config_static_selectorELNS0_4arch9wavefront6targetE1EEEvSJ_
    .private_segment_fixed_size: 0
    .sgpr_count:     6
    .sgpr_spill_count: 0
    .symbol:         _ZN7rocprim17ROCPRIM_400000_NS6detail17trampoline_kernelINS0_14default_configENS1_38merge_sort_block_merge_config_selectorIiiEEZZNS1_27merge_sort_block_merge_implIS3_N6thrust23THRUST_200600_302600_NS6detail15normal_iteratorINS8_10device_ptrIiEEEESD_jNS1_19radix_merge_compareILb0ELb1EiNS0_19identity_decomposerEEEEE10hipError_tT0_T1_T2_jT3_P12ihipStream_tbPNSt15iterator_traitsISI_E10value_typeEPNSO_ISJ_E10value_typeEPSK_NS1_7vsmem_tEENKUlT_SI_SJ_SK_E_clIPiSD_S10_SD_EESH_SX_SI_SJ_SK_EUlSX_E1_NS1_11comp_targetILNS1_3genE9ELNS1_11target_archE1100ELNS1_3gpuE3ELNS1_3repE0EEENS1_36merge_oddeven_config_static_selectorELNS0_4arch9wavefront6targetE1EEEvSJ_.kd
    .uniform_work_group_size: 1
    .uses_dynamic_stack: false
    .vgpr_count:     0
    .vgpr_spill_count: 0
    .wavefront_size: 64
  - .agpr_count:     0
    .args:
      - .offset:         0
        .size:           48
        .value_kind:     by_value
    .group_segment_fixed_size: 0
    .kernarg_segment_align: 8
    .kernarg_segment_size: 48
    .language:       OpenCL C
    .language_version:
      - 2
      - 0
    .max_flat_workgroup_size: 256
    .name:           _ZN7rocprim17ROCPRIM_400000_NS6detail17trampoline_kernelINS0_14default_configENS1_38merge_sort_block_merge_config_selectorIiiEEZZNS1_27merge_sort_block_merge_implIS3_N6thrust23THRUST_200600_302600_NS6detail15normal_iteratorINS8_10device_ptrIiEEEESD_jNS1_19radix_merge_compareILb0ELb1EiNS0_19identity_decomposerEEEEE10hipError_tT0_T1_T2_jT3_P12ihipStream_tbPNSt15iterator_traitsISI_E10value_typeEPNSO_ISJ_E10value_typeEPSK_NS1_7vsmem_tEENKUlT_SI_SJ_SK_E_clIPiSD_S10_SD_EESH_SX_SI_SJ_SK_EUlSX_E1_NS1_11comp_targetILNS1_3genE8ELNS1_11target_archE1030ELNS1_3gpuE2ELNS1_3repE0EEENS1_36merge_oddeven_config_static_selectorELNS0_4arch9wavefront6targetE1EEEvSJ_
    .private_segment_fixed_size: 0
    .sgpr_count:     6
    .sgpr_spill_count: 0
    .symbol:         _ZN7rocprim17ROCPRIM_400000_NS6detail17trampoline_kernelINS0_14default_configENS1_38merge_sort_block_merge_config_selectorIiiEEZZNS1_27merge_sort_block_merge_implIS3_N6thrust23THRUST_200600_302600_NS6detail15normal_iteratorINS8_10device_ptrIiEEEESD_jNS1_19radix_merge_compareILb0ELb1EiNS0_19identity_decomposerEEEEE10hipError_tT0_T1_T2_jT3_P12ihipStream_tbPNSt15iterator_traitsISI_E10value_typeEPNSO_ISJ_E10value_typeEPSK_NS1_7vsmem_tEENKUlT_SI_SJ_SK_E_clIPiSD_S10_SD_EESH_SX_SI_SJ_SK_EUlSX_E1_NS1_11comp_targetILNS1_3genE8ELNS1_11target_archE1030ELNS1_3gpuE2ELNS1_3repE0EEENS1_36merge_oddeven_config_static_selectorELNS0_4arch9wavefront6targetE1EEEvSJ_.kd
    .uniform_work_group_size: 1
    .uses_dynamic_stack: false
    .vgpr_count:     0
    .vgpr_spill_count: 0
    .wavefront_size: 64
  - .agpr_count:     0
    .args:
      - .offset:         0
        .size:           40
        .value_kind:     by_value
    .group_segment_fixed_size: 0
    .kernarg_segment_align: 8
    .kernarg_segment_size: 40
    .language:       OpenCL C
    .language_version:
      - 2
      - 0
    .max_flat_workgroup_size: 128
    .name:           _ZN7rocprim17ROCPRIM_400000_NS6detail17trampoline_kernelINS0_14default_configENS1_38merge_sort_block_merge_config_selectorIiiEEZZNS1_27merge_sort_block_merge_implIS3_N6thrust23THRUST_200600_302600_NS6detail15normal_iteratorINS8_10device_ptrIiEEEESD_jNS1_19radix_merge_compareILb0ELb1EiNS0_19identity_decomposerEEEEE10hipError_tT0_T1_T2_jT3_P12ihipStream_tbPNSt15iterator_traitsISI_E10value_typeEPNSO_ISJ_E10value_typeEPSK_NS1_7vsmem_tEENKUlT_SI_SJ_SK_E_clISD_PiSD_S10_EESH_SX_SI_SJ_SK_EUlSX_E_NS1_11comp_targetILNS1_3genE0ELNS1_11target_archE4294967295ELNS1_3gpuE0ELNS1_3repE0EEENS1_48merge_mergepath_partition_config_static_selectorELNS0_4arch9wavefront6targetE1EEEvSJ_
    .private_segment_fixed_size: 0
    .sgpr_count:     16
    .sgpr_spill_count: 0
    .symbol:         _ZN7rocprim17ROCPRIM_400000_NS6detail17trampoline_kernelINS0_14default_configENS1_38merge_sort_block_merge_config_selectorIiiEEZZNS1_27merge_sort_block_merge_implIS3_N6thrust23THRUST_200600_302600_NS6detail15normal_iteratorINS8_10device_ptrIiEEEESD_jNS1_19radix_merge_compareILb0ELb1EiNS0_19identity_decomposerEEEEE10hipError_tT0_T1_T2_jT3_P12ihipStream_tbPNSt15iterator_traitsISI_E10value_typeEPNSO_ISJ_E10value_typeEPSK_NS1_7vsmem_tEENKUlT_SI_SJ_SK_E_clISD_PiSD_S10_EESH_SX_SI_SJ_SK_EUlSX_E_NS1_11comp_targetILNS1_3genE0ELNS1_11target_archE4294967295ELNS1_3gpuE0ELNS1_3repE0EEENS1_48merge_mergepath_partition_config_static_selectorELNS0_4arch9wavefront6targetE1EEEvSJ_.kd
    .uniform_work_group_size: 1
    .uses_dynamic_stack: false
    .vgpr_count:     17
    .vgpr_spill_count: 0
    .wavefront_size: 64
  - .agpr_count:     0
    .args:
      - .offset:         0
        .size:           40
        .value_kind:     by_value
    .group_segment_fixed_size: 0
    .kernarg_segment_align: 8
    .kernarg_segment_size: 40
    .language:       OpenCL C
    .language_version:
      - 2
      - 0
    .max_flat_workgroup_size: 128
    .name:           _ZN7rocprim17ROCPRIM_400000_NS6detail17trampoline_kernelINS0_14default_configENS1_38merge_sort_block_merge_config_selectorIiiEEZZNS1_27merge_sort_block_merge_implIS3_N6thrust23THRUST_200600_302600_NS6detail15normal_iteratorINS8_10device_ptrIiEEEESD_jNS1_19radix_merge_compareILb0ELb1EiNS0_19identity_decomposerEEEEE10hipError_tT0_T1_T2_jT3_P12ihipStream_tbPNSt15iterator_traitsISI_E10value_typeEPNSO_ISJ_E10value_typeEPSK_NS1_7vsmem_tEENKUlT_SI_SJ_SK_E_clISD_PiSD_S10_EESH_SX_SI_SJ_SK_EUlSX_E_NS1_11comp_targetILNS1_3genE10ELNS1_11target_archE1201ELNS1_3gpuE5ELNS1_3repE0EEENS1_48merge_mergepath_partition_config_static_selectorELNS0_4arch9wavefront6targetE1EEEvSJ_
    .private_segment_fixed_size: 0
    .sgpr_count:     6
    .sgpr_spill_count: 0
    .symbol:         _ZN7rocprim17ROCPRIM_400000_NS6detail17trampoline_kernelINS0_14default_configENS1_38merge_sort_block_merge_config_selectorIiiEEZZNS1_27merge_sort_block_merge_implIS3_N6thrust23THRUST_200600_302600_NS6detail15normal_iteratorINS8_10device_ptrIiEEEESD_jNS1_19radix_merge_compareILb0ELb1EiNS0_19identity_decomposerEEEEE10hipError_tT0_T1_T2_jT3_P12ihipStream_tbPNSt15iterator_traitsISI_E10value_typeEPNSO_ISJ_E10value_typeEPSK_NS1_7vsmem_tEENKUlT_SI_SJ_SK_E_clISD_PiSD_S10_EESH_SX_SI_SJ_SK_EUlSX_E_NS1_11comp_targetILNS1_3genE10ELNS1_11target_archE1201ELNS1_3gpuE5ELNS1_3repE0EEENS1_48merge_mergepath_partition_config_static_selectorELNS0_4arch9wavefront6targetE1EEEvSJ_.kd
    .uniform_work_group_size: 1
    .uses_dynamic_stack: false
    .vgpr_count:     0
    .vgpr_spill_count: 0
    .wavefront_size: 64
  - .agpr_count:     0
    .args:
      - .offset:         0
        .size:           40
        .value_kind:     by_value
    .group_segment_fixed_size: 0
    .kernarg_segment_align: 8
    .kernarg_segment_size: 40
    .language:       OpenCL C
    .language_version:
      - 2
      - 0
    .max_flat_workgroup_size: 128
    .name:           _ZN7rocprim17ROCPRIM_400000_NS6detail17trampoline_kernelINS0_14default_configENS1_38merge_sort_block_merge_config_selectorIiiEEZZNS1_27merge_sort_block_merge_implIS3_N6thrust23THRUST_200600_302600_NS6detail15normal_iteratorINS8_10device_ptrIiEEEESD_jNS1_19radix_merge_compareILb0ELb1EiNS0_19identity_decomposerEEEEE10hipError_tT0_T1_T2_jT3_P12ihipStream_tbPNSt15iterator_traitsISI_E10value_typeEPNSO_ISJ_E10value_typeEPSK_NS1_7vsmem_tEENKUlT_SI_SJ_SK_E_clISD_PiSD_S10_EESH_SX_SI_SJ_SK_EUlSX_E_NS1_11comp_targetILNS1_3genE5ELNS1_11target_archE942ELNS1_3gpuE9ELNS1_3repE0EEENS1_48merge_mergepath_partition_config_static_selectorELNS0_4arch9wavefront6targetE1EEEvSJ_
    .private_segment_fixed_size: 0
    .sgpr_count:     6
    .sgpr_spill_count: 0
    .symbol:         _ZN7rocprim17ROCPRIM_400000_NS6detail17trampoline_kernelINS0_14default_configENS1_38merge_sort_block_merge_config_selectorIiiEEZZNS1_27merge_sort_block_merge_implIS3_N6thrust23THRUST_200600_302600_NS6detail15normal_iteratorINS8_10device_ptrIiEEEESD_jNS1_19radix_merge_compareILb0ELb1EiNS0_19identity_decomposerEEEEE10hipError_tT0_T1_T2_jT3_P12ihipStream_tbPNSt15iterator_traitsISI_E10value_typeEPNSO_ISJ_E10value_typeEPSK_NS1_7vsmem_tEENKUlT_SI_SJ_SK_E_clISD_PiSD_S10_EESH_SX_SI_SJ_SK_EUlSX_E_NS1_11comp_targetILNS1_3genE5ELNS1_11target_archE942ELNS1_3gpuE9ELNS1_3repE0EEENS1_48merge_mergepath_partition_config_static_selectorELNS0_4arch9wavefront6targetE1EEEvSJ_.kd
    .uniform_work_group_size: 1
    .uses_dynamic_stack: false
    .vgpr_count:     0
    .vgpr_spill_count: 0
    .wavefront_size: 64
  - .agpr_count:     0
    .args:
      - .offset:         0
        .size:           40
        .value_kind:     by_value
    .group_segment_fixed_size: 0
    .kernarg_segment_align: 8
    .kernarg_segment_size: 40
    .language:       OpenCL C
    .language_version:
      - 2
      - 0
    .max_flat_workgroup_size: 128
    .name:           _ZN7rocprim17ROCPRIM_400000_NS6detail17trampoline_kernelINS0_14default_configENS1_38merge_sort_block_merge_config_selectorIiiEEZZNS1_27merge_sort_block_merge_implIS3_N6thrust23THRUST_200600_302600_NS6detail15normal_iteratorINS8_10device_ptrIiEEEESD_jNS1_19radix_merge_compareILb0ELb1EiNS0_19identity_decomposerEEEEE10hipError_tT0_T1_T2_jT3_P12ihipStream_tbPNSt15iterator_traitsISI_E10value_typeEPNSO_ISJ_E10value_typeEPSK_NS1_7vsmem_tEENKUlT_SI_SJ_SK_E_clISD_PiSD_S10_EESH_SX_SI_SJ_SK_EUlSX_E_NS1_11comp_targetILNS1_3genE4ELNS1_11target_archE910ELNS1_3gpuE8ELNS1_3repE0EEENS1_48merge_mergepath_partition_config_static_selectorELNS0_4arch9wavefront6targetE1EEEvSJ_
    .private_segment_fixed_size: 0
    .sgpr_count:     6
    .sgpr_spill_count: 0
    .symbol:         _ZN7rocprim17ROCPRIM_400000_NS6detail17trampoline_kernelINS0_14default_configENS1_38merge_sort_block_merge_config_selectorIiiEEZZNS1_27merge_sort_block_merge_implIS3_N6thrust23THRUST_200600_302600_NS6detail15normal_iteratorINS8_10device_ptrIiEEEESD_jNS1_19radix_merge_compareILb0ELb1EiNS0_19identity_decomposerEEEEE10hipError_tT0_T1_T2_jT3_P12ihipStream_tbPNSt15iterator_traitsISI_E10value_typeEPNSO_ISJ_E10value_typeEPSK_NS1_7vsmem_tEENKUlT_SI_SJ_SK_E_clISD_PiSD_S10_EESH_SX_SI_SJ_SK_EUlSX_E_NS1_11comp_targetILNS1_3genE4ELNS1_11target_archE910ELNS1_3gpuE8ELNS1_3repE0EEENS1_48merge_mergepath_partition_config_static_selectorELNS0_4arch9wavefront6targetE1EEEvSJ_.kd
    .uniform_work_group_size: 1
    .uses_dynamic_stack: false
    .vgpr_count:     0
    .vgpr_spill_count: 0
    .wavefront_size: 64
  - .agpr_count:     0
    .args:
      - .offset:         0
        .size:           40
        .value_kind:     by_value
    .group_segment_fixed_size: 0
    .kernarg_segment_align: 8
    .kernarg_segment_size: 40
    .language:       OpenCL C
    .language_version:
      - 2
      - 0
    .max_flat_workgroup_size: 128
    .name:           _ZN7rocprim17ROCPRIM_400000_NS6detail17trampoline_kernelINS0_14default_configENS1_38merge_sort_block_merge_config_selectorIiiEEZZNS1_27merge_sort_block_merge_implIS3_N6thrust23THRUST_200600_302600_NS6detail15normal_iteratorINS8_10device_ptrIiEEEESD_jNS1_19radix_merge_compareILb0ELb1EiNS0_19identity_decomposerEEEEE10hipError_tT0_T1_T2_jT3_P12ihipStream_tbPNSt15iterator_traitsISI_E10value_typeEPNSO_ISJ_E10value_typeEPSK_NS1_7vsmem_tEENKUlT_SI_SJ_SK_E_clISD_PiSD_S10_EESH_SX_SI_SJ_SK_EUlSX_E_NS1_11comp_targetILNS1_3genE3ELNS1_11target_archE908ELNS1_3gpuE7ELNS1_3repE0EEENS1_48merge_mergepath_partition_config_static_selectorELNS0_4arch9wavefront6targetE1EEEvSJ_
    .private_segment_fixed_size: 0
    .sgpr_count:     6
    .sgpr_spill_count: 0
    .symbol:         _ZN7rocprim17ROCPRIM_400000_NS6detail17trampoline_kernelINS0_14default_configENS1_38merge_sort_block_merge_config_selectorIiiEEZZNS1_27merge_sort_block_merge_implIS3_N6thrust23THRUST_200600_302600_NS6detail15normal_iteratorINS8_10device_ptrIiEEEESD_jNS1_19radix_merge_compareILb0ELb1EiNS0_19identity_decomposerEEEEE10hipError_tT0_T1_T2_jT3_P12ihipStream_tbPNSt15iterator_traitsISI_E10value_typeEPNSO_ISJ_E10value_typeEPSK_NS1_7vsmem_tEENKUlT_SI_SJ_SK_E_clISD_PiSD_S10_EESH_SX_SI_SJ_SK_EUlSX_E_NS1_11comp_targetILNS1_3genE3ELNS1_11target_archE908ELNS1_3gpuE7ELNS1_3repE0EEENS1_48merge_mergepath_partition_config_static_selectorELNS0_4arch9wavefront6targetE1EEEvSJ_.kd
    .uniform_work_group_size: 1
    .uses_dynamic_stack: false
    .vgpr_count:     0
    .vgpr_spill_count: 0
    .wavefront_size: 64
  - .agpr_count:     0
    .args:
      - .offset:         0
        .size:           40
        .value_kind:     by_value
    .group_segment_fixed_size: 0
    .kernarg_segment_align: 8
    .kernarg_segment_size: 40
    .language:       OpenCL C
    .language_version:
      - 2
      - 0
    .max_flat_workgroup_size: 128
    .name:           _ZN7rocprim17ROCPRIM_400000_NS6detail17trampoline_kernelINS0_14default_configENS1_38merge_sort_block_merge_config_selectorIiiEEZZNS1_27merge_sort_block_merge_implIS3_N6thrust23THRUST_200600_302600_NS6detail15normal_iteratorINS8_10device_ptrIiEEEESD_jNS1_19radix_merge_compareILb0ELb1EiNS0_19identity_decomposerEEEEE10hipError_tT0_T1_T2_jT3_P12ihipStream_tbPNSt15iterator_traitsISI_E10value_typeEPNSO_ISJ_E10value_typeEPSK_NS1_7vsmem_tEENKUlT_SI_SJ_SK_E_clISD_PiSD_S10_EESH_SX_SI_SJ_SK_EUlSX_E_NS1_11comp_targetILNS1_3genE2ELNS1_11target_archE906ELNS1_3gpuE6ELNS1_3repE0EEENS1_48merge_mergepath_partition_config_static_selectorELNS0_4arch9wavefront6targetE1EEEvSJ_
    .private_segment_fixed_size: 0
    .sgpr_count:     6
    .sgpr_spill_count: 0
    .symbol:         _ZN7rocprim17ROCPRIM_400000_NS6detail17trampoline_kernelINS0_14default_configENS1_38merge_sort_block_merge_config_selectorIiiEEZZNS1_27merge_sort_block_merge_implIS3_N6thrust23THRUST_200600_302600_NS6detail15normal_iteratorINS8_10device_ptrIiEEEESD_jNS1_19radix_merge_compareILb0ELb1EiNS0_19identity_decomposerEEEEE10hipError_tT0_T1_T2_jT3_P12ihipStream_tbPNSt15iterator_traitsISI_E10value_typeEPNSO_ISJ_E10value_typeEPSK_NS1_7vsmem_tEENKUlT_SI_SJ_SK_E_clISD_PiSD_S10_EESH_SX_SI_SJ_SK_EUlSX_E_NS1_11comp_targetILNS1_3genE2ELNS1_11target_archE906ELNS1_3gpuE6ELNS1_3repE0EEENS1_48merge_mergepath_partition_config_static_selectorELNS0_4arch9wavefront6targetE1EEEvSJ_.kd
    .uniform_work_group_size: 1
    .uses_dynamic_stack: false
    .vgpr_count:     0
    .vgpr_spill_count: 0
    .wavefront_size: 64
  - .agpr_count:     0
    .args:
      - .offset:         0
        .size:           40
        .value_kind:     by_value
    .group_segment_fixed_size: 0
    .kernarg_segment_align: 8
    .kernarg_segment_size: 40
    .language:       OpenCL C
    .language_version:
      - 2
      - 0
    .max_flat_workgroup_size: 128
    .name:           _ZN7rocprim17ROCPRIM_400000_NS6detail17trampoline_kernelINS0_14default_configENS1_38merge_sort_block_merge_config_selectorIiiEEZZNS1_27merge_sort_block_merge_implIS3_N6thrust23THRUST_200600_302600_NS6detail15normal_iteratorINS8_10device_ptrIiEEEESD_jNS1_19radix_merge_compareILb0ELb1EiNS0_19identity_decomposerEEEEE10hipError_tT0_T1_T2_jT3_P12ihipStream_tbPNSt15iterator_traitsISI_E10value_typeEPNSO_ISJ_E10value_typeEPSK_NS1_7vsmem_tEENKUlT_SI_SJ_SK_E_clISD_PiSD_S10_EESH_SX_SI_SJ_SK_EUlSX_E_NS1_11comp_targetILNS1_3genE9ELNS1_11target_archE1100ELNS1_3gpuE3ELNS1_3repE0EEENS1_48merge_mergepath_partition_config_static_selectorELNS0_4arch9wavefront6targetE1EEEvSJ_
    .private_segment_fixed_size: 0
    .sgpr_count:     6
    .sgpr_spill_count: 0
    .symbol:         _ZN7rocprim17ROCPRIM_400000_NS6detail17trampoline_kernelINS0_14default_configENS1_38merge_sort_block_merge_config_selectorIiiEEZZNS1_27merge_sort_block_merge_implIS3_N6thrust23THRUST_200600_302600_NS6detail15normal_iteratorINS8_10device_ptrIiEEEESD_jNS1_19radix_merge_compareILb0ELb1EiNS0_19identity_decomposerEEEEE10hipError_tT0_T1_T2_jT3_P12ihipStream_tbPNSt15iterator_traitsISI_E10value_typeEPNSO_ISJ_E10value_typeEPSK_NS1_7vsmem_tEENKUlT_SI_SJ_SK_E_clISD_PiSD_S10_EESH_SX_SI_SJ_SK_EUlSX_E_NS1_11comp_targetILNS1_3genE9ELNS1_11target_archE1100ELNS1_3gpuE3ELNS1_3repE0EEENS1_48merge_mergepath_partition_config_static_selectorELNS0_4arch9wavefront6targetE1EEEvSJ_.kd
    .uniform_work_group_size: 1
    .uses_dynamic_stack: false
    .vgpr_count:     0
    .vgpr_spill_count: 0
    .wavefront_size: 64
  - .agpr_count:     0
    .args:
      - .offset:         0
        .size:           40
        .value_kind:     by_value
    .group_segment_fixed_size: 0
    .kernarg_segment_align: 8
    .kernarg_segment_size: 40
    .language:       OpenCL C
    .language_version:
      - 2
      - 0
    .max_flat_workgroup_size: 128
    .name:           _ZN7rocprim17ROCPRIM_400000_NS6detail17trampoline_kernelINS0_14default_configENS1_38merge_sort_block_merge_config_selectorIiiEEZZNS1_27merge_sort_block_merge_implIS3_N6thrust23THRUST_200600_302600_NS6detail15normal_iteratorINS8_10device_ptrIiEEEESD_jNS1_19radix_merge_compareILb0ELb1EiNS0_19identity_decomposerEEEEE10hipError_tT0_T1_T2_jT3_P12ihipStream_tbPNSt15iterator_traitsISI_E10value_typeEPNSO_ISJ_E10value_typeEPSK_NS1_7vsmem_tEENKUlT_SI_SJ_SK_E_clISD_PiSD_S10_EESH_SX_SI_SJ_SK_EUlSX_E_NS1_11comp_targetILNS1_3genE8ELNS1_11target_archE1030ELNS1_3gpuE2ELNS1_3repE0EEENS1_48merge_mergepath_partition_config_static_selectorELNS0_4arch9wavefront6targetE1EEEvSJ_
    .private_segment_fixed_size: 0
    .sgpr_count:     6
    .sgpr_spill_count: 0
    .symbol:         _ZN7rocprim17ROCPRIM_400000_NS6detail17trampoline_kernelINS0_14default_configENS1_38merge_sort_block_merge_config_selectorIiiEEZZNS1_27merge_sort_block_merge_implIS3_N6thrust23THRUST_200600_302600_NS6detail15normal_iteratorINS8_10device_ptrIiEEEESD_jNS1_19radix_merge_compareILb0ELb1EiNS0_19identity_decomposerEEEEE10hipError_tT0_T1_T2_jT3_P12ihipStream_tbPNSt15iterator_traitsISI_E10value_typeEPNSO_ISJ_E10value_typeEPSK_NS1_7vsmem_tEENKUlT_SI_SJ_SK_E_clISD_PiSD_S10_EESH_SX_SI_SJ_SK_EUlSX_E_NS1_11comp_targetILNS1_3genE8ELNS1_11target_archE1030ELNS1_3gpuE2ELNS1_3repE0EEENS1_48merge_mergepath_partition_config_static_selectorELNS0_4arch9wavefront6targetE1EEEvSJ_.kd
    .uniform_work_group_size: 1
    .uses_dynamic_stack: false
    .vgpr_count:     0
    .vgpr_spill_count: 0
    .wavefront_size: 64
  - .agpr_count:     0
    .args:
      - .offset:         0
        .size:           64
        .value_kind:     by_value
      - .offset:         64
        .size:           4
        .value_kind:     hidden_block_count_x
      - .offset:         68
        .size:           4
        .value_kind:     hidden_block_count_y
      - .offset:         72
        .size:           4
        .value_kind:     hidden_block_count_z
      - .offset:         76
        .size:           2
        .value_kind:     hidden_group_size_x
      - .offset:         78
        .size:           2
        .value_kind:     hidden_group_size_y
      - .offset:         80
        .size:           2
        .value_kind:     hidden_group_size_z
      - .offset:         82
        .size:           2
        .value_kind:     hidden_remainder_x
      - .offset:         84
        .size:           2
        .value_kind:     hidden_remainder_y
      - .offset:         86
        .size:           2
        .value_kind:     hidden_remainder_z
      - .offset:         104
        .size:           8
        .value_kind:     hidden_global_offset_x
      - .offset:         112
        .size:           8
        .value_kind:     hidden_global_offset_y
      - .offset:         120
        .size:           8
        .value_kind:     hidden_global_offset_z
      - .offset:         128
        .size:           2
        .value_kind:     hidden_grid_dims
    .group_segment_fixed_size: 4224
    .kernarg_segment_align: 8
    .kernarg_segment_size: 320
    .language:       OpenCL C
    .language_version:
      - 2
      - 0
    .max_flat_workgroup_size: 256
    .name:           _ZN7rocprim17ROCPRIM_400000_NS6detail17trampoline_kernelINS0_14default_configENS1_38merge_sort_block_merge_config_selectorIiiEEZZNS1_27merge_sort_block_merge_implIS3_N6thrust23THRUST_200600_302600_NS6detail15normal_iteratorINS8_10device_ptrIiEEEESD_jNS1_19radix_merge_compareILb0ELb1EiNS0_19identity_decomposerEEEEE10hipError_tT0_T1_T2_jT3_P12ihipStream_tbPNSt15iterator_traitsISI_E10value_typeEPNSO_ISJ_E10value_typeEPSK_NS1_7vsmem_tEENKUlT_SI_SJ_SK_E_clISD_PiSD_S10_EESH_SX_SI_SJ_SK_EUlSX_E0_NS1_11comp_targetILNS1_3genE0ELNS1_11target_archE4294967295ELNS1_3gpuE0ELNS1_3repE0EEENS1_38merge_mergepath_config_static_selectorELNS0_4arch9wavefront6targetE1EEEvSJ_
    .private_segment_fixed_size: 0
    .sgpr_count:     37
    .sgpr_spill_count: 0
    .symbol:         _ZN7rocprim17ROCPRIM_400000_NS6detail17trampoline_kernelINS0_14default_configENS1_38merge_sort_block_merge_config_selectorIiiEEZZNS1_27merge_sort_block_merge_implIS3_N6thrust23THRUST_200600_302600_NS6detail15normal_iteratorINS8_10device_ptrIiEEEESD_jNS1_19radix_merge_compareILb0ELb1EiNS0_19identity_decomposerEEEEE10hipError_tT0_T1_T2_jT3_P12ihipStream_tbPNSt15iterator_traitsISI_E10value_typeEPNSO_ISJ_E10value_typeEPSK_NS1_7vsmem_tEENKUlT_SI_SJ_SK_E_clISD_PiSD_S10_EESH_SX_SI_SJ_SK_EUlSX_E0_NS1_11comp_targetILNS1_3genE0ELNS1_11target_archE4294967295ELNS1_3gpuE0ELNS1_3repE0EEENS1_38merge_mergepath_config_static_selectorELNS0_4arch9wavefront6targetE1EEEvSJ_.kd
    .uniform_work_group_size: 1
    .uses_dynamic_stack: false
    .vgpr_count:     21
    .vgpr_spill_count: 0
    .wavefront_size: 64
  - .agpr_count:     0
    .args:
      - .offset:         0
        .size:           64
        .value_kind:     by_value
    .group_segment_fixed_size: 0
    .kernarg_segment_align: 8
    .kernarg_segment_size: 64
    .language:       OpenCL C
    .language_version:
      - 2
      - 0
    .max_flat_workgroup_size: 256
    .name:           _ZN7rocprim17ROCPRIM_400000_NS6detail17trampoline_kernelINS0_14default_configENS1_38merge_sort_block_merge_config_selectorIiiEEZZNS1_27merge_sort_block_merge_implIS3_N6thrust23THRUST_200600_302600_NS6detail15normal_iteratorINS8_10device_ptrIiEEEESD_jNS1_19radix_merge_compareILb0ELb1EiNS0_19identity_decomposerEEEEE10hipError_tT0_T1_T2_jT3_P12ihipStream_tbPNSt15iterator_traitsISI_E10value_typeEPNSO_ISJ_E10value_typeEPSK_NS1_7vsmem_tEENKUlT_SI_SJ_SK_E_clISD_PiSD_S10_EESH_SX_SI_SJ_SK_EUlSX_E0_NS1_11comp_targetILNS1_3genE10ELNS1_11target_archE1201ELNS1_3gpuE5ELNS1_3repE0EEENS1_38merge_mergepath_config_static_selectorELNS0_4arch9wavefront6targetE1EEEvSJ_
    .private_segment_fixed_size: 0
    .sgpr_count:     6
    .sgpr_spill_count: 0
    .symbol:         _ZN7rocprim17ROCPRIM_400000_NS6detail17trampoline_kernelINS0_14default_configENS1_38merge_sort_block_merge_config_selectorIiiEEZZNS1_27merge_sort_block_merge_implIS3_N6thrust23THRUST_200600_302600_NS6detail15normal_iteratorINS8_10device_ptrIiEEEESD_jNS1_19radix_merge_compareILb0ELb1EiNS0_19identity_decomposerEEEEE10hipError_tT0_T1_T2_jT3_P12ihipStream_tbPNSt15iterator_traitsISI_E10value_typeEPNSO_ISJ_E10value_typeEPSK_NS1_7vsmem_tEENKUlT_SI_SJ_SK_E_clISD_PiSD_S10_EESH_SX_SI_SJ_SK_EUlSX_E0_NS1_11comp_targetILNS1_3genE10ELNS1_11target_archE1201ELNS1_3gpuE5ELNS1_3repE0EEENS1_38merge_mergepath_config_static_selectorELNS0_4arch9wavefront6targetE1EEEvSJ_.kd
    .uniform_work_group_size: 1
    .uses_dynamic_stack: false
    .vgpr_count:     0
    .vgpr_spill_count: 0
    .wavefront_size: 64
  - .agpr_count:     0
    .args:
      - .offset:         0
        .size:           64
        .value_kind:     by_value
    .group_segment_fixed_size: 0
    .kernarg_segment_align: 8
    .kernarg_segment_size: 64
    .language:       OpenCL C
    .language_version:
      - 2
      - 0
    .max_flat_workgroup_size: 128
    .name:           _ZN7rocprim17ROCPRIM_400000_NS6detail17trampoline_kernelINS0_14default_configENS1_38merge_sort_block_merge_config_selectorIiiEEZZNS1_27merge_sort_block_merge_implIS3_N6thrust23THRUST_200600_302600_NS6detail15normal_iteratorINS8_10device_ptrIiEEEESD_jNS1_19radix_merge_compareILb0ELb1EiNS0_19identity_decomposerEEEEE10hipError_tT0_T1_T2_jT3_P12ihipStream_tbPNSt15iterator_traitsISI_E10value_typeEPNSO_ISJ_E10value_typeEPSK_NS1_7vsmem_tEENKUlT_SI_SJ_SK_E_clISD_PiSD_S10_EESH_SX_SI_SJ_SK_EUlSX_E0_NS1_11comp_targetILNS1_3genE5ELNS1_11target_archE942ELNS1_3gpuE9ELNS1_3repE0EEENS1_38merge_mergepath_config_static_selectorELNS0_4arch9wavefront6targetE1EEEvSJ_
    .private_segment_fixed_size: 0
    .sgpr_count:     6
    .sgpr_spill_count: 0
    .symbol:         _ZN7rocprim17ROCPRIM_400000_NS6detail17trampoline_kernelINS0_14default_configENS1_38merge_sort_block_merge_config_selectorIiiEEZZNS1_27merge_sort_block_merge_implIS3_N6thrust23THRUST_200600_302600_NS6detail15normal_iteratorINS8_10device_ptrIiEEEESD_jNS1_19radix_merge_compareILb0ELb1EiNS0_19identity_decomposerEEEEE10hipError_tT0_T1_T2_jT3_P12ihipStream_tbPNSt15iterator_traitsISI_E10value_typeEPNSO_ISJ_E10value_typeEPSK_NS1_7vsmem_tEENKUlT_SI_SJ_SK_E_clISD_PiSD_S10_EESH_SX_SI_SJ_SK_EUlSX_E0_NS1_11comp_targetILNS1_3genE5ELNS1_11target_archE942ELNS1_3gpuE9ELNS1_3repE0EEENS1_38merge_mergepath_config_static_selectorELNS0_4arch9wavefront6targetE1EEEvSJ_.kd
    .uniform_work_group_size: 1
    .uses_dynamic_stack: false
    .vgpr_count:     0
    .vgpr_spill_count: 0
    .wavefront_size: 64
  - .agpr_count:     0
    .args:
      - .offset:         0
        .size:           64
        .value_kind:     by_value
    .group_segment_fixed_size: 0
    .kernarg_segment_align: 8
    .kernarg_segment_size: 64
    .language:       OpenCL C
    .language_version:
      - 2
      - 0
    .max_flat_workgroup_size: 256
    .name:           _ZN7rocprim17ROCPRIM_400000_NS6detail17trampoline_kernelINS0_14default_configENS1_38merge_sort_block_merge_config_selectorIiiEEZZNS1_27merge_sort_block_merge_implIS3_N6thrust23THRUST_200600_302600_NS6detail15normal_iteratorINS8_10device_ptrIiEEEESD_jNS1_19radix_merge_compareILb0ELb1EiNS0_19identity_decomposerEEEEE10hipError_tT0_T1_T2_jT3_P12ihipStream_tbPNSt15iterator_traitsISI_E10value_typeEPNSO_ISJ_E10value_typeEPSK_NS1_7vsmem_tEENKUlT_SI_SJ_SK_E_clISD_PiSD_S10_EESH_SX_SI_SJ_SK_EUlSX_E0_NS1_11comp_targetILNS1_3genE4ELNS1_11target_archE910ELNS1_3gpuE8ELNS1_3repE0EEENS1_38merge_mergepath_config_static_selectorELNS0_4arch9wavefront6targetE1EEEvSJ_
    .private_segment_fixed_size: 0
    .sgpr_count:     6
    .sgpr_spill_count: 0
    .symbol:         _ZN7rocprim17ROCPRIM_400000_NS6detail17trampoline_kernelINS0_14default_configENS1_38merge_sort_block_merge_config_selectorIiiEEZZNS1_27merge_sort_block_merge_implIS3_N6thrust23THRUST_200600_302600_NS6detail15normal_iteratorINS8_10device_ptrIiEEEESD_jNS1_19radix_merge_compareILb0ELb1EiNS0_19identity_decomposerEEEEE10hipError_tT0_T1_T2_jT3_P12ihipStream_tbPNSt15iterator_traitsISI_E10value_typeEPNSO_ISJ_E10value_typeEPSK_NS1_7vsmem_tEENKUlT_SI_SJ_SK_E_clISD_PiSD_S10_EESH_SX_SI_SJ_SK_EUlSX_E0_NS1_11comp_targetILNS1_3genE4ELNS1_11target_archE910ELNS1_3gpuE8ELNS1_3repE0EEENS1_38merge_mergepath_config_static_selectorELNS0_4arch9wavefront6targetE1EEEvSJ_.kd
    .uniform_work_group_size: 1
    .uses_dynamic_stack: false
    .vgpr_count:     0
    .vgpr_spill_count: 0
    .wavefront_size: 64
  - .agpr_count:     0
    .args:
      - .offset:         0
        .size:           64
        .value_kind:     by_value
    .group_segment_fixed_size: 0
    .kernarg_segment_align: 8
    .kernarg_segment_size: 64
    .language:       OpenCL C
    .language_version:
      - 2
      - 0
    .max_flat_workgroup_size: 256
    .name:           _ZN7rocprim17ROCPRIM_400000_NS6detail17trampoline_kernelINS0_14default_configENS1_38merge_sort_block_merge_config_selectorIiiEEZZNS1_27merge_sort_block_merge_implIS3_N6thrust23THRUST_200600_302600_NS6detail15normal_iteratorINS8_10device_ptrIiEEEESD_jNS1_19radix_merge_compareILb0ELb1EiNS0_19identity_decomposerEEEEE10hipError_tT0_T1_T2_jT3_P12ihipStream_tbPNSt15iterator_traitsISI_E10value_typeEPNSO_ISJ_E10value_typeEPSK_NS1_7vsmem_tEENKUlT_SI_SJ_SK_E_clISD_PiSD_S10_EESH_SX_SI_SJ_SK_EUlSX_E0_NS1_11comp_targetILNS1_3genE3ELNS1_11target_archE908ELNS1_3gpuE7ELNS1_3repE0EEENS1_38merge_mergepath_config_static_selectorELNS0_4arch9wavefront6targetE1EEEvSJ_
    .private_segment_fixed_size: 0
    .sgpr_count:     6
    .sgpr_spill_count: 0
    .symbol:         _ZN7rocprim17ROCPRIM_400000_NS6detail17trampoline_kernelINS0_14default_configENS1_38merge_sort_block_merge_config_selectorIiiEEZZNS1_27merge_sort_block_merge_implIS3_N6thrust23THRUST_200600_302600_NS6detail15normal_iteratorINS8_10device_ptrIiEEEESD_jNS1_19radix_merge_compareILb0ELb1EiNS0_19identity_decomposerEEEEE10hipError_tT0_T1_T2_jT3_P12ihipStream_tbPNSt15iterator_traitsISI_E10value_typeEPNSO_ISJ_E10value_typeEPSK_NS1_7vsmem_tEENKUlT_SI_SJ_SK_E_clISD_PiSD_S10_EESH_SX_SI_SJ_SK_EUlSX_E0_NS1_11comp_targetILNS1_3genE3ELNS1_11target_archE908ELNS1_3gpuE7ELNS1_3repE0EEENS1_38merge_mergepath_config_static_selectorELNS0_4arch9wavefront6targetE1EEEvSJ_.kd
    .uniform_work_group_size: 1
    .uses_dynamic_stack: false
    .vgpr_count:     0
    .vgpr_spill_count: 0
    .wavefront_size: 64
  - .agpr_count:     0
    .args:
      - .offset:         0
        .size:           64
        .value_kind:     by_value
    .group_segment_fixed_size: 0
    .kernarg_segment_align: 8
    .kernarg_segment_size: 64
    .language:       OpenCL C
    .language_version:
      - 2
      - 0
    .max_flat_workgroup_size: 256
    .name:           _ZN7rocprim17ROCPRIM_400000_NS6detail17trampoline_kernelINS0_14default_configENS1_38merge_sort_block_merge_config_selectorIiiEEZZNS1_27merge_sort_block_merge_implIS3_N6thrust23THRUST_200600_302600_NS6detail15normal_iteratorINS8_10device_ptrIiEEEESD_jNS1_19radix_merge_compareILb0ELb1EiNS0_19identity_decomposerEEEEE10hipError_tT0_T1_T2_jT3_P12ihipStream_tbPNSt15iterator_traitsISI_E10value_typeEPNSO_ISJ_E10value_typeEPSK_NS1_7vsmem_tEENKUlT_SI_SJ_SK_E_clISD_PiSD_S10_EESH_SX_SI_SJ_SK_EUlSX_E0_NS1_11comp_targetILNS1_3genE2ELNS1_11target_archE906ELNS1_3gpuE6ELNS1_3repE0EEENS1_38merge_mergepath_config_static_selectorELNS0_4arch9wavefront6targetE1EEEvSJ_
    .private_segment_fixed_size: 0
    .sgpr_count:     6
    .sgpr_spill_count: 0
    .symbol:         _ZN7rocprim17ROCPRIM_400000_NS6detail17trampoline_kernelINS0_14default_configENS1_38merge_sort_block_merge_config_selectorIiiEEZZNS1_27merge_sort_block_merge_implIS3_N6thrust23THRUST_200600_302600_NS6detail15normal_iteratorINS8_10device_ptrIiEEEESD_jNS1_19radix_merge_compareILb0ELb1EiNS0_19identity_decomposerEEEEE10hipError_tT0_T1_T2_jT3_P12ihipStream_tbPNSt15iterator_traitsISI_E10value_typeEPNSO_ISJ_E10value_typeEPSK_NS1_7vsmem_tEENKUlT_SI_SJ_SK_E_clISD_PiSD_S10_EESH_SX_SI_SJ_SK_EUlSX_E0_NS1_11comp_targetILNS1_3genE2ELNS1_11target_archE906ELNS1_3gpuE6ELNS1_3repE0EEENS1_38merge_mergepath_config_static_selectorELNS0_4arch9wavefront6targetE1EEEvSJ_.kd
    .uniform_work_group_size: 1
    .uses_dynamic_stack: false
    .vgpr_count:     0
    .vgpr_spill_count: 0
    .wavefront_size: 64
  - .agpr_count:     0
    .args:
      - .offset:         0
        .size:           64
        .value_kind:     by_value
    .group_segment_fixed_size: 0
    .kernarg_segment_align: 8
    .kernarg_segment_size: 64
    .language:       OpenCL C
    .language_version:
      - 2
      - 0
    .max_flat_workgroup_size: 512
    .name:           _ZN7rocprim17ROCPRIM_400000_NS6detail17trampoline_kernelINS0_14default_configENS1_38merge_sort_block_merge_config_selectorIiiEEZZNS1_27merge_sort_block_merge_implIS3_N6thrust23THRUST_200600_302600_NS6detail15normal_iteratorINS8_10device_ptrIiEEEESD_jNS1_19radix_merge_compareILb0ELb1EiNS0_19identity_decomposerEEEEE10hipError_tT0_T1_T2_jT3_P12ihipStream_tbPNSt15iterator_traitsISI_E10value_typeEPNSO_ISJ_E10value_typeEPSK_NS1_7vsmem_tEENKUlT_SI_SJ_SK_E_clISD_PiSD_S10_EESH_SX_SI_SJ_SK_EUlSX_E0_NS1_11comp_targetILNS1_3genE9ELNS1_11target_archE1100ELNS1_3gpuE3ELNS1_3repE0EEENS1_38merge_mergepath_config_static_selectorELNS0_4arch9wavefront6targetE1EEEvSJ_
    .private_segment_fixed_size: 0
    .sgpr_count:     6
    .sgpr_spill_count: 0
    .symbol:         _ZN7rocprim17ROCPRIM_400000_NS6detail17trampoline_kernelINS0_14default_configENS1_38merge_sort_block_merge_config_selectorIiiEEZZNS1_27merge_sort_block_merge_implIS3_N6thrust23THRUST_200600_302600_NS6detail15normal_iteratorINS8_10device_ptrIiEEEESD_jNS1_19radix_merge_compareILb0ELb1EiNS0_19identity_decomposerEEEEE10hipError_tT0_T1_T2_jT3_P12ihipStream_tbPNSt15iterator_traitsISI_E10value_typeEPNSO_ISJ_E10value_typeEPSK_NS1_7vsmem_tEENKUlT_SI_SJ_SK_E_clISD_PiSD_S10_EESH_SX_SI_SJ_SK_EUlSX_E0_NS1_11comp_targetILNS1_3genE9ELNS1_11target_archE1100ELNS1_3gpuE3ELNS1_3repE0EEENS1_38merge_mergepath_config_static_selectorELNS0_4arch9wavefront6targetE1EEEvSJ_.kd
    .uniform_work_group_size: 1
    .uses_dynamic_stack: false
    .vgpr_count:     0
    .vgpr_spill_count: 0
    .wavefront_size: 64
  - .agpr_count:     0
    .args:
      - .offset:         0
        .size:           64
        .value_kind:     by_value
    .group_segment_fixed_size: 0
    .kernarg_segment_align: 8
    .kernarg_segment_size: 64
    .language:       OpenCL C
    .language_version:
      - 2
      - 0
    .max_flat_workgroup_size: 1024
    .name:           _ZN7rocprim17ROCPRIM_400000_NS6detail17trampoline_kernelINS0_14default_configENS1_38merge_sort_block_merge_config_selectorIiiEEZZNS1_27merge_sort_block_merge_implIS3_N6thrust23THRUST_200600_302600_NS6detail15normal_iteratorINS8_10device_ptrIiEEEESD_jNS1_19radix_merge_compareILb0ELb1EiNS0_19identity_decomposerEEEEE10hipError_tT0_T1_T2_jT3_P12ihipStream_tbPNSt15iterator_traitsISI_E10value_typeEPNSO_ISJ_E10value_typeEPSK_NS1_7vsmem_tEENKUlT_SI_SJ_SK_E_clISD_PiSD_S10_EESH_SX_SI_SJ_SK_EUlSX_E0_NS1_11comp_targetILNS1_3genE8ELNS1_11target_archE1030ELNS1_3gpuE2ELNS1_3repE0EEENS1_38merge_mergepath_config_static_selectorELNS0_4arch9wavefront6targetE1EEEvSJ_
    .private_segment_fixed_size: 0
    .sgpr_count:     6
    .sgpr_spill_count: 0
    .symbol:         _ZN7rocprim17ROCPRIM_400000_NS6detail17trampoline_kernelINS0_14default_configENS1_38merge_sort_block_merge_config_selectorIiiEEZZNS1_27merge_sort_block_merge_implIS3_N6thrust23THRUST_200600_302600_NS6detail15normal_iteratorINS8_10device_ptrIiEEEESD_jNS1_19radix_merge_compareILb0ELb1EiNS0_19identity_decomposerEEEEE10hipError_tT0_T1_T2_jT3_P12ihipStream_tbPNSt15iterator_traitsISI_E10value_typeEPNSO_ISJ_E10value_typeEPSK_NS1_7vsmem_tEENKUlT_SI_SJ_SK_E_clISD_PiSD_S10_EESH_SX_SI_SJ_SK_EUlSX_E0_NS1_11comp_targetILNS1_3genE8ELNS1_11target_archE1030ELNS1_3gpuE2ELNS1_3repE0EEENS1_38merge_mergepath_config_static_selectorELNS0_4arch9wavefront6targetE1EEEvSJ_.kd
    .uniform_work_group_size: 1
    .uses_dynamic_stack: false
    .vgpr_count:     0
    .vgpr_spill_count: 0
    .wavefront_size: 64
  - .agpr_count:     0
    .args:
      - .offset:         0
        .size:           48
        .value_kind:     by_value
    .group_segment_fixed_size: 0
    .kernarg_segment_align: 8
    .kernarg_segment_size: 48
    .language:       OpenCL C
    .language_version:
      - 2
      - 0
    .max_flat_workgroup_size: 256
    .name:           _ZN7rocprim17ROCPRIM_400000_NS6detail17trampoline_kernelINS0_14default_configENS1_38merge_sort_block_merge_config_selectorIiiEEZZNS1_27merge_sort_block_merge_implIS3_N6thrust23THRUST_200600_302600_NS6detail15normal_iteratorINS8_10device_ptrIiEEEESD_jNS1_19radix_merge_compareILb0ELb1EiNS0_19identity_decomposerEEEEE10hipError_tT0_T1_T2_jT3_P12ihipStream_tbPNSt15iterator_traitsISI_E10value_typeEPNSO_ISJ_E10value_typeEPSK_NS1_7vsmem_tEENKUlT_SI_SJ_SK_E_clISD_PiSD_S10_EESH_SX_SI_SJ_SK_EUlSX_E1_NS1_11comp_targetILNS1_3genE0ELNS1_11target_archE4294967295ELNS1_3gpuE0ELNS1_3repE0EEENS1_36merge_oddeven_config_static_selectorELNS0_4arch9wavefront6targetE1EEEvSJ_
    .private_segment_fixed_size: 0
    .sgpr_count:     30
    .sgpr_spill_count: 0
    .symbol:         _ZN7rocprim17ROCPRIM_400000_NS6detail17trampoline_kernelINS0_14default_configENS1_38merge_sort_block_merge_config_selectorIiiEEZZNS1_27merge_sort_block_merge_implIS3_N6thrust23THRUST_200600_302600_NS6detail15normal_iteratorINS8_10device_ptrIiEEEESD_jNS1_19radix_merge_compareILb0ELb1EiNS0_19identity_decomposerEEEEE10hipError_tT0_T1_T2_jT3_P12ihipStream_tbPNSt15iterator_traitsISI_E10value_typeEPNSO_ISJ_E10value_typeEPSK_NS1_7vsmem_tEENKUlT_SI_SJ_SK_E_clISD_PiSD_S10_EESH_SX_SI_SJ_SK_EUlSX_E1_NS1_11comp_targetILNS1_3genE0ELNS1_11target_archE4294967295ELNS1_3gpuE0ELNS1_3repE0EEENS1_36merge_oddeven_config_static_selectorELNS0_4arch9wavefront6targetE1EEEvSJ_.kd
    .uniform_work_group_size: 1
    .uses_dynamic_stack: false
    .vgpr_count:     11
    .vgpr_spill_count: 0
    .wavefront_size: 64
  - .agpr_count:     0
    .args:
      - .offset:         0
        .size:           48
        .value_kind:     by_value
    .group_segment_fixed_size: 0
    .kernarg_segment_align: 8
    .kernarg_segment_size: 48
    .language:       OpenCL C
    .language_version:
      - 2
      - 0
    .max_flat_workgroup_size: 256
    .name:           _ZN7rocprim17ROCPRIM_400000_NS6detail17trampoline_kernelINS0_14default_configENS1_38merge_sort_block_merge_config_selectorIiiEEZZNS1_27merge_sort_block_merge_implIS3_N6thrust23THRUST_200600_302600_NS6detail15normal_iteratorINS8_10device_ptrIiEEEESD_jNS1_19radix_merge_compareILb0ELb1EiNS0_19identity_decomposerEEEEE10hipError_tT0_T1_T2_jT3_P12ihipStream_tbPNSt15iterator_traitsISI_E10value_typeEPNSO_ISJ_E10value_typeEPSK_NS1_7vsmem_tEENKUlT_SI_SJ_SK_E_clISD_PiSD_S10_EESH_SX_SI_SJ_SK_EUlSX_E1_NS1_11comp_targetILNS1_3genE10ELNS1_11target_archE1201ELNS1_3gpuE5ELNS1_3repE0EEENS1_36merge_oddeven_config_static_selectorELNS0_4arch9wavefront6targetE1EEEvSJ_
    .private_segment_fixed_size: 0
    .sgpr_count:     6
    .sgpr_spill_count: 0
    .symbol:         _ZN7rocprim17ROCPRIM_400000_NS6detail17trampoline_kernelINS0_14default_configENS1_38merge_sort_block_merge_config_selectorIiiEEZZNS1_27merge_sort_block_merge_implIS3_N6thrust23THRUST_200600_302600_NS6detail15normal_iteratorINS8_10device_ptrIiEEEESD_jNS1_19radix_merge_compareILb0ELb1EiNS0_19identity_decomposerEEEEE10hipError_tT0_T1_T2_jT3_P12ihipStream_tbPNSt15iterator_traitsISI_E10value_typeEPNSO_ISJ_E10value_typeEPSK_NS1_7vsmem_tEENKUlT_SI_SJ_SK_E_clISD_PiSD_S10_EESH_SX_SI_SJ_SK_EUlSX_E1_NS1_11comp_targetILNS1_3genE10ELNS1_11target_archE1201ELNS1_3gpuE5ELNS1_3repE0EEENS1_36merge_oddeven_config_static_selectorELNS0_4arch9wavefront6targetE1EEEvSJ_.kd
    .uniform_work_group_size: 1
    .uses_dynamic_stack: false
    .vgpr_count:     0
    .vgpr_spill_count: 0
    .wavefront_size: 64
  - .agpr_count:     0
    .args:
      - .offset:         0
        .size:           48
        .value_kind:     by_value
    .group_segment_fixed_size: 0
    .kernarg_segment_align: 8
    .kernarg_segment_size: 48
    .language:       OpenCL C
    .language_version:
      - 2
      - 0
    .max_flat_workgroup_size: 256
    .name:           _ZN7rocprim17ROCPRIM_400000_NS6detail17trampoline_kernelINS0_14default_configENS1_38merge_sort_block_merge_config_selectorIiiEEZZNS1_27merge_sort_block_merge_implIS3_N6thrust23THRUST_200600_302600_NS6detail15normal_iteratorINS8_10device_ptrIiEEEESD_jNS1_19radix_merge_compareILb0ELb1EiNS0_19identity_decomposerEEEEE10hipError_tT0_T1_T2_jT3_P12ihipStream_tbPNSt15iterator_traitsISI_E10value_typeEPNSO_ISJ_E10value_typeEPSK_NS1_7vsmem_tEENKUlT_SI_SJ_SK_E_clISD_PiSD_S10_EESH_SX_SI_SJ_SK_EUlSX_E1_NS1_11comp_targetILNS1_3genE5ELNS1_11target_archE942ELNS1_3gpuE9ELNS1_3repE0EEENS1_36merge_oddeven_config_static_selectorELNS0_4arch9wavefront6targetE1EEEvSJ_
    .private_segment_fixed_size: 0
    .sgpr_count:     6
    .sgpr_spill_count: 0
    .symbol:         _ZN7rocprim17ROCPRIM_400000_NS6detail17trampoline_kernelINS0_14default_configENS1_38merge_sort_block_merge_config_selectorIiiEEZZNS1_27merge_sort_block_merge_implIS3_N6thrust23THRUST_200600_302600_NS6detail15normal_iteratorINS8_10device_ptrIiEEEESD_jNS1_19radix_merge_compareILb0ELb1EiNS0_19identity_decomposerEEEEE10hipError_tT0_T1_T2_jT3_P12ihipStream_tbPNSt15iterator_traitsISI_E10value_typeEPNSO_ISJ_E10value_typeEPSK_NS1_7vsmem_tEENKUlT_SI_SJ_SK_E_clISD_PiSD_S10_EESH_SX_SI_SJ_SK_EUlSX_E1_NS1_11comp_targetILNS1_3genE5ELNS1_11target_archE942ELNS1_3gpuE9ELNS1_3repE0EEENS1_36merge_oddeven_config_static_selectorELNS0_4arch9wavefront6targetE1EEEvSJ_.kd
    .uniform_work_group_size: 1
    .uses_dynamic_stack: false
    .vgpr_count:     0
    .vgpr_spill_count: 0
    .wavefront_size: 64
  - .agpr_count:     0
    .args:
      - .offset:         0
        .size:           48
        .value_kind:     by_value
    .group_segment_fixed_size: 0
    .kernarg_segment_align: 8
    .kernarg_segment_size: 48
    .language:       OpenCL C
    .language_version:
      - 2
      - 0
    .max_flat_workgroup_size: 256
    .name:           _ZN7rocprim17ROCPRIM_400000_NS6detail17trampoline_kernelINS0_14default_configENS1_38merge_sort_block_merge_config_selectorIiiEEZZNS1_27merge_sort_block_merge_implIS3_N6thrust23THRUST_200600_302600_NS6detail15normal_iteratorINS8_10device_ptrIiEEEESD_jNS1_19radix_merge_compareILb0ELb1EiNS0_19identity_decomposerEEEEE10hipError_tT0_T1_T2_jT3_P12ihipStream_tbPNSt15iterator_traitsISI_E10value_typeEPNSO_ISJ_E10value_typeEPSK_NS1_7vsmem_tEENKUlT_SI_SJ_SK_E_clISD_PiSD_S10_EESH_SX_SI_SJ_SK_EUlSX_E1_NS1_11comp_targetILNS1_3genE4ELNS1_11target_archE910ELNS1_3gpuE8ELNS1_3repE0EEENS1_36merge_oddeven_config_static_selectorELNS0_4arch9wavefront6targetE1EEEvSJ_
    .private_segment_fixed_size: 0
    .sgpr_count:     6
    .sgpr_spill_count: 0
    .symbol:         _ZN7rocprim17ROCPRIM_400000_NS6detail17trampoline_kernelINS0_14default_configENS1_38merge_sort_block_merge_config_selectorIiiEEZZNS1_27merge_sort_block_merge_implIS3_N6thrust23THRUST_200600_302600_NS6detail15normal_iteratorINS8_10device_ptrIiEEEESD_jNS1_19radix_merge_compareILb0ELb1EiNS0_19identity_decomposerEEEEE10hipError_tT0_T1_T2_jT3_P12ihipStream_tbPNSt15iterator_traitsISI_E10value_typeEPNSO_ISJ_E10value_typeEPSK_NS1_7vsmem_tEENKUlT_SI_SJ_SK_E_clISD_PiSD_S10_EESH_SX_SI_SJ_SK_EUlSX_E1_NS1_11comp_targetILNS1_3genE4ELNS1_11target_archE910ELNS1_3gpuE8ELNS1_3repE0EEENS1_36merge_oddeven_config_static_selectorELNS0_4arch9wavefront6targetE1EEEvSJ_.kd
    .uniform_work_group_size: 1
    .uses_dynamic_stack: false
    .vgpr_count:     0
    .vgpr_spill_count: 0
    .wavefront_size: 64
  - .agpr_count:     0
    .args:
      - .offset:         0
        .size:           48
        .value_kind:     by_value
    .group_segment_fixed_size: 0
    .kernarg_segment_align: 8
    .kernarg_segment_size: 48
    .language:       OpenCL C
    .language_version:
      - 2
      - 0
    .max_flat_workgroup_size: 256
    .name:           _ZN7rocprim17ROCPRIM_400000_NS6detail17trampoline_kernelINS0_14default_configENS1_38merge_sort_block_merge_config_selectorIiiEEZZNS1_27merge_sort_block_merge_implIS3_N6thrust23THRUST_200600_302600_NS6detail15normal_iteratorINS8_10device_ptrIiEEEESD_jNS1_19radix_merge_compareILb0ELb1EiNS0_19identity_decomposerEEEEE10hipError_tT0_T1_T2_jT3_P12ihipStream_tbPNSt15iterator_traitsISI_E10value_typeEPNSO_ISJ_E10value_typeEPSK_NS1_7vsmem_tEENKUlT_SI_SJ_SK_E_clISD_PiSD_S10_EESH_SX_SI_SJ_SK_EUlSX_E1_NS1_11comp_targetILNS1_3genE3ELNS1_11target_archE908ELNS1_3gpuE7ELNS1_3repE0EEENS1_36merge_oddeven_config_static_selectorELNS0_4arch9wavefront6targetE1EEEvSJ_
    .private_segment_fixed_size: 0
    .sgpr_count:     6
    .sgpr_spill_count: 0
    .symbol:         _ZN7rocprim17ROCPRIM_400000_NS6detail17trampoline_kernelINS0_14default_configENS1_38merge_sort_block_merge_config_selectorIiiEEZZNS1_27merge_sort_block_merge_implIS3_N6thrust23THRUST_200600_302600_NS6detail15normal_iteratorINS8_10device_ptrIiEEEESD_jNS1_19radix_merge_compareILb0ELb1EiNS0_19identity_decomposerEEEEE10hipError_tT0_T1_T2_jT3_P12ihipStream_tbPNSt15iterator_traitsISI_E10value_typeEPNSO_ISJ_E10value_typeEPSK_NS1_7vsmem_tEENKUlT_SI_SJ_SK_E_clISD_PiSD_S10_EESH_SX_SI_SJ_SK_EUlSX_E1_NS1_11comp_targetILNS1_3genE3ELNS1_11target_archE908ELNS1_3gpuE7ELNS1_3repE0EEENS1_36merge_oddeven_config_static_selectorELNS0_4arch9wavefront6targetE1EEEvSJ_.kd
    .uniform_work_group_size: 1
    .uses_dynamic_stack: false
    .vgpr_count:     0
    .vgpr_spill_count: 0
    .wavefront_size: 64
  - .agpr_count:     0
    .args:
      - .offset:         0
        .size:           48
        .value_kind:     by_value
    .group_segment_fixed_size: 0
    .kernarg_segment_align: 8
    .kernarg_segment_size: 48
    .language:       OpenCL C
    .language_version:
      - 2
      - 0
    .max_flat_workgroup_size: 256
    .name:           _ZN7rocprim17ROCPRIM_400000_NS6detail17trampoline_kernelINS0_14default_configENS1_38merge_sort_block_merge_config_selectorIiiEEZZNS1_27merge_sort_block_merge_implIS3_N6thrust23THRUST_200600_302600_NS6detail15normal_iteratorINS8_10device_ptrIiEEEESD_jNS1_19radix_merge_compareILb0ELb1EiNS0_19identity_decomposerEEEEE10hipError_tT0_T1_T2_jT3_P12ihipStream_tbPNSt15iterator_traitsISI_E10value_typeEPNSO_ISJ_E10value_typeEPSK_NS1_7vsmem_tEENKUlT_SI_SJ_SK_E_clISD_PiSD_S10_EESH_SX_SI_SJ_SK_EUlSX_E1_NS1_11comp_targetILNS1_3genE2ELNS1_11target_archE906ELNS1_3gpuE6ELNS1_3repE0EEENS1_36merge_oddeven_config_static_selectorELNS0_4arch9wavefront6targetE1EEEvSJ_
    .private_segment_fixed_size: 0
    .sgpr_count:     6
    .sgpr_spill_count: 0
    .symbol:         _ZN7rocprim17ROCPRIM_400000_NS6detail17trampoline_kernelINS0_14default_configENS1_38merge_sort_block_merge_config_selectorIiiEEZZNS1_27merge_sort_block_merge_implIS3_N6thrust23THRUST_200600_302600_NS6detail15normal_iteratorINS8_10device_ptrIiEEEESD_jNS1_19radix_merge_compareILb0ELb1EiNS0_19identity_decomposerEEEEE10hipError_tT0_T1_T2_jT3_P12ihipStream_tbPNSt15iterator_traitsISI_E10value_typeEPNSO_ISJ_E10value_typeEPSK_NS1_7vsmem_tEENKUlT_SI_SJ_SK_E_clISD_PiSD_S10_EESH_SX_SI_SJ_SK_EUlSX_E1_NS1_11comp_targetILNS1_3genE2ELNS1_11target_archE906ELNS1_3gpuE6ELNS1_3repE0EEENS1_36merge_oddeven_config_static_selectorELNS0_4arch9wavefront6targetE1EEEvSJ_.kd
    .uniform_work_group_size: 1
    .uses_dynamic_stack: false
    .vgpr_count:     0
    .vgpr_spill_count: 0
    .wavefront_size: 64
  - .agpr_count:     0
    .args:
      - .offset:         0
        .size:           48
        .value_kind:     by_value
    .group_segment_fixed_size: 0
    .kernarg_segment_align: 8
    .kernarg_segment_size: 48
    .language:       OpenCL C
    .language_version:
      - 2
      - 0
    .max_flat_workgroup_size: 256
    .name:           _ZN7rocprim17ROCPRIM_400000_NS6detail17trampoline_kernelINS0_14default_configENS1_38merge_sort_block_merge_config_selectorIiiEEZZNS1_27merge_sort_block_merge_implIS3_N6thrust23THRUST_200600_302600_NS6detail15normal_iteratorINS8_10device_ptrIiEEEESD_jNS1_19radix_merge_compareILb0ELb1EiNS0_19identity_decomposerEEEEE10hipError_tT0_T1_T2_jT3_P12ihipStream_tbPNSt15iterator_traitsISI_E10value_typeEPNSO_ISJ_E10value_typeEPSK_NS1_7vsmem_tEENKUlT_SI_SJ_SK_E_clISD_PiSD_S10_EESH_SX_SI_SJ_SK_EUlSX_E1_NS1_11comp_targetILNS1_3genE9ELNS1_11target_archE1100ELNS1_3gpuE3ELNS1_3repE0EEENS1_36merge_oddeven_config_static_selectorELNS0_4arch9wavefront6targetE1EEEvSJ_
    .private_segment_fixed_size: 0
    .sgpr_count:     6
    .sgpr_spill_count: 0
    .symbol:         _ZN7rocprim17ROCPRIM_400000_NS6detail17trampoline_kernelINS0_14default_configENS1_38merge_sort_block_merge_config_selectorIiiEEZZNS1_27merge_sort_block_merge_implIS3_N6thrust23THRUST_200600_302600_NS6detail15normal_iteratorINS8_10device_ptrIiEEEESD_jNS1_19radix_merge_compareILb0ELb1EiNS0_19identity_decomposerEEEEE10hipError_tT0_T1_T2_jT3_P12ihipStream_tbPNSt15iterator_traitsISI_E10value_typeEPNSO_ISJ_E10value_typeEPSK_NS1_7vsmem_tEENKUlT_SI_SJ_SK_E_clISD_PiSD_S10_EESH_SX_SI_SJ_SK_EUlSX_E1_NS1_11comp_targetILNS1_3genE9ELNS1_11target_archE1100ELNS1_3gpuE3ELNS1_3repE0EEENS1_36merge_oddeven_config_static_selectorELNS0_4arch9wavefront6targetE1EEEvSJ_.kd
    .uniform_work_group_size: 1
    .uses_dynamic_stack: false
    .vgpr_count:     0
    .vgpr_spill_count: 0
    .wavefront_size: 64
  - .agpr_count:     0
    .args:
      - .offset:         0
        .size:           48
        .value_kind:     by_value
    .group_segment_fixed_size: 0
    .kernarg_segment_align: 8
    .kernarg_segment_size: 48
    .language:       OpenCL C
    .language_version:
      - 2
      - 0
    .max_flat_workgroup_size: 256
    .name:           _ZN7rocprim17ROCPRIM_400000_NS6detail17trampoline_kernelINS0_14default_configENS1_38merge_sort_block_merge_config_selectorIiiEEZZNS1_27merge_sort_block_merge_implIS3_N6thrust23THRUST_200600_302600_NS6detail15normal_iteratorINS8_10device_ptrIiEEEESD_jNS1_19radix_merge_compareILb0ELb1EiNS0_19identity_decomposerEEEEE10hipError_tT0_T1_T2_jT3_P12ihipStream_tbPNSt15iterator_traitsISI_E10value_typeEPNSO_ISJ_E10value_typeEPSK_NS1_7vsmem_tEENKUlT_SI_SJ_SK_E_clISD_PiSD_S10_EESH_SX_SI_SJ_SK_EUlSX_E1_NS1_11comp_targetILNS1_3genE8ELNS1_11target_archE1030ELNS1_3gpuE2ELNS1_3repE0EEENS1_36merge_oddeven_config_static_selectorELNS0_4arch9wavefront6targetE1EEEvSJ_
    .private_segment_fixed_size: 0
    .sgpr_count:     6
    .sgpr_spill_count: 0
    .symbol:         _ZN7rocprim17ROCPRIM_400000_NS6detail17trampoline_kernelINS0_14default_configENS1_38merge_sort_block_merge_config_selectorIiiEEZZNS1_27merge_sort_block_merge_implIS3_N6thrust23THRUST_200600_302600_NS6detail15normal_iteratorINS8_10device_ptrIiEEEESD_jNS1_19radix_merge_compareILb0ELb1EiNS0_19identity_decomposerEEEEE10hipError_tT0_T1_T2_jT3_P12ihipStream_tbPNSt15iterator_traitsISI_E10value_typeEPNSO_ISJ_E10value_typeEPSK_NS1_7vsmem_tEENKUlT_SI_SJ_SK_E_clISD_PiSD_S10_EESH_SX_SI_SJ_SK_EUlSX_E1_NS1_11comp_targetILNS1_3genE8ELNS1_11target_archE1030ELNS1_3gpuE2ELNS1_3repE0EEENS1_36merge_oddeven_config_static_selectorELNS0_4arch9wavefront6targetE1EEEvSJ_.kd
    .uniform_work_group_size: 1
    .uses_dynamic_stack: false
    .vgpr_count:     0
    .vgpr_spill_count: 0
    .wavefront_size: 64
  - .agpr_count:     0
    .args:
      - .offset:         0
        .size:           40
        .value_kind:     by_value
    .group_segment_fixed_size: 0
    .kernarg_segment_align: 8
    .kernarg_segment_size: 40
    .language:       OpenCL C
    .language_version:
      - 2
      - 0
    .max_flat_workgroup_size: 256
    .name:           _ZN7rocprim17ROCPRIM_400000_NS6detail17trampoline_kernelINS0_14default_configENS1_35radix_sort_onesweep_config_selectorIiiEEZNS1_34radix_sort_onesweep_global_offsetsIS3_Lb0EN6thrust23THRUST_200600_302600_NS6detail15normal_iteratorINS8_10device_ptrIiEEEESD_jNS0_19identity_decomposerEEE10hipError_tT1_T2_PT3_SI_jT4_jjP12ihipStream_tbEUlT_E_NS1_11comp_targetILNS1_3genE0ELNS1_11target_archE4294967295ELNS1_3gpuE0ELNS1_3repE0EEENS1_52radix_sort_onesweep_histogram_config_static_selectorELNS0_4arch9wavefront6targetE1EEEvSG_
    .private_segment_fixed_size: 0
    .sgpr_count:     6
    .sgpr_spill_count: 0
    .symbol:         _ZN7rocprim17ROCPRIM_400000_NS6detail17trampoline_kernelINS0_14default_configENS1_35radix_sort_onesweep_config_selectorIiiEEZNS1_34radix_sort_onesweep_global_offsetsIS3_Lb0EN6thrust23THRUST_200600_302600_NS6detail15normal_iteratorINS8_10device_ptrIiEEEESD_jNS0_19identity_decomposerEEE10hipError_tT1_T2_PT3_SI_jT4_jjP12ihipStream_tbEUlT_E_NS1_11comp_targetILNS1_3genE0ELNS1_11target_archE4294967295ELNS1_3gpuE0ELNS1_3repE0EEENS1_52radix_sort_onesweep_histogram_config_static_selectorELNS0_4arch9wavefront6targetE1EEEvSG_.kd
    .uniform_work_group_size: 1
    .uses_dynamic_stack: false
    .vgpr_count:     0
    .vgpr_spill_count: 0
    .wavefront_size: 64
  - .agpr_count:     0
    .args:
      - .offset:         0
        .size:           40
        .value_kind:     by_value
    .group_segment_fixed_size: 16384
    .kernarg_segment_align: 8
    .kernarg_segment_size: 40
    .language:       OpenCL C
    .language_version:
      - 2
      - 0
    .max_flat_workgroup_size: 1024
    .name:           _ZN7rocprim17ROCPRIM_400000_NS6detail17trampoline_kernelINS0_14default_configENS1_35radix_sort_onesweep_config_selectorIiiEEZNS1_34radix_sort_onesweep_global_offsetsIS3_Lb0EN6thrust23THRUST_200600_302600_NS6detail15normal_iteratorINS8_10device_ptrIiEEEESD_jNS0_19identity_decomposerEEE10hipError_tT1_T2_PT3_SI_jT4_jjP12ihipStream_tbEUlT_E_NS1_11comp_targetILNS1_3genE6ELNS1_11target_archE950ELNS1_3gpuE13ELNS1_3repE0EEENS1_52radix_sort_onesweep_histogram_config_static_selectorELNS0_4arch9wavefront6targetE1EEEvSG_
    .private_segment_fixed_size: 0
    .sgpr_count:     25
    .sgpr_spill_count: 0
    .symbol:         _ZN7rocprim17ROCPRIM_400000_NS6detail17trampoline_kernelINS0_14default_configENS1_35radix_sort_onesweep_config_selectorIiiEEZNS1_34radix_sort_onesweep_global_offsetsIS3_Lb0EN6thrust23THRUST_200600_302600_NS6detail15normal_iteratorINS8_10device_ptrIiEEEESD_jNS0_19identity_decomposerEEE10hipError_tT1_T2_PT3_SI_jT4_jjP12ihipStream_tbEUlT_E_NS1_11comp_targetILNS1_3genE6ELNS1_11target_archE950ELNS1_3gpuE13ELNS1_3repE0EEENS1_52radix_sort_onesweep_histogram_config_static_selectorELNS0_4arch9wavefront6targetE1EEEvSG_.kd
    .uniform_work_group_size: 1
    .uses_dynamic_stack: false
    .vgpr_count:     36
    .vgpr_spill_count: 0
    .wavefront_size: 64
  - .agpr_count:     0
    .args:
      - .offset:         0
        .size:           40
        .value_kind:     by_value
    .group_segment_fixed_size: 0
    .kernarg_segment_align: 8
    .kernarg_segment_size: 40
    .language:       OpenCL C
    .language_version:
      - 2
      - 0
    .max_flat_workgroup_size: 1024
    .name:           _ZN7rocprim17ROCPRIM_400000_NS6detail17trampoline_kernelINS0_14default_configENS1_35radix_sort_onesweep_config_selectorIiiEEZNS1_34radix_sort_onesweep_global_offsetsIS3_Lb0EN6thrust23THRUST_200600_302600_NS6detail15normal_iteratorINS8_10device_ptrIiEEEESD_jNS0_19identity_decomposerEEE10hipError_tT1_T2_PT3_SI_jT4_jjP12ihipStream_tbEUlT_E_NS1_11comp_targetILNS1_3genE5ELNS1_11target_archE942ELNS1_3gpuE9ELNS1_3repE0EEENS1_52radix_sort_onesweep_histogram_config_static_selectorELNS0_4arch9wavefront6targetE1EEEvSG_
    .private_segment_fixed_size: 0
    .sgpr_count:     6
    .sgpr_spill_count: 0
    .symbol:         _ZN7rocprim17ROCPRIM_400000_NS6detail17trampoline_kernelINS0_14default_configENS1_35radix_sort_onesweep_config_selectorIiiEEZNS1_34radix_sort_onesweep_global_offsetsIS3_Lb0EN6thrust23THRUST_200600_302600_NS6detail15normal_iteratorINS8_10device_ptrIiEEEESD_jNS0_19identity_decomposerEEE10hipError_tT1_T2_PT3_SI_jT4_jjP12ihipStream_tbEUlT_E_NS1_11comp_targetILNS1_3genE5ELNS1_11target_archE942ELNS1_3gpuE9ELNS1_3repE0EEENS1_52radix_sort_onesweep_histogram_config_static_selectorELNS0_4arch9wavefront6targetE1EEEvSG_.kd
    .uniform_work_group_size: 1
    .uses_dynamic_stack: false
    .vgpr_count:     0
    .vgpr_spill_count: 0
    .wavefront_size: 64
  - .agpr_count:     0
    .args:
      - .offset:         0
        .size:           40
        .value_kind:     by_value
    .group_segment_fixed_size: 0
    .kernarg_segment_align: 8
    .kernarg_segment_size: 40
    .language:       OpenCL C
    .language_version:
      - 2
      - 0
    .max_flat_workgroup_size: 512
    .name:           _ZN7rocprim17ROCPRIM_400000_NS6detail17trampoline_kernelINS0_14default_configENS1_35radix_sort_onesweep_config_selectorIiiEEZNS1_34radix_sort_onesweep_global_offsetsIS3_Lb0EN6thrust23THRUST_200600_302600_NS6detail15normal_iteratorINS8_10device_ptrIiEEEESD_jNS0_19identity_decomposerEEE10hipError_tT1_T2_PT3_SI_jT4_jjP12ihipStream_tbEUlT_E_NS1_11comp_targetILNS1_3genE2ELNS1_11target_archE906ELNS1_3gpuE6ELNS1_3repE0EEENS1_52radix_sort_onesweep_histogram_config_static_selectorELNS0_4arch9wavefront6targetE1EEEvSG_
    .private_segment_fixed_size: 0
    .sgpr_count:     6
    .sgpr_spill_count: 0
    .symbol:         _ZN7rocprim17ROCPRIM_400000_NS6detail17trampoline_kernelINS0_14default_configENS1_35radix_sort_onesweep_config_selectorIiiEEZNS1_34radix_sort_onesweep_global_offsetsIS3_Lb0EN6thrust23THRUST_200600_302600_NS6detail15normal_iteratorINS8_10device_ptrIiEEEESD_jNS0_19identity_decomposerEEE10hipError_tT1_T2_PT3_SI_jT4_jjP12ihipStream_tbEUlT_E_NS1_11comp_targetILNS1_3genE2ELNS1_11target_archE906ELNS1_3gpuE6ELNS1_3repE0EEENS1_52radix_sort_onesweep_histogram_config_static_selectorELNS0_4arch9wavefront6targetE1EEEvSG_.kd
    .uniform_work_group_size: 1
    .uses_dynamic_stack: false
    .vgpr_count:     0
    .vgpr_spill_count: 0
    .wavefront_size: 64
  - .agpr_count:     0
    .args:
      - .offset:         0
        .size:           40
        .value_kind:     by_value
    .group_segment_fixed_size: 0
    .kernarg_segment_align: 8
    .kernarg_segment_size: 40
    .language:       OpenCL C
    .language_version:
      - 2
      - 0
    .max_flat_workgroup_size: 512
    .name:           _ZN7rocprim17ROCPRIM_400000_NS6detail17trampoline_kernelINS0_14default_configENS1_35radix_sort_onesweep_config_selectorIiiEEZNS1_34radix_sort_onesweep_global_offsetsIS3_Lb0EN6thrust23THRUST_200600_302600_NS6detail15normal_iteratorINS8_10device_ptrIiEEEESD_jNS0_19identity_decomposerEEE10hipError_tT1_T2_PT3_SI_jT4_jjP12ihipStream_tbEUlT_E_NS1_11comp_targetILNS1_3genE4ELNS1_11target_archE910ELNS1_3gpuE8ELNS1_3repE0EEENS1_52radix_sort_onesweep_histogram_config_static_selectorELNS0_4arch9wavefront6targetE1EEEvSG_
    .private_segment_fixed_size: 0
    .sgpr_count:     6
    .sgpr_spill_count: 0
    .symbol:         _ZN7rocprim17ROCPRIM_400000_NS6detail17trampoline_kernelINS0_14default_configENS1_35radix_sort_onesweep_config_selectorIiiEEZNS1_34radix_sort_onesweep_global_offsetsIS3_Lb0EN6thrust23THRUST_200600_302600_NS6detail15normal_iteratorINS8_10device_ptrIiEEEESD_jNS0_19identity_decomposerEEE10hipError_tT1_T2_PT3_SI_jT4_jjP12ihipStream_tbEUlT_E_NS1_11comp_targetILNS1_3genE4ELNS1_11target_archE910ELNS1_3gpuE8ELNS1_3repE0EEENS1_52radix_sort_onesweep_histogram_config_static_selectorELNS0_4arch9wavefront6targetE1EEEvSG_.kd
    .uniform_work_group_size: 1
    .uses_dynamic_stack: false
    .vgpr_count:     0
    .vgpr_spill_count: 0
    .wavefront_size: 64
  - .agpr_count:     0
    .args:
      - .offset:         0
        .size:           40
        .value_kind:     by_value
    .group_segment_fixed_size: 0
    .kernarg_segment_align: 8
    .kernarg_segment_size: 40
    .language:       OpenCL C
    .language_version:
      - 2
      - 0
    .max_flat_workgroup_size: 256
    .name:           _ZN7rocprim17ROCPRIM_400000_NS6detail17trampoline_kernelINS0_14default_configENS1_35radix_sort_onesweep_config_selectorIiiEEZNS1_34radix_sort_onesweep_global_offsetsIS3_Lb0EN6thrust23THRUST_200600_302600_NS6detail15normal_iteratorINS8_10device_ptrIiEEEESD_jNS0_19identity_decomposerEEE10hipError_tT1_T2_PT3_SI_jT4_jjP12ihipStream_tbEUlT_E_NS1_11comp_targetILNS1_3genE3ELNS1_11target_archE908ELNS1_3gpuE7ELNS1_3repE0EEENS1_52radix_sort_onesweep_histogram_config_static_selectorELNS0_4arch9wavefront6targetE1EEEvSG_
    .private_segment_fixed_size: 0
    .sgpr_count:     6
    .sgpr_spill_count: 0
    .symbol:         _ZN7rocprim17ROCPRIM_400000_NS6detail17trampoline_kernelINS0_14default_configENS1_35radix_sort_onesweep_config_selectorIiiEEZNS1_34radix_sort_onesweep_global_offsetsIS3_Lb0EN6thrust23THRUST_200600_302600_NS6detail15normal_iteratorINS8_10device_ptrIiEEEESD_jNS0_19identity_decomposerEEE10hipError_tT1_T2_PT3_SI_jT4_jjP12ihipStream_tbEUlT_E_NS1_11comp_targetILNS1_3genE3ELNS1_11target_archE908ELNS1_3gpuE7ELNS1_3repE0EEENS1_52radix_sort_onesweep_histogram_config_static_selectorELNS0_4arch9wavefront6targetE1EEEvSG_.kd
    .uniform_work_group_size: 1
    .uses_dynamic_stack: false
    .vgpr_count:     0
    .vgpr_spill_count: 0
    .wavefront_size: 64
  - .agpr_count:     0
    .args:
      - .offset:         0
        .size:           40
        .value_kind:     by_value
    .group_segment_fixed_size: 0
    .kernarg_segment_align: 8
    .kernarg_segment_size: 40
    .language:       OpenCL C
    .language_version:
      - 2
      - 0
    .max_flat_workgroup_size: 1024
    .name:           _ZN7rocprim17ROCPRIM_400000_NS6detail17trampoline_kernelINS0_14default_configENS1_35radix_sort_onesweep_config_selectorIiiEEZNS1_34radix_sort_onesweep_global_offsetsIS3_Lb0EN6thrust23THRUST_200600_302600_NS6detail15normal_iteratorINS8_10device_ptrIiEEEESD_jNS0_19identity_decomposerEEE10hipError_tT1_T2_PT3_SI_jT4_jjP12ihipStream_tbEUlT_E_NS1_11comp_targetILNS1_3genE10ELNS1_11target_archE1201ELNS1_3gpuE5ELNS1_3repE0EEENS1_52radix_sort_onesweep_histogram_config_static_selectorELNS0_4arch9wavefront6targetE1EEEvSG_
    .private_segment_fixed_size: 0
    .sgpr_count:     6
    .sgpr_spill_count: 0
    .symbol:         _ZN7rocprim17ROCPRIM_400000_NS6detail17trampoline_kernelINS0_14default_configENS1_35radix_sort_onesweep_config_selectorIiiEEZNS1_34radix_sort_onesweep_global_offsetsIS3_Lb0EN6thrust23THRUST_200600_302600_NS6detail15normal_iteratorINS8_10device_ptrIiEEEESD_jNS0_19identity_decomposerEEE10hipError_tT1_T2_PT3_SI_jT4_jjP12ihipStream_tbEUlT_E_NS1_11comp_targetILNS1_3genE10ELNS1_11target_archE1201ELNS1_3gpuE5ELNS1_3repE0EEENS1_52radix_sort_onesweep_histogram_config_static_selectorELNS0_4arch9wavefront6targetE1EEEvSG_.kd
    .uniform_work_group_size: 1
    .uses_dynamic_stack: false
    .vgpr_count:     0
    .vgpr_spill_count: 0
    .wavefront_size: 64
  - .agpr_count:     0
    .args:
      - .offset:         0
        .size:           40
        .value_kind:     by_value
    .group_segment_fixed_size: 0
    .kernarg_segment_align: 8
    .kernarg_segment_size: 40
    .language:       OpenCL C
    .language_version:
      - 2
      - 0
    .max_flat_workgroup_size: 1024
    .name:           _ZN7rocprim17ROCPRIM_400000_NS6detail17trampoline_kernelINS0_14default_configENS1_35radix_sort_onesweep_config_selectorIiiEEZNS1_34radix_sort_onesweep_global_offsetsIS3_Lb0EN6thrust23THRUST_200600_302600_NS6detail15normal_iteratorINS8_10device_ptrIiEEEESD_jNS0_19identity_decomposerEEE10hipError_tT1_T2_PT3_SI_jT4_jjP12ihipStream_tbEUlT_E_NS1_11comp_targetILNS1_3genE9ELNS1_11target_archE1100ELNS1_3gpuE3ELNS1_3repE0EEENS1_52radix_sort_onesweep_histogram_config_static_selectorELNS0_4arch9wavefront6targetE1EEEvSG_
    .private_segment_fixed_size: 0
    .sgpr_count:     6
    .sgpr_spill_count: 0
    .symbol:         _ZN7rocprim17ROCPRIM_400000_NS6detail17trampoline_kernelINS0_14default_configENS1_35radix_sort_onesweep_config_selectorIiiEEZNS1_34radix_sort_onesweep_global_offsetsIS3_Lb0EN6thrust23THRUST_200600_302600_NS6detail15normal_iteratorINS8_10device_ptrIiEEEESD_jNS0_19identity_decomposerEEE10hipError_tT1_T2_PT3_SI_jT4_jjP12ihipStream_tbEUlT_E_NS1_11comp_targetILNS1_3genE9ELNS1_11target_archE1100ELNS1_3gpuE3ELNS1_3repE0EEENS1_52radix_sort_onesweep_histogram_config_static_selectorELNS0_4arch9wavefront6targetE1EEEvSG_.kd
    .uniform_work_group_size: 1
    .uses_dynamic_stack: false
    .vgpr_count:     0
    .vgpr_spill_count: 0
    .wavefront_size: 64
  - .agpr_count:     0
    .args:
      - .offset:         0
        .size:           40
        .value_kind:     by_value
    .group_segment_fixed_size: 0
    .kernarg_segment_align: 8
    .kernarg_segment_size: 40
    .language:       OpenCL C
    .language_version:
      - 2
      - 0
    .max_flat_workgroup_size: 1024
    .name:           _ZN7rocprim17ROCPRIM_400000_NS6detail17trampoline_kernelINS0_14default_configENS1_35radix_sort_onesweep_config_selectorIiiEEZNS1_34radix_sort_onesweep_global_offsetsIS3_Lb0EN6thrust23THRUST_200600_302600_NS6detail15normal_iteratorINS8_10device_ptrIiEEEESD_jNS0_19identity_decomposerEEE10hipError_tT1_T2_PT3_SI_jT4_jjP12ihipStream_tbEUlT_E_NS1_11comp_targetILNS1_3genE8ELNS1_11target_archE1030ELNS1_3gpuE2ELNS1_3repE0EEENS1_52radix_sort_onesweep_histogram_config_static_selectorELNS0_4arch9wavefront6targetE1EEEvSG_
    .private_segment_fixed_size: 0
    .sgpr_count:     6
    .sgpr_spill_count: 0
    .symbol:         _ZN7rocprim17ROCPRIM_400000_NS6detail17trampoline_kernelINS0_14default_configENS1_35radix_sort_onesweep_config_selectorIiiEEZNS1_34radix_sort_onesweep_global_offsetsIS3_Lb0EN6thrust23THRUST_200600_302600_NS6detail15normal_iteratorINS8_10device_ptrIiEEEESD_jNS0_19identity_decomposerEEE10hipError_tT1_T2_PT3_SI_jT4_jjP12ihipStream_tbEUlT_E_NS1_11comp_targetILNS1_3genE8ELNS1_11target_archE1030ELNS1_3gpuE2ELNS1_3repE0EEENS1_52radix_sort_onesweep_histogram_config_static_selectorELNS0_4arch9wavefront6targetE1EEEvSG_.kd
    .uniform_work_group_size: 1
    .uses_dynamic_stack: false
    .vgpr_count:     0
    .vgpr_spill_count: 0
    .wavefront_size: 64
  - .agpr_count:     0
    .args:
      - .address_space:  global
        .offset:         0
        .size:           8
        .value_kind:     global_buffer
    .group_segment_fixed_size: 0
    .kernarg_segment_align: 8
    .kernarg_segment_size: 8
    .language:       OpenCL C
    .language_version:
      - 2
      - 0
    .max_flat_workgroup_size: 256
    .name:           _ZN7rocprim17ROCPRIM_400000_NS6detail17trampoline_kernelINS0_14default_configENS1_35radix_sort_onesweep_config_selectorIiiEEZNS1_34radix_sort_onesweep_global_offsetsIS3_Lb0EN6thrust23THRUST_200600_302600_NS6detail15normal_iteratorINS8_10device_ptrIiEEEESD_jNS0_19identity_decomposerEEE10hipError_tT1_T2_PT3_SI_jT4_jjP12ihipStream_tbEUlT_E0_NS1_11comp_targetILNS1_3genE0ELNS1_11target_archE4294967295ELNS1_3gpuE0ELNS1_3repE0EEENS1_52radix_sort_onesweep_histogram_config_static_selectorELNS0_4arch9wavefront6targetE1EEEvSG_
    .private_segment_fixed_size: 0
    .sgpr_count:     6
    .sgpr_spill_count: 0
    .symbol:         _ZN7rocprim17ROCPRIM_400000_NS6detail17trampoline_kernelINS0_14default_configENS1_35radix_sort_onesweep_config_selectorIiiEEZNS1_34radix_sort_onesweep_global_offsetsIS3_Lb0EN6thrust23THRUST_200600_302600_NS6detail15normal_iteratorINS8_10device_ptrIiEEEESD_jNS0_19identity_decomposerEEE10hipError_tT1_T2_PT3_SI_jT4_jjP12ihipStream_tbEUlT_E0_NS1_11comp_targetILNS1_3genE0ELNS1_11target_archE4294967295ELNS1_3gpuE0ELNS1_3repE0EEENS1_52radix_sort_onesweep_histogram_config_static_selectorELNS0_4arch9wavefront6targetE1EEEvSG_.kd
    .uniform_work_group_size: 1
    .uses_dynamic_stack: false
    .vgpr_count:     0
    .vgpr_spill_count: 0
    .wavefront_size: 64
  - .agpr_count:     0
    .args:
      - .address_space:  global
        .offset:         0
        .size:           8
        .value_kind:     global_buffer
    .group_segment_fixed_size: 64
    .kernarg_segment_align: 8
    .kernarg_segment_size: 8
    .language:       OpenCL C
    .language_version:
      - 2
      - 0
    .max_flat_workgroup_size: 1024
    .name:           _ZN7rocprim17ROCPRIM_400000_NS6detail17trampoline_kernelINS0_14default_configENS1_35radix_sort_onesweep_config_selectorIiiEEZNS1_34radix_sort_onesweep_global_offsetsIS3_Lb0EN6thrust23THRUST_200600_302600_NS6detail15normal_iteratorINS8_10device_ptrIiEEEESD_jNS0_19identity_decomposerEEE10hipError_tT1_T2_PT3_SI_jT4_jjP12ihipStream_tbEUlT_E0_NS1_11comp_targetILNS1_3genE6ELNS1_11target_archE950ELNS1_3gpuE13ELNS1_3repE0EEENS1_52radix_sort_onesweep_histogram_config_static_selectorELNS0_4arch9wavefront6targetE1EEEvSG_
    .private_segment_fixed_size: 0
    .sgpr_count:     20
    .sgpr_spill_count: 0
    .symbol:         _ZN7rocprim17ROCPRIM_400000_NS6detail17trampoline_kernelINS0_14default_configENS1_35radix_sort_onesweep_config_selectorIiiEEZNS1_34radix_sort_onesweep_global_offsetsIS3_Lb0EN6thrust23THRUST_200600_302600_NS6detail15normal_iteratorINS8_10device_ptrIiEEEESD_jNS0_19identity_decomposerEEE10hipError_tT1_T2_PT3_SI_jT4_jjP12ihipStream_tbEUlT_E0_NS1_11comp_targetILNS1_3genE6ELNS1_11target_archE950ELNS1_3gpuE13ELNS1_3repE0EEENS1_52radix_sort_onesweep_histogram_config_static_selectorELNS0_4arch9wavefront6targetE1EEEvSG_.kd
    .uniform_work_group_size: 1
    .uses_dynamic_stack: false
    .vgpr_count:     7
    .vgpr_spill_count: 0
    .wavefront_size: 64
  - .agpr_count:     0
    .args:
      - .address_space:  global
        .offset:         0
        .size:           8
        .value_kind:     global_buffer
    .group_segment_fixed_size: 0
    .kernarg_segment_align: 8
    .kernarg_segment_size: 8
    .language:       OpenCL C
    .language_version:
      - 2
      - 0
    .max_flat_workgroup_size: 1024
    .name:           _ZN7rocprim17ROCPRIM_400000_NS6detail17trampoline_kernelINS0_14default_configENS1_35radix_sort_onesweep_config_selectorIiiEEZNS1_34radix_sort_onesweep_global_offsetsIS3_Lb0EN6thrust23THRUST_200600_302600_NS6detail15normal_iteratorINS8_10device_ptrIiEEEESD_jNS0_19identity_decomposerEEE10hipError_tT1_T2_PT3_SI_jT4_jjP12ihipStream_tbEUlT_E0_NS1_11comp_targetILNS1_3genE5ELNS1_11target_archE942ELNS1_3gpuE9ELNS1_3repE0EEENS1_52radix_sort_onesweep_histogram_config_static_selectorELNS0_4arch9wavefront6targetE1EEEvSG_
    .private_segment_fixed_size: 0
    .sgpr_count:     6
    .sgpr_spill_count: 0
    .symbol:         _ZN7rocprim17ROCPRIM_400000_NS6detail17trampoline_kernelINS0_14default_configENS1_35radix_sort_onesweep_config_selectorIiiEEZNS1_34radix_sort_onesweep_global_offsetsIS3_Lb0EN6thrust23THRUST_200600_302600_NS6detail15normal_iteratorINS8_10device_ptrIiEEEESD_jNS0_19identity_decomposerEEE10hipError_tT1_T2_PT3_SI_jT4_jjP12ihipStream_tbEUlT_E0_NS1_11comp_targetILNS1_3genE5ELNS1_11target_archE942ELNS1_3gpuE9ELNS1_3repE0EEENS1_52radix_sort_onesweep_histogram_config_static_selectorELNS0_4arch9wavefront6targetE1EEEvSG_.kd
    .uniform_work_group_size: 1
    .uses_dynamic_stack: false
    .vgpr_count:     0
    .vgpr_spill_count: 0
    .wavefront_size: 64
  - .agpr_count:     0
    .args:
      - .address_space:  global
        .offset:         0
        .size:           8
        .value_kind:     global_buffer
    .group_segment_fixed_size: 0
    .kernarg_segment_align: 8
    .kernarg_segment_size: 8
    .language:       OpenCL C
    .language_version:
      - 2
      - 0
    .max_flat_workgroup_size: 512
    .name:           _ZN7rocprim17ROCPRIM_400000_NS6detail17trampoline_kernelINS0_14default_configENS1_35radix_sort_onesweep_config_selectorIiiEEZNS1_34radix_sort_onesweep_global_offsetsIS3_Lb0EN6thrust23THRUST_200600_302600_NS6detail15normal_iteratorINS8_10device_ptrIiEEEESD_jNS0_19identity_decomposerEEE10hipError_tT1_T2_PT3_SI_jT4_jjP12ihipStream_tbEUlT_E0_NS1_11comp_targetILNS1_3genE2ELNS1_11target_archE906ELNS1_3gpuE6ELNS1_3repE0EEENS1_52radix_sort_onesweep_histogram_config_static_selectorELNS0_4arch9wavefront6targetE1EEEvSG_
    .private_segment_fixed_size: 0
    .sgpr_count:     6
    .sgpr_spill_count: 0
    .symbol:         _ZN7rocprim17ROCPRIM_400000_NS6detail17trampoline_kernelINS0_14default_configENS1_35radix_sort_onesweep_config_selectorIiiEEZNS1_34radix_sort_onesweep_global_offsetsIS3_Lb0EN6thrust23THRUST_200600_302600_NS6detail15normal_iteratorINS8_10device_ptrIiEEEESD_jNS0_19identity_decomposerEEE10hipError_tT1_T2_PT3_SI_jT4_jjP12ihipStream_tbEUlT_E0_NS1_11comp_targetILNS1_3genE2ELNS1_11target_archE906ELNS1_3gpuE6ELNS1_3repE0EEENS1_52radix_sort_onesweep_histogram_config_static_selectorELNS0_4arch9wavefront6targetE1EEEvSG_.kd
    .uniform_work_group_size: 1
    .uses_dynamic_stack: false
    .vgpr_count:     0
    .vgpr_spill_count: 0
    .wavefront_size: 64
  - .agpr_count:     0
    .args:
      - .address_space:  global
        .offset:         0
        .size:           8
        .value_kind:     global_buffer
    .group_segment_fixed_size: 0
    .kernarg_segment_align: 8
    .kernarg_segment_size: 8
    .language:       OpenCL C
    .language_version:
      - 2
      - 0
    .max_flat_workgroup_size: 512
    .name:           _ZN7rocprim17ROCPRIM_400000_NS6detail17trampoline_kernelINS0_14default_configENS1_35radix_sort_onesweep_config_selectorIiiEEZNS1_34radix_sort_onesweep_global_offsetsIS3_Lb0EN6thrust23THRUST_200600_302600_NS6detail15normal_iteratorINS8_10device_ptrIiEEEESD_jNS0_19identity_decomposerEEE10hipError_tT1_T2_PT3_SI_jT4_jjP12ihipStream_tbEUlT_E0_NS1_11comp_targetILNS1_3genE4ELNS1_11target_archE910ELNS1_3gpuE8ELNS1_3repE0EEENS1_52radix_sort_onesweep_histogram_config_static_selectorELNS0_4arch9wavefront6targetE1EEEvSG_
    .private_segment_fixed_size: 0
    .sgpr_count:     6
    .sgpr_spill_count: 0
    .symbol:         _ZN7rocprim17ROCPRIM_400000_NS6detail17trampoline_kernelINS0_14default_configENS1_35radix_sort_onesweep_config_selectorIiiEEZNS1_34radix_sort_onesweep_global_offsetsIS3_Lb0EN6thrust23THRUST_200600_302600_NS6detail15normal_iteratorINS8_10device_ptrIiEEEESD_jNS0_19identity_decomposerEEE10hipError_tT1_T2_PT3_SI_jT4_jjP12ihipStream_tbEUlT_E0_NS1_11comp_targetILNS1_3genE4ELNS1_11target_archE910ELNS1_3gpuE8ELNS1_3repE0EEENS1_52radix_sort_onesweep_histogram_config_static_selectorELNS0_4arch9wavefront6targetE1EEEvSG_.kd
    .uniform_work_group_size: 1
    .uses_dynamic_stack: false
    .vgpr_count:     0
    .vgpr_spill_count: 0
    .wavefront_size: 64
  - .agpr_count:     0
    .args:
      - .address_space:  global
        .offset:         0
        .size:           8
        .value_kind:     global_buffer
    .group_segment_fixed_size: 0
    .kernarg_segment_align: 8
    .kernarg_segment_size: 8
    .language:       OpenCL C
    .language_version:
      - 2
      - 0
    .max_flat_workgroup_size: 256
    .name:           _ZN7rocprim17ROCPRIM_400000_NS6detail17trampoline_kernelINS0_14default_configENS1_35radix_sort_onesweep_config_selectorIiiEEZNS1_34radix_sort_onesweep_global_offsetsIS3_Lb0EN6thrust23THRUST_200600_302600_NS6detail15normal_iteratorINS8_10device_ptrIiEEEESD_jNS0_19identity_decomposerEEE10hipError_tT1_T2_PT3_SI_jT4_jjP12ihipStream_tbEUlT_E0_NS1_11comp_targetILNS1_3genE3ELNS1_11target_archE908ELNS1_3gpuE7ELNS1_3repE0EEENS1_52radix_sort_onesweep_histogram_config_static_selectorELNS0_4arch9wavefront6targetE1EEEvSG_
    .private_segment_fixed_size: 0
    .sgpr_count:     6
    .sgpr_spill_count: 0
    .symbol:         _ZN7rocprim17ROCPRIM_400000_NS6detail17trampoline_kernelINS0_14default_configENS1_35radix_sort_onesweep_config_selectorIiiEEZNS1_34radix_sort_onesweep_global_offsetsIS3_Lb0EN6thrust23THRUST_200600_302600_NS6detail15normal_iteratorINS8_10device_ptrIiEEEESD_jNS0_19identity_decomposerEEE10hipError_tT1_T2_PT3_SI_jT4_jjP12ihipStream_tbEUlT_E0_NS1_11comp_targetILNS1_3genE3ELNS1_11target_archE908ELNS1_3gpuE7ELNS1_3repE0EEENS1_52radix_sort_onesweep_histogram_config_static_selectorELNS0_4arch9wavefront6targetE1EEEvSG_.kd
    .uniform_work_group_size: 1
    .uses_dynamic_stack: false
    .vgpr_count:     0
    .vgpr_spill_count: 0
    .wavefront_size: 64
  - .agpr_count:     0
    .args:
      - .address_space:  global
        .offset:         0
        .size:           8
        .value_kind:     global_buffer
    .group_segment_fixed_size: 0
    .kernarg_segment_align: 8
    .kernarg_segment_size: 8
    .language:       OpenCL C
    .language_version:
      - 2
      - 0
    .max_flat_workgroup_size: 1024
    .name:           _ZN7rocprim17ROCPRIM_400000_NS6detail17trampoline_kernelINS0_14default_configENS1_35radix_sort_onesweep_config_selectorIiiEEZNS1_34radix_sort_onesweep_global_offsetsIS3_Lb0EN6thrust23THRUST_200600_302600_NS6detail15normal_iteratorINS8_10device_ptrIiEEEESD_jNS0_19identity_decomposerEEE10hipError_tT1_T2_PT3_SI_jT4_jjP12ihipStream_tbEUlT_E0_NS1_11comp_targetILNS1_3genE10ELNS1_11target_archE1201ELNS1_3gpuE5ELNS1_3repE0EEENS1_52radix_sort_onesweep_histogram_config_static_selectorELNS0_4arch9wavefront6targetE1EEEvSG_
    .private_segment_fixed_size: 0
    .sgpr_count:     6
    .sgpr_spill_count: 0
    .symbol:         _ZN7rocprim17ROCPRIM_400000_NS6detail17trampoline_kernelINS0_14default_configENS1_35radix_sort_onesweep_config_selectorIiiEEZNS1_34radix_sort_onesweep_global_offsetsIS3_Lb0EN6thrust23THRUST_200600_302600_NS6detail15normal_iteratorINS8_10device_ptrIiEEEESD_jNS0_19identity_decomposerEEE10hipError_tT1_T2_PT3_SI_jT4_jjP12ihipStream_tbEUlT_E0_NS1_11comp_targetILNS1_3genE10ELNS1_11target_archE1201ELNS1_3gpuE5ELNS1_3repE0EEENS1_52radix_sort_onesweep_histogram_config_static_selectorELNS0_4arch9wavefront6targetE1EEEvSG_.kd
    .uniform_work_group_size: 1
    .uses_dynamic_stack: false
    .vgpr_count:     0
    .vgpr_spill_count: 0
    .wavefront_size: 64
  - .agpr_count:     0
    .args:
      - .address_space:  global
        .offset:         0
        .size:           8
        .value_kind:     global_buffer
    .group_segment_fixed_size: 0
    .kernarg_segment_align: 8
    .kernarg_segment_size: 8
    .language:       OpenCL C
    .language_version:
      - 2
      - 0
    .max_flat_workgroup_size: 1024
    .name:           _ZN7rocprim17ROCPRIM_400000_NS6detail17trampoline_kernelINS0_14default_configENS1_35radix_sort_onesweep_config_selectorIiiEEZNS1_34radix_sort_onesweep_global_offsetsIS3_Lb0EN6thrust23THRUST_200600_302600_NS6detail15normal_iteratorINS8_10device_ptrIiEEEESD_jNS0_19identity_decomposerEEE10hipError_tT1_T2_PT3_SI_jT4_jjP12ihipStream_tbEUlT_E0_NS1_11comp_targetILNS1_3genE9ELNS1_11target_archE1100ELNS1_3gpuE3ELNS1_3repE0EEENS1_52radix_sort_onesweep_histogram_config_static_selectorELNS0_4arch9wavefront6targetE1EEEvSG_
    .private_segment_fixed_size: 0
    .sgpr_count:     6
    .sgpr_spill_count: 0
    .symbol:         _ZN7rocprim17ROCPRIM_400000_NS6detail17trampoline_kernelINS0_14default_configENS1_35radix_sort_onesweep_config_selectorIiiEEZNS1_34radix_sort_onesweep_global_offsetsIS3_Lb0EN6thrust23THRUST_200600_302600_NS6detail15normal_iteratorINS8_10device_ptrIiEEEESD_jNS0_19identity_decomposerEEE10hipError_tT1_T2_PT3_SI_jT4_jjP12ihipStream_tbEUlT_E0_NS1_11comp_targetILNS1_3genE9ELNS1_11target_archE1100ELNS1_3gpuE3ELNS1_3repE0EEENS1_52radix_sort_onesweep_histogram_config_static_selectorELNS0_4arch9wavefront6targetE1EEEvSG_.kd
    .uniform_work_group_size: 1
    .uses_dynamic_stack: false
    .vgpr_count:     0
    .vgpr_spill_count: 0
    .wavefront_size: 64
  - .agpr_count:     0
    .args:
      - .address_space:  global
        .offset:         0
        .size:           8
        .value_kind:     global_buffer
    .group_segment_fixed_size: 0
    .kernarg_segment_align: 8
    .kernarg_segment_size: 8
    .language:       OpenCL C
    .language_version:
      - 2
      - 0
    .max_flat_workgroup_size: 1024
    .name:           _ZN7rocprim17ROCPRIM_400000_NS6detail17trampoline_kernelINS0_14default_configENS1_35radix_sort_onesweep_config_selectorIiiEEZNS1_34radix_sort_onesweep_global_offsetsIS3_Lb0EN6thrust23THRUST_200600_302600_NS6detail15normal_iteratorINS8_10device_ptrIiEEEESD_jNS0_19identity_decomposerEEE10hipError_tT1_T2_PT3_SI_jT4_jjP12ihipStream_tbEUlT_E0_NS1_11comp_targetILNS1_3genE8ELNS1_11target_archE1030ELNS1_3gpuE2ELNS1_3repE0EEENS1_52radix_sort_onesweep_histogram_config_static_selectorELNS0_4arch9wavefront6targetE1EEEvSG_
    .private_segment_fixed_size: 0
    .sgpr_count:     6
    .sgpr_spill_count: 0
    .symbol:         _ZN7rocprim17ROCPRIM_400000_NS6detail17trampoline_kernelINS0_14default_configENS1_35radix_sort_onesweep_config_selectorIiiEEZNS1_34radix_sort_onesweep_global_offsetsIS3_Lb0EN6thrust23THRUST_200600_302600_NS6detail15normal_iteratorINS8_10device_ptrIiEEEESD_jNS0_19identity_decomposerEEE10hipError_tT1_T2_PT3_SI_jT4_jjP12ihipStream_tbEUlT_E0_NS1_11comp_targetILNS1_3genE8ELNS1_11target_archE1030ELNS1_3gpuE2ELNS1_3repE0EEENS1_52radix_sort_onesweep_histogram_config_static_selectorELNS0_4arch9wavefront6targetE1EEEvSG_.kd
    .uniform_work_group_size: 1
    .uses_dynamic_stack: false
    .vgpr_count:     0
    .vgpr_spill_count: 0
    .wavefront_size: 64
  - .agpr_count:     0
    .args:
      - .offset:         0
        .size:           40
        .value_kind:     by_value
      - .offset:         40
        .size:           4
        .value_kind:     hidden_block_count_x
      - .offset:         44
        .size:           4
        .value_kind:     hidden_block_count_y
      - .offset:         48
        .size:           4
        .value_kind:     hidden_block_count_z
      - .offset:         52
        .size:           2
        .value_kind:     hidden_group_size_x
      - .offset:         54
        .size:           2
        .value_kind:     hidden_group_size_y
      - .offset:         56
        .size:           2
        .value_kind:     hidden_group_size_z
      - .offset:         58
        .size:           2
        .value_kind:     hidden_remainder_x
      - .offset:         60
        .size:           2
        .value_kind:     hidden_remainder_y
      - .offset:         62
        .size:           2
        .value_kind:     hidden_remainder_z
      - .offset:         80
        .size:           8
        .value_kind:     hidden_global_offset_x
      - .offset:         88
        .size:           8
        .value_kind:     hidden_global_offset_y
      - .offset:         96
        .size:           8
        .value_kind:     hidden_global_offset_z
      - .offset:         104
        .size:           2
        .value_kind:     hidden_grid_dims
    .group_segment_fixed_size: 0
    .kernarg_segment_align: 8
    .kernarg_segment_size: 296
    .language:       OpenCL C
    .language_version:
      - 2
      - 0
    .max_flat_workgroup_size: 128
    .name:           _ZN7rocprim17ROCPRIM_400000_NS6detail17trampoline_kernelINS0_14default_configENS1_25transform_config_selectorIiLb0EEEZNS1_14transform_implILb0ES3_S5_N6thrust23THRUST_200600_302600_NS6detail15normal_iteratorINS8_10device_ptrIiEEEEPiNS0_8identityIiEEEE10hipError_tT2_T3_mT4_P12ihipStream_tbEUlT_E_NS1_11comp_targetILNS1_3genE0ELNS1_11target_archE4294967295ELNS1_3gpuE0ELNS1_3repE0EEENS1_30default_config_static_selectorELNS0_4arch9wavefront6targetE1EEEvT1_
    .private_segment_fixed_size: 0
    .sgpr_count:     22
    .sgpr_spill_count: 0
    .symbol:         _ZN7rocprim17ROCPRIM_400000_NS6detail17trampoline_kernelINS0_14default_configENS1_25transform_config_selectorIiLb0EEEZNS1_14transform_implILb0ES3_S5_N6thrust23THRUST_200600_302600_NS6detail15normal_iteratorINS8_10device_ptrIiEEEEPiNS0_8identityIiEEEE10hipError_tT2_T3_mT4_P12ihipStream_tbEUlT_E_NS1_11comp_targetILNS1_3genE0ELNS1_11target_archE4294967295ELNS1_3gpuE0ELNS1_3repE0EEENS1_30default_config_static_selectorELNS0_4arch9wavefront6targetE1EEEvT1_.kd
    .uniform_work_group_size: 1
    .uses_dynamic_stack: false
    .vgpr_count:     7
    .vgpr_spill_count: 0
    .wavefront_size: 64
  - .agpr_count:     0
    .args:
      - .offset:         0
        .size:           40
        .value_kind:     by_value
    .group_segment_fixed_size: 0
    .kernarg_segment_align: 8
    .kernarg_segment_size: 40
    .language:       OpenCL C
    .language_version:
      - 2
      - 0
    .max_flat_workgroup_size: 512
    .name:           _ZN7rocprim17ROCPRIM_400000_NS6detail17trampoline_kernelINS0_14default_configENS1_25transform_config_selectorIiLb0EEEZNS1_14transform_implILb0ES3_S5_N6thrust23THRUST_200600_302600_NS6detail15normal_iteratorINS8_10device_ptrIiEEEEPiNS0_8identityIiEEEE10hipError_tT2_T3_mT4_P12ihipStream_tbEUlT_E_NS1_11comp_targetILNS1_3genE5ELNS1_11target_archE942ELNS1_3gpuE9ELNS1_3repE0EEENS1_30default_config_static_selectorELNS0_4arch9wavefront6targetE1EEEvT1_
    .private_segment_fixed_size: 0
    .sgpr_count:     6
    .sgpr_spill_count: 0
    .symbol:         _ZN7rocprim17ROCPRIM_400000_NS6detail17trampoline_kernelINS0_14default_configENS1_25transform_config_selectorIiLb0EEEZNS1_14transform_implILb0ES3_S5_N6thrust23THRUST_200600_302600_NS6detail15normal_iteratorINS8_10device_ptrIiEEEEPiNS0_8identityIiEEEE10hipError_tT2_T3_mT4_P12ihipStream_tbEUlT_E_NS1_11comp_targetILNS1_3genE5ELNS1_11target_archE942ELNS1_3gpuE9ELNS1_3repE0EEENS1_30default_config_static_selectorELNS0_4arch9wavefront6targetE1EEEvT1_.kd
    .uniform_work_group_size: 1
    .uses_dynamic_stack: false
    .vgpr_count:     0
    .vgpr_spill_count: 0
    .wavefront_size: 64
  - .agpr_count:     0
    .args:
      - .offset:         0
        .size:           40
        .value_kind:     by_value
    .group_segment_fixed_size: 0
    .kernarg_segment_align: 8
    .kernarg_segment_size: 40
    .language:       OpenCL C
    .language_version:
      - 2
      - 0
    .max_flat_workgroup_size: 1024
    .name:           _ZN7rocprim17ROCPRIM_400000_NS6detail17trampoline_kernelINS0_14default_configENS1_25transform_config_selectorIiLb0EEEZNS1_14transform_implILb0ES3_S5_N6thrust23THRUST_200600_302600_NS6detail15normal_iteratorINS8_10device_ptrIiEEEEPiNS0_8identityIiEEEE10hipError_tT2_T3_mT4_P12ihipStream_tbEUlT_E_NS1_11comp_targetILNS1_3genE4ELNS1_11target_archE910ELNS1_3gpuE8ELNS1_3repE0EEENS1_30default_config_static_selectorELNS0_4arch9wavefront6targetE1EEEvT1_
    .private_segment_fixed_size: 0
    .sgpr_count:     6
    .sgpr_spill_count: 0
    .symbol:         _ZN7rocprim17ROCPRIM_400000_NS6detail17trampoline_kernelINS0_14default_configENS1_25transform_config_selectorIiLb0EEEZNS1_14transform_implILb0ES3_S5_N6thrust23THRUST_200600_302600_NS6detail15normal_iteratorINS8_10device_ptrIiEEEEPiNS0_8identityIiEEEE10hipError_tT2_T3_mT4_P12ihipStream_tbEUlT_E_NS1_11comp_targetILNS1_3genE4ELNS1_11target_archE910ELNS1_3gpuE8ELNS1_3repE0EEENS1_30default_config_static_selectorELNS0_4arch9wavefront6targetE1EEEvT1_.kd
    .uniform_work_group_size: 1
    .uses_dynamic_stack: false
    .vgpr_count:     0
    .vgpr_spill_count: 0
    .wavefront_size: 64
  - .agpr_count:     0
    .args:
      - .offset:         0
        .size:           40
        .value_kind:     by_value
    .group_segment_fixed_size: 0
    .kernarg_segment_align: 8
    .kernarg_segment_size: 40
    .language:       OpenCL C
    .language_version:
      - 2
      - 0
    .max_flat_workgroup_size: 128
    .name:           _ZN7rocprim17ROCPRIM_400000_NS6detail17trampoline_kernelINS0_14default_configENS1_25transform_config_selectorIiLb0EEEZNS1_14transform_implILb0ES3_S5_N6thrust23THRUST_200600_302600_NS6detail15normal_iteratorINS8_10device_ptrIiEEEEPiNS0_8identityIiEEEE10hipError_tT2_T3_mT4_P12ihipStream_tbEUlT_E_NS1_11comp_targetILNS1_3genE3ELNS1_11target_archE908ELNS1_3gpuE7ELNS1_3repE0EEENS1_30default_config_static_selectorELNS0_4arch9wavefront6targetE1EEEvT1_
    .private_segment_fixed_size: 0
    .sgpr_count:     6
    .sgpr_spill_count: 0
    .symbol:         _ZN7rocprim17ROCPRIM_400000_NS6detail17trampoline_kernelINS0_14default_configENS1_25transform_config_selectorIiLb0EEEZNS1_14transform_implILb0ES3_S5_N6thrust23THRUST_200600_302600_NS6detail15normal_iteratorINS8_10device_ptrIiEEEEPiNS0_8identityIiEEEE10hipError_tT2_T3_mT4_P12ihipStream_tbEUlT_E_NS1_11comp_targetILNS1_3genE3ELNS1_11target_archE908ELNS1_3gpuE7ELNS1_3repE0EEENS1_30default_config_static_selectorELNS0_4arch9wavefront6targetE1EEEvT1_.kd
    .uniform_work_group_size: 1
    .uses_dynamic_stack: false
    .vgpr_count:     0
    .vgpr_spill_count: 0
    .wavefront_size: 64
  - .agpr_count:     0
    .args:
      - .offset:         0
        .size:           40
        .value_kind:     by_value
    .group_segment_fixed_size: 0
    .kernarg_segment_align: 8
    .kernarg_segment_size: 40
    .language:       OpenCL C
    .language_version:
      - 2
      - 0
    .max_flat_workgroup_size: 1024
    .name:           _ZN7rocprim17ROCPRIM_400000_NS6detail17trampoline_kernelINS0_14default_configENS1_25transform_config_selectorIiLb0EEEZNS1_14transform_implILb0ES3_S5_N6thrust23THRUST_200600_302600_NS6detail15normal_iteratorINS8_10device_ptrIiEEEEPiNS0_8identityIiEEEE10hipError_tT2_T3_mT4_P12ihipStream_tbEUlT_E_NS1_11comp_targetILNS1_3genE2ELNS1_11target_archE906ELNS1_3gpuE6ELNS1_3repE0EEENS1_30default_config_static_selectorELNS0_4arch9wavefront6targetE1EEEvT1_
    .private_segment_fixed_size: 0
    .sgpr_count:     6
    .sgpr_spill_count: 0
    .symbol:         _ZN7rocprim17ROCPRIM_400000_NS6detail17trampoline_kernelINS0_14default_configENS1_25transform_config_selectorIiLb0EEEZNS1_14transform_implILb0ES3_S5_N6thrust23THRUST_200600_302600_NS6detail15normal_iteratorINS8_10device_ptrIiEEEEPiNS0_8identityIiEEEE10hipError_tT2_T3_mT4_P12ihipStream_tbEUlT_E_NS1_11comp_targetILNS1_3genE2ELNS1_11target_archE906ELNS1_3gpuE6ELNS1_3repE0EEENS1_30default_config_static_selectorELNS0_4arch9wavefront6targetE1EEEvT1_.kd
    .uniform_work_group_size: 1
    .uses_dynamic_stack: false
    .vgpr_count:     0
    .vgpr_spill_count: 0
    .wavefront_size: 64
  - .agpr_count:     0
    .args:
      - .offset:         0
        .size:           40
        .value_kind:     by_value
    .group_segment_fixed_size: 0
    .kernarg_segment_align: 8
    .kernarg_segment_size: 40
    .language:       OpenCL C
    .language_version:
      - 2
      - 0
    .max_flat_workgroup_size: 1024
    .name:           _ZN7rocprim17ROCPRIM_400000_NS6detail17trampoline_kernelINS0_14default_configENS1_25transform_config_selectorIiLb0EEEZNS1_14transform_implILb0ES3_S5_N6thrust23THRUST_200600_302600_NS6detail15normal_iteratorINS8_10device_ptrIiEEEEPiNS0_8identityIiEEEE10hipError_tT2_T3_mT4_P12ihipStream_tbEUlT_E_NS1_11comp_targetILNS1_3genE10ELNS1_11target_archE1201ELNS1_3gpuE5ELNS1_3repE0EEENS1_30default_config_static_selectorELNS0_4arch9wavefront6targetE1EEEvT1_
    .private_segment_fixed_size: 0
    .sgpr_count:     6
    .sgpr_spill_count: 0
    .symbol:         _ZN7rocprim17ROCPRIM_400000_NS6detail17trampoline_kernelINS0_14default_configENS1_25transform_config_selectorIiLb0EEEZNS1_14transform_implILb0ES3_S5_N6thrust23THRUST_200600_302600_NS6detail15normal_iteratorINS8_10device_ptrIiEEEEPiNS0_8identityIiEEEE10hipError_tT2_T3_mT4_P12ihipStream_tbEUlT_E_NS1_11comp_targetILNS1_3genE10ELNS1_11target_archE1201ELNS1_3gpuE5ELNS1_3repE0EEENS1_30default_config_static_selectorELNS0_4arch9wavefront6targetE1EEEvT1_.kd
    .uniform_work_group_size: 1
    .uses_dynamic_stack: false
    .vgpr_count:     0
    .vgpr_spill_count: 0
    .wavefront_size: 64
  - .agpr_count:     0
    .args:
      - .offset:         0
        .size:           40
        .value_kind:     by_value
    .group_segment_fixed_size: 0
    .kernarg_segment_align: 8
    .kernarg_segment_size: 40
    .language:       OpenCL C
    .language_version:
      - 2
      - 0
    .max_flat_workgroup_size: 512
    .name:           _ZN7rocprim17ROCPRIM_400000_NS6detail17trampoline_kernelINS0_14default_configENS1_25transform_config_selectorIiLb0EEEZNS1_14transform_implILb0ES3_S5_N6thrust23THRUST_200600_302600_NS6detail15normal_iteratorINS8_10device_ptrIiEEEEPiNS0_8identityIiEEEE10hipError_tT2_T3_mT4_P12ihipStream_tbEUlT_E_NS1_11comp_targetILNS1_3genE10ELNS1_11target_archE1200ELNS1_3gpuE4ELNS1_3repE0EEENS1_30default_config_static_selectorELNS0_4arch9wavefront6targetE1EEEvT1_
    .private_segment_fixed_size: 0
    .sgpr_count:     6
    .sgpr_spill_count: 0
    .symbol:         _ZN7rocprim17ROCPRIM_400000_NS6detail17trampoline_kernelINS0_14default_configENS1_25transform_config_selectorIiLb0EEEZNS1_14transform_implILb0ES3_S5_N6thrust23THRUST_200600_302600_NS6detail15normal_iteratorINS8_10device_ptrIiEEEEPiNS0_8identityIiEEEE10hipError_tT2_T3_mT4_P12ihipStream_tbEUlT_E_NS1_11comp_targetILNS1_3genE10ELNS1_11target_archE1200ELNS1_3gpuE4ELNS1_3repE0EEENS1_30default_config_static_selectorELNS0_4arch9wavefront6targetE1EEEvT1_.kd
    .uniform_work_group_size: 1
    .uses_dynamic_stack: false
    .vgpr_count:     0
    .vgpr_spill_count: 0
    .wavefront_size: 64
  - .agpr_count:     0
    .args:
      - .offset:         0
        .size:           40
        .value_kind:     by_value
    .group_segment_fixed_size: 0
    .kernarg_segment_align: 8
    .kernarg_segment_size: 40
    .language:       OpenCL C
    .language_version:
      - 2
      - 0
    .max_flat_workgroup_size: 64
    .name:           _ZN7rocprim17ROCPRIM_400000_NS6detail17trampoline_kernelINS0_14default_configENS1_25transform_config_selectorIiLb0EEEZNS1_14transform_implILb0ES3_S5_N6thrust23THRUST_200600_302600_NS6detail15normal_iteratorINS8_10device_ptrIiEEEEPiNS0_8identityIiEEEE10hipError_tT2_T3_mT4_P12ihipStream_tbEUlT_E_NS1_11comp_targetILNS1_3genE9ELNS1_11target_archE1100ELNS1_3gpuE3ELNS1_3repE0EEENS1_30default_config_static_selectorELNS0_4arch9wavefront6targetE1EEEvT1_
    .private_segment_fixed_size: 0
    .sgpr_count:     6
    .sgpr_spill_count: 0
    .symbol:         _ZN7rocprim17ROCPRIM_400000_NS6detail17trampoline_kernelINS0_14default_configENS1_25transform_config_selectorIiLb0EEEZNS1_14transform_implILb0ES3_S5_N6thrust23THRUST_200600_302600_NS6detail15normal_iteratorINS8_10device_ptrIiEEEEPiNS0_8identityIiEEEE10hipError_tT2_T3_mT4_P12ihipStream_tbEUlT_E_NS1_11comp_targetILNS1_3genE9ELNS1_11target_archE1100ELNS1_3gpuE3ELNS1_3repE0EEENS1_30default_config_static_selectorELNS0_4arch9wavefront6targetE1EEEvT1_.kd
    .uniform_work_group_size: 1
    .uses_dynamic_stack: false
    .vgpr_count:     0
    .vgpr_spill_count: 0
    .wavefront_size: 64
  - .agpr_count:     0
    .args:
      - .offset:         0
        .size:           40
        .value_kind:     by_value
    .group_segment_fixed_size: 0
    .kernarg_segment_align: 8
    .kernarg_segment_size: 40
    .language:       OpenCL C
    .language_version:
      - 2
      - 0
    .max_flat_workgroup_size: 256
    .name:           _ZN7rocprim17ROCPRIM_400000_NS6detail17trampoline_kernelINS0_14default_configENS1_25transform_config_selectorIiLb0EEEZNS1_14transform_implILb0ES3_S5_N6thrust23THRUST_200600_302600_NS6detail15normal_iteratorINS8_10device_ptrIiEEEEPiNS0_8identityIiEEEE10hipError_tT2_T3_mT4_P12ihipStream_tbEUlT_E_NS1_11comp_targetILNS1_3genE8ELNS1_11target_archE1030ELNS1_3gpuE2ELNS1_3repE0EEENS1_30default_config_static_selectorELNS0_4arch9wavefront6targetE1EEEvT1_
    .private_segment_fixed_size: 0
    .sgpr_count:     6
    .sgpr_spill_count: 0
    .symbol:         _ZN7rocprim17ROCPRIM_400000_NS6detail17trampoline_kernelINS0_14default_configENS1_25transform_config_selectorIiLb0EEEZNS1_14transform_implILb0ES3_S5_N6thrust23THRUST_200600_302600_NS6detail15normal_iteratorINS8_10device_ptrIiEEEEPiNS0_8identityIiEEEE10hipError_tT2_T3_mT4_P12ihipStream_tbEUlT_E_NS1_11comp_targetILNS1_3genE8ELNS1_11target_archE1030ELNS1_3gpuE2ELNS1_3repE0EEENS1_30default_config_static_selectorELNS0_4arch9wavefront6targetE1EEEvT1_.kd
    .uniform_work_group_size: 1
    .uses_dynamic_stack: false
    .vgpr_count:     0
    .vgpr_spill_count: 0
    .wavefront_size: 64
  - .agpr_count:     0
    .args:
      - .offset:         0
        .size:           88
        .value_kind:     by_value
    .group_segment_fixed_size: 0
    .kernarg_segment_align: 8
    .kernarg_segment_size: 88
    .language:       OpenCL C
    .language_version:
      - 2
      - 0
    .max_flat_workgroup_size: 256
    .name:           _ZN7rocprim17ROCPRIM_400000_NS6detail17trampoline_kernelINS0_14default_configENS1_35radix_sort_onesweep_config_selectorIiiEEZZNS1_29radix_sort_onesweep_iterationIS3_Lb0EN6thrust23THRUST_200600_302600_NS6detail15normal_iteratorINS8_10device_ptrIiEEEESD_SD_SD_jNS0_19identity_decomposerENS1_16block_id_wrapperIjLb1EEEEE10hipError_tT1_PNSt15iterator_traitsISI_E10value_typeET2_T3_PNSJ_ISO_E10value_typeET4_T5_PST_SU_PNS1_23onesweep_lookback_stateEbbT6_jjT7_P12ihipStream_tbENKUlT_T0_SI_SN_E_clISD_SD_SD_SD_EEDaS11_S12_SI_SN_EUlS11_E_NS1_11comp_targetILNS1_3genE0ELNS1_11target_archE4294967295ELNS1_3gpuE0ELNS1_3repE0EEENS1_47radix_sort_onesweep_sort_config_static_selectorELNS0_4arch9wavefront6targetE1EEEvSI_
    .private_segment_fixed_size: 0
    .sgpr_count:     6
    .sgpr_spill_count: 0
    .symbol:         _ZN7rocprim17ROCPRIM_400000_NS6detail17trampoline_kernelINS0_14default_configENS1_35radix_sort_onesweep_config_selectorIiiEEZZNS1_29radix_sort_onesweep_iterationIS3_Lb0EN6thrust23THRUST_200600_302600_NS6detail15normal_iteratorINS8_10device_ptrIiEEEESD_SD_SD_jNS0_19identity_decomposerENS1_16block_id_wrapperIjLb1EEEEE10hipError_tT1_PNSt15iterator_traitsISI_E10value_typeET2_T3_PNSJ_ISO_E10value_typeET4_T5_PST_SU_PNS1_23onesweep_lookback_stateEbbT6_jjT7_P12ihipStream_tbENKUlT_T0_SI_SN_E_clISD_SD_SD_SD_EEDaS11_S12_SI_SN_EUlS11_E_NS1_11comp_targetILNS1_3genE0ELNS1_11target_archE4294967295ELNS1_3gpuE0ELNS1_3repE0EEENS1_47radix_sort_onesweep_sort_config_static_selectorELNS0_4arch9wavefront6targetE1EEEvSI_.kd
    .uniform_work_group_size: 1
    .uses_dynamic_stack: false
    .vgpr_count:     0
    .vgpr_spill_count: 0
    .wavefront_size: 64
  - .agpr_count:     0
    .args:
      - .offset:         0
        .size:           88
        .value_kind:     by_value
      - .offset:         88
        .size:           4
        .value_kind:     hidden_block_count_x
      - .offset:         92
        .size:           4
        .value_kind:     hidden_block_count_y
      - .offset:         96
        .size:           4
        .value_kind:     hidden_block_count_z
      - .offset:         100
        .size:           2
        .value_kind:     hidden_group_size_x
      - .offset:         102
        .size:           2
        .value_kind:     hidden_group_size_y
      - .offset:         104
        .size:           2
        .value_kind:     hidden_group_size_z
      - .offset:         106
        .size:           2
        .value_kind:     hidden_remainder_x
      - .offset:         108
        .size:           2
        .value_kind:     hidden_remainder_y
      - .offset:         110
        .size:           2
        .value_kind:     hidden_remainder_z
      - .offset:         128
        .size:           8
        .value_kind:     hidden_global_offset_x
      - .offset:         136
        .size:           8
        .value_kind:     hidden_global_offset_y
      - .offset:         144
        .size:           8
        .value_kind:     hidden_global_offset_z
      - .offset:         152
        .size:           2
        .value_kind:     hidden_grid_dims
    .group_segment_fixed_size: 20552
    .kernarg_segment_align: 8
    .kernarg_segment_size: 344
    .language:       OpenCL C
    .language_version:
      - 2
      - 0
    .max_flat_workgroup_size: 1024
    .name:           _ZN7rocprim17ROCPRIM_400000_NS6detail17trampoline_kernelINS0_14default_configENS1_35radix_sort_onesweep_config_selectorIiiEEZZNS1_29radix_sort_onesweep_iterationIS3_Lb0EN6thrust23THRUST_200600_302600_NS6detail15normal_iteratorINS8_10device_ptrIiEEEESD_SD_SD_jNS0_19identity_decomposerENS1_16block_id_wrapperIjLb1EEEEE10hipError_tT1_PNSt15iterator_traitsISI_E10value_typeET2_T3_PNSJ_ISO_E10value_typeET4_T5_PST_SU_PNS1_23onesweep_lookback_stateEbbT6_jjT7_P12ihipStream_tbENKUlT_T0_SI_SN_E_clISD_SD_SD_SD_EEDaS11_S12_SI_SN_EUlS11_E_NS1_11comp_targetILNS1_3genE6ELNS1_11target_archE950ELNS1_3gpuE13ELNS1_3repE0EEENS1_47radix_sort_onesweep_sort_config_static_selectorELNS0_4arch9wavefront6targetE1EEEvSI_
    .private_segment_fixed_size: 80
    .sgpr_count:     79
    .sgpr_spill_count: 0
    .symbol:         _ZN7rocprim17ROCPRIM_400000_NS6detail17trampoline_kernelINS0_14default_configENS1_35radix_sort_onesweep_config_selectorIiiEEZZNS1_29radix_sort_onesweep_iterationIS3_Lb0EN6thrust23THRUST_200600_302600_NS6detail15normal_iteratorINS8_10device_ptrIiEEEESD_SD_SD_jNS0_19identity_decomposerENS1_16block_id_wrapperIjLb1EEEEE10hipError_tT1_PNSt15iterator_traitsISI_E10value_typeET2_T3_PNSJ_ISO_E10value_typeET4_T5_PST_SU_PNS1_23onesweep_lookback_stateEbbT6_jjT7_P12ihipStream_tbENKUlT_T0_SI_SN_E_clISD_SD_SD_SD_EEDaS11_S12_SI_SN_EUlS11_E_NS1_11comp_targetILNS1_3genE6ELNS1_11target_archE950ELNS1_3gpuE13ELNS1_3repE0EEENS1_47radix_sort_onesweep_sort_config_static_selectorELNS0_4arch9wavefront6targetE1EEEvSI_.kd
    .uniform_work_group_size: 1
    .uses_dynamic_stack: false
    .vgpr_count:     89
    .vgpr_spill_count: 0
    .wavefront_size: 64
  - .agpr_count:     0
    .args:
      - .offset:         0
        .size:           88
        .value_kind:     by_value
    .group_segment_fixed_size: 0
    .kernarg_segment_align: 8
    .kernarg_segment_size: 88
    .language:       OpenCL C
    .language_version:
      - 2
      - 0
    .max_flat_workgroup_size: 1024
    .name:           _ZN7rocprim17ROCPRIM_400000_NS6detail17trampoline_kernelINS0_14default_configENS1_35radix_sort_onesweep_config_selectorIiiEEZZNS1_29radix_sort_onesweep_iterationIS3_Lb0EN6thrust23THRUST_200600_302600_NS6detail15normal_iteratorINS8_10device_ptrIiEEEESD_SD_SD_jNS0_19identity_decomposerENS1_16block_id_wrapperIjLb1EEEEE10hipError_tT1_PNSt15iterator_traitsISI_E10value_typeET2_T3_PNSJ_ISO_E10value_typeET4_T5_PST_SU_PNS1_23onesweep_lookback_stateEbbT6_jjT7_P12ihipStream_tbENKUlT_T0_SI_SN_E_clISD_SD_SD_SD_EEDaS11_S12_SI_SN_EUlS11_E_NS1_11comp_targetILNS1_3genE5ELNS1_11target_archE942ELNS1_3gpuE9ELNS1_3repE0EEENS1_47radix_sort_onesweep_sort_config_static_selectorELNS0_4arch9wavefront6targetE1EEEvSI_
    .private_segment_fixed_size: 0
    .sgpr_count:     6
    .sgpr_spill_count: 0
    .symbol:         _ZN7rocprim17ROCPRIM_400000_NS6detail17trampoline_kernelINS0_14default_configENS1_35radix_sort_onesweep_config_selectorIiiEEZZNS1_29radix_sort_onesweep_iterationIS3_Lb0EN6thrust23THRUST_200600_302600_NS6detail15normal_iteratorINS8_10device_ptrIiEEEESD_SD_SD_jNS0_19identity_decomposerENS1_16block_id_wrapperIjLb1EEEEE10hipError_tT1_PNSt15iterator_traitsISI_E10value_typeET2_T3_PNSJ_ISO_E10value_typeET4_T5_PST_SU_PNS1_23onesweep_lookback_stateEbbT6_jjT7_P12ihipStream_tbENKUlT_T0_SI_SN_E_clISD_SD_SD_SD_EEDaS11_S12_SI_SN_EUlS11_E_NS1_11comp_targetILNS1_3genE5ELNS1_11target_archE942ELNS1_3gpuE9ELNS1_3repE0EEENS1_47radix_sort_onesweep_sort_config_static_selectorELNS0_4arch9wavefront6targetE1EEEvSI_.kd
    .uniform_work_group_size: 1
    .uses_dynamic_stack: false
    .vgpr_count:     0
    .vgpr_spill_count: 0
    .wavefront_size: 64
  - .agpr_count:     0
    .args:
      - .offset:         0
        .size:           88
        .value_kind:     by_value
    .group_segment_fixed_size: 0
    .kernarg_segment_align: 8
    .kernarg_segment_size: 88
    .language:       OpenCL C
    .language_version:
      - 2
      - 0
    .max_flat_workgroup_size: 512
    .name:           _ZN7rocprim17ROCPRIM_400000_NS6detail17trampoline_kernelINS0_14default_configENS1_35radix_sort_onesweep_config_selectorIiiEEZZNS1_29radix_sort_onesweep_iterationIS3_Lb0EN6thrust23THRUST_200600_302600_NS6detail15normal_iteratorINS8_10device_ptrIiEEEESD_SD_SD_jNS0_19identity_decomposerENS1_16block_id_wrapperIjLb1EEEEE10hipError_tT1_PNSt15iterator_traitsISI_E10value_typeET2_T3_PNSJ_ISO_E10value_typeET4_T5_PST_SU_PNS1_23onesweep_lookback_stateEbbT6_jjT7_P12ihipStream_tbENKUlT_T0_SI_SN_E_clISD_SD_SD_SD_EEDaS11_S12_SI_SN_EUlS11_E_NS1_11comp_targetILNS1_3genE2ELNS1_11target_archE906ELNS1_3gpuE6ELNS1_3repE0EEENS1_47radix_sort_onesweep_sort_config_static_selectorELNS0_4arch9wavefront6targetE1EEEvSI_
    .private_segment_fixed_size: 0
    .sgpr_count:     6
    .sgpr_spill_count: 0
    .symbol:         _ZN7rocprim17ROCPRIM_400000_NS6detail17trampoline_kernelINS0_14default_configENS1_35radix_sort_onesweep_config_selectorIiiEEZZNS1_29radix_sort_onesweep_iterationIS3_Lb0EN6thrust23THRUST_200600_302600_NS6detail15normal_iteratorINS8_10device_ptrIiEEEESD_SD_SD_jNS0_19identity_decomposerENS1_16block_id_wrapperIjLb1EEEEE10hipError_tT1_PNSt15iterator_traitsISI_E10value_typeET2_T3_PNSJ_ISO_E10value_typeET4_T5_PST_SU_PNS1_23onesweep_lookback_stateEbbT6_jjT7_P12ihipStream_tbENKUlT_T0_SI_SN_E_clISD_SD_SD_SD_EEDaS11_S12_SI_SN_EUlS11_E_NS1_11comp_targetILNS1_3genE2ELNS1_11target_archE906ELNS1_3gpuE6ELNS1_3repE0EEENS1_47radix_sort_onesweep_sort_config_static_selectorELNS0_4arch9wavefront6targetE1EEEvSI_.kd
    .uniform_work_group_size: 1
    .uses_dynamic_stack: false
    .vgpr_count:     0
    .vgpr_spill_count: 0
    .wavefront_size: 64
  - .agpr_count:     0
    .args:
      - .offset:         0
        .size:           88
        .value_kind:     by_value
    .group_segment_fixed_size: 0
    .kernarg_segment_align: 8
    .kernarg_segment_size: 88
    .language:       OpenCL C
    .language_version:
      - 2
      - 0
    .max_flat_workgroup_size: 512
    .name:           _ZN7rocprim17ROCPRIM_400000_NS6detail17trampoline_kernelINS0_14default_configENS1_35radix_sort_onesweep_config_selectorIiiEEZZNS1_29radix_sort_onesweep_iterationIS3_Lb0EN6thrust23THRUST_200600_302600_NS6detail15normal_iteratorINS8_10device_ptrIiEEEESD_SD_SD_jNS0_19identity_decomposerENS1_16block_id_wrapperIjLb1EEEEE10hipError_tT1_PNSt15iterator_traitsISI_E10value_typeET2_T3_PNSJ_ISO_E10value_typeET4_T5_PST_SU_PNS1_23onesweep_lookback_stateEbbT6_jjT7_P12ihipStream_tbENKUlT_T0_SI_SN_E_clISD_SD_SD_SD_EEDaS11_S12_SI_SN_EUlS11_E_NS1_11comp_targetILNS1_3genE4ELNS1_11target_archE910ELNS1_3gpuE8ELNS1_3repE0EEENS1_47radix_sort_onesweep_sort_config_static_selectorELNS0_4arch9wavefront6targetE1EEEvSI_
    .private_segment_fixed_size: 0
    .sgpr_count:     6
    .sgpr_spill_count: 0
    .symbol:         _ZN7rocprim17ROCPRIM_400000_NS6detail17trampoline_kernelINS0_14default_configENS1_35radix_sort_onesweep_config_selectorIiiEEZZNS1_29radix_sort_onesweep_iterationIS3_Lb0EN6thrust23THRUST_200600_302600_NS6detail15normal_iteratorINS8_10device_ptrIiEEEESD_SD_SD_jNS0_19identity_decomposerENS1_16block_id_wrapperIjLb1EEEEE10hipError_tT1_PNSt15iterator_traitsISI_E10value_typeET2_T3_PNSJ_ISO_E10value_typeET4_T5_PST_SU_PNS1_23onesweep_lookback_stateEbbT6_jjT7_P12ihipStream_tbENKUlT_T0_SI_SN_E_clISD_SD_SD_SD_EEDaS11_S12_SI_SN_EUlS11_E_NS1_11comp_targetILNS1_3genE4ELNS1_11target_archE910ELNS1_3gpuE8ELNS1_3repE0EEENS1_47radix_sort_onesweep_sort_config_static_selectorELNS0_4arch9wavefront6targetE1EEEvSI_.kd
    .uniform_work_group_size: 1
    .uses_dynamic_stack: false
    .vgpr_count:     0
    .vgpr_spill_count: 0
    .wavefront_size: 64
  - .agpr_count:     0
    .args:
      - .offset:         0
        .size:           88
        .value_kind:     by_value
    .group_segment_fixed_size: 0
    .kernarg_segment_align: 8
    .kernarg_segment_size: 88
    .language:       OpenCL C
    .language_version:
      - 2
      - 0
    .max_flat_workgroup_size: 256
    .name:           _ZN7rocprim17ROCPRIM_400000_NS6detail17trampoline_kernelINS0_14default_configENS1_35radix_sort_onesweep_config_selectorIiiEEZZNS1_29radix_sort_onesweep_iterationIS3_Lb0EN6thrust23THRUST_200600_302600_NS6detail15normal_iteratorINS8_10device_ptrIiEEEESD_SD_SD_jNS0_19identity_decomposerENS1_16block_id_wrapperIjLb1EEEEE10hipError_tT1_PNSt15iterator_traitsISI_E10value_typeET2_T3_PNSJ_ISO_E10value_typeET4_T5_PST_SU_PNS1_23onesweep_lookback_stateEbbT6_jjT7_P12ihipStream_tbENKUlT_T0_SI_SN_E_clISD_SD_SD_SD_EEDaS11_S12_SI_SN_EUlS11_E_NS1_11comp_targetILNS1_3genE3ELNS1_11target_archE908ELNS1_3gpuE7ELNS1_3repE0EEENS1_47radix_sort_onesweep_sort_config_static_selectorELNS0_4arch9wavefront6targetE1EEEvSI_
    .private_segment_fixed_size: 0
    .sgpr_count:     6
    .sgpr_spill_count: 0
    .symbol:         _ZN7rocprim17ROCPRIM_400000_NS6detail17trampoline_kernelINS0_14default_configENS1_35radix_sort_onesweep_config_selectorIiiEEZZNS1_29radix_sort_onesweep_iterationIS3_Lb0EN6thrust23THRUST_200600_302600_NS6detail15normal_iteratorINS8_10device_ptrIiEEEESD_SD_SD_jNS0_19identity_decomposerENS1_16block_id_wrapperIjLb1EEEEE10hipError_tT1_PNSt15iterator_traitsISI_E10value_typeET2_T3_PNSJ_ISO_E10value_typeET4_T5_PST_SU_PNS1_23onesweep_lookback_stateEbbT6_jjT7_P12ihipStream_tbENKUlT_T0_SI_SN_E_clISD_SD_SD_SD_EEDaS11_S12_SI_SN_EUlS11_E_NS1_11comp_targetILNS1_3genE3ELNS1_11target_archE908ELNS1_3gpuE7ELNS1_3repE0EEENS1_47radix_sort_onesweep_sort_config_static_selectorELNS0_4arch9wavefront6targetE1EEEvSI_.kd
    .uniform_work_group_size: 1
    .uses_dynamic_stack: false
    .vgpr_count:     0
    .vgpr_spill_count: 0
    .wavefront_size: 64
  - .agpr_count:     0
    .args:
      - .offset:         0
        .size:           88
        .value_kind:     by_value
    .group_segment_fixed_size: 0
    .kernarg_segment_align: 8
    .kernarg_segment_size: 88
    .language:       OpenCL C
    .language_version:
      - 2
      - 0
    .max_flat_workgroup_size: 1024
    .name:           _ZN7rocprim17ROCPRIM_400000_NS6detail17trampoline_kernelINS0_14default_configENS1_35radix_sort_onesweep_config_selectorIiiEEZZNS1_29radix_sort_onesweep_iterationIS3_Lb0EN6thrust23THRUST_200600_302600_NS6detail15normal_iteratorINS8_10device_ptrIiEEEESD_SD_SD_jNS0_19identity_decomposerENS1_16block_id_wrapperIjLb1EEEEE10hipError_tT1_PNSt15iterator_traitsISI_E10value_typeET2_T3_PNSJ_ISO_E10value_typeET4_T5_PST_SU_PNS1_23onesweep_lookback_stateEbbT6_jjT7_P12ihipStream_tbENKUlT_T0_SI_SN_E_clISD_SD_SD_SD_EEDaS11_S12_SI_SN_EUlS11_E_NS1_11comp_targetILNS1_3genE10ELNS1_11target_archE1201ELNS1_3gpuE5ELNS1_3repE0EEENS1_47radix_sort_onesweep_sort_config_static_selectorELNS0_4arch9wavefront6targetE1EEEvSI_
    .private_segment_fixed_size: 0
    .sgpr_count:     6
    .sgpr_spill_count: 0
    .symbol:         _ZN7rocprim17ROCPRIM_400000_NS6detail17trampoline_kernelINS0_14default_configENS1_35radix_sort_onesweep_config_selectorIiiEEZZNS1_29radix_sort_onesweep_iterationIS3_Lb0EN6thrust23THRUST_200600_302600_NS6detail15normal_iteratorINS8_10device_ptrIiEEEESD_SD_SD_jNS0_19identity_decomposerENS1_16block_id_wrapperIjLb1EEEEE10hipError_tT1_PNSt15iterator_traitsISI_E10value_typeET2_T3_PNSJ_ISO_E10value_typeET4_T5_PST_SU_PNS1_23onesweep_lookback_stateEbbT6_jjT7_P12ihipStream_tbENKUlT_T0_SI_SN_E_clISD_SD_SD_SD_EEDaS11_S12_SI_SN_EUlS11_E_NS1_11comp_targetILNS1_3genE10ELNS1_11target_archE1201ELNS1_3gpuE5ELNS1_3repE0EEENS1_47radix_sort_onesweep_sort_config_static_selectorELNS0_4arch9wavefront6targetE1EEEvSI_.kd
    .uniform_work_group_size: 1
    .uses_dynamic_stack: false
    .vgpr_count:     0
    .vgpr_spill_count: 0
    .wavefront_size: 64
  - .agpr_count:     0
    .args:
      - .offset:         0
        .size:           88
        .value_kind:     by_value
    .group_segment_fixed_size: 0
    .kernarg_segment_align: 8
    .kernarg_segment_size: 88
    .language:       OpenCL C
    .language_version:
      - 2
      - 0
    .max_flat_workgroup_size: 1024
    .name:           _ZN7rocprim17ROCPRIM_400000_NS6detail17trampoline_kernelINS0_14default_configENS1_35radix_sort_onesweep_config_selectorIiiEEZZNS1_29radix_sort_onesweep_iterationIS3_Lb0EN6thrust23THRUST_200600_302600_NS6detail15normal_iteratorINS8_10device_ptrIiEEEESD_SD_SD_jNS0_19identity_decomposerENS1_16block_id_wrapperIjLb1EEEEE10hipError_tT1_PNSt15iterator_traitsISI_E10value_typeET2_T3_PNSJ_ISO_E10value_typeET4_T5_PST_SU_PNS1_23onesweep_lookback_stateEbbT6_jjT7_P12ihipStream_tbENKUlT_T0_SI_SN_E_clISD_SD_SD_SD_EEDaS11_S12_SI_SN_EUlS11_E_NS1_11comp_targetILNS1_3genE9ELNS1_11target_archE1100ELNS1_3gpuE3ELNS1_3repE0EEENS1_47radix_sort_onesweep_sort_config_static_selectorELNS0_4arch9wavefront6targetE1EEEvSI_
    .private_segment_fixed_size: 0
    .sgpr_count:     6
    .sgpr_spill_count: 0
    .symbol:         _ZN7rocprim17ROCPRIM_400000_NS6detail17trampoline_kernelINS0_14default_configENS1_35radix_sort_onesweep_config_selectorIiiEEZZNS1_29radix_sort_onesweep_iterationIS3_Lb0EN6thrust23THRUST_200600_302600_NS6detail15normal_iteratorINS8_10device_ptrIiEEEESD_SD_SD_jNS0_19identity_decomposerENS1_16block_id_wrapperIjLb1EEEEE10hipError_tT1_PNSt15iterator_traitsISI_E10value_typeET2_T3_PNSJ_ISO_E10value_typeET4_T5_PST_SU_PNS1_23onesweep_lookback_stateEbbT6_jjT7_P12ihipStream_tbENKUlT_T0_SI_SN_E_clISD_SD_SD_SD_EEDaS11_S12_SI_SN_EUlS11_E_NS1_11comp_targetILNS1_3genE9ELNS1_11target_archE1100ELNS1_3gpuE3ELNS1_3repE0EEENS1_47radix_sort_onesweep_sort_config_static_selectorELNS0_4arch9wavefront6targetE1EEEvSI_.kd
    .uniform_work_group_size: 1
    .uses_dynamic_stack: false
    .vgpr_count:     0
    .vgpr_spill_count: 0
    .wavefront_size: 64
  - .agpr_count:     0
    .args:
      - .offset:         0
        .size:           88
        .value_kind:     by_value
    .group_segment_fixed_size: 0
    .kernarg_segment_align: 8
    .kernarg_segment_size: 88
    .language:       OpenCL C
    .language_version:
      - 2
      - 0
    .max_flat_workgroup_size: 1024
    .name:           _ZN7rocprim17ROCPRIM_400000_NS6detail17trampoline_kernelINS0_14default_configENS1_35radix_sort_onesweep_config_selectorIiiEEZZNS1_29radix_sort_onesweep_iterationIS3_Lb0EN6thrust23THRUST_200600_302600_NS6detail15normal_iteratorINS8_10device_ptrIiEEEESD_SD_SD_jNS0_19identity_decomposerENS1_16block_id_wrapperIjLb1EEEEE10hipError_tT1_PNSt15iterator_traitsISI_E10value_typeET2_T3_PNSJ_ISO_E10value_typeET4_T5_PST_SU_PNS1_23onesweep_lookback_stateEbbT6_jjT7_P12ihipStream_tbENKUlT_T0_SI_SN_E_clISD_SD_SD_SD_EEDaS11_S12_SI_SN_EUlS11_E_NS1_11comp_targetILNS1_3genE8ELNS1_11target_archE1030ELNS1_3gpuE2ELNS1_3repE0EEENS1_47radix_sort_onesweep_sort_config_static_selectorELNS0_4arch9wavefront6targetE1EEEvSI_
    .private_segment_fixed_size: 0
    .sgpr_count:     6
    .sgpr_spill_count: 0
    .symbol:         _ZN7rocprim17ROCPRIM_400000_NS6detail17trampoline_kernelINS0_14default_configENS1_35radix_sort_onesweep_config_selectorIiiEEZZNS1_29radix_sort_onesweep_iterationIS3_Lb0EN6thrust23THRUST_200600_302600_NS6detail15normal_iteratorINS8_10device_ptrIiEEEESD_SD_SD_jNS0_19identity_decomposerENS1_16block_id_wrapperIjLb1EEEEE10hipError_tT1_PNSt15iterator_traitsISI_E10value_typeET2_T3_PNSJ_ISO_E10value_typeET4_T5_PST_SU_PNS1_23onesweep_lookback_stateEbbT6_jjT7_P12ihipStream_tbENKUlT_T0_SI_SN_E_clISD_SD_SD_SD_EEDaS11_S12_SI_SN_EUlS11_E_NS1_11comp_targetILNS1_3genE8ELNS1_11target_archE1030ELNS1_3gpuE2ELNS1_3repE0EEENS1_47radix_sort_onesweep_sort_config_static_selectorELNS0_4arch9wavefront6targetE1EEEvSI_.kd
    .uniform_work_group_size: 1
    .uses_dynamic_stack: false
    .vgpr_count:     0
    .vgpr_spill_count: 0
    .wavefront_size: 64
  - .agpr_count:     0
    .args:
      - .offset:         0
        .size:           88
        .value_kind:     by_value
    .group_segment_fixed_size: 0
    .kernarg_segment_align: 8
    .kernarg_segment_size: 88
    .language:       OpenCL C
    .language_version:
      - 2
      - 0
    .max_flat_workgroup_size: 256
    .name:           _ZN7rocprim17ROCPRIM_400000_NS6detail17trampoline_kernelINS0_14default_configENS1_35radix_sort_onesweep_config_selectorIiiEEZZNS1_29radix_sort_onesweep_iterationIS3_Lb0EN6thrust23THRUST_200600_302600_NS6detail15normal_iteratorINS8_10device_ptrIiEEEESD_SD_SD_jNS0_19identity_decomposerENS1_16block_id_wrapperIjLb1EEEEE10hipError_tT1_PNSt15iterator_traitsISI_E10value_typeET2_T3_PNSJ_ISO_E10value_typeET4_T5_PST_SU_PNS1_23onesweep_lookback_stateEbbT6_jjT7_P12ihipStream_tbENKUlT_T0_SI_SN_E_clISD_PiSD_S15_EEDaS11_S12_SI_SN_EUlS11_E_NS1_11comp_targetILNS1_3genE0ELNS1_11target_archE4294967295ELNS1_3gpuE0ELNS1_3repE0EEENS1_47radix_sort_onesweep_sort_config_static_selectorELNS0_4arch9wavefront6targetE1EEEvSI_
    .private_segment_fixed_size: 0
    .sgpr_count:     6
    .sgpr_spill_count: 0
    .symbol:         _ZN7rocprim17ROCPRIM_400000_NS6detail17trampoline_kernelINS0_14default_configENS1_35radix_sort_onesweep_config_selectorIiiEEZZNS1_29radix_sort_onesweep_iterationIS3_Lb0EN6thrust23THRUST_200600_302600_NS6detail15normal_iteratorINS8_10device_ptrIiEEEESD_SD_SD_jNS0_19identity_decomposerENS1_16block_id_wrapperIjLb1EEEEE10hipError_tT1_PNSt15iterator_traitsISI_E10value_typeET2_T3_PNSJ_ISO_E10value_typeET4_T5_PST_SU_PNS1_23onesweep_lookback_stateEbbT6_jjT7_P12ihipStream_tbENKUlT_T0_SI_SN_E_clISD_PiSD_S15_EEDaS11_S12_SI_SN_EUlS11_E_NS1_11comp_targetILNS1_3genE0ELNS1_11target_archE4294967295ELNS1_3gpuE0ELNS1_3repE0EEENS1_47radix_sort_onesweep_sort_config_static_selectorELNS0_4arch9wavefront6targetE1EEEvSI_.kd
    .uniform_work_group_size: 1
    .uses_dynamic_stack: false
    .vgpr_count:     0
    .vgpr_spill_count: 0
    .wavefront_size: 64
  - .agpr_count:     0
    .args:
      - .offset:         0
        .size:           88
        .value_kind:     by_value
      - .offset:         88
        .size:           4
        .value_kind:     hidden_block_count_x
      - .offset:         92
        .size:           4
        .value_kind:     hidden_block_count_y
      - .offset:         96
        .size:           4
        .value_kind:     hidden_block_count_z
      - .offset:         100
        .size:           2
        .value_kind:     hidden_group_size_x
      - .offset:         102
        .size:           2
        .value_kind:     hidden_group_size_y
      - .offset:         104
        .size:           2
        .value_kind:     hidden_group_size_z
      - .offset:         106
        .size:           2
        .value_kind:     hidden_remainder_x
      - .offset:         108
        .size:           2
        .value_kind:     hidden_remainder_y
      - .offset:         110
        .size:           2
        .value_kind:     hidden_remainder_z
      - .offset:         128
        .size:           8
        .value_kind:     hidden_global_offset_x
      - .offset:         136
        .size:           8
        .value_kind:     hidden_global_offset_y
      - .offset:         144
        .size:           8
        .value_kind:     hidden_global_offset_z
      - .offset:         152
        .size:           2
        .value_kind:     hidden_grid_dims
    .group_segment_fixed_size: 20552
    .kernarg_segment_align: 8
    .kernarg_segment_size: 344
    .language:       OpenCL C
    .language_version:
      - 2
      - 0
    .max_flat_workgroup_size: 1024
    .name:           _ZN7rocprim17ROCPRIM_400000_NS6detail17trampoline_kernelINS0_14default_configENS1_35radix_sort_onesweep_config_selectorIiiEEZZNS1_29radix_sort_onesweep_iterationIS3_Lb0EN6thrust23THRUST_200600_302600_NS6detail15normal_iteratorINS8_10device_ptrIiEEEESD_SD_SD_jNS0_19identity_decomposerENS1_16block_id_wrapperIjLb1EEEEE10hipError_tT1_PNSt15iterator_traitsISI_E10value_typeET2_T3_PNSJ_ISO_E10value_typeET4_T5_PST_SU_PNS1_23onesweep_lookback_stateEbbT6_jjT7_P12ihipStream_tbENKUlT_T0_SI_SN_E_clISD_PiSD_S15_EEDaS11_S12_SI_SN_EUlS11_E_NS1_11comp_targetILNS1_3genE6ELNS1_11target_archE950ELNS1_3gpuE13ELNS1_3repE0EEENS1_47radix_sort_onesweep_sort_config_static_selectorELNS0_4arch9wavefront6targetE1EEEvSI_
    .private_segment_fixed_size: 80
    .sgpr_count:     79
    .sgpr_spill_count: 0
    .symbol:         _ZN7rocprim17ROCPRIM_400000_NS6detail17trampoline_kernelINS0_14default_configENS1_35radix_sort_onesweep_config_selectorIiiEEZZNS1_29radix_sort_onesweep_iterationIS3_Lb0EN6thrust23THRUST_200600_302600_NS6detail15normal_iteratorINS8_10device_ptrIiEEEESD_SD_SD_jNS0_19identity_decomposerENS1_16block_id_wrapperIjLb1EEEEE10hipError_tT1_PNSt15iterator_traitsISI_E10value_typeET2_T3_PNSJ_ISO_E10value_typeET4_T5_PST_SU_PNS1_23onesweep_lookback_stateEbbT6_jjT7_P12ihipStream_tbENKUlT_T0_SI_SN_E_clISD_PiSD_S15_EEDaS11_S12_SI_SN_EUlS11_E_NS1_11comp_targetILNS1_3genE6ELNS1_11target_archE950ELNS1_3gpuE13ELNS1_3repE0EEENS1_47radix_sort_onesweep_sort_config_static_selectorELNS0_4arch9wavefront6targetE1EEEvSI_.kd
    .uniform_work_group_size: 1
    .uses_dynamic_stack: false
    .vgpr_count:     89
    .vgpr_spill_count: 0
    .wavefront_size: 64
  - .agpr_count:     0
    .args:
      - .offset:         0
        .size:           88
        .value_kind:     by_value
    .group_segment_fixed_size: 0
    .kernarg_segment_align: 8
    .kernarg_segment_size: 88
    .language:       OpenCL C
    .language_version:
      - 2
      - 0
    .max_flat_workgroup_size: 1024
    .name:           _ZN7rocprim17ROCPRIM_400000_NS6detail17trampoline_kernelINS0_14default_configENS1_35radix_sort_onesweep_config_selectorIiiEEZZNS1_29radix_sort_onesweep_iterationIS3_Lb0EN6thrust23THRUST_200600_302600_NS6detail15normal_iteratorINS8_10device_ptrIiEEEESD_SD_SD_jNS0_19identity_decomposerENS1_16block_id_wrapperIjLb1EEEEE10hipError_tT1_PNSt15iterator_traitsISI_E10value_typeET2_T3_PNSJ_ISO_E10value_typeET4_T5_PST_SU_PNS1_23onesweep_lookback_stateEbbT6_jjT7_P12ihipStream_tbENKUlT_T0_SI_SN_E_clISD_PiSD_S15_EEDaS11_S12_SI_SN_EUlS11_E_NS1_11comp_targetILNS1_3genE5ELNS1_11target_archE942ELNS1_3gpuE9ELNS1_3repE0EEENS1_47radix_sort_onesweep_sort_config_static_selectorELNS0_4arch9wavefront6targetE1EEEvSI_
    .private_segment_fixed_size: 0
    .sgpr_count:     6
    .sgpr_spill_count: 0
    .symbol:         _ZN7rocprim17ROCPRIM_400000_NS6detail17trampoline_kernelINS0_14default_configENS1_35radix_sort_onesweep_config_selectorIiiEEZZNS1_29radix_sort_onesweep_iterationIS3_Lb0EN6thrust23THRUST_200600_302600_NS6detail15normal_iteratorINS8_10device_ptrIiEEEESD_SD_SD_jNS0_19identity_decomposerENS1_16block_id_wrapperIjLb1EEEEE10hipError_tT1_PNSt15iterator_traitsISI_E10value_typeET2_T3_PNSJ_ISO_E10value_typeET4_T5_PST_SU_PNS1_23onesweep_lookback_stateEbbT6_jjT7_P12ihipStream_tbENKUlT_T0_SI_SN_E_clISD_PiSD_S15_EEDaS11_S12_SI_SN_EUlS11_E_NS1_11comp_targetILNS1_3genE5ELNS1_11target_archE942ELNS1_3gpuE9ELNS1_3repE0EEENS1_47radix_sort_onesweep_sort_config_static_selectorELNS0_4arch9wavefront6targetE1EEEvSI_.kd
    .uniform_work_group_size: 1
    .uses_dynamic_stack: false
    .vgpr_count:     0
    .vgpr_spill_count: 0
    .wavefront_size: 64
  - .agpr_count:     0
    .args:
      - .offset:         0
        .size:           88
        .value_kind:     by_value
    .group_segment_fixed_size: 0
    .kernarg_segment_align: 8
    .kernarg_segment_size: 88
    .language:       OpenCL C
    .language_version:
      - 2
      - 0
    .max_flat_workgroup_size: 512
    .name:           _ZN7rocprim17ROCPRIM_400000_NS6detail17trampoline_kernelINS0_14default_configENS1_35radix_sort_onesweep_config_selectorIiiEEZZNS1_29radix_sort_onesweep_iterationIS3_Lb0EN6thrust23THRUST_200600_302600_NS6detail15normal_iteratorINS8_10device_ptrIiEEEESD_SD_SD_jNS0_19identity_decomposerENS1_16block_id_wrapperIjLb1EEEEE10hipError_tT1_PNSt15iterator_traitsISI_E10value_typeET2_T3_PNSJ_ISO_E10value_typeET4_T5_PST_SU_PNS1_23onesweep_lookback_stateEbbT6_jjT7_P12ihipStream_tbENKUlT_T0_SI_SN_E_clISD_PiSD_S15_EEDaS11_S12_SI_SN_EUlS11_E_NS1_11comp_targetILNS1_3genE2ELNS1_11target_archE906ELNS1_3gpuE6ELNS1_3repE0EEENS1_47radix_sort_onesweep_sort_config_static_selectorELNS0_4arch9wavefront6targetE1EEEvSI_
    .private_segment_fixed_size: 0
    .sgpr_count:     6
    .sgpr_spill_count: 0
    .symbol:         _ZN7rocprim17ROCPRIM_400000_NS6detail17trampoline_kernelINS0_14default_configENS1_35radix_sort_onesweep_config_selectorIiiEEZZNS1_29radix_sort_onesweep_iterationIS3_Lb0EN6thrust23THRUST_200600_302600_NS6detail15normal_iteratorINS8_10device_ptrIiEEEESD_SD_SD_jNS0_19identity_decomposerENS1_16block_id_wrapperIjLb1EEEEE10hipError_tT1_PNSt15iterator_traitsISI_E10value_typeET2_T3_PNSJ_ISO_E10value_typeET4_T5_PST_SU_PNS1_23onesweep_lookback_stateEbbT6_jjT7_P12ihipStream_tbENKUlT_T0_SI_SN_E_clISD_PiSD_S15_EEDaS11_S12_SI_SN_EUlS11_E_NS1_11comp_targetILNS1_3genE2ELNS1_11target_archE906ELNS1_3gpuE6ELNS1_3repE0EEENS1_47radix_sort_onesweep_sort_config_static_selectorELNS0_4arch9wavefront6targetE1EEEvSI_.kd
    .uniform_work_group_size: 1
    .uses_dynamic_stack: false
    .vgpr_count:     0
    .vgpr_spill_count: 0
    .wavefront_size: 64
  - .agpr_count:     0
    .args:
      - .offset:         0
        .size:           88
        .value_kind:     by_value
    .group_segment_fixed_size: 0
    .kernarg_segment_align: 8
    .kernarg_segment_size: 88
    .language:       OpenCL C
    .language_version:
      - 2
      - 0
    .max_flat_workgroup_size: 512
    .name:           _ZN7rocprim17ROCPRIM_400000_NS6detail17trampoline_kernelINS0_14default_configENS1_35radix_sort_onesweep_config_selectorIiiEEZZNS1_29radix_sort_onesweep_iterationIS3_Lb0EN6thrust23THRUST_200600_302600_NS6detail15normal_iteratorINS8_10device_ptrIiEEEESD_SD_SD_jNS0_19identity_decomposerENS1_16block_id_wrapperIjLb1EEEEE10hipError_tT1_PNSt15iterator_traitsISI_E10value_typeET2_T3_PNSJ_ISO_E10value_typeET4_T5_PST_SU_PNS1_23onesweep_lookback_stateEbbT6_jjT7_P12ihipStream_tbENKUlT_T0_SI_SN_E_clISD_PiSD_S15_EEDaS11_S12_SI_SN_EUlS11_E_NS1_11comp_targetILNS1_3genE4ELNS1_11target_archE910ELNS1_3gpuE8ELNS1_3repE0EEENS1_47radix_sort_onesweep_sort_config_static_selectorELNS0_4arch9wavefront6targetE1EEEvSI_
    .private_segment_fixed_size: 0
    .sgpr_count:     6
    .sgpr_spill_count: 0
    .symbol:         _ZN7rocprim17ROCPRIM_400000_NS6detail17trampoline_kernelINS0_14default_configENS1_35radix_sort_onesweep_config_selectorIiiEEZZNS1_29radix_sort_onesweep_iterationIS3_Lb0EN6thrust23THRUST_200600_302600_NS6detail15normal_iteratorINS8_10device_ptrIiEEEESD_SD_SD_jNS0_19identity_decomposerENS1_16block_id_wrapperIjLb1EEEEE10hipError_tT1_PNSt15iterator_traitsISI_E10value_typeET2_T3_PNSJ_ISO_E10value_typeET4_T5_PST_SU_PNS1_23onesweep_lookback_stateEbbT6_jjT7_P12ihipStream_tbENKUlT_T0_SI_SN_E_clISD_PiSD_S15_EEDaS11_S12_SI_SN_EUlS11_E_NS1_11comp_targetILNS1_3genE4ELNS1_11target_archE910ELNS1_3gpuE8ELNS1_3repE0EEENS1_47radix_sort_onesweep_sort_config_static_selectorELNS0_4arch9wavefront6targetE1EEEvSI_.kd
    .uniform_work_group_size: 1
    .uses_dynamic_stack: false
    .vgpr_count:     0
    .vgpr_spill_count: 0
    .wavefront_size: 64
  - .agpr_count:     0
    .args:
      - .offset:         0
        .size:           88
        .value_kind:     by_value
    .group_segment_fixed_size: 0
    .kernarg_segment_align: 8
    .kernarg_segment_size: 88
    .language:       OpenCL C
    .language_version:
      - 2
      - 0
    .max_flat_workgroup_size: 256
    .name:           _ZN7rocprim17ROCPRIM_400000_NS6detail17trampoline_kernelINS0_14default_configENS1_35radix_sort_onesweep_config_selectorIiiEEZZNS1_29radix_sort_onesweep_iterationIS3_Lb0EN6thrust23THRUST_200600_302600_NS6detail15normal_iteratorINS8_10device_ptrIiEEEESD_SD_SD_jNS0_19identity_decomposerENS1_16block_id_wrapperIjLb1EEEEE10hipError_tT1_PNSt15iterator_traitsISI_E10value_typeET2_T3_PNSJ_ISO_E10value_typeET4_T5_PST_SU_PNS1_23onesweep_lookback_stateEbbT6_jjT7_P12ihipStream_tbENKUlT_T0_SI_SN_E_clISD_PiSD_S15_EEDaS11_S12_SI_SN_EUlS11_E_NS1_11comp_targetILNS1_3genE3ELNS1_11target_archE908ELNS1_3gpuE7ELNS1_3repE0EEENS1_47radix_sort_onesweep_sort_config_static_selectorELNS0_4arch9wavefront6targetE1EEEvSI_
    .private_segment_fixed_size: 0
    .sgpr_count:     6
    .sgpr_spill_count: 0
    .symbol:         _ZN7rocprim17ROCPRIM_400000_NS6detail17trampoline_kernelINS0_14default_configENS1_35radix_sort_onesweep_config_selectorIiiEEZZNS1_29radix_sort_onesweep_iterationIS3_Lb0EN6thrust23THRUST_200600_302600_NS6detail15normal_iteratorINS8_10device_ptrIiEEEESD_SD_SD_jNS0_19identity_decomposerENS1_16block_id_wrapperIjLb1EEEEE10hipError_tT1_PNSt15iterator_traitsISI_E10value_typeET2_T3_PNSJ_ISO_E10value_typeET4_T5_PST_SU_PNS1_23onesweep_lookback_stateEbbT6_jjT7_P12ihipStream_tbENKUlT_T0_SI_SN_E_clISD_PiSD_S15_EEDaS11_S12_SI_SN_EUlS11_E_NS1_11comp_targetILNS1_3genE3ELNS1_11target_archE908ELNS1_3gpuE7ELNS1_3repE0EEENS1_47radix_sort_onesweep_sort_config_static_selectorELNS0_4arch9wavefront6targetE1EEEvSI_.kd
    .uniform_work_group_size: 1
    .uses_dynamic_stack: false
    .vgpr_count:     0
    .vgpr_spill_count: 0
    .wavefront_size: 64
  - .agpr_count:     0
    .args:
      - .offset:         0
        .size:           88
        .value_kind:     by_value
    .group_segment_fixed_size: 0
    .kernarg_segment_align: 8
    .kernarg_segment_size: 88
    .language:       OpenCL C
    .language_version:
      - 2
      - 0
    .max_flat_workgroup_size: 1024
    .name:           _ZN7rocprim17ROCPRIM_400000_NS6detail17trampoline_kernelINS0_14default_configENS1_35radix_sort_onesweep_config_selectorIiiEEZZNS1_29radix_sort_onesweep_iterationIS3_Lb0EN6thrust23THRUST_200600_302600_NS6detail15normal_iteratorINS8_10device_ptrIiEEEESD_SD_SD_jNS0_19identity_decomposerENS1_16block_id_wrapperIjLb1EEEEE10hipError_tT1_PNSt15iterator_traitsISI_E10value_typeET2_T3_PNSJ_ISO_E10value_typeET4_T5_PST_SU_PNS1_23onesweep_lookback_stateEbbT6_jjT7_P12ihipStream_tbENKUlT_T0_SI_SN_E_clISD_PiSD_S15_EEDaS11_S12_SI_SN_EUlS11_E_NS1_11comp_targetILNS1_3genE10ELNS1_11target_archE1201ELNS1_3gpuE5ELNS1_3repE0EEENS1_47radix_sort_onesweep_sort_config_static_selectorELNS0_4arch9wavefront6targetE1EEEvSI_
    .private_segment_fixed_size: 0
    .sgpr_count:     6
    .sgpr_spill_count: 0
    .symbol:         _ZN7rocprim17ROCPRIM_400000_NS6detail17trampoline_kernelINS0_14default_configENS1_35radix_sort_onesweep_config_selectorIiiEEZZNS1_29radix_sort_onesweep_iterationIS3_Lb0EN6thrust23THRUST_200600_302600_NS6detail15normal_iteratorINS8_10device_ptrIiEEEESD_SD_SD_jNS0_19identity_decomposerENS1_16block_id_wrapperIjLb1EEEEE10hipError_tT1_PNSt15iterator_traitsISI_E10value_typeET2_T3_PNSJ_ISO_E10value_typeET4_T5_PST_SU_PNS1_23onesweep_lookback_stateEbbT6_jjT7_P12ihipStream_tbENKUlT_T0_SI_SN_E_clISD_PiSD_S15_EEDaS11_S12_SI_SN_EUlS11_E_NS1_11comp_targetILNS1_3genE10ELNS1_11target_archE1201ELNS1_3gpuE5ELNS1_3repE0EEENS1_47radix_sort_onesweep_sort_config_static_selectorELNS0_4arch9wavefront6targetE1EEEvSI_.kd
    .uniform_work_group_size: 1
    .uses_dynamic_stack: false
    .vgpr_count:     0
    .vgpr_spill_count: 0
    .wavefront_size: 64
  - .agpr_count:     0
    .args:
      - .offset:         0
        .size:           88
        .value_kind:     by_value
    .group_segment_fixed_size: 0
    .kernarg_segment_align: 8
    .kernarg_segment_size: 88
    .language:       OpenCL C
    .language_version:
      - 2
      - 0
    .max_flat_workgroup_size: 1024
    .name:           _ZN7rocprim17ROCPRIM_400000_NS6detail17trampoline_kernelINS0_14default_configENS1_35radix_sort_onesweep_config_selectorIiiEEZZNS1_29radix_sort_onesweep_iterationIS3_Lb0EN6thrust23THRUST_200600_302600_NS6detail15normal_iteratorINS8_10device_ptrIiEEEESD_SD_SD_jNS0_19identity_decomposerENS1_16block_id_wrapperIjLb1EEEEE10hipError_tT1_PNSt15iterator_traitsISI_E10value_typeET2_T3_PNSJ_ISO_E10value_typeET4_T5_PST_SU_PNS1_23onesweep_lookback_stateEbbT6_jjT7_P12ihipStream_tbENKUlT_T0_SI_SN_E_clISD_PiSD_S15_EEDaS11_S12_SI_SN_EUlS11_E_NS1_11comp_targetILNS1_3genE9ELNS1_11target_archE1100ELNS1_3gpuE3ELNS1_3repE0EEENS1_47radix_sort_onesweep_sort_config_static_selectorELNS0_4arch9wavefront6targetE1EEEvSI_
    .private_segment_fixed_size: 0
    .sgpr_count:     6
    .sgpr_spill_count: 0
    .symbol:         _ZN7rocprim17ROCPRIM_400000_NS6detail17trampoline_kernelINS0_14default_configENS1_35radix_sort_onesweep_config_selectorIiiEEZZNS1_29radix_sort_onesweep_iterationIS3_Lb0EN6thrust23THRUST_200600_302600_NS6detail15normal_iteratorINS8_10device_ptrIiEEEESD_SD_SD_jNS0_19identity_decomposerENS1_16block_id_wrapperIjLb1EEEEE10hipError_tT1_PNSt15iterator_traitsISI_E10value_typeET2_T3_PNSJ_ISO_E10value_typeET4_T5_PST_SU_PNS1_23onesweep_lookback_stateEbbT6_jjT7_P12ihipStream_tbENKUlT_T0_SI_SN_E_clISD_PiSD_S15_EEDaS11_S12_SI_SN_EUlS11_E_NS1_11comp_targetILNS1_3genE9ELNS1_11target_archE1100ELNS1_3gpuE3ELNS1_3repE0EEENS1_47radix_sort_onesweep_sort_config_static_selectorELNS0_4arch9wavefront6targetE1EEEvSI_.kd
    .uniform_work_group_size: 1
    .uses_dynamic_stack: false
    .vgpr_count:     0
    .vgpr_spill_count: 0
    .wavefront_size: 64
  - .agpr_count:     0
    .args:
      - .offset:         0
        .size:           88
        .value_kind:     by_value
    .group_segment_fixed_size: 0
    .kernarg_segment_align: 8
    .kernarg_segment_size: 88
    .language:       OpenCL C
    .language_version:
      - 2
      - 0
    .max_flat_workgroup_size: 1024
    .name:           _ZN7rocprim17ROCPRIM_400000_NS6detail17trampoline_kernelINS0_14default_configENS1_35radix_sort_onesweep_config_selectorIiiEEZZNS1_29radix_sort_onesweep_iterationIS3_Lb0EN6thrust23THRUST_200600_302600_NS6detail15normal_iteratorINS8_10device_ptrIiEEEESD_SD_SD_jNS0_19identity_decomposerENS1_16block_id_wrapperIjLb1EEEEE10hipError_tT1_PNSt15iterator_traitsISI_E10value_typeET2_T3_PNSJ_ISO_E10value_typeET4_T5_PST_SU_PNS1_23onesweep_lookback_stateEbbT6_jjT7_P12ihipStream_tbENKUlT_T0_SI_SN_E_clISD_PiSD_S15_EEDaS11_S12_SI_SN_EUlS11_E_NS1_11comp_targetILNS1_3genE8ELNS1_11target_archE1030ELNS1_3gpuE2ELNS1_3repE0EEENS1_47radix_sort_onesweep_sort_config_static_selectorELNS0_4arch9wavefront6targetE1EEEvSI_
    .private_segment_fixed_size: 0
    .sgpr_count:     6
    .sgpr_spill_count: 0
    .symbol:         _ZN7rocprim17ROCPRIM_400000_NS6detail17trampoline_kernelINS0_14default_configENS1_35radix_sort_onesweep_config_selectorIiiEEZZNS1_29radix_sort_onesweep_iterationIS3_Lb0EN6thrust23THRUST_200600_302600_NS6detail15normal_iteratorINS8_10device_ptrIiEEEESD_SD_SD_jNS0_19identity_decomposerENS1_16block_id_wrapperIjLb1EEEEE10hipError_tT1_PNSt15iterator_traitsISI_E10value_typeET2_T3_PNSJ_ISO_E10value_typeET4_T5_PST_SU_PNS1_23onesweep_lookback_stateEbbT6_jjT7_P12ihipStream_tbENKUlT_T0_SI_SN_E_clISD_PiSD_S15_EEDaS11_S12_SI_SN_EUlS11_E_NS1_11comp_targetILNS1_3genE8ELNS1_11target_archE1030ELNS1_3gpuE2ELNS1_3repE0EEENS1_47radix_sort_onesweep_sort_config_static_selectorELNS0_4arch9wavefront6targetE1EEEvSI_.kd
    .uniform_work_group_size: 1
    .uses_dynamic_stack: false
    .vgpr_count:     0
    .vgpr_spill_count: 0
    .wavefront_size: 64
  - .agpr_count:     0
    .args:
      - .offset:         0
        .size:           88
        .value_kind:     by_value
    .group_segment_fixed_size: 0
    .kernarg_segment_align: 8
    .kernarg_segment_size: 88
    .language:       OpenCL C
    .language_version:
      - 2
      - 0
    .max_flat_workgroup_size: 256
    .name:           _ZN7rocprim17ROCPRIM_400000_NS6detail17trampoline_kernelINS0_14default_configENS1_35radix_sort_onesweep_config_selectorIiiEEZZNS1_29radix_sort_onesweep_iterationIS3_Lb0EN6thrust23THRUST_200600_302600_NS6detail15normal_iteratorINS8_10device_ptrIiEEEESD_SD_SD_jNS0_19identity_decomposerENS1_16block_id_wrapperIjLb1EEEEE10hipError_tT1_PNSt15iterator_traitsISI_E10value_typeET2_T3_PNSJ_ISO_E10value_typeET4_T5_PST_SU_PNS1_23onesweep_lookback_stateEbbT6_jjT7_P12ihipStream_tbENKUlT_T0_SI_SN_E_clIPiSD_S15_SD_EEDaS11_S12_SI_SN_EUlS11_E_NS1_11comp_targetILNS1_3genE0ELNS1_11target_archE4294967295ELNS1_3gpuE0ELNS1_3repE0EEENS1_47radix_sort_onesweep_sort_config_static_selectorELNS0_4arch9wavefront6targetE1EEEvSI_
    .private_segment_fixed_size: 0
    .sgpr_count:     6
    .sgpr_spill_count: 0
    .symbol:         _ZN7rocprim17ROCPRIM_400000_NS6detail17trampoline_kernelINS0_14default_configENS1_35radix_sort_onesweep_config_selectorIiiEEZZNS1_29radix_sort_onesweep_iterationIS3_Lb0EN6thrust23THRUST_200600_302600_NS6detail15normal_iteratorINS8_10device_ptrIiEEEESD_SD_SD_jNS0_19identity_decomposerENS1_16block_id_wrapperIjLb1EEEEE10hipError_tT1_PNSt15iterator_traitsISI_E10value_typeET2_T3_PNSJ_ISO_E10value_typeET4_T5_PST_SU_PNS1_23onesweep_lookback_stateEbbT6_jjT7_P12ihipStream_tbENKUlT_T0_SI_SN_E_clIPiSD_S15_SD_EEDaS11_S12_SI_SN_EUlS11_E_NS1_11comp_targetILNS1_3genE0ELNS1_11target_archE4294967295ELNS1_3gpuE0ELNS1_3repE0EEENS1_47radix_sort_onesweep_sort_config_static_selectorELNS0_4arch9wavefront6targetE1EEEvSI_.kd
    .uniform_work_group_size: 1
    .uses_dynamic_stack: false
    .vgpr_count:     0
    .vgpr_spill_count: 0
    .wavefront_size: 64
  - .agpr_count:     0
    .args:
      - .offset:         0
        .size:           88
        .value_kind:     by_value
      - .offset:         88
        .size:           4
        .value_kind:     hidden_block_count_x
      - .offset:         92
        .size:           4
        .value_kind:     hidden_block_count_y
      - .offset:         96
        .size:           4
        .value_kind:     hidden_block_count_z
      - .offset:         100
        .size:           2
        .value_kind:     hidden_group_size_x
      - .offset:         102
        .size:           2
        .value_kind:     hidden_group_size_y
      - .offset:         104
        .size:           2
        .value_kind:     hidden_group_size_z
      - .offset:         106
        .size:           2
        .value_kind:     hidden_remainder_x
      - .offset:         108
        .size:           2
        .value_kind:     hidden_remainder_y
      - .offset:         110
        .size:           2
        .value_kind:     hidden_remainder_z
      - .offset:         128
        .size:           8
        .value_kind:     hidden_global_offset_x
      - .offset:         136
        .size:           8
        .value_kind:     hidden_global_offset_y
      - .offset:         144
        .size:           8
        .value_kind:     hidden_global_offset_z
      - .offset:         152
        .size:           2
        .value_kind:     hidden_grid_dims
    .group_segment_fixed_size: 20552
    .kernarg_segment_align: 8
    .kernarg_segment_size: 344
    .language:       OpenCL C
    .language_version:
      - 2
      - 0
    .max_flat_workgroup_size: 1024
    .name:           _ZN7rocprim17ROCPRIM_400000_NS6detail17trampoline_kernelINS0_14default_configENS1_35radix_sort_onesweep_config_selectorIiiEEZZNS1_29radix_sort_onesweep_iterationIS3_Lb0EN6thrust23THRUST_200600_302600_NS6detail15normal_iteratorINS8_10device_ptrIiEEEESD_SD_SD_jNS0_19identity_decomposerENS1_16block_id_wrapperIjLb1EEEEE10hipError_tT1_PNSt15iterator_traitsISI_E10value_typeET2_T3_PNSJ_ISO_E10value_typeET4_T5_PST_SU_PNS1_23onesweep_lookback_stateEbbT6_jjT7_P12ihipStream_tbENKUlT_T0_SI_SN_E_clIPiSD_S15_SD_EEDaS11_S12_SI_SN_EUlS11_E_NS1_11comp_targetILNS1_3genE6ELNS1_11target_archE950ELNS1_3gpuE13ELNS1_3repE0EEENS1_47radix_sort_onesweep_sort_config_static_selectorELNS0_4arch9wavefront6targetE1EEEvSI_
    .private_segment_fixed_size: 80
    .sgpr_count:     79
    .sgpr_spill_count: 0
    .symbol:         _ZN7rocprim17ROCPRIM_400000_NS6detail17trampoline_kernelINS0_14default_configENS1_35radix_sort_onesweep_config_selectorIiiEEZZNS1_29radix_sort_onesweep_iterationIS3_Lb0EN6thrust23THRUST_200600_302600_NS6detail15normal_iteratorINS8_10device_ptrIiEEEESD_SD_SD_jNS0_19identity_decomposerENS1_16block_id_wrapperIjLb1EEEEE10hipError_tT1_PNSt15iterator_traitsISI_E10value_typeET2_T3_PNSJ_ISO_E10value_typeET4_T5_PST_SU_PNS1_23onesweep_lookback_stateEbbT6_jjT7_P12ihipStream_tbENKUlT_T0_SI_SN_E_clIPiSD_S15_SD_EEDaS11_S12_SI_SN_EUlS11_E_NS1_11comp_targetILNS1_3genE6ELNS1_11target_archE950ELNS1_3gpuE13ELNS1_3repE0EEENS1_47radix_sort_onesweep_sort_config_static_selectorELNS0_4arch9wavefront6targetE1EEEvSI_.kd
    .uniform_work_group_size: 1
    .uses_dynamic_stack: false
    .vgpr_count:     89
    .vgpr_spill_count: 0
    .wavefront_size: 64
  - .agpr_count:     0
    .args:
      - .offset:         0
        .size:           88
        .value_kind:     by_value
    .group_segment_fixed_size: 0
    .kernarg_segment_align: 8
    .kernarg_segment_size: 88
    .language:       OpenCL C
    .language_version:
      - 2
      - 0
    .max_flat_workgroup_size: 1024
    .name:           _ZN7rocprim17ROCPRIM_400000_NS6detail17trampoline_kernelINS0_14default_configENS1_35radix_sort_onesweep_config_selectorIiiEEZZNS1_29radix_sort_onesweep_iterationIS3_Lb0EN6thrust23THRUST_200600_302600_NS6detail15normal_iteratorINS8_10device_ptrIiEEEESD_SD_SD_jNS0_19identity_decomposerENS1_16block_id_wrapperIjLb1EEEEE10hipError_tT1_PNSt15iterator_traitsISI_E10value_typeET2_T3_PNSJ_ISO_E10value_typeET4_T5_PST_SU_PNS1_23onesweep_lookback_stateEbbT6_jjT7_P12ihipStream_tbENKUlT_T0_SI_SN_E_clIPiSD_S15_SD_EEDaS11_S12_SI_SN_EUlS11_E_NS1_11comp_targetILNS1_3genE5ELNS1_11target_archE942ELNS1_3gpuE9ELNS1_3repE0EEENS1_47radix_sort_onesweep_sort_config_static_selectorELNS0_4arch9wavefront6targetE1EEEvSI_
    .private_segment_fixed_size: 0
    .sgpr_count:     6
    .sgpr_spill_count: 0
    .symbol:         _ZN7rocprim17ROCPRIM_400000_NS6detail17trampoline_kernelINS0_14default_configENS1_35radix_sort_onesweep_config_selectorIiiEEZZNS1_29radix_sort_onesweep_iterationIS3_Lb0EN6thrust23THRUST_200600_302600_NS6detail15normal_iteratorINS8_10device_ptrIiEEEESD_SD_SD_jNS0_19identity_decomposerENS1_16block_id_wrapperIjLb1EEEEE10hipError_tT1_PNSt15iterator_traitsISI_E10value_typeET2_T3_PNSJ_ISO_E10value_typeET4_T5_PST_SU_PNS1_23onesweep_lookback_stateEbbT6_jjT7_P12ihipStream_tbENKUlT_T0_SI_SN_E_clIPiSD_S15_SD_EEDaS11_S12_SI_SN_EUlS11_E_NS1_11comp_targetILNS1_3genE5ELNS1_11target_archE942ELNS1_3gpuE9ELNS1_3repE0EEENS1_47radix_sort_onesweep_sort_config_static_selectorELNS0_4arch9wavefront6targetE1EEEvSI_.kd
    .uniform_work_group_size: 1
    .uses_dynamic_stack: false
    .vgpr_count:     0
    .vgpr_spill_count: 0
    .wavefront_size: 64
  - .agpr_count:     0
    .args:
      - .offset:         0
        .size:           88
        .value_kind:     by_value
    .group_segment_fixed_size: 0
    .kernarg_segment_align: 8
    .kernarg_segment_size: 88
    .language:       OpenCL C
    .language_version:
      - 2
      - 0
    .max_flat_workgroup_size: 512
    .name:           _ZN7rocprim17ROCPRIM_400000_NS6detail17trampoline_kernelINS0_14default_configENS1_35radix_sort_onesweep_config_selectorIiiEEZZNS1_29radix_sort_onesweep_iterationIS3_Lb0EN6thrust23THRUST_200600_302600_NS6detail15normal_iteratorINS8_10device_ptrIiEEEESD_SD_SD_jNS0_19identity_decomposerENS1_16block_id_wrapperIjLb1EEEEE10hipError_tT1_PNSt15iterator_traitsISI_E10value_typeET2_T3_PNSJ_ISO_E10value_typeET4_T5_PST_SU_PNS1_23onesweep_lookback_stateEbbT6_jjT7_P12ihipStream_tbENKUlT_T0_SI_SN_E_clIPiSD_S15_SD_EEDaS11_S12_SI_SN_EUlS11_E_NS1_11comp_targetILNS1_3genE2ELNS1_11target_archE906ELNS1_3gpuE6ELNS1_3repE0EEENS1_47radix_sort_onesweep_sort_config_static_selectorELNS0_4arch9wavefront6targetE1EEEvSI_
    .private_segment_fixed_size: 0
    .sgpr_count:     6
    .sgpr_spill_count: 0
    .symbol:         _ZN7rocprim17ROCPRIM_400000_NS6detail17trampoline_kernelINS0_14default_configENS1_35radix_sort_onesweep_config_selectorIiiEEZZNS1_29radix_sort_onesweep_iterationIS3_Lb0EN6thrust23THRUST_200600_302600_NS6detail15normal_iteratorINS8_10device_ptrIiEEEESD_SD_SD_jNS0_19identity_decomposerENS1_16block_id_wrapperIjLb1EEEEE10hipError_tT1_PNSt15iterator_traitsISI_E10value_typeET2_T3_PNSJ_ISO_E10value_typeET4_T5_PST_SU_PNS1_23onesweep_lookback_stateEbbT6_jjT7_P12ihipStream_tbENKUlT_T0_SI_SN_E_clIPiSD_S15_SD_EEDaS11_S12_SI_SN_EUlS11_E_NS1_11comp_targetILNS1_3genE2ELNS1_11target_archE906ELNS1_3gpuE6ELNS1_3repE0EEENS1_47radix_sort_onesweep_sort_config_static_selectorELNS0_4arch9wavefront6targetE1EEEvSI_.kd
    .uniform_work_group_size: 1
    .uses_dynamic_stack: false
    .vgpr_count:     0
    .vgpr_spill_count: 0
    .wavefront_size: 64
  - .agpr_count:     0
    .args:
      - .offset:         0
        .size:           88
        .value_kind:     by_value
    .group_segment_fixed_size: 0
    .kernarg_segment_align: 8
    .kernarg_segment_size: 88
    .language:       OpenCL C
    .language_version:
      - 2
      - 0
    .max_flat_workgroup_size: 512
    .name:           _ZN7rocprim17ROCPRIM_400000_NS6detail17trampoline_kernelINS0_14default_configENS1_35radix_sort_onesweep_config_selectorIiiEEZZNS1_29radix_sort_onesweep_iterationIS3_Lb0EN6thrust23THRUST_200600_302600_NS6detail15normal_iteratorINS8_10device_ptrIiEEEESD_SD_SD_jNS0_19identity_decomposerENS1_16block_id_wrapperIjLb1EEEEE10hipError_tT1_PNSt15iterator_traitsISI_E10value_typeET2_T3_PNSJ_ISO_E10value_typeET4_T5_PST_SU_PNS1_23onesweep_lookback_stateEbbT6_jjT7_P12ihipStream_tbENKUlT_T0_SI_SN_E_clIPiSD_S15_SD_EEDaS11_S12_SI_SN_EUlS11_E_NS1_11comp_targetILNS1_3genE4ELNS1_11target_archE910ELNS1_3gpuE8ELNS1_3repE0EEENS1_47radix_sort_onesweep_sort_config_static_selectorELNS0_4arch9wavefront6targetE1EEEvSI_
    .private_segment_fixed_size: 0
    .sgpr_count:     6
    .sgpr_spill_count: 0
    .symbol:         _ZN7rocprim17ROCPRIM_400000_NS6detail17trampoline_kernelINS0_14default_configENS1_35radix_sort_onesweep_config_selectorIiiEEZZNS1_29radix_sort_onesweep_iterationIS3_Lb0EN6thrust23THRUST_200600_302600_NS6detail15normal_iteratorINS8_10device_ptrIiEEEESD_SD_SD_jNS0_19identity_decomposerENS1_16block_id_wrapperIjLb1EEEEE10hipError_tT1_PNSt15iterator_traitsISI_E10value_typeET2_T3_PNSJ_ISO_E10value_typeET4_T5_PST_SU_PNS1_23onesweep_lookback_stateEbbT6_jjT7_P12ihipStream_tbENKUlT_T0_SI_SN_E_clIPiSD_S15_SD_EEDaS11_S12_SI_SN_EUlS11_E_NS1_11comp_targetILNS1_3genE4ELNS1_11target_archE910ELNS1_3gpuE8ELNS1_3repE0EEENS1_47radix_sort_onesweep_sort_config_static_selectorELNS0_4arch9wavefront6targetE1EEEvSI_.kd
    .uniform_work_group_size: 1
    .uses_dynamic_stack: false
    .vgpr_count:     0
    .vgpr_spill_count: 0
    .wavefront_size: 64
  - .agpr_count:     0
    .args:
      - .offset:         0
        .size:           88
        .value_kind:     by_value
    .group_segment_fixed_size: 0
    .kernarg_segment_align: 8
    .kernarg_segment_size: 88
    .language:       OpenCL C
    .language_version:
      - 2
      - 0
    .max_flat_workgroup_size: 256
    .name:           _ZN7rocprim17ROCPRIM_400000_NS6detail17trampoline_kernelINS0_14default_configENS1_35radix_sort_onesweep_config_selectorIiiEEZZNS1_29radix_sort_onesweep_iterationIS3_Lb0EN6thrust23THRUST_200600_302600_NS6detail15normal_iteratorINS8_10device_ptrIiEEEESD_SD_SD_jNS0_19identity_decomposerENS1_16block_id_wrapperIjLb1EEEEE10hipError_tT1_PNSt15iterator_traitsISI_E10value_typeET2_T3_PNSJ_ISO_E10value_typeET4_T5_PST_SU_PNS1_23onesweep_lookback_stateEbbT6_jjT7_P12ihipStream_tbENKUlT_T0_SI_SN_E_clIPiSD_S15_SD_EEDaS11_S12_SI_SN_EUlS11_E_NS1_11comp_targetILNS1_3genE3ELNS1_11target_archE908ELNS1_3gpuE7ELNS1_3repE0EEENS1_47radix_sort_onesweep_sort_config_static_selectorELNS0_4arch9wavefront6targetE1EEEvSI_
    .private_segment_fixed_size: 0
    .sgpr_count:     6
    .sgpr_spill_count: 0
    .symbol:         _ZN7rocprim17ROCPRIM_400000_NS6detail17trampoline_kernelINS0_14default_configENS1_35radix_sort_onesweep_config_selectorIiiEEZZNS1_29radix_sort_onesweep_iterationIS3_Lb0EN6thrust23THRUST_200600_302600_NS6detail15normal_iteratorINS8_10device_ptrIiEEEESD_SD_SD_jNS0_19identity_decomposerENS1_16block_id_wrapperIjLb1EEEEE10hipError_tT1_PNSt15iterator_traitsISI_E10value_typeET2_T3_PNSJ_ISO_E10value_typeET4_T5_PST_SU_PNS1_23onesweep_lookback_stateEbbT6_jjT7_P12ihipStream_tbENKUlT_T0_SI_SN_E_clIPiSD_S15_SD_EEDaS11_S12_SI_SN_EUlS11_E_NS1_11comp_targetILNS1_3genE3ELNS1_11target_archE908ELNS1_3gpuE7ELNS1_3repE0EEENS1_47radix_sort_onesweep_sort_config_static_selectorELNS0_4arch9wavefront6targetE1EEEvSI_.kd
    .uniform_work_group_size: 1
    .uses_dynamic_stack: false
    .vgpr_count:     0
    .vgpr_spill_count: 0
    .wavefront_size: 64
  - .agpr_count:     0
    .args:
      - .offset:         0
        .size:           88
        .value_kind:     by_value
    .group_segment_fixed_size: 0
    .kernarg_segment_align: 8
    .kernarg_segment_size: 88
    .language:       OpenCL C
    .language_version:
      - 2
      - 0
    .max_flat_workgroup_size: 1024
    .name:           _ZN7rocprim17ROCPRIM_400000_NS6detail17trampoline_kernelINS0_14default_configENS1_35radix_sort_onesweep_config_selectorIiiEEZZNS1_29radix_sort_onesweep_iterationIS3_Lb0EN6thrust23THRUST_200600_302600_NS6detail15normal_iteratorINS8_10device_ptrIiEEEESD_SD_SD_jNS0_19identity_decomposerENS1_16block_id_wrapperIjLb1EEEEE10hipError_tT1_PNSt15iterator_traitsISI_E10value_typeET2_T3_PNSJ_ISO_E10value_typeET4_T5_PST_SU_PNS1_23onesweep_lookback_stateEbbT6_jjT7_P12ihipStream_tbENKUlT_T0_SI_SN_E_clIPiSD_S15_SD_EEDaS11_S12_SI_SN_EUlS11_E_NS1_11comp_targetILNS1_3genE10ELNS1_11target_archE1201ELNS1_3gpuE5ELNS1_3repE0EEENS1_47radix_sort_onesweep_sort_config_static_selectorELNS0_4arch9wavefront6targetE1EEEvSI_
    .private_segment_fixed_size: 0
    .sgpr_count:     6
    .sgpr_spill_count: 0
    .symbol:         _ZN7rocprim17ROCPRIM_400000_NS6detail17trampoline_kernelINS0_14default_configENS1_35radix_sort_onesweep_config_selectorIiiEEZZNS1_29radix_sort_onesweep_iterationIS3_Lb0EN6thrust23THRUST_200600_302600_NS6detail15normal_iteratorINS8_10device_ptrIiEEEESD_SD_SD_jNS0_19identity_decomposerENS1_16block_id_wrapperIjLb1EEEEE10hipError_tT1_PNSt15iterator_traitsISI_E10value_typeET2_T3_PNSJ_ISO_E10value_typeET4_T5_PST_SU_PNS1_23onesweep_lookback_stateEbbT6_jjT7_P12ihipStream_tbENKUlT_T0_SI_SN_E_clIPiSD_S15_SD_EEDaS11_S12_SI_SN_EUlS11_E_NS1_11comp_targetILNS1_3genE10ELNS1_11target_archE1201ELNS1_3gpuE5ELNS1_3repE0EEENS1_47radix_sort_onesweep_sort_config_static_selectorELNS0_4arch9wavefront6targetE1EEEvSI_.kd
    .uniform_work_group_size: 1
    .uses_dynamic_stack: false
    .vgpr_count:     0
    .vgpr_spill_count: 0
    .wavefront_size: 64
  - .agpr_count:     0
    .args:
      - .offset:         0
        .size:           88
        .value_kind:     by_value
    .group_segment_fixed_size: 0
    .kernarg_segment_align: 8
    .kernarg_segment_size: 88
    .language:       OpenCL C
    .language_version:
      - 2
      - 0
    .max_flat_workgroup_size: 1024
    .name:           _ZN7rocprim17ROCPRIM_400000_NS6detail17trampoline_kernelINS0_14default_configENS1_35radix_sort_onesweep_config_selectorIiiEEZZNS1_29radix_sort_onesweep_iterationIS3_Lb0EN6thrust23THRUST_200600_302600_NS6detail15normal_iteratorINS8_10device_ptrIiEEEESD_SD_SD_jNS0_19identity_decomposerENS1_16block_id_wrapperIjLb1EEEEE10hipError_tT1_PNSt15iterator_traitsISI_E10value_typeET2_T3_PNSJ_ISO_E10value_typeET4_T5_PST_SU_PNS1_23onesweep_lookback_stateEbbT6_jjT7_P12ihipStream_tbENKUlT_T0_SI_SN_E_clIPiSD_S15_SD_EEDaS11_S12_SI_SN_EUlS11_E_NS1_11comp_targetILNS1_3genE9ELNS1_11target_archE1100ELNS1_3gpuE3ELNS1_3repE0EEENS1_47radix_sort_onesweep_sort_config_static_selectorELNS0_4arch9wavefront6targetE1EEEvSI_
    .private_segment_fixed_size: 0
    .sgpr_count:     6
    .sgpr_spill_count: 0
    .symbol:         _ZN7rocprim17ROCPRIM_400000_NS6detail17trampoline_kernelINS0_14default_configENS1_35radix_sort_onesweep_config_selectorIiiEEZZNS1_29radix_sort_onesweep_iterationIS3_Lb0EN6thrust23THRUST_200600_302600_NS6detail15normal_iteratorINS8_10device_ptrIiEEEESD_SD_SD_jNS0_19identity_decomposerENS1_16block_id_wrapperIjLb1EEEEE10hipError_tT1_PNSt15iterator_traitsISI_E10value_typeET2_T3_PNSJ_ISO_E10value_typeET4_T5_PST_SU_PNS1_23onesweep_lookback_stateEbbT6_jjT7_P12ihipStream_tbENKUlT_T0_SI_SN_E_clIPiSD_S15_SD_EEDaS11_S12_SI_SN_EUlS11_E_NS1_11comp_targetILNS1_3genE9ELNS1_11target_archE1100ELNS1_3gpuE3ELNS1_3repE0EEENS1_47radix_sort_onesweep_sort_config_static_selectorELNS0_4arch9wavefront6targetE1EEEvSI_.kd
    .uniform_work_group_size: 1
    .uses_dynamic_stack: false
    .vgpr_count:     0
    .vgpr_spill_count: 0
    .wavefront_size: 64
  - .agpr_count:     0
    .args:
      - .offset:         0
        .size:           88
        .value_kind:     by_value
    .group_segment_fixed_size: 0
    .kernarg_segment_align: 8
    .kernarg_segment_size: 88
    .language:       OpenCL C
    .language_version:
      - 2
      - 0
    .max_flat_workgroup_size: 1024
    .name:           _ZN7rocprim17ROCPRIM_400000_NS6detail17trampoline_kernelINS0_14default_configENS1_35radix_sort_onesweep_config_selectorIiiEEZZNS1_29radix_sort_onesweep_iterationIS3_Lb0EN6thrust23THRUST_200600_302600_NS6detail15normal_iteratorINS8_10device_ptrIiEEEESD_SD_SD_jNS0_19identity_decomposerENS1_16block_id_wrapperIjLb1EEEEE10hipError_tT1_PNSt15iterator_traitsISI_E10value_typeET2_T3_PNSJ_ISO_E10value_typeET4_T5_PST_SU_PNS1_23onesweep_lookback_stateEbbT6_jjT7_P12ihipStream_tbENKUlT_T0_SI_SN_E_clIPiSD_S15_SD_EEDaS11_S12_SI_SN_EUlS11_E_NS1_11comp_targetILNS1_3genE8ELNS1_11target_archE1030ELNS1_3gpuE2ELNS1_3repE0EEENS1_47radix_sort_onesweep_sort_config_static_selectorELNS0_4arch9wavefront6targetE1EEEvSI_
    .private_segment_fixed_size: 0
    .sgpr_count:     6
    .sgpr_spill_count: 0
    .symbol:         _ZN7rocprim17ROCPRIM_400000_NS6detail17trampoline_kernelINS0_14default_configENS1_35radix_sort_onesweep_config_selectorIiiEEZZNS1_29radix_sort_onesweep_iterationIS3_Lb0EN6thrust23THRUST_200600_302600_NS6detail15normal_iteratorINS8_10device_ptrIiEEEESD_SD_SD_jNS0_19identity_decomposerENS1_16block_id_wrapperIjLb1EEEEE10hipError_tT1_PNSt15iterator_traitsISI_E10value_typeET2_T3_PNSJ_ISO_E10value_typeET4_T5_PST_SU_PNS1_23onesweep_lookback_stateEbbT6_jjT7_P12ihipStream_tbENKUlT_T0_SI_SN_E_clIPiSD_S15_SD_EEDaS11_S12_SI_SN_EUlS11_E_NS1_11comp_targetILNS1_3genE8ELNS1_11target_archE1030ELNS1_3gpuE2ELNS1_3repE0EEENS1_47radix_sort_onesweep_sort_config_static_selectorELNS0_4arch9wavefront6targetE1EEEvSI_.kd
    .uniform_work_group_size: 1
    .uses_dynamic_stack: false
    .vgpr_count:     0
    .vgpr_spill_count: 0
    .wavefront_size: 64
  - .agpr_count:     0
    .args:
      - .offset:         0
        .size:           88
        .value_kind:     by_value
    .group_segment_fixed_size: 0
    .kernarg_segment_align: 8
    .kernarg_segment_size: 88
    .language:       OpenCL C
    .language_version:
      - 2
      - 0
    .max_flat_workgroup_size: 256
    .name:           _ZN7rocprim17ROCPRIM_400000_NS6detail17trampoline_kernelINS0_14default_configENS1_35radix_sort_onesweep_config_selectorIiiEEZZNS1_29radix_sort_onesweep_iterationIS3_Lb0EN6thrust23THRUST_200600_302600_NS6detail15normal_iteratorINS8_10device_ptrIiEEEESD_SD_SD_jNS0_19identity_decomposerENS1_16block_id_wrapperIjLb0EEEEE10hipError_tT1_PNSt15iterator_traitsISI_E10value_typeET2_T3_PNSJ_ISO_E10value_typeET4_T5_PST_SU_PNS1_23onesweep_lookback_stateEbbT6_jjT7_P12ihipStream_tbENKUlT_T0_SI_SN_E_clISD_SD_SD_SD_EEDaS11_S12_SI_SN_EUlS11_E_NS1_11comp_targetILNS1_3genE0ELNS1_11target_archE4294967295ELNS1_3gpuE0ELNS1_3repE0EEENS1_47radix_sort_onesweep_sort_config_static_selectorELNS0_4arch9wavefront6targetE1EEEvSI_
    .private_segment_fixed_size: 0
    .sgpr_count:     6
    .sgpr_spill_count: 0
    .symbol:         _ZN7rocprim17ROCPRIM_400000_NS6detail17trampoline_kernelINS0_14default_configENS1_35radix_sort_onesweep_config_selectorIiiEEZZNS1_29radix_sort_onesweep_iterationIS3_Lb0EN6thrust23THRUST_200600_302600_NS6detail15normal_iteratorINS8_10device_ptrIiEEEESD_SD_SD_jNS0_19identity_decomposerENS1_16block_id_wrapperIjLb0EEEEE10hipError_tT1_PNSt15iterator_traitsISI_E10value_typeET2_T3_PNSJ_ISO_E10value_typeET4_T5_PST_SU_PNS1_23onesweep_lookback_stateEbbT6_jjT7_P12ihipStream_tbENKUlT_T0_SI_SN_E_clISD_SD_SD_SD_EEDaS11_S12_SI_SN_EUlS11_E_NS1_11comp_targetILNS1_3genE0ELNS1_11target_archE4294967295ELNS1_3gpuE0ELNS1_3repE0EEENS1_47radix_sort_onesweep_sort_config_static_selectorELNS0_4arch9wavefront6targetE1EEEvSI_.kd
    .uniform_work_group_size: 1
    .uses_dynamic_stack: false
    .vgpr_count:     0
    .vgpr_spill_count: 0
    .wavefront_size: 64
  - .agpr_count:     0
    .args:
      - .offset:         0
        .size:           88
        .value_kind:     by_value
      - .offset:         88
        .size:           4
        .value_kind:     hidden_block_count_x
      - .offset:         92
        .size:           4
        .value_kind:     hidden_block_count_y
      - .offset:         96
        .size:           4
        .value_kind:     hidden_block_count_z
      - .offset:         100
        .size:           2
        .value_kind:     hidden_group_size_x
      - .offset:         102
        .size:           2
        .value_kind:     hidden_group_size_y
      - .offset:         104
        .size:           2
        .value_kind:     hidden_group_size_z
      - .offset:         106
        .size:           2
        .value_kind:     hidden_remainder_x
      - .offset:         108
        .size:           2
        .value_kind:     hidden_remainder_y
      - .offset:         110
        .size:           2
        .value_kind:     hidden_remainder_z
      - .offset:         128
        .size:           8
        .value_kind:     hidden_global_offset_x
      - .offset:         136
        .size:           8
        .value_kind:     hidden_global_offset_y
      - .offset:         144
        .size:           8
        .value_kind:     hidden_global_offset_z
      - .offset:         152
        .size:           2
        .value_kind:     hidden_grid_dims
    .group_segment_fixed_size: 20552
    .kernarg_segment_align: 8
    .kernarg_segment_size: 344
    .language:       OpenCL C
    .language_version:
      - 2
      - 0
    .max_flat_workgroup_size: 1024
    .name:           _ZN7rocprim17ROCPRIM_400000_NS6detail17trampoline_kernelINS0_14default_configENS1_35radix_sort_onesweep_config_selectorIiiEEZZNS1_29radix_sort_onesweep_iterationIS3_Lb0EN6thrust23THRUST_200600_302600_NS6detail15normal_iteratorINS8_10device_ptrIiEEEESD_SD_SD_jNS0_19identity_decomposerENS1_16block_id_wrapperIjLb0EEEEE10hipError_tT1_PNSt15iterator_traitsISI_E10value_typeET2_T3_PNSJ_ISO_E10value_typeET4_T5_PST_SU_PNS1_23onesweep_lookback_stateEbbT6_jjT7_P12ihipStream_tbENKUlT_T0_SI_SN_E_clISD_SD_SD_SD_EEDaS11_S12_SI_SN_EUlS11_E_NS1_11comp_targetILNS1_3genE6ELNS1_11target_archE950ELNS1_3gpuE13ELNS1_3repE0EEENS1_47radix_sort_onesweep_sort_config_static_selectorELNS0_4arch9wavefront6targetE1EEEvSI_
    .private_segment_fixed_size: 80
    .sgpr_count:     76
    .sgpr_spill_count: 0
    .symbol:         _ZN7rocprim17ROCPRIM_400000_NS6detail17trampoline_kernelINS0_14default_configENS1_35radix_sort_onesweep_config_selectorIiiEEZZNS1_29radix_sort_onesweep_iterationIS3_Lb0EN6thrust23THRUST_200600_302600_NS6detail15normal_iteratorINS8_10device_ptrIiEEEESD_SD_SD_jNS0_19identity_decomposerENS1_16block_id_wrapperIjLb0EEEEE10hipError_tT1_PNSt15iterator_traitsISI_E10value_typeET2_T3_PNSJ_ISO_E10value_typeET4_T5_PST_SU_PNS1_23onesweep_lookback_stateEbbT6_jjT7_P12ihipStream_tbENKUlT_T0_SI_SN_E_clISD_SD_SD_SD_EEDaS11_S12_SI_SN_EUlS11_E_NS1_11comp_targetILNS1_3genE6ELNS1_11target_archE950ELNS1_3gpuE13ELNS1_3repE0EEENS1_47radix_sort_onesweep_sort_config_static_selectorELNS0_4arch9wavefront6targetE1EEEvSI_.kd
    .uniform_work_group_size: 1
    .uses_dynamic_stack: false
    .vgpr_count:     88
    .vgpr_spill_count: 0
    .wavefront_size: 64
  - .agpr_count:     0
    .args:
      - .offset:         0
        .size:           88
        .value_kind:     by_value
    .group_segment_fixed_size: 0
    .kernarg_segment_align: 8
    .kernarg_segment_size: 88
    .language:       OpenCL C
    .language_version:
      - 2
      - 0
    .max_flat_workgroup_size: 1024
    .name:           _ZN7rocprim17ROCPRIM_400000_NS6detail17trampoline_kernelINS0_14default_configENS1_35radix_sort_onesweep_config_selectorIiiEEZZNS1_29radix_sort_onesweep_iterationIS3_Lb0EN6thrust23THRUST_200600_302600_NS6detail15normal_iteratorINS8_10device_ptrIiEEEESD_SD_SD_jNS0_19identity_decomposerENS1_16block_id_wrapperIjLb0EEEEE10hipError_tT1_PNSt15iterator_traitsISI_E10value_typeET2_T3_PNSJ_ISO_E10value_typeET4_T5_PST_SU_PNS1_23onesweep_lookback_stateEbbT6_jjT7_P12ihipStream_tbENKUlT_T0_SI_SN_E_clISD_SD_SD_SD_EEDaS11_S12_SI_SN_EUlS11_E_NS1_11comp_targetILNS1_3genE5ELNS1_11target_archE942ELNS1_3gpuE9ELNS1_3repE0EEENS1_47radix_sort_onesweep_sort_config_static_selectorELNS0_4arch9wavefront6targetE1EEEvSI_
    .private_segment_fixed_size: 0
    .sgpr_count:     6
    .sgpr_spill_count: 0
    .symbol:         _ZN7rocprim17ROCPRIM_400000_NS6detail17trampoline_kernelINS0_14default_configENS1_35radix_sort_onesweep_config_selectorIiiEEZZNS1_29radix_sort_onesweep_iterationIS3_Lb0EN6thrust23THRUST_200600_302600_NS6detail15normal_iteratorINS8_10device_ptrIiEEEESD_SD_SD_jNS0_19identity_decomposerENS1_16block_id_wrapperIjLb0EEEEE10hipError_tT1_PNSt15iterator_traitsISI_E10value_typeET2_T3_PNSJ_ISO_E10value_typeET4_T5_PST_SU_PNS1_23onesweep_lookback_stateEbbT6_jjT7_P12ihipStream_tbENKUlT_T0_SI_SN_E_clISD_SD_SD_SD_EEDaS11_S12_SI_SN_EUlS11_E_NS1_11comp_targetILNS1_3genE5ELNS1_11target_archE942ELNS1_3gpuE9ELNS1_3repE0EEENS1_47radix_sort_onesweep_sort_config_static_selectorELNS0_4arch9wavefront6targetE1EEEvSI_.kd
    .uniform_work_group_size: 1
    .uses_dynamic_stack: false
    .vgpr_count:     0
    .vgpr_spill_count: 0
    .wavefront_size: 64
  - .agpr_count:     0
    .args:
      - .offset:         0
        .size:           88
        .value_kind:     by_value
    .group_segment_fixed_size: 0
    .kernarg_segment_align: 8
    .kernarg_segment_size: 88
    .language:       OpenCL C
    .language_version:
      - 2
      - 0
    .max_flat_workgroup_size: 512
    .name:           _ZN7rocprim17ROCPRIM_400000_NS6detail17trampoline_kernelINS0_14default_configENS1_35radix_sort_onesweep_config_selectorIiiEEZZNS1_29radix_sort_onesweep_iterationIS3_Lb0EN6thrust23THRUST_200600_302600_NS6detail15normal_iteratorINS8_10device_ptrIiEEEESD_SD_SD_jNS0_19identity_decomposerENS1_16block_id_wrapperIjLb0EEEEE10hipError_tT1_PNSt15iterator_traitsISI_E10value_typeET2_T3_PNSJ_ISO_E10value_typeET4_T5_PST_SU_PNS1_23onesweep_lookback_stateEbbT6_jjT7_P12ihipStream_tbENKUlT_T0_SI_SN_E_clISD_SD_SD_SD_EEDaS11_S12_SI_SN_EUlS11_E_NS1_11comp_targetILNS1_3genE2ELNS1_11target_archE906ELNS1_3gpuE6ELNS1_3repE0EEENS1_47radix_sort_onesweep_sort_config_static_selectorELNS0_4arch9wavefront6targetE1EEEvSI_
    .private_segment_fixed_size: 0
    .sgpr_count:     6
    .sgpr_spill_count: 0
    .symbol:         _ZN7rocprim17ROCPRIM_400000_NS6detail17trampoline_kernelINS0_14default_configENS1_35radix_sort_onesweep_config_selectorIiiEEZZNS1_29radix_sort_onesweep_iterationIS3_Lb0EN6thrust23THRUST_200600_302600_NS6detail15normal_iteratorINS8_10device_ptrIiEEEESD_SD_SD_jNS0_19identity_decomposerENS1_16block_id_wrapperIjLb0EEEEE10hipError_tT1_PNSt15iterator_traitsISI_E10value_typeET2_T3_PNSJ_ISO_E10value_typeET4_T5_PST_SU_PNS1_23onesweep_lookback_stateEbbT6_jjT7_P12ihipStream_tbENKUlT_T0_SI_SN_E_clISD_SD_SD_SD_EEDaS11_S12_SI_SN_EUlS11_E_NS1_11comp_targetILNS1_3genE2ELNS1_11target_archE906ELNS1_3gpuE6ELNS1_3repE0EEENS1_47radix_sort_onesweep_sort_config_static_selectorELNS0_4arch9wavefront6targetE1EEEvSI_.kd
    .uniform_work_group_size: 1
    .uses_dynamic_stack: false
    .vgpr_count:     0
    .vgpr_spill_count: 0
    .wavefront_size: 64
  - .agpr_count:     0
    .args:
      - .offset:         0
        .size:           88
        .value_kind:     by_value
    .group_segment_fixed_size: 0
    .kernarg_segment_align: 8
    .kernarg_segment_size: 88
    .language:       OpenCL C
    .language_version:
      - 2
      - 0
    .max_flat_workgroup_size: 512
    .name:           _ZN7rocprim17ROCPRIM_400000_NS6detail17trampoline_kernelINS0_14default_configENS1_35radix_sort_onesweep_config_selectorIiiEEZZNS1_29radix_sort_onesweep_iterationIS3_Lb0EN6thrust23THRUST_200600_302600_NS6detail15normal_iteratorINS8_10device_ptrIiEEEESD_SD_SD_jNS0_19identity_decomposerENS1_16block_id_wrapperIjLb0EEEEE10hipError_tT1_PNSt15iterator_traitsISI_E10value_typeET2_T3_PNSJ_ISO_E10value_typeET4_T5_PST_SU_PNS1_23onesweep_lookback_stateEbbT6_jjT7_P12ihipStream_tbENKUlT_T0_SI_SN_E_clISD_SD_SD_SD_EEDaS11_S12_SI_SN_EUlS11_E_NS1_11comp_targetILNS1_3genE4ELNS1_11target_archE910ELNS1_3gpuE8ELNS1_3repE0EEENS1_47radix_sort_onesweep_sort_config_static_selectorELNS0_4arch9wavefront6targetE1EEEvSI_
    .private_segment_fixed_size: 0
    .sgpr_count:     6
    .sgpr_spill_count: 0
    .symbol:         _ZN7rocprim17ROCPRIM_400000_NS6detail17trampoline_kernelINS0_14default_configENS1_35radix_sort_onesweep_config_selectorIiiEEZZNS1_29radix_sort_onesweep_iterationIS3_Lb0EN6thrust23THRUST_200600_302600_NS6detail15normal_iteratorINS8_10device_ptrIiEEEESD_SD_SD_jNS0_19identity_decomposerENS1_16block_id_wrapperIjLb0EEEEE10hipError_tT1_PNSt15iterator_traitsISI_E10value_typeET2_T3_PNSJ_ISO_E10value_typeET4_T5_PST_SU_PNS1_23onesweep_lookback_stateEbbT6_jjT7_P12ihipStream_tbENKUlT_T0_SI_SN_E_clISD_SD_SD_SD_EEDaS11_S12_SI_SN_EUlS11_E_NS1_11comp_targetILNS1_3genE4ELNS1_11target_archE910ELNS1_3gpuE8ELNS1_3repE0EEENS1_47radix_sort_onesweep_sort_config_static_selectorELNS0_4arch9wavefront6targetE1EEEvSI_.kd
    .uniform_work_group_size: 1
    .uses_dynamic_stack: false
    .vgpr_count:     0
    .vgpr_spill_count: 0
    .wavefront_size: 64
  - .agpr_count:     0
    .args:
      - .offset:         0
        .size:           88
        .value_kind:     by_value
    .group_segment_fixed_size: 0
    .kernarg_segment_align: 8
    .kernarg_segment_size: 88
    .language:       OpenCL C
    .language_version:
      - 2
      - 0
    .max_flat_workgroup_size: 256
    .name:           _ZN7rocprim17ROCPRIM_400000_NS6detail17trampoline_kernelINS0_14default_configENS1_35radix_sort_onesweep_config_selectorIiiEEZZNS1_29radix_sort_onesweep_iterationIS3_Lb0EN6thrust23THRUST_200600_302600_NS6detail15normal_iteratorINS8_10device_ptrIiEEEESD_SD_SD_jNS0_19identity_decomposerENS1_16block_id_wrapperIjLb0EEEEE10hipError_tT1_PNSt15iterator_traitsISI_E10value_typeET2_T3_PNSJ_ISO_E10value_typeET4_T5_PST_SU_PNS1_23onesweep_lookback_stateEbbT6_jjT7_P12ihipStream_tbENKUlT_T0_SI_SN_E_clISD_SD_SD_SD_EEDaS11_S12_SI_SN_EUlS11_E_NS1_11comp_targetILNS1_3genE3ELNS1_11target_archE908ELNS1_3gpuE7ELNS1_3repE0EEENS1_47radix_sort_onesweep_sort_config_static_selectorELNS0_4arch9wavefront6targetE1EEEvSI_
    .private_segment_fixed_size: 0
    .sgpr_count:     6
    .sgpr_spill_count: 0
    .symbol:         _ZN7rocprim17ROCPRIM_400000_NS6detail17trampoline_kernelINS0_14default_configENS1_35radix_sort_onesweep_config_selectorIiiEEZZNS1_29radix_sort_onesweep_iterationIS3_Lb0EN6thrust23THRUST_200600_302600_NS6detail15normal_iteratorINS8_10device_ptrIiEEEESD_SD_SD_jNS0_19identity_decomposerENS1_16block_id_wrapperIjLb0EEEEE10hipError_tT1_PNSt15iterator_traitsISI_E10value_typeET2_T3_PNSJ_ISO_E10value_typeET4_T5_PST_SU_PNS1_23onesweep_lookback_stateEbbT6_jjT7_P12ihipStream_tbENKUlT_T0_SI_SN_E_clISD_SD_SD_SD_EEDaS11_S12_SI_SN_EUlS11_E_NS1_11comp_targetILNS1_3genE3ELNS1_11target_archE908ELNS1_3gpuE7ELNS1_3repE0EEENS1_47radix_sort_onesweep_sort_config_static_selectorELNS0_4arch9wavefront6targetE1EEEvSI_.kd
    .uniform_work_group_size: 1
    .uses_dynamic_stack: false
    .vgpr_count:     0
    .vgpr_spill_count: 0
    .wavefront_size: 64
  - .agpr_count:     0
    .args:
      - .offset:         0
        .size:           88
        .value_kind:     by_value
    .group_segment_fixed_size: 0
    .kernarg_segment_align: 8
    .kernarg_segment_size: 88
    .language:       OpenCL C
    .language_version:
      - 2
      - 0
    .max_flat_workgroup_size: 1024
    .name:           _ZN7rocprim17ROCPRIM_400000_NS6detail17trampoline_kernelINS0_14default_configENS1_35radix_sort_onesweep_config_selectorIiiEEZZNS1_29radix_sort_onesweep_iterationIS3_Lb0EN6thrust23THRUST_200600_302600_NS6detail15normal_iteratorINS8_10device_ptrIiEEEESD_SD_SD_jNS0_19identity_decomposerENS1_16block_id_wrapperIjLb0EEEEE10hipError_tT1_PNSt15iterator_traitsISI_E10value_typeET2_T3_PNSJ_ISO_E10value_typeET4_T5_PST_SU_PNS1_23onesweep_lookback_stateEbbT6_jjT7_P12ihipStream_tbENKUlT_T0_SI_SN_E_clISD_SD_SD_SD_EEDaS11_S12_SI_SN_EUlS11_E_NS1_11comp_targetILNS1_3genE10ELNS1_11target_archE1201ELNS1_3gpuE5ELNS1_3repE0EEENS1_47radix_sort_onesweep_sort_config_static_selectorELNS0_4arch9wavefront6targetE1EEEvSI_
    .private_segment_fixed_size: 0
    .sgpr_count:     6
    .sgpr_spill_count: 0
    .symbol:         _ZN7rocprim17ROCPRIM_400000_NS6detail17trampoline_kernelINS0_14default_configENS1_35radix_sort_onesweep_config_selectorIiiEEZZNS1_29radix_sort_onesweep_iterationIS3_Lb0EN6thrust23THRUST_200600_302600_NS6detail15normal_iteratorINS8_10device_ptrIiEEEESD_SD_SD_jNS0_19identity_decomposerENS1_16block_id_wrapperIjLb0EEEEE10hipError_tT1_PNSt15iterator_traitsISI_E10value_typeET2_T3_PNSJ_ISO_E10value_typeET4_T5_PST_SU_PNS1_23onesweep_lookback_stateEbbT6_jjT7_P12ihipStream_tbENKUlT_T0_SI_SN_E_clISD_SD_SD_SD_EEDaS11_S12_SI_SN_EUlS11_E_NS1_11comp_targetILNS1_3genE10ELNS1_11target_archE1201ELNS1_3gpuE5ELNS1_3repE0EEENS1_47radix_sort_onesweep_sort_config_static_selectorELNS0_4arch9wavefront6targetE1EEEvSI_.kd
    .uniform_work_group_size: 1
    .uses_dynamic_stack: false
    .vgpr_count:     0
    .vgpr_spill_count: 0
    .wavefront_size: 64
  - .agpr_count:     0
    .args:
      - .offset:         0
        .size:           88
        .value_kind:     by_value
    .group_segment_fixed_size: 0
    .kernarg_segment_align: 8
    .kernarg_segment_size: 88
    .language:       OpenCL C
    .language_version:
      - 2
      - 0
    .max_flat_workgroup_size: 1024
    .name:           _ZN7rocprim17ROCPRIM_400000_NS6detail17trampoline_kernelINS0_14default_configENS1_35radix_sort_onesweep_config_selectorIiiEEZZNS1_29radix_sort_onesweep_iterationIS3_Lb0EN6thrust23THRUST_200600_302600_NS6detail15normal_iteratorINS8_10device_ptrIiEEEESD_SD_SD_jNS0_19identity_decomposerENS1_16block_id_wrapperIjLb0EEEEE10hipError_tT1_PNSt15iterator_traitsISI_E10value_typeET2_T3_PNSJ_ISO_E10value_typeET4_T5_PST_SU_PNS1_23onesweep_lookback_stateEbbT6_jjT7_P12ihipStream_tbENKUlT_T0_SI_SN_E_clISD_SD_SD_SD_EEDaS11_S12_SI_SN_EUlS11_E_NS1_11comp_targetILNS1_3genE9ELNS1_11target_archE1100ELNS1_3gpuE3ELNS1_3repE0EEENS1_47radix_sort_onesweep_sort_config_static_selectorELNS0_4arch9wavefront6targetE1EEEvSI_
    .private_segment_fixed_size: 0
    .sgpr_count:     6
    .sgpr_spill_count: 0
    .symbol:         _ZN7rocprim17ROCPRIM_400000_NS6detail17trampoline_kernelINS0_14default_configENS1_35radix_sort_onesweep_config_selectorIiiEEZZNS1_29radix_sort_onesweep_iterationIS3_Lb0EN6thrust23THRUST_200600_302600_NS6detail15normal_iteratorINS8_10device_ptrIiEEEESD_SD_SD_jNS0_19identity_decomposerENS1_16block_id_wrapperIjLb0EEEEE10hipError_tT1_PNSt15iterator_traitsISI_E10value_typeET2_T3_PNSJ_ISO_E10value_typeET4_T5_PST_SU_PNS1_23onesweep_lookback_stateEbbT6_jjT7_P12ihipStream_tbENKUlT_T0_SI_SN_E_clISD_SD_SD_SD_EEDaS11_S12_SI_SN_EUlS11_E_NS1_11comp_targetILNS1_3genE9ELNS1_11target_archE1100ELNS1_3gpuE3ELNS1_3repE0EEENS1_47radix_sort_onesweep_sort_config_static_selectorELNS0_4arch9wavefront6targetE1EEEvSI_.kd
    .uniform_work_group_size: 1
    .uses_dynamic_stack: false
    .vgpr_count:     0
    .vgpr_spill_count: 0
    .wavefront_size: 64
  - .agpr_count:     0
    .args:
      - .offset:         0
        .size:           88
        .value_kind:     by_value
    .group_segment_fixed_size: 0
    .kernarg_segment_align: 8
    .kernarg_segment_size: 88
    .language:       OpenCL C
    .language_version:
      - 2
      - 0
    .max_flat_workgroup_size: 1024
    .name:           _ZN7rocprim17ROCPRIM_400000_NS6detail17trampoline_kernelINS0_14default_configENS1_35radix_sort_onesweep_config_selectorIiiEEZZNS1_29radix_sort_onesweep_iterationIS3_Lb0EN6thrust23THRUST_200600_302600_NS6detail15normal_iteratorINS8_10device_ptrIiEEEESD_SD_SD_jNS0_19identity_decomposerENS1_16block_id_wrapperIjLb0EEEEE10hipError_tT1_PNSt15iterator_traitsISI_E10value_typeET2_T3_PNSJ_ISO_E10value_typeET4_T5_PST_SU_PNS1_23onesweep_lookback_stateEbbT6_jjT7_P12ihipStream_tbENKUlT_T0_SI_SN_E_clISD_SD_SD_SD_EEDaS11_S12_SI_SN_EUlS11_E_NS1_11comp_targetILNS1_3genE8ELNS1_11target_archE1030ELNS1_3gpuE2ELNS1_3repE0EEENS1_47radix_sort_onesweep_sort_config_static_selectorELNS0_4arch9wavefront6targetE1EEEvSI_
    .private_segment_fixed_size: 0
    .sgpr_count:     6
    .sgpr_spill_count: 0
    .symbol:         _ZN7rocprim17ROCPRIM_400000_NS6detail17trampoline_kernelINS0_14default_configENS1_35radix_sort_onesweep_config_selectorIiiEEZZNS1_29radix_sort_onesweep_iterationIS3_Lb0EN6thrust23THRUST_200600_302600_NS6detail15normal_iteratorINS8_10device_ptrIiEEEESD_SD_SD_jNS0_19identity_decomposerENS1_16block_id_wrapperIjLb0EEEEE10hipError_tT1_PNSt15iterator_traitsISI_E10value_typeET2_T3_PNSJ_ISO_E10value_typeET4_T5_PST_SU_PNS1_23onesweep_lookback_stateEbbT6_jjT7_P12ihipStream_tbENKUlT_T0_SI_SN_E_clISD_SD_SD_SD_EEDaS11_S12_SI_SN_EUlS11_E_NS1_11comp_targetILNS1_3genE8ELNS1_11target_archE1030ELNS1_3gpuE2ELNS1_3repE0EEENS1_47radix_sort_onesweep_sort_config_static_selectorELNS0_4arch9wavefront6targetE1EEEvSI_.kd
    .uniform_work_group_size: 1
    .uses_dynamic_stack: false
    .vgpr_count:     0
    .vgpr_spill_count: 0
    .wavefront_size: 64
  - .agpr_count:     0
    .args:
      - .offset:         0
        .size:           88
        .value_kind:     by_value
    .group_segment_fixed_size: 0
    .kernarg_segment_align: 8
    .kernarg_segment_size: 88
    .language:       OpenCL C
    .language_version:
      - 2
      - 0
    .max_flat_workgroup_size: 256
    .name:           _ZN7rocprim17ROCPRIM_400000_NS6detail17trampoline_kernelINS0_14default_configENS1_35radix_sort_onesweep_config_selectorIiiEEZZNS1_29radix_sort_onesweep_iterationIS3_Lb0EN6thrust23THRUST_200600_302600_NS6detail15normal_iteratorINS8_10device_ptrIiEEEESD_SD_SD_jNS0_19identity_decomposerENS1_16block_id_wrapperIjLb0EEEEE10hipError_tT1_PNSt15iterator_traitsISI_E10value_typeET2_T3_PNSJ_ISO_E10value_typeET4_T5_PST_SU_PNS1_23onesweep_lookback_stateEbbT6_jjT7_P12ihipStream_tbENKUlT_T0_SI_SN_E_clISD_PiSD_S15_EEDaS11_S12_SI_SN_EUlS11_E_NS1_11comp_targetILNS1_3genE0ELNS1_11target_archE4294967295ELNS1_3gpuE0ELNS1_3repE0EEENS1_47radix_sort_onesweep_sort_config_static_selectorELNS0_4arch9wavefront6targetE1EEEvSI_
    .private_segment_fixed_size: 0
    .sgpr_count:     6
    .sgpr_spill_count: 0
    .symbol:         _ZN7rocprim17ROCPRIM_400000_NS6detail17trampoline_kernelINS0_14default_configENS1_35radix_sort_onesweep_config_selectorIiiEEZZNS1_29radix_sort_onesweep_iterationIS3_Lb0EN6thrust23THRUST_200600_302600_NS6detail15normal_iteratorINS8_10device_ptrIiEEEESD_SD_SD_jNS0_19identity_decomposerENS1_16block_id_wrapperIjLb0EEEEE10hipError_tT1_PNSt15iterator_traitsISI_E10value_typeET2_T3_PNSJ_ISO_E10value_typeET4_T5_PST_SU_PNS1_23onesweep_lookback_stateEbbT6_jjT7_P12ihipStream_tbENKUlT_T0_SI_SN_E_clISD_PiSD_S15_EEDaS11_S12_SI_SN_EUlS11_E_NS1_11comp_targetILNS1_3genE0ELNS1_11target_archE4294967295ELNS1_3gpuE0ELNS1_3repE0EEENS1_47radix_sort_onesweep_sort_config_static_selectorELNS0_4arch9wavefront6targetE1EEEvSI_.kd
    .uniform_work_group_size: 1
    .uses_dynamic_stack: false
    .vgpr_count:     0
    .vgpr_spill_count: 0
    .wavefront_size: 64
  - .agpr_count:     0
    .args:
      - .offset:         0
        .size:           88
        .value_kind:     by_value
      - .offset:         88
        .size:           4
        .value_kind:     hidden_block_count_x
      - .offset:         92
        .size:           4
        .value_kind:     hidden_block_count_y
      - .offset:         96
        .size:           4
        .value_kind:     hidden_block_count_z
      - .offset:         100
        .size:           2
        .value_kind:     hidden_group_size_x
      - .offset:         102
        .size:           2
        .value_kind:     hidden_group_size_y
      - .offset:         104
        .size:           2
        .value_kind:     hidden_group_size_z
      - .offset:         106
        .size:           2
        .value_kind:     hidden_remainder_x
      - .offset:         108
        .size:           2
        .value_kind:     hidden_remainder_y
      - .offset:         110
        .size:           2
        .value_kind:     hidden_remainder_z
      - .offset:         128
        .size:           8
        .value_kind:     hidden_global_offset_x
      - .offset:         136
        .size:           8
        .value_kind:     hidden_global_offset_y
      - .offset:         144
        .size:           8
        .value_kind:     hidden_global_offset_z
      - .offset:         152
        .size:           2
        .value_kind:     hidden_grid_dims
    .group_segment_fixed_size: 20552
    .kernarg_segment_align: 8
    .kernarg_segment_size: 344
    .language:       OpenCL C
    .language_version:
      - 2
      - 0
    .max_flat_workgroup_size: 1024
    .name:           _ZN7rocprim17ROCPRIM_400000_NS6detail17trampoline_kernelINS0_14default_configENS1_35radix_sort_onesweep_config_selectorIiiEEZZNS1_29radix_sort_onesweep_iterationIS3_Lb0EN6thrust23THRUST_200600_302600_NS6detail15normal_iteratorINS8_10device_ptrIiEEEESD_SD_SD_jNS0_19identity_decomposerENS1_16block_id_wrapperIjLb0EEEEE10hipError_tT1_PNSt15iterator_traitsISI_E10value_typeET2_T3_PNSJ_ISO_E10value_typeET4_T5_PST_SU_PNS1_23onesweep_lookback_stateEbbT6_jjT7_P12ihipStream_tbENKUlT_T0_SI_SN_E_clISD_PiSD_S15_EEDaS11_S12_SI_SN_EUlS11_E_NS1_11comp_targetILNS1_3genE6ELNS1_11target_archE950ELNS1_3gpuE13ELNS1_3repE0EEENS1_47radix_sort_onesweep_sort_config_static_selectorELNS0_4arch9wavefront6targetE1EEEvSI_
    .private_segment_fixed_size: 80
    .sgpr_count:     76
    .sgpr_spill_count: 0
    .symbol:         _ZN7rocprim17ROCPRIM_400000_NS6detail17trampoline_kernelINS0_14default_configENS1_35radix_sort_onesweep_config_selectorIiiEEZZNS1_29radix_sort_onesweep_iterationIS3_Lb0EN6thrust23THRUST_200600_302600_NS6detail15normal_iteratorINS8_10device_ptrIiEEEESD_SD_SD_jNS0_19identity_decomposerENS1_16block_id_wrapperIjLb0EEEEE10hipError_tT1_PNSt15iterator_traitsISI_E10value_typeET2_T3_PNSJ_ISO_E10value_typeET4_T5_PST_SU_PNS1_23onesweep_lookback_stateEbbT6_jjT7_P12ihipStream_tbENKUlT_T0_SI_SN_E_clISD_PiSD_S15_EEDaS11_S12_SI_SN_EUlS11_E_NS1_11comp_targetILNS1_3genE6ELNS1_11target_archE950ELNS1_3gpuE13ELNS1_3repE0EEENS1_47radix_sort_onesweep_sort_config_static_selectorELNS0_4arch9wavefront6targetE1EEEvSI_.kd
    .uniform_work_group_size: 1
    .uses_dynamic_stack: false
    .vgpr_count:     88
    .vgpr_spill_count: 0
    .wavefront_size: 64
  - .agpr_count:     0
    .args:
      - .offset:         0
        .size:           88
        .value_kind:     by_value
    .group_segment_fixed_size: 0
    .kernarg_segment_align: 8
    .kernarg_segment_size: 88
    .language:       OpenCL C
    .language_version:
      - 2
      - 0
    .max_flat_workgroup_size: 1024
    .name:           _ZN7rocprim17ROCPRIM_400000_NS6detail17trampoline_kernelINS0_14default_configENS1_35radix_sort_onesweep_config_selectorIiiEEZZNS1_29radix_sort_onesweep_iterationIS3_Lb0EN6thrust23THRUST_200600_302600_NS6detail15normal_iteratorINS8_10device_ptrIiEEEESD_SD_SD_jNS0_19identity_decomposerENS1_16block_id_wrapperIjLb0EEEEE10hipError_tT1_PNSt15iterator_traitsISI_E10value_typeET2_T3_PNSJ_ISO_E10value_typeET4_T5_PST_SU_PNS1_23onesweep_lookback_stateEbbT6_jjT7_P12ihipStream_tbENKUlT_T0_SI_SN_E_clISD_PiSD_S15_EEDaS11_S12_SI_SN_EUlS11_E_NS1_11comp_targetILNS1_3genE5ELNS1_11target_archE942ELNS1_3gpuE9ELNS1_3repE0EEENS1_47radix_sort_onesweep_sort_config_static_selectorELNS0_4arch9wavefront6targetE1EEEvSI_
    .private_segment_fixed_size: 0
    .sgpr_count:     6
    .sgpr_spill_count: 0
    .symbol:         _ZN7rocprim17ROCPRIM_400000_NS6detail17trampoline_kernelINS0_14default_configENS1_35radix_sort_onesweep_config_selectorIiiEEZZNS1_29radix_sort_onesweep_iterationIS3_Lb0EN6thrust23THRUST_200600_302600_NS6detail15normal_iteratorINS8_10device_ptrIiEEEESD_SD_SD_jNS0_19identity_decomposerENS1_16block_id_wrapperIjLb0EEEEE10hipError_tT1_PNSt15iterator_traitsISI_E10value_typeET2_T3_PNSJ_ISO_E10value_typeET4_T5_PST_SU_PNS1_23onesweep_lookback_stateEbbT6_jjT7_P12ihipStream_tbENKUlT_T0_SI_SN_E_clISD_PiSD_S15_EEDaS11_S12_SI_SN_EUlS11_E_NS1_11comp_targetILNS1_3genE5ELNS1_11target_archE942ELNS1_3gpuE9ELNS1_3repE0EEENS1_47radix_sort_onesweep_sort_config_static_selectorELNS0_4arch9wavefront6targetE1EEEvSI_.kd
    .uniform_work_group_size: 1
    .uses_dynamic_stack: false
    .vgpr_count:     0
    .vgpr_spill_count: 0
    .wavefront_size: 64
  - .agpr_count:     0
    .args:
      - .offset:         0
        .size:           88
        .value_kind:     by_value
    .group_segment_fixed_size: 0
    .kernarg_segment_align: 8
    .kernarg_segment_size: 88
    .language:       OpenCL C
    .language_version:
      - 2
      - 0
    .max_flat_workgroup_size: 512
    .name:           _ZN7rocprim17ROCPRIM_400000_NS6detail17trampoline_kernelINS0_14default_configENS1_35radix_sort_onesweep_config_selectorIiiEEZZNS1_29radix_sort_onesweep_iterationIS3_Lb0EN6thrust23THRUST_200600_302600_NS6detail15normal_iteratorINS8_10device_ptrIiEEEESD_SD_SD_jNS0_19identity_decomposerENS1_16block_id_wrapperIjLb0EEEEE10hipError_tT1_PNSt15iterator_traitsISI_E10value_typeET2_T3_PNSJ_ISO_E10value_typeET4_T5_PST_SU_PNS1_23onesweep_lookback_stateEbbT6_jjT7_P12ihipStream_tbENKUlT_T0_SI_SN_E_clISD_PiSD_S15_EEDaS11_S12_SI_SN_EUlS11_E_NS1_11comp_targetILNS1_3genE2ELNS1_11target_archE906ELNS1_3gpuE6ELNS1_3repE0EEENS1_47radix_sort_onesweep_sort_config_static_selectorELNS0_4arch9wavefront6targetE1EEEvSI_
    .private_segment_fixed_size: 0
    .sgpr_count:     6
    .sgpr_spill_count: 0
    .symbol:         _ZN7rocprim17ROCPRIM_400000_NS6detail17trampoline_kernelINS0_14default_configENS1_35radix_sort_onesweep_config_selectorIiiEEZZNS1_29radix_sort_onesweep_iterationIS3_Lb0EN6thrust23THRUST_200600_302600_NS6detail15normal_iteratorINS8_10device_ptrIiEEEESD_SD_SD_jNS0_19identity_decomposerENS1_16block_id_wrapperIjLb0EEEEE10hipError_tT1_PNSt15iterator_traitsISI_E10value_typeET2_T3_PNSJ_ISO_E10value_typeET4_T5_PST_SU_PNS1_23onesweep_lookback_stateEbbT6_jjT7_P12ihipStream_tbENKUlT_T0_SI_SN_E_clISD_PiSD_S15_EEDaS11_S12_SI_SN_EUlS11_E_NS1_11comp_targetILNS1_3genE2ELNS1_11target_archE906ELNS1_3gpuE6ELNS1_3repE0EEENS1_47radix_sort_onesweep_sort_config_static_selectorELNS0_4arch9wavefront6targetE1EEEvSI_.kd
    .uniform_work_group_size: 1
    .uses_dynamic_stack: false
    .vgpr_count:     0
    .vgpr_spill_count: 0
    .wavefront_size: 64
  - .agpr_count:     0
    .args:
      - .offset:         0
        .size:           88
        .value_kind:     by_value
    .group_segment_fixed_size: 0
    .kernarg_segment_align: 8
    .kernarg_segment_size: 88
    .language:       OpenCL C
    .language_version:
      - 2
      - 0
    .max_flat_workgroup_size: 512
    .name:           _ZN7rocprim17ROCPRIM_400000_NS6detail17trampoline_kernelINS0_14default_configENS1_35radix_sort_onesweep_config_selectorIiiEEZZNS1_29radix_sort_onesweep_iterationIS3_Lb0EN6thrust23THRUST_200600_302600_NS6detail15normal_iteratorINS8_10device_ptrIiEEEESD_SD_SD_jNS0_19identity_decomposerENS1_16block_id_wrapperIjLb0EEEEE10hipError_tT1_PNSt15iterator_traitsISI_E10value_typeET2_T3_PNSJ_ISO_E10value_typeET4_T5_PST_SU_PNS1_23onesweep_lookback_stateEbbT6_jjT7_P12ihipStream_tbENKUlT_T0_SI_SN_E_clISD_PiSD_S15_EEDaS11_S12_SI_SN_EUlS11_E_NS1_11comp_targetILNS1_3genE4ELNS1_11target_archE910ELNS1_3gpuE8ELNS1_3repE0EEENS1_47radix_sort_onesweep_sort_config_static_selectorELNS0_4arch9wavefront6targetE1EEEvSI_
    .private_segment_fixed_size: 0
    .sgpr_count:     6
    .sgpr_spill_count: 0
    .symbol:         _ZN7rocprim17ROCPRIM_400000_NS6detail17trampoline_kernelINS0_14default_configENS1_35radix_sort_onesweep_config_selectorIiiEEZZNS1_29radix_sort_onesweep_iterationIS3_Lb0EN6thrust23THRUST_200600_302600_NS6detail15normal_iteratorINS8_10device_ptrIiEEEESD_SD_SD_jNS0_19identity_decomposerENS1_16block_id_wrapperIjLb0EEEEE10hipError_tT1_PNSt15iterator_traitsISI_E10value_typeET2_T3_PNSJ_ISO_E10value_typeET4_T5_PST_SU_PNS1_23onesweep_lookback_stateEbbT6_jjT7_P12ihipStream_tbENKUlT_T0_SI_SN_E_clISD_PiSD_S15_EEDaS11_S12_SI_SN_EUlS11_E_NS1_11comp_targetILNS1_3genE4ELNS1_11target_archE910ELNS1_3gpuE8ELNS1_3repE0EEENS1_47radix_sort_onesweep_sort_config_static_selectorELNS0_4arch9wavefront6targetE1EEEvSI_.kd
    .uniform_work_group_size: 1
    .uses_dynamic_stack: false
    .vgpr_count:     0
    .vgpr_spill_count: 0
    .wavefront_size: 64
  - .agpr_count:     0
    .args:
      - .offset:         0
        .size:           88
        .value_kind:     by_value
    .group_segment_fixed_size: 0
    .kernarg_segment_align: 8
    .kernarg_segment_size: 88
    .language:       OpenCL C
    .language_version:
      - 2
      - 0
    .max_flat_workgroup_size: 256
    .name:           _ZN7rocprim17ROCPRIM_400000_NS6detail17trampoline_kernelINS0_14default_configENS1_35radix_sort_onesweep_config_selectorIiiEEZZNS1_29radix_sort_onesweep_iterationIS3_Lb0EN6thrust23THRUST_200600_302600_NS6detail15normal_iteratorINS8_10device_ptrIiEEEESD_SD_SD_jNS0_19identity_decomposerENS1_16block_id_wrapperIjLb0EEEEE10hipError_tT1_PNSt15iterator_traitsISI_E10value_typeET2_T3_PNSJ_ISO_E10value_typeET4_T5_PST_SU_PNS1_23onesweep_lookback_stateEbbT6_jjT7_P12ihipStream_tbENKUlT_T0_SI_SN_E_clISD_PiSD_S15_EEDaS11_S12_SI_SN_EUlS11_E_NS1_11comp_targetILNS1_3genE3ELNS1_11target_archE908ELNS1_3gpuE7ELNS1_3repE0EEENS1_47radix_sort_onesweep_sort_config_static_selectorELNS0_4arch9wavefront6targetE1EEEvSI_
    .private_segment_fixed_size: 0
    .sgpr_count:     6
    .sgpr_spill_count: 0
    .symbol:         _ZN7rocprim17ROCPRIM_400000_NS6detail17trampoline_kernelINS0_14default_configENS1_35radix_sort_onesweep_config_selectorIiiEEZZNS1_29radix_sort_onesweep_iterationIS3_Lb0EN6thrust23THRUST_200600_302600_NS6detail15normal_iteratorINS8_10device_ptrIiEEEESD_SD_SD_jNS0_19identity_decomposerENS1_16block_id_wrapperIjLb0EEEEE10hipError_tT1_PNSt15iterator_traitsISI_E10value_typeET2_T3_PNSJ_ISO_E10value_typeET4_T5_PST_SU_PNS1_23onesweep_lookback_stateEbbT6_jjT7_P12ihipStream_tbENKUlT_T0_SI_SN_E_clISD_PiSD_S15_EEDaS11_S12_SI_SN_EUlS11_E_NS1_11comp_targetILNS1_3genE3ELNS1_11target_archE908ELNS1_3gpuE7ELNS1_3repE0EEENS1_47radix_sort_onesweep_sort_config_static_selectorELNS0_4arch9wavefront6targetE1EEEvSI_.kd
    .uniform_work_group_size: 1
    .uses_dynamic_stack: false
    .vgpr_count:     0
    .vgpr_spill_count: 0
    .wavefront_size: 64
  - .agpr_count:     0
    .args:
      - .offset:         0
        .size:           88
        .value_kind:     by_value
    .group_segment_fixed_size: 0
    .kernarg_segment_align: 8
    .kernarg_segment_size: 88
    .language:       OpenCL C
    .language_version:
      - 2
      - 0
    .max_flat_workgroup_size: 1024
    .name:           _ZN7rocprim17ROCPRIM_400000_NS6detail17trampoline_kernelINS0_14default_configENS1_35radix_sort_onesweep_config_selectorIiiEEZZNS1_29radix_sort_onesweep_iterationIS3_Lb0EN6thrust23THRUST_200600_302600_NS6detail15normal_iteratorINS8_10device_ptrIiEEEESD_SD_SD_jNS0_19identity_decomposerENS1_16block_id_wrapperIjLb0EEEEE10hipError_tT1_PNSt15iterator_traitsISI_E10value_typeET2_T3_PNSJ_ISO_E10value_typeET4_T5_PST_SU_PNS1_23onesweep_lookback_stateEbbT6_jjT7_P12ihipStream_tbENKUlT_T0_SI_SN_E_clISD_PiSD_S15_EEDaS11_S12_SI_SN_EUlS11_E_NS1_11comp_targetILNS1_3genE10ELNS1_11target_archE1201ELNS1_3gpuE5ELNS1_3repE0EEENS1_47radix_sort_onesweep_sort_config_static_selectorELNS0_4arch9wavefront6targetE1EEEvSI_
    .private_segment_fixed_size: 0
    .sgpr_count:     6
    .sgpr_spill_count: 0
    .symbol:         _ZN7rocprim17ROCPRIM_400000_NS6detail17trampoline_kernelINS0_14default_configENS1_35radix_sort_onesweep_config_selectorIiiEEZZNS1_29radix_sort_onesweep_iterationIS3_Lb0EN6thrust23THRUST_200600_302600_NS6detail15normal_iteratorINS8_10device_ptrIiEEEESD_SD_SD_jNS0_19identity_decomposerENS1_16block_id_wrapperIjLb0EEEEE10hipError_tT1_PNSt15iterator_traitsISI_E10value_typeET2_T3_PNSJ_ISO_E10value_typeET4_T5_PST_SU_PNS1_23onesweep_lookback_stateEbbT6_jjT7_P12ihipStream_tbENKUlT_T0_SI_SN_E_clISD_PiSD_S15_EEDaS11_S12_SI_SN_EUlS11_E_NS1_11comp_targetILNS1_3genE10ELNS1_11target_archE1201ELNS1_3gpuE5ELNS1_3repE0EEENS1_47radix_sort_onesweep_sort_config_static_selectorELNS0_4arch9wavefront6targetE1EEEvSI_.kd
    .uniform_work_group_size: 1
    .uses_dynamic_stack: false
    .vgpr_count:     0
    .vgpr_spill_count: 0
    .wavefront_size: 64
  - .agpr_count:     0
    .args:
      - .offset:         0
        .size:           88
        .value_kind:     by_value
    .group_segment_fixed_size: 0
    .kernarg_segment_align: 8
    .kernarg_segment_size: 88
    .language:       OpenCL C
    .language_version:
      - 2
      - 0
    .max_flat_workgroup_size: 1024
    .name:           _ZN7rocprim17ROCPRIM_400000_NS6detail17trampoline_kernelINS0_14default_configENS1_35radix_sort_onesweep_config_selectorIiiEEZZNS1_29radix_sort_onesweep_iterationIS3_Lb0EN6thrust23THRUST_200600_302600_NS6detail15normal_iteratorINS8_10device_ptrIiEEEESD_SD_SD_jNS0_19identity_decomposerENS1_16block_id_wrapperIjLb0EEEEE10hipError_tT1_PNSt15iterator_traitsISI_E10value_typeET2_T3_PNSJ_ISO_E10value_typeET4_T5_PST_SU_PNS1_23onesweep_lookback_stateEbbT6_jjT7_P12ihipStream_tbENKUlT_T0_SI_SN_E_clISD_PiSD_S15_EEDaS11_S12_SI_SN_EUlS11_E_NS1_11comp_targetILNS1_3genE9ELNS1_11target_archE1100ELNS1_3gpuE3ELNS1_3repE0EEENS1_47radix_sort_onesweep_sort_config_static_selectorELNS0_4arch9wavefront6targetE1EEEvSI_
    .private_segment_fixed_size: 0
    .sgpr_count:     6
    .sgpr_spill_count: 0
    .symbol:         _ZN7rocprim17ROCPRIM_400000_NS6detail17trampoline_kernelINS0_14default_configENS1_35radix_sort_onesweep_config_selectorIiiEEZZNS1_29radix_sort_onesweep_iterationIS3_Lb0EN6thrust23THRUST_200600_302600_NS6detail15normal_iteratorINS8_10device_ptrIiEEEESD_SD_SD_jNS0_19identity_decomposerENS1_16block_id_wrapperIjLb0EEEEE10hipError_tT1_PNSt15iterator_traitsISI_E10value_typeET2_T3_PNSJ_ISO_E10value_typeET4_T5_PST_SU_PNS1_23onesweep_lookback_stateEbbT6_jjT7_P12ihipStream_tbENKUlT_T0_SI_SN_E_clISD_PiSD_S15_EEDaS11_S12_SI_SN_EUlS11_E_NS1_11comp_targetILNS1_3genE9ELNS1_11target_archE1100ELNS1_3gpuE3ELNS1_3repE0EEENS1_47radix_sort_onesweep_sort_config_static_selectorELNS0_4arch9wavefront6targetE1EEEvSI_.kd
    .uniform_work_group_size: 1
    .uses_dynamic_stack: false
    .vgpr_count:     0
    .vgpr_spill_count: 0
    .wavefront_size: 64
  - .agpr_count:     0
    .args:
      - .offset:         0
        .size:           88
        .value_kind:     by_value
    .group_segment_fixed_size: 0
    .kernarg_segment_align: 8
    .kernarg_segment_size: 88
    .language:       OpenCL C
    .language_version:
      - 2
      - 0
    .max_flat_workgroup_size: 1024
    .name:           _ZN7rocprim17ROCPRIM_400000_NS6detail17trampoline_kernelINS0_14default_configENS1_35radix_sort_onesweep_config_selectorIiiEEZZNS1_29radix_sort_onesweep_iterationIS3_Lb0EN6thrust23THRUST_200600_302600_NS6detail15normal_iteratorINS8_10device_ptrIiEEEESD_SD_SD_jNS0_19identity_decomposerENS1_16block_id_wrapperIjLb0EEEEE10hipError_tT1_PNSt15iterator_traitsISI_E10value_typeET2_T3_PNSJ_ISO_E10value_typeET4_T5_PST_SU_PNS1_23onesweep_lookback_stateEbbT6_jjT7_P12ihipStream_tbENKUlT_T0_SI_SN_E_clISD_PiSD_S15_EEDaS11_S12_SI_SN_EUlS11_E_NS1_11comp_targetILNS1_3genE8ELNS1_11target_archE1030ELNS1_3gpuE2ELNS1_3repE0EEENS1_47radix_sort_onesweep_sort_config_static_selectorELNS0_4arch9wavefront6targetE1EEEvSI_
    .private_segment_fixed_size: 0
    .sgpr_count:     6
    .sgpr_spill_count: 0
    .symbol:         _ZN7rocprim17ROCPRIM_400000_NS6detail17trampoline_kernelINS0_14default_configENS1_35radix_sort_onesweep_config_selectorIiiEEZZNS1_29radix_sort_onesweep_iterationIS3_Lb0EN6thrust23THRUST_200600_302600_NS6detail15normal_iteratorINS8_10device_ptrIiEEEESD_SD_SD_jNS0_19identity_decomposerENS1_16block_id_wrapperIjLb0EEEEE10hipError_tT1_PNSt15iterator_traitsISI_E10value_typeET2_T3_PNSJ_ISO_E10value_typeET4_T5_PST_SU_PNS1_23onesweep_lookback_stateEbbT6_jjT7_P12ihipStream_tbENKUlT_T0_SI_SN_E_clISD_PiSD_S15_EEDaS11_S12_SI_SN_EUlS11_E_NS1_11comp_targetILNS1_3genE8ELNS1_11target_archE1030ELNS1_3gpuE2ELNS1_3repE0EEENS1_47radix_sort_onesweep_sort_config_static_selectorELNS0_4arch9wavefront6targetE1EEEvSI_.kd
    .uniform_work_group_size: 1
    .uses_dynamic_stack: false
    .vgpr_count:     0
    .vgpr_spill_count: 0
    .wavefront_size: 64
  - .agpr_count:     0
    .args:
      - .offset:         0
        .size:           88
        .value_kind:     by_value
    .group_segment_fixed_size: 0
    .kernarg_segment_align: 8
    .kernarg_segment_size: 88
    .language:       OpenCL C
    .language_version:
      - 2
      - 0
    .max_flat_workgroup_size: 256
    .name:           _ZN7rocprim17ROCPRIM_400000_NS6detail17trampoline_kernelINS0_14default_configENS1_35radix_sort_onesweep_config_selectorIiiEEZZNS1_29radix_sort_onesweep_iterationIS3_Lb0EN6thrust23THRUST_200600_302600_NS6detail15normal_iteratorINS8_10device_ptrIiEEEESD_SD_SD_jNS0_19identity_decomposerENS1_16block_id_wrapperIjLb0EEEEE10hipError_tT1_PNSt15iterator_traitsISI_E10value_typeET2_T3_PNSJ_ISO_E10value_typeET4_T5_PST_SU_PNS1_23onesweep_lookback_stateEbbT6_jjT7_P12ihipStream_tbENKUlT_T0_SI_SN_E_clIPiSD_S15_SD_EEDaS11_S12_SI_SN_EUlS11_E_NS1_11comp_targetILNS1_3genE0ELNS1_11target_archE4294967295ELNS1_3gpuE0ELNS1_3repE0EEENS1_47radix_sort_onesweep_sort_config_static_selectorELNS0_4arch9wavefront6targetE1EEEvSI_
    .private_segment_fixed_size: 0
    .sgpr_count:     6
    .sgpr_spill_count: 0
    .symbol:         _ZN7rocprim17ROCPRIM_400000_NS6detail17trampoline_kernelINS0_14default_configENS1_35radix_sort_onesweep_config_selectorIiiEEZZNS1_29radix_sort_onesweep_iterationIS3_Lb0EN6thrust23THRUST_200600_302600_NS6detail15normal_iteratorINS8_10device_ptrIiEEEESD_SD_SD_jNS0_19identity_decomposerENS1_16block_id_wrapperIjLb0EEEEE10hipError_tT1_PNSt15iterator_traitsISI_E10value_typeET2_T3_PNSJ_ISO_E10value_typeET4_T5_PST_SU_PNS1_23onesweep_lookback_stateEbbT6_jjT7_P12ihipStream_tbENKUlT_T0_SI_SN_E_clIPiSD_S15_SD_EEDaS11_S12_SI_SN_EUlS11_E_NS1_11comp_targetILNS1_3genE0ELNS1_11target_archE4294967295ELNS1_3gpuE0ELNS1_3repE0EEENS1_47radix_sort_onesweep_sort_config_static_selectorELNS0_4arch9wavefront6targetE1EEEvSI_.kd
    .uniform_work_group_size: 1
    .uses_dynamic_stack: false
    .vgpr_count:     0
    .vgpr_spill_count: 0
    .wavefront_size: 64
  - .agpr_count:     0
    .args:
      - .offset:         0
        .size:           88
        .value_kind:     by_value
      - .offset:         88
        .size:           4
        .value_kind:     hidden_block_count_x
      - .offset:         92
        .size:           4
        .value_kind:     hidden_block_count_y
      - .offset:         96
        .size:           4
        .value_kind:     hidden_block_count_z
      - .offset:         100
        .size:           2
        .value_kind:     hidden_group_size_x
      - .offset:         102
        .size:           2
        .value_kind:     hidden_group_size_y
      - .offset:         104
        .size:           2
        .value_kind:     hidden_group_size_z
      - .offset:         106
        .size:           2
        .value_kind:     hidden_remainder_x
      - .offset:         108
        .size:           2
        .value_kind:     hidden_remainder_y
      - .offset:         110
        .size:           2
        .value_kind:     hidden_remainder_z
      - .offset:         128
        .size:           8
        .value_kind:     hidden_global_offset_x
      - .offset:         136
        .size:           8
        .value_kind:     hidden_global_offset_y
      - .offset:         144
        .size:           8
        .value_kind:     hidden_global_offset_z
      - .offset:         152
        .size:           2
        .value_kind:     hidden_grid_dims
    .group_segment_fixed_size: 20552
    .kernarg_segment_align: 8
    .kernarg_segment_size: 344
    .language:       OpenCL C
    .language_version:
      - 2
      - 0
    .max_flat_workgroup_size: 1024
    .name:           _ZN7rocprim17ROCPRIM_400000_NS6detail17trampoline_kernelINS0_14default_configENS1_35radix_sort_onesweep_config_selectorIiiEEZZNS1_29radix_sort_onesweep_iterationIS3_Lb0EN6thrust23THRUST_200600_302600_NS6detail15normal_iteratorINS8_10device_ptrIiEEEESD_SD_SD_jNS0_19identity_decomposerENS1_16block_id_wrapperIjLb0EEEEE10hipError_tT1_PNSt15iterator_traitsISI_E10value_typeET2_T3_PNSJ_ISO_E10value_typeET4_T5_PST_SU_PNS1_23onesweep_lookback_stateEbbT6_jjT7_P12ihipStream_tbENKUlT_T0_SI_SN_E_clIPiSD_S15_SD_EEDaS11_S12_SI_SN_EUlS11_E_NS1_11comp_targetILNS1_3genE6ELNS1_11target_archE950ELNS1_3gpuE13ELNS1_3repE0EEENS1_47radix_sort_onesweep_sort_config_static_selectorELNS0_4arch9wavefront6targetE1EEEvSI_
    .private_segment_fixed_size: 80
    .sgpr_count:     76
    .sgpr_spill_count: 0
    .symbol:         _ZN7rocprim17ROCPRIM_400000_NS6detail17trampoline_kernelINS0_14default_configENS1_35radix_sort_onesweep_config_selectorIiiEEZZNS1_29radix_sort_onesweep_iterationIS3_Lb0EN6thrust23THRUST_200600_302600_NS6detail15normal_iteratorINS8_10device_ptrIiEEEESD_SD_SD_jNS0_19identity_decomposerENS1_16block_id_wrapperIjLb0EEEEE10hipError_tT1_PNSt15iterator_traitsISI_E10value_typeET2_T3_PNSJ_ISO_E10value_typeET4_T5_PST_SU_PNS1_23onesweep_lookback_stateEbbT6_jjT7_P12ihipStream_tbENKUlT_T0_SI_SN_E_clIPiSD_S15_SD_EEDaS11_S12_SI_SN_EUlS11_E_NS1_11comp_targetILNS1_3genE6ELNS1_11target_archE950ELNS1_3gpuE13ELNS1_3repE0EEENS1_47radix_sort_onesweep_sort_config_static_selectorELNS0_4arch9wavefront6targetE1EEEvSI_.kd
    .uniform_work_group_size: 1
    .uses_dynamic_stack: false
    .vgpr_count:     88
    .vgpr_spill_count: 0
    .wavefront_size: 64
  - .agpr_count:     0
    .args:
      - .offset:         0
        .size:           88
        .value_kind:     by_value
    .group_segment_fixed_size: 0
    .kernarg_segment_align: 8
    .kernarg_segment_size: 88
    .language:       OpenCL C
    .language_version:
      - 2
      - 0
    .max_flat_workgroup_size: 1024
    .name:           _ZN7rocprim17ROCPRIM_400000_NS6detail17trampoline_kernelINS0_14default_configENS1_35radix_sort_onesweep_config_selectorIiiEEZZNS1_29radix_sort_onesweep_iterationIS3_Lb0EN6thrust23THRUST_200600_302600_NS6detail15normal_iteratorINS8_10device_ptrIiEEEESD_SD_SD_jNS0_19identity_decomposerENS1_16block_id_wrapperIjLb0EEEEE10hipError_tT1_PNSt15iterator_traitsISI_E10value_typeET2_T3_PNSJ_ISO_E10value_typeET4_T5_PST_SU_PNS1_23onesweep_lookback_stateEbbT6_jjT7_P12ihipStream_tbENKUlT_T0_SI_SN_E_clIPiSD_S15_SD_EEDaS11_S12_SI_SN_EUlS11_E_NS1_11comp_targetILNS1_3genE5ELNS1_11target_archE942ELNS1_3gpuE9ELNS1_3repE0EEENS1_47radix_sort_onesweep_sort_config_static_selectorELNS0_4arch9wavefront6targetE1EEEvSI_
    .private_segment_fixed_size: 0
    .sgpr_count:     6
    .sgpr_spill_count: 0
    .symbol:         _ZN7rocprim17ROCPRIM_400000_NS6detail17trampoline_kernelINS0_14default_configENS1_35radix_sort_onesweep_config_selectorIiiEEZZNS1_29radix_sort_onesweep_iterationIS3_Lb0EN6thrust23THRUST_200600_302600_NS6detail15normal_iteratorINS8_10device_ptrIiEEEESD_SD_SD_jNS0_19identity_decomposerENS1_16block_id_wrapperIjLb0EEEEE10hipError_tT1_PNSt15iterator_traitsISI_E10value_typeET2_T3_PNSJ_ISO_E10value_typeET4_T5_PST_SU_PNS1_23onesweep_lookback_stateEbbT6_jjT7_P12ihipStream_tbENKUlT_T0_SI_SN_E_clIPiSD_S15_SD_EEDaS11_S12_SI_SN_EUlS11_E_NS1_11comp_targetILNS1_3genE5ELNS1_11target_archE942ELNS1_3gpuE9ELNS1_3repE0EEENS1_47radix_sort_onesweep_sort_config_static_selectorELNS0_4arch9wavefront6targetE1EEEvSI_.kd
    .uniform_work_group_size: 1
    .uses_dynamic_stack: false
    .vgpr_count:     0
    .vgpr_spill_count: 0
    .wavefront_size: 64
  - .agpr_count:     0
    .args:
      - .offset:         0
        .size:           88
        .value_kind:     by_value
    .group_segment_fixed_size: 0
    .kernarg_segment_align: 8
    .kernarg_segment_size: 88
    .language:       OpenCL C
    .language_version:
      - 2
      - 0
    .max_flat_workgroup_size: 512
    .name:           _ZN7rocprim17ROCPRIM_400000_NS6detail17trampoline_kernelINS0_14default_configENS1_35radix_sort_onesweep_config_selectorIiiEEZZNS1_29radix_sort_onesweep_iterationIS3_Lb0EN6thrust23THRUST_200600_302600_NS6detail15normal_iteratorINS8_10device_ptrIiEEEESD_SD_SD_jNS0_19identity_decomposerENS1_16block_id_wrapperIjLb0EEEEE10hipError_tT1_PNSt15iterator_traitsISI_E10value_typeET2_T3_PNSJ_ISO_E10value_typeET4_T5_PST_SU_PNS1_23onesweep_lookback_stateEbbT6_jjT7_P12ihipStream_tbENKUlT_T0_SI_SN_E_clIPiSD_S15_SD_EEDaS11_S12_SI_SN_EUlS11_E_NS1_11comp_targetILNS1_3genE2ELNS1_11target_archE906ELNS1_3gpuE6ELNS1_3repE0EEENS1_47radix_sort_onesweep_sort_config_static_selectorELNS0_4arch9wavefront6targetE1EEEvSI_
    .private_segment_fixed_size: 0
    .sgpr_count:     6
    .sgpr_spill_count: 0
    .symbol:         _ZN7rocprim17ROCPRIM_400000_NS6detail17trampoline_kernelINS0_14default_configENS1_35radix_sort_onesweep_config_selectorIiiEEZZNS1_29radix_sort_onesweep_iterationIS3_Lb0EN6thrust23THRUST_200600_302600_NS6detail15normal_iteratorINS8_10device_ptrIiEEEESD_SD_SD_jNS0_19identity_decomposerENS1_16block_id_wrapperIjLb0EEEEE10hipError_tT1_PNSt15iterator_traitsISI_E10value_typeET2_T3_PNSJ_ISO_E10value_typeET4_T5_PST_SU_PNS1_23onesweep_lookback_stateEbbT6_jjT7_P12ihipStream_tbENKUlT_T0_SI_SN_E_clIPiSD_S15_SD_EEDaS11_S12_SI_SN_EUlS11_E_NS1_11comp_targetILNS1_3genE2ELNS1_11target_archE906ELNS1_3gpuE6ELNS1_3repE0EEENS1_47radix_sort_onesweep_sort_config_static_selectorELNS0_4arch9wavefront6targetE1EEEvSI_.kd
    .uniform_work_group_size: 1
    .uses_dynamic_stack: false
    .vgpr_count:     0
    .vgpr_spill_count: 0
    .wavefront_size: 64
  - .agpr_count:     0
    .args:
      - .offset:         0
        .size:           88
        .value_kind:     by_value
    .group_segment_fixed_size: 0
    .kernarg_segment_align: 8
    .kernarg_segment_size: 88
    .language:       OpenCL C
    .language_version:
      - 2
      - 0
    .max_flat_workgroup_size: 512
    .name:           _ZN7rocprim17ROCPRIM_400000_NS6detail17trampoline_kernelINS0_14default_configENS1_35radix_sort_onesweep_config_selectorIiiEEZZNS1_29radix_sort_onesweep_iterationIS3_Lb0EN6thrust23THRUST_200600_302600_NS6detail15normal_iteratorINS8_10device_ptrIiEEEESD_SD_SD_jNS0_19identity_decomposerENS1_16block_id_wrapperIjLb0EEEEE10hipError_tT1_PNSt15iterator_traitsISI_E10value_typeET2_T3_PNSJ_ISO_E10value_typeET4_T5_PST_SU_PNS1_23onesweep_lookback_stateEbbT6_jjT7_P12ihipStream_tbENKUlT_T0_SI_SN_E_clIPiSD_S15_SD_EEDaS11_S12_SI_SN_EUlS11_E_NS1_11comp_targetILNS1_3genE4ELNS1_11target_archE910ELNS1_3gpuE8ELNS1_3repE0EEENS1_47radix_sort_onesweep_sort_config_static_selectorELNS0_4arch9wavefront6targetE1EEEvSI_
    .private_segment_fixed_size: 0
    .sgpr_count:     6
    .sgpr_spill_count: 0
    .symbol:         _ZN7rocprim17ROCPRIM_400000_NS6detail17trampoline_kernelINS0_14default_configENS1_35radix_sort_onesweep_config_selectorIiiEEZZNS1_29radix_sort_onesweep_iterationIS3_Lb0EN6thrust23THRUST_200600_302600_NS6detail15normal_iteratorINS8_10device_ptrIiEEEESD_SD_SD_jNS0_19identity_decomposerENS1_16block_id_wrapperIjLb0EEEEE10hipError_tT1_PNSt15iterator_traitsISI_E10value_typeET2_T3_PNSJ_ISO_E10value_typeET4_T5_PST_SU_PNS1_23onesweep_lookback_stateEbbT6_jjT7_P12ihipStream_tbENKUlT_T0_SI_SN_E_clIPiSD_S15_SD_EEDaS11_S12_SI_SN_EUlS11_E_NS1_11comp_targetILNS1_3genE4ELNS1_11target_archE910ELNS1_3gpuE8ELNS1_3repE0EEENS1_47radix_sort_onesweep_sort_config_static_selectorELNS0_4arch9wavefront6targetE1EEEvSI_.kd
    .uniform_work_group_size: 1
    .uses_dynamic_stack: false
    .vgpr_count:     0
    .vgpr_spill_count: 0
    .wavefront_size: 64
  - .agpr_count:     0
    .args:
      - .offset:         0
        .size:           88
        .value_kind:     by_value
    .group_segment_fixed_size: 0
    .kernarg_segment_align: 8
    .kernarg_segment_size: 88
    .language:       OpenCL C
    .language_version:
      - 2
      - 0
    .max_flat_workgroup_size: 256
    .name:           _ZN7rocprim17ROCPRIM_400000_NS6detail17trampoline_kernelINS0_14default_configENS1_35radix_sort_onesweep_config_selectorIiiEEZZNS1_29radix_sort_onesweep_iterationIS3_Lb0EN6thrust23THRUST_200600_302600_NS6detail15normal_iteratorINS8_10device_ptrIiEEEESD_SD_SD_jNS0_19identity_decomposerENS1_16block_id_wrapperIjLb0EEEEE10hipError_tT1_PNSt15iterator_traitsISI_E10value_typeET2_T3_PNSJ_ISO_E10value_typeET4_T5_PST_SU_PNS1_23onesweep_lookback_stateEbbT6_jjT7_P12ihipStream_tbENKUlT_T0_SI_SN_E_clIPiSD_S15_SD_EEDaS11_S12_SI_SN_EUlS11_E_NS1_11comp_targetILNS1_3genE3ELNS1_11target_archE908ELNS1_3gpuE7ELNS1_3repE0EEENS1_47radix_sort_onesweep_sort_config_static_selectorELNS0_4arch9wavefront6targetE1EEEvSI_
    .private_segment_fixed_size: 0
    .sgpr_count:     6
    .sgpr_spill_count: 0
    .symbol:         _ZN7rocprim17ROCPRIM_400000_NS6detail17trampoline_kernelINS0_14default_configENS1_35radix_sort_onesweep_config_selectorIiiEEZZNS1_29radix_sort_onesweep_iterationIS3_Lb0EN6thrust23THRUST_200600_302600_NS6detail15normal_iteratorINS8_10device_ptrIiEEEESD_SD_SD_jNS0_19identity_decomposerENS1_16block_id_wrapperIjLb0EEEEE10hipError_tT1_PNSt15iterator_traitsISI_E10value_typeET2_T3_PNSJ_ISO_E10value_typeET4_T5_PST_SU_PNS1_23onesweep_lookback_stateEbbT6_jjT7_P12ihipStream_tbENKUlT_T0_SI_SN_E_clIPiSD_S15_SD_EEDaS11_S12_SI_SN_EUlS11_E_NS1_11comp_targetILNS1_3genE3ELNS1_11target_archE908ELNS1_3gpuE7ELNS1_3repE0EEENS1_47radix_sort_onesweep_sort_config_static_selectorELNS0_4arch9wavefront6targetE1EEEvSI_.kd
    .uniform_work_group_size: 1
    .uses_dynamic_stack: false
    .vgpr_count:     0
    .vgpr_spill_count: 0
    .wavefront_size: 64
  - .agpr_count:     0
    .args:
      - .offset:         0
        .size:           88
        .value_kind:     by_value
    .group_segment_fixed_size: 0
    .kernarg_segment_align: 8
    .kernarg_segment_size: 88
    .language:       OpenCL C
    .language_version:
      - 2
      - 0
    .max_flat_workgroup_size: 1024
    .name:           _ZN7rocprim17ROCPRIM_400000_NS6detail17trampoline_kernelINS0_14default_configENS1_35radix_sort_onesweep_config_selectorIiiEEZZNS1_29radix_sort_onesweep_iterationIS3_Lb0EN6thrust23THRUST_200600_302600_NS6detail15normal_iteratorINS8_10device_ptrIiEEEESD_SD_SD_jNS0_19identity_decomposerENS1_16block_id_wrapperIjLb0EEEEE10hipError_tT1_PNSt15iterator_traitsISI_E10value_typeET2_T3_PNSJ_ISO_E10value_typeET4_T5_PST_SU_PNS1_23onesweep_lookback_stateEbbT6_jjT7_P12ihipStream_tbENKUlT_T0_SI_SN_E_clIPiSD_S15_SD_EEDaS11_S12_SI_SN_EUlS11_E_NS1_11comp_targetILNS1_3genE10ELNS1_11target_archE1201ELNS1_3gpuE5ELNS1_3repE0EEENS1_47radix_sort_onesweep_sort_config_static_selectorELNS0_4arch9wavefront6targetE1EEEvSI_
    .private_segment_fixed_size: 0
    .sgpr_count:     6
    .sgpr_spill_count: 0
    .symbol:         _ZN7rocprim17ROCPRIM_400000_NS6detail17trampoline_kernelINS0_14default_configENS1_35radix_sort_onesweep_config_selectorIiiEEZZNS1_29radix_sort_onesweep_iterationIS3_Lb0EN6thrust23THRUST_200600_302600_NS6detail15normal_iteratorINS8_10device_ptrIiEEEESD_SD_SD_jNS0_19identity_decomposerENS1_16block_id_wrapperIjLb0EEEEE10hipError_tT1_PNSt15iterator_traitsISI_E10value_typeET2_T3_PNSJ_ISO_E10value_typeET4_T5_PST_SU_PNS1_23onesweep_lookback_stateEbbT6_jjT7_P12ihipStream_tbENKUlT_T0_SI_SN_E_clIPiSD_S15_SD_EEDaS11_S12_SI_SN_EUlS11_E_NS1_11comp_targetILNS1_3genE10ELNS1_11target_archE1201ELNS1_3gpuE5ELNS1_3repE0EEENS1_47radix_sort_onesweep_sort_config_static_selectorELNS0_4arch9wavefront6targetE1EEEvSI_.kd
    .uniform_work_group_size: 1
    .uses_dynamic_stack: false
    .vgpr_count:     0
    .vgpr_spill_count: 0
    .wavefront_size: 64
  - .agpr_count:     0
    .args:
      - .offset:         0
        .size:           88
        .value_kind:     by_value
    .group_segment_fixed_size: 0
    .kernarg_segment_align: 8
    .kernarg_segment_size: 88
    .language:       OpenCL C
    .language_version:
      - 2
      - 0
    .max_flat_workgroup_size: 1024
    .name:           _ZN7rocprim17ROCPRIM_400000_NS6detail17trampoline_kernelINS0_14default_configENS1_35radix_sort_onesweep_config_selectorIiiEEZZNS1_29radix_sort_onesweep_iterationIS3_Lb0EN6thrust23THRUST_200600_302600_NS6detail15normal_iteratorINS8_10device_ptrIiEEEESD_SD_SD_jNS0_19identity_decomposerENS1_16block_id_wrapperIjLb0EEEEE10hipError_tT1_PNSt15iterator_traitsISI_E10value_typeET2_T3_PNSJ_ISO_E10value_typeET4_T5_PST_SU_PNS1_23onesweep_lookback_stateEbbT6_jjT7_P12ihipStream_tbENKUlT_T0_SI_SN_E_clIPiSD_S15_SD_EEDaS11_S12_SI_SN_EUlS11_E_NS1_11comp_targetILNS1_3genE9ELNS1_11target_archE1100ELNS1_3gpuE3ELNS1_3repE0EEENS1_47radix_sort_onesweep_sort_config_static_selectorELNS0_4arch9wavefront6targetE1EEEvSI_
    .private_segment_fixed_size: 0
    .sgpr_count:     6
    .sgpr_spill_count: 0
    .symbol:         _ZN7rocprim17ROCPRIM_400000_NS6detail17trampoline_kernelINS0_14default_configENS1_35radix_sort_onesweep_config_selectorIiiEEZZNS1_29radix_sort_onesweep_iterationIS3_Lb0EN6thrust23THRUST_200600_302600_NS6detail15normal_iteratorINS8_10device_ptrIiEEEESD_SD_SD_jNS0_19identity_decomposerENS1_16block_id_wrapperIjLb0EEEEE10hipError_tT1_PNSt15iterator_traitsISI_E10value_typeET2_T3_PNSJ_ISO_E10value_typeET4_T5_PST_SU_PNS1_23onesweep_lookback_stateEbbT6_jjT7_P12ihipStream_tbENKUlT_T0_SI_SN_E_clIPiSD_S15_SD_EEDaS11_S12_SI_SN_EUlS11_E_NS1_11comp_targetILNS1_3genE9ELNS1_11target_archE1100ELNS1_3gpuE3ELNS1_3repE0EEENS1_47radix_sort_onesweep_sort_config_static_selectorELNS0_4arch9wavefront6targetE1EEEvSI_.kd
    .uniform_work_group_size: 1
    .uses_dynamic_stack: false
    .vgpr_count:     0
    .vgpr_spill_count: 0
    .wavefront_size: 64
  - .agpr_count:     0
    .args:
      - .offset:         0
        .size:           88
        .value_kind:     by_value
    .group_segment_fixed_size: 0
    .kernarg_segment_align: 8
    .kernarg_segment_size: 88
    .language:       OpenCL C
    .language_version:
      - 2
      - 0
    .max_flat_workgroup_size: 1024
    .name:           _ZN7rocprim17ROCPRIM_400000_NS6detail17trampoline_kernelINS0_14default_configENS1_35radix_sort_onesweep_config_selectorIiiEEZZNS1_29radix_sort_onesweep_iterationIS3_Lb0EN6thrust23THRUST_200600_302600_NS6detail15normal_iteratorINS8_10device_ptrIiEEEESD_SD_SD_jNS0_19identity_decomposerENS1_16block_id_wrapperIjLb0EEEEE10hipError_tT1_PNSt15iterator_traitsISI_E10value_typeET2_T3_PNSJ_ISO_E10value_typeET4_T5_PST_SU_PNS1_23onesweep_lookback_stateEbbT6_jjT7_P12ihipStream_tbENKUlT_T0_SI_SN_E_clIPiSD_S15_SD_EEDaS11_S12_SI_SN_EUlS11_E_NS1_11comp_targetILNS1_3genE8ELNS1_11target_archE1030ELNS1_3gpuE2ELNS1_3repE0EEENS1_47radix_sort_onesweep_sort_config_static_selectorELNS0_4arch9wavefront6targetE1EEEvSI_
    .private_segment_fixed_size: 0
    .sgpr_count:     6
    .sgpr_spill_count: 0
    .symbol:         _ZN7rocprim17ROCPRIM_400000_NS6detail17trampoline_kernelINS0_14default_configENS1_35radix_sort_onesweep_config_selectorIiiEEZZNS1_29radix_sort_onesweep_iterationIS3_Lb0EN6thrust23THRUST_200600_302600_NS6detail15normal_iteratorINS8_10device_ptrIiEEEESD_SD_SD_jNS0_19identity_decomposerENS1_16block_id_wrapperIjLb0EEEEE10hipError_tT1_PNSt15iterator_traitsISI_E10value_typeET2_T3_PNSJ_ISO_E10value_typeET4_T5_PST_SU_PNS1_23onesweep_lookback_stateEbbT6_jjT7_P12ihipStream_tbENKUlT_T0_SI_SN_E_clIPiSD_S15_SD_EEDaS11_S12_SI_SN_EUlS11_E_NS1_11comp_targetILNS1_3genE8ELNS1_11target_archE1030ELNS1_3gpuE2ELNS1_3repE0EEENS1_47radix_sort_onesweep_sort_config_static_selectorELNS0_4arch9wavefront6targetE1EEEvSI_.kd
    .uniform_work_group_size: 1
    .uses_dynamic_stack: false
    .vgpr_count:     0
    .vgpr_spill_count: 0
    .wavefront_size: 64
  - .agpr_count:     0
    .args:
      - .offset:         0
        .size:           104
        .value_kind:     by_value
    .group_segment_fixed_size: 64
    .kernarg_segment_align: 8
    .kernarg_segment_size: 104
    .language:       OpenCL C
    .language_version:
      - 2
      - 0
    .max_flat_workgroup_size: 128
    .name:           _ZN7rocprim17ROCPRIM_400000_NS6detail17trampoline_kernelINS0_14default_configENS1_22reduce_config_selectorIN6thrust23THRUST_200600_302600_NS5tupleIblNS6_9null_typeES8_S8_S8_S8_S8_S8_S8_EEEEZNS1_11reduce_implILb1ES3_NS6_12zip_iteratorINS7_INS6_11hip_rocprim26transform_input_iterator_tIbNSD_35transform_pair_of_input_iterators_tIbNS6_6detail15normal_iteratorINS6_10device_ptrIKiEEEESL_NS6_8equal_toIiEEEENSG_9not_fun_tINSD_8identityEEEEENSD_19counting_iterator_tIlEES8_S8_S8_S8_S8_S8_S8_S8_EEEEPS9_S9_NSD_9__find_if7functorIS9_EEEE10hipError_tPvRmT1_T2_T3_mT4_P12ihipStream_tbEUlT_E0_NS1_11comp_targetILNS1_3genE0ELNS1_11target_archE4294967295ELNS1_3gpuE0ELNS1_3repE0EEENS1_30default_config_static_selectorELNS0_4arch9wavefront6targetE1EEEvS14_
    .private_segment_fixed_size: 0
    .sgpr_count:     34
    .sgpr_spill_count: 0
    .symbol:         _ZN7rocprim17ROCPRIM_400000_NS6detail17trampoline_kernelINS0_14default_configENS1_22reduce_config_selectorIN6thrust23THRUST_200600_302600_NS5tupleIblNS6_9null_typeES8_S8_S8_S8_S8_S8_S8_EEEEZNS1_11reduce_implILb1ES3_NS6_12zip_iteratorINS7_INS6_11hip_rocprim26transform_input_iterator_tIbNSD_35transform_pair_of_input_iterators_tIbNS6_6detail15normal_iteratorINS6_10device_ptrIKiEEEESL_NS6_8equal_toIiEEEENSG_9not_fun_tINSD_8identityEEEEENSD_19counting_iterator_tIlEES8_S8_S8_S8_S8_S8_S8_S8_EEEEPS9_S9_NSD_9__find_if7functorIS9_EEEE10hipError_tPvRmT1_T2_T3_mT4_P12ihipStream_tbEUlT_E0_NS1_11comp_targetILNS1_3genE0ELNS1_11target_archE4294967295ELNS1_3gpuE0ELNS1_3repE0EEENS1_30default_config_static_selectorELNS0_4arch9wavefront6targetE1EEEvS14_.kd
    .uniform_work_group_size: 1
    .uses_dynamic_stack: false
    .vgpr_count:     14
    .vgpr_spill_count: 0
    .wavefront_size: 64
  - .agpr_count:     0
    .args:
      - .offset:         0
        .size:           104
        .value_kind:     by_value
    .group_segment_fixed_size: 0
    .kernarg_segment_align: 8
    .kernarg_segment_size: 104
    .language:       OpenCL C
    .language_version:
      - 2
      - 0
    .max_flat_workgroup_size: 256
    .name:           _ZN7rocprim17ROCPRIM_400000_NS6detail17trampoline_kernelINS0_14default_configENS1_22reduce_config_selectorIN6thrust23THRUST_200600_302600_NS5tupleIblNS6_9null_typeES8_S8_S8_S8_S8_S8_S8_EEEEZNS1_11reduce_implILb1ES3_NS6_12zip_iteratorINS7_INS6_11hip_rocprim26transform_input_iterator_tIbNSD_35transform_pair_of_input_iterators_tIbNS6_6detail15normal_iteratorINS6_10device_ptrIKiEEEESL_NS6_8equal_toIiEEEENSG_9not_fun_tINSD_8identityEEEEENSD_19counting_iterator_tIlEES8_S8_S8_S8_S8_S8_S8_S8_EEEEPS9_S9_NSD_9__find_if7functorIS9_EEEE10hipError_tPvRmT1_T2_T3_mT4_P12ihipStream_tbEUlT_E0_NS1_11comp_targetILNS1_3genE5ELNS1_11target_archE942ELNS1_3gpuE9ELNS1_3repE0EEENS1_30default_config_static_selectorELNS0_4arch9wavefront6targetE1EEEvS14_
    .private_segment_fixed_size: 0
    .sgpr_count:     6
    .sgpr_spill_count: 0
    .symbol:         _ZN7rocprim17ROCPRIM_400000_NS6detail17trampoline_kernelINS0_14default_configENS1_22reduce_config_selectorIN6thrust23THRUST_200600_302600_NS5tupleIblNS6_9null_typeES8_S8_S8_S8_S8_S8_S8_EEEEZNS1_11reduce_implILb1ES3_NS6_12zip_iteratorINS7_INS6_11hip_rocprim26transform_input_iterator_tIbNSD_35transform_pair_of_input_iterators_tIbNS6_6detail15normal_iteratorINS6_10device_ptrIKiEEEESL_NS6_8equal_toIiEEEENSG_9not_fun_tINSD_8identityEEEEENSD_19counting_iterator_tIlEES8_S8_S8_S8_S8_S8_S8_S8_EEEEPS9_S9_NSD_9__find_if7functorIS9_EEEE10hipError_tPvRmT1_T2_T3_mT4_P12ihipStream_tbEUlT_E0_NS1_11comp_targetILNS1_3genE5ELNS1_11target_archE942ELNS1_3gpuE9ELNS1_3repE0EEENS1_30default_config_static_selectorELNS0_4arch9wavefront6targetE1EEEvS14_.kd
    .uniform_work_group_size: 1
    .uses_dynamic_stack: false
    .vgpr_count:     0
    .vgpr_spill_count: 0
    .wavefront_size: 64
  - .agpr_count:     0
    .args:
      - .offset:         0
        .size:           104
        .value_kind:     by_value
    .group_segment_fixed_size: 0
    .kernarg_segment_align: 8
    .kernarg_segment_size: 104
    .language:       OpenCL C
    .language_version:
      - 2
      - 0
    .max_flat_workgroup_size: 256
    .name:           _ZN7rocprim17ROCPRIM_400000_NS6detail17trampoline_kernelINS0_14default_configENS1_22reduce_config_selectorIN6thrust23THRUST_200600_302600_NS5tupleIblNS6_9null_typeES8_S8_S8_S8_S8_S8_S8_EEEEZNS1_11reduce_implILb1ES3_NS6_12zip_iteratorINS7_INS6_11hip_rocprim26transform_input_iterator_tIbNSD_35transform_pair_of_input_iterators_tIbNS6_6detail15normal_iteratorINS6_10device_ptrIKiEEEESL_NS6_8equal_toIiEEEENSG_9not_fun_tINSD_8identityEEEEENSD_19counting_iterator_tIlEES8_S8_S8_S8_S8_S8_S8_S8_EEEEPS9_S9_NSD_9__find_if7functorIS9_EEEE10hipError_tPvRmT1_T2_T3_mT4_P12ihipStream_tbEUlT_E0_NS1_11comp_targetILNS1_3genE4ELNS1_11target_archE910ELNS1_3gpuE8ELNS1_3repE0EEENS1_30default_config_static_selectorELNS0_4arch9wavefront6targetE1EEEvS14_
    .private_segment_fixed_size: 0
    .sgpr_count:     6
    .sgpr_spill_count: 0
    .symbol:         _ZN7rocprim17ROCPRIM_400000_NS6detail17trampoline_kernelINS0_14default_configENS1_22reduce_config_selectorIN6thrust23THRUST_200600_302600_NS5tupleIblNS6_9null_typeES8_S8_S8_S8_S8_S8_S8_EEEEZNS1_11reduce_implILb1ES3_NS6_12zip_iteratorINS7_INS6_11hip_rocprim26transform_input_iterator_tIbNSD_35transform_pair_of_input_iterators_tIbNS6_6detail15normal_iteratorINS6_10device_ptrIKiEEEESL_NS6_8equal_toIiEEEENSG_9not_fun_tINSD_8identityEEEEENSD_19counting_iterator_tIlEES8_S8_S8_S8_S8_S8_S8_S8_EEEEPS9_S9_NSD_9__find_if7functorIS9_EEEE10hipError_tPvRmT1_T2_T3_mT4_P12ihipStream_tbEUlT_E0_NS1_11comp_targetILNS1_3genE4ELNS1_11target_archE910ELNS1_3gpuE8ELNS1_3repE0EEENS1_30default_config_static_selectorELNS0_4arch9wavefront6targetE1EEEvS14_.kd
    .uniform_work_group_size: 1
    .uses_dynamic_stack: false
    .vgpr_count:     0
    .vgpr_spill_count: 0
    .wavefront_size: 64
  - .agpr_count:     0
    .args:
      - .offset:         0
        .size:           104
        .value_kind:     by_value
    .group_segment_fixed_size: 0
    .kernarg_segment_align: 8
    .kernarg_segment_size: 104
    .language:       OpenCL C
    .language_version:
      - 2
      - 0
    .max_flat_workgroup_size: 128
    .name:           _ZN7rocprim17ROCPRIM_400000_NS6detail17trampoline_kernelINS0_14default_configENS1_22reduce_config_selectorIN6thrust23THRUST_200600_302600_NS5tupleIblNS6_9null_typeES8_S8_S8_S8_S8_S8_S8_EEEEZNS1_11reduce_implILb1ES3_NS6_12zip_iteratorINS7_INS6_11hip_rocprim26transform_input_iterator_tIbNSD_35transform_pair_of_input_iterators_tIbNS6_6detail15normal_iteratorINS6_10device_ptrIKiEEEESL_NS6_8equal_toIiEEEENSG_9not_fun_tINSD_8identityEEEEENSD_19counting_iterator_tIlEES8_S8_S8_S8_S8_S8_S8_S8_EEEEPS9_S9_NSD_9__find_if7functorIS9_EEEE10hipError_tPvRmT1_T2_T3_mT4_P12ihipStream_tbEUlT_E0_NS1_11comp_targetILNS1_3genE3ELNS1_11target_archE908ELNS1_3gpuE7ELNS1_3repE0EEENS1_30default_config_static_selectorELNS0_4arch9wavefront6targetE1EEEvS14_
    .private_segment_fixed_size: 0
    .sgpr_count:     6
    .sgpr_spill_count: 0
    .symbol:         _ZN7rocprim17ROCPRIM_400000_NS6detail17trampoline_kernelINS0_14default_configENS1_22reduce_config_selectorIN6thrust23THRUST_200600_302600_NS5tupleIblNS6_9null_typeES8_S8_S8_S8_S8_S8_S8_EEEEZNS1_11reduce_implILb1ES3_NS6_12zip_iteratorINS7_INS6_11hip_rocprim26transform_input_iterator_tIbNSD_35transform_pair_of_input_iterators_tIbNS6_6detail15normal_iteratorINS6_10device_ptrIKiEEEESL_NS6_8equal_toIiEEEENSG_9not_fun_tINSD_8identityEEEEENSD_19counting_iterator_tIlEES8_S8_S8_S8_S8_S8_S8_S8_EEEEPS9_S9_NSD_9__find_if7functorIS9_EEEE10hipError_tPvRmT1_T2_T3_mT4_P12ihipStream_tbEUlT_E0_NS1_11comp_targetILNS1_3genE3ELNS1_11target_archE908ELNS1_3gpuE7ELNS1_3repE0EEENS1_30default_config_static_selectorELNS0_4arch9wavefront6targetE1EEEvS14_.kd
    .uniform_work_group_size: 1
    .uses_dynamic_stack: false
    .vgpr_count:     0
    .vgpr_spill_count: 0
    .wavefront_size: 64
  - .agpr_count:     0
    .args:
      - .offset:         0
        .size:           104
        .value_kind:     by_value
    .group_segment_fixed_size: 0
    .kernarg_segment_align: 8
    .kernarg_segment_size: 104
    .language:       OpenCL C
    .language_version:
      - 2
      - 0
    .max_flat_workgroup_size: 128
    .name:           _ZN7rocprim17ROCPRIM_400000_NS6detail17trampoline_kernelINS0_14default_configENS1_22reduce_config_selectorIN6thrust23THRUST_200600_302600_NS5tupleIblNS6_9null_typeES8_S8_S8_S8_S8_S8_S8_EEEEZNS1_11reduce_implILb1ES3_NS6_12zip_iteratorINS7_INS6_11hip_rocprim26transform_input_iterator_tIbNSD_35transform_pair_of_input_iterators_tIbNS6_6detail15normal_iteratorINS6_10device_ptrIKiEEEESL_NS6_8equal_toIiEEEENSG_9not_fun_tINSD_8identityEEEEENSD_19counting_iterator_tIlEES8_S8_S8_S8_S8_S8_S8_S8_EEEEPS9_S9_NSD_9__find_if7functorIS9_EEEE10hipError_tPvRmT1_T2_T3_mT4_P12ihipStream_tbEUlT_E0_NS1_11comp_targetILNS1_3genE2ELNS1_11target_archE906ELNS1_3gpuE6ELNS1_3repE0EEENS1_30default_config_static_selectorELNS0_4arch9wavefront6targetE1EEEvS14_
    .private_segment_fixed_size: 0
    .sgpr_count:     6
    .sgpr_spill_count: 0
    .symbol:         _ZN7rocprim17ROCPRIM_400000_NS6detail17trampoline_kernelINS0_14default_configENS1_22reduce_config_selectorIN6thrust23THRUST_200600_302600_NS5tupleIblNS6_9null_typeES8_S8_S8_S8_S8_S8_S8_EEEEZNS1_11reduce_implILb1ES3_NS6_12zip_iteratorINS7_INS6_11hip_rocprim26transform_input_iterator_tIbNSD_35transform_pair_of_input_iterators_tIbNS6_6detail15normal_iteratorINS6_10device_ptrIKiEEEESL_NS6_8equal_toIiEEEENSG_9not_fun_tINSD_8identityEEEEENSD_19counting_iterator_tIlEES8_S8_S8_S8_S8_S8_S8_S8_EEEEPS9_S9_NSD_9__find_if7functorIS9_EEEE10hipError_tPvRmT1_T2_T3_mT4_P12ihipStream_tbEUlT_E0_NS1_11comp_targetILNS1_3genE2ELNS1_11target_archE906ELNS1_3gpuE6ELNS1_3repE0EEENS1_30default_config_static_selectorELNS0_4arch9wavefront6targetE1EEEvS14_.kd
    .uniform_work_group_size: 1
    .uses_dynamic_stack: false
    .vgpr_count:     0
    .vgpr_spill_count: 0
    .wavefront_size: 64
  - .agpr_count:     0
    .args:
      - .offset:         0
        .size:           104
        .value_kind:     by_value
    .group_segment_fixed_size: 0
    .kernarg_segment_align: 8
    .kernarg_segment_size: 104
    .language:       OpenCL C
    .language_version:
      - 2
      - 0
    .max_flat_workgroup_size: 256
    .name:           _ZN7rocprim17ROCPRIM_400000_NS6detail17trampoline_kernelINS0_14default_configENS1_22reduce_config_selectorIN6thrust23THRUST_200600_302600_NS5tupleIblNS6_9null_typeES8_S8_S8_S8_S8_S8_S8_EEEEZNS1_11reduce_implILb1ES3_NS6_12zip_iteratorINS7_INS6_11hip_rocprim26transform_input_iterator_tIbNSD_35transform_pair_of_input_iterators_tIbNS6_6detail15normal_iteratorINS6_10device_ptrIKiEEEESL_NS6_8equal_toIiEEEENSG_9not_fun_tINSD_8identityEEEEENSD_19counting_iterator_tIlEES8_S8_S8_S8_S8_S8_S8_S8_EEEEPS9_S9_NSD_9__find_if7functorIS9_EEEE10hipError_tPvRmT1_T2_T3_mT4_P12ihipStream_tbEUlT_E0_NS1_11comp_targetILNS1_3genE10ELNS1_11target_archE1201ELNS1_3gpuE5ELNS1_3repE0EEENS1_30default_config_static_selectorELNS0_4arch9wavefront6targetE1EEEvS14_
    .private_segment_fixed_size: 0
    .sgpr_count:     6
    .sgpr_spill_count: 0
    .symbol:         _ZN7rocprim17ROCPRIM_400000_NS6detail17trampoline_kernelINS0_14default_configENS1_22reduce_config_selectorIN6thrust23THRUST_200600_302600_NS5tupleIblNS6_9null_typeES8_S8_S8_S8_S8_S8_S8_EEEEZNS1_11reduce_implILb1ES3_NS6_12zip_iteratorINS7_INS6_11hip_rocprim26transform_input_iterator_tIbNSD_35transform_pair_of_input_iterators_tIbNS6_6detail15normal_iteratorINS6_10device_ptrIKiEEEESL_NS6_8equal_toIiEEEENSG_9not_fun_tINSD_8identityEEEEENSD_19counting_iterator_tIlEES8_S8_S8_S8_S8_S8_S8_S8_EEEEPS9_S9_NSD_9__find_if7functorIS9_EEEE10hipError_tPvRmT1_T2_T3_mT4_P12ihipStream_tbEUlT_E0_NS1_11comp_targetILNS1_3genE10ELNS1_11target_archE1201ELNS1_3gpuE5ELNS1_3repE0EEENS1_30default_config_static_selectorELNS0_4arch9wavefront6targetE1EEEvS14_.kd
    .uniform_work_group_size: 1
    .uses_dynamic_stack: false
    .vgpr_count:     0
    .vgpr_spill_count: 0
    .wavefront_size: 64
  - .agpr_count:     0
    .args:
      - .offset:         0
        .size:           104
        .value_kind:     by_value
    .group_segment_fixed_size: 0
    .kernarg_segment_align: 8
    .kernarg_segment_size: 104
    .language:       OpenCL C
    .language_version:
      - 2
      - 0
    .max_flat_workgroup_size: 256
    .name:           _ZN7rocprim17ROCPRIM_400000_NS6detail17trampoline_kernelINS0_14default_configENS1_22reduce_config_selectorIN6thrust23THRUST_200600_302600_NS5tupleIblNS6_9null_typeES8_S8_S8_S8_S8_S8_S8_EEEEZNS1_11reduce_implILb1ES3_NS6_12zip_iteratorINS7_INS6_11hip_rocprim26transform_input_iterator_tIbNSD_35transform_pair_of_input_iterators_tIbNS6_6detail15normal_iteratorINS6_10device_ptrIKiEEEESL_NS6_8equal_toIiEEEENSG_9not_fun_tINSD_8identityEEEEENSD_19counting_iterator_tIlEES8_S8_S8_S8_S8_S8_S8_S8_EEEEPS9_S9_NSD_9__find_if7functorIS9_EEEE10hipError_tPvRmT1_T2_T3_mT4_P12ihipStream_tbEUlT_E0_NS1_11comp_targetILNS1_3genE10ELNS1_11target_archE1200ELNS1_3gpuE4ELNS1_3repE0EEENS1_30default_config_static_selectorELNS0_4arch9wavefront6targetE1EEEvS14_
    .private_segment_fixed_size: 0
    .sgpr_count:     6
    .sgpr_spill_count: 0
    .symbol:         _ZN7rocprim17ROCPRIM_400000_NS6detail17trampoline_kernelINS0_14default_configENS1_22reduce_config_selectorIN6thrust23THRUST_200600_302600_NS5tupleIblNS6_9null_typeES8_S8_S8_S8_S8_S8_S8_EEEEZNS1_11reduce_implILb1ES3_NS6_12zip_iteratorINS7_INS6_11hip_rocprim26transform_input_iterator_tIbNSD_35transform_pair_of_input_iterators_tIbNS6_6detail15normal_iteratorINS6_10device_ptrIKiEEEESL_NS6_8equal_toIiEEEENSG_9not_fun_tINSD_8identityEEEEENSD_19counting_iterator_tIlEES8_S8_S8_S8_S8_S8_S8_S8_EEEEPS9_S9_NSD_9__find_if7functorIS9_EEEE10hipError_tPvRmT1_T2_T3_mT4_P12ihipStream_tbEUlT_E0_NS1_11comp_targetILNS1_3genE10ELNS1_11target_archE1200ELNS1_3gpuE4ELNS1_3repE0EEENS1_30default_config_static_selectorELNS0_4arch9wavefront6targetE1EEEvS14_.kd
    .uniform_work_group_size: 1
    .uses_dynamic_stack: false
    .vgpr_count:     0
    .vgpr_spill_count: 0
    .wavefront_size: 64
  - .agpr_count:     0
    .args:
      - .offset:         0
        .size:           104
        .value_kind:     by_value
    .group_segment_fixed_size: 0
    .kernarg_segment_align: 8
    .kernarg_segment_size: 104
    .language:       OpenCL C
    .language_version:
      - 2
      - 0
    .max_flat_workgroup_size: 256
    .name:           _ZN7rocprim17ROCPRIM_400000_NS6detail17trampoline_kernelINS0_14default_configENS1_22reduce_config_selectorIN6thrust23THRUST_200600_302600_NS5tupleIblNS6_9null_typeES8_S8_S8_S8_S8_S8_S8_EEEEZNS1_11reduce_implILb1ES3_NS6_12zip_iteratorINS7_INS6_11hip_rocprim26transform_input_iterator_tIbNSD_35transform_pair_of_input_iterators_tIbNS6_6detail15normal_iteratorINS6_10device_ptrIKiEEEESL_NS6_8equal_toIiEEEENSG_9not_fun_tINSD_8identityEEEEENSD_19counting_iterator_tIlEES8_S8_S8_S8_S8_S8_S8_S8_EEEEPS9_S9_NSD_9__find_if7functorIS9_EEEE10hipError_tPvRmT1_T2_T3_mT4_P12ihipStream_tbEUlT_E0_NS1_11comp_targetILNS1_3genE9ELNS1_11target_archE1100ELNS1_3gpuE3ELNS1_3repE0EEENS1_30default_config_static_selectorELNS0_4arch9wavefront6targetE1EEEvS14_
    .private_segment_fixed_size: 0
    .sgpr_count:     6
    .sgpr_spill_count: 0
    .symbol:         _ZN7rocprim17ROCPRIM_400000_NS6detail17trampoline_kernelINS0_14default_configENS1_22reduce_config_selectorIN6thrust23THRUST_200600_302600_NS5tupleIblNS6_9null_typeES8_S8_S8_S8_S8_S8_S8_EEEEZNS1_11reduce_implILb1ES3_NS6_12zip_iteratorINS7_INS6_11hip_rocprim26transform_input_iterator_tIbNSD_35transform_pair_of_input_iterators_tIbNS6_6detail15normal_iteratorINS6_10device_ptrIKiEEEESL_NS6_8equal_toIiEEEENSG_9not_fun_tINSD_8identityEEEEENSD_19counting_iterator_tIlEES8_S8_S8_S8_S8_S8_S8_S8_EEEEPS9_S9_NSD_9__find_if7functorIS9_EEEE10hipError_tPvRmT1_T2_T3_mT4_P12ihipStream_tbEUlT_E0_NS1_11comp_targetILNS1_3genE9ELNS1_11target_archE1100ELNS1_3gpuE3ELNS1_3repE0EEENS1_30default_config_static_selectorELNS0_4arch9wavefront6targetE1EEEvS14_.kd
    .uniform_work_group_size: 1
    .uses_dynamic_stack: false
    .vgpr_count:     0
    .vgpr_spill_count: 0
    .wavefront_size: 64
  - .agpr_count:     0
    .args:
      - .offset:         0
        .size:           104
        .value_kind:     by_value
    .group_segment_fixed_size: 0
    .kernarg_segment_align: 8
    .kernarg_segment_size: 104
    .language:       OpenCL C
    .language_version:
      - 2
      - 0
    .max_flat_workgroup_size: 256
    .name:           _ZN7rocprim17ROCPRIM_400000_NS6detail17trampoline_kernelINS0_14default_configENS1_22reduce_config_selectorIN6thrust23THRUST_200600_302600_NS5tupleIblNS6_9null_typeES8_S8_S8_S8_S8_S8_S8_EEEEZNS1_11reduce_implILb1ES3_NS6_12zip_iteratorINS7_INS6_11hip_rocprim26transform_input_iterator_tIbNSD_35transform_pair_of_input_iterators_tIbNS6_6detail15normal_iteratorINS6_10device_ptrIKiEEEESL_NS6_8equal_toIiEEEENSG_9not_fun_tINSD_8identityEEEEENSD_19counting_iterator_tIlEES8_S8_S8_S8_S8_S8_S8_S8_EEEEPS9_S9_NSD_9__find_if7functorIS9_EEEE10hipError_tPvRmT1_T2_T3_mT4_P12ihipStream_tbEUlT_E0_NS1_11comp_targetILNS1_3genE8ELNS1_11target_archE1030ELNS1_3gpuE2ELNS1_3repE0EEENS1_30default_config_static_selectorELNS0_4arch9wavefront6targetE1EEEvS14_
    .private_segment_fixed_size: 0
    .sgpr_count:     6
    .sgpr_spill_count: 0
    .symbol:         _ZN7rocprim17ROCPRIM_400000_NS6detail17trampoline_kernelINS0_14default_configENS1_22reduce_config_selectorIN6thrust23THRUST_200600_302600_NS5tupleIblNS6_9null_typeES8_S8_S8_S8_S8_S8_S8_EEEEZNS1_11reduce_implILb1ES3_NS6_12zip_iteratorINS7_INS6_11hip_rocprim26transform_input_iterator_tIbNSD_35transform_pair_of_input_iterators_tIbNS6_6detail15normal_iteratorINS6_10device_ptrIKiEEEESL_NS6_8equal_toIiEEEENSG_9not_fun_tINSD_8identityEEEEENSD_19counting_iterator_tIlEES8_S8_S8_S8_S8_S8_S8_S8_EEEEPS9_S9_NSD_9__find_if7functorIS9_EEEE10hipError_tPvRmT1_T2_T3_mT4_P12ihipStream_tbEUlT_E0_NS1_11comp_targetILNS1_3genE8ELNS1_11target_archE1030ELNS1_3gpuE2ELNS1_3repE0EEENS1_30default_config_static_selectorELNS0_4arch9wavefront6targetE1EEEvS14_.kd
    .uniform_work_group_size: 1
    .uses_dynamic_stack: false
    .vgpr_count:     0
    .vgpr_spill_count: 0
    .wavefront_size: 64
  - .agpr_count:     0
    .args:
      - .offset:         0
        .size:           88
        .value_kind:     by_value
    .group_segment_fixed_size: 160
    .kernarg_segment_align: 8
    .kernarg_segment_size: 88
    .language:       OpenCL C
    .language_version:
      - 2
      - 0
    .max_flat_workgroup_size: 128
    .name:           _ZN7rocprim17ROCPRIM_400000_NS6detail17trampoline_kernelINS0_14default_configENS1_22reduce_config_selectorIN6thrust23THRUST_200600_302600_NS5tupleIblNS6_9null_typeES8_S8_S8_S8_S8_S8_S8_EEEEZNS1_11reduce_implILb1ES3_NS6_12zip_iteratorINS7_INS6_11hip_rocprim26transform_input_iterator_tIbNSD_35transform_pair_of_input_iterators_tIbNS6_6detail15normal_iteratorINS6_10device_ptrIKiEEEESL_NS6_8equal_toIiEEEENSG_9not_fun_tINSD_8identityEEEEENSD_19counting_iterator_tIlEES8_S8_S8_S8_S8_S8_S8_S8_EEEEPS9_S9_NSD_9__find_if7functorIS9_EEEE10hipError_tPvRmT1_T2_T3_mT4_P12ihipStream_tbEUlT_E1_NS1_11comp_targetILNS1_3genE0ELNS1_11target_archE4294967295ELNS1_3gpuE0ELNS1_3repE0EEENS1_30default_config_static_selectorELNS0_4arch9wavefront6targetE1EEEvS14_
    .private_segment_fixed_size: 0
    .sgpr_count:     48
    .sgpr_spill_count: 0
    .symbol:         _ZN7rocprim17ROCPRIM_400000_NS6detail17trampoline_kernelINS0_14default_configENS1_22reduce_config_selectorIN6thrust23THRUST_200600_302600_NS5tupleIblNS6_9null_typeES8_S8_S8_S8_S8_S8_S8_EEEEZNS1_11reduce_implILb1ES3_NS6_12zip_iteratorINS7_INS6_11hip_rocprim26transform_input_iterator_tIbNSD_35transform_pair_of_input_iterators_tIbNS6_6detail15normal_iteratorINS6_10device_ptrIKiEEEESL_NS6_8equal_toIiEEEENSG_9not_fun_tINSD_8identityEEEEENSD_19counting_iterator_tIlEES8_S8_S8_S8_S8_S8_S8_S8_EEEEPS9_S9_NSD_9__find_if7functorIS9_EEEE10hipError_tPvRmT1_T2_T3_mT4_P12ihipStream_tbEUlT_E1_NS1_11comp_targetILNS1_3genE0ELNS1_11target_archE4294967295ELNS1_3gpuE0ELNS1_3repE0EEENS1_30default_config_static_selectorELNS0_4arch9wavefront6targetE1EEEvS14_.kd
    .uniform_work_group_size: 1
    .uses_dynamic_stack: false
    .vgpr_count:     29
    .vgpr_spill_count: 0
    .wavefront_size: 64
  - .agpr_count:     0
    .args:
      - .offset:         0
        .size:           88
        .value_kind:     by_value
    .group_segment_fixed_size: 0
    .kernarg_segment_align: 8
    .kernarg_segment_size: 88
    .language:       OpenCL C
    .language_version:
      - 2
      - 0
    .max_flat_workgroup_size: 256
    .name:           _ZN7rocprim17ROCPRIM_400000_NS6detail17trampoline_kernelINS0_14default_configENS1_22reduce_config_selectorIN6thrust23THRUST_200600_302600_NS5tupleIblNS6_9null_typeES8_S8_S8_S8_S8_S8_S8_EEEEZNS1_11reduce_implILb1ES3_NS6_12zip_iteratorINS7_INS6_11hip_rocprim26transform_input_iterator_tIbNSD_35transform_pair_of_input_iterators_tIbNS6_6detail15normal_iteratorINS6_10device_ptrIKiEEEESL_NS6_8equal_toIiEEEENSG_9not_fun_tINSD_8identityEEEEENSD_19counting_iterator_tIlEES8_S8_S8_S8_S8_S8_S8_S8_EEEEPS9_S9_NSD_9__find_if7functorIS9_EEEE10hipError_tPvRmT1_T2_T3_mT4_P12ihipStream_tbEUlT_E1_NS1_11comp_targetILNS1_3genE5ELNS1_11target_archE942ELNS1_3gpuE9ELNS1_3repE0EEENS1_30default_config_static_selectorELNS0_4arch9wavefront6targetE1EEEvS14_
    .private_segment_fixed_size: 0
    .sgpr_count:     6
    .sgpr_spill_count: 0
    .symbol:         _ZN7rocprim17ROCPRIM_400000_NS6detail17trampoline_kernelINS0_14default_configENS1_22reduce_config_selectorIN6thrust23THRUST_200600_302600_NS5tupleIblNS6_9null_typeES8_S8_S8_S8_S8_S8_S8_EEEEZNS1_11reduce_implILb1ES3_NS6_12zip_iteratorINS7_INS6_11hip_rocprim26transform_input_iterator_tIbNSD_35transform_pair_of_input_iterators_tIbNS6_6detail15normal_iteratorINS6_10device_ptrIKiEEEESL_NS6_8equal_toIiEEEENSG_9not_fun_tINSD_8identityEEEEENSD_19counting_iterator_tIlEES8_S8_S8_S8_S8_S8_S8_S8_EEEEPS9_S9_NSD_9__find_if7functorIS9_EEEE10hipError_tPvRmT1_T2_T3_mT4_P12ihipStream_tbEUlT_E1_NS1_11comp_targetILNS1_3genE5ELNS1_11target_archE942ELNS1_3gpuE9ELNS1_3repE0EEENS1_30default_config_static_selectorELNS0_4arch9wavefront6targetE1EEEvS14_.kd
    .uniform_work_group_size: 1
    .uses_dynamic_stack: false
    .vgpr_count:     0
    .vgpr_spill_count: 0
    .wavefront_size: 64
  - .agpr_count:     0
    .args:
      - .offset:         0
        .size:           88
        .value_kind:     by_value
    .group_segment_fixed_size: 0
    .kernarg_segment_align: 8
    .kernarg_segment_size: 88
    .language:       OpenCL C
    .language_version:
      - 2
      - 0
    .max_flat_workgroup_size: 256
    .name:           _ZN7rocprim17ROCPRIM_400000_NS6detail17trampoline_kernelINS0_14default_configENS1_22reduce_config_selectorIN6thrust23THRUST_200600_302600_NS5tupleIblNS6_9null_typeES8_S8_S8_S8_S8_S8_S8_EEEEZNS1_11reduce_implILb1ES3_NS6_12zip_iteratorINS7_INS6_11hip_rocprim26transform_input_iterator_tIbNSD_35transform_pair_of_input_iterators_tIbNS6_6detail15normal_iteratorINS6_10device_ptrIKiEEEESL_NS6_8equal_toIiEEEENSG_9not_fun_tINSD_8identityEEEEENSD_19counting_iterator_tIlEES8_S8_S8_S8_S8_S8_S8_S8_EEEEPS9_S9_NSD_9__find_if7functorIS9_EEEE10hipError_tPvRmT1_T2_T3_mT4_P12ihipStream_tbEUlT_E1_NS1_11comp_targetILNS1_3genE4ELNS1_11target_archE910ELNS1_3gpuE8ELNS1_3repE0EEENS1_30default_config_static_selectorELNS0_4arch9wavefront6targetE1EEEvS14_
    .private_segment_fixed_size: 0
    .sgpr_count:     6
    .sgpr_spill_count: 0
    .symbol:         _ZN7rocprim17ROCPRIM_400000_NS6detail17trampoline_kernelINS0_14default_configENS1_22reduce_config_selectorIN6thrust23THRUST_200600_302600_NS5tupleIblNS6_9null_typeES8_S8_S8_S8_S8_S8_S8_EEEEZNS1_11reduce_implILb1ES3_NS6_12zip_iteratorINS7_INS6_11hip_rocprim26transform_input_iterator_tIbNSD_35transform_pair_of_input_iterators_tIbNS6_6detail15normal_iteratorINS6_10device_ptrIKiEEEESL_NS6_8equal_toIiEEEENSG_9not_fun_tINSD_8identityEEEEENSD_19counting_iterator_tIlEES8_S8_S8_S8_S8_S8_S8_S8_EEEEPS9_S9_NSD_9__find_if7functorIS9_EEEE10hipError_tPvRmT1_T2_T3_mT4_P12ihipStream_tbEUlT_E1_NS1_11comp_targetILNS1_3genE4ELNS1_11target_archE910ELNS1_3gpuE8ELNS1_3repE0EEENS1_30default_config_static_selectorELNS0_4arch9wavefront6targetE1EEEvS14_.kd
    .uniform_work_group_size: 1
    .uses_dynamic_stack: false
    .vgpr_count:     0
    .vgpr_spill_count: 0
    .wavefront_size: 64
  - .agpr_count:     0
    .args:
      - .offset:         0
        .size:           88
        .value_kind:     by_value
    .group_segment_fixed_size: 0
    .kernarg_segment_align: 8
    .kernarg_segment_size: 88
    .language:       OpenCL C
    .language_version:
      - 2
      - 0
    .max_flat_workgroup_size: 128
    .name:           _ZN7rocprim17ROCPRIM_400000_NS6detail17trampoline_kernelINS0_14default_configENS1_22reduce_config_selectorIN6thrust23THRUST_200600_302600_NS5tupleIblNS6_9null_typeES8_S8_S8_S8_S8_S8_S8_EEEEZNS1_11reduce_implILb1ES3_NS6_12zip_iteratorINS7_INS6_11hip_rocprim26transform_input_iterator_tIbNSD_35transform_pair_of_input_iterators_tIbNS6_6detail15normal_iteratorINS6_10device_ptrIKiEEEESL_NS6_8equal_toIiEEEENSG_9not_fun_tINSD_8identityEEEEENSD_19counting_iterator_tIlEES8_S8_S8_S8_S8_S8_S8_S8_EEEEPS9_S9_NSD_9__find_if7functorIS9_EEEE10hipError_tPvRmT1_T2_T3_mT4_P12ihipStream_tbEUlT_E1_NS1_11comp_targetILNS1_3genE3ELNS1_11target_archE908ELNS1_3gpuE7ELNS1_3repE0EEENS1_30default_config_static_selectorELNS0_4arch9wavefront6targetE1EEEvS14_
    .private_segment_fixed_size: 0
    .sgpr_count:     6
    .sgpr_spill_count: 0
    .symbol:         _ZN7rocprim17ROCPRIM_400000_NS6detail17trampoline_kernelINS0_14default_configENS1_22reduce_config_selectorIN6thrust23THRUST_200600_302600_NS5tupleIblNS6_9null_typeES8_S8_S8_S8_S8_S8_S8_EEEEZNS1_11reduce_implILb1ES3_NS6_12zip_iteratorINS7_INS6_11hip_rocprim26transform_input_iterator_tIbNSD_35transform_pair_of_input_iterators_tIbNS6_6detail15normal_iteratorINS6_10device_ptrIKiEEEESL_NS6_8equal_toIiEEEENSG_9not_fun_tINSD_8identityEEEEENSD_19counting_iterator_tIlEES8_S8_S8_S8_S8_S8_S8_S8_EEEEPS9_S9_NSD_9__find_if7functorIS9_EEEE10hipError_tPvRmT1_T2_T3_mT4_P12ihipStream_tbEUlT_E1_NS1_11comp_targetILNS1_3genE3ELNS1_11target_archE908ELNS1_3gpuE7ELNS1_3repE0EEENS1_30default_config_static_selectorELNS0_4arch9wavefront6targetE1EEEvS14_.kd
    .uniform_work_group_size: 1
    .uses_dynamic_stack: false
    .vgpr_count:     0
    .vgpr_spill_count: 0
    .wavefront_size: 64
  - .agpr_count:     0
    .args:
      - .offset:         0
        .size:           88
        .value_kind:     by_value
    .group_segment_fixed_size: 0
    .kernarg_segment_align: 8
    .kernarg_segment_size: 88
    .language:       OpenCL C
    .language_version:
      - 2
      - 0
    .max_flat_workgroup_size: 128
    .name:           _ZN7rocprim17ROCPRIM_400000_NS6detail17trampoline_kernelINS0_14default_configENS1_22reduce_config_selectorIN6thrust23THRUST_200600_302600_NS5tupleIblNS6_9null_typeES8_S8_S8_S8_S8_S8_S8_EEEEZNS1_11reduce_implILb1ES3_NS6_12zip_iteratorINS7_INS6_11hip_rocprim26transform_input_iterator_tIbNSD_35transform_pair_of_input_iterators_tIbNS6_6detail15normal_iteratorINS6_10device_ptrIKiEEEESL_NS6_8equal_toIiEEEENSG_9not_fun_tINSD_8identityEEEEENSD_19counting_iterator_tIlEES8_S8_S8_S8_S8_S8_S8_S8_EEEEPS9_S9_NSD_9__find_if7functorIS9_EEEE10hipError_tPvRmT1_T2_T3_mT4_P12ihipStream_tbEUlT_E1_NS1_11comp_targetILNS1_3genE2ELNS1_11target_archE906ELNS1_3gpuE6ELNS1_3repE0EEENS1_30default_config_static_selectorELNS0_4arch9wavefront6targetE1EEEvS14_
    .private_segment_fixed_size: 0
    .sgpr_count:     6
    .sgpr_spill_count: 0
    .symbol:         _ZN7rocprim17ROCPRIM_400000_NS6detail17trampoline_kernelINS0_14default_configENS1_22reduce_config_selectorIN6thrust23THRUST_200600_302600_NS5tupleIblNS6_9null_typeES8_S8_S8_S8_S8_S8_S8_EEEEZNS1_11reduce_implILb1ES3_NS6_12zip_iteratorINS7_INS6_11hip_rocprim26transform_input_iterator_tIbNSD_35transform_pair_of_input_iterators_tIbNS6_6detail15normal_iteratorINS6_10device_ptrIKiEEEESL_NS6_8equal_toIiEEEENSG_9not_fun_tINSD_8identityEEEEENSD_19counting_iterator_tIlEES8_S8_S8_S8_S8_S8_S8_S8_EEEEPS9_S9_NSD_9__find_if7functorIS9_EEEE10hipError_tPvRmT1_T2_T3_mT4_P12ihipStream_tbEUlT_E1_NS1_11comp_targetILNS1_3genE2ELNS1_11target_archE906ELNS1_3gpuE6ELNS1_3repE0EEENS1_30default_config_static_selectorELNS0_4arch9wavefront6targetE1EEEvS14_.kd
    .uniform_work_group_size: 1
    .uses_dynamic_stack: false
    .vgpr_count:     0
    .vgpr_spill_count: 0
    .wavefront_size: 64
  - .agpr_count:     0
    .args:
      - .offset:         0
        .size:           88
        .value_kind:     by_value
    .group_segment_fixed_size: 0
    .kernarg_segment_align: 8
    .kernarg_segment_size: 88
    .language:       OpenCL C
    .language_version:
      - 2
      - 0
    .max_flat_workgroup_size: 256
    .name:           _ZN7rocprim17ROCPRIM_400000_NS6detail17trampoline_kernelINS0_14default_configENS1_22reduce_config_selectorIN6thrust23THRUST_200600_302600_NS5tupleIblNS6_9null_typeES8_S8_S8_S8_S8_S8_S8_EEEEZNS1_11reduce_implILb1ES3_NS6_12zip_iteratorINS7_INS6_11hip_rocprim26transform_input_iterator_tIbNSD_35transform_pair_of_input_iterators_tIbNS6_6detail15normal_iteratorINS6_10device_ptrIKiEEEESL_NS6_8equal_toIiEEEENSG_9not_fun_tINSD_8identityEEEEENSD_19counting_iterator_tIlEES8_S8_S8_S8_S8_S8_S8_S8_EEEEPS9_S9_NSD_9__find_if7functorIS9_EEEE10hipError_tPvRmT1_T2_T3_mT4_P12ihipStream_tbEUlT_E1_NS1_11comp_targetILNS1_3genE10ELNS1_11target_archE1201ELNS1_3gpuE5ELNS1_3repE0EEENS1_30default_config_static_selectorELNS0_4arch9wavefront6targetE1EEEvS14_
    .private_segment_fixed_size: 0
    .sgpr_count:     6
    .sgpr_spill_count: 0
    .symbol:         _ZN7rocprim17ROCPRIM_400000_NS6detail17trampoline_kernelINS0_14default_configENS1_22reduce_config_selectorIN6thrust23THRUST_200600_302600_NS5tupleIblNS6_9null_typeES8_S8_S8_S8_S8_S8_S8_EEEEZNS1_11reduce_implILb1ES3_NS6_12zip_iteratorINS7_INS6_11hip_rocprim26transform_input_iterator_tIbNSD_35transform_pair_of_input_iterators_tIbNS6_6detail15normal_iteratorINS6_10device_ptrIKiEEEESL_NS6_8equal_toIiEEEENSG_9not_fun_tINSD_8identityEEEEENSD_19counting_iterator_tIlEES8_S8_S8_S8_S8_S8_S8_S8_EEEEPS9_S9_NSD_9__find_if7functorIS9_EEEE10hipError_tPvRmT1_T2_T3_mT4_P12ihipStream_tbEUlT_E1_NS1_11comp_targetILNS1_3genE10ELNS1_11target_archE1201ELNS1_3gpuE5ELNS1_3repE0EEENS1_30default_config_static_selectorELNS0_4arch9wavefront6targetE1EEEvS14_.kd
    .uniform_work_group_size: 1
    .uses_dynamic_stack: false
    .vgpr_count:     0
    .vgpr_spill_count: 0
    .wavefront_size: 64
  - .agpr_count:     0
    .args:
      - .offset:         0
        .size:           88
        .value_kind:     by_value
    .group_segment_fixed_size: 0
    .kernarg_segment_align: 8
    .kernarg_segment_size: 88
    .language:       OpenCL C
    .language_version:
      - 2
      - 0
    .max_flat_workgroup_size: 256
    .name:           _ZN7rocprim17ROCPRIM_400000_NS6detail17trampoline_kernelINS0_14default_configENS1_22reduce_config_selectorIN6thrust23THRUST_200600_302600_NS5tupleIblNS6_9null_typeES8_S8_S8_S8_S8_S8_S8_EEEEZNS1_11reduce_implILb1ES3_NS6_12zip_iteratorINS7_INS6_11hip_rocprim26transform_input_iterator_tIbNSD_35transform_pair_of_input_iterators_tIbNS6_6detail15normal_iteratorINS6_10device_ptrIKiEEEESL_NS6_8equal_toIiEEEENSG_9not_fun_tINSD_8identityEEEEENSD_19counting_iterator_tIlEES8_S8_S8_S8_S8_S8_S8_S8_EEEEPS9_S9_NSD_9__find_if7functorIS9_EEEE10hipError_tPvRmT1_T2_T3_mT4_P12ihipStream_tbEUlT_E1_NS1_11comp_targetILNS1_3genE10ELNS1_11target_archE1200ELNS1_3gpuE4ELNS1_3repE0EEENS1_30default_config_static_selectorELNS0_4arch9wavefront6targetE1EEEvS14_
    .private_segment_fixed_size: 0
    .sgpr_count:     6
    .sgpr_spill_count: 0
    .symbol:         _ZN7rocprim17ROCPRIM_400000_NS6detail17trampoline_kernelINS0_14default_configENS1_22reduce_config_selectorIN6thrust23THRUST_200600_302600_NS5tupleIblNS6_9null_typeES8_S8_S8_S8_S8_S8_S8_EEEEZNS1_11reduce_implILb1ES3_NS6_12zip_iteratorINS7_INS6_11hip_rocprim26transform_input_iterator_tIbNSD_35transform_pair_of_input_iterators_tIbNS6_6detail15normal_iteratorINS6_10device_ptrIKiEEEESL_NS6_8equal_toIiEEEENSG_9not_fun_tINSD_8identityEEEEENSD_19counting_iterator_tIlEES8_S8_S8_S8_S8_S8_S8_S8_EEEEPS9_S9_NSD_9__find_if7functorIS9_EEEE10hipError_tPvRmT1_T2_T3_mT4_P12ihipStream_tbEUlT_E1_NS1_11comp_targetILNS1_3genE10ELNS1_11target_archE1200ELNS1_3gpuE4ELNS1_3repE0EEENS1_30default_config_static_selectorELNS0_4arch9wavefront6targetE1EEEvS14_.kd
    .uniform_work_group_size: 1
    .uses_dynamic_stack: false
    .vgpr_count:     0
    .vgpr_spill_count: 0
    .wavefront_size: 64
  - .agpr_count:     0
    .args:
      - .offset:         0
        .size:           88
        .value_kind:     by_value
    .group_segment_fixed_size: 0
    .kernarg_segment_align: 8
    .kernarg_segment_size: 88
    .language:       OpenCL C
    .language_version:
      - 2
      - 0
    .max_flat_workgroup_size: 256
    .name:           _ZN7rocprim17ROCPRIM_400000_NS6detail17trampoline_kernelINS0_14default_configENS1_22reduce_config_selectorIN6thrust23THRUST_200600_302600_NS5tupleIblNS6_9null_typeES8_S8_S8_S8_S8_S8_S8_EEEEZNS1_11reduce_implILb1ES3_NS6_12zip_iteratorINS7_INS6_11hip_rocprim26transform_input_iterator_tIbNSD_35transform_pair_of_input_iterators_tIbNS6_6detail15normal_iteratorINS6_10device_ptrIKiEEEESL_NS6_8equal_toIiEEEENSG_9not_fun_tINSD_8identityEEEEENSD_19counting_iterator_tIlEES8_S8_S8_S8_S8_S8_S8_S8_EEEEPS9_S9_NSD_9__find_if7functorIS9_EEEE10hipError_tPvRmT1_T2_T3_mT4_P12ihipStream_tbEUlT_E1_NS1_11comp_targetILNS1_3genE9ELNS1_11target_archE1100ELNS1_3gpuE3ELNS1_3repE0EEENS1_30default_config_static_selectorELNS0_4arch9wavefront6targetE1EEEvS14_
    .private_segment_fixed_size: 0
    .sgpr_count:     6
    .sgpr_spill_count: 0
    .symbol:         _ZN7rocprim17ROCPRIM_400000_NS6detail17trampoline_kernelINS0_14default_configENS1_22reduce_config_selectorIN6thrust23THRUST_200600_302600_NS5tupleIblNS6_9null_typeES8_S8_S8_S8_S8_S8_S8_EEEEZNS1_11reduce_implILb1ES3_NS6_12zip_iteratorINS7_INS6_11hip_rocprim26transform_input_iterator_tIbNSD_35transform_pair_of_input_iterators_tIbNS6_6detail15normal_iteratorINS6_10device_ptrIKiEEEESL_NS6_8equal_toIiEEEENSG_9not_fun_tINSD_8identityEEEEENSD_19counting_iterator_tIlEES8_S8_S8_S8_S8_S8_S8_S8_EEEEPS9_S9_NSD_9__find_if7functorIS9_EEEE10hipError_tPvRmT1_T2_T3_mT4_P12ihipStream_tbEUlT_E1_NS1_11comp_targetILNS1_3genE9ELNS1_11target_archE1100ELNS1_3gpuE3ELNS1_3repE0EEENS1_30default_config_static_selectorELNS0_4arch9wavefront6targetE1EEEvS14_.kd
    .uniform_work_group_size: 1
    .uses_dynamic_stack: false
    .vgpr_count:     0
    .vgpr_spill_count: 0
    .wavefront_size: 64
  - .agpr_count:     0
    .args:
      - .offset:         0
        .size:           88
        .value_kind:     by_value
    .group_segment_fixed_size: 0
    .kernarg_segment_align: 8
    .kernarg_segment_size: 88
    .language:       OpenCL C
    .language_version:
      - 2
      - 0
    .max_flat_workgroup_size: 256
    .name:           _ZN7rocprim17ROCPRIM_400000_NS6detail17trampoline_kernelINS0_14default_configENS1_22reduce_config_selectorIN6thrust23THRUST_200600_302600_NS5tupleIblNS6_9null_typeES8_S8_S8_S8_S8_S8_S8_EEEEZNS1_11reduce_implILb1ES3_NS6_12zip_iteratorINS7_INS6_11hip_rocprim26transform_input_iterator_tIbNSD_35transform_pair_of_input_iterators_tIbNS6_6detail15normal_iteratorINS6_10device_ptrIKiEEEESL_NS6_8equal_toIiEEEENSG_9not_fun_tINSD_8identityEEEEENSD_19counting_iterator_tIlEES8_S8_S8_S8_S8_S8_S8_S8_EEEEPS9_S9_NSD_9__find_if7functorIS9_EEEE10hipError_tPvRmT1_T2_T3_mT4_P12ihipStream_tbEUlT_E1_NS1_11comp_targetILNS1_3genE8ELNS1_11target_archE1030ELNS1_3gpuE2ELNS1_3repE0EEENS1_30default_config_static_selectorELNS0_4arch9wavefront6targetE1EEEvS14_
    .private_segment_fixed_size: 0
    .sgpr_count:     6
    .sgpr_spill_count: 0
    .symbol:         _ZN7rocprim17ROCPRIM_400000_NS6detail17trampoline_kernelINS0_14default_configENS1_22reduce_config_selectorIN6thrust23THRUST_200600_302600_NS5tupleIblNS6_9null_typeES8_S8_S8_S8_S8_S8_S8_EEEEZNS1_11reduce_implILb1ES3_NS6_12zip_iteratorINS7_INS6_11hip_rocprim26transform_input_iterator_tIbNSD_35transform_pair_of_input_iterators_tIbNS6_6detail15normal_iteratorINS6_10device_ptrIKiEEEESL_NS6_8equal_toIiEEEENSG_9not_fun_tINSD_8identityEEEEENSD_19counting_iterator_tIlEES8_S8_S8_S8_S8_S8_S8_S8_EEEEPS9_S9_NSD_9__find_if7functorIS9_EEEE10hipError_tPvRmT1_T2_T3_mT4_P12ihipStream_tbEUlT_E1_NS1_11comp_targetILNS1_3genE8ELNS1_11target_archE1030ELNS1_3gpuE2ELNS1_3repE0EEENS1_30default_config_static_selectorELNS0_4arch9wavefront6targetE1EEEvS14_.kd
    .uniform_work_group_size: 1
    .uses_dynamic_stack: false
    .vgpr_count:     0
    .vgpr_spill_count: 0
    .wavefront_size: 64
  - .agpr_count:     0
    .args:
      - .offset:         0
        .size:           16
        .value_kind:     by_value
      - .offset:         16
        .size:           8
        .value_kind:     by_value
      - .offset:         24
        .size:           8
        .value_kind:     by_value
    .group_segment_fixed_size: 0
    .kernarg_segment_align: 8
    .kernarg_segment_size: 32
    .language:       OpenCL C
    .language_version:
      - 2
      - 0
    .max_flat_workgroup_size: 256
    .name:           _ZN6thrust23THRUST_200600_302600_NS11hip_rocprim14__parallel_for6kernelILj256ENS1_20__uninitialized_fill7functorINS0_10device_ptrIsEEsEEmLj1EEEvT0_T1_SA_
    .private_segment_fixed_size: 0
    .sgpr_count:     22
    .sgpr_spill_count: 0
    .symbol:         _ZN6thrust23THRUST_200600_302600_NS11hip_rocprim14__parallel_for6kernelILj256ENS1_20__uninitialized_fill7functorINS0_10device_ptrIsEEsEEmLj1EEEvT0_T1_SA_.kd
    .uniform_work_group_size: 1
    .uses_dynamic_stack: false
    .vgpr_count:     4
    .vgpr_spill_count: 0
    .wavefront_size: 64
  - .agpr_count:     0
    .args:
      - .offset:         0
        .size:           48
        .value_kind:     by_value
      - .offset:         48
        .size:           4
        .value_kind:     hidden_block_count_x
      - .offset:         52
        .size:           4
        .value_kind:     hidden_block_count_y
      - .offset:         56
        .size:           4
        .value_kind:     hidden_block_count_z
      - .offset:         60
        .size:           2
        .value_kind:     hidden_group_size_x
      - .offset:         62
        .size:           2
        .value_kind:     hidden_group_size_y
      - .offset:         64
        .size:           2
        .value_kind:     hidden_group_size_z
      - .offset:         66
        .size:           2
        .value_kind:     hidden_remainder_x
      - .offset:         68
        .size:           2
        .value_kind:     hidden_remainder_y
      - .offset:         70
        .size:           2
        .value_kind:     hidden_remainder_z
      - .offset:         88
        .size:           8
        .value_kind:     hidden_global_offset_x
      - .offset:         96
        .size:           8
        .value_kind:     hidden_global_offset_y
      - .offset:         104
        .size:           8
        .value_kind:     hidden_global_offset_z
      - .offset:         112
        .size:           2
        .value_kind:     hidden_grid_dims
    .group_segment_fixed_size: 4112
    .kernarg_segment_align: 8
    .kernarg_segment_size: 304
    .language:       OpenCL C
    .language_version:
      - 2
      - 0
    .max_flat_workgroup_size: 256
    .name:           _ZN7rocprim17ROCPRIM_400000_NS6detail17trampoline_kernelINS0_13kernel_configILj256ELj4ELj4294967295EEENS1_37radix_sort_block_sort_config_selectorIssEEZNS1_21radix_sort_block_sortIS4_Lb0EN6thrust23THRUST_200600_302600_NS6detail15normal_iteratorINS9_10device_ptrIsEEEESE_SE_SE_NS0_19identity_decomposerEEE10hipError_tT1_T2_T3_T4_jRjT5_jjP12ihipStream_tbEUlT_E_NS1_11comp_targetILNS1_3genE0ELNS1_11target_archE4294967295ELNS1_3gpuE0ELNS1_3repE0EEENS1_44radix_sort_block_sort_config_static_selectorELNS0_4arch9wavefront6targetE1EEEvSH_
    .private_segment_fixed_size: 0
    .sgpr_count:     52
    .sgpr_spill_count: 0
    .symbol:         _ZN7rocprim17ROCPRIM_400000_NS6detail17trampoline_kernelINS0_13kernel_configILj256ELj4ELj4294967295EEENS1_37radix_sort_block_sort_config_selectorIssEEZNS1_21radix_sort_block_sortIS4_Lb0EN6thrust23THRUST_200600_302600_NS6detail15normal_iteratorINS9_10device_ptrIsEEEESE_SE_SE_NS0_19identity_decomposerEEE10hipError_tT1_T2_T3_T4_jRjT5_jjP12ihipStream_tbEUlT_E_NS1_11comp_targetILNS1_3genE0ELNS1_11target_archE4294967295ELNS1_3gpuE0ELNS1_3repE0EEENS1_44radix_sort_block_sort_config_static_selectorELNS0_4arch9wavefront6targetE1EEEvSH_.kd
    .uniform_work_group_size: 1
    .uses_dynamic_stack: false
    .vgpr_count:     36
    .vgpr_spill_count: 0
    .wavefront_size: 64
  - .agpr_count:     0
    .args:
      - .offset:         0
        .size:           48
        .value_kind:     by_value
    .group_segment_fixed_size: 0
    .kernarg_segment_align: 8
    .kernarg_segment_size: 48
    .language:       OpenCL C
    .language_version:
      - 2
      - 0
    .max_flat_workgroup_size: 256
    .name:           _ZN7rocprim17ROCPRIM_400000_NS6detail17trampoline_kernelINS0_13kernel_configILj256ELj4ELj4294967295EEENS1_37radix_sort_block_sort_config_selectorIssEEZNS1_21radix_sort_block_sortIS4_Lb0EN6thrust23THRUST_200600_302600_NS6detail15normal_iteratorINS9_10device_ptrIsEEEESE_SE_SE_NS0_19identity_decomposerEEE10hipError_tT1_T2_T3_T4_jRjT5_jjP12ihipStream_tbEUlT_E_NS1_11comp_targetILNS1_3genE5ELNS1_11target_archE942ELNS1_3gpuE9ELNS1_3repE0EEENS1_44radix_sort_block_sort_config_static_selectorELNS0_4arch9wavefront6targetE1EEEvSH_
    .private_segment_fixed_size: 0
    .sgpr_count:     6
    .sgpr_spill_count: 0
    .symbol:         _ZN7rocprim17ROCPRIM_400000_NS6detail17trampoline_kernelINS0_13kernel_configILj256ELj4ELj4294967295EEENS1_37radix_sort_block_sort_config_selectorIssEEZNS1_21radix_sort_block_sortIS4_Lb0EN6thrust23THRUST_200600_302600_NS6detail15normal_iteratorINS9_10device_ptrIsEEEESE_SE_SE_NS0_19identity_decomposerEEE10hipError_tT1_T2_T3_T4_jRjT5_jjP12ihipStream_tbEUlT_E_NS1_11comp_targetILNS1_3genE5ELNS1_11target_archE942ELNS1_3gpuE9ELNS1_3repE0EEENS1_44radix_sort_block_sort_config_static_selectorELNS0_4arch9wavefront6targetE1EEEvSH_.kd
    .uniform_work_group_size: 1
    .uses_dynamic_stack: false
    .vgpr_count:     0
    .vgpr_spill_count: 0
    .wavefront_size: 64
  - .agpr_count:     0
    .args:
      - .offset:         0
        .size:           48
        .value_kind:     by_value
    .group_segment_fixed_size: 0
    .kernarg_segment_align: 8
    .kernarg_segment_size: 48
    .language:       OpenCL C
    .language_version:
      - 2
      - 0
    .max_flat_workgroup_size: 256
    .name:           _ZN7rocprim17ROCPRIM_400000_NS6detail17trampoline_kernelINS0_13kernel_configILj256ELj4ELj4294967295EEENS1_37radix_sort_block_sort_config_selectorIssEEZNS1_21radix_sort_block_sortIS4_Lb0EN6thrust23THRUST_200600_302600_NS6detail15normal_iteratorINS9_10device_ptrIsEEEESE_SE_SE_NS0_19identity_decomposerEEE10hipError_tT1_T2_T3_T4_jRjT5_jjP12ihipStream_tbEUlT_E_NS1_11comp_targetILNS1_3genE4ELNS1_11target_archE910ELNS1_3gpuE8ELNS1_3repE0EEENS1_44radix_sort_block_sort_config_static_selectorELNS0_4arch9wavefront6targetE1EEEvSH_
    .private_segment_fixed_size: 0
    .sgpr_count:     6
    .sgpr_spill_count: 0
    .symbol:         _ZN7rocprim17ROCPRIM_400000_NS6detail17trampoline_kernelINS0_13kernel_configILj256ELj4ELj4294967295EEENS1_37radix_sort_block_sort_config_selectorIssEEZNS1_21radix_sort_block_sortIS4_Lb0EN6thrust23THRUST_200600_302600_NS6detail15normal_iteratorINS9_10device_ptrIsEEEESE_SE_SE_NS0_19identity_decomposerEEE10hipError_tT1_T2_T3_T4_jRjT5_jjP12ihipStream_tbEUlT_E_NS1_11comp_targetILNS1_3genE4ELNS1_11target_archE910ELNS1_3gpuE8ELNS1_3repE0EEENS1_44radix_sort_block_sort_config_static_selectorELNS0_4arch9wavefront6targetE1EEEvSH_.kd
    .uniform_work_group_size: 1
    .uses_dynamic_stack: false
    .vgpr_count:     0
    .vgpr_spill_count: 0
    .wavefront_size: 64
  - .agpr_count:     0
    .args:
      - .offset:         0
        .size:           48
        .value_kind:     by_value
    .group_segment_fixed_size: 0
    .kernarg_segment_align: 8
    .kernarg_segment_size: 48
    .language:       OpenCL C
    .language_version:
      - 2
      - 0
    .max_flat_workgroup_size: 256
    .name:           _ZN7rocprim17ROCPRIM_400000_NS6detail17trampoline_kernelINS0_13kernel_configILj256ELj4ELj4294967295EEENS1_37radix_sort_block_sort_config_selectorIssEEZNS1_21radix_sort_block_sortIS4_Lb0EN6thrust23THRUST_200600_302600_NS6detail15normal_iteratorINS9_10device_ptrIsEEEESE_SE_SE_NS0_19identity_decomposerEEE10hipError_tT1_T2_T3_T4_jRjT5_jjP12ihipStream_tbEUlT_E_NS1_11comp_targetILNS1_3genE3ELNS1_11target_archE908ELNS1_3gpuE7ELNS1_3repE0EEENS1_44radix_sort_block_sort_config_static_selectorELNS0_4arch9wavefront6targetE1EEEvSH_
    .private_segment_fixed_size: 0
    .sgpr_count:     6
    .sgpr_spill_count: 0
    .symbol:         _ZN7rocprim17ROCPRIM_400000_NS6detail17trampoline_kernelINS0_13kernel_configILj256ELj4ELj4294967295EEENS1_37radix_sort_block_sort_config_selectorIssEEZNS1_21radix_sort_block_sortIS4_Lb0EN6thrust23THRUST_200600_302600_NS6detail15normal_iteratorINS9_10device_ptrIsEEEESE_SE_SE_NS0_19identity_decomposerEEE10hipError_tT1_T2_T3_T4_jRjT5_jjP12ihipStream_tbEUlT_E_NS1_11comp_targetILNS1_3genE3ELNS1_11target_archE908ELNS1_3gpuE7ELNS1_3repE0EEENS1_44radix_sort_block_sort_config_static_selectorELNS0_4arch9wavefront6targetE1EEEvSH_.kd
    .uniform_work_group_size: 1
    .uses_dynamic_stack: false
    .vgpr_count:     0
    .vgpr_spill_count: 0
    .wavefront_size: 64
  - .agpr_count:     0
    .args:
      - .offset:         0
        .size:           48
        .value_kind:     by_value
    .group_segment_fixed_size: 0
    .kernarg_segment_align: 8
    .kernarg_segment_size: 48
    .language:       OpenCL C
    .language_version:
      - 2
      - 0
    .max_flat_workgroup_size: 256
    .name:           _ZN7rocprim17ROCPRIM_400000_NS6detail17trampoline_kernelINS0_13kernel_configILj256ELj4ELj4294967295EEENS1_37radix_sort_block_sort_config_selectorIssEEZNS1_21radix_sort_block_sortIS4_Lb0EN6thrust23THRUST_200600_302600_NS6detail15normal_iteratorINS9_10device_ptrIsEEEESE_SE_SE_NS0_19identity_decomposerEEE10hipError_tT1_T2_T3_T4_jRjT5_jjP12ihipStream_tbEUlT_E_NS1_11comp_targetILNS1_3genE2ELNS1_11target_archE906ELNS1_3gpuE6ELNS1_3repE0EEENS1_44radix_sort_block_sort_config_static_selectorELNS0_4arch9wavefront6targetE1EEEvSH_
    .private_segment_fixed_size: 0
    .sgpr_count:     6
    .sgpr_spill_count: 0
    .symbol:         _ZN7rocprim17ROCPRIM_400000_NS6detail17trampoline_kernelINS0_13kernel_configILj256ELj4ELj4294967295EEENS1_37radix_sort_block_sort_config_selectorIssEEZNS1_21radix_sort_block_sortIS4_Lb0EN6thrust23THRUST_200600_302600_NS6detail15normal_iteratorINS9_10device_ptrIsEEEESE_SE_SE_NS0_19identity_decomposerEEE10hipError_tT1_T2_T3_T4_jRjT5_jjP12ihipStream_tbEUlT_E_NS1_11comp_targetILNS1_3genE2ELNS1_11target_archE906ELNS1_3gpuE6ELNS1_3repE0EEENS1_44radix_sort_block_sort_config_static_selectorELNS0_4arch9wavefront6targetE1EEEvSH_.kd
    .uniform_work_group_size: 1
    .uses_dynamic_stack: false
    .vgpr_count:     0
    .vgpr_spill_count: 0
    .wavefront_size: 64
  - .agpr_count:     0
    .args:
      - .offset:         0
        .size:           48
        .value_kind:     by_value
    .group_segment_fixed_size: 0
    .kernarg_segment_align: 8
    .kernarg_segment_size: 48
    .language:       OpenCL C
    .language_version:
      - 2
      - 0
    .max_flat_workgroup_size: 256
    .name:           _ZN7rocprim17ROCPRIM_400000_NS6detail17trampoline_kernelINS0_13kernel_configILj256ELj4ELj4294967295EEENS1_37radix_sort_block_sort_config_selectorIssEEZNS1_21radix_sort_block_sortIS4_Lb0EN6thrust23THRUST_200600_302600_NS6detail15normal_iteratorINS9_10device_ptrIsEEEESE_SE_SE_NS0_19identity_decomposerEEE10hipError_tT1_T2_T3_T4_jRjT5_jjP12ihipStream_tbEUlT_E_NS1_11comp_targetILNS1_3genE10ELNS1_11target_archE1201ELNS1_3gpuE5ELNS1_3repE0EEENS1_44radix_sort_block_sort_config_static_selectorELNS0_4arch9wavefront6targetE1EEEvSH_
    .private_segment_fixed_size: 0
    .sgpr_count:     6
    .sgpr_spill_count: 0
    .symbol:         _ZN7rocprim17ROCPRIM_400000_NS6detail17trampoline_kernelINS0_13kernel_configILj256ELj4ELj4294967295EEENS1_37radix_sort_block_sort_config_selectorIssEEZNS1_21radix_sort_block_sortIS4_Lb0EN6thrust23THRUST_200600_302600_NS6detail15normal_iteratorINS9_10device_ptrIsEEEESE_SE_SE_NS0_19identity_decomposerEEE10hipError_tT1_T2_T3_T4_jRjT5_jjP12ihipStream_tbEUlT_E_NS1_11comp_targetILNS1_3genE10ELNS1_11target_archE1201ELNS1_3gpuE5ELNS1_3repE0EEENS1_44radix_sort_block_sort_config_static_selectorELNS0_4arch9wavefront6targetE1EEEvSH_.kd
    .uniform_work_group_size: 1
    .uses_dynamic_stack: false
    .vgpr_count:     0
    .vgpr_spill_count: 0
    .wavefront_size: 64
  - .agpr_count:     0
    .args:
      - .offset:         0
        .size:           48
        .value_kind:     by_value
    .group_segment_fixed_size: 0
    .kernarg_segment_align: 8
    .kernarg_segment_size: 48
    .language:       OpenCL C
    .language_version:
      - 2
      - 0
    .max_flat_workgroup_size: 256
    .name:           _ZN7rocprim17ROCPRIM_400000_NS6detail17trampoline_kernelINS0_13kernel_configILj256ELj4ELj4294967295EEENS1_37radix_sort_block_sort_config_selectorIssEEZNS1_21radix_sort_block_sortIS4_Lb0EN6thrust23THRUST_200600_302600_NS6detail15normal_iteratorINS9_10device_ptrIsEEEESE_SE_SE_NS0_19identity_decomposerEEE10hipError_tT1_T2_T3_T4_jRjT5_jjP12ihipStream_tbEUlT_E_NS1_11comp_targetILNS1_3genE10ELNS1_11target_archE1200ELNS1_3gpuE4ELNS1_3repE0EEENS1_44radix_sort_block_sort_config_static_selectorELNS0_4arch9wavefront6targetE1EEEvSH_
    .private_segment_fixed_size: 0
    .sgpr_count:     6
    .sgpr_spill_count: 0
    .symbol:         _ZN7rocprim17ROCPRIM_400000_NS6detail17trampoline_kernelINS0_13kernel_configILj256ELj4ELj4294967295EEENS1_37radix_sort_block_sort_config_selectorIssEEZNS1_21radix_sort_block_sortIS4_Lb0EN6thrust23THRUST_200600_302600_NS6detail15normal_iteratorINS9_10device_ptrIsEEEESE_SE_SE_NS0_19identity_decomposerEEE10hipError_tT1_T2_T3_T4_jRjT5_jjP12ihipStream_tbEUlT_E_NS1_11comp_targetILNS1_3genE10ELNS1_11target_archE1200ELNS1_3gpuE4ELNS1_3repE0EEENS1_44radix_sort_block_sort_config_static_selectorELNS0_4arch9wavefront6targetE1EEEvSH_.kd
    .uniform_work_group_size: 1
    .uses_dynamic_stack: false
    .vgpr_count:     0
    .vgpr_spill_count: 0
    .wavefront_size: 64
  - .agpr_count:     0
    .args:
      - .offset:         0
        .size:           48
        .value_kind:     by_value
    .group_segment_fixed_size: 0
    .kernarg_segment_align: 8
    .kernarg_segment_size: 48
    .language:       OpenCL C
    .language_version:
      - 2
      - 0
    .max_flat_workgroup_size: 256
    .name:           _ZN7rocprim17ROCPRIM_400000_NS6detail17trampoline_kernelINS0_13kernel_configILj256ELj4ELj4294967295EEENS1_37radix_sort_block_sort_config_selectorIssEEZNS1_21radix_sort_block_sortIS4_Lb0EN6thrust23THRUST_200600_302600_NS6detail15normal_iteratorINS9_10device_ptrIsEEEESE_SE_SE_NS0_19identity_decomposerEEE10hipError_tT1_T2_T3_T4_jRjT5_jjP12ihipStream_tbEUlT_E_NS1_11comp_targetILNS1_3genE9ELNS1_11target_archE1100ELNS1_3gpuE3ELNS1_3repE0EEENS1_44radix_sort_block_sort_config_static_selectorELNS0_4arch9wavefront6targetE1EEEvSH_
    .private_segment_fixed_size: 0
    .sgpr_count:     6
    .sgpr_spill_count: 0
    .symbol:         _ZN7rocprim17ROCPRIM_400000_NS6detail17trampoline_kernelINS0_13kernel_configILj256ELj4ELj4294967295EEENS1_37radix_sort_block_sort_config_selectorIssEEZNS1_21radix_sort_block_sortIS4_Lb0EN6thrust23THRUST_200600_302600_NS6detail15normal_iteratorINS9_10device_ptrIsEEEESE_SE_SE_NS0_19identity_decomposerEEE10hipError_tT1_T2_T3_T4_jRjT5_jjP12ihipStream_tbEUlT_E_NS1_11comp_targetILNS1_3genE9ELNS1_11target_archE1100ELNS1_3gpuE3ELNS1_3repE0EEENS1_44radix_sort_block_sort_config_static_selectorELNS0_4arch9wavefront6targetE1EEEvSH_.kd
    .uniform_work_group_size: 1
    .uses_dynamic_stack: false
    .vgpr_count:     0
    .vgpr_spill_count: 0
    .wavefront_size: 64
  - .agpr_count:     0
    .args:
      - .offset:         0
        .size:           48
        .value_kind:     by_value
    .group_segment_fixed_size: 0
    .kernarg_segment_align: 8
    .kernarg_segment_size: 48
    .language:       OpenCL C
    .language_version:
      - 2
      - 0
    .max_flat_workgroup_size: 256
    .name:           _ZN7rocprim17ROCPRIM_400000_NS6detail17trampoline_kernelINS0_13kernel_configILj256ELj4ELj4294967295EEENS1_37radix_sort_block_sort_config_selectorIssEEZNS1_21radix_sort_block_sortIS4_Lb0EN6thrust23THRUST_200600_302600_NS6detail15normal_iteratorINS9_10device_ptrIsEEEESE_SE_SE_NS0_19identity_decomposerEEE10hipError_tT1_T2_T3_T4_jRjT5_jjP12ihipStream_tbEUlT_E_NS1_11comp_targetILNS1_3genE8ELNS1_11target_archE1030ELNS1_3gpuE2ELNS1_3repE0EEENS1_44radix_sort_block_sort_config_static_selectorELNS0_4arch9wavefront6targetE1EEEvSH_
    .private_segment_fixed_size: 0
    .sgpr_count:     6
    .sgpr_spill_count: 0
    .symbol:         _ZN7rocprim17ROCPRIM_400000_NS6detail17trampoline_kernelINS0_13kernel_configILj256ELj4ELj4294967295EEENS1_37radix_sort_block_sort_config_selectorIssEEZNS1_21radix_sort_block_sortIS4_Lb0EN6thrust23THRUST_200600_302600_NS6detail15normal_iteratorINS9_10device_ptrIsEEEESE_SE_SE_NS0_19identity_decomposerEEE10hipError_tT1_T2_T3_T4_jRjT5_jjP12ihipStream_tbEUlT_E_NS1_11comp_targetILNS1_3genE8ELNS1_11target_archE1030ELNS1_3gpuE2ELNS1_3repE0EEENS1_44radix_sort_block_sort_config_static_selectorELNS0_4arch9wavefront6targetE1EEEvSH_.kd
    .uniform_work_group_size: 1
    .uses_dynamic_stack: false
    .vgpr_count:     0
    .vgpr_spill_count: 0
    .wavefront_size: 64
  - .agpr_count:     0
    .args:           []
    .group_segment_fixed_size: 0
    .kernarg_segment_align: 4
    .kernarg_segment_size: 0
    .language:       OpenCL C
    .language_version:
      - 2
      - 0
    .max_flat_workgroup_size: 1024
    .name:           _ZN7rocprim17ROCPRIM_400000_NS6detail44device_merge_sort_compile_time_verifier_archINS1_11comp_targetILNS1_3genE0ELNS1_11target_archE4294967295ELNS1_3gpuE0ELNS1_3repE0EEES8_NS1_28merge_sort_block_sort_configILj256ELj4ELNS0_20block_sort_algorithmE0EEENS0_14default_configENS1_37merge_sort_block_sort_config_selectorIssEENS1_38merge_sort_block_merge_config_selectorIssEEEEvv
    .private_segment_fixed_size: 0
    .sgpr_count:     6
    .sgpr_spill_count: 0
    .symbol:         _ZN7rocprim17ROCPRIM_400000_NS6detail44device_merge_sort_compile_time_verifier_archINS1_11comp_targetILNS1_3genE0ELNS1_11target_archE4294967295ELNS1_3gpuE0ELNS1_3repE0EEES8_NS1_28merge_sort_block_sort_configILj256ELj4ELNS0_20block_sort_algorithmE0EEENS0_14default_configENS1_37merge_sort_block_sort_config_selectorIssEENS1_38merge_sort_block_merge_config_selectorIssEEEEvv.kd
    .uniform_work_group_size: 1
    .uses_dynamic_stack: false
    .vgpr_count:     0
    .vgpr_spill_count: 0
    .wavefront_size: 64
  - .agpr_count:     0
    .args:           []
    .group_segment_fixed_size: 0
    .kernarg_segment_align: 4
    .kernarg_segment_size: 0
    .language:       OpenCL C
    .language_version:
      - 2
      - 0
    .max_flat_workgroup_size: 1024
    .name:           _ZN7rocprim17ROCPRIM_400000_NS6detail44device_merge_sort_compile_time_verifier_archINS1_11comp_targetILNS1_3genE5ELNS1_11target_archE942ELNS1_3gpuE9ELNS1_3repE0EEES8_NS1_28merge_sort_block_sort_configILj256ELj4ELNS0_20block_sort_algorithmE0EEENS0_14default_configENS1_37merge_sort_block_sort_config_selectorIssEENS1_38merge_sort_block_merge_config_selectorIssEEEEvv
    .private_segment_fixed_size: 0
    .sgpr_count:     6
    .sgpr_spill_count: 0
    .symbol:         _ZN7rocprim17ROCPRIM_400000_NS6detail44device_merge_sort_compile_time_verifier_archINS1_11comp_targetILNS1_3genE5ELNS1_11target_archE942ELNS1_3gpuE9ELNS1_3repE0EEES8_NS1_28merge_sort_block_sort_configILj256ELj4ELNS0_20block_sort_algorithmE0EEENS0_14default_configENS1_37merge_sort_block_sort_config_selectorIssEENS1_38merge_sort_block_merge_config_selectorIssEEEEvv.kd
    .uniform_work_group_size: 1
    .uses_dynamic_stack: false
    .vgpr_count:     0
    .vgpr_spill_count: 0
    .wavefront_size: 64
  - .agpr_count:     0
    .args:           []
    .group_segment_fixed_size: 0
    .kernarg_segment_align: 4
    .kernarg_segment_size: 0
    .language:       OpenCL C
    .language_version:
      - 2
      - 0
    .max_flat_workgroup_size: 1024
    .name:           _ZN7rocprim17ROCPRIM_400000_NS6detail44device_merge_sort_compile_time_verifier_archINS1_11comp_targetILNS1_3genE4ELNS1_11target_archE910ELNS1_3gpuE8ELNS1_3repE0EEES8_NS1_28merge_sort_block_sort_configILj256ELj4ELNS0_20block_sort_algorithmE0EEENS0_14default_configENS1_37merge_sort_block_sort_config_selectorIssEENS1_38merge_sort_block_merge_config_selectorIssEEEEvv
    .private_segment_fixed_size: 0
    .sgpr_count:     6
    .sgpr_spill_count: 0
    .symbol:         _ZN7rocprim17ROCPRIM_400000_NS6detail44device_merge_sort_compile_time_verifier_archINS1_11comp_targetILNS1_3genE4ELNS1_11target_archE910ELNS1_3gpuE8ELNS1_3repE0EEES8_NS1_28merge_sort_block_sort_configILj256ELj4ELNS0_20block_sort_algorithmE0EEENS0_14default_configENS1_37merge_sort_block_sort_config_selectorIssEENS1_38merge_sort_block_merge_config_selectorIssEEEEvv.kd
    .uniform_work_group_size: 1
    .uses_dynamic_stack: false
    .vgpr_count:     0
    .vgpr_spill_count: 0
    .wavefront_size: 64
  - .agpr_count:     0
    .args:           []
    .group_segment_fixed_size: 0
    .kernarg_segment_align: 4
    .kernarg_segment_size: 0
    .language:       OpenCL C
    .language_version:
      - 2
      - 0
    .max_flat_workgroup_size: 1024
    .name:           _ZN7rocprim17ROCPRIM_400000_NS6detail44device_merge_sort_compile_time_verifier_archINS1_11comp_targetILNS1_3genE3ELNS1_11target_archE908ELNS1_3gpuE7ELNS1_3repE0EEES8_NS1_28merge_sort_block_sort_configILj256ELj4ELNS0_20block_sort_algorithmE0EEENS0_14default_configENS1_37merge_sort_block_sort_config_selectorIssEENS1_38merge_sort_block_merge_config_selectorIssEEEEvv
    .private_segment_fixed_size: 0
    .sgpr_count:     6
    .sgpr_spill_count: 0
    .symbol:         _ZN7rocprim17ROCPRIM_400000_NS6detail44device_merge_sort_compile_time_verifier_archINS1_11comp_targetILNS1_3genE3ELNS1_11target_archE908ELNS1_3gpuE7ELNS1_3repE0EEES8_NS1_28merge_sort_block_sort_configILj256ELj4ELNS0_20block_sort_algorithmE0EEENS0_14default_configENS1_37merge_sort_block_sort_config_selectorIssEENS1_38merge_sort_block_merge_config_selectorIssEEEEvv.kd
    .uniform_work_group_size: 1
    .uses_dynamic_stack: false
    .vgpr_count:     0
    .vgpr_spill_count: 0
    .wavefront_size: 64
  - .agpr_count:     0
    .args:           []
    .group_segment_fixed_size: 0
    .kernarg_segment_align: 4
    .kernarg_segment_size: 0
    .language:       OpenCL C
    .language_version:
      - 2
      - 0
    .max_flat_workgroup_size: 1024
    .name:           _ZN7rocprim17ROCPRIM_400000_NS6detail44device_merge_sort_compile_time_verifier_archINS1_11comp_targetILNS1_3genE2ELNS1_11target_archE906ELNS1_3gpuE6ELNS1_3repE0EEES8_NS1_28merge_sort_block_sort_configILj256ELj4ELNS0_20block_sort_algorithmE0EEENS0_14default_configENS1_37merge_sort_block_sort_config_selectorIssEENS1_38merge_sort_block_merge_config_selectorIssEEEEvv
    .private_segment_fixed_size: 0
    .sgpr_count:     6
    .sgpr_spill_count: 0
    .symbol:         _ZN7rocprim17ROCPRIM_400000_NS6detail44device_merge_sort_compile_time_verifier_archINS1_11comp_targetILNS1_3genE2ELNS1_11target_archE906ELNS1_3gpuE6ELNS1_3repE0EEES8_NS1_28merge_sort_block_sort_configILj256ELj4ELNS0_20block_sort_algorithmE0EEENS0_14default_configENS1_37merge_sort_block_sort_config_selectorIssEENS1_38merge_sort_block_merge_config_selectorIssEEEEvv.kd
    .uniform_work_group_size: 1
    .uses_dynamic_stack: false
    .vgpr_count:     0
    .vgpr_spill_count: 0
    .wavefront_size: 64
  - .agpr_count:     0
    .args:           []
    .group_segment_fixed_size: 0
    .kernarg_segment_align: 4
    .kernarg_segment_size: 0
    .language:       OpenCL C
    .language_version:
      - 2
      - 0
    .max_flat_workgroup_size: 1024
    .name:           _ZN7rocprim17ROCPRIM_400000_NS6detail44device_merge_sort_compile_time_verifier_archINS1_11comp_targetILNS1_3genE10ELNS1_11target_archE1201ELNS1_3gpuE5ELNS1_3repE0EEES8_NS1_28merge_sort_block_sort_configILj256ELj4ELNS0_20block_sort_algorithmE0EEENS0_14default_configENS1_37merge_sort_block_sort_config_selectorIssEENS1_38merge_sort_block_merge_config_selectorIssEEEEvv
    .private_segment_fixed_size: 0
    .sgpr_count:     6
    .sgpr_spill_count: 0
    .symbol:         _ZN7rocprim17ROCPRIM_400000_NS6detail44device_merge_sort_compile_time_verifier_archINS1_11comp_targetILNS1_3genE10ELNS1_11target_archE1201ELNS1_3gpuE5ELNS1_3repE0EEES8_NS1_28merge_sort_block_sort_configILj256ELj4ELNS0_20block_sort_algorithmE0EEENS0_14default_configENS1_37merge_sort_block_sort_config_selectorIssEENS1_38merge_sort_block_merge_config_selectorIssEEEEvv.kd
    .uniform_work_group_size: 1
    .uses_dynamic_stack: false
    .vgpr_count:     0
    .vgpr_spill_count: 0
    .wavefront_size: 64
  - .agpr_count:     0
    .args:           []
    .group_segment_fixed_size: 0
    .kernarg_segment_align: 4
    .kernarg_segment_size: 0
    .language:       OpenCL C
    .language_version:
      - 2
      - 0
    .max_flat_workgroup_size: 1024
    .name:           _ZN7rocprim17ROCPRIM_400000_NS6detail44device_merge_sort_compile_time_verifier_archINS1_11comp_targetILNS1_3genE10ELNS1_11target_archE1200ELNS1_3gpuE4ELNS1_3repE0EEENS3_ILS4_10ELS5_1201ELS6_5ELS7_0EEENS1_28merge_sort_block_sort_configILj256ELj4ELNS0_20block_sort_algorithmE0EEENS0_14default_configENS1_37merge_sort_block_sort_config_selectorIssEENS1_38merge_sort_block_merge_config_selectorIssEEEEvv
    .private_segment_fixed_size: 0
    .sgpr_count:     6
    .sgpr_spill_count: 0
    .symbol:         _ZN7rocprim17ROCPRIM_400000_NS6detail44device_merge_sort_compile_time_verifier_archINS1_11comp_targetILNS1_3genE10ELNS1_11target_archE1200ELNS1_3gpuE4ELNS1_3repE0EEENS3_ILS4_10ELS5_1201ELS6_5ELS7_0EEENS1_28merge_sort_block_sort_configILj256ELj4ELNS0_20block_sort_algorithmE0EEENS0_14default_configENS1_37merge_sort_block_sort_config_selectorIssEENS1_38merge_sort_block_merge_config_selectorIssEEEEvv.kd
    .uniform_work_group_size: 1
    .uses_dynamic_stack: false
    .vgpr_count:     0
    .vgpr_spill_count: 0
    .wavefront_size: 64
  - .agpr_count:     0
    .args:           []
    .group_segment_fixed_size: 0
    .kernarg_segment_align: 4
    .kernarg_segment_size: 0
    .language:       OpenCL C
    .language_version:
      - 2
      - 0
    .max_flat_workgroup_size: 1024
    .name:           _ZN7rocprim17ROCPRIM_400000_NS6detail44device_merge_sort_compile_time_verifier_archINS1_11comp_targetILNS1_3genE9ELNS1_11target_archE1100ELNS1_3gpuE3ELNS1_3repE0EEES8_NS1_28merge_sort_block_sort_configILj256ELj4ELNS0_20block_sort_algorithmE0EEENS0_14default_configENS1_37merge_sort_block_sort_config_selectorIssEENS1_38merge_sort_block_merge_config_selectorIssEEEEvv
    .private_segment_fixed_size: 0
    .sgpr_count:     6
    .sgpr_spill_count: 0
    .symbol:         _ZN7rocprim17ROCPRIM_400000_NS6detail44device_merge_sort_compile_time_verifier_archINS1_11comp_targetILNS1_3genE9ELNS1_11target_archE1100ELNS1_3gpuE3ELNS1_3repE0EEES8_NS1_28merge_sort_block_sort_configILj256ELj4ELNS0_20block_sort_algorithmE0EEENS0_14default_configENS1_37merge_sort_block_sort_config_selectorIssEENS1_38merge_sort_block_merge_config_selectorIssEEEEvv.kd
    .uniform_work_group_size: 1
    .uses_dynamic_stack: false
    .vgpr_count:     0
    .vgpr_spill_count: 0
    .wavefront_size: 64
  - .agpr_count:     0
    .args:           []
    .group_segment_fixed_size: 0
    .kernarg_segment_align: 4
    .kernarg_segment_size: 0
    .language:       OpenCL C
    .language_version:
      - 2
      - 0
    .max_flat_workgroup_size: 1024
    .name:           _ZN7rocprim17ROCPRIM_400000_NS6detail44device_merge_sort_compile_time_verifier_archINS1_11comp_targetILNS1_3genE8ELNS1_11target_archE1030ELNS1_3gpuE2ELNS1_3repE0EEES8_NS1_28merge_sort_block_sort_configILj256ELj4ELNS0_20block_sort_algorithmE0EEENS0_14default_configENS1_37merge_sort_block_sort_config_selectorIssEENS1_38merge_sort_block_merge_config_selectorIssEEEEvv
    .private_segment_fixed_size: 0
    .sgpr_count:     6
    .sgpr_spill_count: 0
    .symbol:         _ZN7rocprim17ROCPRIM_400000_NS6detail44device_merge_sort_compile_time_verifier_archINS1_11comp_targetILNS1_3genE8ELNS1_11target_archE1030ELNS1_3gpuE2ELNS1_3repE0EEES8_NS1_28merge_sort_block_sort_configILj256ELj4ELNS0_20block_sort_algorithmE0EEENS0_14default_configENS1_37merge_sort_block_sort_config_selectorIssEENS1_38merge_sort_block_merge_config_selectorIssEEEEvv.kd
    .uniform_work_group_size: 1
    .uses_dynamic_stack: false
    .vgpr_count:     0
    .vgpr_spill_count: 0
    .wavefront_size: 64
  - .agpr_count:     0
    .args:
      - .offset:         0
        .size:           40
        .value_kind:     by_value
    .group_segment_fixed_size: 0
    .kernarg_segment_align: 8
    .kernarg_segment_size: 40
    .language:       OpenCL C
    .language_version:
      - 2
      - 0
    .max_flat_workgroup_size: 128
    .name:           _ZN7rocprim17ROCPRIM_400000_NS6detail17trampoline_kernelINS0_14default_configENS1_38merge_sort_block_merge_config_selectorIssEEZZNS1_27merge_sort_block_merge_implIS3_N6thrust23THRUST_200600_302600_NS6detail15normal_iteratorINS8_10device_ptrIsEEEESD_jNS1_19radix_merge_compareILb0ELb0EsNS0_19identity_decomposerEEEEE10hipError_tT0_T1_T2_jT3_P12ihipStream_tbPNSt15iterator_traitsISI_E10value_typeEPNSO_ISJ_E10value_typeEPSK_NS1_7vsmem_tEENKUlT_SI_SJ_SK_E_clIPsSD_S10_SD_EESH_SX_SI_SJ_SK_EUlSX_E_NS1_11comp_targetILNS1_3genE0ELNS1_11target_archE4294967295ELNS1_3gpuE0ELNS1_3repE0EEENS1_48merge_mergepath_partition_config_static_selectorELNS0_4arch9wavefront6targetE1EEEvSJ_
    .private_segment_fixed_size: 0
    .sgpr_count:     14
    .sgpr_spill_count: 0
    .symbol:         _ZN7rocprim17ROCPRIM_400000_NS6detail17trampoline_kernelINS0_14default_configENS1_38merge_sort_block_merge_config_selectorIssEEZZNS1_27merge_sort_block_merge_implIS3_N6thrust23THRUST_200600_302600_NS6detail15normal_iteratorINS8_10device_ptrIsEEEESD_jNS1_19radix_merge_compareILb0ELb0EsNS0_19identity_decomposerEEEEE10hipError_tT0_T1_T2_jT3_P12ihipStream_tbPNSt15iterator_traitsISI_E10value_typeEPNSO_ISJ_E10value_typeEPSK_NS1_7vsmem_tEENKUlT_SI_SJ_SK_E_clIPsSD_S10_SD_EESH_SX_SI_SJ_SK_EUlSX_E_NS1_11comp_targetILNS1_3genE0ELNS1_11target_archE4294967295ELNS1_3gpuE0ELNS1_3repE0EEENS1_48merge_mergepath_partition_config_static_selectorELNS0_4arch9wavefront6targetE1EEEvSJ_.kd
    .uniform_work_group_size: 1
    .uses_dynamic_stack: false
    .vgpr_count:     17
    .vgpr_spill_count: 0
    .wavefront_size: 64
  - .agpr_count:     0
    .args:
      - .offset:         0
        .size:           40
        .value_kind:     by_value
    .group_segment_fixed_size: 0
    .kernarg_segment_align: 8
    .kernarg_segment_size: 40
    .language:       OpenCL C
    .language_version:
      - 2
      - 0
    .max_flat_workgroup_size: 128
    .name:           _ZN7rocprim17ROCPRIM_400000_NS6detail17trampoline_kernelINS0_14default_configENS1_38merge_sort_block_merge_config_selectorIssEEZZNS1_27merge_sort_block_merge_implIS3_N6thrust23THRUST_200600_302600_NS6detail15normal_iteratorINS8_10device_ptrIsEEEESD_jNS1_19radix_merge_compareILb0ELb0EsNS0_19identity_decomposerEEEEE10hipError_tT0_T1_T2_jT3_P12ihipStream_tbPNSt15iterator_traitsISI_E10value_typeEPNSO_ISJ_E10value_typeEPSK_NS1_7vsmem_tEENKUlT_SI_SJ_SK_E_clIPsSD_S10_SD_EESH_SX_SI_SJ_SK_EUlSX_E_NS1_11comp_targetILNS1_3genE10ELNS1_11target_archE1201ELNS1_3gpuE5ELNS1_3repE0EEENS1_48merge_mergepath_partition_config_static_selectorELNS0_4arch9wavefront6targetE1EEEvSJ_
    .private_segment_fixed_size: 0
    .sgpr_count:     6
    .sgpr_spill_count: 0
    .symbol:         _ZN7rocprim17ROCPRIM_400000_NS6detail17trampoline_kernelINS0_14default_configENS1_38merge_sort_block_merge_config_selectorIssEEZZNS1_27merge_sort_block_merge_implIS3_N6thrust23THRUST_200600_302600_NS6detail15normal_iteratorINS8_10device_ptrIsEEEESD_jNS1_19radix_merge_compareILb0ELb0EsNS0_19identity_decomposerEEEEE10hipError_tT0_T1_T2_jT3_P12ihipStream_tbPNSt15iterator_traitsISI_E10value_typeEPNSO_ISJ_E10value_typeEPSK_NS1_7vsmem_tEENKUlT_SI_SJ_SK_E_clIPsSD_S10_SD_EESH_SX_SI_SJ_SK_EUlSX_E_NS1_11comp_targetILNS1_3genE10ELNS1_11target_archE1201ELNS1_3gpuE5ELNS1_3repE0EEENS1_48merge_mergepath_partition_config_static_selectorELNS0_4arch9wavefront6targetE1EEEvSJ_.kd
    .uniform_work_group_size: 1
    .uses_dynamic_stack: false
    .vgpr_count:     0
    .vgpr_spill_count: 0
    .wavefront_size: 64
  - .agpr_count:     0
    .args:
      - .offset:         0
        .size:           40
        .value_kind:     by_value
    .group_segment_fixed_size: 0
    .kernarg_segment_align: 8
    .kernarg_segment_size: 40
    .language:       OpenCL C
    .language_version:
      - 2
      - 0
    .max_flat_workgroup_size: 128
    .name:           _ZN7rocprim17ROCPRIM_400000_NS6detail17trampoline_kernelINS0_14default_configENS1_38merge_sort_block_merge_config_selectorIssEEZZNS1_27merge_sort_block_merge_implIS3_N6thrust23THRUST_200600_302600_NS6detail15normal_iteratorINS8_10device_ptrIsEEEESD_jNS1_19radix_merge_compareILb0ELb0EsNS0_19identity_decomposerEEEEE10hipError_tT0_T1_T2_jT3_P12ihipStream_tbPNSt15iterator_traitsISI_E10value_typeEPNSO_ISJ_E10value_typeEPSK_NS1_7vsmem_tEENKUlT_SI_SJ_SK_E_clIPsSD_S10_SD_EESH_SX_SI_SJ_SK_EUlSX_E_NS1_11comp_targetILNS1_3genE5ELNS1_11target_archE942ELNS1_3gpuE9ELNS1_3repE0EEENS1_48merge_mergepath_partition_config_static_selectorELNS0_4arch9wavefront6targetE1EEEvSJ_
    .private_segment_fixed_size: 0
    .sgpr_count:     6
    .sgpr_spill_count: 0
    .symbol:         _ZN7rocprim17ROCPRIM_400000_NS6detail17trampoline_kernelINS0_14default_configENS1_38merge_sort_block_merge_config_selectorIssEEZZNS1_27merge_sort_block_merge_implIS3_N6thrust23THRUST_200600_302600_NS6detail15normal_iteratorINS8_10device_ptrIsEEEESD_jNS1_19radix_merge_compareILb0ELb0EsNS0_19identity_decomposerEEEEE10hipError_tT0_T1_T2_jT3_P12ihipStream_tbPNSt15iterator_traitsISI_E10value_typeEPNSO_ISJ_E10value_typeEPSK_NS1_7vsmem_tEENKUlT_SI_SJ_SK_E_clIPsSD_S10_SD_EESH_SX_SI_SJ_SK_EUlSX_E_NS1_11comp_targetILNS1_3genE5ELNS1_11target_archE942ELNS1_3gpuE9ELNS1_3repE0EEENS1_48merge_mergepath_partition_config_static_selectorELNS0_4arch9wavefront6targetE1EEEvSJ_.kd
    .uniform_work_group_size: 1
    .uses_dynamic_stack: false
    .vgpr_count:     0
    .vgpr_spill_count: 0
    .wavefront_size: 64
  - .agpr_count:     0
    .args:
      - .offset:         0
        .size:           40
        .value_kind:     by_value
    .group_segment_fixed_size: 0
    .kernarg_segment_align: 8
    .kernarg_segment_size: 40
    .language:       OpenCL C
    .language_version:
      - 2
      - 0
    .max_flat_workgroup_size: 128
    .name:           _ZN7rocprim17ROCPRIM_400000_NS6detail17trampoline_kernelINS0_14default_configENS1_38merge_sort_block_merge_config_selectorIssEEZZNS1_27merge_sort_block_merge_implIS3_N6thrust23THRUST_200600_302600_NS6detail15normal_iteratorINS8_10device_ptrIsEEEESD_jNS1_19radix_merge_compareILb0ELb0EsNS0_19identity_decomposerEEEEE10hipError_tT0_T1_T2_jT3_P12ihipStream_tbPNSt15iterator_traitsISI_E10value_typeEPNSO_ISJ_E10value_typeEPSK_NS1_7vsmem_tEENKUlT_SI_SJ_SK_E_clIPsSD_S10_SD_EESH_SX_SI_SJ_SK_EUlSX_E_NS1_11comp_targetILNS1_3genE4ELNS1_11target_archE910ELNS1_3gpuE8ELNS1_3repE0EEENS1_48merge_mergepath_partition_config_static_selectorELNS0_4arch9wavefront6targetE1EEEvSJ_
    .private_segment_fixed_size: 0
    .sgpr_count:     6
    .sgpr_spill_count: 0
    .symbol:         _ZN7rocprim17ROCPRIM_400000_NS6detail17trampoline_kernelINS0_14default_configENS1_38merge_sort_block_merge_config_selectorIssEEZZNS1_27merge_sort_block_merge_implIS3_N6thrust23THRUST_200600_302600_NS6detail15normal_iteratorINS8_10device_ptrIsEEEESD_jNS1_19radix_merge_compareILb0ELb0EsNS0_19identity_decomposerEEEEE10hipError_tT0_T1_T2_jT3_P12ihipStream_tbPNSt15iterator_traitsISI_E10value_typeEPNSO_ISJ_E10value_typeEPSK_NS1_7vsmem_tEENKUlT_SI_SJ_SK_E_clIPsSD_S10_SD_EESH_SX_SI_SJ_SK_EUlSX_E_NS1_11comp_targetILNS1_3genE4ELNS1_11target_archE910ELNS1_3gpuE8ELNS1_3repE0EEENS1_48merge_mergepath_partition_config_static_selectorELNS0_4arch9wavefront6targetE1EEEvSJ_.kd
    .uniform_work_group_size: 1
    .uses_dynamic_stack: false
    .vgpr_count:     0
    .vgpr_spill_count: 0
    .wavefront_size: 64
  - .agpr_count:     0
    .args:
      - .offset:         0
        .size:           40
        .value_kind:     by_value
    .group_segment_fixed_size: 0
    .kernarg_segment_align: 8
    .kernarg_segment_size: 40
    .language:       OpenCL C
    .language_version:
      - 2
      - 0
    .max_flat_workgroup_size: 128
    .name:           _ZN7rocprim17ROCPRIM_400000_NS6detail17trampoline_kernelINS0_14default_configENS1_38merge_sort_block_merge_config_selectorIssEEZZNS1_27merge_sort_block_merge_implIS3_N6thrust23THRUST_200600_302600_NS6detail15normal_iteratorINS8_10device_ptrIsEEEESD_jNS1_19radix_merge_compareILb0ELb0EsNS0_19identity_decomposerEEEEE10hipError_tT0_T1_T2_jT3_P12ihipStream_tbPNSt15iterator_traitsISI_E10value_typeEPNSO_ISJ_E10value_typeEPSK_NS1_7vsmem_tEENKUlT_SI_SJ_SK_E_clIPsSD_S10_SD_EESH_SX_SI_SJ_SK_EUlSX_E_NS1_11comp_targetILNS1_3genE3ELNS1_11target_archE908ELNS1_3gpuE7ELNS1_3repE0EEENS1_48merge_mergepath_partition_config_static_selectorELNS0_4arch9wavefront6targetE1EEEvSJ_
    .private_segment_fixed_size: 0
    .sgpr_count:     6
    .sgpr_spill_count: 0
    .symbol:         _ZN7rocprim17ROCPRIM_400000_NS6detail17trampoline_kernelINS0_14default_configENS1_38merge_sort_block_merge_config_selectorIssEEZZNS1_27merge_sort_block_merge_implIS3_N6thrust23THRUST_200600_302600_NS6detail15normal_iteratorINS8_10device_ptrIsEEEESD_jNS1_19radix_merge_compareILb0ELb0EsNS0_19identity_decomposerEEEEE10hipError_tT0_T1_T2_jT3_P12ihipStream_tbPNSt15iterator_traitsISI_E10value_typeEPNSO_ISJ_E10value_typeEPSK_NS1_7vsmem_tEENKUlT_SI_SJ_SK_E_clIPsSD_S10_SD_EESH_SX_SI_SJ_SK_EUlSX_E_NS1_11comp_targetILNS1_3genE3ELNS1_11target_archE908ELNS1_3gpuE7ELNS1_3repE0EEENS1_48merge_mergepath_partition_config_static_selectorELNS0_4arch9wavefront6targetE1EEEvSJ_.kd
    .uniform_work_group_size: 1
    .uses_dynamic_stack: false
    .vgpr_count:     0
    .vgpr_spill_count: 0
    .wavefront_size: 64
  - .agpr_count:     0
    .args:
      - .offset:         0
        .size:           40
        .value_kind:     by_value
    .group_segment_fixed_size: 0
    .kernarg_segment_align: 8
    .kernarg_segment_size: 40
    .language:       OpenCL C
    .language_version:
      - 2
      - 0
    .max_flat_workgroup_size: 128
    .name:           _ZN7rocprim17ROCPRIM_400000_NS6detail17trampoline_kernelINS0_14default_configENS1_38merge_sort_block_merge_config_selectorIssEEZZNS1_27merge_sort_block_merge_implIS3_N6thrust23THRUST_200600_302600_NS6detail15normal_iteratorINS8_10device_ptrIsEEEESD_jNS1_19radix_merge_compareILb0ELb0EsNS0_19identity_decomposerEEEEE10hipError_tT0_T1_T2_jT3_P12ihipStream_tbPNSt15iterator_traitsISI_E10value_typeEPNSO_ISJ_E10value_typeEPSK_NS1_7vsmem_tEENKUlT_SI_SJ_SK_E_clIPsSD_S10_SD_EESH_SX_SI_SJ_SK_EUlSX_E_NS1_11comp_targetILNS1_3genE2ELNS1_11target_archE906ELNS1_3gpuE6ELNS1_3repE0EEENS1_48merge_mergepath_partition_config_static_selectorELNS0_4arch9wavefront6targetE1EEEvSJ_
    .private_segment_fixed_size: 0
    .sgpr_count:     6
    .sgpr_spill_count: 0
    .symbol:         _ZN7rocprim17ROCPRIM_400000_NS6detail17trampoline_kernelINS0_14default_configENS1_38merge_sort_block_merge_config_selectorIssEEZZNS1_27merge_sort_block_merge_implIS3_N6thrust23THRUST_200600_302600_NS6detail15normal_iteratorINS8_10device_ptrIsEEEESD_jNS1_19radix_merge_compareILb0ELb0EsNS0_19identity_decomposerEEEEE10hipError_tT0_T1_T2_jT3_P12ihipStream_tbPNSt15iterator_traitsISI_E10value_typeEPNSO_ISJ_E10value_typeEPSK_NS1_7vsmem_tEENKUlT_SI_SJ_SK_E_clIPsSD_S10_SD_EESH_SX_SI_SJ_SK_EUlSX_E_NS1_11comp_targetILNS1_3genE2ELNS1_11target_archE906ELNS1_3gpuE6ELNS1_3repE0EEENS1_48merge_mergepath_partition_config_static_selectorELNS0_4arch9wavefront6targetE1EEEvSJ_.kd
    .uniform_work_group_size: 1
    .uses_dynamic_stack: false
    .vgpr_count:     0
    .vgpr_spill_count: 0
    .wavefront_size: 64
  - .agpr_count:     0
    .args:
      - .offset:         0
        .size:           40
        .value_kind:     by_value
    .group_segment_fixed_size: 0
    .kernarg_segment_align: 8
    .kernarg_segment_size: 40
    .language:       OpenCL C
    .language_version:
      - 2
      - 0
    .max_flat_workgroup_size: 128
    .name:           _ZN7rocprim17ROCPRIM_400000_NS6detail17trampoline_kernelINS0_14default_configENS1_38merge_sort_block_merge_config_selectorIssEEZZNS1_27merge_sort_block_merge_implIS3_N6thrust23THRUST_200600_302600_NS6detail15normal_iteratorINS8_10device_ptrIsEEEESD_jNS1_19radix_merge_compareILb0ELb0EsNS0_19identity_decomposerEEEEE10hipError_tT0_T1_T2_jT3_P12ihipStream_tbPNSt15iterator_traitsISI_E10value_typeEPNSO_ISJ_E10value_typeEPSK_NS1_7vsmem_tEENKUlT_SI_SJ_SK_E_clIPsSD_S10_SD_EESH_SX_SI_SJ_SK_EUlSX_E_NS1_11comp_targetILNS1_3genE9ELNS1_11target_archE1100ELNS1_3gpuE3ELNS1_3repE0EEENS1_48merge_mergepath_partition_config_static_selectorELNS0_4arch9wavefront6targetE1EEEvSJ_
    .private_segment_fixed_size: 0
    .sgpr_count:     6
    .sgpr_spill_count: 0
    .symbol:         _ZN7rocprim17ROCPRIM_400000_NS6detail17trampoline_kernelINS0_14default_configENS1_38merge_sort_block_merge_config_selectorIssEEZZNS1_27merge_sort_block_merge_implIS3_N6thrust23THRUST_200600_302600_NS6detail15normal_iteratorINS8_10device_ptrIsEEEESD_jNS1_19radix_merge_compareILb0ELb0EsNS0_19identity_decomposerEEEEE10hipError_tT0_T1_T2_jT3_P12ihipStream_tbPNSt15iterator_traitsISI_E10value_typeEPNSO_ISJ_E10value_typeEPSK_NS1_7vsmem_tEENKUlT_SI_SJ_SK_E_clIPsSD_S10_SD_EESH_SX_SI_SJ_SK_EUlSX_E_NS1_11comp_targetILNS1_3genE9ELNS1_11target_archE1100ELNS1_3gpuE3ELNS1_3repE0EEENS1_48merge_mergepath_partition_config_static_selectorELNS0_4arch9wavefront6targetE1EEEvSJ_.kd
    .uniform_work_group_size: 1
    .uses_dynamic_stack: false
    .vgpr_count:     0
    .vgpr_spill_count: 0
    .wavefront_size: 64
  - .agpr_count:     0
    .args:
      - .offset:         0
        .size:           40
        .value_kind:     by_value
    .group_segment_fixed_size: 0
    .kernarg_segment_align: 8
    .kernarg_segment_size: 40
    .language:       OpenCL C
    .language_version:
      - 2
      - 0
    .max_flat_workgroup_size: 128
    .name:           _ZN7rocprim17ROCPRIM_400000_NS6detail17trampoline_kernelINS0_14default_configENS1_38merge_sort_block_merge_config_selectorIssEEZZNS1_27merge_sort_block_merge_implIS3_N6thrust23THRUST_200600_302600_NS6detail15normal_iteratorINS8_10device_ptrIsEEEESD_jNS1_19radix_merge_compareILb0ELb0EsNS0_19identity_decomposerEEEEE10hipError_tT0_T1_T2_jT3_P12ihipStream_tbPNSt15iterator_traitsISI_E10value_typeEPNSO_ISJ_E10value_typeEPSK_NS1_7vsmem_tEENKUlT_SI_SJ_SK_E_clIPsSD_S10_SD_EESH_SX_SI_SJ_SK_EUlSX_E_NS1_11comp_targetILNS1_3genE8ELNS1_11target_archE1030ELNS1_3gpuE2ELNS1_3repE0EEENS1_48merge_mergepath_partition_config_static_selectorELNS0_4arch9wavefront6targetE1EEEvSJ_
    .private_segment_fixed_size: 0
    .sgpr_count:     6
    .sgpr_spill_count: 0
    .symbol:         _ZN7rocprim17ROCPRIM_400000_NS6detail17trampoline_kernelINS0_14default_configENS1_38merge_sort_block_merge_config_selectorIssEEZZNS1_27merge_sort_block_merge_implIS3_N6thrust23THRUST_200600_302600_NS6detail15normal_iteratorINS8_10device_ptrIsEEEESD_jNS1_19radix_merge_compareILb0ELb0EsNS0_19identity_decomposerEEEEE10hipError_tT0_T1_T2_jT3_P12ihipStream_tbPNSt15iterator_traitsISI_E10value_typeEPNSO_ISJ_E10value_typeEPSK_NS1_7vsmem_tEENKUlT_SI_SJ_SK_E_clIPsSD_S10_SD_EESH_SX_SI_SJ_SK_EUlSX_E_NS1_11comp_targetILNS1_3genE8ELNS1_11target_archE1030ELNS1_3gpuE2ELNS1_3repE0EEENS1_48merge_mergepath_partition_config_static_selectorELNS0_4arch9wavefront6targetE1EEEvSJ_.kd
    .uniform_work_group_size: 1
    .uses_dynamic_stack: false
    .vgpr_count:     0
    .vgpr_spill_count: 0
    .wavefront_size: 64
  - .agpr_count:     0
    .args:
      - .offset:         0
        .size:           64
        .value_kind:     by_value
      - .offset:         64
        .size:           4
        .value_kind:     hidden_block_count_x
      - .offset:         68
        .size:           4
        .value_kind:     hidden_block_count_y
      - .offset:         72
        .size:           4
        .value_kind:     hidden_block_count_z
      - .offset:         76
        .size:           2
        .value_kind:     hidden_group_size_x
      - .offset:         78
        .size:           2
        .value_kind:     hidden_group_size_y
      - .offset:         80
        .size:           2
        .value_kind:     hidden_group_size_z
      - .offset:         82
        .size:           2
        .value_kind:     hidden_remainder_x
      - .offset:         84
        .size:           2
        .value_kind:     hidden_remainder_y
      - .offset:         86
        .size:           2
        .value_kind:     hidden_remainder_z
      - .offset:         104
        .size:           8
        .value_kind:     hidden_global_offset_x
      - .offset:         112
        .size:           8
        .value_kind:     hidden_global_offset_y
      - .offset:         120
        .size:           8
        .value_kind:     hidden_global_offset_z
      - .offset:         128
        .size:           2
        .value_kind:     hidden_grid_dims
    .group_segment_fixed_size: 2112
    .kernarg_segment_align: 8
    .kernarg_segment_size: 320
    .language:       OpenCL C
    .language_version:
      - 2
      - 0
    .max_flat_workgroup_size: 128
    .name:           _ZN7rocprim17ROCPRIM_400000_NS6detail17trampoline_kernelINS0_14default_configENS1_38merge_sort_block_merge_config_selectorIssEEZZNS1_27merge_sort_block_merge_implIS3_N6thrust23THRUST_200600_302600_NS6detail15normal_iteratorINS8_10device_ptrIsEEEESD_jNS1_19radix_merge_compareILb0ELb0EsNS0_19identity_decomposerEEEEE10hipError_tT0_T1_T2_jT3_P12ihipStream_tbPNSt15iterator_traitsISI_E10value_typeEPNSO_ISJ_E10value_typeEPSK_NS1_7vsmem_tEENKUlT_SI_SJ_SK_E_clIPsSD_S10_SD_EESH_SX_SI_SJ_SK_EUlSX_E0_NS1_11comp_targetILNS1_3genE0ELNS1_11target_archE4294967295ELNS1_3gpuE0ELNS1_3repE0EEENS1_38merge_mergepath_config_static_selectorELNS0_4arch9wavefront6targetE1EEEvSJ_
    .private_segment_fixed_size: 0
    .sgpr_count:     36
    .sgpr_spill_count: 0
    .symbol:         _ZN7rocprim17ROCPRIM_400000_NS6detail17trampoline_kernelINS0_14default_configENS1_38merge_sort_block_merge_config_selectorIssEEZZNS1_27merge_sort_block_merge_implIS3_N6thrust23THRUST_200600_302600_NS6detail15normal_iteratorINS8_10device_ptrIsEEEESD_jNS1_19radix_merge_compareILb0ELb0EsNS0_19identity_decomposerEEEEE10hipError_tT0_T1_T2_jT3_P12ihipStream_tbPNSt15iterator_traitsISI_E10value_typeEPNSO_ISJ_E10value_typeEPSK_NS1_7vsmem_tEENKUlT_SI_SJ_SK_E_clIPsSD_S10_SD_EESH_SX_SI_SJ_SK_EUlSX_E0_NS1_11comp_targetILNS1_3genE0ELNS1_11target_archE4294967295ELNS1_3gpuE0ELNS1_3repE0EEENS1_38merge_mergepath_config_static_selectorELNS0_4arch9wavefront6targetE1EEEvSJ_.kd
    .uniform_work_group_size: 1
    .uses_dynamic_stack: false
    .vgpr_count:     36
    .vgpr_spill_count: 0
    .wavefront_size: 64
  - .agpr_count:     0
    .args:
      - .offset:         0
        .size:           64
        .value_kind:     by_value
    .group_segment_fixed_size: 0
    .kernarg_segment_align: 8
    .kernarg_segment_size: 64
    .language:       OpenCL C
    .language_version:
      - 2
      - 0
    .max_flat_workgroup_size: 128
    .name:           _ZN7rocprim17ROCPRIM_400000_NS6detail17trampoline_kernelINS0_14default_configENS1_38merge_sort_block_merge_config_selectorIssEEZZNS1_27merge_sort_block_merge_implIS3_N6thrust23THRUST_200600_302600_NS6detail15normal_iteratorINS8_10device_ptrIsEEEESD_jNS1_19radix_merge_compareILb0ELb0EsNS0_19identity_decomposerEEEEE10hipError_tT0_T1_T2_jT3_P12ihipStream_tbPNSt15iterator_traitsISI_E10value_typeEPNSO_ISJ_E10value_typeEPSK_NS1_7vsmem_tEENKUlT_SI_SJ_SK_E_clIPsSD_S10_SD_EESH_SX_SI_SJ_SK_EUlSX_E0_NS1_11comp_targetILNS1_3genE10ELNS1_11target_archE1201ELNS1_3gpuE5ELNS1_3repE0EEENS1_38merge_mergepath_config_static_selectorELNS0_4arch9wavefront6targetE1EEEvSJ_
    .private_segment_fixed_size: 0
    .sgpr_count:     6
    .sgpr_spill_count: 0
    .symbol:         _ZN7rocprim17ROCPRIM_400000_NS6detail17trampoline_kernelINS0_14default_configENS1_38merge_sort_block_merge_config_selectorIssEEZZNS1_27merge_sort_block_merge_implIS3_N6thrust23THRUST_200600_302600_NS6detail15normal_iteratorINS8_10device_ptrIsEEEESD_jNS1_19radix_merge_compareILb0ELb0EsNS0_19identity_decomposerEEEEE10hipError_tT0_T1_T2_jT3_P12ihipStream_tbPNSt15iterator_traitsISI_E10value_typeEPNSO_ISJ_E10value_typeEPSK_NS1_7vsmem_tEENKUlT_SI_SJ_SK_E_clIPsSD_S10_SD_EESH_SX_SI_SJ_SK_EUlSX_E0_NS1_11comp_targetILNS1_3genE10ELNS1_11target_archE1201ELNS1_3gpuE5ELNS1_3repE0EEENS1_38merge_mergepath_config_static_selectorELNS0_4arch9wavefront6targetE1EEEvSJ_.kd
    .uniform_work_group_size: 1
    .uses_dynamic_stack: false
    .vgpr_count:     0
    .vgpr_spill_count: 0
    .wavefront_size: 64
  - .agpr_count:     0
    .args:
      - .offset:         0
        .size:           64
        .value_kind:     by_value
    .group_segment_fixed_size: 0
    .kernarg_segment_align: 8
    .kernarg_segment_size: 64
    .language:       OpenCL C
    .language_version:
      - 2
      - 0
    .max_flat_workgroup_size: 128
    .name:           _ZN7rocprim17ROCPRIM_400000_NS6detail17trampoline_kernelINS0_14default_configENS1_38merge_sort_block_merge_config_selectorIssEEZZNS1_27merge_sort_block_merge_implIS3_N6thrust23THRUST_200600_302600_NS6detail15normal_iteratorINS8_10device_ptrIsEEEESD_jNS1_19radix_merge_compareILb0ELb0EsNS0_19identity_decomposerEEEEE10hipError_tT0_T1_T2_jT3_P12ihipStream_tbPNSt15iterator_traitsISI_E10value_typeEPNSO_ISJ_E10value_typeEPSK_NS1_7vsmem_tEENKUlT_SI_SJ_SK_E_clIPsSD_S10_SD_EESH_SX_SI_SJ_SK_EUlSX_E0_NS1_11comp_targetILNS1_3genE5ELNS1_11target_archE942ELNS1_3gpuE9ELNS1_3repE0EEENS1_38merge_mergepath_config_static_selectorELNS0_4arch9wavefront6targetE1EEEvSJ_
    .private_segment_fixed_size: 0
    .sgpr_count:     6
    .sgpr_spill_count: 0
    .symbol:         _ZN7rocprim17ROCPRIM_400000_NS6detail17trampoline_kernelINS0_14default_configENS1_38merge_sort_block_merge_config_selectorIssEEZZNS1_27merge_sort_block_merge_implIS3_N6thrust23THRUST_200600_302600_NS6detail15normal_iteratorINS8_10device_ptrIsEEEESD_jNS1_19radix_merge_compareILb0ELb0EsNS0_19identity_decomposerEEEEE10hipError_tT0_T1_T2_jT3_P12ihipStream_tbPNSt15iterator_traitsISI_E10value_typeEPNSO_ISJ_E10value_typeEPSK_NS1_7vsmem_tEENKUlT_SI_SJ_SK_E_clIPsSD_S10_SD_EESH_SX_SI_SJ_SK_EUlSX_E0_NS1_11comp_targetILNS1_3genE5ELNS1_11target_archE942ELNS1_3gpuE9ELNS1_3repE0EEENS1_38merge_mergepath_config_static_selectorELNS0_4arch9wavefront6targetE1EEEvSJ_.kd
    .uniform_work_group_size: 1
    .uses_dynamic_stack: false
    .vgpr_count:     0
    .vgpr_spill_count: 0
    .wavefront_size: 64
  - .agpr_count:     0
    .args:
      - .offset:         0
        .size:           64
        .value_kind:     by_value
    .group_segment_fixed_size: 0
    .kernarg_segment_align: 8
    .kernarg_segment_size: 64
    .language:       OpenCL C
    .language_version:
      - 2
      - 0
    .max_flat_workgroup_size: 128
    .name:           _ZN7rocprim17ROCPRIM_400000_NS6detail17trampoline_kernelINS0_14default_configENS1_38merge_sort_block_merge_config_selectorIssEEZZNS1_27merge_sort_block_merge_implIS3_N6thrust23THRUST_200600_302600_NS6detail15normal_iteratorINS8_10device_ptrIsEEEESD_jNS1_19radix_merge_compareILb0ELb0EsNS0_19identity_decomposerEEEEE10hipError_tT0_T1_T2_jT3_P12ihipStream_tbPNSt15iterator_traitsISI_E10value_typeEPNSO_ISJ_E10value_typeEPSK_NS1_7vsmem_tEENKUlT_SI_SJ_SK_E_clIPsSD_S10_SD_EESH_SX_SI_SJ_SK_EUlSX_E0_NS1_11comp_targetILNS1_3genE4ELNS1_11target_archE910ELNS1_3gpuE8ELNS1_3repE0EEENS1_38merge_mergepath_config_static_selectorELNS0_4arch9wavefront6targetE1EEEvSJ_
    .private_segment_fixed_size: 0
    .sgpr_count:     6
    .sgpr_spill_count: 0
    .symbol:         _ZN7rocprim17ROCPRIM_400000_NS6detail17trampoline_kernelINS0_14default_configENS1_38merge_sort_block_merge_config_selectorIssEEZZNS1_27merge_sort_block_merge_implIS3_N6thrust23THRUST_200600_302600_NS6detail15normal_iteratorINS8_10device_ptrIsEEEESD_jNS1_19radix_merge_compareILb0ELb0EsNS0_19identity_decomposerEEEEE10hipError_tT0_T1_T2_jT3_P12ihipStream_tbPNSt15iterator_traitsISI_E10value_typeEPNSO_ISJ_E10value_typeEPSK_NS1_7vsmem_tEENKUlT_SI_SJ_SK_E_clIPsSD_S10_SD_EESH_SX_SI_SJ_SK_EUlSX_E0_NS1_11comp_targetILNS1_3genE4ELNS1_11target_archE910ELNS1_3gpuE8ELNS1_3repE0EEENS1_38merge_mergepath_config_static_selectorELNS0_4arch9wavefront6targetE1EEEvSJ_.kd
    .uniform_work_group_size: 1
    .uses_dynamic_stack: false
    .vgpr_count:     0
    .vgpr_spill_count: 0
    .wavefront_size: 64
  - .agpr_count:     0
    .args:
      - .offset:         0
        .size:           64
        .value_kind:     by_value
    .group_segment_fixed_size: 0
    .kernarg_segment_align: 8
    .kernarg_segment_size: 64
    .language:       OpenCL C
    .language_version:
      - 2
      - 0
    .max_flat_workgroup_size: 128
    .name:           _ZN7rocprim17ROCPRIM_400000_NS6detail17trampoline_kernelINS0_14default_configENS1_38merge_sort_block_merge_config_selectorIssEEZZNS1_27merge_sort_block_merge_implIS3_N6thrust23THRUST_200600_302600_NS6detail15normal_iteratorINS8_10device_ptrIsEEEESD_jNS1_19radix_merge_compareILb0ELb0EsNS0_19identity_decomposerEEEEE10hipError_tT0_T1_T2_jT3_P12ihipStream_tbPNSt15iterator_traitsISI_E10value_typeEPNSO_ISJ_E10value_typeEPSK_NS1_7vsmem_tEENKUlT_SI_SJ_SK_E_clIPsSD_S10_SD_EESH_SX_SI_SJ_SK_EUlSX_E0_NS1_11comp_targetILNS1_3genE3ELNS1_11target_archE908ELNS1_3gpuE7ELNS1_3repE0EEENS1_38merge_mergepath_config_static_selectorELNS0_4arch9wavefront6targetE1EEEvSJ_
    .private_segment_fixed_size: 0
    .sgpr_count:     6
    .sgpr_spill_count: 0
    .symbol:         _ZN7rocprim17ROCPRIM_400000_NS6detail17trampoline_kernelINS0_14default_configENS1_38merge_sort_block_merge_config_selectorIssEEZZNS1_27merge_sort_block_merge_implIS3_N6thrust23THRUST_200600_302600_NS6detail15normal_iteratorINS8_10device_ptrIsEEEESD_jNS1_19radix_merge_compareILb0ELb0EsNS0_19identity_decomposerEEEEE10hipError_tT0_T1_T2_jT3_P12ihipStream_tbPNSt15iterator_traitsISI_E10value_typeEPNSO_ISJ_E10value_typeEPSK_NS1_7vsmem_tEENKUlT_SI_SJ_SK_E_clIPsSD_S10_SD_EESH_SX_SI_SJ_SK_EUlSX_E0_NS1_11comp_targetILNS1_3genE3ELNS1_11target_archE908ELNS1_3gpuE7ELNS1_3repE0EEENS1_38merge_mergepath_config_static_selectorELNS0_4arch9wavefront6targetE1EEEvSJ_.kd
    .uniform_work_group_size: 1
    .uses_dynamic_stack: false
    .vgpr_count:     0
    .vgpr_spill_count: 0
    .wavefront_size: 64
  - .agpr_count:     0
    .args:
      - .offset:         0
        .size:           64
        .value_kind:     by_value
    .group_segment_fixed_size: 0
    .kernarg_segment_align: 8
    .kernarg_segment_size: 64
    .language:       OpenCL C
    .language_version:
      - 2
      - 0
    .max_flat_workgroup_size: 128
    .name:           _ZN7rocprim17ROCPRIM_400000_NS6detail17trampoline_kernelINS0_14default_configENS1_38merge_sort_block_merge_config_selectorIssEEZZNS1_27merge_sort_block_merge_implIS3_N6thrust23THRUST_200600_302600_NS6detail15normal_iteratorINS8_10device_ptrIsEEEESD_jNS1_19radix_merge_compareILb0ELb0EsNS0_19identity_decomposerEEEEE10hipError_tT0_T1_T2_jT3_P12ihipStream_tbPNSt15iterator_traitsISI_E10value_typeEPNSO_ISJ_E10value_typeEPSK_NS1_7vsmem_tEENKUlT_SI_SJ_SK_E_clIPsSD_S10_SD_EESH_SX_SI_SJ_SK_EUlSX_E0_NS1_11comp_targetILNS1_3genE2ELNS1_11target_archE906ELNS1_3gpuE6ELNS1_3repE0EEENS1_38merge_mergepath_config_static_selectorELNS0_4arch9wavefront6targetE1EEEvSJ_
    .private_segment_fixed_size: 0
    .sgpr_count:     6
    .sgpr_spill_count: 0
    .symbol:         _ZN7rocprim17ROCPRIM_400000_NS6detail17trampoline_kernelINS0_14default_configENS1_38merge_sort_block_merge_config_selectorIssEEZZNS1_27merge_sort_block_merge_implIS3_N6thrust23THRUST_200600_302600_NS6detail15normal_iteratorINS8_10device_ptrIsEEEESD_jNS1_19radix_merge_compareILb0ELb0EsNS0_19identity_decomposerEEEEE10hipError_tT0_T1_T2_jT3_P12ihipStream_tbPNSt15iterator_traitsISI_E10value_typeEPNSO_ISJ_E10value_typeEPSK_NS1_7vsmem_tEENKUlT_SI_SJ_SK_E_clIPsSD_S10_SD_EESH_SX_SI_SJ_SK_EUlSX_E0_NS1_11comp_targetILNS1_3genE2ELNS1_11target_archE906ELNS1_3gpuE6ELNS1_3repE0EEENS1_38merge_mergepath_config_static_selectorELNS0_4arch9wavefront6targetE1EEEvSJ_.kd
    .uniform_work_group_size: 1
    .uses_dynamic_stack: false
    .vgpr_count:     0
    .vgpr_spill_count: 0
    .wavefront_size: 64
  - .agpr_count:     0
    .args:
      - .offset:         0
        .size:           64
        .value_kind:     by_value
    .group_segment_fixed_size: 0
    .kernarg_segment_align: 8
    .kernarg_segment_size: 64
    .language:       OpenCL C
    .language_version:
      - 2
      - 0
    .max_flat_workgroup_size: 128
    .name:           _ZN7rocprim17ROCPRIM_400000_NS6detail17trampoline_kernelINS0_14default_configENS1_38merge_sort_block_merge_config_selectorIssEEZZNS1_27merge_sort_block_merge_implIS3_N6thrust23THRUST_200600_302600_NS6detail15normal_iteratorINS8_10device_ptrIsEEEESD_jNS1_19radix_merge_compareILb0ELb0EsNS0_19identity_decomposerEEEEE10hipError_tT0_T1_T2_jT3_P12ihipStream_tbPNSt15iterator_traitsISI_E10value_typeEPNSO_ISJ_E10value_typeEPSK_NS1_7vsmem_tEENKUlT_SI_SJ_SK_E_clIPsSD_S10_SD_EESH_SX_SI_SJ_SK_EUlSX_E0_NS1_11comp_targetILNS1_3genE9ELNS1_11target_archE1100ELNS1_3gpuE3ELNS1_3repE0EEENS1_38merge_mergepath_config_static_selectorELNS0_4arch9wavefront6targetE1EEEvSJ_
    .private_segment_fixed_size: 0
    .sgpr_count:     6
    .sgpr_spill_count: 0
    .symbol:         _ZN7rocprim17ROCPRIM_400000_NS6detail17trampoline_kernelINS0_14default_configENS1_38merge_sort_block_merge_config_selectorIssEEZZNS1_27merge_sort_block_merge_implIS3_N6thrust23THRUST_200600_302600_NS6detail15normal_iteratorINS8_10device_ptrIsEEEESD_jNS1_19radix_merge_compareILb0ELb0EsNS0_19identity_decomposerEEEEE10hipError_tT0_T1_T2_jT3_P12ihipStream_tbPNSt15iterator_traitsISI_E10value_typeEPNSO_ISJ_E10value_typeEPSK_NS1_7vsmem_tEENKUlT_SI_SJ_SK_E_clIPsSD_S10_SD_EESH_SX_SI_SJ_SK_EUlSX_E0_NS1_11comp_targetILNS1_3genE9ELNS1_11target_archE1100ELNS1_3gpuE3ELNS1_3repE0EEENS1_38merge_mergepath_config_static_selectorELNS0_4arch9wavefront6targetE1EEEvSJ_.kd
    .uniform_work_group_size: 1
    .uses_dynamic_stack: false
    .vgpr_count:     0
    .vgpr_spill_count: 0
    .wavefront_size: 64
  - .agpr_count:     0
    .args:
      - .offset:         0
        .size:           64
        .value_kind:     by_value
    .group_segment_fixed_size: 0
    .kernarg_segment_align: 8
    .kernarg_segment_size: 64
    .language:       OpenCL C
    .language_version:
      - 2
      - 0
    .max_flat_workgroup_size: 256
    .name:           _ZN7rocprim17ROCPRIM_400000_NS6detail17trampoline_kernelINS0_14default_configENS1_38merge_sort_block_merge_config_selectorIssEEZZNS1_27merge_sort_block_merge_implIS3_N6thrust23THRUST_200600_302600_NS6detail15normal_iteratorINS8_10device_ptrIsEEEESD_jNS1_19radix_merge_compareILb0ELb0EsNS0_19identity_decomposerEEEEE10hipError_tT0_T1_T2_jT3_P12ihipStream_tbPNSt15iterator_traitsISI_E10value_typeEPNSO_ISJ_E10value_typeEPSK_NS1_7vsmem_tEENKUlT_SI_SJ_SK_E_clIPsSD_S10_SD_EESH_SX_SI_SJ_SK_EUlSX_E0_NS1_11comp_targetILNS1_3genE8ELNS1_11target_archE1030ELNS1_3gpuE2ELNS1_3repE0EEENS1_38merge_mergepath_config_static_selectorELNS0_4arch9wavefront6targetE1EEEvSJ_
    .private_segment_fixed_size: 0
    .sgpr_count:     6
    .sgpr_spill_count: 0
    .symbol:         _ZN7rocprim17ROCPRIM_400000_NS6detail17trampoline_kernelINS0_14default_configENS1_38merge_sort_block_merge_config_selectorIssEEZZNS1_27merge_sort_block_merge_implIS3_N6thrust23THRUST_200600_302600_NS6detail15normal_iteratorINS8_10device_ptrIsEEEESD_jNS1_19radix_merge_compareILb0ELb0EsNS0_19identity_decomposerEEEEE10hipError_tT0_T1_T2_jT3_P12ihipStream_tbPNSt15iterator_traitsISI_E10value_typeEPNSO_ISJ_E10value_typeEPSK_NS1_7vsmem_tEENKUlT_SI_SJ_SK_E_clIPsSD_S10_SD_EESH_SX_SI_SJ_SK_EUlSX_E0_NS1_11comp_targetILNS1_3genE8ELNS1_11target_archE1030ELNS1_3gpuE2ELNS1_3repE0EEENS1_38merge_mergepath_config_static_selectorELNS0_4arch9wavefront6targetE1EEEvSJ_.kd
    .uniform_work_group_size: 1
    .uses_dynamic_stack: false
    .vgpr_count:     0
    .vgpr_spill_count: 0
    .wavefront_size: 64
  - .agpr_count:     0
    .args:
      - .offset:         0
        .size:           48
        .value_kind:     by_value
    .group_segment_fixed_size: 0
    .kernarg_segment_align: 8
    .kernarg_segment_size: 48
    .language:       OpenCL C
    .language_version:
      - 2
      - 0
    .max_flat_workgroup_size: 256
    .name:           _ZN7rocprim17ROCPRIM_400000_NS6detail17trampoline_kernelINS0_14default_configENS1_38merge_sort_block_merge_config_selectorIssEEZZNS1_27merge_sort_block_merge_implIS3_N6thrust23THRUST_200600_302600_NS6detail15normal_iteratorINS8_10device_ptrIsEEEESD_jNS1_19radix_merge_compareILb0ELb0EsNS0_19identity_decomposerEEEEE10hipError_tT0_T1_T2_jT3_P12ihipStream_tbPNSt15iterator_traitsISI_E10value_typeEPNSO_ISJ_E10value_typeEPSK_NS1_7vsmem_tEENKUlT_SI_SJ_SK_E_clIPsSD_S10_SD_EESH_SX_SI_SJ_SK_EUlSX_E1_NS1_11comp_targetILNS1_3genE0ELNS1_11target_archE4294967295ELNS1_3gpuE0ELNS1_3repE0EEENS1_36merge_oddeven_config_static_selectorELNS0_4arch9wavefront6targetE1EEEvSJ_
    .private_segment_fixed_size: 0
    .sgpr_count:     30
    .sgpr_spill_count: 0
    .symbol:         _ZN7rocprim17ROCPRIM_400000_NS6detail17trampoline_kernelINS0_14default_configENS1_38merge_sort_block_merge_config_selectorIssEEZZNS1_27merge_sort_block_merge_implIS3_N6thrust23THRUST_200600_302600_NS6detail15normal_iteratorINS8_10device_ptrIsEEEESD_jNS1_19radix_merge_compareILb0ELb0EsNS0_19identity_decomposerEEEEE10hipError_tT0_T1_T2_jT3_P12ihipStream_tbPNSt15iterator_traitsISI_E10value_typeEPNSO_ISJ_E10value_typeEPSK_NS1_7vsmem_tEENKUlT_SI_SJ_SK_E_clIPsSD_S10_SD_EESH_SX_SI_SJ_SK_EUlSX_E1_NS1_11comp_targetILNS1_3genE0ELNS1_11target_archE4294967295ELNS1_3gpuE0ELNS1_3repE0EEENS1_36merge_oddeven_config_static_selectorELNS0_4arch9wavefront6targetE1EEEvSJ_.kd
    .uniform_work_group_size: 1
    .uses_dynamic_stack: false
    .vgpr_count:     9
    .vgpr_spill_count: 0
    .wavefront_size: 64
  - .agpr_count:     0
    .args:
      - .offset:         0
        .size:           48
        .value_kind:     by_value
    .group_segment_fixed_size: 0
    .kernarg_segment_align: 8
    .kernarg_segment_size: 48
    .language:       OpenCL C
    .language_version:
      - 2
      - 0
    .max_flat_workgroup_size: 256
    .name:           _ZN7rocprim17ROCPRIM_400000_NS6detail17trampoline_kernelINS0_14default_configENS1_38merge_sort_block_merge_config_selectorIssEEZZNS1_27merge_sort_block_merge_implIS3_N6thrust23THRUST_200600_302600_NS6detail15normal_iteratorINS8_10device_ptrIsEEEESD_jNS1_19radix_merge_compareILb0ELb0EsNS0_19identity_decomposerEEEEE10hipError_tT0_T1_T2_jT3_P12ihipStream_tbPNSt15iterator_traitsISI_E10value_typeEPNSO_ISJ_E10value_typeEPSK_NS1_7vsmem_tEENKUlT_SI_SJ_SK_E_clIPsSD_S10_SD_EESH_SX_SI_SJ_SK_EUlSX_E1_NS1_11comp_targetILNS1_3genE10ELNS1_11target_archE1201ELNS1_3gpuE5ELNS1_3repE0EEENS1_36merge_oddeven_config_static_selectorELNS0_4arch9wavefront6targetE1EEEvSJ_
    .private_segment_fixed_size: 0
    .sgpr_count:     6
    .sgpr_spill_count: 0
    .symbol:         _ZN7rocprim17ROCPRIM_400000_NS6detail17trampoline_kernelINS0_14default_configENS1_38merge_sort_block_merge_config_selectorIssEEZZNS1_27merge_sort_block_merge_implIS3_N6thrust23THRUST_200600_302600_NS6detail15normal_iteratorINS8_10device_ptrIsEEEESD_jNS1_19radix_merge_compareILb0ELb0EsNS0_19identity_decomposerEEEEE10hipError_tT0_T1_T2_jT3_P12ihipStream_tbPNSt15iterator_traitsISI_E10value_typeEPNSO_ISJ_E10value_typeEPSK_NS1_7vsmem_tEENKUlT_SI_SJ_SK_E_clIPsSD_S10_SD_EESH_SX_SI_SJ_SK_EUlSX_E1_NS1_11comp_targetILNS1_3genE10ELNS1_11target_archE1201ELNS1_3gpuE5ELNS1_3repE0EEENS1_36merge_oddeven_config_static_selectorELNS0_4arch9wavefront6targetE1EEEvSJ_.kd
    .uniform_work_group_size: 1
    .uses_dynamic_stack: false
    .vgpr_count:     0
    .vgpr_spill_count: 0
    .wavefront_size: 64
  - .agpr_count:     0
    .args:
      - .offset:         0
        .size:           48
        .value_kind:     by_value
    .group_segment_fixed_size: 0
    .kernarg_segment_align: 8
    .kernarg_segment_size: 48
    .language:       OpenCL C
    .language_version:
      - 2
      - 0
    .max_flat_workgroup_size: 256
    .name:           _ZN7rocprim17ROCPRIM_400000_NS6detail17trampoline_kernelINS0_14default_configENS1_38merge_sort_block_merge_config_selectorIssEEZZNS1_27merge_sort_block_merge_implIS3_N6thrust23THRUST_200600_302600_NS6detail15normal_iteratorINS8_10device_ptrIsEEEESD_jNS1_19radix_merge_compareILb0ELb0EsNS0_19identity_decomposerEEEEE10hipError_tT0_T1_T2_jT3_P12ihipStream_tbPNSt15iterator_traitsISI_E10value_typeEPNSO_ISJ_E10value_typeEPSK_NS1_7vsmem_tEENKUlT_SI_SJ_SK_E_clIPsSD_S10_SD_EESH_SX_SI_SJ_SK_EUlSX_E1_NS1_11comp_targetILNS1_3genE5ELNS1_11target_archE942ELNS1_3gpuE9ELNS1_3repE0EEENS1_36merge_oddeven_config_static_selectorELNS0_4arch9wavefront6targetE1EEEvSJ_
    .private_segment_fixed_size: 0
    .sgpr_count:     6
    .sgpr_spill_count: 0
    .symbol:         _ZN7rocprim17ROCPRIM_400000_NS6detail17trampoline_kernelINS0_14default_configENS1_38merge_sort_block_merge_config_selectorIssEEZZNS1_27merge_sort_block_merge_implIS3_N6thrust23THRUST_200600_302600_NS6detail15normal_iteratorINS8_10device_ptrIsEEEESD_jNS1_19radix_merge_compareILb0ELb0EsNS0_19identity_decomposerEEEEE10hipError_tT0_T1_T2_jT3_P12ihipStream_tbPNSt15iterator_traitsISI_E10value_typeEPNSO_ISJ_E10value_typeEPSK_NS1_7vsmem_tEENKUlT_SI_SJ_SK_E_clIPsSD_S10_SD_EESH_SX_SI_SJ_SK_EUlSX_E1_NS1_11comp_targetILNS1_3genE5ELNS1_11target_archE942ELNS1_3gpuE9ELNS1_3repE0EEENS1_36merge_oddeven_config_static_selectorELNS0_4arch9wavefront6targetE1EEEvSJ_.kd
    .uniform_work_group_size: 1
    .uses_dynamic_stack: false
    .vgpr_count:     0
    .vgpr_spill_count: 0
    .wavefront_size: 64
  - .agpr_count:     0
    .args:
      - .offset:         0
        .size:           48
        .value_kind:     by_value
    .group_segment_fixed_size: 0
    .kernarg_segment_align: 8
    .kernarg_segment_size: 48
    .language:       OpenCL C
    .language_version:
      - 2
      - 0
    .max_flat_workgroup_size: 256
    .name:           _ZN7rocprim17ROCPRIM_400000_NS6detail17trampoline_kernelINS0_14default_configENS1_38merge_sort_block_merge_config_selectorIssEEZZNS1_27merge_sort_block_merge_implIS3_N6thrust23THRUST_200600_302600_NS6detail15normal_iteratorINS8_10device_ptrIsEEEESD_jNS1_19radix_merge_compareILb0ELb0EsNS0_19identity_decomposerEEEEE10hipError_tT0_T1_T2_jT3_P12ihipStream_tbPNSt15iterator_traitsISI_E10value_typeEPNSO_ISJ_E10value_typeEPSK_NS1_7vsmem_tEENKUlT_SI_SJ_SK_E_clIPsSD_S10_SD_EESH_SX_SI_SJ_SK_EUlSX_E1_NS1_11comp_targetILNS1_3genE4ELNS1_11target_archE910ELNS1_3gpuE8ELNS1_3repE0EEENS1_36merge_oddeven_config_static_selectorELNS0_4arch9wavefront6targetE1EEEvSJ_
    .private_segment_fixed_size: 0
    .sgpr_count:     6
    .sgpr_spill_count: 0
    .symbol:         _ZN7rocprim17ROCPRIM_400000_NS6detail17trampoline_kernelINS0_14default_configENS1_38merge_sort_block_merge_config_selectorIssEEZZNS1_27merge_sort_block_merge_implIS3_N6thrust23THRUST_200600_302600_NS6detail15normal_iteratorINS8_10device_ptrIsEEEESD_jNS1_19radix_merge_compareILb0ELb0EsNS0_19identity_decomposerEEEEE10hipError_tT0_T1_T2_jT3_P12ihipStream_tbPNSt15iterator_traitsISI_E10value_typeEPNSO_ISJ_E10value_typeEPSK_NS1_7vsmem_tEENKUlT_SI_SJ_SK_E_clIPsSD_S10_SD_EESH_SX_SI_SJ_SK_EUlSX_E1_NS1_11comp_targetILNS1_3genE4ELNS1_11target_archE910ELNS1_3gpuE8ELNS1_3repE0EEENS1_36merge_oddeven_config_static_selectorELNS0_4arch9wavefront6targetE1EEEvSJ_.kd
    .uniform_work_group_size: 1
    .uses_dynamic_stack: false
    .vgpr_count:     0
    .vgpr_spill_count: 0
    .wavefront_size: 64
  - .agpr_count:     0
    .args:
      - .offset:         0
        .size:           48
        .value_kind:     by_value
    .group_segment_fixed_size: 0
    .kernarg_segment_align: 8
    .kernarg_segment_size: 48
    .language:       OpenCL C
    .language_version:
      - 2
      - 0
    .max_flat_workgroup_size: 256
    .name:           _ZN7rocprim17ROCPRIM_400000_NS6detail17trampoline_kernelINS0_14default_configENS1_38merge_sort_block_merge_config_selectorIssEEZZNS1_27merge_sort_block_merge_implIS3_N6thrust23THRUST_200600_302600_NS6detail15normal_iteratorINS8_10device_ptrIsEEEESD_jNS1_19radix_merge_compareILb0ELb0EsNS0_19identity_decomposerEEEEE10hipError_tT0_T1_T2_jT3_P12ihipStream_tbPNSt15iterator_traitsISI_E10value_typeEPNSO_ISJ_E10value_typeEPSK_NS1_7vsmem_tEENKUlT_SI_SJ_SK_E_clIPsSD_S10_SD_EESH_SX_SI_SJ_SK_EUlSX_E1_NS1_11comp_targetILNS1_3genE3ELNS1_11target_archE908ELNS1_3gpuE7ELNS1_3repE0EEENS1_36merge_oddeven_config_static_selectorELNS0_4arch9wavefront6targetE1EEEvSJ_
    .private_segment_fixed_size: 0
    .sgpr_count:     6
    .sgpr_spill_count: 0
    .symbol:         _ZN7rocprim17ROCPRIM_400000_NS6detail17trampoline_kernelINS0_14default_configENS1_38merge_sort_block_merge_config_selectorIssEEZZNS1_27merge_sort_block_merge_implIS3_N6thrust23THRUST_200600_302600_NS6detail15normal_iteratorINS8_10device_ptrIsEEEESD_jNS1_19radix_merge_compareILb0ELb0EsNS0_19identity_decomposerEEEEE10hipError_tT0_T1_T2_jT3_P12ihipStream_tbPNSt15iterator_traitsISI_E10value_typeEPNSO_ISJ_E10value_typeEPSK_NS1_7vsmem_tEENKUlT_SI_SJ_SK_E_clIPsSD_S10_SD_EESH_SX_SI_SJ_SK_EUlSX_E1_NS1_11comp_targetILNS1_3genE3ELNS1_11target_archE908ELNS1_3gpuE7ELNS1_3repE0EEENS1_36merge_oddeven_config_static_selectorELNS0_4arch9wavefront6targetE1EEEvSJ_.kd
    .uniform_work_group_size: 1
    .uses_dynamic_stack: false
    .vgpr_count:     0
    .vgpr_spill_count: 0
    .wavefront_size: 64
  - .agpr_count:     0
    .args:
      - .offset:         0
        .size:           48
        .value_kind:     by_value
    .group_segment_fixed_size: 0
    .kernarg_segment_align: 8
    .kernarg_segment_size: 48
    .language:       OpenCL C
    .language_version:
      - 2
      - 0
    .max_flat_workgroup_size: 256
    .name:           _ZN7rocprim17ROCPRIM_400000_NS6detail17trampoline_kernelINS0_14default_configENS1_38merge_sort_block_merge_config_selectorIssEEZZNS1_27merge_sort_block_merge_implIS3_N6thrust23THRUST_200600_302600_NS6detail15normal_iteratorINS8_10device_ptrIsEEEESD_jNS1_19radix_merge_compareILb0ELb0EsNS0_19identity_decomposerEEEEE10hipError_tT0_T1_T2_jT3_P12ihipStream_tbPNSt15iterator_traitsISI_E10value_typeEPNSO_ISJ_E10value_typeEPSK_NS1_7vsmem_tEENKUlT_SI_SJ_SK_E_clIPsSD_S10_SD_EESH_SX_SI_SJ_SK_EUlSX_E1_NS1_11comp_targetILNS1_3genE2ELNS1_11target_archE906ELNS1_3gpuE6ELNS1_3repE0EEENS1_36merge_oddeven_config_static_selectorELNS0_4arch9wavefront6targetE1EEEvSJ_
    .private_segment_fixed_size: 0
    .sgpr_count:     6
    .sgpr_spill_count: 0
    .symbol:         _ZN7rocprim17ROCPRIM_400000_NS6detail17trampoline_kernelINS0_14default_configENS1_38merge_sort_block_merge_config_selectorIssEEZZNS1_27merge_sort_block_merge_implIS3_N6thrust23THRUST_200600_302600_NS6detail15normal_iteratorINS8_10device_ptrIsEEEESD_jNS1_19radix_merge_compareILb0ELb0EsNS0_19identity_decomposerEEEEE10hipError_tT0_T1_T2_jT3_P12ihipStream_tbPNSt15iterator_traitsISI_E10value_typeEPNSO_ISJ_E10value_typeEPSK_NS1_7vsmem_tEENKUlT_SI_SJ_SK_E_clIPsSD_S10_SD_EESH_SX_SI_SJ_SK_EUlSX_E1_NS1_11comp_targetILNS1_3genE2ELNS1_11target_archE906ELNS1_3gpuE6ELNS1_3repE0EEENS1_36merge_oddeven_config_static_selectorELNS0_4arch9wavefront6targetE1EEEvSJ_.kd
    .uniform_work_group_size: 1
    .uses_dynamic_stack: false
    .vgpr_count:     0
    .vgpr_spill_count: 0
    .wavefront_size: 64
  - .agpr_count:     0
    .args:
      - .offset:         0
        .size:           48
        .value_kind:     by_value
    .group_segment_fixed_size: 0
    .kernarg_segment_align: 8
    .kernarg_segment_size: 48
    .language:       OpenCL C
    .language_version:
      - 2
      - 0
    .max_flat_workgroup_size: 256
    .name:           _ZN7rocprim17ROCPRIM_400000_NS6detail17trampoline_kernelINS0_14default_configENS1_38merge_sort_block_merge_config_selectorIssEEZZNS1_27merge_sort_block_merge_implIS3_N6thrust23THRUST_200600_302600_NS6detail15normal_iteratorINS8_10device_ptrIsEEEESD_jNS1_19radix_merge_compareILb0ELb0EsNS0_19identity_decomposerEEEEE10hipError_tT0_T1_T2_jT3_P12ihipStream_tbPNSt15iterator_traitsISI_E10value_typeEPNSO_ISJ_E10value_typeEPSK_NS1_7vsmem_tEENKUlT_SI_SJ_SK_E_clIPsSD_S10_SD_EESH_SX_SI_SJ_SK_EUlSX_E1_NS1_11comp_targetILNS1_3genE9ELNS1_11target_archE1100ELNS1_3gpuE3ELNS1_3repE0EEENS1_36merge_oddeven_config_static_selectorELNS0_4arch9wavefront6targetE1EEEvSJ_
    .private_segment_fixed_size: 0
    .sgpr_count:     6
    .sgpr_spill_count: 0
    .symbol:         _ZN7rocprim17ROCPRIM_400000_NS6detail17trampoline_kernelINS0_14default_configENS1_38merge_sort_block_merge_config_selectorIssEEZZNS1_27merge_sort_block_merge_implIS3_N6thrust23THRUST_200600_302600_NS6detail15normal_iteratorINS8_10device_ptrIsEEEESD_jNS1_19radix_merge_compareILb0ELb0EsNS0_19identity_decomposerEEEEE10hipError_tT0_T1_T2_jT3_P12ihipStream_tbPNSt15iterator_traitsISI_E10value_typeEPNSO_ISJ_E10value_typeEPSK_NS1_7vsmem_tEENKUlT_SI_SJ_SK_E_clIPsSD_S10_SD_EESH_SX_SI_SJ_SK_EUlSX_E1_NS1_11comp_targetILNS1_3genE9ELNS1_11target_archE1100ELNS1_3gpuE3ELNS1_3repE0EEENS1_36merge_oddeven_config_static_selectorELNS0_4arch9wavefront6targetE1EEEvSJ_.kd
    .uniform_work_group_size: 1
    .uses_dynamic_stack: false
    .vgpr_count:     0
    .vgpr_spill_count: 0
    .wavefront_size: 64
  - .agpr_count:     0
    .args:
      - .offset:         0
        .size:           48
        .value_kind:     by_value
    .group_segment_fixed_size: 0
    .kernarg_segment_align: 8
    .kernarg_segment_size: 48
    .language:       OpenCL C
    .language_version:
      - 2
      - 0
    .max_flat_workgroup_size: 256
    .name:           _ZN7rocprim17ROCPRIM_400000_NS6detail17trampoline_kernelINS0_14default_configENS1_38merge_sort_block_merge_config_selectorIssEEZZNS1_27merge_sort_block_merge_implIS3_N6thrust23THRUST_200600_302600_NS6detail15normal_iteratorINS8_10device_ptrIsEEEESD_jNS1_19radix_merge_compareILb0ELb0EsNS0_19identity_decomposerEEEEE10hipError_tT0_T1_T2_jT3_P12ihipStream_tbPNSt15iterator_traitsISI_E10value_typeEPNSO_ISJ_E10value_typeEPSK_NS1_7vsmem_tEENKUlT_SI_SJ_SK_E_clIPsSD_S10_SD_EESH_SX_SI_SJ_SK_EUlSX_E1_NS1_11comp_targetILNS1_3genE8ELNS1_11target_archE1030ELNS1_3gpuE2ELNS1_3repE0EEENS1_36merge_oddeven_config_static_selectorELNS0_4arch9wavefront6targetE1EEEvSJ_
    .private_segment_fixed_size: 0
    .sgpr_count:     6
    .sgpr_spill_count: 0
    .symbol:         _ZN7rocprim17ROCPRIM_400000_NS6detail17trampoline_kernelINS0_14default_configENS1_38merge_sort_block_merge_config_selectorIssEEZZNS1_27merge_sort_block_merge_implIS3_N6thrust23THRUST_200600_302600_NS6detail15normal_iteratorINS8_10device_ptrIsEEEESD_jNS1_19radix_merge_compareILb0ELb0EsNS0_19identity_decomposerEEEEE10hipError_tT0_T1_T2_jT3_P12ihipStream_tbPNSt15iterator_traitsISI_E10value_typeEPNSO_ISJ_E10value_typeEPSK_NS1_7vsmem_tEENKUlT_SI_SJ_SK_E_clIPsSD_S10_SD_EESH_SX_SI_SJ_SK_EUlSX_E1_NS1_11comp_targetILNS1_3genE8ELNS1_11target_archE1030ELNS1_3gpuE2ELNS1_3repE0EEENS1_36merge_oddeven_config_static_selectorELNS0_4arch9wavefront6targetE1EEEvSJ_.kd
    .uniform_work_group_size: 1
    .uses_dynamic_stack: false
    .vgpr_count:     0
    .vgpr_spill_count: 0
    .wavefront_size: 64
  - .agpr_count:     0
    .args:
      - .offset:         0
        .size:           40
        .value_kind:     by_value
    .group_segment_fixed_size: 0
    .kernarg_segment_align: 8
    .kernarg_segment_size: 40
    .language:       OpenCL C
    .language_version:
      - 2
      - 0
    .max_flat_workgroup_size: 128
    .name:           _ZN7rocprim17ROCPRIM_400000_NS6detail17trampoline_kernelINS0_14default_configENS1_38merge_sort_block_merge_config_selectorIssEEZZNS1_27merge_sort_block_merge_implIS3_N6thrust23THRUST_200600_302600_NS6detail15normal_iteratorINS8_10device_ptrIsEEEESD_jNS1_19radix_merge_compareILb0ELb0EsNS0_19identity_decomposerEEEEE10hipError_tT0_T1_T2_jT3_P12ihipStream_tbPNSt15iterator_traitsISI_E10value_typeEPNSO_ISJ_E10value_typeEPSK_NS1_7vsmem_tEENKUlT_SI_SJ_SK_E_clISD_PsSD_S10_EESH_SX_SI_SJ_SK_EUlSX_E_NS1_11comp_targetILNS1_3genE0ELNS1_11target_archE4294967295ELNS1_3gpuE0ELNS1_3repE0EEENS1_48merge_mergepath_partition_config_static_selectorELNS0_4arch9wavefront6targetE1EEEvSJ_
    .private_segment_fixed_size: 0
    .sgpr_count:     14
    .sgpr_spill_count: 0
    .symbol:         _ZN7rocprim17ROCPRIM_400000_NS6detail17trampoline_kernelINS0_14default_configENS1_38merge_sort_block_merge_config_selectorIssEEZZNS1_27merge_sort_block_merge_implIS3_N6thrust23THRUST_200600_302600_NS6detail15normal_iteratorINS8_10device_ptrIsEEEESD_jNS1_19radix_merge_compareILb0ELb0EsNS0_19identity_decomposerEEEEE10hipError_tT0_T1_T2_jT3_P12ihipStream_tbPNSt15iterator_traitsISI_E10value_typeEPNSO_ISJ_E10value_typeEPSK_NS1_7vsmem_tEENKUlT_SI_SJ_SK_E_clISD_PsSD_S10_EESH_SX_SI_SJ_SK_EUlSX_E_NS1_11comp_targetILNS1_3genE0ELNS1_11target_archE4294967295ELNS1_3gpuE0ELNS1_3repE0EEENS1_48merge_mergepath_partition_config_static_selectorELNS0_4arch9wavefront6targetE1EEEvSJ_.kd
    .uniform_work_group_size: 1
    .uses_dynamic_stack: false
    .vgpr_count:     17
    .vgpr_spill_count: 0
    .wavefront_size: 64
  - .agpr_count:     0
    .args:
      - .offset:         0
        .size:           40
        .value_kind:     by_value
    .group_segment_fixed_size: 0
    .kernarg_segment_align: 8
    .kernarg_segment_size: 40
    .language:       OpenCL C
    .language_version:
      - 2
      - 0
    .max_flat_workgroup_size: 128
    .name:           _ZN7rocprim17ROCPRIM_400000_NS6detail17trampoline_kernelINS0_14default_configENS1_38merge_sort_block_merge_config_selectorIssEEZZNS1_27merge_sort_block_merge_implIS3_N6thrust23THRUST_200600_302600_NS6detail15normal_iteratorINS8_10device_ptrIsEEEESD_jNS1_19radix_merge_compareILb0ELb0EsNS0_19identity_decomposerEEEEE10hipError_tT0_T1_T2_jT3_P12ihipStream_tbPNSt15iterator_traitsISI_E10value_typeEPNSO_ISJ_E10value_typeEPSK_NS1_7vsmem_tEENKUlT_SI_SJ_SK_E_clISD_PsSD_S10_EESH_SX_SI_SJ_SK_EUlSX_E_NS1_11comp_targetILNS1_3genE10ELNS1_11target_archE1201ELNS1_3gpuE5ELNS1_3repE0EEENS1_48merge_mergepath_partition_config_static_selectorELNS0_4arch9wavefront6targetE1EEEvSJ_
    .private_segment_fixed_size: 0
    .sgpr_count:     6
    .sgpr_spill_count: 0
    .symbol:         _ZN7rocprim17ROCPRIM_400000_NS6detail17trampoline_kernelINS0_14default_configENS1_38merge_sort_block_merge_config_selectorIssEEZZNS1_27merge_sort_block_merge_implIS3_N6thrust23THRUST_200600_302600_NS6detail15normal_iteratorINS8_10device_ptrIsEEEESD_jNS1_19radix_merge_compareILb0ELb0EsNS0_19identity_decomposerEEEEE10hipError_tT0_T1_T2_jT3_P12ihipStream_tbPNSt15iterator_traitsISI_E10value_typeEPNSO_ISJ_E10value_typeEPSK_NS1_7vsmem_tEENKUlT_SI_SJ_SK_E_clISD_PsSD_S10_EESH_SX_SI_SJ_SK_EUlSX_E_NS1_11comp_targetILNS1_3genE10ELNS1_11target_archE1201ELNS1_3gpuE5ELNS1_3repE0EEENS1_48merge_mergepath_partition_config_static_selectorELNS0_4arch9wavefront6targetE1EEEvSJ_.kd
    .uniform_work_group_size: 1
    .uses_dynamic_stack: false
    .vgpr_count:     0
    .vgpr_spill_count: 0
    .wavefront_size: 64
  - .agpr_count:     0
    .args:
      - .offset:         0
        .size:           40
        .value_kind:     by_value
    .group_segment_fixed_size: 0
    .kernarg_segment_align: 8
    .kernarg_segment_size: 40
    .language:       OpenCL C
    .language_version:
      - 2
      - 0
    .max_flat_workgroup_size: 128
    .name:           _ZN7rocprim17ROCPRIM_400000_NS6detail17trampoline_kernelINS0_14default_configENS1_38merge_sort_block_merge_config_selectorIssEEZZNS1_27merge_sort_block_merge_implIS3_N6thrust23THRUST_200600_302600_NS6detail15normal_iteratorINS8_10device_ptrIsEEEESD_jNS1_19radix_merge_compareILb0ELb0EsNS0_19identity_decomposerEEEEE10hipError_tT0_T1_T2_jT3_P12ihipStream_tbPNSt15iterator_traitsISI_E10value_typeEPNSO_ISJ_E10value_typeEPSK_NS1_7vsmem_tEENKUlT_SI_SJ_SK_E_clISD_PsSD_S10_EESH_SX_SI_SJ_SK_EUlSX_E_NS1_11comp_targetILNS1_3genE5ELNS1_11target_archE942ELNS1_3gpuE9ELNS1_3repE0EEENS1_48merge_mergepath_partition_config_static_selectorELNS0_4arch9wavefront6targetE1EEEvSJ_
    .private_segment_fixed_size: 0
    .sgpr_count:     6
    .sgpr_spill_count: 0
    .symbol:         _ZN7rocprim17ROCPRIM_400000_NS6detail17trampoline_kernelINS0_14default_configENS1_38merge_sort_block_merge_config_selectorIssEEZZNS1_27merge_sort_block_merge_implIS3_N6thrust23THRUST_200600_302600_NS6detail15normal_iteratorINS8_10device_ptrIsEEEESD_jNS1_19radix_merge_compareILb0ELb0EsNS0_19identity_decomposerEEEEE10hipError_tT0_T1_T2_jT3_P12ihipStream_tbPNSt15iterator_traitsISI_E10value_typeEPNSO_ISJ_E10value_typeEPSK_NS1_7vsmem_tEENKUlT_SI_SJ_SK_E_clISD_PsSD_S10_EESH_SX_SI_SJ_SK_EUlSX_E_NS1_11comp_targetILNS1_3genE5ELNS1_11target_archE942ELNS1_3gpuE9ELNS1_3repE0EEENS1_48merge_mergepath_partition_config_static_selectorELNS0_4arch9wavefront6targetE1EEEvSJ_.kd
    .uniform_work_group_size: 1
    .uses_dynamic_stack: false
    .vgpr_count:     0
    .vgpr_spill_count: 0
    .wavefront_size: 64
  - .agpr_count:     0
    .args:
      - .offset:         0
        .size:           40
        .value_kind:     by_value
    .group_segment_fixed_size: 0
    .kernarg_segment_align: 8
    .kernarg_segment_size: 40
    .language:       OpenCL C
    .language_version:
      - 2
      - 0
    .max_flat_workgroup_size: 128
    .name:           _ZN7rocprim17ROCPRIM_400000_NS6detail17trampoline_kernelINS0_14default_configENS1_38merge_sort_block_merge_config_selectorIssEEZZNS1_27merge_sort_block_merge_implIS3_N6thrust23THRUST_200600_302600_NS6detail15normal_iteratorINS8_10device_ptrIsEEEESD_jNS1_19radix_merge_compareILb0ELb0EsNS0_19identity_decomposerEEEEE10hipError_tT0_T1_T2_jT3_P12ihipStream_tbPNSt15iterator_traitsISI_E10value_typeEPNSO_ISJ_E10value_typeEPSK_NS1_7vsmem_tEENKUlT_SI_SJ_SK_E_clISD_PsSD_S10_EESH_SX_SI_SJ_SK_EUlSX_E_NS1_11comp_targetILNS1_3genE4ELNS1_11target_archE910ELNS1_3gpuE8ELNS1_3repE0EEENS1_48merge_mergepath_partition_config_static_selectorELNS0_4arch9wavefront6targetE1EEEvSJ_
    .private_segment_fixed_size: 0
    .sgpr_count:     6
    .sgpr_spill_count: 0
    .symbol:         _ZN7rocprim17ROCPRIM_400000_NS6detail17trampoline_kernelINS0_14default_configENS1_38merge_sort_block_merge_config_selectorIssEEZZNS1_27merge_sort_block_merge_implIS3_N6thrust23THRUST_200600_302600_NS6detail15normal_iteratorINS8_10device_ptrIsEEEESD_jNS1_19radix_merge_compareILb0ELb0EsNS0_19identity_decomposerEEEEE10hipError_tT0_T1_T2_jT3_P12ihipStream_tbPNSt15iterator_traitsISI_E10value_typeEPNSO_ISJ_E10value_typeEPSK_NS1_7vsmem_tEENKUlT_SI_SJ_SK_E_clISD_PsSD_S10_EESH_SX_SI_SJ_SK_EUlSX_E_NS1_11comp_targetILNS1_3genE4ELNS1_11target_archE910ELNS1_3gpuE8ELNS1_3repE0EEENS1_48merge_mergepath_partition_config_static_selectorELNS0_4arch9wavefront6targetE1EEEvSJ_.kd
    .uniform_work_group_size: 1
    .uses_dynamic_stack: false
    .vgpr_count:     0
    .vgpr_spill_count: 0
    .wavefront_size: 64
  - .agpr_count:     0
    .args:
      - .offset:         0
        .size:           40
        .value_kind:     by_value
    .group_segment_fixed_size: 0
    .kernarg_segment_align: 8
    .kernarg_segment_size: 40
    .language:       OpenCL C
    .language_version:
      - 2
      - 0
    .max_flat_workgroup_size: 128
    .name:           _ZN7rocprim17ROCPRIM_400000_NS6detail17trampoline_kernelINS0_14default_configENS1_38merge_sort_block_merge_config_selectorIssEEZZNS1_27merge_sort_block_merge_implIS3_N6thrust23THRUST_200600_302600_NS6detail15normal_iteratorINS8_10device_ptrIsEEEESD_jNS1_19radix_merge_compareILb0ELb0EsNS0_19identity_decomposerEEEEE10hipError_tT0_T1_T2_jT3_P12ihipStream_tbPNSt15iterator_traitsISI_E10value_typeEPNSO_ISJ_E10value_typeEPSK_NS1_7vsmem_tEENKUlT_SI_SJ_SK_E_clISD_PsSD_S10_EESH_SX_SI_SJ_SK_EUlSX_E_NS1_11comp_targetILNS1_3genE3ELNS1_11target_archE908ELNS1_3gpuE7ELNS1_3repE0EEENS1_48merge_mergepath_partition_config_static_selectorELNS0_4arch9wavefront6targetE1EEEvSJ_
    .private_segment_fixed_size: 0
    .sgpr_count:     6
    .sgpr_spill_count: 0
    .symbol:         _ZN7rocprim17ROCPRIM_400000_NS6detail17trampoline_kernelINS0_14default_configENS1_38merge_sort_block_merge_config_selectorIssEEZZNS1_27merge_sort_block_merge_implIS3_N6thrust23THRUST_200600_302600_NS6detail15normal_iteratorINS8_10device_ptrIsEEEESD_jNS1_19radix_merge_compareILb0ELb0EsNS0_19identity_decomposerEEEEE10hipError_tT0_T1_T2_jT3_P12ihipStream_tbPNSt15iterator_traitsISI_E10value_typeEPNSO_ISJ_E10value_typeEPSK_NS1_7vsmem_tEENKUlT_SI_SJ_SK_E_clISD_PsSD_S10_EESH_SX_SI_SJ_SK_EUlSX_E_NS1_11comp_targetILNS1_3genE3ELNS1_11target_archE908ELNS1_3gpuE7ELNS1_3repE0EEENS1_48merge_mergepath_partition_config_static_selectorELNS0_4arch9wavefront6targetE1EEEvSJ_.kd
    .uniform_work_group_size: 1
    .uses_dynamic_stack: false
    .vgpr_count:     0
    .vgpr_spill_count: 0
    .wavefront_size: 64
  - .agpr_count:     0
    .args:
      - .offset:         0
        .size:           40
        .value_kind:     by_value
    .group_segment_fixed_size: 0
    .kernarg_segment_align: 8
    .kernarg_segment_size: 40
    .language:       OpenCL C
    .language_version:
      - 2
      - 0
    .max_flat_workgroup_size: 128
    .name:           _ZN7rocprim17ROCPRIM_400000_NS6detail17trampoline_kernelINS0_14default_configENS1_38merge_sort_block_merge_config_selectorIssEEZZNS1_27merge_sort_block_merge_implIS3_N6thrust23THRUST_200600_302600_NS6detail15normal_iteratorINS8_10device_ptrIsEEEESD_jNS1_19radix_merge_compareILb0ELb0EsNS0_19identity_decomposerEEEEE10hipError_tT0_T1_T2_jT3_P12ihipStream_tbPNSt15iterator_traitsISI_E10value_typeEPNSO_ISJ_E10value_typeEPSK_NS1_7vsmem_tEENKUlT_SI_SJ_SK_E_clISD_PsSD_S10_EESH_SX_SI_SJ_SK_EUlSX_E_NS1_11comp_targetILNS1_3genE2ELNS1_11target_archE906ELNS1_3gpuE6ELNS1_3repE0EEENS1_48merge_mergepath_partition_config_static_selectorELNS0_4arch9wavefront6targetE1EEEvSJ_
    .private_segment_fixed_size: 0
    .sgpr_count:     6
    .sgpr_spill_count: 0
    .symbol:         _ZN7rocprim17ROCPRIM_400000_NS6detail17trampoline_kernelINS0_14default_configENS1_38merge_sort_block_merge_config_selectorIssEEZZNS1_27merge_sort_block_merge_implIS3_N6thrust23THRUST_200600_302600_NS6detail15normal_iteratorINS8_10device_ptrIsEEEESD_jNS1_19radix_merge_compareILb0ELb0EsNS0_19identity_decomposerEEEEE10hipError_tT0_T1_T2_jT3_P12ihipStream_tbPNSt15iterator_traitsISI_E10value_typeEPNSO_ISJ_E10value_typeEPSK_NS1_7vsmem_tEENKUlT_SI_SJ_SK_E_clISD_PsSD_S10_EESH_SX_SI_SJ_SK_EUlSX_E_NS1_11comp_targetILNS1_3genE2ELNS1_11target_archE906ELNS1_3gpuE6ELNS1_3repE0EEENS1_48merge_mergepath_partition_config_static_selectorELNS0_4arch9wavefront6targetE1EEEvSJ_.kd
    .uniform_work_group_size: 1
    .uses_dynamic_stack: false
    .vgpr_count:     0
    .vgpr_spill_count: 0
    .wavefront_size: 64
  - .agpr_count:     0
    .args:
      - .offset:         0
        .size:           40
        .value_kind:     by_value
    .group_segment_fixed_size: 0
    .kernarg_segment_align: 8
    .kernarg_segment_size: 40
    .language:       OpenCL C
    .language_version:
      - 2
      - 0
    .max_flat_workgroup_size: 128
    .name:           _ZN7rocprim17ROCPRIM_400000_NS6detail17trampoline_kernelINS0_14default_configENS1_38merge_sort_block_merge_config_selectorIssEEZZNS1_27merge_sort_block_merge_implIS3_N6thrust23THRUST_200600_302600_NS6detail15normal_iteratorINS8_10device_ptrIsEEEESD_jNS1_19radix_merge_compareILb0ELb0EsNS0_19identity_decomposerEEEEE10hipError_tT0_T1_T2_jT3_P12ihipStream_tbPNSt15iterator_traitsISI_E10value_typeEPNSO_ISJ_E10value_typeEPSK_NS1_7vsmem_tEENKUlT_SI_SJ_SK_E_clISD_PsSD_S10_EESH_SX_SI_SJ_SK_EUlSX_E_NS1_11comp_targetILNS1_3genE9ELNS1_11target_archE1100ELNS1_3gpuE3ELNS1_3repE0EEENS1_48merge_mergepath_partition_config_static_selectorELNS0_4arch9wavefront6targetE1EEEvSJ_
    .private_segment_fixed_size: 0
    .sgpr_count:     6
    .sgpr_spill_count: 0
    .symbol:         _ZN7rocprim17ROCPRIM_400000_NS6detail17trampoline_kernelINS0_14default_configENS1_38merge_sort_block_merge_config_selectorIssEEZZNS1_27merge_sort_block_merge_implIS3_N6thrust23THRUST_200600_302600_NS6detail15normal_iteratorINS8_10device_ptrIsEEEESD_jNS1_19radix_merge_compareILb0ELb0EsNS0_19identity_decomposerEEEEE10hipError_tT0_T1_T2_jT3_P12ihipStream_tbPNSt15iterator_traitsISI_E10value_typeEPNSO_ISJ_E10value_typeEPSK_NS1_7vsmem_tEENKUlT_SI_SJ_SK_E_clISD_PsSD_S10_EESH_SX_SI_SJ_SK_EUlSX_E_NS1_11comp_targetILNS1_3genE9ELNS1_11target_archE1100ELNS1_3gpuE3ELNS1_3repE0EEENS1_48merge_mergepath_partition_config_static_selectorELNS0_4arch9wavefront6targetE1EEEvSJ_.kd
    .uniform_work_group_size: 1
    .uses_dynamic_stack: false
    .vgpr_count:     0
    .vgpr_spill_count: 0
    .wavefront_size: 64
  - .agpr_count:     0
    .args:
      - .offset:         0
        .size:           40
        .value_kind:     by_value
    .group_segment_fixed_size: 0
    .kernarg_segment_align: 8
    .kernarg_segment_size: 40
    .language:       OpenCL C
    .language_version:
      - 2
      - 0
    .max_flat_workgroup_size: 128
    .name:           _ZN7rocprim17ROCPRIM_400000_NS6detail17trampoline_kernelINS0_14default_configENS1_38merge_sort_block_merge_config_selectorIssEEZZNS1_27merge_sort_block_merge_implIS3_N6thrust23THRUST_200600_302600_NS6detail15normal_iteratorINS8_10device_ptrIsEEEESD_jNS1_19radix_merge_compareILb0ELb0EsNS0_19identity_decomposerEEEEE10hipError_tT0_T1_T2_jT3_P12ihipStream_tbPNSt15iterator_traitsISI_E10value_typeEPNSO_ISJ_E10value_typeEPSK_NS1_7vsmem_tEENKUlT_SI_SJ_SK_E_clISD_PsSD_S10_EESH_SX_SI_SJ_SK_EUlSX_E_NS1_11comp_targetILNS1_3genE8ELNS1_11target_archE1030ELNS1_3gpuE2ELNS1_3repE0EEENS1_48merge_mergepath_partition_config_static_selectorELNS0_4arch9wavefront6targetE1EEEvSJ_
    .private_segment_fixed_size: 0
    .sgpr_count:     6
    .sgpr_spill_count: 0
    .symbol:         _ZN7rocprim17ROCPRIM_400000_NS6detail17trampoline_kernelINS0_14default_configENS1_38merge_sort_block_merge_config_selectorIssEEZZNS1_27merge_sort_block_merge_implIS3_N6thrust23THRUST_200600_302600_NS6detail15normal_iteratorINS8_10device_ptrIsEEEESD_jNS1_19radix_merge_compareILb0ELb0EsNS0_19identity_decomposerEEEEE10hipError_tT0_T1_T2_jT3_P12ihipStream_tbPNSt15iterator_traitsISI_E10value_typeEPNSO_ISJ_E10value_typeEPSK_NS1_7vsmem_tEENKUlT_SI_SJ_SK_E_clISD_PsSD_S10_EESH_SX_SI_SJ_SK_EUlSX_E_NS1_11comp_targetILNS1_3genE8ELNS1_11target_archE1030ELNS1_3gpuE2ELNS1_3repE0EEENS1_48merge_mergepath_partition_config_static_selectorELNS0_4arch9wavefront6targetE1EEEvSJ_.kd
    .uniform_work_group_size: 1
    .uses_dynamic_stack: false
    .vgpr_count:     0
    .vgpr_spill_count: 0
    .wavefront_size: 64
  - .agpr_count:     0
    .args:
      - .offset:         0
        .size:           64
        .value_kind:     by_value
      - .offset:         64
        .size:           4
        .value_kind:     hidden_block_count_x
      - .offset:         68
        .size:           4
        .value_kind:     hidden_block_count_y
      - .offset:         72
        .size:           4
        .value_kind:     hidden_block_count_z
      - .offset:         76
        .size:           2
        .value_kind:     hidden_group_size_x
      - .offset:         78
        .size:           2
        .value_kind:     hidden_group_size_y
      - .offset:         80
        .size:           2
        .value_kind:     hidden_group_size_z
      - .offset:         82
        .size:           2
        .value_kind:     hidden_remainder_x
      - .offset:         84
        .size:           2
        .value_kind:     hidden_remainder_y
      - .offset:         86
        .size:           2
        .value_kind:     hidden_remainder_z
      - .offset:         104
        .size:           8
        .value_kind:     hidden_global_offset_x
      - .offset:         112
        .size:           8
        .value_kind:     hidden_global_offset_y
      - .offset:         120
        .size:           8
        .value_kind:     hidden_global_offset_z
      - .offset:         128
        .size:           2
        .value_kind:     hidden_grid_dims
    .group_segment_fixed_size: 2112
    .kernarg_segment_align: 8
    .kernarg_segment_size: 320
    .language:       OpenCL C
    .language_version:
      - 2
      - 0
    .max_flat_workgroup_size: 128
    .name:           _ZN7rocprim17ROCPRIM_400000_NS6detail17trampoline_kernelINS0_14default_configENS1_38merge_sort_block_merge_config_selectorIssEEZZNS1_27merge_sort_block_merge_implIS3_N6thrust23THRUST_200600_302600_NS6detail15normal_iteratorINS8_10device_ptrIsEEEESD_jNS1_19radix_merge_compareILb0ELb0EsNS0_19identity_decomposerEEEEE10hipError_tT0_T1_T2_jT3_P12ihipStream_tbPNSt15iterator_traitsISI_E10value_typeEPNSO_ISJ_E10value_typeEPSK_NS1_7vsmem_tEENKUlT_SI_SJ_SK_E_clISD_PsSD_S10_EESH_SX_SI_SJ_SK_EUlSX_E0_NS1_11comp_targetILNS1_3genE0ELNS1_11target_archE4294967295ELNS1_3gpuE0ELNS1_3repE0EEENS1_38merge_mergepath_config_static_selectorELNS0_4arch9wavefront6targetE1EEEvSJ_
    .private_segment_fixed_size: 0
    .sgpr_count:     36
    .sgpr_spill_count: 0
    .symbol:         _ZN7rocprim17ROCPRIM_400000_NS6detail17trampoline_kernelINS0_14default_configENS1_38merge_sort_block_merge_config_selectorIssEEZZNS1_27merge_sort_block_merge_implIS3_N6thrust23THRUST_200600_302600_NS6detail15normal_iteratorINS8_10device_ptrIsEEEESD_jNS1_19radix_merge_compareILb0ELb0EsNS0_19identity_decomposerEEEEE10hipError_tT0_T1_T2_jT3_P12ihipStream_tbPNSt15iterator_traitsISI_E10value_typeEPNSO_ISJ_E10value_typeEPSK_NS1_7vsmem_tEENKUlT_SI_SJ_SK_E_clISD_PsSD_S10_EESH_SX_SI_SJ_SK_EUlSX_E0_NS1_11comp_targetILNS1_3genE0ELNS1_11target_archE4294967295ELNS1_3gpuE0ELNS1_3repE0EEENS1_38merge_mergepath_config_static_selectorELNS0_4arch9wavefront6targetE1EEEvSJ_.kd
    .uniform_work_group_size: 1
    .uses_dynamic_stack: false
    .vgpr_count:     36
    .vgpr_spill_count: 0
    .wavefront_size: 64
  - .agpr_count:     0
    .args:
      - .offset:         0
        .size:           64
        .value_kind:     by_value
    .group_segment_fixed_size: 0
    .kernarg_segment_align: 8
    .kernarg_segment_size: 64
    .language:       OpenCL C
    .language_version:
      - 2
      - 0
    .max_flat_workgroup_size: 128
    .name:           _ZN7rocprim17ROCPRIM_400000_NS6detail17trampoline_kernelINS0_14default_configENS1_38merge_sort_block_merge_config_selectorIssEEZZNS1_27merge_sort_block_merge_implIS3_N6thrust23THRUST_200600_302600_NS6detail15normal_iteratorINS8_10device_ptrIsEEEESD_jNS1_19radix_merge_compareILb0ELb0EsNS0_19identity_decomposerEEEEE10hipError_tT0_T1_T2_jT3_P12ihipStream_tbPNSt15iterator_traitsISI_E10value_typeEPNSO_ISJ_E10value_typeEPSK_NS1_7vsmem_tEENKUlT_SI_SJ_SK_E_clISD_PsSD_S10_EESH_SX_SI_SJ_SK_EUlSX_E0_NS1_11comp_targetILNS1_3genE10ELNS1_11target_archE1201ELNS1_3gpuE5ELNS1_3repE0EEENS1_38merge_mergepath_config_static_selectorELNS0_4arch9wavefront6targetE1EEEvSJ_
    .private_segment_fixed_size: 0
    .sgpr_count:     6
    .sgpr_spill_count: 0
    .symbol:         _ZN7rocprim17ROCPRIM_400000_NS6detail17trampoline_kernelINS0_14default_configENS1_38merge_sort_block_merge_config_selectorIssEEZZNS1_27merge_sort_block_merge_implIS3_N6thrust23THRUST_200600_302600_NS6detail15normal_iteratorINS8_10device_ptrIsEEEESD_jNS1_19radix_merge_compareILb0ELb0EsNS0_19identity_decomposerEEEEE10hipError_tT0_T1_T2_jT3_P12ihipStream_tbPNSt15iterator_traitsISI_E10value_typeEPNSO_ISJ_E10value_typeEPSK_NS1_7vsmem_tEENKUlT_SI_SJ_SK_E_clISD_PsSD_S10_EESH_SX_SI_SJ_SK_EUlSX_E0_NS1_11comp_targetILNS1_3genE10ELNS1_11target_archE1201ELNS1_3gpuE5ELNS1_3repE0EEENS1_38merge_mergepath_config_static_selectorELNS0_4arch9wavefront6targetE1EEEvSJ_.kd
    .uniform_work_group_size: 1
    .uses_dynamic_stack: false
    .vgpr_count:     0
    .vgpr_spill_count: 0
    .wavefront_size: 64
  - .agpr_count:     0
    .args:
      - .offset:         0
        .size:           64
        .value_kind:     by_value
    .group_segment_fixed_size: 0
    .kernarg_segment_align: 8
    .kernarg_segment_size: 64
    .language:       OpenCL C
    .language_version:
      - 2
      - 0
    .max_flat_workgroup_size: 128
    .name:           _ZN7rocprim17ROCPRIM_400000_NS6detail17trampoline_kernelINS0_14default_configENS1_38merge_sort_block_merge_config_selectorIssEEZZNS1_27merge_sort_block_merge_implIS3_N6thrust23THRUST_200600_302600_NS6detail15normal_iteratorINS8_10device_ptrIsEEEESD_jNS1_19radix_merge_compareILb0ELb0EsNS0_19identity_decomposerEEEEE10hipError_tT0_T1_T2_jT3_P12ihipStream_tbPNSt15iterator_traitsISI_E10value_typeEPNSO_ISJ_E10value_typeEPSK_NS1_7vsmem_tEENKUlT_SI_SJ_SK_E_clISD_PsSD_S10_EESH_SX_SI_SJ_SK_EUlSX_E0_NS1_11comp_targetILNS1_3genE5ELNS1_11target_archE942ELNS1_3gpuE9ELNS1_3repE0EEENS1_38merge_mergepath_config_static_selectorELNS0_4arch9wavefront6targetE1EEEvSJ_
    .private_segment_fixed_size: 0
    .sgpr_count:     6
    .sgpr_spill_count: 0
    .symbol:         _ZN7rocprim17ROCPRIM_400000_NS6detail17trampoline_kernelINS0_14default_configENS1_38merge_sort_block_merge_config_selectorIssEEZZNS1_27merge_sort_block_merge_implIS3_N6thrust23THRUST_200600_302600_NS6detail15normal_iteratorINS8_10device_ptrIsEEEESD_jNS1_19radix_merge_compareILb0ELb0EsNS0_19identity_decomposerEEEEE10hipError_tT0_T1_T2_jT3_P12ihipStream_tbPNSt15iterator_traitsISI_E10value_typeEPNSO_ISJ_E10value_typeEPSK_NS1_7vsmem_tEENKUlT_SI_SJ_SK_E_clISD_PsSD_S10_EESH_SX_SI_SJ_SK_EUlSX_E0_NS1_11comp_targetILNS1_3genE5ELNS1_11target_archE942ELNS1_3gpuE9ELNS1_3repE0EEENS1_38merge_mergepath_config_static_selectorELNS0_4arch9wavefront6targetE1EEEvSJ_.kd
    .uniform_work_group_size: 1
    .uses_dynamic_stack: false
    .vgpr_count:     0
    .vgpr_spill_count: 0
    .wavefront_size: 64
  - .agpr_count:     0
    .args:
      - .offset:         0
        .size:           64
        .value_kind:     by_value
    .group_segment_fixed_size: 0
    .kernarg_segment_align: 8
    .kernarg_segment_size: 64
    .language:       OpenCL C
    .language_version:
      - 2
      - 0
    .max_flat_workgroup_size: 128
    .name:           _ZN7rocprim17ROCPRIM_400000_NS6detail17trampoline_kernelINS0_14default_configENS1_38merge_sort_block_merge_config_selectorIssEEZZNS1_27merge_sort_block_merge_implIS3_N6thrust23THRUST_200600_302600_NS6detail15normal_iteratorINS8_10device_ptrIsEEEESD_jNS1_19radix_merge_compareILb0ELb0EsNS0_19identity_decomposerEEEEE10hipError_tT0_T1_T2_jT3_P12ihipStream_tbPNSt15iterator_traitsISI_E10value_typeEPNSO_ISJ_E10value_typeEPSK_NS1_7vsmem_tEENKUlT_SI_SJ_SK_E_clISD_PsSD_S10_EESH_SX_SI_SJ_SK_EUlSX_E0_NS1_11comp_targetILNS1_3genE4ELNS1_11target_archE910ELNS1_3gpuE8ELNS1_3repE0EEENS1_38merge_mergepath_config_static_selectorELNS0_4arch9wavefront6targetE1EEEvSJ_
    .private_segment_fixed_size: 0
    .sgpr_count:     6
    .sgpr_spill_count: 0
    .symbol:         _ZN7rocprim17ROCPRIM_400000_NS6detail17trampoline_kernelINS0_14default_configENS1_38merge_sort_block_merge_config_selectorIssEEZZNS1_27merge_sort_block_merge_implIS3_N6thrust23THRUST_200600_302600_NS6detail15normal_iteratorINS8_10device_ptrIsEEEESD_jNS1_19radix_merge_compareILb0ELb0EsNS0_19identity_decomposerEEEEE10hipError_tT0_T1_T2_jT3_P12ihipStream_tbPNSt15iterator_traitsISI_E10value_typeEPNSO_ISJ_E10value_typeEPSK_NS1_7vsmem_tEENKUlT_SI_SJ_SK_E_clISD_PsSD_S10_EESH_SX_SI_SJ_SK_EUlSX_E0_NS1_11comp_targetILNS1_3genE4ELNS1_11target_archE910ELNS1_3gpuE8ELNS1_3repE0EEENS1_38merge_mergepath_config_static_selectorELNS0_4arch9wavefront6targetE1EEEvSJ_.kd
    .uniform_work_group_size: 1
    .uses_dynamic_stack: false
    .vgpr_count:     0
    .vgpr_spill_count: 0
    .wavefront_size: 64
  - .agpr_count:     0
    .args:
      - .offset:         0
        .size:           64
        .value_kind:     by_value
    .group_segment_fixed_size: 0
    .kernarg_segment_align: 8
    .kernarg_segment_size: 64
    .language:       OpenCL C
    .language_version:
      - 2
      - 0
    .max_flat_workgroup_size: 128
    .name:           _ZN7rocprim17ROCPRIM_400000_NS6detail17trampoline_kernelINS0_14default_configENS1_38merge_sort_block_merge_config_selectorIssEEZZNS1_27merge_sort_block_merge_implIS3_N6thrust23THRUST_200600_302600_NS6detail15normal_iteratorINS8_10device_ptrIsEEEESD_jNS1_19radix_merge_compareILb0ELb0EsNS0_19identity_decomposerEEEEE10hipError_tT0_T1_T2_jT3_P12ihipStream_tbPNSt15iterator_traitsISI_E10value_typeEPNSO_ISJ_E10value_typeEPSK_NS1_7vsmem_tEENKUlT_SI_SJ_SK_E_clISD_PsSD_S10_EESH_SX_SI_SJ_SK_EUlSX_E0_NS1_11comp_targetILNS1_3genE3ELNS1_11target_archE908ELNS1_3gpuE7ELNS1_3repE0EEENS1_38merge_mergepath_config_static_selectorELNS0_4arch9wavefront6targetE1EEEvSJ_
    .private_segment_fixed_size: 0
    .sgpr_count:     6
    .sgpr_spill_count: 0
    .symbol:         _ZN7rocprim17ROCPRIM_400000_NS6detail17trampoline_kernelINS0_14default_configENS1_38merge_sort_block_merge_config_selectorIssEEZZNS1_27merge_sort_block_merge_implIS3_N6thrust23THRUST_200600_302600_NS6detail15normal_iteratorINS8_10device_ptrIsEEEESD_jNS1_19radix_merge_compareILb0ELb0EsNS0_19identity_decomposerEEEEE10hipError_tT0_T1_T2_jT3_P12ihipStream_tbPNSt15iterator_traitsISI_E10value_typeEPNSO_ISJ_E10value_typeEPSK_NS1_7vsmem_tEENKUlT_SI_SJ_SK_E_clISD_PsSD_S10_EESH_SX_SI_SJ_SK_EUlSX_E0_NS1_11comp_targetILNS1_3genE3ELNS1_11target_archE908ELNS1_3gpuE7ELNS1_3repE0EEENS1_38merge_mergepath_config_static_selectorELNS0_4arch9wavefront6targetE1EEEvSJ_.kd
    .uniform_work_group_size: 1
    .uses_dynamic_stack: false
    .vgpr_count:     0
    .vgpr_spill_count: 0
    .wavefront_size: 64
  - .agpr_count:     0
    .args:
      - .offset:         0
        .size:           64
        .value_kind:     by_value
    .group_segment_fixed_size: 0
    .kernarg_segment_align: 8
    .kernarg_segment_size: 64
    .language:       OpenCL C
    .language_version:
      - 2
      - 0
    .max_flat_workgroup_size: 128
    .name:           _ZN7rocprim17ROCPRIM_400000_NS6detail17trampoline_kernelINS0_14default_configENS1_38merge_sort_block_merge_config_selectorIssEEZZNS1_27merge_sort_block_merge_implIS3_N6thrust23THRUST_200600_302600_NS6detail15normal_iteratorINS8_10device_ptrIsEEEESD_jNS1_19radix_merge_compareILb0ELb0EsNS0_19identity_decomposerEEEEE10hipError_tT0_T1_T2_jT3_P12ihipStream_tbPNSt15iterator_traitsISI_E10value_typeEPNSO_ISJ_E10value_typeEPSK_NS1_7vsmem_tEENKUlT_SI_SJ_SK_E_clISD_PsSD_S10_EESH_SX_SI_SJ_SK_EUlSX_E0_NS1_11comp_targetILNS1_3genE2ELNS1_11target_archE906ELNS1_3gpuE6ELNS1_3repE0EEENS1_38merge_mergepath_config_static_selectorELNS0_4arch9wavefront6targetE1EEEvSJ_
    .private_segment_fixed_size: 0
    .sgpr_count:     6
    .sgpr_spill_count: 0
    .symbol:         _ZN7rocprim17ROCPRIM_400000_NS6detail17trampoline_kernelINS0_14default_configENS1_38merge_sort_block_merge_config_selectorIssEEZZNS1_27merge_sort_block_merge_implIS3_N6thrust23THRUST_200600_302600_NS6detail15normal_iteratorINS8_10device_ptrIsEEEESD_jNS1_19radix_merge_compareILb0ELb0EsNS0_19identity_decomposerEEEEE10hipError_tT0_T1_T2_jT3_P12ihipStream_tbPNSt15iterator_traitsISI_E10value_typeEPNSO_ISJ_E10value_typeEPSK_NS1_7vsmem_tEENKUlT_SI_SJ_SK_E_clISD_PsSD_S10_EESH_SX_SI_SJ_SK_EUlSX_E0_NS1_11comp_targetILNS1_3genE2ELNS1_11target_archE906ELNS1_3gpuE6ELNS1_3repE0EEENS1_38merge_mergepath_config_static_selectorELNS0_4arch9wavefront6targetE1EEEvSJ_.kd
    .uniform_work_group_size: 1
    .uses_dynamic_stack: false
    .vgpr_count:     0
    .vgpr_spill_count: 0
    .wavefront_size: 64
  - .agpr_count:     0
    .args:
      - .offset:         0
        .size:           64
        .value_kind:     by_value
    .group_segment_fixed_size: 0
    .kernarg_segment_align: 8
    .kernarg_segment_size: 64
    .language:       OpenCL C
    .language_version:
      - 2
      - 0
    .max_flat_workgroup_size: 128
    .name:           _ZN7rocprim17ROCPRIM_400000_NS6detail17trampoline_kernelINS0_14default_configENS1_38merge_sort_block_merge_config_selectorIssEEZZNS1_27merge_sort_block_merge_implIS3_N6thrust23THRUST_200600_302600_NS6detail15normal_iteratorINS8_10device_ptrIsEEEESD_jNS1_19radix_merge_compareILb0ELb0EsNS0_19identity_decomposerEEEEE10hipError_tT0_T1_T2_jT3_P12ihipStream_tbPNSt15iterator_traitsISI_E10value_typeEPNSO_ISJ_E10value_typeEPSK_NS1_7vsmem_tEENKUlT_SI_SJ_SK_E_clISD_PsSD_S10_EESH_SX_SI_SJ_SK_EUlSX_E0_NS1_11comp_targetILNS1_3genE9ELNS1_11target_archE1100ELNS1_3gpuE3ELNS1_3repE0EEENS1_38merge_mergepath_config_static_selectorELNS0_4arch9wavefront6targetE1EEEvSJ_
    .private_segment_fixed_size: 0
    .sgpr_count:     6
    .sgpr_spill_count: 0
    .symbol:         _ZN7rocprim17ROCPRIM_400000_NS6detail17trampoline_kernelINS0_14default_configENS1_38merge_sort_block_merge_config_selectorIssEEZZNS1_27merge_sort_block_merge_implIS3_N6thrust23THRUST_200600_302600_NS6detail15normal_iteratorINS8_10device_ptrIsEEEESD_jNS1_19radix_merge_compareILb0ELb0EsNS0_19identity_decomposerEEEEE10hipError_tT0_T1_T2_jT3_P12ihipStream_tbPNSt15iterator_traitsISI_E10value_typeEPNSO_ISJ_E10value_typeEPSK_NS1_7vsmem_tEENKUlT_SI_SJ_SK_E_clISD_PsSD_S10_EESH_SX_SI_SJ_SK_EUlSX_E0_NS1_11comp_targetILNS1_3genE9ELNS1_11target_archE1100ELNS1_3gpuE3ELNS1_3repE0EEENS1_38merge_mergepath_config_static_selectorELNS0_4arch9wavefront6targetE1EEEvSJ_.kd
    .uniform_work_group_size: 1
    .uses_dynamic_stack: false
    .vgpr_count:     0
    .vgpr_spill_count: 0
    .wavefront_size: 64
  - .agpr_count:     0
    .args:
      - .offset:         0
        .size:           64
        .value_kind:     by_value
    .group_segment_fixed_size: 0
    .kernarg_segment_align: 8
    .kernarg_segment_size: 64
    .language:       OpenCL C
    .language_version:
      - 2
      - 0
    .max_flat_workgroup_size: 256
    .name:           _ZN7rocprim17ROCPRIM_400000_NS6detail17trampoline_kernelINS0_14default_configENS1_38merge_sort_block_merge_config_selectorIssEEZZNS1_27merge_sort_block_merge_implIS3_N6thrust23THRUST_200600_302600_NS6detail15normal_iteratorINS8_10device_ptrIsEEEESD_jNS1_19radix_merge_compareILb0ELb0EsNS0_19identity_decomposerEEEEE10hipError_tT0_T1_T2_jT3_P12ihipStream_tbPNSt15iterator_traitsISI_E10value_typeEPNSO_ISJ_E10value_typeEPSK_NS1_7vsmem_tEENKUlT_SI_SJ_SK_E_clISD_PsSD_S10_EESH_SX_SI_SJ_SK_EUlSX_E0_NS1_11comp_targetILNS1_3genE8ELNS1_11target_archE1030ELNS1_3gpuE2ELNS1_3repE0EEENS1_38merge_mergepath_config_static_selectorELNS0_4arch9wavefront6targetE1EEEvSJ_
    .private_segment_fixed_size: 0
    .sgpr_count:     6
    .sgpr_spill_count: 0
    .symbol:         _ZN7rocprim17ROCPRIM_400000_NS6detail17trampoline_kernelINS0_14default_configENS1_38merge_sort_block_merge_config_selectorIssEEZZNS1_27merge_sort_block_merge_implIS3_N6thrust23THRUST_200600_302600_NS6detail15normal_iteratorINS8_10device_ptrIsEEEESD_jNS1_19radix_merge_compareILb0ELb0EsNS0_19identity_decomposerEEEEE10hipError_tT0_T1_T2_jT3_P12ihipStream_tbPNSt15iterator_traitsISI_E10value_typeEPNSO_ISJ_E10value_typeEPSK_NS1_7vsmem_tEENKUlT_SI_SJ_SK_E_clISD_PsSD_S10_EESH_SX_SI_SJ_SK_EUlSX_E0_NS1_11comp_targetILNS1_3genE8ELNS1_11target_archE1030ELNS1_3gpuE2ELNS1_3repE0EEENS1_38merge_mergepath_config_static_selectorELNS0_4arch9wavefront6targetE1EEEvSJ_.kd
    .uniform_work_group_size: 1
    .uses_dynamic_stack: false
    .vgpr_count:     0
    .vgpr_spill_count: 0
    .wavefront_size: 64
  - .agpr_count:     0
    .args:
      - .offset:         0
        .size:           48
        .value_kind:     by_value
    .group_segment_fixed_size: 0
    .kernarg_segment_align: 8
    .kernarg_segment_size: 48
    .language:       OpenCL C
    .language_version:
      - 2
      - 0
    .max_flat_workgroup_size: 256
    .name:           _ZN7rocprim17ROCPRIM_400000_NS6detail17trampoline_kernelINS0_14default_configENS1_38merge_sort_block_merge_config_selectorIssEEZZNS1_27merge_sort_block_merge_implIS3_N6thrust23THRUST_200600_302600_NS6detail15normal_iteratorINS8_10device_ptrIsEEEESD_jNS1_19radix_merge_compareILb0ELb0EsNS0_19identity_decomposerEEEEE10hipError_tT0_T1_T2_jT3_P12ihipStream_tbPNSt15iterator_traitsISI_E10value_typeEPNSO_ISJ_E10value_typeEPSK_NS1_7vsmem_tEENKUlT_SI_SJ_SK_E_clISD_PsSD_S10_EESH_SX_SI_SJ_SK_EUlSX_E1_NS1_11comp_targetILNS1_3genE0ELNS1_11target_archE4294967295ELNS1_3gpuE0ELNS1_3repE0EEENS1_36merge_oddeven_config_static_selectorELNS0_4arch9wavefront6targetE1EEEvSJ_
    .private_segment_fixed_size: 0
    .sgpr_count:     30
    .sgpr_spill_count: 0
    .symbol:         _ZN7rocprim17ROCPRIM_400000_NS6detail17trampoline_kernelINS0_14default_configENS1_38merge_sort_block_merge_config_selectorIssEEZZNS1_27merge_sort_block_merge_implIS3_N6thrust23THRUST_200600_302600_NS6detail15normal_iteratorINS8_10device_ptrIsEEEESD_jNS1_19radix_merge_compareILb0ELb0EsNS0_19identity_decomposerEEEEE10hipError_tT0_T1_T2_jT3_P12ihipStream_tbPNSt15iterator_traitsISI_E10value_typeEPNSO_ISJ_E10value_typeEPSK_NS1_7vsmem_tEENKUlT_SI_SJ_SK_E_clISD_PsSD_S10_EESH_SX_SI_SJ_SK_EUlSX_E1_NS1_11comp_targetILNS1_3genE0ELNS1_11target_archE4294967295ELNS1_3gpuE0ELNS1_3repE0EEENS1_36merge_oddeven_config_static_selectorELNS0_4arch9wavefront6targetE1EEEvSJ_.kd
    .uniform_work_group_size: 1
    .uses_dynamic_stack: false
    .vgpr_count:     9
    .vgpr_spill_count: 0
    .wavefront_size: 64
  - .agpr_count:     0
    .args:
      - .offset:         0
        .size:           48
        .value_kind:     by_value
    .group_segment_fixed_size: 0
    .kernarg_segment_align: 8
    .kernarg_segment_size: 48
    .language:       OpenCL C
    .language_version:
      - 2
      - 0
    .max_flat_workgroup_size: 256
    .name:           _ZN7rocprim17ROCPRIM_400000_NS6detail17trampoline_kernelINS0_14default_configENS1_38merge_sort_block_merge_config_selectorIssEEZZNS1_27merge_sort_block_merge_implIS3_N6thrust23THRUST_200600_302600_NS6detail15normal_iteratorINS8_10device_ptrIsEEEESD_jNS1_19radix_merge_compareILb0ELb0EsNS0_19identity_decomposerEEEEE10hipError_tT0_T1_T2_jT3_P12ihipStream_tbPNSt15iterator_traitsISI_E10value_typeEPNSO_ISJ_E10value_typeEPSK_NS1_7vsmem_tEENKUlT_SI_SJ_SK_E_clISD_PsSD_S10_EESH_SX_SI_SJ_SK_EUlSX_E1_NS1_11comp_targetILNS1_3genE10ELNS1_11target_archE1201ELNS1_3gpuE5ELNS1_3repE0EEENS1_36merge_oddeven_config_static_selectorELNS0_4arch9wavefront6targetE1EEEvSJ_
    .private_segment_fixed_size: 0
    .sgpr_count:     6
    .sgpr_spill_count: 0
    .symbol:         _ZN7rocprim17ROCPRIM_400000_NS6detail17trampoline_kernelINS0_14default_configENS1_38merge_sort_block_merge_config_selectorIssEEZZNS1_27merge_sort_block_merge_implIS3_N6thrust23THRUST_200600_302600_NS6detail15normal_iteratorINS8_10device_ptrIsEEEESD_jNS1_19radix_merge_compareILb0ELb0EsNS0_19identity_decomposerEEEEE10hipError_tT0_T1_T2_jT3_P12ihipStream_tbPNSt15iterator_traitsISI_E10value_typeEPNSO_ISJ_E10value_typeEPSK_NS1_7vsmem_tEENKUlT_SI_SJ_SK_E_clISD_PsSD_S10_EESH_SX_SI_SJ_SK_EUlSX_E1_NS1_11comp_targetILNS1_3genE10ELNS1_11target_archE1201ELNS1_3gpuE5ELNS1_3repE0EEENS1_36merge_oddeven_config_static_selectorELNS0_4arch9wavefront6targetE1EEEvSJ_.kd
    .uniform_work_group_size: 1
    .uses_dynamic_stack: false
    .vgpr_count:     0
    .vgpr_spill_count: 0
    .wavefront_size: 64
  - .agpr_count:     0
    .args:
      - .offset:         0
        .size:           48
        .value_kind:     by_value
    .group_segment_fixed_size: 0
    .kernarg_segment_align: 8
    .kernarg_segment_size: 48
    .language:       OpenCL C
    .language_version:
      - 2
      - 0
    .max_flat_workgroup_size: 256
    .name:           _ZN7rocprim17ROCPRIM_400000_NS6detail17trampoline_kernelINS0_14default_configENS1_38merge_sort_block_merge_config_selectorIssEEZZNS1_27merge_sort_block_merge_implIS3_N6thrust23THRUST_200600_302600_NS6detail15normal_iteratorINS8_10device_ptrIsEEEESD_jNS1_19radix_merge_compareILb0ELb0EsNS0_19identity_decomposerEEEEE10hipError_tT0_T1_T2_jT3_P12ihipStream_tbPNSt15iterator_traitsISI_E10value_typeEPNSO_ISJ_E10value_typeEPSK_NS1_7vsmem_tEENKUlT_SI_SJ_SK_E_clISD_PsSD_S10_EESH_SX_SI_SJ_SK_EUlSX_E1_NS1_11comp_targetILNS1_3genE5ELNS1_11target_archE942ELNS1_3gpuE9ELNS1_3repE0EEENS1_36merge_oddeven_config_static_selectorELNS0_4arch9wavefront6targetE1EEEvSJ_
    .private_segment_fixed_size: 0
    .sgpr_count:     6
    .sgpr_spill_count: 0
    .symbol:         _ZN7rocprim17ROCPRIM_400000_NS6detail17trampoline_kernelINS0_14default_configENS1_38merge_sort_block_merge_config_selectorIssEEZZNS1_27merge_sort_block_merge_implIS3_N6thrust23THRUST_200600_302600_NS6detail15normal_iteratorINS8_10device_ptrIsEEEESD_jNS1_19radix_merge_compareILb0ELb0EsNS0_19identity_decomposerEEEEE10hipError_tT0_T1_T2_jT3_P12ihipStream_tbPNSt15iterator_traitsISI_E10value_typeEPNSO_ISJ_E10value_typeEPSK_NS1_7vsmem_tEENKUlT_SI_SJ_SK_E_clISD_PsSD_S10_EESH_SX_SI_SJ_SK_EUlSX_E1_NS1_11comp_targetILNS1_3genE5ELNS1_11target_archE942ELNS1_3gpuE9ELNS1_3repE0EEENS1_36merge_oddeven_config_static_selectorELNS0_4arch9wavefront6targetE1EEEvSJ_.kd
    .uniform_work_group_size: 1
    .uses_dynamic_stack: false
    .vgpr_count:     0
    .vgpr_spill_count: 0
    .wavefront_size: 64
  - .agpr_count:     0
    .args:
      - .offset:         0
        .size:           48
        .value_kind:     by_value
    .group_segment_fixed_size: 0
    .kernarg_segment_align: 8
    .kernarg_segment_size: 48
    .language:       OpenCL C
    .language_version:
      - 2
      - 0
    .max_flat_workgroup_size: 256
    .name:           _ZN7rocprim17ROCPRIM_400000_NS6detail17trampoline_kernelINS0_14default_configENS1_38merge_sort_block_merge_config_selectorIssEEZZNS1_27merge_sort_block_merge_implIS3_N6thrust23THRUST_200600_302600_NS6detail15normal_iteratorINS8_10device_ptrIsEEEESD_jNS1_19radix_merge_compareILb0ELb0EsNS0_19identity_decomposerEEEEE10hipError_tT0_T1_T2_jT3_P12ihipStream_tbPNSt15iterator_traitsISI_E10value_typeEPNSO_ISJ_E10value_typeEPSK_NS1_7vsmem_tEENKUlT_SI_SJ_SK_E_clISD_PsSD_S10_EESH_SX_SI_SJ_SK_EUlSX_E1_NS1_11comp_targetILNS1_3genE4ELNS1_11target_archE910ELNS1_3gpuE8ELNS1_3repE0EEENS1_36merge_oddeven_config_static_selectorELNS0_4arch9wavefront6targetE1EEEvSJ_
    .private_segment_fixed_size: 0
    .sgpr_count:     6
    .sgpr_spill_count: 0
    .symbol:         _ZN7rocprim17ROCPRIM_400000_NS6detail17trampoline_kernelINS0_14default_configENS1_38merge_sort_block_merge_config_selectorIssEEZZNS1_27merge_sort_block_merge_implIS3_N6thrust23THRUST_200600_302600_NS6detail15normal_iteratorINS8_10device_ptrIsEEEESD_jNS1_19radix_merge_compareILb0ELb0EsNS0_19identity_decomposerEEEEE10hipError_tT0_T1_T2_jT3_P12ihipStream_tbPNSt15iterator_traitsISI_E10value_typeEPNSO_ISJ_E10value_typeEPSK_NS1_7vsmem_tEENKUlT_SI_SJ_SK_E_clISD_PsSD_S10_EESH_SX_SI_SJ_SK_EUlSX_E1_NS1_11comp_targetILNS1_3genE4ELNS1_11target_archE910ELNS1_3gpuE8ELNS1_3repE0EEENS1_36merge_oddeven_config_static_selectorELNS0_4arch9wavefront6targetE1EEEvSJ_.kd
    .uniform_work_group_size: 1
    .uses_dynamic_stack: false
    .vgpr_count:     0
    .vgpr_spill_count: 0
    .wavefront_size: 64
  - .agpr_count:     0
    .args:
      - .offset:         0
        .size:           48
        .value_kind:     by_value
    .group_segment_fixed_size: 0
    .kernarg_segment_align: 8
    .kernarg_segment_size: 48
    .language:       OpenCL C
    .language_version:
      - 2
      - 0
    .max_flat_workgroup_size: 256
    .name:           _ZN7rocprim17ROCPRIM_400000_NS6detail17trampoline_kernelINS0_14default_configENS1_38merge_sort_block_merge_config_selectorIssEEZZNS1_27merge_sort_block_merge_implIS3_N6thrust23THRUST_200600_302600_NS6detail15normal_iteratorINS8_10device_ptrIsEEEESD_jNS1_19radix_merge_compareILb0ELb0EsNS0_19identity_decomposerEEEEE10hipError_tT0_T1_T2_jT3_P12ihipStream_tbPNSt15iterator_traitsISI_E10value_typeEPNSO_ISJ_E10value_typeEPSK_NS1_7vsmem_tEENKUlT_SI_SJ_SK_E_clISD_PsSD_S10_EESH_SX_SI_SJ_SK_EUlSX_E1_NS1_11comp_targetILNS1_3genE3ELNS1_11target_archE908ELNS1_3gpuE7ELNS1_3repE0EEENS1_36merge_oddeven_config_static_selectorELNS0_4arch9wavefront6targetE1EEEvSJ_
    .private_segment_fixed_size: 0
    .sgpr_count:     6
    .sgpr_spill_count: 0
    .symbol:         _ZN7rocprim17ROCPRIM_400000_NS6detail17trampoline_kernelINS0_14default_configENS1_38merge_sort_block_merge_config_selectorIssEEZZNS1_27merge_sort_block_merge_implIS3_N6thrust23THRUST_200600_302600_NS6detail15normal_iteratorINS8_10device_ptrIsEEEESD_jNS1_19radix_merge_compareILb0ELb0EsNS0_19identity_decomposerEEEEE10hipError_tT0_T1_T2_jT3_P12ihipStream_tbPNSt15iterator_traitsISI_E10value_typeEPNSO_ISJ_E10value_typeEPSK_NS1_7vsmem_tEENKUlT_SI_SJ_SK_E_clISD_PsSD_S10_EESH_SX_SI_SJ_SK_EUlSX_E1_NS1_11comp_targetILNS1_3genE3ELNS1_11target_archE908ELNS1_3gpuE7ELNS1_3repE0EEENS1_36merge_oddeven_config_static_selectorELNS0_4arch9wavefront6targetE1EEEvSJ_.kd
    .uniform_work_group_size: 1
    .uses_dynamic_stack: false
    .vgpr_count:     0
    .vgpr_spill_count: 0
    .wavefront_size: 64
  - .agpr_count:     0
    .args:
      - .offset:         0
        .size:           48
        .value_kind:     by_value
    .group_segment_fixed_size: 0
    .kernarg_segment_align: 8
    .kernarg_segment_size: 48
    .language:       OpenCL C
    .language_version:
      - 2
      - 0
    .max_flat_workgroup_size: 256
    .name:           _ZN7rocprim17ROCPRIM_400000_NS6detail17trampoline_kernelINS0_14default_configENS1_38merge_sort_block_merge_config_selectorIssEEZZNS1_27merge_sort_block_merge_implIS3_N6thrust23THRUST_200600_302600_NS6detail15normal_iteratorINS8_10device_ptrIsEEEESD_jNS1_19radix_merge_compareILb0ELb0EsNS0_19identity_decomposerEEEEE10hipError_tT0_T1_T2_jT3_P12ihipStream_tbPNSt15iterator_traitsISI_E10value_typeEPNSO_ISJ_E10value_typeEPSK_NS1_7vsmem_tEENKUlT_SI_SJ_SK_E_clISD_PsSD_S10_EESH_SX_SI_SJ_SK_EUlSX_E1_NS1_11comp_targetILNS1_3genE2ELNS1_11target_archE906ELNS1_3gpuE6ELNS1_3repE0EEENS1_36merge_oddeven_config_static_selectorELNS0_4arch9wavefront6targetE1EEEvSJ_
    .private_segment_fixed_size: 0
    .sgpr_count:     6
    .sgpr_spill_count: 0
    .symbol:         _ZN7rocprim17ROCPRIM_400000_NS6detail17trampoline_kernelINS0_14default_configENS1_38merge_sort_block_merge_config_selectorIssEEZZNS1_27merge_sort_block_merge_implIS3_N6thrust23THRUST_200600_302600_NS6detail15normal_iteratorINS8_10device_ptrIsEEEESD_jNS1_19radix_merge_compareILb0ELb0EsNS0_19identity_decomposerEEEEE10hipError_tT0_T1_T2_jT3_P12ihipStream_tbPNSt15iterator_traitsISI_E10value_typeEPNSO_ISJ_E10value_typeEPSK_NS1_7vsmem_tEENKUlT_SI_SJ_SK_E_clISD_PsSD_S10_EESH_SX_SI_SJ_SK_EUlSX_E1_NS1_11comp_targetILNS1_3genE2ELNS1_11target_archE906ELNS1_3gpuE6ELNS1_3repE0EEENS1_36merge_oddeven_config_static_selectorELNS0_4arch9wavefront6targetE1EEEvSJ_.kd
    .uniform_work_group_size: 1
    .uses_dynamic_stack: false
    .vgpr_count:     0
    .vgpr_spill_count: 0
    .wavefront_size: 64
  - .agpr_count:     0
    .args:
      - .offset:         0
        .size:           48
        .value_kind:     by_value
    .group_segment_fixed_size: 0
    .kernarg_segment_align: 8
    .kernarg_segment_size: 48
    .language:       OpenCL C
    .language_version:
      - 2
      - 0
    .max_flat_workgroup_size: 256
    .name:           _ZN7rocprim17ROCPRIM_400000_NS6detail17trampoline_kernelINS0_14default_configENS1_38merge_sort_block_merge_config_selectorIssEEZZNS1_27merge_sort_block_merge_implIS3_N6thrust23THRUST_200600_302600_NS6detail15normal_iteratorINS8_10device_ptrIsEEEESD_jNS1_19radix_merge_compareILb0ELb0EsNS0_19identity_decomposerEEEEE10hipError_tT0_T1_T2_jT3_P12ihipStream_tbPNSt15iterator_traitsISI_E10value_typeEPNSO_ISJ_E10value_typeEPSK_NS1_7vsmem_tEENKUlT_SI_SJ_SK_E_clISD_PsSD_S10_EESH_SX_SI_SJ_SK_EUlSX_E1_NS1_11comp_targetILNS1_3genE9ELNS1_11target_archE1100ELNS1_3gpuE3ELNS1_3repE0EEENS1_36merge_oddeven_config_static_selectorELNS0_4arch9wavefront6targetE1EEEvSJ_
    .private_segment_fixed_size: 0
    .sgpr_count:     6
    .sgpr_spill_count: 0
    .symbol:         _ZN7rocprim17ROCPRIM_400000_NS6detail17trampoline_kernelINS0_14default_configENS1_38merge_sort_block_merge_config_selectorIssEEZZNS1_27merge_sort_block_merge_implIS3_N6thrust23THRUST_200600_302600_NS6detail15normal_iteratorINS8_10device_ptrIsEEEESD_jNS1_19radix_merge_compareILb0ELb0EsNS0_19identity_decomposerEEEEE10hipError_tT0_T1_T2_jT3_P12ihipStream_tbPNSt15iterator_traitsISI_E10value_typeEPNSO_ISJ_E10value_typeEPSK_NS1_7vsmem_tEENKUlT_SI_SJ_SK_E_clISD_PsSD_S10_EESH_SX_SI_SJ_SK_EUlSX_E1_NS1_11comp_targetILNS1_3genE9ELNS1_11target_archE1100ELNS1_3gpuE3ELNS1_3repE0EEENS1_36merge_oddeven_config_static_selectorELNS0_4arch9wavefront6targetE1EEEvSJ_.kd
    .uniform_work_group_size: 1
    .uses_dynamic_stack: false
    .vgpr_count:     0
    .vgpr_spill_count: 0
    .wavefront_size: 64
  - .agpr_count:     0
    .args:
      - .offset:         0
        .size:           48
        .value_kind:     by_value
    .group_segment_fixed_size: 0
    .kernarg_segment_align: 8
    .kernarg_segment_size: 48
    .language:       OpenCL C
    .language_version:
      - 2
      - 0
    .max_flat_workgroup_size: 256
    .name:           _ZN7rocprim17ROCPRIM_400000_NS6detail17trampoline_kernelINS0_14default_configENS1_38merge_sort_block_merge_config_selectorIssEEZZNS1_27merge_sort_block_merge_implIS3_N6thrust23THRUST_200600_302600_NS6detail15normal_iteratorINS8_10device_ptrIsEEEESD_jNS1_19radix_merge_compareILb0ELb0EsNS0_19identity_decomposerEEEEE10hipError_tT0_T1_T2_jT3_P12ihipStream_tbPNSt15iterator_traitsISI_E10value_typeEPNSO_ISJ_E10value_typeEPSK_NS1_7vsmem_tEENKUlT_SI_SJ_SK_E_clISD_PsSD_S10_EESH_SX_SI_SJ_SK_EUlSX_E1_NS1_11comp_targetILNS1_3genE8ELNS1_11target_archE1030ELNS1_3gpuE2ELNS1_3repE0EEENS1_36merge_oddeven_config_static_selectorELNS0_4arch9wavefront6targetE1EEEvSJ_
    .private_segment_fixed_size: 0
    .sgpr_count:     6
    .sgpr_spill_count: 0
    .symbol:         _ZN7rocprim17ROCPRIM_400000_NS6detail17trampoline_kernelINS0_14default_configENS1_38merge_sort_block_merge_config_selectorIssEEZZNS1_27merge_sort_block_merge_implIS3_N6thrust23THRUST_200600_302600_NS6detail15normal_iteratorINS8_10device_ptrIsEEEESD_jNS1_19radix_merge_compareILb0ELb0EsNS0_19identity_decomposerEEEEE10hipError_tT0_T1_T2_jT3_P12ihipStream_tbPNSt15iterator_traitsISI_E10value_typeEPNSO_ISJ_E10value_typeEPSK_NS1_7vsmem_tEENKUlT_SI_SJ_SK_E_clISD_PsSD_S10_EESH_SX_SI_SJ_SK_EUlSX_E1_NS1_11comp_targetILNS1_3genE8ELNS1_11target_archE1030ELNS1_3gpuE2ELNS1_3repE0EEENS1_36merge_oddeven_config_static_selectorELNS0_4arch9wavefront6targetE1EEEvSJ_.kd
    .uniform_work_group_size: 1
    .uses_dynamic_stack: false
    .vgpr_count:     0
    .vgpr_spill_count: 0
    .wavefront_size: 64
  - .agpr_count:     0
    .args:
      - .offset:         0
        .size:           40
        .value_kind:     by_value
      - .offset:         40
        .size:           4
        .value_kind:     hidden_block_count_x
      - .offset:         44
        .size:           4
        .value_kind:     hidden_block_count_y
      - .offset:         48
        .size:           4
        .value_kind:     hidden_block_count_z
      - .offset:         52
        .size:           2
        .value_kind:     hidden_group_size_x
      - .offset:         54
        .size:           2
        .value_kind:     hidden_group_size_y
      - .offset:         56
        .size:           2
        .value_kind:     hidden_group_size_z
      - .offset:         58
        .size:           2
        .value_kind:     hidden_remainder_x
      - .offset:         60
        .size:           2
        .value_kind:     hidden_remainder_y
      - .offset:         62
        .size:           2
        .value_kind:     hidden_remainder_z
      - .offset:         80
        .size:           8
        .value_kind:     hidden_global_offset_x
      - .offset:         88
        .size:           8
        .value_kind:     hidden_global_offset_y
      - .offset:         96
        .size:           8
        .value_kind:     hidden_global_offset_z
      - .offset:         104
        .size:           2
        .value_kind:     hidden_grid_dims
    .group_segment_fixed_size: 0
    .kernarg_segment_align: 8
    .kernarg_segment_size: 296
    .language:       OpenCL C
    .language_version:
      - 2
      - 0
    .max_flat_workgroup_size: 128
    .name:           _ZN7rocprim17ROCPRIM_400000_NS6detail17trampoline_kernelINS0_14default_configENS1_25transform_config_selectorIsLb0EEEZNS1_14transform_implILb0ES3_S5_PsN6thrust23THRUST_200600_302600_NS6detail15normal_iteratorINS9_10device_ptrIsEEEENS0_8identityIsEEEE10hipError_tT2_T3_mT4_P12ihipStream_tbEUlT_E_NS1_11comp_targetILNS1_3genE0ELNS1_11target_archE4294967295ELNS1_3gpuE0ELNS1_3repE0EEENS1_30default_config_static_selectorELNS0_4arch9wavefront6targetE1EEEvT1_
    .private_segment_fixed_size: 0
    .sgpr_count:     26
    .sgpr_spill_count: 0
    .symbol:         _ZN7rocprim17ROCPRIM_400000_NS6detail17trampoline_kernelINS0_14default_configENS1_25transform_config_selectorIsLb0EEEZNS1_14transform_implILb0ES3_S5_PsN6thrust23THRUST_200600_302600_NS6detail15normal_iteratorINS9_10device_ptrIsEEEENS0_8identityIsEEEE10hipError_tT2_T3_mT4_P12ihipStream_tbEUlT_E_NS1_11comp_targetILNS1_3genE0ELNS1_11target_archE4294967295ELNS1_3gpuE0ELNS1_3repE0EEENS1_30default_config_static_selectorELNS0_4arch9wavefront6targetE1EEEvT1_.kd
    .uniform_work_group_size: 1
    .uses_dynamic_stack: false
    .vgpr_count:     9
    .vgpr_spill_count: 0
    .wavefront_size: 64
  - .agpr_count:     0
    .args:
      - .offset:         0
        .size:           40
        .value_kind:     by_value
    .group_segment_fixed_size: 0
    .kernarg_segment_align: 8
    .kernarg_segment_size: 40
    .language:       OpenCL C
    .language_version:
      - 2
      - 0
    .max_flat_workgroup_size: 256
    .name:           _ZN7rocprim17ROCPRIM_400000_NS6detail17trampoline_kernelINS0_14default_configENS1_25transform_config_selectorIsLb0EEEZNS1_14transform_implILb0ES3_S5_PsN6thrust23THRUST_200600_302600_NS6detail15normal_iteratorINS9_10device_ptrIsEEEENS0_8identityIsEEEE10hipError_tT2_T3_mT4_P12ihipStream_tbEUlT_E_NS1_11comp_targetILNS1_3genE5ELNS1_11target_archE942ELNS1_3gpuE9ELNS1_3repE0EEENS1_30default_config_static_selectorELNS0_4arch9wavefront6targetE1EEEvT1_
    .private_segment_fixed_size: 0
    .sgpr_count:     6
    .sgpr_spill_count: 0
    .symbol:         _ZN7rocprim17ROCPRIM_400000_NS6detail17trampoline_kernelINS0_14default_configENS1_25transform_config_selectorIsLb0EEEZNS1_14transform_implILb0ES3_S5_PsN6thrust23THRUST_200600_302600_NS6detail15normal_iteratorINS9_10device_ptrIsEEEENS0_8identityIsEEEE10hipError_tT2_T3_mT4_P12ihipStream_tbEUlT_E_NS1_11comp_targetILNS1_3genE5ELNS1_11target_archE942ELNS1_3gpuE9ELNS1_3repE0EEENS1_30default_config_static_selectorELNS0_4arch9wavefront6targetE1EEEvT1_.kd
    .uniform_work_group_size: 1
    .uses_dynamic_stack: false
    .vgpr_count:     0
    .vgpr_spill_count: 0
    .wavefront_size: 64
  - .agpr_count:     0
    .args:
      - .offset:         0
        .size:           40
        .value_kind:     by_value
    .group_segment_fixed_size: 0
    .kernarg_segment_align: 8
    .kernarg_segment_size: 40
    .language:       OpenCL C
    .language_version:
      - 2
      - 0
    .max_flat_workgroup_size: 64
    .name:           _ZN7rocprim17ROCPRIM_400000_NS6detail17trampoline_kernelINS0_14default_configENS1_25transform_config_selectorIsLb0EEEZNS1_14transform_implILb0ES3_S5_PsN6thrust23THRUST_200600_302600_NS6detail15normal_iteratorINS9_10device_ptrIsEEEENS0_8identityIsEEEE10hipError_tT2_T3_mT4_P12ihipStream_tbEUlT_E_NS1_11comp_targetILNS1_3genE4ELNS1_11target_archE910ELNS1_3gpuE8ELNS1_3repE0EEENS1_30default_config_static_selectorELNS0_4arch9wavefront6targetE1EEEvT1_
    .private_segment_fixed_size: 0
    .sgpr_count:     6
    .sgpr_spill_count: 0
    .symbol:         _ZN7rocprim17ROCPRIM_400000_NS6detail17trampoline_kernelINS0_14default_configENS1_25transform_config_selectorIsLb0EEEZNS1_14transform_implILb0ES3_S5_PsN6thrust23THRUST_200600_302600_NS6detail15normal_iteratorINS9_10device_ptrIsEEEENS0_8identityIsEEEE10hipError_tT2_T3_mT4_P12ihipStream_tbEUlT_E_NS1_11comp_targetILNS1_3genE4ELNS1_11target_archE910ELNS1_3gpuE8ELNS1_3repE0EEENS1_30default_config_static_selectorELNS0_4arch9wavefront6targetE1EEEvT1_.kd
    .uniform_work_group_size: 1
    .uses_dynamic_stack: false
    .vgpr_count:     0
    .vgpr_spill_count: 0
    .wavefront_size: 64
  - .agpr_count:     0
    .args:
      - .offset:         0
        .size:           40
        .value_kind:     by_value
    .group_segment_fixed_size: 0
    .kernarg_segment_align: 8
    .kernarg_segment_size: 40
    .language:       OpenCL C
    .language_version:
      - 2
      - 0
    .max_flat_workgroup_size: 128
    .name:           _ZN7rocprim17ROCPRIM_400000_NS6detail17trampoline_kernelINS0_14default_configENS1_25transform_config_selectorIsLb0EEEZNS1_14transform_implILb0ES3_S5_PsN6thrust23THRUST_200600_302600_NS6detail15normal_iteratorINS9_10device_ptrIsEEEENS0_8identityIsEEEE10hipError_tT2_T3_mT4_P12ihipStream_tbEUlT_E_NS1_11comp_targetILNS1_3genE3ELNS1_11target_archE908ELNS1_3gpuE7ELNS1_3repE0EEENS1_30default_config_static_selectorELNS0_4arch9wavefront6targetE1EEEvT1_
    .private_segment_fixed_size: 0
    .sgpr_count:     6
    .sgpr_spill_count: 0
    .symbol:         _ZN7rocprim17ROCPRIM_400000_NS6detail17trampoline_kernelINS0_14default_configENS1_25transform_config_selectorIsLb0EEEZNS1_14transform_implILb0ES3_S5_PsN6thrust23THRUST_200600_302600_NS6detail15normal_iteratorINS9_10device_ptrIsEEEENS0_8identityIsEEEE10hipError_tT2_T3_mT4_P12ihipStream_tbEUlT_E_NS1_11comp_targetILNS1_3genE3ELNS1_11target_archE908ELNS1_3gpuE7ELNS1_3repE0EEENS1_30default_config_static_selectorELNS0_4arch9wavefront6targetE1EEEvT1_.kd
    .uniform_work_group_size: 1
    .uses_dynamic_stack: false
    .vgpr_count:     0
    .vgpr_spill_count: 0
    .wavefront_size: 64
  - .agpr_count:     0
    .args:
      - .offset:         0
        .size:           40
        .value_kind:     by_value
    .group_segment_fixed_size: 0
    .kernarg_segment_align: 8
    .kernarg_segment_size: 40
    .language:       OpenCL C
    .language_version:
      - 2
      - 0
    .max_flat_workgroup_size: 512
    .name:           _ZN7rocprim17ROCPRIM_400000_NS6detail17trampoline_kernelINS0_14default_configENS1_25transform_config_selectorIsLb0EEEZNS1_14transform_implILb0ES3_S5_PsN6thrust23THRUST_200600_302600_NS6detail15normal_iteratorINS9_10device_ptrIsEEEENS0_8identityIsEEEE10hipError_tT2_T3_mT4_P12ihipStream_tbEUlT_E_NS1_11comp_targetILNS1_3genE2ELNS1_11target_archE906ELNS1_3gpuE6ELNS1_3repE0EEENS1_30default_config_static_selectorELNS0_4arch9wavefront6targetE1EEEvT1_
    .private_segment_fixed_size: 0
    .sgpr_count:     6
    .sgpr_spill_count: 0
    .symbol:         _ZN7rocprim17ROCPRIM_400000_NS6detail17trampoline_kernelINS0_14default_configENS1_25transform_config_selectorIsLb0EEEZNS1_14transform_implILb0ES3_S5_PsN6thrust23THRUST_200600_302600_NS6detail15normal_iteratorINS9_10device_ptrIsEEEENS0_8identityIsEEEE10hipError_tT2_T3_mT4_P12ihipStream_tbEUlT_E_NS1_11comp_targetILNS1_3genE2ELNS1_11target_archE906ELNS1_3gpuE6ELNS1_3repE0EEENS1_30default_config_static_selectorELNS0_4arch9wavefront6targetE1EEEvT1_.kd
    .uniform_work_group_size: 1
    .uses_dynamic_stack: false
    .vgpr_count:     0
    .vgpr_spill_count: 0
    .wavefront_size: 64
  - .agpr_count:     0
    .args:
      - .offset:         0
        .size:           40
        .value_kind:     by_value
    .group_segment_fixed_size: 0
    .kernarg_segment_align: 8
    .kernarg_segment_size: 40
    .language:       OpenCL C
    .language_version:
      - 2
      - 0
    .max_flat_workgroup_size: 1024
    .name:           _ZN7rocprim17ROCPRIM_400000_NS6detail17trampoline_kernelINS0_14default_configENS1_25transform_config_selectorIsLb0EEEZNS1_14transform_implILb0ES3_S5_PsN6thrust23THRUST_200600_302600_NS6detail15normal_iteratorINS9_10device_ptrIsEEEENS0_8identityIsEEEE10hipError_tT2_T3_mT4_P12ihipStream_tbEUlT_E_NS1_11comp_targetILNS1_3genE10ELNS1_11target_archE1201ELNS1_3gpuE5ELNS1_3repE0EEENS1_30default_config_static_selectorELNS0_4arch9wavefront6targetE1EEEvT1_
    .private_segment_fixed_size: 0
    .sgpr_count:     6
    .sgpr_spill_count: 0
    .symbol:         _ZN7rocprim17ROCPRIM_400000_NS6detail17trampoline_kernelINS0_14default_configENS1_25transform_config_selectorIsLb0EEEZNS1_14transform_implILb0ES3_S5_PsN6thrust23THRUST_200600_302600_NS6detail15normal_iteratorINS9_10device_ptrIsEEEENS0_8identityIsEEEE10hipError_tT2_T3_mT4_P12ihipStream_tbEUlT_E_NS1_11comp_targetILNS1_3genE10ELNS1_11target_archE1201ELNS1_3gpuE5ELNS1_3repE0EEENS1_30default_config_static_selectorELNS0_4arch9wavefront6targetE1EEEvT1_.kd
    .uniform_work_group_size: 1
    .uses_dynamic_stack: false
    .vgpr_count:     0
    .vgpr_spill_count: 0
    .wavefront_size: 64
  - .agpr_count:     0
    .args:
      - .offset:         0
        .size:           40
        .value_kind:     by_value
    .group_segment_fixed_size: 0
    .kernarg_segment_align: 8
    .kernarg_segment_size: 40
    .language:       OpenCL C
    .language_version:
      - 2
      - 0
    .max_flat_workgroup_size: 512
    .name:           _ZN7rocprim17ROCPRIM_400000_NS6detail17trampoline_kernelINS0_14default_configENS1_25transform_config_selectorIsLb0EEEZNS1_14transform_implILb0ES3_S5_PsN6thrust23THRUST_200600_302600_NS6detail15normal_iteratorINS9_10device_ptrIsEEEENS0_8identityIsEEEE10hipError_tT2_T3_mT4_P12ihipStream_tbEUlT_E_NS1_11comp_targetILNS1_3genE10ELNS1_11target_archE1200ELNS1_3gpuE4ELNS1_3repE0EEENS1_30default_config_static_selectorELNS0_4arch9wavefront6targetE1EEEvT1_
    .private_segment_fixed_size: 0
    .sgpr_count:     6
    .sgpr_spill_count: 0
    .symbol:         _ZN7rocprim17ROCPRIM_400000_NS6detail17trampoline_kernelINS0_14default_configENS1_25transform_config_selectorIsLb0EEEZNS1_14transform_implILb0ES3_S5_PsN6thrust23THRUST_200600_302600_NS6detail15normal_iteratorINS9_10device_ptrIsEEEENS0_8identityIsEEEE10hipError_tT2_T3_mT4_P12ihipStream_tbEUlT_E_NS1_11comp_targetILNS1_3genE10ELNS1_11target_archE1200ELNS1_3gpuE4ELNS1_3repE0EEENS1_30default_config_static_selectorELNS0_4arch9wavefront6targetE1EEEvT1_.kd
    .uniform_work_group_size: 1
    .uses_dynamic_stack: false
    .vgpr_count:     0
    .vgpr_spill_count: 0
    .wavefront_size: 64
  - .agpr_count:     0
    .args:
      - .offset:         0
        .size:           40
        .value_kind:     by_value
    .group_segment_fixed_size: 0
    .kernarg_segment_align: 8
    .kernarg_segment_size: 40
    .language:       OpenCL C
    .language_version:
      - 2
      - 0
    .max_flat_workgroup_size: 1024
    .name:           _ZN7rocprim17ROCPRIM_400000_NS6detail17trampoline_kernelINS0_14default_configENS1_25transform_config_selectorIsLb0EEEZNS1_14transform_implILb0ES3_S5_PsN6thrust23THRUST_200600_302600_NS6detail15normal_iteratorINS9_10device_ptrIsEEEENS0_8identityIsEEEE10hipError_tT2_T3_mT4_P12ihipStream_tbEUlT_E_NS1_11comp_targetILNS1_3genE9ELNS1_11target_archE1100ELNS1_3gpuE3ELNS1_3repE0EEENS1_30default_config_static_selectorELNS0_4arch9wavefront6targetE1EEEvT1_
    .private_segment_fixed_size: 0
    .sgpr_count:     6
    .sgpr_spill_count: 0
    .symbol:         _ZN7rocprim17ROCPRIM_400000_NS6detail17trampoline_kernelINS0_14default_configENS1_25transform_config_selectorIsLb0EEEZNS1_14transform_implILb0ES3_S5_PsN6thrust23THRUST_200600_302600_NS6detail15normal_iteratorINS9_10device_ptrIsEEEENS0_8identityIsEEEE10hipError_tT2_T3_mT4_P12ihipStream_tbEUlT_E_NS1_11comp_targetILNS1_3genE9ELNS1_11target_archE1100ELNS1_3gpuE3ELNS1_3repE0EEENS1_30default_config_static_selectorELNS0_4arch9wavefront6targetE1EEEvT1_.kd
    .uniform_work_group_size: 1
    .uses_dynamic_stack: false
    .vgpr_count:     0
    .vgpr_spill_count: 0
    .wavefront_size: 64
  - .agpr_count:     0
    .args:
      - .offset:         0
        .size:           40
        .value_kind:     by_value
    .group_segment_fixed_size: 0
    .kernarg_segment_align: 8
    .kernarg_segment_size: 40
    .language:       OpenCL C
    .language_version:
      - 2
      - 0
    .max_flat_workgroup_size: 1024
    .name:           _ZN7rocprim17ROCPRIM_400000_NS6detail17trampoline_kernelINS0_14default_configENS1_25transform_config_selectorIsLb0EEEZNS1_14transform_implILb0ES3_S5_PsN6thrust23THRUST_200600_302600_NS6detail15normal_iteratorINS9_10device_ptrIsEEEENS0_8identityIsEEEE10hipError_tT2_T3_mT4_P12ihipStream_tbEUlT_E_NS1_11comp_targetILNS1_3genE8ELNS1_11target_archE1030ELNS1_3gpuE2ELNS1_3repE0EEENS1_30default_config_static_selectorELNS0_4arch9wavefront6targetE1EEEvT1_
    .private_segment_fixed_size: 0
    .sgpr_count:     6
    .sgpr_spill_count: 0
    .symbol:         _ZN7rocprim17ROCPRIM_400000_NS6detail17trampoline_kernelINS0_14default_configENS1_25transform_config_selectorIsLb0EEEZNS1_14transform_implILb0ES3_S5_PsN6thrust23THRUST_200600_302600_NS6detail15normal_iteratorINS9_10device_ptrIsEEEENS0_8identityIsEEEE10hipError_tT2_T3_mT4_P12ihipStream_tbEUlT_E_NS1_11comp_targetILNS1_3genE8ELNS1_11target_archE1030ELNS1_3gpuE2ELNS1_3repE0EEENS1_30default_config_static_selectorELNS0_4arch9wavefront6targetE1EEEvT1_.kd
    .uniform_work_group_size: 1
    .uses_dynamic_stack: false
    .vgpr_count:     0
    .vgpr_spill_count: 0
    .wavefront_size: 64
  - .agpr_count:     0
    .args:
      - .offset:         0
        .size:           40
        .value_kind:     by_value
    .group_segment_fixed_size: 0
    .kernarg_segment_align: 8
    .kernarg_segment_size: 40
    .language:       OpenCL C
    .language_version:
      - 2
      - 0
    .max_flat_workgroup_size: 128
    .name:           _ZN7rocprim17ROCPRIM_400000_NS6detail17trampoline_kernelINS0_14default_configENS1_38merge_sort_block_merge_config_selectorIssEEZZNS1_27merge_sort_block_merge_implIS3_N6thrust23THRUST_200600_302600_NS6detail15normal_iteratorINS8_10device_ptrIsEEEESD_jNS1_19radix_merge_compareILb0ELb1EsNS0_19identity_decomposerEEEEE10hipError_tT0_T1_T2_jT3_P12ihipStream_tbPNSt15iterator_traitsISI_E10value_typeEPNSO_ISJ_E10value_typeEPSK_NS1_7vsmem_tEENKUlT_SI_SJ_SK_E_clIPsSD_S10_SD_EESH_SX_SI_SJ_SK_EUlSX_E_NS1_11comp_targetILNS1_3genE0ELNS1_11target_archE4294967295ELNS1_3gpuE0ELNS1_3repE0EEENS1_48merge_mergepath_partition_config_static_selectorELNS0_4arch9wavefront6targetE1EEEvSJ_
    .private_segment_fixed_size: 0
    .sgpr_count:     16
    .sgpr_spill_count: 0
    .symbol:         _ZN7rocprim17ROCPRIM_400000_NS6detail17trampoline_kernelINS0_14default_configENS1_38merge_sort_block_merge_config_selectorIssEEZZNS1_27merge_sort_block_merge_implIS3_N6thrust23THRUST_200600_302600_NS6detail15normal_iteratorINS8_10device_ptrIsEEEESD_jNS1_19radix_merge_compareILb0ELb1EsNS0_19identity_decomposerEEEEE10hipError_tT0_T1_T2_jT3_P12ihipStream_tbPNSt15iterator_traitsISI_E10value_typeEPNSO_ISJ_E10value_typeEPSK_NS1_7vsmem_tEENKUlT_SI_SJ_SK_E_clIPsSD_S10_SD_EESH_SX_SI_SJ_SK_EUlSX_E_NS1_11comp_targetILNS1_3genE0ELNS1_11target_archE4294967295ELNS1_3gpuE0ELNS1_3repE0EEENS1_48merge_mergepath_partition_config_static_selectorELNS0_4arch9wavefront6targetE1EEEvSJ_.kd
    .uniform_work_group_size: 1
    .uses_dynamic_stack: false
    .vgpr_count:     17
    .vgpr_spill_count: 0
    .wavefront_size: 64
  - .agpr_count:     0
    .args:
      - .offset:         0
        .size:           40
        .value_kind:     by_value
    .group_segment_fixed_size: 0
    .kernarg_segment_align: 8
    .kernarg_segment_size: 40
    .language:       OpenCL C
    .language_version:
      - 2
      - 0
    .max_flat_workgroup_size: 128
    .name:           _ZN7rocprim17ROCPRIM_400000_NS6detail17trampoline_kernelINS0_14default_configENS1_38merge_sort_block_merge_config_selectorIssEEZZNS1_27merge_sort_block_merge_implIS3_N6thrust23THRUST_200600_302600_NS6detail15normal_iteratorINS8_10device_ptrIsEEEESD_jNS1_19radix_merge_compareILb0ELb1EsNS0_19identity_decomposerEEEEE10hipError_tT0_T1_T2_jT3_P12ihipStream_tbPNSt15iterator_traitsISI_E10value_typeEPNSO_ISJ_E10value_typeEPSK_NS1_7vsmem_tEENKUlT_SI_SJ_SK_E_clIPsSD_S10_SD_EESH_SX_SI_SJ_SK_EUlSX_E_NS1_11comp_targetILNS1_3genE10ELNS1_11target_archE1201ELNS1_3gpuE5ELNS1_3repE0EEENS1_48merge_mergepath_partition_config_static_selectorELNS0_4arch9wavefront6targetE1EEEvSJ_
    .private_segment_fixed_size: 0
    .sgpr_count:     6
    .sgpr_spill_count: 0
    .symbol:         _ZN7rocprim17ROCPRIM_400000_NS6detail17trampoline_kernelINS0_14default_configENS1_38merge_sort_block_merge_config_selectorIssEEZZNS1_27merge_sort_block_merge_implIS3_N6thrust23THRUST_200600_302600_NS6detail15normal_iteratorINS8_10device_ptrIsEEEESD_jNS1_19radix_merge_compareILb0ELb1EsNS0_19identity_decomposerEEEEE10hipError_tT0_T1_T2_jT3_P12ihipStream_tbPNSt15iterator_traitsISI_E10value_typeEPNSO_ISJ_E10value_typeEPSK_NS1_7vsmem_tEENKUlT_SI_SJ_SK_E_clIPsSD_S10_SD_EESH_SX_SI_SJ_SK_EUlSX_E_NS1_11comp_targetILNS1_3genE10ELNS1_11target_archE1201ELNS1_3gpuE5ELNS1_3repE0EEENS1_48merge_mergepath_partition_config_static_selectorELNS0_4arch9wavefront6targetE1EEEvSJ_.kd
    .uniform_work_group_size: 1
    .uses_dynamic_stack: false
    .vgpr_count:     0
    .vgpr_spill_count: 0
    .wavefront_size: 64
  - .agpr_count:     0
    .args:
      - .offset:         0
        .size:           40
        .value_kind:     by_value
    .group_segment_fixed_size: 0
    .kernarg_segment_align: 8
    .kernarg_segment_size: 40
    .language:       OpenCL C
    .language_version:
      - 2
      - 0
    .max_flat_workgroup_size: 128
    .name:           _ZN7rocprim17ROCPRIM_400000_NS6detail17trampoline_kernelINS0_14default_configENS1_38merge_sort_block_merge_config_selectorIssEEZZNS1_27merge_sort_block_merge_implIS3_N6thrust23THRUST_200600_302600_NS6detail15normal_iteratorINS8_10device_ptrIsEEEESD_jNS1_19radix_merge_compareILb0ELb1EsNS0_19identity_decomposerEEEEE10hipError_tT0_T1_T2_jT3_P12ihipStream_tbPNSt15iterator_traitsISI_E10value_typeEPNSO_ISJ_E10value_typeEPSK_NS1_7vsmem_tEENKUlT_SI_SJ_SK_E_clIPsSD_S10_SD_EESH_SX_SI_SJ_SK_EUlSX_E_NS1_11comp_targetILNS1_3genE5ELNS1_11target_archE942ELNS1_3gpuE9ELNS1_3repE0EEENS1_48merge_mergepath_partition_config_static_selectorELNS0_4arch9wavefront6targetE1EEEvSJ_
    .private_segment_fixed_size: 0
    .sgpr_count:     6
    .sgpr_spill_count: 0
    .symbol:         _ZN7rocprim17ROCPRIM_400000_NS6detail17trampoline_kernelINS0_14default_configENS1_38merge_sort_block_merge_config_selectorIssEEZZNS1_27merge_sort_block_merge_implIS3_N6thrust23THRUST_200600_302600_NS6detail15normal_iteratorINS8_10device_ptrIsEEEESD_jNS1_19radix_merge_compareILb0ELb1EsNS0_19identity_decomposerEEEEE10hipError_tT0_T1_T2_jT3_P12ihipStream_tbPNSt15iterator_traitsISI_E10value_typeEPNSO_ISJ_E10value_typeEPSK_NS1_7vsmem_tEENKUlT_SI_SJ_SK_E_clIPsSD_S10_SD_EESH_SX_SI_SJ_SK_EUlSX_E_NS1_11comp_targetILNS1_3genE5ELNS1_11target_archE942ELNS1_3gpuE9ELNS1_3repE0EEENS1_48merge_mergepath_partition_config_static_selectorELNS0_4arch9wavefront6targetE1EEEvSJ_.kd
    .uniform_work_group_size: 1
    .uses_dynamic_stack: false
    .vgpr_count:     0
    .vgpr_spill_count: 0
    .wavefront_size: 64
  - .agpr_count:     0
    .args:
      - .offset:         0
        .size:           40
        .value_kind:     by_value
    .group_segment_fixed_size: 0
    .kernarg_segment_align: 8
    .kernarg_segment_size: 40
    .language:       OpenCL C
    .language_version:
      - 2
      - 0
    .max_flat_workgroup_size: 128
    .name:           _ZN7rocprim17ROCPRIM_400000_NS6detail17trampoline_kernelINS0_14default_configENS1_38merge_sort_block_merge_config_selectorIssEEZZNS1_27merge_sort_block_merge_implIS3_N6thrust23THRUST_200600_302600_NS6detail15normal_iteratorINS8_10device_ptrIsEEEESD_jNS1_19radix_merge_compareILb0ELb1EsNS0_19identity_decomposerEEEEE10hipError_tT0_T1_T2_jT3_P12ihipStream_tbPNSt15iterator_traitsISI_E10value_typeEPNSO_ISJ_E10value_typeEPSK_NS1_7vsmem_tEENKUlT_SI_SJ_SK_E_clIPsSD_S10_SD_EESH_SX_SI_SJ_SK_EUlSX_E_NS1_11comp_targetILNS1_3genE4ELNS1_11target_archE910ELNS1_3gpuE8ELNS1_3repE0EEENS1_48merge_mergepath_partition_config_static_selectorELNS0_4arch9wavefront6targetE1EEEvSJ_
    .private_segment_fixed_size: 0
    .sgpr_count:     6
    .sgpr_spill_count: 0
    .symbol:         _ZN7rocprim17ROCPRIM_400000_NS6detail17trampoline_kernelINS0_14default_configENS1_38merge_sort_block_merge_config_selectorIssEEZZNS1_27merge_sort_block_merge_implIS3_N6thrust23THRUST_200600_302600_NS6detail15normal_iteratorINS8_10device_ptrIsEEEESD_jNS1_19radix_merge_compareILb0ELb1EsNS0_19identity_decomposerEEEEE10hipError_tT0_T1_T2_jT3_P12ihipStream_tbPNSt15iterator_traitsISI_E10value_typeEPNSO_ISJ_E10value_typeEPSK_NS1_7vsmem_tEENKUlT_SI_SJ_SK_E_clIPsSD_S10_SD_EESH_SX_SI_SJ_SK_EUlSX_E_NS1_11comp_targetILNS1_3genE4ELNS1_11target_archE910ELNS1_3gpuE8ELNS1_3repE0EEENS1_48merge_mergepath_partition_config_static_selectorELNS0_4arch9wavefront6targetE1EEEvSJ_.kd
    .uniform_work_group_size: 1
    .uses_dynamic_stack: false
    .vgpr_count:     0
    .vgpr_spill_count: 0
    .wavefront_size: 64
  - .agpr_count:     0
    .args:
      - .offset:         0
        .size:           40
        .value_kind:     by_value
    .group_segment_fixed_size: 0
    .kernarg_segment_align: 8
    .kernarg_segment_size: 40
    .language:       OpenCL C
    .language_version:
      - 2
      - 0
    .max_flat_workgroup_size: 128
    .name:           _ZN7rocprim17ROCPRIM_400000_NS6detail17trampoline_kernelINS0_14default_configENS1_38merge_sort_block_merge_config_selectorIssEEZZNS1_27merge_sort_block_merge_implIS3_N6thrust23THRUST_200600_302600_NS6detail15normal_iteratorINS8_10device_ptrIsEEEESD_jNS1_19radix_merge_compareILb0ELb1EsNS0_19identity_decomposerEEEEE10hipError_tT0_T1_T2_jT3_P12ihipStream_tbPNSt15iterator_traitsISI_E10value_typeEPNSO_ISJ_E10value_typeEPSK_NS1_7vsmem_tEENKUlT_SI_SJ_SK_E_clIPsSD_S10_SD_EESH_SX_SI_SJ_SK_EUlSX_E_NS1_11comp_targetILNS1_3genE3ELNS1_11target_archE908ELNS1_3gpuE7ELNS1_3repE0EEENS1_48merge_mergepath_partition_config_static_selectorELNS0_4arch9wavefront6targetE1EEEvSJ_
    .private_segment_fixed_size: 0
    .sgpr_count:     6
    .sgpr_spill_count: 0
    .symbol:         _ZN7rocprim17ROCPRIM_400000_NS6detail17trampoline_kernelINS0_14default_configENS1_38merge_sort_block_merge_config_selectorIssEEZZNS1_27merge_sort_block_merge_implIS3_N6thrust23THRUST_200600_302600_NS6detail15normal_iteratorINS8_10device_ptrIsEEEESD_jNS1_19radix_merge_compareILb0ELb1EsNS0_19identity_decomposerEEEEE10hipError_tT0_T1_T2_jT3_P12ihipStream_tbPNSt15iterator_traitsISI_E10value_typeEPNSO_ISJ_E10value_typeEPSK_NS1_7vsmem_tEENKUlT_SI_SJ_SK_E_clIPsSD_S10_SD_EESH_SX_SI_SJ_SK_EUlSX_E_NS1_11comp_targetILNS1_3genE3ELNS1_11target_archE908ELNS1_3gpuE7ELNS1_3repE0EEENS1_48merge_mergepath_partition_config_static_selectorELNS0_4arch9wavefront6targetE1EEEvSJ_.kd
    .uniform_work_group_size: 1
    .uses_dynamic_stack: false
    .vgpr_count:     0
    .vgpr_spill_count: 0
    .wavefront_size: 64
  - .agpr_count:     0
    .args:
      - .offset:         0
        .size:           40
        .value_kind:     by_value
    .group_segment_fixed_size: 0
    .kernarg_segment_align: 8
    .kernarg_segment_size: 40
    .language:       OpenCL C
    .language_version:
      - 2
      - 0
    .max_flat_workgroup_size: 128
    .name:           _ZN7rocprim17ROCPRIM_400000_NS6detail17trampoline_kernelINS0_14default_configENS1_38merge_sort_block_merge_config_selectorIssEEZZNS1_27merge_sort_block_merge_implIS3_N6thrust23THRUST_200600_302600_NS6detail15normal_iteratorINS8_10device_ptrIsEEEESD_jNS1_19radix_merge_compareILb0ELb1EsNS0_19identity_decomposerEEEEE10hipError_tT0_T1_T2_jT3_P12ihipStream_tbPNSt15iterator_traitsISI_E10value_typeEPNSO_ISJ_E10value_typeEPSK_NS1_7vsmem_tEENKUlT_SI_SJ_SK_E_clIPsSD_S10_SD_EESH_SX_SI_SJ_SK_EUlSX_E_NS1_11comp_targetILNS1_3genE2ELNS1_11target_archE906ELNS1_3gpuE6ELNS1_3repE0EEENS1_48merge_mergepath_partition_config_static_selectorELNS0_4arch9wavefront6targetE1EEEvSJ_
    .private_segment_fixed_size: 0
    .sgpr_count:     6
    .sgpr_spill_count: 0
    .symbol:         _ZN7rocprim17ROCPRIM_400000_NS6detail17trampoline_kernelINS0_14default_configENS1_38merge_sort_block_merge_config_selectorIssEEZZNS1_27merge_sort_block_merge_implIS3_N6thrust23THRUST_200600_302600_NS6detail15normal_iteratorINS8_10device_ptrIsEEEESD_jNS1_19radix_merge_compareILb0ELb1EsNS0_19identity_decomposerEEEEE10hipError_tT0_T1_T2_jT3_P12ihipStream_tbPNSt15iterator_traitsISI_E10value_typeEPNSO_ISJ_E10value_typeEPSK_NS1_7vsmem_tEENKUlT_SI_SJ_SK_E_clIPsSD_S10_SD_EESH_SX_SI_SJ_SK_EUlSX_E_NS1_11comp_targetILNS1_3genE2ELNS1_11target_archE906ELNS1_3gpuE6ELNS1_3repE0EEENS1_48merge_mergepath_partition_config_static_selectorELNS0_4arch9wavefront6targetE1EEEvSJ_.kd
    .uniform_work_group_size: 1
    .uses_dynamic_stack: false
    .vgpr_count:     0
    .vgpr_spill_count: 0
    .wavefront_size: 64
  - .agpr_count:     0
    .args:
      - .offset:         0
        .size:           40
        .value_kind:     by_value
    .group_segment_fixed_size: 0
    .kernarg_segment_align: 8
    .kernarg_segment_size: 40
    .language:       OpenCL C
    .language_version:
      - 2
      - 0
    .max_flat_workgroup_size: 128
    .name:           _ZN7rocprim17ROCPRIM_400000_NS6detail17trampoline_kernelINS0_14default_configENS1_38merge_sort_block_merge_config_selectorIssEEZZNS1_27merge_sort_block_merge_implIS3_N6thrust23THRUST_200600_302600_NS6detail15normal_iteratorINS8_10device_ptrIsEEEESD_jNS1_19radix_merge_compareILb0ELb1EsNS0_19identity_decomposerEEEEE10hipError_tT0_T1_T2_jT3_P12ihipStream_tbPNSt15iterator_traitsISI_E10value_typeEPNSO_ISJ_E10value_typeEPSK_NS1_7vsmem_tEENKUlT_SI_SJ_SK_E_clIPsSD_S10_SD_EESH_SX_SI_SJ_SK_EUlSX_E_NS1_11comp_targetILNS1_3genE9ELNS1_11target_archE1100ELNS1_3gpuE3ELNS1_3repE0EEENS1_48merge_mergepath_partition_config_static_selectorELNS0_4arch9wavefront6targetE1EEEvSJ_
    .private_segment_fixed_size: 0
    .sgpr_count:     6
    .sgpr_spill_count: 0
    .symbol:         _ZN7rocprim17ROCPRIM_400000_NS6detail17trampoline_kernelINS0_14default_configENS1_38merge_sort_block_merge_config_selectorIssEEZZNS1_27merge_sort_block_merge_implIS3_N6thrust23THRUST_200600_302600_NS6detail15normal_iteratorINS8_10device_ptrIsEEEESD_jNS1_19radix_merge_compareILb0ELb1EsNS0_19identity_decomposerEEEEE10hipError_tT0_T1_T2_jT3_P12ihipStream_tbPNSt15iterator_traitsISI_E10value_typeEPNSO_ISJ_E10value_typeEPSK_NS1_7vsmem_tEENKUlT_SI_SJ_SK_E_clIPsSD_S10_SD_EESH_SX_SI_SJ_SK_EUlSX_E_NS1_11comp_targetILNS1_3genE9ELNS1_11target_archE1100ELNS1_3gpuE3ELNS1_3repE0EEENS1_48merge_mergepath_partition_config_static_selectorELNS0_4arch9wavefront6targetE1EEEvSJ_.kd
    .uniform_work_group_size: 1
    .uses_dynamic_stack: false
    .vgpr_count:     0
    .vgpr_spill_count: 0
    .wavefront_size: 64
  - .agpr_count:     0
    .args:
      - .offset:         0
        .size:           40
        .value_kind:     by_value
    .group_segment_fixed_size: 0
    .kernarg_segment_align: 8
    .kernarg_segment_size: 40
    .language:       OpenCL C
    .language_version:
      - 2
      - 0
    .max_flat_workgroup_size: 128
    .name:           _ZN7rocprim17ROCPRIM_400000_NS6detail17trampoline_kernelINS0_14default_configENS1_38merge_sort_block_merge_config_selectorIssEEZZNS1_27merge_sort_block_merge_implIS3_N6thrust23THRUST_200600_302600_NS6detail15normal_iteratorINS8_10device_ptrIsEEEESD_jNS1_19radix_merge_compareILb0ELb1EsNS0_19identity_decomposerEEEEE10hipError_tT0_T1_T2_jT3_P12ihipStream_tbPNSt15iterator_traitsISI_E10value_typeEPNSO_ISJ_E10value_typeEPSK_NS1_7vsmem_tEENKUlT_SI_SJ_SK_E_clIPsSD_S10_SD_EESH_SX_SI_SJ_SK_EUlSX_E_NS1_11comp_targetILNS1_3genE8ELNS1_11target_archE1030ELNS1_3gpuE2ELNS1_3repE0EEENS1_48merge_mergepath_partition_config_static_selectorELNS0_4arch9wavefront6targetE1EEEvSJ_
    .private_segment_fixed_size: 0
    .sgpr_count:     6
    .sgpr_spill_count: 0
    .symbol:         _ZN7rocprim17ROCPRIM_400000_NS6detail17trampoline_kernelINS0_14default_configENS1_38merge_sort_block_merge_config_selectorIssEEZZNS1_27merge_sort_block_merge_implIS3_N6thrust23THRUST_200600_302600_NS6detail15normal_iteratorINS8_10device_ptrIsEEEESD_jNS1_19radix_merge_compareILb0ELb1EsNS0_19identity_decomposerEEEEE10hipError_tT0_T1_T2_jT3_P12ihipStream_tbPNSt15iterator_traitsISI_E10value_typeEPNSO_ISJ_E10value_typeEPSK_NS1_7vsmem_tEENKUlT_SI_SJ_SK_E_clIPsSD_S10_SD_EESH_SX_SI_SJ_SK_EUlSX_E_NS1_11comp_targetILNS1_3genE8ELNS1_11target_archE1030ELNS1_3gpuE2ELNS1_3repE0EEENS1_48merge_mergepath_partition_config_static_selectorELNS0_4arch9wavefront6targetE1EEEvSJ_.kd
    .uniform_work_group_size: 1
    .uses_dynamic_stack: false
    .vgpr_count:     0
    .vgpr_spill_count: 0
    .wavefront_size: 64
  - .agpr_count:     0
    .args:
      - .offset:         0
        .size:           64
        .value_kind:     by_value
      - .offset:         64
        .size:           4
        .value_kind:     hidden_block_count_x
      - .offset:         68
        .size:           4
        .value_kind:     hidden_block_count_y
      - .offset:         72
        .size:           4
        .value_kind:     hidden_block_count_z
      - .offset:         76
        .size:           2
        .value_kind:     hidden_group_size_x
      - .offset:         78
        .size:           2
        .value_kind:     hidden_group_size_y
      - .offset:         80
        .size:           2
        .value_kind:     hidden_group_size_z
      - .offset:         82
        .size:           2
        .value_kind:     hidden_remainder_x
      - .offset:         84
        .size:           2
        .value_kind:     hidden_remainder_y
      - .offset:         86
        .size:           2
        .value_kind:     hidden_remainder_z
      - .offset:         104
        .size:           8
        .value_kind:     hidden_global_offset_x
      - .offset:         112
        .size:           8
        .value_kind:     hidden_global_offset_y
      - .offset:         120
        .size:           8
        .value_kind:     hidden_global_offset_z
      - .offset:         128
        .size:           2
        .value_kind:     hidden_grid_dims
    .group_segment_fixed_size: 2112
    .kernarg_segment_align: 8
    .kernarg_segment_size: 320
    .language:       OpenCL C
    .language_version:
      - 2
      - 0
    .max_flat_workgroup_size: 128
    .name:           _ZN7rocprim17ROCPRIM_400000_NS6detail17trampoline_kernelINS0_14default_configENS1_38merge_sort_block_merge_config_selectorIssEEZZNS1_27merge_sort_block_merge_implIS3_N6thrust23THRUST_200600_302600_NS6detail15normal_iteratorINS8_10device_ptrIsEEEESD_jNS1_19radix_merge_compareILb0ELb1EsNS0_19identity_decomposerEEEEE10hipError_tT0_T1_T2_jT3_P12ihipStream_tbPNSt15iterator_traitsISI_E10value_typeEPNSO_ISJ_E10value_typeEPSK_NS1_7vsmem_tEENKUlT_SI_SJ_SK_E_clIPsSD_S10_SD_EESH_SX_SI_SJ_SK_EUlSX_E0_NS1_11comp_targetILNS1_3genE0ELNS1_11target_archE4294967295ELNS1_3gpuE0ELNS1_3repE0EEENS1_38merge_mergepath_config_static_selectorELNS0_4arch9wavefront6targetE1EEEvSJ_
    .private_segment_fixed_size: 0
    .sgpr_count:     38
    .sgpr_spill_count: 0
    .symbol:         _ZN7rocprim17ROCPRIM_400000_NS6detail17trampoline_kernelINS0_14default_configENS1_38merge_sort_block_merge_config_selectorIssEEZZNS1_27merge_sort_block_merge_implIS3_N6thrust23THRUST_200600_302600_NS6detail15normal_iteratorINS8_10device_ptrIsEEEESD_jNS1_19radix_merge_compareILb0ELb1EsNS0_19identity_decomposerEEEEE10hipError_tT0_T1_T2_jT3_P12ihipStream_tbPNSt15iterator_traitsISI_E10value_typeEPNSO_ISJ_E10value_typeEPSK_NS1_7vsmem_tEENKUlT_SI_SJ_SK_E_clIPsSD_S10_SD_EESH_SX_SI_SJ_SK_EUlSX_E0_NS1_11comp_targetILNS1_3genE0ELNS1_11target_archE4294967295ELNS1_3gpuE0ELNS1_3repE0EEENS1_38merge_mergepath_config_static_selectorELNS0_4arch9wavefront6targetE1EEEvSJ_.kd
    .uniform_work_group_size: 1
    .uses_dynamic_stack: false
    .vgpr_count:     36
    .vgpr_spill_count: 0
    .wavefront_size: 64
  - .agpr_count:     0
    .args:
      - .offset:         0
        .size:           64
        .value_kind:     by_value
    .group_segment_fixed_size: 0
    .kernarg_segment_align: 8
    .kernarg_segment_size: 64
    .language:       OpenCL C
    .language_version:
      - 2
      - 0
    .max_flat_workgroup_size: 128
    .name:           _ZN7rocprim17ROCPRIM_400000_NS6detail17trampoline_kernelINS0_14default_configENS1_38merge_sort_block_merge_config_selectorIssEEZZNS1_27merge_sort_block_merge_implIS3_N6thrust23THRUST_200600_302600_NS6detail15normal_iteratorINS8_10device_ptrIsEEEESD_jNS1_19radix_merge_compareILb0ELb1EsNS0_19identity_decomposerEEEEE10hipError_tT0_T1_T2_jT3_P12ihipStream_tbPNSt15iterator_traitsISI_E10value_typeEPNSO_ISJ_E10value_typeEPSK_NS1_7vsmem_tEENKUlT_SI_SJ_SK_E_clIPsSD_S10_SD_EESH_SX_SI_SJ_SK_EUlSX_E0_NS1_11comp_targetILNS1_3genE10ELNS1_11target_archE1201ELNS1_3gpuE5ELNS1_3repE0EEENS1_38merge_mergepath_config_static_selectorELNS0_4arch9wavefront6targetE1EEEvSJ_
    .private_segment_fixed_size: 0
    .sgpr_count:     6
    .sgpr_spill_count: 0
    .symbol:         _ZN7rocprim17ROCPRIM_400000_NS6detail17trampoline_kernelINS0_14default_configENS1_38merge_sort_block_merge_config_selectorIssEEZZNS1_27merge_sort_block_merge_implIS3_N6thrust23THRUST_200600_302600_NS6detail15normal_iteratorINS8_10device_ptrIsEEEESD_jNS1_19radix_merge_compareILb0ELb1EsNS0_19identity_decomposerEEEEE10hipError_tT0_T1_T2_jT3_P12ihipStream_tbPNSt15iterator_traitsISI_E10value_typeEPNSO_ISJ_E10value_typeEPSK_NS1_7vsmem_tEENKUlT_SI_SJ_SK_E_clIPsSD_S10_SD_EESH_SX_SI_SJ_SK_EUlSX_E0_NS1_11comp_targetILNS1_3genE10ELNS1_11target_archE1201ELNS1_3gpuE5ELNS1_3repE0EEENS1_38merge_mergepath_config_static_selectorELNS0_4arch9wavefront6targetE1EEEvSJ_.kd
    .uniform_work_group_size: 1
    .uses_dynamic_stack: false
    .vgpr_count:     0
    .vgpr_spill_count: 0
    .wavefront_size: 64
  - .agpr_count:     0
    .args:
      - .offset:         0
        .size:           64
        .value_kind:     by_value
    .group_segment_fixed_size: 0
    .kernarg_segment_align: 8
    .kernarg_segment_size: 64
    .language:       OpenCL C
    .language_version:
      - 2
      - 0
    .max_flat_workgroup_size: 128
    .name:           _ZN7rocprim17ROCPRIM_400000_NS6detail17trampoline_kernelINS0_14default_configENS1_38merge_sort_block_merge_config_selectorIssEEZZNS1_27merge_sort_block_merge_implIS3_N6thrust23THRUST_200600_302600_NS6detail15normal_iteratorINS8_10device_ptrIsEEEESD_jNS1_19radix_merge_compareILb0ELb1EsNS0_19identity_decomposerEEEEE10hipError_tT0_T1_T2_jT3_P12ihipStream_tbPNSt15iterator_traitsISI_E10value_typeEPNSO_ISJ_E10value_typeEPSK_NS1_7vsmem_tEENKUlT_SI_SJ_SK_E_clIPsSD_S10_SD_EESH_SX_SI_SJ_SK_EUlSX_E0_NS1_11comp_targetILNS1_3genE5ELNS1_11target_archE942ELNS1_3gpuE9ELNS1_3repE0EEENS1_38merge_mergepath_config_static_selectorELNS0_4arch9wavefront6targetE1EEEvSJ_
    .private_segment_fixed_size: 0
    .sgpr_count:     6
    .sgpr_spill_count: 0
    .symbol:         _ZN7rocprim17ROCPRIM_400000_NS6detail17trampoline_kernelINS0_14default_configENS1_38merge_sort_block_merge_config_selectorIssEEZZNS1_27merge_sort_block_merge_implIS3_N6thrust23THRUST_200600_302600_NS6detail15normal_iteratorINS8_10device_ptrIsEEEESD_jNS1_19radix_merge_compareILb0ELb1EsNS0_19identity_decomposerEEEEE10hipError_tT0_T1_T2_jT3_P12ihipStream_tbPNSt15iterator_traitsISI_E10value_typeEPNSO_ISJ_E10value_typeEPSK_NS1_7vsmem_tEENKUlT_SI_SJ_SK_E_clIPsSD_S10_SD_EESH_SX_SI_SJ_SK_EUlSX_E0_NS1_11comp_targetILNS1_3genE5ELNS1_11target_archE942ELNS1_3gpuE9ELNS1_3repE0EEENS1_38merge_mergepath_config_static_selectorELNS0_4arch9wavefront6targetE1EEEvSJ_.kd
    .uniform_work_group_size: 1
    .uses_dynamic_stack: false
    .vgpr_count:     0
    .vgpr_spill_count: 0
    .wavefront_size: 64
  - .agpr_count:     0
    .args:
      - .offset:         0
        .size:           64
        .value_kind:     by_value
    .group_segment_fixed_size: 0
    .kernarg_segment_align: 8
    .kernarg_segment_size: 64
    .language:       OpenCL C
    .language_version:
      - 2
      - 0
    .max_flat_workgroup_size: 128
    .name:           _ZN7rocprim17ROCPRIM_400000_NS6detail17trampoline_kernelINS0_14default_configENS1_38merge_sort_block_merge_config_selectorIssEEZZNS1_27merge_sort_block_merge_implIS3_N6thrust23THRUST_200600_302600_NS6detail15normal_iteratorINS8_10device_ptrIsEEEESD_jNS1_19radix_merge_compareILb0ELb1EsNS0_19identity_decomposerEEEEE10hipError_tT0_T1_T2_jT3_P12ihipStream_tbPNSt15iterator_traitsISI_E10value_typeEPNSO_ISJ_E10value_typeEPSK_NS1_7vsmem_tEENKUlT_SI_SJ_SK_E_clIPsSD_S10_SD_EESH_SX_SI_SJ_SK_EUlSX_E0_NS1_11comp_targetILNS1_3genE4ELNS1_11target_archE910ELNS1_3gpuE8ELNS1_3repE0EEENS1_38merge_mergepath_config_static_selectorELNS0_4arch9wavefront6targetE1EEEvSJ_
    .private_segment_fixed_size: 0
    .sgpr_count:     6
    .sgpr_spill_count: 0
    .symbol:         _ZN7rocprim17ROCPRIM_400000_NS6detail17trampoline_kernelINS0_14default_configENS1_38merge_sort_block_merge_config_selectorIssEEZZNS1_27merge_sort_block_merge_implIS3_N6thrust23THRUST_200600_302600_NS6detail15normal_iteratorINS8_10device_ptrIsEEEESD_jNS1_19radix_merge_compareILb0ELb1EsNS0_19identity_decomposerEEEEE10hipError_tT0_T1_T2_jT3_P12ihipStream_tbPNSt15iterator_traitsISI_E10value_typeEPNSO_ISJ_E10value_typeEPSK_NS1_7vsmem_tEENKUlT_SI_SJ_SK_E_clIPsSD_S10_SD_EESH_SX_SI_SJ_SK_EUlSX_E0_NS1_11comp_targetILNS1_3genE4ELNS1_11target_archE910ELNS1_3gpuE8ELNS1_3repE0EEENS1_38merge_mergepath_config_static_selectorELNS0_4arch9wavefront6targetE1EEEvSJ_.kd
    .uniform_work_group_size: 1
    .uses_dynamic_stack: false
    .vgpr_count:     0
    .vgpr_spill_count: 0
    .wavefront_size: 64
  - .agpr_count:     0
    .args:
      - .offset:         0
        .size:           64
        .value_kind:     by_value
    .group_segment_fixed_size: 0
    .kernarg_segment_align: 8
    .kernarg_segment_size: 64
    .language:       OpenCL C
    .language_version:
      - 2
      - 0
    .max_flat_workgroup_size: 128
    .name:           _ZN7rocprim17ROCPRIM_400000_NS6detail17trampoline_kernelINS0_14default_configENS1_38merge_sort_block_merge_config_selectorIssEEZZNS1_27merge_sort_block_merge_implIS3_N6thrust23THRUST_200600_302600_NS6detail15normal_iteratorINS8_10device_ptrIsEEEESD_jNS1_19radix_merge_compareILb0ELb1EsNS0_19identity_decomposerEEEEE10hipError_tT0_T1_T2_jT3_P12ihipStream_tbPNSt15iterator_traitsISI_E10value_typeEPNSO_ISJ_E10value_typeEPSK_NS1_7vsmem_tEENKUlT_SI_SJ_SK_E_clIPsSD_S10_SD_EESH_SX_SI_SJ_SK_EUlSX_E0_NS1_11comp_targetILNS1_3genE3ELNS1_11target_archE908ELNS1_3gpuE7ELNS1_3repE0EEENS1_38merge_mergepath_config_static_selectorELNS0_4arch9wavefront6targetE1EEEvSJ_
    .private_segment_fixed_size: 0
    .sgpr_count:     6
    .sgpr_spill_count: 0
    .symbol:         _ZN7rocprim17ROCPRIM_400000_NS6detail17trampoline_kernelINS0_14default_configENS1_38merge_sort_block_merge_config_selectorIssEEZZNS1_27merge_sort_block_merge_implIS3_N6thrust23THRUST_200600_302600_NS6detail15normal_iteratorINS8_10device_ptrIsEEEESD_jNS1_19radix_merge_compareILb0ELb1EsNS0_19identity_decomposerEEEEE10hipError_tT0_T1_T2_jT3_P12ihipStream_tbPNSt15iterator_traitsISI_E10value_typeEPNSO_ISJ_E10value_typeEPSK_NS1_7vsmem_tEENKUlT_SI_SJ_SK_E_clIPsSD_S10_SD_EESH_SX_SI_SJ_SK_EUlSX_E0_NS1_11comp_targetILNS1_3genE3ELNS1_11target_archE908ELNS1_3gpuE7ELNS1_3repE0EEENS1_38merge_mergepath_config_static_selectorELNS0_4arch9wavefront6targetE1EEEvSJ_.kd
    .uniform_work_group_size: 1
    .uses_dynamic_stack: false
    .vgpr_count:     0
    .vgpr_spill_count: 0
    .wavefront_size: 64
  - .agpr_count:     0
    .args:
      - .offset:         0
        .size:           64
        .value_kind:     by_value
    .group_segment_fixed_size: 0
    .kernarg_segment_align: 8
    .kernarg_segment_size: 64
    .language:       OpenCL C
    .language_version:
      - 2
      - 0
    .max_flat_workgroup_size: 128
    .name:           _ZN7rocprim17ROCPRIM_400000_NS6detail17trampoline_kernelINS0_14default_configENS1_38merge_sort_block_merge_config_selectorIssEEZZNS1_27merge_sort_block_merge_implIS3_N6thrust23THRUST_200600_302600_NS6detail15normal_iteratorINS8_10device_ptrIsEEEESD_jNS1_19radix_merge_compareILb0ELb1EsNS0_19identity_decomposerEEEEE10hipError_tT0_T1_T2_jT3_P12ihipStream_tbPNSt15iterator_traitsISI_E10value_typeEPNSO_ISJ_E10value_typeEPSK_NS1_7vsmem_tEENKUlT_SI_SJ_SK_E_clIPsSD_S10_SD_EESH_SX_SI_SJ_SK_EUlSX_E0_NS1_11comp_targetILNS1_3genE2ELNS1_11target_archE906ELNS1_3gpuE6ELNS1_3repE0EEENS1_38merge_mergepath_config_static_selectorELNS0_4arch9wavefront6targetE1EEEvSJ_
    .private_segment_fixed_size: 0
    .sgpr_count:     6
    .sgpr_spill_count: 0
    .symbol:         _ZN7rocprim17ROCPRIM_400000_NS6detail17trampoline_kernelINS0_14default_configENS1_38merge_sort_block_merge_config_selectorIssEEZZNS1_27merge_sort_block_merge_implIS3_N6thrust23THRUST_200600_302600_NS6detail15normal_iteratorINS8_10device_ptrIsEEEESD_jNS1_19radix_merge_compareILb0ELb1EsNS0_19identity_decomposerEEEEE10hipError_tT0_T1_T2_jT3_P12ihipStream_tbPNSt15iterator_traitsISI_E10value_typeEPNSO_ISJ_E10value_typeEPSK_NS1_7vsmem_tEENKUlT_SI_SJ_SK_E_clIPsSD_S10_SD_EESH_SX_SI_SJ_SK_EUlSX_E0_NS1_11comp_targetILNS1_3genE2ELNS1_11target_archE906ELNS1_3gpuE6ELNS1_3repE0EEENS1_38merge_mergepath_config_static_selectorELNS0_4arch9wavefront6targetE1EEEvSJ_.kd
    .uniform_work_group_size: 1
    .uses_dynamic_stack: false
    .vgpr_count:     0
    .vgpr_spill_count: 0
    .wavefront_size: 64
  - .agpr_count:     0
    .args:
      - .offset:         0
        .size:           64
        .value_kind:     by_value
    .group_segment_fixed_size: 0
    .kernarg_segment_align: 8
    .kernarg_segment_size: 64
    .language:       OpenCL C
    .language_version:
      - 2
      - 0
    .max_flat_workgroup_size: 128
    .name:           _ZN7rocprim17ROCPRIM_400000_NS6detail17trampoline_kernelINS0_14default_configENS1_38merge_sort_block_merge_config_selectorIssEEZZNS1_27merge_sort_block_merge_implIS3_N6thrust23THRUST_200600_302600_NS6detail15normal_iteratorINS8_10device_ptrIsEEEESD_jNS1_19radix_merge_compareILb0ELb1EsNS0_19identity_decomposerEEEEE10hipError_tT0_T1_T2_jT3_P12ihipStream_tbPNSt15iterator_traitsISI_E10value_typeEPNSO_ISJ_E10value_typeEPSK_NS1_7vsmem_tEENKUlT_SI_SJ_SK_E_clIPsSD_S10_SD_EESH_SX_SI_SJ_SK_EUlSX_E0_NS1_11comp_targetILNS1_3genE9ELNS1_11target_archE1100ELNS1_3gpuE3ELNS1_3repE0EEENS1_38merge_mergepath_config_static_selectorELNS0_4arch9wavefront6targetE1EEEvSJ_
    .private_segment_fixed_size: 0
    .sgpr_count:     6
    .sgpr_spill_count: 0
    .symbol:         _ZN7rocprim17ROCPRIM_400000_NS6detail17trampoline_kernelINS0_14default_configENS1_38merge_sort_block_merge_config_selectorIssEEZZNS1_27merge_sort_block_merge_implIS3_N6thrust23THRUST_200600_302600_NS6detail15normal_iteratorINS8_10device_ptrIsEEEESD_jNS1_19radix_merge_compareILb0ELb1EsNS0_19identity_decomposerEEEEE10hipError_tT0_T1_T2_jT3_P12ihipStream_tbPNSt15iterator_traitsISI_E10value_typeEPNSO_ISJ_E10value_typeEPSK_NS1_7vsmem_tEENKUlT_SI_SJ_SK_E_clIPsSD_S10_SD_EESH_SX_SI_SJ_SK_EUlSX_E0_NS1_11comp_targetILNS1_3genE9ELNS1_11target_archE1100ELNS1_3gpuE3ELNS1_3repE0EEENS1_38merge_mergepath_config_static_selectorELNS0_4arch9wavefront6targetE1EEEvSJ_.kd
    .uniform_work_group_size: 1
    .uses_dynamic_stack: false
    .vgpr_count:     0
    .vgpr_spill_count: 0
    .wavefront_size: 64
  - .agpr_count:     0
    .args:
      - .offset:         0
        .size:           64
        .value_kind:     by_value
    .group_segment_fixed_size: 0
    .kernarg_segment_align: 8
    .kernarg_segment_size: 64
    .language:       OpenCL C
    .language_version:
      - 2
      - 0
    .max_flat_workgroup_size: 256
    .name:           _ZN7rocprim17ROCPRIM_400000_NS6detail17trampoline_kernelINS0_14default_configENS1_38merge_sort_block_merge_config_selectorIssEEZZNS1_27merge_sort_block_merge_implIS3_N6thrust23THRUST_200600_302600_NS6detail15normal_iteratorINS8_10device_ptrIsEEEESD_jNS1_19radix_merge_compareILb0ELb1EsNS0_19identity_decomposerEEEEE10hipError_tT0_T1_T2_jT3_P12ihipStream_tbPNSt15iterator_traitsISI_E10value_typeEPNSO_ISJ_E10value_typeEPSK_NS1_7vsmem_tEENKUlT_SI_SJ_SK_E_clIPsSD_S10_SD_EESH_SX_SI_SJ_SK_EUlSX_E0_NS1_11comp_targetILNS1_3genE8ELNS1_11target_archE1030ELNS1_3gpuE2ELNS1_3repE0EEENS1_38merge_mergepath_config_static_selectorELNS0_4arch9wavefront6targetE1EEEvSJ_
    .private_segment_fixed_size: 0
    .sgpr_count:     6
    .sgpr_spill_count: 0
    .symbol:         _ZN7rocprim17ROCPRIM_400000_NS6detail17trampoline_kernelINS0_14default_configENS1_38merge_sort_block_merge_config_selectorIssEEZZNS1_27merge_sort_block_merge_implIS3_N6thrust23THRUST_200600_302600_NS6detail15normal_iteratorINS8_10device_ptrIsEEEESD_jNS1_19radix_merge_compareILb0ELb1EsNS0_19identity_decomposerEEEEE10hipError_tT0_T1_T2_jT3_P12ihipStream_tbPNSt15iterator_traitsISI_E10value_typeEPNSO_ISJ_E10value_typeEPSK_NS1_7vsmem_tEENKUlT_SI_SJ_SK_E_clIPsSD_S10_SD_EESH_SX_SI_SJ_SK_EUlSX_E0_NS1_11comp_targetILNS1_3genE8ELNS1_11target_archE1030ELNS1_3gpuE2ELNS1_3repE0EEENS1_38merge_mergepath_config_static_selectorELNS0_4arch9wavefront6targetE1EEEvSJ_.kd
    .uniform_work_group_size: 1
    .uses_dynamic_stack: false
    .vgpr_count:     0
    .vgpr_spill_count: 0
    .wavefront_size: 64
  - .agpr_count:     0
    .args:
      - .offset:         0
        .size:           48
        .value_kind:     by_value
    .group_segment_fixed_size: 0
    .kernarg_segment_align: 8
    .kernarg_segment_size: 48
    .language:       OpenCL C
    .language_version:
      - 2
      - 0
    .max_flat_workgroup_size: 256
    .name:           _ZN7rocprim17ROCPRIM_400000_NS6detail17trampoline_kernelINS0_14default_configENS1_38merge_sort_block_merge_config_selectorIssEEZZNS1_27merge_sort_block_merge_implIS3_N6thrust23THRUST_200600_302600_NS6detail15normal_iteratorINS8_10device_ptrIsEEEESD_jNS1_19radix_merge_compareILb0ELb1EsNS0_19identity_decomposerEEEEE10hipError_tT0_T1_T2_jT3_P12ihipStream_tbPNSt15iterator_traitsISI_E10value_typeEPNSO_ISJ_E10value_typeEPSK_NS1_7vsmem_tEENKUlT_SI_SJ_SK_E_clIPsSD_S10_SD_EESH_SX_SI_SJ_SK_EUlSX_E1_NS1_11comp_targetILNS1_3genE0ELNS1_11target_archE4294967295ELNS1_3gpuE0ELNS1_3repE0EEENS1_36merge_oddeven_config_static_selectorELNS0_4arch9wavefront6targetE1EEEvSJ_
    .private_segment_fixed_size: 0
    .sgpr_count:     30
    .sgpr_spill_count: 0
    .symbol:         _ZN7rocprim17ROCPRIM_400000_NS6detail17trampoline_kernelINS0_14default_configENS1_38merge_sort_block_merge_config_selectorIssEEZZNS1_27merge_sort_block_merge_implIS3_N6thrust23THRUST_200600_302600_NS6detail15normal_iteratorINS8_10device_ptrIsEEEESD_jNS1_19radix_merge_compareILb0ELb1EsNS0_19identity_decomposerEEEEE10hipError_tT0_T1_T2_jT3_P12ihipStream_tbPNSt15iterator_traitsISI_E10value_typeEPNSO_ISJ_E10value_typeEPSK_NS1_7vsmem_tEENKUlT_SI_SJ_SK_E_clIPsSD_S10_SD_EESH_SX_SI_SJ_SK_EUlSX_E1_NS1_11comp_targetILNS1_3genE0ELNS1_11target_archE4294967295ELNS1_3gpuE0ELNS1_3repE0EEENS1_36merge_oddeven_config_static_selectorELNS0_4arch9wavefront6targetE1EEEvSJ_.kd
    .uniform_work_group_size: 1
    .uses_dynamic_stack: false
    .vgpr_count:     10
    .vgpr_spill_count: 0
    .wavefront_size: 64
  - .agpr_count:     0
    .args:
      - .offset:         0
        .size:           48
        .value_kind:     by_value
    .group_segment_fixed_size: 0
    .kernarg_segment_align: 8
    .kernarg_segment_size: 48
    .language:       OpenCL C
    .language_version:
      - 2
      - 0
    .max_flat_workgroup_size: 256
    .name:           _ZN7rocprim17ROCPRIM_400000_NS6detail17trampoline_kernelINS0_14default_configENS1_38merge_sort_block_merge_config_selectorIssEEZZNS1_27merge_sort_block_merge_implIS3_N6thrust23THRUST_200600_302600_NS6detail15normal_iteratorINS8_10device_ptrIsEEEESD_jNS1_19radix_merge_compareILb0ELb1EsNS0_19identity_decomposerEEEEE10hipError_tT0_T1_T2_jT3_P12ihipStream_tbPNSt15iterator_traitsISI_E10value_typeEPNSO_ISJ_E10value_typeEPSK_NS1_7vsmem_tEENKUlT_SI_SJ_SK_E_clIPsSD_S10_SD_EESH_SX_SI_SJ_SK_EUlSX_E1_NS1_11comp_targetILNS1_3genE10ELNS1_11target_archE1201ELNS1_3gpuE5ELNS1_3repE0EEENS1_36merge_oddeven_config_static_selectorELNS0_4arch9wavefront6targetE1EEEvSJ_
    .private_segment_fixed_size: 0
    .sgpr_count:     6
    .sgpr_spill_count: 0
    .symbol:         _ZN7rocprim17ROCPRIM_400000_NS6detail17trampoline_kernelINS0_14default_configENS1_38merge_sort_block_merge_config_selectorIssEEZZNS1_27merge_sort_block_merge_implIS3_N6thrust23THRUST_200600_302600_NS6detail15normal_iteratorINS8_10device_ptrIsEEEESD_jNS1_19radix_merge_compareILb0ELb1EsNS0_19identity_decomposerEEEEE10hipError_tT0_T1_T2_jT3_P12ihipStream_tbPNSt15iterator_traitsISI_E10value_typeEPNSO_ISJ_E10value_typeEPSK_NS1_7vsmem_tEENKUlT_SI_SJ_SK_E_clIPsSD_S10_SD_EESH_SX_SI_SJ_SK_EUlSX_E1_NS1_11comp_targetILNS1_3genE10ELNS1_11target_archE1201ELNS1_3gpuE5ELNS1_3repE0EEENS1_36merge_oddeven_config_static_selectorELNS0_4arch9wavefront6targetE1EEEvSJ_.kd
    .uniform_work_group_size: 1
    .uses_dynamic_stack: false
    .vgpr_count:     0
    .vgpr_spill_count: 0
    .wavefront_size: 64
  - .agpr_count:     0
    .args:
      - .offset:         0
        .size:           48
        .value_kind:     by_value
    .group_segment_fixed_size: 0
    .kernarg_segment_align: 8
    .kernarg_segment_size: 48
    .language:       OpenCL C
    .language_version:
      - 2
      - 0
    .max_flat_workgroup_size: 256
    .name:           _ZN7rocprim17ROCPRIM_400000_NS6detail17trampoline_kernelINS0_14default_configENS1_38merge_sort_block_merge_config_selectorIssEEZZNS1_27merge_sort_block_merge_implIS3_N6thrust23THRUST_200600_302600_NS6detail15normal_iteratorINS8_10device_ptrIsEEEESD_jNS1_19radix_merge_compareILb0ELb1EsNS0_19identity_decomposerEEEEE10hipError_tT0_T1_T2_jT3_P12ihipStream_tbPNSt15iterator_traitsISI_E10value_typeEPNSO_ISJ_E10value_typeEPSK_NS1_7vsmem_tEENKUlT_SI_SJ_SK_E_clIPsSD_S10_SD_EESH_SX_SI_SJ_SK_EUlSX_E1_NS1_11comp_targetILNS1_3genE5ELNS1_11target_archE942ELNS1_3gpuE9ELNS1_3repE0EEENS1_36merge_oddeven_config_static_selectorELNS0_4arch9wavefront6targetE1EEEvSJ_
    .private_segment_fixed_size: 0
    .sgpr_count:     6
    .sgpr_spill_count: 0
    .symbol:         _ZN7rocprim17ROCPRIM_400000_NS6detail17trampoline_kernelINS0_14default_configENS1_38merge_sort_block_merge_config_selectorIssEEZZNS1_27merge_sort_block_merge_implIS3_N6thrust23THRUST_200600_302600_NS6detail15normal_iteratorINS8_10device_ptrIsEEEESD_jNS1_19radix_merge_compareILb0ELb1EsNS0_19identity_decomposerEEEEE10hipError_tT0_T1_T2_jT3_P12ihipStream_tbPNSt15iterator_traitsISI_E10value_typeEPNSO_ISJ_E10value_typeEPSK_NS1_7vsmem_tEENKUlT_SI_SJ_SK_E_clIPsSD_S10_SD_EESH_SX_SI_SJ_SK_EUlSX_E1_NS1_11comp_targetILNS1_3genE5ELNS1_11target_archE942ELNS1_3gpuE9ELNS1_3repE0EEENS1_36merge_oddeven_config_static_selectorELNS0_4arch9wavefront6targetE1EEEvSJ_.kd
    .uniform_work_group_size: 1
    .uses_dynamic_stack: false
    .vgpr_count:     0
    .vgpr_spill_count: 0
    .wavefront_size: 64
  - .agpr_count:     0
    .args:
      - .offset:         0
        .size:           48
        .value_kind:     by_value
    .group_segment_fixed_size: 0
    .kernarg_segment_align: 8
    .kernarg_segment_size: 48
    .language:       OpenCL C
    .language_version:
      - 2
      - 0
    .max_flat_workgroup_size: 256
    .name:           _ZN7rocprim17ROCPRIM_400000_NS6detail17trampoline_kernelINS0_14default_configENS1_38merge_sort_block_merge_config_selectorIssEEZZNS1_27merge_sort_block_merge_implIS3_N6thrust23THRUST_200600_302600_NS6detail15normal_iteratorINS8_10device_ptrIsEEEESD_jNS1_19radix_merge_compareILb0ELb1EsNS0_19identity_decomposerEEEEE10hipError_tT0_T1_T2_jT3_P12ihipStream_tbPNSt15iterator_traitsISI_E10value_typeEPNSO_ISJ_E10value_typeEPSK_NS1_7vsmem_tEENKUlT_SI_SJ_SK_E_clIPsSD_S10_SD_EESH_SX_SI_SJ_SK_EUlSX_E1_NS1_11comp_targetILNS1_3genE4ELNS1_11target_archE910ELNS1_3gpuE8ELNS1_3repE0EEENS1_36merge_oddeven_config_static_selectorELNS0_4arch9wavefront6targetE1EEEvSJ_
    .private_segment_fixed_size: 0
    .sgpr_count:     6
    .sgpr_spill_count: 0
    .symbol:         _ZN7rocprim17ROCPRIM_400000_NS6detail17trampoline_kernelINS0_14default_configENS1_38merge_sort_block_merge_config_selectorIssEEZZNS1_27merge_sort_block_merge_implIS3_N6thrust23THRUST_200600_302600_NS6detail15normal_iteratorINS8_10device_ptrIsEEEESD_jNS1_19radix_merge_compareILb0ELb1EsNS0_19identity_decomposerEEEEE10hipError_tT0_T1_T2_jT3_P12ihipStream_tbPNSt15iterator_traitsISI_E10value_typeEPNSO_ISJ_E10value_typeEPSK_NS1_7vsmem_tEENKUlT_SI_SJ_SK_E_clIPsSD_S10_SD_EESH_SX_SI_SJ_SK_EUlSX_E1_NS1_11comp_targetILNS1_3genE4ELNS1_11target_archE910ELNS1_3gpuE8ELNS1_3repE0EEENS1_36merge_oddeven_config_static_selectorELNS0_4arch9wavefront6targetE1EEEvSJ_.kd
    .uniform_work_group_size: 1
    .uses_dynamic_stack: false
    .vgpr_count:     0
    .vgpr_spill_count: 0
    .wavefront_size: 64
  - .agpr_count:     0
    .args:
      - .offset:         0
        .size:           48
        .value_kind:     by_value
    .group_segment_fixed_size: 0
    .kernarg_segment_align: 8
    .kernarg_segment_size: 48
    .language:       OpenCL C
    .language_version:
      - 2
      - 0
    .max_flat_workgroup_size: 256
    .name:           _ZN7rocprim17ROCPRIM_400000_NS6detail17trampoline_kernelINS0_14default_configENS1_38merge_sort_block_merge_config_selectorIssEEZZNS1_27merge_sort_block_merge_implIS3_N6thrust23THRUST_200600_302600_NS6detail15normal_iteratorINS8_10device_ptrIsEEEESD_jNS1_19radix_merge_compareILb0ELb1EsNS0_19identity_decomposerEEEEE10hipError_tT0_T1_T2_jT3_P12ihipStream_tbPNSt15iterator_traitsISI_E10value_typeEPNSO_ISJ_E10value_typeEPSK_NS1_7vsmem_tEENKUlT_SI_SJ_SK_E_clIPsSD_S10_SD_EESH_SX_SI_SJ_SK_EUlSX_E1_NS1_11comp_targetILNS1_3genE3ELNS1_11target_archE908ELNS1_3gpuE7ELNS1_3repE0EEENS1_36merge_oddeven_config_static_selectorELNS0_4arch9wavefront6targetE1EEEvSJ_
    .private_segment_fixed_size: 0
    .sgpr_count:     6
    .sgpr_spill_count: 0
    .symbol:         _ZN7rocprim17ROCPRIM_400000_NS6detail17trampoline_kernelINS0_14default_configENS1_38merge_sort_block_merge_config_selectorIssEEZZNS1_27merge_sort_block_merge_implIS3_N6thrust23THRUST_200600_302600_NS6detail15normal_iteratorINS8_10device_ptrIsEEEESD_jNS1_19radix_merge_compareILb0ELb1EsNS0_19identity_decomposerEEEEE10hipError_tT0_T1_T2_jT3_P12ihipStream_tbPNSt15iterator_traitsISI_E10value_typeEPNSO_ISJ_E10value_typeEPSK_NS1_7vsmem_tEENKUlT_SI_SJ_SK_E_clIPsSD_S10_SD_EESH_SX_SI_SJ_SK_EUlSX_E1_NS1_11comp_targetILNS1_3genE3ELNS1_11target_archE908ELNS1_3gpuE7ELNS1_3repE0EEENS1_36merge_oddeven_config_static_selectorELNS0_4arch9wavefront6targetE1EEEvSJ_.kd
    .uniform_work_group_size: 1
    .uses_dynamic_stack: false
    .vgpr_count:     0
    .vgpr_spill_count: 0
    .wavefront_size: 64
  - .agpr_count:     0
    .args:
      - .offset:         0
        .size:           48
        .value_kind:     by_value
    .group_segment_fixed_size: 0
    .kernarg_segment_align: 8
    .kernarg_segment_size: 48
    .language:       OpenCL C
    .language_version:
      - 2
      - 0
    .max_flat_workgroup_size: 256
    .name:           _ZN7rocprim17ROCPRIM_400000_NS6detail17trampoline_kernelINS0_14default_configENS1_38merge_sort_block_merge_config_selectorIssEEZZNS1_27merge_sort_block_merge_implIS3_N6thrust23THRUST_200600_302600_NS6detail15normal_iteratorINS8_10device_ptrIsEEEESD_jNS1_19radix_merge_compareILb0ELb1EsNS0_19identity_decomposerEEEEE10hipError_tT0_T1_T2_jT3_P12ihipStream_tbPNSt15iterator_traitsISI_E10value_typeEPNSO_ISJ_E10value_typeEPSK_NS1_7vsmem_tEENKUlT_SI_SJ_SK_E_clIPsSD_S10_SD_EESH_SX_SI_SJ_SK_EUlSX_E1_NS1_11comp_targetILNS1_3genE2ELNS1_11target_archE906ELNS1_3gpuE6ELNS1_3repE0EEENS1_36merge_oddeven_config_static_selectorELNS0_4arch9wavefront6targetE1EEEvSJ_
    .private_segment_fixed_size: 0
    .sgpr_count:     6
    .sgpr_spill_count: 0
    .symbol:         _ZN7rocprim17ROCPRIM_400000_NS6detail17trampoline_kernelINS0_14default_configENS1_38merge_sort_block_merge_config_selectorIssEEZZNS1_27merge_sort_block_merge_implIS3_N6thrust23THRUST_200600_302600_NS6detail15normal_iteratorINS8_10device_ptrIsEEEESD_jNS1_19radix_merge_compareILb0ELb1EsNS0_19identity_decomposerEEEEE10hipError_tT0_T1_T2_jT3_P12ihipStream_tbPNSt15iterator_traitsISI_E10value_typeEPNSO_ISJ_E10value_typeEPSK_NS1_7vsmem_tEENKUlT_SI_SJ_SK_E_clIPsSD_S10_SD_EESH_SX_SI_SJ_SK_EUlSX_E1_NS1_11comp_targetILNS1_3genE2ELNS1_11target_archE906ELNS1_3gpuE6ELNS1_3repE0EEENS1_36merge_oddeven_config_static_selectorELNS0_4arch9wavefront6targetE1EEEvSJ_.kd
    .uniform_work_group_size: 1
    .uses_dynamic_stack: false
    .vgpr_count:     0
    .vgpr_spill_count: 0
    .wavefront_size: 64
  - .agpr_count:     0
    .args:
      - .offset:         0
        .size:           48
        .value_kind:     by_value
    .group_segment_fixed_size: 0
    .kernarg_segment_align: 8
    .kernarg_segment_size: 48
    .language:       OpenCL C
    .language_version:
      - 2
      - 0
    .max_flat_workgroup_size: 256
    .name:           _ZN7rocprim17ROCPRIM_400000_NS6detail17trampoline_kernelINS0_14default_configENS1_38merge_sort_block_merge_config_selectorIssEEZZNS1_27merge_sort_block_merge_implIS3_N6thrust23THRUST_200600_302600_NS6detail15normal_iteratorINS8_10device_ptrIsEEEESD_jNS1_19radix_merge_compareILb0ELb1EsNS0_19identity_decomposerEEEEE10hipError_tT0_T1_T2_jT3_P12ihipStream_tbPNSt15iterator_traitsISI_E10value_typeEPNSO_ISJ_E10value_typeEPSK_NS1_7vsmem_tEENKUlT_SI_SJ_SK_E_clIPsSD_S10_SD_EESH_SX_SI_SJ_SK_EUlSX_E1_NS1_11comp_targetILNS1_3genE9ELNS1_11target_archE1100ELNS1_3gpuE3ELNS1_3repE0EEENS1_36merge_oddeven_config_static_selectorELNS0_4arch9wavefront6targetE1EEEvSJ_
    .private_segment_fixed_size: 0
    .sgpr_count:     6
    .sgpr_spill_count: 0
    .symbol:         _ZN7rocprim17ROCPRIM_400000_NS6detail17trampoline_kernelINS0_14default_configENS1_38merge_sort_block_merge_config_selectorIssEEZZNS1_27merge_sort_block_merge_implIS3_N6thrust23THRUST_200600_302600_NS6detail15normal_iteratorINS8_10device_ptrIsEEEESD_jNS1_19radix_merge_compareILb0ELb1EsNS0_19identity_decomposerEEEEE10hipError_tT0_T1_T2_jT3_P12ihipStream_tbPNSt15iterator_traitsISI_E10value_typeEPNSO_ISJ_E10value_typeEPSK_NS1_7vsmem_tEENKUlT_SI_SJ_SK_E_clIPsSD_S10_SD_EESH_SX_SI_SJ_SK_EUlSX_E1_NS1_11comp_targetILNS1_3genE9ELNS1_11target_archE1100ELNS1_3gpuE3ELNS1_3repE0EEENS1_36merge_oddeven_config_static_selectorELNS0_4arch9wavefront6targetE1EEEvSJ_.kd
    .uniform_work_group_size: 1
    .uses_dynamic_stack: false
    .vgpr_count:     0
    .vgpr_spill_count: 0
    .wavefront_size: 64
  - .agpr_count:     0
    .args:
      - .offset:         0
        .size:           48
        .value_kind:     by_value
    .group_segment_fixed_size: 0
    .kernarg_segment_align: 8
    .kernarg_segment_size: 48
    .language:       OpenCL C
    .language_version:
      - 2
      - 0
    .max_flat_workgroup_size: 256
    .name:           _ZN7rocprim17ROCPRIM_400000_NS6detail17trampoline_kernelINS0_14default_configENS1_38merge_sort_block_merge_config_selectorIssEEZZNS1_27merge_sort_block_merge_implIS3_N6thrust23THRUST_200600_302600_NS6detail15normal_iteratorINS8_10device_ptrIsEEEESD_jNS1_19radix_merge_compareILb0ELb1EsNS0_19identity_decomposerEEEEE10hipError_tT0_T1_T2_jT3_P12ihipStream_tbPNSt15iterator_traitsISI_E10value_typeEPNSO_ISJ_E10value_typeEPSK_NS1_7vsmem_tEENKUlT_SI_SJ_SK_E_clIPsSD_S10_SD_EESH_SX_SI_SJ_SK_EUlSX_E1_NS1_11comp_targetILNS1_3genE8ELNS1_11target_archE1030ELNS1_3gpuE2ELNS1_3repE0EEENS1_36merge_oddeven_config_static_selectorELNS0_4arch9wavefront6targetE1EEEvSJ_
    .private_segment_fixed_size: 0
    .sgpr_count:     6
    .sgpr_spill_count: 0
    .symbol:         _ZN7rocprim17ROCPRIM_400000_NS6detail17trampoline_kernelINS0_14default_configENS1_38merge_sort_block_merge_config_selectorIssEEZZNS1_27merge_sort_block_merge_implIS3_N6thrust23THRUST_200600_302600_NS6detail15normal_iteratorINS8_10device_ptrIsEEEESD_jNS1_19radix_merge_compareILb0ELb1EsNS0_19identity_decomposerEEEEE10hipError_tT0_T1_T2_jT3_P12ihipStream_tbPNSt15iterator_traitsISI_E10value_typeEPNSO_ISJ_E10value_typeEPSK_NS1_7vsmem_tEENKUlT_SI_SJ_SK_E_clIPsSD_S10_SD_EESH_SX_SI_SJ_SK_EUlSX_E1_NS1_11comp_targetILNS1_3genE8ELNS1_11target_archE1030ELNS1_3gpuE2ELNS1_3repE0EEENS1_36merge_oddeven_config_static_selectorELNS0_4arch9wavefront6targetE1EEEvSJ_.kd
    .uniform_work_group_size: 1
    .uses_dynamic_stack: false
    .vgpr_count:     0
    .vgpr_spill_count: 0
    .wavefront_size: 64
  - .agpr_count:     0
    .args:
      - .offset:         0
        .size:           40
        .value_kind:     by_value
    .group_segment_fixed_size: 0
    .kernarg_segment_align: 8
    .kernarg_segment_size: 40
    .language:       OpenCL C
    .language_version:
      - 2
      - 0
    .max_flat_workgroup_size: 128
    .name:           _ZN7rocprim17ROCPRIM_400000_NS6detail17trampoline_kernelINS0_14default_configENS1_38merge_sort_block_merge_config_selectorIssEEZZNS1_27merge_sort_block_merge_implIS3_N6thrust23THRUST_200600_302600_NS6detail15normal_iteratorINS8_10device_ptrIsEEEESD_jNS1_19radix_merge_compareILb0ELb1EsNS0_19identity_decomposerEEEEE10hipError_tT0_T1_T2_jT3_P12ihipStream_tbPNSt15iterator_traitsISI_E10value_typeEPNSO_ISJ_E10value_typeEPSK_NS1_7vsmem_tEENKUlT_SI_SJ_SK_E_clISD_PsSD_S10_EESH_SX_SI_SJ_SK_EUlSX_E_NS1_11comp_targetILNS1_3genE0ELNS1_11target_archE4294967295ELNS1_3gpuE0ELNS1_3repE0EEENS1_48merge_mergepath_partition_config_static_selectorELNS0_4arch9wavefront6targetE1EEEvSJ_
    .private_segment_fixed_size: 0
    .sgpr_count:     16
    .sgpr_spill_count: 0
    .symbol:         _ZN7rocprim17ROCPRIM_400000_NS6detail17trampoline_kernelINS0_14default_configENS1_38merge_sort_block_merge_config_selectorIssEEZZNS1_27merge_sort_block_merge_implIS3_N6thrust23THRUST_200600_302600_NS6detail15normal_iteratorINS8_10device_ptrIsEEEESD_jNS1_19radix_merge_compareILb0ELb1EsNS0_19identity_decomposerEEEEE10hipError_tT0_T1_T2_jT3_P12ihipStream_tbPNSt15iterator_traitsISI_E10value_typeEPNSO_ISJ_E10value_typeEPSK_NS1_7vsmem_tEENKUlT_SI_SJ_SK_E_clISD_PsSD_S10_EESH_SX_SI_SJ_SK_EUlSX_E_NS1_11comp_targetILNS1_3genE0ELNS1_11target_archE4294967295ELNS1_3gpuE0ELNS1_3repE0EEENS1_48merge_mergepath_partition_config_static_selectorELNS0_4arch9wavefront6targetE1EEEvSJ_.kd
    .uniform_work_group_size: 1
    .uses_dynamic_stack: false
    .vgpr_count:     17
    .vgpr_spill_count: 0
    .wavefront_size: 64
  - .agpr_count:     0
    .args:
      - .offset:         0
        .size:           40
        .value_kind:     by_value
    .group_segment_fixed_size: 0
    .kernarg_segment_align: 8
    .kernarg_segment_size: 40
    .language:       OpenCL C
    .language_version:
      - 2
      - 0
    .max_flat_workgroup_size: 128
    .name:           _ZN7rocprim17ROCPRIM_400000_NS6detail17trampoline_kernelINS0_14default_configENS1_38merge_sort_block_merge_config_selectorIssEEZZNS1_27merge_sort_block_merge_implIS3_N6thrust23THRUST_200600_302600_NS6detail15normal_iteratorINS8_10device_ptrIsEEEESD_jNS1_19radix_merge_compareILb0ELb1EsNS0_19identity_decomposerEEEEE10hipError_tT0_T1_T2_jT3_P12ihipStream_tbPNSt15iterator_traitsISI_E10value_typeEPNSO_ISJ_E10value_typeEPSK_NS1_7vsmem_tEENKUlT_SI_SJ_SK_E_clISD_PsSD_S10_EESH_SX_SI_SJ_SK_EUlSX_E_NS1_11comp_targetILNS1_3genE10ELNS1_11target_archE1201ELNS1_3gpuE5ELNS1_3repE0EEENS1_48merge_mergepath_partition_config_static_selectorELNS0_4arch9wavefront6targetE1EEEvSJ_
    .private_segment_fixed_size: 0
    .sgpr_count:     6
    .sgpr_spill_count: 0
    .symbol:         _ZN7rocprim17ROCPRIM_400000_NS6detail17trampoline_kernelINS0_14default_configENS1_38merge_sort_block_merge_config_selectorIssEEZZNS1_27merge_sort_block_merge_implIS3_N6thrust23THRUST_200600_302600_NS6detail15normal_iteratorINS8_10device_ptrIsEEEESD_jNS1_19radix_merge_compareILb0ELb1EsNS0_19identity_decomposerEEEEE10hipError_tT0_T1_T2_jT3_P12ihipStream_tbPNSt15iterator_traitsISI_E10value_typeEPNSO_ISJ_E10value_typeEPSK_NS1_7vsmem_tEENKUlT_SI_SJ_SK_E_clISD_PsSD_S10_EESH_SX_SI_SJ_SK_EUlSX_E_NS1_11comp_targetILNS1_3genE10ELNS1_11target_archE1201ELNS1_3gpuE5ELNS1_3repE0EEENS1_48merge_mergepath_partition_config_static_selectorELNS0_4arch9wavefront6targetE1EEEvSJ_.kd
    .uniform_work_group_size: 1
    .uses_dynamic_stack: false
    .vgpr_count:     0
    .vgpr_spill_count: 0
    .wavefront_size: 64
  - .agpr_count:     0
    .args:
      - .offset:         0
        .size:           40
        .value_kind:     by_value
    .group_segment_fixed_size: 0
    .kernarg_segment_align: 8
    .kernarg_segment_size: 40
    .language:       OpenCL C
    .language_version:
      - 2
      - 0
    .max_flat_workgroup_size: 128
    .name:           _ZN7rocprim17ROCPRIM_400000_NS6detail17trampoline_kernelINS0_14default_configENS1_38merge_sort_block_merge_config_selectorIssEEZZNS1_27merge_sort_block_merge_implIS3_N6thrust23THRUST_200600_302600_NS6detail15normal_iteratorINS8_10device_ptrIsEEEESD_jNS1_19radix_merge_compareILb0ELb1EsNS0_19identity_decomposerEEEEE10hipError_tT0_T1_T2_jT3_P12ihipStream_tbPNSt15iterator_traitsISI_E10value_typeEPNSO_ISJ_E10value_typeEPSK_NS1_7vsmem_tEENKUlT_SI_SJ_SK_E_clISD_PsSD_S10_EESH_SX_SI_SJ_SK_EUlSX_E_NS1_11comp_targetILNS1_3genE5ELNS1_11target_archE942ELNS1_3gpuE9ELNS1_3repE0EEENS1_48merge_mergepath_partition_config_static_selectorELNS0_4arch9wavefront6targetE1EEEvSJ_
    .private_segment_fixed_size: 0
    .sgpr_count:     6
    .sgpr_spill_count: 0
    .symbol:         _ZN7rocprim17ROCPRIM_400000_NS6detail17trampoline_kernelINS0_14default_configENS1_38merge_sort_block_merge_config_selectorIssEEZZNS1_27merge_sort_block_merge_implIS3_N6thrust23THRUST_200600_302600_NS6detail15normal_iteratorINS8_10device_ptrIsEEEESD_jNS1_19radix_merge_compareILb0ELb1EsNS0_19identity_decomposerEEEEE10hipError_tT0_T1_T2_jT3_P12ihipStream_tbPNSt15iterator_traitsISI_E10value_typeEPNSO_ISJ_E10value_typeEPSK_NS1_7vsmem_tEENKUlT_SI_SJ_SK_E_clISD_PsSD_S10_EESH_SX_SI_SJ_SK_EUlSX_E_NS1_11comp_targetILNS1_3genE5ELNS1_11target_archE942ELNS1_3gpuE9ELNS1_3repE0EEENS1_48merge_mergepath_partition_config_static_selectorELNS0_4arch9wavefront6targetE1EEEvSJ_.kd
    .uniform_work_group_size: 1
    .uses_dynamic_stack: false
    .vgpr_count:     0
    .vgpr_spill_count: 0
    .wavefront_size: 64
  - .agpr_count:     0
    .args:
      - .offset:         0
        .size:           40
        .value_kind:     by_value
    .group_segment_fixed_size: 0
    .kernarg_segment_align: 8
    .kernarg_segment_size: 40
    .language:       OpenCL C
    .language_version:
      - 2
      - 0
    .max_flat_workgroup_size: 128
    .name:           _ZN7rocprim17ROCPRIM_400000_NS6detail17trampoline_kernelINS0_14default_configENS1_38merge_sort_block_merge_config_selectorIssEEZZNS1_27merge_sort_block_merge_implIS3_N6thrust23THRUST_200600_302600_NS6detail15normal_iteratorINS8_10device_ptrIsEEEESD_jNS1_19radix_merge_compareILb0ELb1EsNS0_19identity_decomposerEEEEE10hipError_tT0_T1_T2_jT3_P12ihipStream_tbPNSt15iterator_traitsISI_E10value_typeEPNSO_ISJ_E10value_typeEPSK_NS1_7vsmem_tEENKUlT_SI_SJ_SK_E_clISD_PsSD_S10_EESH_SX_SI_SJ_SK_EUlSX_E_NS1_11comp_targetILNS1_3genE4ELNS1_11target_archE910ELNS1_3gpuE8ELNS1_3repE0EEENS1_48merge_mergepath_partition_config_static_selectorELNS0_4arch9wavefront6targetE1EEEvSJ_
    .private_segment_fixed_size: 0
    .sgpr_count:     6
    .sgpr_spill_count: 0
    .symbol:         _ZN7rocprim17ROCPRIM_400000_NS6detail17trampoline_kernelINS0_14default_configENS1_38merge_sort_block_merge_config_selectorIssEEZZNS1_27merge_sort_block_merge_implIS3_N6thrust23THRUST_200600_302600_NS6detail15normal_iteratorINS8_10device_ptrIsEEEESD_jNS1_19radix_merge_compareILb0ELb1EsNS0_19identity_decomposerEEEEE10hipError_tT0_T1_T2_jT3_P12ihipStream_tbPNSt15iterator_traitsISI_E10value_typeEPNSO_ISJ_E10value_typeEPSK_NS1_7vsmem_tEENKUlT_SI_SJ_SK_E_clISD_PsSD_S10_EESH_SX_SI_SJ_SK_EUlSX_E_NS1_11comp_targetILNS1_3genE4ELNS1_11target_archE910ELNS1_3gpuE8ELNS1_3repE0EEENS1_48merge_mergepath_partition_config_static_selectorELNS0_4arch9wavefront6targetE1EEEvSJ_.kd
    .uniform_work_group_size: 1
    .uses_dynamic_stack: false
    .vgpr_count:     0
    .vgpr_spill_count: 0
    .wavefront_size: 64
  - .agpr_count:     0
    .args:
      - .offset:         0
        .size:           40
        .value_kind:     by_value
    .group_segment_fixed_size: 0
    .kernarg_segment_align: 8
    .kernarg_segment_size: 40
    .language:       OpenCL C
    .language_version:
      - 2
      - 0
    .max_flat_workgroup_size: 128
    .name:           _ZN7rocprim17ROCPRIM_400000_NS6detail17trampoline_kernelINS0_14default_configENS1_38merge_sort_block_merge_config_selectorIssEEZZNS1_27merge_sort_block_merge_implIS3_N6thrust23THRUST_200600_302600_NS6detail15normal_iteratorINS8_10device_ptrIsEEEESD_jNS1_19radix_merge_compareILb0ELb1EsNS0_19identity_decomposerEEEEE10hipError_tT0_T1_T2_jT3_P12ihipStream_tbPNSt15iterator_traitsISI_E10value_typeEPNSO_ISJ_E10value_typeEPSK_NS1_7vsmem_tEENKUlT_SI_SJ_SK_E_clISD_PsSD_S10_EESH_SX_SI_SJ_SK_EUlSX_E_NS1_11comp_targetILNS1_3genE3ELNS1_11target_archE908ELNS1_3gpuE7ELNS1_3repE0EEENS1_48merge_mergepath_partition_config_static_selectorELNS0_4arch9wavefront6targetE1EEEvSJ_
    .private_segment_fixed_size: 0
    .sgpr_count:     6
    .sgpr_spill_count: 0
    .symbol:         _ZN7rocprim17ROCPRIM_400000_NS6detail17trampoline_kernelINS0_14default_configENS1_38merge_sort_block_merge_config_selectorIssEEZZNS1_27merge_sort_block_merge_implIS3_N6thrust23THRUST_200600_302600_NS6detail15normal_iteratorINS8_10device_ptrIsEEEESD_jNS1_19radix_merge_compareILb0ELb1EsNS0_19identity_decomposerEEEEE10hipError_tT0_T1_T2_jT3_P12ihipStream_tbPNSt15iterator_traitsISI_E10value_typeEPNSO_ISJ_E10value_typeEPSK_NS1_7vsmem_tEENKUlT_SI_SJ_SK_E_clISD_PsSD_S10_EESH_SX_SI_SJ_SK_EUlSX_E_NS1_11comp_targetILNS1_3genE3ELNS1_11target_archE908ELNS1_3gpuE7ELNS1_3repE0EEENS1_48merge_mergepath_partition_config_static_selectorELNS0_4arch9wavefront6targetE1EEEvSJ_.kd
    .uniform_work_group_size: 1
    .uses_dynamic_stack: false
    .vgpr_count:     0
    .vgpr_spill_count: 0
    .wavefront_size: 64
  - .agpr_count:     0
    .args:
      - .offset:         0
        .size:           40
        .value_kind:     by_value
    .group_segment_fixed_size: 0
    .kernarg_segment_align: 8
    .kernarg_segment_size: 40
    .language:       OpenCL C
    .language_version:
      - 2
      - 0
    .max_flat_workgroup_size: 128
    .name:           _ZN7rocprim17ROCPRIM_400000_NS6detail17trampoline_kernelINS0_14default_configENS1_38merge_sort_block_merge_config_selectorIssEEZZNS1_27merge_sort_block_merge_implIS3_N6thrust23THRUST_200600_302600_NS6detail15normal_iteratorINS8_10device_ptrIsEEEESD_jNS1_19radix_merge_compareILb0ELb1EsNS0_19identity_decomposerEEEEE10hipError_tT0_T1_T2_jT3_P12ihipStream_tbPNSt15iterator_traitsISI_E10value_typeEPNSO_ISJ_E10value_typeEPSK_NS1_7vsmem_tEENKUlT_SI_SJ_SK_E_clISD_PsSD_S10_EESH_SX_SI_SJ_SK_EUlSX_E_NS1_11comp_targetILNS1_3genE2ELNS1_11target_archE906ELNS1_3gpuE6ELNS1_3repE0EEENS1_48merge_mergepath_partition_config_static_selectorELNS0_4arch9wavefront6targetE1EEEvSJ_
    .private_segment_fixed_size: 0
    .sgpr_count:     6
    .sgpr_spill_count: 0
    .symbol:         _ZN7rocprim17ROCPRIM_400000_NS6detail17trampoline_kernelINS0_14default_configENS1_38merge_sort_block_merge_config_selectorIssEEZZNS1_27merge_sort_block_merge_implIS3_N6thrust23THRUST_200600_302600_NS6detail15normal_iteratorINS8_10device_ptrIsEEEESD_jNS1_19radix_merge_compareILb0ELb1EsNS0_19identity_decomposerEEEEE10hipError_tT0_T1_T2_jT3_P12ihipStream_tbPNSt15iterator_traitsISI_E10value_typeEPNSO_ISJ_E10value_typeEPSK_NS1_7vsmem_tEENKUlT_SI_SJ_SK_E_clISD_PsSD_S10_EESH_SX_SI_SJ_SK_EUlSX_E_NS1_11comp_targetILNS1_3genE2ELNS1_11target_archE906ELNS1_3gpuE6ELNS1_3repE0EEENS1_48merge_mergepath_partition_config_static_selectorELNS0_4arch9wavefront6targetE1EEEvSJ_.kd
    .uniform_work_group_size: 1
    .uses_dynamic_stack: false
    .vgpr_count:     0
    .vgpr_spill_count: 0
    .wavefront_size: 64
  - .agpr_count:     0
    .args:
      - .offset:         0
        .size:           40
        .value_kind:     by_value
    .group_segment_fixed_size: 0
    .kernarg_segment_align: 8
    .kernarg_segment_size: 40
    .language:       OpenCL C
    .language_version:
      - 2
      - 0
    .max_flat_workgroup_size: 128
    .name:           _ZN7rocprim17ROCPRIM_400000_NS6detail17trampoline_kernelINS0_14default_configENS1_38merge_sort_block_merge_config_selectorIssEEZZNS1_27merge_sort_block_merge_implIS3_N6thrust23THRUST_200600_302600_NS6detail15normal_iteratorINS8_10device_ptrIsEEEESD_jNS1_19radix_merge_compareILb0ELb1EsNS0_19identity_decomposerEEEEE10hipError_tT0_T1_T2_jT3_P12ihipStream_tbPNSt15iterator_traitsISI_E10value_typeEPNSO_ISJ_E10value_typeEPSK_NS1_7vsmem_tEENKUlT_SI_SJ_SK_E_clISD_PsSD_S10_EESH_SX_SI_SJ_SK_EUlSX_E_NS1_11comp_targetILNS1_3genE9ELNS1_11target_archE1100ELNS1_3gpuE3ELNS1_3repE0EEENS1_48merge_mergepath_partition_config_static_selectorELNS0_4arch9wavefront6targetE1EEEvSJ_
    .private_segment_fixed_size: 0
    .sgpr_count:     6
    .sgpr_spill_count: 0
    .symbol:         _ZN7rocprim17ROCPRIM_400000_NS6detail17trampoline_kernelINS0_14default_configENS1_38merge_sort_block_merge_config_selectorIssEEZZNS1_27merge_sort_block_merge_implIS3_N6thrust23THRUST_200600_302600_NS6detail15normal_iteratorINS8_10device_ptrIsEEEESD_jNS1_19radix_merge_compareILb0ELb1EsNS0_19identity_decomposerEEEEE10hipError_tT0_T1_T2_jT3_P12ihipStream_tbPNSt15iterator_traitsISI_E10value_typeEPNSO_ISJ_E10value_typeEPSK_NS1_7vsmem_tEENKUlT_SI_SJ_SK_E_clISD_PsSD_S10_EESH_SX_SI_SJ_SK_EUlSX_E_NS1_11comp_targetILNS1_3genE9ELNS1_11target_archE1100ELNS1_3gpuE3ELNS1_3repE0EEENS1_48merge_mergepath_partition_config_static_selectorELNS0_4arch9wavefront6targetE1EEEvSJ_.kd
    .uniform_work_group_size: 1
    .uses_dynamic_stack: false
    .vgpr_count:     0
    .vgpr_spill_count: 0
    .wavefront_size: 64
  - .agpr_count:     0
    .args:
      - .offset:         0
        .size:           40
        .value_kind:     by_value
    .group_segment_fixed_size: 0
    .kernarg_segment_align: 8
    .kernarg_segment_size: 40
    .language:       OpenCL C
    .language_version:
      - 2
      - 0
    .max_flat_workgroup_size: 128
    .name:           _ZN7rocprim17ROCPRIM_400000_NS6detail17trampoline_kernelINS0_14default_configENS1_38merge_sort_block_merge_config_selectorIssEEZZNS1_27merge_sort_block_merge_implIS3_N6thrust23THRUST_200600_302600_NS6detail15normal_iteratorINS8_10device_ptrIsEEEESD_jNS1_19radix_merge_compareILb0ELb1EsNS0_19identity_decomposerEEEEE10hipError_tT0_T1_T2_jT3_P12ihipStream_tbPNSt15iterator_traitsISI_E10value_typeEPNSO_ISJ_E10value_typeEPSK_NS1_7vsmem_tEENKUlT_SI_SJ_SK_E_clISD_PsSD_S10_EESH_SX_SI_SJ_SK_EUlSX_E_NS1_11comp_targetILNS1_3genE8ELNS1_11target_archE1030ELNS1_3gpuE2ELNS1_3repE0EEENS1_48merge_mergepath_partition_config_static_selectorELNS0_4arch9wavefront6targetE1EEEvSJ_
    .private_segment_fixed_size: 0
    .sgpr_count:     6
    .sgpr_spill_count: 0
    .symbol:         _ZN7rocprim17ROCPRIM_400000_NS6detail17trampoline_kernelINS0_14default_configENS1_38merge_sort_block_merge_config_selectorIssEEZZNS1_27merge_sort_block_merge_implIS3_N6thrust23THRUST_200600_302600_NS6detail15normal_iteratorINS8_10device_ptrIsEEEESD_jNS1_19radix_merge_compareILb0ELb1EsNS0_19identity_decomposerEEEEE10hipError_tT0_T1_T2_jT3_P12ihipStream_tbPNSt15iterator_traitsISI_E10value_typeEPNSO_ISJ_E10value_typeEPSK_NS1_7vsmem_tEENKUlT_SI_SJ_SK_E_clISD_PsSD_S10_EESH_SX_SI_SJ_SK_EUlSX_E_NS1_11comp_targetILNS1_3genE8ELNS1_11target_archE1030ELNS1_3gpuE2ELNS1_3repE0EEENS1_48merge_mergepath_partition_config_static_selectorELNS0_4arch9wavefront6targetE1EEEvSJ_.kd
    .uniform_work_group_size: 1
    .uses_dynamic_stack: false
    .vgpr_count:     0
    .vgpr_spill_count: 0
    .wavefront_size: 64
  - .agpr_count:     0
    .args:
      - .offset:         0
        .size:           64
        .value_kind:     by_value
      - .offset:         64
        .size:           4
        .value_kind:     hidden_block_count_x
      - .offset:         68
        .size:           4
        .value_kind:     hidden_block_count_y
      - .offset:         72
        .size:           4
        .value_kind:     hidden_block_count_z
      - .offset:         76
        .size:           2
        .value_kind:     hidden_group_size_x
      - .offset:         78
        .size:           2
        .value_kind:     hidden_group_size_y
      - .offset:         80
        .size:           2
        .value_kind:     hidden_group_size_z
      - .offset:         82
        .size:           2
        .value_kind:     hidden_remainder_x
      - .offset:         84
        .size:           2
        .value_kind:     hidden_remainder_y
      - .offset:         86
        .size:           2
        .value_kind:     hidden_remainder_z
      - .offset:         104
        .size:           8
        .value_kind:     hidden_global_offset_x
      - .offset:         112
        .size:           8
        .value_kind:     hidden_global_offset_y
      - .offset:         120
        .size:           8
        .value_kind:     hidden_global_offset_z
      - .offset:         128
        .size:           2
        .value_kind:     hidden_grid_dims
    .group_segment_fixed_size: 2112
    .kernarg_segment_align: 8
    .kernarg_segment_size: 320
    .language:       OpenCL C
    .language_version:
      - 2
      - 0
    .max_flat_workgroup_size: 128
    .name:           _ZN7rocprim17ROCPRIM_400000_NS6detail17trampoline_kernelINS0_14default_configENS1_38merge_sort_block_merge_config_selectorIssEEZZNS1_27merge_sort_block_merge_implIS3_N6thrust23THRUST_200600_302600_NS6detail15normal_iteratorINS8_10device_ptrIsEEEESD_jNS1_19radix_merge_compareILb0ELb1EsNS0_19identity_decomposerEEEEE10hipError_tT0_T1_T2_jT3_P12ihipStream_tbPNSt15iterator_traitsISI_E10value_typeEPNSO_ISJ_E10value_typeEPSK_NS1_7vsmem_tEENKUlT_SI_SJ_SK_E_clISD_PsSD_S10_EESH_SX_SI_SJ_SK_EUlSX_E0_NS1_11comp_targetILNS1_3genE0ELNS1_11target_archE4294967295ELNS1_3gpuE0ELNS1_3repE0EEENS1_38merge_mergepath_config_static_selectorELNS0_4arch9wavefront6targetE1EEEvSJ_
    .private_segment_fixed_size: 0
    .sgpr_count:     38
    .sgpr_spill_count: 0
    .symbol:         _ZN7rocprim17ROCPRIM_400000_NS6detail17trampoline_kernelINS0_14default_configENS1_38merge_sort_block_merge_config_selectorIssEEZZNS1_27merge_sort_block_merge_implIS3_N6thrust23THRUST_200600_302600_NS6detail15normal_iteratorINS8_10device_ptrIsEEEESD_jNS1_19radix_merge_compareILb0ELb1EsNS0_19identity_decomposerEEEEE10hipError_tT0_T1_T2_jT3_P12ihipStream_tbPNSt15iterator_traitsISI_E10value_typeEPNSO_ISJ_E10value_typeEPSK_NS1_7vsmem_tEENKUlT_SI_SJ_SK_E_clISD_PsSD_S10_EESH_SX_SI_SJ_SK_EUlSX_E0_NS1_11comp_targetILNS1_3genE0ELNS1_11target_archE4294967295ELNS1_3gpuE0ELNS1_3repE0EEENS1_38merge_mergepath_config_static_selectorELNS0_4arch9wavefront6targetE1EEEvSJ_.kd
    .uniform_work_group_size: 1
    .uses_dynamic_stack: false
    .vgpr_count:     36
    .vgpr_spill_count: 0
    .wavefront_size: 64
  - .agpr_count:     0
    .args:
      - .offset:         0
        .size:           64
        .value_kind:     by_value
    .group_segment_fixed_size: 0
    .kernarg_segment_align: 8
    .kernarg_segment_size: 64
    .language:       OpenCL C
    .language_version:
      - 2
      - 0
    .max_flat_workgroup_size: 128
    .name:           _ZN7rocprim17ROCPRIM_400000_NS6detail17trampoline_kernelINS0_14default_configENS1_38merge_sort_block_merge_config_selectorIssEEZZNS1_27merge_sort_block_merge_implIS3_N6thrust23THRUST_200600_302600_NS6detail15normal_iteratorINS8_10device_ptrIsEEEESD_jNS1_19radix_merge_compareILb0ELb1EsNS0_19identity_decomposerEEEEE10hipError_tT0_T1_T2_jT3_P12ihipStream_tbPNSt15iterator_traitsISI_E10value_typeEPNSO_ISJ_E10value_typeEPSK_NS1_7vsmem_tEENKUlT_SI_SJ_SK_E_clISD_PsSD_S10_EESH_SX_SI_SJ_SK_EUlSX_E0_NS1_11comp_targetILNS1_3genE10ELNS1_11target_archE1201ELNS1_3gpuE5ELNS1_3repE0EEENS1_38merge_mergepath_config_static_selectorELNS0_4arch9wavefront6targetE1EEEvSJ_
    .private_segment_fixed_size: 0
    .sgpr_count:     6
    .sgpr_spill_count: 0
    .symbol:         _ZN7rocprim17ROCPRIM_400000_NS6detail17trampoline_kernelINS0_14default_configENS1_38merge_sort_block_merge_config_selectorIssEEZZNS1_27merge_sort_block_merge_implIS3_N6thrust23THRUST_200600_302600_NS6detail15normal_iteratorINS8_10device_ptrIsEEEESD_jNS1_19radix_merge_compareILb0ELb1EsNS0_19identity_decomposerEEEEE10hipError_tT0_T1_T2_jT3_P12ihipStream_tbPNSt15iterator_traitsISI_E10value_typeEPNSO_ISJ_E10value_typeEPSK_NS1_7vsmem_tEENKUlT_SI_SJ_SK_E_clISD_PsSD_S10_EESH_SX_SI_SJ_SK_EUlSX_E0_NS1_11comp_targetILNS1_3genE10ELNS1_11target_archE1201ELNS1_3gpuE5ELNS1_3repE0EEENS1_38merge_mergepath_config_static_selectorELNS0_4arch9wavefront6targetE1EEEvSJ_.kd
    .uniform_work_group_size: 1
    .uses_dynamic_stack: false
    .vgpr_count:     0
    .vgpr_spill_count: 0
    .wavefront_size: 64
  - .agpr_count:     0
    .args:
      - .offset:         0
        .size:           64
        .value_kind:     by_value
    .group_segment_fixed_size: 0
    .kernarg_segment_align: 8
    .kernarg_segment_size: 64
    .language:       OpenCL C
    .language_version:
      - 2
      - 0
    .max_flat_workgroup_size: 128
    .name:           _ZN7rocprim17ROCPRIM_400000_NS6detail17trampoline_kernelINS0_14default_configENS1_38merge_sort_block_merge_config_selectorIssEEZZNS1_27merge_sort_block_merge_implIS3_N6thrust23THRUST_200600_302600_NS6detail15normal_iteratorINS8_10device_ptrIsEEEESD_jNS1_19radix_merge_compareILb0ELb1EsNS0_19identity_decomposerEEEEE10hipError_tT0_T1_T2_jT3_P12ihipStream_tbPNSt15iterator_traitsISI_E10value_typeEPNSO_ISJ_E10value_typeEPSK_NS1_7vsmem_tEENKUlT_SI_SJ_SK_E_clISD_PsSD_S10_EESH_SX_SI_SJ_SK_EUlSX_E0_NS1_11comp_targetILNS1_3genE5ELNS1_11target_archE942ELNS1_3gpuE9ELNS1_3repE0EEENS1_38merge_mergepath_config_static_selectorELNS0_4arch9wavefront6targetE1EEEvSJ_
    .private_segment_fixed_size: 0
    .sgpr_count:     6
    .sgpr_spill_count: 0
    .symbol:         _ZN7rocprim17ROCPRIM_400000_NS6detail17trampoline_kernelINS0_14default_configENS1_38merge_sort_block_merge_config_selectorIssEEZZNS1_27merge_sort_block_merge_implIS3_N6thrust23THRUST_200600_302600_NS6detail15normal_iteratorINS8_10device_ptrIsEEEESD_jNS1_19radix_merge_compareILb0ELb1EsNS0_19identity_decomposerEEEEE10hipError_tT0_T1_T2_jT3_P12ihipStream_tbPNSt15iterator_traitsISI_E10value_typeEPNSO_ISJ_E10value_typeEPSK_NS1_7vsmem_tEENKUlT_SI_SJ_SK_E_clISD_PsSD_S10_EESH_SX_SI_SJ_SK_EUlSX_E0_NS1_11comp_targetILNS1_3genE5ELNS1_11target_archE942ELNS1_3gpuE9ELNS1_3repE0EEENS1_38merge_mergepath_config_static_selectorELNS0_4arch9wavefront6targetE1EEEvSJ_.kd
    .uniform_work_group_size: 1
    .uses_dynamic_stack: false
    .vgpr_count:     0
    .vgpr_spill_count: 0
    .wavefront_size: 64
  - .agpr_count:     0
    .args:
      - .offset:         0
        .size:           64
        .value_kind:     by_value
    .group_segment_fixed_size: 0
    .kernarg_segment_align: 8
    .kernarg_segment_size: 64
    .language:       OpenCL C
    .language_version:
      - 2
      - 0
    .max_flat_workgroup_size: 128
    .name:           _ZN7rocprim17ROCPRIM_400000_NS6detail17trampoline_kernelINS0_14default_configENS1_38merge_sort_block_merge_config_selectorIssEEZZNS1_27merge_sort_block_merge_implIS3_N6thrust23THRUST_200600_302600_NS6detail15normal_iteratorINS8_10device_ptrIsEEEESD_jNS1_19radix_merge_compareILb0ELb1EsNS0_19identity_decomposerEEEEE10hipError_tT0_T1_T2_jT3_P12ihipStream_tbPNSt15iterator_traitsISI_E10value_typeEPNSO_ISJ_E10value_typeEPSK_NS1_7vsmem_tEENKUlT_SI_SJ_SK_E_clISD_PsSD_S10_EESH_SX_SI_SJ_SK_EUlSX_E0_NS1_11comp_targetILNS1_3genE4ELNS1_11target_archE910ELNS1_3gpuE8ELNS1_3repE0EEENS1_38merge_mergepath_config_static_selectorELNS0_4arch9wavefront6targetE1EEEvSJ_
    .private_segment_fixed_size: 0
    .sgpr_count:     6
    .sgpr_spill_count: 0
    .symbol:         _ZN7rocprim17ROCPRIM_400000_NS6detail17trampoline_kernelINS0_14default_configENS1_38merge_sort_block_merge_config_selectorIssEEZZNS1_27merge_sort_block_merge_implIS3_N6thrust23THRUST_200600_302600_NS6detail15normal_iteratorINS8_10device_ptrIsEEEESD_jNS1_19radix_merge_compareILb0ELb1EsNS0_19identity_decomposerEEEEE10hipError_tT0_T1_T2_jT3_P12ihipStream_tbPNSt15iterator_traitsISI_E10value_typeEPNSO_ISJ_E10value_typeEPSK_NS1_7vsmem_tEENKUlT_SI_SJ_SK_E_clISD_PsSD_S10_EESH_SX_SI_SJ_SK_EUlSX_E0_NS1_11comp_targetILNS1_3genE4ELNS1_11target_archE910ELNS1_3gpuE8ELNS1_3repE0EEENS1_38merge_mergepath_config_static_selectorELNS0_4arch9wavefront6targetE1EEEvSJ_.kd
    .uniform_work_group_size: 1
    .uses_dynamic_stack: false
    .vgpr_count:     0
    .vgpr_spill_count: 0
    .wavefront_size: 64
  - .agpr_count:     0
    .args:
      - .offset:         0
        .size:           64
        .value_kind:     by_value
    .group_segment_fixed_size: 0
    .kernarg_segment_align: 8
    .kernarg_segment_size: 64
    .language:       OpenCL C
    .language_version:
      - 2
      - 0
    .max_flat_workgroup_size: 128
    .name:           _ZN7rocprim17ROCPRIM_400000_NS6detail17trampoline_kernelINS0_14default_configENS1_38merge_sort_block_merge_config_selectorIssEEZZNS1_27merge_sort_block_merge_implIS3_N6thrust23THRUST_200600_302600_NS6detail15normal_iteratorINS8_10device_ptrIsEEEESD_jNS1_19radix_merge_compareILb0ELb1EsNS0_19identity_decomposerEEEEE10hipError_tT0_T1_T2_jT3_P12ihipStream_tbPNSt15iterator_traitsISI_E10value_typeEPNSO_ISJ_E10value_typeEPSK_NS1_7vsmem_tEENKUlT_SI_SJ_SK_E_clISD_PsSD_S10_EESH_SX_SI_SJ_SK_EUlSX_E0_NS1_11comp_targetILNS1_3genE3ELNS1_11target_archE908ELNS1_3gpuE7ELNS1_3repE0EEENS1_38merge_mergepath_config_static_selectorELNS0_4arch9wavefront6targetE1EEEvSJ_
    .private_segment_fixed_size: 0
    .sgpr_count:     6
    .sgpr_spill_count: 0
    .symbol:         _ZN7rocprim17ROCPRIM_400000_NS6detail17trampoline_kernelINS0_14default_configENS1_38merge_sort_block_merge_config_selectorIssEEZZNS1_27merge_sort_block_merge_implIS3_N6thrust23THRUST_200600_302600_NS6detail15normal_iteratorINS8_10device_ptrIsEEEESD_jNS1_19radix_merge_compareILb0ELb1EsNS0_19identity_decomposerEEEEE10hipError_tT0_T1_T2_jT3_P12ihipStream_tbPNSt15iterator_traitsISI_E10value_typeEPNSO_ISJ_E10value_typeEPSK_NS1_7vsmem_tEENKUlT_SI_SJ_SK_E_clISD_PsSD_S10_EESH_SX_SI_SJ_SK_EUlSX_E0_NS1_11comp_targetILNS1_3genE3ELNS1_11target_archE908ELNS1_3gpuE7ELNS1_3repE0EEENS1_38merge_mergepath_config_static_selectorELNS0_4arch9wavefront6targetE1EEEvSJ_.kd
    .uniform_work_group_size: 1
    .uses_dynamic_stack: false
    .vgpr_count:     0
    .vgpr_spill_count: 0
    .wavefront_size: 64
  - .agpr_count:     0
    .args:
      - .offset:         0
        .size:           64
        .value_kind:     by_value
    .group_segment_fixed_size: 0
    .kernarg_segment_align: 8
    .kernarg_segment_size: 64
    .language:       OpenCL C
    .language_version:
      - 2
      - 0
    .max_flat_workgroup_size: 128
    .name:           _ZN7rocprim17ROCPRIM_400000_NS6detail17trampoline_kernelINS0_14default_configENS1_38merge_sort_block_merge_config_selectorIssEEZZNS1_27merge_sort_block_merge_implIS3_N6thrust23THRUST_200600_302600_NS6detail15normal_iteratorINS8_10device_ptrIsEEEESD_jNS1_19radix_merge_compareILb0ELb1EsNS0_19identity_decomposerEEEEE10hipError_tT0_T1_T2_jT3_P12ihipStream_tbPNSt15iterator_traitsISI_E10value_typeEPNSO_ISJ_E10value_typeEPSK_NS1_7vsmem_tEENKUlT_SI_SJ_SK_E_clISD_PsSD_S10_EESH_SX_SI_SJ_SK_EUlSX_E0_NS1_11comp_targetILNS1_3genE2ELNS1_11target_archE906ELNS1_3gpuE6ELNS1_3repE0EEENS1_38merge_mergepath_config_static_selectorELNS0_4arch9wavefront6targetE1EEEvSJ_
    .private_segment_fixed_size: 0
    .sgpr_count:     6
    .sgpr_spill_count: 0
    .symbol:         _ZN7rocprim17ROCPRIM_400000_NS6detail17trampoline_kernelINS0_14default_configENS1_38merge_sort_block_merge_config_selectorIssEEZZNS1_27merge_sort_block_merge_implIS3_N6thrust23THRUST_200600_302600_NS6detail15normal_iteratorINS8_10device_ptrIsEEEESD_jNS1_19radix_merge_compareILb0ELb1EsNS0_19identity_decomposerEEEEE10hipError_tT0_T1_T2_jT3_P12ihipStream_tbPNSt15iterator_traitsISI_E10value_typeEPNSO_ISJ_E10value_typeEPSK_NS1_7vsmem_tEENKUlT_SI_SJ_SK_E_clISD_PsSD_S10_EESH_SX_SI_SJ_SK_EUlSX_E0_NS1_11comp_targetILNS1_3genE2ELNS1_11target_archE906ELNS1_3gpuE6ELNS1_3repE0EEENS1_38merge_mergepath_config_static_selectorELNS0_4arch9wavefront6targetE1EEEvSJ_.kd
    .uniform_work_group_size: 1
    .uses_dynamic_stack: false
    .vgpr_count:     0
    .vgpr_spill_count: 0
    .wavefront_size: 64
  - .agpr_count:     0
    .args:
      - .offset:         0
        .size:           64
        .value_kind:     by_value
    .group_segment_fixed_size: 0
    .kernarg_segment_align: 8
    .kernarg_segment_size: 64
    .language:       OpenCL C
    .language_version:
      - 2
      - 0
    .max_flat_workgroup_size: 128
    .name:           _ZN7rocprim17ROCPRIM_400000_NS6detail17trampoline_kernelINS0_14default_configENS1_38merge_sort_block_merge_config_selectorIssEEZZNS1_27merge_sort_block_merge_implIS3_N6thrust23THRUST_200600_302600_NS6detail15normal_iteratorINS8_10device_ptrIsEEEESD_jNS1_19radix_merge_compareILb0ELb1EsNS0_19identity_decomposerEEEEE10hipError_tT0_T1_T2_jT3_P12ihipStream_tbPNSt15iterator_traitsISI_E10value_typeEPNSO_ISJ_E10value_typeEPSK_NS1_7vsmem_tEENKUlT_SI_SJ_SK_E_clISD_PsSD_S10_EESH_SX_SI_SJ_SK_EUlSX_E0_NS1_11comp_targetILNS1_3genE9ELNS1_11target_archE1100ELNS1_3gpuE3ELNS1_3repE0EEENS1_38merge_mergepath_config_static_selectorELNS0_4arch9wavefront6targetE1EEEvSJ_
    .private_segment_fixed_size: 0
    .sgpr_count:     6
    .sgpr_spill_count: 0
    .symbol:         _ZN7rocprim17ROCPRIM_400000_NS6detail17trampoline_kernelINS0_14default_configENS1_38merge_sort_block_merge_config_selectorIssEEZZNS1_27merge_sort_block_merge_implIS3_N6thrust23THRUST_200600_302600_NS6detail15normal_iteratorINS8_10device_ptrIsEEEESD_jNS1_19radix_merge_compareILb0ELb1EsNS0_19identity_decomposerEEEEE10hipError_tT0_T1_T2_jT3_P12ihipStream_tbPNSt15iterator_traitsISI_E10value_typeEPNSO_ISJ_E10value_typeEPSK_NS1_7vsmem_tEENKUlT_SI_SJ_SK_E_clISD_PsSD_S10_EESH_SX_SI_SJ_SK_EUlSX_E0_NS1_11comp_targetILNS1_3genE9ELNS1_11target_archE1100ELNS1_3gpuE3ELNS1_3repE0EEENS1_38merge_mergepath_config_static_selectorELNS0_4arch9wavefront6targetE1EEEvSJ_.kd
    .uniform_work_group_size: 1
    .uses_dynamic_stack: false
    .vgpr_count:     0
    .vgpr_spill_count: 0
    .wavefront_size: 64
  - .agpr_count:     0
    .args:
      - .offset:         0
        .size:           64
        .value_kind:     by_value
    .group_segment_fixed_size: 0
    .kernarg_segment_align: 8
    .kernarg_segment_size: 64
    .language:       OpenCL C
    .language_version:
      - 2
      - 0
    .max_flat_workgroup_size: 256
    .name:           _ZN7rocprim17ROCPRIM_400000_NS6detail17trampoline_kernelINS0_14default_configENS1_38merge_sort_block_merge_config_selectorIssEEZZNS1_27merge_sort_block_merge_implIS3_N6thrust23THRUST_200600_302600_NS6detail15normal_iteratorINS8_10device_ptrIsEEEESD_jNS1_19radix_merge_compareILb0ELb1EsNS0_19identity_decomposerEEEEE10hipError_tT0_T1_T2_jT3_P12ihipStream_tbPNSt15iterator_traitsISI_E10value_typeEPNSO_ISJ_E10value_typeEPSK_NS1_7vsmem_tEENKUlT_SI_SJ_SK_E_clISD_PsSD_S10_EESH_SX_SI_SJ_SK_EUlSX_E0_NS1_11comp_targetILNS1_3genE8ELNS1_11target_archE1030ELNS1_3gpuE2ELNS1_3repE0EEENS1_38merge_mergepath_config_static_selectorELNS0_4arch9wavefront6targetE1EEEvSJ_
    .private_segment_fixed_size: 0
    .sgpr_count:     6
    .sgpr_spill_count: 0
    .symbol:         _ZN7rocprim17ROCPRIM_400000_NS6detail17trampoline_kernelINS0_14default_configENS1_38merge_sort_block_merge_config_selectorIssEEZZNS1_27merge_sort_block_merge_implIS3_N6thrust23THRUST_200600_302600_NS6detail15normal_iteratorINS8_10device_ptrIsEEEESD_jNS1_19radix_merge_compareILb0ELb1EsNS0_19identity_decomposerEEEEE10hipError_tT0_T1_T2_jT3_P12ihipStream_tbPNSt15iterator_traitsISI_E10value_typeEPNSO_ISJ_E10value_typeEPSK_NS1_7vsmem_tEENKUlT_SI_SJ_SK_E_clISD_PsSD_S10_EESH_SX_SI_SJ_SK_EUlSX_E0_NS1_11comp_targetILNS1_3genE8ELNS1_11target_archE1030ELNS1_3gpuE2ELNS1_3repE0EEENS1_38merge_mergepath_config_static_selectorELNS0_4arch9wavefront6targetE1EEEvSJ_.kd
    .uniform_work_group_size: 1
    .uses_dynamic_stack: false
    .vgpr_count:     0
    .vgpr_spill_count: 0
    .wavefront_size: 64
  - .agpr_count:     0
    .args:
      - .offset:         0
        .size:           48
        .value_kind:     by_value
    .group_segment_fixed_size: 0
    .kernarg_segment_align: 8
    .kernarg_segment_size: 48
    .language:       OpenCL C
    .language_version:
      - 2
      - 0
    .max_flat_workgroup_size: 256
    .name:           _ZN7rocprim17ROCPRIM_400000_NS6detail17trampoline_kernelINS0_14default_configENS1_38merge_sort_block_merge_config_selectorIssEEZZNS1_27merge_sort_block_merge_implIS3_N6thrust23THRUST_200600_302600_NS6detail15normal_iteratorINS8_10device_ptrIsEEEESD_jNS1_19radix_merge_compareILb0ELb1EsNS0_19identity_decomposerEEEEE10hipError_tT0_T1_T2_jT3_P12ihipStream_tbPNSt15iterator_traitsISI_E10value_typeEPNSO_ISJ_E10value_typeEPSK_NS1_7vsmem_tEENKUlT_SI_SJ_SK_E_clISD_PsSD_S10_EESH_SX_SI_SJ_SK_EUlSX_E1_NS1_11comp_targetILNS1_3genE0ELNS1_11target_archE4294967295ELNS1_3gpuE0ELNS1_3repE0EEENS1_36merge_oddeven_config_static_selectorELNS0_4arch9wavefront6targetE1EEEvSJ_
    .private_segment_fixed_size: 0
    .sgpr_count:     30
    .sgpr_spill_count: 0
    .symbol:         _ZN7rocprim17ROCPRIM_400000_NS6detail17trampoline_kernelINS0_14default_configENS1_38merge_sort_block_merge_config_selectorIssEEZZNS1_27merge_sort_block_merge_implIS3_N6thrust23THRUST_200600_302600_NS6detail15normal_iteratorINS8_10device_ptrIsEEEESD_jNS1_19radix_merge_compareILb0ELb1EsNS0_19identity_decomposerEEEEE10hipError_tT0_T1_T2_jT3_P12ihipStream_tbPNSt15iterator_traitsISI_E10value_typeEPNSO_ISJ_E10value_typeEPSK_NS1_7vsmem_tEENKUlT_SI_SJ_SK_E_clISD_PsSD_S10_EESH_SX_SI_SJ_SK_EUlSX_E1_NS1_11comp_targetILNS1_3genE0ELNS1_11target_archE4294967295ELNS1_3gpuE0ELNS1_3repE0EEENS1_36merge_oddeven_config_static_selectorELNS0_4arch9wavefront6targetE1EEEvSJ_.kd
    .uniform_work_group_size: 1
    .uses_dynamic_stack: false
    .vgpr_count:     10
    .vgpr_spill_count: 0
    .wavefront_size: 64
  - .agpr_count:     0
    .args:
      - .offset:         0
        .size:           48
        .value_kind:     by_value
    .group_segment_fixed_size: 0
    .kernarg_segment_align: 8
    .kernarg_segment_size: 48
    .language:       OpenCL C
    .language_version:
      - 2
      - 0
    .max_flat_workgroup_size: 256
    .name:           _ZN7rocprim17ROCPRIM_400000_NS6detail17trampoline_kernelINS0_14default_configENS1_38merge_sort_block_merge_config_selectorIssEEZZNS1_27merge_sort_block_merge_implIS3_N6thrust23THRUST_200600_302600_NS6detail15normal_iteratorINS8_10device_ptrIsEEEESD_jNS1_19radix_merge_compareILb0ELb1EsNS0_19identity_decomposerEEEEE10hipError_tT0_T1_T2_jT3_P12ihipStream_tbPNSt15iterator_traitsISI_E10value_typeEPNSO_ISJ_E10value_typeEPSK_NS1_7vsmem_tEENKUlT_SI_SJ_SK_E_clISD_PsSD_S10_EESH_SX_SI_SJ_SK_EUlSX_E1_NS1_11comp_targetILNS1_3genE10ELNS1_11target_archE1201ELNS1_3gpuE5ELNS1_3repE0EEENS1_36merge_oddeven_config_static_selectorELNS0_4arch9wavefront6targetE1EEEvSJ_
    .private_segment_fixed_size: 0
    .sgpr_count:     6
    .sgpr_spill_count: 0
    .symbol:         _ZN7rocprim17ROCPRIM_400000_NS6detail17trampoline_kernelINS0_14default_configENS1_38merge_sort_block_merge_config_selectorIssEEZZNS1_27merge_sort_block_merge_implIS3_N6thrust23THRUST_200600_302600_NS6detail15normal_iteratorINS8_10device_ptrIsEEEESD_jNS1_19radix_merge_compareILb0ELb1EsNS0_19identity_decomposerEEEEE10hipError_tT0_T1_T2_jT3_P12ihipStream_tbPNSt15iterator_traitsISI_E10value_typeEPNSO_ISJ_E10value_typeEPSK_NS1_7vsmem_tEENKUlT_SI_SJ_SK_E_clISD_PsSD_S10_EESH_SX_SI_SJ_SK_EUlSX_E1_NS1_11comp_targetILNS1_3genE10ELNS1_11target_archE1201ELNS1_3gpuE5ELNS1_3repE0EEENS1_36merge_oddeven_config_static_selectorELNS0_4arch9wavefront6targetE1EEEvSJ_.kd
    .uniform_work_group_size: 1
    .uses_dynamic_stack: false
    .vgpr_count:     0
    .vgpr_spill_count: 0
    .wavefront_size: 64
  - .agpr_count:     0
    .args:
      - .offset:         0
        .size:           48
        .value_kind:     by_value
    .group_segment_fixed_size: 0
    .kernarg_segment_align: 8
    .kernarg_segment_size: 48
    .language:       OpenCL C
    .language_version:
      - 2
      - 0
    .max_flat_workgroup_size: 256
    .name:           _ZN7rocprim17ROCPRIM_400000_NS6detail17trampoline_kernelINS0_14default_configENS1_38merge_sort_block_merge_config_selectorIssEEZZNS1_27merge_sort_block_merge_implIS3_N6thrust23THRUST_200600_302600_NS6detail15normal_iteratorINS8_10device_ptrIsEEEESD_jNS1_19radix_merge_compareILb0ELb1EsNS0_19identity_decomposerEEEEE10hipError_tT0_T1_T2_jT3_P12ihipStream_tbPNSt15iterator_traitsISI_E10value_typeEPNSO_ISJ_E10value_typeEPSK_NS1_7vsmem_tEENKUlT_SI_SJ_SK_E_clISD_PsSD_S10_EESH_SX_SI_SJ_SK_EUlSX_E1_NS1_11comp_targetILNS1_3genE5ELNS1_11target_archE942ELNS1_3gpuE9ELNS1_3repE0EEENS1_36merge_oddeven_config_static_selectorELNS0_4arch9wavefront6targetE1EEEvSJ_
    .private_segment_fixed_size: 0
    .sgpr_count:     6
    .sgpr_spill_count: 0
    .symbol:         _ZN7rocprim17ROCPRIM_400000_NS6detail17trampoline_kernelINS0_14default_configENS1_38merge_sort_block_merge_config_selectorIssEEZZNS1_27merge_sort_block_merge_implIS3_N6thrust23THRUST_200600_302600_NS6detail15normal_iteratorINS8_10device_ptrIsEEEESD_jNS1_19radix_merge_compareILb0ELb1EsNS0_19identity_decomposerEEEEE10hipError_tT0_T1_T2_jT3_P12ihipStream_tbPNSt15iterator_traitsISI_E10value_typeEPNSO_ISJ_E10value_typeEPSK_NS1_7vsmem_tEENKUlT_SI_SJ_SK_E_clISD_PsSD_S10_EESH_SX_SI_SJ_SK_EUlSX_E1_NS1_11comp_targetILNS1_3genE5ELNS1_11target_archE942ELNS1_3gpuE9ELNS1_3repE0EEENS1_36merge_oddeven_config_static_selectorELNS0_4arch9wavefront6targetE1EEEvSJ_.kd
    .uniform_work_group_size: 1
    .uses_dynamic_stack: false
    .vgpr_count:     0
    .vgpr_spill_count: 0
    .wavefront_size: 64
  - .agpr_count:     0
    .args:
      - .offset:         0
        .size:           48
        .value_kind:     by_value
    .group_segment_fixed_size: 0
    .kernarg_segment_align: 8
    .kernarg_segment_size: 48
    .language:       OpenCL C
    .language_version:
      - 2
      - 0
    .max_flat_workgroup_size: 256
    .name:           _ZN7rocprim17ROCPRIM_400000_NS6detail17trampoline_kernelINS0_14default_configENS1_38merge_sort_block_merge_config_selectorIssEEZZNS1_27merge_sort_block_merge_implIS3_N6thrust23THRUST_200600_302600_NS6detail15normal_iteratorINS8_10device_ptrIsEEEESD_jNS1_19radix_merge_compareILb0ELb1EsNS0_19identity_decomposerEEEEE10hipError_tT0_T1_T2_jT3_P12ihipStream_tbPNSt15iterator_traitsISI_E10value_typeEPNSO_ISJ_E10value_typeEPSK_NS1_7vsmem_tEENKUlT_SI_SJ_SK_E_clISD_PsSD_S10_EESH_SX_SI_SJ_SK_EUlSX_E1_NS1_11comp_targetILNS1_3genE4ELNS1_11target_archE910ELNS1_3gpuE8ELNS1_3repE0EEENS1_36merge_oddeven_config_static_selectorELNS0_4arch9wavefront6targetE1EEEvSJ_
    .private_segment_fixed_size: 0
    .sgpr_count:     6
    .sgpr_spill_count: 0
    .symbol:         _ZN7rocprim17ROCPRIM_400000_NS6detail17trampoline_kernelINS0_14default_configENS1_38merge_sort_block_merge_config_selectorIssEEZZNS1_27merge_sort_block_merge_implIS3_N6thrust23THRUST_200600_302600_NS6detail15normal_iteratorINS8_10device_ptrIsEEEESD_jNS1_19radix_merge_compareILb0ELb1EsNS0_19identity_decomposerEEEEE10hipError_tT0_T1_T2_jT3_P12ihipStream_tbPNSt15iterator_traitsISI_E10value_typeEPNSO_ISJ_E10value_typeEPSK_NS1_7vsmem_tEENKUlT_SI_SJ_SK_E_clISD_PsSD_S10_EESH_SX_SI_SJ_SK_EUlSX_E1_NS1_11comp_targetILNS1_3genE4ELNS1_11target_archE910ELNS1_3gpuE8ELNS1_3repE0EEENS1_36merge_oddeven_config_static_selectorELNS0_4arch9wavefront6targetE1EEEvSJ_.kd
    .uniform_work_group_size: 1
    .uses_dynamic_stack: false
    .vgpr_count:     0
    .vgpr_spill_count: 0
    .wavefront_size: 64
  - .agpr_count:     0
    .args:
      - .offset:         0
        .size:           48
        .value_kind:     by_value
    .group_segment_fixed_size: 0
    .kernarg_segment_align: 8
    .kernarg_segment_size: 48
    .language:       OpenCL C
    .language_version:
      - 2
      - 0
    .max_flat_workgroup_size: 256
    .name:           _ZN7rocprim17ROCPRIM_400000_NS6detail17trampoline_kernelINS0_14default_configENS1_38merge_sort_block_merge_config_selectorIssEEZZNS1_27merge_sort_block_merge_implIS3_N6thrust23THRUST_200600_302600_NS6detail15normal_iteratorINS8_10device_ptrIsEEEESD_jNS1_19radix_merge_compareILb0ELb1EsNS0_19identity_decomposerEEEEE10hipError_tT0_T1_T2_jT3_P12ihipStream_tbPNSt15iterator_traitsISI_E10value_typeEPNSO_ISJ_E10value_typeEPSK_NS1_7vsmem_tEENKUlT_SI_SJ_SK_E_clISD_PsSD_S10_EESH_SX_SI_SJ_SK_EUlSX_E1_NS1_11comp_targetILNS1_3genE3ELNS1_11target_archE908ELNS1_3gpuE7ELNS1_3repE0EEENS1_36merge_oddeven_config_static_selectorELNS0_4arch9wavefront6targetE1EEEvSJ_
    .private_segment_fixed_size: 0
    .sgpr_count:     6
    .sgpr_spill_count: 0
    .symbol:         _ZN7rocprim17ROCPRIM_400000_NS6detail17trampoline_kernelINS0_14default_configENS1_38merge_sort_block_merge_config_selectorIssEEZZNS1_27merge_sort_block_merge_implIS3_N6thrust23THRUST_200600_302600_NS6detail15normal_iteratorINS8_10device_ptrIsEEEESD_jNS1_19radix_merge_compareILb0ELb1EsNS0_19identity_decomposerEEEEE10hipError_tT0_T1_T2_jT3_P12ihipStream_tbPNSt15iterator_traitsISI_E10value_typeEPNSO_ISJ_E10value_typeEPSK_NS1_7vsmem_tEENKUlT_SI_SJ_SK_E_clISD_PsSD_S10_EESH_SX_SI_SJ_SK_EUlSX_E1_NS1_11comp_targetILNS1_3genE3ELNS1_11target_archE908ELNS1_3gpuE7ELNS1_3repE0EEENS1_36merge_oddeven_config_static_selectorELNS0_4arch9wavefront6targetE1EEEvSJ_.kd
    .uniform_work_group_size: 1
    .uses_dynamic_stack: false
    .vgpr_count:     0
    .vgpr_spill_count: 0
    .wavefront_size: 64
  - .agpr_count:     0
    .args:
      - .offset:         0
        .size:           48
        .value_kind:     by_value
    .group_segment_fixed_size: 0
    .kernarg_segment_align: 8
    .kernarg_segment_size: 48
    .language:       OpenCL C
    .language_version:
      - 2
      - 0
    .max_flat_workgroup_size: 256
    .name:           _ZN7rocprim17ROCPRIM_400000_NS6detail17trampoline_kernelINS0_14default_configENS1_38merge_sort_block_merge_config_selectorIssEEZZNS1_27merge_sort_block_merge_implIS3_N6thrust23THRUST_200600_302600_NS6detail15normal_iteratorINS8_10device_ptrIsEEEESD_jNS1_19radix_merge_compareILb0ELb1EsNS0_19identity_decomposerEEEEE10hipError_tT0_T1_T2_jT3_P12ihipStream_tbPNSt15iterator_traitsISI_E10value_typeEPNSO_ISJ_E10value_typeEPSK_NS1_7vsmem_tEENKUlT_SI_SJ_SK_E_clISD_PsSD_S10_EESH_SX_SI_SJ_SK_EUlSX_E1_NS1_11comp_targetILNS1_3genE2ELNS1_11target_archE906ELNS1_3gpuE6ELNS1_3repE0EEENS1_36merge_oddeven_config_static_selectorELNS0_4arch9wavefront6targetE1EEEvSJ_
    .private_segment_fixed_size: 0
    .sgpr_count:     6
    .sgpr_spill_count: 0
    .symbol:         _ZN7rocprim17ROCPRIM_400000_NS6detail17trampoline_kernelINS0_14default_configENS1_38merge_sort_block_merge_config_selectorIssEEZZNS1_27merge_sort_block_merge_implIS3_N6thrust23THRUST_200600_302600_NS6detail15normal_iteratorINS8_10device_ptrIsEEEESD_jNS1_19radix_merge_compareILb0ELb1EsNS0_19identity_decomposerEEEEE10hipError_tT0_T1_T2_jT3_P12ihipStream_tbPNSt15iterator_traitsISI_E10value_typeEPNSO_ISJ_E10value_typeEPSK_NS1_7vsmem_tEENKUlT_SI_SJ_SK_E_clISD_PsSD_S10_EESH_SX_SI_SJ_SK_EUlSX_E1_NS1_11comp_targetILNS1_3genE2ELNS1_11target_archE906ELNS1_3gpuE6ELNS1_3repE0EEENS1_36merge_oddeven_config_static_selectorELNS0_4arch9wavefront6targetE1EEEvSJ_.kd
    .uniform_work_group_size: 1
    .uses_dynamic_stack: false
    .vgpr_count:     0
    .vgpr_spill_count: 0
    .wavefront_size: 64
  - .agpr_count:     0
    .args:
      - .offset:         0
        .size:           48
        .value_kind:     by_value
    .group_segment_fixed_size: 0
    .kernarg_segment_align: 8
    .kernarg_segment_size: 48
    .language:       OpenCL C
    .language_version:
      - 2
      - 0
    .max_flat_workgroup_size: 256
    .name:           _ZN7rocprim17ROCPRIM_400000_NS6detail17trampoline_kernelINS0_14default_configENS1_38merge_sort_block_merge_config_selectorIssEEZZNS1_27merge_sort_block_merge_implIS3_N6thrust23THRUST_200600_302600_NS6detail15normal_iteratorINS8_10device_ptrIsEEEESD_jNS1_19radix_merge_compareILb0ELb1EsNS0_19identity_decomposerEEEEE10hipError_tT0_T1_T2_jT3_P12ihipStream_tbPNSt15iterator_traitsISI_E10value_typeEPNSO_ISJ_E10value_typeEPSK_NS1_7vsmem_tEENKUlT_SI_SJ_SK_E_clISD_PsSD_S10_EESH_SX_SI_SJ_SK_EUlSX_E1_NS1_11comp_targetILNS1_3genE9ELNS1_11target_archE1100ELNS1_3gpuE3ELNS1_3repE0EEENS1_36merge_oddeven_config_static_selectorELNS0_4arch9wavefront6targetE1EEEvSJ_
    .private_segment_fixed_size: 0
    .sgpr_count:     6
    .sgpr_spill_count: 0
    .symbol:         _ZN7rocprim17ROCPRIM_400000_NS6detail17trampoline_kernelINS0_14default_configENS1_38merge_sort_block_merge_config_selectorIssEEZZNS1_27merge_sort_block_merge_implIS3_N6thrust23THRUST_200600_302600_NS6detail15normal_iteratorINS8_10device_ptrIsEEEESD_jNS1_19radix_merge_compareILb0ELb1EsNS0_19identity_decomposerEEEEE10hipError_tT0_T1_T2_jT3_P12ihipStream_tbPNSt15iterator_traitsISI_E10value_typeEPNSO_ISJ_E10value_typeEPSK_NS1_7vsmem_tEENKUlT_SI_SJ_SK_E_clISD_PsSD_S10_EESH_SX_SI_SJ_SK_EUlSX_E1_NS1_11comp_targetILNS1_3genE9ELNS1_11target_archE1100ELNS1_3gpuE3ELNS1_3repE0EEENS1_36merge_oddeven_config_static_selectorELNS0_4arch9wavefront6targetE1EEEvSJ_.kd
    .uniform_work_group_size: 1
    .uses_dynamic_stack: false
    .vgpr_count:     0
    .vgpr_spill_count: 0
    .wavefront_size: 64
  - .agpr_count:     0
    .args:
      - .offset:         0
        .size:           48
        .value_kind:     by_value
    .group_segment_fixed_size: 0
    .kernarg_segment_align: 8
    .kernarg_segment_size: 48
    .language:       OpenCL C
    .language_version:
      - 2
      - 0
    .max_flat_workgroup_size: 256
    .name:           _ZN7rocprim17ROCPRIM_400000_NS6detail17trampoline_kernelINS0_14default_configENS1_38merge_sort_block_merge_config_selectorIssEEZZNS1_27merge_sort_block_merge_implIS3_N6thrust23THRUST_200600_302600_NS6detail15normal_iteratorINS8_10device_ptrIsEEEESD_jNS1_19radix_merge_compareILb0ELb1EsNS0_19identity_decomposerEEEEE10hipError_tT0_T1_T2_jT3_P12ihipStream_tbPNSt15iterator_traitsISI_E10value_typeEPNSO_ISJ_E10value_typeEPSK_NS1_7vsmem_tEENKUlT_SI_SJ_SK_E_clISD_PsSD_S10_EESH_SX_SI_SJ_SK_EUlSX_E1_NS1_11comp_targetILNS1_3genE8ELNS1_11target_archE1030ELNS1_3gpuE2ELNS1_3repE0EEENS1_36merge_oddeven_config_static_selectorELNS0_4arch9wavefront6targetE1EEEvSJ_
    .private_segment_fixed_size: 0
    .sgpr_count:     6
    .sgpr_spill_count: 0
    .symbol:         _ZN7rocprim17ROCPRIM_400000_NS6detail17trampoline_kernelINS0_14default_configENS1_38merge_sort_block_merge_config_selectorIssEEZZNS1_27merge_sort_block_merge_implIS3_N6thrust23THRUST_200600_302600_NS6detail15normal_iteratorINS8_10device_ptrIsEEEESD_jNS1_19radix_merge_compareILb0ELb1EsNS0_19identity_decomposerEEEEE10hipError_tT0_T1_T2_jT3_P12ihipStream_tbPNSt15iterator_traitsISI_E10value_typeEPNSO_ISJ_E10value_typeEPSK_NS1_7vsmem_tEENKUlT_SI_SJ_SK_E_clISD_PsSD_S10_EESH_SX_SI_SJ_SK_EUlSX_E1_NS1_11comp_targetILNS1_3genE8ELNS1_11target_archE1030ELNS1_3gpuE2ELNS1_3repE0EEENS1_36merge_oddeven_config_static_selectorELNS0_4arch9wavefront6targetE1EEEvSJ_.kd
    .uniform_work_group_size: 1
    .uses_dynamic_stack: false
    .vgpr_count:     0
    .vgpr_spill_count: 0
    .wavefront_size: 64
  - .agpr_count:     0
    .args:
      - .offset:         0
        .size:           40
        .value_kind:     by_value
    .group_segment_fixed_size: 0
    .kernarg_segment_align: 8
    .kernarg_segment_size: 40
    .language:       OpenCL C
    .language_version:
      - 2
      - 0
    .max_flat_workgroup_size: 256
    .name:           _ZN7rocprim17ROCPRIM_400000_NS6detail17trampoline_kernelINS0_14default_configENS1_35radix_sort_onesweep_config_selectorIssEEZNS1_34radix_sort_onesweep_global_offsetsIS3_Lb0EN6thrust23THRUST_200600_302600_NS6detail15normal_iteratorINS8_10device_ptrIsEEEESD_jNS0_19identity_decomposerEEE10hipError_tT1_T2_PT3_SI_jT4_jjP12ihipStream_tbEUlT_E_NS1_11comp_targetILNS1_3genE0ELNS1_11target_archE4294967295ELNS1_3gpuE0ELNS1_3repE0EEENS1_52radix_sort_onesweep_histogram_config_static_selectorELNS0_4arch9wavefront6targetE1EEEvSG_
    .private_segment_fixed_size: 0
    .sgpr_count:     6
    .sgpr_spill_count: 0
    .symbol:         _ZN7rocprim17ROCPRIM_400000_NS6detail17trampoline_kernelINS0_14default_configENS1_35radix_sort_onesweep_config_selectorIssEEZNS1_34radix_sort_onesweep_global_offsetsIS3_Lb0EN6thrust23THRUST_200600_302600_NS6detail15normal_iteratorINS8_10device_ptrIsEEEESD_jNS0_19identity_decomposerEEE10hipError_tT1_T2_PT3_SI_jT4_jjP12ihipStream_tbEUlT_E_NS1_11comp_targetILNS1_3genE0ELNS1_11target_archE4294967295ELNS1_3gpuE0ELNS1_3repE0EEENS1_52radix_sort_onesweep_histogram_config_static_selectorELNS0_4arch9wavefront6targetE1EEEvSG_.kd
    .uniform_work_group_size: 1
    .uses_dynamic_stack: false
    .vgpr_count:     0
    .vgpr_spill_count: 0
    .wavefront_size: 64
  - .agpr_count:     0
    .args:
      - .offset:         0
        .size:           40
        .value_kind:     by_value
    .group_segment_fixed_size: 3072
    .kernarg_segment_align: 8
    .kernarg_segment_size: 40
    .language:       OpenCL C
    .language_version:
      - 2
      - 0
    .max_flat_workgroup_size: 512
    .name:           _ZN7rocprim17ROCPRIM_400000_NS6detail17trampoline_kernelINS0_14default_configENS1_35radix_sort_onesweep_config_selectorIssEEZNS1_34radix_sort_onesweep_global_offsetsIS3_Lb0EN6thrust23THRUST_200600_302600_NS6detail15normal_iteratorINS8_10device_ptrIsEEEESD_jNS0_19identity_decomposerEEE10hipError_tT1_T2_PT3_SI_jT4_jjP12ihipStream_tbEUlT_E_NS1_11comp_targetILNS1_3genE6ELNS1_11target_archE950ELNS1_3gpuE13ELNS1_3repE0EEENS1_52radix_sort_onesweep_histogram_config_static_selectorELNS0_4arch9wavefront6targetE1EEEvSG_
    .private_segment_fixed_size: 0
    .sgpr_count:     26
    .sgpr_spill_count: 0
    .symbol:         _ZN7rocprim17ROCPRIM_400000_NS6detail17trampoline_kernelINS0_14default_configENS1_35radix_sort_onesweep_config_selectorIssEEZNS1_34radix_sort_onesweep_global_offsetsIS3_Lb0EN6thrust23THRUST_200600_302600_NS6detail15normal_iteratorINS8_10device_ptrIsEEEESD_jNS0_19identity_decomposerEEE10hipError_tT1_T2_PT3_SI_jT4_jjP12ihipStream_tbEUlT_E_NS1_11comp_targetILNS1_3genE6ELNS1_11target_archE950ELNS1_3gpuE13ELNS1_3repE0EEENS1_52radix_sort_onesweep_histogram_config_static_selectorELNS0_4arch9wavefront6targetE1EEEvSG_.kd
    .uniform_work_group_size: 1
    .uses_dynamic_stack: false
    .vgpr_count:     68
    .vgpr_spill_count: 0
    .wavefront_size: 64
  - .agpr_count:     0
    .args:
      - .offset:         0
        .size:           40
        .value_kind:     by_value
    .group_segment_fixed_size: 0
    .kernarg_segment_align: 8
    .kernarg_segment_size: 40
    .language:       OpenCL C
    .language_version:
      - 2
      - 0
    .max_flat_workgroup_size: 512
    .name:           _ZN7rocprim17ROCPRIM_400000_NS6detail17trampoline_kernelINS0_14default_configENS1_35radix_sort_onesweep_config_selectorIssEEZNS1_34radix_sort_onesweep_global_offsetsIS3_Lb0EN6thrust23THRUST_200600_302600_NS6detail15normal_iteratorINS8_10device_ptrIsEEEESD_jNS0_19identity_decomposerEEE10hipError_tT1_T2_PT3_SI_jT4_jjP12ihipStream_tbEUlT_E_NS1_11comp_targetILNS1_3genE5ELNS1_11target_archE942ELNS1_3gpuE9ELNS1_3repE0EEENS1_52radix_sort_onesweep_histogram_config_static_selectorELNS0_4arch9wavefront6targetE1EEEvSG_
    .private_segment_fixed_size: 0
    .sgpr_count:     6
    .sgpr_spill_count: 0
    .symbol:         _ZN7rocprim17ROCPRIM_400000_NS6detail17trampoline_kernelINS0_14default_configENS1_35radix_sort_onesweep_config_selectorIssEEZNS1_34radix_sort_onesweep_global_offsetsIS3_Lb0EN6thrust23THRUST_200600_302600_NS6detail15normal_iteratorINS8_10device_ptrIsEEEESD_jNS0_19identity_decomposerEEE10hipError_tT1_T2_PT3_SI_jT4_jjP12ihipStream_tbEUlT_E_NS1_11comp_targetILNS1_3genE5ELNS1_11target_archE942ELNS1_3gpuE9ELNS1_3repE0EEENS1_52radix_sort_onesweep_histogram_config_static_selectorELNS0_4arch9wavefront6targetE1EEEvSG_.kd
    .uniform_work_group_size: 1
    .uses_dynamic_stack: false
    .vgpr_count:     0
    .vgpr_spill_count: 0
    .wavefront_size: 64
  - .agpr_count:     0
    .args:
      - .offset:         0
        .size:           40
        .value_kind:     by_value
    .group_segment_fixed_size: 0
    .kernarg_segment_align: 8
    .kernarg_segment_size: 40
    .language:       OpenCL C
    .language_version:
      - 2
      - 0
    .max_flat_workgroup_size: 256
    .name:           _ZN7rocprim17ROCPRIM_400000_NS6detail17trampoline_kernelINS0_14default_configENS1_35radix_sort_onesweep_config_selectorIssEEZNS1_34radix_sort_onesweep_global_offsetsIS3_Lb0EN6thrust23THRUST_200600_302600_NS6detail15normal_iteratorINS8_10device_ptrIsEEEESD_jNS0_19identity_decomposerEEE10hipError_tT1_T2_PT3_SI_jT4_jjP12ihipStream_tbEUlT_E_NS1_11comp_targetILNS1_3genE2ELNS1_11target_archE906ELNS1_3gpuE6ELNS1_3repE0EEENS1_52radix_sort_onesweep_histogram_config_static_selectorELNS0_4arch9wavefront6targetE1EEEvSG_
    .private_segment_fixed_size: 0
    .sgpr_count:     6
    .sgpr_spill_count: 0
    .symbol:         _ZN7rocprim17ROCPRIM_400000_NS6detail17trampoline_kernelINS0_14default_configENS1_35radix_sort_onesweep_config_selectorIssEEZNS1_34radix_sort_onesweep_global_offsetsIS3_Lb0EN6thrust23THRUST_200600_302600_NS6detail15normal_iteratorINS8_10device_ptrIsEEEESD_jNS0_19identity_decomposerEEE10hipError_tT1_T2_PT3_SI_jT4_jjP12ihipStream_tbEUlT_E_NS1_11comp_targetILNS1_3genE2ELNS1_11target_archE906ELNS1_3gpuE6ELNS1_3repE0EEENS1_52radix_sort_onesweep_histogram_config_static_selectorELNS0_4arch9wavefront6targetE1EEEvSG_.kd
    .uniform_work_group_size: 1
    .uses_dynamic_stack: false
    .vgpr_count:     0
    .vgpr_spill_count: 0
    .wavefront_size: 64
  - .agpr_count:     0
    .args:
      - .offset:         0
        .size:           40
        .value_kind:     by_value
    .group_segment_fixed_size: 0
    .kernarg_segment_align: 8
    .kernarg_segment_size: 40
    .language:       OpenCL C
    .language_version:
      - 2
      - 0
    .max_flat_workgroup_size: 512
    .name:           _ZN7rocprim17ROCPRIM_400000_NS6detail17trampoline_kernelINS0_14default_configENS1_35radix_sort_onesweep_config_selectorIssEEZNS1_34radix_sort_onesweep_global_offsetsIS3_Lb0EN6thrust23THRUST_200600_302600_NS6detail15normal_iteratorINS8_10device_ptrIsEEEESD_jNS0_19identity_decomposerEEE10hipError_tT1_T2_PT3_SI_jT4_jjP12ihipStream_tbEUlT_E_NS1_11comp_targetILNS1_3genE4ELNS1_11target_archE910ELNS1_3gpuE8ELNS1_3repE0EEENS1_52radix_sort_onesweep_histogram_config_static_selectorELNS0_4arch9wavefront6targetE1EEEvSG_
    .private_segment_fixed_size: 0
    .sgpr_count:     6
    .sgpr_spill_count: 0
    .symbol:         _ZN7rocprim17ROCPRIM_400000_NS6detail17trampoline_kernelINS0_14default_configENS1_35radix_sort_onesweep_config_selectorIssEEZNS1_34radix_sort_onesweep_global_offsetsIS3_Lb0EN6thrust23THRUST_200600_302600_NS6detail15normal_iteratorINS8_10device_ptrIsEEEESD_jNS0_19identity_decomposerEEE10hipError_tT1_T2_PT3_SI_jT4_jjP12ihipStream_tbEUlT_E_NS1_11comp_targetILNS1_3genE4ELNS1_11target_archE910ELNS1_3gpuE8ELNS1_3repE0EEENS1_52radix_sort_onesweep_histogram_config_static_selectorELNS0_4arch9wavefront6targetE1EEEvSG_.kd
    .uniform_work_group_size: 1
    .uses_dynamic_stack: false
    .vgpr_count:     0
    .vgpr_spill_count: 0
    .wavefront_size: 64
  - .agpr_count:     0
    .args:
      - .offset:         0
        .size:           40
        .value_kind:     by_value
    .group_segment_fixed_size: 0
    .kernarg_segment_align: 8
    .kernarg_segment_size: 40
    .language:       OpenCL C
    .language_version:
      - 2
      - 0
    .max_flat_workgroup_size: 256
    .name:           _ZN7rocprim17ROCPRIM_400000_NS6detail17trampoline_kernelINS0_14default_configENS1_35radix_sort_onesweep_config_selectorIssEEZNS1_34radix_sort_onesweep_global_offsetsIS3_Lb0EN6thrust23THRUST_200600_302600_NS6detail15normal_iteratorINS8_10device_ptrIsEEEESD_jNS0_19identity_decomposerEEE10hipError_tT1_T2_PT3_SI_jT4_jjP12ihipStream_tbEUlT_E_NS1_11comp_targetILNS1_3genE3ELNS1_11target_archE908ELNS1_3gpuE7ELNS1_3repE0EEENS1_52radix_sort_onesweep_histogram_config_static_selectorELNS0_4arch9wavefront6targetE1EEEvSG_
    .private_segment_fixed_size: 0
    .sgpr_count:     6
    .sgpr_spill_count: 0
    .symbol:         _ZN7rocprim17ROCPRIM_400000_NS6detail17trampoline_kernelINS0_14default_configENS1_35radix_sort_onesweep_config_selectorIssEEZNS1_34radix_sort_onesweep_global_offsetsIS3_Lb0EN6thrust23THRUST_200600_302600_NS6detail15normal_iteratorINS8_10device_ptrIsEEEESD_jNS0_19identity_decomposerEEE10hipError_tT1_T2_PT3_SI_jT4_jjP12ihipStream_tbEUlT_E_NS1_11comp_targetILNS1_3genE3ELNS1_11target_archE908ELNS1_3gpuE7ELNS1_3repE0EEENS1_52radix_sort_onesweep_histogram_config_static_selectorELNS0_4arch9wavefront6targetE1EEEvSG_.kd
    .uniform_work_group_size: 1
    .uses_dynamic_stack: false
    .vgpr_count:     0
    .vgpr_spill_count: 0
    .wavefront_size: 64
  - .agpr_count:     0
    .args:
      - .offset:         0
        .size:           40
        .value_kind:     by_value
    .group_segment_fixed_size: 0
    .kernarg_segment_align: 8
    .kernarg_segment_size: 40
    .language:       OpenCL C
    .language_version:
      - 2
      - 0
    .max_flat_workgroup_size: 512
    .name:           _ZN7rocprim17ROCPRIM_400000_NS6detail17trampoline_kernelINS0_14default_configENS1_35radix_sort_onesweep_config_selectorIssEEZNS1_34radix_sort_onesweep_global_offsetsIS3_Lb0EN6thrust23THRUST_200600_302600_NS6detail15normal_iteratorINS8_10device_ptrIsEEEESD_jNS0_19identity_decomposerEEE10hipError_tT1_T2_PT3_SI_jT4_jjP12ihipStream_tbEUlT_E_NS1_11comp_targetILNS1_3genE10ELNS1_11target_archE1201ELNS1_3gpuE5ELNS1_3repE0EEENS1_52radix_sort_onesweep_histogram_config_static_selectorELNS0_4arch9wavefront6targetE1EEEvSG_
    .private_segment_fixed_size: 0
    .sgpr_count:     6
    .sgpr_spill_count: 0
    .symbol:         _ZN7rocprim17ROCPRIM_400000_NS6detail17trampoline_kernelINS0_14default_configENS1_35radix_sort_onesweep_config_selectorIssEEZNS1_34radix_sort_onesweep_global_offsetsIS3_Lb0EN6thrust23THRUST_200600_302600_NS6detail15normal_iteratorINS8_10device_ptrIsEEEESD_jNS0_19identity_decomposerEEE10hipError_tT1_T2_PT3_SI_jT4_jjP12ihipStream_tbEUlT_E_NS1_11comp_targetILNS1_3genE10ELNS1_11target_archE1201ELNS1_3gpuE5ELNS1_3repE0EEENS1_52radix_sort_onesweep_histogram_config_static_selectorELNS0_4arch9wavefront6targetE1EEEvSG_.kd
    .uniform_work_group_size: 1
    .uses_dynamic_stack: false
    .vgpr_count:     0
    .vgpr_spill_count: 0
    .wavefront_size: 64
  - .agpr_count:     0
    .args:
      - .offset:         0
        .size:           40
        .value_kind:     by_value
    .group_segment_fixed_size: 0
    .kernarg_segment_align: 8
    .kernarg_segment_size: 40
    .language:       OpenCL C
    .language_version:
      - 2
      - 0
    .max_flat_workgroup_size: 1024
    .name:           _ZN7rocprim17ROCPRIM_400000_NS6detail17trampoline_kernelINS0_14default_configENS1_35radix_sort_onesweep_config_selectorIssEEZNS1_34radix_sort_onesweep_global_offsetsIS3_Lb0EN6thrust23THRUST_200600_302600_NS6detail15normal_iteratorINS8_10device_ptrIsEEEESD_jNS0_19identity_decomposerEEE10hipError_tT1_T2_PT3_SI_jT4_jjP12ihipStream_tbEUlT_E_NS1_11comp_targetILNS1_3genE9ELNS1_11target_archE1100ELNS1_3gpuE3ELNS1_3repE0EEENS1_52radix_sort_onesweep_histogram_config_static_selectorELNS0_4arch9wavefront6targetE1EEEvSG_
    .private_segment_fixed_size: 0
    .sgpr_count:     6
    .sgpr_spill_count: 0
    .symbol:         _ZN7rocprim17ROCPRIM_400000_NS6detail17trampoline_kernelINS0_14default_configENS1_35radix_sort_onesweep_config_selectorIssEEZNS1_34radix_sort_onesweep_global_offsetsIS3_Lb0EN6thrust23THRUST_200600_302600_NS6detail15normal_iteratorINS8_10device_ptrIsEEEESD_jNS0_19identity_decomposerEEE10hipError_tT1_T2_PT3_SI_jT4_jjP12ihipStream_tbEUlT_E_NS1_11comp_targetILNS1_3genE9ELNS1_11target_archE1100ELNS1_3gpuE3ELNS1_3repE0EEENS1_52radix_sort_onesweep_histogram_config_static_selectorELNS0_4arch9wavefront6targetE1EEEvSG_.kd
    .uniform_work_group_size: 1
    .uses_dynamic_stack: false
    .vgpr_count:     0
    .vgpr_spill_count: 0
    .wavefront_size: 64
  - .agpr_count:     0
    .args:
      - .offset:         0
        .size:           40
        .value_kind:     by_value
    .group_segment_fixed_size: 0
    .kernarg_segment_align: 8
    .kernarg_segment_size: 40
    .language:       OpenCL C
    .language_version:
      - 2
      - 0
    .max_flat_workgroup_size: 1024
    .name:           _ZN7rocprim17ROCPRIM_400000_NS6detail17trampoline_kernelINS0_14default_configENS1_35radix_sort_onesweep_config_selectorIssEEZNS1_34radix_sort_onesweep_global_offsetsIS3_Lb0EN6thrust23THRUST_200600_302600_NS6detail15normal_iteratorINS8_10device_ptrIsEEEESD_jNS0_19identity_decomposerEEE10hipError_tT1_T2_PT3_SI_jT4_jjP12ihipStream_tbEUlT_E_NS1_11comp_targetILNS1_3genE8ELNS1_11target_archE1030ELNS1_3gpuE2ELNS1_3repE0EEENS1_52radix_sort_onesweep_histogram_config_static_selectorELNS0_4arch9wavefront6targetE1EEEvSG_
    .private_segment_fixed_size: 0
    .sgpr_count:     6
    .sgpr_spill_count: 0
    .symbol:         _ZN7rocprim17ROCPRIM_400000_NS6detail17trampoline_kernelINS0_14default_configENS1_35radix_sort_onesweep_config_selectorIssEEZNS1_34radix_sort_onesweep_global_offsetsIS3_Lb0EN6thrust23THRUST_200600_302600_NS6detail15normal_iteratorINS8_10device_ptrIsEEEESD_jNS0_19identity_decomposerEEE10hipError_tT1_T2_PT3_SI_jT4_jjP12ihipStream_tbEUlT_E_NS1_11comp_targetILNS1_3genE8ELNS1_11target_archE1030ELNS1_3gpuE2ELNS1_3repE0EEENS1_52radix_sort_onesweep_histogram_config_static_selectorELNS0_4arch9wavefront6targetE1EEEvSG_.kd
    .uniform_work_group_size: 1
    .uses_dynamic_stack: false
    .vgpr_count:     0
    .vgpr_spill_count: 0
    .wavefront_size: 64
  - .agpr_count:     0
    .args:
      - .address_space:  global
        .offset:         0
        .size:           8
        .value_kind:     global_buffer
    .group_segment_fixed_size: 0
    .kernarg_segment_align: 8
    .kernarg_segment_size: 8
    .language:       OpenCL C
    .language_version:
      - 2
      - 0
    .max_flat_workgroup_size: 256
    .name:           _ZN7rocprim17ROCPRIM_400000_NS6detail17trampoline_kernelINS0_14default_configENS1_35radix_sort_onesweep_config_selectorIssEEZNS1_34radix_sort_onesweep_global_offsetsIS3_Lb0EN6thrust23THRUST_200600_302600_NS6detail15normal_iteratorINS8_10device_ptrIsEEEESD_jNS0_19identity_decomposerEEE10hipError_tT1_T2_PT3_SI_jT4_jjP12ihipStream_tbEUlT_E0_NS1_11comp_targetILNS1_3genE0ELNS1_11target_archE4294967295ELNS1_3gpuE0ELNS1_3repE0EEENS1_52radix_sort_onesweep_histogram_config_static_selectorELNS0_4arch9wavefront6targetE1EEEvSG_
    .private_segment_fixed_size: 0
    .sgpr_count:     6
    .sgpr_spill_count: 0
    .symbol:         _ZN7rocprim17ROCPRIM_400000_NS6detail17trampoline_kernelINS0_14default_configENS1_35radix_sort_onesweep_config_selectorIssEEZNS1_34radix_sort_onesweep_global_offsetsIS3_Lb0EN6thrust23THRUST_200600_302600_NS6detail15normal_iteratorINS8_10device_ptrIsEEEESD_jNS0_19identity_decomposerEEE10hipError_tT1_T2_PT3_SI_jT4_jjP12ihipStream_tbEUlT_E0_NS1_11comp_targetILNS1_3genE0ELNS1_11target_archE4294967295ELNS1_3gpuE0ELNS1_3repE0EEENS1_52radix_sort_onesweep_histogram_config_static_selectorELNS0_4arch9wavefront6targetE1EEEvSG_.kd
    .uniform_work_group_size: 1
    .uses_dynamic_stack: false
    .vgpr_count:     0
    .vgpr_spill_count: 0
    .wavefront_size: 64
  - .agpr_count:     0
    .args:
      - .address_space:  global
        .offset:         0
        .size:           8
        .value_kind:     global_buffer
    .group_segment_fixed_size: 32
    .kernarg_segment_align: 8
    .kernarg_segment_size: 8
    .language:       OpenCL C
    .language_version:
      - 2
      - 0
    .max_flat_workgroup_size: 512
    .name:           _ZN7rocprim17ROCPRIM_400000_NS6detail17trampoline_kernelINS0_14default_configENS1_35radix_sort_onesweep_config_selectorIssEEZNS1_34radix_sort_onesweep_global_offsetsIS3_Lb0EN6thrust23THRUST_200600_302600_NS6detail15normal_iteratorINS8_10device_ptrIsEEEESD_jNS0_19identity_decomposerEEE10hipError_tT1_T2_PT3_SI_jT4_jjP12ihipStream_tbEUlT_E0_NS1_11comp_targetILNS1_3genE6ELNS1_11target_archE950ELNS1_3gpuE13ELNS1_3repE0EEENS1_52radix_sort_onesweep_histogram_config_static_selectorELNS0_4arch9wavefront6targetE1EEEvSG_
    .private_segment_fixed_size: 0
    .sgpr_count:     14
    .sgpr_spill_count: 0
    .symbol:         _ZN7rocprim17ROCPRIM_400000_NS6detail17trampoline_kernelINS0_14default_configENS1_35radix_sort_onesweep_config_selectorIssEEZNS1_34radix_sort_onesweep_global_offsetsIS3_Lb0EN6thrust23THRUST_200600_302600_NS6detail15normal_iteratorINS8_10device_ptrIsEEEESD_jNS0_19identity_decomposerEEE10hipError_tT1_T2_PT3_SI_jT4_jjP12ihipStream_tbEUlT_E0_NS1_11comp_targetILNS1_3genE6ELNS1_11target_archE950ELNS1_3gpuE13ELNS1_3repE0EEENS1_52radix_sort_onesweep_histogram_config_static_selectorELNS0_4arch9wavefront6targetE1EEEvSG_.kd
    .uniform_work_group_size: 1
    .uses_dynamic_stack: false
    .vgpr_count:     7
    .vgpr_spill_count: 0
    .wavefront_size: 64
  - .agpr_count:     0
    .args:
      - .address_space:  global
        .offset:         0
        .size:           8
        .value_kind:     global_buffer
    .group_segment_fixed_size: 0
    .kernarg_segment_align: 8
    .kernarg_segment_size: 8
    .language:       OpenCL C
    .language_version:
      - 2
      - 0
    .max_flat_workgroup_size: 512
    .name:           _ZN7rocprim17ROCPRIM_400000_NS6detail17trampoline_kernelINS0_14default_configENS1_35radix_sort_onesweep_config_selectorIssEEZNS1_34radix_sort_onesweep_global_offsetsIS3_Lb0EN6thrust23THRUST_200600_302600_NS6detail15normal_iteratorINS8_10device_ptrIsEEEESD_jNS0_19identity_decomposerEEE10hipError_tT1_T2_PT3_SI_jT4_jjP12ihipStream_tbEUlT_E0_NS1_11comp_targetILNS1_3genE5ELNS1_11target_archE942ELNS1_3gpuE9ELNS1_3repE0EEENS1_52radix_sort_onesweep_histogram_config_static_selectorELNS0_4arch9wavefront6targetE1EEEvSG_
    .private_segment_fixed_size: 0
    .sgpr_count:     6
    .sgpr_spill_count: 0
    .symbol:         _ZN7rocprim17ROCPRIM_400000_NS6detail17trampoline_kernelINS0_14default_configENS1_35radix_sort_onesweep_config_selectorIssEEZNS1_34radix_sort_onesweep_global_offsetsIS3_Lb0EN6thrust23THRUST_200600_302600_NS6detail15normal_iteratorINS8_10device_ptrIsEEEESD_jNS0_19identity_decomposerEEE10hipError_tT1_T2_PT3_SI_jT4_jjP12ihipStream_tbEUlT_E0_NS1_11comp_targetILNS1_3genE5ELNS1_11target_archE942ELNS1_3gpuE9ELNS1_3repE0EEENS1_52radix_sort_onesweep_histogram_config_static_selectorELNS0_4arch9wavefront6targetE1EEEvSG_.kd
    .uniform_work_group_size: 1
    .uses_dynamic_stack: false
    .vgpr_count:     0
    .vgpr_spill_count: 0
    .wavefront_size: 64
  - .agpr_count:     0
    .args:
      - .address_space:  global
        .offset:         0
        .size:           8
        .value_kind:     global_buffer
    .group_segment_fixed_size: 0
    .kernarg_segment_align: 8
    .kernarg_segment_size: 8
    .language:       OpenCL C
    .language_version:
      - 2
      - 0
    .max_flat_workgroup_size: 256
    .name:           _ZN7rocprim17ROCPRIM_400000_NS6detail17trampoline_kernelINS0_14default_configENS1_35radix_sort_onesweep_config_selectorIssEEZNS1_34radix_sort_onesweep_global_offsetsIS3_Lb0EN6thrust23THRUST_200600_302600_NS6detail15normal_iteratorINS8_10device_ptrIsEEEESD_jNS0_19identity_decomposerEEE10hipError_tT1_T2_PT3_SI_jT4_jjP12ihipStream_tbEUlT_E0_NS1_11comp_targetILNS1_3genE2ELNS1_11target_archE906ELNS1_3gpuE6ELNS1_3repE0EEENS1_52radix_sort_onesweep_histogram_config_static_selectorELNS0_4arch9wavefront6targetE1EEEvSG_
    .private_segment_fixed_size: 0
    .sgpr_count:     6
    .sgpr_spill_count: 0
    .symbol:         _ZN7rocprim17ROCPRIM_400000_NS6detail17trampoline_kernelINS0_14default_configENS1_35radix_sort_onesweep_config_selectorIssEEZNS1_34radix_sort_onesweep_global_offsetsIS3_Lb0EN6thrust23THRUST_200600_302600_NS6detail15normal_iteratorINS8_10device_ptrIsEEEESD_jNS0_19identity_decomposerEEE10hipError_tT1_T2_PT3_SI_jT4_jjP12ihipStream_tbEUlT_E0_NS1_11comp_targetILNS1_3genE2ELNS1_11target_archE906ELNS1_3gpuE6ELNS1_3repE0EEENS1_52radix_sort_onesweep_histogram_config_static_selectorELNS0_4arch9wavefront6targetE1EEEvSG_.kd
    .uniform_work_group_size: 1
    .uses_dynamic_stack: false
    .vgpr_count:     0
    .vgpr_spill_count: 0
    .wavefront_size: 64
  - .agpr_count:     0
    .args:
      - .address_space:  global
        .offset:         0
        .size:           8
        .value_kind:     global_buffer
    .group_segment_fixed_size: 0
    .kernarg_segment_align: 8
    .kernarg_segment_size: 8
    .language:       OpenCL C
    .language_version:
      - 2
      - 0
    .max_flat_workgroup_size: 512
    .name:           _ZN7rocprim17ROCPRIM_400000_NS6detail17trampoline_kernelINS0_14default_configENS1_35radix_sort_onesweep_config_selectorIssEEZNS1_34radix_sort_onesweep_global_offsetsIS3_Lb0EN6thrust23THRUST_200600_302600_NS6detail15normal_iteratorINS8_10device_ptrIsEEEESD_jNS0_19identity_decomposerEEE10hipError_tT1_T2_PT3_SI_jT4_jjP12ihipStream_tbEUlT_E0_NS1_11comp_targetILNS1_3genE4ELNS1_11target_archE910ELNS1_3gpuE8ELNS1_3repE0EEENS1_52radix_sort_onesweep_histogram_config_static_selectorELNS0_4arch9wavefront6targetE1EEEvSG_
    .private_segment_fixed_size: 0
    .sgpr_count:     6
    .sgpr_spill_count: 0
    .symbol:         _ZN7rocprim17ROCPRIM_400000_NS6detail17trampoline_kernelINS0_14default_configENS1_35radix_sort_onesweep_config_selectorIssEEZNS1_34radix_sort_onesweep_global_offsetsIS3_Lb0EN6thrust23THRUST_200600_302600_NS6detail15normal_iteratorINS8_10device_ptrIsEEEESD_jNS0_19identity_decomposerEEE10hipError_tT1_T2_PT3_SI_jT4_jjP12ihipStream_tbEUlT_E0_NS1_11comp_targetILNS1_3genE4ELNS1_11target_archE910ELNS1_3gpuE8ELNS1_3repE0EEENS1_52radix_sort_onesweep_histogram_config_static_selectorELNS0_4arch9wavefront6targetE1EEEvSG_.kd
    .uniform_work_group_size: 1
    .uses_dynamic_stack: false
    .vgpr_count:     0
    .vgpr_spill_count: 0
    .wavefront_size: 64
  - .agpr_count:     0
    .args:
      - .address_space:  global
        .offset:         0
        .size:           8
        .value_kind:     global_buffer
    .group_segment_fixed_size: 0
    .kernarg_segment_align: 8
    .kernarg_segment_size: 8
    .language:       OpenCL C
    .language_version:
      - 2
      - 0
    .max_flat_workgroup_size: 256
    .name:           _ZN7rocprim17ROCPRIM_400000_NS6detail17trampoline_kernelINS0_14default_configENS1_35radix_sort_onesweep_config_selectorIssEEZNS1_34radix_sort_onesweep_global_offsetsIS3_Lb0EN6thrust23THRUST_200600_302600_NS6detail15normal_iteratorINS8_10device_ptrIsEEEESD_jNS0_19identity_decomposerEEE10hipError_tT1_T2_PT3_SI_jT4_jjP12ihipStream_tbEUlT_E0_NS1_11comp_targetILNS1_3genE3ELNS1_11target_archE908ELNS1_3gpuE7ELNS1_3repE0EEENS1_52radix_sort_onesweep_histogram_config_static_selectorELNS0_4arch9wavefront6targetE1EEEvSG_
    .private_segment_fixed_size: 0
    .sgpr_count:     6
    .sgpr_spill_count: 0
    .symbol:         _ZN7rocprim17ROCPRIM_400000_NS6detail17trampoline_kernelINS0_14default_configENS1_35radix_sort_onesweep_config_selectorIssEEZNS1_34radix_sort_onesweep_global_offsetsIS3_Lb0EN6thrust23THRUST_200600_302600_NS6detail15normal_iteratorINS8_10device_ptrIsEEEESD_jNS0_19identity_decomposerEEE10hipError_tT1_T2_PT3_SI_jT4_jjP12ihipStream_tbEUlT_E0_NS1_11comp_targetILNS1_3genE3ELNS1_11target_archE908ELNS1_3gpuE7ELNS1_3repE0EEENS1_52radix_sort_onesweep_histogram_config_static_selectorELNS0_4arch9wavefront6targetE1EEEvSG_.kd
    .uniform_work_group_size: 1
    .uses_dynamic_stack: false
    .vgpr_count:     0
    .vgpr_spill_count: 0
    .wavefront_size: 64
  - .agpr_count:     0
    .args:
      - .address_space:  global
        .offset:         0
        .size:           8
        .value_kind:     global_buffer
    .group_segment_fixed_size: 0
    .kernarg_segment_align: 8
    .kernarg_segment_size: 8
    .language:       OpenCL C
    .language_version:
      - 2
      - 0
    .max_flat_workgroup_size: 512
    .name:           _ZN7rocprim17ROCPRIM_400000_NS6detail17trampoline_kernelINS0_14default_configENS1_35radix_sort_onesweep_config_selectorIssEEZNS1_34radix_sort_onesweep_global_offsetsIS3_Lb0EN6thrust23THRUST_200600_302600_NS6detail15normal_iteratorINS8_10device_ptrIsEEEESD_jNS0_19identity_decomposerEEE10hipError_tT1_T2_PT3_SI_jT4_jjP12ihipStream_tbEUlT_E0_NS1_11comp_targetILNS1_3genE10ELNS1_11target_archE1201ELNS1_3gpuE5ELNS1_3repE0EEENS1_52radix_sort_onesweep_histogram_config_static_selectorELNS0_4arch9wavefront6targetE1EEEvSG_
    .private_segment_fixed_size: 0
    .sgpr_count:     6
    .sgpr_spill_count: 0
    .symbol:         _ZN7rocprim17ROCPRIM_400000_NS6detail17trampoline_kernelINS0_14default_configENS1_35radix_sort_onesweep_config_selectorIssEEZNS1_34radix_sort_onesweep_global_offsetsIS3_Lb0EN6thrust23THRUST_200600_302600_NS6detail15normal_iteratorINS8_10device_ptrIsEEEESD_jNS0_19identity_decomposerEEE10hipError_tT1_T2_PT3_SI_jT4_jjP12ihipStream_tbEUlT_E0_NS1_11comp_targetILNS1_3genE10ELNS1_11target_archE1201ELNS1_3gpuE5ELNS1_3repE0EEENS1_52radix_sort_onesweep_histogram_config_static_selectorELNS0_4arch9wavefront6targetE1EEEvSG_.kd
    .uniform_work_group_size: 1
    .uses_dynamic_stack: false
    .vgpr_count:     0
    .vgpr_spill_count: 0
    .wavefront_size: 64
  - .agpr_count:     0
    .args:
      - .address_space:  global
        .offset:         0
        .size:           8
        .value_kind:     global_buffer
    .group_segment_fixed_size: 0
    .kernarg_segment_align: 8
    .kernarg_segment_size: 8
    .language:       OpenCL C
    .language_version:
      - 2
      - 0
    .max_flat_workgroup_size: 1024
    .name:           _ZN7rocprim17ROCPRIM_400000_NS6detail17trampoline_kernelINS0_14default_configENS1_35radix_sort_onesweep_config_selectorIssEEZNS1_34radix_sort_onesweep_global_offsetsIS3_Lb0EN6thrust23THRUST_200600_302600_NS6detail15normal_iteratorINS8_10device_ptrIsEEEESD_jNS0_19identity_decomposerEEE10hipError_tT1_T2_PT3_SI_jT4_jjP12ihipStream_tbEUlT_E0_NS1_11comp_targetILNS1_3genE9ELNS1_11target_archE1100ELNS1_3gpuE3ELNS1_3repE0EEENS1_52radix_sort_onesweep_histogram_config_static_selectorELNS0_4arch9wavefront6targetE1EEEvSG_
    .private_segment_fixed_size: 0
    .sgpr_count:     6
    .sgpr_spill_count: 0
    .symbol:         _ZN7rocprim17ROCPRIM_400000_NS6detail17trampoline_kernelINS0_14default_configENS1_35radix_sort_onesweep_config_selectorIssEEZNS1_34radix_sort_onesweep_global_offsetsIS3_Lb0EN6thrust23THRUST_200600_302600_NS6detail15normal_iteratorINS8_10device_ptrIsEEEESD_jNS0_19identity_decomposerEEE10hipError_tT1_T2_PT3_SI_jT4_jjP12ihipStream_tbEUlT_E0_NS1_11comp_targetILNS1_3genE9ELNS1_11target_archE1100ELNS1_3gpuE3ELNS1_3repE0EEENS1_52radix_sort_onesweep_histogram_config_static_selectorELNS0_4arch9wavefront6targetE1EEEvSG_.kd
    .uniform_work_group_size: 1
    .uses_dynamic_stack: false
    .vgpr_count:     0
    .vgpr_spill_count: 0
    .wavefront_size: 64
  - .agpr_count:     0
    .args:
      - .address_space:  global
        .offset:         0
        .size:           8
        .value_kind:     global_buffer
    .group_segment_fixed_size: 0
    .kernarg_segment_align: 8
    .kernarg_segment_size: 8
    .language:       OpenCL C
    .language_version:
      - 2
      - 0
    .max_flat_workgroup_size: 1024
    .name:           _ZN7rocprim17ROCPRIM_400000_NS6detail17trampoline_kernelINS0_14default_configENS1_35radix_sort_onesweep_config_selectorIssEEZNS1_34radix_sort_onesweep_global_offsetsIS3_Lb0EN6thrust23THRUST_200600_302600_NS6detail15normal_iteratorINS8_10device_ptrIsEEEESD_jNS0_19identity_decomposerEEE10hipError_tT1_T2_PT3_SI_jT4_jjP12ihipStream_tbEUlT_E0_NS1_11comp_targetILNS1_3genE8ELNS1_11target_archE1030ELNS1_3gpuE2ELNS1_3repE0EEENS1_52radix_sort_onesweep_histogram_config_static_selectorELNS0_4arch9wavefront6targetE1EEEvSG_
    .private_segment_fixed_size: 0
    .sgpr_count:     6
    .sgpr_spill_count: 0
    .symbol:         _ZN7rocprim17ROCPRIM_400000_NS6detail17trampoline_kernelINS0_14default_configENS1_35radix_sort_onesweep_config_selectorIssEEZNS1_34radix_sort_onesweep_global_offsetsIS3_Lb0EN6thrust23THRUST_200600_302600_NS6detail15normal_iteratorINS8_10device_ptrIsEEEESD_jNS0_19identity_decomposerEEE10hipError_tT1_T2_PT3_SI_jT4_jjP12ihipStream_tbEUlT_E0_NS1_11comp_targetILNS1_3genE8ELNS1_11target_archE1030ELNS1_3gpuE2ELNS1_3repE0EEENS1_52radix_sort_onesweep_histogram_config_static_selectorELNS0_4arch9wavefront6targetE1EEEvSG_.kd
    .uniform_work_group_size: 1
    .uses_dynamic_stack: false
    .vgpr_count:     0
    .vgpr_spill_count: 0
    .wavefront_size: 64
  - .agpr_count:     0
    .args:
      - .offset:         0
        .size:           40
        .value_kind:     by_value
      - .offset:         40
        .size:           4
        .value_kind:     hidden_block_count_x
      - .offset:         44
        .size:           4
        .value_kind:     hidden_block_count_y
      - .offset:         48
        .size:           4
        .value_kind:     hidden_block_count_z
      - .offset:         52
        .size:           2
        .value_kind:     hidden_group_size_x
      - .offset:         54
        .size:           2
        .value_kind:     hidden_group_size_y
      - .offset:         56
        .size:           2
        .value_kind:     hidden_group_size_z
      - .offset:         58
        .size:           2
        .value_kind:     hidden_remainder_x
      - .offset:         60
        .size:           2
        .value_kind:     hidden_remainder_y
      - .offset:         62
        .size:           2
        .value_kind:     hidden_remainder_z
      - .offset:         80
        .size:           8
        .value_kind:     hidden_global_offset_x
      - .offset:         88
        .size:           8
        .value_kind:     hidden_global_offset_y
      - .offset:         96
        .size:           8
        .value_kind:     hidden_global_offset_z
      - .offset:         104
        .size:           2
        .value_kind:     hidden_grid_dims
    .group_segment_fixed_size: 0
    .kernarg_segment_align: 8
    .kernarg_segment_size: 296
    .language:       OpenCL C
    .language_version:
      - 2
      - 0
    .max_flat_workgroup_size: 128
    .name:           _ZN7rocprim17ROCPRIM_400000_NS6detail17trampoline_kernelINS0_14default_configENS1_25transform_config_selectorIsLb0EEEZNS1_14transform_implILb0ES3_S5_N6thrust23THRUST_200600_302600_NS6detail15normal_iteratorINS8_10device_ptrIsEEEEPsNS0_8identityIsEEEE10hipError_tT2_T3_mT4_P12ihipStream_tbEUlT_E_NS1_11comp_targetILNS1_3genE0ELNS1_11target_archE4294967295ELNS1_3gpuE0ELNS1_3repE0EEENS1_30default_config_static_selectorELNS0_4arch9wavefront6targetE1EEEvT1_
    .private_segment_fixed_size: 0
    .sgpr_count:     26
    .sgpr_spill_count: 0
    .symbol:         _ZN7rocprim17ROCPRIM_400000_NS6detail17trampoline_kernelINS0_14default_configENS1_25transform_config_selectorIsLb0EEEZNS1_14transform_implILb0ES3_S5_N6thrust23THRUST_200600_302600_NS6detail15normal_iteratorINS8_10device_ptrIsEEEEPsNS0_8identityIsEEEE10hipError_tT2_T3_mT4_P12ihipStream_tbEUlT_E_NS1_11comp_targetILNS1_3genE0ELNS1_11target_archE4294967295ELNS1_3gpuE0ELNS1_3repE0EEENS1_30default_config_static_selectorELNS0_4arch9wavefront6targetE1EEEvT1_.kd
    .uniform_work_group_size: 1
    .uses_dynamic_stack: false
    .vgpr_count:     11
    .vgpr_spill_count: 0
    .wavefront_size: 64
  - .agpr_count:     0
    .args:
      - .offset:         0
        .size:           40
        .value_kind:     by_value
    .group_segment_fixed_size: 0
    .kernarg_segment_align: 8
    .kernarg_segment_size: 40
    .language:       OpenCL C
    .language_version:
      - 2
      - 0
    .max_flat_workgroup_size: 256
    .name:           _ZN7rocprim17ROCPRIM_400000_NS6detail17trampoline_kernelINS0_14default_configENS1_25transform_config_selectorIsLb0EEEZNS1_14transform_implILb0ES3_S5_N6thrust23THRUST_200600_302600_NS6detail15normal_iteratorINS8_10device_ptrIsEEEEPsNS0_8identityIsEEEE10hipError_tT2_T3_mT4_P12ihipStream_tbEUlT_E_NS1_11comp_targetILNS1_3genE5ELNS1_11target_archE942ELNS1_3gpuE9ELNS1_3repE0EEENS1_30default_config_static_selectorELNS0_4arch9wavefront6targetE1EEEvT1_
    .private_segment_fixed_size: 0
    .sgpr_count:     6
    .sgpr_spill_count: 0
    .symbol:         _ZN7rocprim17ROCPRIM_400000_NS6detail17trampoline_kernelINS0_14default_configENS1_25transform_config_selectorIsLb0EEEZNS1_14transform_implILb0ES3_S5_N6thrust23THRUST_200600_302600_NS6detail15normal_iteratorINS8_10device_ptrIsEEEEPsNS0_8identityIsEEEE10hipError_tT2_T3_mT4_P12ihipStream_tbEUlT_E_NS1_11comp_targetILNS1_3genE5ELNS1_11target_archE942ELNS1_3gpuE9ELNS1_3repE0EEENS1_30default_config_static_selectorELNS0_4arch9wavefront6targetE1EEEvT1_.kd
    .uniform_work_group_size: 1
    .uses_dynamic_stack: false
    .vgpr_count:     0
    .vgpr_spill_count: 0
    .wavefront_size: 64
  - .agpr_count:     0
    .args:
      - .offset:         0
        .size:           40
        .value_kind:     by_value
    .group_segment_fixed_size: 0
    .kernarg_segment_align: 8
    .kernarg_segment_size: 40
    .language:       OpenCL C
    .language_version:
      - 2
      - 0
    .max_flat_workgroup_size: 64
    .name:           _ZN7rocprim17ROCPRIM_400000_NS6detail17trampoline_kernelINS0_14default_configENS1_25transform_config_selectorIsLb0EEEZNS1_14transform_implILb0ES3_S5_N6thrust23THRUST_200600_302600_NS6detail15normal_iteratorINS8_10device_ptrIsEEEEPsNS0_8identityIsEEEE10hipError_tT2_T3_mT4_P12ihipStream_tbEUlT_E_NS1_11comp_targetILNS1_3genE4ELNS1_11target_archE910ELNS1_3gpuE8ELNS1_3repE0EEENS1_30default_config_static_selectorELNS0_4arch9wavefront6targetE1EEEvT1_
    .private_segment_fixed_size: 0
    .sgpr_count:     6
    .sgpr_spill_count: 0
    .symbol:         _ZN7rocprim17ROCPRIM_400000_NS6detail17trampoline_kernelINS0_14default_configENS1_25transform_config_selectorIsLb0EEEZNS1_14transform_implILb0ES3_S5_N6thrust23THRUST_200600_302600_NS6detail15normal_iteratorINS8_10device_ptrIsEEEEPsNS0_8identityIsEEEE10hipError_tT2_T3_mT4_P12ihipStream_tbEUlT_E_NS1_11comp_targetILNS1_3genE4ELNS1_11target_archE910ELNS1_3gpuE8ELNS1_3repE0EEENS1_30default_config_static_selectorELNS0_4arch9wavefront6targetE1EEEvT1_.kd
    .uniform_work_group_size: 1
    .uses_dynamic_stack: false
    .vgpr_count:     0
    .vgpr_spill_count: 0
    .wavefront_size: 64
  - .agpr_count:     0
    .args:
      - .offset:         0
        .size:           40
        .value_kind:     by_value
    .group_segment_fixed_size: 0
    .kernarg_segment_align: 8
    .kernarg_segment_size: 40
    .language:       OpenCL C
    .language_version:
      - 2
      - 0
    .max_flat_workgroup_size: 128
    .name:           _ZN7rocprim17ROCPRIM_400000_NS6detail17trampoline_kernelINS0_14default_configENS1_25transform_config_selectorIsLb0EEEZNS1_14transform_implILb0ES3_S5_N6thrust23THRUST_200600_302600_NS6detail15normal_iteratorINS8_10device_ptrIsEEEEPsNS0_8identityIsEEEE10hipError_tT2_T3_mT4_P12ihipStream_tbEUlT_E_NS1_11comp_targetILNS1_3genE3ELNS1_11target_archE908ELNS1_3gpuE7ELNS1_3repE0EEENS1_30default_config_static_selectorELNS0_4arch9wavefront6targetE1EEEvT1_
    .private_segment_fixed_size: 0
    .sgpr_count:     6
    .sgpr_spill_count: 0
    .symbol:         _ZN7rocprim17ROCPRIM_400000_NS6detail17trampoline_kernelINS0_14default_configENS1_25transform_config_selectorIsLb0EEEZNS1_14transform_implILb0ES3_S5_N6thrust23THRUST_200600_302600_NS6detail15normal_iteratorINS8_10device_ptrIsEEEEPsNS0_8identityIsEEEE10hipError_tT2_T3_mT4_P12ihipStream_tbEUlT_E_NS1_11comp_targetILNS1_3genE3ELNS1_11target_archE908ELNS1_3gpuE7ELNS1_3repE0EEENS1_30default_config_static_selectorELNS0_4arch9wavefront6targetE1EEEvT1_.kd
    .uniform_work_group_size: 1
    .uses_dynamic_stack: false
    .vgpr_count:     0
    .vgpr_spill_count: 0
    .wavefront_size: 64
  - .agpr_count:     0
    .args:
      - .offset:         0
        .size:           40
        .value_kind:     by_value
    .group_segment_fixed_size: 0
    .kernarg_segment_align: 8
    .kernarg_segment_size: 40
    .language:       OpenCL C
    .language_version:
      - 2
      - 0
    .max_flat_workgroup_size: 512
    .name:           _ZN7rocprim17ROCPRIM_400000_NS6detail17trampoline_kernelINS0_14default_configENS1_25transform_config_selectorIsLb0EEEZNS1_14transform_implILb0ES3_S5_N6thrust23THRUST_200600_302600_NS6detail15normal_iteratorINS8_10device_ptrIsEEEEPsNS0_8identityIsEEEE10hipError_tT2_T3_mT4_P12ihipStream_tbEUlT_E_NS1_11comp_targetILNS1_3genE2ELNS1_11target_archE906ELNS1_3gpuE6ELNS1_3repE0EEENS1_30default_config_static_selectorELNS0_4arch9wavefront6targetE1EEEvT1_
    .private_segment_fixed_size: 0
    .sgpr_count:     6
    .sgpr_spill_count: 0
    .symbol:         _ZN7rocprim17ROCPRIM_400000_NS6detail17trampoline_kernelINS0_14default_configENS1_25transform_config_selectorIsLb0EEEZNS1_14transform_implILb0ES3_S5_N6thrust23THRUST_200600_302600_NS6detail15normal_iteratorINS8_10device_ptrIsEEEEPsNS0_8identityIsEEEE10hipError_tT2_T3_mT4_P12ihipStream_tbEUlT_E_NS1_11comp_targetILNS1_3genE2ELNS1_11target_archE906ELNS1_3gpuE6ELNS1_3repE0EEENS1_30default_config_static_selectorELNS0_4arch9wavefront6targetE1EEEvT1_.kd
    .uniform_work_group_size: 1
    .uses_dynamic_stack: false
    .vgpr_count:     0
    .vgpr_spill_count: 0
    .wavefront_size: 64
  - .agpr_count:     0
    .args:
      - .offset:         0
        .size:           40
        .value_kind:     by_value
    .group_segment_fixed_size: 0
    .kernarg_segment_align: 8
    .kernarg_segment_size: 40
    .language:       OpenCL C
    .language_version:
      - 2
      - 0
    .max_flat_workgroup_size: 1024
    .name:           _ZN7rocprim17ROCPRIM_400000_NS6detail17trampoline_kernelINS0_14default_configENS1_25transform_config_selectorIsLb0EEEZNS1_14transform_implILb0ES3_S5_N6thrust23THRUST_200600_302600_NS6detail15normal_iteratorINS8_10device_ptrIsEEEEPsNS0_8identityIsEEEE10hipError_tT2_T3_mT4_P12ihipStream_tbEUlT_E_NS1_11comp_targetILNS1_3genE10ELNS1_11target_archE1201ELNS1_3gpuE5ELNS1_3repE0EEENS1_30default_config_static_selectorELNS0_4arch9wavefront6targetE1EEEvT1_
    .private_segment_fixed_size: 0
    .sgpr_count:     6
    .sgpr_spill_count: 0
    .symbol:         _ZN7rocprim17ROCPRIM_400000_NS6detail17trampoline_kernelINS0_14default_configENS1_25transform_config_selectorIsLb0EEEZNS1_14transform_implILb0ES3_S5_N6thrust23THRUST_200600_302600_NS6detail15normal_iteratorINS8_10device_ptrIsEEEEPsNS0_8identityIsEEEE10hipError_tT2_T3_mT4_P12ihipStream_tbEUlT_E_NS1_11comp_targetILNS1_3genE10ELNS1_11target_archE1201ELNS1_3gpuE5ELNS1_3repE0EEENS1_30default_config_static_selectorELNS0_4arch9wavefront6targetE1EEEvT1_.kd
    .uniform_work_group_size: 1
    .uses_dynamic_stack: false
    .vgpr_count:     0
    .vgpr_spill_count: 0
    .wavefront_size: 64
  - .agpr_count:     0
    .args:
      - .offset:         0
        .size:           40
        .value_kind:     by_value
    .group_segment_fixed_size: 0
    .kernarg_segment_align: 8
    .kernarg_segment_size: 40
    .language:       OpenCL C
    .language_version:
      - 2
      - 0
    .max_flat_workgroup_size: 512
    .name:           _ZN7rocprim17ROCPRIM_400000_NS6detail17trampoline_kernelINS0_14default_configENS1_25transform_config_selectorIsLb0EEEZNS1_14transform_implILb0ES3_S5_N6thrust23THRUST_200600_302600_NS6detail15normal_iteratorINS8_10device_ptrIsEEEEPsNS0_8identityIsEEEE10hipError_tT2_T3_mT4_P12ihipStream_tbEUlT_E_NS1_11comp_targetILNS1_3genE10ELNS1_11target_archE1200ELNS1_3gpuE4ELNS1_3repE0EEENS1_30default_config_static_selectorELNS0_4arch9wavefront6targetE1EEEvT1_
    .private_segment_fixed_size: 0
    .sgpr_count:     6
    .sgpr_spill_count: 0
    .symbol:         _ZN7rocprim17ROCPRIM_400000_NS6detail17trampoline_kernelINS0_14default_configENS1_25transform_config_selectorIsLb0EEEZNS1_14transform_implILb0ES3_S5_N6thrust23THRUST_200600_302600_NS6detail15normal_iteratorINS8_10device_ptrIsEEEEPsNS0_8identityIsEEEE10hipError_tT2_T3_mT4_P12ihipStream_tbEUlT_E_NS1_11comp_targetILNS1_3genE10ELNS1_11target_archE1200ELNS1_3gpuE4ELNS1_3repE0EEENS1_30default_config_static_selectorELNS0_4arch9wavefront6targetE1EEEvT1_.kd
    .uniform_work_group_size: 1
    .uses_dynamic_stack: false
    .vgpr_count:     0
    .vgpr_spill_count: 0
    .wavefront_size: 64
  - .agpr_count:     0
    .args:
      - .offset:         0
        .size:           40
        .value_kind:     by_value
    .group_segment_fixed_size: 0
    .kernarg_segment_align: 8
    .kernarg_segment_size: 40
    .language:       OpenCL C
    .language_version:
      - 2
      - 0
    .max_flat_workgroup_size: 1024
    .name:           _ZN7rocprim17ROCPRIM_400000_NS6detail17trampoline_kernelINS0_14default_configENS1_25transform_config_selectorIsLb0EEEZNS1_14transform_implILb0ES3_S5_N6thrust23THRUST_200600_302600_NS6detail15normal_iteratorINS8_10device_ptrIsEEEEPsNS0_8identityIsEEEE10hipError_tT2_T3_mT4_P12ihipStream_tbEUlT_E_NS1_11comp_targetILNS1_3genE9ELNS1_11target_archE1100ELNS1_3gpuE3ELNS1_3repE0EEENS1_30default_config_static_selectorELNS0_4arch9wavefront6targetE1EEEvT1_
    .private_segment_fixed_size: 0
    .sgpr_count:     6
    .sgpr_spill_count: 0
    .symbol:         _ZN7rocprim17ROCPRIM_400000_NS6detail17trampoline_kernelINS0_14default_configENS1_25transform_config_selectorIsLb0EEEZNS1_14transform_implILb0ES3_S5_N6thrust23THRUST_200600_302600_NS6detail15normal_iteratorINS8_10device_ptrIsEEEEPsNS0_8identityIsEEEE10hipError_tT2_T3_mT4_P12ihipStream_tbEUlT_E_NS1_11comp_targetILNS1_3genE9ELNS1_11target_archE1100ELNS1_3gpuE3ELNS1_3repE0EEENS1_30default_config_static_selectorELNS0_4arch9wavefront6targetE1EEEvT1_.kd
    .uniform_work_group_size: 1
    .uses_dynamic_stack: false
    .vgpr_count:     0
    .vgpr_spill_count: 0
    .wavefront_size: 64
  - .agpr_count:     0
    .args:
      - .offset:         0
        .size:           40
        .value_kind:     by_value
    .group_segment_fixed_size: 0
    .kernarg_segment_align: 8
    .kernarg_segment_size: 40
    .language:       OpenCL C
    .language_version:
      - 2
      - 0
    .max_flat_workgroup_size: 1024
    .name:           _ZN7rocprim17ROCPRIM_400000_NS6detail17trampoline_kernelINS0_14default_configENS1_25transform_config_selectorIsLb0EEEZNS1_14transform_implILb0ES3_S5_N6thrust23THRUST_200600_302600_NS6detail15normal_iteratorINS8_10device_ptrIsEEEEPsNS0_8identityIsEEEE10hipError_tT2_T3_mT4_P12ihipStream_tbEUlT_E_NS1_11comp_targetILNS1_3genE8ELNS1_11target_archE1030ELNS1_3gpuE2ELNS1_3repE0EEENS1_30default_config_static_selectorELNS0_4arch9wavefront6targetE1EEEvT1_
    .private_segment_fixed_size: 0
    .sgpr_count:     6
    .sgpr_spill_count: 0
    .symbol:         _ZN7rocprim17ROCPRIM_400000_NS6detail17trampoline_kernelINS0_14default_configENS1_25transform_config_selectorIsLb0EEEZNS1_14transform_implILb0ES3_S5_N6thrust23THRUST_200600_302600_NS6detail15normal_iteratorINS8_10device_ptrIsEEEEPsNS0_8identityIsEEEE10hipError_tT2_T3_mT4_P12ihipStream_tbEUlT_E_NS1_11comp_targetILNS1_3genE8ELNS1_11target_archE1030ELNS1_3gpuE2ELNS1_3repE0EEENS1_30default_config_static_selectorELNS0_4arch9wavefront6targetE1EEEvT1_.kd
    .uniform_work_group_size: 1
    .uses_dynamic_stack: false
    .vgpr_count:     0
    .vgpr_spill_count: 0
    .wavefront_size: 64
  - .agpr_count:     0
    .args:
      - .offset:         0
        .size:           88
        .value_kind:     by_value
    .group_segment_fixed_size: 0
    .kernarg_segment_align: 8
    .kernarg_segment_size: 88
    .language:       OpenCL C
    .language_version:
      - 2
      - 0
    .max_flat_workgroup_size: 256
    .name:           _ZN7rocprim17ROCPRIM_400000_NS6detail17trampoline_kernelINS0_14default_configENS1_35radix_sort_onesweep_config_selectorIssEEZZNS1_29radix_sort_onesweep_iterationIS3_Lb0EN6thrust23THRUST_200600_302600_NS6detail15normal_iteratorINS8_10device_ptrIsEEEESD_SD_SD_jNS0_19identity_decomposerENS1_16block_id_wrapperIjLb1EEEEE10hipError_tT1_PNSt15iterator_traitsISI_E10value_typeET2_T3_PNSJ_ISO_E10value_typeET4_T5_PST_SU_PNS1_23onesweep_lookback_stateEbbT6_jjT7_P12ihipStream_tbENKUlT_T0_SI_SN_E_clISD_SD_SD_SD_EEDaS11_S12_SI_SN_EUlS11_E_NS1_11comp_targetILNS1_3genE0ELNS1_11target_archE4294967295ELNS1_3gpuE0ELNS1_3repE0EEENS1_47radix_sort_onesweep_sort_config_static_selectorELNS0_4arch9wavefront6targetE1EEEvSI_
    .private_segment_fixed_size: 0
    .sgpr_count:     6
    .sgpr_spill_count: 0
    .symbol:         _ZN7rocprim17ROCPRIM_400000_NS6detail17trampoline_kernelINS0_14default_configENS1_35radix_sort_onesweep_config_selectorIssEEZZNS1_29radix_sort_onesweep_iterationIS3_Lb0EN6thrust23THRUST_200600_302600_NS6detail15normal_iteratorINS8_10device_ptrIsEEEESD_SD_SD_jNS0_19identity_decomposerENS1_16block_id_wrapperIjLb1EEEEE10hipError_tT1_PNSt15iterator_traitsISI_E10value_typeET2_T3_PNSJ_ISO_E10value_typeET4_T5_PST_SU_PNS1_23onesweep_lookback_stateEbbT6_jjT7_P12ihipStream_tbENKUlT_T0_SI_SN_E_clISD_SD_SD_SD_EEDaS11_S12_SI_SN_EUlS11_E_NS1_11comp_targetILNS1_3genE0ELNS1_11target_archE4294967295ELNS1_3gpuE0ELNS1_3repE0EEENS1_47radix_sort_onesweep_sort_config_static_selectorELNS0_4arch9wavefront6targetE1EEEvSI_.kd
    .uniform_work_group_size: 1
    .uses_dynamic_stack: false
    .vgpr_count:     0
    .vgpr_spill_count: 0
    .wavefront_size: 64
  - .agpr_count:     0
    .args:
      - .offset:         0
        .size:           88
        .value_kind:     by_value
      - .offset:         88
        .size:           4
        .value_kind:     hidden_block_count_x
      - .offset:         92
        .size:           4
        .value_kind:     hidden_block_count_y
      - .offset:         96
        .size:           4
        .value_kind:     hidden_block_count_z
      - .offset:         100
        .size:           2
        .value_kind:     hidden_group_size_x
      - .offset:         102
        .size:           2
        .value_kind:     hidden_group_size_y
      - .offset:         104
        .size:           2
        .value_kind:     hidden_group_size_z
      - .offset:         106
        .size:           2
        .value_kind:     hidden_remainder_x
      - .offset:         108
        .size:           2
        .value_kind:     hidden_remainder_y
      - .offset:         110
        .size:           2
        .value_kind:     hidden_remainder_z
      - .offset:         128
        .size:           8
        .value_kind:     hidden_global_offset_x
      - .offset:         136
        .size:           8
        .value_kind:     hidden_global_offset_y
      - .offset:         144
        .size:           8
        .value_kind:     hidden_global_offset_z
      - .offset:         152
        .size:           2
        .value_kind:     hidden_grid_dims
    .group_segment_fixed_size: 22792
    .kernarg_segment_align: 8
    .kernarg_segment_size: 344
    .language:       OpenCL C
    .language_version:
      - 2
      - 0
    .max_flat_workgroup_size: 512
    .name:           _ZN7rocprim17ROCPRIM_400000_NS6detail17trampoline_kernelINS0_14default_configENS1_35radix_sort_onesweep_config_selectorIssEEZZNS1_29radix_sort_onesweep_iterationIS3_Lb0EN6thrust23THRUST_200600_302600_NS6detail15normal_iteratorINS8_10device_ptrIsEEEESD_SD_SD_jNS0_19identity_decomposerENS1_16block_id_wrapperIjLb1EEEEE10hipError_tT1_PNSt15iterator_traitsISI_E10value_typeET2_T3_PNSJ_ISO_E10value_typeET4_T5_PST_SU_PNS1_23onesweep_lookback_stateEbbT6_jjT7_P12ihipStream_tbENKUlT_T0_SI_SN_E_clISD_SD_SD_SD_EEDaS11_S12_SI_SN_EUlS11_E_NS1_11comp_targetILNS1_3genE6ELNS1_11target_archE950ELNS1_3gpuE13ELNS1_3repE0EEENS1_47radix_sort_onesweep_sort_config_static_selectorELNS0_4arch9wavefront6targetE1EEEvSI_
    .private_segment_fixed_size: 0
    .sgpr_count:     106
    .sgpr_spill_count: 20
    .symbol:         _ZN7rocprim17ROCPRIM_400000_NS6detail17trampoline_kernelINS0_14default_configENS1_35radix_sort_onesweep_config_selectorIssEEZZNS1_29radix_sort_onesweep_iterationIS3_Lb0EN6thrust23THRUST_200600_302600_NS6detail15normal_iteratorINS8_10device_ptrIsEEEESD_SD_SD_jNS0_19identity_decomposerENS1_16block_id_wrapperIjLb1EEEEE10hipError_tT1_PNSt15iterator_traitsISI_E10value_typeET2_T3_PNSJ_ISO_E10value_typeET4_T5_PST_SU_PNS1_23onesweep_lookback_stateEbbT6_jjT7_P12ihipStream_tbENKUlT_T0_SI_SN_E_clISD_SD_SD_SD_EEDaS11_S12_SI_SN_EUlS11_E_NS1_11comp_targetILNS1_3genE6ELNS1_11target_archE950ELNS1_3gpuE13ELNS1_3repE0EEENS1_47radix_sort_onesweep_sort_config_static_selectorELNS0_4arch9wavefront6targetE1EEEvSI_.kd
    .uniform_work_group_size: 1
    .uses_dynamic_stack: false
    .vgpr_count:     118
    .vgpr_spill_count: 0
    .wavefront_size: 64
  - .agpr_count:     0
    .args:
      - .offset:         0
        .size:           88
        .value_kind:     by_value
    .group_segment_fixed_size: 0
    .kernarg_segment_align: 8
    .kernarg_segment_size: 88
    .language:       OpenCL C
    .language_version:
      - 2
      - 0
    .max_flat_workgroup_size: 512
    .name:           _ZN7rocprim17ROCPRIM_400000_NS6detail17trampoline_kernelINS0_14default_configENS1_35radix_sort_onesweep_config_selectorIssEEZZNS1_29radix_sort_onesweep_iterationIS3_Lb0EN6thrust23THRUST_200600_302600_NS6detail15normal_iteratorINS8_10device_ptrIsEEEESD_SD_SD_jNS0_19identity_decomposerENS1_16block_id_wrapperIjLb1EEEEE10hipError_tT1_PNSt15iterator_traitsISI_E10value_typeET2_T3_PNSJ_ISO_E10value_typeET4_T5_PST_SU_PNS1_23onesweep_lookback_stateEbbT6_jjT7_P12ihipStream_tbENKUlT_T0_SI_SN_E_clISD_SD_SD_SD_EEDaS11_S12_SI_SN_EUlS11_E_NS1_11comp_targetILNS1_3genE5ELNS1_11target_archE942ELNS1_3gpuE9ELNS1_3repE0EEENS1_47radix_sort_onesweep_sort_config_static_selectorELNS0_4arch9wavefront6targetE1EEEvSI_
    .private_segment_fixed_size: 0
    .sgpr_count:     6
    .sgpr_spill_count: 0
    .symbol:         _ZN7rocprim17ROCPRIM_400000_NS6detail17trampoline_kernelINS0_14default_configENS1_35radix_sort_onesweep_config_selectorIssEEZZNS1_29radix_sort_onesweep_iterationIS3_Lb0EN6thrust23THRUST_200600_302600_NS6detail15normal_iteratorINS8_10device_ptrIsEEEESD_SD_SD_jNS0_19identity_decomposerENS1_16block_id_wrapperIjLb1EEEEE10hipError_tT1_PNSt15iterator_traitsISI_E10value_typeET2_T3_PNSJ_ISO_E10value_typeET4_T5_PST_SU_PNS1_23onesweep_lookback_stateEbbT6_jjT7_P12ihipStream_tbENKUlT_T0_SI_SN_E_clISD_SD_SD_SD_EEDaS11_S12_SI_SN_EUlS11_E_NS1_11comp_targetILNS1_3genE5ELNS1_11target_archE942ELNS1_3gpuE9ELNS1_3repE0EEENS1_47radix_sort_onesweep_sort_config_static_selectorELNS0_4arch9wavefront6targetE1EEEvSI_.kd
    .uniform_work_group_size: 1
    .uses_dynamic_stack: false
    .vgpr_count:     0
    .vgpr_spill_count: 0
    .wavefront_size: 64
  - .agpr_count:     0
    .args:
      - .offset:         0
        .size:           88
        .value_kind:     by_value
    .group_segment_fixed_size: 0
    .kernarg_segment_align: 8
    .kernarg_segment_size: 88
    .language:       OpenCL C
    .language_version:
      - 2
      - 0
    .max_flat_workgroup_size: 256
    .name:           _ZN7rocprim17ROCPRIM_400000_NS6detail17trampoline_kernelINS0_14default_configENS1_35radix_sort_onesweep_config_selectorIssEEZZNS1_29radix_sort_onesweep_iterationIS3_Lb0EN6thrust23THRUST_200600_302600_NS6detail15normal_iteratorINS8_10device_ptrIsEEEESD_SD_SD_jNS0_19identity_decomposerENS1_16block_id_wrapperIjLb1EEEEE10hipError_tT1_PNSt15iterator_traitsISI_E10value_typeET2_T3_PNSJ_ISO_E10value_typeET4_T5_PST_SU_PNS1_23onesweep_lookback_stateEbbT6_jjT7_P12ihipStream_tbENKUlT_T0_SI_SN_E_clISD_SD_SD_SD_EEDaS11_S12_SI_SN_EUlS11_E_NS1_11comp_targetILNS1_3genE2ELNS1_11target_archE906ELNS1_3gpuE6ELNS1_3repE0EEENS1_47radix_sort_onesweep_sort_config_static_selectorELNS0_4arch9wavefront6targetE1EEEvSI_
    .private_segment_fixed_size: 0
    .sgpr_count:     6
    .sgpr_spill_count: 0
    .symbol:         _ZN7rocprim17ROCPRIM_400000_NS6detail17trampoline_kernelINS0_14default_configENS1_35radix_sort_onesweep_config_selectorIssEEZZNS1_29radix_sort_onesweep_iterationIS3_Lb0EN6thrust23THRUST_200600_302600_NS6detail15normal_iteratorINS8_10device_ptrIsEEEESD_SD_SD_jNS0_19identity_decomposerENS1_16block_id_wrapperIjLb1EEEEE10hipError_tT1_PNSt15iterator_traitsISI_E10value_typeET2_T3_PNSJ_ISO_E10value_typeET4_T5_PST_SU_PNS1_23onesweep_lookback_stateEbbT6_jjT7_P12ihipStream_tbENKUlT_T0_SI_SN_E_clISD_SD_SD_SD_EEDaS11_S12_SI_SN_EUlS11_E_NS1_11comp_targetILNS1_3genE2ELNS1_11target_archE906ELNS1_3gpuE6ELNS1_3repE0EEENS1_47radix_sort_onesweep_sort_config_static_selectorELNS0_4arch9wavefront6targetE1EEEvSI_.kd
    .uniform_work_group_size: 1
    .uses_dynamic_stack: false
    .vgpr_count:     0
    .vgpr_spill_count: 0
    .wavefront_size: 64
  - .agpr_count:     0
    .args:
      - .offset:         0
        .size:           88
        .value_kind:     by_value
    .group_segment_fixed_size: 0
    .kernarg_segment_align: 8
    .kernarg_segment_size: 88
    .language:       OpenCL C
    .language_version:
      - 2
      - 0
    .max_flat_workgroup_size: 512
    .name:           _ZN7rocprim17ROCPRIM_400000_NS6detail17trampoline_kernelINS0_14default_configENS1_35radix_sort_onesweep_config_selectorIssEEZZNS1_29radix_sort_onesweep_iterationIS3_Lb0EN6thrust23THRUST_200600_302600_NS6detail15normal_iteratorINS8_10device_ptrIsEEEESD_SD_SD_jNS0_19identity_decomposerENS1_16block_id_wrapperIjLb1EEEEE10hipError_tT1_PNSt15iterator_traitsISI_E10value_typeET2_T3_PNSJ_ISO_E10value_typeET4_T5_PST_SU_PNS1_23onesweep_lookback_stateEbbT6_jjT7_P12ihipStream_tbENKUlT_T0_SI_SN_E_clISD_SD_SD_SD_EEDaS11_S12_SI_SN_EUlS11_E_NS1_11comp_targetILNS1_3genE4ELNS1_11target_archE910ELNS1_3gpuE8ELNS1_3repE0EEENS1_47radix_sort_onesweep_sort_config_static_selectorELNS0_4arch9wavefront6targetE1EEEvSI_
    .private_segment_fixed_size: 0
    .sgpr_count:     6
    .sgpr_spill_count: 0
    .symbol:         _ZN7rocprim17ROCPRIM_400000_NS6detail17trampoline_kernelINS0_14default_configENS1_35radix_sort_onesweep_config_selectorIssEEZZNS1_29radix_sort_onesweep_iterationIS3_Lb0EN6thrust23THRUST_200600_302600_NS6detail15normal_iteratorINS8_10device_ptrIsEEEESD_SD_SD_jNS0_19identity_decomposerENS1_16block_id_wrapperIjLb1EEEEE10hipError_tT1_PNSt15iterator_traitsISI_E10value_typeET2_T3_PNSJ_ISO_E10value_typeET4_T5_PST_SU_PNS1_23onesweep_lookback_stateEbbT6_jjT7_P12ihipStream_tbENKUlT_T0_SI_SN_E_clISD_SD_SD_SD_EEDaS11_S12_SI_SN_EUlS11_E_NS1_11comp_targetILNS1_3genE4ELNS1_11target_archE910ELNS1_3gpuE8ELNS1_3repE0EEENS1_47radix_sort_onesweep_sort_config_static_selectorELNS0_4arch9wavefront6targetE1EEEvSI_.kd
    .uniform_work_group_size: 1
    .uses_dynamic_stack: false
    .vgpr_count:     0
    .vgpr_spill_count: 0
    .wavefront_size: 64
  - .agpr_count:     0
    .args:
      - .offset:         0
        .size:           88
        .value_kind:     by_value
    .group_segment_fixed_size: 0
    .kernarg_segment_align: 8
    .kernarg_segment_size: 88
    .language:       OpenCL C
    .language_version:
      - 2
      - 0
    .max_flat_workgroup_size: 256
    .name:           _ZN7rocprim17ROCPRIM_400000_NS6detail17trampoline_kernelINS0_14default_configENS1_35radix_sort_onesweep_config_selectorIssEEZZNS1_29radix_sort_onesweep_iterationIS3_Lb0EN6thrust23THRUST_200600_302600_NS6detail15normal_iteratorINS8_10device_ptrIsEEEESD_SD_SD_jNS0_19identity_decomposerENS1_16block_id_wrapperIjLb1EEEEE10hipError_tT1_PNSt15iterator_traitsISI_E10value_typeET2_T3_PNSJ_ISO_E10value_typeET4_T5_PST_SU_PNS1_23onesweep_lookback_stateEbbT6_jjT7_P12ihipStream_tbENKUlT_T0_SI_SN_E_clISD_SD_SD_SD_EEDaS11_S12_SI_SN_EUlS11_E_NS1_11comp_targetILNS1_3genE3ELNS1_11target_archE908ELNS1_3gpuE7ELNS1_3repE0EEENS1_47radix_sort_onesweep_sort_config_static_selectorELNS0_4arch9wavefront6targetE1EEEvSI_
    .private_segment_fixed_size: 0
    .sgpr_count:     6
    .sgpr_spill_count: 0
    .symbol:         _ZN7rocprim17ROCPRIM_400000_NS6detail17trampoline_kernelINS0_14default_configENS1_35radix_sort_onesweep_config_selectorIssEEZZNS1_29radix_sort_onesweep_iterationIS3_Lb0EN6thrust23THRUST_200600_302600_NS6detail15normal_iteratorINS8_10device_ptrIsEEEESD_SD_SD_jNS0_19identity_decomposerENS1_16block_id_wrapperIjLb1EEEEE10hipError_tT1_PNSt15iterator_traitsISI_E10value_typeET2_T3_PNSJ_ISO_E10value_typeET4_T5_PST_SU_PNS1_23onesweep_lookback_stateEbbT6_jjT7_P12ihipStream_tbENKUlT_T0_SI_SN_E_clISD_SD_SD_SD_EEDaS11_S12_SI_SN_EUlS11_E_NS1_11comp_targetILNS1_3genE3ELNS1_11target_archE908ELNS1_3gpuE7ELNS1_3repE0EEENS1_47radix_sort_onesweep_sort_config_static_selectorELNS0_4arch9wavefront6targetE1EEEvSI_.kd
    .uniform_work_group_size: 1
    .uses_dynamic_stack: false
    .vgpr_count:     0
    .vgpr_spill_count: 0
    .wavefront_size: 64
  - .agpr_count:     0
    .args:
      - .offset:         0
        .size:           88
        .value_kind:     by_value
    .group_segment_fixed_size: 0
    .kernarg_segment_align: 8
    .kernarg_segment_size: 88
    .language:       OpenCL C
    .language_version:
      - 2
      - 0
    .max_flat_workgroup_size: 512
    .name:           _ZN7rocprim17ROCPRIM_400000_NS6detail17trampoline_kernelINS0_14default_configENS1_35radix_sort_onesweep_config_selectorIssEEZZNS1_29radix_sort_onesweep_iterationIS3_Lb0EN6thrust23THRUST_200600_302600_NS6detail15normal_iteratorINS8_10device_ptrIsEEEESD_SD_SD_jNS0_19identity_decomposerENS1_16block_id_wrapperIjLb1EEEEE10hipError_tT1_PNSt15iterator_traitsISI_E10value_typeET2_T3_PNSJ_ISO_E10value_typeET4_T5_PST_SU_PNS1_23onesweep_lookback_stateEbbT6_jjT7_P12ihipStream_tbENKUlT_T0_SI_SN_E_clISD_SD_SD_SD_EEDaS11_S12_SI_SN_EUlS11_E_NS1_11comp_targetILNS1_3genE10ELNS1_11target_archE1201ELNS1_3gpuE5ELNS1_3repE0EEENS1_47radix_sort_onesweep_sort_config_static_selectorELNS0_4arch9wavefront6targetE1EEEvSI_
    .private_segment_fixed_size: 0
    .sgpr_count:     6
    .sgpr_spill_count: 0
    .symbol:         _ZN7rocprim17ROCPRIM_400000_NS6detail17trampoline_kernelINS0_14default_configENS1_35radix_sort_onesweep_config_selectorIssEEZZNS1_29radix_sort_onesweep_iterationIS3_Lb0EN6thrust23THRUST_200600_302600_NS6detail15normal_iteratorINS8_10device_ptrIsEEEESD_SD_SD_jNS0_19identity_decomposerENS1_16block_id_wrapperIjLb1EEEEE10hipError_tT1_PNSt15iterator_traitsISI_E10value_typeET2_T3_PNSJ_ISO_E10value_typeET4_T5_PST_SU_PNS1_23onesweep_lookback_stateEbbT6_jjT7_P12ihipStream_tbENKUlT_T0_SI_SN_E_clISD_SD_SD_SD_EEDaS11_S12_SI_SN_EUlS11_E_NS1_11comp_targetILNS1_3genE10ELNS1_11target_archE1201ELNS1_3gpuE5ELNS1_3repE0EEENS1_47radix_sort_onesweep_sort_config_static_selectorELNS0_4arch9wavefront6targetE1EEEvSI_.kd
    .uniform_work_group_size: 1
    .uses_dynamic_stack: false
    .vgpr_count:     0
    .vgpr_spill_count: 0
    .wavefront_size: 64
  - .agpr_count:     0
    .args:
      - .offset:         0
        .size:           88
        .value_kind:     by_value
    .group_segment_fixed_size: 0
    .kernarg_segment_align: 8
    .kernarg_segment_size: 88
    .language:       OpenCL C
    .language_version:
      - 2
      - 0
    .max_flat_workgroup_size: 1024
    .name:           _ZN7rocprim17ROCPRIM_400000_NS6detail17trampoline_kernelINS0_14default_configENS1_35radix_sort_onesweep_config_selectorIssEEZZNS1_29radix_sort_onesweep_iterationIS3_Lb0EN6thrust23THRUST_200600_302600_NS6detail15normal_iteratorINS8_10device_ptrIsEEEESD_SD_SD_jNS0_19identity_decomposerENS1_16block_id_wrapperIjLb1EEEEE10hipError_tT1_PNSt15iterator_traitsISI_E10value_typeET2_T3_PNSJ_ISO_E10value_typeET4_T5_PST_SU_PNS1_23onesweep_lookback_stateEbbT6_jjT7_P12ihipStream_tbENKUlT_T0_SI_SN_E_clISD_SD_SD_SD_EEDaS11_S12_SI_SN_EUlS11_E_NS1_11comp_targetILNS1_3genE9ELNS1_11target_archE1100ELNS1_3gpuE3ELNS1_3repE0EEENS1_47radix_sort_onesweep_sort_config_static_selectorELNS0_4arch9wavefront6targetE1EEEvSI_
    .private_segment_fixed_size: 0
    .sgpr_count:     6
    .sgpr_spill_count: 0
    .symbol:         _ZN7rocprim17ROCPRIM_400000_NS6detail17trampoline_kernelINS0_14default_configENS1_35radix_sort_onesweep_config_selectorIssEEZZNS1_29radix_sort_onesweep_iterationIS3_Lb0EN6thrust23THRUST_200600_302600_NS6detail15normal_iteratorINS8_10device_ptrIsEEEESD_SD_SD_jNS0_19identity_decomposerENS1_16block_id_wrapperIjLb1EEEEE10hipError_tT1_PNSt15iterator_traitsISI_E10value_typeET2_T3_PNSJ_ISO_E10value_typeET4_T5_PST_SU_PNS1_23onesweep_lookback_stateEbbT6_jjT7_P12ihipStream_tbENKUlT_T0_SI_SN_E_clISD_SD_SD_SD_EEDaS11_S12_SI_SN_EUlS11_E_NS1_11comp_targetILNS1_3genE9ELNS1_11target_archE1100ELNS1_3gpuE3ELNS1_3repE0EEENS1_47radix_sort_onesweep_sort_config_static_selectorELNS0_4arch9wavefront6targetE1EEEvSI_.kd
    .uniform_work_group_size: 1
    .uses_dynamic_stack: false
    .vgpr_count:     0
    .vgpr_spill_count: 0
    .wavefront_size: 64
  - .agpr_count:     0
    .args:
      - .offset:         0
        .size:           88
        .value_kind:     by_value
    .group_segment_fixed_size: 0
    .kernarg_segment_align: 8
    .kernarg_segment_size: 88
    .language:       OpenCL C
    .language_version:
      - 2
      - 0
    .max_flat_workgroup_size: 1024
    .name:           _ZN7rocprim17ROCPRIM_400000_NS6detail17trampoline_kernelINS0_14default_configENS1_35radix_sort_onesweep_config_selectorIssEEZZNS1_29radix_sort_onesweep_iterationIS3_Lb0EN6thrust23THRUST_200600_302600_NS6detail15normal_iteratorINS8_10device_ptrIsEEEESD_SD_SD_jNS0_19identity_decomposerENS1_16block_id_wrapperIjLb1EEEEE10hipError_tT1_PNSt15iterator_traitsISI_E10value_typeET2_T3_PNSJ_ISO_E10value_typeET4_T5_PST_SU_PNS1_23onesweep_lookback_stateEbbT6_jjT7_P12ihipStream_tbENKUlT_T0_SI_SN_E_clISD_SD_SD_SD_EEDaS11_S12_SI_SN_EUlS11_E_NS1_11comp_targetILNS1_3genE8ELNS1_11target_archE1030ELNS1_3gpuE2ELNS1_3repE0EEENS1_47radix_sort_onesweep_sort_config_static_selectorELNS0_4arch9wavefront6targetE1EEEvSI_
    .private_segment_fixed_size: 0
    .sgpr_count:     6
    .sgpr_spill_count: 0
    .symbol:         _ZN7rocprim17ROCPRIM_400000_NS6detail17trampoline_kernelINS0_14default_configENS1_35radix_sort_onesweep_config_selectorIssEEZZNS1_29radix_sort_onesweep_iterationIS3_Lb0EN6thrust23THRUST_200600_302600_NS6detail15normal_iteratorINS8_10device_ptrIsEEEESD_SD_SD_jNS0_19identity_decomposerENS1_16block_id_wrapperIjLb1EEEEE10hipError_tT1_PNSt15iterator_traitsISI_E10value_typeET2_T3_PNSJ_ISO_E10value_typeET4_T5_PST_SU_PNS1_23onesweep_lookback_stateEbbT6_jjT7_P12ihipStream_tbENKUlT_T0_SI_SN_E_clISD_SD_SD_SD_EEDaS11_S12_SI_SN_EUlS11_E_NS1_11comp_targetILNS1_3genE8ELNS1_11target_archE1030ELNS1_3gpuE2ELNS1_3repE0EEENS1_47radix_sort_onesweep_sort_config_static_selectorELNS0_4arch9wavefront6targetE1EEEvSI_.kd
    .uniform_work_group_size: 1
    .uses_dynamic_stack: false
    .vgpr_count:     0
    .vgpr_spill_count: 0
    .wavefront_size: 64
  - .agpr_count:     0
    .args:
      - .offset:         0
        .size:           88
        .value_kind:     by_value
    .group_segment_fixed_size: 0
    .kernarg_segment_align: 8
    .kernarg_segment_size: 88
    .language:       OpenCL C
    .language_version:
      - 2
      - 0
    .max_flat_workgroup_size: 256
    .name:           _ZN7rocprim17ROCPRIM_400000_NS6detail17trampoline_kernelINS0_14default_configENS1_35radix_sort_onesweep_config_selectorIssEEZZNS1_29radix_sort_onesweep_iterationIS3_Lb0EN6thrust23THRUST_200600_302600_NS6detail15normal_iteratorINS8_10device_ptrIsEEEESD_SD_SD_jNS0_19identity_decomposerENS1_16block_id_wrapperIjLb1EEEEE10hipError_tT1_PNSt15iterator_traitsISI_E10value_typeET2_T3_PNSJ_ISO_E10value_typeET4_T5_PST_SU_PNS1_23onesweep_lookback_stateEbbT6_jjT7_P12ihipStream_tbENKUlT_T0_SI_SN_E_clISD_PsSD_S15_EEDaS11_S12_SI_SN_EUlS11_E_NS1_11comp_targetILNS1_3genE0ELNS1_11target_archE4294967295ELNS1_3gpuE0ELNS1_3repE0EEENS1_47radix_sort_onesweep_sort_config_static_selectorELNS0_4arch9wavefront6targetE1EEEvSI_
    .private_segment_fixed_size: 0
    .sgpr_count:     6
    .sgpr_spill_count: 0
    .symbol:         _ZN7rocprim17ROCPRIM_400000_NS6detail17trampoline_kernelINS0_14default_configENS1_35radix_sort_onesweep_config_selectorIssEEZZNS1_29radix_sort_onesweep_iterationIS3_Lb0EN6thrust23THRUST_200600_302600_NS6detail15normal_iteratorINS8_10device_ptrIsEEEESD_SD_SD_jNS0_19identity_decomposerENS1_16block_id_wrapperIjLb1EEEEE10hipError_tT1_PNSt15iterator_traitsISI_E10value_typeET2_T3_PNSJ_ISO_E10value_typeET4_T5_PST_SU_PNS1_23onesweep_lookback_stateEbbT6_jjT7_P12ihipStream_tbENKUlT_T0_SI_SN_E_clISD_PsSD_S15_EEDaS11_S12_SI_SN_EUlS11_E_NS1_11comp_targetILNS1_3genE0ELNS1_11target_archE4294967295ELNS1_3gpuE0ELNS1_3repE0EEENS1_47radix_sort_onesweep_sort_config_static_selectorELNS0_4arch9wavefront6targetE1EEEvSI_.kd
    .uniform_work_group_size: 1
    .uses_dynamic_stack: false
    .vgpr_count:     0
    .vgpr_spill_count: 0
    .wavefront_size: 64
  - .agpr_count:     0
    .args:
      - .offset:         0
        .size:           88
        .value_kind:     by_value
      - .offset:         88
        .size:           4
        .value_kind:     hidden_block_count_x
      - .offset:         92
        .size:           4
        .value_kind:     hidden_block_count_y
      - .offset:         96
        .size:           4
        .value_kind:     hidden_block_count_z
      - .offset:         100
        .size:           2
        .value_kind:     hidden_group_size_x
      - .offset:         102
        .size:           2
        .value_kind:     hidden_group_size_y
      - .offset:         104
        .size:           2
        .value_kind:     hidden_group_size_z
      - .offset:         106
        .size:           2
        .value_kind:     hidden_remainder_x
      - .offset:         108
        .size:           2
        .value_kind:     hidden_remainder_y
      - .offset:         110
        .size:           2
        .value_kind:     hidden_remainder_z
      - .offset:         128
        .size:           8
        .value_kind:     hidden_global_offset_x
      - .offset:         136
        .size:           8
        .value_kind:     hidden_global_offset_y
      - .offset:         144
        .size:           8
        .value_kind:     hidden_global_offset_z
      - .offset:         152
        .size:           2
        .value_kind:     hidden_grid_dims
    .group_segment_fixed_size: 22792
    .kernarg_segment_align: 8
    .kernarg_segment_size: 344
    .language:       OpenCL C
    .language_version:
      - 2
      - 0
    .max_flat_workgroup_size: 512
    .name:           _ZN7rocprim17ROCPRIM_400000_NS6detail17trampoline_kernelINS0_14default_configENS1_35radix_sort_onesweep_config_selectorIssEEZZNS1_29radix_sort_onesweep_iterationIS3_Lb0EN6thrust23THRUST_200600_302600_NS6detail15normal_iteratorINS8_10device_ptrIsEEEESD_SD_SD_jNS0_19identity_decomposerENS1_16block_id_wrapperIjLb1EEEEE10hipError_tT1_PNSt15iterator_traitsISI_E10value_typeET2_T3_PNSJ_ISO_E10value_typeET4_T5_PST_SU_PNS1_23onesweep_lookback_stateEbbT6_jjT7_P12ihipStream_tbENKUlT_T0_SI_SN_E_clISD_PsSD_S15_EEDaS11_S12_SI_SN_EUlS11_E_NS1_11comp_targetILNS1_3genE6ELNS1_11target_archE950ELNS1_3gpuE13ELNS1_3repE0EEENS1_47radix_sort_onesweep_sort_config_static_selectorELNS0_4arch9wavefront6targetE1EEEvSI_
    .private_segment_fixed_size: 0
    .sgpr_count:     106
    .sgpr_spill_count: 20
    .symbol:         _ZN7rocprim17ROCPRIM_400000_NS6detail17trampoline_kernelINS0_14default_configENS1_35radix_sort_onesweep_config_selectorIssEEZZNS1_29radix_sort_onesweep_iterationIS3_Lb0EN6thrust23THRUST_200600_302600_NS6detail15normal_iteratorINS8_10device_ptrIsEEEESD_SD_SD_jNS0_19identity_decomposerENS1_16block_id_wrapperIjLb1EEEEE10hipError_tT1_PNSt15iterator_traitsISI_E10value_typeET2_T3_PNSJ_ISO_E10value_typeET4_T5_PST_SU_PNS1_23onesweep_lookback_stateEbbT6_jjT7_P12ihipStream_tbENKUlT_T0_SI_SN_E_clISD_PsSD_S15_EEDaS11_S12_SI_SN_EUlS11_E_NS1_11comp_targetILNS1_3genE6ELNS1_11target_archE950ELNS1_3gpuE13ELNS1_3repE0EEENS1_47radix_sort_onesweep_sort_config_static_selectorELNS0_4arch9wavefront6targetE1EEEvSI_.kd
    .uniform_work_group_size: 1
    .uses_dynamic_stack: false
    .vgpr_count:     118
    .vgpr_spill_count: 0
    .wavefront_size: 64
  - .agpr_count:     0
    .args:
      - .offset:         0
        .size:           88
        .value_kind:     by_value
    .group_segment_fixed_size: 0
    .kernarg_segment_align: 8
    .kernarg_segment_size: 88
    .language:       OpenCL C
    .language_version:
      - 2
      - 0
    .max_flat_workgroup_size: 512
    .name:           _ZN7rocprim17ROCPRIM_400000_NS6detail17trampoline_kernelINS0_14default_configENS1_35radix_sort_onesweep_config_selectorIssEEZZNS1_29radix_sort_onesweep_iterationIS3_Lb0EN6thrust23THRUST_200600_302600_NS6detail15normal_iteratorINS8_10device_ptrIsEEEESD_SD_SD_jNS0_19identity_decomposerENS1_16block_id_wrapperIjLb1EEEEE10hipError_tT1_PNSt15iterator_traitsISI_E10value_typeET2_T3_PNSJ_ISO_E10value_typeET4_T5_PST_SU_PNS1_23onesweep_lookback_stateEbbT6_jjT7_P12ihipStream_tbENKUlT_T0_SI_SN_E_clISD_PsSD_S15_EEDaS11_S12_SI_SN_EUlS11_E_NS1_11comp_targetILNS1_3genE5ELNS1_11target_archE942ELNS1_3gpuE9ELNS1_3repE0EEENS1_47radix_sort_onesweep_sort_config_static_selectorELNS0_4arch9wavefront6targetE1EEEvSI_
    .private_segment_fixed_size: 0
    .sgpr_count:     6
    .sgpr_spill_count: 0
    .symbol:         _ZN7rocprim17ROCPRIM_400000_NS6detail17trampoline_kernelINS0_14default_configENS1_35radix_sort_onesweep_config_selectorIssEEZZNS1_29radix_sort_onesweep_iterationIS3_Lb0EN6thrust23THRUST_200600_302600_NS6detail15normal_iteratorINS8_10device_ptrIsEEEESD_SD_SD_jNS0_19identity_decomposerENS1_16block_id_wrapperIjLb1EEEEE10hipError_tT1_PNSt15iterator_traitsISI_E10value_typeET2_T3_PNSJ_ISO_E10value_typeET4_T5_PST_SU_PNS1_23onesweep_lookback_stateEbbT6_jjT7_P12ihipStream_tbENKUlT_T0_SI_SN_E_clISD_PsSD_S15_EEDaS11_S12_SI_SN_EUlS11_E_NS1_11comp_targetILNS1_3genE5ELNS1_11target_archE942ELNS1_3gpuE9ELNS1_3repE0EEENS1_47radix_sort_onesweep_sort_config_static_selectorELNS0_4arch9wavefront6targetE1EEEvSI_.kd
    .uniform_work_group_size: 1
    .uses_dynamic_stack: false
    .vgpr_count:     0
    .vgpr_spill_count: 0
    .wavefront_size: 64
  - .agpr_count:     0
    .args:
      - .offset:         0
        .size:           88
        .value_kind:     by_value
    .group_segment_fixed_size: 0
    .kernarg_segment_align: 8
    .kernarg_segment_size: 88
    .language:       OpenCL C
    .language_version:
      - 2
      - 0
    .max_flat_workgroup_size: 256
    .name:           _ZN7rocprim17ROCPRIM_400000_NS6detail17trampoline_kernelINS0_14default_configENS1_35radix_sort_onesweep_config_selectorIssEEZZNS1_29radix_sort_onesweep_iterationIS3_Lb0EN6thrust23THRUST_200600_302600_NS6detail15normal_iteratorINS8_10device_ptrIsEEEESD_SD_SD_jNS0_19identity_decomposerENS1_16block_id_wrapperIjLb1EEEEE10hipError_tT1_PNSt15iterator_traitsISI_E10value_typeET2_T3_PNSJ_ISO_E10value_typeET4_T5_PST_SU_PNS1_23onesweep_lookback_stateEbbT6_jjT7_P12ihipStream_tbENKUlT_T0_SI_SN_E_clISD_PsSD_S15_EEDaS11_S12_SI_SN_EUlS11_E_NS1_11comp_targetILNS1_3genE2ELNS1_11target_archE906ELNS1_3gpuE6ELNS1_3repE0EEENS1_47radix_sort_onesweep_sort_config_static_selectorELNS0_4arch9wavefront6targetE1EEEvSI_
    .private_segment_fixed_size: 0
    .sgpr_count:     6
    .sgpr_spill_count: 0
    .symbol:         _ZN7rocprim17ROCPRIM_400000_NS6detail17trampoline_kernelINS0_14default_configENS1_35radix_sort_onesweep_config_selectorIssEEZZNS1_29radix_sort_onesweep_iterationIS3_Lb0EN6thrust23THRUST_200600_302600_NS6detail15normal_iteratorINS8_10device_ptrIsEEEESD_SD_SD_jNS0_19identity_decomposerENS1_16block_id_wrapperIjLb1EEEEE10hipError_tT1_PNSt15iterator_traitsISI_E10value_typeET2_T3_PNSJ_ISO_E10value_typeET4_T5_PST_SU_PNS1_23onesweep_lookback_stateEbbT6_jjT7_P12ihipStream_tbENKUlT_T0_SI_SN_E_clISD_PsSD_S15_EEDaS11_S12_SI_SN_EUlS11_E_NS1_11comp_targetILNS1_3genE2ELNS1_11target_archE906ELNS1_3gpuE6ELNS1_3repE0EEENS1_47radix_sort_onesweep_sort_config_static_selectorELNS0_4arch9wavefront6targetE1EEEvSI_.kd
    .uniform_work_group_size: 1
    .uses_dynamic_stack: false
    .vgpr_count:     0
    .vgpr_spill_count: 0
    .wavefront_size: 64
  - .agpr_count:     0
    .args:
      - .offset:         0
        .size:           88
        .value_kind:     by_value
    .group_segment_fixed_size: 0
    .kernarg_segment_align: 8
    .kernarg_segment_size: 88
    .language:       OpenCL C
    .language_version:
      - 2
      - 0
    .max_flat_workgroup_size: 512
    .name:           _ZN7rocprim17ROCPRIM_400000_NS6detail17trampoline_kernelINS0_14default_configENS1_35radix_sort_onesweep_config_selectorIssEEZZNS1_29radix_sort_onesweep_iterationIS3_Lb0EN6thrust23THRUST_200600_302600_NS6detail15normal_iteratorINS8_10device_ptrIsEEEESD_SD_SD_jNS0_19identity_decomposerENS1_16block_id_wrapperIjLb1EEEEE10hipError_tT1_PNSt15iterator_traitsISI_E10value_typeET2_T3_PNSJ_ISO_E10value_typeET4_T5_PST_SU_PNS1_23onesweep_lookback_stateEbbT6_jjT7_P12ihipStream_tbENKUlT_T0_SI_SN_E_clISD_PsSD_S15_EEDaS11_S12_SI_SN_EUlS11_E_NS1_11comp_targetILNS1_3genE4ELNS1_11target_archE910ELNS1_3gpuE8ELNS1_3repE0EEENS1_47radix_sort_onesweep_sort_config_static_selectorELNS0_4arch9wavefront6targetE1EEEvSI_
    .private_segment_fixed_size: 0
    .sgpr_count:     6
    .sgpr_spill_count: 0
    .symbol:         _ZN7rocprim17ROCPRIM_400000_NS6detail17trampoline_kernelINS0_14default_configENS1_35radix_sort_onesweep_config_selectorIssEEZZNS1_29radix_sort_onesweep_iterationIS3_Lb0EN6thrust23THRUST_200600_302600_NS6detail15normal_iteratorINS8_10device_ptrIsEEEESD_SD_SD_jNS0_19identity_decomposerENS1_16block_id_wrapperIjLb1EEEEE10hipError_tT1_PNSt15iterator_traitsISI_E10value_typeET2_T3_PNSJ_ISO_E10value_typeET4_T5_PST_SU_PNS1_23onesweep_lookback_stateEbbT6_jjT7_P12ihipStream_tbENKUlT_T0_SI_SN_E_clISD_PsSD_S15_EEDaS11_S12_SI_SN_EUlS11_E_NS1_11comp_targetILNS1_3genE4ELNS1_11target_archE910ELNS1_3gpuE8ELNS1_3repE0EEENS1_47radix_sort_onesweep_sort_config_static_selectorELNS0_4arch9wavefront6targetE1EEEvSI_.kd
    .uniform_work_group_size: 1
    .uses_dynamic_stack: false
    .vgpr_count:     0
    .vgpr_spill_count: 0
    .wavefront_size: 64
  - .agpr_count:     0
    .args:
      - .offset:         0
        .size:           88
        .value_kind:     by_value
    .group_segment_fixed_size: 0
    .kernarg_segment_align: 8
    .kernarg_segment_size: 88
    .language:       OpenCL C
    .language_version:
      - 2
      - 0
    .max_flat_workgroup_size: 256
    .name:           _ZN7rocprim17ROCPRIM_400000_NS6detail17trampoline_kernelINS0_14default_configENS1_35radix_sort_onesweep_config_selectorIssEEZZNS1_29radix_sort_onesweep_iterationIS3_Lb0EN6thrust23THRUST_200600_302600_NS6detail15normal_iteratorINS8_10device_ptrIsEEEESD_SD_SD_jNS0_19identity_decomposerENS1_16block_id_wrapperIjLb1EEEEE10hipError_tT1_PNSt15iterator_traitsISI_E10value_typeET2_T3_PNSJ_ISO_E10value_typeET4_T5_PST_SU_PNS1_23onesweep_lookback_stateEbbT6_jjT7_P12ihipStream_tbENKUlT_T0_SI_SN_E_clISD_PsSD_S15_EEDaS11_S12_SI_SN_EUlS11_E_NS1_11comp_targetILNS1_3genE3ELNS1_11target_archE908ELNS1_3gpuE7ELNS1_3repE0EEENS1_47radix_sort_onesweep_sort_config_static_selectorELNS0_4arch9wavefront6targetE1EEEvSI_
    .private_segment_fixed_size: 0
    .sgpr_count:     6
    .sgpr_spill_count: 0
    .symbol:         _ZN7rocprim17ROCPRIM_400000_NS6detail17trampoline_kernelINS0_14default_configENS1_35radix_sort_onesweep_config_selectorIssEEZZNS1_29radix_sort_onesweep_iterationIS3_Lb0EN6thrust23THRUST_200600_302600_NS6detail15normal_iteratorINS8_10device_ptrIsEEEESD_SD_SD_jNS0_19identity_decomposerENS1_16block_id_wrapperIjLb1EEEEE10hipError_tT1_PNSt15iterator_traitsISI_E10value_typeET2_T3_PNSJ_ISO_E10value_typeET4_T5_PST_SU_PNS1_23onesweep_lookback_stateEbbT6_jjT7_P12ihipStream_tbENKUlT_T0_SI_SN_E_clISD_PsSD_S15_EEDaS11_S12_SI_SN_EUlS11_E_NS1_11comp_targetILNS1_3genE3ELNS1_11target_archE908ELNS1_3gpuE7ELNS1_3repE0EEENS1_47radix_sort_onesweep_sort_config_static_selectorELNS0_4arch9wavefront6targetE1EEEvSI_.kd
    .uniform_work_group_size: 1
    .uses_dynamic_stack: false
    .vgpr_count:     0
    .vgpr_spill_count: 0
    .wavefront_size: 64
  - .agpr_count:     0
    .args:
      - .offset:         0
        .size:           88
        .value_kind:     by_value
    .group_segment_fixed_size: 0
    .kernarg_segment_align: 8
    .kernarg_segment_size: 88
    .language:       OpenCL C
    .language_version:
      - 2
      - 0
    .max_flat_workgroup_size: 512
    .name:           _ZN7rocprim17ROCPRIM_400000_NS6detail17trampoline_kernelINS0_14default_configENS1_35radix_sort_onesweep_config_selectorIssEEZZNS1_29radix_sort_onesweep_iterationIS3_Lb0EN6thrust23THRUST_200600_302600_NS6detail15normal_iteratorINS8_10device_ptrIsEEEESD_SD_SD_jNS0_19identity_decomposerENS1_16block_id_wrapperIjLb1EEEEE10hipError_tT1_PNSt15iterator_traitsISI_E10value_typeET2_T3_PNSJ_ISO_E10value_typeET4_T5_PST_SU_PNS1_23onesweep_lookback_stateEbbT6_jjT7_P12ihipStream_tbENKUlT_T0_SI_SN_E_clISD_PsSD_S15_EEDaS11_S12_SI_SN_EUlS11_E_NS1_11comp_targetILNS1_3genE10ELNS1_11target_archE1201ELNS1_3gpuE5ELNS1_3repE0EEENS1_47radix_sort_onesweep_sort_config_static_selectorELNS0_4arch9wavefront6targetE1EEEvSI_
    .private_segment_fixed_size: 0
    .sgpr_count:     6
    .sgpr_spill_count: 0
    .symbol:         _ZN7rocprim17ROCPRIM_400000_NS6detail17trampoline_kernelINS0_14default_configENS1_35radix_sort_onesweep_config_selectorIssEEZZNS1_29radix_sort_onesweep_iterationIS3_Lb0EN6thrust23THRUST_200600_302600_NS6detail15normal_iteratorINS8_10device_ptrIsEEEESD_SD_SD_jNS0_19identity_decomposerENS1_16block_id_wrapperIjLb1EEEEE10hipError_tT1_PNSt15iterator_traitsISI_E10value_typeET2_T3_PNSJ_ISO_E10value_typeET4_T5_PST_SU_PNS1_23onesweep_lookback_stateEbbT6_jjT7_P12ihipStream_tbENKUlT_T0_SI_SN_E_clISD_PsSD_S15_EEDaS11_S12_SI_SN_EUlS11_E_NS1_11comp_targetILNS1_3genE10ELNS1_11target_archE1201ELNS1_3gpuE5ELNS1_3repE0EEENS1_47radix_sort_onesweep_sort_config_static_selectorELNS0_4arch9wavefront6targetE1EEEvSI_.kd
    .uniform_work_group_size: 1
    .uses_dynamic_stack: false
    .vgpr_count:     0
    .vgpr_spill_count: 0
    .wavefront_size: 64
  - .agpr_count:     0
    .args:
      - .offset:         0
        .size:           88
        .value_kind:     by_value
    .group_segment_fixed_size: 0
    .kernarg_segment_align: 8
    .kernarg_segment_size: 88
    .language:       OpenCL C
    .language_version:
      - 2
      - 0
    .max_flat_workgroup_size: 1024
    .name:           _ZN7rocprim17ROCPRIM_400000_NS6detail17trampoline_kernelINS0_14default_configENS1_35radix_sort_onesweep_config_selectorIssEEZZNS1_29radix_sort_onesweep_iterationIS3_Lb0EN6thrust23THRUST_200600_302600_NS6detail15normal_iteratorINS8_10device_ptrIsEEEESD_SD_SD_jNS0_19identity_decomposerENS1_16block_id_wrapperIjLb1EEEEE10hipError_tT1_PNSt15iterator_traitsISI_E10value_typeET2_T3_PNSJ_ISO_E10value_typeET4_T5_PST_SU_PNS1_23onesweep_lookback_stateEbbT6_jjT7_P12ihipStream_tbENKUlT_T0_SI_SN_E_clISD_PsSD_S15_EEDaS11_S12_SI_SN_EUlS11_E_NS1_11comp_targetILNS1_3genE9ELNS1_11target_archE1100ELNS1_3gpuE3ELNS1_3repE0EEENS1_47radix_sort_onesweep_sort_config_static_selectorELNS0_4arch9wavefront6targetE1EEEvSI_
    .private_segment_fixed_size: 0
    .sgpr_count:     6
    .sgpr_spill_count: 0
    .symbol:         _ZN7rocprim17ROCPRIM_400000_NS6detail17trampoline_kernelINS0_14default_configENS1_35radix_sort_onesweep_config_selectorIssEEZZNS1_29radix_sort_onesweep_iterationIS3_Lb0EN6thrust23THRUST_200600_302600_NS6detail15normal_iteratorINS8_10device_ptrIsEEEESD_SD_SD_jNS0_19identity_decomposerENS1_16block_id_wrapperIjLb1EEEEE10hipError_tT1_PNSt15iterator_traitsISI_E10value_typeET2_T3_PNSJ_ISO_E10value_typeET4_T5_PST_SU_PNS1_23onesweep_lookback_stateEbbT6_jjT7_P12ihipStream_tbENKUlT_T0_SI_SN_E_clISD_PsSD_S15_EEDaS11_S12_SI_SN_EUlS11_E_NS1_11comp_targetILNS1_3genE9ELNS1_11target_archE1100ELNS1_3gpuE3ELNS1_3repE0EEENS1_47radix_sort_onesweep_sort_config_static_selectorELNS0_4arch9wavefront6targetE1EEEvSI_.kd
    .uniform_work_group_size: 1
    .uses_dynamic_stack: false
    .vgpr_count:     0
    .vgpr_spill_count: 0
    .wavefront_size: 64
  - .agpr_count:     0
    .args:
      - .offset:         0
        .size:           88
        .value_kind:     by_value
    .group_segment_fixed_size: 0
    .kernarg_segment_align: 8
    .kernarg_segment_size: 88
    .language:       OpenCL C
    .language_version:
      - 2
      - 0
    .max_flat_workgroup_size: 1024
    .name:           _ZN7rocprim17ROCPRIM_400000_NS6detail17trampoline_kernelINS0_14default_configENS1_35radix_sort_onesweep_config_selectorIssEEZZNS1_29radix_sort_onesweep_iterationIS3_Lb0EN6thrust23THRUST_200600_302600_NS6detail15normal_iteratorINS8_10device_ptrIsEEEESD_SD_SD_jNS0_19identity_decomposerENS1_16block_id_wrapperIjLb1EEEEE10hipError_tT1_PNSt15iterator_traitsISI_E10value_typeET2_T3_PNSJ_ISO_E10value_typeET4_T5_PST_SU_PNS1_23onesweep_lookback_stateEbbT6_jjT7_P12ihipStream_tbENKUlT_T0_SI_SN_E_clISD_PsSD_S15_EEDaS11_S12_SI_SN_EUlS11_E_NS1_11comp_targetILNS1_3genE8ELNS1_11target_archE1030ELNS1_3gpuE2ELNS1_3repE0EEENS1_47radix_sort_onesweep_sort_config_static_selectorELNS0_4arch9wavefront6targetE1EEEvSI_
    .private_segment_fixed_size: 0
    .sgpr_count:     6
    .sgpr_spill_count: 0
    .symbol:         _ZN7rocprim17ROCPRIM_400000_NS6detail17trampoline_kernelINS0_14default_configENS1_35radix_sort_onesweep_config_selectorIssEEZZNS1_29radix_sort_onesweep_iterationIS3_Lb0EN6thrust23THRUST_200600_302600_NS6detail15normal_iteratorINS8_10device_ptrIsEEEESD_SD_SD_jNS0_19identity_decomposerENS1_16block_id_wrapperIjLb1EEEEE10hipError_tT1_PNSt15iterator_traitsISI_E10value_typeET2_T3_PNSJ_ISO_E10value_typeET4_T5_PST_SU_PNS1_23onesweep_lookback_stateEbbT6_jjT7_P12ihipStream_tbENKUlT_T0_SI_SN_E_clISD_PsSD_S15_EEDaS11_S12_SI_SN_EUlS11_E_NS1_11comp_targetILNS1_3genE8ELNS1_11target_archE1030ELNS1_3gpuE2ELNS1_3repE0EEENS1_47radix_sort_onesweep_sort_config_static_selectorELNS0_4arch9wavefront6targetE1EEEvSI_.kd
    .uniform_work_group_size: 1
    .uses_dynamic_stack: false
    .vgpr_count:     0
    .vgpr_spill_count: 0
    .wavefront_size: 64
  - .agpr_count:     0
    .args:
      - .offset:         0
        .size:           88
        .value_kind:     by_value
    .group_segment_fixed_size: 0
    .kernarg_segment_align: 8
    .kernarg_segment_size: 88
    .language:       OpenCL C
    .language_version:
      - 2
      - 0
    .max_flat_workgroup_size: 256
    .name:           _ZN7rocprim17ROCPRIM_400000_NS6detail17trampoline_kernelINS0_14default_configENS1_35radix_sort_onesweep_config_selectorIssEEZZNS1_29radix_sort_onesweep_iterationIS3_Lb0EN6thrust23THRUST_200600_302600_NS6detail15normal_iteratorINS8_10device_ptrIsEEEESD_SD_SD_jNS0_19identity_decomposerENS1_16block_id_wrapperIjLb1EEEEE10hipError_tT1_PNSt15iterator_traitsISI_E10value_typeET2_T3_PNSJ_ISO_E10value_typeET4_T5_PST_SU_PNS1_23onesweep_lookback_stateEbbT6_jjT7_P12ihipStream_tbENKUlT_T0_SI_SN_E_clIPsSD_S15_SD_EEDaS11_S12_SI_SN_EUlS11_E_NS1_11comp_targetILNS1_3genE0ELNS1_11target_archE4294967295ELNS1_3gpuE0ELNS1_3repE0EEENS1_47radix_sort_onesweep_sort_config_static_selectorELNS0_4arch9wavefront6targetE1EEEvSI_
    .private_segment_fixed_size: 0
    .sgpr_count:     6
    .sgpr_spill_count: 0
    .symbol:         _ZN7rocprim17ROCPRIM_400000_NS6detail17trampoline_kernelINS0_14default_configENS1_35radix_sort_onesweep_config_selectorIssEEZZNS1_29radix_sort_onesweep_iterationIS3_Lb0EN6thrust23THRUST_200600_302600_NS6detail15normal_iteratorINS8_10device_ptrIsEEEESD_SD_SD_jNS0_19identity_decomposerENS1_16block_id_wrapperIjLb1EEEEE10hipError_tT1_PNSt15iterator_traitsISI_E10value_typeET2_T3_PNSJ_ISO_E10value_typeET4_T5_PST_SU_PNS1_23onesweep_lookback_stateEbbT6_jjT7_P12ihipStream_tbENKUlT_T0_SI_SN_E_clIPsSD_S15_SD_EEDaS11_S12_SI_SN_EUlS11_E_NS1_11comp_targetILNS1_3genE0ELNS1_11target_archE4294967295ELNS1_3gpuE0ELNS1_3repE0EEENS1_47radix_sort_onesweep_sort_config_static_selectorELNS0_4arch9wavefront6targetE1EEEvSI_.kd
    .uniform_work_group_size: 1
    .uses_dynamic_stack: false
    .vgpr_count:     0
    .vgpr_spill_count: 0
    .wavefront_size: 64
  - .agpr_count:     0
    .args:
      - .offset:         0
        .size:           88
        .value_kind:     by_value
      - .offset:         88
        .size:           4
        .value_kind:     hidden_block_count_x
      - .offset:         92
        .size:           4
        .value_kind:     hidden_block_count_y
      - .offset:         96
        .size:           4
        .value_kind:     hidden_block_count_z
      - .offset:         100
        .size:           2
        .value_kind:     hidden_group_size_x
      - .offset:         102
        .size:           2
        .value_kind:     hidden_group_size_y
      - .offset:         104
        .size:           2
        .value_kind:     hidden_group_size_z
      - .offset:         106
        .size:           2
        .value_kind:     hidden_remainder_x
      - .offset:         108
        .size:           2
        .value_kind:     hidden_remainder_y
      - .offset:         110
        .size:           2
        .value_kind:     hidden_remainder_z
      - .offset:         128
        .size:           8
        .value_kind:     hidden_global_offset_x
      - .offset:         136
        .size:           8
        .value_kind:     hidden_global_offset_y
      - .offset:         144
        .size:           8
        .value_kind:     hidden_global_offset_z
      - .offset:         152
        .size:           2
        .value_kind:     hidden_grid_dims
    .group_segment_fixed_size: 22792
    .kernarg_segment_align: 8
    .kernarg_segment_size: 344
    .language:       OpenCL C
    .language_version:
      - 2
      - 0
    .max_flat_workgroup_size: 512
    .name:           _ZN7rocprim17ROCPRIM_400000_NS6detail17trampoline_kernelINS0_14default_configENS1_35radix_sort_onesweep_config_selectorIssEEZZNS1_29radix_sort_onesweep_iterationIS3_Lb0EN6thrust23THRUST_200600_302600_NS6detail15normal_iteratorINS8_10device_ptrIsEEEESD_SD_SD_jNS0_19identity_decomposerENS1_16block_id_wrapperIjLb1EEEEE10hipError_tT1_PNSt15iterator_traitsISI_E10value_typeET2_T3_PNSJ_ISO_E10value_typeET4_T5_PST_SU_PNS1_23onesweep_lookback_stateEbbT6_jjT7_P12ihipStream_tbENKUlT_T0_SI_SN_E_clIPsSD_S15_SD_EEDaS11_S12_SI_SN_EUlS11_E_NS1_11comp_targetILNS1_3genE6ELNS1_11target_archE950ELNS1_3gpuE13ELNS1_3repE0EEENS1_47radix_sort_onesweep_sort_config_static_selectorELNS0_4arch9wavefront6targetE1EEEvSI_
    .private_segment_fixed_size: 0
    .sgpr_count:     106
    .sgpr_spill_count: 20
    .symbol:         _ZN7rocprim17ROCPRIM_400000_NS6detail17trampoline_kernelINS0_14default_configENS1_35radix_sort_onesweep_config_selectorIssEEZZNS1_29radix_sort_onesweep_iterationIS3_Lb0EN6thrust23THRUST_200600_302600_NS6detail15normal_iteratorINS8_10device_ptrIsEEEESD_SD_SD_jNS0_19identity_decomposerENS1_16block_id_wrapperIjLb1EEEEE10hipError_tT1_PNSt15iterator_traitsISI_E10value_typeET2_T3_PNSJ_ISO_E10value_typeET4_T5_PST_SU_PNS1_23onesweep_lookback_stateEbbT6_jjT7_P12ihipStream_tbENKUlT_T0_SI_SN_E_clIPsSD_S15_SD_EEDaS11_S12_SI_SN_EUlS11_E_NS1_11comp_targetILNS1_3genE6ELNS1_11target_archE950ELNS1_3gpuE13ELNS1_3repE0EEENS1_47radix_sort_onesweep_sort_config_static_selectorELNS0_4arch9wavefront6targetE1EEEvSI_.kd
    .uniform_work_group_size: 1
    .uses_dynamic_stack: false
    .vgpr_count:     118
    .vgpr_spill_count: 0
    .wavefront_size: 64
  - .agpr_count:     0
    .args:
      - .offset:         0
        .size:           88
        .value_kind:     by_value
    .group_segment_fixed_size: 0
    .kernarg_segment_align: 8
    .kernarg_segment_size: 88
    .language:       OpenCL C
    .language_version:
      - 2
      - 0
    .max_flat_workgroup_size: 512
    .name:           _ZN7rocprim17ROCPRIM_400000_NS6detail17trampoline_kernelINS0_14default_configENS1_35radix_sort_onesweep_config_selectorIssEEZZNS1_29radix_sort_onesweep_iterationIS3_Lb0EN6thrust23THRUST_200600_302600_NS6detail15normal_iteratorINS8_10device_ptrIsEEEESD_SD_SD_jNS0_19identity_decomposerENS1_16block_id_wrapperIjLb1EEEEE10hipError_tT1_PNSt15iterator_traitsISI_E10value_typeET2_T3_PNSJ_ISO_E10value_typeET4_T5_PST_SU_PNS1_23onesweep_lookback_stateEbbT6_jjT7_P12ihipStream_tbENKUlT_T0_SI_SN_E_clIPsSD_S15_SD_EEDaS11_S12_SI_SN_EUlS11_E_NS1_11comp_targetILNS1_3genE5ELNS1_11target_archE942ELNS1_3gpuE9ELNS1_3repE0EEENS1_47radix_sort_onesweep_sort_config_static_selectorELNS0_4arch9wavefront6targetE1EEEvSI_
    .private_segment_fixed_size: 0
    .sgpr_count:     6
    .sgpr_spill_count: 0
    .symbol:         _ZN7rocprim17ROCPRIM_400000_NS6detail17trampoline_kernelINS0_14default_configENS1_35radix_sort_onesweep_config_selectorIssEEZZNS1_29radix_sort_onesweep_iterationIS3_Lb0EN6thrust23THRUST_200600_302600_NS6detail15normal_iteratorINS8_10device_ptrIsEEEESD_SD_SD_jNS0_19identity_decomposerENS1_16block_id_wrapperIjLb1EEEEE10hipError_tT1_PNSt15iterator_traitsISI_E10value_typeET2_T3_PNSJ_ISO_E10value_typeET4_T5_PST_SU_PNS1_23onesweep_lookback_stateEbbT6_jjT7_P12ihipStream_tbENKUlT_T0_SI_SN_E_clIPsSD_S15_SD_EEDaS11_S12_SI_SN_EUlS11_E_NS1_11comp_targetILNS1_3genE5ELNS1_11target_archE942ELNS1_3gpuE9ELNS1_3repE0EEENS1_47radix_sort_onesweep_sort_config_static_selectorELNS0_4arch9wavefront6targetE1EEEvSI_.kd
    .uniform_work_group_size: 1
    .uses_dynamic_stack: false
    .vgpr_count:     0
    .vgpr_spill_count: 0
    .wavefront_size: 64
  - .agpr_count:     0
    .args:
      - .offset:         0
        .size:           88
        .value_kind:     by_value
    .group_segment_fixed_size: 0
    .kernarg_segment_align: 8
    .kernarg_segment_size: 88
    .language:       OpenCL C
    .language_version:
      - 2
      - 0
    .max_flat_workgroup_size: 256
    .name:           _ZN7rocprim17ROCPRIM_400000_NS6detail17trampoline_kernelINS0_14default_configENS1_35radix_sort_onesweep_config_selectorIssEEZZNS1_29radix_sort_onesweep_iterationIS3_Lb0EN6thrust23THRUST_200600_302600_NS6detail15normal_iteratorINS8_10device_ptrIsEEEESD_SD_SD_jNS0_19identity_decomposerENS1_16block_id_wrapperIjLb1EEEEE10hipError_tT1_PNSt15iterator_traitsISI_E10value_typeET2_T3_PNSJ_ISO_E10value_typeET4_T5_PST_SU_PNS1_23onesweep_lookback_stateEbbT6_jjT7_P12ihipStream_tbENKUlT_T0_SI_SN_E_clIPsSD_S15_SD_EEDaS11_S12_SI_SN_EUlS11_E_NS1_11comp_targetILNS1_3genE2ELNS1_11target_archE906ELNS1_3gpuE6ELNS1_3repE0EEENS1_47radix_sort_onesweep_sort_config_static_selectorELNS0_4arch9wavefront6targetE1EEEvSI_
    .private_segment_fixed_size: 0
    .sgpr_count:     6
    .sgpr_spill_count: 0
    .symbol:         _ZN7rocprim17ROCPRIM_400000_NS6detail17trampoline_kernelINS0_14default_configENS1_35radix_sort_onesweep_config_selectorIssEEZZNS1_29radix_sort_onesweep_iterationIS3_Lb0EN6thrust23THRUST_200600_302600_NS6detail15normal_iteratorINS8_10device_ptrIsEEEESD_SD_SD_jNS0_19identity_decomposerENS1_16block_id_wrapperIjLb1EEEEE10hipError_tT1_PNSt15iterator_traitsISI_E10value_typeET2_T3_PNSJ_ISO_E10value_typeET4_T5_PST_SU_PNS1_23onesweep_lookback_stateEbbT6_jjT7_P12ihipStream_tbENKUlT_T0_SI_SN_E_clIPsSD_S15_SD_EEDaS11_S12_SI_SN_EUlS11_E_NS1_11comp_targetILNS1_3genE2ELNS1_11target_archE906ELNS1_3gpuE6ELNS1_3repE0EEENS1_47radix_sort_onesweep_sort_config_static_selectorELNS0_4arch9wavefront6targetE1EEEvSI_.kd
    .uniform_work_group_size: 1
    .uses_dynamic_stack: false
    .vgpr_count:     0
    .vgpr_spill_count: 0
    .wavefront_size: 64
  - .agpr_count:     0
    .args:
      - .offset:         0
        .size:           88
        .value_kind:     by_value
    .group_segment_fixed_size: 0
    .kernarg_segment_align: 8
    .kernarg_segment_size: 88
    .language:       OpenCL C
    .language_version:
      - 2
      - 0
    .max_flat_workgroup_size: 512
    .name:           _ZN7rocprim17ROCPRIM_400000_NS6detail17trampoline_kernelINS0_14default_configENS1_35radix_sort_onesweep_config_selectorIssEEZZNS1_29radix_sort_onesweep_iterationIS3_Lb0EN6thrust23THRUST_200600_302600_NS6detail15normal_iteratorINS8_10device_ptrIsEEEESD_SD_SD_jNS0_19identity_decomposerENS1_16block_id_wrapperIjLb1EEEEE10hipError_tT1_PNSt15iterator_traitsISI_E10value_typeET2_T3_PNSJ_ISO_E10value_typeET4_T5_PST_SU_PNS1_23onesweep_lookback_stateEbbT6_jjT7_P12ihipStream_tbENKUlT_T0_SI_SN_E_clIPsSD_S15_SD_EEDaS11_S12_SI_SN_EUlS11_E_NS1_11comp_targetILNS1_3genE4ELNS1_11target_archE910ELNS1_3gpuE8ELNS1_3repE0EEENS1_47radix_sort_onesweep_sort_config_static_selectorELNS0_4arch9wavefront6targetE1EEEvSI_
    .private_segment_fixed_size: 0
    .sgpr_count:     6
    .sgpr_spill_count: 0
    .symbol:         _ZN7rocprim17ROCPRIM_400000_NS6detail17trampoline_kernelINS0_14default_configENS1_35radix_sort_onesweep_config_selectorIssEEZZNS1_29radix_sort_onesweep_iterationIS3_Lb0EN6thrust23THRUST_200600_302600_NS6detail15normal_iteratorINS8_10device_ptrIsEEEESD_SD_SD_jNS0_19identity_decomposerENS1_16block_id_wrapperIjLb1EEEEE10hipError_tT1_PNSt15iterator_traitsISI_E10value_typeET2_T3_PNSJ_ISO_E10value_typeET4_T5_PST_SU_PNS1_23onesweep_lookback_stateEbbT6_jjT7_P12ihipStream_tbENKUlT_T0_SI_SN_E_clIPsSD_S15_SD_EEDaS11_S12_SI_SN_EUlS11_E_NS1_11comp_targetILNS1_3genE4ELNS1_11target_archE910ELNS1_3gpuE8ELNS1_3repE0EEENS1_47radix_sort_onesweep_sort_config_static_selectorELNS0_4arch9wavefront6targetE1EEEvSI_.kd
    .uniform_work_group_size: 1
    .uses_dynamic_stack: false
    .vgpr_count:     0
    .vgpr_spill_count: 0
    .wavefront_size: 64
  - .agpr_count:     0
    .args:
      - .offset:         0
        .size:           88
        .value_kind:     by_value
    .group_segment_fixed_size: 0
    .kernarg_segment_align: 8
    .kernarg_segment_size: 88
    .language:       OpenCL C
    .language_version:
      - 2
      - 0
    .max_flat_workgroup_size: 256
    .name:           _ZN7rocprim17ROCPRIM_400000_NS6detail17trampoline_kernelINS0_14default_configENS1_35radix_sort_onesweep_config_selectorIssEEZZNS1_29radix_sort_onesweep_iterationIS3_Lb0EN6thrust23THRUST_200600_302600_NS6detail15normal_iteratorINS8_10device_ptrIsEEEESD_SD_SD_jNS0_19identity_decomposerENS1_16block_id_wrapperIjLb1EEEEE10hipError_tT1_PNSt15iterator_traitsISI_E10value_typeET2_T3_PNSJ_ISO_E10value_typeET4_T5_PST_SU_PNS1_23onesweep_lookback_stateEbbT6_jjT7_P12ihipStream_tbENKUlT_T0_SI_SN_E_clIPsSD_S15_SD_EEDaS11_S12_SI_SN_EUlS11_E_NS1_11comp_targetILNS1_3genE3ELNS1_11target_archE908ELNS1_3gpuE7ELNS1_3repE0EEENS1_47radix_sort_onesweep_sort_config_static_selectorELNS0_4arch9wavefront6targetE1EEEvSI_
    .private_segment_fixed_size: 0
    .sgpr_count:     6
    .sgpr_spill_count: 0
    .symbol:         _ZN7rocprim17ROCPRIM_400000_NS6detail17trampoline_kernelINS0_14default_configENS1_35radix_sort_onesweep_config_selectorIssEEZZNS1_29radix_sort_onesweep_iterationIS3_Lb0EN6thrust23THRUST_200600_302600_NS6detail15normal_iteratorINS8_10device_ptrIsEEEESD_SD_SD_jNS0_19identity_decomposerENS1_16block_id_wrapperIjLb1EEEEE10hipError_tT1_PNSt15iterator_traitsISI_E10value_typeET2_T3_PNSJ_ISO_E10value_typeET4_T5_PST_SU_PNS1_23onesweep_lookback_stateEbbT6_jjT7_P12ihipStream_tbENKUlT_T0_SI_SN_E_clIPsSD_S15_SD_EEDaS11_S12_SI_SN_EUlS11_E_NS1_11comp_targetILNS1_3genE3ELNS1_11target_archE908ELNS1_3gpuE7ELNS1_3repE0EEENS1_47radix_sort_onesweep_sort_config_static_selectorELNS0_4arch9wavefront6targetE1EEEvSI_.kd
    .uniform_work_group_size: 1
    .uses_dynamic_stack: false
    .vgpr_count:     0
    .vgpr_spill_count: 0
    .wavefront_size: 64
  - .agpr_count:     0
    .args:
      - .offset:         0
        .size:           88
        .value_kind:     by_value
    .group_segment_fixed_size: 0
    .kernarg_segment_align: 8
    .kernarg_segment_size: 88
    .language:       OpenCL C
    .language_version:
      - 2
      - 0
    .max_flat_workgroup_size: 512
    .name:           _ZN7rocprim17ROCPRIM_400000_NS6detail17trampoline_kernelINS0_14default_configENS1_35radix_sort_onesweep_config_selectorIssEEZZNS1_29radix_sort_onesweep_iterationIS3_Lb0EN6thrust23THRUST_200600_302600_NS6detail15normal_iteratorINS8_10device_ptrIsEEEESD_SD_SD_jNS0_19identity_decomposerENS1_16block_id_wrapperIjLb1EEEEE10hipError_tT1_PNSt15iterator_traitsISI_E10value_typeET2_T3_PNSJ_ISO_E10value_typeET4_T5_PST_SU_PNS1_23onesweep_lookback_stateEbbT6_jjT7_P12ihipStream_tbENKUlT_T0_SI_SN_E_clIPsSD_S15_SD_EEDaS11_S12_SI_SN_EUlS11_E_NS1_11comp_targetILNS1_3genE10ELNS1_11target_archE1201ELNS1_3gpuE5ELNS1_3repE0EEENS1_47radix_sort_onesweep_sort_config_static_selectorELNS0_4arch9wavefront6targetE1EEEvSI_
    .private_segment_fixed_size: 0
    .sgpr_count:     6
    .sgpr_spill_count: 0
    .symbol:         _ZN7rocprim17ROCPRIM_400000_NS6detail17trampoline_kernelINS0_14default_configENS1_35radix_sort_onesweep_config_selectorIssEEZZNS1_29radix_sort_onesweep_iterationIS3_Lb0EN6thrust23THRUST_200600_302600_NS6detail15normal_iteratorINS8_10device_ptrIsEEEESD_SD_SD_jNS0_19identity_decomposerENS1_16block_id_wrapperIjLb1EEEEE10hipError_tT1_PNSt15iterator_traitsISI_E10value_typeET2_T3_PNSJ_ISO_E10value_typeET4_T5_PST_SU_PNS1_23onesweep_lookback_stateEbbT6_jjT7_P12ihipStream_tbENKUlT_T0_SI_SN_E_clIPsSD_S15_SD_EEDaS11_S12_SI_SN_EUlS11_E_NS1_11comp_targetILNS1_3genE10ELNS1_11target_archE1201ELNS1_3gpuE5ELNS1_3repE0EEENS1_47radix_sort_onesweep_sort_config_static_selectorELNS0_4arch9wavefront6targetE1EEEvSI_.kd
    .uniform_work_group_size: 1
    .uses_dynamic_stack: false
    .vgpr_count:     0
    .vgpr_spill_count: 0
    .wavefront_size: 64
  - .agpr_count:     0
    .args:
      - .offset:         0
        .size:           88
        .value_kind:     by_value
    .group_segment_fixed_size: 0
    .kernarg_segment_align: 8
    .kernarg_segment_size: 88
    .language:       OpenCL C
    .language_version:
      - 2
      - 0
    .max_flat_workgroup_size: 1024
    .name:           _ZN7rocprim17ROCPRIM_400000_NS6detail17trampoline_kernelINS0_14default_configENS1_35radix_sort_onesweep_config_selectorIssEEZZNS1_29radix_sort_onesweep_iterationIS3_Lb0EN6thrust23THRUST_200600_302600_NS6detail15normal_iteratorINS8_10device_ptrIsEEEESD_SD_SD_jNS0_19identity_decomposerENS1_16block_id_wrapperIjLb1EEEEE10hipError_tT1_PNSt15iterator_traitsISI_E10value_typeET2_T3_PNSJ_ISO_E10value_typeET4_T5_PST_SU_PNS1_23onesweep_lookback_stateEbbT6_jjT7_P12ihipStream_tbENKUlT_T0_SI_SN_E_clIPsSD_S15_SD_EEDaS11_S12_SI_SN_EUlS11_E_NS1_11comp_targetILNS1_3genE9ELNS1_11target_archE1100ELNS1_3gpuE3ELNS1_3repE0EEENS1_47radix_sort_onesweep_sort_config_static_selectorELNS0_4arch9wavefront6targetE1EEEvSI_
    .private_segment_fixed_size: 0
    .sgpr_count:     6
    .sgpr_spill_count: 0
    .symbol:         _ZN7rocprim17ROCPRIM_400000_NS6detail17trampoline_kernelINS0_14default_configENS1_35radix_sort_onesweep_config_selectorIssEEZZNS1_29radix_sort_onesweep_iterationIS3_Lb0EN6thrust23THRUST_200600_302600_NS6detail15normal_iteratorINS8_10device_ptrIsEEEESD_SD_SD_jNS0_19identity_decomposerENS1_16block_id_wrapperIjLb1EEEEE10hipError_tT1_PNSt15iterator_traitsISI_E10value_typeET2_T3_PNSJ_ISO_E10value_typeET4_T5_PST_SU_PNS1_23onesweep_lookback_stateEbbT6_jjT7_P12ihipStream_tbENKUlT_T0_SI_SN_E_clIPsSD_S15_SD_EEDaS11_S12_SI_SN_EUlS11_E_NS1_11comp_targetILNS1_3genE9ELNS1_11target_archE1100ELNS1_3gpuE3ELNS1_3repE0EEENS1_47radix_sort_onesweep_sort_config_static_selectorELNS0_4arch9wavefront6targetE1EEEvSI_.kd
    .uniform_work_group_size: 1
    .uses_dynamic_stack: false
    .vgpr_count:     0
    .vgpr_spill_count: 0
    .wavefront_size: 64
  - .agpr_count:     0
    .args:
      - .offset:         0
        .size:           88
        .value_kind:     by_value
    .group_segment_fixed_size: 0
    .kernarg_segment_align: 8
    .kernarg_segment_size: 88
    .language:       OpenCL C
    .language_version:
      - 2
      - 0
    .max_flat_workgroup_size: 1024
    .name:           _ZN7rocprim17ROCPRIM_400000_NS6detail17trampoline_kernelINS0_14default_configENS1_35radix_sort_onesweep_config_selectorIssEEZZNS1_29radix_sort_onesweep_iterationIS3_Lb0EN6thrust23THRUST_200600_302600_NS6detail15normal_iteratorINS8_10device_ptrIsEEEESD_SD_SD_jNS0_19identity_decomposerENS1_16block_id_wrapperIjLb1EEEEE10hipError_tT1_PNSt15iterator_traitsISI_E10value_typeET2_T3_PNSJ_ISO_E10value_typeET4_T5_PST_SU_PNS1_23onesweep_lookback_stateEbbT6_jjT7_P12ihipStream_tbENKUlT_T0_SI_SN_E_clIPsSD_S15_SD_EEDaS11_S12_SI_SN_EUlS11_E_NS1_11comp_targetILNS1_3genE8ELNS1_11target_archE1030ELNS1_3gpuE2ELNS1_3repE0EEENS1_47radix_sort_onesweep_sort_config_static_selectorELNS0_4arch9wavefront6targetE1EEEvSI_
    .private_segment_fixed_size: 0
    .sgpr_count:     6
    .sgpr_spill_count: 0
    .symbol:         _ZN7rocprim17ROCPRIM_400000_NS6detail17trampoline_kernelINS0_14default_configENS1_35radix_sort_onesweep_config_selectorIssEEZZNS1_29radix_sort_onesweep_iterationIS3_Lb0EN6thrust23THRUST_200600_302600_NS6detail15normal_iteratorINS8_10device_ptrIsEEEESD_SD_SD_jNS0_19identity_decomposerENS1_16block_id_wrapperIjLb1EEEEE10hipError_tT1_PNSt15iterator_traitsISI_E10value_typeET2_T3_PNSJ_ISO_E10value_typeET4_T5_PST_SU_PNS1_23onesweep_lookback_stateEbbT6_jjT7_P12ihipStream_tbENKUlT_T0_SI_SN_E_clIPsSD_S15_SD_EEDaS11_S12_SI_SN_EUlS11_E_NS1_11comp_targetILNS1_3genE8ELNS1_11target_archE1030ELNS1_3gpuE2ELNS1_3repE0EEENS1_47radix_sort_onesweep_sort_config_static_selectorELNS0_4arch9wavefront6targetE1EEEvSI_.kd
    .uniform_work_group_size: 1
    .uses_dynamic_stack: false
    .vgpr_count:     0
    .vgpr_spill_count: 0
    .wavefront_size: 64
  - .agpr_count:     0
    .args:
      - .offset:         0
        .size:           88
        .value_kind:     by_value
    .group_segment_fixed_size: 0
    .kernarg_segment_align: 8
    .kernarg_segment_size: 88
    .language:       OpenCL C
    .language_version:
      - 2
      - 0
    .max_flat_workgroup_size: 256
    .name:           _ZN7rocprim17ROCPRIM_400000_NS6detail17trampoline_kernelINS0_14default_configENS1_35radix_sort_onesweep_config_selectorIssEEZZNS1_29radix_sort_onesweep_iterationIS3_Lb0EN6thrust23THRUST_200600_302600_NS6detail15normal_iteratorINS8_10device_ptrIsEEEESD_SD_SD_jNS0_19identity_decomposerENS1_16block_id_wrapperIjLb0EEEEE10hipError_tT1_PNSt15iterator_traitsISI_E10value_typeET2_T3_PNSJ_ISO_E10value_typeET4_T5_PST_SU_PNS1_23onesweep_lookback_stateEbbT6_jjT7_P12ihipStream_tbENKUlT_T0_SI_SN_E_clISD_SD_SD_SD_EEDaS11_S12_SI_SN_EUlS11_E_NS1_11comp_targetILNS1_3genE0ELNS1_11target_archE4294967295ELNS1_3gpuE0ELNS1_3repE0EEENS1_47radix_sort_onesweep_sort_config_static_selectorELNS0_4arch9wavefront6targetE1EEEvSI_
    .private_segment_fixed_size: 0
    .sgpr_count:     6
    .sgpr_spill_count: 0
    .symbol:         _ZN7rocprim17ROCPRIM_400000_NS6detail17trampoline_kernelINS0_14default_configENS1_35radix_sort_onesweep_config_selectorIssEEZZNS1_29radix_sort_onesweep_iterationIS3_Lb0EN6thrust23THRUST_200600_302600_NS6detail15normal_iteratorINS8_10device_ptrIsEEEESD_SD_SD_jNS0_19identity_decomposerENS1_16block_id_wrapperIjLb0EEEEE10hipError_tT1_PNSt15iterator_traitsISI_E10value_typeET2_T3_PNSJ_ISO_E10value_typeET4_T5_PST_SU_PNS1_23onesweep_lookback_stateEbbT6_jjT7_P12ihipStream_tbENKUlT_T0_SI_SN_E_clISD_SD_SD_SD_EEDaS11_S12_SI_SN_EUlS11_E_NS1_11comp_targetILNS1_3genE0ELNS1_11target_archE4294967295ELNS1_3gpuE0ELNS1_3repE0EEENS1_47radix_sort_onesweep_sort_config_static_selectorELNS0_4arch9wavefront6targetE1EEEvSI_.kd
    .uniform_work_group_size: 1
    .uses_dynamic_stack: false
    .vgpr_count:     0
    .vgpr_spill_count: 0
    .wavefront_size: 64
  - .agpr_count:     0
    .args:
      - .offset:         0
        .size:           88
        .value_kind:     by_value
      - .offset:         88
        .size:           4
        .value_kind:     hidden_block_count_x
      - .offset:         92
        .size:           4
        .value_kind:     hidden_block_count_y
      - .offset:         96
        .size:           4
        .value_kind:     hidden_block_count_z
      - .offset:         100
        .size:           2
        .value_kind:     hidden_group_size_x
      - .offset:         102
        .size:           2
        .value_kind:     hidden_group_size_y
      - .offset:         104
        .size:           2
        .value_kind:     hidden_group_size_z
      - .offset:         106
        .size:           2
        .value_kind:     hidden_remainder_x
      - .offset:         108
        .size:           2
        .value_kind:     hidden_remainder_y
      - .offset:         110
        .size:           2
        .value_kind:     hidden_remainder_z
      - .offset:         128
        .size:           8
        .value_kind:     hidden_global_offset_x
      - .offset:         136
        .size:           8
        .value_kind:     hidden_global_offset_y
      - .offset:         144
        .size:           8
        .value_kind:     hidden_global_offset_z
      - .offset:         152
        .size:           2
        .value_kind:     hidden_grid_dims
    .group_segment_fixed_size: 22792
    .kernarg_segment_align: 8
    .kernarg_segment_size: 344
    .language:       OpenCL C
    .language_version:
      - 2
      - 0
    .max_flat_workgroup_size: 512
    .name:           _ZN7rocprim17ROCPRIM_400000_NS6detail17trampoline_kernelINS0_14default_configENS1_35radix_sort_onesweep_config_selectorIssEEZZNS1_29radix_sort_onesweep_iterationIS3_Lb0EN6thrust23THRUST_200600_302600_NS6detail15normal_iteratorINS8_10device_ptrIsEEEESD_SD_SD_jNS0_19identity_decomposerENS1_16block_id_wrapperIjLb0EEEEE10hipError_tT1_PNSt15iterator_traitsISI_E10value_typeET2_T3_PNSJ_ISO_E10value_typeET4_T5_PST_SU_PNS1_23onesweep_lookback_stateEbbT6_jjT7_P12ihipStream_tbENKUlT_T0_SI_SN_E_clISD_SD_SD_SD_EEDaS11_S12_SI_SN_EUlS11_E_NS1_11comp_targetILNS1_3genE6ELNS1_11target_archE950ELNS1_3gpuE13ELNS1_3repE0EEENS1_47radix_sort_onesweep_sort_config_static_selectorELNS0_4arch9wavefront6targetE1EEEvSI_
    .private_segment_fixed_size: 0
    .sgpr_count:     106
    .sgpr_spill_count: 18
    .symbol:         _ZN7rocprim17ROCPRIM_400000_NS6detail17trampoline_kernelINS0_14default_configENS1_35radix_sort_onesweep_config_selectorIssEEZZNS1_29radix_sort_onesweep_iterationIS3_Lb0EN6thrust23THRUST_200600_302600_NS6detail15normal_iteratorINS8_10device_ptrIsEEEESD_SD_SD_jNS0_19identity_decomposerENS1_16block_id_wrapperIjLb0EEEEE10hipError_tT1_PNSt15iterator_traitsISI_E10value_typeET2_T3_PNSJ_ISO_E10value_typeET4_T5_PST_SU_PNS1_23onesweep_lookback_stateEbbT6_jjT7_P12ihipStream_tbENKUlT_T0_SI_SN_E_clISD_SD_SD_SD_EEDaS11_S12_SI_SN_EUlS11_E_NS1_11comp_targetILNS1_3genE6ELNS1_11target_archE950ELNS1_3gpuE13ELNS1_3repE0EEENS1_47radix_sort_onesweep_sort_config_static_selectorELNS0_4arch9wavefront6targetE1EEEvSI_.kd
    .uniform_work_group_size: 1
    .uses_dynamic_stack: false
    .vgpr_count:     119
    .vgpr_spill_count: 0
    .wavefront_size: 64
  - .agpr_count:     0
    .args:
      - .offset:         0
        .size:           88
        .value_kind:     by_value
    .group_segment_fixed_size: 0
    .kernarg_segment_align: 8
    .kernarg_segment_size: 88
    .language:       OpenCL C
    .language_version:
      - 2
      - 0
    .max_flat_workgroup_size: 512
    .name:           _ZN7rocprim17ROCPRIM_400000_NS6detail17trampoline_kernelINS0_14default_configENS1_35radix_sort_onesweep_config_selectorIssEEZZNS1_29radix_sort_onesweep_iterationIS3_Lb0EN6thrust23THRUST_200600_302600_NS6detail15normal_iteratorINS8_10device_ptrIsEEEESD_SD_SD_jNS0_19identity_decomposerENS1_16block_id_wrapperIjLb0EEEEE10hipError_tT1_PNSt15iterator_traitsISI_E10value_typeET2_T3_PNSJ_ISO_E10value_typeET4_T5_PST_SU_PNS1_23onesweep_lookback_stateEbbT6_jjT7_P12ihipStream_tbENKUlT_T0_SI_SN_E_clISD_SD_SD_SD_EEDaS11_S12_SI_SN_EUlS11_E_NS1_11comp_targetILNS1_3genE5ELNS1_11target_archE942ELNS1_3gpuE9ELNS1_3repE0EEENS1_47radix_sort_onesweep_sort_config_static_selectorELNS0_4arch9wavefront6targetE1EEEvSI_
    .private_segment_fixed_size: 0
    .sgpr_count:     6
    .sgpr_spill_count: 0
    .symbol:         _ZN7rocprim17ROCPRIM_400000_NS6detail17trampoline_kernelINS0_14default_configENS1_35radix_sort_onesweep_config_selectorIssEEZZNS1_29radix_sort_onesweep_iterationIS3_Lb0EN6thrust23THRUST_200600_302600_NS6detail15normal_iteratorINS8_10device_ptrIsEEEESD_SD_SD_jNS0_19identity_decomposerENS1_16block_id_wrapperIjLb0EEEEE10hipError_tT1_PNSt15iterator_traitsISI_E10value_typeET2_T3_PNSJ_ISO_E10value_typeET4_T5_PST_SU_PNS1_23onesweep_lookback_stateEbbT6_jjT7_P12ihipStream_tbENKUlT_T0_SI_SN_E_clISD_SD_SD_SD_EEDaS11_S12_SI_SN_EUlS11_E_NS1_11comp_targetILNS1_3genE5ELNS1_11target_archE942ELNS1_3gpuE9ELNS1_3repE0EEENS1_47radix_sort_onesweep_sort_config_static_selectorELNS0_4arch9wavefront6targetE1EEEvSI_.kd
    .uniform_work_group_size: 1
    .uses_dynamic_stack: false
    .vgpr_count:     0
    .vgpr_spill_count: 0
    .wavefront_size: 64
  - .agpr_count:     0
    .args:
      - .offset:         0
        .size:           88
        .value_kind:     by_value
    .group_segment_fixed_size: 0
    .kernarg_segment_align: 8
    .kernarg_segment_size: 88
    .language:       OpenCL C
    .language_version:
      - 2
      - 0
    .max_flat_workgroup_size: 256
    .name:           _ZN7rocprim17ROCPRIM_400000_NS6detail17trampoline_kernelINS0_14default_configENS1_35radix_sort_onesweep_config_selectorIssEEZZNS1_29radix_sort_onesweep_iterationIS3_Lb0EN6thrust23THRUST_200600_302600_NS6detail15normal_iteratorINS8_10device_ptrIsEEEESD_SD_SD_jNS0_19identity_decomposerENS1_16block_id_wrapperIjLb0EEEEE10hipError_tT1_PNSt15iterator_traitsISI_E10value_typeET2_T3_PNSJ_ISO_E10value_typeET4_T5_PST_SU_PNS1_23onesweep_lookback_stateEbbT6_jjT7_P12ihipStream_tbENKUlT_T0_SI_SN_E_clISD_SD_SD_SD_EEDaS11_S12_SI_SN_EUlS11_E_NS1_11comp_targetILNS1_3genE2ELNS1_11target_archE906ELNS1_3gpuE6ELNS1_3repE0EEENS1_47radix_sort_onesweep_sort_config_static_selectorELNS0_4arch9wavefront6targetE1EEEvSI_
    .private_segment_fixed_size: 0
    .sgpr_count:     6
    .sgpr_spill_count: 0
    .symbol:         _ZN7rocprim17ROCPRIM_400000_NS6detail17trampoline_kernelINS0_14default_configENS1_35radix_sort_onesweep_config_selectorIssEEZZNS1_29radix_sort_onesweep_iterationIS3_Lb0EN6thrust23THRUST_200600_302600_NS6detail15normal_iteratorINS8_10device_ptrIsEEEESD_SD_SD_jNS0_19identity_decomposerENS1_16block_id_wrapperIjLb0EEEEE10hipError_tT1_PNSt15iterator_traitsISI_E10value_typeET2_T3_PNSJ_ISO_E10value_typeET4_T5_PST_SU_PNS1_23onesweep_lookback_stateEbbT6_jjT7_P12ihipStream_tbENKUlT_T0_SI_SN_E_clISD_SD_SD_SD_EEDaS11_S12_SI_SN_EUlS11_E_NS1_11comp_targetILNS1_3genE2ELNS1_11target_archE906ELNS1_3gpuE6ELNS1_3repE0EEENS1_47radix_sort_onesweep_sort_config_static_selectorELNS0_4arch9wavefront6targetE1EEEvSI_.kd
    .uniform_work_group_size: 1
    .uses_dynamic_stack: false
    .vgpr_count:     0
    .vgpr_spill_count: 0
    .wavefront_size: 64
  - .agpr_count:     0
    .args:
      - .offset:         0
        .size:           88
        .value_kind:     by_value
    .group_segment_fixed_size: 0
    .kernarg_segment_align: 8
    .kernarg_segment_size: 88
    .language:       OpenCL C
    .language_version:
      - 2
      - 0
    .max_flat_workgroup_size: 512
    .name:           _ZN7rocprim17ROCPRIM_400000_NS6detail17trampoline_kernelINS0_14default_configENS1_35radix_sort_onesweep_config_selectorIssEEZZNS1_29radix_sort_onesweep_iterationIS3_Lb0EN6thrust23THRUST_200600_302600_NS6detail15normal_iteratorINS8_10device_ptrIsEEEESD_SD_SD_jNS0_19identity_decomposerENS1_16block_id_wrapperIjLb0EEEEE10hipError_tT1_PNSt15iterator_traitsISI_E10value_typeET2_T3_PNSJ_ISO_E10value_typeET4_T5_PST_SU_PNS1_23onesweep_lookback_stateEbbT6_jjT7_P12ihipStream_tbENKUlT_T0_SI_SN_E_clISD_SD_SD_SD_EEDaS11_S12_SI_SN_EUlS11_E_NS1_11comp_targetILNS1_3genE4ELNS1_11target_archE910ELNS1_3gpuE8ELNS1_3repE0EEENS1_47radix_sort_onesweep_sort_config_static_selectorELNS0_4arch9wavefront6targetE1EEEvSI_
    .private_segment_fixed_size: 0
    .sgpr_count:     6
    .sgpr_spill_count: 0
    .symbol:         _ZN7rocprim17ROCPRIM_400000_NS6detail17trampoline_kernelINS0_14default_configENS1_35radix_sort_onesweep_config_selectorIssEEZZNS1_29radix_sort_onesweep_iterationIS3_Lb0EN6thrust23THRUST_200600_302600_NS6detail15normal_iteratorINS8_10device_ptrIsEEEESD_SD_SD_jNS0_19identity_decomposerENS1_16block_id_wrapperIjLb0EEEEE10hipError_tT1_PNSt15iterator_traitsISI_E10value_typeET2_T3_PNSJ_ISO_E10value_typeET4_T5_PST_SU_PNS1_23onesweep_lookback_stateEbbT6_jjT7_P12ihipStream_tbENKUlT_T0_SI_SN_E_clISD_SD_SD_SD_EEDaS11_S12_SI_SN_EUlS11_E_NS1_11comp_targetILNS1_3genE4ELNS1_11target_archE910ELNS1_3gpuE8ELNS1_3repE0EEENS1_47radix_sort_onesweep_sort_config_static_selectorELNS0_4arch9wavefront6targetE1EEEvSI_.kd
    .uniform_work_group_size: 1
    .uses_dynamic_stack: false
    .vgpr_count:     0
    .vgpr_spill_count: 0
    .wavefront_size: 64
  - .agpr_count:     0
    .args:
      - .offset:         0
        .size:           88
        .value_kind:     by_value
    .group_segment_fixed_size: 0
    .kernarg_segment_align: 8
    .kernarg_segment_size: 88
    .language:       OpenCL C
    .language_version:
      - 2
      - 0
    .max_flat_workgroup_size: 256
    .name:           _ZN7rocprim17ROCPRIM_400000_NS6detail17trampoline_kernelINS0_14default_configENS1_35radix_sort_onesweep_config_selectorIssEEZZNS1_29radix_sort_onesweep_iterationIS3_Lb0EN6thrust23THRUST_200600_302600_NS6detail15normal_iteratorINS8_10device_ptrIsEEEESD_SD_SD_jNS0_19identity_decomposerENS1_16block_id_wrapperIjLb0EEEEE10hipError_tT1_PNSt15iterator_traitsISI_E10value_typeET2_T3_PNSJ_ISO_E10value_typeET4_T5_PST_SU_PNS1_23onesweep_lookback_stateEbbT6_jjT7_P12ihipStream_tbENKUlT_T0_SI_SN_E_clISD_SD_SD_SD_EEDaS11_S12_SI_SN_EUlS11_E_NS1_11comp_targetILNS1_3genE3ELNS1_11target_archE908ELNS1_3gpuE7ELNS1_3repE0EEENS1_47radix_sort_onesweep_sort_config_static_selectorELNS0_4arch9wavefront6targetE1EEEvSI_
    .private_segment_fixed_size: 0
    .sgpr_count:     6
    .sgpr_spill_count: 0
    .symbol:         _ZN7rocprim17ROCPRIM_400000_NS6detail17trampoline_kernelINS0_14default_configENS1_35radix_sort_onesweep_config_selectorIssEEZZNS1_29radix_sort_onesweep_iterationIS3_Lb0EN6thrust23THRUST_200600_302600_NS6detail15normal_iteratorINS8_10device_ptrIsEEEESD_SD_SD_jNS0_19identity_decomposerENS1_16block_id_wrapperIjLb0EEEEE10hipError_tT1_PNSt15iterator_traitsISI_E10value_typeET2_T3_PNSJ_ISO_E10value_typeET4_T5_PST_SU_PNS1_23onesweep_lookback_stateEbbT6_jjT7_P12ihipStream_tbENKUlT_T0_SI_SN_E_clISD_SD_SD_SD_EEDaS11_S12_SI_SN_EUlS11_E_NS1_11comp_targetILNS1_3genE3ELNS1_11target_archE908ELNS1_3gpuE7ELNS1_3repE0EEENS1_47radix_sort_onesweep_sort_config_static_selectorELNS0_4arch9wavefront6targetE1EEEvSI_.kd
    .uniform_work_group_size: 1
    .uses_dynamic_stack: false
    .vgpr_count:     0
    .vgpr_spill_count: 0
    .wavefront_size: 64
  - .agpr_count:     0
    .args:
      - .offset:         0
        .size:           88
        .value_kind:     by_value
    .group_segment_fixed_size: 0
    .kernarg_segment_align: 8
    .kernarg_segment_size: 88
    .language:       OpenCL C
    .language_version:
      - 2
      - 0
    .max_flat_workgroup_size: 512
    .name:           _ZN7rocprim17ROCPRIM_400000_NS6detail17trampoline_kernelINS0_14default_configENS1_35radix_sort_onesweep_config_selectorIssEEZZNS1_29radix_sort_onesweep_iterationIS3_Lb0EN6thrust23THRUST_200600_302600_NS6detail15normal_iteratorINS8_10device_ptrIsEEEESD_SD_SD_jNS0_19identity_decomposerENS1_16block_id_wrapperIjLb0EEEEE10hipError_tT1_PNSt15iterator_traitsISI_E10value_typeET2_T3_PNSJ_ISO_E10value_typeET4_T5_PST_SU_PNS1_23onesweep_lookback_stateEbbT6_jjT7_P12ihipStream_tbENKUlT_T0_SI_SN_E_clISD_SD_SD_SD_EEDaS11_S12_SI_SN_EUlS11_E_NS1_11comp_targetILNS1_3genE10ELNS1_11target_archE1201ELNS1_3gpuE5ELNS1_3repE0EEENS1_47radix_sort_onesweep_sort_config_static_selectorELNS0_4arch9wavefront6targetE1EEEvSI_
    .private_segment_fixed_size: 0
    .sgpr_count:     6
    .sgpr_spill_count: 0
    .symbol:         _ZN7rocprim17ROCPRIM_400000_NS6detail17trampoline_kernelINS0_14default_configENS1_35radix_sort_onesweep_config_selectorIssEEZZNS1_29radix_sort_onesweep_iterationIS3_Lb0EN6thrust23THRUST_200600_302600_NS6detail15normal_iteratorINS8_10device_ptrIsEEEESD_SD_SD_jNS0_19identity_decomposerENS1_16block_id_wrapperIjLb0EEEEE10hipError_tT1_PNSt15iterator_traitsISI_E10value_typeET2_T3_PNSJ_ISO_E10value_typeET4_T5_PST_SU_PNS1_23onesweep_lookback_stateEbbT6_jjT7_P12ihipStream_tbENKUlT_T0_SI_SN_E_clISD_SD_SD_SD_EEDaS11_S12_SI_SN_EUlS11_E_NS1_11comp_targetILNS1_3genE10ELNS1_11target_archE1201ELNS1_3gpuE5ELNS1_3repE0EEENS1_47radix_sort_onesweep_sort_config_static_selectorELNS0_4arch9wavefront6targetE1EEEvSI_.kd
    .uniform_work_group_size: 1
    .uses_dynamic_stack: false
    .vgpr_count:     0
    .vgpr_spill_count: 0
    .wavefront_size: 64
  - .agpr_count:     0
    .args:
      - .offset:         0
        .size:           88
        .value_kind:     by_value
    .group_segment_fixed_size: 0
    .kernarg_segment_align: 8
    .kernarg_segment_size: 88
    .language:       OpenCL C
    .language_version:
      - 2
      - 0
    .max_flat_workgroup_size: 1024
    .name:           _ZN7rocprim17ROCPRIM_400000_NS6detail17trampoline_kernelINS0_14default_configENS1_35radix_sort_onesweep_config_selectorIssEEZZNS1_29radix_sort_onesweep_iterationIS3_Lb0EN6thrust23THRUST_200600_302600_NS6detail15normal_iteratorINS8_10device_ptrIsEEEESD_SD_SD_jNS0_19identity_decomposerENS1_16block_id_wrapperIjLb0EEEEE10hipError_tT1_PNSt15iterator_traitsISI_E10value_typeET2_T3_PNSJ_ISO_E10value_typeET4_T5_PST_SU_PNS1_23onesweep_lookback_stateEbbT6_jjT7_P12ihipStream_tbENKUlT_T0_SI_SN_E_clISD_SD_SD_SD_EEDaS11_S12_SI_SN_EUlS11_E_NS1_11comp_targetILNS1_3genE9ELNS1_11target_archE1100ELNS1_3gpuE3ELNS1_3repE0EEENS1_47radix_sort_onesweep_sort_config_static_selectorELNS0_4arch9wavefront6targetE1EEEvSI_
    .private_segment_fixed_size: 0
    .sgpr_count:     6
    .sgpr_spill_count: 0
    .symbol:         _ZN7rocprim17ROCPRIM_400000_NS6detail17trampoline_kernelINS0_14default_configENS1_35radix_sort_onesweep_config_selectorIssEEZZNS1_29radix_sort_onesweep_iterationIS3_Lb0EN6thrust23THRUST_200600_302600_NS6detail15normal_iteratorINS8_10device_ptrIsEEEESD_SD_SD_jNS0_19identity_decomposerENS1_16block_id_wrapperIjLb0EEEEE10hipError_tT1_PNSt15iterator_traitsISI_E10value_typeET2_T3_PNSJ_ISO_E10value_typeET4_T5_PST_SU_PNS1_23onesweep_lookback_stateEbbT6_jjT7_P12ihipStream_tbENKUlT_T0_SI_SN_E_clISD_SD_SD_SD_EEDaS11_S12_SI_SN_EUlS11_E_NS1_11comp_targetILNS1_3genE9ELNS1_11target_archE1100ELNS1_3gpuE3ELNS1_3repE0EEENS1_47radix_sort_onesweep_sort_config_static_selectorELNS0_4arch9wavefront6targetE1EEEvSI_.kd
    .uniform_work_group_size: 1
    .uses_dynamic_stack: false
    .vgpr_count:     0
    .vgpr_spill_count: 0
    .wavefront_size: 64
  - .agpr_count:     0
    .args:
      - .offset:         0
        .size:           88
        .value_kind:     by_value
    .group_segment_fixed_size: 0
    .kernarg_segment_align: 8
    .kernarg_segment_size: 88
    .language:       OpenCL C
    .language_version:
      - 2
      - 0
    .max_flat_workgroup_size: 1024
    .name:           _ZN7rocprim17ROCPRIM_400000_NS6detail17trampoline_kernelINS0_14default_configENS1_35radix_sort_onesweep_config_selectorIssEEZZNS1_29radix_sort_onesweep_iterationIS3_Lb0EN6thrust23THRUST_200600_302600_NS6detail15normal_iteratorINS8_10device_ptrIsEEEESD_SD_SD_jNS0_19identity_decomposerENS1_16block_id_wrapperIjLb0EEEEE10hipError_tT1_PNSt15iterator_traitsISI_E10value_typeET2_T3_PNSJ_ISO_E10value_typeET4_T5_PST_SU_PNS1_23onesweep_lookback_stateEbbT6_jjT7_P12ihipStream_tbENKUlT_T0_SI_SN_E_clISD_SD_SD_SD_EEDaS11_S12_SI_SN_EUlS11_E_NS1_11comp_targetILNS1_3genE8ELNS1_11target_archE1030ELNS1_3gpuE2ELNS1_3repE0EEENS1_47radix_sort_onesweep_sort_config_static_selectorELNS0_4arch9wavefront6targetE1EEEvSI_
    .private_segment_fixed_size: 0
    .sgpr_count:     6
    .sgpr_spill_count: 0
    .symbol:         _ZN7rocprim17ROCPRIM_400000_NS6detail17trampoline_kernelINS0_14default_configENS1_35radix_sort_onesweep_config_selectorIssEEZZNS1_29radix_sort_onesweep_iterationIS3_Lb0EN6thrust23THRUST_200600_302600_NS6detail15normal_iteratorINS8_10device_ptrIsEEEESD_SD_SD_jNS0_19identity_decomposerENS1_16block_id_wrapperIjLb0EEEEE10hipError_tT1_PNSt15iterator_traitsISI_E10value_typeET2_T3_PNSJ_ISO_E10value_typeET4_T5_PST_SU_PNS1_23onesweep_lookback_stateEbbT6_jjT7_P12ihipStream_tbENKUlT_T0_SI_SN_E_clISD_SD_SD_SD_EEDaS11_S12_SI_SN_EUlS11_E_NS1_11comp_targetILNS1_3genE8ELNS1_11target_archE1030ELNS1_3gpuE2ELNS1_3repE0EEENS1_47radix_sort_onesweep_sort_config_static_selectorELNS0_4arch9wavefront6targetE1EEEvSI_.kd
    .uniform_work_group_size: 1
    .uses_dynamic_stack: false
    .vgpr_count:     0
    .vgpr_spill_count: 0
    .wavefront_size: 64
  - .agpr_count:     0
    .args:
      - .offset:         0
        .size:           88
        .value_kind:     by_value
    .group_segment_fixed_size: 0
    .kernarg_segment_align: 8
    .kernarg_segment_size: 88
    .language:       OpenCL C
    .language_version:
      - 2
      - 0
    .max_flat_workgroup_size: 256
    .name:           _ZN7rocprim17ROCPRIM_400000_NS6detail17trampoline_kernelINS0_14default_configENS1_35radix_sort_onesweep_config_selectorIssEEZZNS1_29radix_sort_onesweep_iterationIS3_Lb0EN6thrust23THRUST_200600_302600_NS6detail15normal_iteratorINS8_10device_ptrIsEEEESD_SD_SD_jNS0_19identity_decomposerENS1_16block_id_wrapperIjLb0EEEEE10hipError_tT1_PNSt15iterator_traitsISI_E10value_typeET2_T3_PNSJ_ISO_E10value_typeET4_T5_PST_SU_PNS1_23onesweep_lookback_stateEbbT6_jjT7_P12ihipStream_tbENKUlT_T0_SI_SN_E_clISD_PsSD_S15_EEDaS11_S12_SI_SN_EUlS11_E_NS1_11comp_targetILNS1_3genE0ELNS1_11target_archE4294967295ELNS1_3gpuE0ELNS1_3repE0EEENS1_47radix_sort_onesweep_sort_config_static_selectorELNS0_4arch9wavefront6targetE1EEEvSI_
    .private_segment_fixed_size: 0
    .sgpr_count:     6
    .sgpr_spill_count: 0
    .symbol:         _ZN7rocprim17ROCPRIM_400000_NS6detail17trampoline_kernelINS0_14default_configENS1_35radix_sort_onesweep_config_selectorIssEEZZNS1_29radix_sort_onesweep_iterationIS3_Lb0EN6thrust23THRUST_200600_302600_NS6detail15normal_iteratorINS8_10device_ptrIsEEEESD_SD_SD_jNS0_19identity_decomposerENS1_16block_id_wrapperIjLb0EEEEE10hipError_tT1_PNSt15iterator_traitsISI_E10value_typeET2_T3_PNSJ_ISO_E10value_typeET4_T5_PST_SU_PNS1_23onesweep_lookback_stateEbbT6_jjT7_P12ihipStream_tbENKUlT_T0_SI_SN_E_clISD_PsSD_S15_EEDaS11_S12_SI_SN_EUlS11_E_NS1_11comp_targetILNS1_3genE0ELNS1_11target_archE4294967295ELNS1_3gpuE0ELNS1_3repE0EEENS1_47radix_sort_onesweep_sort_config_static_selectorELNS0_4arch9wavefront6targetE1EEEvSI_.kd
    .uniform_work_group_size: 1
    .uses_dynamic_stack: false
    .vgpr_count:     0
    .vgpr_spill_count: 0
    .wavefront_size: 64
  - .agpr_count:     0
    .args:
      - .offset:         0
        .size:           88
        .value_kind:     by_value
      - .offset:         88
        .size:           4
        .value_kind:     hidden_block_count_x
      - .offset:         92
        .size:           4
        .value_kind:     hidden_block_count_y
      - .offset:         96
        .size:           4
        .value_kind:     hidden_block_count_z
      - .offset:         100
        .size:           2
        .value_kind:     hidden_group_size_x
      - .offset:         102
        .size:           2
        .value_kind:     hidden_group_size_y
      - .offset:         104
        .size:           2
        .value_kind:     hidden_group_size_z
      - .offset:         106
        .size:           2
        .value_kind:     hidden_remainder_x
      - .offset:         108
        .size:           2
        .value_kind:     hidden_remainder_y
      - .offset:         110
        .size:           2
        .value_kind:     hidden_remainder_z
      - .offset:         128
        .size:           8
        .value_kind:     hidden_global_offset_x
      - .offset:         136
        .size:           8
        .value_kind:     hidden_global_offset_y
      - .offset:         144
        .size:           8
        .value_kind:     hidden_global_offset_z
      - .offset:         152
        .size:           2
        .value_kind:     hidden_grid_dims
    .group_segment_fixed_size: 22792
    .kernarg_segment_align: 8
    .kernarg_segment_size: 344
    .language:       OpenCL C
    .language_version:
      - 2
      - 0
    .max_flat_workgroup_size: 512
    .name:           _ZN7rocprim17ROCPRIM_400000_NS6detail17trampoline_kernelINS0_14default_configENS1_35radix_sort_onesweep_config_selectorIssEEZZNS1_29radix_sort_onesweep_iterationIS3_Lb0EN6thrust23THRUST_200600_302600_NS6detail15normal_iteratorINS8_10device_ptrIsEEEESD_SD_SD_jNS0_19identity_decomposerENS1_16block_id_wrapperIjLb0EEEEE10hipError_tT1_PNSt15iterator_traitsISI_E10value_typeET2_T3_PNSJ_ISO_E10value_typeET4_T5_PST_SU_PNS1_23onesweep_lookback_stateEbbT6_jjT7_P12ihipStream_tbENKUlT_T0_SI_SN_E_clISD_PsSD_S15_EEDaS11_S12_SI_SN_EUlS11_E_NS1_11comp_targetILNS1_3genE6ELNS1_11target_archE950ELNS1_3gpuE13ELNS1_3repE0EEENS1_47radix_sort_onesweep_sort_config_static_selectorELNS0_4arch9wavefront6targetE1EEEvSI_
    .private_segment_fixed_size: 0
    .sgpr_count:     106
    .sgpr_spill_count: 18
    .symbol:         _ZN7rocprim17ROCPRIM_400000_NS6detail17trampoline_kernelINS0_14default_configENS1_35radix_sort_onesweep_config_selectorIssEEZZNS1_29radix_sort_onesweep_iterationIS3_Lb0EN6thrust23THRUST_200600_302600_NS6detail15normal_iteratorINS8_10device_ptrIsEEEESD_SD_SD_jNS0_19identity_decomposerENS1_16block_id_wrapperIjLb0EEEEE10hipError_tT1_PNSt15iterator_traitsISI_E10value_typeET2_T3_PNSJ_ISO_E10value_typeET4_T5_PST_SU_PNS1_23onesweep_lookback_stateEbbT6_jjT7_P12ihipStream_tbENKUlT_T0_SI_SN_E_clISD_PsSD_S15_EEDaS11_S12_SI_SN_EUlS11_E_NS1_11comp_targetILNS1_3genE6ELNS1_11target_archE950ELNS1_3gpuE13ELNS1_3repE0EEENS1_47radix_sort_onesweep_sort_config_static_selectorELNS0_4arch9wavefront6targetE1EEEvSI_.kd
    .uniform_work_group_size: 1
    .uses_dynamic_stack: false
    .vgpr_count:     119
    .vgpr_spill_count: 0
    .wavefront_size: 64
  - .agpr_count:     0
    .args:
      - .offset:         0
        .size:           88
        .value_kind:     by_value
    .group_segment_fixed_size: 0
    .kernarg_segment_align: 8
    .kernarg_segment_size: 88
    .language:       OpenCL C
    .language_version:
      - 2
      - 0
    .max_flat_workgroup_size: 512
    .name:           _ZN7rocprim17ROCPRIM_400000_NS6detail17trampoline_kernelINS0_14default_configENS1_35radix_sort_onesweep_config_selectorIssEEZZNS1_29radix_sort_onesweep_iterationIS3_Lb0EN6thrust23THRUST_200600_302600_NS6detail15normal_iteratorINS8_10device_ptrIsEEEESD_SD_SD_jNS0_19identity_decomposerENS1_16block_id_wrapperIjLb0EEEEE10hipError_tT1_PNSt15iterator_traitsISI_E10value_typeET2_T3_PNSJ_ISO_E10value_typeET4_T5_PST_SU_PNS1_23onesweep_lookback_stateEbbT6_jjT7_P12ihipStream_tbENKUlT_T0_SI_SN_E_clISD_PsSD_S15_EEDaS11_S12_SI_SN_EUlS11_E_NS1_11comp_targetILNS1_3genE5ELNS1_11target_archE942ELNS1_3gpuE9ELNS1_3repE0EEENS1_47radix_sort_onesweep_sort_config_static_selectorELNS0_4arch9wavefront6targetE1EEEvSI_
    .private_segment_fixed_size: 0
    .sgpr_count:     6
    .sgpr_spill_count: 0
    .symbol:         _ZN7rocprim17ROCPRIM_400000_NS6detail17trampoline_kernelINS0_14default_configENS1_35radix_sort_onesweep_config_selectorIssEEZZNS1_29radix_sort_onesweep_iterationIS3_Lb0EN6thrust23THRUST_200600_302600_NS6detail15normal_iteratorINS8_10device_ptrIsEEEESD_SD_SD_jNS0_19identity_decomposerENS1_16block_id_wrapperIjLb0EEEEE10hipError_tT1_PNSt15iterator_traitsISI_E10value_typeET2_T3_PNSJ_ISO_E10value_typeET4_T5_PST_SU_PNS1_23onesweep_lookback_stateEbbT6_jjT7_P12ihipStream_tbENKUlT_T0_SI_SN_E_clISD_PsSD_S15_EEDaS11_S12_SI_SN_EUlS11_E_NS1_11comp_targetILNS1_3genE5ELNS1_11target_archE942ELNS1_3gpuE9ELNS1_3repE0EEENS1_47radix_sort_onesweep_sort_config_static_selectorELNS0_4arch9wavefront6targetE1EEEvSI_.kd
    .uniform_work_group_size: 1
    .uses_dynamic_stack: false
    .vgpr_count:     0
    .vgpr_spill_count: 0
    .wavefront_size: 64
  - .agpr_count:     0
    .args:
      - .offset:         0
        .size:           88
        .value_kind:     by_value
    .group_segment_fixed_size: 0
    .kernarg_segment_align: 8
    .kernarg_segment_size: 88
    .language:       OpenCL C
    .language_version:
      - 2
      - 0
    .max_flat_workgroup_size: 256
    .name:           _ZN7rocprim17ROCPRIM_400000_NS6detail17trampoline_kernelINS0_14default_configENS1_35radix_sort_onesweep_config_selectorIssEEZZNS1_29radix_sort_onesweep_iterationIS3_Lb0EN6thrust23THRUST_200600_302600_NS6detail15normal_iteratorINS8_10device_ptrIsEEEESD_SD_SD_jNS0_19identity_decomposerENS1_16block_id_wrapperIjLb0EEEEE10hipError_tT1_PNSt15iterator_traitsISI_E10value_typeET2_T3_PNSJ_ISO_E10value_typeET4_T5_PST_SU_PNS1_23onesweep_lookback_stateEbbT6_jjT7_P12ihipStream_tbENKUlT_T0_SI_SN_E_clISD_PsSD_S15_EEDaS11_S12_SI_SN_EUlS11_E_NS1_11comp_targetILNS1_3genE2ELNS1_11target_archE906ELNS1_3gpuE6ELNS1_3repE0EEENS1_47radix_sort_onesweep_sort_config_static_selectorELNS0_4arch9wavefront6targetE1EEEvSI_
    .private_segment_fixed_size: 0
    .sgpr_count:     6
    .sgpr_spill_count: 0
    .symbol:         _ZN7rocprim17ROCPRIM_400000_NS6detail17trampoline_kernelINS0_14default_configENS1_35radix_sort_onesweep_config_selectorIssEEZZNS1_29radix_sort_onesweep_iterationIS3_Lb0EN6thrust23THRUST_200600_302600_NS6detail15normal_iteratorINS8_10device_ptrIsEEEESD_SD_SD_jNS0_19identity_decomposerENS1_16block_id_wrapperIjLb0EEEEE10hipError_tT1_PNSt15iterator_traitsISI_E10value_typeET2_T3_PNSJ_ISO_E10value_typeET4_T5_PST_SU_PNS1_23onesweep_lookback_stateEbbT6_jjT7_P12ihipStream_tbENKUlT_T0_SI_SN_E_clISD_PsSD_S15_EEDaS11_S12_SI_SN_EUlS11_E_NS1_11comp_targetILNS1_3genE2ELNS1_11target_archE906ELNS1_3gpuE6ELNS1_3repE0EEENS1_47radix_sort_onesweep_sort_config_static_selectorELNS0_4arch9wavefront6targetE1EEEvSI_.kd
    .uniform_work_group_size: 1
    .uses_dynamic_stack: false
    .vgpr_count:     0
    .vgpr_spill_count: 0
    .wavefront_size: 64
  - .agpr_count:     0
    .args:
      - .offset:         0
        .size:           88
        .value_kind:     by_value
    .group_segment_fixed_size: 0
    .kernarg_segment_align: 8
    .kernarg_segment_size: 88
    .language:       OpenCL C
    .language_version:
      - 2
      - 0
    .max_flat_workgroup_size: 512
    .name:           _ZN7rocprim17ROCPRIM_400000_NS6detail17trampoline_kernelINS0_14default_configENS1_35radix_sort_onesweep_config_selectorIssEEZZNS1_29radix_sort_onesweep_iterationIS3_Lb0EN6thrust23THRUST_200600_302600_NS6detail15normal_iteratorINS8_10device_ptrIsEEEESD_SD_SD_jNS0_19identity_decomposerENS1_16block_id_wrapperIjLb0EEEEE10hipError_tT1_PNSt15iterator_traitsISI_E10value_typeET2_T3_PNSJ_ISO_E10value_typeET4_T5_PST_SU_PNS1_23onesweep_lookback_stateEbbT6_jjT7_P12ihipStream_tbENKUlT_T0_SI_SN_E_clISD_PsSD_S15_EEDaS11_S12_SI_SN_EUlS11_E_NS1_11comp_targetILNS1_3genE4ELNS1_11target_archE910ELNS1_3gpuE8ELNS1_3repE0EEENS1_47radix_sort_onesweep_sort_config_static_selectorELNS0_4arch9wavefront6targetE1EEEvSI_
    .private_segment_fixed_size: 0
    .sgpr_count:     6
    .sgpr_spill_count: 0
    .symbol:         _ZN7rocprim17ROCPRIM_400000_NS6detail17trampoline_kernelINS0_14default_configENS1_35radix_sort_onesweep_config_selectorIssEEZZNS1_29radix_sort_onesweep_iterationIS3_Lb0EN6thrust23THRUST_200600_302600_NS6detail15normal_iteratorINS8_10device_ptrIsEEEESD_SD_SD_jNS0_19identity_decomposerENS1_16block_id_wrapperIjLb0EEEEE10hipError_tT1_PNSt15iterator_traitsISI_E10value_typeET2_T3_PNSJ_ISO_E10value_typeET4_T5_PST_SU_PNS1_23onesweep_lookback_stateEbbT6_jjT7_P12ihipStream_tbENKUlT_T0_SI_SN_E_clISD_PsSD_S15_EEDaS11_S12_SI_SN_EUlS11_E_NS1_11comp_targetILNS1_3genE4ELNS1_11target_archE910ELNS1_3gpuE8ELNS1_3repE0EEENS1_47radix_sort_onesweep_sort_config_static_selectorELNS0_4arch9wavefront6targetE1EEEvSI_.kd
    .uniform_work_group_size: 1
    .uses_dynamic_stack: false
    .vgpr_count:     0
    .vgpr_spill_count: 0
    .wavefront_size: 64
  - .agpr_count:     0
    .args:
      - .offset:         0
        .size:           88
        .value_kind:     by_value
    .group_segment_fixed_size: 0
    .kernarg_segment_align: 8
    .kernarg_segment_size: 88
    .language:       OpenCL C
    .language_version:
      - 2
      - 0
    .max_flat_workgroup_size: 256
    .name:           _ZN7rocprim17ROCPRIM_400000_NS6detail17trampoline_kernelINS0_14default_configENS1_35radix_sort_onesweep_config_selectorIssEEZZNS1_29radix_sort_onesweep_iterationIS3_Lb0EN6thrust23THRUST_200600_302600_NS6detail15normal_iteratorINS8_10device_ptrIsEEEESD_SD_SD_jNS0_19identity_decomposerENS1_16block_id_wrapperIjLb0EEEEE10hipError_tT1_PNSt15iterator_traitsISI_E10value_typeET2_T3_PNSJ_ISO_E10value_typeET4_T5_PST_SU_PNS1_23onesweep_lookback_stateEbbT6_jjT7_P12ihipStream_tbENKUlT_T0_SI_SN_E_clISD_PsSD_S15_EEDaS11_S12_SI_SN_EUlS11_E_NS1_11comp_targetILNS1_3genE3ELNS1_11target_archE908ELNS1_3gpuE7ELNS1_3repE0EEENS1_47radix_sort_onesweep_sort_config_static_selectorELNS0_4arch9wavefront6targetE1EEEvSI_
    .private_segment_fixed_size: 0
    .sgpr_count:     6
    .sgpr_spill_count: 0
    .symbol:         _ZN7rocprim17ROCPRIM_400000_NS6detail17trampoline_kernelINS0_14default_configENS1_35radix_sort_onesweep_config_selectorIssEEZZNS1_29radix_sort_onesweep_iterationIS3_Lb0EN6thrust23THRUST_200600_302600_NS6detail15normal_iteratorINS8_10device_ptrIsEEEESD_SD_SD_jNS0_19identity_decomposerENS1_16block_id_wrapperIjLb0EEEEE10hipError_tT1_PNSt15iterator_traitsISI_E10value_typeET2_T3_PNSJ_ISO_E10value_typeET4_T5_PST_SU_PNS1_23onesweep_lookback_stateEbbT6_jjT7_P12ihipStream_tbENKUlT_T0_SI_SN_E_clISD_PsSD_S15_EEDaS11_S12_SI_SN_EUlS11_E_NS1_11comp_targetILNS1_3genE3ELNS1_11target_archE908ELNS1_3gpuE7ELNS1_3repE0EEENS1_47radix_sort_onesweep_sort_config_static_selectorELNS0_4arch9wavefront6targetE1EEEvSI_.kd
    .uniform_work_group_size: 1
    .uses_dynamic_stack: false
    .vgpr_count:     0
    .vgpr_spill_count: 0
    .wavefront_size: 64
  - .agpr_count:     0
    .args:
      - .offset:         0
        .size:           88
        .value_kind:     by_value
    .group_segment_fixed_size: 0
    .kernarg_segment_align: 8
    .kernarg_segment_size: 88
    .language:       OpenCL C
    .language_version:
      - 2
      - 0
    .max_flat_workgroup_size: 512
    .name:           _ZN7rocprim17ROCPRIM_400000_NS6detail17trampoline_kernelINS0_14default_configENS1_35radix_sort_onesweep_config_selectorIssEEZZNS1_29radix_sort_onesweep_iterationIS3_Lb0EN6thrust23THRUST_200600_302600_NS6detail15normal_iteratorINS8_10device_ptrIsEEEESD_SD_SD_jNS0_19identity_decomposerENS1_16block_id_wrapperIjLb0EEEEE10hipError_tT1_PNSt15iterator_traitsISI_E10value_typeET2_T3_PNSJ_ISO_E10value_typeET4_T5_PST_SU_PNS1_23onesweep_lookback_stateEbbT6_jjT7_P12ihipStream_tbENKUlT_T0_SI_SN_E_clISD_PsSD_S15_EEDaS11_S12_SI_SN_EUlS11_E_NS1_11comp_targetILNS1_3genE10ELNS1_11target_archE1201ELNS1_3gpuE5ELNS1_3repE0EEENS1_47radix_sort_onesweep_sort_config_static_selectorELNS0_4arch9wavefront6targetE1EEEvSI_
    .private_segment_fixed_size: 0
    .sgpr_count:     6
    .sgpr_spill_count: 0
    .symbol:         _ZN7rocprim17ROCPRIM_400000_NS6detail17trampoline_kernelINS0_14default_configENS1_35radix_sort_onesweep_config_selectorIssEEZZNS1_29radix_sort_onesweep_iterationIS3_Lb0EN6thrust23THRUST_200600_302600_NS6detail15normal_iteratorINS8_10device_ptrIsEEEESD_SD_SD_jNS0_19identity_decomposerENS1_16block_id_wrapperIjLb0EEEEE10hipError_tT1_PNSt15iterator_traitsISI_E10value_typeET2_T3_PNSJ_ISO_E10value_typeET4_T5_PST_SU_PNS1_23onesweep_lookback_stateEbbT6_jjT7_P12ihipStream_tbENKUlT_T0_SI_SN_E_clISD_PsSD_S15_EEDaS11_S12_SI_SN_EUlS11_E_NS1_11comp_targetILNS1_3genE10ELNS1_11target_archE1201ELNS1_3gpuE5ELNS1_3repE0EEENS1_47radix_sort_onesweep_sort_config_static_selectorELNS0_4arch9wavefront6targetE1EEEvSI_.kd
    .uniform_work_group_size: 1
    .uses_dynamic_stack: false
    .vgpr_count:     0
    .vgpr_spill_count: 0
    .wavefront_size: 64
  - .agpr_count:     0
    .args:
      - .offset:         0
        .size:           88
        .value_kind:     by_value
    .group_segment_fixed_size: 0
    .kernarg_segment_align: 8
    .kernarg_segment_size: 88
    .language:       OpenCL C
    .language_version:
      - 2
      - 0
    .max_flat_workgroup_size: 1024
    .name:           _ZN7rocprim17ROCPRIM_400000_NS6detail17trampoline_kernelINS0_14default_configENS1_35radix_sort_onesweep_config_selectorIssEEZZNS1_29radix_sort_onesweep_iterationIS3_Lb0EN6thrust23THRUST_200600_302600_NS6detail15normal_iteratorINS8_10device_ptrIsEEEESD_SD_SD_jNS0_19identity_decomposerENS1_16block_id_wrapperIjLb0EEEEE10hipError_tT1_PNSt15iterator_traitsISI_E10value_typeET2_T3_PNSJ_ISO_E10value_typeET4_T5_PST_SU_PNS1_23onesweep_lookback_stateEbbT6_jjT7_P12ihipStream_tbENKUlT_T0_SI_SN_E_clISD_PsSD_S15_EEDaS11_S12_SI_SN_EUlS11_E_NS1_11comp_targetILNS1_3genE9ELNS1_11target_archE1100ELNS1_3gpuE3ELNS1_3repE0EEENS1_47radix_sort_onesweep_sort_config_static_selectorELNS0_4arch9wavefront6targetE1EEEvSI_
    .private_segment_fixed_size: 0
    .sgpr_count:     6
    .sgpr_spill_count: 0
    .symbol:         _ZN7rocprim17ROCPRIM_400000_NS6detail17trampoline_kernelINS0_14default_configENS1_35radix_sort_onesweep_config_selectorIssEEZZNS1_29radix_sort_onesweep_iterationIS3_Lb0EN6thrust23THRUST_200600_302600_NS6detail15normal_iteratorINS8_10device_ptrIsEEEESD_SD_SD_jNS0_19identity_decomposerENS1_16block_id_wrapperIjLb0EEEEE10hipError_tT1_PNSt15iterator_traitsISI_E10value_typeET2_T3_PNSJ_ISO_E10value_typeET4_T5_PST_SU_PNS1_23onesweep_lookback_stateEbbT6_jjT7_P12ihipStream_tbENKUlT_T0_SI_SN_E_clISD_PsSD_S15_EEDaS11_S12_SI_SN_EUlS11_E_NS1_11comp_targetILNS1_3genE9ELNS1_11target_archE1100ELNS1_3gpuE3ELNS1_3repE0EEENS1_47radix_sort_onesweep_sort_config_static_selectorELNS0_4arch9wavefront6targetE1EEEvSI_.kd
    .uniform_work_group_size: 1
    .uses_dynamic_stack: false
    .vgpr_count:     0
    .vgpr_spill_count: 0
    .wavefront_size: 64
  - .agpr_count:     0
    .args:
      - .offset:         0
        .size:           88
        .value_kind:     by_value
    .group_segment_fixed_size: 0
    .kernarg_segment_align: 8
    .kernarg_segment_size: 88
    .language:       OpenCL C
    .language_version:
      - 2
      - 0
    .max_flat_workgroup_size: 1024
    .name:           _ZN7rocprim17ROCPRIM_400000_NS6detail17trampoline_kernelINS0_14default_configENS1_35radix_sort_onesweep_config_selectorIssEEZZNS1_29radix_sort_onesweep_iterationIS3_Lb0EN6thrust23THRUST_200600_302600_NS6detail15normal_iteratorINS8_10device_ptrIsEEEESD_SD_SD_jNS0_19identity_decomposerENS1_16block_id_wrapperIjLb0EEEEE10hipError_tT1_PNSt15iterator_traitsISI_E10value_typeET2_T3_PNSJ_ISO_E10value_typeET4_T5_PST_SU_PNS1_23onesweep_lookback_stateEbbT6_jjT7_P12ihipStream_tbENKUlT_T0_SI_SN_E_clISD_PsSD_S15_EEDaS11_S12_SI_SN_EUlS11_E_NS1_11comp_targetILNS1_3genE8ELNS1_11target_archE1030ELNS1_3gpuE2ELNS1_3repE0EEENS1_47radix_sort_onesweep_sort_config_static_selectorELNS0_4arch9wavefront6targetE1EEEvSI_
    .private_segment_fixed_size: 0
    .sgpr_count:     6
    .sgpr_spill_count: 0
    .symbol:         _ZN7rocprim17ROCPRIM_400000_NS6detail17trampoline_kernelINS0_14default_configENS1_35radix_sort_onesweep_config_selectorIssEEZZNS1_29radix_sort_onesweep_iterationIS3_Lb0EN6thrust23THRUST_200600_302600_NS6detail15normal_iteratorINS8_10device_ptrIsEEEESD_SD_SD_jNS0_19identity_decomposerENS1_16block_id_wrapperIjLb0EEEEE10hipError_tT1_PNSt15iterator_traitsISI_E10value_typeET2_T3_PNSJ_ISO_E10value_typeET4_T5_PST_SU_PNS1_23onesweep_lookback_stateEbbT6_jjT7_P12ihipStream_tbENKUlT_T0_SI_SN_E_clISD_PsSD_S15_EEDaS11_S12_SI_SN_EUlS11_E_NS1_11comp_targetILNS1_3genE8ELNS1_11target_archE1030ELNS1_3gpuE2ELNS1_3repE0EEENS1_47radix_sort_onesweep_sort_config_static_selectorELNS0_4arch9wavefront6targetE1EEEvSI_.kd
    .uniform_work_group_size: 1
    .uses_dynamic_stack: false
    .vgpr_count:     0
    .vgpr_spill_count: 0
    .wavefront_size: 64
  - .agpr_count:     0
    .args:
      - .offset:         0
        .size:           88
        .value_kind:     by_value
    .group_segment_fixed_size: 0
    .kernarg_segment_align: 8
    .kernarg_segment_size: 88
    .language:       OpenCL C
    .language_version:
      - 2
      - 0
    .max_flat_workgroup_size: 256
    .name:           _ZN7rocprim17ROCPRIM_400000_NS6detail17trampoline_kernelINS0_14default_configENS1_35radix_sort_onesweep_config_selectorIssEEZZNS1_29radix_sort_onesweep_iterationIS3_Lb0EN6thrust23THRUST_200600_302600_NS6detail15normal_iteratorINS8_10device_ptrIsEEEESD_SD_SD_jNS0_19identity_decomposerENS1_16block_id_wrapperIjLb0EEEEE10hipError_tT1_PNSt15iterator_traitsISI_E10value_typeET2_T3_PNSJ_ISO_E10value_typeET4_T5_PST_SU_PNS1_23onesweep_lookback_stateEbbT6_jjT7_P12ihipStream_tbENKUlT_T0_SI_SN_E_clIPsSD_S15_SD_EEDaS11_S12_SI_SN_EUlS11_E_NS1_11comp_targetILNS1_3genE0ELNS1_11target_archE4294967295ELNS1_3gpuE0ELNS1_3repE0EEENS1_47radix_sort_onesweep_sort_config_static_selectorELNS0_4arch9wavefront6targetE1EEEvSI_
    .private_segment_fixed_size: 0
    .sgpr_count:     6
    .sgpr_spill_count: 0
    .symbol:         _ZN7rocprim17ROCPRIM_400000_NS6detail17trampoline_kernelINS0_14default_configENS1_35radix_sort_onesweep_config_selectorIssEEZZNS1_29radix_sort_onesweep_iterationIS3_Lb0EN6thrust23THRUST_200600_302600_NS6detail15normal_iteratorINS8_10device_ptrIsEEEESD_SD_SD_jNS0_19identity_decomposerENS1_16block_id_wrapperIjLb0EEEEE10hipError_tT1_PNSt15iterator_traitsISI_E10value_typeET2_T3_PNSJ_ISO_E10value_typeET4_T5_PST_SU_PNS1_23onesweep_lookback_stateEbbT6_jjT7_P12ihipStream_tbENKUlT_T0_SI_SN_E_clIPsSD_S15_SD_EEDaS11_S12_SI_SN_EUlS11_E_NS1_11comp_targetILNS1_3genE0ELNS1_11target_archE4294967295ELNS1_3gpuE0ELNS1_3repE0EEENS1_47radix_sort_onesweep_sort_config_static_selectorELNS0_4arch9wavefront6targetE1EEEvSI_.kd
    .uniform_work_group_size: 1
    .uses_dynamic_stack: false
    .vgpr_count:     0
    .vgpr_spill_count: 0
    .wavefront_size: 64
  - .agpr_count:     0
    .args:
      - .offset:         0
        .size:           88
        .value_kind:     by_value
      - .offset:         88
        .size:           4
        .value_kind:     hidden_block_count_x
      - .offset:         92
        .size:           4
        .value_kind:     hidden_block_count_y
      - .offset:         96
        .size:           4
        .value_kind:     hidden_block_count_z
      - .offset:         100
        .size:           2
        .value_kind:     hidden_group_size_x
      - .offset:         102
        .size:           2
        .value_kind:     hidden_group_size_y
      - .offset:         104
        .size:           2
        .value_kind:     hidden_group_size_z
      - .offset:         106
        .size:           2
        .value_kind:     hidden_remainder_x
      - .offset:         108
        .size:           2
        .value_kind:     hidden_remainder_y
      - .offset:         110
        .size:           2
        .value_kind:     hidden_remainder_z
      - .offset:         128
        .size:           8
        .value_kind:     hidden_global_offset_x
      - .offset:         136
        .size:           8
        .value_kind:     hidden_global_offset_y
      - .offset:         144
        .size:           8
        .value_kind:     hidden_global_offset_z
      - .offset:         152
        .size:           2
        .value_kind:     hidden_grid_dims
    .group_segment_fixed_size: 22792
    .kernarg_segment_align: 8
    .kernarg_segment_size: 344
    .language:       OpenCL C
    .language_version:
      - 2
      - 0
    .max_flat_workgroup_size: 512
    .name:           _ZN7rocprim17ROCPRIM_400000_NS6detail17trampoline_kernelINS0_14default_configENS1_35radix_sort_onesweep_config_selectorIssEEZZNS1_29radix_sort_onesweep_iterationIS3_Lb0EN6thrust23THRUST_200600_302600_NS6detail15normal_iteratorINS8_10device_ptrIsEEEESD_SD_SD_jNS0_19identity_decomposerENS1_16block_id_wrapperIjLb0EEEEE10hipError_tT1_PNSt15iterator_traitsISI_E10value_typeET2_T3_PNSJ_ISO_E10value_typeET4_T5_PST_SU_PNS1_23onesweep_lookback_stateEbbT6_jjT7_P12ihipStream_tbENKUlT_T0_SI_SN_E_clIPsSD_S15_SD_EEDaS11_S12_SI_SN_EUlS11_E_NS1_11comp_targetILNS1_3genE6ELNS1_11target_archE950ELNS1_3gpuE13ELNS1_3repE0EEENS1_47radix_sort_onesweep_sort_config_static_selectorELNS0_4arch9wavefront6targetE1EEEvSI_
    .private_segment_fixed_size: 0
    .sgpr_count:     106
    .sgpr_spill_count: 18
    .symbol:         _ZN7rocprim17ROCPRIM_400000_NS6detail17trampoline_kernelINS0_14default_configENS1_35radix_sort_onesweep_config_selectorIssEEZZNS1_29radix_sort_onesweep_iterationIS3_Lb0EN6thrust23THRUST_200600_302600_NS6detail15normal_iteratorINS8_10device_ptrIsEEEESD_SD_SD_jNS0_19identity_decomposerENS1_16block_id_wrapperIjLb0EEEEE10hipError_tT1_PNSt15iterator_traitsISI_E10value_typeET2_T3_PNSJ_ISO_E10value_typeET4_T5_PST_SU_PNS1_23onesweep_lookback_stateEbbT6_jjT7_P12ihipStream_tbENKUlT_T0_SI_SN_E_clIPsSD_S15_SD_EEDaS11_S12_SI_SN_EUlS11_E_NS1_11comp_targetILNS1_3genE6ELNS1_11target_archE950ELNS1_3gpuE13ELNS1_3repE0EEENS1_47radix_sort_onesweep_sort_config_static_selectorELNS0_4arch9wavefront6targetE1EEEvSI_.kd
    .uniform_work_group_size: 1
    .uses_dynamic_stack: false
    .vgpr_count:     119
    .vgpr_spill_count: 0
    .wavefront_size: 64
  - .agpr_count:     0
    .args:
      - .offset:         0
        .size:           88
        .value_kind:     by_value
    .group_segment_fixed_size: 0
    .kernarg_segment_align: 8
    .kernarg_segment_size: 88
    .language:       OpenCL C
    .language_version:
      - 2
      - 0
    .max_flat_workgroup_size: 512
    .name:           _ZN7rocprim17ROCPRIM_400000_NS6detail17trampoline_kernelINS0_14default_configENS1_35radix_sort_onesweep_config_selectorIssEEZZNS1_29radix_sort_onesweep_iterationIS3_Lb0EN6thrust23THRUST_200600_302600_NS6detail15normal_iteratorINS8_10device_ptrIsEEEESD_SD_SD_jNS0_19identity_decomposerENS1_16block_id_wrapperIjLb0EEEEE10hipError_tT1_PNSt15iterator_traitsISI_E10value_typeET2_T3_PNSJ_ISO_E10value_typeET4_T5_PST_SU_PNS1_23onesweep_lookback_stateEbbT6_jjT7_P12ihipStream_tbENKUlT_T0_SI_SN_E_clIPsSD_S15_SD_EEDaS11_S12_SI_SN_EUlS11_E_NS1_11comp_targetILNS1_3genE5ELNS1_11target_archE942ELNS1_3gpuE9ELNS1_3repE0EEENS1_47radix_sort_onesweep_sort_config_static_selectorELNS0_4arch9wavefront6targetE1EEEvSI_
    .private_segment_fixed_size: 0
    .sgpr_count:     6
    .sgpr_spill_count: 0
    .symbol:         _ZN7rocprim17ROCPRIM_400000_NS6detail17trampoline_kernelINS0_14default_configENS1_35radix_sort_onesweep_config_selectorIssEEZZNS1_29radix_sort_onesweep_iterationIS3_Lb0EN6thrust23THRUST_200600_302600_NS6detail15normal_iteratorINS8_10device_ptrIsEEEESD_SD_SD_jNS0_19identity_decomposerENS1_16block_id_wrapperIjLb0EEEEE10hipError_tT1_PNSt15iterator_traitsISI_E10value_typeET2_T3_PNSJ_ISO_E10value_typeET4_T5_PST_SU_PNS1_23onesweep_lookback_stateEbbT6_jjT7_P12ihipStream_tbENKUlT_T0_SI_SN_E_clIPsSD_S15_SD_EEDaS11_S12_SI_SN_EUlS11_E_NS1_11comp_targetILNS1_3genE5ELNS1_11target_archE942ELNS1_3gpuE9ELNS1_3repE0EEENS1_47radix_sort_onesweep_sort_config_static_selectorELNS0_4arch9wavefront6targetE1EEEvSI_.kd
    .uniform_work_group_size: 1
    .uses_dynamic_stack: false
    .vgpr_count:     0
    .vgpr_spill_count: 0
    .wavefront_size: 64
  - .agpr_count:     0
    .args:
      - .offset:         0
        .size:           88
        .value_kind:     by_value
    .group_segment_fixed_size: 0
    .kernarg_segment_align: 8
    .kernarg_segment_size: 88
    .language:       OpenCL C
    .language_version:
      - 2
      - 0
    .max_flat_workgroup_size: 256
    .name:           _ZN7rocprim17ROCPRIM_400000_NS6detail17trampoline_kernelINS0_14default_configENS1_35radix_sort_onesweep_config_selectorIssEEZZNS1_29radix_sort_onesweep_iterationIS3_Lb0EN6thrust23THRUST_200600_302600_NS6detail15normal_iteratorINS8_10device_ptrIsEEEESD_SD_SD_jNS0_19identity_decomposerENS1_16block_id_wrapperIjLb0EEEEE10hipError_tT1_PNSt15iterator_traitsISI_E10value_typeET2_T3_PNSJ_ISO_E10value_typeET4_T5_PST_SU_PNS1_23onesweep_lookback_stateEbbT6_jjT7_P12ihipStream_tbENKUlT_T0_SI_SN_E_clIPsSD_S15_SD_EEDaS11_S12_SI_SN_EUlS11_E_NS1_11comp_targetILNS1_3genE2ELNS1_11target_archE906ELNS1_3gpuE6ELNS1_3repE0EEENS1_47radix_sort_onesweep_sort_config_static_selectorELNS0_4arch9wavefront6targetE1EEEvSI_
    .private_segment_fixed_size: 0
    .sgpr_count:     6
    .sgpr_spill_count: 0
    .symbol:         _ZN7rocprim17ROCPRIM_400000_NS6detail17trampoline_kernelINS0_14default_configENS1_35radix_sort_onesweep_config_selectorIssEEZZNS1_29radix_sort_onesweep_iterationIS3_Lb0EN6thrust23THRUST_200600_302600_NS6detail15normal_iteratorINS8_10device_ptrIsEEEESD_SD_SD_jNS0_19identity_decomposerENS1_16block_id_wrapperIjLb0EEEEE10hipError_tT1_PNSt15iterator_traitsISI_E10value_typeET2_T3_PNSJ_ISO_E10value_typeET4_T5_PST_SU_PNS1_23onesweep_lookback_stateEbbT6_jjT7_P12ihipStream_tbENKUlT_T0_SI_SN_E_clIPsSD_S15_SD_EEDaS11_S12_SI_SN_EUlS11_E_NS1_11comp_targetILNS1_3genE2ELNS1_11target_archE906ELNS1_3gpuE6ELNS1_3repE0EEENS1_47radix_sort_onesweep_sort_config_static_selectorELNS0_4arch9wavefront6targetE1EEEvSI_.kd
    .uniform_work_group_size: 1
    .uses_dynamic_stack: false
    .vgpr_count:     0
    .vgpr_spill_count: 0
    .wavefront_size: 64
  - .agpr_count:     0
    .args:
      - .offset:         0
        .size:           88
        .value_kind:     by_value
    .group_segment_fixed_size: 0
    .kernarg_segment_align: 8
    .kernarg_segment_size: 88
    .language:       OpenCL C
    .language_version:
      - 2
      - 0
    .max_flat_workgroup_size: 512
    .name:           _ZN7rocprim17ROCPRIM_400000_NS6detail17trampoline_kernelINS0_14default_configENS1_35radix_sort_onesweep_config_selectorIssEEZZNS1_29radix_sort_onesweep_iterationIS3_Lb0EN6thrust23THRUST_200600_302600_NS6detail15normal_iteratorINS8_10device_ptrIsEEEESD_SD_SD_jNS0_19identity_decomposerENS1_16block_id_wrapperIjLb0EEEEE10hipError_tT1_PNSt15iterator_traitsISI_E10value_typeET2_T3_PNSJ_ISO_E10value_typeET4_T5_PST_SU_PNS1_23onesweep_lookback_stateEbbT6_jjT7_P12ihipStream_tbENKUlT_T0_SI_SN_E_clIPsSD_S15_SD_EEDaS11_S12_SI_SN_EUlS11_E_NS1_11comp_targetILNS1_3genE4ELNS1_11target_archE910ELNS1_3gpuE8ELNS1_3repE0EEENS1_47radix_sort_onesweep_sort_config_static_selectorELNS0_4arch9wavefront6targetE1EEEvSI_
    .private_segment_fixed_size: 0
    .sgpr_count:     6
    .sgpr_spill_count: 0
    .symbol:         _ZN7rocprim17ROCPRIM_400000_NS6detail17trampoline_kernelINS0_14default_configENS1_35radix_sort_onesweep_config_selectorIssEEZZNS1_29radix_sort_onesweep_iterationIS3_Lb0EN6thrust23THRUST_200600_302600_NS6detail15normal_iteratorINS8_10device_ptrIsEEEESD_SD_SD_jNS0_19identity_decomposerENS1_16block_id_wrapperIjLb0EEEEE10hipError_tT1_PNSt15iterator_traitsISI_E10value_typeET2_T3_PNSJ_ISO_E10value_typeET4_T5_PST_SU_PNS1_23onesweep_lookback_stateEbbT6_jjT7_P12ihipStream_tbENKUlT_T0_SI_SN_E_clIPsSD_S15_SD_EEDaS11_S12_SI_SN_EUlS11_E_NS1_11comp_targetILNS1_3genE4ELNS1_11target_archE910ELNS1_3gpuE8ELNS1_3repE0EEENS1_47radix_sort_onesweep_sort_config_static_selectorELNS0_4arch9wavefront6targetE1EEEvSI_.kd
    .uniform_work_group_size: 1
    .uses_dynamic_stack: false
    .vgpr_count:     0
    .vgpr_spill_count: 0
    .wavefront_size: 64
  - .agpr_count:     0
    .args:
      - .offset:         0
        .size:           88
        .value_kind:     by_value
    .group_segment_fixed_size: 0
    .kernarg_segment_align: 8
    .kernarg_segment_size: 88
    .language:       OpenCL C
    .language_version:
      - 2
      - 0
    .max_flat_workgroup_size: 256
    .name:           _ZN7rocprim17ROCPRIM_400000_NS6detail17trampoline_kernelINS0_14default_configENS1_35radix_sort_onesweep_config_selectorIssEEZZNS1_29radix_sort_onesweep_iterationIS3_Lb0EN6thrust23THRUST_200600_302600_NS6detail15normal_iteratorINS8_10device_ptrIsEEEESD_SD_SD_jNS0_19identity_decomposerENS1_16block_id_wrapperIjLb0EEEEE10hipError_tT1_PNSt15iterator_traitsISI_E10value_typeET2_T3_PNSJ_ISO_E10value_typeET4_T5_PST_SU_PNS1_23onesweep_lookback_stateEbbT6_jjT7_P12ihipStream_tbENKUlT_T0_SI_SN_E_clIPsSD_S15_SD_EEDaS11_S12_SI_SN_EUlS11_E_NS1_11comp_targetILNS1_3genE3ELNS1_11target_archE908ELNS1_3gpuE7ELNS1_3repE0EEENS1_47radix_sort_onesweep_sort_config_static_selectorELNS0_4arch9wavefront6targetE1EEEvSI_
    .private_segment_fixed_size: 0
    .sgpr_count:     6
    .sgpr_spill_count: 0
    .symbol:         _ZN7rocprim17ROCPRIM_400000_NS6detail17trampoline_kernelINS0_14default_configENS1_35radix_sort_onesweep_config_selectorIssEEZZNS1_29radix_sort_onesweep_iterationIS3_Lb0EN6thrust23THRUST_200600_302600_NS6detail15normal_iteratorINS8_10device_ptrIsEEEESD_SD_SD_jNS0_19identity_decomposerENS1_16block_id_wrapperIjLb0EEEEE10hipError_tT1_PNSt15iterator_traitsISI_E10value_typeET2_T3_PNSJ_ISO_E10value_typeET4_T5_PST_SU_PNS1_23onesweep_lookback_stateEbbT6_jjT7_P12ihipStream_tbENKUlT_T0_SI_SN_E_clIPsSD_S15_SD_EEDaS11_S12_SI_SN_EUlS11_E_NS1_11comp_targetILNS1_3genE3ELNS1_11target_archE908ELNS1_3gpuE7ELNS1_3repE0EEENS1_47radix_sort_onesweep_sort_config_static_selectorELNS0_4arch9wavefront6targetE1EEEvSI_.kd
    .uniform_work_group_size: 1
    .uses_dynamic_stack: false
    .vgpr_count:     0
    .vgpr_spill_count: 0
    .wavefront_size: 64
  - .agpr_count:     0
    .args:
      - .offset:         0
        .size:           88
        .value_kind:     by_value
    .group_segment_fixed_size: 0
    .kernarg_segment_align: 8
    .kernarg_segment_size: 88
    .language:       OpenCL C
    .language_version:
      - 2
      - 0
    .max_flat_workgroup_size: 512
    .name:           _ZN7rocprim17ROCPRIM_400000_NS6detail17trampoline_kernelINS0_14default_configENS1_35radix_sort_onesweep_config_selectorIssEEZZNS1_29radix_sort_onesweep_iterationIS3_Lb0EN6thrust23THRUST_200600_302600_NS6detail15normal_iteratorINS8_10device_ptrIsEEEESD_SD_SD_jNS0_19identity_decomposerENS1_16block_id_wrapperIjLb0EEEEE10hipError_tT1_PNSt15iterator_traitsISI_E10value_typeET2_T3_PNSJ_ISO_E10value_typeET4_T5_PST_SU_PNS1_23onesweep_lookback_stateEbbT6_jjT7_P12ihipStream_tbENKUlT_T0_SI_SN_E_clIPsSD_S15_SD_EEDaS11_S12_SI_SN_EUlS11_E_NS1_11comp_targetILNS1_3genE10ELNS1_11target_archE1201ELNS1_3gpuE5ELNS1_3repE0EEENS1_47radix_sort_onesweep_sort_config_static_selectorELNS0_4arch9wavefront6targetE1EEEvSI_
    .private_segment_fixed_size: 0
    .sgpr_count:     6
    .sgpr_spill_count: 0
    .symbol:         _ZN7rocprim17ROCPRIM_400000_NS6detail17trampoline_kernelINS0_14default_configENS1_35radix_sort_onesweep_config_selectorIssEEZZNS1_29radix_sort_onesweep_iterationIS3_Lb0EN6thrust23THRUST_200600_302600_NS6detail15normal_iteratorINS8_10device_ptrIsEEEESD_SD_SD_jNS0_19identity_decomposerENS1_16block_id_wrapperIjLb0EEEEE10hipError_tT1_PNSt15iterator_traitsISI_E10value_typeET2_T3_PNSJ_ISO_E10value_typeET4_T5_PST_SU_PNS1_23onesweep_lookback_stateEbbT6_jjT7_P12ihipStream_tbENKUlT_T0_SI_SN_E_clIPsSD_S15_SD_EEDaS11_S12_SI_SN_EUlS11_E_NS1_11comp_targetILNS1_3genE10ELNS1_11target_archE1201ELNS1_3gpuE5ELNS1_3repE0EEENS1_47radix_sort_onesweep_sort_config_static_selectorELNS0_4arch9wavefront6targetE1EEEvSI_.kd
    .uniform_work_group_size: 1
    .uses_dynamic_stack: false
    .vgpr_count:     0
    .vgpr_spill_count: 0
    .wavefront_size: 64
  - .agpr_count:     0
    .args:
      - .offset:         0
        .size:           88
        .value_kind:     by_value
    .group_segment_fixed_size: 0
    .kernarg_segment_align: 8
    .kernarg_segment_size: 88
    .language:       OpenCL C
    .language_version:
      - 2
      - 0
    .max_flat_workgroup_size: 1024
    .name:           _ZN7rocprim17ROCPRIM_400000_NS6detail17trampoline_kernelINS0_14default_configENS1_35radix_sort_onesweep_config_selectorIssEEZZNS1_29radix_sort_onesweep_iterationIS3_Lb0EN6thrust23THRUST_200600_302600_NS6detail15normal_iteratorINS8_10device_ptrIsEEEESD_SD_SD_jNS0_19identity_decomposerENS1_16block_id_wrapperIjLb0EEEEE10hipError_tT1_PNSt15iterator_traitsISI_E10value_typeET2_T3_PNSJ_ISO_E10value_typeET4_T5_PST_SU_PNS1_23onesweep_lookback_stateEbbT6_jjT7_P12ihipStream_tbENKUlT_T0_SI_SN_E_clIPsSD_S15_SD_EEDaS11_S12_SI_SN_EUlS11_E_NS1_11comp_targetILNS1_3genE9ELNS1_11target_archE1100ELNS1_3gpuE3ELNS1_3repE0EEENS1_47radix_sort_onesweep_sort_config_static_selectorELNS0_4arch9wavefront6targetE1EEEvSI_
    .private_segment_fixed_size: 0
    .sgpr_count:     6
    .sgpr_spill_count: 0
    .symbol:         _ZN7rocprim17ROCPRIM_400000_NS6detail17trampoline_kernelINS0_14default_configENS1_35radix_sort_onesweep_config_selectorIssEEZZNS1_29radix_sort_onesweep_iterationIS3_Lb0EN6thrust23THRUST_200600_302600_NS6detail15normal_iteratorINS8_10device_ptrIsEEEESD_SD_SD_jNS0_19identity_decomposerENS1_16block_id_wrapperIjLb0EEEEE10hipError_tT1_PNSt15iterator_traitsISI_E10value_typeET2_T3_PNSJ_ISO_E10value_typeET4_T5_PST_SU_PNS1_23onesweep_lookback_stateEbbT6_jjT7_P12ihipStream_tbENKUlT_T0_SI_SN_E_clIPsSD_S15_SD_EEDaS11_S12_SI_SN_EUlS11_E_NS1_11comp_targetILNS1_3genE9ELNS1_11target_archE1100ELNS1_3gpuE3ELNS1_3repE0EEENS1_47radix_sort_onesweep_sort_config_static_selectorELNS0_4arch9wavefront6targetE1EEEvSI_.kd
    .uniform_work_group_size: 1
    .uses_dynamic_stack: false
    .vgpr_count:     0
    .vgpr_spill_count: 0
    .wavefront_size: 64
  - .agpr_count:     0
    .args:
      - .offset:         0
        .size:           88
        .value_kind:     by_value
    .group_segment_fixed_size: 0
    .kernarg_segment_align: 8
    .kernarg_segment_size: 88
    .language:       OpenCL C
    .language_version:
      - 2
      - 0
    .max_flat_workgroup_size: 1024
    .name:           _ZN7rocprim17ROCPRIM_400000_NS6detail17trampoline_kernelINS0_14default_configENS1_35radix_sort_onesweep_config_selectorIssEEZZNS1_29radix_sort_onesweep_iterationIS3_Lb0EN6thrust23THRUST_200600_302600_NS6detail15normal_iteratorINS8_10device_ptrIsEEEESD_SD_SD_jNS0_19identity_decomposerENS1_16block_id_wrapperIjLb0EEEEE10hipError_tT1_PNSt15iterator_traitsISI_E10value_typeET2_T3_PNSJ_ISO_E10value_typeET4_T5_PST_SU_PNS1_23onesweep_lookback_stateEbbT6_jjT7_P12ihipStream_tbENKUlT_T0_SI_SN_E_clIPsSD_S15_SD_EEDaS11_S12_SI_SN_EUlS11_E_NS1_11comp_targetILNS1_3genE8ELNS1_11target_archE1030ELNS1_3gpuE2ELNS1_3repE0EEENS1_47radix_sort_onesweep_sort_config_static_selectorELNS0_4arch9wavefront6targetE1EEEvSI_
    .private_segment_fixed_size: 0
    .sgpr_count:     6
    .sgpr_spill_count: 0
    .symbol:         _ZN7rocprim17ROCPRIM_400000_NS6detail17trampoline_kernelINS0_14default_configENS1_35radix_sort_onesweep_config_selectorIssEEZZNS1_29radix_sort_onesweep_iterationIS3_Lb0EN6thrust23THRUST_200600_302600_NS6detail15normal_iteratorINS8_10device_ptrIsEEEESD_SD_SD_jNS0_19identity_decomposerENS1_16block_id_wrapperIjLb0EEEEE10hipError_tT1_PNSt15iterator_traitsISI_E10value_typeET2_T3_PNSJ_ISO_E10value_typeET4_T5_PST_SU_PNS1_23onesweep_lookback_stateEbbT6_jjT7_P12ihipStream_tbENKUlT_T0_SI_SN_E_clIPsSD_S15_SD_EEDaS11_S12_SI_SN_EUlS11_E_NS1_11comp_targetILNS1_3genE8ELNS1_11target_archE1030ELNS1_3gpuE2ELNS1_3repE0EEENS1_47radix_sort_onesweep_sort_config_static_selectorELNS0_4arch9wavefront6targetE1EEEvSI_.kd
    .uniform_work_group_size: 1
    .uses_dynamic_stack: false
    .vgpr_count:     0
    .vgpr_spill_count: 0
    .wavefront_size: 64
  - .agpr_count:     0
    .args:
      - .offset:         0
        .size:           104
        .value_kind:     by_value
    .group_segment_fixed_size: 64
    .kernarg_segment_align: 8
    .kernarg_segment_size: 104
    .language:       OpenCL C
    .language_version:
      - 2
      - 0
    .max_flat_workgroup_size: 128
    .name:           _ZN7rocprim17ROCPRIM_400000_NS6detail17trampoline_kernelINS0_14default_configENS1_22reduce_config_selectorIN6thrust23THRUST_200600_302600_NS5tupleIblNS6_9null_typeES8_S8_S8_S8_S8_S8_S8_EEEEZNS1_11reduce_implILb1ES3_NS6_12zip_iteratorINS7_INS6_11hip_rocprim26transform_input_iterator_tIbNSD_35transform_pair_of_input_iterators_tIbNS6_6detail15normal_iteratorINS6_10device_ptrIKsEEEESL_NS6_8equal_toIsEEEENSG_9not_fun_tINSD_8identityEEEEENSD_19counting_iterator_tIlEES8_S8_S8_S8_S8_S8_S8_S8_EEEEPS9_S9_NSD_9__find_if7functorIS9_EEEE10hipError_tPvRmT1_T2_T3_mT4_P12ihipStream_tbEUlT_E0_NS1_11comp_targetILNS1_3genE0ELNS1_11target_archE4294967295ELNS1_3gpuE0ELNS1_3repE0EEENS1_30default_config_static_selectorELNS0_4arch9wavefront6targetE1EEEvS14_
    .private_segment_fixed_size: 0
    .sgpr_count:     34
    .sgpr_spill_count: 0
    .symbol:         _ZN7rocprim17ROCPRIM_400000_NS6detail17trampoline_kernelINS0_14default_configENS1_22reduce_config_selectorIN6thrust23THRUST_200600_302600_NS5tupleIblNS6_9null_typeES8_S8_S8_S8_S8_S8_S8_EEEEZNS1_11reduce_implILb1ES3_NS6_12zip_iteratorINS7_INS6_11hip_rocprim26transform_input_iterator_tIbNSD_35transform_pair_of_input_iterators_tIbNS6_6detail15normal_iteratorINS6_10device_ptrIKsEEEESL_NS6_8equal_toIsEEEENSG_9not_fun_tINSD_8identityEEEEENSD_19counting_iterator_tIlEES8_S8_S8_S8_S8_S8_S8_S8_EEEEPS9_S9_NSD_9__find_if7functorIS9_EEEE10hipError_tPvRmT1_T2_T3_mT4_P12ihipStream_tbEUlT_E0_NS1_11comp_targetILNS1_3genE0ELNS1_11target_archE4294967295ELNS1_3gpuE0ELNS1_3repE0EEENS1_30default_config_static_selectorELNS0_4arch9wavefront6targetE1EEEvS14_.kd
    .uniform_work_group_size: 1
    .uses_dynamic_stack: false
    .vgpr_count:     14
    .vgpr_spill_count: 0
    .wavefront_size: 64
  - .agpr_count:     0
    .args:
      - .offset:         0
        .size:           104
        .value_kind:     by_value
    .group_segment_fixed_size: 0
    .kernarg_segment_align: 8
    .kernarg_segment_size: 104
    .language:       OpenCL C
    .language_version:
      - 2
      - 0
    .max_flat_workgroup_size: 256
    .name:           _ZN7rocprim17ROCPRIM_400000_NS6detail17trampoline_kernelINS0_14default_configENS1_22reduce_config_selectorIN6thrust23THRUST_200600_302600_NS5tupleIblNS6_9null_typeES8_S8_S8_S8_S8_S8_S8_EEEEZNS1_11reduce_implILb1ES3_NS6_12zip_iteratorINS7_INS6_11hip_rocprim26transform_input_iterator_tIbNSD_35transform_pair_of_input_iterators_tIbNS6_6detail15normal_iteratorINS6_10device_ptrIKsEEEESL_NS6_8equal_toIsEEEENSG_9not_fun_tINSD_8identityEEEEENSD_19counting_iterator_tIlEES8_S8_S8_S8_S8_S8_S8_S8_EEEEPS9_S9_NSD_9__find_if7functorIS9_EEEE10hipError_tPvRmT1_T2_T3_mT4_P12ihipStream_tbEUlT_E0_NS1_11comp_targetILNS1_3genE5ELNS1_11target_archE942ELNS1_3gpuE9ELNS1_3repE0EEENS1_30default_config_static_selectorELNS0_4arch9wavefront6targetE1EEEvS14_
    .private_segment_fixed_size: 0
    .sgpr_count:     6
    .sgpr_spill_count: 0
    .symbol:         _ZN7rocprim17ROCPRIM_400000_NS6detail17trampoline_kernelINS0_14default_configENS1_22reduce_config_selectorIN6thrust23THRUST_200600_302600_NS5tupleIblNS6_9null_typeES8_S8_S8_S8_S8_S8_S8_EEEEZNS1_11reduce_implILb1ES3_NS6_12zip_iteratorINS7_INS6_11hip_rocprim26transform_input_iterator_tIbNSD_35transform_pair_of_input_iterators_tIbNS6_6detail15normal_iteratorINS6_10device_ptrIKsEEEESL_NS6_8equal_toIsEEEENSG_9not_fun_tINSD_8identityEEEEENSD_19counting_iterator_tIlEES8_S8_S8_S8_S8_S8_S8_S8_EEEEPS9_S9_NSD_9__find_if7functorIS9_EEEE10hipError_tPvRmT1_T2_T3_mT4_P12ihipStream_tbEUlT_E0_NS1_11comp_targetILNS1_3genE5ELNS1_11target_archE942ELNS1_3gpuE9ELNS1_3repE0EEENS1_30default_config_static_selectorELNS0_4arch9wavefront6targetE1EEEvS14_.kd
    .uniform_work_group_size: 1
    .uses_dynamic_stack: false
    .vgpr_count:     0
    .vgpr_spill_count: 0
    .wavefront_size: 64
  - .agpr_count:     0
    .args:
      - .offset:         0
        .size:           104
        .value_kind:     by_value
    .group_segment_fixed_size: 0
    .kernarg_segment_align: 8
    .kernarg_segment_size: 104
    .language:       OpenCL C
    .language_version:
      - 2
      - 0
    .max_flat_workgroup_size: 256
    .name:           _ZN7rocprim17ROCPRIM_400000_NS6detail17trampoline_kernelINS0_14default_configENS1_22reduce_config_selectorIN6thrust23THRUST_200600_302600_NS5tupleIblNS6_9null_typeES8_S8_S8_S8_S8_S8_S8_EEEEZNS1_11reduce_implILb1ES3_NS6_12zip_iteratorINS7_INS6_11hip_rocprim26transform_input_iterator_tIbNSD_35transform_pair_of_input_iterators_tIbNS6_6detail15normal_iteratorINS6_10device_ptrIKsEEEESL_NS6_8equal_toIsEEEENSG_9not_fun_tINSD_8identityEEEEENSD_19counting_iterator_tIlEES8_S8_S8_S8_S8_S8_S8_S8_EEEEPS9_S9_NSD_9__find_if7functorIS9_EEEE10hipError_tPvRmT1_T2_T3_mT4_P12ihipStream_tbEUlT_E0_NS1_11comp_targetILNS1_3genE4ELNS1_11target_archE910ELNS1_3gpuE8ELNS1_3repE0EEENS1_30default_config_static_selectorELNS0_4arch9wavefront6targetE1EEEvS14_
    .private_segment_fixed_size: 0
    .sgpr_count:     6
    .sgpr_spill_count: 0
    .symbol:         _ZN7rocprim17ROCPRIM_400000_NS6detail17trampoline_kernelINS0_14default_configENS1_22reduce_config_selectorIN6thrust23THRUST_200600_302600_NS5tupleIblNS6_9null_typeES8_S8_S8_S8_S8_S8_S8_EEEEZNS1_11reduce_implILb1ES3_NS6_12zip_iteratorINS7_INS6_11hip_rocprim26transform_input_iterator_tIbNSD_35transform_pair_of_input_iterators_tIbNS6_6detail15normal_iteratorINS6_10device_ptrIKsEEEESL_NS6_8equal_toIsEEEENSG_9not_fun_tINSD_8identityEEEEENSD_19counting_iterator_tIlEES8_S8_S8_S8_S8_S8_S8_S8_EEEEPS9_S9_NSD_9__find_if7functorIS9_EEEE10hipError_tPvRmT1_T2_T3_mT4_P12ihipStream_tbEUlT_E0_NS1_11comp_targetILNS1_3genE4ELNS1_11target_archE910ELNS1_3gpuE8ELNS1_3repE0EEENS1_30default_config_static_selectorELNS0_4arch9wavefront6targetE1EEEvS14_.kd
    .uniform_work_group_size: 1
    .uses_dynamic_stack: false
    .vgpr_count:     0
    .vgpr_spill_count: 0
    .wavefront_size: 64
  - .agpr_count:     0
    .args:
      - .offset:         0
        .size:           104
        .value_kind:     by_value
    .group_segment_fixed_size: 0
    .kernarg_segment_align: 8
    .kernarg_segment_size: 104
    .language:       OpenCL C
    .language_version:
      - 2
      - 0
    .max_flat_workgroup_size: 128
    .name:           _ZN7rocprim17ROCPRIM_400000_NS6detail17trampoline_kernelINS0_14default_configENS1_22reduce_config_selectorIN6thrust23THRUST_200600_302600_NS5tupleIblNS6_9null_typeES8_S8_S8_S8_S8_S8_S8_EEEEZNS1_11reduce_implILb1ES3_NS6_12zip_iteratorINS7_INS6_11hip_rocprim26transform_input_iterator_tIbNSD_35transform_pair_of_input_iterators_tIbNS6_6detail15normal_iteratorINS6_10device_ptrIKsEEEESL_NS6_8equal_toIsEEEENSG_9not_fun_tINSD_8identityEEEEENSD_19counting_iterator_tIlEES8_S8_S8_S8_S8_S8_S8_S8_EEEEPS9_S9_NSD_9__find_if7functorIS9_EEEE10hipError_tPvRmT1_T2_T3_mT4_P12ihipStream_tbEUlT_E0_NS1_11comp_targetILNS1_3genE3ELNS1_11target_archE908ELNS1_3gpuE7ELNS1_3repE0EEENS1_30default_config_static_selectorELNS0_4arch9wavefront6targetE1EEEvS14_
    .private_segment_fixed_size: 0
    .sgpr_count:     6
    .sgpr_spill_count: 0
    .symbol:         _ZN7rocprim17ROCPRIM_400000_NS6detail17trampoline_kernelINS0_14default_configENS1_22reduce_config_selectorIN6thrust23THRUST_200600_302600_NS5tupleIblNS6_9null_typeES8_S8_S8_S8_S8_S8_S8_EEEEZNS1_11reduce_implILb1ES3_NS6_12zip_iteratorINS7_INS6_11hip_rocprim26transform_input_iterator_tIbNSD_35transform_pair_of_input_iterators_tIbNS6_6detail15normal_iteratorINS6_10device_ptrIKsEEEESL_NS6_8equal_toIsEEEENSG_9not_fun_tINSD_8identityEEEEENSD_19counting_iterator_tIlEES8_S8_S8_S8_S8_S8_S8_S8_EEEEPS9_S9_NSD_9__find_if7functorIS9_EEEE10hipError_tPvRmT1_T2_T3_mT4_P12ihipStream_tbEUlT_E0_NS1_11comp_targetILNS1_3genE3ELNS1_11target_archE908ELNS1_3gpuE7ELNS1_3repE0EEENS1_30default_config_static_selectorELNS0_4arch9wavefront6targetE1EEEvS14_.kd
    .uniform_work_group_size: 1
    .uses_dynamic_stack: false
    .vgpr_count:     0
    .vgpr_spill_count: 0
    .wavefront_size: 64
  - .agpr_count:     0
    .args:
      - .offset:         0
        .size:           104
        .value_kind:     by_value
    .group_segment_fixed_size: 0
    .kernarg_segment_align: 8
    .kernarg_segment_size: 104
    .language:       OpenCL C
    .language_version:
      - 2
      - 0
    .max_flat_workgroup_size: 128
    .name:           _ZN7rocprim17ROCPRIM_400000_NS6detail17trampoline_kernelINS0_14default_configENS1_22reduce_config_selectorIN6thrust23THRUST_200600_302600_NS5tupleIblNS6_9null_typeES8_S8_S8_S8_S8_S8_S8_EEEEZNS1_11reduce_implILb1ES3_NS6_12zip_iteratorINS7_INS6_11hip_rocprim26transform_input_iterator_tIbNSD_35transform_pair_of_input_iterators_tIbNS6_6detail15normal_iteratorINS6_10device_ptrIKsEEEESL_NS6_8equal_toIsEEEENSG_9not_fun_tINSD_8identityEEEEENSD_19counting_iterator_tIlEES8_S8_S8_S8_S8_S8_S8_S8_EEEEPS9_S9_NSD_9__find_if7functorIS9_EEEE10hipError_tPvRmT1_T2_T3_mT4_P12ihipStream_tbEUlT_E0_NS1_11comp_targetILNS1_3genE2ELNS1_11target_archE906ELNS1_3gpuE6ELNS1_3repE0EEENS1_30default_config_static_selectorELNS0_4arch9wavefront6targetE1EEEvS14_
    .private_segment_fixed_size: 0
    .sgpr_count:     6
    .sgpr_spill_count: 0
    .symbol:         _ZN7rocprim17ROCPRIM_400000_NS6detail17trampoline_kernelINS0_14default_configENS1_22reduce_config_selectorIN6thrust23THRUST_200600_302600_NS5tupleIblNS6_9null_typeES8_S8_S8_S8_S8_S8_S8_EEEEZNS1_11reduce_implILb1ES3_NS6_12zip_iteratorINS7_INS6_11hip_rocprim26transform_input_iterator_tIbNSD_35transform_pair_of_input_iterators_tIbNS6_6detail15normal_iteratorINS6_10device_ptrIKsEEEESL_NS6_8equal_toIsEEEENSG_9not_fun_tINSD_8identityEEEEENSD_19counting_iterator_tIlEES8_S8_S8_S8_S8_S8_S8_S8_EEEEPS9_S9_NSD_9__find_if7functorIS9_EEEE10hipError_tPvRmT1_T2_T3_mT4_P12ihipStream_tbEUlT_E0_NS1_11comp_targetILNS1_3genE2ELNS1_11target_archE906ELNS1_3gpuE6ELNS1_3repE0EEENS1_30default_config_static_selectorELNS0_4arch9wavefront6targetE1EEEvS14_.kd
    .uniform_work_group_size: 1
    .uses_dynamic_stack: false
    .vgpr_count:     0
    .vgpr_spill_count: 0
    .wavefront_size: 64
  - .agpr_count:     0
    .args:
      - .offset:         0
        .size:           104
        .value_kind:     by_value
    .group_segment_fixed_size: 0
    .kernarg_segment_align: 8
    .kernarg_segment_size: 104
    .language:       OpenCL C
    .language_version:
      - 2
      - 0
    .max_flat_workgroup_size: 256
    .name:           _ZN7rocprim17ROCPRIM_400000_NS6detail17trampoline_kernelINS0_14default_configENS1_22reduce_config_selectorIN6thrust23THRUST_200600_302600_NS5tupleIblNS6_9null_typeES8_S8_S8_S8_S8_S8_S8_EEEEZNS1_11reduce_implILb1ES3_NS6_12zip_iteratorINS7_INS6_11hip_rocprim26transform_input_iterator_tIbNSD_35transform_pair_of_input_iterators_tIbNS6_6detail15normal_iteratorINS6_10device_ptrIKsEEEESL_NS6_8equal_toIsEEEENSG_9not_fun_tINSD_8identityEEEEENSD_19counting_iterator_tIlEES8_S8_S8_S8_S8_S8_S8_S8_EEEEPS9_S9_NSD_9__find_if7functorIS9_EEEE10hipError_tPvRmT1_T2_T3_mT4_P12ihipStream_tbEUlT_E0_NS1_11comp_targetILNS1_3genE10ELNS1_11target_archE1201ELNS1_3gpuE5ELNS1_3repE0EEENS1_30default_config_static_selectorELNS0_4arch9wavefront6targetE1EEEvS14_
    .private_segment_fixed_size: 0
    .sgpr_count:     6
    .sgpr_spill_count: 0
    .symbol:         _ZN7rocprim17ROCPRIM_400000_NS6detail17trampoline_kernelINS0_14default_configENS1_22reduce_config_selectorIN6thrust23THRUST_200600_302600_NS5tupleIblNS6_9null_typeES8_S8_S8_S8_S8_S8_S8_EEEEZNS1_11reduce_implILb1ES3_NS6_12zip_iteratorINS7_INS6_11hip_rocprim26transform_input_iterator_tIbNSD_35transform_pair_of_input_iterators_tIbNS6_6detail15normal_iteratorINS6_10device_ptrIKsEEEESL_NS6_8equal_toIsEEEENSG_9not_fun_tINSD_8identityEEEEENSD_19counting_iterator_tIlEES8_S8_S8_S8_S8_S8_S8_S8_EEEEPS9_S9_NSD_9__find_if7functorIS9_EEEE10hipError_tPvRmT1_T2_T3_mT4_P12ihipStream_tbEUlT_E0_NS1_11comp_targetILNS1_3genE10ELNS1_11target_archE1201ELNS1_3gpuE5ELNS1_3repE0EEENS1_30default_config_static_selectorELNS0_4arch9wavefront6targetE1EEEvS14_.kd
    .uniform_work_group_size: 1
    .uses_dynamic_stack: false
    .vgpr_count:     0
    .vgpr_spill_count: 0
    .wavefront_size: 64
  - .agpr_count:     0
    .args:
      - .offset:         0
        .size:           104
        .value_kind:     by_value
    .group_segment_fixed_size: 0
    .kernarg_segment_align: 8
    .kernarg_segment_size: 104
    .language:       OpenCL C
    .language_version:
      - 2
      - 0
    .max_flat_workgroup_size: 256
    .name:           _ZN7rocprim17ROCPRIM_400000_NS6detail17trampoline_kernelINS0_14default_configENS1_22reduce_config_selectorIN6thrust23THRUST_200600_302600_NS5tupleIblNS6_9null_typeES8_S8_S8_S8_S8_S8_S8_EEEEZNS1_11reduce_implILb1ES3_NS6_12zip_iteratorINS7_INS6_11hip_rocprim26transform_input_iterator_tIbNSD_35transform_pair_of_input_iterators_tIbNS6_6detail15normal_iteratorINS6_10device_ptrIKsEEEESL_NS6_8equal_toIsEEEENSG_9not_fun_tINSD_8identityEEEEENSD_19counting_iterator_tIlEES8_S8_S8_S8_S8_S8_S8_S8_EEEEPS9_S9_NSD_9__find_if7functorIS9_EEEE10hipError_tPvRmT1_T2_T3_mT4_P12ihipStream_tbEUlT_E0_NS1_11comp_targetILNS1_3genE10ELNS1_11target_archE1200ELNS1_3gpuE4ELNS1_3repE0EEENS1_30default_config_static_selectorELNS0_4arch9wavefront6targetE1EEEvS14_
    .private_segment_fixed_size: 0
    .sgpr_count:     6
    .sgpr_spill_count: 0
    .symbol:         _ZN7rocprim17ROCPRIM_400000_NS6detail17trampoline_kernelINS0_14default_configENS1_22reduce_config_selectorIN6thrust23THRUST_200600_302600_NS5tupleIblNS6_9null_typeES8_S8_S8_S8_S8_S8_S8_EEEEZNS1_11reduce_implILb1ES3_NS6_12zip_iteratorINS7_INS6_11hip_rocprim26transform_input_iterator_tIbNSD_35transform_pair_of_input_iterators_tIbNS6_6detail15normal_iteratorINS6_10device_ptrIKsEEEESL_NS6_8equal_toIsEEEENSG_9not_fun_tINSD_8identityEEEEENSD_19counting_iterator_tIlEES8_S8_S8_S8_S8_S8_S8_S8_EEEEPS9_S9_NSD_9__find_if7functorIS9_EEEE10hipError_tPvRmT1_T2_T3_mT4_P12ihipStream_tbEUlT_E0_NS1_11comp_targetILNS1_3genE10ELNS1_11target_archE1200ELNS1_3gpuE4ELNS1_3repE0EEENS1_30default_config_static_selectorELNS0_4arch9wavefront6targetE1EEEvS14_.kd
    .uniform_work_group_size: 1
    .uses_dynamic_stack: false
    .vgpr_count:     0
    .vgpr_spill_count: 0
    .wavefront_size: 64
  - .agpr_count:     0
    .args:
      - .offset:         0
        .size:           104
        .value_kind:     by_value
    .group_segment_fixed_size: 0
    .kernarg_segment_align: 8
    .kernarg_segment_size: 104
    .language:       OpenCL C
    .language_version:
      - 2
      - 0
    .max_flat_workgroup_size: 256
    .name:           _ZN7rocprim17ROCPRIM_400000_NS6detail17trampoline_kernelINS0_14default_configENS1_22reduce_config_selectorIN6thrust23THRUST_200600_302600_NS5tupleIblNS6_9null_typeES8_S8_S8_S8_S8_S8_S8_EEEEZNS1_11reduce_implILb1ES3_NS6_12zip_iteratorINS7_INS6_11hip_rocprim26transform_input_iterator_tIbNSD_35transform_pair_of_input_iterators_tIbNS6_6detail15normal_iteratorINS6_10device_ptrIKsEEEESL_NS6_8equal_toIsEEEENSG_9not_fun_tINSD_8identityEEEEENSD_19counting_iterator_tIlEES8_S8_S8_S8_S8_S8_S8_S8_EEEEPS9_S9_NSD_9__find_if7functorIS9_EEEE10hipError_tPvRmT1_T2_T3_mT4_P12ihipStream_tbEUlT_E0_NS1_11comp_targetILNS1_3genE9ELNS1_11target_archE1100ELNS1_3gpuE3ELNS1_3repE0EEENS1_30default_config_static_selectorELNS0_4arch9wavefront6targetE1EEEvS14_
    .private_segment_fixed_size: 0
    .sgpr_count:     6
    .sgpr_spill_count: 0
    .symbol:         _ZN7rocprim17ROCPRIM_400000_NS6detail17trampoline_kernelINS0_14default_configENS1_22reduce_config_selectorIN6thrust23THRUST_200600_302600_NS5tupleIblNS6_9null_typeES8_S8_S8_S8_S8_S8_S8_EEEEZNS1_11reduce_implILb1ES3_NS6_12zip_iteratorINS7_INS6_11hip_rocprim26transform_input_iterator_tIbNSD_35transform_pair_of_input_iterators_tIbNS6_6detail15normal_iteratorINS6_10device_ptrIKsEEEESL_NS6_8equal_toIsEEEENSG_9not_fun_tINSD_8identityEEEEENSD_19counting_iterator_tIlEES8_S8_S8_S8_S8_S8_S8_S8_EEEEPS9_S9_NSD_9__find_if7functorIS9_EEEE10hipError_tPvRmT1_T2_T3_mT4_P12ihipStream_tbEUlT_E0_NS1_11comp_targetILNS1_3genE9ELNS1_11target_archE1100ELNS1_3gpuE3ELNS1_3repE0EEENS1_30default_config_static_selectorELNS0_4arch9wavefront6targetE1EEEvS14_.kd
    .uniform_work_group_size: 1
    .uses_dynamic_stack: false
    .vgpr_count:     0
    .vgpr_spill_count: 0
    .wavefront_size: 64
  - .agpr_count:     0
    .args:
      - .offset:         0
        .size:           104
        .value_kind:     by_value
    .group_segment_fixed_size: 0
    .kernarg_segment_align: 8
    .kernarg_segment_size: 104
    .language:       OpenCL C
    .language_version:
      - 2
      - 0
    .max_flat_workgroup_size: 256
    .name:           _ZN7rocprim17ROCPRIM_400000_NS6detail17trampoline_kernelINS0_14default_configENS1_22reduce_config_selectorIN6thrust23THRUST_200600_302600_NS5tupleIblNS6_9null_typeES8_S8_S8_S8_S8_S8_S8_EEEEZNS1_11reduce_implILb1ES3_NS6_12zip_iteratorINS7_INS6_11hip_rocprim26transform_input_iterator_tIbNSD_35transform_pair_of_input_iterators_tIbNS6_6detail15normal_iteratorINS6_10device_ptrIKsEEEESL_NS6_8equal_toIsEEEENSG_9not_fun_tINSD_8identityEEEEENSD_19counting_iterator_tIlEES8_S8_S8_S8_S8_S8_S8_S8_EEEEPS9_S9_NSD_9__find_if7functorIS9_EEEE10hipError_tPvRmT1_T2_T3_mT4_P12ihipStream_tbEUlT_E0_NS1_11comp_targetILNS1_3genE8ELNS1_11target_archE1030ELNS1_3gpuE2ELNS1_3repE0EEENS1_30default_config_static_selectorELNS0_4arch9wavefront6targetE1EEEvS14_
    .private_segment_fixed_size: 0
    .sgpr_count:     6
    .sgpr_spill_count: 0
    .symbol:         _ZN7rocprim17ROCPRIM_400000_NS6detail17trampoline_kernelINS0_14default_configENS1_22reduce_config_selectorIN6thrust23THRUST_200600_302600_NS5tupleIblNS6_9null_typeES8_S8_S8_S8_S8_S8_S8_EEEEZNS1_11reduce_implILb1ES3_NS6_12zip_iteratorINS7_INS6_11hip_rocprim26transform_input_iterator_tIbNSD_35transform_pair_of_input_iterators_tIbNS6_6detail15normal_iteratorINS6_10device_ptrIKsEEEESL_NS6_8equal_toIsEEEENSG_9not_fun_tINSD_8identityEEEEENSD_19counting_iterator_tIlEES8_S8_S8_S8_S8_S8_S8_S8_EEEEPS9_S9_NSD_9__find_if7functorIS9_EEEE10hipError_tPvRmT1_T2_T3_mT4_P12ihipStream_tbEUlT_E0_NS1_11comp_targetILNS1_3genE8ELNS1_11target_archE1030ELNS1_3gpuE2ELNS1_3repE0EEENS1_30default_config_static_selectorELNS0_4arch9wavefront6targetE1EEEvS14_.kd
    .uniform_work_group_size: 1
    .uses_dynamic_stack: false
    .vgpr_count:     0
    .vgpr_spill_count: 0
    .wavefront_size: 64
  - .agpr_count:     0
    .args:
      - .offset:         0
        .size:           88
        .value_kind:     by_value
    .group_segment_fixed_size: 160
    .kernarg_segment_align: 8
    .kernarg_segment_size: 88
    .language:       OpenCL C
    .language_version:
      - 2
      - 0
    .max_flat_workgroup_size: 128
    .name:           _ZN7rocprim17ROCPRIM_400000_NS6detail17trampoline_kernelINS0_14default_configENS1_22reduce_config_selectorIN6thrust23THRUST_200600_302600_NS5tupleIblNS6_9null_typeES8_S8_S8_S8_S8_S8_S8_EEEEZNS1_11reduce_implILb1ES3_NS6_12zip_iteratorINS7_INS6_11hip_rocprim26transform_input_iterator_tIbNSD_35transform_pair_of_input_iterators_tIbNS6_6detail15normal_iteratorINS6_10device_ptrIKsEEEESL_NS6_8equal_toIsEEEENSG_9not_fun_tINSD_8identityEEEEENSD_19counting_iterator_tIlEES8_S8_S8_S8_S8_S8_S8_S8_EEEEPS9_S9_NSD_9__find_if7functorIS9_EEEE10hipError_tPvRmT1_T2_T3_mT4_P12ihipStream_tbEUlT_E1_NS1_11comp_targetILNS1_3genE0ELNS1_11target_archE4294967295ELNS1_3gpuE0ELNS1_3repE0EEENS1_30default_config_static_selectorELNS0_4arch9wavefront6targetE1EEEvS14_
    .private_segment_fixed_size: 0
    .sgpr_count:     48
    .sgpr_spill_count: 0
    .symbol:         _ZN7rocprim17ROCPRIM_400000_NS6detail17trampoline_kernelINS0_14default_configENS1_22reduce_config_selectorIN6thrust23THRUST_200600_302600_NS5tupleIblNS6_9null_typeES8_S8_S8_S8_S8_S8_S8_EEEEZNS1_11reduce_implILb1ES3_NS6_12zip_iteratorINS7_INS6_11hip_rocprim26transform_input_iterator_tIbNSD_35transform_pair_of_input_iterators_tIbNS6_6detail15normal_iteratorINS6_10device_ptrIKsEEEESL_NS6_8equal_toIsEEEENSG_9not_fun_tINSD_8identityEEEEENSD_19counting_iterator_tIlEES8_S8_S8_S8_S8_S8_S8_S8_EEEEPS9_S9_NSD_9__find_if7functorIS9_EEEE10hipError_tPvRmT1_T2_T3_mT4_P12ihipStream_tbEUlT_E1_NS1_11comp_targetILNS1_3genE0ELNS1_11target_archE4294967295ELNS1_3gpuE0ELNS1_3repE0EEENS1_30default_config_static_selectorELNS0_4arch9wavefront6targetE1EEEvS14_.kd
    .uniform_work_group_size: 1
    .uses_dynamic_stack: false
    .vgpr_count:     29
    .vgpr_spill_count: 0
    .wavefront_size: 64
  - .agpr_count:     0
    .args:
      - .offset:         0
        .size:           88
        .value_kind:     by_value
    .group_segment_fixed_size: 0
    .kernarg_segment_align: 8
    .kernarg_segment_size: 88
    .language:       OpenCL C
    .language_version:
      - 2
      - 0
    .max_flat_workgroup_size: 256
    .name:           _ZN7rocprim17ROCPRIM_400000_NS6detail17trampoline_kernelINS0_14default_configENS1_22reduce_config_selectorIN6thrust23THRUST_200600_302600_NS5tupleIblNS6_9null_typeES8_S8_S8_S8_S8_S8_S8_EEEEZNS1_11reduce_implILb1ES3_NS6_12zip_iteratorINS7_INS6_11hip_rocprim26transform_input_iterator_tIbNSD_35transform_pair_of_input_iterators_tIbNS6_6detail15normal_iteratorINS6_10device_ptrIKsEEEESL_NS6_8equal_toIsEEEENSG_9not_fun_tINSD_8identityEEEEENSD_19counting_iterator_tIlEES8_S8_S8_S8_S8_S8_S8_S8_EEEEPS9_S9_NSD_9__find_if7functorIS9_EEEE10hipError_tPvRmT1_T2_T3_mT4_P12ihipStream_tbEUlT_E1_NS1_11comp_targetILNS1_3genE5ELNS1_11target_archE942ELNS1_3gpuE9ELNS1_3repE0EEENS1_30default_config_static_selectorELNS0_4arch9wavefront6targetE1EEEvS14_
    .private_segment_fixed_size: 0
    .sgpr_count:     6
    .sgpr_spill_count: 0
    .symbol:         _ZN7rocprim17ROCPRIM_400000_NS6detail17trampoline_kernelINS0_14default_configENS1_22reduce_config_selectorIN6thrust23THRUST_200600_302600_NS5tupleIblNS6_9null_typeES8_S8_S8_S8_S8_S8_S8_EEEEZNS1_11reduce_implILb1ES3_NS6_12zip_iteratorINS7_INS6_11hip_rocprim26transform_input_iterator_tIbNSD_35transform_pair_of_input_iterators_tIbNS6_6detail15normal_iteratorINS6_10device_ptrIKsEEEESL_NS6_8equal_toIsEEEENSG_9not_fun_tINSD_8identityEEEEENSD_19counting_iterator_tIlEES8_S8_S8_S8_S8_S8_S8_S8_EEEEPS9_S9_NSD_9__find_if7functorIS9_EEEE10hipError_tPvRmT1_T2_T3_mT4_P12ihipStream_tbEUlT_E1_NS1_11comp_targetILNS1_3genE5ELNS1_11target_archE942ELNS1_3gpuE9ELNS1_3repE0EEENS1_30default_config_static_selectorELNS0_4arch9wavefront6targetE1EEEvS14_.kd
    .uniform_work_group_size: 1
    .uses_dynamic_stack: false
    .vgpr_count:     0
    .vgpr_spill_count: 0
    .wavefront_size: 64
  - .agpr_count:     0
    .args:
      - .offset:         0
        .size:           88
        .value_kind:     by_value
    .group_segment_fixed_size: 0
    .kernarg_segment_align: 8
    .kernarg_segment_size: 88
    .language:       OpenCL C
    .language_version:
      - 2
      - 0
    .max_flat_workgroup_size: 256
    .name:           _ZN7rocprim17ROCPRIM_400000_NS6detail17trampoline_kernelINS0_14default_configENS1_22reduce_config_selectorIN6thrust23THRUST_200600_302600_NS5tupleIblNS6_9null_typeES8_S8_S8_S8_S8_S8_S8_EEEEZNS1_11reduce_implILb1ES3_NS6_12zip_iteratorINS7_INS6_11hip_rocprim26transform_input_iterator_tIbNSD_35transform_pair_of_input_iterators_tIbNS6_6detail15normal_iteratorINS6_10device_ptrIKsEEEESL_NS6_8equal_toIsEEEENSG_9not_fun_tINSD_8identityEEEEENSD_19counting_iterator_tIlEES8_S8_S8_S8_S8_S8_S8_S8_EEEEPS9_S9_NSD_9__find_if7functorIS9_EEEE10hipError_tPvRmT1_T2_T3_mT4_P12ihipStream_tbEUlT_E1_NS1_11comp_targetILNS1_3genE4ELNS1_11target_archE910ELNS1_3gpuE8ELNS1_3repE0EEENS1_30default_config_static_selectorELNS0_4arch9wavefront6targetE1EEEvS14_
    .private_segment_fixed_size: 0
    .sgpr_count:     6
    .sgpr_spill_count: 0
    .symbol:         _ZN7rocprim17ROCPRIM_400000_NS6detail17trampoline_kernelINS0_14default_configENS1_22reduce_config_selectorIN6thrust23THRUST_200600_302600_NS5tupleIblNS6_9null_typeES8_S8_S8_S8_S8_S8_S8_EEEEZNS1_11reduce_implILb1ES3_NS6_12zip_iteratorINS7_INS6_11hip_rocprim26transform_input_iterator_tIbNSD_35transform_pair_of_input_iterators_tIbNS6_6detail15normal_iteratorINS6_10device_ptrIKsEEEESL_NS6_8equal_toIsEEEENSG_9not_fun_tINSD_8identityEEEEENSD_19counting_iterator_tIlEES8_S8_S8_S8_S8_S8_S8_S8_EEEEPS9_S9_NSD_9__find_if7functorIS9_EEEE10hipError_tPvRmT1_T2_T3_mT4_P12ihipStream_tbEUlT_E1_NS1_11comp_targetILNS1_3genE4ELNS1_11target_archE910ELNS1_3gpuE8ELNS1_3repE0EEENS1_30default_config_static_selectorELNS0_4arch9wavefront6targetE1EEEvS14_.kd
    .uniform_work_group_size: 1
    .uses_dynamic_stack: false
    .vgpr_count:     0
    .vgpr_spill_count: 0
    .wavefront_size: 64
  - .agpr_count:     0
    .args:
      - .offset:         0
        .size:           88
        .value_kind:     by_value
    .group_segment_fixed_size: 0
    .kernarg_segment_align: 8
    .kernarg_segment_size: 88
    .language:       OpenCL C
    .language_version:
      - 2
      - 0
    .max_flat_workgroup_size: 128
    .name:           _ZN7rocprim17ROCPRIM_400000_NS6detail17trampoline_kernelINS0_14default_configENS1_22reduce_config_selectorIN6thrust23THRUST_200600_302600_NS5tupleIblNS6_9null_typeES8_S8_S8_S8_S8_S8_S8_EEEEZNS1_11reduce_implILb1ES3_NS6_12zip_iteratorINS7_INS6_11hip_rocprim26transform_input_iterator_tIbNSD_35transform_pair_of_input_iterators_tIbNS6_6detail15normal_iteratorINS6_10device_ptrIKsEEEESL_NS6_8equal_toIsEEEENSG_9not_fun_tINSD_8identityEEEEENSD_19counting_iterator_tIlEES8_S8_S8_S8_S8_S8_S8_S8_EEEEPS9_S9_NSD_9__find_if7functorIS9_EEEE10hipError_tPvRmT1_T2_T3_mT4_P12ihipStream_tbEUlT_E1_NS1_11comp_targetILNS1_3genE3ELNS1_11target_archE908ELNS1_3gpuE7ELNS1_3repE0EEENS1_30default_config_static_selectorELNS0_4arch9wavefront6targetE1EEEvS14_
    .private_segment_fixed_size: 0
    .sgpr_count:     6
    .sgpr_spill_count: 0
    .symbol:         _ZN7rocprim17ROCPRIM_400000_NS6detail17trampoline_kernelINS0_14default_configENS1_22reduce_config_selectorIN6thrust23THRUST_200600_302600_NS5tupleIblNS6_9null_typeES8_S8_S8_S8_S8_S8_S8_EEEEZNS1_11reduce_implILb1ES3_NS6_12zip_iteratorINS7_INS6_11hip_rocprim26transform_input_iterator_tIbNSD_35transform_pair_of_input_iterators_tIbNS6_6detail15normal_iteratorINS6_10device_ptrIKsEEEESL_NS6_8equal_toIsEEEENSG_9not_fun_tINSD_8identityEEEEENSD_19counting_iterator_tIlEES8_S8_S8_S8_S8_S8_S8_S8_EEEEPS9_S9_NSD_9__find_if7functorIS9_EEEE10hipError_tPvRmT1_T2_T3_mT4_P12ihipStream_tbEUlT_E1_NS1_11comp_targetILNS1_3genE3ELNS1_11target_archE908ELNS1_3gpuE7ELNS1_3repE0EEENS1_30default_config_static_selectorELNS0_4arch9wavefront6targetE1EEEvS14_.kd
    .uniform_work_group_size: 1
    .uses_dynamic_stack: false
    .vgpr_count:     0
    .vgpr_spill_count: 0
    .wavefront_size: 64
  - .agpr_count:     0
    .args:
      - .offset:         0
        .size:           88
        .value_kind:     by_value
    .group_segment_fixed_size: 0
    .kernarg_segment_align: 8
    .kernarg_segment_size: 88
    .language:       OpenCL C
    .language_version:
      - 2
      - 0
    .max_flat_workgroup_size: 128
    .name:           _ZN7rocprim17ROCPRIM_400000_NS6detail17trampoline_kernelINS0_14default_configENS1_22reduce_config_selectorIN6thrust23THRUST_200600_302600_NS5tupleIblNS6_9null_typeES8_S8_S8_S8_S8_S8_S8_EEEEZNS1_11reduce_implILb1ES3_NS6_12zip_iteratorINS7_INS6_11hip_rocprim26transform_input_iterator_tIbNSD_35transform_pair_of_input_iterators_tIbNS6_6detail15normal_iteratorINS6_10device_ptrIKsEEEESL_NS6_8equal_toIsEEEENSG_9not_fun_tINSD_8identityEEEEENSD_19counting_iterator_tIlEES8_S8_S8_S8_S8_S8_S8_S8_EEEEPS9_S9_NSD_9__find_if7functorIS9_EEEE10hipError_tPvRmT1_T2_T3_mT4_P12ihipStream_tbEUlT_E1_NS1_11comp_targetILNS1_3genE2ELNS1_11target_archE906ELNS1_3gpuE6ELNS1_3repE0EEENS1_30default_config_static_selectorELNS0_4arch9wavefront6targetE1EEEvS14_
    .private_segment_fixed_size: 0
    .sgpr_count:     6
    .sgpr_spill_count: 0
    .symbol:         _ZN7rocprim17ROCPRIM_400000_NS6detail17trampoline_kernelINS0_14default_configENS1_22reduce_config_selectorIN6thrust23THRUST_200600_302600_NS5tupleIblNS6_9null_typeES8_S8_S8_S8_S8_S8_S8_EEEEZNS1_11reduce_implILb1ES3_NS6_12zip_iteratorINS7_INS6_11hip_rocprim26transform_input_iterator_tIbNSD_35transform_pair_of_input_iterators_tIbNS6_6detail15normal_iteratorINS6_10device_ptrIKsEEEESL_NS6_8equal_toIsEEEENSG_9not_fun_tINSD_8identityEEEEENSD_19counting_iterator_tIlEES8_S8_S8_S8_S8_S8_S8_S8_EEEEPS9_S9_NSD_9__find_if7functorIS9_EEEE10hipError_tPvRmT1_T2_T3_mT4_P12ihipStream_tbEUlT_E1_NS1_11comp_targetILNS1_3genE2ELNS1_11target_archE906ELNS1_3gpuE6ELNS1_3repE0EEENS1_30default_config_static_selectorELNS0_4arch9wavefront6targetE1EEEvS14_.kd
    .uniform_work_group_size: 1
    .uses_dynamic_stack: false
    .vgpr_count:     0
    .vgpr_spill_count: 0
    .wavefront_size: 64
  - .agpr_count:     0
    .args:
      - .offset:         0
        .size:           88
        .value_kind:     by_value
    .group_segment_fixed_size: 0
    .kernarg_segment_align: 8
    .kernarg_segment_size: 88
    .language:       OpenCL C
    .language_version:
      - 2
      - 0
    .max_flat_workgroup_size: 256
    .name:           _ZN7rocprim17ROCPRIM_400000_NS6detail17trampoline_kernelINS0_14default_configENS1_22reduce_config_selectorIN6thrust23THRUST_200600_302600_NS5tupleIblNS6_9null_typeES8_S8_S8_S8_S8_S8_S8_EEEEZNS1_11reduce_implILb1ES3_NS6_12zip_iteratorINS7_INS6_11hip_rocprim26transform_input_iterator_tIbNSD_35transform_pair_of_input_iterators_tIbNS6_6detail15normal_iteratorINS6_10device_ptrIKsEEEESL_NS6_8equal_toIsEEEENSG_9not_fun_tINSD_8identityEEEEENSD_19counting_iterator_tIlEES8_S8_S8_S8_S8_S8_S8_S8_EEEEPS9_S9_NSD_9__find_if7functorIS9_EEEE10hipError_tPvRmT1_T2_T3_mT4_P12ihipStream_tbEUlT_E1_NS1_11comp_targetILNS1_3genE10ELNS1_11target_archE1201ELNS1_3gpuE5ELNS1_3repE0EEENS1_30default_config_static_selectorELNS0_4arch9wavefront6targetE1EEEvS14_
    .private_segment_fixed_size: 0
    .sgpr_count:     6
    .sgpr_spill_count: 0
    .symbol:         _ZN7rocprim17ROCPRIM_400000_NS6detail17trampoline_kernelINS0_14default_configENS1_22reduce_config_selectorIN6thrust23THRUST_200600_302600_NS5tupleIblNS6_9null_typeES8_S8_S8_S8_S8_S8_S8_EEEEZNS1_11reduce_implILb1ES3_NS6_12zip_iteratorINS7_INS6_11hip_rocprim26transform_input_iterator_tIbNSD_35transform_pair_of_input_iterators_tIbNS6_6detail15normal_iteratorINS6_10device_ptrIKsEEEESL_NS6_8equal_toIsEEEENSG_9not_fun_tINSD_8identityEEEEENSD_19counting_iterator_tIlEES8_S8_S8_S8_S8_S8_S8_S8_EEEEPS9_S9_NSD_9__find_if7functorIS9_EEEE10hipError_tPvRmT1_T2_T3_mT4_P12ihipStream_tbEUlT_E1_NS1_11comp_targetILNS1_3genE10ELNS1_11target_archE1201ELNS1_3gpuE5ELNS1_3repE0EEENS1_30default_config_static_selectorELNS0_4arch9wavefront6targetE1EEEvS14_.kd
    .uniform_work_group_size: 1
    .uses_dynamic_stack: false
    .vgpr_count:     0
    .vgpr_spill_count: 0
    .wavefront_size: 64
  - .agpr_count:     0
    .args:
      - .offset:         0
        .size:           88
        .value_kind:     by_value
    .group_segment_fixed_size: 0
    .kernarg_segment_align: 8
    .kernarg_segment_size: 88
    .language:       OpenCL C
    .language_version:
      - 2
      - 0
    .max_flat_workgroup_size: 256
    .name:           _ZN7rocprim17ROCPRIM_400000_NS6detail17trampoline_kernelINS0_14default_configENS1_22reduce_config_selectorIN6thrust23THRUST_200600_302600_NS5tupleIblNS6_9null_typeES8_S8_S8_S8_S8_S8_S8_EEEEZNS1_11reduce_implILb1ES3_NS6_12zip_iteratorINS7_INS6_11hip_rocprim26transform_input_iterator_tIbNSD_35transform_pair_of_input_iterators_tIbNS6_6detail15normal_iteratorINS6_10device_ptrIKsEEEESL_NS6_8equal_toIsEEEENSG_9not_fun_tINSD_8identityEEEEENSD_19counting_iterator_tIlEES8_S8_S8_S8_S8_S8_S8_S8_EEEEPS9_S9_NSD_9__find_if7functorIS9_EEEE10hipError_tPvRmT1_T2_T3_mT4_P12ihipStream_tbEUlT_E1_NS1_11comp_targetILNS1_3genE10ELNS1_11target_archE1200ELNS1_3gpuE4ELNS1_3repE0EEENS1_30default_config_static_selectorELNS0_4arch9wavefront6targetE1EEEvS14_
    .private_segment_fixed_size: 0
    .sgpr_count:     6
    .sgpr_spill_count: 0
    .symbol:         _ZN7rocprim17ROCPRIM_400000_NS6detail17trampoline_kernelINS0_14default_configENS1_22reduce_config_selectorIN6thrust23THRUST_200600_302600_NS5tupleIblNS6_9null_typeES8_S8_S8_S8_S8_S8_S8_EEEEZNS1_11reduce_implILb1ES3_NS6_12zip_iteratorINS7_INS6_11hip_rocprim26transform_input_iterator_tIbNSD_35transform_pair_of_input_iterators_tIbNS6_6detail15normal_iteratorINS6_10device_ptrIKsEEEESL_NS6_8equal_toIsEEEENSG_9not_fun_tINSD_8identityEEEEENSD_19counting_iterator_tIlEES8_S8_S8_S8_S8_S8_S8_S8_EEEEPS9_S9_NSD_9__find_if7functorIS9_EEEE10hipError_tPvRmT1_T2_T3_mT4_P12ihipStream_tbEUlT_E1_NS1_11comp_targetILNS1_3genE10ELNS1_11target_archE1200ELNS1_3gpuE4ELNS1_3repE0EEENS1_30default_config_static_selectorELNS0_4arch9wavefront6targetE1EEEvS14_.kd
    .uniform_work_group_size: 1
    .uses_dynamic_stack: false
    .vgpr_count:     0
    .vgpr_spill_count: 0
    .wavefront_size: 64
  - .agpr_count:     0
    .args:
      - .offset:         0
        .size:           88
        .value_kind:     by_value
    .group_segment_fixed_size: 0
    .kernarg_segment_align: 8
    .kernarg_segment_size: 88
    .language:       OpenCL C
    .language_version:
      - 2
      - 0
    .max_flat_workgroup_size: 256
    .name:           _ZN7rocprim17ROCPRIM_400000_NS6detail17trampoline_kernelINS0_14default_configENS1_22reduce_config_selectorIN6thrust23THRUST_200600_302600_NS5tupleIblNS6_9null_typeES8_S8_S8_S8_S8_S8_S8_EEEEZNS1_11reduce_implILb1ES3_NS6_12zip_iteratorINS7_INS6_11hip_rocprim26transform_input_iterator_tIbNSD_35transform_pair_of_input_iterators_tIbNS6_6detail15normal_iteratorINS6_10device_ptrIKsEEEESL_NS6_8equal_toIsEEEENSG_9not_fun_tINSD_8identityEEEEENSD_19counting_iterator_tIlEES8_S8_S8_S8_S8_S8_S8_S8_EEEEPS9_S9_NSD_9__find_if7functorIS9_EEEE10hipError_tPvRmT1_T2_T3_mT4_P12ihipStream_tbEUlT_E1_NS1_11comp_targetILNS1_3genE9ELNS1_11target_archE1100ELNS1_3gpuE3ELNS1_3repE0EEENS1_30default_config_static_selectorELNS0_4arch9wavefront6targetE1EEEvS14_
    .private_segment_fixed_size: 0
    .sgpr_count:     6
    .sgpr_spill_count: 0
    .symbol:         _ZN7rocprim17ROCPRIM_400000_NS6detail17trampoline_kernelINS0_14default_configENS1_22reduce_config_selectorIN6thrust23THRUST_200600_302600_NS5tupleIblNS6_9null_typeES8_S8_S8_S8_S8_S8_S8_EEEEZNS1_11reduce_implILb1ES3_NS6_12zip_iteratorINS7_INS6_11hip_rocprim26transform_input_iterator_tIbNSD_35transform_pair_of_input_iterators_tIbNS6_6detail15normal_iteratorINS6_10device_ptrIKsEEEESL_NS6_8equal_toIsEEEENSG_9not_fun_tINSD_8identityEEEEENSD_19counting_iterator_tIlEES8_S8_S8_S8_S8_S8_S8_S8_EEEEPS9_S9_NSD_9__find_if7functorIS9_EEEE10hipError_tPvRmT1_T2_T3_mT4_P12ihipStream_tbEUlT_E1_NS1_11comp_targetILNS1_3genE9ELNS1_11target_archE1100ELNS1_3gpuE3ELNS1_3repE0EEENS1_30default_config_static_selectorELNS0_4arch9wavefront6targetE1EEEvS14_.kd
    .uniform_work_group_size: 1
    .uses_dynamic_stack: false
    .vgpr_count:     0
    .vgpr_spill_count: 0
    .wavefront_size: 64
  - .agpr_count:     0
    .args:
      - .offset:         0
        .size:           88
        .value_kind:     by_value
    .group_segment_fixed_size: 0
    .kernarg_segment_align: 8
    .kernarg_segment_size: 88
    .language:       OpenCL C
    .language_version:
      - 2
      - 0
    .max_flat_workgroup_size: 256
    .name:           _ZN7rocprim17ROCPRIM_400000_NS6detail17trampoline_kernelINS0_14default_configENS1_22reduce_config_selectorIN6thrust23THRUST_200600_302600_NS5tupleIblNS6_9null_typeES8_S8_S8_S8_S8_S8_S8_EEEEZNS1_11reduce_implILb1ES3_NS6_12zip_iteratorINS7_INS6_11hip_rocprim26transform_input_iterator_tIbNSD_35transform_pair_of_input_iterators_tIbNS6_6detail15normal_iteratorINS6_10device_ptrIKsEEEESL_NS6_8equal_toIsEEEENSG_9not_fun_tINSD_8identityEEEEENSD_19counting_iterator_tIlEES8_S8_S8_S8_S8_S8_S8_S8_EEEEPS9_S9_NSD_9__find_if7functorIS9_EEEE10hipError_tPvRmT1_T2_T3_mT4_P12ihipStream_tbEUlT_E1_NS1_11comp_targetILNS1_3genE8ELNS1_11target_archE1030ELNS1_3gpuE2ELNS1_3repE0EEENS1_30default_config_static_selectorELNS0_4arch9wavefront6targetE1EEEvS14_
    .private_segment_fixed_size: 0
    .sgpr_count:     6
    .sgpr_spill_count: 0
    .symbol:         _ZN7rocprim17ROCPRIM_400000_NS6detail17trampoline_kernelINS0_14default_configENS1_22reduce_config_selectorIN6thrust23THRUST_200600_302600_NS5tupleIblNS6_9null_typeES8_S8_S8_S8_S8_S8_S8_EEEEZNS1_11reduce_implILb1ES3_NS6_12zip_iteratorINS7_INS6_11hip_rocprim26transform_input_iterator_tIbNSD_35transform_pair_of_input_iterators_tIbNS6_6detail15normal_iteratorINS6_10device_ptrIKsEEEESL_NS6_8equal_toIsEEEENSG_9not_fun_tINSD_8identityEEEEENSD_19counting_iterator_tIlEES8_S8_S8_S8_S8_S8_S8_S8_EEEEPS9_S9_NSD_9__find_if7functorIS9_EEEE10hipError_tPvRmT1_T2_T3_mT4_P12ihipStream_tbEUlT_E1_NS1_11comp_targetILNS1_3genE8ELNS1_11target_archE1030ELNS1_3gpuE2ELNS1_3repE0EEENS1_30default_config_static_selectorELNS0_4arch9wavefront6targetE1EEEvS14_.kd
    .uniform_work_group_size: 1
    .uses_dynamic_stack: false
    .vgpr_count:     0
    .vgpr_spill_count: 0
    .wavefront_size: 64
  - .agpr_count:     0
    .args:
      - .offset:         0
        .size:           48
        .value_kind:     by_value
      - .offset:         48
        .size:           4
        .value_kind:     hidden_block_count_x
      - .offset:         52
        .size:           4
        .value_kind:     hidden_block_count_y
      - .offset:         56
        .size:           4
        .value_kind:     hidden_block_count_z
      - .offset:         60
        .size:           2
        .value_kind:     hidden_group_size_x
      - .offset:         62
        .size:           2
        .value_kind:     hidden_group_size_y
      - .offset:         64
        .size:           2
        .value_kind:     hidden_group_size_z
      - .offset:         66
        .size:           2
        .value_kind:     hidden_remainder_x
      - .offset:         68
        .size:           2
        .value_kind:     hidden_remainder_y
      - .offset:         70
        .size:           2
        .value_kind:     hidden_remainder_z
      - .offset:         88
        .size:           8
        .value_kind:     hidden_global_offset_x
      - .offset:         96
        .size:           8
        .value_kind:     hidden_global_offset_y
      - .offset:         104
        .size:           8
        .value_kind:     hidden_global_offset_z
      - .offset:         112
        .size:           2
        .value_kind:     hidden_grid_dims
    .group_segment_fixed_size: 4112
    .kernarg_segment_align: 8
    .kernarg_segment_size: 304
    .language:       OpenCL C
    .language_version:
      - 2
      - 0
    .max_flat_workgroup_size: 256
    .name:           _ZN7rocprim17ROCPRIM_400000_NS6detail17trampoline_kernelINS0_13kernel_configILj256ELj4ELj4294967295EEENS1_37radix_sort_block_sort_config_selectorIiiEEZNS1_21radix_sort_block_sortIS4_Lb1EN6thrust23THRUST_200600_302600_NS6detail15normal_iteratorINS9_10device_ptrIiEEEESE_SE_SE_NS0_19identity_decomposerEEE10hipError_tT1_T2_T3_T4_jRjT5_jjP12ihipStream_tbEUlT_E_NS1_11comp_targetILNS1_3genE0ELNS1_11target_archE4294967295ELNS1_3gpuE0ELNS1_3repE0EEENS1_44radix_sort_block_sort_config_static_selectorELNS0_4arch9wavefront6targetE1EEEvSH_
    .private_segment_fixed_size: 0
    .sgpr_count:     52
    .sgpr_spill_count: 0
    .symbol:         _ZN7rocprim17ROCPRIM_400000_NS6detail17trampoline_kernelINS0_13kernel_configILj256ELj4ELj4294967295EEENS1_37radix_sort_block_sort_config_selectorIiiEEZNS1_21radix_sort_block_sortIS4_Lb1EN6thrust23THRUST_200600_302600_NS6detail15normal_iteratorINS9_10device_ptrIiEEEESE_SE_SE_NS0_19identity_decomposerEEE10hipError_tT1_T2_T3_T4_jRjT5_jjP12ihipStream_tbEUlT_E_NS1_11comp_targetILNS1_3genE0ELNS1_11target_archE4294967295ELNS1_3gpuE0ELNS1_3repE0EEENS1_44radix_sort_block_sort_config_static_selectorELNS0_4arch9wavefront6targetE1EEEvSH_.kd
    .uniform_work_group_size: 1
    .uses_dynamic_stack: false
    .vgpr_count:     40
    .vgpr_spill_count: 0
    .wavefront_size: 64
  - .agpr_count:     0
    .args:
      - .offset:         0
        .size:           48
        .value_kind:     by_value
    .group_segment_fixed_size: 0
    .kernarg_segment_align: 8
    .kernarg_segment_size: 48
    .language:       OpenCL C
    .language_version:
      - 2
      - 0
    .max_flat_workgroup_size: 256
    .name:           _ZN7rocprim17ROCPRIM_400000_NS6detail17trampoline_kernelINS0_13kernel_configILj256ELj4ELj4294967295EEENS1_37radix_sort_block_sort_config_selectorIiiEEZNS1_21radix_sort_block_sortIS4_Lb1EN6thrust23THRUST_200600_302600_NS6detail15normal_iteratorINS9_10device_ptrIiEEEESE_SE_SE_NS0_19identity_decomposerEEE10hipError_tT1_T2_T3_T4_jRjT5_jjP12ihipStream_tbEUlT_E_NS1_11comp_targetILNS1_3genE5ELNS1_11target_archE942ELNS1_3gpuE9ELNS1_3repE0EEENS1_44radix_sort_block_sort_config_static_selectorELNS0_4arch9wavefront6targetE1EEEvSH_
    .private_segment_fixed_size: 0
    .sgpr_count:     6
    .sgpr_spill_count: 0
    .symbol:         _ZN7rocprim17ROCPRIM_400000_NS6detail17trampoline_kernelINS0_13kernel_configILj256ELj4ELj4294967295EEENS1_37radix_sort_block_sort_config_selectorIiiEEZNS1_21radix_sort_block_sortIS4_Lb1EN6thrust23THRUST_200600_302600_NS6detail15normal_iteratorINS9_10device_ptrIiEEEESE_SE_SE_NS0_19identity_decomposerEEE10hipError_tT1_T2_T3_T4_jRjT5_jjP12ihipStream_tbEUlT_E_NS1_11comp_targetILNS1_3genE5ELNS1_11target_archE942ELNS1_3gpuE9ELNS1_3repE0EEENS1_44radix_sort_block_sort_config_static_selectorELNS0_4arch9wavefront6targetE1EEEvSH_.kd
    .uniform_work_group_size: 1
    .uses_dynamic_stack: false
    .vgpr_count:     0
    .vgpr_spill_count: 0
    .wavefront_size: 64
  - .agpr_count:     0
    .args:
      - .offset:         0
        .size:           48
        .value_kind:     by_value
    .group_segment_fixed_size: 0
    .kernarg_segment_align: 8
    .kernarg_segment_size: 48
    .language:       OpenCL C
    .language_version:
      - 2
      - 0
    .max_flat_workgroup_size: 256
    .name:           _ZN7rocprim17ROCPRIM_400000_NS6detail17trampoline_kernelINS0_13kernel_configILj256ELj4ELj4294967295EEENS1_37radix_sort_block_sort_config_selectorIiiEEZNS1_21radix_sort_block_sortIS4_Lb1EN6thrust23THRUST_200600_302600_NS6detail15normal_iteratorINS9_10device_ptrIiEEEESE_SE_SE_NS0_19identity_decomposerEEE10hipError_tT1_T2_T3_T4_jRjT5_jjP12ihipStream_tbEUlT_E_NS1_11comp_targetILNS1_3genE4ELNS1_11target_archE910ELNS1_3gpuE8ELNS1_3repE0EEENS1_44radix_sort_block_sort_config_static_selectorELNS0_4arch9wavefront6targetE1EEEvSH_
    .private_segment_fixed_size: 0
    .sgpr_count:     6
    .sgpr_spill_count: 0
    .symbol:         _ZN7rocprim17ROCPRIM_400000_NS6detail17trampoline_kernelINS0_13kernel_configILj256ELj4ELj4294967295EEENS1_37radix_sort_block_sort_config_selectorIiiEEZNS1_21radix_sort_block_sortIS4_Lb1EN6thrust23THRUST_200600_302600_NS6detail15normal_iteratorINS9_10device_ptrIiEEEESE_SE_SE_NS0_19identity_decomposerEEE10hipError_tT1_T2_T3_T4_jRjT5_jjP12ihipStream_tbEUlT_E_NS1_11comp_targetILNS1_3genE4ELNS1_11target_archE910ELNS1_3gpuE8ELNS1_3repE0EEENS1_44radix_sort_block_sort_config_static_selectorELNS0_4arch9wavefront6targetE1EEEvSH_.kd
    .uniform_work_group_size: 1
    .uses_dynamic_stack: false
    .vgpr_count:     0
    .vgpr_spill_count: 0
    .wavefront_size: 64
  - .agpr_count:     0
    .args:
      - .offset:         0
        .size:           48
        .value_kind:     by_value
    .group_segment_fixed_size: 0
    .kernarg_segment_align: 8
    .kernarg_segment_size: 48
    .language:       OpenCL C
    .language_version:
      - 2
      - 0
    .max_flat_workgroup_size: 256
    .name:           _ZN7rocprim17ROCPRIM_400000_NS6detail17trampoline_kernelINS0_13kernel_configILj256ELj4ELj4294967295EEENS1_37radix_sort_block_sort_config_selectorIiiEEZNS1_21radix_sort_block_sortIS4_Lb1EN6thrust23THRUST_200600_302600_NS6detail15normal_iteratorINS9_10device_ptrIiEEEESE_SE_SE_NS0_19identity_decomposerEEE10hipError_tT1_T2_T3_T4_jRjT5_jjP12ihipStream_tbEUlT_E_NS1_11comp_targetILNS1_3genE3ELNS1_11target_archE908ELNS1_3gpuE7ELNS1_3repE0EEENS1_44radix_sort_block_sort_config_static_selectorELNS0_4arch9wavefront6targetE1EEEvSH_
    .private_segment_fixed_size: 0
    .sgpr_count:     6
    .sgpr_spill_count: 0
    .symbol:         _ZN7rocprim17ROCPRIM_400000_NS6detail17trampoline_kernelINS0_13kernel_configILj256ELj4ELj4294967295EEENS1_37radix_sort_block_sort_config_selectorIiiEEZNS1_21radix_sort_block_sortIS4_Lb1EN6thrust23THRUST_200600_302600_NS6detail15normal_iteratorINS9_10device_ptrIiEEEESE_SE_SE_NS0_19identity_decomposerEEE10hipError_tT1_T2_T3_T4_jRjT5_jjP12ihipStream_tbEUlT_E_NS1_11comp_targetILNS1_3genE3ELNS1_11target_archE908ELNS1_3gpuE7ELNS1_3repE0EEENS1_44radix_sort_block_sort_config_static_selectorELNS0_4arch9wavefront6targetE1EEEvSH_.kd
    .uniform_work_group_size: 1
    .uses_dynamic_stack: false
    .vgpr_count:     0
    .vgpr_spill_count: 0
    .wavefront_size: 64
  - .agpr_count:     0
    .args:
      - .offset:         0
        .size:           48
        .value_kind:     by_value
    .group_segment_fixed_size: 0
    .kernarg_segment_align: 8
    .kernarg_segment_size: 48
    .language:       OpenCL C
    .language_version:
      - 2
      - 0
    .max_flat_workgroup_size: 256
    .name:           _ZN7rocprim17ROCPRIM_400000_NS6detail17trampoline_kernelINS0_13kernel_configILj256ELj4ELj4294967295EEENS1_37radix_sort_block_sort_config_selectorIiiEEZNS1_21radix_sort_block_sortIS4_Lb1EN6thrust23THRUST_200600_302600_NS6detail15normal_iteratorINS9_10device_ptrIiEEEESE_SE_SE_NS0_19identity_decomposerEEE10hipError_tT1_T2_T3_T4_jRjT5_jjP12ihipStream_tbEUlT_E_NS1_11comp_targetILNS1_3genE2ELNS1_11target_archE906ELNS1_3gpuE6ELNS1_3repE0EEENS1_44radix_sort_block_sort_config_static_selectorELNS0_4arch9wavefront6targetE1EEEvSH_
    .private_segment_fixed_size: 0
    .sgpr_count:     6
    .sgpr_spill_count: 0
    .symbol:         _ZN7rocprim17ROCPRIM_400000_NS6detail17trampoline_kernelINS0_13kernel_configILj256ELj4ELj4294967295EEENS1_37radix_sort_block_sort_config_selectorIiiEEZNS1_21radix_sort_block_sortIS4_Lb1EN6thrust23THRUST_200600_302600_NS6detail15normal_iteratorINS9_10device_ptrIiEEEESE_SE_SE_NS0_19identity_decomposerEEE10hipError_tT1_T2_T3_T4_jRjT5_jjP12ihipStream_tbEUlT_E_NS1_11comp_targetILNS1_3genE2ELNS1_11target_archE906ELNS1_3gpuE6ELNS1_3repE0EEENS1_44radix_sort_block_sort_config_static_selectorELNS0_4arch9wavefront6targetE1EEEvSH_.kd
    .uniform_work_group_size: 1
    .uses_dynamic_stack: false
    .vgpr_count:     0
    .vgpr_spill_count: 0
    .wavefront_size: 64
  - .agpr_count:     0
    .args:
      - .offset:         0
        .size:           48
        .value_kind:     by_value
    .group_segment_fixed_size: 0
    .kernarg_segment_align: 8
    .kernarg_segment_size: 48
    .language:       OpenCL C
    .language_version:
      - 2
      - 0
    .max_flat_workgroup_size: 256
    .name:           _ZN7rocprim17ROCPRIM_400000_NS6detail17trampoline_kernelINS0_13kernel_configILj256ELj4ELj4294967295EEENS1_37radix_sort_block_sort_config_selectorIiiEEZNS1_21radix_sort_block_sortIS4_Lb1EN6thrust23THRUST_200600_302600_NS6detail15normal_iteratorINS9_10device_ptrIiEEEESE_SE_SE_NS0_19identity_decomposerEEE10hipError_tT1_T2_T3_T4_jRjT5_jjP12ihipStream_tbEUlT_E_NS1_11comp_targetILNS1_3genE10ELNS1_11target_archE1201ELNS1_3gpuE5ELNS1_3repE0EEENS1_44radix_sort_block_sort_config_static_selectorELNS0_4arch9wavefront6targetE1EEEvSH_
    .private_segment_fixed_size: 0
    .sgpr_count:     6
    .sgpr_spill_count: 0
    .symbol:         _ZN7rocprim17ROCPRIM_400000_NS6detail17trampoline_kernelINS0_13kernel_configILj256ELj4ELj4294967295EEENS1_37radix_sort_block_sort_config_selectorIiiEEZNS1_21radix_sort_block_sortIS4_Lb1EN6thrust23THRUST_200600_302600_NS6detail15normal_iteratorINS9_10device_ptrIiEEEESE_SE_SE_NS0_19identity_decomposerEEE10hipError_tT1_T2_T3_T4_jRjT5_jjP12ihipStream_tbEUlT_E_NS1_11comp_targetILNS1_3genE10ELNS1_11target_archE1201ELNS1_3gpuE5ELNS1_3repE0EEENS1_44radix_sort_block_sort_config_static_selectorELNS0_4arch9wavefront6targetE1EEEvSH_.kd
    .uniform_work_group_size: 1
    .uses_dynamic_stack: false
    .vgpr_count:     0
    .vgpr_spill_count: 0
    .wavefront_size: 64
  - .agpr_count:     0
    .args:
      - .offset:         0
        .size:           48
        .value_kind:     by_value
    .group_segment_fixed_size: 0
    .kernarg_segment_align: 8
    .kernarg_segment_size: 48
    .language:       OpenCL C
    .language_version:
      - 2
      - 0
    .max_flat_workgroup_size: 256
    .name:           _ZN7rocprim17ROCPRIM_400000_NS6detail17trampoline_kernelINS0_13kernel_configILj256ELj4ELj4294967295EEENS1_37radix_sort_block_sort_config_selectorIiiEEZNS1_21radix_sort_block_sortIS4_Lb1EN6thrust23THRUST_200600_302600_NS6detail15normal_iteratorINS9_10device_ptrIiEEEESE_SE_SE_NS0_19identity_decomposerEEE10hipError_tT1_T2_T3_T4_jRjT5_jjP12ihipStream_tbEUlT_E_NS1_11comp_targetILNS1_3genE10ELNS1_11target_archE1200ELNS1_3gpuE4ELNS1_3repE0EEENS1_44radix_sort_block_sort_config_static_selectorELNS0_4arch9wavefront6targetE1EEEvSH_
    .private_segment_fixed_size: 0
    .sgpr_count:     6
    .sgpr_spill_count: 0
    .symbol:         _ZN7rocprim17ROCPRIM_400000_NS6detail17trampoline_kernelINS0_13kernel_configILj256ELj4ELj4294967295EEENS1_37radix_sort_block_sort_config_selectorIiiEEZNS1_21radix_sort_block_sortIS4_Lb1EN6thrust23THRUST_200600_302600_NS6detail15normal_iteratorINS9_10device_ptrIiEEEESE_SE_SE_NS0_19identity_decomposerEEE10hipError_tT1_T2_T3_T4_jRjT5_jjP12ihipStream_tbEUlT_E_NS1_11comp_targetILNS1_3genE10ELNS1_11target_archE1200ELNS1_3gpuE4ELNS1_3repE0EEENS1_44radix_sort_block_sort_config_static_selectorELNS0_4arch9wavefront6targetE1EEEvSH_.kd
    .uniform_work_group_size: 1
    .uses_dynamic_stack: false
    .vgpr_count:     0
    .vgpr_spill_count: 0
    .wavefront_size: 64
  - .agpr_count:     0
    .args:
      - .offset:         0
        .size:           48
        .value_kind:     by_value
    .group_segment_fixed_size: 0
    .kernarg_segment_align: 8
    .kernarg_segment_size: 48
    .language:       OpenCL C
    .language_version:
      - 2
      - 0
    .max_flat_workgroup_size: 256
    .name:           _ZN7rocprim17ROCPRIM_400000_NS6detail17trampoline_kernelINS0_13kernel_configILj256ELj4ELj4294967295EEENS1_37radix_sort_block_sort_config_selectorIiiEEZNS1_21radix_sort_block_sortIS4_Lb1EN6thrust23THRUST_200600_302600_NS6detail15normal_iteratorINS9_10device_ptrIiEEEESE_SE_SE_NS0_19identity_decomposerEEE10hipError_tT1_T2_T3_T4_jRjT5_jjP12ihipStream_tbEUlT_E_NS1_11comp_targetILNS1_3genE9ELNS1_11target_archE1100ELNS1_3gpuE3ELNS1_3repE0EEENS1_44radix_sort_block_sort_config_static_selectorELNS0_4arch9wavefront6targetE1EEEvSH_
    .private_segment_fixed_size: 0
    .sgpr_count:     6
    .sgpr_spill_count: 0
    .symbol:         _ZN7rocprim17ROCPRIM_400000_NS6detail17trampoline_kernelINS0_13kernel_configILj256ELj4ELj4294967295EEENS1_37radix_sort_block_sort_config_selectorIiiEEZNS1_21radix_sort_block_sortIS4_Lb1EN6thrust23THRUST_200600_302600_NS6detail15normal_iteratorINS9_10device_ptrIiEEEESE_SE_SE_NS0_19identity_decomposerEEE10hipError_tT1_T2_T3_T4_jRjT5_jjP12ihipStream_tbEUlT_E_NS1_11comp_targetILNS1_3genE9ELNS1_11target_archE1100ELNS1_3gpuE3ELNS1_3repE0EEENS1_44radix_sort_block_sort_config_static_selectorELNS0_4arch9wavefront6targetE1EEEvSH_.kd
    .uniform_work_group_size: 1
    .uses_dynamic_stack: false
    .vgpr_count:     0
    .vgpr_spill_count: 0
    .wavefront_size: 64
  - .agpr_count:     0
    .args:
      - .offset:         0
        .size:           48
        .value_kind:     by_value
    .group_segment_fixed_size: 0
    .kernarg_segment_align: 8
    .kernarg_segment_size: 48
    .language:       OpenCL C
    .language_version:
      - 2
      - 0
    .max_flat_workgroup_size: 256
    .name:           _ZN7rocprim17ROCPRIM_400000_NS6detail17trampoline_kernelINS0_13kernel_configILj256ELj4ELj4294967295EEENS1_37radix_sort_block_sort_config_selectorIiiEEZNS1_21radix_sort_block_sortIS4_Lb1EN6thrust23THRUST_200600_302600_NS6detail15normal_iteratorINS9_10device_ptrIiEEEESE_SE_SE_NS0_19identity_decomposerEEE10hipError_tT1_T2_T3_T4_jRjT5_jjP12ihipStream_tbEUlT_E_NS1_11comp_targetILNS1_3genE8ELNS1_11target_archE1030ELNS1_3gpuE2ELNS1_3repE0EEENS1_44radix_sort_block_sort_config_static_selectorELNS0_4arch9wavefront6targetE1EEEvSH_
    .private_segment_fixed_size: 0
    .sgpr_count:     6
    .sgpr_spill_count: 0
    .symbol:         _ZN7rocprim17ROCPRIM_400000_NS6detail17trampoline_kernelINS0_13kernel_configILj256ELj4ELj4294967295EEENS1_37radix_sort_block_sort_config_selectorIiiEEZNS1_21radix_sort_block_sortIS4_Lb1EN6thrust23THRUST_200600_302600_NS6detail15normal_iteratorINS9_10device_ptrIiEEEESE_SE_SE_NS0_19identity_decomposerEEE10hipError_tT1_T2_T3_T4_jRjT5_jjP12ihipStream_tbEUlT_E_NS1_11comp_targetILNS1_3genE8ELNS1_11target_archE1030ELNS1_3gpuE2ELNS1_3repE0EEENS1_44radix_sort_block_sort_config_static_selectorELNS0_4arch9wavefront6targetE1EEEvSH_.kd
    .uniform_work_group_size: 1
    .uses_dynamic_stack: false
    .vgpr_count:     0
    .vgpr_spill_count: 0
    .wavefront_size: 64
  - .agpr_count:     0
    .args:
      - .offset:         0
        .size:           40
        .value_kind:     by_value
    .group_segment_fixed_size: 0
    .kernarg_segment_align: 8
    .kernarg_segment_size: 40
    .language:       OpenCL C
    .language_version:
      - 2
      - 0
    .max_flat_workgroup_size: 128
    .name:           _ZN7rocprim17ROCPRIM_400000_NS6detail17trampoline_kernelINS0_14default_configENS1_38merge_sort_block_merge_config_selectorIiiEEZZNS1_27merge_sort_block_merge_implIS3_N6thrust23THRUST_200600_302600_NS6detail15normal_iteratorINS8_10device_ptrIiEEEESD_jNS1_19radix_merge_compareILb1ELb0EiNS0_19identity_decomposerEEEEE10hipError_tT0_T1_T2_jT3_P12ihipStream_tbPNSt15iterator_traitsISI_E10value_typeEPNSO_ISJ_E10value_typeEPSK_NS1_7vsmem_tEENKUlT_SI_SJ_SK_E_clIPiSD_S10_SD_EESH_SX_SI_SJ_SK_EUlSX_E_NS1_11comp_targetILNS1_3genE0ELNS1_11target_archE4294967295ELNS1_3gpuE0ELNS1_3repE0EEENS1_48merge_mergepath_partition_config_static_selectorELNS0_4arch9wavefront6targetE1EEEvSJ_
    .private_segment_fixed_size: 0
    .sgpr_count:     14
    .sgpr_spill_count: 0
    .symbol:         _ZN7rocprim17ROCPRIM_400000_NS6detail17trampoline_kernelINS0_14default_configENS1_38merge_sort_block_merge_config_selectorIiiEEZZNS1_27merge_sort_block_merge_implIS3_N6thrust23THRUST_200600_302600_NS6detail15normal_iteratorINS8_10device_ptrIiEEEESD_jNS1_19radix_merge_compareILb1ELb0EiNS0_19identity_decomposerEEEEE10hipError_tT0_T1_T2_jT3_P12ihipStream_tbPNSt15iterator_traitsISI_E10value_typeEPNSO_ISJ_E10value_typeEPSK_NS1_7vsmem_tEENKUlT_SI_SJ_SK_E_clIPiSD_S10_SD_EESH_SX_SI_SJ_SK_EUlSX_E_NS1_11comp_targetILNS1_3genE0ELNS1_11target_archE4294967295ELNS1_3gpuE0ELNS1_3repE0EEENS1_48merge_mergepath_partition_config_static_selectorELNS0_4arch9wavefront6targetE1EEEvSJ_.kd
    .uniform_work_group_size: 1
    .uses_dynamic_stack: false
    .vgpr_count:     17
    .vgpr_spill_count: 0
    .wavefront_size: 64
  - .agpr_count:     0
    .args:
      - .offset:         0
        .size:           40
        .value_kind:     by_value
    .group_segment_fixed_size: 0
    .kernarg_segment_align: 8
    .kernarg_segment_size: 40
    .language:       OpenCL C
    .language_version:
      - 2
      - 0
    .max_flat_workgroup_size: 128
    .name:           _ZN7rocprim17ROCPRIM_400000_NS6detail17trampoline_kernelINS0_14default_configENS1_38merge_sort_block_merge_config_selectorIiiEEZZNS1_27merge_sort_block_merge_implIS3_N6thrust23THRUST_200600_302600_NS6detail15normal_iteratorINS8_10device_ptrIiEEEESD_jNS1_19radix_merge_compareILb1ELb0EiNS0_19identity_decomposerEEEEE10hipError_tT0_T1_T2_jT3_P12ihipStream_tbPNSt15iterator_traitsISI_E10value_typeEPNSO_ISJ_E10value_typeEPSK_NS1_7vsmem_tEENKUlT_SI_SJ_SK_E_clIPiSD_S10_SD_EESH_SX_SI_SJ_SK_EUlSX_E_NS1_11comp_targetILNS1_3genE10ELNS1_11target_archE1201ELNS1_3gpuE5ELNS1_3repE0EEENS1_48merge_mergepath_partition_config_static_selectorELNS0_4arch9wavefront6targetE1EEEvSJ_
    .private_segment_fixed_size: 0
    .sgpr_count:     6
    .sgpr_spill_count: 0
    .symbol:         _ZN7rocprim17ROCPRIM_400000_NS6detail17trampoline_kernelINS0_14default_configENS1_38merge_sort_block_merge_config_selectorIiiEEZZNS1_27merge_sort_block_merge_implIS3_N6thrust23THRUST_200600_302600_NS6detail15normal_iteratorINS8_10device_ptrIiEEEESD_jNS1_19radix_merge_compareILb1ELb0EiNS0_19identity_decomposerEEEEE10hipError_tT0_T1_T2_jT3_P12ihipStream_tbPNSt15iterator_traitsISI_E10value_typeEPNSO_ISJ_E10value_typeEPSK_NS1_7vsmem_tEENKUlT_SI_SJ_SK_E_clIPiSD_S10_SD_EESH_SX_SI_SJ_SK_EUlSX_E_NS1_11comp_targetILNS1_3genE10ELNS1_11target_archE1201ELNS1_3gpuE5ELNS1_3repE0EEENS1_48merge_mergepath_partition_config_static_selectorELNS0_4arch9wavefront6targetE1EEEvSJ_.kd
    .uniform_work_group_size: 1
    .uses_dynamic_stack: false
    .vgpr_count:     0
    .vgpr_spill_count: 0
    .wavefront_size: 64
  - .agpr_count:     0
    .args:
      - .offset:         0
        .size:           40
        .value_kind:     by_value
    .group_segment_fixed_size: 0
    .kernarg_segment_align: 8
    .kernarg_segment_size: 40
    .language:       OpenCL C
    .language_version:
      - 2
      - 0
    .max_flat_workgroup_size: 128
    .name:           _ZN7rocprim17ROCPRIM_400000_NS6detail17trampoline_kernelINS0_14default_configENS1_38merge_sort_block_merge_config_selectorIiiEEZZNS1_27merge_sort_block_merge_implIS3_N6thrust23THRUST_200600_302600_NS6detail15normal_iteratorINS8_10device_ptrIiEEEESD_jNS1_19radix_merge_compareILb1ELb0EiNS0_19identity_decomposerEEEEE10hipError_tT0_T1_T2_jT3_P12ihipStream_tbPNSt15iterator_traitsISI_E10value_typeEPNSO_ISJ_E10value_typeEPSK_NS1_7vsmem_tEENKUlT_SI_SJ_SK_E_clIPiSD_S10_SD_EESH_SX_SI_SJ_SK_EUlSX_E_NS1_11comp_targetILNS1_3genE5ELNS1_11target_archE942ELNS1_3gpuE9ELNS1_3repE0EEENS1_48merge_mergepath_partition_config_static_selectorELNS0_4arch9wavefront6targetE1EEEvSJ_
    .private_segment_fixed_size: 0
    .sgpr_count:     6
    .sgpr_spill_count: 0
    .symbol:         _ZN7rocprim17ROCPRIM_400000_NS6detail17trampoline_kernelINS0_14default_configENS1_38merge_sort_block_merge_config_selectorIiiEEZZNS1_27merge_sort_block_merge_implIS3_N6thrust23THRUST_200600_302600_NS6detail15normal_iteratorINS8_10device_ptrIiEEEESD_jNS1_19radix_merge_compareILb1ELb0EiNS0_19identity_decomposerEEEEE10hipError_tT0_T1_T2_jT3_P12ihipStream_tbPNSt15iterator_traitsISI_E10value_typeEPNSO_ISJ_E10value_typeEPSK_NS1_7vsmem_tEENKUlT_SI_SJ_SK_E_clIPiSD_S10_SD_EESH_SX_SI_SJ_SK_EUlSX_E_NS1_11comp_targetILNS1_3genE5ELNS1_11target_archE942ELNS1_3gpuE9ELNS1_3repE0EEENS1_48merge_mergepath_partition_config_static_selectorELNS0_4arch9wavefront6targetE1EEEvSJ_.kd
    .uniform_work_group_size: 1
    .uses_dynamic_stack: false
    .vgpr_count:     0
    .vgpr_spill_count: 0
    .wavefront_size: 64
  - .agpr_count:     0
    .args:
      - .offset:         0
        .size:           40
        .value_kind:     by_value
    .group_segment_fixed_size: 0
    .kernarg_segment_align: 8
    .kernarg_segment_size: 40
    .language:       OpenCL C
    .language_version:
      - 2
      - 0
    .max_flat_workgroup_size: 128
    .name:           _ZN7rocprim17ROCPRIM_400000_NS6detail17trampoline_kernelINS0_14default_configENS1_38merge_sort_block_merge_config_selectorIiiEEZZNS1_27merge_sort_block_merge_implIS3_N6thrust23THRUST_200600_302600_NS6detail15normal_iteratorINS8_10device_ptrIiEEEESD_jNS1_19radix_merge_compareILb1ELb0EiNS0_19identity_decomposerEEEEE10hipError_tT0_T1_T2_jT3_P12ihipStream_tbPNSt15iterator_traitsISI_E10value_typeEPNSO_ISJ_E10value_typeEPSK_NS1_7vsmem_tEENKUlT_SI_SJ_SK_E_clIPiSD_S10_SD_EESH_SX_SI_SJ_SK_EUlSX_E_NS1_11comp_targetILNS1_3genE4ELNS1_11target_archE910ELNS1_3gpuE8ELNS1_3repE0EEENS1_48merge_mergepath_partition_config_static_selectorELNS0_4arch9wavefront6targetE1EEEvSJ_
    .private_segment_fixed_size: 0
    .sgpr_count:     6
    .sgpr_spill_count: 0
    .symbol:         _ZN7rocprim17ROCPRIM_400000_NS6detail17trampoline_kernelINS0_14default_configENS1_38merge_sort_block_merge_config_selectorIiiEEZZNS1_27merge_sort_block_merge_implIS3_N6thrust23THRUST_200600_302600_NS6detail15normal_iteratorINS8_10device_ptrIiEEEESD_jNS1_19radix_merge_compareILb1ELb0EiNS0_19identity_decomposerEEEEE10hipError_tT0_T1_T2_jT3_P12ihipStream_tbPNSt15iterator_traitsISI_E10value_typeEPNSO_ISJ_E10value_typeEPSK_NS1_7vsmem_tEENKUlT_SI_SJ_SK_E_clIPiSD_S10_SD_EESH_SX_SI_SJ_SK_EUlSX_E_NS1_11comp_targetILNS1_3genE4ELNS1_11target_archE910ELNS1_3gpuE8ELNS1_3repE0EEENS1_48merge_mergepath_partition_config_static_selectorELNS0_4arch9wavefront6targetE1EEEvSJ_.kd
    .uniform_work_group_size: 1
    .uses_dynamic_stack: false
    .vgpr_count:     0
    .vgpr_spill_count: 0
    .wavefront_size: 64
  - .agpr_count:     0
    .args:
      - .offset:         0
        .size:           40
        .value_kind:     by_value
    .group_segment_fixed_size: 0
    .kernarg_segment_align: 8
    .kernarg_segment_size: 40
    .language:       OpenCL C
    .language_version:
      - 2
      - 0
    .max_flat_workgroup_size: 128
    .name:           _ZN7rocprim17ROCPRIM_400000_NS6detail17trampoline_kernelINS0_14default_configENS1_38merge_sort_block_merge_config_selectorIiiEEZZNS1_27merge_sort_block_merge_implIS3_N6thrust23THRUST_200600_302600_NS6detail15normal_iteratorINS8_10device_ptrIiEEEESD_jNS1_19radix_merge_compareILb1ELb0EiNS0_19identity_decomposerEEEEE10hipError_tT0_T1_T2_jT3_P12ihipStream_tbPNSt15iterator_traitsISI_E10value_typeEPNSO_ISJ_E10value_typeEPSK_NS1_7vsmem_tEENKUlT_SI_SJ_SK_E_clIPiSD_S10_SD_EESH_SX_SI_SJ_SK_EUlSX_E_NS1_11comp_targetILNS1_3genE3ELNS1_11target_archE908ELNS1_3gpuE7ELNS1_3repE0EEENS1_48merge_mergepath_partition_config_static_selectorELNS0_4arch9wavefront6targetE1EEEvSJ_
    .private_segment_fixed_size: 0
    .sgpr_count:     6
    .sgpr_spill_count: 0
    .symbol:         _ZN7rocprim17ROCPRIM_400000_NS6detail17trampoline_kernelINS0_14default_configENS1_38merge_sort_block_merge_config_selectorIiiEEZZNS1_27merge_sort_block_merge_implIS3_N6thrust23THRUST_200600_302600_NS6detail15normal_iteratorINS8_10device_ptrIiEEEESD_jNS1_19radix_merge_compareILb1ELb0EiNS0_19identity_decomposerEEEEE10hipError_tT0_T1_T2_jT3_P12ihipStream_tbPNSt15iterator_traitsISI_E10value_typeEPNSO_ISJ_E10value_typeEPSK_NS1_7vsmem_tEENKUlT_SI_SJ_SK_E_clIPiSD_S10_SD_EESH_SX_SI_SJ_SK_EUlSX_E_NS1_11comp_targetILNS1_3genE3ELNS1_11target_archE908ELNS1_3gpuE7ELNS1_3repE0EEENS1_48merge_mergepath_partition_config_static_selectorELNS0_4arch9wavefront6targetE1EEEvSJ_.kd
    .uniform_work_group_size: 1
    .uses_dynamic_stack: false
    .vgpr_count:     0
    .vgpr_spill_count: 0
    .wavefront_size: 64
  - .agpr_count:     0
    .args:
      - .offset:         0
        .size:           40
        .value_kind:     by_value
    .group_segment_fixed_size: 0
    .kernarg_segment_align: 8
    .kernarg_segment_size: 40
    .language:       OpenCL C
    .language_version:
      - 2
      - 0
    .max_flat_workgroup_size: 128
    .name:           _ZN7rocprim17ROCPRIM_400000_NS6detail17trampoline_kernelINS0_14default_configENS1_38merge_sort_block_merge_config_selectorIiiEEZZNS1_27merge_sort_block_merge_implIS3_N6thrust23THRUST_200600_302600_NS6detail15normal_iteratorINS8_10device_ptrIiEEEESD_jNS1_19radix_merge_compareILb1ELb0EiNS0_19identity_decomposerEEEEE10hipError_tT0_T1_T2_jT3_P12ihipStream_tbPNSt15iterator_traitsISI_E10value_typeEPNSO_ISJ_E10value_typeEPSK_NS1_7vsmem_tEENKUlT_SI_SJ_SK_E_clIPiSD_S10_SD_EESH_SX_SI_SJ_SK_EUlSX_E_NS1_11comp_targetILNS1_3genE2ELNS1_11target_archE906ELNS1_3gpuE6ELNS1_3repE0EEENS1_48merge_mergepath_partition_config_static_selectorELNS0_4arch9wavefront6targetE1EEEvSJ_
    .private_segment_fixed_size: 0
    .sgpr_count:     6
    .sgpr_spill_count: 0
    .symbol:         _ZN7rocprim17ROCPRIM_400000_NS6detail17trampoline_kernelINS0_14default_configENS1_38merge_sort_block_merge_config_selectorIiiEEZZNS1_27merge_sort_block_merge_implIS3_N6thrust23THRUST_200600_302600_NS6detail15normal_iteratorINS8_10device_ptrIiEEEESD_jNS1_19radix_merge_compareILb1ELb0EiNS0_19identity_decomposerEEEEE10hipError_tT0_T1_T2_jT3_P12ihipStream_tbPNSt15iterator_traitsISI_E10value_typeEPNSO_ISJ_E10value_typeEPSK_NS1_7vsmem_tEENKUlT_SI_SJ_SK_E_clIPiSD_S10_SD_EESH_SX_SI_SJ_SK_EUlSX_E_NS1_11comp_targetILNS1_3genE2ELNS1_11target_archE906ELNS1_3gpuE6ELNS1_3repE0EEENS1_48merge_mergepath_partition_config_static_selectorELNS0_4arch9wavefront6targetE1EEEvSJ_.kd
    .uniform_work_group_size: 1
    .uses_dynamic_stack: false
    .vgpr_count:     0
    .vgpr_spill_count: 0
    .wavefront_size: 64
  - .agpr_count:     0
    .args:
      - .offset:         0
        .size:           40
        .value_kind:     by_value
    .group_segment_fixed_size: 0
    .kernarg_segment_align: 8
    .kernarg_segment_size: 40
    .language:       OpenCL C
    .language_version:
      - 2
      - 0
    .max_flat_workgroup_size: 128
    .name:           _ZN7rocprim17ROCPRIM_400000_NS6detail17trampoline_kernelINS0_14default_configENS1_38merge_sort_block_merge_config_selectorIiiEEZZNS1_27merge_sort_block_merge_implIS3_N6thrust23THRUST_200600_302600_NS6detail15normal_iteratorINS8_10device_ptrIiEEEESD_jNS1_19radix_merge_compareILb1ELb0EiNS0_19identity_decomposerEEEEE10hipError_tT0_T1_T2_jT3_P12ihipStream_tbPNSt15iterator_traitsISI_E10value_typeEPNSO_ISJ_E10value_typeEPSK_NS1_7vsmem_tEENKUlT_SI_SJ_SK_E_clIPiSD_S10_SD_EESH_SX_SI_SJ_SK_EUlSX_E_NS1_11comp_targetILNS1_3genE9ELNS1_11target_archE1100ELNS1_3gpuE3ELNS1_3repE0EEENS1_48merge_mergepath_partition_config_static_selectorELNS0_4arch9wavefront6targetE1EEEvSJ_
    .private_segment_fixed_size: 0
    .sgpr_count:     6
    .sgpr_spill_count: 0
    .symbol:         _ZN7rocprim17ROCPRIM_400000_NS6detail17trampoline_kernelINS0_14default_configENS1_38merge_sort_block_merge_config_selectorIiiEEZZNS1_27merge_sort_block_merge_implIS3_N6thrust23THRUST_200600_302600_NS6detail15normal_iteratorINS8_10device_ptrIiEEEESD_jNS1_19radix_merge_compareILb1ELb0EiNS0_19identity_decomposerEEEEE10hipError_tT0_T1_T2_jT3_P12ihipStream_tbPNSt15iterator_traitsISI_E10value_typeEPNSO_ISJ_E10value_typeEPSK_NS1_7vsmem_tEENKUlT_SI_SJ_SK_E_clIPiSD_S10_SD_EESH_SX_SI_SJ_SK_EUlSX_E_NS1_11comp_targetILNS1_3genE9ELNS1_11target_archE1100ELNS1_3gpuE3ELNS1_3repE0EEENS1_48merge_mergepath_partition_config_static_selectorELNS0_4arch9wavefront6targetE1EEEvSJ_.kd
    .uniform_work_group_size: 1
    .uses_dynamic_stack: false
    .vgpr_count:     0
    .vgpr_spill_count: 0
    .wavefront_size: 64
  - .agpr_count:     0
    .args:
      - .offset:         0
        .size:           40
        .value_kind:     by_value
    .group_segment_fixed_size: 0
    .kernarg_segment_align: 8
    .kernarg_segment_size: 40
    .language:       OpenCL C
    .language_version:
      - 2
      - 0
    .max_flat_workgroup_size: 128
    .name:           _ZN7rocprim17ROCPRIM_400000_NS6detail17trampoline_kernelINS0_14default_configENS1_38merge_sort_block_merge_config_selectorIiiEEZZNS1_27merge_sort_block_merge_implIS3_N6thrust23THRUST_200600_302600_NS6detail15normal_iteratorINS8_10device_ptrIiEEEESD_jNS1_19radix_merge_compareILb1ELb0EiNS0_19identity_decomposerEEEEE10hipError_tT0_T1_T2_jT3_P12ihipStream_tbPNSt15iterator_traitsISI_E10value_typeEPNSO_ISJ_E10value_typeEPSK_NS1_7vsmem_tEENKUlT_SI_SJ_SK_E_clIPiSD_S10_SD_EESH_SX_SI_SJ_SK_EUlSX_E_NS1_11comp_targetILNS1_3genE8ELNS1_11target_archE1030ELNS1_3gpuE2ELNS1_3repE0EEENS1_48merge_mergepath_partition_config_static_selectorELNS0_4arch9wavefront6targetE1EEEvSJ_
    .private_segment_fixed_size: 0
    .sgpr_count:     6
    .sgpr_spill_count: 0
    .symbol:         _ZN7rocprim17ROCPRIM_400000_NS6detail17trampoline_kernelINS0_14default_configENS1_38merge_sort_block_merge_config_selectorIiiEEZZNS1_27merge_sort_block_merge_implIS3_N6thrust23THRUST_200600_302600_NS6detail15normal_iteratorINS8_10device_ptrIiEEEESD_jNS1_19radix_merge_compareILb1ELb0EiNS0_19identity_decomposerEEEEE10hipError_tT0_T1_T2_jT3_P12ihipStream_tbPNSt15iterator_traitsISI_E10value_typeEPNSO_ISJ_E10value_typeEPSK_NS1_7vsmem_tEENKUlT_SI_SJ_SK_E_clIPiSD_S10_SD_EESH_SX_SI_SJ_SK_EUlSX_E_NS1_11comp_targetILNS1_3genE8ELNS1_11target_archE1030ELNS1_3gpuE2ELNS1_3repE0EEENS1_48merge_mergepath_partition_config_static_selectorELNS0_4arch9wavefront6targetE1EEEvSJ_.kd
    .uniform_work_group_size: 1
    .uses_dynamic_stack: false
    .vgpr_count:     0
    .vgpr_spill_count: 0
    .wavefront_size: 64
  - .agpr_count:     0
    .args:
      - .offset:         0
        .size:           64
        .value_kind:     by_value
      - .offset:         64
        .size:           4
        .value_kind:     hidden_block_count_x
      - .offset:         68
        .size:           4
        .value_kind:     hidden_block_count_y
      - .offset:         72
        .size:           4
        .value_kind:     hidden_block_count_z
      - .offset:         76
        .size:           2
        .value_kind:     hidden_group_size_x
      - .offset:         78
        .size:           2
        .value_kind:     hidden_group_size_y
      - .offset:         80
        .size:           2
        .value_kind:     hidden_group_size_z
      - .offset:         82
        .size:           2
        .value_kind:     hidden_remainder_x
      - .offset:         84
        .size:           2
        .value_kind:     hidden_remainder_y
      - .offset:         86
        .size:           2
        .value_kind:     hidden_remainder_z
      - .offset:         104
        .size:           8
        .value_kind:     hidden_global_offset_x
      - .offset:         112
        .size:           8
        .value_kind:     hidden_global_offset_y
      - .offset:         120
        .size:           8
        .value_kind:     hidden_global_offset_z
      - .offset:         128
        .size:           2
        .value_kind:     hidden_grid_dims
    .group_segment_fixed_size: 4224
    .kernarg_segment_align: 8
    .kernarg_segment_size: 320
    .language:       OpenCL C
    .language_version:
      - 2
      - 0
    .max_flat_workgroup_size: 256
    .name:           _ZN7rocprim17ROCPRIM_400000_NS6detail17trampoline_kernelINS0_14default_configENS1_38merge_sort_block_merge_config_selectorIiiEEZZNS1_27merge_sort_block_merge_implIS3_N6thrust23THRUST_200600_302600_NS6detail15normal_iteratorINS8_10device_ptrIiEEEESD_jNS1_19radix_merge_compareILb1ELb0EiNS0_19identity_decomposerEEEEE10hipError_tT0_T1_T2_jT3_P12ihipStream_tbPNSt15iterator_traitsISI_E10value_typeEPNSO_ISJ_E10value_typeEPSK_NS1_7vsmem_tEENKUlT_SI_SJ_SK_E_clIPiSD_S10_SD_EESH_SX_SI_SJ_SK_EUlSX_E0_NS1_11comp_targetILNS1_3genE0ELNS1_11target_archE4294967295ELNS1_3gpuE0ELNS1_3repE0EEENS1_38merge_mergepath_config_static_selectorELNS0_4arch9wavefront6targetE1EEEvSJ_
    .private_segment_fixed_size: 0
    .sgpr_count:     36
    .sgpr_spill_count: 0
    .symbol:         _ZN7rocprim17ROCPRIM_400000_NS6detail17trampoline_kernelINS0_14default_configENS1_38merge_sort_block_merge_config_selectorIiiEEZZNS1_27merge_sort_block_merge_implIS3_N6thrust23THRUST_200600_302600_NS6detail15normal_iteratorINS8_10device_ptrIiEEEESD_jNS1_19radix_merge_compareILb1ELb0EiNS0_19identity_decomposerEEEEE10hipError_tT0_T1_T2_jT3_P12ihipStream_tbPNSt15iterator_traitsISI_E10value_typeEPNSO_ISJ_E10value_typeEPSK_NS1_7vsmem_tEENKUlT_SI_SJ_SK_E_clIPiSD_S10_SD_EESH_SX_SI_SJ_SK_EUlSX_E0_NS1_11comp_targetILNS1_3genE0ELNS1_11target_archE4294967295ELNS1_3gpuE0ELNS1_3repE0EEENS1_38merge_mergepath_config_static_selectorELNS0_4arch9wavefront6targetE1EEEvSJ_.kd
    .uniform_work_group_size: 1
    .uses_dynamic_stack: false
    .vgpr_count:     20
    .vgpr_spill_count: 0
    .wavefront_size: 64
  - .agpr_count:     0
    .args:
      - .offset:         0
        .size:           64
        .value_kind:     by_value
    .group_segment_fixed_size: 0
    .kernarg_segment_align: 8
    .kernarg_segment_size: 64
    .language:       OpenCL C
    .language_version:
      - 2
      - 0
    .max_flat_workgroup_size: 256
    .name:           _ZN7rocprim17ROCPRIM_400000_NS6detail17trampoline_kernelINS0_14default_configENS1_38merge_sort_block_merge_config_selectorIiiEEZZNS1_27merge_sort_block_merge_implIS3_N6thrust23THRUST_200600_302600_NS6detail15normal_iteratorINS8_10device_ptrIiEEEESD_jNS1_19radix_merge_compareILb1ELb0EiNS0_19identity_decomposerEEEEE10hipError_tT0_T1_T2_jT3_P12ihipStream_tbPNSt15iterator_traitsISI_E10value_typeEPNSO_ISJ_E10value_typeEPSK_NS1_7vsmem_tEENKUlT_SI_SJ_SK_E_clIPiSD_S10_SD_EESH_SX_SI_SJ_SK_EUlSX_E0_NS1_11comp_targetILNS1_3genE10ELNS1_11target_archE1201ELNS1_3gpuE5ELNS1_3repE0EEENS1_38merge_mergepath_config_static_selectorELNS0_4arch9wavefront6targetE1EEEvSJ_
    .private_segment_fixed_size: 0
    .sgpr_count:     6
    .sgpr_spill_count: 0
    .symbol:         _ZN7rocprim17ROCPRIM_400000_NS6detail17trampoline_kernelINS0_14default_configENS1_38merge_sort_block_merge_config_selectorIiiEEZZNS1_27merge_sort_block_merge_implIS3_N6thrust23THRUST_200600_302600_NS6detail15normal_iteratorINS8_10device_ptrIiEEEESD_jNS1_19radix_merge_compareILb1ELb0EiNS0_19identity_decomposerEEEEE10hipError_tT0_T1_T2_jT3_P12ihipStream_tbPNSt15iterator_traitsISI_E10value_typeEPNSO_ISJ_E10value_typeEPSK_NS1_7vsmem_tEENKUlT_SI_SJ_SK_E_clIPiSD_S10_SD_EESH_SX_SI_SJ_SK_EUlSX_E0_NS1_11comp_targetILNS1_3genE10ELNS1_11target_archE1201ELNS1_3gpuE5ELNS1_3repE0EEENS1_38merge_mergepath_config_static_selectorELNS0_4arch9wavefront6targetE1EEEvSJ_.kd
    .uniform_work_group_size: 1
    .uses_dynamic_stack: false
    .vgpr_count:     0
    .vgpr_spill_count: 0
    .wavefront_size: 64
  - .agpr_count:     0
    .args:
      - .offset:         0
        .size:           64
        .value_kind:     by_value
    .group_segment_fixed_size: 0
    .kernarg_segment_align: 8
    .kernarg_segment_size: 64
    .language:       OpenCL C
    .language_version:
      - 2
      - 0
    .max_flat_workgroup_size: 128
    .name:           _ZN7rocprim17ROCPRIM_400000_NS6detail17trampoline_kernelINS0_14default_configENS1_38merge_sort_block_merge_config_selectorIiiEEZZNS1_27merge_sort_block_merge_implIS3_N6thrust23THRUST_200600_302600_NS6detail15normal_iteratorINS8_10device_ptrIiEEEESD_jNS1_19radix_merge_compareILb1ELb0EiNS0_19identity_decomposerEEEEE10hipError_tT0_T1_T2_jT3_P12ihipStream_tbPNSt15iterator_traitsISI_E10value_typeEPNSO_ISJ_E10value_typeEPSK_NS1_7vsmem_tEENKUlT_SI_SJ_SK_E_clIPiSD_S10_SD_EESH_SX_SI_SJ_SK_EUlSX_E0_NS1_11comp_targetILNS1_3genE5ELNS1_11target_archE942ELNS1_3gpuE9ELNS1_3repE0EEENS1_38merge_mergepath_config_static_selectorELNS0_4arch9wavefront6targetE1EEEvSJ_
    .private_segment_fixed_size: 0
    .sgpr_count:     6
    .sgpr_spill_count: 0
    .symbol:         _ZN7rocprim17ROCPRIM_400000_NS6detail17trampoline_kernelINS0_14default_configENS1_38merge_sort_block_merge_config_selectorIiiEEZZNS1_27merge_sort_block_merge_implIS3_N6thrust23THRUST_200600_302600_NS6detail15normal_iteratorINS8_10device_ptrIiEEEESD_jNS1_19radix_merge_compareILb1ELb0EiNS0_19identity_decomposerEEEEE10hipError_tT0_T1_T2_jT3_P12ihipStream_tbPNSt15iterator_traitsISI_E10value_typeEPNSO_ISJ_E10value_typeEPSK_NS1_7vsmem_tEENKUlT_SI_SJ_SK_E_clIPiSD_S10_SD_EESH_SX_SI_SJ_SK_EUlSX_E0_NS1_11comp_targetILNS1_3genE5ELNS1_11target_archE942ELNS1_3gpuE9ELNS1_3repE0EEENS1_38merge_mergepath_config_static_selectorELNS0_4arch9wavefront6targetE1EEEvSJ_.kd
    .uniform_work_group_size: 1
    .uses_dynamic_stack: false
    .vgpr_count:     0
    .vgpr_spill_count: 0
    .wavefront_size: 64
  - .agpr_count:     0
    .args:
      - .offset:         0
        .size:           64
        .value_kind:     by_value
    .group_segment_fixed_size: 0
    .kernarg_segment_align: 8
    .kernarg_segment_size: 64
    .language:       OpenCL C
    .language_version:
      - 2
      - 0
    .max_flat_workgroup_size: 256
    .name:           _ZN7rocprim17ROCPRIM_400000_NS6detail17trampoline_kernelINS0_14default_configENS1_38merge_sort_block_merge_config_selectorIiiEEZZNS1_27merge_sort_block_merge_implIS3_N6thrust23THRUST_200600_302600_NS6detail15normal_iteratorINS8_10device_ptrIiEEEESD_jNS1_19radix_merge_compareILb1ELb0EiNS0_19identity_decomposerEEEEE10hipError_tT0_T1_T2_jT3_P12ihipStream_tbPNSt15iterator_traitsISI_E10value_typeEPNSO_ISJ_E10value_typeEPSK_NS1_7vsmem_tEENKUlT_SI_SJ_SK_E_clIPiSD_S10_SD_EESH_SX_SI_SJ_SK_EUlSX_E0_NS1_11comp_targetILNS1_3genE4ELNS1_11target_archE910ELNS1_3gpuE8ELNS1_3repE0EEENS1_38merge_mergepath_config_static_selectorELNS0_4arch9wavefront6targetE1EEEvSJ_
    .private_segment_fixed_size: 0
    .sgpr_count:     6
    .sgpr_spill_count: 0
    .symbol:         _ZN7rocprim17ROCPRIM_400000_NS6detail17trampoline_kernelINS0_14default_configENS1_38merge_sort_block_merge_config_selectorIiiEEZZNS1_27merge_sort_block_merge_implIS3_N6thrust23THRUST_200600_302600_NS6detail15normal_iteratorINS8_10device_ptrIiEEEESD_jNS1_19radix_merge_compareILb1ELb0EiNS0_19identity_decomposerEEEEE10hipError_tT0_T1_T2_jT3_P12ihipStream_tbPNSt15iterator_traitsISI_E10value_typeEPNSO_ISJ_E10value_typeEPSK_NS1_7vsmem_tEENKUlT_SI_SJ_SK_E_clIPiSD_S10_SD_EESH_SX_SI_SJ_SK_EUlSX_E0_NS1_11comp_targetILNS1_3genE4ELNS1_11target_archE910ELNS1_3gpuE8ELNS1_3repE0EEENS1_38merge_mergepath_config_static_selectorELNS0_4arch9wavefront6targetE1EEEvSJ_.kd
    .uniform_work_group_size: 1
    .uses_dynamic_stack: false
    .vgpr_count:     0
    .vgpr_spill_count: 0
    .wavefront_size: 64
  - .agpr_count:     0
    .args:
      - .offset:         0
        .size:           64
        .value_kind:     by_value
    .group_segment_fixed_size: 0
    .kernarg_segment_align: 8
    .kernarg_segment_size: 64
    .language:       OpenCL C
    .language_version:
      - 2
      - 0
    .max_flat_workgroup_size: 256
    .name:           _ZN7rocprim17ROCPRIM_400000_NS6detail17trampoline_kernelINS0_14default_configENS1_38merge_sort_block_merge_config_selectorIiiEEZZNS1_27merge_sort_block_merge_implIS3_N6thrust23THRUST_200600_302600_NS6detail15normal_iteratorINS8_10device_ptrIiEEEESD_jNS1_19radix_merge_compareILb1ELb0EiNS0_19identity_decomposerEEEEE10hipError_tT0_T1_T2_jT3_P12ihipStream_tbPNSt15iterator_traitsISI_E10value_typeEPNSO_ISJ_E10value_typeEPSK_NS1_7vsmem_tEENKUlT_SI_SJ_SK_E_clIPiSD_S10_SD_EESH_SX_SI_SJ_SK_EUlSX_E0_NS1_11comp_targetILNS1_3genE3ELNS1_11target_archE908ELNS1_3gpuE7ELNS1_3repE0EEENS1_38merge_mergepath_config_static_selectorELNS0_4arch9wavefront6targetE1EEEvSJ_
    .private_segment_fixed_size: 0
    .sgpr_count:     6
    .sgpr_spill_count: 0
    .symbol:         _ZN7rocprim17ROCPRIM_400000_NS6detail17trampoline_kernelINS0_14default_configENS1_38merge_sort_block_merge_config_selectorIiiEEZZNS1_27merge_sort_block_merge_implIS3_N6thrust23THRUST_200600_302600_NS6detail15normal_iteratorINS8_10device_ptrIiEEEESD_jNS1_19radix_merge_compareILb1ELb0EiNS0_19identity_decomposerEEEEE10hipError_tT0_T1_T2_jT3_P12ihipStream_tbPNSt15iterator_traitsISI_E10value_typeEPNSO_ISJ_E10value_typeEPSK_NS1_7vsmem_tEENKUlT_SI_SJ_SK_E_clIPiSD_S10_SD_EESH_SX_SI_SJ_SK_EUlSX_E0_NS1_11comp_targetILNS1_3genE3ELNS1_11target_archE908ELNS1_3gpuE7ELNS1_3repE0EEENS1_38merge_mergepath_config_static_selectorELNS0_4arch9wavefront6targetE1EEEvSJ_.kd
    .uniform_work_group_size: 1
    .uses_dynamic_stack: false
    .vgpr_count:     0
    .vgpr_spill_count: 0
    .wavefront_size: 64
  - .agpr_count:     0
    .args:
      - .offset:         0
        .size:           64
        .value_kind:     by_value
    .group_segment_fixed_size: 0
    .kernarg_segment_align: 8
    .kernarg_segment_size: 64
    .language:       OpenCL C
    .language_version:
      - 2
      - 0
    .max_flat_workgroup_size: 256
    .name:           _ZN7rocprim17ROCPRIM_400000_NS6detail17trampoline_kernelINS0_14default_configENS1_38merge_sort_block_merge_config_selectorIiiEEZZNS1_27merge_sort_block_merge_implIS3_N6thrust23THRUST_200600_302600_NS6detail15normal_iteratorINS8_10device_ptrIiEEEESD_jNS1_19radix_merge_compareILb1ELb0EiNS0_19identity_decomposerEEEEE10hipError_tT0_T1_T2_jT3_P12ihipStream_tbPNSt15iterator_traitsISI_E10value_typeEPNSO_ISJ_E10value_typeEPSK_NS1_7vsmem_tEENKUlT_SI_SJ_SK_E_clIPiSD_S10_SD_EESH_SX_SI_SJ_SK_EUlSX_E0_NS1_11comp_targetILNS1_3genE2ELNS1_11target_archE906ELNS1_3gpuE6ELNS1_3repE0EEENS1_38merge_mergepath_config_static_selectorELNS0_4arch9wavefront6targetE1EEEvSJ_
    .private_segment_fixed_size: 0
    .sgpr_count:     6
    .sgpr_spill_count: 0
    .symbol:         _ZN7rocprim17ROCPRIM_400000_NS6detail17trampoline_kernelINS0_14default_configENS1_38merge_sort_block_merge_config_selectorIiiEEZZNS1_27merge_sort_block_merge_implIS3_N6thrust23THRUST_200600_302600_NS6detail15normal_iteratorINS8_10device_ptrIiEEEESD_jNS1_19radix_merge_compareILb1ELb0EiNS0_19identity_decomposerEEEEE10hipError_tT0_T1_T2_jT3_P12ihipStream_tbPNSt15iterator_traitsISI_E10value_typeEPNSO_ISJ_E10value_typeEPSK_NS1_7vsmem_tEENKUlT_SI_SJ_SK_E_clIPiSD_S10_SD_EESH_SX_SI_SJ_SK_EUlSX_E0_NS1_11comp_targetILNS1_3genE2ELNS1_11target_archE906ELNS1_3gpuE6ELNS1_3repE0EEENS1_38merge_mergepath_config_static_selectorELNS0_4arch9wavefront6targetE1EEEvSJ_.kd
    .uniform_work_group_size: 1
    .uses_dynamic_stack: false
    .vgpr_count:     0
    .vgpr_spill_count: 0
    .wavefront_size: 64
  - .agpr_count:     0
    .args:
      - .offset:         0
        .size:           64
        .value_kind:     by_value
    .group_segment_fixed_size: 0
    .kernarg_segment_align: 8
    .kernarg_segment_size: 64
    .language:       OpenCL C
    .language_version:
      - 2
      - 0
    .max_flat_workgroup_size: 512
    .name:           _ZN7rocprim17ROCPRIM_400000_NS6detail17trampoline_kernelINS0_14default_configENS1_38merge_sort_block_merge_config_selectorIiiEEZZNS1_27merge_sort_block_merge_implIS3_N6thrust23THRUST_200600_302600_NS6detail15normal_iteratorINS8_10device_ptrIiEEEESD_jNS1_19radix_merge_compareILb1ELb0EiNS0_19identity_decomposerEEEEE10hipError_tT0_T1_T2_jT3_P12ihipStream_tbPNSt15iterator_traitsISI_E10value_typeEPNSO_ISJ_E10value_typeEPSK_NS1_7vsmem_tEENKUlT_SI_SJ_SK_E_clIPiSD_S10_SD_EESH_SX_SI_SJ_SK_EUlSX_E0_NS1_11comp_targetILNS1_3genE9ELNS1_11target_archE1100ELNS1_3gpuE3ELNS1_3repE0EEENS1_38merge_mergepath_config_static_selectorELNS0_4arch9wavefront6targetE1EEEvSJ_
    .private_segment_fixed_size: 0
    .sgpr_count:     6
    .sgpr_spill_count: 0
    .symbol:         _ZN7rocprim17ROCPRIM_400000_NS6detail17trampoline_kernelINS0_14default_configENS1_38merge_sort_block_merge_config_selectorIiiEEZZNS1_27merge_sort_block_merge_implIS3_N6thrust23THRUST_200600_302600_NS6detail15normal_iteratorINS8_10device_ptrIiEEEESD_jNS1_19radix_merge_compareILb1ELb0EiNS0_19identity_decomposerEEEEE10hipError_tT0_T1_T2_jT3_P12ihipStream_tbPNSt15iterator_traitsISI_E10value_typeEPNSO_ISJ_E10value_typeEPSK_NS1_7vsmem_tEENKUlT_SI_SJ_SK_E_clIPiSD_S10_SD_EESH_SX_SI_SJ_SK_EUlSX_E0_NS1_11comp_targetILNS1_3genE9ELNS1_11target_archE1100ELNS1_3gpuE3ELNS1_3repE0EEENS1_38merge_mergepath_config_static_selectorELNS0_4arch9wavefront6targetE1EEEvSJ_.kd
    .uniform_work_group_size: 1
    .uses_dynamic_stack: false
    .vgpr_count:     0
    .vgpr_spill_count: 0
    .wavefront_size: 64
  - .agpr_count:     0
    .args:
      - .offset:         0
        .size:           64
        .value_kind:     by_value
    .group_segment_fixed_size: 0
    .kernarg_segment_align: 8
    .kernarg_segment_size: 64
    .language:       OpenCL C
    .language_version:
      - 2
      - 0
    .max_flat_workgroup_size: 1024
    .name:           _ZN7rocprim17ROCPRIM_400000_NS6detail17trampoline_kernelINS0_14default_configENS1_38merge_sort_block_merge_config_selectorIiiEEZZNS1_27merge_sort_block_merge_implIS3_N6thrust23THRUST_200600_302600_NS6detail15normal_iteratorINS8_10device_ptrIiEEEESD_jNS1_19radix_merge_compareILb1ELb0EiNS0_19identity_decomposerEEEEE10hipError_tT0_T1_T2_jT3_P12ihipStream_tbPNSt15iterator_traitsISI_E10value_typeEPNSO_ISJ_E10value_typeEPSK_NS1_7vsmem_tEENKUlT_SI_SJ_SK_E_clIPiSD_S10_SD_EESH_SX_SI_SJ_SK_EUlSX_E0_NS1_11comp_targetILNS1_3genE8ELNS1_11target_archE1030ELNS1_3gpuE2ELNS1_3repE0EEENS1_38merge_mergepath_config_static_selectorELNS0_4arch9wavefront6targetE1EEEvSJ_
    .private_segment_fixed_size: 0
    .sgpr_count:     6
    .sgpr_spill_count: 0
    .symbol:         _ZN7rocprim17ROCPRIM_400000_NS6detail17trampoline_kernelINS0_14default_configENS1_38merge_sort_block_merge_config_selectorIiiEEZZNS1_27merge_sort_block_merge_implIS3_N6thrust23THRUST_200600_302600_NS6detail15normal_iteratorINS8_10device_ptrIiEEEESD_jNS1_19radix_merge_compareILb1ELb0EiNS0_19identity_decomposerEEEEE10hipError_tT0_T1_T2_jT3_P12ihipStream_tbPNSt15iterator_traitsISI_E10value_typeEPNSO_ISJ_E10value_typeEPSK_NS1_7vsmem_tEENKUlT_SI_SJ_SK_E_clIPiSD_S10_SD_EESH_SX_SI_SJ_SK_EUlSX_E0_NS1_11comp_targetILNS1_3genE8ELNS1_11target_archE1030ELNS1_3gpuE2ELNS1_3repE0EEENS1_38merge_mergepath_config_static_selectorELNS0_4arch9wavefront6targetE1EEEvSJ_.kd
    .uniform_work_group_size: 1
    .uses_dynamic_stack: false
    .vgpr_count:     0
    .vgpr_spill_count: 0
    .wavefront_size: 64
  - .agpr_count:     0
    .args:
      - .offset:         0
        .size:           48
        .value_kind:     by_value
    .group_segment_fixed_size: 0
    .kernarg_segment_align: 8
    .kernarg_segment_size: 48
    .language:       OpenCL C
    .language_version:
      - 2
      - 0
    .max_flat_workgroup_size: 256
    .name:           _ZN7rocprim17ROCPRIM_400000_NS6detail17trampoline_kernelINS0_14default_configENS1_38merge_sort_block_merge_config_selectorIiiEEZZNS1_27merge_sort_block_merge_implIS3_N6thrust23THRUST_200600_302600_NS6detail15normal_iteratorINS8_10device_ptrIiEEEESD_jNS1_19radix_merge_compareILb1ELb0EiNS0_19identity_decomposerEEEEE10hipError_tT0_T1_T2_jT3_P12ihipStream_tbPNSt15iterator_traitsISI_E10value_typeEPNSO_ISJ_E10value_typeEPSK_NS1_7vsmem_tEENKUlT_SI_SJ_SK_E_clIPiSD_S10_SD_EESH_SX_SI_SJ_SK_EUlSX_E1_NS1_11comp_targetILNS1_3genE0ELNS1_11target_archE4294967295ELNS1_3gpuE0ELNS1_3repE0EEENS1_36merge_oddeven_config_static_selectorELNS0_4arch9wavefront6targetE1EEEvSJ_
    .private_segment_fixed_size: 0
    .sgpr_count:     30
    .sgpr_spill_count: 0
    .symbol:         _ZN7rocprim17ROCPRIM_400000_NS6detail17trampoline_kernelINS0_14default_configENS1_38merge_sort_block_merge_config_selectorIiiEEZZNS1_27merge_sort_block_merge_implIS3_N6thrust23THRUST_200600_302600_NS6detail15normal_iteratorINS8_10device_ptrIiEEEESD_jNS1_19radix_merge_compareILb1ELb0EiNS0_19identity_decomposerEEEEE10hipError_tT0_T1_T2_jT3_P12ihipStream_tbPNSt15iterator_traitsISI_E10value_typeEPNSO_ISJ_E10value_typeEPSK_NS1_7vsmem_tEENKUlT_SI_SJ_SK_E_clIPiSD_S10_SD_EESH_SX_SI_SJ_SK_EUlSX_E1_NS1_11comp_targetILNS1_3genE0ELNS1_11target_archE4294967295ELNS1_3gpuE0ELNS1_3repE0EEENS1_36merge_oddeven_config_static_selectorELNS0_4arch9wavefront6targetE1EEEvSJ_.kd
    .uniform_work_group_size: 1
    .uses_dynamic_stack: false
    .vgpr_count:     10
    .vgpr_spill_count: 0
    .wavefront_size: 64
  - .agpr_count:     0
    .args:
      - .offset:         0
        .size:           48
        .value_kind:     by_value
    .group_segment_fixed_size: 0
    .kernarg_segment_align: 8
    .kernarg_segment_size: 48
    .language:       OpenCL C
    .language_version:
      - 2
      - 0
    .max_flat_workgroup_size: 256
    .name:           _ZN7rocprim17ROCPRIM_400000_NS6detail17trampoline_kernelINS0_14default_configENS1_38merge_sort_block_merge_config_selectorIiiEEZZNS1_27merge_sort_block_merge_implIS3_N6thrust23THRUST_200600_302600_NS6detail15normal_iteratorINS8_10device_ptrIiEEEESD_jNS1_19radix_merge_compareILb1ELb0EiNS0_19identity_decomposerEEEEE10hipError_tT0_T1_T2_jT3_P12ihipStream_tbPNSt15iterator_traitsISI_E10value_typeEPNSO_ISJ_E10value_typeEPSK_NS1_7vsmem_tEENKUlT_SI_SJ_SK_E_clIPiSD_S10_SD_EESH_SX_SI_SJ_SK_EUlSX_E1_NS1_11comp_targetILNS1_3genE10ELNS1_11target_archE1201ELNS1_3gpuE5ELNS1_3repE0EEENS1_36merge_oddeven_config_static_selectorELNS0_4arch9wavefront6targetE1EEEvSJ_
    .private_segment_fixed_size: 0
    .sgpr_count:     6
    .sgpr_spill_count: 0
    .symbol:         _ZN7rocprim17ROCPRIM_400000_NS6detail17trampoline_kernelINS0_14default_configENS1_38merge_sort_block_merge_config_selectorIiiEEZZNS1_27merge_sort_block_merge_implIS3_N6thrust23THRUST_200600_302600_NS6detail15normal_iteratorINS8_10device_ptrIiEEEESD_jNS1_19radix_merge_compareILb1ELb0EiNS0_19identity_decomposerEEEEE10hipError_tT0_T1_T2_jT3_P12ihipStream_tbPNSt15iterator_traitsISI_E10value_typeEPNSO_ISJ_E10value_typeEPSK_NS1_7vsmem_tEENKUlT_SI_SJ_SK_E_clIPiSD_S10_SD_EESH_SX_SI_SJ_SK_EUlSX_E1_NS1_11comp_targetILNS1_3genE10ELNS1_11target_archE1201ELNS1_3gpuE5ELNS1_3repE0EEENS1_36merge_oddeven_config_static_selectorELNS0_4arch9wavefront6targetE1EEEvSJ_.kd
    .uniform_work_group_size: 1
    .uses_dynamic_stack: false
    .vgpr_count:     0
    .vgpr_spill_count: 0
    .wavefront_size: 64
  - .agpr_count:     0
    .args:
      - .offset:         0
        .size:           48
        .value_kind:     by_value
    .group_segment_fixed_size: 0
    .kernarg_segment_align: 8
    .kernarg_segment_size: 48
    .language:       OpenCL C
    .language_version:
      - 2
      - 0
    .max_flat_workgroup_size: 256
    .name:           _ZN7rocprim17ROCPRIM_400000_NS6detail17trampoline_kernelINS0_14default_configENS1_38merge_sort_block_merge_config_selectorIiiEEZZNS1_27merge_sort_block_merge_implIS3_N6thrust23THRUST_200600_302600_NS6detail15normal_iteratorINS8_10device_ptrIiEEEESD_jNS1_19radix_merge_compareILb1ELb0EiNS0_19identity_decomposerEEEEE10hipError_tT0_T1_T2_jT3_P12ihipStream_tbPNSt15iterator_traitsISI_E10value_typeEPNSO_ISJ_E10value_typeEPSK_NS1_7vsmem_tEENKUlT_SI_SJ_SK_E_clIPiSD_S10_SD_EESH_SX_SI_SJ_SK_EUlSX_E1_NS1_11comp_targetILNS1_3genE5ELNS1_11target_archE942ELNS1_3gpuE9ELNS1_3repE0EEENS1_36merge_oddeven_config_static_selectorELNS0_4arch9wavefront6targetE1EEEvSJ_
    .private_segment_fixed_size: 0
    .sgpr_count:     6
    .sgpr_spill_count: 0
    .symbol:         _ZN7rocprim17ROCPRIM_400000_NS6detail17trampoline_kernelINS0_14default_configENS1_38merge_sort_block_merge_config_selectorIiiEEZZNS1_27merge_sort_block_merge_implIS3_N6thrust23THRUST_200600_302600_NS6detail15normal_iteratorINS8_10device_ptrIiEEEESD_jNS1_19radix_merge_compareILb1ELb0EiNS0_19identity_decomposerEEEEE10hipError_tT0_T1_T2_jT3_P12ihipStream_tbPNSt15iterator_traitsISI_E10value_typeEPNSO_ISJ_E10value_typeEPSK_NS1_7vsmem_tEENKUlT_SI_SJ_SK_E_clIPiSD_S10_SD_EESH_SX_SI_SJ_SK_EUlSX_E1_NS1_11comp_targetILNS1_3genE5ELNS1_11target_archE942ELNS1_3gpuE9ELNS1_3repE0EEENS1_36merge_oddeven_config_static_selectorELNS0_4arch9wavefront6targetE1EEEvSJ_.kd
    .uniform_work_group_size: 1
    .uses_dynamic_stack: false
    .vgpr_count:     0
    .vgpr_spill_count: 0
    .wavefront_size: 64
  - .agpr_count:     0
    .args:
      - .offset:         0
        .size:           48
        .value_kind:     by_value
    .group_segment_fixed_size: 0
    .kernarg_segment_align: 8
    .kernarg_segment_size: 48
    .language:       OpenCL C
    .language_version:
      - 2
      - 0
    .max_flat_workgroup_size: 256
    .name:           _ZN7rocprim17ROCPRIM_400000_NS6detail17trampoline_kernelINS0_14default_configENS1_38merge_sort_block_merge_config_selectorIiiEEZZNS1_27merge_sort_block_merge_implIS3_N6thrust23THRUST_200600_302600_NS6detail15normal_iteratorINS8_10device_ptrIiEEEESD_jNS1_19radix_merge_compareILb1ELb0EiNS0_19identity_decomposerEEEEE10hipError_tT0_T1_T2_jT3_P12ihipStream_tbPNSt15iterator_traitsISI_E10value_typeEPNSO_ISJ_E10value_typeEPSK_NS1_7vsmem_tEENKUlT_SI_SJ_SK_E_clIPiSD_S10_SD_EESH_SX_SI_SJ_SK_EUlSX_E1_NS1_11comp_targetILNS1_3genE4ELNS1_11target_archE910ELNS1_3gpuE8ELNS1_3repE0EEENS1_36merge_oddeven_config_static_selectorELNS0_4arch9wavefront6targetE1EEEvSJ_
    .private_segment_fixed_size: 0
    .sgpr_count:     6
    .sgpr_spill_count: 0
    .symbol:         _ZN7rocprim17ROCPRIM_400000_NS6detail17trampoline_kernelINS0_14default_configENS1_38merge_sort_block_merge_config_selectorIiiEEZZNS1_27merge_sort_block_merge_implIS3_N6thrust23THRUST_200600_302600_NS6detail15normal_iteratorINS8_10device_ptrIiEEEESD_jNS1_19radix_merge_compareILb1ELb0EiNS0_19identity_decomposerEEEEE10hipError_tT0_T1_T2_jT3_P12ihipStream_tbPNSt15iterator_traitsISI_E10value_typeEPNSO_ISJ_E10value_typeEPSK_NS1_7vsmem_tEENKUlT_SI_SJ_SK_E_clIPiSD_S10_SD_EESH_SX_SI_SJ_SK_EUlSX_E1_NS1_11comp_targetILNS1_3genE4ELNS1_11target_archE910ELNS1_3gpuE8ELNS1_3repE0EEENS1_36merge_oddeven_config_static_selectorELNS0_4arch9wavefront6targetE1EEEvSJ_.kd
    .uniform_work_group_size: 1
    .uses_dynamic_stack: false
    .vgpr_count:     0
    .vgpr_spill_count: 0
    .wavefront_size: 64
  - .agpr_count:     0
    .args:
      - .offset:         0
        .size:           48
        .value_kind:     by_value
    .group_segment_fixed_size: 0
    .kernarg_segment_align: 8
    .kernarg_segment_size: 48
    .language:       OpenCL C
    .language_version:
      - 2
      - 0
    .max_flat_workgroup_size: 256
    .name:           _ZN7rocprim17ROCPRIM_400000_NS6detail17trampoline_kernelINS0_14default_configENS1_38merge_sort_block_merge_config_selectorIiiEEZZNS1_27merge_sort_block_merge_implIS3_N6thrust23THRUST_200600_302600_NS6detail15normal_iteratorINS8_10device_ptrIiEEEESD_jNS1_19radix_merge_compareILb1ELb0EiNS0_19identity_decomposerEEEEE10hipError_tT0_T1_T2_jT3_P12ihipStream_tbPNSt15iterator_traitsISI_E10value_typeEPNSO_ISJ_E10value_typeEPSK_NS1_7vsmem_tEENKUlT_SI_SJ_SK_E_clIPiSD_S10_SD_EESH_SX_SI_SJ_SK_EUlSX_E1_NS1_11comp_targetILNS1_3genE3ELNS1_11target_archE908ELNS1_3gpuE7ELNS1_3repE0EEENS1_36merge_oddeven_config_static_selectorELNS0_4arch9wavefront6targetE1EEEvSJ_
    .private_segment_fixed_size: 0
    .sgpr_count:     6
    .sgpr_spill_count: 0
    .symbol:         _ZN7rocprim17ROCPRIM_400000_NS6detail17trampoline_kernelINS0_14default_configENS1_38merge_sort_block_merge_config_selectorIiiEEZZNS1_27merge_sort_block_merge_implIS3_N6thrust23THRUST_200600_302600_NS6detail15normal_iteratorINS8_10device_ptrIiEEEESD_jNS1_19radix_merge_compareILb1ELb0EiNS0_19identity_decomposerEEEEE10hipError_tT0_T1_T2_jT3_P12ihipStream_tbPNSt15iterator_traitsISI_E10value_typeEPNSO_ISJ_E10value_typeEPSK_NS1_7vsmem_tEENKUlT_SI_SJ_SK_E_clIPiSD_S10_SD_EESH_SX_SI_SJ_SK_EUlSX_E1_NS1_11comp_targetILNS1_3genE3ELNS1_11target_archE908ELNS1_3gpuE7ELNS1_3repE0EEENS1_36merge_oddeven_config_static_selectorELNS0_4arch9wavefront6targetE1EEEvSJ_.kd
    .uniform_work_group_size: 1
    .uses_dynamic_stack: false
    .vgpr_count:     0
    .vgpr_spill_count: 0
    .wavefront_size: 64
  - .agpr_count:     0
    .args:
      - .offset:         0
        .size:           48
        .value_kind:     by_value
    .group_segment_fixed_size: 0
    .kernarg_segment_align: 8
    .kernarg_segment_size: 48
    .language:       OpenCL C
    .language_version:
      - 2
      - 0
    .max_flat_workgroup_size: 256
    .name:           _ZN7rocprim17ROCPRIM_400000_NS6detail17trampoline_kernelINS0_14default_configENS1_38merge_sort_block_merge_config_selectorIiiEEZZNS1_27merge_sort_block_merge_implIS3_N6thrust23THRUST_200600_302600_NS6detail15normal_iteratorINS8_10device_ptrIiEEEESD_jNS1_19radix_merge_compareILb1ELb0EiNS0_19identity_decomposerEEEEE10hipError_tT0_T1_T2_jT3_P12ihipStream_tbPNSt15iterator_traitsISI_E10value_typeEPNSO_ISJ_E10value_typeEPSK_NS1_7vsmem_tEENKUlT_SI_SJ_SK_E_clIPiSD_S10_SD_EESH_SX_SI_SJ_SK_EUlSX_E1_NS1_11comp_targetILNS1_3genE2ELNS1_11target_archE906ELNS1_3gpuE6ELNS1_3repE0EEENS1_36merge_oddeven_config_static_selectorELNS0_4arch9wavefront6targetE1EEEvSJ_
    .private_segment_fixed_size: 0
    .sgpr_count:     6
    .sgpr_spill_count: 0
    .symbol:         _ZN7rocprim17ROCPRIM_400000_NS6detail17trampoline_kernelINS0_14default_configENS1_38merge_sort_block_merge_config_selectorIiiEEZZNS1_27merge_sort_block_merge_implIS3_N6thrust23THRUST_200600_302600_NS6detail15normal_iteratorINS8_10device_ptrIiEEEESD_jNS1_19radix_merge_compareILb1ELb0EiNS0_19identity_decomposerEEEEE10hipError_tT0_T1_T2_jT3_P12ihipStream_tbPNSt15iterator_traitsISI_E10value_typeEPNSO_ISJ_E10value_typeEPSK_NS1_7vsmem_tEENKUlT_SI_SJ_SK_E_clIPiSD_S10_SD_EESH_SX_SI_SJ_SK_EUlSX_E1_NS1_11comp_targetILNS1_3genE2ELNS1_11target_archE906ELNS1_3gpuE6ELNS1_3repE0EEENS1_36merge_oddeven_config_static_selectorELNS0_4arch9wavefront6targetE1EEEvSJ_.kd
    .uniform_work_group_size: 1
    .uses_dynamic_stack: false
    .vgpr_count:     0
    .vgpr_spill_count: 0
    .wavefront_size: 64
  - .agpr_count:     0
    .args:
      - .offset:         0
        .size:           48
        .value_kind:     by_value
    .group_segment_fixed_size: 0
    .kernarg_segment_align: 8
    .kernarg_segment_size: 48
    .language:       OpenCL C
    .language_version:
      - 2
      - 0
    .max_flat_workgroup_size: 256
    .name:           _ZN7rocprim17ROCPRIM_400000_NS6detail17trampoline_kernelINS0_14default_configENS1_38merge_sort_block_merge_config_selectorIiiEEZZNS1_27merge_sort_block_merge_implIS3_N6thrust23THRUST_200600_302600_NS6detail15normal_iteratorINS8_10device_ptrIiEEEESD_jNS1_19radix_merge_compareILb1ELb0EiNS0_19identity_decomposerEEEEE10hipError_tT0_T1_T2_jT3_P12ihipStream_tbPNSt15iterator_traitsISI_E10value_typeEPNSO_ISJ_E10value_typeEPSK_NS1_7vsmem_tEENKUlT_SI_SJ_SK_E_clIPiSD_S10_SD_EESH_SX_SI_SJ_SK_EUlSX_E1_NS1_11comp_targetILNS1_3genE9ELNS1_11target_archE1100ELNS1_3gpuE3ELNS1_3repE0EEENS1_36merge_oddeven_config_static_selectorELNS0_4arch9wavefront6targetE1EEEvSJ_
    .private_segment_fixed_size: 0
    .sgpr_count:     6
    .sgpr_spill_count: 0
    .symbol:         _ZN7rocprim17ROCPRIM_400000_NS6detail17trampoline_kernelINS0_14default_configENS1_38merge_sort_block_merge_config_selectorIiiEEZZNS1_27merge_sort_block_merge_implIS3_N6thrust23THRUST_200600_302600_NS6detail15normal_iteratorINS8_10device_ptrIiEEEESD_jNS1_19radix_merge_compareILb1ELb0EiNS0_19identity_decomposerEEEEE10hipError_tT0_T1_T2_jT3_P12ihipStream_tbPNSt15iterator_traitsISI_E10value_typeEPNSO_ISJ_E10value_typeEPSK_NS1_7vsmem_tEENKUlT_SI_SJ_SK_E_clIPiSD_S10_SD_EESH_SX_SI_SJ_SK_EUlSX_E1_NS1_11comp_targetILNS1_3genE9ELNS1_11target_archE1100ELNS1_3gpuE3ELNS1_3repE0EEENS1_36merge_oddeven_config_static_selectorELNS0_4arch9wavefront6targetE1EEEvSJ_.kd
    .uniform_work_group_size: 1
    .uses_dynamic_stack: false
    .vgpr_count:     0
    .vgpr_spill_count: 0
    .wavefront_size: 64
  - .agpr_count:     0
    .args:
      - .offset:         0
        .size:           48
        .value_kind:     by_value
    .group_segment_fixed_size: 0
    .kernarg_segment_align: 8
    .kernarg_segment_size: 48
    .language:       OpenCL C
    .language_version:
      - 2
      - 0
    .max_flat_workgroup_size: 256
    .name:           _ZN7rocprim17ROCPRIM_400000_NS6detail17trampoline_kernelINS0_14default_configENS1_38merge_sort_block_merge_config_selectorIiiEEZZNS1_27merge_sort_block_merge_implIS3_N6thrust23THRUST_200600_302600_NS6detail15normal_iteratorINS8_10device_ptrIiEEEESD_jNS1_19radix_merge_compareILb1ELb0EiNS0_19identity_decomposerEEEEE10hipError_tT0_T1_T2_jT3_P12ihipStream_tbPNSt15iterator_traitsISI_E10value_typeEPNSO_ISJ_E10value_typeEPSK_NS1_7vsmem_tEENKUlT_SI_SJ_SK_E_clIPiSD_S10_SD_EESH_SX_SI_SJ_SK_EUlSX_E1_NS1_11comp_targetILNS1_3genE8ELNS1_11target_archE1030ELNS1_3gpuE2ELNS1_3repE0EEENS1_36merge_oddeven_config_static_selectorELNS0_4arch9wavefront6targetE1EEEvSJ_
    .private_segment_fixed_size: 0
    .sgpr_count:     6
    .sgpr_spill_count: 0
    .symbol:         _ZN7rocprim17ROCPRIM_400000_NS6detail17trampoline_kernelINS0_14default_configENS1_38merge_sort_block_merge_config_selectorIiiEEZZNS1_27merge_sort_block_merge_implIS3_N6thrust23THRUST_200600_302600_NS6detail15normal_iteratorINS8_10device_ptrIiEEEESD_jNS1_19radix_merge_compareILb1ELb0EiNS0_19identity_decomposerEEEEE10hipError_tT0_T1_T2_jT3_P12ihipStream_tbPNSt15iterator_traitsISI_E10value_typeEPNSO_ISJ_E10value_typeEPSK_NS1_7vsmem_tEENKUlT_SI_SJ_SK_E_clIPiSD_S10_SD_EESH_SX_SI_SJ_SK_EUlSX_E1_NS1_11comp_targetILNS1_3genE8ELNS1_11target_archE1030ELNS1_3gpuE2ELNS1_3repE0EEENS1_36merge_oddeven_config_static_selectorELNS0_4arch9wavefront6targetE1EEEvSJ_.kd
    .uniform_work_group_size: 1
    .uses_dynamic_stack: false
    .vgpr_count:     0
    .vgpr_spill_count: 0
    .wavefront_size: 64
  - .agpr_count:     0
    .args:
      - .offset:         0
        .size:           40
        .value_kind:     by_value
    .group_segment_fixed_size: 0
    .kernarg_segment_align: 8
    .kernarg_segment_size: 40
    .language:       OpenCL C
    .language_version:
      - 2
      - 0
    .max_flat_workgroup_size: 128
    .name:           _ZN7rocprim17ROCPRIM_400000_NS6detail17trampoline_kernelINS0_14default_configENS1_38merge_sort_block_merge_config_selectorIiiEEZZNS1_27merge_sort_block_merge_implIS3_N6thrust23THRUST_200600_302600_NS6detail15normal_iteratorINS8_10device_ptrIiEEEESD_jNS1_19radix_merge_compareILb1ELb0EiNS0_19identity_decomposerEEEEE10hipError_tT0_T1_T2_jT3_P12ihipStream_tbPNSt15iterator_traitsISI_E10value_typeEPNSO_ISJ_E10value_typeEPSK_NS1_7vsmem_tEENKUlT_SI_SJ_SK_E_clISD_PiSD_S10_EESH_SX_SI_SJ_SK_EUlSX_E_NS1_11comp_targetILNS1_3genE0ELNS1_11target_archE4294967295ELNS1_3gpuE0ELNS1_3repE0EEENS1_48merge_mergepath_partition_config_static_selectorELNS0_4arch9wavefront6targetE1EEEvSJ_
    .private_segment_fixed_size: 0
    .sgpr_count:     14
    .sgpr_spill_count: 0
    .symbol:         _ZN7rocprim17ROCPRIM_400000_NS6detail17trampoline_kernelINS0_14default_configENS1_38merge_sort_block_merge_config_selectorIiiEEZZNS1_27merge_sort_block_merge_implIS3_N6thrust23THRUST_200600_302600_NS6detail15normal_iteratorINS8_10device_ptrIiEEEESD_jNS1_19radix_merge_compareILb1ELb0EiNS0_19identity_decomposerEEEEE10hipError_tT0_T1_T2_jT3_P12ihipStream_tbPNSt15iterator_traitsISI_E10value_typeEPNSO_ISJ_E10value_typeEPSK_NS1_7vsmem_tEENKUlT_SI_SJ_SK_E_clISD_PiSD_S10_EESH_SX_SI_SJ_SK_EUlSX_E_NS1_11comp_targetILNS1_3genE0ELNS1_11target_archE4294967295ELNS1_3gpuE0ELNS1_3repE0EEENS1_48merge_mergepath_partition_config_static_selectorELNS0_4arch9wavefront6targetE1EEEvSJ_.kd
    .uniform_work_group_size: 1
    .uses_dynamic_stack: false
    .vgpr_count:     17
    .vgpr_spill_count: 0
    .wavefront_size: 64
  - .agpr_count:     0
    .args:
      - .offset:         0
        .size:           40
        .value_kind:     by_value
    .group_segment_fixed_size: 0
    .kernarg_segment_align: 8
    .kernarg_segment_size: 40
    .language:       OpenCL C
    .language_version:
      - 2
      - 0
    .max_flat_workgroup_size: 128
    .name:           _ZN7rocprim17ROCPRIM_400000_NS6detail17trampoline_kernelINS0_14default_configENS1_38merge_sort_block_merge_config_selectorIiiEEZZNS1_27merge_sort_block_merge_implIS3_N6thrust23THRUST_200600_302600_NS6detail15normal_iteratorINS8_10device_ptrIiEEEESD_jNS1_19radix_merge_compareILb1ELb0EiNS0_19identity_decomposerEEEEE10hipError_tT0_T1_T2_jT3_P12ihipStream_tbPNSt15iterator_traitsISI_E10value_typeEPNSO_ISJ_E10value_typeEPSK_NS1_7vsmem_tEENKUlT_SI_SJ_SK_E_clISD_PiSD_S10_EESH_SX_SI_SJ_SK_EUlSX_E_NS1_11comp_targetILNS1_3genE10ELNS1_11target_archE1201ELNS1_3gpuE5ELNS1_3repE0EEENS1_48merge_mergepath_partition_config_static_selectorELNS0_4arch9wavefront6targetE1EEEvSJ_
    .private_segment_fixed_size: 0
    .sgpr_count:     6
    .sgpr_spill_count: 0
    .symbol:         _ZN7rocprim17ROCPRIM_400000_NS6detail17trampoline_kernelINS0_14default_configENS1_38merge_sort_block_merge_config_selectorIiiEEZZNS1_27merge_sort_block_merge_implIS3_N6thrust23THRUST_200600_302600_NS6detail15normal_iteratorINS8_10device_ptrIiEEEESD_jNS1_19radix_merge_compareILb1ELb0EiNS0_19identity_decomposerEEEEE10hipError_tT0_T1_T2_jT3_P12ihipStream_tbPNSt15iterator_traitsISI_E10value_typeEPNSO_ISJ_E10value_typeEPSK_NS1_7vsmem_tEENKUlT_SI_SJ_SK_E_clISD_PiSD_S10_EESH_SX_SI_SJ_SK_EUlSX_E_NS1_11comp_targetILNS1_3genE10ELNS1_11target_archE1201ELNS1_3gpuE5ELNS1_3repE0EEENS1_48merge_mergepath_partition_config_static_selectorELNS0_4arch9wavefront6targetE1EEEvSJ_.kd
    .uniform_work_group_size: 1
    .uses_dynamic_stack: false
    .vgpr_count:     0
    .vgpr_spill_count: 0
    .wavefront_size: 64
  - .agpr_count:     0
    .args:
      - .offset:         0
        .size:           40
        .value_kind:     by_value
    .group_segment_fixed_size: 0
    .kernarg_segment_align: 8
    .kernarg_segment_size: 40
    .language:       OpenCL C
    .language_version:
      - 2
      - 0
    .max_flat_workgroup_size: 128
    .name:           _ZN7rocprim17ROCPRIM_400000_NS6detail17trampoline_kernelINS0_14default_configENS1_38merge_sort_block_merge_config_selectorIiiEEZZNS1_27merge_sort_block_merge_implIS3_N6thrust23THRUST_200600_302600_NS6detail15normal_iteratorINS8_10device_ptrIiEEEESD_jNS1_19radix_merge_compareILb1ELb0EiNS0_19identity_decomposerEEEEE10hipError_tT0_T1_T2_jT3_P12ihipStream_tbPNSt15iterator_traitsISI_E10value_typeEPNSO_ISJ_E10value_typeEPSK_NS1_7vsmem_tEENKUlT_SI_SJ_SK_E_clISD_PiSD_S10_EESH_SX_SI_SJ_SK_EUlSX_E_NS1_11comp_targetILNS1_3genE5ELNS1_11target_archE942ELNS1_3gpuE9ELNS1_3repE0EEENS1_48merge_mergepath_partition_config_static_selectorELNS0_4arch9wavefront6targetE1EEEvSJ_
    .private_segment_fixed_size: 0
    .sgpr_count:     6
    .sgpr_spill_count: 0
    .symbol:         _ZN7rocprim17ROCPRIM_400000_NS6detail17trampoline_kernelINS0_14default_configENS1_38merge_sort_block_merge_config_selectorIiiEEZZNS1_27merge_sort_block_merge_implIS3_N6thrust23THRUST_200600_302600_NS6detail15normal_iteratorINS8_10device_ptrIiEEEESD_jNS1_19radix_merge_compareILb1ELb0EiNS0_19identity_decomposerEEEEE10hipError_tT0_T1_T2_jT3_P12ihipStream_tbPNSt15iterator_traitsISI_E10value_typeEPNSO_ISJ_E10value_typeEPSK_NS1_7vsmem_tEENKUlT_SI_SJ_SK_E_clISD_PiSD_S10_EESH_SX_SI_SJ_SK_EUlSX_E_NS1_11comp_targetILNS1_3genE5ELNS1_11target_archE942ELNS1_3gpuE9ELNS1_3repE0EEENS1_48merge_mergepath_partition_config_static_selectorELNS0_4arch9wavefront6targetE1EEEvSJ_.kd
    .uniform_work_group_size: 1
    .uses_dynamic_stack: false
    .vgpr_count:     0
    .vgpr_spill_count: 0
    .wavefront_size: 64
  - .agpr_count:     0
    .args:
      - .offset:         0
        .size:           40
        .value_kind:     by_value
    .group_segment_fixed_size: 0
    .kernarg_segment_align: 8
    .kernarg_segment_size: 40
    .language:       OpenCL C
    .language_version:
      - 2
      - 0
    .max_flat_workgroup_size: 128
    .name:           _ZN7rocprim17ROCPRIM_400000_NS6detail17trampoline_kernelINS0_14default_configENS1_38merge_sort_block_merge_config_selectorIiiEEZZNS1_27merge_sort_block_merge_implIS3_N6thrust23THRUST_200600_302600_NS6detail15normal_iteratorINS8_10device_ptrIiEEEESD_jNS1_19radix_merge_compareILb1ELb0EiNS0_19identity_decomposerEEEEE10hipError_tT0_T1_T2_jT3_P12ihipStream_tbPNSt15iterator_traitsISI_E10value_typeEPNSO_ISJ_E10value_typeEPSK_NS1_7vsmem_tEENKUlT_SI_SJ_SK_E_clISD_PiSD_S10_EESH_SX_SI_SJ_SK_EUlSX_E_NS1_11comp_targetILNS1_3genE4ELNS1_11target_archE910ELNS1_3gpuE8ELNS1_3repE0EEENS1_48merge_mergepath_partition_config_static_selectorELNS0_4arch9wavefront6targetE1EEEvSJ_
    .private_segment_fixed_size: 0
    .sgpr_count:     6
    .sgpr_spill_count: 0
    .symbol:         _ZN7rocprim17ROCPRIM_400000_NS6detail17trampoline_kernelINS0_14default_configENS1_38merge_sort_block_merge_config_selectorIiiEEZZNS1_27merge_sort_block_merge_implIS3_N6thrust23THRUST_200600_302600_NS6detail15normal_iteratorINS8_10device_ptrIiEEEESD_jNS1_19radix_merge_compareILb1ELb0EiNS0_19identity_decomposerEEEEE10hipError_tT0_T1_T2_jT3_P12ihipStream_tbPNSt15iterator_traitsISI_E10value_typeEPNSO_ISJ_E10value_typeEPSK_NS1_7vsmem_tEENKUlT_SI_SJ_SK_E_clISD_PiSD_S10_EESH_SX_SI_SJ_SK_EUlSX_E_NS1_11comp_targetILNS1_3genE4ELNS1_11target_archE910ELNS1_3gpuE8ELNS1_3repE0EEENS1_48merge_mergepath_partition_config_static_selectorELNS0_4arch9wavefront6targetE1EEEvSJ_.kd
    .uniform_work_group_size: 1
    .uses_dynamic_stack: false
    .vgpr_count:     0
    .vgpr_spill_count: 0
    .wavefront_size: 64
  - .agpr_count:     0
    .args:
      - .offset:         0
        .size:           40
        .value_kind:     by_value
    .group_segment_fixed_size: 0
    .kernarg_segment_align: 8
    .kernarg_segment_size: 40
    .language:       OpenCL C
    .language_version:
      - 2
      - 0
    .max_flat_workgroup_size: 128
    .name:           _ZN7rocprim17ROCPRIM_400000_NS6detail17trampoline_kernelINS0_14default_configENS1_38merge_sort_block_merge_config_selectorIiiEEZZNS1_27merge_sort_block_merge_implIS3_N6thrust23THRUST_200600_302600_NS6detail15normal_iteratorINS8_10device_ptrIiEEEESD_jNS1_19radix_merge_compareILb1ELb0EiNS0_19identity_decomposerEEEEE10hipError_tT0_T1_T2_jT3_P12ihipStream_tbPNSt15iterator_traitsISI_E10value_typeEPNSO_ISJ_E10value_typeEPSK_NS1_7vsmem_tEENKUlT_SI_SJ_SK_E_clISD_PiSD_S10_EESH_SX_SI_SJ_SK_EUlSX_E_NS1_11comp_targetILNS1_3genE3ELNS1_11target_archE908ELNS1_3gpuE7ELNS1_3repE0EEENS1_48merge_mergepath_partition_config_static_selectorELNS0_4arch9wavefront6targetE1EEEvSJ_
    .private_segment_fixed_size: 0
    .sgpr_count:     6
    .sgpr_spill_count: 0
    .symbol:         _ZN7rocprim17ROCPRIM_400000_NS6detail17trampoline_kernelINS0_14default_configENS1_38merge_sort_block_merge_config_selectorIiiEEZZNS1_27merge_sort_block_merge_implIS3_N6thrust23THRUST_200600_302600_NS6detail15normal_iteratorINS8_10device_ptrIiEEEESD_jNS1_19radix_merge_compareILb1ELb0EiNS0_19identity_decomposerEEEEE10hipError_tT0_T1_T2_jT3_P12ihipStream_tbPNSt15iterator_traitsISI_E10value_typeEPNSO_ISJ_E10value_typeEPSK_NS1_7vsmem_tEENKUlT_SI_SJ_SK_E_clISD_PiSD_S10_EESH_SX_SI_SJ_SK_EUlSX_E_NS1_11comp_targetILNS1_3genE3ELNS1_11target_archE908ELNS1_3gpuE7ELNS1_3repE0EEENS1_48merge_mergepath_partition_config_static_selectorELNS0_4arch9wavefront6targetE1EEEvSJ_.kd
    .uniform_work_group_size: 1
    .uses_dynamic_stack: false
    .vgpr_count:     0
    .vgpr_spill_count: 0
    .wavefront_size: 64
  - .agpr_count:     0
    .args:
      - .offset:         0
        .size:           40
        .value_kind:     by_value
    .group_segment_fixed_size: 0
    .kernarg_segment_align: 8
    .kernarg_segment_size: 40
    .language:       OpenCL C
    .language_version:
      - 2
      - 0
    .max_flat_workgroup_size: 128
    .name:           _ZN7rocprim17ROCPRIM_400000_NS6detail17trampoline_kernelINS0_14default_configENS1_38merge_sort_block_merge_config_selectorIiiEEZZNS1_27merge_sort_block_merge_implIS3_N6thrust23THRUST_200600_302600_NS6detail15normal_iteratorINS8_10device_ptrIiEEEESD_jNS1_19radix_merge_compareILb1ELb0EiNS0_19identity_decomposerEEEEE10hipError_tT0_T1_T2_jT3_P12ihipStream_tbPNSt15iterator_traitsISI_E10value_typeEPNSO_ISJ_E10value_typeEPSK_NS1_7vsmem_tEENKUlT_SI_SJ_SK_E_clISD_PiSD_S10_EESH_SX_SI_SJ_SK_EUlSX_E_NS1_11comp_targetILNS1_3genE2ELNS1_11target_archE906ELNS1_3gpuE6ELNS1_3repE0EEENS1_48merge_mergepath_partition_config_static_selectorELNS0_4arch9wavefront6targetE1EEEvSJ_
    .private_segment_fixed_size: 0
    .sgpr_count:     6
    .sgpr_spill_count: 0
    .symbol:         _ZN7rocprim17ROCPRIM_400000_NS6detail17trampoline_kernelINS0_14default_configENS1_38merge_sort_block_merge_config_selectorIiiEEZZNS1_27merge_sort_block_merge_implIS3_N6thrust23THRUST_200600_302600_NS6detail15normal_iteratorINS8_10device_ptrIiEEEESD_jNS1_19radix_merge_compareILb1ELb0EiNS0_19identity_decomposerEEEEE10hipError_tT0_T1_T2_jT3_P12ihipStream_tbPNSt15iterator_traitsISI_E10value_typeEPNSO_ISJ_E10value_typeEPSK_NS1_7vsmem_tEENKUlT_SI_SJ_SK_E_clISD_PiSD_S10_EESH_SX_SI_SJ_SK_EUlSX_E_NS1_11comp_targetILNS1_3genE2ELNS1_11target_archE906ELNS1_3gpuE6ELNS1_3repE0EEENS1_48merge_mergepath_partition_config_static_selectorELNS0_4arch9wavefront6targetE1EEEvSJ_.kd
    .uniform_work_group_size: 1
    .uses_dynamic_stack: false
    .vgpr_count:     0
    .vgpr_spill_count: 0
    .wavefront_size: 64
  - .agpr_count:     0
    .args:
      - .offset:         0
        .size:           40
        .value_kind:     by_value
    .group_segment_fixed_size: 0
    .kernarg_segment_align: 8
    .kernarg_segment_size: 40
    .language:       OpenCL C
    .language_version:
      - 2
      - 0
    .max_flat_workgroup_size: 128
    .name:           _ZN7rocprim17ROCPRIM_400000_NS6detail17trampoline_kernelINS0_14default_configENS1_38merge_sort_block_merge_config_selectorIiiEEZZNS1_27merge_sort_block_merge_implIS3_N6thrust23THRUST_200600_302600_NS6detail15normal_iteratorINS8_10device_ptrIiEEEESD_jNS1_19radix_merge_compareILb1ELb0EiNS0_19identity_decomposerEEEEE10hipError_tT0_T1_T2_jT3_P12ihipStream_tbPNSt15iterator_traitsISI_E10value_typeEPNSO_ISJ_E10value_typeEPSK_NS1_7vsmem_tEENKUlT_SI_SJ_SK_E_clISD_PiSD_S10_EESH_SX_SI_SJ_SK_EUlSX_E_NS1_11comp_targetILNS1_3genE9ELNS1_11target_archE1100ELNS1_3gpuE3ELNS1_3repE0EEENS1_48merge_mergepath_partition_config_static_selectorELNS0_4arch9wavefront6targetE1EEEvSJ_
    .private_segment_fixed_size: 0
    .sgpr_count:     6
    .sgpr_spill_count: 0
    .symbol:         _ZN7rocprim17ROCPRIM_400000_NS6detail17trampoline_kernelINS0_14default_configENS1_38merge_sort_block_merge_config_selectorIiiEEZZNS1_27merge_sort_block_merge_implIS3_N6thrust23THRUST_200600_302600_NS6detail15normal_iteratorINS8_10device_ptrIiEEEESD_jNS1_19radix_merge_compareILb1ELb0EiNS0_19identity_decomposerEEEEE10hipError_tT0_T1_T2_jT3_P12ihipStream_tbPNSt15iterator_traitsISI_E10value_typeEPNSO_ISJ_E10value_typeEPSK_NS1_7vsmem_tEENKUlT_SI_SJ_SK_E_clISD_PiSD_S10_EESH_SX_SI_SJ_SK_EUlSX_E_NS1_11comp_targetILNS1_3genE9ELNS1_11target_archE1100ELNS1_3gpuE3ELNS1_3repE0EEENS1_48merge_mergepath_partition_config_static_selectorELNS0_4arch9wavefront6targetE1EEEvSJ_.kd
    .uniform_work_group_size: 1
    .uses_dynamic_stack: false
    .vgpr_count:     0
    .vgpr_spill_count: 0
    .wavefront_size: 64
  - .agpr_count:     0
    .args:
      - .offset:         0
        .size:           40
        .value_kind:     by_value
    .group_segment_fixed_size: 0
    .kernarg_segment_align: 8
    .kernarg_segment_size: 40
    .language:       OpenCL C
    .language_version:
      - 2
      - 0
    .max_flat_workgroup_size: 128
    .name:           _ZN7rocprim17ROCPRIM_400000_NS6detail17trampoline_kernelINS0_14default_configENS1_38merge_sort_block_merge_config_selectorIiiEEZZNS1_27merge_sort_block_merge_implIS3_N6thrust23THRUST_200600_302600_NS6detail15normal_iteratorINS8_10device_ptrIiEEEESD_jNS1_19radix_merge_compareILb1ELb0EiNS0_19identity_decomposerEEEEE10hipError_tT0_T1_T2_jT3_P12ihipStream_tbPNSt15iterator_traitsISI_E10value_typeEPNSO_ISJ_E10value_typeEPSK_NS1_7vsmem_tEENKUlT_SI_SJ_SK_E_clISD_PiSD_S10_EESH_SX_SI_SJ_SK_EUlSX_E_NS1_11comp_targetILNS1_3genE8ELNS1_11target_archE1030ELNS1_3gpuE2ELNS1_3repE0EEENS1_48merge_mergepath_partition_config_static_selectorELNS0_4arch9wavefront6targetE1EEEvSJ_
    .private_segment_fixed_size: 0
    .sgpr_count:     6
    .sgpr_spill_count: 0
    .symbol:         _ZN7rocprim17ROCPRIM_400000_NS6detail17trampoline_kernelINS0_14default_configENS1_38merge_sort_block_merge_config_selectorIiiEEZZNS1_27merge_sort_block_merge_implIS3_N6thrust23THRUST_200600_302600_NS6detail15normal_iteratorINS8_10device_ptrIiEEEESD_jNS1_19radix_merge_compareILb1ELb0EiNS0_19identity_decomposerEEEEE10hipError_tT0_T1_T2_jT3_P12ihipStream_tbPNSt15iterator_traitsISI_E10value_typeEPNSO_ISJ_E10value_typeEPSK_NS1_7vsmem_tEENKUlT_SI_SJ_SK_E_clISD_PiSD_S10_EESH_SX_SI_SJ_SK_EUlSX_E_NS1_11comp_targetILNS1_3genE8ELNS1_11target_archE1030ELNS1_3gpuE2ELNS1_3repE0EEENS1_48merge_mergepath_partition_config_static_selectorELNS0_4arch9wavefront6targetE1EEEvSJ_.kd
    .uniform_work_group_size: 1
    .uses_dynamic_stack: false
    .vgpr_count:     0
    .vgpr_spill_count: 0
    .wavefront_size: 64
  - .agpr_count:     0
    .args:
      - .offset:         0
        .size:           64
        .value_kind:     by_value
      - .offset:         64
        .size:           4
        .value_kind:     hidden_block_count_x
      - .offset:         68
        .size:           4
        .value_kind:     hidden_block_count_y
      - .offset:         72
        .size:           4
        .value_kind:     hidden_block_count_z
      - .offset:         76
        .size:           2
        .value_kind:     hidden_group_size_x
      - .offset:         78
        .size:           2
        .value_kind:     hidden_group_size_y
      - .offset:         80
        .size:           2
        .value_kind:     hidden_group_size_z
      - .offset:         82
        .size:           2
        .value_kind:     hidden_remainder_x
      - .offset:         84
        .size:           2
        .value_kind:     hidden_remainder_y
      - .offset:         86
        .size:           2
        .value_kind:     hidden_remainder_z
      - .offset:         104
        .size:           8
        .value_kind:     hidden_global_offset_x
      - .offset:         112
        .size:           8
        .value_kind:     hidden_global_offset_y
      - .offset:         120
        .size:           8
        .value_kind:     hidden_global_offset_z
      - .offset:         128
        .size:           2
        .value_kind:     hidden_grid_dims
    .group_segment_fixed_size: 4224
    .kernarg_segment_align: 8
    .kernarg_segment_size: 320
    .language:       OpenCL C
    .language_version:
      - 2
      - 0
    .max_flat_workgroup_size: 256
    .name:           _ZN7rocprim17ROCPRIM_400000_NS6detail17trampoline_kernelINS0_14default_configENS1_38merge_sort_block_merge_config_selectorIiiEEZZNS1_27merge_sort_block_merge_implIS3_N6thrust23THRUST_200600_302600_NS6detail15normal_iteratorINS8_10device_ptrIiEEEESD_jNS1_19radix_merge_compareILb1ELb0EiNS0_19identity_decomposerEEEEE10hipError_tT0_T1_T2_jT3_P12ihipStream_tbPNSt15iterator_traitsISI_E10value_typeEPNSO_ISJ_E10value_typeEPSK_NS1_7vsmem_tEENKUlT_SI_SJ_SK_E_clISD_PiSD_S10_EESH_SX_SI_SJ_SK_EUlSX_E0_NS1_11comp_targetILNS1_3genE0ELNS1_11target_archE4294967295ELNS1_3gpuE0ELNS1_3repE0EEENS1_38merge_mergepath_config_static_selectorELNS0_4arch9wavefront6targetE1EEEvSJ_
    .private_segment_fixed_size: 0
    .sgpr_count:     36
    .sgpr_spill_count: 0
    .symbol:         _ZN7rocprim17ROCPRIM_400000_NS6detail17trampoline_kernelINS0_14default_configENS1_38merge_sort_block_merge_config_selectorIiiEEZZNS1_27merge_sort_block_merge_implIS3_N6thrust23THRUST_200600_302600_NS6detail15normal_iteratorINS8_10device_ptrIiEEEESD_jNS1_19radix_merge_compareILb1ELb0EiNS0_19identity_decomposerEEEEE10hipError_tT0_T1_T2_jT3_P12ihipStream_tbPNSt15iterator_traitsISI_E10value_typeEPNSO_ISJ_E10value_typeEPSK_NS1_7vsmem_tEENKUlT_SI_SJ_SK_E_clISD_PiSD_S10_EESH_SX_SI_SJ_SK_EUlSX_E0_NS1_11comp_targetILNS1_3genE0ELNS1_11target_archE4294967295ELNS1_3gpuE0ELNS1_3repE0EEENS1_38merge_mergepath_config_static_selectorELNS0_4arch9wavefront6targetE1EEEvSJ_.kd
    .uniform_work_group_size: 1
    .uses_dynamic_stack: false
    .vgpr_count:     21
    .vgpr_spill_count: 0
    .wavefront_size: 64
  - .agpr_count:     0
    .args:
      - .offset:         0
        .size:           64
        .value_kind:     by_value
    .group_segment_fixed_size: 0
    .kernarg_segment_align: 8
    .kernarg_segment_size: 64
    .language:       OpenCL C
    .language_version:
      - 2
      - 0
    .max_flat_workgroup_size: 256
    .name:           _ZN7rocprim17ROCPRIM_400000_NS6detail17trampoline_kernelINS0_14default_configENS1_38merge_sort_block_merge_config_selectorIiiEEZZNS1_27merge_sort_block_merge_implIS3_N6thrust23THRUST_200600_302600_NS6detail15normal_iteratorINS8_10device_ptrIiEEEESD_jNS1_19radix_merge_compareILb1ELb0EiNS0_19identity_decomposerEEEEE10hipError_tT0_T1_T2_jT3_P12ihipStream_tbPNSt15iterator_traitsISI_E10value_typeEPNSO_ISJ_E10value_typeEPSK_NS1_7vsmem_tEENKUlT_SI_SJ_SK_E_clISD_PiSD_S10_EESH_SX_SI_SJ_SK_EUlSX_E0_NS1_11comp_targetILNS1_3genE10ELNS1_11target_archE1201ELNS1_3gpuE5ELNS1_3repE0EEENS1_38merge_mergepath_config_static_selectorELNS0_4arch9wavefront6targetE1EEEvSJ_
    .private_segment_fixed_size: 0
    .sgpr_count:     6
    .sgpr_spill_count: 0
    .symbol:         _ZN7rocprim17ROCPRIM_400000_NS6detail17trampoline_kernelINS0_14default_configENS1_38merge_sort_block_merge_config_selectorIiiEEZZNS1_27merge_sort_block_merge_implIS3_N6thrust23THRUST_200600_302600_NS6detail15normal_iteratorINS8_10device_ptrIiEEEESD_jNS1_19radix_merge_compareILb1ELb0EiNS0_19identity_decomposerEEEEE10hipError_tT0_T1_T2_jT3_P12ihipStream_tbPNSt15iterator_traitsISI_E10value_typeEPNSO_ISJ_E10value_typeEPSK_NS1_7vsmem_tEENKUlT_SI_SJ_SK_E_clISD_PiSD_S10_EESH_SX_SI_SJ_SK_EUlSX_E0_NS1_11comp_targetILNS1_3genE10ELNS1_11target_archE1201ELNS1_3gpuE5ELNS1_3repE0EEENS1_38merge_mergepath_config_static_selectorELNS0_4arch9wavefront6targetE1EEEvSJ_.kd
    .uniform_work_group_size: 1
    .uses_dynamic_stack: false
    .vgpr_count:     0
    .vgpr_spill_count: 0
    .wavefront_size: 64
  - .agpr_count:     0
    .args:
      - .offset:         0
        .size:           64
        .value_kind:     by_value
    .group_segment_fixed_size: 0
    .kernarg_segment_align: 8
    .kernarg_segment_size: 64
    .language:       OpenCL C
    .language_version:
      - 2
      - 0
    .max_flat_workgroup_size: 128
    .name:           _ZN7rocprim17ROCPRIM_400000_NS6detail17trampoline_kernelINS0_14default_configENS1_38merge_sort_block_merge_config_selectorIiiEEZZNS1_27merge_sort_block_merge_implIS3_N6thrust23THRUST_200600_302600_NS6detail15normal_iteratorINS8_10device_ptrIiEEEESD_jNS1_19radix_merge_compareILb1ELb0EiNS0_19identity_decomposerEEEEE10hipError_tT0_T1_T2_jT3_P12ihipStream_tbPNSt15iterator_traitsISI_E10value_typeEPNSO_ISJ_E10value_typeEPSK_NS1_7vsmem_tEENKUlT_SI_SJ_SK_E_clISD_PiSD_S10_EESH_SX_SI_SJ_SK_EUlSX_E0_NS1_11comp_targetILNS1_3genE5ELNS1_11target_archE942ELNS1_3gpuE9ELNS1_3repE0EEENS1_38merge_mergepath_config_static_selectorELNS0_4arch9wavefront6targetE1EEEvSJ_
    .private_segment_fixed_size: 0
    .sgpr_count:     6
    .sgpr_spill_count: 0
    .symbol:         _ZN7rocprim17ROCPRIM_400000_NS6detail17trampoline_kernelINS0_14default_configENS1_38merge_sort_block_merge_config_selectorIiiEEZZNS1_27merge_sort_block_merge_implIS3_N6thrust23THRUST_200600_302600_NS6detail15normal_iteratorINS8_10device_ptrIiEEEESD_jNS1_19radix_merge_compareILb1ELb0EiNS0_19identity_decomposerEEEEE10hipError_tT0_T1_T2_jT3_P12ihipStream_tbPNSt15iterator_traitsISI_E10value_typeEPNSO_ISJ_E10value_typeEPSK_NS1_7vsmem_tEENKUlT_SI_SJ_SK_E_clISD_PiSD_S10_EESH_SX_SI_SJ_SK_EUlSX_E0_NS1_11comp_targetILNS1_3genE5ELNS1_11target_archE942ELNS1_3gpuE9ELNS1_3repE0EEENS1_38merge_mergepath_config_static_selectorELNS0_4arch9wavefront6targetE1EEEvSJ_.kd
    .uniform_work_group_size: 1
    .uses_dynamic_stack: false
    .vgpr_count:     0
    .vgpr_spill_count: 0
    .wavefront_size: 64
  - .agpr_count:     0
    .args:
      - .offset:         0
        .size:           64
        .value_kind:     by_value
    .group_segment_fixed_size: 0
    .kernarg_segment_align: 8
    .kernarg_segment_size: 64
    .language:       OpenCL C
    .language_version:
      - 2
      - 0
    .max_flat_workgroup_size: 256
    .name:           _ZN7rocprim17ROCPRIM_400000_NS6detail17trampoline_kernelINS0_14default_configENS1_38merge_sort_block_merge_config_selectorIiiEEZZNS1_27merge_sort_block_merge_implIS3_N6thrust23THRUST_200600_302600_NS6detail15normal_iteratorINS8_10device_ptrIiEEEESD_jNS1_19radix_merge_compareILb1ELb0EiNS0_19identity_decomposerEEEEE10hipError_tT0_T1_T2_jT3_P12ihipStream_tbPNSt15iterator_traitsISI_E10value_typeEPNSO_ISJ_E10value_typeEPSK_NS1_7vsmem_tEENKUlT_SI_SJ_SK_E_clISD_PiSD_S10_EESH_SX_SI_SJ_SK_EUlSX_E0_NS1_11comp_targetILNS1_3genE4ELNS1_11target_archE910ELNS1_3gpuE8ELNS1_3repE0EEENS1_38merge_mergepath_config_static_selectorELNS0_4arch9wavefront6targetE1EEEvSJ_
    .private_segment_fixed_size: 0
    .sgpr_count:     6
    .sgpr_spill_count: 0
    .symbol:         _ZN7rocprim17ROCPRIM_400000_NS6detail17trampoline_kernelINS0_14default_configENS1_38merge_sort_block_merge_config_selectorIiiEEZZNS1_27merge_sort_block_merge_implIS3_N6thrust23THRUST_200600_302600_NS6detail15normal_iteratorINS8_10device_ptrIiEEEESD_jNS1_19radix_merge_compareILb1ELb0EiNS0_19identity_decomposerEEEEE10hipError_tT0_T1_T2_jT3_P12ihipStream_tbPNSt15iterator_traitsISI_E10value_typeEPNSO_ISJ_E10value_typeEPSK_NS1_7vsmem_tEENKUlT_SI_SJ_SK_E_clISD_PiSD_S10_EESH_SX_SI_SJ_SK_EUlSX_E0_NS1_11comp_targetILNS1_3genE4ELNS1_11target_archE910ELNS1_3gpuE8ELNS1_3repE0EEENS1_38merge_mergepath_config_static_selectorELNS0_4arch9wavefront6targetE1EEEvSJ_.kd
    .uniform_work_group_size: 1
    .uses_dynamic_stack: false
    .vgpr_count:     0
    .vgpr_spill_count: 0
    .wavefront_size: 64
  - .agpr_count:     0
    .args:
      - .offset:         0
        .size:           64
        .value_kind:     by_value
    .group_segment_fixed_size: 0
    .kernarg_segment_align: 8
    .kernarg_segment_size: 64
    .language:       OpenCL C
    .language_version:
      - 2
      - 0
    .max_flat_workgroup_size: 256
    .name:           _ZN7rocprim17ROCPRIM_400000_NS6detail17trampoline_kernelINS0_14default_configENS1_38merge_sort_block_merge_config_selectorIiiEEZZNS1_27merge_sort_block_merge_implIS3_N6thrust23THRUST_200600_302600_NS6detail15normal_iteratorINS8_10device_ptrIiEEEESD_jNS1_19radix_merge_compareILb1ELb0EiNS0_19identity_decomposerEEEEE10hipError_tT0_T1_T2_jT3_P12ihipStream_tbPNSt15iterator_traitsISI_E10value_typeEPNSO_ISJ_E10value_typeEPSK_NS1_7vsmem_tEENKUlT_SI_SJ_SK_E_clISD_PiSD_S10_EESH_SX_SI_SJ_SK_EUlSX_E0_NS1_11comp_targetILNS1_3genE3ELNS1_11target_archE908ELNS1_3gpuE7ELNS1_3repE0EEENS1_38merge_mergepath_config_static_selectorELNS0_4arch9wavefront6targetE1EEEvSJ_
    .private_segment_fixed_size: 0
    .sgpr_count:     6
    .sgpr_spill_count: 0
    .symbol:         _ZN7rocprim17ROCPRIM_400000_NS6detail17trampoline_kernelINS0_14default_configENS1_38merge_sort_block_merge_config_selectorIiiEEZZNS1_27merge_sort_block_merge_implIS3_N6thrust23THRUST_200600_302600_NS6detail15normal_iteratorINS8_10device_ptrIiEEEESD_jNS1_19radix_merge_compareILb1ELb0EiNS0_19identity_decomposerEEEEE10hipError_tT0_T1_T2_jT3_P12ihipStream_tbPNSt15iterator_traitsISI_E10value_typeEPNSO_ISJ_E10value_typeEPSK_NS1_7vsmem_tEENKUlT_SI_SJ_SK_E_clISD_PiSD_S10_EESH_SX_SI_SJ_SK_EUlSX_E0_NS1_11comp_targetILNS1_3genE3ELNS1_11target_archE908ELNS1_3gpuE7ELNS1_3repE0EEENS1_38merge_mergepath_config_static_selectorELNS0_4arch9wavefront6targetE1EEEvSJ_.kd
    .uniform_work_group_size: 1
    .uses_dynamic_stack: false
    .vgpr_count:     0
    .vgpr_spill_count: 0
    .wavefront_size: 64
  - .agpr_count:     0
    .args:
      - .offset:         0
        .size:           64
        .value_kind:     by_value
    .group_segment_fixed_size: 0
    .kernarg_segment_align: 8
    .kernarg_segment_size: 64
    .language:       OpenCL C
    .language_version:
      - 2
      - 0
    .max_flat_workgroup_size: 256
    .name:           _ZN7rocprim17ROCPRIM_400000_NS6detail17trampoline_kernelINS0_14default_configENS1_38merge_sort_block_merge_config_selectorIiiEEZZNS1_27merge_sort_block_merge_implIS3_N6thrust23THRUST_200600_302600_NS6detail15normal_iteratorINS8_10device_ptrIiEEEESD_jNS1_19radix_merge_compareILb1ELb0EiNS0_19identity_decomposerEEEEE10hipError_tT0_T1_T2_jT3_P12ihipStream_tbPNSt15iterator_traitsISI_E10value_typeEPNSO_ISJ_E10value_typeEPSK_NS1_7vsmem_tEENKUlT_SI_SJ_SK_E_clISD_PiSD_S10_EESH_SX_SI_SJ_SK_EUlSX_E0_NS1_11comp_targetILNS1_3genE2ELNS1_11target_archE906ELNS1_3gpuE6ELNS1_3repE0EEENS1_38merge_mergepath_config_static_selectorELNS0_4arch9wavefront6targetE1EEEvSJ_
    .private_segment_fixed_size: 0
    .sgpr_count:     6
    .sgpr_spill_count: 0
    .symbol:         _ZN7rocprim17ROCPRIM_400000_NS6detail17trampoline_kernelINS0_14default_configENS1_38merge_sort_block_merge_config_selectorIiiEEZZNS1_27merge_sort_block_merge_implIS3_N6thrust23THRUST_200600_302600_NS6detail15normal_iteratorINS8_10device_ptrIiEEEESD_jNS1_19radix_merge_compareILb1ELb0EiNS0_19identity_decomposerEEEEE10hipError_tT0_T1_T2_jT3_P12ihipStream_tbPNSt15iterator_traitsISI_E10value_typeEPNSO_ISJ_E10value_typeEPSK_NS1_7vsmem_tEENKUlT_SI_SJ_SK_E_clISD_PiSD_S10_EESH_SX_SI_SJ_SK_EUlSX_E0_NS1_11comp_targetILNS1_3genE2ELNS1_11target_archE906ELNS1_3gpuE6ELNS1_3repE0EEENS1_38merge_mergepath_config_static_selectorELNS0_4arch9wavefront6targetE1EEEvSJ_.kd
    .uniform_work_group_size: 1
    .uses_dynamic_stack: false
    .vgpr_count:     0
    .vgpr_spill_count: 0
    .wavefront_size: 64
  - .agpr_count:     0
    .args:
      - .offset:         0
        .size:           64
        .value_kind:     by_value
    .group_segment_fixed_size: 0
    .kernarg_segment_align: 8
    .kernarg_segment_size: 64
    .language:       OpenCL C
    .language_version:
      - 2
      - 0
    .max_flat_workgroup_size: 512
    .name:           _ZN7rocprim17ROCPRIM_400000_NS6detail17trampoline_kernelINS0_14default_configENS1_38merge_sort_block_merge_config_selectorIiiEEZZNS1_27merge_sort_block_merge_implIS3_N6thrust23THRUST_200600_302600_NS6detail15normal_iteratorINS8_10device_ptrIiEEEESD_jNS1_19radix_merge_compareILb1ELb0EiNS0_19identity_decomposerEEEEE10hipError_tT0_T1_T2_jT3_P12ihipStream_tbPNSt15iterator_traitsISI_E10value_typeEPNSO_ISJ_E10value_typeEPSK_NS1_7vsmem_tEENKUlT_SI_SJ_SK_E_clISD_PiSD_S10_EESH_SX_SI_SJ_SK_EUlSX_E0_NS1_11comp_targetILNS1_3genE9ELNS1_11target_archE1100ELNS1_3gpuE3ELNS1_3repE0EEENS1_38merge_mergepath_config_static_selectorELNS0_4arch9wavefront6targetE1EEEvSJ_
    .private_segment_fixed_size: 0
    .sgpr_count:     6
    .sgpr_spill_count: 0
    .symbol:         _ZN7rocprim17ROCPRIM_400000_NS6detail17trampoline_kernelINS0_14default_configENS1_38merge_sort_block_merge_config_selectorIiiEEZZNS1_27merge_sort_block_merge_implIS3_N6thrust23THRUST_200600_302600_NS6detail15normal_iteratorINS8_10device_ptrIiEEEESD_jNS1_19radix_merge_compareILb1ELb0EiNS0_19identity_decomposerEEEEE10hipError_tT0_T1_T2_jT3_P12ihipStream_tbPNSt15iterator_traitsISI_E10value_typeEPNSO_ISJ_E10value_typeEPSK_NS1_7vsmem_tEENKUlT_SI_SJ_SK_E_clISD_PiSD_S10_EESH_SX_SI_SJ_SK_EUlSX_E0_NS1_11comp_targetILNS1_3genE9ELNS1_11target_archE1100ELNS1_3gpuE3ELNS1_3repE0EEENS1_38merge_mergepath_config_static_selectorELNS0_4arch9wavefront6targetE1EEEvSJ_.kd
    .uniform_work_group_size: 1
    .uses_dynamic_stack: false
    .vgpr_count:     0
    .vgpr_spill_count: 0
    .wavefront_size: 64
  - .agpr_count:     0
    .args:
      - .offset:         0
        .size:           64
        .value_kind:     by_value
    .group_segment_fixed_size: 0
    .kernarg_segment_align: 8
    .kernarg_segment_size: 64
    .language:       OpenCL C
    .language_version:
      - 2
      - 0
    .max_flat_workgroup_size: 1024
    .name:           _ZN7rocprim17ROCPRIM_400000_NS6detail17trampoline_kernelINS0_14default_configENS1_38merge_sort_block_merge_config_selectorIiiEEZZNS1_27merge_sort_block_merge_implIS3_N6thrust23THRUST_200600_302600_NS6detail15normal_iteratorINS8_10device_ptrIiEEEESD_jNS1_19radix_merge_compareILb1ELb0EiNS0_19identity_decomposerEEEEE10hipError_tT0_T1_T2_jT3_P12ihipStream_tbPNSt15iterator_traitsISI_E10value_typeEPNSO_ISJ_E10value_typeEPSK_NS1_7vsmem_tEENKUlT_SI_SJ_SK_E_clISD_PiSD_S10_EESH_SX_SI_SJ_SK_EUlSX_E0_NS1_11comp_targetILNS1_3genE8ELNS1_11target_archE1030ELNS1_3gpuE2ELNS1_3repE0EEENS1_38merge_mergepath_config_static_selectorELNS0_4arch9wavefront6targetE1EEEvSJ_
    .private_segment_fixed_size: 0
    .sgpr_count:     6
    .sgpr_spill_count: 0
    .symbol:         _ZN7rocprim17ROCPRIM_400000_NS6detail17trampoline_kernelINS0_14default_configENS1_38merge_sort_block_merge_config_selectorIiiEEZZNS1_27merge_sort_block_merge_implIS3_N6thrust23THRUST_200600_302600_NS6detail15normal_iteratorINS8_10device_ptrIiEEEESD_jNS1_19radix_merge_compareILb1ELb0EiNS0_19identity_decomposerEEEEE10hipError_tT0_T1_T2_jT3_P12ihipStream_tbPNSt15iterator_traitsISI_E10value_typeEPNSO_ISJ_E10value_typeEPSK_NS1_7vsmem_tEENKUlT_SI_SJ_SK_E_clISD_PiSD_S10_EESH_SX_SI_SJ_SK_EUlSX_E0_NS1_11comp_targetILNS1_3genE8ELNS1_11target_archE1030ELNS1_3gpuE2ELNS1_3repE0EEENS1_38merge_mergepath_config_static_selectorELNS0_4arch9wavefront6targetE1EEEvSJ_.kd
    .uniform_work_group_size: 1
    .uses_dynamic_stack: false
    .vgpr_count:     0
    .vgpr_spill_count: 0
    .wavefront_size: 64
  - .agpr_count:     0
    .args:
      - .offset:         0
        .size:           48
        .value_kind:     by_value
    .group_segment_fixed_size: 0
    .kernarg_segment_align: 8
    .kernarg_segment_size: 48
    .language:       OpenCL C
    .language_version:
      - 2
      - 0
    .max_flat_workgroup_size: 256
    .name:           _ZN7rocprim17ROCPRIM_400000_NS6detail17trampoline_kernelINS0_14default_configENS1_38merge_sort_block_merge_config_selectorIiiEEZZNS1_27merge_sort_block_merge_implIS3_N6thrust23THRUST_200600_302600_NS6detail15normal_iteratorINS8_10device_ptrIiEEEESD_jNS1_19radix_merge_compareILb1ELb0EiNS0_19identity_decomposerEEEEE10hipError_tT0_T1_T2_jT3_P12ihipStream_tbPNSt15iterator_traitsISI_E10value_typeEPNSO_ISJ_E10value_typeEPSK_NS1_7vsmem_tEENKUlT_SI_SJ_SK_E_clISD_PiSD_S10_EESH_SX_SI_SJ_SK_EUlSX_E1_NS1_11comp_targetILNS1_3genE0ELNS1_11target_archE4294967295ELNS1_3gpuE0ELNS1_3repE0EEENS1_36merge_oddeven_config_static_selectorELNS0_4arch9wavefront6targetE1EEEvSJ_
    .private_segment_fixed_size: 0
    .sgpr_count:     30
    .sgpr_spill_count: 0
    .symbol:         _ZN7rocprim17ROCPRIM_400000_NS6detail17trampoline_kernelINS0_14default_configENS1_38merge_sort_block_merge_config_selectorIiiEEZZNS1_27merge_sort_block_merge_implIS3_N6thrust23THRUST_200600_302600_NS6detail15normal_iteratorINS8_10device_ptrIiEEEESD_jNS1_19radix_merge_compareILb1ELb0EiNS0_19identity_decomposerEEEEE10hipError_tT0_T1_T2_jT3_P12ihipStream_tbPNSt15iterator_traitsISI_E10value_typeEPNSO_ISJ_E10value_typeEPSK_NS1_7vsmem_tEENKUlT_SI_SJ_SK_E_clISD_PiSD_S10_EESH_SX_SI_SJ_SK_EUlSX_E1_NS1_11comp_targetILNS1_3genE0ELNS1_11target_archE4294967295ELNS1_3gpuE0ELNS1_3repE0EEENS1_36merge_oddeven_config_static_selectorELNS0_4arch9wavefront6targetE1EEEvSJ_.kd
    .uniform_work_group_size: 1
    .uses_dynamic_stack: false
    .vgpr_count:     10
    .vgpr_spill_count: 0
    .wavefront_size: 64
  - .agpr_count:     0
    .args:
      - .offset:         0
        .size:           48
        .value_kind:     by_value
    .group_segment_fixed_size: 0
    .kernarg_segment_align: 8
    .kernarg_segment_size: 48
    .language:       OpenCL C
    .language_version:
      - 2
      - 0
    .max_flat_workgroup_size: 256
    .name:           _ZN7rocprim17ROCPRIM_400000_NS6detail17trampoline_kernelINS0_14default_configENS1_38merge_sort_block_merge_config_selectorIiiEEZZNS1_27merge_sort_block_merge_implIS3_N6thrust23THRUST_200600_302600_NS6detail15normal_iteratorINS8_10device_ptrIiEEEESD_jNS1_19radix_merge_compareILb1ELb0EiNS0_19identity_decomposerEEEEE10hipError_tT0_T1_T2_jT3_P12ihipStream_tbPNSt15iterator_traitsISI_E10value_typeEPNSO_ISJ_E10value_typeEPSK_NS1_7vsmem_tEENKUlT_SI_SJ_SK_E_clISD_PiSD_S10_EESH_SX_SI_SJ_SK_EUlSX_E1_NS1_11comp_targetILNS1_3genE10ELNS1_11target_archE1201ELNS1_3gpuE5ELNS1_3repE0EEENS1_36merge_oddeven_config_static_selectorELNS0_4arch9wavefront6targetE1EEEvSJ_
    .private_segment_fixed_size: 0
    .sgpr_count:     6
    .sgpr_spill_count: 0
    .symbol:         _ZN7rocprim17ROCPRIM_400000_NS6detail17trampoline_kernelINS0_14default_configENS1_38merge_sort_block_merge_config_selectorIiiEEZZNS1_27merge_sort_block_merge_implIS3_N6thrust23THRUST_200600_302600_NS6detail15normal_iteratorINS8_10device_ptrIiEEEESD_jNS1_19radix_merge_compareILb1ELb0EiNS0_19identity_decomposerEEEEE10hipError_tT0_T1_T2_jT3_P12ihipStream_tbPNSt15iterator_traitsISI_E10value_typeEPNSO_ISJ_E10value_typeEPSK_NS1_7vsmem_tEENKUlT_SI_SJ_SK_E_clISD_PiSD_S10_EESH_SX_SI_SJ_SK_EUlSX_E1_NS1_11comp_targetILNS1_3genE10ELNS1_11target_archE1201ELNS1_3gpuE5ELNS1_3repE0EEENS1_36merge_oddeven_config_static_selectorELNS0_4arch9wavefront6targetE1EEEvSJ_.kd
    .uniform_work_group_size: 1
    .uses_dynamic_stack: false
    .vgpr_count:     0
    .vgpr_spill_count: 0
    .wavefront_size: 64
  - .agpr_count:     0
    .args:
      - .offset:         0
        .size:           48
        .value_kind:     by_value
    .group_segment_fixed_size: 0
    .kernarg_segment_align: 8
    .kernarg_segment_size: 48
    .language:       OpenCL C
    .language_version:
      - 2
      - 0
    .max_flat_workgroup_size: 256
    .name:           _ZN7rocprim17ROCPRIM_400000_NS6detail17trampoline_kernelINS0_14default_configENS1_38merge_sort_block_merge_config_selectorIiiEEZZNS1_27merge_sort_block_merge_implIS3_N6thrust23THRUST_200600_302600_NS6detail15normal_iteratorINS8_10device_ptrIiEEEESD_jNS1_19radix_merge_compareILb1ELb0EiNS0_19identity_decomposerEEEEE10hipError_tT0_T1_T2_jT3_P12ihipStream_tbPNSt15iterator_traitsISI_E10value_typeEPNSO_ISJ_E10value_typeEPSK_NS1_7vsmem_tEENKUlT_SI_SJ_SK_E_clISD_PiSD_S10_EESH_SX_SI_SJ_SK_EUlSX_E1_NS1_11comp_targetILNS1_3genE5ELNS1_11target_archE942ELNS1_3gpuE9ELNS1_3repE0EEENS1_36merge_oddeven_config_static_selectorELNS0_4arch9wavefront6targetE1EEEvSJ_
    .private_segment_fixed_size: 0
    .sgpr_count:     6
    .sgpr_spill_count: 0
    .symbol:         _ZN7rocprim17ROCPRIM_400000_NS6detail17trampoline_kernelINS0_14default_configENS1_38merge_sort_block_merge_config_selectorIiiEEZZNS1_27merge_sort_block_merge_implIS3_N6thrust23THRUST_200600_302600_NS6detail15normal_iteratorINS8_10device_ptrIiEEEESD_jNS1_19radix_merge_compareILb1ELb0EiNS0_19identity_decomposerEEEEE10hipError_tT0_T1_T2_jT3_P12ihipStream_tbPNSt15iterator_traitsISI_E10value_typeEPNSO_ISJ_E10value_typeEPSK_NS1_7vsmem_tEENKUlT_SI_SJ_SK_E_clISD_PiSD_S10_EESH_SX_SI_SJ_SK_EUlSX_E1_NS1_11comp_targetILNS1_3genE5ELNS1_11target_archE942ELNS1_3gpuE9ELNS1_3repE0EEENS1_36merge_oddeven_config_static_selectorELNS0_4arch9wavefront6targetE1EEEvSJ_.kd
    .uniform_work_group_size: 1
    .uses_dynamic_stack: false
    .vgpr_count:     0
    .vgpr_spill_count: 0
    .wavefront_size: 64
  - .agpr_count:     0
    .args:
      - .offset:         0
        .size:           48
        .value_kind:     by_value
    .group_segment_fixed_size: 0
    .kernarg_segment_align: 8
    .kernarg_segment_size: 48
    .language:       OpenCL C
    .language_version:
      - 2
      - 0
    .max_flat_workgroup_size: 256
    .name:           _ZN7rocprim17ROCPRIM_400000_NS6detail17trampoline_kernelINS0_14default_configENS1_38merge_sort_block_merge_config_selectorIiiEEZZNS1_27merge_sort_block_merge_implIS3_N6thrust23THRUST_200600_302600_NS6detail15normal_iteratorINS8_10device_ptrIiEEEESD_jNS1_19radix_merge_compareILb1ELb0EiNS0_19identity_decomposerEEEEE10hipError_tT0_T1_T2_jT3_P12ihipStream_tbPNSt15iterator_traitsISI_E10value_typeEPNSO_ISJ_E10value_typeEPSK_NS1_7vsmem_tEENKUlT_SI_SJ_SK_E_clISD_PiSD_S10_EESH_SX_SI_SJ_SK_EUlSX_E1_NS1_11comp_targetILNS1_3genE4ELNS1_11target_archE910ELNS1_3gpuE8ELNS1_3repE0EEENS1_36merge_oddeven_config_static_selectorELNS0_4arch9wavefront6targetE1EEEvSJ_
    .private_segment_fixed_size: 0
    .sgpr_count:     6
    .sgpr_spill_count: 0
    .symbol:         _ZN7rocprim17ROCPRIM_400000_NS6detail17trampoline_kernelINS0_14default_configENS1_38merge_sort_block_merge_config_selectorIiiEEZZNS1_27merge_sort_block_merge_implIS3_N6thrust23THRUST_200600_302600_NS6detail15normal_iteratorINS8_10device_ptrIiEEEESD_jNS1_19radix_merge_compareILb1ELb0EiNS0_19identity_decomposerEEEEE10hipError_tT0_T1_T2_jT3_P12ihipStream_tbPNSt15iterator_traitsISI_E10value_typeEPNSO_ISJ_E10value_typeEPSK_NS1_7vsmem_tEENKUlT_SI_SJ_SK_E_clISD_PiSD_S10_EESH_SX_SI_SJ_SK_EUlSX_E1_NS1_11comp_targetILNS1_3genE4ELNS1_11target_archE910ELNS1_3gpuE8ELNS1_3repE0EEENS1_36merge_oddeven_config_static_selectorELNS0_4arch9wavefront6targetE1EEEvSJ_.kd
    .uniform_work_group_size: 1
    .uses_dynamic_stack: false
    .vgpr_count:     0
    .vgpr_spill_count: 0
    .wavefront_size: 64
  - .agpr_count:     0
    .args:
      - .offset:         0
        .size:           48
        .value_kind:     by_value
    .group_segment_fixed_size: 0
    .kernarg_segment_align: 8
    .kernarg_segment_size: 48
    .language:       OpenCL C
    .language_version:
      - 2
      - 0
    .max_flat_workgroup_size: 256
    .name:           _ZN7rocprim17ROCPRIM_400000_NS6detail17trampoline_kernelINS0_14default_configENS1_38merge_sort_block_merge_config_selectorIiiEEZZNS1_27merge_sort_block_merge_implIS3_N6thrust23THRUST_200600_302600_NS6detail15normal_iteratorINS8_10device_ptrIiEEEESD_jNS1_19radix_merge_compareILb1ELb0EiNS0_19identity_decomposerEEEEE10hipError_tT0_T1_T2_jT3_P12ihipStream_tbPNSt15iterator_traitsISI_E10value_typeEPNSO_ISJ_E10value_typeEPSK_NS1_7vsmem_tEENKUlT_SI_SJ_SK_E_clISD_PiSD_S10_EESH_SX_SI_SJ_SK_EUlSX_E1_NS1_11comp_targetILNS1_3genE3ELNS1_11target_archE908ELNS1_3gpuE7ELNS1_3repE0EEENS1_36merge_oddeven_config_static_selectorELNS0_4arch9wavefront6targetE1EEEvSJ_
    .private_segment_fixed_size: 0
    .sgpr_count:     6
    .sgpr_spill_count: 0
    .symbol:         _ZN7rocprim17ROCPRIM_400000_NS6detail17trampoline_kernelINS0_14default_configENS1_38merge_sort_block_merge_config_selectorIiiEEZZNS1_27merge_sort_block_merge_implIS3_N6thrust23THRUST_200600_302600_NS6detail15normal_iteratorINS8_10device_ptrIiEEEESD_jNS1_19radix_merge_compareILb1ELb0EiNS0_19identity_decomposerEEEEE10hipError_tT0_T1_T2_jT3_P12ihipStream_tbPNSt15iterator_traitsISI_E10value_typeEPNSO_ISJ_E10value_typeEPSK_NS1_7vsmem_tEENKUlT_SI_SJ_SK_E_clISD_PiSD_S10_EESH_SX_SI_SJ_SK_EUlSX_E1_NS1_11comp_targetILNS1_3genE3ELNS1_11target_archE908ELNS1_3gpuE7ELNS1_3repE0EEENS1_36merge_oddeven_config_static_selectorELNS0_4arch9wavefront6targetE1EEEvSJ_.kd
    .uniform_work_group_size: 1
    .uses_dynamic_stack: false
    .vgpr_count:     0
    .vgpr_spill_count: 0
    .wavefront_size: 64
  - .agpr_count:     0
    .args:
      - .offset:         0
        .size:           48
        .value_kind:     by_value
    .group_segment_fixed_size: 0
    .kernarg_segment_align: 8
    .kernarg_segment_size: 48
    .language:       OpenCL C
    .language_version:
      - 2
      - 0
    .max_flat_workgroup_size: 256
    .name:           _ZN7rocprim17ROCPRIM_400000_NS6detail17trampoline_kernelINS0_14default_configENS1_38merge_sort_block_merge_config_selectorIiiEEZZNS1_27merge_sort_block_merge_implIS3_N6thrust23THRUST_200600_302600_NS6detail15normal_iteratorINS8_10device_ptrIiEEEESD_jNS1_19radix_merge_compareILb1ELb0EiNS0_19identity_decomposerEEEEE10hipError_tT0_T1_T2_jT3_P12ihipStream_tbPNSt15iterator_traitsISI_E10value_typeEPNSO_ISJ_E10value_typeEPSK_NS1_7vsmem_tEENKUlT_SI_SJ_SK_E_clISD_PiSD_S10_EESH_SX_SI_SJ_SK_EUlSX_E1_NS1_11comp_targetILNS1_3genE2ELNS1_11target_archE906ELNS1_3gpuE6ELNS1_3repE0EEENS1_36merge_oddeven_config_static_selectorELNS0_4arch9wavefront6targetE1EEEvSJ_
    .private_segment_fixed_size: 0
    .sgpr_count:     6
    .sgpr_spill_count: 0
    .symbol:         _ZN7rocprim17ROCPRIM_400000_NS6detail17trampoline_kernelINS0_14default_configENS1_38merge_sort_block_merge_config_selectorIiiEEZZNS1_27merge_sort_block_merge_implIS3_N6thrust23THRUST_200600_302600_NS6detail15normal_iteratorINS8_10device_ptrIiEEEESD_jNS1_19radix_merge_compareILb1ELb0EiNS0_19identity_decomposerEEEEE10hipError_tT0_T1_T2_jT3_P12ihipStream_tbPNSt15iterator_traitsISI_E10value_typeEPNSO_ISJ_E10value_typeEPSK_NS1_7vsmem_tEENKUlT_SI_SJ_SK_E_clISD_PiSD_S10_EESH_SX_SI_SJ_SK_EUlSX_E1_NS1_11comp_targetILNS1_3genE2ELNS1_11target_archE906ELNS1_3gpuE6ELNS1_3repE0EEENS1_36merge_oddeven_config_static_selectorELNS0_4arch9wavefront6targetE1EEEvSJ_.kd
    .uniform_work_group_size: 1
    .uses_dynamic_stack: false
    .vgpr_count:     0
    .vgpr_spill_count: 0
    .wavefront_size: 64
  - .agpr_count:     0
    .args:
      - .offset:         0
        .size:           48
        .value_kind:     by_value
    .group_segment_fixed_size: 0
    .kernarg_segment_align: 8
    .kernarg_segment_size: 48
    .language:       OpenCL C
    .language_version:
      - 2
      - 0
    .max_flat_workgroup_size: 256
    .name:           _ZN7rocprim17ROCPRIM_400000_NS6detail17trampoline_kernelINS0_14default_configENS1_38merge_sort_block_merge_config_selectorIiiEEZZNS1_27merge_sort_block_merge_implIS3_N6thrust23THRUST_200600_302600_NS6detail15normal_iteratorINS8_10device_ptrIiEEEESD_jNS1_19radix_merge_compareILb1ELb0EiNS0_19identity_decomposerEEEEE10hipError_tT0_T1_T2_jT3_P12ihipStream_tbPNSt15iterator_traitsISI_E10value_typeEPNSO_ISJ_E10value_typeEPSK_NS1_7vsmem_tEENKUlT_SI_SJ_SK_E_clISD_PiSD_S10_EESH_SX_SI_SJ_SK_EUlSX_E1_NS1_11comp_targetILNS1_3genE9ELNS1_11target_archE1100ELNS1_3gpuE3ELNS1_3repE0EEENS1_36merge_oddeven_config_static_selectorELNS0_4arch9wavefront6targetE1EEEvSJ_
    .private_segment_fixed_size: 0
    .sgpr_count:     6
    .sgpr_spill_count: 0
    .symbol:         _ZN7rocprim17ROCPRIM_400000_NS6detail17trampoline_kernelINS0_14default_configENS1_38merge_sort_block_merge_config_selectorIiiEEZZNS1_27merge_sort_block_merge_implIS3_N6thrust23THRUST_200600_302600_NS6detail15normal_iteratorINS8_10device_ptrIiEEEESD_jNS1_19radix_merge_compareILb1ELb0EiNS0_19identity_decomposerEEEEE10hipError_tT0_T1_T2_jT3_P12ihipStream_tbPNSt15iterator_traitsISI_E10value_typeEPNSO_ISJ_E10value_typeEPSK_NS1_7vsmem_tEENKUlT_SI_SJ_SK_E_clISD_PiSD_S10_EESH_SX_SI_SJ_SK_EUlSX_E1_NS1_11comp_targetILNS1_3genE9ELNS1_11target_archE1100ELNS1_3gpuE3ELNS1_3repE0EEENS1_36merge_oddeven_config_static_selectorELNS0_4arch9wavefront6targetE1EEEvSJ_.kd
    .uniform_work_group_size: 1
    .uses_dynamic_stack: false
    .vgpr_count:     0
    .vgpr_spill_count: 0
    .wavefront_size: 64
  - .agpr_count:     0
    .args:
      - .offset:         0
        .size:           48
        .value_kind:     by_value
    .group_segment_fixed_size: 0
    .kernarg_segment_align: 8
    .kernarg_segment_size: 48
    .language:       OpenCL C
    .language_version:
      - 2
      - 0
    .max_flat_workgroup_size: 256
    .name:           _ZN7rocprim17ROCPRIM_400000_NS6detail17trampoline_kernelINS0_14default_configENS1_38merge_sort_block_merge_config_selectorIiiEEZZNS1_27merge_sort_block_merge_implIS3_N6thrust23THRUST_200600_302600_NS6detail15normal_iteratorINS8_10device_ptrIiEEEESD_jNS1_19radix_merge_compareILb1ELb0EiNS0_19identity_decomposerEEEEE10hipError_tT0_T1_T2_jT3_P12ihipStream_tbPNSt15iterator_traitsISI_E10value_typeEPNSO_ISJ_E10value_typeEPSK_NS1_7vsmem_tEENKUlT_SI_SJ_SK_E_clISD_PiSD_S10_EESH_SX_SI_SJ_SK_EUlSX_E1_NS1_11comp_targetILNS1_3genE8ELNS1_11target_archE1030ELNS1_3gpuE2ELNS1_3repE0EEENS1_36merge_oddeven_config_static_selectorELNS0_4arch9wavefront6targetE1EEEvSJ_
    .private_segment_fixed_size: 0
    .sgpr_count:     6
    .sgpr_spill_count: 0
    .symbol:         _ZN7rocprim17ROCPRIM_400000_NS6detail17trampoline_kernelINS0_14default_configENS1_38merge_sort_block_merge_config_selectorIiiEEZZNS1_27merge_sort_block_merge_implIS3_N6thrust23THRUST_200600_302600_NS6detail15normal_iteratorINS8_10device_ptrIiEEEESD_jNS1_19radix_merge_compareILb1ELb0EiNS0_19identity_decomposerEEEEE10hipError_tT0_T1_T2_jT3_P12ihipStream_tbPNSt15iterator_traitsISI_E10value_typeEPNSO_ISJ_E10value_typeEPSK_NS1_7vsmem_tEENKUlT_SI_SJ_SK_E_clISD_PiSD_S10_EESH_SX_SI_SJ_SK_EUlSX_E1_NS1_11comp_targetILNS1_3genE8ELNS1_11target_archE1030ELNS1_3gpuE2ELNS1_3repE0EEENS1_36merge_oddeven_config_static_selectorELNS0_4arch9wavefront6targetE1EEEvSJ_.kd
    .uniform_work_group_size: 1
    .uses_dynamic_stack: false
    .vgpr_count:     0
    .vgpr_spill_count: 0
    .wavefront_size: 64
  - .agpr_count:     0
    .args:
      - .offset:         0
        .size:           40
        .value_kind:     by_value
    .group_segment_fixed_size: 0
    .kernarg_segment_align: 8
    .kernarg_segment_size: 40
    .language:       OpenCL C
    .language_version:
      - 2
      - 0
    .max_flat_workgroup_size: 128
    .name:           _ZN7rocprim17ROCPRIM_400000_NS6detail17trampoline_kernelINS0_14default_configENS1_38merge_sort_block_merge_config_selectorIiiEEZZNS1_27merge_sort_block_merge_implIS3_N6thrust23THRUST_200600_302600_NS6detail15normal_iteratorINS8_10device_ptrIiEEEESD_jNS1_19radix_merge_compareILb1ELb1EiNS0_19identity_decomposerEEEEE10hipError_tT0_T1_T2_jT3_P12ihipStream_tbPNSt15iterator_traitsISI_E10value_typeEPNSO_ISJ_E10value_typeEPSK_NS1_7vsmem_tEENKUlT_SI_SJ_SK_E_clIPiSD_S10_SD_EESH_SX_SI_SJ_SK_EUlSX_E_NS1_11comp_targetILNS1_3genE0ELNS1_11target_archE4294967295ELNS1_3gpuE0ELNS1_3repE0EEENS1_48merge_mergepath_partition_config_static_selectorELNS0_4arch9wavefront6targetE1EEEvSJ_
    .private_segment_fixed_size: 0
    .sgpr_count:     16
    .sgpr_spill_count: 0
    .symbol:         _ZN7rocprim17ROCPRIM_400000_NS6detail17trampoline_kernelINS0_14default_configENS1_38merge_sort_block_merge_config_selectorIiiEEZZNS1_27merge_sort_block_merge_implIS3_N6thrust23THRUST_200600_302600_NS6detail15normal_iteratorINS8_10device_ptrIiEEEESD_jNS1_19radix_merge_compareILb1ELb1EiNS0_19identity_decomposerEEEEE10hipError_tT0_T1_T2_jT3_P12ihipStream_tbPNSt15iterator_traitsISI_E10value_typeEPNSO_ISJ_E10value_typeEPSK_NS1_7vsmem_tEENKUlT_SI_SJ_SK_E_clIPiSD_S10_SD_EESH_SX_SI_SJ_SK_EUlSX_E_NS1_11comp_targetILNS1_3genE0ELNS1_11target_archE4294967295ELNS1_3gpuE0ELNS1_3repE0EEENS1_48merge_mergepath_partition_config_static_selectorELNS0_4arch9wavefront6targetE1EEEvSJ_.kd
    .uniform_work_group_size: 1
    .uses_dynamic_stack: false
    .vgpr_count:     17
    .vgpr_spill_count: 0
    .wavefront_size: 64
  - .agpr_count:     0
    .args:
      - .offset:         0
        .size:           40
        .value_kind:     by_value
    .group_segment_fixed_size: 0
    .kernarg_segment_align: 8
    .kernarg_segment_size: 40
    .language:       OpenCL C
    .language_version:
      - 2
      - 0
    .max_flat_workgroup_size: 128
    .name:           _ZN7rocprim17ROCPRIM_400000_NS6detail17trampoline_kernelINS0_14default_configENS1_38merge_sort_block_merge_config_selectorIiiEEZZNS1_27merge_sort_block_merge_implIS3_N6thrust23THRUST_200600_302600_NS6detail15normal_iteratorINS8_10device_ptrIiEEEESD_jNS1_19radix_merge_compareILb1ELb1EiNS0_19identity_decomposerEEEEE10hipError_tT0_T1_T2_jT3_P12ihipStream_tbPNSt15iterator_traitsISI_E10value_typeEPNSO_ISJ_E10value_typeEPSK_NS1_7vsmem_tEENKUlT_SI_SJ_SK_E_clIPiSD_S10_SD_EESH_SX_SI_SJ_SK_EUlSX_E_NS1_11comp_targetILNS1_3genE10ELNS1_11target_archE1201ELNS1_3gpuE5ELNS1_3repE0EEENS1_48merge_mergepath_partition_config_static_selectorELNS0_4arch9wavefront6targetE1EEEvSJ_
    .private_segment_fixed_size: 0
    .sgpr_count:     6
    .sgpr_spill_count: 0
    .symbol:         _ZN7rocprim17ROCPRIM_400000_NS6detail17trampoline_kernelINS0_14default_configENS1_38merge_sort_block_merge_config_selectorIiiEEZZNS1_27merge_sort_block_merge_implIS3_N6thrust23THRUST_200600_302600_NS6detail15normal_iteratorINS8_10device_ptrIiEEEESD_jNS1_19radix_merge_compareILb1ELb1EiNS0_19identity_decomposerEEEEE10hipError_tT0_T1_T2_jT3_P12ihipStream_tbPNSt15iterator_traitsISI_E10value_typeEPNSO_ISJ_E10value_typeEPSK_NS1_7vsmem_tEENKUlT_SI_SJ_SK_E_clIPiSD_S10_SD_EESH_SX_SI_SJ_SK_EUlSX_E_NS1_11comp_targetILNS1_3genE10ELNS1_11target_archE1201ELNS1_3gpuE5ELNS1_3repE0EEENS1_48merge_mergepath_partition_config_static_selectorELNS0_4arch9wavefront6targetE1EEEvSJ_.kd
    .uniform_work_group_size: 1
    .uses_dynamic_stack: false
    .vgpr_count:     0
    .vgpr_spill_count: 0
    .wavefront_size: 64
  - .agpr_count:     0
    .args:
      - .offset:         0
        .size:           40
        .value_kind:     by_value
    .group_segment_fixed_size: 0
    .kernarg_segment_align: 8
    .kernarg_segment_size: 40
    .language:       OpenCL C
    .language_version:
      - 2
      - 0
    .max_flat_workgroup_size: 128
    .name:           _ZN7rocprim17ROCPRIM_400000_NS6detail17trampoline_kernelINS0_14default_configENS1_38merge_sort_block_merge_config_selectorIiiEEZZNS1_27merge_sort_block_merge_implIS3_N6thrust23THRUST_200600_302600_NS6detail15normal_iteratorINS8_10device_ptrIiEEEESD_jNS1_19radix_merge_compareILb1ELb1EiNS0_19identity_decomposerEEEEE10hipError_tT0_T1_T2_jT3_P12ihipStream_tbPNSt15iterator_traitsISI_E10value_typeEPNSO_ISJ_E10value_typeEPSK_NS1_7vsmem_tEENKUlT_SI_SJ_SK_E_clIPiSD_S10_SD_EESH_SX_SI_SJ_SK_EUlSX_E_NS1_11comp_targetILNS1_3genE5ELNS1_11target_archE942ELNS1_3gpuE9ELNS1_3repE0EEENS1_48merge_mergepath_partition_config_static_selectorELNS0_4arch9wavefront6targetE1EEEvSJ_
    .private_segment_fixed_size: 0
    .sgpr_count:     6
    .sgpr_spill_count: 0
    .symbol:         _ZN7rocprim17ROCPRIM_400000_NS6detail17trampoline_kernelINS0_14default_configENS1_38merge_sort_block_merge_config_selectorIiiEEZZNS1_27merge_sort_block_merge_implIS3_N6thrust23THRUST_200600_302600_NS6detail15normal_iteratorINS8_10device_ptrIiEEEESD_jNS1_19radix_merge_compareILb1ELb1EiNS0_19identity_decomposerEEEEE10hipError_tT0_T1_T2_jT3_P12ihipStream_tbPNSt15iterator_traitsISI_E10value_typeEPNSO_ISJ_E10value_typeEPSK_NS1_7vsmem_tEENKUlT_SI_SJ_SK_E_clIPiSD_S10_SD_EESH_SX_SI_SJ_SK_EUlSX_E_NS1_11comp_targetILNS1_3genE5ELNS1_11target_archE942ELNS1_3gpuE9ELNS1_3repE0EEENS1_48merge_mergepath_partition_config_static_selectorELNS0_4arch9wavefront6targetE1EEEvSJ_.kd
    .uniform_work_group_size: 1
    .uses_dynamic_stack: false
    .vgpr_count:     0
    .vgpr_spill_count: 0
    .wavefront_size: 64
  - .agpr_count:     0
    .args:
      - .offset:         0
        .size:           40
        .value_kind:     by_value
    .group_segment_fixed_size: 0
    .kernarg_segment_align: 8
    .kernarg_segment_size: 40
    .language:       OpenCL C
    .language_version:
      - 2
      - 0
    .max_flat_workgroup_size: 128
    .name:           _ZN7rocprim17ROCPRIM_400000_NS6detail17trampoline_kernelINS0_14default_configENS1_38merge_sort_block_merge_config_selectorIiiEEZZNS1_27merge_sort_block_merge_implIS3_N6thrust23THRUST_200600_302600_NS6detail15normal_iteratorINS8_10device_ptrIiEEEESD_jNS1_19radix_merge_compareILb1ELb1EiNS0_19identity_decomposerEEEEE10hipError_tT0_T1_T2_jT3_P12ihipStream_tbPNSt15iterator_traitsISI_E10value_typeEPNSO_ISJ_E10value_typeEPSK_NS1_7vsmem_tEENKUlT_SI_SJ_SK_E_clIPiSD_S10_SD_EESH_SX_SI_SJ_SK_EUlSX_E_NS1_11comp_targetILNS1_3genE4ELNS1_11target_archE910ELNS1_3gpuE8ELNS1_3repE0EEENS1_48merge_mergepath_partition_config_static_selectorELNS0_4arch9wavefront6targetE1EEEvSJ_
    .private_segment_fixed_size: 0
    .sgpr_count:     6
    .sgpr_spill_count: 0
    .symbol:         _ZN7rocprim17ROCPRIM_400000_NS6detail17trampoline_kernelINS0_14default_configENS1_38merge_sort_block_merge_config_selectorIiiEEZZNS1_27merge_sort_block_merge_implIS3_N6thrust23THRUST_200600_302600_NS6detail15normal_iteratorINS8_10device_ptrIiEEEESD_jNS1_19radix_merge_compareILb1ELb1EiNS0_19identity_decomposerEEEEE10hipError_tT0_T1_T2_jT3_P12ihipStream_tbPNSt15iterator_traitsISI_E10value_typeEPNSO_ISJ_E10value_typeEPSK_NS1_7vsmem_tEENKUlT_SI_SJ_SK_E_clIPiSD_S10_SD_EESH_SX_SI_SJ_SK_EUlSX_E_NS1_11comp_targetILNS1_3genE4ELNS1_11target_archE910ELNS1_3gpuE8ELNS1_3repE0EEENS1_48merge_mergepath_partition_config_static_selectorELNS0_4arch9wavefront6targetE1EEEvSJ_.kd
    .uniform_work_group_size: 1
    .uses_dynamic_stack: false
    .vgpr_count:     0
    .vgpr_spill_count: 0
    .wavefront_size: 64
  - .agpr_count:     0
    .args:
      - .offset:         0
        .size:           40
        .value_kind:     by_value
    .group_segment_fixed_size: 0
    .kernarg_segment_align: 8
    .kernarg_segment_size: 40
    .language:       OpenCL C
    .language_version:
      - 2
      - 0
    .max_flat_workgroup_size: 128
    .name:           _ZN7rocprim17ROCPRIM_400000_NS6detail17trampoline_kernelINS0_14default_configENS1_38merge_sort_block_merge_config_selectorIiiEEZZNS1_27merge_sort_block_merge_implIS3_N6thrust23THRUST_200600_302600_NS6detail15normal_iteratorINS8_10device_ptrIiEEEESD_jNS1_19radix_merge_compareILb1ELb1EiNS0_19identity_decomposerEEEEE10hipError_tT0_T1_T2_jT3_P12ihipStream_tbPNSt15iterator_traitsISI_E10value_typeEPNSO_ISJ_E10value_typeEPSK_NS1_7vsmem_tEENKUlT_SI_SJ_SK_E_clIPiSD_S10_SD_EESH_SX_SI_SJ_SK_EUlSX_E_NS1_11comp_targetILNS1_3genE3ELNS1_11target_archE908ELNS1_3gpuE7ELNS1_3repE0EEENS1_48merge_mergepath_partition_config_static_selectorELNS0_4arch9wavefront6targetE1EEEvSJ_
    .private_segment_fixed_size: 0
    .sgpr_count:     6
    .sgpr_spill_count: 0
    .symbol:         _ZN7rocprim17ROCPRIM_400000_NS6detail17trampoline_kernelINS0_14default_configENS1_38merge_sort_block_merge_config_selectorIiiEEZZNS1_27merge_sort_block_merge_implIS3_N6thrust23THRUST_200600_302600_NS6detail15normal_iteratorINS8_10device_ptrIiEEEESD_jNS1_19radix_merge_compareILb1ELb1EiNS0_19identity_decomposerEEEEE10hipError_tT0_T1_T2_jT3_P12ihipStream_tbPNSt15iterator_traitsISI_E10value_typeEPNSO_ISJ_E10value_typeEPSK_NS1_7vsmem_tEENKUlT_SI_SJ_SK_E_clIPiSD_S10_SD_EESH_SX_SI_SJ_SK_EUlSX_E_NS1_11comp_targetILNS1_3genE3ELNS1_11target_archE908ELNS1_3gpuE7ELNS1_3repE0EEENS1_48merge_mergepath_partition_config_static_selectorELNS0_4arch9wavefront6targetE1EEEvSJ_.kd
    .uniform_work_group_size: 1
    .uses_dynamic_stack: false
    .vgpr_count:     0
    .vgpr_spill_count: 0
    .wavefront_size: 64
  - .agpr_count:     0
    .args:
      - .offset:         0
        .size:           40
        .value_kind:     by_value
    .group_segment_fixed_size: 0
    .kernarg_segment_align: 8
    .kernarg_segment_size: 40
    .language:       OpenCL C
    .language_version:
      - 2
      - 0
    .max_flat_workgroup_size: 128
    .name:           _ZN7rocprim17ROCPRIM_400000_NS6detail17trampoline_kernelINS0_14default_configENS1_38merge_sort_block_merge_config_selectorIiiEEZZNS1_27merge_sort_block_merge_implIS3_N6thrust23THRUST_200600_302600_NS6detail15normal_iteratorINS8_10device_ptrIiEEEESD_jNS1_19radix_merge_compareILb1ELb1EiNS0_19identity_decomposerEEEEE10hipError_tT0_T1_T2_jT3_P12ihipStream_tbPNSt15iterator_traitsISI_E10value_typeEPNSO_ISJ_E10value_typeEPSK_NS1_7vsmem_tEENKUlT_SI_SJ_SK_E_clIPiSD_S10_SD_EESH_SX_SI_SJ_SK_EUlSX_E_NS1_11comp_targetILNS1_3genE2ELNS1_11target_archE906ELNS1_3gpuE6ELNS1_3repE0EEENS1_48merge_mergepath_partition_config_static_selectorELNS0_4arch9wavefront6targetE1EEEvSJ_
    .private_segment_fixed_size: 0
    .sgpr_count:     6
    .sgpr_spill_count: 0
    .symbol:         _ZN7rocprim17ROCPRIM_400000_NS6detail17trampoline_kernelINS0_14default_configENS1_38merge_sort_block_merge_config_selectorIiiEEZZNS1_27merge_sort_block_merge_implIS3_N6thrust23THRUST_200600_302600_NS6detail15normal_iteratorINS8_10device_ptrIiEEEESD_jNS1_19radix_merge_compareILb1ELb1EiNS0_19identity_decomposerEEEEE10hipError_tT0_T1_T2_jT3_P12ihipStream_tbPNSt15iterator_traitsISI_E10value_typeEPNSO_ISJ_E10value_typeEPSK_NS1_7vsmem_tEENKUlT_SI_SJ_SK_E_clIPiSD_S10_SD_EESH_SX_SI_SJ_SK_EUlSX_E_NS1_11comp_targetILNS1_3genE2ELNS1_11target_archE906ELNS1_3gpuE6ELNS1_3repE0EEENS1_48merge_mergepath_partition_config_static_selectorELNS0_4arch9wavefront6targetE1EEEvSJ_.kd
    .uniform_work_group_size: 1
    .uses_dynamic_stack: false
    .vgpr_count:     0
    .vgpr_spill_count: 0
    .wavefront_size: 64
  - .agpr_count:     0
    .args:
      - .offset:         0
        .size:           40
        .value_kind:     by_value
    .group_segment_fixed_size: 0
    .kernarg_segment_align: 8
    .kernarg_segment_size: 40
    .language:       OpenCL C
    .language_version:
      - 2
      - 0
    .max_flat_workgroup_size: 128
    .name:           _ZN7rocprim17ROCPRIM_400000_NS6detail17trampoline_kernelINS0_14default_configENS1_38merge_sort_block_merge_config_selectorIiiEEZZNS1_27merge_sort_block_merge_implIS3_N6thrust23THRUST_200600_302600_NS6detail15normal_iteratorINS8_10device_ptrIiEEEESD_jNS1_19radix_merge_compareILb1ELb1EiNS0_19identity_decomposerEEEEE10hipError_tT0_T1_T2_jT3_P12ihipStream_tbPNSt15iterator_traitsISI_E10value_typeEPNSO_ISJ_E10value_typeEPSK_NS1_7vsmem_tEENKUlT_SI_SJ_SK_E_clIPiSD_S10_SD_EESH_SX_SI_SJ_SK_EUlSX_E_NS1_11comp_targetILNS1_3genE9ELNS1_11target_archE1100ELNS1_3gpuE3ELNS1_3repE0EEENS1_48merge_mergepath_partition_config_static_selectorELNS0_4arch9wavefront6targetE1EEEvSJ_
    .private_segment_fixed_size: 0
    .sgpr_count:     6
    .sgpr_spill_count: 0
    .symbol:         _ZN7rocprim17ROCPRIM_400000_NS6detail17trampoline_kernelINS0_14default_configENS1_38merge_sort_block_merge_config_selectorIiiEEZZNS1_27merge_sort_block_merge_implIS3_N6thrust23THRUST_200600_302600_NS6detail15normal_iteratorINS8_10device_ptrIiEEEESD_jNS1_19radix_merge_compareILb1ELb1EiNS0_19identity_decomposerEEEEE10hipError_tT0_T1_T2_jT3_P12ihipStream_tbPNSt15iterator_traitsISI_E10value_typeEPNSO_ISJ_E10value_typeEPSK_NS1_7vsmem_tEENKUlT_SI_SJ_SK_E_clIPiSD_S10_SD_EESH_SX_SI_SJ_SK_EUlSX_E_NS1_11comp_targetILNS1_3genE9ELNS1_11target_archE1100ELNS1_3gpuE3ELNS1_3repE0EEENS1_48merge_mergepath_partition_config_static_selectorELNS0_4arch9wavefront6targetE1EEEvSJ_.kd
    .uniform_work_group_size: 1
    .uses_dynamic_stack: false
    .vgpr_count:     0
    .vgpr_spill_count: 0
    .wavefront_size: 64
  - .agpr_count:     0
    .args:
      - .offset:         0
        .size:           40
        .value_kind:     by_value
    .group_segment_fixed_size: 0
    .kernarg_segment_align: 8
    .kernarg_segment_size: 40
    .language:       OpenCL C
    .language_version:
      - 2
      - 0
    .max_flat_workgroup_size: 128
    .name:           _ZN7rocprim17ROCPRIM_400000_NS6detail17trampoline_kernelINS0_14default_configENS1_38merge_sort_block_merge_config_selectorIiiEEZZNS1_27merge_sort_block_merge_implIS3_N6thrust23THRUST_200600_302600_NS6detail15normal_iteratorINS8_10device_ptrIiEEEESD_jNS1_19radix_merge_compareILb1ELb1EiNS0_19identity_decomposerEEEEE10hipError_tT0_T1_T2_jT3_P12ihipStream_tbPNSt15iterator_traitsISI_E10value_typeEPNSO_ISJ_E10value_typeEPSK_NS1_7vsmem_tEENKUlT_SI_SJ_SK_E_clIPiSD_S10_SD_EESH_SX_SI_SJ_SK_EUlSX_E_NS1_11comp_targetILNS1_3genE8ELNS1_11target_archE1030ELNS1_3gpuE2ELNS1_3repE0EEENS1_48merge_mergepath_partition_config_static_selectorELNS0_4arch9wavefront6targetE1EEEvSJ_
    .private_segment_fixed_size: 0
    .sgpr_count:     6
    .sgpr_spill_count: 0
    .symbol:         _ZN7rocprim17ROCPRIM_400000_NS6detail17trampoline_kernelINS0_14default_configENS1_38merge_sort_block_merge_config_selectorIiiEEZZNS1_27merge_sort_block_merge_implIS3_N6thrust23THRUST_200600_302600_NS6detail15normal_iteratorINS8_10device_ptrIiEEEESD_jNS1_19radix_merge_compareILb1ELb1EiNS0_19identity_decomposerEEEEE10hipError_tT0_T1_T2_jT3_P12ihipStream_tbPNSt15iterator_traitsISI_E10value_typeEPNSO_ISJ_E10value_typeEPSK_NS1_7vsmem_tEENKUlT_SI_SJ_SK_E_clIPiSD_S10_SD_EESH_SX_SI_SJ_SK_EUlSX_E_NS1_11comp_targetILNS1_3genE8ELNS1_11target_archE1030ELNS1_3gpuE2ELNS1_3repE0EEENS1_48merge_mergepath_partition_config_static_selectorELNS0_4arch9wavefront6targetE1EEEvSJ_.kd
    .uniform_work_group_size: 1
    .uses_dynamic_stack: false
    .vgpr_count:     0
    .vgpr_spill_count: 0
    .wavefront_size: 64
  - .agpr_count:     0
    .args:
      - .offset:         0
        .size:           64
        .value_kind:     by_value
      - .offset:         64
        .size:           4
        .value_kind:     hidden_block_count_x
      - .offset:         68
        .size:           4
        .value_kind:     hidden_block_count_y
      - .offset:         72
        .size:           4
        .value_kind:     hidden_block_count_z
      - .offset:         76
        .size:           2
        .value_kind:     hidden_group_size_x
      - .offset:         78
        .size:           2
        .value_kind:     hidden_group_size_y
      - .offset:         80
        .size:           2
        .value_kind:     hidden_group_size_z
      - .offset:         82
        .size:           2
        .value_kind:     hidden_remainder_x
      - .offset:         84
        .size:           2
        .value_kind:     hidden_remainder_y
      - .offset:         86
        .size:           2
        .value_kind:     hidden_remainder_z
      - .offset:         104
        .size:           8
        .value_kind:     hidden_global_offset_x
      - .offset:         112
        .size:           8
        .value_kind:     hidden_global_offset_y
      - .offset:         120
        .size:           8
        .value_kind:     hidden_global_offset_z
      - .offset:         128
        .size:           2
        .value_kind:     hidden_grid_dims
    .group_segment_fixed_size: 4224
    .kernarg_segment_align: 8
    .kernarg_segment_size: 320
    .language:       OpenCL C
    .language_version:
      - 2
      - 0
    .max_flat_workgroup_size: 256
    .name:           _ZN7rocprim17ROCPRIM_400000_NS6detail17trampoline_kernelINS0_14default_configENS1_38merge_sort_block_merge_config_selectorIiiEEZZNS1_27merge_sort_block_merge_implIS3_N6thrust23THRUST_200600_302600_NS6detail15normal_iteratorINS8_10device_ptrIiEEEESD_jNS1_19radix_merge_compareILb1ELb1EiNS0_19identity_decomposerEEEEE10hipError_tT0_T1_T2_jT3_P12ihipStream_tbPNSt15iterator_traitsISI_E10value_typeEPNSO_ISJ_E10value_typeEPSK_NS1_7vsmem_tEENKUlT_SI_SJ_SK_E_clIPiSD_S10_SD_EESH_SX_SI_SJ_SK_EUlSX_E0_NS1_11comp_targetILNS1_3genE0ELNS1_11target_archE4294967295ELNS1_3gpuE0ELNS1_3repE0EEENS1_38merge_mergepath_config_static_selectorELNS0_4arch9wavefront6targetE1EEEvSJ_
    .private_segment_fixed_size: 0
    .sgpr_count:     37
    .sgpr_spill_count: 0
    .symbol:         _ZN7rocprim17ROCPRIM_400000_NS6detail17trampoline_kernelINS0_14default_configENS1_38merge_sort_block_merge_config_selectorIiiEEZZNS1_27merge_sort_block_merge_implIS3_N6thrust23THRUST_200600_302600_NS6detail15normal_iteratorINS8_10device_ptrIiEEEESD_jNS1_19radix_merge_compareILb1ELb1EiNS0_19identity_decomposerEEEEE10hipError_tT0_T1_T2_jT3_P12ihipStream_tbPNSt15iterator_traitsISI_E10value_typeEPNSO_ISJ_E10value_typeEPSK_NS1_7vsmem_tEENKUlT_SI_SJ_SK_E_clIPiSD_S10_SD_EESH_SX_SI_SJ_SK_EUlSX_E0_NS1_11comp_targetILNS1_3genE0ELNS1_11target_archE4294967295ELNS1_3gpuE0ELNS1_3repE0EEENS1_38merge_mergepath_config_static_selectorELNS0_4arch9wavefront6targetE1EEEvSJ_.kd
    .uniform_work_group_size: 1
    .uses_dynamic_stack: false
    .vgpr_count:     20
    .vgpr_spill_count: 0
    .wavefront_size: 64
  - .agpr_count:     0
    .args:
      - .offset:         0
        .size:           64
        .value_kind:     by_value
    .group_segment_fixed_size: 0
    .kernarg_segment_align: 8
    .kernarg_segment_size: 64
    .language:       OpenCL C
    .language_version:
      - 2
      - 0
    .max_flat_workgroup_size: 256
    .name:           _ZN7rocprim17ROCPRIM_400000_NS6detail17trampoline_kernelINS0_14default_configENS1_38merge_sort_block_merge_config_selectorIiiEEZZNS1_27merge_sort_block_merge_implIS3_N6thrust23THRUST_200600_302600_NS6detail15normal_iteratorINS8_10device_ptrIiEEEESD_jNS1_19radix_merge_compareILb1ELb1EiNS0_19identity_decomposerEEEEE10hipError_tT0_T1_T2_jT3_P12ihipStream_tbPNSt15iterator_traitsISI_E10value_typeEPNSO_ISJ_E10value_typeEPSK_NS1_7vsmem_tEENKUlT_SI_SJ_SK_E_clIPiSD_S10_SD_EESH_SX_SI_SJ_SK_EUlSX_E0_NS1_11comp_targetILNS1_3genE10ELNS1_11target_archE1201ELNS1_3gpuE5ELNS1_3repE0EEENS1_38merge_mergepath_config_static_selectorELNS0_4arch9wavefront6targetE1EEEvSJ_
    .private_segment_fixed_size: 0
    .sgpr_count:     6
    .sgpr_spill_count: 0
    .symbol:         _ZN7rocprim17ROCPRIM_400000_NS6detail17trampoline_kernelINS0_14default_configENS1_38merge_sort_block_merge_config_selectorIiiEEZZNS1_27merge_sort_block_merge_implIS3_N6thrust23THRUST_200600_302600_NS6detail15normal_iteratorINS8_10device_ptrIiEEEESD_jNS1_19radix_merge_compareILb1ELb1EiNS0_19identity_decomposerEEEEE10hipError_tT0_T1_T2_jT3_P12ihipStream_tbPNSt15iterator_traitsISI_E10value_typeEPNSO_ISJ_E10value_typeEPSK_NS1_7vsmem_tEENKUlT_SI_SJ_SK_E_clIPiSD_S10_SD_EESH_SX_SI_SJ_SK_EUlSX_E0_NS1_11comp_targetILNS1_3genE10ELNS1_11target_archE1201ELNS1_3gpuE5ELNS1_3repE0EEENS1_38merge_mergepath_config_static_selectorELNS0_4arch9wavefront6targetE1EEEvSJ_.kd
    .uniform_work_group_size: 1
    .uses_dynamic_stack: false
    .vgpr_count:     0
    .vgpr_spill_count: 0
    .wavefront_size: 64
  - .agpr_count:     0
    .args:
      - .offset:         0
        .size:           64
        .value_kind:     by_value
    .group_segment_fixed_size: 0
    .kernarg_segment_align: 8
    .kernarg_segment_size: 64
    .language:       OpenCL C
    .language_version:
      - 2
      - 0
    .max_flat_workgroup_size: 128
    .name:           _ZN7rocprim17ROCPRIM_400000_NS6detail17trampoline_kernelINS0_14default_configENS1_38merge_sort_block_merge_config_selectorIiiEEZZNS1_27merge_sort_block_merge_implIS3_N6thrust23THRUST_200600_302600_NS6detail15normal_iteratorINS8_10device_ptrIiEEEESD_jNS1_19radix_merge_compareILb1ELb1EiNS0_19identity_decomposerEEEEE10hipError_tT0_T1_T2_jT3_P12ihipStream_tbPNSt15iterator_traitsISI_E10value_typeEPNSO_ISJ_E10value_typeEPSK_NS1_7vsmem_tEENKUlT_SI_SJ_SK_E_clIPiSD_S10_SD_EESH_SX_SI_SJ_SK_EUlSX_E0_NS1_11comp_targetILNS1_3genE5ELNS1_11target_archE942ELNS1_3gpuE9ELNS1_3repE0EEENS1_38merge_mergepath_config_static_selectorELNS0_4arch9wavefront6targetE1EEEvSJ_
    .private_segment_fixed_size: 0
    .sgpr_count:     6
    .sgpr_spill_count: 0
    .symbol:         _ZN7rocprim17ROCPRIM_400000_NS6detail17trampoline_kernelINS0_14default_configENS1_38merge_sort_block_merge_config_selectorIiiEEZZNS1_27merge_sort_block_merge_implIS3_N6thrust23THRUST_200600_302600_NS6detail15normal_iteratorINS8_10device_ptrIiEEEESD_jNS1_19radix_merge_compareILb1ELb1EiNS0_19identity_decomposerEEEEE10hipError_tT0_T1_T2_jT3_P12ihipStream_tbPNSt15iterator_traitsISI_E10value_typeEPNSO_ISJ_E10value_typeEPSK_NS1_7vsmem_tEENKUlT_SI_SJ_SK_E_clIPiSD_S10_SD_EESH_SX_SI_SJ_SK_EUlSX_E0_NS1_11comp_targetILNS1_3genE5ELNS1_11target_archE942ELNS1_3gpuE9ELNS1_3repE0EEENS1_38merge_mergepath_config_static_selectorELNS0_4arch9wavefront6targetE1EEEvSJ_.kd
    .uniform_work_group_size: 1
    .uses_dynamic_stack: false
    .vgpr_count:     0
    .vgpr_spill_count: 0
    .wavefront_size: 64
  - .agpr_count:     0
    .args:
      - .offset:         0
        .size:           64
        .value_kind:     by_value
    .group_segment_fixed_size: 0
    .kernarg_segment_align: 8
    .kernarg_segment_size: 64
    .language:       OpenCL C
    .language_version:
      - 2
      - 0
    .max_flat_workgroup_size: 256
    .name:           _ZN7rocprim17ROCPRIM_400000_NS6detail17trampoline_kernelINS0_14default_configENS1_38merge_sort_block_merge_config_selectorIiiEEZZNS1_27merge_sort_block_merge_implIS3_N6thrust23THRUST_200600_302600_NS6detail15normal_iteratorINS8_10device_ptrIiEEEESD_jNS1_19radix_merge_compareILb1ELb1EiNS0_19identity_decomposerEEEEE10hipError_tT0_T1_T2_jT3_P12ihipStream_tbPNSt15iterator_traitsISI_E10value_typeEPNSO_ISJ_E10value_typeEPSK_NS1_7vsmem_tEENKUlT_SI_SJ_SK_E_clIPiSD_S10_SD_EESH_SX_SI_SJ_SK_EUlSX_E0_NS1_11comp_targetILNS1_3genE4ELNS1_11target_archE910ELNS1_3gpuE8ELNS1_3repE0EEENS1_38merge_mergepath_config_static_selectorELNS0_4arch9wavefront6targetE1EEEvSJ_
    .private_segment_fixed_size: 0
    .sgpr_count:     6
    .sgpr_spill_count: 0
    .symbol:         _ZN7rocprim17ROCPRIM_400000_NS6detail17trampoline_kernelINS0_14default_configENS1_38merge_sort_block_merge_config_selectorIiiEEZZNS1_27merge_sort_block_merge_implIS3_N6thrust23THRUST_200600_302600_NS6detail15normal_iteratorINS8_10device_ptrIiEEEESD_jNS1_19radix_merge_compareILb1ELb1EiNS0_19identity_decomposerEEEEE10hipError_tT0_T1_T2_jT3_P12ihipStream_tbPNSt15iterator_traitsISI_E10value_typeEPNSO_ISJ_E10value_typeEPSK_NS1_7vsmem_tEENKUlT_SI_SJ_SK_E_clIPiSD_S10_SD_EESH_SX_SI_SJ_SK_EUlSX_E0_NS1_11comp_targetILNS1_3genE4ELNS1_11target_archE910ELNS1_3gpuE8ELNS1_3repE0EEENS1_38merge_mergepath_config_static_selectorELNS0_4arch9wavefront6targetE1EEEvSJ_.kd
    .uniform_work_group_size: 1
    .uses_dynamic_stack: false
    .vgpr_count:     0
    .vgpr_spill_count: 0
    .wavefront_size: 64
  - .agpr_count:     0
    .args:
      - .offset:         0
        .size:           64
        .value_kind:     by_value
    .group_segment_fixed_size: 0
    .kernarg_segment_align: 8
    .kernarg_segment_size: 64
    .language:       OpenCL C
    .language_version:
      - 2
      - 0
    .max_flat_workgroup_size: 256
    .name:           _ZN7rocprim17ROCPRIM_400000_NS6detail17trampoline_kernelINS0_14default_configENS1_38merge_sort_block_merge_config_selectorIiiEEZZNS1_27merge_sort_block_merge_implIS3_N6thrust23THRUST_200600_302600_NS6detail15normal_iteratorINS8_10device_ptrIiEEEESD_jNS1_19radix_merge_compareILb1ELb1EiNS0_19identity_decomposerEEEEE10hipError_tT0_T1_T2_jT3_P12ihipStream_tbPNSt15iterator_traitsISI_E10value_typeEPNSO_ISJ_E10value_typeEPSK_NS1_7vsmem_tEENKUlT_SI_SJ_SK_E_clIPiSD_S10_SD_EESH_SX_SI_SJ_SK_EUlSX_E0_NS1_11comp_targetILNS1_3genE3ELNS1_11target_archE908ELNS1_3gpuE7ELNS1_3repE0EEENS1_38merge_mergepath_config_static_selectorELNS0_4arch9wavefront6targetE1EEEvSJ_
    .private_segment_fixed_size: 0
    .sgpr_count:     6
    .sgpr_spill_count: 0
    .symbol:         _ZN7rocprim17ROCPRIM_400000_NS6detail17trampoline_kernelINS0_14default_configENS1_38merge_sort_block_merge_config_selectorIiiEEZZNS1_27merge_sort_block_merge_implIS3_N6thrust23THRUST_200600_302600_NS6detail15normal_iteratorINS8_10device_ptrIiEEEESD_jNS1_19radix_merge_compareILb1ELb1EiNS0_19identity_decomposerEEEEE10hipError_tT0_T1_T2_jT3_P12ihipStream_tbPNSt15iterator_traitsISI_E10value_typeEPNSO_ISJ_E10value_typeEPSK_NS1_7vsmem_tEENKUlT_SI_SJ_SK_E_clIPiSD_S10_SD_EESH_SX_SI_SJ_SK_EUlSX_E0_NS1_11comp_targetILNS1_3genE3ELNS1_11target_archE908ELNS1_3gpuE7ELNS1_3repE0EEENS1_38merge_mergepath_config_static_selectorELNS0_4arch9wavefront6targetE1EEEvSJ_.kd
    .uniform_work_group_size: 1
    .uses_dynamic_stack: false
    .vgpr_count:     0
    .vgpr_spill_count: 0
    .wavefront_size: 64
  - .agpr_count:     0
    .args:
      - .offset:         0
        .size:           64
        .value_kind:     by_value
    .group_segment_fixed_size: 0
    .kernarg_segment_align: 8
    .kernarg_segment_size: 64
    .language:       OpenCL C
    .language_version:
      - 2
      - 0
    .max_flat_workgroup_size: 256
    .name:           _ZN7rocprim17ROCPRIM_400000_NS6detail17trampoline_kernelINS0_14default_configENS1_38merge_sort_block_merge_config_selectorIiiEEZZNS1_27merge_sort_block_merge_implIS3_N6thrust23THRUST_200600_302600_NS6detail15normal_iteratorINS8_10device_ptrIiEEEESD_jNS1_19radix_merge_compareILb1ELb1EiNS0_19identity_decomposerEEEEE10hipError_tT0_T1_T2_jT3_P12ihipStream_tbPNSt15iterator_traitsISI_E10value_typeEPNSO_ISJ_E10value_typeEPSK_NS1_7vsmem_tEENKUlT_SI_SJ_SK_E_clIPiSD_S10_SD_EESH_SX_SI_SJ_SK_EUlSX_E0_NS1_11comp_targetILNS1_3genE2ELNS1_11target_archE906ELNS1_3gpuE6ELNS1_3repE0EEENS1_38merge_mergepath_config_static_selectorELNS0_4arch9wavefront6targetE1EEEvSJ_
    .private_segment_fixed_size: 0
    .sgpr_count:     6
    .sgpr_spill_count: 0
    .symbol:         _ZN7rocprim17ROCPRIM_400000_NS6detail17trampoline_kernelINS0_14default_configENS1_38merge_sort_block_merge_config_selectorIiiEEZZNS1_27merge_sort_block_merge_implIS3_N6thrust23THRUST_200600_302600_NS6detail15normal_iteratorINS8_10device_ptrIiEEEESD_jNS1_19radix_merge_compareILb1ELb1EiNS0_19identity_decomposerEEEEE10hipError_tT0_T1_T2_jT3_P12ihipStream_tbPNSt15iterator_traitsISI_E10value_typeEPNSO_ISJ_E10value_typeEPSK_NS1_7vsmem_tEENKUlT_SI_SJ_SK_E_clIPiSD_S10_SD_EESH_SX_SI_SJ_SK_EUlSX_E0_NS1_11comp_targetILNS1_3genE2ELNS1_11target_archE906ELNS1_3gpuE6ELNS1_3repE0EEENS1_38merge_mergepath_config_static_selectorELNS0_4arch9wavefront6targetE1EEEvSJ_.kd
    .uniform_work_group_size: 1
    .uses_dynamic_stack: false
    .vgpr_count:     0
    .vgpr_spill_count: 0
    .wavefront_size: 64
  - .agpr_count:     0
    .args:
      - .offset:         0
        .size:           64
        .value_kind:     by_value
    .group_segment_fixed_size: 0
    .kernarg_segment_align: 8
    .kernarg_segment_size: 64
    .language:       OpenCL C
    .language_version:
      - 2
      - 0
    .max_flat_workgroup_size: 512
    .name:           _ZN7rocprim17ROCPRIM_400000_NS6detail17trampoline_kernelINS0_14default_configENS1_38merge_sort_block_merge_config_selectorIiiEEZZNS1_27merge_sort_block_merge_implIS3_N6thrust23THRUST_200600_302600_NS6detail15normal_iteratorINS8_10device_ptrIiEEEESD_jNS1_19radix_merge_compareILb1ELb1EiNS0_19identity_decomposerEEEEE10hipError_tT0_T1_T2_jT3_P12ihipStream_tbPNSt15iterator_traitsISI_E10value_typeEPNSO_ISJ_E10value_typeEPSK_NS1_7vsmem_tEENKUlT_SI_SJ_SK_E_clIPiSD_S10_SD_EESH_SX_SI_SJ_SK_EUlSX_E0_NS1_11comp_targetILNS1_3genE9ELNS1_11target_archE1100ELNS1_3gpuE3ELNS1_3repE0EEENS1_38merge_mergepath_config_static_selectorELNS0_4arch9wavefront6targetE1EEEvSJ_
    .private_segment_fixed_size: 0
    .sgpr_count:     6
    .sgpr_spill_count: 0
    .symbol:         _ZN7rocprim17ROCPRIM_400000_NS6detail17trampoline_kernelINS0_14default_configENS1_38merge_sort_block_merge_config_selectorIiiEEZZNS1_27merge_sort_block_merge_implIS3_N6thrust23THRUST_200600_302600_NS6detail15normal_iteratorINS8_10device_ptrIiEEEESD_jNS1_19radix_merge_compareILb1ELb1EiNS0_19identity_decomposerEEEEE10hipError_tT0_T1_T2_jT3_P12ihipStream_tbPNSt15iterator_traitsISI_E10value_typeEPNSO_ISJ_E10value_typeEPSK_NS1_7vsmem_tEENKUlT_SI_SJ_SK_E_clIPiSD_S10_SD_EESH_SX_SI_SJ_SK_EUlSX_E0_NS1_11comp_targetILNS1_3genE9ELNS1_11target_archE1100ELNS1_3gpuE3ELNS1_3repE0EEENS1_38merge_mergepath_config_static_selectorELNS0_4arch9wavefront6targetE1EEEvSJ_.kd
    .uniform_work_group_size: 1
    .uses_dynamic_stack: false
    .vgpr_count:     0
    .vgpr_spill_count: 0
    .wavefront_size: 64
  - .agpr_count:     0
    .args:
      - .offset:         0
        .size:           64
        .value_kind:     by_value
    .group_segment_fixed_size: 0
    .kernarg_segment_align: 8
    .kernarg_segment_size: 64
    .language:       OpenCL C
    .language_version:
      - 2
      - 0
    .max_flat_workgroup_size: 1024
    .name:           _ZN7rocprim17ROCPRIM_400000_NS6detail17trampoline_kernelINS0_14default_configENS1_38merge_sort_block_merge_config_selectorIiiEEZZNS1_27merge_sort_block_merge_implIS3_N6thrust23THRUST_200600_302600_NS6detail15normal_iteratorINS8_10device_ptrIiEEEESD_jNS1_19radix_merge_compareILb1ELb1EiNS0_19identity_decomposerEEEEE10hipError_tT0_T1_T2_jT3_P12ihipStream_tbPNSt15iterator_traitsISI_E10value_typeEPNSO_ISJ_E10value_typeEPSK_NS1_7vsmem_tEENKUlT_SI_SJ_SK_E_clIPiSD_S10_SD_EESH_SX_SI_SJ_SK_EUlSX_E0_NS1_11comp_targetILNS1_3genE8ELNS1_11target_archE1030ELNS1_3gpuE2ELNS1_3repE0EEENS1_38merge_mergepath_config_static_selectorELNS0_4arch9wavefront6targetE1EEEvSJ_
    .private_segment_fixed_size: 0
    .sgpr_count:     6
    .sgpr_spill_count: 0
    .symbol:         _ZN7rocprim17ROCPRIM_400000_NS6detail17trampoline_kernelINS0_14default_configENS1_38merge_sort_block_merge_config_selectorIiiEEZZNS1_27merge_sort_block_merge_implIS3_N6thrust23THRUST_200600_302600_NS6detail15normal_iteratorINS8_10device_ptrIiEEEESD_jNS1_19radix_merge_compareILb1ELb1EiNS0_19identity_decomposerEEEEE10hipError_tT0_T1_T2_jT3_P12ihipStream_tbPNSt15iterator_traitsISI_E10value_typeEPNSO_ISJ_E10value_typeEPSK_NS1_7vsmem_tEENKUlT_SI_SJ_SK_E_clIPiSD_S10_SD_EESH_SX_SI_SJ_SK_EUlSX_E0_NS1_11comp_targetILNS1_3genE8ELNS1_11target_archE1030ELNS1_3gpuE2ELNS1_3repE0EEENS1_38merge_mergepath_config_static_selectorELNS0_4arch9wavefront6targetE1EEEvSJ_.kd
    .uniform_work_group_size: 1
    .uses_dynamic_stack: false
    .vgpr_count:     0
    .vgpr_spill_count: 0
    .wavefront_size: 64
  - .agpr_count:     0
    .args:
      - .offset:         0
        .size:           48
        .value_kind:     by_value
    .group_segment_fixed_size: 0
    .kernarg_segment_align: 8
    .kernarg_segment_size: 48
    .language:       OpenCL C
    .language_version:
      - 2
      - 0
    .max_flat_workgroup_size: 256
    .name:           _ZN7rocprim17ROCPRIM_400000_NS6detail17trampoline_kernelINS0_14default_configENS1_38merge_sort_block_merge_config_selectorIiiEEZZNS1_27merge_sort_block_merge_implIS3_N6thrust23THRUST_200600_302600_NS6detail15normal_iteratorINS8_10device_ptrIiEEEESD_jNS1_19radix_merge_compareILb1ELb1EiNS0_19identity_decomposerEEEEE10hipError_tT0_T1_T2_jT3_P12ihipStream_tbPNSt15iterator_traitsISI_E10value_typeEPNSO_ISJ_E10value_typeEPSK_NS1_7vsmem_tEENKUlT_SI_SJ_SK_E_clIPiSD_S10_SD_EESH_SX_SI_SJ_SK_EUlSX_E1_NS1_11comp_targetILNS1_3genE0ELNS1_11target_archE4294967295ELNS1_3gpuE0ELNS1_3repE0EEENS1_36merge_oddeven_config_static_selectorELNS0_4arch9wavefront6targetE1EEEvSJ_
    .private_segment_fixed_size: 0
    .sgpr_count:     30
    .sgpr_spill_count: 0
    .symbol:         _ZN7rocprim17ROCPRIM_400000_NS6detail17trampoline_kernelINS0_14default_configENS1_38merge_sort_block_merge_config_selectorIiiEEZZNS1_27merge_sort_block_merge_implIS3_N6thrust23THRUST_200600_302600_NS6detail15normal_iteratorINS8_10device_ptrIiEEEESD_jNS1_19radix_merge_compareILb1ELb1EiNS0_19identity_decomposerEEEEE10hipError_tT0_T1_T2_jT3_P12ihipStream_tbPNSt15iterator_traitsISI_E10value_typeEPNSO_ISJ_E10value_typeEPSK_NS1_7vsmem_tEENKUlT_SI_SJ_SK_E_clIPiSD_S10_SD_EESH_SX_SI_SJ_SK_EUlSX_E1_NS1_11comp_targetILNS1_3genE0ELNS1_11target_archE4294967295ELNS1_3gpuE0ELNS1_3repE0EEENS1_36merge_oddeven_config_static_selectorELNS0_4arch9wavefront6targetE1EEEvSJ_.kd
    .uniform_work_group_size: 1
    .uses_dynamic_stack: false
    .vgpr_count:     11
    .vgpr_spill_count: 0
    .wavefront_size: 64
  - .agpr_count:     0
    .args:
      - .offset:         0
        .size:           48
        .value_kind:     by_value
    .group_segment_fixed_size: 0
    .kernarg_segment_align: 8
    .kernarg_segment_size: 48
    .language:       OpenCL C
    .language_version:
      - 2
      - 0
    .max_flat_workgroup_size: 256
    .name:           _ZN7rocprim17ROCPRIM_400000_NS6detail17trampoline_kernelINS0_14default_configENS1_38merge_sort_block_merge_config_selectorIiiEEZZNS1_27merge_sort_block_merge_implIS3_N6thrust23THRUST_200600_302600_NS6detail15normal_iteratorINS8_10device_ptrIiEEEESD_jNS1_19radix_merge_compareILb1ELb1EiNS0_19identity_decomposerEEEEE10hipError_tT0_T1_T2_jT3_P12ihipStream_tbPNSt15iterator_traitsISI_E10value_typeEPNSO_ISJ_E10value_typeEPSK_NS1_7vsmem_tEENKUlT_SI_SJ_SK_E_clIPiSD_S10_SD_EESH_SX_SI_SJ_SK_EUlSX_E1_NS1_11comp_targetILNS1_3genE10ELNS1_11target_archE1201ELNS1_3gpuE5ELNS1_3repE0EEENS1_36merge_oddeven_config_static_selectorELNS0_4arch9wavefront6targetE1EEEvSJ_
    .private_segment_fixed_size: 0
    .sgpr_count:     6
    .sgpr_spill_count: 0
    .symbol:         _ZN7rocprim17ROCPRIM_400000_NS6detail17trampoline_kernelINS0_14default_configENS1_38merge_sort_block_merge_config_selectorIiiEEZZNS1_27merge_sort_block_merge_implIS3_N6thrust23THRUST_200600_302600_NS6detail15normal_iteratorINS8_10device_ptrIiEEEESD_jNS1_19radix_merge_compareILb1ELb1EiNS0_19identity_decomposerEEEEE10hipError_tT0_T1_T2_jT3_P12ihipStream_tbPNSt15iterator_traitsISI_E10value_typeEPNSO_ISJ_E10value_typeEPSK_NS1_7vsmem_tEENKUlT_SI_SJ_SK_E_clIPiSD_S10_SD_EESH_SX_SI_SJ_SK_EUlSX_E1_NS1_11comp_targetILNS1_3genE10ELNS1_11target_archE1201ELNS1_3gpuE5ELNS1_3repE0EEENS1_36merge_oddeven_config_static_selectorELNS0_4arch9wavefront6targetE1EEEvSJ_.kd
    .uniform_work_group_size: 1
    .uses_dynamic_stack: false
    .vgpr_count:     0
    .vgpr_spill_count: 0
    .wavefront_size: 64
  - .agpr_count:     0
    .args:
      - .offset:         0
        .size:           48
        .value_kind:     by_value
    .group_segment_fixed_size: 0
    .kernarg_segment_align: 8
    .kernarg_segment_size: 48
    .language:       OpenCL C
    .language_version:
      - 2
      - 0
    .max_flat_workgroup_size: 256
    .name:           _ZN7rocprim17ROCPRIM_400000_NS6detail17trampoline_kernelINS0_14default_configENS1_38merge_sort_block_merge_config_selectorIiiEEZZNS1_27merge_sort_block_merge_implIS3_N6thrust23THRUST_200600_302600_NS6detail15normal_iteratorINS8_10device_ptrIiEEEESD_jNS1_19radix_merge_compareILb1ELb1EiNS0_19identity_decomposerEEEEE10hipError_tT0_T1_T2_jT3_P12ihipStream_tbPNSt15iterator_traitsISI_E10value_typeEPNSO_ISJ_E10value_typeEPSK_NS1_7vsmem_tEENKUlT_SI_SJ_SK_E_clIPiSD_S10_SD_EESH_SX_SI_SJ_SK_EUlSX_E1_NS1_11comp_targetILNS1_3genE5ELNS1_11target_archE942ELNS1_3gpuE9ELNS1_3repE0EEENS1_36merge_oddeven_config_static_selectorELNS0_4arch9wavefront6targetE1EEEvSJ_
    .private_segment_fixed_size: 0
    .sgpr_count:     6
    .sgpr_spill_count: 0
    .symbol:         _ZN7rocprim17ROCPRIM_400000_NS6detail17trampoline_kernelINS0_14default_configENS1_38merge_sort_block_merge_config_selectorIiiEEZZNS1_27merge_sort_block_merge_implIS3_N6thrust23THRUST_200600_302600_NS6detail15normal_iteratorINS8_10device_ptrIiEEEESD_jNS1_19radix_merge_compareILb1ELb1EiNS0_19identity_decomposerEEEEE10hipError_tT0_T1_T2_jT3_P12ihipStream_tbPNSt15iterator_traitsISI_E10value_typeEPNSO_ISJ_E10value_typeEPSK_NS1_7vsmem_tEENKUlT_SI_SJ_SK_E_clIPiSD_S10_SD_EESH_SX_SI_SJ_SK_EUlSX_E1_NS1_11comp_targetILNS1_3genE5ELNS1_11target_archE942ELNS1_3gpuE9ELNS1_3repE0EEENS1_36merge_oddeven_config_static_selectorELNS0_4arch9wavefront6targetE1EEEvSJ_.kd
    .uniform_work_group_size: 1
    .uses_dynamic_stack: false
    .vgpr_count:     0
    .vgpr_spill_count: 0
    .wavefront_size: 64
  - .agpr_count:     0
    .args:
      - .offset:         0
        .size:           48
        .value_kind:     by_value
    .group_segment_fixed_size: 0
    .kernarg_segment_align: 8
    .kernarg_segment_size: 48
    .language:       OpenCL C
    .language_version:
      - 2
      - 0
    .max_flat_workgroup_size: 256
    .name:           _ZN7rocprim17ROCPRIM_400000_NS6detail17trampoline_kernelINS0_14default_configENS1_38merge_sort_block_merge_config_selectorIiiEEZZNS1_27merge_sort_block_merge_implIS3_N6thrust23THRUST_200600_302600_NS6detail15normal_iteratorINS8_10device_ptrIiEEEESD_jNS1_19radix_merge_compareILb1ELb1EiNS0_19identity_decomposerEEEEE10hipError_tT0_T1_T2_jT3_P12ihipStream_tbPNSt15iterator_traitsISI_E10value_typeEPNSO_ISJ_E10value_typeEPSK_NS1_7vsmem_tEENKUlT_SI_SJ_SK_E_clIPiSD_S10_SD_EESH_SX_SI_SJ_SK_EUlSX_E1_NS1_11comp_targetILNS1_3genE4ELNS1_11target_archE910ELNS1_3gpuE8ELNS1_3repE0EEENS1_36merge_oddeven_config_static_selectorELNS0_4arch9wavefront6targetE1EEEvSJ_
    .private_segment_fixed_size: 0
    .sgpr_count:     6
    .sgpr_spill_count: 0
    .symbol:         _ZN7rocprim17ROCPRIM_400000_NS6detail17trampoline_kernelINS0_14default_configENS1_38merge_sort_block_merge_config_selectorIiiEEZZNS1_27merge_sort_block_merge_implIS3_N6thrust23THRUST_200600_302600_NS6detail15normal_iteratorINS8_10device_ptrIiEEEESD_jNS1_19radix_merge_compareILb1ELb1EiNS0_19identity_decomposerEEEEE10hipError_tT0_T1_T2_jT3_P12ihipStream_tbPNSt15iterator_traitsISI_E10value_typeEPNSO_ISJ_E10value_typeEPSK_NS1_7vsmem_tEENKUlT_SI_SJ_SK_E_clIPiSD_S10_SD_EESH_SX_SI_SJ_SK_EUlSX_E1_NS1_11comp_targetILNS1_3genE4ELNS1_11target_archE910ELNS1_3gpuE8ELNS1_3repE0EEENS1_36merge_oddeven_config_static_selectorELNS0_4arch9wavefront6targetE1EEEvSJ_.kd
    .uniform_work_group_size: 1
    .uses_dynamic_stack: false
    .vgpr_count:     0
    .vgpr_spill_count: 0
    .wavefront_size: 64
  - .agpr_count:     0
    .args:
      - .offset:         0
        .size:           48
        .value_kind:     by_value
    .group_segment_fixed_size: 0
    .kernarg_segment_align: 8
    .kernarg_segment_size: 48
    .language:       OpenCL C
    .language_version:
      - 2
      - 0
    .max_flat_workgroup_size: 256
    .name:           _ZN7rocprim17ROCPRIM_400000_NS6detail17trampoline_kernelINS0_14default_configENS1_38merge_sort_block_merge_config_selectorIiiEEZZNS1_27merge_sort_block_merge_implIS3_N6thrust23THRUST_200600_302600_NS6detail15normal_iteratorINS8_10device_ptrIiEEEESD_jNS1_19radix_merge_compareILb1ELb1EiNS0_19identity_decomposerEEEEE10hipError_tT0_T1_T2_jT3_P12ihipStream_tbPNSt15iterator_traitsISI_E10value_typeEPNSO_ISJ_E10value_typeEPSK_NS1_7vsmem_tEENKUlT_SI_SJ_SK_E_clIPiSD_S10_SD_EESH_SX_SI_SJ_SK_EUlSX_E1_NS1_11comp_targetILNS1_3genE3ELNS1_11target_archE908ELNS1_3gpuE7ELNS1_3repE0EEENS1_36merge_oddeven_config_static_selectorELNS0_4arch9wavefront6targetE1EEEvSJ_
    .private_segment_fixed_size: 0
    .sgpr_count:     6
    .sgpr_spill_count: 0
    .symbol:         _ZN7rocprim17ROCPRIM_400000_NS6detail17trampoline_kernelINS0_14default_configENS1_38merge_sort_block_merge_config_selectorIiiEEZZNS1_27merge_sort_block_merge_implIS3_N6thrust23THRUST_200600_302600_NS6detail15normal_iteratorINS8_10device_ptrIiEEEESD_jNS1_19radix_merge_compareILb1ELb1EiNS0_19identity_decomposerEEEEE10hipError_tT0_T1_T2_jT3_P12ihipStream_tbPNSt15iterator_traitsISI_E10value_typeEPNSO_ISJ_E10value_typeEPSK_NS1_7vsmem_tEENKUlT_SI_SJ_SK_E_clIPiSD_S10_SD_EESH_SX_SI_SJ_SK_EUlSX_E1_NS1_11comp_targetILNS1_3genE3ELNS1_11target_archE908ELNS1_3gpuE7ELNS1_3repE0EEENS1_36merge_oddeven_config_static_selectorELNS0_4arch9wavefront6targetE1EEEvSJ_.kd
    .uniform_work_group_size: 1
    .uses_dynamic_stack: false
    .vgpr_count:     0
    .vgpr_spill_count: 0
    .wavefront_size: 64
  - .agpr_count:     0
    .args:
      - .offset:         0
        .size:           48
        .value_kind:     by_value
    .group_segment_fixed_size: 0
    .kernarg_segment_align: 8
    .kernarg_segment_size: 48
    .language:       OpenCL C
    .language_version:
      - 2
      - 0
    .max_flat_workgroup_size: 256
    .name:           _ZN7rocprim17ROCPRIM_400000_NS6detail17trampoline_kernelINS0_14default_configENS1_38merge_sort_block_merge_config_selectorIiiEEZZNS1_27merge_sort_block_merge_implIS3_N6thrust23THRUST_200600_302600_NS6detail15normal_iteratorINS8_10device_ptrIiEEEESD_jNS1_19radix_merge_compareILb1ELb1EiNS0_19identity_decomposerEEEEE10hipError_tT0_T1_T2_jT3_P12ihipStream_tbPNSt15iterator_traitsISI_E10value_typeEPNSO_ISJ_E10value_typeEPSK_NS1_7vsmem_tEENKUlT_SI_SJ_SK_E_clIPiSD_S10_SD_EESH_SX_SI_SJ_SK_EUlSX_E1_NS1_11comp_targetILNS1_3genE2ELNS1_11target_archE906ELNS1_3gpuE6ELNS1_3repE0EEENS1_36merge_oddeven_config_static_selectorELNS0_4arch9wavefront6targetE1EEEvSJ_
    .private_segment_fixed_size: 0
    .sgpr_count:     6
    .sgpr_spill_count: 0
    .symbol:         _ZN7rocprim17ROCPRIM_400000_NS6detail17trampoline_kernelINS0_14default_configENS1_38merge_sort_block_merge_config_selectorIiiEEZZNS1_27merge_sort_block_merge_implIS3_N6thrust23THRUST_200600_302600_NS6detail15normal_iteratorINS8_10device_ptrIiEEEESD_jNS1_19radix_merge_compareILb1ELb1EiNS0_19identity_decomposerEEEEE10hipError_tT0_T1_T2_jT3_P12ihipStream_tbPNSt15iterator_traitsISI_E10value_typeEPNSO_ISJ_E10value_typeEPSK_NS1_7vsmem_tEENKUlT_SI_SJ_SK_E_clIPiSD_S10_SD_EESH_SX_SI_SJ_SK_EUlSX_E1_NS1_11comp_targetILNS1_3genE2ELNS1_11target_archE906ELNS1_3gpuE6ELNS1_3repE0EEENS1_36merge_oddeven_config_static_selectorELNS0_4arch9wavefront6targetE1EEEvSJ_.kd
    .uniform_work_group_size: 1
    .uses_dynamic_stack: false
    .vgpr_count:     0
    .vgpr_spill_count: 0
    .wavefront_size: 64
  - .agpr_count:     0
    .args:
      - .offset:         0
        .size:           48
        .value_kind:     by_value
    .group_segment_fixed_size: 0
    .kernarg_segment_align: 8
    .kernarg_segment_size: 48
    .language:       OpenCL C
    .language_version:
      - 2
      - 0
    .max_flat_workgroup_size: 256
    .name:           _ZN7rocprim17ROCPRIM_400000_NS6detail17trampoline_kernelINS0_14default_configENS1_38merge_sort_block_merge_config_selectorIiiEEZZNS1_27merge_sort_block_merge_implIS3_N6thrust23THRUST_200600_302600_NS6detail15normal_iteratorINS8_10device_ptrIiEEEESD_jNS1_19radix_merge_compareILb1ELb1EiNS0_19identity_decomposerEEEEE10hipError_tT0_T1_T2_jT3_P12ihipStream_tbPNSt15iterator_traitsISI_E10value_typeEPNSO_ISJ_E10value_typeEPSK_NS1_7vsmem_tEENKUlT_SI_SJ_SK_E_clIPiSD_S10_SD_EESH_SX_SI_SJ_SK_EUlSX_E1_NS1_11comp_targetILNS1_3genE9ELNS1_11target_archE1100ELNS1_3gpuE3ELNS1_3repE0EEENS1_36merge_oddeven_config_static_selectorELNS0_4arch9wavefront6targetE1EEEvSJ_
    .private_segment_fixed_size: 0
    .sgpr_count:     6
    .sgpr_spill_count: 0
    .symbol:         _ZN7rocprim17ROCPRIM_400000_NS6detail17trampoline_kernelINS0_14default_configENS1_38merge_sort_block_merge_config_selectorIiiEEZZNS1_27merge_sort_block_merge_implIS3_N6thrust23THRUST_200600_302600_NS6detail15normal_iteratorINS8_10device_ptrIiEEEESD_jNS1_19radix_merge_compareILb1ELb1EiNS0_19identity_decomposerEEEEE10hipError_tT0_T1_T2_jT3_P12ihipStream_tbPNSt15iterator_traitsISI_E10value_typeEPNSO_ISJ_E10value_typeEPSK_NS1_7vsmem_tEENKUlT_SI_SJ_SK_E_clIPiSD_S10_SD_EESH_SX_SI_SJ_SK_EUlSX_E1_NS1_11comp_targetILNS1_3genE9ELNS1_11target_archE1100ELNS1_3gpuE3ELNS1_3repE0EEENS1_36merge_oddeven_config_static_selectorELNS0_4arch9wavefront6targetE1EEEvSJ_.kd
    .uniform_work_group_size: 1
    .uses_dynamic_stack: false
    .vgpr_count:     0
    .vgpr_spill_count: 0
    .wavefront_size: 64
  - .agpr_count:     0
    .args:
      - .offset:         0
        .size:           48
        .value_kind:     by_value
    .group_segment_fixed_size: 0
    .kernarg_segment_align: 8
    .kernarg_segment_size: 48
    .language:       OpenCL C
    .language_version:
      - 2
      - 0
    .max_flat_workgroup_size: 256
    .name:           _ZN7rocprim17ROCPRIM_400000_NS6detail17trampoline_kernelINS0_14default_configENS1_38merge_sort_block_merge_config_selectorIiiEEZZNS1_27merge_sort_block_merge_implIS3_N6thrust23THRUST_200600_302600_NS6detail15normal_iteratorINS8_10device_ptrIiEEEESD_jNS1_19radix_merge_compareILb1ELb1EiNS0_19identity_decomposerEEEEE10hipError_tT0_T1_T2_jT3_P12ihipStream_tbPNSt15iterator_traitsISI_E10value_typeEPNSO_ISJ_E10value_typeEPSK_NS1_7vsmem_tEENKUlT_SI_SJ_SK_E_clIPiSD_S10_SD_EESH_SX_SI_SJ_SK_EUlSX_E1_NS1_11comp_targetILNS1_3genE8ELNS1_11target_archE1030ELNS1_3gpuE2ELNS1_3repE0EEENS1_36merge_oddeven_config_static_selectorELNS0_4arch9wavefront6targetE1EEEvSJ_
    .private_segment_fixed_size: 0
    .sgpr_count:     6
    .sgpr_spill_count: 0
    .symbol:         _ZN7rocprim17ROCPRIM_400000_NS6detail17trampoline_kernelINS0_14default_configENS1_38merge_sort_block_merge_config_selectorIiiEEZZNS1_27merge_sort_block_merge_implIS3_N6thrust23THRUST_200600_302600_NS6detail15normal_iteratorINS8_10device_ptrIiEEEESD_jNS1_19radix_merge_compareILb1ELb1EiNS0_19identity_decomposerEEEEE10hipError_tT0_T1_T2_jT3_P12ihipStream_tbPNSt15iterator_traitsISI_E10value_typeEPNSO_ISJ_E10value_typeEPSK_NS1_7vsmem_tEENKUlT_SI_SJ_SK_E_clIPiSD_S10_SD_EESH_SX_SI_SJ_SK_EUlSX_E1_NS1_11comp_targetILNS1_3genE8ELNS1_11target_archE1030ELNS1_3gpuE2ELNS1_3repE0EEENS1_36merge_oddeven_config_static_selectorELNS0_4arch9wavefront6targetE1EEEvSJ_.kd
    .uniform_work_group_size: 1
    .uses_dynamic_stack: false
    .vgpr_count:     0
    .vgpr_spill_count: 0
    .wavefront_size: 64
  - .agpr_count:     0
    .args:
      - .offset:         0
        .size:           40
        .value_kind:     by_value
    .group_segment_fixed_size: 0
    .kernarg_segment_align: 8
    .kernarg_segment_size: 40
    .language:       OpenCL C
    .language_version:
      - 2
      - 0
    .max_flat_workgroup_size: 128
    .name:           _ZN7rocprim17ROCPRIM_400000_NS6detail17trampoline_kernelINS0_14default_configENS1_38merge_sort_block_merge_config_selectorIiiEEZZNS1_27merge_sort_block_merge_implIS3_N6thrust23THRUST_200600_302600_NS6detail15normal_iteratorINS8_10device_ptrIiEEEESD_jNS1_19radix_merge_compareILb1ELb1EiNS0_19identity_decomposerEEEEE10hipError_tT0_T1_T2_jT3_P12ihipStream_tbPNSt15iterator_traitsISI_E10value_typeEPNSO_ISJ_E10value_typeEPSK_NS1_7vsmem_tEENKUlT_SI_SJ_SK_E_clISD_PiSD_S10_EESH_SX_SI_SJ_SK_EUlSX_E_NS1_11comp_targetILNS1_3genE0ELNS1_11target_archE4294967295ELNS1_3gpuE0ELNS1_3repE0EEENS1_48merge_mergepath_partition_config_static_selectorELNS0_4arch9wavefront6targetE1EEEvSJ_
    .private_segment_fixed_size: 0
    .sgpr_count:     16
    .sgpr_spill_count: 0
    .symbol:         _ZN7rocprim17ROCPRIM_400000_NS6detail17trampoline_kernelINS0_14default_configENS1_38merge_sort_block_merge_config_selectorIiiEEZZNS1_27merge_sort_block_merge_implIS3_N6thrust23THRUST_200600_302600_NS6detail15normal_iteratorINS8_10device_ptrIiEEEESD_jNS1_19radix_merge_compareILb1ELb1EiNS0_19identity_decomposerEEEEE10hipError_tT0_T1_T2_jT3_P12ihipStream_tbPNSt15iterator_traitsISI_E10value_typeEPNSO_ISJ_E10value_typeEPSK_NS1_7vsmem_tEENKUlT_SI_SJ_SK_E_clISD_PiSD_S10_EESH_SX_SI_SJ_SK_EUlSX_E_NS1_11comp_targetILNS1_3genE0ELNS1_11target_archE4294967295ELNS1_3gpuE0ELNS1_3repE0EEENS1_48merge_mergepath_partition_config_static_selectorELNS0_4arch9wavefront6targetE1EEEvSJ_.kd
    .uniform_work_group_size: 1
    .uses_dynamic_stack: false
    .vgpr_count:     17
    .vgpr_spill_count: 0
    .wavefront_size: 64
  - .agpr_count:     0
    .args:
      - .offset:         0
        .size:           40
        .value_kind:     by_value
    .group_segment_fixed_size: 0
    .kernarg_segment_align: 8
    .kernarg_segment_size: 40
    .language:       OpenCL C
    .language_version:
      - 2
      - 0
    .max_flat_workgroup_size: 128
    .name:           _ZN7rocprim17ROCPRIM_400000_NS6detail17trampoline_kernelINS0_14default_configENS1_38merge_sort_block_merge_config_selectorIiiEEZZNS1_27merge_sort_block_merge_implIS3_N6thrust23THRUST_200600_302600_NS6detail15normal_iteratorINS8_10device_ptrIiEEEESD_jNS1_19radix_merge_compareILb1ELb1EiNS0_19identity_decomposerEEEEE10hipError_tT0_T1_T2_jT3_P12ihipStream_tbPNSt15iterator_traitsISI_E10value_typeEPNSO_ISJ_E10value_typeEPSK_NS1_7vsmem_tEENKUlT_SI_SJ_SK_E_clISD_PiSD_S10_EESH_SX_SI_SJ_SK_EUlSX_E_NS1_11comp_targetILNS1_3genE10ELNS1_11target_archE1201ELNS1_3gpuE5ELNS1_3repE0EEENS1_48merge_mergepath_partition_config_static_selectorELNS0_4arch9wavefront6targetE1EEEvSJ_
    .private_segment_fixed_size: 0
    .sgpr_count:     6
    .sgpr_spill_count: 0
    .symbol:         _ZN7rocprim17ROCPRIM_400000_NS6detail17trampoline_kernelINS0_14default_configENS1_38merge_sort_block_merge_config_selectorIiiEEZZNS1_27merge_sort_block_merge_implIS3_N6thrust23THRUST_200600_302600_NS6detail15normal_iteratorINS8_10device_ptrIiEEEESD_jNS1_19radix_merge_compareILb1ELb1EiNS0_19identity_decomposerEEEEE10hipError_tT0_T1_T2_jT3_P12ihipStream_tbPNSt15iterator_traitsISI_E10value_typeEPNSO_ISJ_E10value_typeEPSK_NS1_7vsmem_tEENKUlT_SI_SJ_SK_E_clISD_PiSD_S10_EESH_SX_SI_SJ_SK_EUlSX_E_NS1_11comp_targetILNS1_3genE10ELNS1_11target_archE1201ELNS1_3gpuE5ELNS1_3repE0EEENS1_48merge_mergepath_partition_config_static_selectorELNS0_4arch9wavefront6targetE1EEEvSJ_.kd
    .uniform_work_group_size: 1
    .uses_dynamic_stack: false
    .vgpr_count:     0
    .vgpr_spill_count: 0
    .wavefront_size: 64
  - .agpr_count:     0
    .args:
      - .offset:         0
        .size:           40
        .value_kind:     by_value
    .group_segment_fixed_size: 0
    .kernarg_segment_align: 8
    .kernarg_segment_size: 40
    .language:       OpenCL C
    .language_version:
      - 2
      - 0
    .max_flat_workgroup_size: 128
    .name:           _ZN7rocprim17ROCPRIM_400000_NS6detail17trampoline_kernelINS0_14default_configENS1_38merge_sort_block_merge_config_selectorIiiEEZZNS1_27merge_sort_block_merge_implIS3_N6thrust23THRUST_200600_302600_NS6detail15normal_iteratorINS8_10device_ptrIiEEEESD_jNS1_19radix_merge_compareILb1ELb1EiNS0_19identity_decomposerEEEEE10hipError_tT0_T1_T2_jT3_P12ihipStream_tbPNSt15iterator_traitsISI_E10value_typeEPNSO_ISJ_E10value_typeEPSK_NS1_7vsmem_tEENKUlT_SI_SJ_SK_E_clISD_PiSD_S10_EESH_SX_SI_SJ_SK_EUlSX_E_NS1_11comp_targetILNS1_3genE5ELNS1_11target_archE942ELNS1_3gpuE9ELNS1_3repE0EEENS1_48merge_mergepath_partition_config_static_selectorELNS0_4arch9wavefront6targetE1EEEvSJ_
    .private_segment_fixed_size: 0
    .sgpr_count:     6
    .sgpr_spill_count: 0
    .symbol:         _ZN7rocprim17ROCPRIM_400000_NS6detail17trampoline_kernelINS0_14default_configENS1_38merge_sort_block_merge_config_selectorIiiEEZZNS1_27merge_sort_block_merge_implIS3_N6thrust23THRUST_200600_302600_NS6detail15normal_iteratorINS8_10device_ptrIiEEEESD_jNS1_19radix_merge_compareILb1ELb1EiNS0_19identity_decomposerEEEEE10hipError_tT0_T1_T2_jT3_P12ihipStream_tbPNSt15iterator_traitsISI_E10value_typeEPNSO_ISJ_E10value_typeEPSK_NS1_7vsmem_tEENKUlT_SI_SJ_SK_E_clISD_PiSD_S10_EESH_SX_SI_SJ_SK_EUlSX_E_NS1_11comp_targetILNS1_3genE5ELNS1_11target_archE942ELNS1_3gpuE9ELNS1_3repE0EEENS1_48merge_mergepath_partition_config_static_selectorELNS0_4arch9wavefront6targetE1EEEvSJ_.kd
    .uniform_work_group_size: 1
    .uses_dynamic_stack: false
    .vgpr_count:     0
    .vgpr_spill_count: 0
    .wavefront_size: 64
  - .agpr_count:     0
    .args:
      - .offset:         0
        .size:           40
        .value_kind:     by_value
    .group_segment_fixed_size: 0
    .kernarg_segment_align: 8
    .kernarg_segment_size: 40
    .language:       OpenCL C
    .language_version:
      - 2
      - 0
    .max_flat_workgroup_size: 128
    .name:           _ZN7rocprim17ROCPRIM_400000_NS6detail17trampoline_kernelINS0_14default_configENS1_38merge_sort_block_merge_config_selectorIiiEEZZNS1_27merge_sort_block_merge_implIS3_N6thrust23THRUST_200600_302600_NS6detail15normal_iteratorINS8_10device_ptrIiEEEESD_jNS1_19radix_merge_compareILb1ELb1EiNS0_19identity_decomposerEEEEE10hipError_tT0_T1_T2_jT3_P12ihipStream_tbPNSt15iterator_traitsISI_E10value_typeEPNSO_ISJ_E10value_typeEPSK_NS1_7vsmem_tEENKUlT_SI_SJ_SK_E_clISD_PiSD_S10_EESH_SX_SI_SJ_SK_EUlSX_E_NS1_11comp_targetILNS1_3genE4ELNS1_11target_archE910ELNS1_3gpuE8ELNS1_3repE0EEENS1_48merge_mergepath_partition_config_static_selectorELNS0_4arch9wavefront6targetE1EEEvSJ_
    .private_segment_fixed_size: 0
    .sgpr_count:     6
    .sgpr_spill_count: 0
    .symbol:         _ZN7rocprim17ROCPRIM_400000_NS6detail17trampoline_kernelINS0_14default_configENS1_38merge_sort_block_merge_config_selectorIiiEEZZNS1_27merge_sort_block_merge_implIS3_N6thrust23THRUST_200600_302600_NS6detail15normal_iteratorINS8_10device_ptrIiEEEESD_jNS1_19radix_merge_compareILb1ELb1EiNS0_19identity_decomposerEEEEE10hipError_tT0_T1_T2_jT3_P12ihipStream_tbPNSt15iterator_traitsISI_E10value_typeEPNSO_ISJ_E10value_typeEPSK_NS1_7vsmem_tEENKUlT_SI_SJ_SK_E_clISD_PiSD_S10_EESH_SX_SI_SJ_SK_EUlSX_E_NS1_11comp_targetILNS1_3genE4ELNS1_11target_archE910ELNS1_3gpuE8ELNS1_3repE0EEENS1_48merge_mergepath_partition_config_static_selectorELNS0_4arch9wavefront6targetE1EEEvSJ_.kd
    .uniform_work_group_size: 1
    .uses_dynamic_stack: false
    .vgpr_count:     0
    .vgpr_spill_count: 0
    .wavefront_size: 64
  - .agpr_count:     0
    .args:
      - .offset:         0
        .size:           40
        .value_kind:     by_value
    .group_segment_fixed_size: 0
    .kernarg_segment_align: 8
    .kernarg_segment_size: 40
    .language:       OpenCL C
    .language_version:
      - 2
      - 0
    .max_flat_workgroup_size: 128
    .name:           _ZN7rocprim17ROCPRIM_400000_NS6detail17trampoline_kernelINS0_14default_configENS1_38merge_sort_block_merge_config_selectorIiiEEZZNS1_27merge_sort_block_merge_implIS3_N6thrust23THRUST_200600_302600_NS6detail15normal_iteratorINS8_10device_ptrIiEEEESD_jNS1_19radix_merge_compareILb1ELb1EiNS0_19identity_decomposerEEEEE10hipError_tT0_T1_T2_jT3_P12ihipStream_tbPNSt15iterator_traitsISI_E10value_typeEPNSO_ISJ_E10value_typeEPSK_NS1_7vsmem_tEENKUlT_SI_SJ_SK_E_clISD_PiSD_S10_EESH_SX_SI_SJ_SK_EUlSX_E_NS1_11comp_targetILNS1_3genE3ELNS1_11target_archE908ELNS1_3gpuE7ELNS1_3repE0EEENS1_48merge_mergepath_partition_config_static_selectorELNS0_4arch9wavefront6targetE1EEEvSJ_
    .private_segment_fixed_size: 0
    .sgpr_count:     6
    .sgpr_spill_count: 0
    .symbol:         _ZN7rocprim17ROCPRIM_400000_NS6detail17trampoline_kernelINS0_14default_configENS1_38merge_sort_block_merge_config_selectorIiiEEZZNS1_27merge_sort_block_merge_implIS3_N6thrust23THRUST_200600_302600_NS6detail15normal_iteratorINS8_10device_ptrIiEEEESD_jNS1_19radix_merge_compareILb1ELb1EiNS0_19identity_decomposerEEEEE10hipError_tT0_T1_T2_jT3_P12ihipStream_tbPNSt15iterator_traitsISI_E10value_typeEPNSO_ISJ_E10value_typeEPSK_NS1_7vsmem_tEENKUlT_SI_SJ_SK_E_clISD_PiSD_S10_EESH_SX_SI_SJ_SK_EUlSX_E_NS1_11comp_targetILNS1_3genE3ELNS1_11target_archE908ELNS1_3gpuE7ELNS1_3repE0EEENS1_48merge_mergepath_partition_config_static_selectorELNS0_4arch9wavefront6targetE1EEEvSJ_.kd
    .uniform_work_group_size: 1
    .uses_dynamic_stack: false
    .vgpr_count:     0
    .vgpr_spill_count: 0
    .wavefront_size: 64
  - .agpr_count:     0
    .args:
      - .offset:         0
        .size:           40
        .value_kind:     by_value
    .group_segment_fixed_size: 0
    .kernarg_segment_align: 8
    .kernarg_segment_size: 40
    .language:       OpenCL C
    .language_version:
      - 2
      - 0
    .max_flat_workgroup_size: 128
    .name:           _ZN7rocprim17ROCPRIM_400000_NS6detail17trampoline_kernelINS0_14default_configENS1_38merge_sort_block_merge_config_selectorIiiEEZZNS1_27merge_sort_block_merge_implIS3_N6thrust23THRUST_200600_302600_NS6detail15normal_iteratorINS8_10device_ptrIiEEEESD_jNS1_19radix_merge_compareILb1ELb1EiNS0_19identity_decomposerEEEEE10hipError_tT0_T1_T2_jT3_P12ihipStream_tbPNSt15iterator_traitsISI_E10value_typeEPNSO_ISJ_E10value_typeEPSK_NS1_7vsmem_tEENKUlT_SI_SJ_SK_E_clISD_PiSD_S10_EESH_SX_SI_SJ_SK_EUlSX_E_NS1_11comp_targetILNS1_3genE2ELNS1_11target_archE906ELNS1_3gpuE6ELNS1_3repE0EEENS1_48merge_mergepath_partition_config_static_selectorELNS0_4arch9wavefront6targetE1EEEvSJ_
    .private_segment_fixed_size: 0
    .sgpr_count:     6
    .sgpr_spill_count: 0
    .symbol:         _ZN7rocprim17ROCPRIM_400000_NS6detail17trampoline_kernelINS0_14default_configENS1_38merge_sort_block_merge_config_selectorIiiEEZZNS1_27merge_sort_block_merge_implIS3_N6thrust23THRUST_200600_302600_NS6detail15normal_iteratorINS8_10device_ptrIiEEEESD_jNS1_19radix_merge_compareILb1ELb1EiNS0_19identity_decomposerEEEEE10hipError_tT0_T1_T2_jT3_P12ihipStream_tbPNSt15iterator_traitsISI_E10value_typeEPNSO_ISJ_E10value_typeEPSK_NS1_7vsmem_tEENKUlT_SI_SJ_SK_E_clISD_PiSD_S10_EESH_SX_SI_SJ_SK_EUlSX_E_NS1_11comp_targetILNS1_3genE2ELNS1_11target_archE906ELNS1_3gpuE6ELNS1_3repE0EEENS1_48merge_mergepath_partition_config_static_selectorELNS0_4arch9wavefront6targetE1EEEvSJ_.kd
    .uniform_work_group_size: 1
    .uses_dynamic_stack: false
    .vgpr_count:     0
    .vgpr_spill_count: 0
    .wavefront_size: 64
  - .agpr_count:     0
    .args:
      - .offset:         0
        .size:           40
        .value_kind:     by_value
    .group_segment_fixed_size: 0
    .kernarg_segment_align: 8
    .kernarg_segment_size: 40
    .language:       OpenCL C
    .language_version:
      - 2
      - 0
    .max_flat_workgroup_size: 128
    .name:           _ZN7rocprim17ROCPRIM_400000_NS6detail17trampoline_kernelINS0_14default_configENS1_38merge_sort_block_merge_config_selectorIiiEEZZNS1_27merge_sort_block_merge_implIS3_N6thrust23THRUST_200600_302600_NS6detail15normal_iteratorINS8_10device_ptrIiEEEESD_jNS1_19radix_merge_compareILb1ELb1EiNS0_19identity_decomposerEEEEE10hipError_tT0_T1_T2_jT3_P12ihipStream_tbPNSt15iterator_traitsISI_E10value_typeEPNSO_ISJ_E10value_typeEPSK_NS1_7vsmem_tEENKUlT_SI_SJ_SK_E_clISD_PiSD_S10_EESH_SX_SI_SJ_SK_EUlSX_E_NS1_11comp_targetILNS1_3genE9ELNS1_11target_archE1100ELNS1_3gpuE3ELNS1_3repE0EEENS1_48merge_mergepath_partition_config_static_selectorELNS0_4arch9wavefront6targetE1EEEvSJ_
    .private_segment_fixed_size: 0
    .sgpr_count:     6
    .sgpr_spill_count: 0
    .symbol:         _ZN7rocprim17ROCPRIM_400000_NS6detail17trampoline_kernelINS0_14default_configENS1_38merge_sort_block_merge_config_selectorIiiEEZZNS1_27merge_sort_block_merge_implIS3_N6thrust23THRUST_200600_302600_NS6detail15normal_iteratorINS8_10device_ptrIiEEEESD_jNS1_19radix_merge_compareILb1ELb1EiNS0_19identity_decomposerEEEEE10hipError_tT0_T1_T2_jT3_P12ihipStream_tbPNSt15iterator_traitsISI_E10value_typeEPNSO_ISJ_E10value_typeEPSK_NS1_7vsmem_tEENKUlT_SI_SJ_SK_E_clISD_PiSD_S10_EESH_SX_SI_SJ_SK_EUlSX_E_NS1_11comp_targetILNS1_3genE9ELNS1_11target_archE1100ELNS1_3gpuE3ELNS1_3repE0EEENS1_48merge_mergepath_partition_config_static_selectorELNS0_4arch9wavefront6targetE1EEEvSJ_.kd
    .uniform_work_group_size: 1
    .uses_dynamic_stack: false
    .vgpr_count:     0
    .vgpr_spill_count: 0
    .wavefront_size: 64
  - .agpr_count:     0
    .args:
      - .offset:         0
        .size:           40
        .value_kind:     by_value
    .group_segment_fixed_size: 0
    .kernarg_segment_align: 8
    .kernarg_segment_size: 40
    .language:       OpenCL C
    .language_version:
      - 2
      - 0
    .max_flat_workgroup_size: 128
    .name:           _ZN7rocprim17ROCPRIM_400000_NS6detail17trampoline_kernelINS0_14default_configENS1_38merge_sort_block_merge_config_selectorIiiEEZZNS1_27merge_sort_block_merge_implIS3_N6thrust23THRUST_200600_302600_NS6detail15normal_iteratorINS8_10device_ptrIiEEEESD_jNS1_19radix_merge_compareILb1ELb1EiNS0_19identity_decomposerEEEEE10hipError_tT0_T1_T2_jT3_P12ihipStream_tbPNSt15iterator_traitsISI_E10value_typeEPNSO_ISJ_E10value_typeEPSK_NS1_7vsmem_tEENKUlT_SI_SJ_SK_E_clISD_PiSD_S10_EESH_SX_SI_SJ_SK_EUlSX_E_NS1_11comp_targetILNS1_3genE8ELNS1_11target_archE1030ELNS1_3gpuE2ELNS1_3repE0EEENS1_48merge_mergepath_partition_config_static_selectorELNS0_4arch9wavefront6targetE1EEEvSJ_
    .private_segment_fixed_size: 0
    .sgpr_count:     6
    .sgpr_spill_count: 0
    .symbol:         _ZN7rocprim17ROCPRIM_400000_NS6detail17trampoline_kernelINS0_14default_configENS1_38merge_sort_block_merge_config_selectorIiiEEZZNS1_27merge_sort_block_merge_implIS3_N6thrust23THRUST_200600_302600_NS6detail15normal_iteratorINS8_10device_ptrIiEEEESD_jNS1_19radix_merge_compareILb1ELb1EiNS0_19identity_decomposerEEEEE10hipError_tT0_T1_T2_jT3_P12ihipStream_tbPNSt15iterator_traitsISI_E10value_typeEPNSO_ISJ_E10value_typeEPSK_NS1_7vsmem_tEENKUlT_SI_SJ_SK_E_clISD_PiSD_S10_EESH_SX_SI_SJ_SK_EUlSX_E_NS1_11comp_targetILNS1_3genE8ELNS1_11target_archE1030ELNS1_3gpuE2ELNS1_3repE0EEENS1_48merge_mergepath_partition_config_static_selectorELNS0_4arch9wavefront6targetE1EEEvSJ_.kd
    .uniform_work_group_size: 1
    .uses_dynamic_stack: false
    .vgpr_count:     0
    .vgpr_spill_count: 0
    .wavefront_size: 64
  - .agpr_count:     0
    .args:
      - .offset:         0
        .size:           64
        .value_kind:     by_value
      - .offset:         64
        .size:           4
        .value_kind:     hidden_block_count_x
      - .offset:         68
        .size:           4
        .value_kind:     hidden_block_count_y
      - .offset:         72
        .size:           4
        .value_kind:     hidden_block_count_z
      - .offset:         76
        .size:           2
        .value_kind:     hidden_group_size_x
      - .offset:         78
        .size:           2
        .value_kind:     hidden_group_size_y
      - .offset:         80
        .size:           2
        .value_kind:     hidden_group_size_z
      - .offset:         82
        .size:           2
        .value_kind:     hidden_remainder_x
      - .offset:         84
        .size:           2
        .value_kind:     hidden_remainder_y
      - .offset:         86
        .size:           2
        .value_kind:     hidden_remainder_z
      - .offset:         104
        .size:           8
        .value_kind:     hidden_global_offset_x
      - .offset:         112
        .size:           8
        .value_kind:     hidden_global_offset_y
      - .offset:         120
        .size:           8
        .value_kind:     hidden_global_offset_z
      - .offset:         128
        .size:           2
        .value_kind:     hidden_grid_dims
    .group_segment_fixed_size: 4224
    .kernarg_segment_align: 8
    .kernarg_segment_size: 320
    .language:       OpenCL C
    .language_version:
      - 2
      - 0
    .max_flat_workgroup_size: 256
    .name:           _ZN7rocprim17ROCPRIM_400000_NS6detail17trampoline_kernelINS0_14default_configENS1_38merge_sort_block_merge_config_selectorIiiEEZZNS1_27merge_sort_block_merge_implIS3_N6thrust23THRUST_200600_302600_NS6detail15normal_iteratorINS8_10device_ptrIiEEEESD_jNS1_19radix_merge_compareILb1ELb1EiNS0_19identity_decomposerEEEEE10hipError_tT0_T1_T2_jT3_P12ihipStream_tbPNSt15iterator_traitsISI_E10value_typeEPNSO_ISJ_E10value_typeEPSK_NS1_7vsmem_tEENKUlT_SI_SJ_SK_E_clISD_PiSD_S10_EESH_SX_SI_SJ_SK_EUlSX_E0_NS1_11comp_targetILNS1_3genE0ELNS1_11target_archE4294967295ELNS1_3gpuE0ELNS1_3repE0EEENS1_38merge_mergepath_config_static_selectorELNS0_4arch9wavefront6targetE1EEEvSJ_
    .private_segment_fixed_size: 0
    .sgpr_count:     37
    .sgpr_spill_count: 0
    .symbol:         _ZN7rocprim17ROCPRIM_400000_NS6detail17trampoline_kernelINS0_14default_configENS1_38merge_sort_block_merge_config_selectorIiiEEZZNS1_27merge_sort_block_merge_implIS3_N6thrust23THRUST_200600_302600_NS6detail15normal_iteratorINS8_10device_ptrIiEEEESD_jNS1_19radix_merge_compareILb1ELb1EiNS0_19identity_decomposerEEEEE10hipError_tT0_T1_T2_jT3_P12ihipStream_tbPNSt15iterator_traitsISI_E10value_typeEPNSO_ISJ_E10value_typeEPSK_NS1_7vsmem_tEENKUlT_SI_SJ_SK_E_clISD_PiSD_S10_EESH_SX_SI_SJ_SK_EUlSX_E0_NS1_11comp_targetILNS1_3genE0ELNS1_11target_archE4294967295ELNS1_3gpuE0ELNS1_3repE0EEENS1_38merge_mergepath_config_static_selectorELNS0_4arch9wavefront6targetE1EEEvSJ_.kd
    .uniform_work_group_size: 1
    .uses_dynamic_stack: false
    .vgpr_count:     21
    .vgpr_spill_count: 0
    .wavefront_size: 64
  - .agpr_count:     0
    .args:
      - .offset:         0
        .size:           64
        .value_kind:     by_value
    .group_segment_fixed_size: 0
    .kernarg_segment_align: 8
    .kernarg_segment_size: 64
    .language:       OpenCL C
    .language_version:
      - 2
      - 0
    .max_flat_workgroup_size: 256
    .name:           _ZN7rocprim17ROCPRIM_400000_NS6detail17trampoline_kernelINS0_14default_configENS1_38merge_sort_block_merge_config_selectorIiiEEZZNS1_27merge_sort_block_merge_implIS3_N6thrust23THRUST_200600_302600_NS6detail15normal_iteratorINS8_10device_ptrIiEEEESD_jNS1_19radix_merge_compareILb1ELb1EiNS0_19identity_decomposerEEEEE10hipError_tT0_T1_T2_jT3_P12ihipStream_tbPNSt15iterator_traitsISI_E10value_typeEPNSO_ISJ_E10value_typeEPSK_NS1_7vsmem_tEENKUlT_SI_SJ_SK_E_clISD_PiSD_S10_EESH_SX_SI_SJ_SK_EUlSX_E0_NS1_11comp_targetILNS1_3genE10ELNS1_11target_archE1201ELNS1_3gpuE5ELNS1_3repE0EEENS1_38merge_mergepath_config_static_selectorELNS0_4arch9wavefront6targetE1EEEvSJ_
    .private_segment_fixed_size: 0
    .sgpr_count:     6
    .sgpr_spill_count: 0
    .symbol:         _ZN7rocprim17ROCPRIM_400000_NS6detail17trampoline_kernelINS0_14default_configENS1_38merge_sort_block_merge_config_selectorIiiEEZZNS1_27merge_sort_block_merge_implIS3_N6thrust23THRUST_200600_302600_NS6detail15normal_iteratorINS8_10device_ptrIiEEEESD_jNS1_19radix_merge_compareILb1ELb1EiNS0_19identity_decomposerEEEEE10hipError_tT0_T1_T2_jT3_P12ihipStream_tbPNSt15iterator_traitsISI_E10value_typeEPNSO_ISJ_E10value_typeEPSK_NS1_7vsmem_tEENKUlT_SI_SJ_SK_E_clISD_PiSD_S10_EESH_SX_SI_SJ_SK_EUlSX_E0_NS1_11comp_targetILNS1_3genE10ELNS1_11target_archE1201ELNS1_3gpuE5ELNS1_3repE0EEENS1_38merge_mergepath_config_static_selectorELNS0_4arch9wavefront6targetE1EEEvSJ_.kd
    .uniform_work_group_size: 1
    .uses_dynamic_stack: false
    .vgpr_count:     0
    .vgpr_spill_count: 0
    .wavefront_size: 64
  - .agpr_count:     0
    .args:
      - .offset:         0
        .size:           64
        .value_kind:     by_value
    .group_segment_fixed_size: 0
    .kernarg_segment_align: 8
    .kernarg_segment_size: 64
    .language:       OpenCL C
    .language_version:
      - 2
      - 0
    .max_flat_workgroup_size: 128
    .name:           _ZN7rocprim17ROCPRIM_400000_NS6detail17trampoline_kernelINS0_14default_configENS1_38merge_sort_block_merge_config_selectorIiiEEZZNS1_27merge_sort_block_merge_implIS3_N6thrust23THRUST_200600_302600_NS6detail15normal_iteratorINS8_10device_ptrIiEEEESD_jNS1_19radix_merge_compareILb1ELb1EiNS0_19identity_decomposerEEEEE10hipError_tT0_T1_T2_jT3_P12ihipStream_tbPNSt15iterator_traitsISI_E10value_typeEPNSO_ISJ_E10value_typeEPSK_NS1_7vsmem_tEENKUlT_SI_SJ_SK_E_clISD_PiSD_S10_EESH_SX_SI_SJ_SK_EUlSX_E0_NS1_11comp_targetILNS1_3genE5ELNS1_11target_archE942ELNS1_3gpuE9ELNS1_3repE0EEENS1_38merge_mergepath_config_static_selectorELNS0_4arch9wavefront6targetE1EEEvSJ_
    .private_segment_fixed_size: 0
    .sgpr_count:     6
    .sgpr_spill_count: 0
    .symbol:         _ZN7rocprim17ROCPRIM_400000_NS6detail17trampoline_kernelINS0_14default_configENS1_38merge_sort_block_merge_config_selectorIiiEEZZNS1_27merge_sort_block_merge_implIS3_N6thrust23THRUST_200600_302600_NS6detail15normal_iteratorINS8_10device_ptrIiEEEESD_jNS1_19radix_merge_compareILb1ELb1EiNS0_19identity_decomposerEEEEE10hipError_tT0_T1_T2_jT3_P12ihipStream_tbPNSt15iterator_traitsISI_E10value_typeEPNSO_ISJ_E10value_typeEPSK_NS1_7vsmem_tEENKUlT_SI_SJ_SK_E_clISD_PiSD_S10_EESH_SX_SI_SJ_SK_EUlSX_E0_NS1_11comp_targetILNS1_3genE5ELNS1_11target_archE942ELNS1_3gpuE9ELNS1_3repE0EEENS1_38merge_mergepath_config_static_selectorELNS0_4arch9wavefront6targetE1EEEvSJ_.kd
    .uniform_work_group_size: 1
    .uses_dynamic_stack: false
    .vgpr_count:     0
    .vgpr_spill_count: 0
    .wavefront_size: 64
  - .agpr_count:     0
    .args:
      - .offset:         0
        .size:           64
        .value_kind:     by_value
    .group_segment_fixed_size: 0
    .kernarg_segment_align: 8
    .kernarg_segment_size: 64
    .language:       OpenCL C
    .language_version:
      - 2
      - 0
    .max_flat_workgroup_size: 256
    .name:           _ZN7rocprim17ROCPRIM_400000_NS6detail17trampoline_kernelINS0_14default_configENS1_38merge_sort_block_merge_config_selectorIiiEEZZNS1_27merge_sort_block_merge_implIS3_N6thrust23THRUST_200600_302600_NS6detail15normal_iteratorINS8_10device_ptrIiEEEESD_jNS1_19radix_merge_compareILb1ELb1EiNS0_19identity_decomposerEEEEE10hipError_tT0_T1_T2_jT3_P12ihipStream_tbPNSt15iterator_traitsISI_E10value_typeEPNSO_ISJ_E10value_typeEPSK_NS1_7vsmem_tEENKUlT_SI_SJ_SK_E_clISD_PiSD_S10_EESH_SX_SI_SJ_SK_EUlSX_E0_NS1_11comp_targetILNS1_3genE4ELNS1_11target_archE910ELNS1_3gpuE8ELNS1_3repE0EEENS1_38merge_mergepath_config_static_selectorELNS0_4arch9wavefront6targetE1EEEvSJ_
    .private_segment_fixed_size: 0
    .sgpr_count:     6
    .sgpr_spill_count: 0
    .symbol:         _ZN7rocprim17ROCPRIM_400000_NS6detail17trampoline_kernelINS0_14default_configENS1_38merge_sort_block_merge_config_selectorIiiEEZZNS1_27merge_sort_block_merge_implIS3_N6thrust23THRUST_200600_302600_NS6detail15normal_iteratorINS8_10device_ptrIiEEEESD_jNS1_19radix_merge_compareILb1ELb1EiNS0_19identity_decomposerEEEEE10hipError_tT0_T1_T2_jT3_P12ihipStream_tbPNSt15iterator_traitsISI_E10value_typeEPNSO_ISJ_E10value_typeEPSK_NS1_7vsmem_tEENKUlT_SI_SJ_SK_E_clISD_PiSD_S10_EESH_SX_SI_SJ_SK_EUlSX_E0_NS1_11comp_targetILNS1_3genE4ELNS1_11target_archE910ELNS1_3gpuE8ELNS1_3repE0EEENS1_38merge_mergepath_config_static_selectorELNS0_4arch9wavefront6targetE1EEEvSJ_.kd
    .uniform_work_group_size: 1
    .uses_dynamic_stack: false
    .vgpr_count:     0
    .vgpr_spill_count: 0
    .wavefront_size: 64
  - .agpr_count:     0
    .args:
      - .offset:         0
        .size:           64
        .value_kind:     by_value
    .group_segment_fixed_size: 0
    .kernarg_segment_align: 8
    .kernarg_segment_size: 64
    .language:       OpenCL C
    .language_version:
      - 2
      - 0
    .max_flat_workgroup_size: 256
    .name:           _ZN7rocprim17ROCPRIM_400000_NS6detail17trampoline_kernelINS0_14default_configENS1_38merge_sort_block_merge_config_selectorIiiEEZZNS1_27merge_sort_block_merge_implIS3_N6thrust23THRUST_200600_302600_NS6detail15normal_iteratorINS8_10device_ptrIiEEEESD_jNS1_19radix_merge_compareILb1ELb1EiNS0_19identity_decomposerEEEEE10hipError_tT0_T1_T2_jT3_P12ihipStream_tbPNSt15iterator_traitsISI_E10value_typeEPNSO_ISJ_E10value_typeEPSK_NS1_7vsmem_tEENKUlT_SI_SJ_SK_E_clISD_PiSD_S10_EESH_SX_SI_SJ_SK_EUlSX_E0_NS1_11comp_targetILNS1_3genE3ELNS1_11target_archE908ELNS1_3gpuE7ELNS1_3repE0EEENS1_38merge_mergepath_config_static_selectorELNS0_4arch9wavefront6targetE1EEEvSJ_
    .private_segment_fixed_size: 0
    .sgpr_count:     6
    .sgpr_spill_count: 0
    .symbol:         _ZN7rocprim17ROCPRIM_400000_NS6detail17trampoline_kernelINS0_14default_configENS1_38merge_sort_block_merge_config_selectorIiiEEZZNS1_27merge_sort_block_merge_implIS3_N6thrust23THRUST_200600_302600_NS6detail15normal_iteratorINS8_10device_ptrIiEEEESD_jNS1_19radix_merge_compareILb1ELb1EiNS0_19identity_decomposerEEEEE10hipError_tT0_T1_T2_jT3_P12ihipStream_tbPNSt15iterator_traitsISI_E10value_typeEPNSO_ISJ_E10value_typeEPSK_NS1_7vsmem_tEENKUlT_SI_SJ_SK_E_clISD_PiSD_S10_EESH_SX_SI_SJ_SK_EUlSX_E0_NS1_11comp_targetILNS1_3genE3ELNS1_11target_archE908ELNS1_3gpuE7ELNS1_3repE0EEENS1_38merge_mergepath_config_static_selectorELNS0_4arch9wavefront6targetE1EEEvSJ_.kd
    .uniform_work_group_size: 1
    .uses_dynamic_stack: false
    .vgpr_count:     0
    .vgpr_spill_count: 0
    .wavefront_size: 64
  - .agpr_count:     0
    .args:
      - .offset:         0
        .size:           64
        .value_kind:     by_value
    .group_segment_fixed_size: 0
    .kernarg_segment_align: 8
    .kernarg_segment_size: 64
    .language:       OpenCL C
    .language_version:
      - 2
      - 0
    .max_flat_workgroup_size: 256
    .name:           _ZN7rocprim17ROCPRIM_400000_NS6detail17trampoline_kernelINS0_14default_configENS1_38merge_sort_block_merge_config_selectorIiiEEZZNS1_27merge_sort_block_merge_implIS3_N6thrust23THRUST_200600_302600_NS6detail15normal_iteratorINS8_10device_ptrIiEEEESD_jNS1_19radix_merge_compareILb1ELb1EiNS0_19identity_decomposerEEEEE10hipError_tT0_T1_T2_jT3_P12ihipStream_tbPNSt15iterator_traitsISI_E10value_typeEPNSO_ISJ_E10value_typeEPSK_NS1_7vsmem_tEENKUlT_SI_SJ_SK_E_clISD_PiSD_S10_EESH_SX_SI_SJ_SK_EUlSX_E0_NS1_11comp_targetILNS1_3genE2ELNS1_11target_archE906ELNS1_3gpuE6ELNS1_3repE0EEENS1_38merge_mergepath_config_static_selectorELNS0_4arch9wavefront6targetE1EEEvSJ_
    .private_segment_fixed_size: 0
    .sgpr_count:     6
    .sgpr_spill_count: 0
    .symbol:         _ZN7rocprim17ROCPRIM_400000_NS6detail17trampoline_kernelINS0_14default_configENS1_38merge_sort_block_merge_config_selectorIiiEEZZNS1_27merge_sort_block_merge_implIS3_N6thrust23THRUST_200600_302600_NS6detail15normal_iteratorINS8_10device_ptrIiEEEESD_jNS1_19radix_merge_compareILb1ELb1EiNS0_19identity_decomposerEEEEE10hipError_tT0_T1_T2_jT3_P12ihipStream_tbPNSt15iterator_traitsISI_E10value_typeEPNSO_ISJ_E10value_typeEPSK_NS1_7vsmem_tEENKUlT_SI_SJ_SK_E_clISD_PiSD_S10_EESH_SX_SI_SJ_SK_EUlSX_E0_NS1_11comp_targetILNS1_3genE2ELNS1_11target_archE906ELNS1_3gpuE6ELNS1_3repE0EEENS1_38merge_mergepath_config_static_selectorELNS0_4arch9wavefront6targetE1EEEvSJ_.kd
    .uniform_work_group_size: 1
    .uses_dynamic_stack: false
    .vgpr_count:     0
    .vgpr_spill_count: 0
    .wavefront_size: 64
  - .agpr_count:     0
    .args:
      - .offset:         0
        .size:           64
        .value_kind:     by_value
    .group_segment_fixed_size: 0
    .kernarg_segment_align: 8
    .kernarg_segment_size: 64
    .language:       OpenCL C
    .language_version:
      - 2
      - 0
    .max_flat_workgroup_size: 512
    .name:           _ZN7rocprim17ROCPRIM_400000_NS6detail17trampoline_kernelINS0_14default_configENS1_38merge_sort_block_merge_config_selectorIiiEEZZNS1_27merge_sort_block_merge_implIS3_N6thrust23THRUST_200600_302600_NS6detail15normal_iteratorINS8_10device_ptrIiEEEESD_jNS1_19radix_merge_compareILb1ELb1EiNS0_19identity_decomposerEEEEE10hipError_tT0_T1_T2_jT3_P12ihipStream_tbPNSt15iterator_traitsISI_E10value_typeEPNSO_ISJ_E10value_typeEPSK_NS1_7vsmem_tEENKUlT_SI_SJ_SK_E_clISD_PiSD_S10_EESH_SX_SI_SJ_SK_EUlSX_E0_NS1_11comp_targetILNS1_3genE9ELNS1_11target_archE1100ELNS1_3gpuE3ELNS1_3repE0EEENS1_38merge_mergepath_config_static_selectorELNS0_4arch9wavefront6targetE1EEEvSJ_
    .private_segment_fixed_size: 0
    .sgpr_count:     6
    .sgpr_spill_count: 0
    .symbol:         _ZN7rocprim17ROCPRIM_400000_NS6detail17trampoline_kernelINS0_14default_configENS1_38merge_sort_block_merge_config_selectorIiiEEZZNS1_27merge_sort_block_merge_implIS3_N6thrust23THRUST_200600_302600_NS6detail15normal_iteratorINS8_10device_ptrIiEEEESD_jNS1_19radix_merge_compareILb1ELb1EiNS0_19identity_decomposerEEEEE10hipError_tT0_T1_T2_jT3_P12ihipStream_tbPNSt15iterator_traitsISI_E10value_typeEPNSO_ISJ_E10value_typeEPSK_NS1_7vsmem_tEENKUlT_SI_SJ_SK_E_clISD_PiSD_S10_EESH_SX_SI_SJ_SK_EUlSX_E0_NS1_11comp_targetILNS1_3genE9ELNS1_11target_archE1100ELNS1_3gpuE3ELNS1_3repE0EEENS1_38merge_mergepath_config_static_selectorELNS0_4arch9wavefront6targetE1EEEvSJ_.kd
    .uniform_work_group_size: 1
    .uses_dynamic_stack: false
    .vgpr_count:     0
    .vgpr_spill_count: 0
    .wavefront_size: 64
  - .agpr_count:     0
    .args:
      - .offset:         0
        .size:           64
        .value_kind:     by_value
    .group_segment_fixed_size: 0
    .kernarg_segment_align: 8
    .kernarg_segment_size: 64
    .language:       OpenCL C
    .language_version:
      - 2
      - 0
    .max_flat_workgroup_size: 1024
    .name:           _ZN7rocprim17ROCPRIM_400000_NS6detail17trampoline_kernelINS0_14default_configENS1_38merge_sort_block_merge_config_selectorIiiEEZZNS1_27merge_sort_block_merge_implIS3_N6thrust23THRUST_200600_302600_NS6detail15normal_iteratorINS8_10device_ptrIiEEEESD_jNS1_19radix_merge_compareILb1ELb1EiNS0_19identity_decomposerEEEEE10hipError_tT0_T1_T2_jT3_P12ihipStream_tbPNSt15iterator_traitsISI_E10value_typeEPNSO_ISJ_E10value_typeEPSK_NS1_7vsmem_tEENKUlT_SI_SJ_SK_E_clISD_PiSD_S10_EESH_SX_SI_SJ_SK_EUlSX_E0_NS1_11comp_targetILNS1_3genE8ELNS1_11target_archE1030ELNS1_3gpuE2ELNS1_3repE0EEENS1_38merge_mergepath_config_static_selectorELNS0_4arch9wavefront6targetE1EEEvSJ_
    .private_segment_fixed_size: 0
    .sgpr_count:     6
    .sgpr_spill_count: 0
    .symbol:         _ZN7rocprim17ROCPRIM_400000_NS6detail17trampoline_kernelINS0_14default_configENS1_38merge_sort_block_merge_config_selectorIiiEEZZNS1_27merge_sort_block_merge_implIS3_N6thrust23THRUST_200600_302600_NS6detail15normal_iteratorINS8_10device_ptrIiEEEESD_jNS1_19radix_merge_compareILb1ELb1EiNS0_19identity_decomposerEEEEE10hipError_tT0_T1_T2_jT3_P12ihipStream_tbPNSt15iterator_traitsISI_E10value_typeEPNSO_ISJ_E10value_typeEPSK_NS1_7vsmem_tEENKUlT_SI_SJ_SK_E_clISD_PiSD_S10_EESH_SX_SI_SJ_SK_EUlSX_E0_NS1_11comp_targetILNS1_3genE8ELNS1_11target_archE1030ELNS1_3gpuE2ELNS1_3repE0EEENS1_38merge_mergepath_config_static_selectorELNS0_4arch9wavefront6targetE1EEEvSJ_.kd
    .uniform_work_group_size: 1
    .uses_dynamic_stack: false
    .vgpr_count:     0
    .vgpr_spill_count: 0
    .wavefront_size: 64
  - .agpr_count:     0
    .args:
      - .offset:         0
        .size:           48
        .value_kind:     by_value
    .group_segment_fixed_size: 0
    .kernarg_segment_align: 8
    .kernarg_segment_size: 48
    .language:       OpenCL C
    .language_version:
      - 2
      - 0
    .max_flat_workgroup_size: 256
    .name:           _ZN7rocprim17ROCPRIM_400000_NS6detail17trampoline_kernelINS0_14default_configENS1_38merge_sort_block_merge_config_selectorIiiEEZZNS1_27merge_sort_block_merge_implIS3_N6thrust23THRUST_200600_302600_NS6detail15normal_iteratorINS8_10device_ptrIiEEEESD_jNS1_19radix_merge_compareILb1ELb1EiNS0_19identity_decomposerEEEEE10hipError_tT0_T1_T2_jT3_P12ihipStream_tbPNSt15iterator_traitsISI_E10value_typeEPNSO_ISJ_E10value_typeEPSK_NS1_7vsmem_tEENKUlT_SI_SJ_SK_E_clISD_PiSD_S10_EESH_SX_SI_SJ_SK_EUlSX_E1_NS1_11comp_targetILNS1_3genE0ELNS1_11target_archE4294967295ELNS1_3gpuE0ELNS1_3repE0EEENS1_36merge_oddeven_config_static_selectorELNS0_4arch9wavefront6targetE1EEEvSJ_
    .private_segment_fixed_size: 0
    .sgpr_count:     30
    .sgpr_spill_count: 0
    .symbol:         _ZN7rocprim17ROCPRIM_400000_NS6detail17trampoline_kernelINS0_14default_configENS1_38merge_sort_block_merge_config_selectorIiiEEZZNS1_27merge_sort_block_merge_implIS3_N6thrust23THRUST_200600_302600_NS6detail15normal_iteratorINS8_10device_ptrIiEEEESD_jNS1_19radix_merge_compareILb1ELb1EiNS0_19identity_decomposerEEEEE10hipError_tT0_T1_T2_jT3_P12ihipStream_tbPNSt15iterator_traitsISI_E10value_typeEPNSO_ISJ_E10value_typeEPSK_NS1_7vsmem_tEENKUlT_SI_SJ_SK_E_clISD_PiSD_S10_EESH_SX_SI_SJ_SK_EUlSX_E1_NS1_11comp_targetILNS1_3genE0ELNS1_11target_archE4294967295ELNS1_3gpuE0ELNS1_3repE0EEENS1_36merge_oddeven_config_static_selectorELNS0_4arch9wavefront6targetE1EEEvSJ_.kd
    .uniform_work_group_size: 1
    .uses_dynamic_stack: false
    .vgpr_count:     11
    .vgpr_spill_count: 0
    .wavefront_size: 64
  - .agpr_count:     0
    .args:
      - .offset:         0
        .size:           48
        .value_kind:     by_value
    .group_segment_fixed_size: 0
    .kernarg_segment_align: 8
    .kernarg_segment_size: 48
    .language:       OpenCL C
    .language_version:
      - 2
      - 0
    .max_flat_workgroup_size: 256
    .name:           _ZN7rocprim17ROCPRIM_400000_NS6detail17trampoline_kernelINS0_14default_configENS1_38merge_sort_block_merge_config_selectorIiiEEZZNS1_27merge_sort_block_merge_implIS3_N6thrust23THRUST_200600_302600_NS6detail15normal_iteratorINS8_10device_ptrIiEEEESD_jNS1_19radix_merge_compareILb1ELb1EiNS0_19identity_decomposerEEEEE10hipError_tT0_T1_T2_jT3_P12ihipStream_tbPNSt15iterator_traitsISI_E10value_typeEPNSO_ISJ_E10value_typeEPSK_NS1_7vsmem_tEENKUlT_SI_SJ_SK_E_clISD_PiSD_S10_EESH_SX_SI_SJ_SK_EUlSX_E1_NS1_11comp_targetILNS1_3genE10ELNS1_11target_archE1201ELNS1_3gpuE5ELNS1_3repE0EEENS1_36merge_oddeven_config_static_selectorELNS0_4arch9wavefront6targetE1EEEvSJ_
    .private_segment_fixed_size: 0
    .sgpr_count:     6
    .sgpr_spill_count: 0
    .symbol:         _ZN7rocprim17ROCPRIM_400000_NS6detail17trampoline_kernelINS0_14default_configENS1_38merge_sort_block_merge_config_selectorIiiEEZZNS1_27merge_sort_block_merge_implIS3_N6thrust23THRUST_200600_302600_NS6detail15normal_iteratorINS8_10device_ptrIiEEEESD_jNS1_19radix_merge_compareILb1ELb1EiNS0_19identity_decomposerEEEEE10hipError_tT0_T1_T2_jT3_P12ihipStream_tbPNSt15iterator_traitsISI_E10value_typeEPNSO_ISJ_E10value_typeEPSK_NS1_7vsmem_tEENKUlT_SI_SJ_SK_E_clISD_PiSD_S10_EESH_SX_SI_SJ_SK_EUlSX_E1_NS1_11comp_targetILNS1_3genE10ELNS1_11target_archE1201ELNS1_3gpuE5ELNS1_3repE0EEENS1_36merge_oddeven_config_static_selectorELNS0_4arch9wavefront6targetE1EEEvSJ_.kd
    .uniform_work_group_size: 1
    .uses_dynamic_stack: false
    .vgpr_count:     0
    .vgpr_spill_count: 0
    .wavefront_size: 64
  - .agpr_count:     0
    .args:
      - .offset:         0
        .size:           48
        .value_kind:     by_value
    .group_segment_fixed_size: 0
    .kernarg_segment_align: 8
    .kernarg_segment_size: 48
    .language:       OpenCL C
    .language_version:
      - 2
      - 0
    .max_flat_workgroup_size: 256
    .name:           _ZN7rocprim17ROCPRIM_400000_NS6detail17trampoline_kernelINS0_14default_configENS1_38merge_sort_block_merge_config_selectorIiiEEZZNS1_27merge_sort_block_merge_implIS3_N6thrust23THRUST_200600_302600_NS6detail15normal_iteratorINS8_10device_ptrIiEEEESD_jNS1_19radix_merge_compareILb1ELb1EiNS0_19identity_decomposerEEEEE10hipError_tT0_T1_T2_jT3_P12ihipStream_tbPNSt15iterator_traitsISI_E10value_typeEPNSO_ISJ_E10value_typeEPSK_NS1_7vsmem_tEENKUlT_SI_SJ_SK_E_clISD_PiSD_S10_EESH_SX_SI_SJ_SK_EUlSX_E1_NS1_11comp_targetILNS1_3genE5ELNS1_11target_archE942ELNS1_3gpuE9ELNS1_3repE0EEENS1_36merge_oddeven_config_static_selectorELNS0_4arch9wavefront6targetE1EEEvSJ_
    .private_segment_fixed_size: 0
    .sgpr_count:     6
    .sgpr_spill_count: 0
    .symbol:         _ZN7rocprim17ROCPRIM_400000_NS6detail17trampoline_kernelINS0_14default_configENS1_38merge_sort_block_merge_config_selectorIiiEEZZNS1_27merge_sort_block_merge_implIS3_N6thrust23THRUST_200600_302600_NS6detail15normal_iteratorINS8_10device_ptrIiEEEESD_jNS1_19radix_merge_compareILb1ELb1EiNS0_19identity_decomposerEEEEE10hipError_tT0_T1_T2_jT3_P12ihipStream_tbPNSt15iterator_traitsISI_E10value_typeEPNSO_ISJ_E10value_typeEPSK_NS1_7vsmem_tEENKUlT_SI_SJ_SK_E_clISD_PiSD_S10_EESH_SX_SI_SJ_SK_EUlSX_E1_NS1_11comp_targetILNS1_3genE5ELNS1_11target_archE942ELNS1_3gpuE9ELNS1_3repE0EEENS1_36merge_oddeven_config_static_selectorELNS0_4arch9wavefront6targetE1EEEvSJ_.kd
    .uniform_work_group_size: 1
    .uses_dynamic_stack: false
    .vgpr_count:     0
    .vgpr_spill_count: 0
    .wavefront_size: 64
  - .agpr_count:     0
    .args:
      - .offset:         0
        .size:           48
        .value_kind:     by_value
    .group_segment_fixed_size: 0
    .kernarg_segment_align: 8
    .kernarg_segment_size: 48
    .language:       OpenCL C
    .language_version:
      - 2
      - 0
    .max_flat_workgroup_size: 256
    .name:           _ZN7rocprim17ROCPRIM_400000_NS6detail17trampoline_kernelINS0_14default_configENS1_38merge_sort_block_merge_config_selectorIiiEEZZNS1_27merge_sort_block_merge_implIS3_N6thrust23THRUST_200600_302600_NS6detail15normal_iteratorINS8_10device_ptrIiEEEESD_jNS1_19radix_merge_compareILb1ELb1EiNS0_19identity_decomposerEEEEE10hipError_tT0_T1_T2_jT3_P12ihipStream_tbPNSt15iterator_traitsISI_E10value_typeEPNSO_ISJ_E10value_typeEPSK_NS1_7vsmem_tEENKUlT_SI_SJ_SK_E_clISD_PiSD_S10_EESH_SX_SI_SJ_SK_EUlSX_E1_NS1_11comp_targetILNS1_3genE4ELNS1_11target_archE910ELNS1_3gpuE8ELNS1_3repE0EEENS1_36merge_oddeven_config_static_selectorELNS0_4arch9wavefront6targetE1EEEvSJ_
    .private_segment_fixed_size: 0
    .sgpr_count:     6
    .sgpr_spill_count: 0
    .symbol:         _ZN7rocprim17ROCPRIM_400000_NS6detail17trampoline_kernelINS0_14default_configENS1_38merge_sort_block_merge_config_selectorIiiEEZZNS1_27merge_sort_block_merge_implIS3_N6thrust23THRUST_200600_302600_NS6detail15normal_iteratorINS8_10device_ptrIiEEEESD_jNS1_19radix_merge_compareILb1ELb1EiNS0_19identity_decomposerEEEEE10hipError_tT0_T1_T2_jT3_P12ihipStream_tbPNSt15iterator_traitsISI_E10value_typeEPNSO_ISJ_E10value_typeEPSK_NS1_7vsmem_tEENKUlT_SI_SJ_SK_E_clISD_PiSD_S10_EESH_SX_SI_SJ_SK_EUlSX_E1_NS1_11comp_targetILNS1_3genE4ELNS1_11target_archE910ELNS1_3gpuE8ELNS1_3repE0EEENS1_36merge_oddeven_config_static_selectorELNS0_4arch9wavefront6targetE1EEEvSJ_.kd
    .uniform_work_group_size: 1
    .uses_dynamic_stack: false
    .vgpr_count:     0
    .vgpr_spill_count: 0
    .wavefront_size: 64
  - .agpr_count:     0
    .args:
      - .offset:         0
        .size:           48
        .value_kind:     by_value
    .group_segment_fixed_size: 0
    .kernarg_segment_align: 8
    .kernarg_segment_size: 48
    .language:       OpenCL C
    .language_version:
      - 2
      - 0
    .max_flat_workgroup_size: 256
    .name:           _ZN7rocprim17ROCPRIM_400000_NS6detail17trampoline_kernelINS0_14default_configENS1_38merge_sort_block_merge_config_selectorIiiEEZZNS1_27merge_sort_block_merge_implIS3_N6thrust23THRUST_200600_302600_NS6detail15normal_iteratorINS8_10device_ptrIiEEEESD_jNS1_19radix_merge_compareILb1ELb1EiNS0_19identity_decomposerEEEEE10hipError_tT0_T1_T2_jT3_P12ihipStream_tbPNSt15iterator_traitsISI_E10value_typeEPNSO_ISJ_E10value_typeEPSK_NS1_7vsmem_tEENKUlT_SI_SJ_SK_E_clISD_PiSD_S10_EESH_SX_SI_SJ_SK_EUlSX_E1_NS1_11comp_targetILNS1_3genE3ELNS1_11target_archE908ELNS1_3gpuE7ELNS1_3repE0EEENS1_36merge_oddeven_config_static_selectorELNS0_4arch9wavefront6targetE1EEEvSJ_
    .private_segment_fixed_size: 0
    .sgpr_count:     6
    .sgpr_spill_count: 0
    .symbol:         _ZN7rocprim17ROCPRIM_400000_NS6detail17trampoline_kernelINS0_14default_configENS1_38merge_sort_block_merge_config_selectorIiiEEZZNS1_27merge_sort_block_merge_implIS3_N6thrust23THRUST_200600_302600_NS6detail15normal_iteratorINS8_10device_ptrIiEEEESD_jNS1_19radix_merge_compareILb1ELb1EiNS0_19identity_decomposerEEEEE10hipError_tT0_T1_T2_jT3_P12ihipStream_tbPNSt15iterator_traitsISI_E10value_typeEPNSO_ISJ_E10value_typeEPSK_NS1_7vsmem_tEENKUlT_SI_SJ_SK_E_clISD_PiSD_S10_EESH_SX_SI_SJ_SK_EUlSX_E1_NS1_11comp_targetILNS1_3genE3ELNS1_11target_archE908ELNS1_3gpuE7ELNS1_3repE0EEENS1_36merge_oddeven_config_static_selectorELNS0_4arch9wavefront6targetE1EEEvSJ_.kd
    .uniform_work_group_size: 1
    .uses_dynamic_stack: false
    .vgpr_count:     0
    .vgpr_spill_count: 0
    .wavefront_size: 64
  - .agpr_count:     0
    .args:
      - .offset:         0
        .size:           48
        .value_kind:     by_value
    .group_segment_fixed_size: 0
    .kernarg_segment_align: 8
    .kernarg_segment_size: 48
    .language:       OpenCL C
    .language_version:
      - 2
      - 0
    .max_flat_workgroup_size: 256
    .name:           _ZN7rocprim17ROCPRIM_400000_NS6detail17trampoline_kernelINS0_14default_configENS1_38merge_sort_block_merge_config_selectorIiiEEZZNS1_27merge_sort_block_merge_implIS3_N6thrust23THRUST_200600_302600_NS6detail15normal_iteratorINS8_10device_ptrIiEEEESD_jNS1_19radix_merge_compareILb1ELb1EiNS0_19identity_decomposerEEEEE10hipError_tT0_T1_T2_jT3_P12ihipStream_tbPNSt15iterator_traitsISI_E10value_typeEPNSO_ISJ_E10value_typeEPSK_NS1_7vsmem_tEENKUlT_SI_SJ_SK_E_clISD_PiSD_S10_EESH_SX_SI_SJ_SK_EUlSX_E1_NS1_11comp_targetILNS1_3genE2ELNS1_11target_archE906ELNS1_3gpuE6ELNS1_3repE0EEENS1_36merge_oddeven_config_static_selectorELNS0_4arch9wavefront6targetE1EEEvSJ_
    .private_segment_fixed_size: 0
    .sgpr_count:     6
    .sgpr_spill_count: 0
    .symbol:         _ZN7rocprim17ROCPRIM_400000_NS6detail17trampoline_kernelINS0_14default_configENS1_38merge_sort_block_merge_config_selectorIiiEEZZNS1_27merge_sort_block_merge_implIS3_N6thrust23THRUST_200600_302600_NS6detail15normal_iteratorINS8_10device_ptrIiEEEESD_jNS1_19radix_merge_compareILb1ELb1EiNS0_19identity_decomposerEEEEE10hipError_tT0_T1_T2_jT3_P12ihipStream_tbPNSt15iterator_traitsISI_E10value_typeEPNSO_ISJ_E10value_typeEPSK_NS1_7vsmem_tEENKUlT_SI_SJ_SK_E_clISD_PiSD_S10_EESH_SX_SI_SJ_SK_EUlSX_E1_NS1_11comp_targetILNS1_3genE2ELNS1_11target_archE906ELNS1_3gpuE6ELNS1_3repE0EEENS1_36merge_oddeven_config_static_selectorELNS0_4arch9wavefront6targetE1EEEvSJ_.kd
    .uniform_work_group_size: 1
    .uses_dynamic_stack: false
    .vgpr_count:     0
    .vgpr_spill_count: 0
    .wavefront_size: 64
  - .agpr_count:     0
    .args:
      - .offset:         0
        .size:           48
        .value_kind:     by_value
    .group_segment_fixed_size: 0
    .kernarg_segment_align: 8
    .kernarg_segment_size: 48
    .language:       OpenCL C
    .language_version:
      - 2
      - 0
    .max_flat_workgroup_size: 256
    .name:           _ZN7rocprim17ROCPRIM_400000_NS6detail17trampoline_kernelINS0_14default_configENS1_38merge_sort_block_merge_config_selectorIiiEEZZNS1_27merge_sort_block_merge_implIS3_N6thrust23THRUST_200600_302600_NS6detail15normal_iteratorINS8_10device_ptrIiEEEESD_jNS1_19radix_merge_compareILb1ELb1EiNS0_19identity_decomposerEEEEE10hipError_tT0_T1_T2_jT3_P12ihipStream_tbPNSt15iterator_traitsISI_E10value_typeEPNSO_ISJ_E10value_typeEPSK_NS1_7vsmem_tEENKUlT_SI_SJ_SK_E_clISD_PiSD_S10_EESH_SX_SI_SJ_SK_EUlSX_E1_NS1_11comp_targetILNS1_3genE9ELNS1_11target_archE1100ELNS1_3gpuE3ELNS1_3repE0EEENS1_36merge_oddeven_config_static_selectorELNS0_4arch9wavefront6targetE1EEEvSJ_
    .private_segment_fixed_size: 0
    .sgpr_count:     6
    .sgpr_spill_count: 0
    .symbol:         _ZN7rocprim17ROCPRIM_400000_NS6detail17trampoline_kernelINS0_14default_configENS1_38merge_sort_block_merge_config_selectorIiiEEZZNS1_27merge_sort_block_merge_implIS3_N6thrust23THRUST_200600_302600_NS6detail15normal_iteratorINS8_10device_ptrIiEEEESD_jNS1_19radix_merge_compareILb1ELb1EiNS0_19identity_decomposerEEEEE10hipError_tT0_T1_T2_jT3_P12ihipStream_tbPNSt15iterator_traitsISI_E10value_typeEPNSO_ISJ_E10value_typeEPSK_NS1_7vsmem_tEENKUlT_SI_SJ_SK_E_clISD_PiSD_S10_EESH_SX_SI_SJ_SK_EUlSX_E1_NS1_11comp_targetILNS1_3genE9ELNS1_11target_archE1100ELNS1_3gpuE3ELNS1_3repE0EEENS1_36merge_oddeven_config_static_selectorELNS0_4arch9wavefront6targetE1EEEvSJ_.kd
    .uniform_work_group_size: 1
    .uses_dynamic_stack: false
    .vgpr_count:     0
    .vgpr_spill_count: 0
    .wavefront_size: 64
  - .agpr_count:     0
    .args:
      - .offset:         0
        .size:           48
        .value_kind:     by_value
    .group_segment_fixed_size: 0
    .kernarg_segment_align: 8
    .kernarg_segment_size: 48
    .language:       OpenCL C
    .language_version:
      - 2
      - 0
    .max_flat_workgroup_size: 256
    .name:           _ZN7rocprim17ROCPRIM_400000_NS6detail17trampoline_kernelINS0_14default_configENS1_38merge_sort_block_merge_config_selectorIiiEEZZNS1_27merge_sort_block_merge_implIS3_N6thrust23THRUST_200600_302600_NS6detail15normal_iteratorINS8_10device_ptrIiEEEESD_jNS1_19radix_merge_compareILb1ELb1EiNS0_19identity_decomposerEEEEE10hipError_tT0_T1_T2_jT3_P12ihipStream_tbPNSt15iterator_traitsISI_E10value_typeEPNSO_ISJ_E10value_typeEPSK_NS1_7vsmem_tEENKUlT_SI_SJ_SK_E_clISD_PiSD_S10_EESH_SX_SI_SJ_SK_EUlSX_E1_NS1_11comp_targetILNS1_3genE8ELNS1_11target_archE1030ELNS1_3gpuE2ELNS1_3repE0EEENS1_36merge_oddeven_config_static_selectorELNS0_4arch9wavefront6targetE1EEEvSJ_
    .private_segment_fixed_size: 0
    .sgpr_count:     6
    .sgpr_spill_count: 0
    .symbol:         _ZN7rocprim17ROCPRIM_400000_NS6detail17trampoline_kernelINS0_14default_configENS1_38merge_sort_block_merge_config_selectorIiiEEZZNS1_27merge_sort_block_merge_implIS3_N6thrust23THRUST_200600_302600_NS6detail15normal_iteratorINS8_10device_ptrIiEEEESD_jNS1_19radix_merge_compareILb1ELb1EiNS0_19identity_decomposerEEEEE10hipError_tT0_T1_T2_jT3_P12ihipStream_tbPNSt15iterator_traitsISI_E10value_typeEPNSO_ISJ_E10value_typeEPSK_NS1_7vsmem_tEENKUlT_SI_SJ_SK_E_clISD_PiSD_S10_EESH_SX_SI_SJ_SK_EUlSX_E1_NS1_11comp_targetILNS1_3genE8ELNS1_11target_archE1030ELNS1_3gpuE2ELNS1_3repE0EEENS1_36merge_oddeven_config_static_selectorELNS0_4arch9wavefront6targetE1EEEvSJ_.kd
    .uniform_work_group_size: 1
    .uses_dynamic_stack: false
    .vgpr_count:     0
    .vgpr_spill_count: 0
    .wavefront_size: 64
  - .agpr_count:     0
    .args:
      - .offset:         0
        .size:           40
        .value_kind:     by_value
    .group_segment_fixed_size: 0
    .kernarg_segment_align: 8
    .kernarg_segment_size: 40
    .language:       OpenCL C
    .language_version:
      - 2
      - 0
    .max_flat_workgroup_size: 256
    .name:           _ZN7rocprim17ROCPRIM_400000_NS6detail17trampoline_kernelINS0_14default_configENS1_35radix_sort_onesweep_config_selectorIiiEEZNS1_34radix_sort_onesweep_global_offsetsIS3_Lb1EN6thrust23THRUST_200600_302600_NS6detail15normal_iteratorINS8_10device_ptrIiEEEESD_jNS0_19identity_decomposerEEE10hipError_tT1_T2_PT3_SI_jT4_jjP12ihipStream_tbEUlT_E_NS1_11comp_targetILNS1_3genE0ELNS1_11target_archE4294967295ELNS1_3gpuE0ELNS1_3repE0EEENS1_52radix_sort_onesweep_histogram_config_static_selectorELNS0_4arch9wavefront6targetE1EEEvSG_
    .private_segment_fixed_size: 0
    .sgpr_count:     6
    .sgpr_spill_count: 0
    .symbol:         _ZN7rocprim17ROCPRIM_400000_NS6detail17trampoline_kernelINS0_14default_configENS1_35radix_sort_onesweep_config_selectorIiiEEZNS1_34radix_sort_onesweep_global_offsetsIS3_Lb1EN6thrust23THRUST_200600_302600_NS6detail15normal_iteratorINS8_10device_ptrIiEEEESD_jNS0_19identity_decomposerEEE10hipError_tT1_T2_PT3_SI_jT4_jjP12ihipStream_tbEUlT_E_NS1_11comp_targetILNS1_3genE0ELNS1_11target_archE4294967295ELNS1_3gpuE0ELNS1_3repE0EEENS1_52radix_sort_onesweep_histogram_config_static_selectorELNS0_4arch9wavefront6targetE1EEEvSG_.kd
    .uniform_work_group_size: 1
    .uses_dynamic_stack: false
    .vgpr_count:     0
    .vgpr_spill_count: 0
    .wavefront_size: 64
  - .agpr_count:     0
    .args:
      - .offset:         0
        .size:           40
        .value_kind:     by_value
    .group_segment_fixed_size: 16384
    .kernarg_segment_align: 8
    .kernarg_segment_size: 40
    .language:       OpenCL C
    .language_version:
      - 2
      - 0
    .max_flat_workgroup_size: 1024
    .name:           _ZN7rocprim17ROCPRIM_400000_NS6detail17trampoline_kernelINS0_14default_configENS1_35radix_sort_onesweep_config_selectorIiiEEZNS1_34radix_sort_onesweep_global_offsetsIS3_Lb1EN6thrust23THRUST_200600_302600_NS6detail15normal_iteratorINS8_10device_ptrIiEEEESD_jNS0_19identity_decomposerEEE10hipError_tT1_T2_PT3_SI_jT4_jjP12ihipStream_tbEUlT_E_NS1_11comp_targetILNS1_3genE6ELNS1_11target_archE950ELNS1_3gpuE13ELNS1_3repE0EEENS1_52radix_sort_onesweep_histogram_config_static_selectorELNS0_4arch9wavefront6targetE1EEEvSG_
    .private_segment_fixed_size: 0
    .sgpr_count:     25
    .sgpr_spill_count: 0
    .symbol:         _ZN7rocprim17ROCPRIM_400000_NS6detail17trampoline_kernelINS0_14default_configENS1_35radix_sort_onesweep_config_selectorIiiEEZNS1_34radix_sort_onesweep_global_offsetsIS3_Lb1EN6thrust23THRUST_200600_302600_NS6detail15normal_iteratorINS8_10device_ptrIiEEEESD_jNS0_19identity_decomposerEEE10hipError_tT1_T2_PT3_SI_jT4_jjP12ihipStream_tbEUlT_E_NS1_11comp_targetILNS1_3genE6ELNS1_11target_archE950ELNS1_3gpuE13ELNS1_3repE0EEENS1_52radix_sort_onesweep_histogram_config_static_selectorELNS0_4arch9wavefront6targetE1EEEvSG_.kd
    .uniform_work_group_size: 1
    .uses_dynamic_stack: false
    .vgpr_count:     36
    .vgpr_spill_count: 0
    .wavefront_size: 64
  - .agpr_count:     0
    .args:
      - .offset:         0
        .size:           40
        .value_kind:     by_value
    .group_segment_fixed_size: 0
    .kernarg_segment_align: 8
    .kernarg_segment_size: 40
    .language:       OpenCL C
    .language_version:
      - 2
      - 0
    .max_flat_workgroup_size: 1024
    .name:           _ZN7rocprim17ROCPRIM_400000_NS6detail17trampoline_kernelINS0_14default_configENS1_35radix_sort_onesweep_config_selectorIiiEEZNS1_34radix_sort_onesweep_global_offsetsIS3_Lb1EN6thrust23THRUST_200600_302600_NS6detail15normal_iteratorINS8_10device_ptrIiEEEESD_jNS0_19identity_decomposerEEE10hipError_tT1_T2_PT3_SI_jT4_jjP12ihipStream_tbEUlT_E_NS1_11comp_targetILNS1_3genE5ELNS1_11target_archE942ELNS1_3gpuE9ELNS1_3repE0EEENS1_52radix_sort_onesweep_histogram_config_static_selectorELNS0_4arch9wavefront6targetE1EEEvSG_
    .private_segment_fixed_size: 0
    .sgpr_count:     6
    .sgpr_spill_count: 0
    .symbol:         _ZN7rocprim17ROCPRIM_400000_NS6detail17trampoline_kernelINS0_14default_configENS1_35radix_sort_onesweep_config_selectorIiiEEZNS1_34radix_sort_onesweep_global_offsetsIS3_Lb1EN6thrust23THRUST_200600_302600_NS6detail15normal_iteratorINS8_10device_ptrIiEEEESD_jNS0_19identity_decomposerEEE10hipError_tT1_T2_PT3_SI_jT4_jjP12ihipStream_tbEUlT_E_NS1_11comp_targetILNS1_3genE5ELNS1_11target_archE942ELNS1_3gpuE9ELNS1_3repE0EEENS1_52radix_sort_onesweep_histogram_config_static_selectorELNS0_4arch9wavefront6targetE1EEEvSG_.kd
    .uniform_work_group_size: 1
    .uses_dynamic_stack: false
    .vgpr_count:     0
    .vgpr_spill_count: 0
    .wavefront_size: 64
  - .agpr_count:     0
    .args:
      - .offset:         0
        .size:           40
        .value_kind:     by_value
    .group_segment_fixed_size: 0
    .kernarg_segment_align: 8
    .kernarg_segment_size: 40
    .language:       OpenCL C
    .language_version:
      - 2
      - 0
    .max_flat_workgroup_size: 512
    .name:           _ZN7rocprim17ROCPRIM_400000_NS6detail17trampoline_kernelINS0_14default_configENS1_35radix_sort_onesweep_config_selectorIiiEEZNS1_34radix_sort_onesweep_global_offsetsIS3_Lb1EN6thrust23THRUST_200600_302600_NS6detail15normal_iteratorINS8_10device_ptrIiEEEESD_jNS0_19identity_decomposerEEE10hipError_tT1_T2_PT3_SI_jT4_jjP12ihipStream_tbEUlT_E_NS1_11comp_targetILNS1_3genE2ELNS1_11target_archE906ELNS1_3gpuE6ELNS1_3repE0EEENS1_52radix_sort_onesweep_histogram_config_static_selectorELNS0_4arch9wavefront6targetE1EEEvSG_
    .private_segment_fixed_size: 0
    .sgpr_count:     6
    .sgpr_spill_count: 0
    .symbol:         _ZN7rocprim17ROCPRIM_400000_NS6detail17trampoline_kernelINS0_14default_configENS1_35radix_sort_onesweep_config_selectorIiiEEZNS1_34radix_sort_onesweep_global_offsetsIS3_Lb1EN6thrust23THRUST_200600_302600_NS6detail15normal_iteratorINS8_10device_ptrIiEEEESD_jNS0_19identity_decomposerEEE10hipError_tT1_T2_PT3_SI_jT4_jjP12ihipStream_tbEUlT_E_NS1_11comp_targetILNS1_3genE2ELNS1_11target_archE906ELNS1_3gpuE6ELNS1_3repE0EEENS1_52radix_sort_onesweep_histogram_config_static_selectorELNS0_4arch9wavefront6targetE1EEEvSG_.kd
    .uniform_work_group_size: 1
    .uses_dynamic_stack: false
    .vgpr_count:     0
    .vgpr_spill_count: 0
    .wavefront_size: 64
  - .agpr_count:     0
    .args:
      - .offset:         0
        .size:           40
        .value_kind:     by_value
    .group_segment_fixed_size: 0
    .kernarg_segment_align: 8
    .kernarg_segment_size: 40
    .language:       OpenCL C
    .language_version:
      - 2
      - 0
    .max_flat_workgroup_size: 512
    .name:           _ZN7rocprim17ROCPRIM_400000_NS6detail17trampoline_kernelINS0_14default_configENS1_35radix_sort_onesweep_config_selectorIiiEEZNS1_34radix_sort_onesweep_global_offsetsIS3_Lb1EN6thrust23THRUST_200600_302600_NS6detail15normal_iteratorINS8_10device_ptrIiEEEESD_jNS0_19identity_decomposerEEE10hipError_tT1_T2_PT3_SI_jT4_jjP12ihipStream_tbEUlT_E_NS1_11comp_targetILNS1_3genE4ELNS1_11target_archE910ELNS1_3gpuE8ELNS1_3repE0EEENS1_52radix_sort_onesweep_histogram_config_static_selectorELNS0_4arch9wavefront6targetE1EEEvSG_
    .private_segment_fixed_size: 0
    .sgpr_count:     6
    .sgpr_spill_count: 0
    .symbol:         _ZN7rocprim17ROCPRIM_400000_NS6detail17trampoline_kernelINS0_14default_configENS1_35radix_sort_onesweep_config_selectorIiiEEZNS1_34radix_sort_onesweep_global_offsetsIS3_Lb1EN6thrust23THRUST_200600_302600_NS6detail15normal_iteratorINS8_10device_ptrIiEEEESD_jNS0_19identity_decomposerEEE10hipError_tT1_T2_PT3_SI_jT4_jjP12ihipStream_tbEUlT_E_NS1_11comp_targetILNS1_3genE4ELNS1_11target_archE910ELNS1_3gpuE8ELNS1_3repE0EEENS1_52radix_sort_onesweep_histogram_config_static_selectorELNS0_4arch9wavefront6targetE1EEEvSG_.kd
    .uniform_work_group_size: 1
    .uses_dynamic_stack: false
    .vgpr_count:     0
    .vgpr_spill_count: 0
    .wavefront_size: 64
  - .agpr_count:     0
    .args:
      - .offset:         0
        .size:           40
        .value_kind:     by_value
    .group_segment_fixed_size: 0
    .kernarg_segment_align: 8
    .kernarg_segment_size: 40
    .language:       OpenCL C
    .language_version:
      - 2
      - 0
    .max_flat_workgroup_size: 256
    .name:           _ZN7rocprim17ROCPRIM_400000_NS6detail17trampoline_kernelINS0_14default_configENS1_35radix_sort_onesweep_config_selectorIiiEEZNS1_34radix_sort_onesweep_global_offsetsIS3_Lb1EN6thrust23THRUST_200600_302600_NS6detail15normal_iteratorINS8_10device_ptrIiEEEESD_jNS0_19identity_decomposerEEE10hipError_tT1_T2_PT3_SI_jT4_jjP12ihipStream_tbEUlT_E_NS1_11comp_targetILNS1_3genE3ELNS1_11target_archE908ELNS1_3gpuE7ELNS1_3repE0EEENS1_52radix_sort_onesweep_histogram_config_static_selectorELNS0_4arch9wavefront6targetE1EEEvSG_
    .private_segment_fixed_size: 0
    .sgpr_count:     6
    .sgpr_spill_count: 0
    .symbol:         _ZN7rocprim17ROCPRIM_400000_NS6detail17trampoline_kernelINS0_14default_configENS1_35radix_sort_onesweep_config_selectorIiiEEZNS1_34radix_sort_onesweep_global_offsetsIS3_Lb1EN6thrust23THRUST_200600_302600_NS6detail15normal_iteratorINS8_10device_ptrIiEEEESD_jNS0_19identity_decomposerEEE10hipError_tT1_T2_PT3_SI_jT4_jjP12ihipStream_tbEUlT_E_NS1_11comp_targetILNS1_3genE3ELNS1_11target_archE908ELNS1_3gpuE7ELNS1_3repE0EEENS1_52radix_sort_onesweep_histogram_config_static_selectorELNS0_4arch9wavefront6targetE1EEEvSG_.kd
    .uniform_work_group_size: 1
    .uses_dynamic_stack: false
    .vgpr_count:     0
    .vgpr_spill_count: 0
    .wavefront_size: 64
  - .agpr_count:     0
    .args:
      - .offset:         0
        .size:           40
        .value_kind:     by_value
    .group_segment_fixed_size: 0
    .kernarg_segment_align: 8
    .kernarg_segment_size: 40
    .language:       OpenCL C
    .language_version:
      - 2
      - 0
    .max_flat_workgroup_size: 1024
    .name:           _ZN7rocprim17ROCPRIM_400000_NS6detail17trampoline_kernelINS0_14default_configENS1_35radix_sort_onesweep_config_selectorIiiEEZNS1_34radix_sort_onesweep_global_offsetsIS3_Lb1EN6thrust23THRUST_200600_302600_NS6detail15normal_iteratorINS8_10device_ptrIiEEEESD_jNS0_19identity_decomposerEEE10hipError_tT1_T2_PT3_SI_jT4_jjP12ihipStream_tbEUlT_E_NS1_11comp_targetILNS1_3genE10ELNS1_11target_archE1201ELNS1_3gpuE5ELNS1_3repE0EEENS1_52radix_sort_onesweep_histogram_config_static_selectorELNS0_4arch9wavefront6targetE1EEEvSG_
    .private_segment_fixed_size: 0
    .sgpr_count:     6
    .sgpr_spill_count: 0
    .symbol:         _ZN7rocprim17ROCPRIM_400000_NS6detail17trampoline_kernelINS0_14default_configENS1_35radix_sort_onesweep_config_selectorIiiEEZNS1_34radix_sort_onesweep_global_offsetsIS3_Lb1EN6thrust23THRUST_200600_302600_NS6detail15normal_iteratorINS8_10device_ptrIiEEEESD_jNS0_19identity_decomposerEEE10hipError_tT1_T2_PT3_SI_jT4_jjP12ihipStream_tbEUlT_E_NS1_11comp_targetILNS1_3genE10ELNS1_11target_archE1201ELNS1_3gpuE5ELNS1_3repE0EEENS1_52radix_sort_onesweep_histogram_config_static_selectorELNS0_4arch9wavefront6targetE1EEEvSG_.kd
    .uniform_work_group_size: 1
    .uses_dynamic_stack: false
    .vgpr_count:     0
    .vgpr_spill_count: 0
    .wavefront_size: 64
  - .agpr_count:     0
    .args:
      - .offset:         0
        .size:           40
        .value_kind:     by_value
    .group_segment_fixed_size: 0
    .kernarg_segment_align: 8
    .kernarg_segment_size: 40
    .language:       OpenCL C
    .language_version:
      - 2
      - 0
    .max_flat_workgroup_size: 1024
    .name:           _ZN7rocprim17ROCPRIM_400000_NS6detail17trampoline_kernelINS0_14default_configENS1_35radix_sort_onesweep_config_selectorIiiEEZNS1_34radix_sort_onesweep_global_offsetsIS3_Lb1EN6thrust23THRUST_200600_302600_NS6detail15normal_iteratorINS8_10device_ptrIiEEEESD_jNS0_19identity_decomposerEEE10hipError_tT1_T2_PT3_SI_jT4_jjP12ihipStream_tbEUlT_E_NS1_11comp_targetILNS1_3genE9ELNS1_11target_archE1100ELNS1_3gpuE3ELNS1_3repE0EEENS1_52radix_sort_onesweep_histogram_config_static_selectorELNS0_4arch9wavefront6targetE1EEEvSG_
    .private_segment_fixed_size: 0
    .sgpr_count:     6
    .sgpr_spill_count: 0
    .symbol:         _ZN7rocprim17ROCPRIM_400000_NS6detail17trampoline_kernelINS0_14default_configENS1_35radix_sort_onesweep_config_selectorIiiEEZNS1_34radix_sort_onesweep_global_offsetsIS3_Lb1EN6thrust23THRUST_200600_302600_NS6detail15normal_iteratorINS8_10device_ptrIiEEEESD_jNS0_19identity_decomposerEEE10hipError_tT1_T2_PT3_SI_jT4_jjP12ihipStream_tbEUlT_E_NS1_11comp_targetILNS1_3genE9ELNS1_11target_archE1100ELNS1_3gpuE3ELNS1_3repE0EEENS1_52radix_sort_onesweep_histogram_config_static_selectorELNS0_4arch9wavefront6targetE1EEEvSG_.kd
    .uniform_work_group_size: 1
    .uses_dynamic_stack: false
    .vgpr_count:     0
    .vgpr_spill_count: 0
    .wavefront_size: 64
  - .agpr_count:     0
    .args:
      - .offset:         0
        .size:           40
        .value_kind:     by_value
    .group_segment_fixed_size: 0
    .kernarg_segment_align: 8
    .kernarg_segment_size: 40
    .language:       OpenCL C
    .language_version:
      - 2
      - 0
    .max_flat_workgroup_size: 1024
    .name:           _ZN7rocprim17ROCPRIM_400000_NS6detail17trampoline_kernelINS0_14default_configENS1_35radix_sort_onesweep_config_selectorIiiEEZNS1_34radix_sort_onesweep_global_offsetsIS3_Lb1EN6thrust23THRUST_200600_302600_NS6detail15normal_iteratorINS8_10device_ptrIiEEEESD_jNS0_19identity_decomposerEEE10hipError_tT1_T2_PT3_SI_jT4_jjP12ihipStream_tbEUlT_E_NS1_11comp_targetILNS1_3genE8ELNS1_11target_archE1030ELNS1_3gpuE2ELNS1_3repE0EEENS1_52radix_sort_onesweep_histogram_config_static_selectorELNS0_4arch9wavefront6targetE1EEEvSG_
    .private_segment_fixed_size: 0
    .sgpr_count:     6
    .sgpr_spill_count: 0
    .symbol:         _ZN7rocprim17ROCPRIM_400000_NS6detail17trampoline_kernelINS0_14default_configENS1_35radix_sort_onesweep_config_selectorIiiEEZNS1_34radix_sort_onesweep_global_offsetsIS3_Lb1EN6thrust23THRUST_200600_302600_NS6detail15normal_iteratorINS8_10device_ptrIiEEEESD_jNS0_19identity_decomposerEEE10hipError_tT1_T2_PT3_SI_jT4_jjP12ihipStream_tbEUlT_E_NS1_11comp_targetILNS1_3genE8ELNS1_11target_archE1030ELNS1_3gpuE2ELNS1_3repE0EEENS1_52radix_sort_onesweep_histogram_config_static_selectorELNS0_4arch9wavefront6targetE1EEEvSG_.kd
    .uniform_work_group_size: 1
    .uses_dynamic_stack: false
    .vgpr_count:     0
    .vgpr_spill_count: 0
    .wavefront_size: 64
  - .agpr_count:     0
    .args:
      - .address_space:  global
        .offset:         0
        .size:           8
        .value_kind:     global_buffer
    .group_segment_fixed_size: 0
    .kernarg_segment_align: 8
    .kernarg_segment_size: 8
    .language:       OpenCL C
    .language_version:
      - 2
      - 0
    .max_flat_workgroup_size: 256
    .name:           _ZN7rocprim17ROCPRIM_400000_NS6detail17trampoline_kernelINS0_14default_configENS1_35radix_sort_onesweep_config_selectorIiiEEZNS1_34radix_sort_onesweep_global_offsetsIS3_Lb1EN6thrust23THRUST_200600_302600_NS6detail15normal_iteratorINS8_10device_ptrIiEEEESD_jNS0_19identity_decomposerEEE10hipError_tT1_T2_PT3_SI_jT4_jjP12ihipStream_tbEUlT_E0_NS1_11comp_targetILNS1_3genE0ELNS1_11target_archE4294967295ELNS1_3gpuE0ELNS1_3repE0EEENS1_52radix_sort_onesweep_histogram_config_static_selectorELNS0_4arch9wavefront6targetE1EEEvSG_
    .private_segment_fixed_size: 0
    .sgpr_count:     6
    .sgpr_spill_count: 0
    .symbol:         _ZN7rocprim17ROCPRIM_400000_NS6detail17trampoline_kernelINS0_14default_configENS1_35radix_sort_onesweep_config_selectorIiiEEZNS1_34radix_sort_onesweep_global_offsetsIS3_Lb1EN6thrust23THRUST_200600_302600_NS6detail15normal_iteratorINS8_10device_ptrIiEEEESD_jNS0_19identity_decomposerEEE10hipError_tT1_T2_PT3_SI_jT4_jjP12ihipStream_tbEUlT_E0_NS1_11comp_targetILNS1_3genE0ELNS1_11target_archE4294967295ELNS1_3gpuE0ELNS1_3repE0EEENS1_52radix_sort_onesweep_histogram_config_static_selectorELNS0_4arch9wavefront6targetE1EEEvSG_.kd
    .uniform_work_group_size: 1
    .uses_dynamic_stack: false
    .vgpr_count:     0
    .vgpr_spill_count: 0
    .wavefront_size: 64
  - .agpr_count:     0
    .args:
      - .address_space:  global
        .offset:         0
        .size:           8
        .value_kind:     global_buffer
    .group_segment_fixed_size: 64
    .kernarg_segment_align: 8
    .kernarg_segment_size: 8
    .language:       OpenCL C
    .language_version:
      - 2
      - 0
    .max_flat_workgroup_size: 1024
    .name:           _ZN7rocprim17ROCPRIM_400000_NS6detail17trampoline_kernelINS0_14default_configENS1_35radix_sort_onesweep_config_selectorIiiEEZNS1_34radix_sort_onesweep_global_offsetsIS3_Lb1EN6thrust23THRUST_200600_302600_NS6detail15normal_iteratorINS8_10device_ptrIiEEEESD_jNS0_19identity_decomposerEEE10hipError_tT1_T2_PT3_SI_jT4_jjP12ihipStream_tbEUlT_E0_NS1_11comp_targetILNS1_3genE6ELNS1_11target_archE950ELNS1_3gpuE13ELNS1_3repE0EEENS1_52radix_sort_onesweep_histogram_config_static_selectorELNS0_4arch9wavefront6targetE1EEEvSG_
    .private_segment_fixed_size: 0
    .sgpr_count:     20
    .sgpr_spill_count: 0
    .symbol:         _ZN7rocprim17ROCPRIM_400000_NS6detail17trampoline_kernelINS0_14default_configENS1_35radix_sort_onesweep_config_selectorIiiEEZNS1_34radix_sort_onesweep_global_offsetsIS3_Lb1EN6thrust23THRUST_200600_302600_NS6detail15normal_iteratorINS8_10device_ptrIiEEEESD_jNS0_19identity_decomposerEEE10hipError_tT1_T2_PT3_SI_jT4_jjP12ihipStream_tbEUlT_E0_NS1_11comp_targetILNS1_3genE6ELNS1_11target_archE950ELNS1_3gpuE13ELNS1_3repE0EEENS1_52radix_sort_onesweep_histogram_config_static_selectorELNS0_4arch9wavefront6targetE1EEEvSG_.kd
    .uniform_work_group_size: 1
    .uses_dynamic_stack: false
    .vgpr_count:     7
    .vgpr_spill_count: 0
    .wavefront_size: 64
  - .agpr_count:     0
    .args:
      - .address_space:  global
        .offset:         0
        .size:           8
        .value_kind:     global_buffer
    .group_segment_fixed_size: 0
    .kernarg_segment_align: 8
    .kernarg_segment_size: 8
    .language:       OpenCL C
    .language_version:
      - 2
      - 0
    .max_flat_workgroup_size: 1024
    .name:           _ZN7rocprim17ROCPRIM_400000_NS6detail17trampoline_kernelINS0_14default_configENS1_35radix_sort_onesweep_config_selectorIiiEEZNS1_34radix_sort_onesweep_global_offsetsIS3_Lb1EN6thrust23THRUST_200600_302600_NS6detail15normal_iteratorINS8_10device_ptrIiEEEESD_jNS0_19identity_decomposerEEE10hipError_tT1_T2_PT3_SI_jT4_jjP12ihipStream_tbEUlT_E0_NS1_11comp_targetILNS1_3genE5ELNS1_11target_archE942ELNS1_3gpuE9ELNS1_3repE0EEENS1_52radix_sort_onesweep_histogram_config_static_selectorELNS0_4arch9wavefront6targetE1EEEvSG_
    .private_segment_fixed_size: 0
    .sgpr_count:     6
    .sgpr_spill_count: 0
    .symbol:         _ZN7rocprim17ROCPRIM_400000_NS6detail17trampoline_kernelINS0_14default_configENS1_35radix_sort_onesweep_config_selectorIiiEEZNS1_34radix_sort_onesweep_global_offsetsIS3_Lb1EN6thrust23THRUST_200600_302600_NS6detail15normal_iteratorINS8_10device_ptrIiEEEESD_jNS0_19identity_decomposerEEE10hipError_tT1_T2_PT3_SI_jT4_jjP12ihipStream_tbEUlT_E0_NS1_11comp_targetILNS1_3genE5ELNS1_11target_archE942ELNS1_3gpuE9ELNS1_3repE0EEENS1_52radix_sort_onesweep_histogram_config_static_selectorELNS0_4arch9wavefront6targetE1EEEvSG_.kd
    .uniform_work_group_size: 1
    .uses_dynamic_stack: false
    .vgpr_count:     0
    .vgpr_spill_count: 0
    .wavefront_size: 64
  - .agpr_count:     0
    .args:
      - .address_space:  global
        .offset:         0
        .size:           8
        .value_kind:     global_buffer
    .group_segment_fixed_size: 0
    .kernarg_segment_align: 8
    .kernarg_segment_size: 8
    .language:       OpenCL C
    .language_version:
      - 2
      - 0
    .max_flat_workgroup_size: 512
    .name:           _ZN7rocprim17ROCPRIM_400000_NS6detail17trampoline_kernelINS0_14default_configENS1_35radix_sort_onesweep_config_selectorIiiEEZNS1_34radix_sort_onesweep_global_offsetsIS3_Lb1EN6thrust23THRUST_200600_302600_NS6detail15normal_iteratorINS8_10device_ptrIiEEEESD_jNS0_19identity_decomposerEEE10hipError_tT1_T2_PT3_SI_jT4_jjP12ihipStream_tbEUlT_E0_NS1_11comp_targetILNS1_3genE2ELNS1_11target_archE906ELNS1_3gpuE6ELNS1_3repE0EEENS1_52radix_sort_onesweep_histogram_config_static_selectorELNS0_4arch9wavefront6targetE1EEEvSG_
    .private_segment_fixed_size: 0
    .sgpr_count:     6
    .sgpr_spill_count: 0
    .symbol:         _ZN7rocprim17ROCPRIM_400000_NS6detail17trampoline_kernelINS0_14default_configENS1_35radix_sort_onesweep_config_selectorIiiEEZNS1_34radix_sort_onesweep_global_offsetsIS3_Lb1EN6thrust23THRUST_200600_302600_NS6detail15normal_iteratorINS8_10device_ptrIiEEEESD_jNS0_19identity_decomposerEEE10hipError_tT1_T2_PT3_SI_jT4_jjP12ihipStream_tbEUlT_E0_NS1_11comp_targetILNS1_3genE2ELNS1_11target_archE906ELNS1_3gpuE6ELNS1_3repE0EEENS1_52radix_sort_onesweep_histogram_config_static_selectorELNS0_4arch9wavefront6targetE1EEEvSG_.kd
    .uniform_work_group_size: 1
    .uses_dynamic_stack: false
    .vgpr_count:     0
    .vgpr_spill_count: 0
    .wavefront_size: 64
  - .agpr_count:     0
    .args:
      - .address_space:  global
        .offset:         0
        .size:           8
        .value_kind:     global_buffer
    .group_segment_fixed_size: 0
    .kernarg_segment_align: 8
    .kernarg_segment_size: 8
    .language:       OpenCL C
    .language_version:
      - 2
      - 0
    .max_flat_workgroup_size: 512
    .name:           _ZN7rocprim17ROCPRIM_400000_NS6detail17trampoline_kernelINS0_14default_configENS1_35radix_sort_onesweep_config_selectorIiiEEZNS1_34radix_sort_onesweep_global_offsetsIS3_Lb1EN6thrust23THRUST_200600_302600_NS6detail15normal_iteratorINS8_10device_ptrIiEEEESD_jNS0_19identity_decomposerEEE10hipError_tT1_T2_PT3_SI_jT4_jjP12ihipStream_tbEUlT_E0_NS1_11comp_targetILNS1_3genE4ELNS1_11target_archE910ELNS1_3gpuE8ELNS1_3repE0EEENS1_52radix_sort_onesweep_histogram_config_static_selectorELNS0_4arch9wavefront6targetE1EEEvSG_
    .private_segment_fixed_size: 0
    .sgpr_count:     6
    .sgpr_spill_count: 0
    .symbol:         _ZN7rocprim17ROCPRIM_400000_NS6detail17trampoline_kernelINS0_14default_configENS1_35radix_sort_onesweep_config_selectorIiiEEZNS1_34radix_sort_onesweep_global_offsetsIS3_Lb1EN6thrust23THRUST_200600_302600_NS6detail15normal_iteratorINS8_10device_ptrIiEEEESD_jNS0_19identity_decomposerEEE10hipError_tT1_T2_PT3_SI_jT4_jjP12ihipStream_tbEUlT_E0_NS1_11comp_targetILNS1_3genE4ELNS1_11target_archE910ELNS1_3gpuE8ELNS1_3repE0EEENS1_52radix_sort_onesweep_histogram_config_static_selectorELNS0_4arch9wavefront6targetE1EEEvSG_.kd
    .uniform_work_group_size: 1
    .uses_dynamic_stack: false
    .vgpr_count:     0
    .vgpr_spill_count: 0
    .wavefront_size: 64
  - .agpr_count:     0
    .args:
      - .address_space:  global
        .offset:         0
        .size:           8
        .value_kind:     global_buffer
    .group_segment_fixed_size: 0
    .kernarg_segment_align: 8
    .kernarg_segment_size: 8
    .language:       OpenCL C
    .language_version:
      - 2
      - 0
    .max_flat_workgroup_size: 256
    .name:           _ZN7rocprim17ROCPRIM_400000_NS6detail17trampoline_kernelINS0_14default_configENS1_35radix_sort_onesweep_config_selectorIiiEEZNS1_34radix_sort_onesweep_global_offsetsIS3_Lb1EN6thrust23THRUST_200600_302600_NS6detail15normal_iteratorINS8_10device_ptrIiEEEESD_jNS0_19identity_decomposerEEE10hipError_tT1_T2_PT3_SI_jT4_jjP12ihipStream_tbEUlT_E0_NS1_11comp_targetILNS1_3genE3ELNS1_11target_archE908ELNS1_3gpuE7ELNS1_3repE0EEENS1_52radix_sort_onesweep_histogram_config_static_selectorELNS0_4arch9wavefront6targetE1EEEvSG_
    .private_segment_fixed_size: 0
    .sgpr_count:     6
    .sgpr_spill_count: 0
    .symbol:         _ZN7rocprim17ROCPRIM_400000_NS6detail17trampoline_kernelINS0_14default_configENS1_35radix_sort_onesweep_config_selectorIiiEEZNS1_34radix_sort_onesweep_global_offsetsIS3_Lb1EN6thrust23THRUST_200600_302600_NS6detail15normal_iteratorINS8_10device_ptrIiEEEESD_jNS0_19identity_decomposerEEE10hipError_tT1_T2_PT3_SI_jT4_jjP12ihipStream_tbEUlT_E0_NS1_11comp_targetILNS1_3genE3ELNS1_11target_archE908ELNS1_3gpuE7ELNS1_3repE0EEENS1_52radix_sort_onesweep_histogram_config_static_selectorELNS0_4arch9wavefront6targetE1EEEvSG_.kd
    .uniform_work_group_size: 1
    .uses_dynamic_stack: false
    .vgpr_count:     0
    .vgpr_spill_count: 0
    .wavefront_size: 64
  - .agpr_count:     0
    .args:
      - .address_space:  global
        .offset:         0
        .size:           8
        .value_kind:     global_buffer
    .group_segment_fixed_size: 0
    .kernarg_segment_align: 8
    .kernarg_segment_size: 8
    .language:       OpenCL C
    .language_version:
      - 2
      - 0
    .max_flat_workgroup_size: 1024
    .name:           _ZN7rocprim17ROCPRIM_400000_NS6detail17trampoline_kernelINS0_14default_configENS1_35radix_sort_onesweep_config_selectorIiiEEZNS1_34radix_sort_onesweep_global_offsetsIS3_Lb1EN6thrust23THRUST_200600_302600_NS6detail15normal_iteratorINS8_10device_ptrIiEEEESD_jNS0_19identity_decomposerEEE10hipError_tT1_T2_PT3_SI_jT4_jjP12ihipStream_tbEUlT_E0_NS1_11comp_targetILNS1_3genE10ELNS1_11target_archE1201ELNS1_3gpuE5ELNS1_3repE0EEENS1_52radix_sort_onesweep_histogram_config_static_selectorELNS0_4arch9wavefront6targetE1EEEvSG_
    .private_segment_fixed_size: 0
    .sgpr_count:     6
    .sgpr_spill_count: 0
    .symbol:         _ZN7rocprim17ROCPRIM_400000_NS6detail17trampoline_kernelINS0_14default_configENS1_35radix_sort_onesweep_config_selectorIiiEEZNS1_34radix_sort_onesweep_global_offsetsIS3_Lb1EN6thrust23THRUST_200600_302600_NS6detail15normal_iteratorINS8_10device_ptrIiEEEESD_jNS0_19identity_decomposerEEE10hipError_tT1_T2_PT3_SI_jT4_jjP12ihipStream_tbEUlT_E0_NS1_11comp_targetILNS1_3genE10ELNS1_11target_archE1201ELNS1_3gpuE5ELNS1_3repE0EEENS1_52radix_sort_onesweep_histogram_config_static_selectorELNS0_4arch9wavefront6targetE1EEEvSG_.kd
    .uniform_work_group_size: 1
    .uses_dynamic_stack: false
    .vgpr_count:     0
    .vgpr_spill_count: 0
    .wavefront_size: 64
  - .agpr_count:     0
    .args:
      - .address_space:  global
        .offset:         0
        .size:           8
        .value_kind:     global_buffer
    .group_segment_fixed_size: 0
    .kernarg_segment_align: 8
    .kernarg_segment_size: 8
    .language:       OpenCL C
    .language_version:
      - 2
      - 0
    .max_flat_workgroup_size: 1024
    .name:           _ZN7rocprim17ROCPRIM_400000_NS6detail17trampoline_kernelINS0_14default_configENS1_35radix_sort_onesweep_config_selectorIiiEEZNS1_34radix_sort_onesweep_global_offsetsIS3_Lb1EN6thrust23THRUST_200600_302600_NS6detail15normal_iteratorINS8_10device_ptrIiEEEESD_jNS0_19identity_decomposerEEE10hipError_tT1_T2_PT3_SI_jT4_jjP12ihipStream_tbEUlT_E0_NS1_11comp_targetILNS1_3genE9ELNS1_11target_archE1100ELNS1_3gpuE3ELNS1_3repE0EEENS1_52radix_sort_onesweep_histogram_config_static_selectorELNS0_4arch9wavefront6targetE1EEEvSG_
    .private_segment_fixed_size: 0
    .sgpr_count:     6
    .sgpr_spill_count: 0
    .symbol:         _ZN7rocprim17ROCPRIM_400000_NS6detail17trampoline_kernelINS0_14default_configENS1_35radix_sort_onesweep_config_selectorIiiEEZNS1_34radix_sort_onesweep_global_offsetsIS3_Lb1EN6thrust23THRUST_200600_302600_NS6detail15normal_iteratorINS8_10device_ptrIiEEEESD_jNS0_19identity_decomposerEEE10hipError_tT1_T2_PT3_SI_jT4_jjP12ihipStream_tbEUlT_E0_NS1_11comp_targetILNS1_3genE9ELNS1_11target_archE1100ELNS1_3gpuE3ELNS1_3repE0EEENS1_52radix_sort_onesweep_histogram_config_static_selectorELNS0_4arch9wavefront6targetE1EEEvSG_.kd
    .uniform_work_group_size: 1
    .uses_dynamic_stack: false
    .vgpr_count:     0
    .vgpr_spill_count: 0
    .wavefront_size: 64
  - .agpr_count:     0
    .args:
      - .address_space:  global
        .offset:         0
        .size:           8
        .value_kind:     global_buffer
    .group_segment_fixed_size: 0
    .kernarg_segment_align: 8
    .kernarg_segment_size: 8
    .language:       OpenCL C
    .language_version:
      - 2
      - 0
    .max_flat_workgroup_size: 1024
    .name:           _ZN7rocprim17ROCPRIM_400000_NS6detail17trampoline_kernelINS0_14default_configENS1_35radix_sort_onesweep_config_selectorIiiEEZNS1_34radix_sort_onesweep_global_offsetsIS3_Lb1EN6thrust23THRUST_200600_302600_NS6detail15normal_iteratorINS8_10device_ptrIiEEEESD_jNS0_19identity_decomposerEEE10hipError_tT1_T2_PT3_SI_jT4_jjP12ihipStream_tbEUlT_E0_NS1_11comp_targetILNS1_3genE8ELNS1_11target_archE1030ELNS1_3gpuE2ELNS1_3repE0EEENS1_52radix_sort_onesweep_histogram_config_static_selectorELNS0_4arch9wavefront6targetE1EEEvSG_
    .private_segment_fixed_size: 0
    .sgpr_count:     6
    .sgpr_spill_count: 0
    .symbol:         _ZN7rocprim17ROCPRIM_400000_NS6detail17trampoline_kernelINS0_14default_configENS1_35radix_sort_onesweep_config_selectorIiiEEZNS1_34radix_sort_onesweep_global_offsetsIS3_Lb1EN6thrust23THRUST_200600_302600_NS6detail15normal_iteratorINS8_10device_ptrIiEEEESD_jNS0_19identity_decomposerEEE10hipError_tT1_T2_PT3_SI_jT4_jjP12ihipStream_tbEUlT_E0_NS1_11comp_targetILNS1_3genE8ELNS1_11target_archE1030ELNS1_3gpuE2ELNS1_3repE0EEENS1_52radix_sort_onesweep_histogram_config_static_selectorELNS0_4arch9wavefront6targetE1EEEvSG_.kd
    .uniform_work_group_size: 1
    .uses_dynamic_stack: false
    .vgpr_count:     0
    .vgpr_spill_count: 0
    .wavefront_size: 64
  - .agpr_count:     0
    .args:
      - .offset:         0
        .size:           88
        .value_kind:     by_value
    .group_segment_fixed_size: 0
    .kernarg_segment_align: 8
    .kernarg_segment_size: 88
    .language:       OpenCL C
    .language_version:
      - 2
      - 0
    .max_flat_workgroup_size: 256
    .name:           _ZN7rocprim17ROCPRIM_400000_NS6detail17trampoline_kernelINS0_14default_configENS1_35radix_sort_onesweep_config_selectorIiiEEZZNS1_29radix_sort_onesweep_iterationIS3_Lb1EN6thrust23THRUST_200600_302600_NS6detail15normal_iteratorINS8_10device_ptrIiEEEESD_SD_SD_jNS0_19identity_decomposerENS1_16block_id_wrapperIjLb1EEEEE10hipError_tT1_PNSt15iterator_traitsISI_E10value_typeET2_T3_PNSJ_ISO_E10value_typeET4_T5_PST_SU_PNS1_23onesweep_lookback_stateEbbT6_jjT7_P12ihipStream_tbENKUlT_T0_SI_SN_E_clISD_SD_SD_SD_EEDaS11_S12_SI_SN_EUlS11_E_NS1_11comp_targetILNS1_3genE0ELNS1_11target_archE4294967295ELNS1_3gpuE0ELNS1_3repE0EEENS1_47radix_sort_onesweep_sort_config_static_selectorELNS0_4arch9wavefront6targetE1EEEvSI_
    .private_segment_fixed_size: 0
    .sgpr_count:     6
    .sgpr_spill_count: 0
    .symbol:         _ZN7rocprim17ROCPRIM_400000_NS6detail17trampoline_kernelINS0_14default_configENS1_35radix_sort_onesweep_config_selectorIiiEEZZNS1_29radix_sort_onesweep_iterationIS3_Lb1EN6thrust23THRUST_200600_302600_NS6detail15normal_iteratorINS8_10device_ptrIiEEEESD_SD_SD_jNS0_19identity_decomposerENS1_16block_id_wrapperIjLb1EEEEE10hipError_tT1_PNSt15iterator_traitsISI_E10value_typeET2_T3_PNSJ_ISO_E10value_typeET4_T5_PST_SU_PNS1_23onesweep_lookback_stateEbbT6_jjT7_P12ihipStream_tbENKUlT_T0_SI_SN_E_clISD_SD_SD_SD_EEDaS11_S12_SI_SN_EUlS11_E_NS1_11comp_targetILNS1_3genE0ELNS1_11target_archE4294967295ELNS1_3gpuE0ELNS1_3repE0EEENS1_47radix_sort_onesweep_sort_config_static_selectorELNS0_4arch9wavefront6targetE1EEEvSI_.kd
    .uniform_work_group_size: 1
    .uses_dynamic_stack: false
    .vgpr_count:     0
    .vgpr_spill_count: 0
    .wavefront_size: 64
  - .agpr_count:     0
    .args:
      - .offset:         0
        .size:           88
        .value_kind:     by_value
      - .offset:         88
        .size:           4
        .value_kind:     hidden_block_count_x
      - .offset:         92
        .size:           4
        .value_kind:     hidden_block_count_y
      - .offset:         96
        .size:           4
        .value_kind:     hidden_block_count_z
      - .offset:         100
        .size:           2
        .value_kind:     hidden_group_size_x
      - .offset:         102
        .size:           2
        .value_kind:     hidden_group_size_y
      - .offset:         104
        .size:           2
        .value_kind:     hidden_group_size_z
      - .offset:         106
        .size:           2
        .value_kind:     hidden_remainder_x
      - .offset:         108
        .size:           2
        .value_kind:     hidden_remainder_y
      - .offset:         110
        .size:           2
        .value_kind:     hidden_remainder_z
      - .offset:         128
        .size:           8
        .value_kind:     hidden_global_offset_x
      - .offset:         136
        .size:           8
        .value_kind:     hidden_global_offset_y
      - .offset:         144
        .size:           8
        .value_kind:     hidden_global_offset_z
      - .offset:         152
        .size:           2
        .value_kind:     hidden_grid_dims
    .group_segment_fixed_size: 20552
    .kernarg_segment_align: 8
    .kernarg_segment_size: 344
    .language:       OpenCL C
    .language_version:
      - 2
      - 0
    .max_flat_workgroup_size: 1024
    .name:           _ZN7rocprim17ROCPRIM_400000_NS6detail17trampoline_kernelINS0_14default_configENS1_35radix_sort_onesweep_config_selectorIiiEEZZNS1_29radix_sort_onesweep_iterationIS3_Lb1EN6thrust23THRUST_200600_302600_NS6detail15normal_iteratorINS8_10device_ptrIiEEEESD_SD_SD_jNS0_19identity_decomposerENS1_16block_id_wrapperIjLb1EEEEE10hipError_tT1_PNSt15iterator_traitsISI_E10value_typeET2_T3_PNSJ_ISO_E10value_typeET4_T5_PST_SU_PNS1_23onesweep_lookback_stateEbbT6_jjT7_P12ihipStream_tbENKUlT_T0_SI_SN_E_clISD_SD_SD_SD_EEDaS11_S12_SI_SN_EUlS11_E_NS1_11comp_targetILNS1_3genE6ELNS1_11target_archE950ELNS1_3gpuE13ELNS1_3repE0EEENS1_47radix_sort_onesweep_sort_config_static_selectorELNS0_4arch9wavefront6targetE1EEEvSI_
    .private_segment_fixed_size: 80
    .sgpr_count:     79
    .sgpr_spill_count: 0
    .symbol:         _ZN7rocprim17ROCPRIM_400000_NS6detail17trampoline_kernelINS0_14default_configENS1_35radix_sort_onesweep_config_selectorIiiEEZZNS1_29radix_sort_onesweep_iterationIS3_Lb1EN6thrust23THRUST_200600_302600_NS6detail15normal_iteratorINS8_10device_ptrIiEEEESD_SD_SD_jNS0_19identity_decomposerENS1_16block_id_wrapperIjLb1EEEEE10hipError_tT1_PNSt15iterator_traitsISI_E10value_typeET2_T3_PNSJ_ISO_E10value_typeET4_T5_PST_SU_PNS1_23onesweep_lookback_stateEbbT6_jjT7_P12ihipStream_tbENKUlT_T0_SI_SN_E_clISD_SD_SD_SD_EEDaS11_S12_SI_SN_EUlS11_E_NS1_11comp_targetILNS1_3genE6ELNS1_11target_archE950ELNS1_3gpuE13ELNS1_3repE0EEENS1_47radix_sort_onesweep_sort_config_static_selectorELNS0_4arch9wavefront6targetE1EEEvSI_.kd
    .uniform_work_group_size: 1
    .uses_dynamic_stack: false
    .vgpr_count:     89
    .vgpr_spill_count: 0
    .wavefront_size: 64
  - .agpr_count:     0
    .args:
      - .offset:         0
        .size:           88
        .value_kind:     by_value
    .group_segment_fixed_size: 0
    .kernarg_segment_align: 8
    .kernarg_segment_size: 88
    .language:       OpenCL C
    .language_version:
      - 2
      - 0
    .max_flat_workgroup_size: 1024
    .name:           _ZN7rocprim17ROCPRIM_400000_NS6detail17trampoline_kernelINS0_14default_configENS1_35radix_sort_onesweep_config_selectorIiiEEZZNS1_29radix_sort_onesweep_iterationIS3_Lb1EN6thrust23THRUST_200600_302600_NS6detail15normal_iteratorINS8_10device_ptrIiEEEESD_SD_SD_jNS0_19identity_decomposerENS1_16block_id_wrapperIjLb1EEEEE10hipError_tT1_PNSt15iterator_traitsISI_E10value_typeET2_T3_PNSJ_ISO_E10value_typeET4_T5_PST_SU_PNS1_23onesweep_lookback_stateEbbT6_jjT7_P12ihipStream_tbENKUlT_T0_SI_SN_E_clISD_SD_SD_SD_EEDaS11_S12_SI_SN_EUlS11_E_NS1_11comp_targetILNS1_3genE5ELNS1_11target_archE942ELNS1_3gpuE9ELNS1_3repE0EEENS1_47radix_sort_onesweep_sort_config_static_selectorELNS0_4arch9wavefront6targetE1EEEvSI_
    .private_segment_fixed_size: 0
    .sgpr_count:     6
    .sgpr_spill_count: 0
    .symbol:         _ZN7rocprim17ROCPRIM_400000_NS6detail17trampoline_kernelINS0_14default_configENS1_35radix_sort_onesweep_config_selectorIiiEEZZNS1_29radix_sort_onesweep_iterationIS3_Lb1EN6thrust23THRUST_200600_302600_NS6detail15normal_iteratorINS8_10device_ptrIiEEEESD_SD_SD_jNS0_19identity_decomposerENS1_16block_id_wrapperIjLb1EEEEE10hipError_tT1_PNSt15iterator_traitsISI_E10value_typeET2_T3_PNSJ_ISO_E10value_typeET4_T5_PST_SU_PNS1_23onesweep_lookback_stateEbbT6_jjT7_P12ihipStream_tbENKUlT_T0_SI_SN_E_clISD_SD_SD_SD_EEDaS11_S12_SI_SN_EUlS11_E_NS1_11comp_targetILNS1_3genE5ELNS1_11target_archE942ELNS1_3gpuE9ELNS1_3repE0EEENS1_47radix_sort_onesweep_sort_config_static_selectorELNS0_4arch9wavefront6targetE1EEEvSI_.kd
    .uniform_work_group_size: 1
    .uses_dynamic_stack: false
    .vgpr_count:     0
    .vgpr_spill_count: 0
    .wavefront_size: 64
  - .agpr_count:     0
    .args:
      - .offset:         0
        .size:           88
        .value_kind:     by_value
    .group_segment_fixed_size: 0
    .kernarg_segment_align: 8
    .kernarg_segment_size: 88
    .language:       OpenCL C
    .language_version:
      - 2
      - 0
    .max_flat_workgroup_size: 512
    .name:           _ZN7rocprim17ROCPRIM_400000_NS6detail17trampoline_kernelINS0_14default_configENS1_35radix_sort_onesweep_config_selectorIiiEEZZNS1_29radix_sort_onesweep_iterationIS3_Lb1EN6thrust23THRUST_200600_302600_NS6detail15normal_iteratorINS8_10device_ptrIiEEEESD_SD_SD_jNS0_19identity_decomposerENS1_16block_id_wrapperIjLb1EEEEE10hipError_tT1_PNSt15iterator_traitsISI_E10value_typeET2_T3_PNSJ_ISO_E10value_typeET4_T5_PST_SU_PNS1_23onesweep_lookback_stateEbbT6_jjT7_P12ihipStream_tbENKUlT_T0_SI_SN_E_clISD_SD_SD_SD_EEDaS11_S12_SI_SN_EUlS11_E_NS1_11comp_targetILNS1_3genE2ELNS1_11target_archE906ELNS1_3gpuE6ELNS1_3repE0EEENS1_47radix_sort_onesweep_sort_config_static_selectorELNS0_4arch9wavefront6targetE1EEEvSI_
    .private_segment_fixed_size: 0
    .sgpr_count:     6
    .sgpr_spill_count: 0
    .symbol:         _ZN7rocprim17ROCPRIM_400000_NS6detail17trampoline_kernelINS0_14default_configENS1_35radix_sort_onesweep_config_selectorIiiEEZZNS1_29radix_sort_onesweep_iterationIS3_Lb1EN6thrust23THRUST_200600_302600_NS6detail15normal_iteratorINS8_10device_ptrIiEEEESD_SD_SD_jNS0_19identity_decomposerENS1_16block_id_wrapperIjLb1EEEEE10hipError_tT1_PNSt15iterator_traitsISI_E10value_typeET2_T3_PNSJ_ISO_E10value_typeET4_T5_PST_SU_PNS1_23onesweep_lookback_stateEbbT6_jjT7_P12ihipStream_tbENKUlT_T0_SI_SN_E_clISD_SD_SD_SD_EEDaS11_S12_SI_SN_EUlS11_E_NS1_11comp_targetILNS1_3genE2ELNS1_11target_archE906ELNS1_3gpuE6ELNS1_3repE0EEENS1_47radix_sort_onesweep_sort_config_static_selectorELNS0_4arch9wavefront6targetE1EEEvSI_.kd
    .uniform_work_group_size: 1
    .uses_dynamic_stack: false
    .vgpr_count:     0
    .vgpr_spill_count: 0
    .wavefront_size: 64
  - .agpr_count:     0
    .args:
      - .offset:         0
        .size:           88
        .value_kind:     by_value
    .group_segment_fixed_size: 0
    .kernarg_segment_align: 8
    .kernarg_segment_size: 88
    .language:       OpenCL C
    .language_version:
      - 2
      - 0
    .max_flat_workgroup_size: 512
    .name:           _ZN7rocprim17ROCPRIM_400000_NS6detail17trampoline_kernelINS0_14default_configENS1_35radix_sort_onesweep_config_selectorIiiEEZZNS1_29radix_sort_onesweep_iterationIS3_Lb1EN6thrust23THRUST_200600_302600_NS6detail15normal_iteratorINS8_10device_ptrIiEEEESD_SD_SD_jNS0_19identity_decomposerENS1_16block_id_wrapperIjLb1EEEEE10hipError_tT1_PNSt15iterator_traitsISI_E10value_typeET2_T3_PNSJ_ISO_E10value_typeET4_T5_PST_SU_PNS1_23onesweep_lookback_stateEbbT6_jjT7_P12ihipStream_tbENKUlT_T0_SI_SN_E_clISD_SD_SD_SD_EEDaS11_S12_SI_SN_EUlS11_E_NS1_11comp_targetILNS1_3genE4ELNS1_11target_archE910ELNS1_3gpuE8ELNS1_3repE0EEENS1_47radix_sort_onesweep_sort_config_static_selectorELNS0_4arch9wavefront6targetE1EEEvSI_
    .private_segment_fixed_size: 0
    .sgpr_count:     6
    .sgpr_spill_count: 0
    .symbol:         _ZN7rocprim17ROCPRIM_400000_NS6detail17trampoline_kernelINS0_14default_configENS1_35radix_sort_onesweep_config_selectorIiiEEZZNS1_29radix_sort_onesweep_iterationIS3_Lb1EN6thrust23THRUST_200600_302600_NS6detail15normal_iteratorINS8_10device_ptrIiEEEESD_SD_SD_jNS0_19identity_decomposerENS1_16block_id_wrapperIjLb1EEEEE10hipError_tT1_PNSt15iterator_traitsISI_E10value_typeET2_T3_PNSJ_ISO_E10value_typeET4_T5_PST_SU_PNS1_23onesweep_lookback_stateEbbT6_jjT7_P12ihipStream_tbENKUlT_T0_SI_SN_E_clISD_SD_SD_SD_EEDaS11_S12_SI_SN_EUlS11_E_NS1_11comp_targetILNS1_3genE4ELNS1_11target_archE910ELNS1_3gpuE8ELNS1_3repE0EEENS1_47radix_sort_onesweep_sort_config_static_selectorELNS0_4arch9wavefront6targetE1EEEvSI_.kd
    .uniform_work_group_size: 1
    .uses_dynamic_stack: false
    .vgpr_count:     0
    .vgpr_spill_count: 0
    .wavefront_size: 64
  - .agpr_count:     0
    .args:
      - .offset:         0
        .size:           88
        .value_kind:     by_value
    .group_segment_fixed_size: 0
    .kernarg_segment_align: 8
    .kernarg_segment_size: 88
    .language:       OpenCL C
    .language_version:
      - 2
      - 0
    .max_flat_workgroup_size: 256
    .name:           _ZN7rocprim17ROCPRIM_400000_NS6detail17trampoline_kernelINS0_14default_configENS1_35radix_sort_onesweep_config_selectorIiiEEZZNS1_29radix_sort_onesweep_iterationIS3_Lb1EN6thrust23THRUST_200600_302600_NS6detail15normal_iteratorINS8_10device_ptrIiEEEESD_SD_SD_jNS0_19identity_decomposerENS1_16block_id_wrapperIjLb1EEEEE10hipError_tT1_PNSt15iterator_traitsISI_E10value_typeET2_T3_PNSJ_ISO_E10value_typeET4_T5_PST_SU_PNS1_23onesweep_lookback_stateEbbT6_jjT7_P12ihipStream_tbENKUlT_T0_SI_SN_E_clISD_SD_SD_SD_EEDaS11_S12_SI_SN_EUlS11_E_NS1_11comp_targetILNS1_3genE3ELNS1_11target_archE908ELNS1_3gpuE7ELNS1_3repE0EEENS1_47radix_sort_onesweep_sort_config_static_selectorELNS0_4arch9wavefront6targetE1EEEvSI_
    .private_segment_fixed_size: 0
    .sgpr_count:     6
    .sgpr_spill_count: 0
    .symbol:         _ZN7rocprim17ROCPRIM_400000_NS6detail17trampoline_kernelINS0_14default_configENS1_35radix_sort_onesweep_config_selectorIiiEEZZNS1_29radix_sort_onesweep_iterationIS3_Lb1EN6thrust23THRUST_200600_302600_NS6detail15normal_iteratorINS8_10device_ptrIiEEEESD_SD_SD_jNS0_19identity_decomposerENS1_16block_id_wrapperIjLb1EEEEE10hipError_tT1_PNSt15iterator_traitsISI_E10value_typeET2_T3_PNSJ_ISO_E10value_typeET4_T5_PST_SU_PNS1_23onesweep_lookback_stateEbbT6_jjT7_P12ihipStream_tbENKUlT_T0_SI_SN_E_clISD_SD_SD_SD_EEDaS11_S12_SI_SN_EUlS11_E_NS1_11comp_targetILNS1_3genE3ELNS1_11target_archE908ELNS1_3gpuE7ELNS1_3repE0EEENS1_47radix_sort_onesweep_sort_config_static_selectorELNS0_4arch9wavefront6targetE1EEEvSI_.kd
    .uniform_work_group_size: 1
    .uses_dynamic_stack: false
    .vgpr_count:     0
    .vgpr_spill_count: 0
    .wavefront_size: 64
  - .agpr_count:     0
    .args:
      - .offset:         0
        .size:           88
        .value_kind:     by_value
    .group_segment_fixed_size: 0
    .kernarg_segment_align: 8
    .kernarg_segment_size: 88
    .language:       OpenCL C
    .language_version:
      - 2
      - 0
    .max_flat_workgroup_size: 1024
    .name:           _ZN7rocprim17ROCPRIM_400000_NS6detail17trampoline_kernelINS0_14default_configENS1_35radix_sort_onesweep_config_selectorIiiEEZZNS1_29radix_sort_onesweep_iterationIS3_Lb1EN6thrust23THRUST_200600_302600_NS6detail15normal_iteratorINS8_10device_ptrIiEEEESD_SD_SD_jNS0_19identity_decomposerENS1_16block_id_wrapperIjLb1EEEEE10hipError_tT1_PNSt15iterator_traitsISI_E10value_typeET2_T3_PNSJ_ISO_E10value_typeET4_T5_PST_SU_PNS1_23onesweep_lookback_stateEbbT6_jjT7_P12ihipStream_tbENKUlT_T0_SI_SN_E_clISD_SD_SD_SD_EEDaS11_S12_SI_SN_EUlS11_E_NS1_11comp_targetILNS1_3genE10ELNS1_11target_archE1201ELNS1_3gpuE5ELNS1_3repE0EEENS1_47radix_sort_onesweep_sort_config_static_selectorELNS0_4arch9wavefront6targetE1EEEvSI_
    .private_segment_fixed_size: 0
    .sgpr_count:     6
    .sgpr_spill_count: 0
    .symbol:         _ZN7rocprim17ROCPRIM_400000_NS6detail17trampoline_kernelINS0_14default_configENS1_35radix_sort_onesweep_config_selectorIiiEEZZNS1_29radix_sort_onesweep_iterationIS3_Lb1EN6thrust23THRUST_200600_302600_NS6detail15normal_iteratorINS8_10device_ptrIiEEEESD_SD_SD_jNS0_19identity_decomposerENS1_16block_id_wrapperIjLb1EEEEE10hipError_tT1_PNSt15iterator_traitsISI_E10value_typeET2_T3_PNSJ_ISO_E10value_typeET4_T5_PST_SU_PNS1_23onesweep_lookback_stateEbbT6_jjT7_P12ihipStream_tbENKUlT_T0_SI_SN_E_clISD_SD_SD_SD_EEDaS11_S12_SI_SN_EUlS11_E_NS1_11comp_targetILNS1_3genE10ELNS1_11target_archE1201ELNS1_3gpuE5ELNS1_3repE0EEENS1_47radix_sort_onesweep_sort_config_static_selectorELNS0_4arch9wavefront6targetE1EEEvSI_.kd
    .uniform_work_group_size: 1
    .uses_dynamic_stack: false
    .vgpr_count:     0
    .vgpr_spill_count: 0
    .wavefront_size: 64
  - .agpr_count:     0
    .args:
      - .offset:         0
        .size:           88
        .value_kind:     by_value
    .group_segment_fixed_size: 0
    .kernarg_segment_align: 8
    .kernarg_segment_size: 88
    .language:       OpenCL C
    .language_version:
      - 2
      - 0
    .max_flat_workgroup_size: 1024
    .name:           _ZN7rocprim17ROCPRIM_400000_NS6detail17trampoline_kernelINS0_14default_configENS1_35radix_sort_onesweep_config_selectorIiiEEZZNS1_29radix_sort_onesweep_iterationIS3_Lb1EN6thrust23THRUST_200600_302600_NS6detail15normal_iteratorINS8_10device_ptrIiEEEESD_SD_SD_jNS0_19identity_decomposerENS1_16block_id_wrapperIjLb1EEEEE10hipError_tT1_PNSt15iterator_traitsISI_E10value_typeET2_T3_PNSJ_ISO_E10value_typeET4_T5_PST_SU_PNS1_23onesweep_lookback_stateEbbT6_jjT7_P12ihipStream_tbENKUlT_T0_SI_SN_E_clISD_SD_SD_SD_EEDaS11_S12_SI_SN_EUlS11_E_NS1_11comp_targetILNS1_3genE9ELNS1_11target_archE1100ELNS1_3gpuE3ELNS1_3repE0EEENS1_47radix_sort_onesweep_sort_config_static_selectorELNS0_4arch9wavefront6targetE1EEEvSI_
    .private_segment_fixed_size: 0
    .sgpr_count:     6
    .sgpr_spill_count: 0
    .symbol:         _ZN7rocprim17ROCPRIM_400000_NS6detail17trampoline_kernelINS0_14default_configENS1_35radix_sort_onesweep_config_selectorIiiEEZZNS1_29radix_sort_onesweep_iterationIS3_Lb1EN6thrust23THRUST_200600_302600_NS6detail15normal_iteratorINS8_10device_ptrIiEEEESD_SD_SD_jNS0_19identity_decomposerENS1_16block_id_wrapperIjLb1EEEEE10hipError_tT1_PNSt15iterator_traitsISI_E10value_typeET2_T3_PNSJ_ISO_E10value_typeET4_T5_PST_SU_PNS1_23onesweep_lookback_stateEbbT6_jjT7_P12ihipStream_tbENKUlT_T0_SI_SN_E_clISD_SD_SD_SD_EEDaS11_S12_SI_SN_EUlS11_E_NS1_11comp_targetILNS1_3genE9ELNS1_11target_archE1100ELNS1_3gpuE3ELNS1_3repE0EEENS1_47radix_sort_onesweep_sort_config_static_selectorELNS0_4arch9wavefront6targetE1EEEvSI_.kd
    .uniform_work_group_size: 1
    .uses_dynamic_stack: false
    .vgpr_count:     0
    .vgpr_spill_count: 0
    .wavefront_size: 64
  - .agpr_count:     0
    .args:
      - .offset:         0
        .size:           88
        .value_kind:     by_value
    .group_segment_fixed_size: 0
    .kernarg_segment_align: 8
    .kernarg_segment_size: 88
    .language:       OpenCL C
    .language_version:
      - 2
      - 0
    .max_flat_workgroup_size: 1024
    .name:           _ZN7rocprim17ROCPRIM_400000_NS6detail17trampoline_kernelINS0_14default_configENS1_35radix_sort_onesweep_config_selectorIiiEEZZNS1_29radix_sort_onesweep_iterationIS3_Lb1EN6thrust23THRUST_200600_302600_NS6detail15normal_iteratorINS8_10device_ptrIiEEEESD_SD_SD_jNS0_19identity_decomposerENS1_16block_id_wrapperIjLb1EEEEE10hipError_tT1_PNSt15iterator_traitsISI_E10value_typeET2_T3_PNSJ_ISO_E10value_typeET4_T5_PST_SU_PNS1_23onesweep_lookback_stateEbbT6_jjT7_P12ihipStream_tbENKUlT_T0_SI_SN_E_clISD_SD_SD_SD_EEDaS11_S12_SI_SN_EUlS11_E_NS1_11comp_targetILNS1_3genE8ELNS1_11target_archE1030ELNS1_3gpuE2ELNS1_3repE0EEENS1_47radix_sort_onesweep_sort_config_static_selectorELNS0_4arch9wavefront6targetE1EEEvSI_
    .private_segment_fixed_size: 0
    .sgpr_count:     6
    .sgpr_spill_count: 0
    .symbol:         _ZN7rocprim17ROCPRIM_400000_NS6detail17trampoline_kernelINS0_14default_configENS1_35radix_sort_onesweep_config_selectorIiiEEZZNS1_29radix_sort_onesweep_iterationIS3_Lb1EN6thrust23THRUST_200600_302600_NS6detail15normal_iteratorINS8_10device_ptrIiEEEESD_SD_SD_jNS0_19identity_decomposerENS1_16block_id_wrapperIjLb1EEEEE10hipError_tT1_PNSt15iterator_traitsISI_E10value_typeET2_T3_PNSJ_ISO_E10value_typeET4_T5_PST_SU_PNS1_23onesweep_lookback_stateEbbT6_jjT7_P12ihipStream_tbENKUlT_T0_SI_SN_E_clISD_SD_SD_SD_EEDaS11_S12_SI_SN_EUlS11_E_NS1_11comp_targetILNS1_3genE8ELNS1_11target_archE1030ELNS1_3gpuE2ELNS1_3repE0EEENS1_47radix_sort_onesweep_sort_config_static_selectorELNS0_4arch9wavefront6targetE1EEEvSI_.kd
    .uniform_work_group_size: 1
    .uses_dynamic_stack: false
    .vgpr_count:     0
    .vgpr_spill_count: 0
    .wavefront_size: 64
  - .agpr_count:     0
    .args:
      - .offset:         0
        .size:           88
        .value_kind:     by_value
    .group_segment_fixed_size: 0
    .kernarg_segment_align: 8
    .kernarg_segment_size: 88
    .language:       OpenCL C
    .language_version:
      - 2
      - 0
    .max_flat_workgroup_size: 256
    .name:           _ZN7rocprim17ROCPRIM_400000_NS6detail17trampoline_kernelINS0_14default_configENS1_35radix_sort_onesweep_config_selectorIiiEEZZNS1_29radix_sort_onesweep_iterationIS3_Lb1EN6thrust23THRUST_200600_302600_NS6detail15normal_iteratorINS8_10device_ptrIiEEEESD_SD_SD_jNS0_19identity_decomposerENS1_16block_id_wrapperIjLb1EEEEE10hipError_tT1_PNSt15iterator_traitsISI_E10value_typeET2_T3_PNSJ_ISO_E10value_typeET4_T5_PST_SU_PNS1_23onesweep_lookback_stateEbbT6_jjT7_P12ihipStream_tbENKUlT_T0_SI_SN_E_clISD_PiSD_S15_EEDaS11_S12_SI_SN_EUlS11_E_NS1_11comp_targetILNS1_3genE0ELNS1_11target_archE4294967295ELNS1_3gpuE0ELNS1_3repE0EEENS1_47radix_sort_onesweep_sort_config_static_selectorELNS0_4arch9wavefront6targetE1EEEvSI_
    .private_segment_fixed_size: 0
    .sgpr_count:     6
    .sgpr_spill_count: 0
    .symbol:         _ZN7rocprim17ROCPRIM_400000_NS6detail17trampoline_kernelINS0_14default_configENS1_35radix_sort_onesweep_config_selectorIiiEEZZNS1_29radix_sort_onesweep_iterationIS3_Lb1EN6thrust23THRUST_200600_302600_NS6detail15normal_iteratorINS8_10device_ptrIiEEEESD_SD_SD_jNS0_19identity_decomposerENS1_16block_id_wrapperIjLb1EEEEE10hipError_tT1_PNSt15iterator_traitsISI_E10value_typeET2_T3_PNSJ_ISO_E10value_typeET4_T5_PST_SU_PNS1_23onesweep_lookback_stateEbbT6_jjT7_P12ihipStream_tbENKUlT_T0_SI_SN_E_clISD_PiSD_S15_EEDaS11_S12_SI_SN_EUlS11_E_NS1_11comp_targetILNS1_3genE0ELNS1_11target_archE4294967295ELNS1_3gpuE0ELNS1_3repE0EEENS1_47radix_sort_onesweep_sort_config_static_selectorELNS0_4arch9wavefront6targetE1EEEvSI_.kd
    .uniform_work_group_size: 1
    .uses_dynamic_stack: false
    .vgpr_count:     0
    .vgpr_spill_count: 0
    .wavefront_size: 64
  - .agpr_count:     0
    .args:
      - .offset:         0
        .size:           88
        .value_kind:     by_value
      - .offset:         88
        .size:           4
        .value_kind:     hidden_block_count_x
      - .offset:         92
        .size:           4
        .value_kind:     hidden_block_count_y
      - .offset:         96
        .size:           4
        .value_kind:     hidden_block_count_z
      - .offset:         100
        .size:           2
        .value_kind:     hidden_group_size_x
      - .offset:         102
        .size:           2
        .value_kind:     hidden_group_size_y
      - .offset:         104
        .size:           2
        .value_kind:     hidden_group_size_z
      - .offset:         106
        .size:           2
        .value_kind:     hidden_remainder_x
      - .offset:         108
        .size:           2
        .value_kind:     hidden_remainder_y
      - .offset:         110
        .size:           2
        .value_kind:     hidden_remainder_z
      - .offset:         128
        .size:           8
        .value_kind:     hidden_global_offset_x
      - .offset:         136
        .size:           8
        .value_kind:     hidden_global_offset_y
      - .offset:         144
        .size:           8
        .value_kind:     hidden_global_offset_z
      - .offset:         152
        .size:           2
        .value_kind:     hidden_grid_dims
    .group_segment_fixed_size: 20552
    .kernarg_segment_align: 8
    .kernarg_segment_size: 344
    .language:       OpenCL C
    .language_version:
      - 2
      - 0
    .max_flat_workgroup_size: 1024
    .name:           _ZN7rocprim17ROCPRIM_400000_NS6detail17trampoline_kernelINS0_14default_configENS1_35radix_sort_onesweep_config_selectorIiiEEZZNS1_29radix_sort_onesweep_iterationIS3_Lb1EN6thrust23THRUST_200600_302600_NS6detail15normal_iteratorINS8_10device_ptrIiEEEESD_SD_SD_jNS0_19identity_decomposerENS1_16block_id_wrapperIjLb1EEEEE10hipError_tT1_PNSt15iterator_traitsISI_E10value_typeET2_T3_PNSJ_ISO_E10value_typeET4_T5_PST_SU_PNS1_23onesweep_lookback_stateEbbT6_jjT7_P12ihipStream_tbENKUlT_T0_SI_SN_E_clISD_PiSD_S15_EEDaS11_S12_SI_SN_EUlS11_E_NS1_11comp_targetILNS1_3genE6ELNS1_11target_archE950ELNS1_3gpuE13ELNS1_3repE0EEENS1_47radix_sort_onesweep_sort_config_static_selectorELNS0_4arch9wavefront6targetE1EEEvSI_
    .private_segment_fixed_size: 80
    .sgpr_count:     79
    .sgpr_spill_count: 0
    .symbol:         _ZN7rocprim17ROCPRIM_400000_NS6detail17trampoline_kernelINS0_14default_configENS1_35radix_sort_onesweep_config_selectorIiiEEZZNS1_29radix_sort_onesweep_iterationIS3_Lb1EN6thrust23THRUST_200600_302600_NS6detail15normal_iteratorINS8_10device_ptrIiEEEESD_SD_SD_jNS0_19identity_decomposerENS1_16block_id_wrapperIjLb1EEEEE10hipError_tT1_PNSt15iterator_traitsISI_E10value_typeET2_T3_PNSJ_ISO_E10value_typeET4_T5_PST_SU_PNS1_23onesweep_lookback_stateEbbT6_jjT7_P12ihipStream_tbENKUlT_T0_SI_SN_E_clISD_PiSD_S15_EEDaS11_S12_SI_SN_EUlS11_E_NS1_11comp_targetILNS1_3genE6ELNS1_11target_archE950ELNS1_3gpuE13ELNS1_3repE0EEENS1_47radix_sort_onesweep_sort_config_static_selectorELNS0_4arch9wavefront6targetE1EEEvSI_.kd
    .uniform_work_group_size: 1
    .uses_dynamic_stack: false
    .vgpr_count:     89
    .vgpr_spill_count: 0
    .wavefront_size: 64
  - .agpr_count:     0
    .args:
      - .offset:         0
        .size:           88
        .value_kind:     by_value
    .group_segment_fixed_size: 0
    .kernarg_segment_align: 8
    .kernarg_segment_size: 88
    .language:       OpenCL C
    .language_version:
      - 2
      - 0
    .max_flat_workgroup_size: 1024
    .name:           _ZN7rocprim17ROCPRIM_400000_NS6detail17trampoline_kernelINS0_14default_configENS1_35radix_sort_onesweep_config_selectorIiiEEZZNS1_29radix_sort_onesweep_iterationIS3_Lb1EN6thrust23THRUST_200600_302600_NS6detail15normal_iteratorINS8_10device_ptrIiEEEESD_SD_SD_jNS0_19identity_decomposerENS1_16block_id_wrapperIjLb1EEEEE10hipError_tT1_PNSt15iterator_traitsISI_E10value_typeET2_T3_PNSJ_ISO_E10value_typeET4_T5_PST_SU_PNS1_23onesweep_lookback_stateEbbT6_jjT7_P12ihipStream_tbENKUlT_T0_SI_SN_E_clISD_PiSD_S15_EEDaS11_S12_SI_SN_EUlS11_E_NS1_11comp_targetILNS1_3genE5ELNS1_11target_archE942ELNS1_3gpuE9ELNS1_3repE0EEENS1_47radix_sort_onesweep_sort_config_static_selectorELNS0_4arch9wavefront6targetE1EEEvSI_
    .private_segment_fixed_size: 0
    .sgpr_count:     6
    .sgpr_spill_count: 0
    .symbol:         _ZN7rocprim17ROCPRIM_400000_NS6detail17trampoline_kernelINS0_14default_configENS1_35radix_sort_onesweep_config_selectorIiiEEZZNS1_29radix_sort_onesweep_iterationIS3_Lb1EN6thrust23THRUST_200600_302600_NS6detail15normal_iteratorINS8_10device_ptrIiEEEESD_SD_SD_jNS0_19identity_decomposerENS1_16block_id_wrapperIjLb1EEEEE10hipError_tT1_PNSt15iterator_traitsISI_E10value_typeET2_T3_PNSJ_ISO_E10value_typeET4_T5_PST_SU_PNS1_23onesweep_lookback_stateEbbT6_jjT7_P12ihipStream_tbENKUlT_T0_SI_SN_E_clISD_PiSD_S15_EEDaS11_S12_SI_SN_EUlS11_E_NS1_11comp_targetILNS1_3genE5ELNS1_11target_archE942ELNS1_3gpuE9ELNS1_3repE0EEENS1_47radix_sort_onesweep_sort_config_static_selectorELNS0_4arch9wavefront6targetE1EEEvSI_.kd
    .uniform_work_group_size: 1
    .uses_dynamic_stack: false
    .vgpr_count:     0
    .vgpr_spill_count: 0
    .wavefront_size: 64
  - .agpr_count:     0
    .args:
      - .offset:         0
        .size:           88
        .value_kind:     by_value
    .group_segment_fixed_size: 0
    .kernarg_segment_align: 8
    .kernarg_segment_size: 88
    .language:       OpenCL C
    .language_version:
      - 2
      - 0
    .max_flat_workgroup_size: 512
    .name:           _ZN7rocprim17ROCPRIM_400000_NS6detail17trampoline_kernelINS0_14default_configENS1_35radix_sort_onesweep_config_selectorIiiEEZZNS1_29radix_sort_onesweep_iterationIS3_Lb1EN6thrust23THRUST_200600_302600_NS6detail15normal_iteratorINS8_10device_ptrIiEEEESD_SD_SD_jNS0_19identity_decomposerENS1_16block_id_wrapperIjLb1EEEEE10hipError_tT1_PNSt15iterator_traitsISI_E10value_typeET2_T3_PNSJ_ISO_E10value_typeET4_T5_PST_SU_PNS1_23onesweep_lookback_stateEbbT6_jjT7_P12ihipStream_tbENKUlT_T0_SI_SN_E_clISD_PiSD_S15_EEDaS11_S12_SI_SN_EUlS11_E_NS1_11comp_targetILNS1_3genE2ELNS1_11target_archE906ELNS1_3gpuE6ELNS1_3repE0EEENS1_47radix_sort_onesweep_sort_config_static_selectorELNS0_4arch9wavefront6targetE1EEEvSI_
    .private_segment_fixed_size: 0
    .sgpr_count:     6
    .sgpr_spill_count: 0
    .symbol:         _ZN7rocprim17ROCPRIM_400000_NS6detail17trampoline_kernelINS0_14default_configENS1_35radix_sort_onesweep_config_selectorIiiEEZZNS1_29radix_sort_onesweep_iterationIS3_Lb1EN6thrust23THRUST_200600_302600_NS6detail15normal_iteratorINS8_10device_ptrIiEEEESD_SD_SD_jNS0_19identity_decomposerENS1_16block_id_wrapperIjLb1EEEEE10hipError_tT1_PNSt15iterator_traitsISI_E10value_typeET2_T3_PNSJ_ISO_E10value_typeET4_T5_PST_SU_PNS1_23onesweep_lookback_stateEbbT6_jjT7_P12ihipStream_tbENKUlT_T0_SI_SN_E_clISD_PiSD_S15_EEDaS11_S12_SI_SN_EUlS11_E_NS1_11comp_targetILNS1_3genE2ELNS1_11target_archE906ELNS1_3gpuE6ELNS1_3repE0EEENS1_47radix_sort_onesweep_sort_config_static_selectorELNS0_4arch9wavefront6targetE1EEEvSI_.kd
    .uniform_work_group_size: 1
    .uses_dynamic_stack: false
    .vgpr_count:     0
    .vgpr_spill_count: 0
    .wavefront_size: 64
  - .agpr_count:     0
    .args:
      - .offset:         0
        .size:           88
        .value_kind:     by_value
    .group_segment_fixed_size: 0
    .kernarg_segment_align: 8
    .kernarg_segment_size: 88
    .language:       OpenCL C
    .language_version:
      - 2
      - 0
    .max_flat_workgroup_size: 512
    .name:           _ZN7rocprim17ROCPRIM_400000_NS6detail17trampoline_kernelINS0_14default_configENS1_35radix_sort_onesweep_config_selectorIiiEEZZNS1_29radix_sort_onesweep_iterationIS3_Lb1EN6thrust23THRUST_200600_302600_NS6detail15normal_iteratorINS8_10device_ptrIiEEEESD_SD_SD_jNS0_19identity_decomposerENS1_16block_id_wrapperIjLb1EEEEE10hipError_tT1_PNSt15iterator_traitsISI_E10value_typeET2_T3_PNSJ_ISO_E10value_typeET4_T5_PST_SU_PNS1_23onesweep_lookback_stateEbbT6_jjT7_P12ihipStream_tbENKUlT_T0_SI_SN_E_clISD_PiSD_S15_EEDaS11_S12_SI_SN_EUlS11_E_NS1_11comp_targetILNS1_3genE4ELNS1_11target_archE910ELNS1_3gpuE8ELNS1_3repE0EEENS1_47radix_sort_onesweep_sort_config_static_selectorELNS0_4arch9wavefront6targetE1EEEvSI_
    .private_segment_fixed_size: 0
    .sgpr_count:     6
    .sgpr_spill_count: 0
    .symbol:         _ZN7rocprim17ROCPRIM_400000_NS6detail17trampoline_kernelINS0_14default_configENS1_35radix_sort_onesweep_config_selectorIiiEEZZNS1_29radix_sort_onesweep_iterationIS3_Lb1EN6thrust23THRUST_200600_302600_NS6detail15normal_iteratorINS8_10device_ptrIiEEEESD_SD_SD_jNS0_19identity_decomposerENS1_16block_id_wrapperIjLb1EEEEE10hipError_tT1_PNSt15iterator_traitsISI_E10value_typeET2_T3_PNSJ_ISO_E10value_typeET4_T5_PST_SU_PNS1_23onesweep_lookback_stateEbbT6_jjT7_P12ihipStream_tbENKUlT_T0_SI_SN_E_clISD_PiSD_S15_EEDaS11_S12_SI_SN_EUlS11_E_NS1_11comp_targetILNS1_3genE4ELNS1_11target_archE910ELNS1_3gpuE8ELNS1_3repE0EEENS1_47radix_sort_onesweep_sort_config_static_selectorELNS0_4arch9wavefront6targetE1EEEvSI_.kd
    .uniform_work_group_size: 1
    .uses_dynamic_stack: false
    .vgpr_count:     0
    .vgpr_spill_count: 0
    .wavefront_size: 64
  - .agpr_count:     0
    .args:
      - .offset:         0
        .size:           88
        .value_kind:     by_value
    .group_segment_fixed_size: 0
    .kernarg_segment_align: 8
    .kernarg_segment_size: 88
    .language:       OpenCL C
    .language_version:
      - 2
      - 0
    .max_flat_workgroup_size: 256
    .name:           _ZN7rocprim17ROCPRIM_400000_NS6detail17trampoline_kernelINS0_14default_configENS1_35radix_sort_onesweep_config_selectorIiiEEZZNS1_29radix_sort_onesweep_iterationIS3_Lb1EN6thrust23THRUST_200600_302600_NS6detail15normal_iteratorINS8_10device_ptrIiEEEESD_SD_SD_jNS0_19identity_decomposerENS1_16block_id_wrapperIjLb1EEEEE10hipError_tT1_PNSt15iterator_traitsISI_E10value_typeET2_T3_PNSJ_ISO_E10value_typeET4_T5_PST_SU_PNS1_23onesweep_lookback_stateEbbT6_jjT7_P12ihipStream_tbENKUlT_T0_SI_SN_E_clISD_PiSD_S15_EEDaS11_S12_SI_SN_EUlS11_E_NS1_11comp_targetILNS1_3genE3ELNS1_11target_archE908ELNS1_3gpuE7ELNS1_3repE0EEENS1_47radix_sort_onesweep_sort_config_static_selectorELNS0_4arch9wavefront6targetE1EEEvSI_
    .private_segment_fixed_size: 0
    .sgpr_count:     6
    .sgpr_spill_count: 0
    .symbol:         _ZN7rocprim17ROCPRIM_400000_NS6detail17trampoline_kernelINS0_14default_configENS1_35radix_sort_onesweep_config_selectorIiiEEZZNS1_29radix_sort_onesweep_iterationIS3_Lb1EN6thrust23THRUST_200600_302600_NS6detail15normal_iteratorINS8_10device_ptrIiEEEESD_SD_SD_jNS0_19identity_decomposerENS1_16block_id_wrapperIjLb1EEEEE10hipError_tT1_PNSt15iterator_traitsISI_E10value_typeET2_T3_PNSJ_ISO_E10value_typeET4_T5_PST_SU_PNS1_23onesweep_lookback_stateEbbT6_jjT7_P12ihipStream_tbENKUlT_T0_SI_SN_E_clISD_PiSD_S15_EEDaS11_S12_SI_SN_EUlS11_E_NS1_11comp_targetILNS1_3genE3ELNS1_11target_archE908ELNS1_3gpuE7ELNS1_3repE0EEENS1_47radix_sort_onesweep_sort_config_static_selectorELNS0_4arch9wavefront6targetE1EEEvSI_.kd
    .uniform_work_group_size: 1
    .uses_dynamic_stack: false
    .vgpr_count:     0
    .vgpr_spill_count: 0
    .wavefront_size: 64
  - .agpr_count:     0
    .args:
      - .offset:         0
        .size:           88
        .value_kind:     by_value
    .group_segment_fixed_size: 0
    .kernarg_segment_align: 8
    .kernarg_segment_size: 88
    .language:       OpenCL C
    .language_version:
      - 2
      - 0
    .max_flat_workgroup_size: 1024
    .name:           _ZN7rocprim17ROCPRIM_400000_NS6detail17trampoline_kernelINS0_14default_configENS1_35radix_sort_onesweep_config_selectorIiiEEZZNS1_29radix_sort_onesweep_iterationIS3_Lb1EN6thrust23THRUST_200600_302600_NS6detail15normal_iteratorINS8_10device_ptrIiEEEESD_SD_SD_jNS0_19identity_decomposerENS1_16block_id_wrapperIjLb1EEEEE10hipError_tT1_PNSt15iterator_traitsISI_E10value_typeET2_T3_PNSJ_ISO_E10value_typeET4_T5_PST_SU_PNS1_23onesweep_lookback_stateEbbT6_jjT7_P12ihipStream_tbENKUlT_T0_SI_SN_E_clISD_PiSD_S15_EEDaS11_S12_SI_SN_EUlS11_E_NS1_11comp_targetILNS1_3genE10ELNS1_11target_archE1201ELNS1_3gpuE5ELNS1_3repE0EEENS1_47radix_sort_onesweep_sort_config_static_selectorELNS0_4arch9wavefront6targetE1EEEvSI_
    .private_segment_fixed_size: 0
    .sgpr_count:     6
    .sgpr_spill_count: 0
    .symbol:         _ZN7rocprim17ROCPRIM_400000_NS6detail17trampoline_kernelINS0_14default_configENS1_35radix_sort_onesweep_config_selectorIiiEEZZNS1_29radix_sort_onesweep_iterationIS3_Lb1EN6thrust23THRUST_200600_302600_NS6detail15normal_iteratorINS8_10device_ptrIiEEEESD_SD_SD_jNS0_19identity_decomposerENS1_16block_id_wrapperIjLb1EEEEE10hipError_tT1_PNSt15iterator_traitsISI_E10value_typeET2_T3_PNSJ_ISO_E10value_typeET4_T5_PST_SU_PNS1_23onesweep_lookback_stateEbbT6_jjT7_P12ihipStream_tbENKUlT_T0_SI_SN_E_clISD_PiSD_S15_EEDaS11_S12_SI_SN_EUlS11_E_NS1_11comp_targetILNS1_3genE10ELNS1_11target_archE1201ELNS1_3gpuE5ELNS1_3repE0EEENS1_47radix_sort_onesweep_sort_config_static_selectorELNS0_4arch9wavefront6targetE1EEEvSI_.kd
    .uniform_work_group_size: 1
    .uses_dynamic_stack: false
    .vgpr_count:     0
    .vgpr_spill_count: 0
    .wavefront_size: 64
  - .agpr_count:     0
    .args:
      - .offset:         0
        .size:           88
        .value_kind:     by_value
    .group_segment_fixed_size: 0
    .kernarg_segment_align: 8
    .kernarg_segment_size: 88
    .language:       OpenCL C
    .language_version:
      - 2
      - 0
    .max_flat_workgroup_size: 1024
    .name:           _ZN7rocprim17ROCPRIM_400000_NS6detail17trampoline_kernelINS0_14default_configENS1_35radix_sort_onesweep_config_selectorIiiEEZZNS1_29radix_sort_onesweep_iterationIS3_Lb1EN6thrust23THRUST_200600_302600_NS6detail15normal_iteratorINS8_10device_ptrIiEEEESD_SD_SD_jNS0_19identity_decomposerENS1_16block_id_wrapperIjLb1EEEEE10hipError_tT1_PNSt15iterator_traitsISI_E10value_typeET2_T3_PNSJ_ISO_E10value_typeET4_T5_PST_SU_PNS1_23onesweep_lookback_stateEbbT6_jjT7_P12ihipStream_tbENKUlT_T0_SI_SN_E_clISD_PiSD_S15_EEDaS11_S12_SI_SN_EUlS11_E_NS1_11comp_targetILNS1_3genE9ELNS1_11target_archE1100ELNS1_3gpuE3ELNS1_3repE0EEENS1_47radix_sort_onesweep_sort_config_static_selectorELNS0_4arch9wavefront6targetE1EEEvSI_
    .private_segment_fixed_size: 0
    .sgpr_count:     6
    .sgpr_spill_count: 0
    .symbol:         _ZN7rocprim17ROCPRIM_400000_NS6detail17trampoline_kernelINS0_14default_configENS1_35radix_sort_onesweep_config_selectorIiiEEZZNS1_29radix_sort_onesweep_iterationIS3_Lb1EN6thrust23THRUST_200600_302600_NS6detail15normal_iteratorINS8_10device_ptrIiEEEESD_SD_SD_jNS0_19identity_decomposerENS1_16block_id_wrapperIjLb1EEEEE10hipError_tT1_PNSt15iterator_traitsISI_E10value_typeET2_T3_PNSJ_ISO_E10value_typeET4_T5_PST_SU_PNS1_23onesweep_lookback_stateEbbT6_jjT7_P12ihipStream_tbENKUlT_T0_SI_SN_E_clISD_PiSD_S15_EEDaS11_S12_SI_SN_EUlS11_E_NS1_11comp_targetILNS1_3genE9ELNS1_11target_archE1100ELNS1_3gpuE3ELNS1_3repE0EEENS1_47radix_sort_onesweep_sort_config_static_selectorELNS0_4arch9wavefront6targetE1EEEvSI_.kd
    .uniform_work_group_size: 1
    .uses_dynamic_stack: false
    .vgpr_count:     0
    .vgpr_spill_count: 0
    .wavefront_size: 64
  - .agpr_count:     0
    .args:
      - .offset:         0
        .size:           88
        .value_kind:     by_value
    .group_segment_fixed_size: 0
    .kernarg_segment_align: 8
    .kernarg_segment_size: 88
    .language:       OpenCL C
    .language_version:
      - 2
      - 0
    .max_flat_workgroup_size: 1024
    .name:           _ZN7rocprim17ROCPRIM_400000_NS6detail17trampoline_kernelINS0_14default_configENS1_35radix_sort_onesweep_config_selectorIiiEEZZNS1_29radix_sort_onesweep_iterationIS3_Lb1EN6thrust23THRUST_200600_302600_NS6detail15normal_iteratorINS8_10device_ptrIiEEEESD_SD_SD_jNS0_19identity_decomposerENS1_16block_id_wrapperIjLb1EEEEE10hipError_tT1_PNSt15iterator_traitsISI_E10value_typeET2_T3_PNSJ_ISO_E10value_typeET4_T5_PST_SU_PNS1_23onesweep_lookback_stateEbbT6_jjT7_P12ihipStream_tbENKUlT_T0_SI_SN_E_clISD_PiSD_S15_EEDaS11_S12_SI_SN_EUlS11_E_NS1_11comp_targetILNS1_3genE8ELNS1_11target_archE1030ELNS1_3gpuE2ELNS1_3repE0EEENS1_47radix_sort_onesweep_sort_config_static_selectorELNS0_4arch9wavefront6targetE1EEEvSI_
    .private_segment_fixed_size: 0
    .sgpr_count:     6
    .sgpr_spill_count: 0
    .symbol:         _ZN7rocprim17ROCPRIM_400000_NS6detail17trampoline_kernelINS0_14default_configENS1_35radix_sort_onesweep_config_selectorIiiEEZZNS1_29radix_sort_onesweep_iterationIS3_Lb1EN6thrust23THRUST_200600_302600_NS6detail15normal_iteratorINS8_10device_ptrIiEEEESD_SD_SD_jNS0_19identity_decomposerENS1_16block_id_wrapperIjLb1EEEEE10hipError_tT1_PNSt15iterator_traitsISI_E10value_typeET2_T3_PNSJ_ISO_E10value_typeET4_T5_PST_SU_PNS1_23onesweep_lookback_stateEbbT6_jjT7_P12ihipStream_tbENKUlT_T0_SI_SN_E_clISD_PiSD_S15_EEDaS11_S12_SI_SN_EUlS11_E_NS1_11comp_targetILNS1_3genE8ELNS1_11target_archE1030ELNS1_3gpuE2ELNS1_3repE0EEENS1_47radix_sort_onesweep_sort_config_static_selectorELNS0_4arch9wavefront6targetE1EEEvSI_.kd
    .uniform_work_group_size: 1
    .uses_dynamic_stack: false
    .vgpr_count:     0
    .vgpr_spill_count: 0
    .wavefront_size: 64
  - .agpr_count:     0
    .args:
      - .offset:         0
        .size:           88
        .value_kind:     by_value
    .group_segment_fixed_size: 0
    .kernarg_segment_align: 8
    .kernarg_segment_size: 88
    .language:       OpenCL C
    .language_version:
      - 2
      - 0
    .max_flat_workgroup_size: 256
    .name:           _ZN7rocprim17ROCPRIM_400000_NS6detail17trampoline_kernelINS0_14default_configENS1_35radix_sort_onesweep_config_selectorIiiEEZZNS1_29radix_sort_onesweep_iterationIS3_Lb1EN6thrust23THRUST_200600_302600_NS6detail15normal_iteratorINS8_10device_ptrIiEEEESD_SD_SD_jNS0_19identity_decomposerENS1_16block_id_wrapperIjLb1EEEEE10hipError_tT1_PNSt15iterator_traitsISI_E10value_typeET2_T3_PNSJ_ISO_E10value_typeET4_T5_PST_SU_PNS1_23onesweep_lookback_stateEbbT6_jjT7_P12ihipStream_tbENKUlT_T0_SI_SN_E_clIPiSD_S15_SD_EEDaS11_S12_SI_SN_EUlS11_E_NS1_11comp_targetILNS1_3genE0ELNS1_11target_archE4294967295ELNS1_3gpuE0ELNS1_3repE0EEENS1_47radix_sort_onesweep_sort_config_static_selectorELNS0_4arch9wavefront6targetE1EEEvSI_
    .private_segment_fixed_size: 0
    .sgpr_count:     6
    .sgpr_spill_count: 0
    .symbol:         _ZN7rocprim17ROCPRIM_400000_NS6detail17trampoline_kernelINS0_14default_configENS1_35radix_sort_onesweep_config_selectorIiiEEZZNS1_29radix_sort_onesweep_iterationIS3_Lb1EN6thrust23THRUST_200600_302600_NS6detail15normal_iteratorINS8_10device_ptrIiEEEESD_SD_SD_jNS0_19identity_decomposerENS1_16block_id_wrapperIjLb1EEEEE10hipError_tT1_PNSt15iterator_traitsISI_E10value_typeET2_T3_PNSJ_ISO_E10value_typeET4_T5_PST_SU_PNS1_23onesweep_lookback_stateEbbT6_jjT7_P12ihipStream_tbENKUlT_T0_SI_SN_E_clIPiSD_S15_SD_EEDaS11_S12_SI_SN_EUlS11_E_NS1_11comp_targetILNS1_3genE0ELNS1_11target_archE4294967295ELNS1_3gpuE0ELNS1_3repE0EEENS1_47radix_sort_onesweep_sort_config_static_selectorELNS0_4arch9wavefront6targetE1EEEvSI_.kd
    .uniform_work_group_size: 1
    .uses_dynamic_stack: false
    .vgpr_count:     0
    .vgpr_spill_count: 0
    .wavefront_size: 64
  - .agpr_count:     0
    .args:
      - .offset:         0
        .size:           88
        .value_kind:     by_value
      - .offset:         88
        .size:           4
        .value_kind:     hidden_block_count_x
      - .offset:         92
        .size:           4
        .value_kind:     hidden_block_count_y
      - .offset:         96
        .size:           4
        .value_kind:     hidden_block_count_z
      - .offset:         100
        .size:           2
        .value_kind:     hidden_group_size_x
      - .offset:         102
        .size:           2
        .value_kind:     hidden_group_size_y
      - .offset:         104
        .size:           2
        .value_kind:     hidden_group_size_z
      - .offset:         106
        .size:           2
        .value_kind:     hidden_remainder_x
      - .offset:         108
        .size:           2
        .value_kind:     hidden_remainder_y
      - .offset:         110
        .size:           2
        .value_kind:     hidden_remainder_z
      - .offset:         128
        .size:           8
        .value_kind:     hidden_global_offset_x
      - .offset:         136
        .size:           8
        .value_kind:     hidden_global_offset_y
      - .offset:         144
        .size:           8
        .value_kind:     hidden_global_offset_z
      - .offset:         152
        .size:           2
        .value_kind:     hidden_grid_dims
    .group_segment_fixed_size: 20552
    .kernarg_segment_align: 8
    .kernarg_segment_size: 344
    .language:       OpenCL C
    .language_version:
      - 2
      - 0
    .max_flat_workgroup_size: 1024
    .name:           _ZN7rocprim17ROCPRIM_400000_NS6detail17trampoline_kernelINS0_14default_configENS1_35radix_sort_onesweep_config_selectorIiiEEZZNS1_29radix_sort_onesweep_iterationIS3_Lb1EN6thrust23THRUST_200600_302600_NS6detail15normal_iteratorINS8_10device_ptrIiEEEESD_SD_SD_jNS0_19identity_decomposerENS1_16block_id_wrapperIjLb1EEEEE10hipError_tT1_PNSt15iterator_traitsISI_E10value_typeET2_T3_PNSJ_ISO_E10value_typeET4_T5_PST_SU_PNS1_23onesweep_lookback_stateEbbT6_jjT7_P12ihipStream_tbENKUlT_T0_SI_SN_E_clIPiSD_S15_SD_EEDaS11_S12_SI_SN_EUlS11_E_NS1_11comp_targetILNS1_3genE6ELNS1_11target_archE950ELNS1_3gpuE13ELNS1_3repE0EEENS1_47radix_sort_onesweep_sort_config_static_selectorELNS0_4arch9wavefront6targetE1EEEvSI_
    .private_segment_fixed_size: 80
    .sgpr_count:     79
    .sgpr_spill_count: 0
    .symbol:         _ZN7rocprim17ROCPRIM_400000_NS6detail17trampoline_kernelINS0_14default_configENS1_35radix_sort_onesweep_config_selectorIiiEEZZNS1_29radix_sort_onesweep_iterationIS3_Lb1EN6thrust23THRUST_200600_302600_NS6detail15normal_iteratorINS8_10device_ptrIiEEEESD_SD_SD_jNS0_19identity_decomposerENS1_16block_id_wrapperIjLb1EEEEE10hipError_tT1_PNSt15iterator_traitsISI_E10value_typeET2_T3_PNSJ_ISO_E10value_typeET4_T5_PST_SU_PNS1_23onesweep_lookback_stateEbbT6_jjT7_P12ihipStream_tbENKUlT_T0_SI_SN_E_clIPiSD_S15_SD_EEDaS11_S12_SI_SN_EUlS11_E_NS1_11comp_targetILNS1_3genE6ELNS1_11target_archE950ELNS1_3gpuE13ELNS1_3repE0EEENS1_47radix_sort_onesweep_sort_config_static_selectorELNS0_4arch9wavefront6targetE1EEEvSI_.kd
    .uniform_work_group_size: 1
    .uses_dynamic_stack: false
    .vgpr_count:     89
    .vgpr_spill_count: 0
    .wavefront_size: 64
  - .agpr_count:     0
    .args:
      - .offset:         0
        .size:           88
        .value_kind:     by_value
    .group_segment_fixed_size: 0
    .kernarg_segment_align: 8
    .kernarg_segment_size: 88
    .language:       OpenCL C
    .language_version:
      - 2
      - 0
    .max_flat_workgroup_size: 1024
    .name:           _ZN7rocprim17ROCPRIM_400000_NS6detail17trampoline_kernelINS0_14default_configENS1_35radix_sort_onesweep_config_selectorIiiEEZZNS1_29radix_sort_onesweep_iterationIS3_Lb1EN6thrust23THRUST_200600_302600_NS6detail15normal_iteratorINS8_10device_ptrIiEEEESD_SD_SD_jNS0_19identity_decomposerENS1_16block_id_wrapperIjLb1EEEEE10hipError_tT1_PNSt15iterator_traitsISI_E10value_typeET2_T3_PNSJ_ISO_E10value_typeET4_T5_PST_SU_PNS1_23onesweep_lookback_stateEbbT6_jjT7_P12ihipStream_tbENKUlT_T0_SI_SN_E_clIPiSD_S15_SD_EEDaS11_S12_SI_SN_EUlS11_E_NS1_11comp_targetILNS1_3genE5ELNS1_11target_archE942ELNS1_3gpuE9ELNS1_3repE0EEENS1_47radix_sort_onesweep_sort_config_static_selectorELNS0_4arch9wavefront6targetE1EEEvSI_
    .private_segment_fixed_size: 0
    .sgpr_count:     6
    .sgpr_spill_count: 0
    .symbol:         _ZN7rocprim17ROCPRIM_400000_NS6detail17trampoline_kernelINS0_14default_configENS1_35radix_sort_onesweep_config_selectorIiiEEZZNS1_29radix_sort_onesweep_iterationIS3_Lb1EN6thrust23THRUST_200600_302600_NS6detail15normal_iteratorINS8_10device_ptrIiEEEESD_SD_SD_jNS0_19identity_decomposerENS1_16block_id_wrapperIjLb1EEEEE10hipError_tT1_PNSt15iterator_traitsISI_E10value_typeET2_T3_PNSJ_ISO_E10value_typeET4_T5_PST_SU_PNS1_23onesweep_lookback_stateEbbT6_jjT7_P12ihipStream_tbENKUlT_T0_SI_SN_E_clIPiSD_S15_SD_EEDaS11_S12_SI_SN_EUlS11_E_NS1_11comp_targetILNS1_3genE5ELNS1_11target_archE942ELNS1_3gpuE9ELNS1_3repE0EEENS1_47radix_sort_onesweep_sort_config_static_selectorELNS0_4arch9wavefront6targetE1EEEvSI_.kd
    .uniform_work_group_size: 1
    .uses_dynamic_stack: false
    .vgpr_count:     0
    .vgpr_spill_count: 0
    .wavefront_size: 64
  - .agpr_count:     0
    .args:
      - .offset:         0
        .size:           88
        .value_kind:     by_value
    .group_segment_fixed_size: 0
    .kernarg_segment_align: 8
    .kernarg_segment_size: 88
    .language:       OpenCL C
    .language_version:
      - 2
      - 0
    .max_flat_workgroup_size: 512
    .name:           _ZN7rocprim17ROCPRIM_400000_NS6detail17trampoline_kernelINS0_14default_configENS1_35radix_sort_onesweep_config_selectorIiiEEZZNS1_29radix_sort_onesweep_iterationIS3_Lb1EN6thrust23THRUST_200600_302600_NS6detail15normal_iteratorINS8_10device_ptrIiEEEESD_SD_SD_jNS0_19identity_decomposerENS1_16block_id_wrapperIjLb1EEEEE10hipError_tT1_PNSt15iterator_traitsISI_E10value_typeET2_T3_PNSJ_ISO_E10value_typeET4_T5_PST_SU_PNS1_23onesweep_lookback_stateEbbT6_jjT7_P12ihipStream_tbENKUlT_T0_SI_SN_E_clIPiSD_S15_SD_EEDaS11_S12_SI_SN_EUlS11_E_NS1_11comp_targetILNS1_3genE2ELNS1_11target_archE906ELNS1_3gpuE6ELNS1_3repE0EEENS1_47radix_sort_onesweep_sort_config_static_selectorELNS0_4arch9wavefront6targetE1EEEvSI_
    .private_segment_fixed_size: 0
    .sgpr_count:     6
    .sgpr_spill_count: 0
    .symbol:         _ZN7rocprim17ROCPRIM_400000_NS6detail17trampoline_kernelINS0_14default_configENS1_35radix_sort_onesweep_config_selectorIiiEEZZNS1_29radix_sort_onesweep_iterationIS3_Lb1EN6thrust23THRUST_200600_302600_NS6detail15normal_iteratorINS8_10device_ptrIiEEEESD_SD_SD_jNS0_19identity_decomposerENS1_16block_id_wrapperIjLb1EEEEE10hipError_tT1_PNSt15iterator_traitsISI_E10value_typeET2_T3_PNSJ_ISO_E10value_typeET4_T5_PST_SU_PNS1_23onesweep_lookback_stateEbbT6_jjT7_P12ihipStream_tbENKUlT_T0_SI_SN_E_clIPiSD_S15_SD_EEDaS11_S12_SI_SN_EUlS11_E_NS1_11comp_targetILNS1_3genE2ELNS1_11target_archE906ELNS1_3gpuE6ELNS1_3repE0EEENS1_47radix_sort_onesweep_sort_config_static_selectorELNS0_4arch9wavefront6targetE1EEEvSI_.kd
    .uniform_work_group_size: 1
    .uses_dynamic_stack: false
    .vgpr_count:     0
    .vgpr_spill_count: 0
    .wavefront_size: 64
  - .agpr_count:     0
    .args:
      - .offset:         0
        .size:           88
        .value_kind:     by_value
    .group_segment_fixed_size: 0
    .kernarg_segment_align: 8
    .kernarg_segment_size: 88
    .language:       OpenCL C
    .language_version:
      - 2
      - 0
    .max_flat_workgroup_size: 512
    .name:           _ZN7rocprim17ROCPRIM_400000_NS6detail17trampoline_kernelINS0_14default_configENS1_35radix_sort_onesweep_config_selectorIiiEEZZNS1_29radix_sort_onesweep_iterationIS3_Lb1EN6thrust23THRUST_200600_302600_NS6detail15normal_iteratorINS8_10device_ptrIiEEEESD_SD_SD_jNS0_19identity_decomposerENS1_16block_id_wrapperIjLb1EEEEE10hipError_tT1_PNSt15iterator_traitsISI_E10value_typeET2_T3_PNSJ_ISO_E10value_typeET4_T5_PST_SU_PNS1_23onesweep_lookback_stateEbbT6_jjT7_P12ihipStream_tbENKUlT_T0_SI_SN_E_clIPiSD_S15_SD_EEDaS11_S12_SI_SN_EUlS11_E_NS1_11comp_targetILNS1_3genE4ELNS1_11target_archE910ELNS1_3gpuE8ELNS1_3repE0EEENS1_47radix_sort_onesweep_sort_config_static_selectorELNS0_4arch9wavefront6targetE1EEEvSI_
    .private_segment_fixed_size: 0
    .sgpr_count:     6
    .sgpr_spill_count: 0
    .symbol:         _ZN7rocprim17ROCPRIM_400000_NS6detail17trampoline_kernelINS0_14default_configENS1_35radix_sort_onesweep_config_selectorIiiEEZZNS1_29radix_sort_onesweep_iterationIS3_Lb1EN6thrust23THRUST_200600_302600_NS6detail15normal_iteratorINS8_10device_ptrIiEEEESD_SD_SD_jNS0_19identity_decomposerENS1_16block_id_wrapperIjLb1EEEEE10hipError_tT1_PNSt15iterator_traitsISI_E10value_typeET2_T3_PNSJ_ISO_E10value_typeET4_T5_PST_SU_PNS1_23onesweep_lookback_stateEbbT6_jjT7_P12ihipStream_tbENKUlT_T0_SI_SN_E_clIPiSD_S15_SD_EEDaS11_S12_SI_SN_EUlS11_E_NS1_11comp_targetILNS1_3genE4ELNS1_11target_archE910ELNS1_3gpuE8ELNS1_3repE0EEENS1_47radix_sort_onesweep_sort_config_static_selectorELNS0_4arch9wavefront6targetE1EEEvSI_.kd
    .uniform_work_group_size: 1
    .uses_dynamic_stack: false
    .vgpr_count:     0
    .vgpr_spill_count: 0
    .wavefront_size: 64
  - .agpr_count:     0
    .args:
      - .offset:         0
        .size:           88
        .value_kind:     by_value
    .group_segment_fixed_size: 0
    .kernarg_segment_align: 8
    .kernarg_segment_size: 88
    .language:       OpenCL C
    .language_version:
      - 2
      - 0
    .max_flat_workgroup_size: 256
    .name:           _ZN7rocprim17ROCPRIM_400000_NS6detail17trampoline_kernelINS0_14default_configENS1_35radix_sort_onesweep_config_selectorIiiEEZZNS1_29radix_sort_onesweep_iterationIS3_Lb1EN6thrust23THRUST_200600_302600_NS6detail15normal_iteratorINS8_10device_ptrIiEEEESD_SD_SD_jNS0_19identity_decomposerENS1_16block_id_wrapperIjLb1EEEEE10hipError_tT1_PNSt15iterator_traitsISI_E10value_typeET2_T3_PNSJ_ISO_E10value_typeET4_T5_PST_SU_PNS1_23onesweep_lookback_stateEbbT6_jjT7_P12ihipStream_tbENKUlT_T0_SI_SN_E_clIPiSD_S15_SD_EEDaS11_S12_SI_SN_EUlS11_E_NS1_11comp_targetILNS1_3genE3ELNS1_11target_archE908ELNS1_3gpuE7ELNS1_3repE0EEENS1_47radix_sort_onesweep_sort_config_static_selectorELNS0_4arch9wavefront6targetE1EEEvSI_
    .private_segment_fixed_size: 0
    .sgpr_count:     6
    .sgpr_spill_count: 0
    .symbol:         _ZN7rocprim17ROCPRIM_400000_NS6detail17trampoline_kernelINS0_14default_configENS1_35radix_sort_onesweep_config_selectorIiiEEZZNS1_29radix_sort_onesweep_iterationIS3_Lb1EN6thrust23THRUST_200600_302600_NS6detail15normal_iteratorINS8_10device_ptrIiEEEESD_SD_SD_jNS0_19identity_decomposerENS1_16block_id_wrapperIjLb1EEEEE10hipError_tT1_PNSt15iterator_traitsISI_E10value_typeET2_T3_PNSJ_ISO_E10value_typeET4_T5_PST_SU_PNS1_23onesweep_lookback_stateEbbT6_jjT7_P12ihipStream_tbENKUlT_T0_SI_SN_E_clIPiSD_S15_SD_EEDaS11_S12_SI_SN_EUlS11_E_NS1_11comp_targetILNS1_3genE3ELNS1_11target_archE908ELNS1_3gpuE7ELNS1_3repE0EEENS1_47radix_sort_onesweep_sort_config_static_selectorELNS0_4arch9wavefront6targetE1EEEvSI_.kd
    .uniform_work_group_size: 1
    .uses_dynamic_stack: false
    .vgpr_count:     0
    .vgpr_spill_count: 0
    .wavefront_size: 64
  - .agpr_count:     0
    .args:
      - .offset:         0
        .size:           88
        .value_kind:     by_value
    .group_segment_fixed_size: 0
    .kernarg_segment_align: 8
    .kernarg_segment_size: 88
    .language:       OpenCL C
    .language_version:
      - 2
      - 0
    .max_flat_workgroup_size: 1024
    .name:           _ZN7rocprim17ROCPRIM_400000_NS6detail17trampoline_kernelINS0_14default_configENS1_35radix_sort_onesweep_config_selectorIiiEEZZNS1_29radix_sort_onesweep_iterationIS3_Lb1EN6thrust23THRUST_200600_302600_NS6detail15normal_iteratorINS8_10device_ptrIiEEEESD_SD_SD_jNS0_19identity_decomposerENS1_16block_id_wrapperIjLb1EEEEE10hipError_tT1_PNSt15iterator_traitsISI_E10value_typeET2_T3_PNSJ_ISO_E10value_typeET4_T5_PST_SU_PNS1_23onesweep_lookback_stateEbbT6_jjT7_P12ihipStream_tbENKUlT_T0_SI_SN_E_clIPiSD_S15_SD_EEDaS11_S12_SI_SN_EUlS11_E_NS1_11comp_targetILNS1_3genE10ELNS1_11target_archE1201ELNS1_3gpuE5ELNS1_3repE0EEENS1_47radix_sort_onesweep_sort_config_static_selectorELNS0_4arch9wavefront6targetE1EEEvSI_
    .private_segment_fixed_size: 0
    .sgpr_count:     6
    .sgpr_spill_count: 0
    .symbol:         _ZN7rocprim17ROCPRIM_400000_NS6detail17trampoline_kernelINS0_14default_configENS1_35radix_sort_onesweep_config_selectorIiiEEZZNS1_29radix_sort_onesweep_iterationIS3_Lb1EN6thrust23THRUST_200600_302600_NS6detail15normal_iteratorINS8_10device_ptrIiEEEESD_SD_SD_jNS0_19identity_decomposerENS1_16block_id_wrapperIjLb1EEEEE10hipError_tT1_PNSt15iterator_traitsISI_E10value_typeET2_T3_PNSJ_ISO_E10value_typeET4_T5_PST_SU_PNS1_23onesweep_lookback_stateEbbT6_jjT7_P12ihipStream_tbENKUlT_T0_SI_SN_E_clIPiSD_S15_SD_EEDaS11_S12_SI_SN_EUlS11_E_NS1_11comp_targetILNS1_3genE10ELNS1_11target_archE1201ELNS1_3gpuE5ELNS1_3repE0EEENS1_47radix_sort_onesweep_sort_config_static_selectorELNS0_4arch9wavefront6targetE1EEEvSI_.kd
    .uniform_work_group_size: 1
    .uses_dynamic_stack: false
    .vgpr_count:     0
    .vgpr_spill_count: 0
    .wavefront_size: 64
  - .agpr_count:     0
    .args:
      - .offset:         0
        .size:           88
        .value_kind:     by_value
    .group_segment_fixed_size: 0
    .kernarg_segment_align: 8
    .kernarg_segment_size: 88
    .language:       OpenCL C
    .language_version:
      - 2
      - 0
    .max_flat_workgroup_size: 1024
    .name:           _ZN7rocprim17ROCPRIM_400000_NS6detail17trampoline_kernelINS0_14default_configENS1_35radix_sort_onesweep_config_selectorIiiEEZZNS1_29radix_sort_onesweep_iterationIS3_Lb1EN6thrust23THRUST_200600_302600_NS6detail15normal_iteratorINS8_10device_ptrIiEEEESD_SD_SD_jNS0_19identity_decomposerENS1_16block_id_wrapperIjLb1EEEEE10hipError_tT1_PNSt15iterator_traitsISI_E10value_typeET2_T3_PNSJ_ISO_E10value_typeET4_T5_PST_SU_PNS1_23onesweep_lookback_stateEbbT6_jjT7_P12ihipStream_tbENKUlT_T0_SI_SN_E_clIPiSD_S15_SD_EEDaS11_S12_SI_SN_EUlS11_E_NS1_11comp_targetILNS1_3genE9ELNS1_11target_archE1100ELNS1_3gpuE3ELNS1_3repE0EEENS1_47radix_sort_onesweep_sort_config_static_selectorELNS0_4arch9wavefront6targetE1EEEvSI_
    .private_segment_fixed_size: 0
    .sgpr_count:     6
    .sgpr_spill_count: 0
    .symbol:         _ZN7rocprim17ROCPRIM_400000_NS6detail17trampoline_kernelINS0_14default_configENS1_35radix_sort_onesweep_config_selectorIiiEEZZNS1_29radix_sort_onesweep_iterationIS3_Lb1EN6thrust23THRUST_200600_302600_NS6detail15normal_iteratorINS8_10device_ptrIiEEEESD_SD_SD_jNS0_19identity_decomposerENS1_16block_id_wrapperIjLb1EEEEE10hipError_tT1_PNSt15iterator_traitsISI_E10value_typeET2_T3_PNSJ_ISO_E10value_typeET4_T5_PST_SU_PNS1_23onesweep_lookback_stateEbbT6_jjT7_P12ihipStream_tbENKUlT_T0_SI_SN_E_clIPiSD_S15_SD_EEDaS11_S12_SI_SN_EUlS11_E_NS1_11comp_targetILNS1_3genE9ELNS1_11target_archE1100ELNS1_3gpuE3ELNS1_3repE0EEENS1_47radix_sort_onesweep_sort_config_static_selectorELNS0_4arch9wavefront6targetE1EEEvSI_.kd
    .uniform_work_group_size: 1
    .uses_dynamic_stack: false
    .vgpr_count:     0
    .vgpr_spill_count: 0
    .wavefront_size: 64
  - .agpr_count:     0
    .args:
      - .offset:         0
        .size:           88
        .value_kind:     by_value
    .group_segment_fixed_size: 0
    .kernarg_segment_align: 8
    .kernarg_segment_size: 88
    .language:       OpenCL C
    .language_version:
      - 2
      - 0
    .max_flat_workgroup_size: 1024
    .name:           _ZN7rocprim17ROCPRIM_400000_NS6detail17trampoline_kernelINS0_14default_configENS1_35radix_sort_onesweep_config_selectorIiiEEZZNS1_29radix_sort_onesweep_iterationIS3_Lb1EN6thrust23THRUST_200600_302600_NS6detail15normal_iteratorINS8_10device_ptrIiEEEESD_SD_SD_jNS0_19identity_decomposerENS1_16block_id_wrapperIjLb1EEEEE10hipError_tT1_PNSt15iterator_traitsISI_E10value_typeET2_T3_PNSJ_ISO_E10value_typeET4_T5_PST_SU_PNS1_23onesweep_lookback_stateEbbT6_jjT7_P12ihipStream_tbENKUlT_T0_SI_SN_E_clIPiSD_S15_SD_EEDaS11_S12_SI_SN_EUlS11_E_NS1_11comp_targetILNS1_3genE8ELNS1_11target_archE1030ELNS1_3gpuE2ELNS1_3repE0EEENS1_47radix_sort_onesweep_sort_config_static_selectorELNS0_4arch9wavefront6targetE1EEEvSI_
    .private_segment_fixed_size: 0
    .sgpr_count:     6
    .sgpr_spill_count: 0
    .symbol:         _ZN7rocprim17ROCPRIM_400000_NS6detail17trampoline_kernelINS0_14default_configENS1_35radix_sort_onesweep_config_selectorIiiEEZZNS1_29radix_sort_onesweep_iterationIS3_Lb1EN6thrust23THRUST_200600_302600_NS6detail15normal_iteratorINS8_10device_ptrIiEEEESD_SD_SD_jNS0_19identity_decomposerENS1_16block_id_wrapperIjLb1EEEEE10hipError_tT1_PNSt15iterator_traitsISI_E10value_typeET2_T3_PNSJ_ISO_E10value_typeET4_T5_PST_SU_PNS1_23onesweep_lookback_stateEbbT6_jjT7_P12ihipStream_tbENKUlT_T0_SI_SN_E_clIPiSD_S15_SD_EEDaS11_S12_SI_SN_EUlS11_E_NS1_11comp_targetILNS1_3genE8ELNS1_11target_archE1030ELNS1_3gpuE2ELNS1_3repE0EEENS1_47radix_sort_onesweep_sort_config_static_selectorELNS0_4arch9wavefront6targetE1EEEvSI_.kd
    .uniform_work_group_size: 1
    .uses_dynamic_stack: false
    .vgpr_count:     0
    .vgpr_spill_count: 0
    .wavefront_size: 64
  - .agpr_count:     0
    .args:
      - .offset:         0
        .size:           88
        .value_kind:     by_value
    .group_segment_fixed_size: 0
    .kernarg_segment_align: 8
    .kernarg_segment_size: 88
    .language:       OpenCL C
    .language_version:
      - 2
      - 0
    .max_flat_workgroup_size: 256
    .name:           _ZN7rocprim17ROCPRIM_400000_NS6detail17trampoline_kernelINS0_14default_configENS1_35radix_sort_onesweep_config_selectorIiiEEZZNS1_29radix_sort_onesweep_iterationIS3_Lb1EN6thrust23THRUST_200600_302600_NS6detail15normal_iteratorINS8_10device_ptrIiEEEESD_SD_SD_jNS0_19identity_decomposerENS1_16block_id_wrapperIjLb0EEEEE10hipError_tT1_PNSt15iterator_traitsISI_E10value_typeET2_T3_PNSJ_ISO_E10value_typeET4_T5_PST_SU_PNS1_23onesweep_lookback_stateEbbT6_jjT7_P12ihipStream_tbENKUlT_T0_SI_SN_E_clISD_SD_SD_SD_EEDaS11_S12_SI_SN_EUlS11_E_NS1_11comp_targetILNS1_3genE0ELNS1_11target_archE4294967295ELNS1_3gpuE0ELNS1_3repE0EEENS1_47radix_sort_onesweep_sort_config_static_selectorELNS0_4arch9wavefront6targetE1EEEvSI_
    .private_segment_fixed_size: 0
    .sgpr_count:     6
    .sgpr_spill_count: 0
    .symbol:         _ZN7rocprim17ROCPRIM_400000_NS6detail17trampoline_kernelINS0_14default_configENS1_35radix_sort_onesweep_config_selectorIiiEEZZNS1_29radix_sort_onesweep_iterationIS3_Lb1EN6thrust23THRUST_200600_302600_NS6detail15normal_iteratorINS8_10device_ptrIiEEEESD_SD_SD_jNS0_19identity_decomposerENS1_16block_id_wrapperIjLb0EEEEE10hipError_tT1_PNSt15iterator_traitsISI_E10value_typeET2_T3_PNSJ_ISO_E10value_typeET4_T5_PST_SU_PNS1_23onesweep_lookback_stateEbbT6_jjT7_P12ihipStream_tbENKUlT_T0_SI_SN_E_clISD_SD_SD_SD_EEDaS11_S12_SI_SN_EUlS11_E_NS1_11comp_targetILNS1_3genE0ELNS1_11target_archE4294967295ELNS1_3gpuE0ELNS1_3repE0EEENS1_47radix_sort_onesweep_sort_config_static_selectorELNS0_4arch9wavefront6targetE1EEEvSI_.kd
    .uniform_work_group_size: 1
    .uses_dynamic_stack: false
    .vgpr_count:     0
    .vgpr_spill_count: 0
    .wavefront_size: 64
  - .agpr_count:     0
    .args:
      - .offset:         0
        .size:           88
        .value_kind:     by_value
      - .offset:         88
        .size:           4
        .value_kind:     hidden_block_count_x
      - .offset:         92
        .size:           4
        .value_kind:     hidden_block_count_y
      - .offset:         96
        .size:           4
        .value_kind:     hidden_block_count_z
      - .offset:         100
        .size:           2
        .value_kind:     hidden_group_size_x
      - .offset:         102
        .size:           2
        .value_kind:     hidden_group_size_y
      - .offset:         104
        .size:           2
        .value_kind:     hidden_group_size_z
      - .offset:         106
        .size:           2
        .value_kind:     hidden_remainder_x
      - .offset:         108
        .size:           2
        .value_kind:     hidden_remainder_y
      - .offset:         110
        .size:           2
        .value_kind:     hidden_remainder_z
      - .offset:         128
        .size:           8
        .value_kind:     hidden_global_offset_x
      - .offset:         136
        .size:           8
        .value_kind:     hidden_global_offset_y
      - .offset:         144
        .size:           8
        .value_kind:     hidden_global_offset_z
      - .offset:         152
        .size:           2
        .value_kind:     hidden_grid_dims
    .group_segment_fixed_size: 20552
    .kernarg_segment_align: 8
    .kernarg_segment_size: 344
    .language:       OpenCL C
    .language_version:
      - 2
      - 0
    .max_flat_workgroup_size: 1024
    .name:           _ZN7rocprim17ROCPRIM_400000_NS6detail17trampoline_kernelINS0_14default_configENS1_35radix_sort_onesweep_config_selectorIiiEEZZNS1_29radix_sort_onesweep_iterationIS3_Lb1EN6thrust23THRUST_200600_302600_NS6detail15normal_iteratorINS8_10device_ptrIiEEEESD_SD_SD_jNS0_19identity_decomposerENS1_16block_id_wrapperIjLb0EEEEE10hipError_tT1_PNSt15iterator_traitsISI_E10value_typeET2_T3_PNSJ_ISO_E10value_typeET4_T5_PST_SU_PNS1_23onesweep_lookback_stateEbbT6_jjT7_P12ihipStream_tbENKUlT_T0_SI_SN_E_clISD_SD_SD_SD_EEDaS11_S12_SI_SN_EUlS11_E_NS1_11comp_targetILNS1_3genE6ELNS1_11target_archE950ELNS1_3gpuE13ELNS1_3repE0EEENS1_47radix_sort_onesweep_sort_config_static_selectorELNS0_4arch9wavefront6targetE1EEEvSI_
    .private_segment_fixed_size: 80
    .sgpr_count:     76
    .sgpr_spill_count: 0
    .symbol:         _ZN7rocprim17ROCPRIM_400000_NS6detail17trampoline_kernelINS0_14default_configENS1_35radix_sort_onesweep_config_selectorIiiEEZZNS1_29radix_sort_onesweep_iterationIS3_Lb1EN6thrust23THRUST_200600_302600_NS6detail15normal_iteratorINS8_10device_ptrIiEEEESD_SD_SD_jNS0_19identity_decomposerENS1_16block_id_wrapperIjLb0EEEEE10hipError_tT1_PNSt15iterator_traitsISI_E10value_typeET2_T3_PNSJ_ISO_E10value_typeET4_T5_PST_SU_PNS1_23onesweep_lookback_stateEbbT6_jjT7_P12ihipStream_tbENKUlT_T0_SI_SN_E_clISD_SD_SD_SD_EEDaS11_S12_SI_SN_EUlS11_E_NS1_11comp_targetILNS1_3genE6ELNS1_11target_archE950ELNS1_3gpuE13ELNS1_3repE0EEENS1_47radix_sort_onesweep_sort_config_static_selectorELNS0_4arch9wavefront6targetE1EEEvSI_.kd
    .uniform_work_group_size: 1
    .uses_dynamic_stack: false
    .vgpr_count:     88
    .vgpr_spill_count: 0
    .wavefront_size: 64
  - .agpr_count:     0
    .args:
      - .offset:         0
        .size:           88
        .value_kind:     by_value
    .group_segment_fixed_size: 0
    .kernarg_segment_align: 8
    .kernarg_segment_size: 88
    .language:       OpenCL C
    .language_version:
      - 2
      - 0
    .max_flat_workgroup_size: 1024
    .name:           _ZN7rocprim17ROCPRIM_400000_NS6detail17trampoline_kernelINS0_14default_configENS1_35radix_sort_onesweep_config_selectorIiiEEZZNS1_29radix_sort_onesweep_iterationIS3_Lb1EN6thrust23THRUST_200600_302600_NS6detail15normal_iteratorINS8_10device_ptrIiEEEESD_SD_SD_jNS0_19identity_decomposerENS1_16block_id_wrapperIjLb0EEEEE10hipError_tT1_PNSt15iterator_traitsISI_E10value_typeET2_T3_PNSJ_ISO_E10value_typeET4_T5_PST_SU_PNS1_23onesweep_lookback_stateEbbT6_jjT7_P12ihipStream_tbENKUlT_T0_SI_SN_E_clISD_SD_SD_SD_EEDaS11_S12_SI_SN_EUlS11_E_NS1_11comp_targetILNS1_3genE5ELNS1_11target_archE942ELNS1_3gpuE9ELNS1_3repE0EEENS1_47radix_sort_onesweep_sort_config_static_selectorELNS0_4arch9wavefront6targetE1EEEvSI_
    .private_segment_fixed_size: 0
    .sgpr_count:     6
    .sgpr_spill_count: 0
    .symbol:         _ZN7rocprim17ROCPRIM_400000_NS6detail17trampoline_kernelINS0_14default_configENS1_35radix_sort_onesweep_config_selectorIiiEEZZNS1_29radix_sort_onesweep_iterationIS3_Lb1EN6thrust23THRUST_200600_302600_NS6detail15normal_iteratorINS8_10device_ptrIiEEEESD_SD_SD_jNS0_19identity_decomposerENS1_16block_id_wrapperIjLb0EEEEE10hipError_tT1_PNSt15iterator_traitsISI_E10value_typeET2_T3_PNSJ_ISO_E10value_typeET4_T5_PST_SU_PNS1_23onesweep_lookback_stateEbbT6_jjT7_P12ihipStream_tbENKUlT_T0_SI_SN_E_clISD_SD_SD_SD_EEDaS11_S12_SI_SN_EUlS11_E_NS1_11comp_targetILNS1_3genE5ELNS1_11target_archE942ELNS1_3gpuE9ELNS1_3repE0EEENS1_47radix_sort_onesweep_sort_config_static_selectorELNS0_4arch9wavefront6targetE1EEEvSI_.kd
    .uniform_work_group_size: 1
    .uses_dynamic_stack: false
    .vgpr_count:     0
    .vgpr_spill_count: 0
    .wavefront_size: 64
  - .agpr_count:     0
    .args:
      - .offset:         0
        .size:           88
        .value_kind:     by_value
    .group_segment_fixed_size: 0
    .kernarg_segment_align: 8
    .kernarg_segment_size: 88
    .language:       OpenCL C
    .language_version:
      - 2
      - 0
    .max_flat_workgroup_size: 512
    .name:           _ZN7rocprim17ROCPRIM_400000_NS6detail17trampoline_kernelINS0_14default_configENS1_35radix_sort_onesweep_config_selectorIiiEEZZNS1_29radix_sort_onesweep_iterationIS3_Lb1EN6thrust23THRUST_200600_302600_NS6detail15normal_iteratorINS8_10device_ptrIiEEEESD_SD_SD_jNS0_19identity_decomposerENS1_16block_id_wrapperIjLb0EEEEE10hipError_tT1_PNSt15iterator_traitsISI_E10value_typeET2_T3_PNSJ_ISO_E10value_typeET4_T5_PST_SU_PNS1_23onesweep_lookback_stateEbbT6_jjT7_P12ihipStream_tbENKUlT_T0_SI_SN_E_clISD_SD_SD_SD_EEDaS11_S12_SI_SN_EUlS11_E_NS1_11comp_targetILNS1_3genE2ELNS1_11target_archE906ELNS1_3gpuE6ELNS1_3repE0EEENS1_47radix_sort_onesweep_sort_config_static_selectorELNS0_4arch9wavefront6targetE1EEEvSI_
    .private_segment_fixed_size: 0
    .sgpr_count:     6
    .sgpr_spill_count: 0
    .symbol:         _ZN7rocprim17ROCPRIM_400000_NS6detail17trampoline_kernelINS0_14default_configENS1_35radix_sort_onesweep_config_selectorIiiEEZZNS1_29radix_sort_onesweep_iterationIS3_Lb1EN6thrust23THRUST_200600_302600_NS6detail15normal_iteratorINS8_10device_ptrIiEEEESD_SD_SD_jNS0_19identity_decomposerENS1_16block_id_wrapperIjLb0EEEEE10hipError_tT1_PNSt15iterator_traitsISI_E10value_typeET2_T3_PNSJ_ISO_E10value_typeET4_T5_PST_SU_PNS1_23onesweep_lookback_stateEbbT6_jjT7_P12ihipStream_tbENKUlT_T0_SI_SN_E_clISD_SD_SD_SD_EEDaS11_S12_SI_SN_EUlS11_E_NS1_11comp_targetILNS1_3genE2ELNS1_11target_archE906ELNS1_3gpuE6ELNS1_3repE0EEENS1_47radix_sort_onesweep_sort_config_static_selectorELNS0_4arch9wavefront6targetE1EEEvSI_.kd
    .uniform_work_group_size: 1
    .uses_dynamic_stack: false
    .vgpr_count:     0
    .vgpr_spill_count: 0
    .wavefront_size: 64
  - .agpr_count:     0
    .args:
      - .offset:         0
        .size:           88
        .value_kind:     by_value
    .group_segment_fixed_size: 0
    .kernarg_segment_align: 8
    .kernarg_segment_size: 88
    .language:       OpenCL C
    .language_version:
      - 2
      - 0
    .max_flat_workgroup_size: 512
    .name:           _ZN7rocprim17ROCPRIM_400000_NS6detail17trampoline_kernelINS0_14default_configENS1_35radix_sort_onesweep_config_selectorIiiEEZZNS1_29radix_sort_onesweep_iterationIS3_Lb1EN6thrust23THRUST_200600_302600_NS6detail15normal_iteratorINS8_10device_ptrIiEEEESD_SD_SD_jNS0_19identity_decomposerENS1_16block_id_wrapperIjLb0EEEEE10hipError_tT1_PNSt15iterator_traitsISI_E10value_typeET2_T3_PNSJ_ISO_E10value_typeET4_T5_PST_SU_PNS1_23onesweep_lookback_stateEbbT6_jjT7_P12ihipStream_tbENKUlT_T0_SI_SN_E_clISD_SD_SD_SD_EEDaS11_S12_SI_SN_EUlS11_E_NS1_11comp_targetILNS1_3genE4ELNS1_11target_archE910ELNS1_3gpuE8ELNS1_3repE0EEENS1_47radix_sort_onesweep_sort_config_static_selectorELNS0_4arch9wavefront6targetE1EEEvSI_
    .private_segment_fixed_size: 0
    .sgpr_count:     6
    .sgpr_spill_count: 0
    .symbol:         _ZN7rocprim17ROCPRIM_400000_NS6detail17trampoline_kernelINS0_14default_configENS1_35radix_sort_onesweep_config_selectorIiiEEZZNS1_29radix_sort_onesweep_iterationIS3_Lb1EN6thrust23THRUST_200600_302600_NS6detail15normal_iteratorINS8_10device_ptrIiEEEESD_SD_SD_jNS0_19identity_decomposerENS1_16block_id_wrapperIjLb0EEEEE10hipError_tT1_PNSt15iterator_traitsISI_E10value_typeET2_T3_PNSJ_ISO_E10value_typeET4_T5_PST_SU_PNS1_23onesweep_lookback_stateEbbT6_jjT7_P12ihipStream_tbENKUlT_T0_SI_SN_E_clISD_SD_SD_SD_EEDaS11_S12_SI_SN_EUlS11_E_NS1_11comp_targetILNS1_3genE4ELNS1_11target_archE910ELNS1_3gpuE8ELNS1_3repE0EEENS1_47radix_sort_onesweep_sort_config_static_selectorELNS0_4arch9wavefront6targetE1EEEvSI_.kd
    .uniform_work_group_size: 1
    .uses_dynamic_stack: false
    .vgpr_count:     0
    .vgpr_spill_count: 0
    .wavefront_size: 64
  - .agpr_count:     0
    .args:
      - .offset:         0
        .size:           88
        .value_kind:     by_value
    .group_segment_fixed_size: 0
    .kernarg_segment_align: 8
    .kernarg_segment_size: 88
    .language:       OpenCL C
    .language_version:
      - 2
      - 0
    .max_flat_workgroup_size: 256
    .name:           _ZN7rocprim17ROCPRIM_400000_NS6detail17trampoline_kernelINS0_14default_configENS1_35radix_sort_onesweep_config_selectorIiiEEZZNS1_29radix_sort_onesweep_iterationIS3_Lb1EN6thrust23THRUST_200600_302600_NS6detail15normal_iteratorINS8_10device_ptrIiEEEESD_SD_SD_jNS0_19identity_decomposerENS1_16block_id_wrapperIjLb0EEEEE10hipError_tT1_PNSt15iterator_traitsISI_E10value_typeET2_T3_PNSJ_ISO_E10value_typeET4_T5_PST_SU_PNS1_23onesweep_lookback_stateEbbT6_jjT7_P12ihipStream_tbENKUlT_T0_SI_SN_E_clISD_SD_SD_SD_EEDaS11_S12_SI_SN_EUlS11_E_NS1_11comp_targetILNS1_3genE3ELNS1_11target_archE908ELNS1_3gpuE7ELNS1_3repE0EEENS1_47radix_sort_onesweep_sort_config_static_selectorELNS0_4arch9wavefront6targetE1EEEvSI_
    .private_segment_fixed_size: 0
    .sgpr_count:     6
    .sgpr_spill_count: 0
    .symbol:         _ZN7rocprim17ROCPRIM_400000_NS6detail17trampoline_kernelINS0_14default_configENS1_35radix_sort_onesweep_config_selectorIiiEEZZNS1_29radix_sort_onesweep_iterationIS3_Lb1EN6thrust23THRUST_200600_302600_NS6detail15normal_iteratorINS8_10device_ptrIiEEEESD_SD_SD_jNS0_19identity_decomposerENS1_16block_id_wrapperIjLb0EEEEE10hipError_tT1_PNSt15iterator_traitsISI_E10value_typeET2_T3_PNSJ_ISO_E10value_typeET4_T5_PST_SU_PNS1_23onesweep_lookback_stateEbbT6_jjT7_P12ihipStream_tbENKUlT_T0_SI_SN_E_clISD_SD_SD_SD_EEDaS11_S12_SI_SN_EUlS11_E_NS1_11comp_targetILNS1_3genE3ELNS1_11target_archE908ELNS1_3gpuE7ELNS1_3repE0EEENS1_47radix_sort_onesweep_sort_config_static_selectorELNS0_4arch9wavefront6targetE1EEEvSI_.kd
    .uniform_work_group_size: 1
    .uses_dynamic_stack: false
    .vgpr_count:     0
    .vgpr_spill_count: 0
    .wavefront_size: 64
  - .agpr_count:     0
    .args:
      - .offset:         0
        .size:           88
        .value_kind:     by_value
    .group_segment_fixed_size: 0
    .kernarg_segment_align: 8
    .kernarg_segment_size: 88
    .language:       OpenCL C
    .language_version:
      - 2
      - 0
    .max_flat_workgroup_size: 1024
    .name:           _ZN7rocprim17ROCPRIM_400000_NS6detail17trampoline_kernelINS0_14default_configENS1_35radix_sort_onesweep_config_selectorIiiEEZZNS1_29radix_sort_onesweep_iterationIS3_Lb1EN6thrust23THRUST_200600_302600_NS6detail15normal_iteratorINS8_10device_ptrIiEEEESD_SD_SD_jNS0_19identity_decomposerENS1_16block_id_wrapperIjLb0EEEEE10hipError_tT1_PNSt15iterator_traitsISI_E10value_typeET2_T3_PNSJ_ISO_E10value_typeET4_T5_PST_SU_PNS1_23onesweep_lookback_stateEbbT6_jjT7_P12ihipStream_tbENKUlT_T0_SI_SN_E_clISD_SD_SD_SD_EEDaS11_S12_SI_SN_EUlS11_E_NS1_11comp_targetILNS1_3genE10ELNS1_11target_archE1201ELNS1_3gpuE5ELNS1_3repE0EEENS1_47radix_sort_onesweep_sort_config_static_selectorELNS0_4arch9wavefront6targetE1EEEvSI_
    .private_segment_fixed_size: 0
    .sgpr_count:     6
    .sgpr_spill_count: 0
    .symbol:         _ZN7rocprim17ROCPRIM_400000_NS6detail17trampoline_kernelINS0_14default_configENS1_35radix_sort_onesweep_config_selectorIiiEEZZNS1_29radix_sort_onesweep_iterationIS3_Lb1EN6thrust23THRUST_200600_302600_NS6detail15normal_iteratorINS8_10device_ptrIiEEEESD_SD_SD_jNS0_19identity_decomposerENS1_16block_id_wrapperIjLb0EEEEE10hipError_tT1_PNSt15iterator_traitsISI_E10value_typeET2_T3_PNSJ_ISO_E10value_typeET4_T5_PST_SU_PNS1_23onesweep_lookback_stateEbbT6_jjT7_P12ihipStream_tbENKUlT_T0_SI_SN_E_clISD_SD_SD_SD_EEDaS11_S12_SI_SN_EUlS11_E_NS1_11comp_targetILNS1_3genE10ELNS1_11target_archE1201ELNS1_3gpuE5ELNS1_3repE0EEENS1_47radix_sort_onesweep_sort_config_static_selectorELNS0_4arch9wavefront6targetE1EEEvSI_.kd
    .uniform_work_group_size: 1
    .uses_dynamic_stack: false
    .vgpr_count:     0
    .vgpr_spill_count: 0
    .wavefront_size: 64
  - .agpr_count:     0
    .args:
      - .offset:         0
        .size:           88
        .value_kind:     by_value
    .group_segment_fixed_size: 0
    .kernarg_segment_align: 8
    .kernarg_segment_size: 88
    .language:       OpenCL C
    .language_version:
      - 2
      - 0
    .max_flat_workgroup_size: 1024
    .name:           _ZN7rocprim17ROCPRIM_400000_NS6detail17trampoline_kernelINS0_14default_configENS1_35radix_sort_onesweep_config_selectorIiiEEZZNS1_29radix_sort_onesweep_iterationIS3_Lb1EN6thrust23THRUST_200600_302600_NS6detail15normal_iteratorINS8_10device_ptrIiEEEESD_SD_SD_jNS0_19identity_decomposerENS1_16block_id_wrapperIjLb0EEEEE10hipError_tT1_PNSt15iterator_traitsISI_E10value_typeET2_T3_PNSJ_ISO_E10value_typeET4_T5_PST_SU_PNS1_23onesweep_lookback_stateEbbT6_jjT7_P12ihipStream_tbENKUlT_T0_SI_SN_E_clISD_SD_SD_SD_EEDaS11_S12_SI_SN_EUlS11_E_NS1_11comp_targetILNS1_3genE9ELNS1_11target_archE1100ELNS1_3gpuE3ELNS1_3repE0EEENS1_47radix_sort_onesweep_sort_config_static_selectorELNS0_4arch9wavefront6targetE1EEEvSI_
    .private_segment_fixed_size: 0
    .sgpr_count:     6
    .sgpr_spill_count: 0
    .symbol:         _ZN7rocprim17ROCPRIM_400000_NS6detail17trampoline_kernelINS0_14default_configENS1_35radix_sort_onesweep_config_selectorIiiEEZZNS1_29radix_sort_onesweep_iterationIS3_Lb1EN6thrust23THRUST_200600_302600_NS6detail15normal_iteratorINS8_10device_ptrIiEEEESD_SD_SD_jNS0_19identity_decomposerENS1_16block_id_wrapperIjLb0EEEEE10hipError_tT1_PNSt15iterator_traitsISI_E10value_typeET2_T3_PNSJ_ISO_E10value_typeET4_T5_PST_SU_PNS1_23onesweep_lookback_stateEbbT6_jjT7_P12ihipStream_tbENKUlT_T0_SI_SN_E_clISD_SD_SD_SD_EEDaS11_S12_SI_SN_EUlS11_E_NS1_11comp_targetILNS1_3genE9ELNS1_11target_archE1100ELNS1_3gpuE3ELNS1_3repE0EEENS1_47radix_sort_onesweep_sort_config_static_selectorELNS0_4arch9wavefront6targetE1EEEvSI_.kd
    .uniform_work_group_size: 1
    .uses_dynamic_stack: false
    .vgpr_count:     0
    .vgpr_spill_count: 0
    .wavefront_size: 64
  - .agpr_count:     0
    .args:
      - .offset:         0
        .size:           88
        .value_kind:     by_value
    .group_segment_fixed_size: 0
    .kernarg_segment_align: 8
    .kernarg_segment_size: 88
    .language:       OpenCL C
    .language_version:
      - 2
      - 0
    .max_flat_workgroup_size: 1024
    .name:           _ZN7rocprim17ROCPRIM_400000_NS6detail17trampoline_kernelINS0_14default_configENS1_35radix_sort_onesweep_config_selectorIiiEEZZNS1_29radix_sort_onesweep_iterationIS3_Lb1EN6thrust23THRUST_200600_302600_NS6detail15normal_iteratorINS8_10device_ptrIiEEEESD_SD_SD_jNS0_19identity_decomposerENS1_16block_id_wrapperIjLb0EEEEE10hipError_tT1_PNSt15iterator_traitsISI_E10value_typeET2_T3_PNSJ_ISO_E10value_typeET4_T5_PST_SU_PNS1_23onesweep_lookback_stateEbbT6_jjT7_P12ihipStream_tbENKUlT_T0_SI_SN_E_clISD_SD_SD_SD_EEDaS11_S12_SI_SN_EUlS11_E_NS1_11comp_targetILNS1_3genE8ELNS1_11target_archE1030ELNS1_3gpuE2ELNS1_3repE0EEENS1_47radix_sort_onesweep_sort_config_static_selectorELNS0_4arch9wavefront6targetE1EEEvSI_
    .private_segment_fixed_size: 0
    .sgpr_count:     6
    .sgpr_spill_count: 0
    .symbol:         _ZN7rocprim17ROCPRIM_400000_NS6detail17trampoline_kernelINS0_14default_configENS1_35radix_sort_onesweep_config_selectorIiiEEZZNS1_29radix_sort_onesweep_iterationIS3_Lb1EN6thrust23THRUST_200600_302600_NS6detail15normal_iteratorINS8_10device_ptrIiEEEESD_SD_SD_jNS0_19identity_decomposerENS1_16block_id_wrapperIjLb0EEEEE10hipError_tT1_PNSt15iterator_traitsISI_E10value_typeET2_T3_PNSJ_ISO_E10value_typeET4_T5_PST_SU_PNS1_23onesweep_lookback_stateEbbT6_jjT7_P12ihipStream_tbENKUlT_T0_SI_SN_E_clISD_SD_SD_SD_EEDaS11_S12_SI_SN_EUlS11_E_NS1_11comp_targetILNS1_3genE8ELNS1_11target_archE1030ELNS1_3gpuE2ELNS1_3repE0EEENS1_47radix_sort_onesweep_sort_config_static_selectorELNS0_4arch9wavefront6targetE1EEEvSI_.kd
    .uniform_work_group_size: 1
    .uses_dynamic_stack: false
    .vgpr_count:     0
    .vgpr_spill_count: 0
    .wavefront_size: 64
  - .agpr_count:     0
    .args:
      - .offset:         0
        .size:           88
        .value_kind:     by_value
    .group_segment_fixed_size: 0
    .kernarg_segment_align: 8
    .kernarg_segment_size: 88
    .language:       OpenCL C
    .language_version:
      - 2
      - 0
    .max_flat_workgroup_size: 256
    .name:           _ZN7rocprim17ROCPRIM_400000_NS6detail17trampoline_kernelINS0_14default_configENS1_35radix_sort_onesweep_config_selectorIiiEEZZNS1_29radix_sort_onesweep_iterationIS3_Lb1EN6thrust23THRUST_200600_302600_NS6detail15normal_iteratorINS8_10device_ptrIiEEEESD_SD_SD_jNS0_19identity_decomposerENS1_16block_id_wrapperIjLb0EEEEE10hipError_tT1_PNSt15iterator_traitsISI_E10value_typeET2_T3_PNSJ_ISO_E10value_typeET4_T5_PST_SU_PNS1_23onesweep_lookback_stateEbbT6_jjT7_P12ihipStream_tbENKUlT_T0_SI_SN_E_clISD_PiSD_S15_EEDaS11_S12_SI_SN_EUlS11_E_NS1_11comp_targetILNS1_3genE0ELNS1_11target_archE4294967295ELNS1_3gpuE0ELNS1_3repE0EEENS1_47radix_sort_onesweep_sort_config_static_selectorELNS0_4arch9wavefront6targetE1EEEvSI_
    .private_segment_fixed_size: 0
    .sgpr_count:     6
    .sgpr_spill_count: 0
    .symbol:         _ZN7rocprim17ROCPRIM_400000_NS6detail17trampoline_kernelINS0_14default_configENS1_35radix_sort_onesweep_config_selectorIiiEEZZNS1_29radix_sort_onesweep_iterationIS3_Lb1EN6thrust23THRUST_200600_302600_NS6detail15normal_iteratorINS8_10device_ptrIiEEEESD_SD_SD_jNS0_19identity_decomposerENS1_16block_id_wrapperIjLb0EEEEE10hipError_tT1_PNSt15iterator_traitsISI_E10value_typeET2_T3_PNSJ_ISO_E10value_typeET4_T5_PST_SU_PNS1_23onesweep_lookback_stateEbbT6_jjT7_P12ihipStream_tbENKUlT_T0_SI_SN_E_clISD_PiSD_S15_EEDaS11_S12_SI_SN_EUlS11_E_NS1_11comp_targetILNS1_3genE0ELNS1_11target_archE4294967295ELNS1_3gpuE0ELNS1_3repE0EEENS1_47radix_sort_onesweep_sort_config_static_selectorELNS0_4arch9wavefront6targetE1EEEvSI_.kd
    .uniform_work_group_size: 1
    .uses_dynamic_stack: false
    .vgpr_count:     0
    .vgpr_spill_count: 0
    .wavefront_size: 64
  - .agpr_count:     0
    .args:
      - .offset:         0
        .size:           88
        .value_kind:     by_value
      - .offset:         88
        .size:           4
        .value_kind:     hidden_block_count_x
      - .offset:         92
        .size:           4
        .value_kind:     hidden_block_count_y
      - .offset:         96
        .size:           4
        .value_kind:     hidden_block_count_z
      - .offset:         100
        .size:           2
        .value_kind:     hidden_group_size_x
      - .offset:         102
        .size:           2
        .value_kind:     hidden_group_size_y
      - .offset:         104
        .size:           2
        .value_kind:     hidden_group_size_z
      - .offset:         106
        .size:           2
        .value_kind:     hidden_remainder_x
      - .offset:         108
        .size:           2
        .value_kind:     hidden_remainder_y
      - .offset:         110
        .size:           2
        .value_kind:     hidden_remainder_z
      - .offset:         128
        .size:           8
        .value_kind:     hidden_global_offset_x
      - .offset:         136
        .size:           8
        .value_kind:     hidden_global_offset_y
      - .offset:         144
        .size:           8
        .value_kind:     hidden_global_offset_z
      - .offset:         152
        .size:           2
        .value_kind:     hidden_grid_dims
    .group_segment_fixed_size: 20552
    .kernarg_segment_align: 8
    .kernarg_segment_size: 344
    .language:       OpenCL C
    .language_version:
      - 2
      - 0
    .max_flat_workgroup_size: 1024
    .name:           _ZN7rocprim17ROCPRIM_400000_NS6detail17trampoline_kernelINS0_14default_configENS1_35radix_sort_onesweep_config_selectorIiiEEZZNS1_29radix_sort_onesweep_iterationIS3_Lb1EN6thrust23THRUST_200600_302600_NS6detail15normal_iteratorINS8_10device_ptrIiEEEESD_SD_SD_jNS0_19identity_decomposerENS1_16block_id_wrapperIjLb0EEEEE10hipError_tT1_PNSt15iterator_traitsISI_E10value_typeET2_T3_PNSJ_ISO_E10value_typeET4_T5_PST_SU_PNS1_23onesweep_lookback_stateEbbT6_jjT7_P12ihipStream_tbENKUlT_T0_SI_SN_E_clISD_PiSD_S15_EEDaS11_S12_SI_SN_EUlS11_E_NS1_11comp_targetILNS1_3genE6ELNS1_11target_archE950ELNS1_3gpuE13ELNS1_3repE0EEENS1_47radix_sort_onesweep_sort_config_static_selectorELNS0_4arch9wavefront6targetE1EEEvSI_
    .private_segment_fixed_size: 80
    .sgpr_count:     76
    .sgpr_spill_count: 0
    .symbol:         _ZN7rocprim17ROCPRIM_400000_NS6detail17trampoline_kernelINS0_14default_configENS1_35radix_sort_onesweep_config_selectorIiiEEZZNS1_29radix_sort_onesweep_iterationIS3_Lb1EN6thrust23THRUST_200600_302600_NS6detail15normal_iteratorINS8_10device_ptrIiEEEESD_SD_SD_jNS0_19identity_decomposerENS1_16block_id_wrapperIjLb0EEEEE10hipError_tT1_PNSt15iterator_traitsISI_E10value_typeET2_T3_PNSJ_ISO_E10value_typeET4_T5_PST_SU_PNS1_23onesweep_lookback_stateEbbT6_jjT7_P12ihipStream_tbENKUlT_T0_SI_SN_E_clISD_PiSD_S15_EEDaS11_S12_SI_SN_EUlS11_E_NS1_11comp_targetILNS1_3genE6ELNS1_11target_archE950ELNS1_3gpuE13ELNS1_3repE0EEENS1_47radix_sort_onesweep_sort_config_static_selectorELNS0_4arch9wavefront6targetE1EEEvSI_.kd
    .uniform_work_group_size: 1
    .uses_dynamic_stack: false
    .vgpr_count:     88
    .vgpr_spill_count: 0
    .wavefront_size: 64
  - .agpr_count:     0
    .args:
      - .offset:         0
        .size:           88
        .value_kind:     by_value
    .group_segment_fixed_size: 0
    .kernarg_segment_align: 8
    .kernarg_segment_size: 88
    .language:       OpenCL C
    .language_version:
      - 2
      - 0
    .max_flat_workgroup_size: 1024
    .name:           _ZN7rocprim17ROCPRIM_400000_NS6detail17trampoline_kernelINS0_14default_configENS1_35radix_sort_onesweep_config_selectorIiiEEZZNS1_29radix_sort_onesweep_iterationIS3_Lb1EN6thrust23THRUST_200600_302600_NS6detail15normal_iteratorINS8_10device_ptrIiEEEESD_SD_SD_jNS0_19identity_decomposerENS1_16block_id_wrapperIjLb0EEEEE10hipError_tT1_PNSt15iterator_traitsISI_E10value_typeET2_T3_PNSJ_ISO_E10value_typeET4_T5_PST_SU_PNS1_23onesweep_lookback_stateEbbT6_jjT7_P12ihipStream_tbENKUlT_T0_SI_SN_E_clISD_PiSD_S15_EEDaS11_S12_SI_SN_EUlS11_E_NS1_11comp_targetILNS1_3genE5ELNS1_11target_archE942ELNS1_3gpuE9ELNS1_3repE0EEENS1_47radix_sort_onesweep_sort_config_static_selectorELNS0_4arch9wavefront6targetE1EEEvSI_
    .private_segment_fixed_size: 0
    .sgpr_count:     6
    .sgpr_spill_count: 0
    .symbol:         _ZN7rocprim17ROCPRIM_400000_NS6detail17trampoline_kernelINS0_14default_configENS1_35radix_sort_onesweep_config_selectorIiiEEZZNS1_29radix_sort_onesweep_iterationIS3_Lb1EN6thrust23THRUST_200600_302600_NS6detail15normal_iteratorINS8_10device_ptrIiEEEESD_SD_SD_jNS0_19identity_decomposerENS1_16block_id_wrapperIjLb0EEEEE10hipError_tT1_PNSt15iterator_traitsISI_E10value_typeET2_T3_PNSJ_ISO_E10value_typeET4_T5_PST_SU_PNS1_23onesweep_lookback_stateEbbT6_jjT7_P12ihipStream_tbENKUlT_T0_SI_SN_E_clISD_PiSD_S15_EEDaS11_S12_SI_SN_EUlS11_E_NS1_11comp_targetILNS1_3genE5ELNS1_11target_archE942ELNS1_3gpuE9ELNS1_3repE0EEENS1_47radix_sort_onesweep_sort_config_static_selectorELNS0_4arch9wavefront6targetE1EEEvSI_.kd
    .uniform_work_group_size: 1
    .uses_dynamic_stack: false
    .vgpr_count:     0
    .vgpr_spill_count: 0
    .wavefront_size: 64
  - .agpr_count:     0
    .args:
      - .offset:         0
        .size:           88
        .value_kind:     by_value
    .group_segment_fixed_size: 0
    .kernarg_segment_align: 8
    .kernarg_segment_size: 88
    .language:       OpenCL C
    .language_version:
      - 2
      - 0
    .max_flat_workgroup_size: 512
    .name:           _ZN7rocprim17ROCPRIM_400000_NS6detail17trampoline_kernelINS0_14default_configENS1_35radix_sort_onesweep_config_selectorIiiEEZZNS1_29radix_sort_onesweep_iterationIS3_Lb1EN6thrust23THRUST_200600_302600_NS6detail15normal_iteratorINS8_10device_ptrIiEEEESD_SD_SD_jNS0_19identity_decomposerENS1_16block_id_wrapperIjLb0EEEEE10hipError_tT1_PNSt15iterator_traitsISI_E10value_typeET2_T3_PNSJ_ISO_E10value_typeET4_T5_PST_SU_PNS1_23onesweep_lookback_stateEbbT6_jjT7_P12ihipStream_tbENKUlT_T0_SI_SN_E_clISD_PiSD_S15_EEDaS11_S12_SI_SN_EUlS11_E_NS1_11comp_targetILNS1_3genE2ELNS1_11target_archE906ELNS1_3gpuE6ELNS1_3repE0EEENS1_47radix_sort_onesweep_sort_config_static_selectorELNS0_4arch9wavefront6targetE1EEEvSI_
    .private_segment_fixed_size: 0
    .sgpr_count:     6
    .sgpr_spill_count: 0
    .symbol:         _ZN7rocprim17ROCPRIM_400000_NS6detail17trampoline_kernelINS0_14default_configENS1_35radix_sort_onesweep_config_selectorIiiEEZZNS1_29radix_sort_onesweep_iterationIS3_Lb1EN6thrust23THRUST_200600_302600_NS6detail15normal_iteratorINS8_10device_ptrIiEEEESD_SD_SD_jNS0_19identity_decomposerENS1_16block_id_wrapperIjLb0EEEEE10hipError_tT1_PNSt15iterator_traitsISI_E10value_typeET2_T3_PNSJ_ISO_E10value_typeET4_T5_PST_SU_PNS1_23onesweep_lookback_stateEbbT6_jjT7_P12ihipStream_tbENKUlT_T0_SI_SN_E_clISD_PiSD_S15_EEDaS11_S12_SI_SN_EUlS11_E_NS1_11comp_targetILNS1_3genE2ELNS1_11target_archE906ELNS1_3gpuE6ELNS1_3repE0EEENS1_47radix_sort_onesweep_sort_config_static_selectorELNS0_4arch9wavefront6targetE1EEEvSI_.kd
    .uniform_work_group_size: 1
    .uses_dynamic_stack: false
    .vgpr_count:     0
    .vgpr_spill_count: 0
    .wavefront_size: 64
  - .agpr_count:     0
    .args:
      - .offset:         0
        .size:           88
        .value_kind:     by_value
    .group_segment_fixed_size: 0
    .kernarg_segment_align: 8
    .kernarg_segment_size: 88
    .language:       OpenCL C
    .language_version:
      - 2
      - 0
    .max_flat_workgroup_size: 512
    .name:           _ZN7rocprim17ROCPRIM_400000_NS6detail17trampoline_kernelINS0_14default_configENS1_35radix_sort_onesweep_config_selectorIiiEEZZNS1_29radix_sort_onesweep_iterationIS3_Lb1EN6thrust23THRUST_200600_302600_NS6detail15normal_iteratorINS8_10device_ptrIiEEEESD_SD_SD_jNS0_19identity_decomposerENS1_16block_id_wrapperIjLb0EEEEE10hipError_tT1_PNSt15iterator_traitsISI_E10value_typeET2_T3_PNSJ_ISO_E10value_typeET4_T5_PST_SU_PNS1_23onesweep_lookback_stateEbbT6_jjT7_P12ihipStream_tbENKUlT_T0_SI_SN_E_clISD_PiSD_S15_EEDaS11_S12_SI_SN_EUlS11_E_NS1_11comp_targetILNS1_3genE4ELNS1_11target_archE910ELNS1_3gpuE8ELNS1_3repE0EEENS1_47radix_sort_onesweep_sort_config_static_selectorELNS0_4arch9wavefront6targetE1EEEvSI_
    .private_segment_fixed_size: 0
    .sgpr_count:     6
    .sgpr_spill_count: 0
    .symbol:         _ZN7rocprim17ROCPRIM_400000_NS6detail17trampoline_kernelINS0_14default_configENS1_35radix_sort_onesweep_config_selectorIiiEEZZNS1_29radix_sort_onesweep_iterationIS3_Lb1EN6thrust23THRUST_200600_302600_NS6detail15normal_iteratorINS8_10device_ptrIiEEEESD_SD_SD_jNS0_19identity_decomposerENS1_16block_id_wrapperIjLb0EEEEE10hipError_tT1_PNSt15iterator_traitsISI_E10value_typeET2_T3_PNSJ_ISO_E10value_typeET4_T5_PST_SU_PNS1_23onesweep_lookback_stateEbbT6_jjT7_P12ihipStream_tbENKUlT_T0_SI_SN_E_clISD_PiSD_S15_EEDaS11_S12_SI_SN_EUlS11_E_NS1_11comp_targetILNS1_3genE4ELNS1_11target_archE910ELNS1_3gpuE8ELNS1_3repE0EEENS1_47radix_sort_onesweep_sort_config_static_selectorELNS0_4arch9wavefront6targetE1EEEvSI_.kd
    .uniform_work_group_size: 1
    .uses_dynamic_stack: false
    .vgpr_count:     0
    .vgpr_spill_count: 0
    .wavefront_size: 64
  - .agpr_count:     0
    .args:
      - .offset:         0
        .size:           88
        .value_kind:     by_value
    .group_segment_fixed_size: 0
    .kernarg_segment_align: 8
    .kernarg_segment_size: 88
    .language:       OpenCL C
    .language_version:
      - 2
      - 0
    .max_flat_workgroup_size: 256
    .name:           _ZN7rocprim17ROCPRIM_400000_NS6detail17trampoline_kernelINS0_14default_configENS1_35radix_sort_onesweep_config_selectorIiiEEZZNS1_29radix_sort_onesweep_iterationIS3_Lb1EN6thrust23THRUST_200600_302600_NS6detail15normal_iteratorINS8_10device_ptrIiEEEESD_SD_SD_jNS0_19identity_decomposerENS1_16block_id_wrapperIjLb0EEEEE10hipError_tT1_PNSt15iterator_traitsISI_E10value_typeET2_T3_PNSJ_ISO_E10value_typeET4_T5_PST_SU_PNS1_23onesweep_lookback_stateEbbT6_jjT7_P12ihipStream_tbENKUlT_T0_SI_SN_E_clISD_PiSD_S15_EEDaS11_S12_SI_SN_EUlS11_E_NS1_11comp_targetILNS1_3genE3ELNS1_11target_archE908ELNS1_3gpuE7ELNS1_3repE0EEENS1_47radix_sort_onesweep_sort_config_static_selectorELNS0_4arch9wavefront6targetE1EEEvSI_
    .private_segment_fixed_size: 0
    .sgpr_count:     6
    .sgpr_spill_count: 0
    .symbol:         _ZN7rocprim17ROCPRIM_400000_NS6detail17trampoline_kernelINS0_14default_configENS1_35radix_sort_onesweep_config_selectorIiiEEZZNS1_29radix_sort_onesweep_iterationIS3_Lb1EN6thrust23THRUST_200600_302600_NS6detail15normal_iteratorINS8_10device_ptrIiEEEESD_SD_SD_jNS0_19identity_decomposerENS1_16block_id_wrapperIjLb0EEEEE10hipError_tT1_PNSt15iterator_traitsISI_E10value_typeET2_T3_PNSJ_ISO_E10value_typeET4_T5_PST_SU_PNS1_23onesweep_lookback_stateEbbT6_jjT7_P12ihipStream_tbENKUlT_T0_SI_SN_E_clISD_PiSD_S15_EEDaS11_S12_SI_SN_EUlS11_E_NS1_11comp_targetILNS1_3genE3ELNS1_11target_archE908ELNS1_3gpuE7ELNS1_3repE0EEENS1_47radix_sort_onesweep_sort_config_static_selectorELNS0_4arch9wavefront6targetE1EEEvSI_.kd
    .uniform_work_group_size: 1
    .uses_dynamic_stack: false
    .vgpr_count:     0
    .vgpr_spill_count: 0
    .wavefront_size: 64
  - .agpr_count:     0
    .args:
      - .offset:         0
        .size:           88
        .value_kind:     by_value
    .group_segment_fixed_size: 0
    .kernarg_segment_align: 8
    .kernarg_segment_size: 88
    .language:       OpenCL C
    .language_version:
      - 2
      - 0
    .max_flat_workgroup_size: 1024
    .name:           _ZN7rocprim17ROCPRIM_400000_NS6detail17trampoline_kernelINS0_14default_configENS1_35radix_sort_onesweep_config_selectorIiiEEZZNS1_29radix_sort_onesweep_iterationIS3_Lb1EN6thrust23THRUST_200600_302600_NS6detail15normal_iteratorINS8_10device_ptrIiEEEESD_SD_SD_jNS0_19identity_decomposerENS1_16block_id_wrapperIjLb0EEEEE10hipError_tT1_PNSt15iterator_traitsISI_E10value_typeET2_T3_PNSJ_ISO_E10value_typeET4_T5_PST_SU_PNS1_23onesweep_lookback_stateEbbT6_jjT7_P12ihipStream_tbENKUlT_T0_SI_SN_E_clISD_PiSD_S15_EEDaS11_S12_SI_SN_EUlS11_E_NS1_11comp_targetILNS1_3genE10ELNS1_11target_archE1201ELNS1_3gpuE5ELNS1_3repE0EEENS1_47radix_sort_onesweep_sort_config_static_selectorELNS0_4arch9wavefront6targetE1EEEvSI_
    .private_segment_fixed_size: 0
    .sgpr_count:     6
    .sgpr_spill_count: 0
    .symbol:         _ZN7rocprim17ROCPRIM_400000_NS6detail17trampoline_kernelINS0_14default_configENS1_35radix_sort_onesweep_config_selectorIiiEEZZNS1_29radix_sort_onesweep_iterationIS3_Lb1EN6thrust23THRUST_200600_302600_NS6detail15normal_iteratorINS8_10device_ptrIiEEEESD_SD_SD_jNS0_19identity_decomposerENS1_16block_id_wrapperIjLb0EEEEE10hipError_tT1_PNSt15iterator_traitsISI_E10value_typeET2_T3_PNSJ_ISO_E10value_typeET4_T5_PST_SU_PNS1_23onesweep_lookback_stateEbbT6_jjT7_P12ihipStream_tbENKUlT_T0_SI_SN_E_clISD_PiSD_S15_EEDaS11_S12_SI_SN_EUlS11_E_NS1_11comp_targetILNS1_3genE10ELNS1_11target_archE1201ELNS1_3gpuE5ELNS1_3repE0EEENS1_47radix_sort_onesweep_sort_config_static_selectorELNS0_4arch9wavefront6targetE1EEEvSI_.kd
    .uniform_work_group_size: 1
    .uses_dynamic_stack: false
    .vgpr_count:     0
    .vgpr_spill_count: 0
    .wavefront_size: 64
  - .agpr_count:     0
    .args:
      - .offset:         0
        .size:           88
        .value_kind:     by_value
    .group_segment_fixed_size: 0
    .kernarg_segment_align: 8
    .kernarg_segment_size: 88
    .language:       OpenCL C
    .language_version:
      - 2
      - 0
    .max_flat_workgroup_size: 1024
    .name:           _ZN7rocprim17ROCPRIM_400000_NS6detail17trampoline_kernelINS0_14default_configENS1_35radix_sort_onesweep_config_selectorIiiEEZZNS1_29radix_sort_onesweep_iterationIS3_Lb1EN6thrust23THRUST_200600_302600_NS6detail15normal_iteratorINS8_10device_ptrIiEEEESD_SD_SD_jNS0_19identity_decomposerENS1_16block_id_wrapperIjLb0EEEEE10hipError_tT1_PNSt15iterator_traitsISI_E10value_typeET2_T3_PNSJ_ISO_E10value_typeET4_T5_PST_SU_PNS1_23onesweep_lookback_stateEbbT6_jjT7_P12ihipStream_tbENKUlT_T0_SI_SN_E_clISD_PiSD_S15_EEDaS11_S12_SI_SN_EUlS11_E_NS1_11comp_targetILNS1_3genE9ELNS1_11target_archE1100ELNS1_3gpuE3ELNS1_3repE0EEENS1_47radix_sort_onesweep_sort_config_static_selectorELNS0_4arch9wavefront6targetE1EEEvSI_
    .private_segment_fixed_size: 0
    .sgpr_count:     6
    .sgpr_spill_count: 0
    .symbol:         _ZN7rocprim17ROCPRIM_400000_NS6detail17trampoline_kernelINS0_14default_configENS1_35radix_sort_onesweep_config_selectorIiiEEZZNS1_29radix_sort_onesweep_iterationIS3_Lb1EN6thrust23THRUST_200600_302600_NS6detail15normal_iteratorINS8_10device_ptrIiEEEESD_SD_SD_jNS0_19identity_decomposerENS1_16block_id_wrapperIjLb0EEEEE10hipError_tT1_PNSt15iterator_traitsISI_E10value_typeET2_T3_PNSJ_ISO_E10value_typeET4_T5_PST_SU_PNS1_23onesweep_lookback_stateEbbT6_jjT7_P12ihipStream_tbENKUlT_T0_SI_SN_E_clISD_PiSD_S15_EEDaS11_S12_SI_SN_EUlS11_E_NS1_11comp_targetILNS1_3genE9ELNS1_11target_archE1100ELNS1_3gpuE3ELNS1_3repE0EEENS1_47radix_sort_onesweep_sort_config_static_selectorELNS0_4arch9wavefront6targetE1EEEvSI_.kd
    .uniform_work_group_size: 1
    .uses_dynamic_stack: false
    .vgpr_count:     0
    .vgpr_spill_count: 0
    .wavefront_size: 64
  - .agpr_count:     0
    .args:
      - .offset:         0
        .size:           88
        .value_kind:     by_value
    .group_segment_fixed_size: 0
    .kernarg_segment_align: 8
    .kernarg_segment_size: 88
    .language:       OpenCL C
    .language_version:
      - 2
      - 0
    .max_flat_workgroup_size: 1024
    .name:           _ZN7rocprim17ROCPRIM_400000_NS6detail17trampoline_kernelINS0_14default_configENS1_35radix_sort_onesweep_config_selectorIiiEEZZNS1_29radix_sort_onesweep_iterationIS3_Lb1EN6thrust23THRUST_200600_302600_NS6detail15normal_iteratorINS8_10device_ptrIiEEEESD_SD_SD_jNS0_19identity_decomposerENS1_16block_id_wrapperIjLb0EEEEE10hipError_tT1_PNSt15iterator_traitsISI_E10value_typeET2_T3_PNSJ_ISO_E10value_typeET4_T5_PST_SU_PNS1_23onesweep_lookback_stateEbbT6_jjT7_P12ihipStream_tbENKUlT_T0_SI_SN_E_clISD_PiSD_S15_EEDaS11_S12_SI_SN_EUlS11_E_NS1_11comp_targetILNS1_3genE8ELNS1_11target_archE1030ELNS1_3gpuE2ELNS1_3repE0EEENS1_47radix_sort_onesweep_sort_config_static_selectorELNS0_4arch9wavefront6targetE1EEEvSI_
    .private_segment_fixed_size: 0
    .sgpr_count:     6
    .sgpr_spill_count: 0
    .symbol:         _ZN7rocprim17ROCPRIM_400000_NS6detail17trampoline_kernelINS0_14default_configENS1_35radix_sort_onesweep_config_selectorIiiEEZZNS1_29radix_sort_onesweep_iterationIS3_Lb1EN6thrust23THRUST_200600_302600_NS6detail15normal_iteratorINS8_10device_ptrIiEEEESD_SD_SD_jNS0_19identity_decomposerENS1_16block_id_wrapperIjLb0EEEEE10hipError_tT1_PNSt15iterator_traitsISI_E10value_typeET2_T3_PNSJ_ISO_E10value_typeET4_T5_PST_SU_PNS1_23onesweep_lookback_stateEbbT6_jjT7_P12ihipStream_tbENKUlT_T0_SI_SN_E_clISD_PiSD_S15_EEDaS11_S12_SI_SN_EUlS11_E_NS1_11comp_targetILNS1_3genE8ELNS1_11target_archE1030ELNS1_3gpuE2ELNS1_3repE0EEENS1_47radix_sort_onesweep_sort_config_static_selectorELNS0_4arch9wavefront6targetE1EEEvSI_.kd
    .uniform_work_group_size: 1
    .uses_dynamic_stack: false
    .vgpr_count:     0
    .vgpr_spill_count: 0
    .wavefront_size: 64
  - .agpr_count:     0
    .args:
      - .offset:         0
        .size:           88
        .value_kind:     by_value
    .group_segment_fixed_size: 0
    .kernarg_segment_align: 8
    .kernarg_segment_size: 88
    .language:       OpenCL C
    .language_version:
      - 2
      - 0
    .max_flat_workgroup_size: 256
    .name:           _ZN7rocprim17ROCPRIM_400000_NS6detail17trampoline_kernelINS0_14default_configENS1_35radix_sort_onesweep_config_selectorIiiEEZZNS1_29radix_sort_onesweep_iterationIS3_Lb1EN6thrust23THRUST_200600_302600_NS6detail15normal_iteratorINS8_10device_ptrIiEEEESD_SD_SD_jNS0_19identity_decomposerENS1_16block_id_wrapperIjLb0EEEEE10hipError_tT1_PNSt15iterator_traitsISI_E10value_typeET2_T3_PNSJ_ISO_E10value_typeET4_T5_PST_SU_PNS1_23onesweep_lookback_stateEbbT6_jjT7_P12ihipStream_tbENKUlT_T0_SI_SN_E_clIPiSD_S15_SD_EEDaS11_S12_SI_SN_EUlS11_E_NS1_11comp_targetILNS1_3genE0ELNS1_11target_archE4294967295ELNS1_3gpuE0ELNS1_3repE0EEENS1_47radix_sort_onesweep_sort_config_static_selectorELNS0_4arch9wavefront6targetE1EEEvSI_
    .private_segment_fixed_size: 0
    .sgpr_count:     6
    .sgpr_spill_count: 0
    .symbol:         _ZN7rocprim17ROCPRIM_400000_NS6detail17trampoline_kernelINS0_14default_configENS1_35radix_sort_onesweep_config_selectorIiiEEZZNS1_29radix_sort_onesweep_iterationIS3_Lb1EN6thrust23THRUST_200600_302600_NS6detail15normal_iteratorINS8_10device_ptrIiEEEESD_SD_SD_jNS0_19identity_decomposerENS1_16block_id_wrapperIjLb0EEEEE10hipError_tT1_PNSt15iterator_traitsISI_E10value_typeET2_T3_PNSJ_ISO_E10value_typeET4_T5_PST_SU_PNS1_23onesweep_lookback_stateEbbT6_jjT7_P12ihipStream_tbENKUlT_T0_SI_SN_E_clIPiSD_S15_SD_EEDaS11_S12_SI_SN_EUlS11_E_NS1_11comp_targetILNS1_3genE0ELNS1_11target_archE4294967295ELNS1_3gpuE0ELNS1_3repE0EEENS1_47radix_sort_onesweep_sort_config_static_selectorELNS0_4arch9wavefront6targetE1EEEvSI_.kd
    .uniform_work_group_size: 1
    .uses_dynamic_stack: false
    .vgpr_count:     0
    .vgpr_spill_count: 0
    .wavefront_size: 64
  - .agpr_count:     0
    .args:
      - .offset:         0
        .size:           88
        .value_kind:     by_value
      - .offset:         88
        .size:           4
        .value_kind:     hidden_block_count_x
      - .offset:         92
        .size:           4
        .value_kind:     hidden_block_count_y
      - .offset:         96
        .size:           4
        .value_kind:     hidden_block_count_z
      - .offset:         100
        .size:           2
        .value_kind:     hidden_group_size_x
      - .offset:         102
        .size:           2
        .value_kind:     hidden_group_size_y
      - .offset:         104
        .size:           2
        .value_kind:     hidden_group_size_z
      - .offset:         106
        .size:           2
        .value_kind:     hidden_remainder_x
      - .offset:         108
        .size:           2
        .value_kind:     hidden_remainder_y
      - .offset:         110
        .size:           2
        .value_kind:     hidden_remainder_z
      - .offset:         128
        .size:           8
        .value_kind:     hidden_global_offset_x
      - .offset:         136
        .size:           8
        .value_kind:     hidden_global_offset_y
      - .offset:         144
        .size:           8
        .value_kind:     hidden_global_offset_z
      - .offset:         152
        .size:           2
        .value_kind:     hidden_grid_dims
    .group_segment_fixed_size: 20552
    .kernarg_segment_align: 8
    .kernarg_segment_size: 344
    .language:       OpenCL C
    .language_version:
      - 2
      - 0
    .max_flat_workgroup_size: 1024
    .name:           _ZN7rocprim17ROCPRIM_400000_NS6detail17trampoline_kernelINS0_14default_configENS1_35radix_sort_onesweep_config_selectorIiiEEZZNS1_29radix_sort_onesweep_iterationIS3_Lb1EN6thrust23THRUST_200600_302600_NS6detail15normal_iteratorINS8_10device_ptrIiEEEESD_SD_SD_jNS0_19identity_decomposerENS1_16block_id_wrapperIjLb0EEEEE10hipError_tT1_PNSt15iterator_traitsISI_E10value_typeET2_T3_PNSJ_ISO_E10value_typeET4_T5_PST_SU_PNS1_23onesweep_lookback_stateEbbT6_jjT7_P12ihipStream_tbENKUlT_T0_SI_SN_E_clIPiSD_S15_SD_EEDaS11_S12_SI_SN_EUlS11_E_NS1_11comp_targetILNS1_3genE6ELNS1_11target_archE950ELNS1_3gpuE13ELNS1_3repE0EEENS1_47radix_sort_onesweep_sort_config_static_selectorELNS0_4arch9wavefront6targetE1EEEvSI_
    .private_segment_fixed_size: 80
    .sgpr_count:     76
    .sgpr_spill_count: 0
    .symbol:         _ZN7rocprim17ROCPRIM_400000_NS6detail17trampoline_kernelINS0_14default_configENS1_35radix_sort_onesweep_config_selectorIiiEEZZNS1_29radix_sort_onesweep_iterationIS3_Lb1EN6thrust23THRUST_200600_302600_NS6detail15normal_iteratorINS8_10device_ptrIiEEEESD_SD_SD_jNS0_19identity_decomposerENS1_16block_id_wrapperIjLb0EEEEE10hipError_tT1_PNSt15iterator_traitsISI_E10value_typeET2_T3_PNSJ_ISO_E10value_typeET4_T5_PST_SU_PNS1_23onesweep_lookback_stateEbbT6_jjT7_P12ihipStream_tbENKUlT_T0_SI_SN_E_clIPiSD_S15_SD_EEDaS11_S12_SI_SN_EUlS11_E_NS1_11comp_targetILNS1_3genE6ELNS1_11target_archE950ELNS1_3gpuE13ELNS1_3repE0EEENS1_47radix_sort_onesweep_sort_config_static_selectorELNS0_4arch9wavefront6targetE1EEEvSI_.kd
    .uniform_work_group_size: 1
    .uses_dynamic_stack: false
    .vgpr_count:     88
    .vgpr_spill_count: 0
    .wavefront_size: 64
  - .agpr_count:     0
    .args:
      - .offset:         0
        .size:           88
        .value_kind:     by_value
    .group_segment_fixed_size: 0
    .kernarg_segment_align: 8
    .kernarg_segment_size: 88
    .language:       OpenCL C
    .language_version:
      - 2
      - 0
    .max_flat_workgroup_size: 1024
    .name:           _ZN7rocprim17ROCPRIM_400000_NS6detail17trampoline_kernelINS0_14default_configENS1_35radix_sort_onesweep_config_selectorIiiEEZZNS1_29radix_sort_onesweep_iterationIS3_Lb1EN6thrust23THRUST_200600_302600_NS6detail15normal_iteratorINS8_10device_ptrIiEEEESD_SD_SD_jNS0_19identity_decomposerENS1_16block_id_wrapperIjLb0EEEEE10hipError_tT1_PNSt15iterator_traitsISI_E10value_typeET2_T3_PNSJ_ISO_E10value_typeET4_T5_PST_SU_PNS1_23onesweep_lookback_stateEbbT6_jjT7_P12ihipStream_tbENKUlT_T0_SI_SN_E_clIPiSD_S15_SD_EEDaS11_S12_SI_SN_EUlS11_E_NS1_11comp_targetILNS1_3genE5ELNS1_11target_archE942ELNS1_3gpuE9ELNS1_3repE0EEENS1_47radix_sort_onesweep_sort_config_static_selectorELNS0_4arch9wavefront6targetE1EEEvSI_
    .private_segment_fixed_size: 0
    .sgpr_count:     6
    .sgpr_spill_count: 0
    .symbol:         _ZN7rocprim17ROCPRIM_400000_NS6detail17trampoline_kernelINS0_14default_configENS1_35radix_sort_onesweep_config_selectorIiiEEZZNS1_29radix_sort_onesweep_iterationIS3_Lb1EN6thrust23THRUST_200600_302600_NS6detail15normal_iteratorINS8_10device_ptrIiEEEESD_SD_SD_jNS0_19identity_decomposerENS1_16block_id_wrapperIjLb0EEEEE10hipError_tT1_PNSt15iterator_traitsISI_E10value_typeET2_T3_PNSJ_ISO_E10value_typeET4_T5_PST_SU_PNS1_23onesweep_lookback_stateEbbT6_jjT7_P12ihipStream_tbENKUlT_T0_SI_SN_E_clIPiSD_S15_SD_EEDaS11_S12_SI_SN_EUlS11_E_NS1_11comp_targetILNS1_3genE5ELNS1_11target_archE942ELNS1_3gpuE9ELNS1_3repE0EEENS1_47radix_sort_onesweep_sort_config_static_selectorELNS0_4arch9wavefront6targetE1EEEvSI_.kd
    .uniform_work_group_size: 1
    .uses_dynamic_stack: false
    .vgpr_count:     0
    .vgpr_spill_count: 0
    .wavefront_size: 64
  - .agpr_count:     0
    .args:
      - .offset:         0
        .size:           88
        .value_kind:     by_value
    .group_segment_fixed_size: 0
    .kernarg_segment_align: 8
    .kernarg_segment_size: 88
    .language:       OpenCL C
    .language_version:
      - 2
      - 0
    .max_flat_workgroup_size: 512
    .name:           _ZN7rocprim17ROCPRIM_400000_NS6detail17trampoline_kernelINS0_14default_configENS1_35radix_sort_onesweep_config_selectorIiiEEZZNS1_29radix_sort_onesweep_iterationIS3_Lb1EN6thrust23THRUST_200600_302600_NS6detail15normal_iteratorINS8_10device_ptrIiEEEESD_SD_SD_jNS0_19identity_decomposerENS1_16block_id_wrapperIjLb0EEEEE10hipError_tT1_PNSt15iterator_traitsISI_E10value_typeET2_T3_PNSJ_ISO_E10value_typeET4_T5_PST_SU_PNS1_23onesweep_lookback_stateEbbT6_jjT7_P12ihipStream_tbENKUlT_T0_SI_SN_E_clIPiSD_S15_SD_EEDaS11_S12_SI_SN_EUlS11_E_NS1_11comp_targetILNS1_3genE2ELNS1_11target_archE906ELNS1_3gpuE6ELNS1_3repE0EEENS1_47radix_sort_onesweep_sort_config_static_selectorELNS0_4arch9wavefront6targetE1EEEvSI_
    .private_segment_fixed_size: 0
    .sgpr_count:     6
    .sgpr_spill_count: 0
    .symbol:         _ZN7rocprim17ROCPRIM_400000_NS6detail17trampoline_kernelINS0_14default_configENS1_35radix_sort_onesweep_config_selectorIiiEEZZNS1_29radix_sort_onesweep_iterationIS3_Lb1EN6thrust23THRUST_200600_302600_NS6detail15normal_iteratorINS8_10device_ptrIiEEEESD_SD_SD_jNS0_19identity_decomposerENS1_16block_id_wrapperIjLb0EEEEE10hipError_tT1_PNSt15iterator_traitsISI_E10value_typeET2_T3_PNSJ_ISO_E10value_typeET4_T5_PST_SU_PNS1_23onesweep_lookback_stateEbbT6_jjT7_P12ihipStream_tbENKUlT_T0_SI_SN_E_clIPiSD_S15_SD_EEDaS11_S12_SI_SN_EUlS11_E_NS1_11comp_targetILNS1_3genE2ELNS1_11target_archE906ELNS1_3gpuE6ELNS1_3repE0EEENS1_47radix_sort_onesweep_sort_config_static_selectorELNS0_4arch9wavefront6targetE1EEEvSI_.kd
    .uniform_work_group_size: 1
    .uses_dynamic_stack: false
    .vgpr_count:     0
    .vgpr_spill_count: 0
    .wavefront_size: 64
  - .agpr_count:     0
    .args:
      - .offset:         0
        .size:           88
        .value_kind:     by_value
    .group_segment_fixed_size: 0
    .kernarg_segment_align: 8
    .kernarg_segment_size: 88
    .language:       OpenCL C
    .language_version:
      - 2
      - 0
    .max_flat_workgroup_size: 512
    .name:           _ZN7rocprim17ROCPRIM_400000_NS6detail17trampoline_kernelINS0_14default_configENS1_35radix_sort_onesweep_config_selectorIiiEEZZNS1_29radix_sort_onesweep_iterationIS3_Lb1EN6thrust23THRUST_200600_302600_NS6detail15normal_iteratorINS8_10device_ptrIiEEEESD_SD_SD_jNS0_19identity_decomposerENS1_16block_id_wrapperIjLb0EEEEE10hipError_tT1_PNSt15iterator_traitsISI_E10value_typeET2_T3_PNSJ_ISO_E10value_typeET4_T5_PST_SU_PNS1_23onesweep_lookback_stateEbbT6_jjT7_P12ihipStream_tbENKUlT_T0_SI_SN_E_clIPiSD_S15_SD_EEDaS11_S12_SI_SN_EUlS11_E_NS1_11comp_targetILNS1_3genE4ELNS1_11target_archE910ELNS1_3gpuE8ELNS1_3repE0EEENS1_47radix_sort_onesweep_sort_config_static_selectorELNS0_4arch9wavefront6targetE1EEEvSI_
    .private_segment_fixed_size: 0
    .sgpr_count:     6
    .sgpr_spill_count: 0
    .symbol:         _ZN7rocprim17ROCPRIM_400000_NS6detail17trampoline_kernelINS0_14default_configENS1_35radix_sort_onesweep_config_selectorIiiEEZZNS1_29radix_sort_onesweep_iterationIS3_Lb1EN6thrust23THRUST_200600_302600_NS6detail15normal_iteratorINS8_10device_ptrIiEEEESD_SD_SD_jNS0_19identity_decomposerENS1_16block_id_wrapperIjLb0EEEEE10hipError_tT1_PNSt15iterator_traitsISI_E10value_typeET2_T3_PNSJ_ISO_E10value_typeET4_T5_PST_SU_PNS1_23onesweep_lookback_stateEbbT6_jjT7_P12ihipStream_tbENKUlT_T0_SI_SN_E_clIPiSD_S15_SD_EEDaS11_S12_SI_SN_EUlS11_E_NS1_11comp_targetILNS1_3genE4ELNS1_11target_archE910ELNS1_3gpuE8ELNS1_3repE0EEENS1_47radix_sort_onesweep_sort_config_static_selectorELNS0_4arch9wavefront6targetE1EEEvSI_.kd
    .uniform_work_group_size: 1
    .uses_dynamic_stack: false
    .vgpr_count:     0
    .vgpr_spill_count: 0
    .wavefront_size: 64
  - .agpr_count:     0
    .args:
      - .offset:         0
        .size:           88
        .value_kind:     by_value
    .group_segment_fixed_size: 0
    .kernarg_segment_align: 8
    .kernarg_segment_size: 88
    .language:       OpenCL C
    .language_version:
      - 2
      - 0
    .max_flat_workgroup_size: 256
    .name:           _ZN7rocprim17ROCPRIM_400000_NS6detail17trampoline_kernelINS0_14default_configENS1_35radix_sort_onesweep_config_selectorIiiEEZZNS1_29radix_sort_onesweep_iterationIS3_Lb1EN6thrust23THRUST_200600_302600_NS6detail15normal_iteratorINS8_10device_ptrIiEEEESD_SD_SD_jNS0_19identity_decomposerENS1_16block_id_wrapperIjLb0EEEEE10hipError_tT1_PNSt15iterator_traitsISI_E10value_typeET2_T3_PNSJ_ISO_E10value_typeET4_T5_PST_SU_PNS1_23onesweep_lookback_stateEbbT6_jjT7_P12ihipStream_tbENKUlT_T0_SI_SN_E_clIPiSD_S15_SD_EEDaS11_S12_SI_SN_EUlS11_E_NS1_11comp_targetILNS1_3genE3ELNS1_11target_archE908ELNS1_3gpuE7ELNS1_3repE0EEENS1_47radix_sort_onesweep_sort_config_static_selectorELNS0_4arch9wavefront6targetE1EEEvSI_
    .private_segment_fixed_size: 0
    .sgpr_count:     6
    .sgpr_spill_count: 0
    .symbol:         _ZN7rocprim17ROCPRIM_400000_NS6detail17trampoline_kernelINS0_14default_configENS1_35radix_sort_onesweep_config_selectorIiiEEZZNS1_29radix_sort_onesweep_iterationIS3_Lb1EN6thrust23THRUST_200600_302600_NS6detail15normal_iteratorINS8_10device_ptrIiEEEESD_SD_SD_jNS0_19identity_decomposerENS1_16block_id_wrapperIjLb0EEEEE10hipError_tT1_PNSt15iterator_traitsISI_E10value_typeET2_T3_PNSJ_ISO_E10value_typeET4_T5_PST_SU_PNS1_23onesweep_lookback_stateEbbT6_jjT7_P12ihipStream_tbENKUlT_T0_SI_SN_E_clIPiSD_S15_SD_EEDaS11_S12_SI_SN_EUlS11_E_NS1_11comp_targetILNS1_3genE3ELNS1_11target_archE908ELNS1_3gpuE7ELNS1_3repE0EEENS1_47radix_sort_onesweep_sort_config_static_selectorELNS0_4arch9wavefront6targetE1EEEvSI_.kd
    .uniform_work_group_size: 1
    .uses_dynamic_stack: false
    .vgpr_count:     0
    .vgpr_spill_count: 0
    .wavefront_size: 64
  - .agpr_count:     0
    .args:
      - .offset:         0
        .size:           88
        .value_kind:     by_value
    .group_segment_fixed_size: 0
    .kernarg_segment_align: 8
    .kernarg_segment_size: 88
    .language:       OpenCL C
    .language_version:
      - 2
      - 0
    .max_flat_workgroup_size: 1024
    .name:           _ZN7rocprim17ROCPRIM_400000_NS6detail17trampoline_kernelINS0_14default_configENS1_35radix_sort_onesweep_config_selectorIiiEEZZNS1_29radix_sort_onesweep_iterationIS3_Lb1EN6thrust23THRUST_200600_302600_NS6detail15normal_iteratorINS8_10device_ptrIiEEEESD_SD_SD_jNS0_19identity_decomposerENS1_16block_id_wrapperIjLb0EEEEE10hipError_tT1_PNSt15iterator_traitsISI_E10value_typeET2_T3_PNSJ_ISO_E10value_typeET4_T5_PST_SU_PNS1_23onesweep_lookback_stateEbbT6_jjT7_P12ihipStream_tbENKUlT_T0_SI_SN_E_clIPiSD_S15_SD_EEDaS11_S12_SI_SN_EUlS11_E_NS1_11comp_targetILNS1_3genE10ELNS1_11target_archE1201ELNS1_3gpuE5ELNS1_3repE0EEENS1_47radix_sort_onesweep_sort_config_static_selectorELNS0_4arch9wavefront6targetE1EEEvSI_
    .private_segment_fixed_size: 0
    .sgpr_count:     6
    .sgpr_spill_count: 0
    .symbol:         _ZN7rocprim17ROCPRIM_400000_NS6detail17trampoline_kernelINS0_14default_configENS1_35radix_sort_onesweep_config_selectorIiiEEZZNS1_29radix_sort_onesweep_iterationIS3_Lb1EN6thrust23THRUST_200600_302600_NS6detail15normal_iteratorINS8_10device_ptrIiEEEESD_SD_SD_jNS0_19identity_decomposerENS1_16block_id_wrapperIjLb0EEEEE10hipError_tT1_PNSt15iterator_traitsISI_E10value_typeET2_T3_PNSJ_ISO_E10value_typeET4_T5_PST_SU_PNS1_23onesweep_lookback_stateEbbT6_jjT7_P12ihipStream_tbENKUlT_T0_SI_SN_E_clIPiSD_S15_SD_EEDaS11_S12_SI_SN_EUlS11_E_NS1_11comp_targetILNS1_3genE10ELNS1_11target_archE1201ELNS1_3gpuE5ELNS1_3repE0EEENS1_47radix_sort_onesweep_sort_config_static_selectorELNS0_4arch9wavefront6targetE1EEEvSI_.kd
    .uniform_work_group_size: 1
    .uses_dynamic_stack: false
    .vgpr_count:     0
    .vgpr_spill_count: 0
    .wavefront_size: 64
  - .agpr_count:     0
    .args:
      - .offset:         0
        .size:           88
        .value_kind:     by_value
    .group_segment_fixed_size: 0
    .kernarg_segment_align: 8
    .kernarg_segment_size: 88
    .language:       OpenCL C
    .language_version:
      - 2
      - 0
    .max_flat_workgroup_size: 1024
    .name:           _ZN7rocprim17ROCPRIM_400000_NS6detail17trampoline_kernelINS0_14default_configENS1_35radix_sort_onesweep_config_selectorIiiEEZZNS1_29radix_sort_onesweep_iterationIS3_Lb1EN6thrust23THRUST_200600_302600_NS6detail15normal_iteratorINS8_10device_ptrIiEEEESD_SD_SD_jNS0_19identity_decomposerENS1_16block_id_wrapperIjLb0EEEEE10hipError_tT1_PNSt15iterator_traitsISI_E10value_typeET2_T3_PNSJ_ISO_E10value_typeET4_T5_PST_SU_PNS1_23onesweep_lookback_stateEbbT6_jjT7_P12ihipStream_tbENKUlT_T0_SI_SN_E_clIPiSD_S15_SD_EEDaS11_S12_SI_SN_EUlS11_E_NS1_11comp_targetILNS1_3genE9ELNS1_11target_archE1100ELNS1_3gpuE3ELNS1_3repE0EEENS1_47radix_sort_onesweep_sort_config_static_selectorELNS0_4arch9wavefront6targetE1EEEvSI_
    .private_segment_fixed_size: 0
    .sgpr_count:     6
    .sgpr_spill_count: 0
    .symbol:         _ZN7rocprim17ROCPRIM_400000_NS6detail17trampoline_kernelINS0_14default_configENS1_35radix_sort_onesweep_config_selectorIiiEEZZNS1_29radix_sort_onesweep_iterationIS3_Lb1EN6thrust23THRUST_200600_302600_NS6detail15normal_iteratorINS8_10device_ptrIiEEEESD_SD_SD_jNS0_19identity_decomposerENS1_16block_id_wrapperIjLb0EEEEE10hipError_tT1_PNSt15iterator_traitsISI_E10value_typeET2_T3_PNSJ_ISO_E10value_typeET4_T5_PST_SU_PNS1_23onesweep_lookback_stateEbbT6_jjT7_P12ihipStream_tbENKUlT_T0_SI_SN_E_clIPiSD_S15_SD_EEDaS11_S12_SI_SN_EUlS11_E_NS1_11comp_targetILNS1_3genE9ELNS1_11target_archE1100ELNS1_3gpuE3ELNS1_3repE0EEENS1_47radix_sort_onesweep_sort_config_static_selectorELNS0_4arch9wavefront6targetE1EEEvSI_.kd
    .uniform_work_group_size: 1
    .uses_dynamic_stack: false
    .vgpr_count:     0
    .vgpr_spill_count: 0
    .wavefront_size: 64
  - .agpr_count:     0
    .args:
      - .offset:         0
        .size:           88
        .value_kind:     by_value
    .group_segment_fixed_size: 0
    .kernarg_segment_align: 8
    .kernarg_segment_size: 88
    .language:       OpenCL C
    .language_version:
      - 2
      - 0
    .max_flat_workgroup_size: 1024
    .name:           _ZN7rocprim17ROCPRIM_400000_NS6detail17trampoline_kernelINS0_14default_configENS1_35radix_sort_onesweep_config_selectorIiiEEZZNS1_29radix_sort_onesweep_iterationIS3_Lb1EN6thrust23THRUST_200600_302600_NS6detail15normal_iteratorINS8_10device_ptrIiEEEESD_SD_SD_jNS0_19identity_decomposerENS1_16block_id_wrapperIjLb0EEEEE10hipError_tT1_PNSt15iterator_traitsISI_E10value_typeET2_T3_PNSJ_ISO_E10value_typeET4_T5_PST_SU_PNS1_23onesweep_lookback_stateEbbT6_jjT7_P12ihipStream_tbENKUlT_T0_SI_SN_E_clIPiSD_S15_SD_EEDaS11_S12_SI_SN_EUlS11_E_NS1_11comp_targetILNS1_3genE8ELNS1_11target_archE1030ELNS1_3gpuE2ELNS1_3repE0EEENS1_47radix_sort_onesweep_sort_config_static_selectorELNS0_4arch9wavefront6targetE1EEEvSI_
    .private_segment_fixed_size: 0
    .sgpr_count:     6
    .sgpr_spill_count: 0
    .symbol:         _ZN7rocprim17ROCPRIM_400000_NS6detail17trampoline_kernelINS0_14default_configENS1_35radix_sort_onesweep_config_selectorIiiEEZZNS1_29radix_sort_onesweep_iterationIS3_Lb1EN6thrust23THRUST_200600_302600_NS6detail15normal_iteratorINS8_10device_ptrIiEEEESD_SD_SD_jNS0_19identity_decomposerENS1_16block_id_wrapperIjLb0EEEEE10hipError_tT1_PNSt15iterator_traitsISI_E10value_typeET2_T3_PNSJ_ISO_E10value_typeET4_T5_PST_SU_PNS1_23onesweep_lookback_stateEbbT6_jjT7_P12ihipStream_tbENKUlT_T0_SI_SN_E_clIPiSD_S15_SD_EEDaS11_S12_SI_SN_EUlS11_E_NS1_11comp_targetILNS1_3genE8ELNS1_11target_archE1030ELNS1_3gpuE2ELNS1_3repE0EEENS1_47radix_sort_onesweep_sort_config_static_selectorELNS0_4arch9wavefront6targetE1EEEvSI_.kd
    .uniform_work_group_size: 1
    .uses_dynamic_stack: false
    .vgpr_count:     0
    .vgpr_spill_count: 0
    .wavefront_size: 64
  - .agpr_count:     0
    .args:
      - .offset:         0
        .size:           48
        .value_kind:     by_value
      - .offset:         48
        .size:           4
        .value_kind:     hidden_block_count_x
      - .offset:         52
        .size:           4
        .value_kind:     hidden_block_count_y
      - .offset:         56
        .size:           4
        .value_kind:     hidden_block_count_z
      - .offset:         60
        .size:           2
        .value_kind:     hidden_group_size_x
      - .offset:         62
        .size:           2
        .value_kind:     hidden_group_size_y
      - .offset:         64
        .size:           2
        .value_kind:     hidden_group_size_z
      - .offset:         66
        .size:           2
        .value_kind:     hidden_remainder_x
      - .offset:         68
        .size:           2
        .value_kind:     hidden_remainder_y
      - .offset:         70
        .size:           2
        .value_kind:     hidden_remainder_z
      - .offset:         88
        .size:           8
        .value_kind:     hidden_global_offset_x
      - .offset:         96
        .size:           8
        .value_kind:     hidden_global_offset_y
      - .offset:         104
        .size:           8
        .value_kind:     hidden_global_offset_z
      - .offset:         112
        .size:           2
        .value_kind:     hidden_grid_dims
    .group_segment_fixed_size: 4112
    .kernarg_segment_align: 8
    .kernarg_segment_size: 304
    .language:       OpenCL C
    .language_version:
      - 2
      - 0
    .max_flat_workgroup_size: 256
    .name:           _ZN7rocprim17ROCPRIM_400000_NS6detail17trampoline_kernelINS0_13kernel_configILj256ELj4ELj4294967295EEENS1_37radix_sort_block_sort_config_selectorIbiEEZNS1_21radix_sort_block_sortIS4_Lb0EN6thrust23THRUST_200600_302600_NS6detail15normal_iteratorINS9_10device_ptrIbEEEESE_NSB_INSC_IiEEEESG_NS0_19identity_decomposerEEE10hipError_tT1_T2_T3_T4_jRjT5_jjP12ihipStream_tbEUlT_E_NS1_11comp_targetILNS1_3genE0ELNS1_11target_archE4294967295ELNS1_3gpuE0ELNS1_3repE0EEENS1_44radix_sort_block_sort_config_static_selectorELNS0_4arch9wavefront6targetE1EEEvSJ_
    .private_segment_fixed_size: 0
    .sgpr_count:     52
    .sgpr_spill_count: 0
    .symbol:         _ZN7rocprim17ROCPRIM_400000_NS6detail17trampoline_kernelINS0_13kernel_configILj256ELj4ELj4294967295EEENS1_37radix_sort_block_sort_config_selectorIbiEEZNS1_21radix_sort_block_sortIS4_Lb0EN6thrust23THRUST_200600_302600_NS6detail15normal_iteratorINS9_10device_ptrIbEEEESE_NSB_INSC_IiEEEESG_NS0_19identity_decomposerEEE10hipError_tT1_T2_T3_T4_jRjT5_jjP12ihipStream_tbEUlT_E_NS1_11comp_targetILNS1_3genE0ELNS1_11target_archE4294967295ELNS1_3gpuE0ELNS1_3repE0EEENS1_44radix_sort_block_sort_config_static_selectorELNS0_4arch9wavefront6targetE1EEEvSJ_.kd
    .uniform_work_group_size: 1
    .uses_dynamic_stack: false
    .vgpr_count:     42
    .vgpr_spill_count: 0
    .wavefront_size: 64
  - .agpr_count:     0
    .args:
      - .offset:         0
        .size:           48
        .value_kind:     by_value
    .group_segment_fixed_size: 0
    .kernarg_segment_align: 8
    .kernarg_segment_size: 48
    .language:       OpenCL C
    .language_version:
      - 2
      - 0
    .max_flat_workgroup_size: 256
    .name:           _ZN7rocprim17ROCPRIM_400000_NS6detail17trampoline_kernelINS0_13kernel_configILj256ELj4ELj4294967295EEENS1_37radix_sort_block_sort_config_selectorIbiEEZNS1_21radix_sort_block_sortIS4_Lb0EN6thrust23THRUST_200600_302600_NS6detail15normal_iteratorINS9_10device_ptrIbEEEESE_NSB_INSC_IiEEEESG_NS0_19identity_decomposerEEE10hipError_tT1_T2_T3_T4_jRjT5_jjP12ihipStream_tbEUlT_E_NS1_11comp_targetILNS1_3genE5ELNS1_11target_archE942ELNS1_3gpuE9ELNS1_3repE0EEENS1_44radix_sort_block_sort_config_static_selectorELNS0_4arch9wavefront6targetE1EEEvSJ_
    .private_segment_fixed_size: 0
    .sgpr_count:     6
    .sgpr_spill_count: 0
    .symbol:         _ZN7rocprim17ROCPRIM_400000_NS6detail17trampoline_kernelINS0_13kernel_configILj256ELj4ELj4294967295EEENS1_37radix_sort_block_sort_config_selectorIbiEEZNS1_21radix_sort_block_sortIS4_Lb0EN6thrust23THRUST_200600_302600_NS6detail15normal_iteratorINS9_10device_ptrIbEEEESE_NSB_INSC_IiEEEESG_NS0_19identity_decomposerEEE10hipError_tT1_T2_T3_T4_jRjT5_jjP12ihipStream_tbEUlT_E_NS1_11comp_targetILNS1_3genE5ELNS1_11target_archE942ELNS1_3gpuE9ELNS1_3repE0EEENS1_44radix_sort_block_sort_config_static_selectorELNS0_4arch9wavefront6targetE1EEEvSJ_.kd
    .uniform_work_group_size: 1
    .uses_dynamic_stack: false
    .vgpr_count:     0
    .vgpr_spill_count: 0
    .wavefront_size: 64
  - .agpr_count:     0
    .args:
      - .offset:         0
        .size:           48
        .value_kind:     by_value
    .group_segment_fixed_size: 0
    .kernarg_segment_align: 8
    .kernarg_segment_size: 48
    .language:       OpenCL C
    .language_version:
      - 2
      - 0
    .max_flat_workgroup_size: 256
    .name:           _ZN7rocprim17ROCPRIM_400000_NS6detail17trampoline_kernelINS0_13kernel_configILj256ELj4ELj4294967295EEENS1_37radix_sort_block_sort_config_selectorIbiEEZNS1_21radix_sort_block_sortIS4_Lb0EN6thrust23THRUST_200600_302600_NS6detail15normal_iteratorINS9_10device_ptrIbEEEESE_NSB_INSC_IiEEEESG_NS0_19identity_decomposerEEE10hipError_tT1_T2_T3_T4_jRjT5_jjP12ihipStream_tbEUlT_E_NS1_11comp_targetILNS1_3genE4ELNS1_11target_archE910ELNS1_3gpuE8ELNS1_3repE0EEENS1_44radix_sort_block_sort_config_static_selectorELNS0_4arch9wavefront6targetE1EEEvSJ_
    .private_segment_fixed_size: 0
    .sgpr_count:     6
    .sgpr_spill_count: 0
    .symbol:         _ZN7rocprim17ROCPRIM_400000_NS6detail17trampoline_kernelINS0_13kernel_configILj256ELj4ELj4294967295EEENS1_37radix_sort_block_sort_config_selectorIbiEEZNS1_21radix_sort_block_sortIS4_Lb0EN6thrust23THRUST_200600_302600_NS6detail15normal_iteratorINS9_10device_ptrIbEEEESE_NSB_INSC_IiEEEESG_NS0_19identity_decomposerEEE10hipError_tT1_T2_T3_T4_jRjT5_jjP12ihipStream_tbEUlT_E_NS1_11comp_targetILNS1_3genE4ELNS1_11target_archE910ELNS1_3gpuE8ELNS1_3repE0EEENS1_44radix_sort_block_sort_config_static_selectorELNS0_4arch9wavefront6targetE1EEEvSJ_.kd
    .uniform_work_group_size: 1
    .uses_dynamic_stack: false
    .vgpr_count:     0
    .vgpr_spill_count: 0
    .wavefront_size: 64
  - .agpr_count:     0
    .args:
      - .offset:         0
        .size:           48
        .value_kind:     by_value
    .group_segment_fixed_size: 0
    .kernarg_segment_align: 8
    .kernarg_segment_size: 48
    .language:       OpenCL C
    .language_version:
      - 2
      - 0
    .max_flat_workgroup_size: 256
    .name:           _ZN7rocprim17ROCPRIM_400000_NS6detail17trampoline_kernelINS0_13kernel_configILj256ELj4ELj4294967295EEENS1_37radix_sort_block_sort_config_selectorIbiEEZNS1_21radix_sort_block_sortIS4_Lb0EN6thrust23THRUST_200600_302600_NS6detail15normal_iteratorINS9_10device_ptrIbEEEESE_NSB_INSC_IiEEEESG_NS0_19identity_decomposerEEE10hipError_tT1_T2_T3_T4_jRjT5_jjP12ihipStream_tbEUlT_E_NS1_11comp_targetILNS1_3genE3ELNS1_11target_archE908ELNS1_3gpuE7ELNS1_3repE0EEENS1_44radix_sort_block_sort_config_static_selectorELNS0_4arch9wavefront6targetE1EEEvSJ_
    .private_segment_fixed_size: 0
    .sgpr_count:     6
    .sgpr_spill_count: 0
    .symbol:         _ZN7rocprim17ROCPRIM_400000_NS6detail17trampoline_kernelINS0_13kernel_configILj256ELj4ELj4294967295EEENS1_37radix_sort_block_sort_config_selectorIbiEEZNS1_21radix_sort_block_sortIS4_Lb0EN6thrust23THRUST_200600_302600_NS6detail15normal_iteratorINS9_10device_ptrIbEEEESE_NSB_INSC_IiEEEESG_NS0_19identity_decomposerEEE10hipError_tT1_T2_T3_T4_jRjT5_jjP12ihipStream_tbEUlT_E_NS1_11comp_targetILNS1_3genE3ELNS1_11target_archE908ELNS1_3gpuE7ELNS1_3repE0EEENS1_44radix_sort_block_sort_config_static_selectorELNS0_4arch9wavefront6targetE1EEEvSJ_.kd
    .uniform_work_group_size: 1
    .uses_dynamic_stack: false
    .vgpr_count:     0
    .vgpr_spill_count: 0
    .wavefront_size: 64
  - .agpr_count:     0
    .args:
      - .offset:         0
        .size:           48
        .value_kind:     by_value
    .group_segment_fixed_size: 0
    .kernarg_segment_align: 8
    .kernarg_segment_size: 48
    .language:       OpenCL C
    .language_version:
      - 2
      - 0
    .max_flat_workgroup_size: 256
    .name:           _ZN7rocprim17ROCPRIM_400000_NS6detail17trampoline_kernelINS0_13kernel_configILj256ELj4ELj4294967295EEENS1_37radix_sort_block_sort_config_selectorIbiEEZNS1_21radix_sort_block_sortIS4_Lb0EN6thrust23THRUST_200600_302600_NS6detail15normal_iteratorINS9_10device_ptrIbEEEESE_NSB_INSC_IiEEEESG_NS0_19identity_decomposerEEE10hipError_tT1_T2_T3_T4_jRjT5_jjP12ihipStream_tbEUlT_E_NS1_11comp_targetILNS1_3genE2ELNS1_11target_archE906ELNS1_3gpuE6ELNS1_3repE0EEENS1_44radix_sort_block_sort_config_static_selectorELNS0_4arch9wavefront6targetE1EEEvSJ_
    .private_segment_fixed_size: 0
    .sgpr_count:     6
    .sgpr_spill_count: 0
    .symbol:         _ZN7rocprim17ROCPRIM_400000_NS6detail17trampoline_kernelINS0_13kernel_configILj256ELj4ELj4294967295EEENS1_37radix_sort_block_sort_config_selectorIbiEEZNS1_21radix_sort_block_sortIS4_Lb0EN6thrust23THRUST_200600_302600_NS6detail15normal_iteratorINS9_10device_ptrIbEEEESE_NSB_INSC_IiEEEESG_NS0_19identity_decomposerEEE10hipError_tT1_T2_T3_T4_jRjT5_jjP12ihipStream_tbEUlT_E_NS1_11comp_targetILNS1_3genE2ELNS1_11target_archE906ELNS1_3gpuE6ELNS1_3repE0EEENS1_44radix_sort_block_sort_config_static_selectorELNS0_4arch9wavefront6targetE1EEEvSJ_.kd
    .uniform_work_group_size: 1
    .uses_dynamic_stack: false
    .vgpr_count:     0
    .vgpr_spill_count: 0
    .wavefront_size: 64
  - .agpr_count:     0
    .args:
      - .offset:         0
        .size:           48
        .value_kind:     by_value
    .group_segment_fixed_size: 0
    .kernarg_segment_align: 8
    .kernarg_segment_size: 48
    .language:       OpenCL C
    .language_version:
      - 2
      - 0
    .max_flat_workgroup_size: 256
    .name:           _ZN7rocprim17ROCPRIM_400000_NS6detail17trampoline_kernelINS0_13kernel_configILj256ELj4ELj4294967295EEENS1_37radix_sort_block_sort_config_selectorIbiEEZNS1_21radix_sort_block_sortIS4_Lb0EN6thrust23THRUST_200600_302600_NS6detail15normal_iteratorINS9_10device_ptrIbEEEESE_NSB_INSC_IiEEEESG_NS0_19identity_decomposerEEE10hipError_tT1_T2_T3_T4_jRjT5_jjP12ihipStream_tbEUlT_E_NS1_11comp_targetILNS1_3genE10ELNS1_11target_archE1201ELNS1_3gpuE5ELNS1_3repE0EEENS1_44radix_sort_block_sort_config_static_selectorELNS0_4arch9wavefront6targetE1EEEvSJ_
    .private_segment_fixed_size: 0
    .sgpr_count:     6
    .sgpr_spill_count: 0
    .symbol:         _ZN7rocprim17ROCPRIM_400000_NS6detail17trampoline_kernelINS0_13kernel_configILj256ELj4ELj4294967295EEENS1_37radix_sort_block_sort_config_selectorIbiEEZNS1_21radix_sort_block_sortIS4_Lb0EN6thrust23THRUST_200600_302600_NS6detail15normal_iteratorINS9_10device_ptrIbEEEESE_NSB_INSC_IiEEEESG_NS0_19identity_decomposerEEE10hipError_tT1_T2_T3_T4_jRjT5_jjP12ihipStream_tbEUlT_E_NS1_11comp_targetILNS1_3genE10ELNS1_11target_archE1201ELNS1_3gpuE5ELNS1_3repE0EEENS1_44radix_sort_block_sort_config_static_selectorELNS0_4arch9wavefront6targetE1EEEvSJ_.kd
    .uniform_work_group_size: 1
    .uses_dynamic_stack: false
    .vgpr_count:     0
    .vgpr_spill_count: 0
    .wavefront_size: 64
  - .agpr_count:     0
    .args:
      - .offset:         0
        .size:           48
        .value_kind:     by_value
    .group_segment_fixed_size: 0
    .kernarg_segment_align: 8
    .kernarg_segment_size: 48
    .language:       OpenCL C
    .language_version:
      - 2
      - 0
    .max_flat_workgroup_size: 256
    .name:           _ZN7rocprim17ROCPRIM_400000_NS6detail17trampoline_kernelINS0_13kernel_configILj256ELj4ELj4294967295EEENS1_37radix_sort_block_sort_config_selectorIbiEEZNS1_21radix_sort_block_sortIS4_Lb0EN6thrust23THRUST_200600_302600_NS6detail15normal_iteratorINS9_10device_ptrIbEEEESE_NSB_INSC_IiEEEESG_NS0_19identity_decomposerEEE10hipError_tT1_T2_T3_T4_jRjT5_jjP12ihipStream_tbEUlT_E_NS1_11comp_targetILNS1_3genE10ELNS1_11target_archE1200ELNS1_3gpuE4ELNS1_3repE0EEENS1_44radix_sort_block_sort_config_static_selectorELNS0_4arch9wavefront6targetE1EEEvSJ_
    .private_segment_fixed_size: 0
    .sgpr_count:     6
    .sgpr_spill_count: 0
    .symbol:         _ZN7rocprim17ROCPRIM_400000_NS6detail17trampoline_kernelINS0_13kernel_configILj256ELj4ELj4294967295EEENS1_37radix_sort_block_sort_config_selectorIbiEEZNS1_21radix_sort_block_sortIS4_Lb0EN6thrust23THRUST_200600_302600_NS6detail15normal_iteratorINS9_10device_ptrIbEEEESE_NSB_INSC_IiEEEESG_NS0_19identity_decomposerEEE10hipError_tT1_T2_T3_T4_jRjT5_jjP12ihipStream_tbEUlT_E_NS1_11comp_targetILNS1_3genE10ELNS1_11target_archE1200ELNS1_3gpuE4ELNS1_3repE0EEENS1_44radix_sort_block_sort_config_static_selectorELNS0_4arch9wavefront6targetE1EEEvSJ_.kd
    .uniform_work_group_size: 1
    .uses_dynamic_stack: false
    .vgpr_count:     0
    .vgpr_spill_count: 0
    .wavefront_size: 64
  - .agpr_count:     0
    .args:
      - .offset:         0
        .size:           48
        .value_kind:     by_value
    .group_segment_fixed_size: 0
    .kernarg_segment_align: 8
    .kernarg_segment_size: 48
    .language:       OpenCL C
    .language_version:
      - 2
      - 0
    .max_flat_workgroup_size: 256
    .name:           _ZN7rocprim17ROCPRIM_400000_NS6detail17trampoline_kernelINS0_13kernel_configILj256ELj4ELj4294967295EEENS1_37radix_sort_block_sort_config_selectorIbiEEZNS1_21radix_sort_block_sortIS4_Lb0EN6thrust23THRUST_200600_302600_NS6detail15normal_iteratorINS9_10device_ptrIbEEEESE_NSB_INSC_IiEEEESG_NS0_19identity_decomposerEEE10hipError_tT1_T2_T3_T4_jRjT5_jjP12ihipStream_tbEUlT_E_NS1_11comp_targetILNS1_3genE9ELNS1_11target_archE1100ELNS1_3gpuE3ELNS1_3repE0EEENS1_44radix_sort_block_sort_config_static_selectorELNS0_4arch9wavefront6targetE1EEEvSJ_
    .private_segment_fixed_size: 0
    .sgpr_count:     6
    .sgpr_spill_count: 0
    .symbol:         _ZN7rocprim17ROCPRIM_400000_NS6detail17trampoline_kernelINS0_13kernel_configILj256ELj4ELj4294967295EEENS1_37radix_sort_block_sort_config_selectorIbiEEZNS1_21radix_sort_block_sortIS4_Lb0EN6thrust23THRUST_200600_302600_NS6detail15normal_iteratorINS9_10device_ptrIbEEEESE_NSB_INSC_IiEEEESG_NS0_19identity_decomposerEEE10hipError_tT1_T2_T3_T4_jRjT5_jjP12ihipStream_tbEUlT_E_NS1_11comp_targetILNS1_3genE9ELNS1_11target_archE1100ELNS1_3gpuE3ELNS1_3repE0EEENS1_44radix_sort_block_sort_config_static_selectorELNS0_4arch9wavefront6targetE1EEEvSJ_.kd
    .uniform_work_group_size: 1
    .uses_dynamic_stack: false
    .vgpr_count:     0
    .vgpr_spill_count: 0
    .wavefront_size: 64
  - .agpr_count:     0
    .args:
      - .offset:         0
        .size:           48
        .value_kind:     by_value
    .group_segment_fixed_size: 0
    .kernarg_segment_align: 8
    .kernarg_segment_size: 48
    .language:       OpenCL C
    .language_version:
      - 2
      - 0
    .max_flat_workgroup_size: 256
    .name:           _ZN7rocprim17ROCPRIM_400000_NS6detail17trampoline_kernelINS0_13kernel_configILj256ELj4ELj4294967295EEENS1_37radix_sort_block_sort_config_selectorIbiEEZNS1_21radix_sort_block_sortIS4_Lb0EN6thrust23THRUST_200600_302600_NS6detail15normal_iteratorINS9_10device_ptrIbEEEESE_NSB_INSC_IiEEEESG_NS0_19identity_decomposerEEE10hipError_tT1_T2_T3_T4_jRjT5_jjP12ihipStream_tbEUlT_E_NS1_11comp_targetILNS1_3genE8ELNS1_11target_archE1030ELNS1_3gpuE2ELNS1_3repE0EEENS1_44radix_sort_block_sort_config_static_selectorELNS0_4arch9wavefront6targetE1EEEvSJ_
    .private_segment_fixed_size: 0
    .sgpr_count:     6
    .sgpr_spill_count: 0
    .symbol:         _ZN7rocprim17ROCPRIM_400000_NS6detail17trampoline_kernelINS0_13kernel_configILj256ELj4ELj4294967295EEENS1_37radix_sort_block_sort_config_selectorIbiEEZNS1_21radix_sort_block_sortIS4_Lb0EN6thrust23THRUST_200600_302600_NS6detail15normal_iteratorINS9_10device_ptrIbEEEESE_NSB_INSC_IiEEEESG_NS0_19identity_decomposerEEE10hipError_tT1_T2_T3_T4_jRjT5_jjP12ihipStream_tbEUlT_E_NS1_11comp_targetILNS1_3genE8ELNS1_11target_archE1030ELNS1_3gpuE2ELNS1_3repE0EEENS1_44radix_sort_block_sort_config_static_selectorELNS0_4arch9wavefront6targetE1EEEvSJ_.kd
    .uniform_work_group_size: 1
    .uses_dynamic_stack: false
    .vgpr_count:     0
    .vgpr_spill_count: 0
    .wavefront_size: 64
  - .agpr_count:     0
    .args:           []
    .group_segment_fixed_size: 0
    .kernarg_segment_align: 4
    .kernarg_segment_size: 0
    .language:       OpenCL C
    .language_version:
      - 2
      - 0
    .max_flat_workgroup_size: 1024
    .name:           _ZN7rocprim17ROCPRIM_400000_NS6detail44device_merge_sort_compile_time_verifier_archINS1_11comp_targetILNS1_3genE0ELNS1_11target_archE4294967295ELNS1_3gpuE0ELNS1_3repE0EEES8_NS1_28merge_sort_block_sort_configILj256ELj4ELNS0_20block_sort_algorithmE0EEENS0_14default_configENS1_37merge_sort_block_sort_config_selectorIbiEENS1_38merge_sort_block_merge_config_selectorIbiEEEEvv
    .private_segment_fixed_size: 0
    .sgpr_count:     6
    .sgpr_spill_count: 0
    .symbol:         _ZN7rocprim17ROCPRIM_400000_NS6detail44device_merge_sort_compile_time_verifier_archINS1_11comp_targetILNS1_3genE0ELNS1_11target_archE4294967295ELNS1_3gpuE0ELNS1_3repE0EEES8_NS1_28merge_sort_block_sort_configILj256ELj4ELNS0_20block_sort_algorithmE0EEENS0_14default_configENS1_37merge_sort_block_sort_config_selectorIbiEENS1_38merge_sort_block_merge_config_selectorIbiEEEEvv.kd
    .uniform_work_group_size: 1
    .uses_dynamic_stack: false
    .vgpr_count:     0
    .vgpr_spill_count: 0
    .wavefront_size: 64
  - .agpr_count:     0
    .args:           []
    .group_segment_fixed_size: 0
    .kernarg_segment_align: 4
    .kernarg_segment_size: 0
    .language:       OpenCL C
    .language_version:
      - 2
      - 0
    .max_flat_workgroup_size: 1024
    .name:           _ZN7rocprim17ROCPRIM_400000_NS6detail44device_merge_sort_compile_time_verifier_archINS1_11comp_targetILNS1_3genE5ELNS1_11target_archE942ELNS1_3gpuE9ELNS1_3repE0EEES8_NS1_28merge_sort_block_sort_configILj256ELj4ELNS0_20block_sort_algorithmE0EEENS0_14default_configENS1_37merge_sort_block_sort_config_selectorIbiEENS1_38merge_sort_block_merge_config_selectorIbiEEEEvv
    .private_segment_fixed_size: 0
    .sgpr_count:     6
    .sgpr_spill_count: 0
    .symbol:         _ZN7rocprim17ROCPRIM_400000_NS6detail44device_merge_sort_compile_time_verifier_archINS1_11comp_targetILNS1_3genE5ELNS1_11target_archE942ELNS1_3gpuE9ELNS1_3repE0EEES8_NS1_28merge_sort_block_sort_configILj256ELj4ELNS0_20block_sort_algorithmE0EEENS0_14default_configENS1_37merge_sort_block_sort_config_selectorIbiEENS1_38merge_sort_block_merge_config_selectorIbiEEEEvv.kd
    .uniform_work_group_size: 1
    .uses_dynamic_stack: false
    .vgpr_count:     0
    .vgpr_spill_count: 0
    .wavefront_size: 64
  - .agpr_count:     0
    .args:           []
    .group_segment_fixed_size: 0
    .kernarg_segment_align: 4
    .kernarg_segment_size: 0
    .language:       OpenCL C
    .language_version:
      - 2
      - 0
    .max_flat_workgroup_size: 1024
    .name:           _ZN7rocprim17ROCPRIM_400000_NS6detail44device_merge_sort_compile_time_verifier_archINS1_11comp_targetILNS1_3genE4ELNS1_11target_archE910ELNS1_3gpuE8ELNS1_3repE0EEES8_NS1_28merge_sort_block_sort_configILj256ELj4ELNS0_20block_sort_algorithmE0EEENS0_14default_configENS1_37merge_sort_block_sort_config_selectorIbiEENS1_38merge_sort_block_merge_config_selectorIbiEEEEvv
    .private_segment_fixed_size: 0
    .sgpr_count:     6
    .sgpr_spill_count: 0
    .symbol:         _ZN7rocprim17ROCPRIM_400000_NS6detail44device_merge_sort_compile_time_verifier_archINS1_11comp_targetILNS1_3genE4ELNS1_11target_archE910ELNS1_3gpuE8ELNS1_3repE0EEES8_NS1_28merge_sort_block_sort_configILj256ELj4ELNS0_20block_sort_algorithmE0EEENS0_14default_configENS1_37merge_sort_block_sort_config_selectorIbiEENS1_38merge_sort_block_merge_config_selectorIbiEEEEvv.kd
    .uniform_work_group_size: 1
    .uses_dynamic_stack: false
    .vgpr_count:     0
    .vgpr_spill_count: 0
    .wavefront_size: 64
  - .agpr_count:     0
    .args:           []
    .group_segment_fixed_size: 0
    .kernarg_segment_align: 4
    .kernarg_segment_size: 0
    .language:       OpenCL C
    .language_version:
      - 2
      - 0
    .max_flat_workgroup_size: 1024
    .name:           _ZN7rocprim17ROCPRIM_400000_NS6detail44device_merge_sort_compile_time_verifier_archINS1_11comp_targetILNS1_3genE3ELNS1_11target_archE908ELNS1_3gpuE7ELNS1_3repE0EEES8_NS1_28merge_sort_block_sort_configILj256ELj4ELNS0_20block_sort_algorithmE0EEENS0_14default_configENS1_37merge_sort_block_sort_config_selectorIbiEENS1_38merge_sort_block_merge_config_selectorIbiEEEEvv
    .private_segment_fixed_size: 0
    .sgpr_count:     6
    .sgpr_spill_count: 0
    .symbol:         _ZN7rocprim17ROCPRIM_400000_NS6detail44device_merge_sort_compile_time_verifier_archINS1_11comp_targetILNS1_3genE3ELNS1_11target_archE908ELNS1_3gpuE7ELNS1_3repE0EEES8_NS1_28merge_sort_block_sort_configILj256ELj4ELNS0_20block_sort_algorithmE0EEENS0_14default_configENS1_37merge_sort_block_sort_config_selectorIbiEENS1_38merge_sort_block_merge_config_selectorIbiEEEEvv.kd
    .uniform_work_group_size: 1
    .uses_dynamic_stack: false
    .vgpr_count:     0
    .vgpr_spill_count: 0
    .wavefront_size: 64
  - .agpr_count:     0
    .args:           []
    .group_segment_fixed_size: 0
    .kernarg_segment_align: 4
    .kernarg_segment_size: 0
    .language:       OpenCL C
    .language_version:
      - 2
      - 0
    .max_flat_workgroup_size: 1024
    .name:           _ZN7rocprim17ROCPRIM_400000_NS6detail44device_merge_sort_compile_time_verifier_archINS1_11comp_targetILNS1_3genE2ELNS1_11target_archE906ELNS1_3gpuE6ELNS1_3repE0EEES8_NS1_28merge_sort_block_sort_configILj256ELj4ELNS0_20block_sort_algorithmE0EEENS0_14default_configENS1_37merge_sort_block_sort_config_selectorIbiEENS1_38merge_sort_block_merge_config_selectorIbiEEEEvv
    .private_segment_fixed_size: 0
    .sgpr_count:     6
    .sgpr_spill_count: 0
    .symbol:         _ZN7rocprim17ROCPRIM_400000_NS6detail44device_merge_sort_compile_time_verifier_archINS1_11comp_targetILNS1_3genE2ELNS1_11target_archE906ELNS1_3gpuE6ELNS1_3repE0EEES8_NS1_28merge_sort_block_sort_configILj256ELj4ELNS0_20block_sort_algorithmE0EEENS0_14default_configENS1_37merge_sort_block_sort_config_selectorIbiEENS1_38merge_sort_block_merge_config_selectorIbiEEEEvv.kd
    .uniform_work_group_size: 1
    .uses_dynamic_stack: false
    .vgpr_count:     0
    .vgpr_spill_count: 0
    .wavefront_size: 64
  - .agpr_count:     0
    .args:           []
    .group_segment_fixed_size: 0
    .kernarg_segment_align: 4
    .kernarg_segment_size: 0
    .language:       OpenCL C
    .language_version:
      - 2
      - 0
    .max_flat_workgroup_size: 1024
    .name:           _ZN7rocprim17ROCPRIM_400000_NS6detail44device_merge_sort_compile_time_verifier_archINS1_11comp_targetILNS1_3genE10ELNS1_11target_archE1201ELNS1_3gpuE5ELNS1_3repE0EEES8_NS1_28merge_sort_block_sort_configILj256ELj4ELNS0_20block_sort_algorithmE0EEENS0_14default_configENS1_37merge_sort_block_sort_config_selectorIbiEENS1_38merge_sort_block_merge_config_selectorIbiEEEEvv
    .private_segment_fixed_size: 0
    .sgpr_count:     6
    .sgpr_spill_count: 0
    .symbol:         _ZN7rocprim17ROCPRIM_400000_NS6detail44device_merge_sort_compile_time_verifier_archINS1_11comp_targetILNS1_3genE10ELNS1_11target_archE1201ELNS1_3gpuE5ELNS1_3repE0EEES8_NS1_28merge_sort_block_sort_configILj256ELj4ELNS0_20block_sort_algorithmE0EEENS0_14default_configENS1_37merge_sort_block_sort_config_selectorIbiEENS1_38merge_sort_block_merge_config_selectorIbiEEEEvv.kd
    .uniform_work_group_size: 1
    .uses_dynamic_stack: false
    .vgpr_count:     0
    .vgpr_spill_count: 0
    .wavefront_size: 64
  - .agpr_count:     0
    .args:           []
    .group_segment_fixed_size: 0
    .kernarg_segment_align: 4
    .kernarg_segment_size: 0
    .language:       OpenCL C
    .language_version:
      - 2
      - 0
    .max_flat_workgroup_size: 1024
    .name:           _ZN7rocprim17ROCPRIM_400000_NS6detail44device_merge_sort_compile_time_verifier_archINS1_11comp_targetILNS1_3genE10ELNS1_11target_archE1200ELNS1_3gpuE4ELNS1_3repE0EEENS3_ILS4_10ELS5_1201ELS6_5ELS7_0EEENS1_28merge_sort_block_sort_configILj256ELj4ELNS0_20block_sort_algorithmE0EEENS0_14default_configENS1_37merge_sort_block_sort_config_selectorIbiEENS1_38merge_sort_block_merge_config_selectorIbiEEEEvv
    .private_segment_fixed_size: 0
    .sgpr_count:     6
    .sgpr_spill_count: 0
    .symbol:         _ZN7rocprim17ROCPRIM_400000_NS6detail44device_merge_sort_compile_time_verifier_archINS1_11comp_targetILNS1_3genE10ELNS1_11target_archE1200ELNS1_3gpuE4ELNS1_3repE0EEENS3_ILS4_10ELS5_1201ELS6_5ELS7_0EEENS1_28merge_sort_block_sort_configILj256ELj4ELNS0_20block_sort_algorithmE0EEENS0_14default_configENS1_37merge_sort_block_sort_config_selectorIbiEENS1_38merge_sort_block_merge_config_selectorIbiEEEEvv.kd
    .uniform_work_group_size: 1
    .uses_dynamic_stack: false
    .vgpr_count:     0
    .vgpr_spill_count: 0
    .wavefront_size: 64
  - .agpr_count:     0
    .args:           []
    .group_segment_fixed_size: 0
    .kernarg_segment_align: 4
    .kernarg_segment_size: 0
    .language:       OpenCL C
    .language_version:
      - 2
      - 0
    .max_flat_workgroup_size: 1024
    .name:           _ZN7rocprim17ROCPRIM_400000_NS6detail44device_merge_sort_compile_time_verifier_archINS1_11comp_targetILNS1_3genE9ELNS1_11target_archE1100ELNS1_3gpuE3ELNS1_3repE0EEES8_NS1_28merge_sort_block_sort_configILj256ELj4ELNS0_20block_sort_algorithmE0EEENS0_14default_configENS1_37merge_sort_block_sort_config_selectorIbiEENS1_38merge_sort_block_merge_config_selectorIbiEEEEvv
    .private_segment_fixed_size: 0
    .sgpr_count:     6
    .sgpr_spill_count: 0
    .symbol:         _ZN7rocprim17ROCPRIM_400000_NS6detail44device_merge_sort_compile_time_verifier_archINS1_11comp_targetILNS1_3genE9ELNS1_11target_archE1100ELNS1_3gpuE3ELNS1_3repE0EEES8_NS1_28merge_sort_block_sort_configILj256ELj4ELNS0_20block_sort_algorithmE0EEENS0_14default_configENS1_37merge_sort_block_sort_config_selectorIbiEENS1_38merge_sort_block_merge_config_selectorIbiEEEEvv.kd
    .uniform_work_group_size: 1
    .uses_dynamic_stack: false
    .vgpr_count:     0
    .vgpr_spill_count: 0
    .wavefront_size: 64
  - .agpr_count:     0
    .args:           []
    .group_segment_fixed_size: 0
    .kernarg_segment_align: 4
    .kernarg_segment_size: 0
    .language:       OpenCL C
    .language_version:
      - 2
      - 0
    .max_flat_workgroup_size: 1024
    .name:           _ZN7rocprim17ROCPRIM_400000_NS6detail44device_merge_sort_compile_time_verifier_archINS1_11comp_targetILNS1_3genE8ELNS1_11target_archE1030ELNS1_3gpuE2ELNS1_3repE0EEES8_NS1_28merge_sort_block_sort_configILj256ELj4ELNS0_20block_sort_algorithmE0EEENS0_14default_configENS1_37merge_sort_block_sort_config_selectorIbiEENS1_38merge_sort_block_merge_config_selectorIbiEEEEvv
    .private_segment_fixed_size: 0
    .sgpr_count:     6
    .sgpr_spill_count: 0
    .symbol:         _ZN7rocprim17ROCPRIM_400000_NS6detail44device_merge_sort_compile_time_verifier_archINS1_11comp_targetILNS1_3genE8ELNS1_11target_archE1030ELNS1_3gpuE2ELNS1_3repE0EEES8_NS1_28merge_sort_block_sort_configILj256ELj4ELNS0_20block_sort_algorithmE0EEENS0_14default_configENS1_37merge_sort_block_sort_config_selectorIbiEENS1_38merge_sort_block_merge_config_selectorIbiEEEEvv.kd
    .uniform_work_group_size: 1
    .uses_dynamic_stack: false
    .vgpr_count:     0
    .vgpr_spill_count: 0
    .wavefront_size: 64
  - .agpr_count:     0
    .args:
      - .offset:         0
        .size:           40
        .value_kind:     by_value
    .group_segment_fixed_size: 0
    .kernarg_segment_align: 8
    .kernarg_segment_size: 40
    .language:       OpenCL C
    .language_version:
      - 2
      - 0
    .max_flat_workgroup_size: 128
    .name:           _ZN7rocprim17ROCPRIM_400000_NS6detail17trampoline_kernelINS0_14default_configENS1_38merge_sort_block_merge_config_selectorIbiEEZZNS1_27merge_sort_block_merge_implIS3_N6thrust23THRUST_200600_302600_NS6detail15normal_iteratorINS8_10device_ptrIbEEEENSA_INSB_IiEEEEjNS1_19radix_merge_compareILb0ELb0EbNS0_19identity_decomposerEEEEE10hipError_tT0_T1_T2_jT3_P12ihipStream_tbPNSt15iterator_traitsISK_E10value_typeEPNSQ_ISL_E10value_typeEPSM_NS1_7vsmem_tEENKUlT_SK_SL_SM_E_clIPbSD_PiSF_EESJ_SZ_SK_SL_SM_EUlSZ_E_NS1_11comp_targetILNS1_3genE0ELNS1_11target_archE4294967295ELNS1_3gpuE0ELNS1_3repE0EEENS1_48merge_mergepath_partition_config_static_selectorELNS0_4arch9wavefront6targetE1EEEvSL_
    .private_segment_fixed_size: 0
    .sgpr_count:     14
    .sgpr_spill_count: 0
    .symbol:         _ZN7rocprim17ROCPRIM_400000_NS6detail17trampoline_kernelINS0_14default_configENS1_38merge_sort_block_merge_config_selectorIbiEEZZNS1_27merge_sort_block_merge_implIS3_N6thrust23THRUST_200600_302600_NS6detail15normal_iteratorINS8_10device_ptrIbEEEENSA_INSB_IiEEEEjNS1_19radix_merge_compareILb0ELb0EbNS0_19identity_decomposerEEEEE10hipError_tT0_T1_T2_jT3_P12ihipStream_tbPNSt15iterator_traitsISK_E10value_typeEPNSQ_ISL_E10value_typeEPSM_NS1_7vsmem_tEENKUlT_SK_SL_SM_E_clIPbSD_PiSF_EESJ_SZ_SK_SL_SM_EUlSZ_E_NS1_11comp_targetILNS1_3genE0ELNS1_11target_archE4294967295ELNS1_3gpuE0ELNS1_3repE0EEENS1_48merge_mergepath_partition_config_static_selectorELNS0_4arch9wavefront6targetE1EEEvSL_.kd
    .uniform_work_group_size: 1
    .uses_dynamic_stack: false
    .vgpr_count:     17
    .vgpr_spill_count: 0
    .wavefront_size: 64
  - .agpr_count:     0
    .args:
      - .offset:         0
        .size:           40
        .value_kind:     by_value
    .group_segment_fixed_size: 0
    .kernarg_segment_align: 8
    .kernarg_segment_size: 40
    .language:       OpenCL C
    .language_version:
      - 2
      - 0
    .max_flat_workgroup_size: 128
    .name:           _ZN7rocprim17ROCPRIM_400000_NS6detail17trampoline_kernelINS0_14default_configENS1_38merge_sort_block_merge_config_selectorIbiEEZZNS1_27merge_sort_block_merge_implIS3_N6thrust23THRUST_200600_302600_NS6detail15normal_iteratorINS8_10device_ptrIbEEEENSA_INSB_IiEEEEjNS1_19radix_merge_compareILb0ELb0EbNS0_19identity_decomposerEEEEE10hipError_tT0_T1_T2_jT3_P12ihipStream_tbPNSt15iterator_traitsISK_E10value_typeEPNSQ_ISL_E10value_typeEPSM_NS1_7vsmem_tEENKUlT_SK_SL_SM_E_clIPbSD_PiSF_EESJ_SZ_SK_SL_SM_EUlSZ_E_NS1_11comp_targetILNS1_3genE10ELNS1_11target_archE1201ELNS1_3gpuE5ELNS1_3repE0EEENS1_48merge_mergepath_partition_config_static_selectorELNS0_4arch9wavefront6targetE1EEEvSL_
    .private_segment_fixed_size: 0
    .sgpr_count:     6
    .sgpr_spill_count: 0
    .symbol:         _ZN7rocprim17ROCPRIM_400000_NS6detail17trampoline_kernelINS0_14default_configENS1_38merge_sort_block_merge_config_selectorIbiEEZZNS1_27merge_sort_block_merge_implIS3_N6thrust23THRUST_200600_302600_NS6detail15normal_iteratorINS8_10device_ptrIbEEEENSA_INSB_IiEEEEjNS1_19radix_merge_compareILb0ELb0EbNS0_19identity_decomposerEEEEE10hipError_tT0_T1_T2_jT3_P12ihipStream_tbPNSt15iterator_traitsISK_E10value_typeEPNSQ_ISL_E10value_typeEPSM_NS1_7vsmem_tEENKUlT_SK_SL_SM_E_clIPbSD_PiSF_EESJ_SZ_SK_SL_SM_EUlSZ_E_NS1_11comp_targetILNS1_3genE10ELNS1_11target_archE1201ELNS1_3gpuE5ELNS1_3repE0EEENS1_48merge_mergepath_partition_config_static_selectorELNS0_4arch9wavefront6targetE1EEEvSL_.kd
    .uniform_work_group_size: 1
    .uses_dynamic_stack: false
    .vgpr_count:     0
    .vgpr_spill_count: 0
    .wavefront_size: 64
  - .agpr_count:     0
    .args:
      - .offset:         0
        .size:           40
        .value_kind:     by_value
    .group_segment_fixed_size: 0
    .kernarg_segment_align: 8
    .kernarg_segment_size: 40
    .language:       OpenCL C
    .language_version:
      - 2
      - 0
    .max_flat_workgroup_size: 128
    .name:           _ZN7rocprim17ROCPRIM_400000_NS6detail17trampoline_kernelINS0_14default_configENS1_38merge_sort_block_merge_config_selectorIbiEEZZNS1_27merge_sort_block_merge_implIS3_N6thrust23THRUST_200600_302600_NS6detail15normal_iteratorINS8_10device_ptrIbEEEENSA_INSB_IiEEEEjNS1_19radix_merge_compareILb0ELb0EbNS0_19identity_decomposerEEEEE10hipError_tT0_T1_T2_jT3_P12ihipStream_tbPNSt15iterator_traitsISK_E10value_typeEPNSQ_ISL_E10value_typeEPSM_NS1_7vsmem_tEENKUlT_SK_SL_SM_E_clIPbSD_PiSF_EESJ_SZ_SK_SL_SM_EUlSZ_E_NS1_11comp_targetILNS1_3genE5ELNS1_11target_archE942ELNS1_3gpuE9ELNS1_3repE0EEENS1_48merge_mergepath_partition_config_static_selectorELNS0_4arch9wavefront6targetE1EEEvSL_
    .private_segment_fixed_size: 0
    .sgpr_count:     6
    .sgpr_spill_count: 0
    .symbol:         _ZN7rocprim17ROCPRIM_400000_NS6detail17trampoline_kernelINS0_14default_configENS1_38merge_sort_block_merge_config_selectorIbiEEZZNS1_27merge_sort_block_merge_implIS3_N6thrust23THRUST_200600_302600_NS6detail15normal_iteratorINS8_10device_ptrIbEEEENSA_INSB_IiEEEEjNS1_19radix_merge_compareILb0ELb0EbNS0_19identity_decomposerEEEEE10hipError_tT0_T1_T2_jT3_P12ihipStream_tbPNSt15iterator_traitsISK_E10value_typeEPNSQ_ISL_E10value_typeEPSM_NS1_7vsmem_tEENKUlT_SK_SL_SM_E_clIPbSD_PiSF_EESJ_SZ_SK_SL_SM_EUlSZ_E_NS1_11comp_targetILNS1_3genE5ELNS1_11target_archE942ELNS1_3gpuE9ELNS1_3repE0EEENS1_48merge_mergepath_partition_config_static_selectorELNS0_4arch9wavefront6targetE1EEEvSL_.kd
    .uniform_work_group_size: 1
    .uses_dynamic_stack: false
    .vgpr_count:     0
    .vgpr_spill_count: 0
    .wavefront_size: 64
  - .agpr_count:     0
    .args:
      - .offset:         0
        .size:           40
        .value_kind:     by_value
    .group_segment_fixed_size: 0
    .kernarg_segment_align: 8
    .kernarg_segment_size: 40
    .language:       OpenCL C
    .language_version:
      - 2
      - 0
    .max_flat_workgroup_size: 128
    .name:           _ZN7rocprim17ROCPRIM_400000_NS6detail17trampoline_kernelINS0_14default_configENS1_38merge_sort_block_merge_config_selectorIbiEEZZNS1_27merge_sort_block_merge_implIS3_N6thrust23THRUST_200600_302600_NS6detail15normal_iteratorINS8_10device_ptrIbEEEENSA_INSB_IiEEEEjNS1_19radix_merge_compareILb0ELb0EbNS0_19identity_decomposerEEEEE10hipError_tT0_T1_T2_jT3_P12ihipStream_tbPNSt15iterator_traitsISK_E10value_typeEPNSQ_ISL_E10value_typeEPSM_NS1_7vsmem_tEENKUlT_SK_SL_SM_E_clIPbSD_PiSF_EESJ_SZ_SK_SL_SM_EUlSZ_E_NS1_11comp_targetILNS1_3genE4ELNS1_11target_archE910ELNS1_3gpuE8ELNS1_3repE0EEENS1_48merge_mergepath_partition_config_static_selectorELNS0_4arch9wavefront6targetE1EEEvSL_
    .private_segment_fixed_size: 0
    .sgpr_count:     6
    .sgpr_spill_count: 0
    .symbol:         _ZN7rocprim17ROCPRIM_400000_NS6detail17trampoline_kernelINS0_14default_configENS1_38merge_sort_block_merge_config_selectorIbiEEZZNS1_27merge_sort_block_merge_implIS3_N6thrust23THRUST_200600_302600_NS6detail15normal_iteratorINS8_10device_ptrIbEEEENSA_INSB_IiEEEEjNS1_19radix_merge_compareILb0ELb0EbNS0_19identity_decomposerEEEEE10hipError_tT0_T1_T2_jT3_P12ihipStream_tbPNSt15iterator_traitsISK_E10value_typeEPNSQ_ISL_E10value_typeEPSM_NS1_7vsmem_tEENKUlT_SK_SL_SM_E_clIPbSD_PiSF_EESJ_SZ_SK_SL_SM_EUlSZ_E_NS1_11comp_targetILNS1_3genE4ELNS1_11target_archE910ELNS1_3gpuE8ELNS1_3repE0EEENS1_48merge_mergepath_partition_config_static_selectorELNS0_4arch9wavefront6targetE1EEEvSL_.kd
    .uniform_work_group_size: 1
    .uses_dynamic_stack: false
    .vgpr_count:     0
    .vgpr_spill_count: 0
    .wavefront_size: 64
  - .agpr_count:     0
    .args:
      - .offset:         0
        .size:           40
        .value_kind:     by_value
    .group_segment_fixed_size: 0
    .kernarg_segment_align: 8
    .kernarg_segment_size: 40
    .language:       OpenCL C
    .language_version:
      - 2
      - 0
    .max_flat_workgroup_size: 128
    .name:           _ZN7rocprim17ROCPRIM_400000_NS6detail17trampoline_kernelINS0_14default_configENS1_38merge_sort_block_merge_config_selectorIbiEEZZNS1_27merge_sort_block_merge_implIS3_N6thrust23THRUST_200600_302600_NS6detail15normal_iteratorINS8_10device_ptrIbEEEENSA_INSB_IiEEEEjNS1_19radix_merge_compareILb0ELb0EbNS0_19identity_decomposerEEEEE10hipError_tT0_T1_T2_jT3_P12ihipStream_tbPNSt15iterator_traitsISK_E10value_typeEPNSQ_ISL_E10value_typeEPSM_NS1_7vsmem_tEENKUlT_SK_SL_SM_E_clIPbSD_PiSF_EESJ_SZ_SK_SL_SM_EUlSZ_E_NS1_11comp_targetILNS1_3genE3ELNS1_11target_archE908ELNS1_3gpuE7ELNS1_3repE0EEENS1_48merge_mergepath_partition_config_static_selectorELNS0_4arch9wavefront6targetE1EEEvSL_
    .private_segment_fixed_size: 0
    .sgpr_count:     6
    .sgpr_spill_count: 0
    .symbol:         _ZN7rocprim17ROCPRIM_400000_NS6detail17trampoline_kernelINS0_14default_configENS1_38merge_sort_block_merge_config_selectorIbiEEZZNS1_27merge_sort_block_merge_implIS3_N6thrust23THRUST_200600_302600_NS6detail15normal_iteratorINS8_10device_ptrIbEEEENSA_INSB_IiEEEEjNS1_19radix_merge_compareILb0ELb0EbNS0_19identity_decomposerEEEEE10hipError_tT0_T1_T2_jT3_P12ihipStream_tbPNSt15iterator_traitsISK_E10value_typeEPNSQ_ISL_E10value_typeEPSM_NS1_7vsmem_tEENKUlT_SK_SL_SM_E_clIPbSD_PiSF_EESJ_SZ_SK_SL_SM_EUlSZ_E_NS1_11comp_targetILNS1_3genE3ELNS1_11target_archE908ELNS1_3gpuE7ELNS1_3repE0EEENS1_48merge_mergepath_partition_config_static_selectorELNS0_4arch9wavefront6targetE1EEEvSL_.kd
    .uniform_work_group_size: 1
    .uses_dynamic_stack: false
    .vgpr_count:     0
    .vgpr_spill_count: 0
    .wavefront_size: 64
  - .agpr_count:     0
    .args:
      - .offset:         0
        .size:           40
        .value_kind:     by_value
    .group_segment_fixed_size: 0
    .kernarg_segment_align: 8
    .kernarg_segment_size: 40
    .language:       OpenCL C
    .language_version:
      - 2
      - 0
    .max_flat_workgroup_size: 128
    .name:           _ZN7rocprim17ROCPRIM_400000_NS6detail17trampoline_kernelINS0_14default_configENS1_38merge_sort_block_merge_config_selectorIbiEEZZNS1_27merge_sort_block_merge_implIS3_N6thrust23THRUST_200600_302600_NS6detail15normal_iteratorINS8_10device_ptrIbEEEENSA_INSB_IiEEEEjNS1_19radix_merge_compareILb0ELb0EbNS0_19identity_decomposerEEEEE10hipError_tT0_T1_T2_jT3_P12ihipStream_tbPNSt15iterator_traitsISK_E10value_typeEPNSQ_ISL_E10value_typeEPSM_NS1_7vsmem_tEENKUlT_SK_SL_SM_E_clIPbSD_PiSF_EESJ_SZ_SK_SL_SM_EUlSZ_E_NS1_11comp_targetILNS1_3genE2ELNS1_11target_archE906ELNS1_3gpuE6ELNS1_3repE0EEENS1_48merge_mergepath_partition_config_static_selectorELNS0_4arch9wavefront6targetE1EEEvSL_
    .private_segment_fixed_size: 0
    .sgpr_count:     6
    .sgpr_spill_count: 0
    .symbol:         _ZN7rocprim17ROCPRIM_400000_NS6detail17trampoline_kernelINS0_14default_configENS1_38merge_sort_block_merge_config_selectorIbiEEZZNS1_27merge_sort_block_merge_implIS3_N6thrust23THRUST_200600_302600_NS6detail15normal_iteratorINS8_10device_ptrIbEEEENSA_INSB_IiEEEEjNS1_19radix_merge_compareILb0ELb0EbNS0_19identity_decomposerEEEEE10hipError_tT0_T1_T2_jT3_P12ihipStream_tbPNSt15iterator_traitsISK_E10value_typeEPNSQ_ISL_E10value_typeEPSM_NS1_7vsmem_tEENKUlT_SK_SL_SM_E_clIPbSD_PiSF_EESJ_SZ_SK_SL_SM_EUlSZ_E_NS1_11comp_targetILNS1_3genE2ELNS1_11target_archE906ELNS1_3gpuE6ELNS1_3repE0EEENS1_48merge_mergepath_partition_config_static_selectorELNS0_4arch9wavefront6targetE1EEEvSL_.kd
    .uniform_work_group_size: 1
    .uses_dynamic_stack: false
    .vgpr_count:     0
    .vgpr_spill_count: 0
    .wavefront_size: 64
  - .agpr_count:     0
    .args:
      - .offset:         0
        .size:           40
        .value_kind:     by_value
    .group_segment_fixed_size: 0
    .kernarg_segment_align: 8
    .kernarg_segment_size: 40
    .language:       OpenCL C
    .language_version:
      - 2
      - 0
    .max_flat_workgroup_size: 128
    .name:           _ZN7rocprim17ROCPRIM_400000_NS6detail17trampoline_kernelINS0_14default_configENS1_38merge_sort_block_merge_config_selectorIbiEEZZNS1_27merge_sort_block_merge_implIS3_N6thrust23THRUST_200600_302600_NS6detail15normal_iteratorINS8_10device_ptrIbEEEENSA_INSB_IiEEEEjNS1_19radix_merge_compareILb0ELb0EbNS0_19identity_decomposerEEEEE10hipError_tT0_T1_T2_jT3_P12ihipStream_tbPNSt15iterator_traitsISK_E10value_typeEPNSQ_ISL_E10value_typeEPSM_NS1_7vsmem_tEENKUlT_SK_SL_SM_E_clIPbSD_PiSF_EESJ_SZ_SK_SL_SM_EUlSZ_E_NS1_11comp_targetILNS1_3genE9ELNS1_11target_archE1100ELNS1_3gpuE3ELNS1_3repE0EEENS1_48merge_mergepath_partition_config_static_selectorELNS0_4arch9wavefront6targetE1EEEvSL_
    .private_segment_fixed_size: 0
    .sgpr_count:     6
    .sgpr_spill_count: 0
    .symbol:         _ZN7rocprim17ROCPRIM_400000_NS6detail17trampoline_kernelINS0_14default_configENS1_38merge_sort_block_merge_config_selectorIbiEEZZNS1_27merge_sort_block_merge_implIS3_N6thrust23THRUST_200600_302600_NS6detail15normal_iteratorINS8_10device_ptrIbEEEENSA_INSB_IiEEEEjNS1_19radix_merge_compareILb0ELb0EbNS0_19identity_decomposerEEEEE10hipError_tT0_T1_T2_jT3_P12ihipStream_tbPNSt15iterator_traitsISK_E10value_typeEPNSQ_ISL_E10value_typeEPSM_NS1_7vsmem_tEENKUlT_SK_SL_SM_E_clIPbSD_PiSF_EESJ_SZ_SK_SL_SM_EUlSZ_E_NS1_11comp_targetILNS1_3genE9ELNS1_11target_archE1100ELNS1_3gpuE3ELNS1_3repE0EEENS1_48merge_mergepath_partition_config_static_selectorELNS0_4arch9wavefront6targetE1EEEvSL_.kd
    .uniform_work_group_size: 1
    .uses_dynamic_stack: false
    .vgpr_count:     0
    .vgpr_spill_count: 0
    .wavefront_size: 64
  - .agpr_count:     0
    .args:
      - .offset:         0
        .size:           40
        .value_kind:     by_value
    .group_segment_fixed_size: 0
    .kernarg_segment_align: 8
    .kernarg_segment_size: 40
    .language:       OpenCL C
    .language_version:
      - 2
      - 0
    .max_flat_workgroup_size: 128
    .name:           _ZN7rocprim17ROCPRIM_400000_NS6detail17trampoline_kernelINS0_14default_configENS1_38merge_sort_block_merge_config_selectorIbiEEZZNS1_27merge_sort_block_merge_implIS3_N6thrust23THRUST_200600_302600_NS6detail15normal_iteratorINS8_10device_ptrIbEEEENSA_INSB_IiEEEEjNS1_19radix_merge_compareILb0ELb0EbNS0_19identity_decomposerEEEEE10hipError_tT0_T1_T2_jT3_P12ihipStream_tbPNSt15iterator_traitsISK_E10value_typeEPNSQ_ISL_E10value_typeEPSM_NS1_7vsmem_tEENKUlT_SK_SL_SM_E_clIPbSD_PiSF_EESJ_SZ_SK_SL_SM_EUlSZ_E_NS1_11comp_targetILNS1_3genE8ELNS1_11target_archE1030ELNS1_3gpuE2ELNS1_3repE0EEENS1_48merge_mergepath_partition_config_static_selectorELNS0_4arch9wavefront6targetE1EEEvSL_
    .private_segment_fixed_size: 0
    .sgpr_count:     6
    .sgpr_spill_count: 0
    .symbol:         _ZN7rocprim17ROCPRIM_400000_NS6detail17trampoline_kernelINS0_14default_configENS1_38merge_sort_block_merge_config_selectorIbiEEZZNS1_27merge_sort_block_merge_implIS3_N6thrust23THRUST_200600_302600_NS6detail15normal_iteratorINS8_10device_ptrIbEEEENSA_INSB_IiEEEEjNS1_19radix_merge_compareILb0ELb0EbNS0_19identity_decomposerEEEEE10hipError_tT0_T1_T2_jT3_P12ihipStream_tbPNSt15iterator_traitsISK_E10value_typeEPNSQ_ISL_E10value_typeEPSM_NS1_7vsmem_tEENKUlT_SK_SL_SM_E_clIPbSD_PiSF_EESJ_SZ_SK_SL_SM_EUlSZ_E_NS1_11comp_targetILNS1_3genE8ELNS1_11target_archE1030ELNS1_3gpuE2ELNS1_3repE0EEENS1_48merge_mergepath_partition_config_static_selectorELNS0_4arch9wavefront6targetE1EEEvSL_.kd
    .uniform_work_group_size: 1
    .uses_dynamic_stack: false
    .vgpr_count:     0
    .vgpr_spill_count: 0
    .wavefront_size: 64
  - .agpr_count:     0
    .args:
      - .offset:         0
        .size:           64
        .value_kind:     by_value
      - .offset:         64
        .size:           4
        .value_kind:     hidden_block_count_x
      - .offset:         68
        .size:           4
        .value_kind:     hidden_block_count_y
      - .offset:         72
        .size:           4
        .value_kind:     hidden_block_count_z
      - .offset:         76
        .size:           2
        .value_kind:     hidden_group_size_x
      - .offset:         78
        .size:           2
        .value_kind:     hidden_group_size_y
      - .offset:         80
        .size:           2
        .value_kind:     hidden_group_size_z
      - .offset:         82
        .size:           2
        .value_kind:     hidden_remainder_x
      - .offset:         84
        .size:           2
        .value_kind:     hidden_remainder_y
      - .offset:         86
        .size:           2
        .value_kind:     hidden_remainder_z
      - .offset:         104
        .size:           8
        .value_kind:     hidden_global_offset_x
      - .offset:         112
        .size:           8
        .value_kind:     hidden_global_offset_y
      - .offset:         120
        .size:           8
        .value_kind:     hidden_global_offset_z
      - .offset:         128
        .size:           2
        .value_kind:     hidden_grid_dims
    .group_segment_fixed_size: 4224
    .kernarg_segment_align: 8
    .kernarg_segment_size: 320
    .language:       OpenCL C
    .language_version:
      - 2
      - 0
    .max_flat_workgroup_size: 256
    .name:           _ZN7rocprim17ROCPRIM_400000_NS6detail17trampoline_kernelINS0_14default_configENS1_38merge_sort_block_merge_config_selectorIbiEEZZNS1_27merge_sort_block_merge_implIS3_N6thrust23THRUST_200600_302600_NS6detail15normal_iteratorINS8_10device_ptrIbEEEENSA_INSB_IiEEEEjNS1_19radix_merge_compareILb0ELb0EbNS0_19identity_decomposerEEEEE10hipError_tT0_T1_T2_jT3_P12ihipStream_tbPNSt15iterator_traitsISK_E10value_typeEPNSQ_ISL_E10value_typeEPSM_NS1_7vsmem_tEENKUlT_SK_SL_SM_E_clIPbSD_PiSF_EESJ_SZ_SK_SL_SM_EUlSZ_E0_NS1_11comp_targetILNS1_3genE0ELNS1_11target_archE4294967295ELNS1_3gpuE0ELNS1_3repE0EEENS1_38merge_mergepath_config_static_selectorELNS0_4arch9wavefront6targetE1EEEvSL_
    .private_segment_fixed_size: 0
    .sgpr_count:     35
    .sgpr_spill_count: 0
    .symbol:         _ZN7rocprim17ROCPRIM_400000_NS6detail17trampoline_kernelINS0_14default_configENS1_38merge_sort_block_merge_config_selectorIbiEEZZNS1_27merge_sort_block_merge_implIS3_N6thrust23THRUST_200600_302600_NS6detail15normal_iteratorINS8_10device_ptrIbEEEENSA_INSB_IiEEEEjNS1_19radix_merge_compareILb0ELb0EbNS0_19identity_decomposerEEEEE10hipError_tT0_T1_T2_jT3_P12ihipStream_tbPNSt15iterator_traitsISK_E10value_typeEPNSQ_ISL_E10value_typeEPSM_NS1_7vsmem_tEENKUlT_SK_SL_SM_E_clIPbSD_PiSF_EESJ_SZ_SK_SL_SM_EUlSZ_E0_NS1_11comp_targetILNS1_3genE0ELNS1_11target_archE4294967295ELNS1_3gpuE0ELNS1_3repE0EEENS1_38merge_mergepath_config_static_selectorELNS0_4arch9wavefront6targetE1EEEvSL_.kd
    .uniform_work_group_size: 1
    .uses_dynamic_stack: false
    .vgpr_count:     27
    .vgpr_spill_count: 0
    .wavefront_size: 64
  - .agpr_count:     0
    .args:
      - .offset:         0
        .size:           64
        .value_kind:     by_value
    .group_segment_fixed_size: 0
    .kernarg_segment_align: 8
    .kernarg_segment_size: 64
    .language:       OpenCL C
    .language_version:
      - 2
      - 0
    .max_flat_workgroup_size: 256
    .name:           _ZN7rocprim17ROCPRIM_400000_NS6detail17trampoline_kernelINS0_14default_configENS1_38merge_sort_block_merge_config_selectorIbiEEZZNS1_27merge_sort_block_merge_implIS3_N6thrust23THRUST_200600_302600_NS6detail15normal_iteratorINS8_10device_ptrIbEEEENSA_INSB_IiEEEEjNS1_19radix_merge_compareILb0ELb0EbNS0_19identity_decomposerEEEEE10hipError_tT0_T1_T2_jT3_P12ihipStream_tbPNSt15iterator_traitsISK_E10value_typeEPNSQ_ISL_E10value_typeEPSM_NS1_7vsmem_tEENKUlT_SK_SL_SM_E_clIPbSD_PiSF_EESJ_SZ_SK_SL_SM_EUlSZ_E0_NS1_11comp_targetILNS1_3genE10ELNS1_11target_archE1201ELNS1_3gpuE5ELNS1_3repE0EEENS1_38merge_mergepath_config_static_selectorELNS0_4arch9wavefront6targetE1EEEvSL_
    .private_segment_fixed_size: 0
    .sgpr_count:     6
    .sgpr_spill_count: 0
    .symbol:         _ZN7rocprim17ROCPRIM_400000_NS6detail17trampoline_kernelINS0_14default_configENS1_38merge_sort_block_merge_config_selectorIbiEEZZNS1_27merge_sort_block_merge_implIS3_N6thrust23THRUST_200600_302600_NS6detail15normal_iteratorINS8_10device_ptrIbEEEENSA_INSB_IiEEEEjNS1_19radix_merge_compareILb0ELb0EbNS0_19identity_decomposerEEEEE10hipError_tT0_T1_T2_jT3_P12ihipStream_tbPNSt15iterator_traitsISK_E10value_typeEPNSQ_ISL_E10value_typeEPSM_NS1_7vsmem_tEENKUlT_SK_SL_SM_E_clIPbSD_PiSF_EESJ_SZ_SK_SL_SM_EUlSZ_E0_NS1_11comp_targetILNS1_3genE10ELNS1_11target_archE1201ELNS1_3gpuE5ELNS1_3repE0EEENS1_38merge_mergepath_config_static_selectorELNS0_4arch9wavefront6targetE1EEEvSL_.kd
    .uniform_work_group_size: 1
    .uses_dynamic_stack: false
    .vgpr_count:     0
    .vgpr_spill_count: 0
    .wavefront_size: 64
  - .agpr_count:     0
    .args:
      - .offset:         0
        .size:           64
        .value_kind:     by_value
    .group_segment_fixed_size: 0
    .kernarg_segment_align: 8
    .kernarg_segment_size: 64
    .language:       OpenCL C
    .language_version:
      - 2
      - 0
    .max_flat_workgroup_size: 128
    .name:           _ZN7rocprim17ROCPRIM_400000_NS6detail17trampoline_kernelINS0_14default_configENS1_38merge_sort_block_merge_config_selectorIbiEEZZNS1_27merge_sort_block_merge_implIS3_N6thrust23THRUST_200600_302600_NS6detail15normal_iteratorINS8_10device_ptrIbEEEENSA_INSB_IiEEEEjNS1_19radix_merge_compareILb0ELb0EbNS0_19identity_decomposerEEEEE10hipError_tT0_T1_T2_jT3_P12ihipStream_tbPNSt15iterator_traitsISK_E10value_typeEPNSQ_ISL_E10value_typeEPSM_NS1_7vsmem_tEENKUlT_SK_SL_SM_E_clIPbSD_PiSF_EESJ_SZ_SK_SL_SM_EUlSZ_E0_NS1_11comp_targetILNS1_3genE5ELNS1_11target_archE942ELNS1_3gpuE9ELNS1_3repE0EEENS1_38merge_mergepath_config_static_selectorELNS0_4arch9wavefront6targetE1EEEvSL_
    .private_segment_fixed_size: 0
    .sgpr_count:     6
    .sgpr_spill_count: 0
    .symbol:         _ZN7rocprim17ROCPRIM_400000_NS6detail17trampoline_kernelINS0_14default_configENS1_38merge_sort_block_merge_config_selectorIbiEEZZNS1_27merge_sort_block_merge_implIS3_N6thrust23THRUST_200600_302600_NS6detail15normal_iteratorINS8_10device_ptrIbEEEENSA_INSB_IiEEEEjNS1_19radix_merge_compareILb0ELb0EbNS0_19identity_decomposerEEEEE10hipError_tT0_T1_T2_jT3_P12ihipStream_tbPNSt15iterator_traitsISK_E10value_typeEPNSQ_ISL_E10value_typeEPSM_NS1_7vsmem_tEENKUlT_SK_SL_SM_E_clIPbSD_PiSF_EESJ_SZ_SK_SL_SM_EUlSZ_E0_NS1_11comp_targetILNS1_3genE5ELNS1_11target_archE942ELNS1_3gpuE9ELNS1_3repE0EEENS1_38merge_mergepath_config_static_selectorELNS0_4arch9wavefront6targetE1EEEvSL_.kd
    .uniform_work_group_size: 1
    .uses_dynamic_stack: false
    .vgpr_count:     0
    .vgpr_spill_count: 0
    .wavefront_size: 64
  - .agpr_count:     0
    .args:
      - .offset:         0
        .size:           64
        .value_kind:     by_value
    .group_segment_fixed_size: 0
    .kernarg_segment_align: 8
    .kernarg_segment_size: 64
    .language:       OpenCL C
    .language_version:
      - 2
      - 0
    .max_flat_workgroup_size: 128
    .name:           _ZN7rocprim17ROCPRIM_400000_NS6detail17trampoline_kernelINS0_14default_configENS1_38merge_sort_block_merge_config_selectorIbiEEZZNS1_27merge_sort_block_merge_implIS3_N6thrust23THRUST_200600_302600_NS6detail15normal_iteratorINS8_10device_ptrIbEEEENSA_INSB_IiEEEEjNS1_19radix_merge_compareILb0ELb0EbNS0_19identity_decomposerEEEEE10hipError_tT0_T1_T2_jT3_P12ihipStream_tbPNSt15iterator_traitsISK_E10value_typeEPNSQ_ISL_E10value_typeEPSM_NS1_7vsmem_tEENKUlT_SK_SL_SM_E_clIPbSD_PiSF_EESJ_SZ_SK_SL_SM_EUlSZ_E0_NS1_11comp_targetILNS1_3genE4ELNS1_11target_archE910ELNS1_3gpuE8ELNS1_3repE0EEENS1_38merge_mergepath_config_static_selectorELNS0_4arch9wavefront6targetE1EEEvSL_
    .private_segment_fixed_size: 0
    .sgpr_count:     6
    .sgpr_spill_count: 0
    .symbol:         _ZN7rocprim17ROCPRIM_400000_NS6detail17trampoline_kernelINS0_14default_configENS1_38merge_sort_block_merge_config_selectorIbiEEZZNS1_27merge_sort_block_merge_implIS3_N6thrust23THRUST_200600_302600_NS6detail15normal_iteratorINS8_10device_ptrIbEEEENSA_INSB_IiEEEEjNS1_19radix_merge_compareILb0ELb0EbNS0_19identity_decomposerEEEEE10hipError_tT0_T1_T2_jT3_P12ihipStream_tbPNSt15iterator_traitsISK_E10value_typeEPNSQ_ISL_E10value_typeEPSM_NS1_7vsmem_tEENKUlT_SK_SL_SM_E_clIPbSD_PiSF_EESJ_SZ_SK_SL_SM_EUlSZ_E0_NS1_11comp_targetILNS1_3genE4ELNS1_11target_archE910ELNS1_3gpuE8ELNS1_3repE0EEENS1_38merge_mergepath_config_static_selectorELNS0_4arch9wavefront6targetE1EEEvSL_.kd
    .uniform_work_group_size: 1
    .uses_dynamic_stack: false
    .vgpr_count:     0
    .vgpr_spill_count: 0
    .wavefront_size: 64
  - .agpr_count:     0
    .args:
      - .offset:         0
        .size:           64
        .value_kind:     by_value
    .group_segment_fixed_size: 0
    .kernarg_segment_align: 8
    .kernarg_segment_size: 64
    .language:       OpenCL C
    .language_version:
      - 2
      - 0
    .max_flat_workgroup_size: 256
    .name:           _ZN7rocprim17ROCPRIM_400000_NS6detail17trampoline_kernelINS0_14default_configENS1_38merge_sort_block_merge_config_selectorIbiEEZZNS1_27merge_sort_block_merge_implIS3_N6thrust23THRUST_200600_302600_NS6detail15normal_iteratorINS8_10device_ptrIbEEEENSA_INSB_IiEEEEjNS1_19radix_merge_compareILb0ELb0EbNS0_19identity_decomposerEEEEE10hipError_tT0_T1_T2_jT3_P12ihipStream_tbPNSt15iterator_traitsISK_E10value_typeEPNSQ_ISL_E10value_typeEPSM_NS1_7vsmem_tEENKUlT_SK_SL_SM_E_clIPbSD_PiSF_EESJ_SZ_SK_SL_SM_EUlSZ_E0_NS1_11comp_targetILNS1_3genE3ELNS1_11target_archE908ELNS1_3gpuE7ELNS1_3repE0EEENS1_38merge_mergepath_config_static_selectorELNS0_4arch9wavefront6targetE1EEEvSL_
    .private_segment_fixed_size: 0
    .sgpr_count:     6
    .sgpr_spill_count: 0
    .symbol:         _ZN7rocprim17ROCPRIM_400000_NS6detail17trampoline_kernelINS0_14default_configENS1_38merge_sort_block_merge_config_selectorIbiEEZZNS1_27merge_sort_block_merge_implIS3_N6thrust23THRUST_200600_302600_NS6detail15normal_iteratorINS8_10device_ptrIbEEEENSA_INSB_IiEEEEjNS1_19radix_merge_compareILb0ELb0EbNS0_19identity_decomposerEEEEE10hipError_tT0_T1_T2_jT3_P12ihipStream_tbPNSt15iterator_traitsISK_E10value_typeEPNSQ_ISL_E10value_typeEPSM_NS1_7vsmem_tEENKUlT_SK_SL_SM_E_clIPbSD_PiSF_EESJ_SZ_SK_SL_SM_EUlSZ_E0_NS1_11comp_targetILNS1_3genE3ELNS1_11target_archE908ELNS1_3gpuE7ELNS1_3repE0EEENS1_38merge_mergepath_config_static_selectorELNS0_4arch9wavefront6targetE1EEEvSL_.kd
    .uniform_work_group_size: 1
    .uses_dynamic_stack: false
    .vgpr_count:     0
    .vgpr_spill_count: 0
    .wavefront_size: 64
  - .agpr_count:     0
    .args:
      - .offset:         0
        .size:           64
        .value_kind:     by_value
    .group_segment_fixed_size: 0
    .kernarg_segment_align: 8
    .kernarg_segment_size: 64
    .language:       OpenCL C
    .language_version:
      - 2
      - 0
    .max_flat_workgroup_size: 128
    .name:           _ZN7rocprim17ROCPRIM_400000_NS6detail17trampoline_kernelINS0_14default_configENS1_38merge_sort_block_merge_config_selectorIbiEEZZNS1_27merge_sort_block_merge_implIS3_N6thrust23THRUST_200600_302600_NS6detail15normal_iteratorINS8_10device_ptrIbEEEENSA_INSB_IiEEEEjNS1_19radix_merge_compareILb0ELb0EbNS0_19identity_decomposerEEEEE10hipError_tT0_T1_T2_jT3_P12ihipStream_tbPNSt15iterator_traitsISK_E10value_typeEPNSQ_ISL_E10value_typeEPSM_NS1_7vsmem_tEENKUlT_SK_SL_SM_E_clIPbSD_PiSF_EESJ_SZ_SK_SL_SM_EUlSZ_E0_NS1_11comp_targetILNS1_3genE2ELNS1_11target_archE906ELNS1_3gpuE6ELNS1_3repE0EEENS1_38merge_mergepath_config_static_selectorELNS0_4arch9wavefront6targetE1EEEvSL_
    .private_segment_fixed_size: 0
    .sgpr_count:     6
    .sgpr_spill_count: 0
    .symbol:         _ZN7rocprim17ROCPRIM_400000_NS6detail17trampoline_kernelINS0_14default_configENS1_38merge_sort_block_merge_config_selectorIbiEEZZNS1_27merge_sort_block_merge_implIS3_N6thrust23THRUST_200600_302600_NS6detail15normal_iteratorINS8_10device_ptrIbEEEENSA_INSB_IiEEEEjNS1_19radix_merge_compareILb0ELb0EbNS0_19identity_decomposerEEEEE10hipError_tT0_T1_T2_jT3_P12ihipStream_tbPNSt15iterator_traitsISK_E10value_typeEPNSQ_ISL_E10value_typeEPSM_NS1_7vsmem_tEENKUlT_SK_SL_SM_E_clIPbSD_PiSF_EESJ_SZ_SK_SL_SM_EUlSZ_E0_NS1_11comp_targetILNS1_3genE2ELNS1_11target_archE906ELNS1_3gpuE6ELNS1_3repE0EEENS1_38merge_mergepath_config_static_selectorELNS0_4arch9wavefront6targetE1EEEvSL_.kd
    .uniform_work_group_size: 1
    .uses_dynamic_stack: false
    .vgpr_count:     0
    .vgpr_spill_count: 0
    .wavefront_size: 64
  - .agpr_count:     0
    .args:
      - .offset:         0
        .size:           64
        .value_kind:     by_value
    .group_segment_fixed_size: 0
    .kernarg_segment_align: 8
    .kernarg_segment_size: 64
    .language:       OpenCL C
    .language_version:
      - 2
      - 0
    .max_flat_workgroup_size: 256
    .name:           _ZN7rocprim17ROCPRIM_400000_NS6detail17trampoline_kernelINS0_14default_configENS1_38merge_sort_block_merge_config_selectorIbiEEZZNS1_27merge_sort_block_merge_implIS3_N6thrust23THRUST_200600_302600_NS6detail15normal_iteratorINS8_10device_ptrIbEEEENSA_INSB_IiEEEEjNS1_19radix_merge_compareILb0ELb0EbNS0_19identity_decomposerEEEEE10hipError_tT0_T1_T2_jT3_P12ihipStream_tbPNSt15iterator_traitsISK_E10value_typeEPNSQ_ISL_E10value_typeEPSM_NS1_7vsmem_tEENKUlT_SK_SL_SM_E_clIPbSD_PiSF_EESJ_SZ_SK_SL_SM_EUlSZ_E0_NS1_11comp_targetILNS1_3genE9ELNS1_11target_archE1100ELNS1_3gpuE3ELNS1_3repE0EEENS1_38merge_mergepath_config_static_selectorELNS0_4arch9wavefront6targetE1EEEvSL_
    .private_segment_fixed_size: 0
    .sgpr_count:     6
    .sgpr_spill_count: 0
    .symbol:         _ZN7rocprim17ROCPRIM_400000_NS6detail17trampoline_kernelINS0_14default_configENS1_38merge_sort_block_merge_config_selectorIbiEEZZNS1_27merge_sort_block_merge_implIS3_N6thrust23THRUST_200600_302600_NS6detail15normal_iteratorINS8_10device_ptrIbEEEENSA_INSB_IiEEEEjNS1_19radix_merge_compareILb0ELb0EbNS0_19identity_decomposerEEEEE10hipError_tT0_T1_T2_jT3_P12ihipStream_tbPNSt15iterator_traitsISK_E10value_typeEPNSQ_ISL_E10value_typeEPSM_NS1_7vsmem_tEENKUlT_SK_SL_SM_E_clIPbSD_PiSF_EESJ_SZ_SK_SL_SM_EUlSZ_E0_NS1_11comp_targetILNS1_3genE9ELNS1_11target_archE1100ELNS1_3gpuE3ELNS1_3repE0EEENS1_38merge_mergepath_config_static_selectorELNS0_4arch9wavefront6targetE1EEEvSL_.kd
    .uniform_work_group_size: 1
    .uses_dynamic_stack: false
    .vgpr_count:     0
    .vgpr_spill_count: 0
    .wavefront_size: 64
  - .agpr_count:     0
    .args:
      - .offset:         0
        .size:           64
        .value_kind:     by_value
    .group_segment_fixed_size: 0
    .kernarg_segment_align: 8
    .kernarg_segment_size: 64
    .language:       OpenCL C
    .language_version:
      - 2
      - 0
    .max_flat_workgroup_size: 256
    .name:           _ZN7rocprim17ROCPRIM_400000_NS6detail17trampoline_kernelINS0_14default_configENS1_38merge_sort_block_merge_config_selectorIbiEEZZNS1_27merge_sort_block_merge_implIS3_N6thrust23THRUST_200600_302600_NS6detail15normal_iteratorINS8_10device_ptrIbEEEENSA_INSB_IiEEEEjNS1_19radix_merge_compareILb0ELb0EbNS0_19identity_decomposerEEEEE10hipError_tT0_T1_T2_jT3_P12ihipStream_tbPNSt15iterator_traitsISK_E10value_typeEPNSQ_ISL_E10value_typeEPSM_NS1_7vsmem_tEENKUlT_SK_SL_SM_E_clIPbSD_PiSF_EESJ_SZ_SK_SL_SM_EUlSZ_E0_NS1_11comp_targetILNS1_3genE8ELNS1_11target_archE1030ELNS1_3gpuE2ELNS1_3repE0EEENS1_38merge_mergepath_config_static_selectorELNS0_4arch9wavefront6targetE1EEEvSL_
    .private_segment_fixed_size: 0
    .sgpr_count:     6
    .sgpr_spill_count: 0
    .symbol:         _ZN7rocprim17ROCPRIM_400000_NS6detail17trampoline_kernelINS0_14default_configENS1_38merge_sort_block_merge_config_selectorIbiEEZZNS1_27merge_sort_block_merge_implIS3_N6thrust23THRUST_200600_302600_NS6detail15normal_iteratorINS8_10device_ptrIbEEEENSA_INSB_IiEEEEjNS1_19radix_merge_compareILb0ELb0EbNS0_19identity_decomposerEEEEE10hipError_tT0_T1_T2_jT3_P12ihipStream_tbPNSt15iterator_traitsISK_E10value_typeEPNSQ_ISL_E10value_typeEPSM_NS1_7vsmem_tEENKUlT_SK_SL_SM_E_clIPbSD_PiSF_EESJ_SZ_SK_SL_SM_EUlSZ_E0_NS1_11comp_targetILNS1_3genE8ELNS1_11target_archE1030ELNS1_3gpuE2ELNS1_3repE0EEENS1_38merge_mergepath_config_static_selectorELNS0_4arch9wavefront6targetE1EEEvSL_.kd
    .uniform_work_group_size: 1
    .uses_dynamic_stack: false
    .vgpr_count:     0
    .vgpr_spill_count: 0
    .wavefront_size: 64
  - .agpr_count:     0
    .args:
      - .offset:         0
        .size:           48
        .value_kind:     by_value
    .group_segment_fixed_size: 0
    .kernarg_segment_align: 8
    .kernarg_segment_size: 48
    .language:       OpenCL C
    .language_version:
      - 2
      - 0
    .max_flat_workgroup_size: 256
    .name:           _ZN7rocprim17ROCPRIM_400000_NS6detail17trampoline_kernelINS0_14default_configENS1_38merge_sort_block_merge_config_selectorIbiEEZZNS1_27merge_sort_block_merge_implIS3_N6thrust23THRUST_200600_302600_NS6detail15normal_iteratorINS8_10device_ptrIbEEEENSA_INSB_IiEEEEjNS1_19radix_merge_compareILb0ELb0EbNS0_19identity_decomposerEEEEE10hipError_tT0_T1_T2_jT3_P12ihipStream_tbPNSt15iterator_traitsISK_E10value_typeEPNSQ_ISL_E10value_typeEPSM_NS1_7vsmem_tEENKUlT_SK_SL_SM_E_clIPbSD_PiSF_EESJ_SZ_SK_SL_SM_EUlSZ_E1_NS1_11comp_targetILNS1_3genE0ELNS1_11target_archE4294967295ELNS1_3gpuE0ELNS1_3repE0EEENS1_36merge_oddeven_config_static_selectorELNS0_4arch9wavefront6targetE1EEEvSL_
    .private_segment_fixed_size: 0
    .sgpr_count:     30
    .sgpr_spill_count: 0
    .symbol:         _ZN7rocprim17ROCPRIM_400000_NS6detail17trampoline_kernelINS0_14default_configENS1_38merge_sort_block_merge_config_selectorIbiEEZZNS1_27merge_sort_block_merge_implIS3_N6thrust23THRUST_200600_302600_NS6detail15normal_iteratorINS8_10device_ptrIbEEEENSA_INSB_IiEEEEjNS1_19radix_merge_compareILb0ELb0EbNS0_19identity_decomposerEEEEE10hipError_tT0_T1_T2_jT3_P12ihipStream_tbPNSt15iterator_traitsISK_E10value_typeEPNSQ_ISL_E10value_typeEPSM_NS1_7vsmem_tEENKUlT_SK_SL_SM_E_clIPbSD_PiSF_EESJ_SZ_SK_SL_SM_EUlSZ_E1_NS1_11comp_targetILNS1_3genE0ELNS1_11target_archE4294967295ELNS1_3gpuE0ELNS1_3repE0EEENS1_36merge_oddeven_config_static_selectorELNS0_4arch9wavefront6targetE1EEEvSL_.kd
    .uniform_work_group_size: 1
    .uses_dynamic_stack: false
    .vgpr_count:     9
    .vgpr_spill_count: 0
    .wavefront_size: 64
  - .agpr_count:     0
    .args:
      - .offset:         0
        .size:           48
        .value_kind:     by_value
    .group_segment_fixed_size: 0
    .kernarg_segment_align: 8
    .kernarg_segment_size: 48
    .language:       OpenCL C
    .language_version:
      - 2
      - 0
    .max_flat_workgroup_size: 256
    .name:           _ZN7rocprim17ROCPRIM_400000_NS6detail17trampoline_kernelINS0_14default_configENS1_38merge_sort_block_merge_config_selectorIbiEEZZNS1_27merge_sort_block_merge_implIS3_N6thrust23THRUST_200600_302600_NS6detail15normal_iteratorINS8_10device_ptrIbEEEENSA_INSB_IiEEEEjNS1_19radix_merge_compareILb0ELb0EbNS0_19identity_decomposerEEEEE10hipError_tT0_T1_T2_jT3_P12ihipStream_tbPNSt15iterator_traitsISK_E10value_typeEPNSQ_ISL_E10value_typeEPSM_NS1_7vsmem_tEENKUlT_SK_SL_SM_E_clIPbSD_PiSF_EESJ_SZ_SK_SL_SM_EUlSZ_E1_NS1_11comp_targetILNS1_3genE10ELNS1_11target_archE1201ELNS1_3gpuE5ELNS1_3repE0EEENS1_36merge_oddeven_config_static_selectorELNS0_4arch9wavefront6targetE1EEEvSL_
    .private_segment_fixed_size: 0
    .sgpr_count:     6
    .sgpr_spill_count: 0
    .symbol:         _ZN7rocprim17ROCPRIM_400000_NS6detail17trampoline_kernelINS0_14default_configENS1_38merge_sort_block_merge_config_selectorIbiEEZZNS1_27merge_sort_block_merge_implIS3_N6thrust23THRUST_200600_302600_NS6detail15normal_iteratorINS8_10device_ptrIbEEEENSA_INSB_IiEEEEjNS1_19radix_merge_compareILb0ELb0EbNS0_19identity_decomposerEEEEE10hipError_tT0_T1_T2_jT3_P12ihipStream_tbPNSt15iterator_traitsISK_E10value_typeEPNSQ_ISL_E10value_typeEPSM_NS1_7vsmem_tEENKUlT_SK_SL_SM_E_clIPbSD_PiSF_EESJ_SZ_SK_SL_SM_EUlSZ_E1_NS1_11comp_targetILNS1_3genE10ELNS1_11target_archE1201ELNS1_3gpuE5ELNS1_3repE0EEENS1_36merge_oddeven_config_static_selectorELNS0_4arch9wavefront6targetE1EEEvSL_.kd
    .uniform_work_group_size: 1
    .uses_dynamic_stack: false
    .vgpr_count:     0
    .vgpr_spill_count: 0
    .wavefront_size: 64
  - .agpr_count:     0
    .args:
      - .offset:         0
        .size:           48
        .value_kind:     by_value
    .group_segment_fixed_size: 0
    .kernarg_segment_align: 8
    .kernarg_segment_size: 48
    .language:       OpenCL C
    .language_version:
      - 2
      - 0
    .max_flat_workgroup_size: 256
    .name:           _ZN7rocprim17ROCPRIM_400000_NS6detail17trampoline_kernelINS0_14default_configENS1_38merge_sort_block_merge_config_selectorIbiEEZZNS1_27merge_sort_block_merge_implIS3_N6thrust23THRUST_200600_302600_NS6detail15normal_iteratorINS8_10device_ptrIbEEEENSA_INSB_IiEEEEjNS1_19radix_merge_compareILb0ELb0EbNS0_19identity_decomposerEEEEE10hipError_tT0_T1_T2_jT3_P12ihipStream_tbPNSt15iterator_traitsISK_E10value_typeEPNSQ_ISL_E10value_typeEPSM_NS1_7vsmem_tEENKUlT_SK_SL_SM_E_clIPbSD_PiSF_EESJ_SZ_SK_SL_SM_EUlSZ_E1_NS1_11comp_targetILNS1_3genE5ELNS1_11target_archE942ELNS1_3gpuE9ELNS1_3repE0EEENS1_36merge_oddeven_config_static_selectorELNS0_4arch9wavefront6targetE1EEEvSL_
    .private_segment_fixed_size: 0
    .sgpr_count:     6
    .sgpr_spill_count: 0
    .symbol:         _ZN7rocprim17ROCPRIM_400000_NS6detail17trampoline_kernelINS0_14default_configENS1_38merge_sort_block_merge_config_selectorIbiEEZZNS1_27merge_sort_block_merge_implIS3_N6thrust23THRUST_200600_302600_NS6detail15normal_iteratorINS8_10device_ptrIbEEEENSA_INSB_IiEEEEjNS1_19radix_merge_compareILb0ELb0EbNS0_19identity_decomposerEEEEE10hipError_tT0_T1_T2_jT3_P12ihipStream_tbPNSt15iterator_traitsISK_E10value_typeEPNSQ_ISL_E10value_typeEPSM_NS1_7vsmem_tEENKUlT_SK_SL_SM_E_clIPbSD_PiSF_EESJ_SZ_SK_SL_SM_EUlSZ_E1_NS1_11comp_targetILNS1_3genE5ELNS1_11target_archE942ELNS1_3gpuE9ELNS1_3repE0EEENS1_36merge_oddeven_config_static_selectorELNS0_4arch9wavefront6targetE1EEEvSL_.kd
    .uniform_work_group_size: 1
    .uses_dynamic_stack: false
    .vgpr_count:     0
    .vgpr_spill_count: 0
    .wavefront_size: 64
  - .agpr_count:     0
    .args:
      - .offset:         0
        .size:           48
        .value_kind:     by_value
    .group_segment_fixed_size: 0
    .kernarg_segment_align: 8
    .kernarg_segment_size: 48
    .language:       OpenCL C
    .language_version:
      - 2
      - 0
    .max_flat_workgroup_size: 256
    .name:           _ZN7rocprim17ROCPRIM_400000_NS6detail17trampoline_kernelINS0_14default_configENS1_38merge_sort_block_merge_config_selectorIbiEEZZNS1_27merge_sort_block_merge_implIS3_N6thrust23THRUST_200600_302600_NS6detail15normal_iteratorINS8_10device_ptrIbEEEENSA_INSB_IiEEEEjNS1_19radix_merge_compareILb0ELb0EbNS0_19identity_decomposerEEEEE10hipError_tT0_T1_T2_jT3_P12ihipStream_tbPNSt15iterator_traitsISK_E10value_typeEPNSQ_ISL_E10value_typeEPSM_NS1_7vsmem_tEENKUlT_SK_SL_SM_E_clIPbSD_PiSF_EESJ_SZ_SK_SL_SM_EUlSZ_E1_NS1_11comp_targetILNS1_3genE4ELNS1_11target_archE910ELNS1_3gpuE8ELNS1_3repE0EEENS1_36merge_oddeven_config_static_selectorELNS0_4arch9wavefront6targetE1EEEvSL_
    .private_segment_fixed_size: 0
    .sgpr_count:     6
    .sgpr_spill_count: 0
    .symbol:         _ZN7rocprim17ROCPRIM_400000_NS6detail17trampoline_kernelINS0_14default_configENS1_38merge_sort_block_merge_config_selectorIbiEEZZNS1_27merge_sort_block_merge_implIS3_N6thrust23THRUST_200600_302600_NS6detail15normal_iteratorINS8_10device_ptrIbEEEENSA_INSB_IiEEEEjNS1_19radix_merge_compareILb0ELb0EbNS0_19identity_decomposerEEEEE10hipError_tT0_T1_T2_jT3_P12ihipStream_tbPNSt15iterator_traitsISK_E10value_typeEPNSQ_ISL_E10value_typeEPSM_NS1_7vsmem_tEENKUlT_SK_SL_SM_E_clIPbSD_PiSF_EESJ_SZ_SK_SL_SM_EUlSZ_E1_NS1_11comp_targetILNS1_3genE4ELNS1_11target_archE910ELNS1_3gpuE8ELNS1_3repE0EEENS1_36merge_oddeven_config_static_selectorELNS0_4arch9wavefront6targetE1EEEvSL_.kd
    .uniform_work_group_size: 1
    .uses_dynamic_stack: false
    .vgpr_count:     0
    .vgpr_spill_count: 0
    .wavefront_size: 64
  - .agpr_count:     0
    .args:
      - .offset:         0
        .size:           48
        .value_kind:     by_value
    .group_segment_fixed_size: 0
    .kernarg_segment_align: 8
    .kernarg_segment_size: 48
    .language:       OpenCL C
    .language_version:
      - 2
      - 0
    .max_flat_workgroup_size: 256
    .name:           _ZN7rocprim17ROCPRIM_400000_NS6detail17trampoline_kernelINS0_14default_configENS1_38merge_sort_block_merge_config_selectorIbiEEZZNS1_27merge_sort_block_merge_implIS3_N6thrust23THRUST_200600_302600_NS6detail15normal_iteratorINS8_10device_ptrIbEEEENSA_INSB_IiEEEEjNS1_19radix_merge_compareILb0ELb0EbNS0_19identity_decomposerEEEEE10hipError_tT0_T1_T2_jT3_P12ihipStream_tbPNSt15iterator_traitsISK_E10value_typeEPNSQ_ISL_E10value_typeEPSM_NS1_7vsmem_tEENKUlT_SK_SL_SM_E_clIPbSD_PiSF_EESJ_SZ_SK_SL_SM_EUlSZ_E1_NS1_11comp_targetILNS1_3genE3ELNS1_11target_archE908ELNS1_3gpuE7ELNS1_3repE0EEENS1_36merge_oddeven_config_static_selectorELNS0_4arch9wavefront6targetE1EEEvSL_
    .private_segment_fixed_size: 0
    .sgpr_count:     6
    .sgpr_spill_count: 0
    .symbol:         _ZN7rocprim17ROCPRIM_400000_NS6detail17trampoline_kernelINS0_14default_configENS1_38merge_sort_block_merge_config_selectorIbiEEZZNS1_27merge_sort_block_merge_implIS3_N6thrust23THRUST_200600_302600_NS6detail15normal_iteratorINS8_10device_ptrIbEEEENSA_INSB_IiEEEEjNS1_19radix_merge_compareILb0ELb0EbNS0_19identity_decomposerEEEEE10hipError_tT0_T1_T2_jT3_P12ihipStream_tbPNSt15iterator_traitsISK_E10value_typeEPNSQ_ISL_E10value_typeEPSM_NS1_7vsmem_tEENKUlT_SK_SL_SM_E_clIPbSD_PiSF_EESJ_SZ_SK_SL_SM_EUlSZ_E1_NS1_11comp_targetILNS1_3genE3ELNS1_11target_archE908ELNS1_3gpuE7ELNS1_3repE0EEENS1_36merge_oddeven_config_static_selectorELNS0_4arch9wavefront6targetE1EEEvSL_.kd
    .uniform_work_group_size: 1
    .uses_dynamic_stack: false
    .vgpr_count:     0
    .vgpr_spill_count: 0
    .wavefront_size: 64
  - .agpr_count:     0
    .args:
      - .offset:         0
        .size:           48
        .value_kind:     by_value
    .group_segment_fixed_size: 0
    .kernarg_segment_align: 8
    .kernarg_segment_size: 48
    .language:       OpenCL C
    .language_version:
      - 2
      - 0
    .max_flat_workgroup_size: 256
    .name:           _ZN7rocprim17ROCPRIM_400000_NS6detail17trampoline_kernelINS0_14default_configENS1_38merge_sort_block_merge_config_selectorIbiEEZZNS1_27merge_sort_block_merge_implIS3_N6thrust23THRUST_200600_302600_NS6detail15normal_iteratorINS8_10device_ptrIbEEEENSA_INSB_IiEEEEjNS1_19radix_merge_compareILb0ELb0EbNS0_19identity_decomposerEEEEE10hipError_tT0_T1_T2_jT3_P12ihipStream_tbPNSt15iterator_traitsISK_E10value_typeEPNSQ_ISL_E10value_typeEPSM_NS1_7vsmem_tEENKUlT_SK_SL_SM_E_clIPbSD_PiSF_EESJ_SZ_SK_SL_SM_EUlSZ_E1_NS1_11comp_targetILNS1_3genE2ELNS1_11target_archE906ELNS1_3gpuE6ELNS1_3repE0EEENS1_36merge_oddeven_config_static_selectorELNS0_4arch9wavefront6targetE1EEEvSL_
    .private_segment_fixed_size: 0
    .sgpr_count:     6
    .sgpr_spill_count: 0
    .symbol:         _ZN7rocprim17ROCPRIM_400000_NS6detail17trampoline_kernelINS0_14default_configENS1_38merge_sort_block_merge_config_selectorIbiEEZZNS1_27merge_sort_block_merge_implIS3_N6thrust23THRUST_200600_302600_NS6detail15normal_iteratorINS8_10device_ptrIbEEEENSA_INSB_IiEEEEjNS1_19radix_merge_compareILb0ELb0EbNS0_19identity_decomposerEEEEE10hipError_tT0_T1_T2_jT3_P12ihipStream_tbPNSt15iterator_traitsISK_E10value_typeEPNSQ_ISL_E10value_typeEPSM_NS1_7vsmem_tEENKUlT_SK_SL_SM_E_clIPbSD_PiSF_EESJ_SZ_SK_SL_SM_EUlSZ_E1_NS1_11comp_targetILNS1_3genE2ELNS1_11target_archE906ELNS1_3gpuE6ELNS1_3repE0EEENS1_36merge_oddeven_config_static_selectorELNS0_4arch9wavefront6targetE1EEEvSL_.kd
    .uniform_work_group_size: 1
    .uses_dynamic_stack: false
    .vgpr_count:     0
    .vgpr_spill_count: 0
    .wavefront_size: 64
  - .agpr_count:     0
    .args:
      - .offset:         0
        .size:           48
        .value_kind:     by_value
    .group_segment_fixed_size: 0
    .kernarg_segment_align: 8
    .kernarg_segment_size: 48
    .language:       OpenCL C
    .language_version:
      - 2
      - 0
    .max_flat_workgroup_size: 256
    .name:           _ZN7rocprim17ROCPRIM_400000_NS6detail17trampoline_kernelINS0_14default_configENS1_38merge_sort_block_merge_config_selectorIbiEEZZNS1_27merge_sort_block_merge_implIS3_N6thrust23THRUST_200600_302600_NS6detail15normal_iteratorINS8_10device_ptrIbEEEENSA_INSB_IiEEEEjNS1_19radix_merge_compareILb0ELb0EbNS0_19identity_decomposerEEEEE10hipError_tT0_T1_T2_jT3_P12ihipStream_tbPNSt15iterator_traitsISK_E10value_typeEPNSQ_ISL_E10value_typeEPSM_NS1_7vsmem_tEENKUlT_SK_SL_SM_E_clIPbSD_PiSF_EESJ_SZ_SK_SL_SM_EUlSZ_E1_NS1_11comp_targetILNS1_3genE9ELNS1_11target_archE1100ELNS1_3gpuE3ELNS1_3repE0EEENS1_36merge_oddeven_config_static_selectorELNS0_4arch9wavefront6targetE1EEEvSL_
    .private_segment_fixed_size: 0
    .sgpr_count:     6
    .sgpr_spill_count: 0
    .symbol:         _ZN7rocprim17ROCPRIM_400000_NS6detail17trampoline_kernelINS0_14default_configENS1_38merge_sort_block_merge_config_selectorIbiEEZZNS1_27merge_sort_block_merge_implIS3_N6thrust23THRUST_200600_302600_NS6detail15normal_iteratorINS8_10device_ptrIbEEEENSA_INSB_IiEEEEjNS1_19radix_merge_compareILb0ELb0EbNS0_19identity_decomposerEEEEE10hipError_tT0_T1_T2_jT3_P12ihipStream_tbPNSt15iterator_traitsISK_E10value_typeEPNSQ_ISL_E10value_typeEPSM_NS1_7vsmem_tEENKUlT_SK_SL_SM_E_clIPbSD_PiSF_EESJ_SZ_SK_SL_SM_EUlSZ_E1_NS1_11comp_targetILNS1_3genE9ELNS1_11target_archE1100ELNS1_3gpuE3ELNS1_3repE0EEENS1_36merge_oddeven_config_static_selectorELNS0_4arch9wavefront6targetE1EEEvSL_.kd
    .uniform_work_group_size: 1
    .uses_dynamic_stack: false
    .vgpr_count:     0
    .vgpr_spill_count: 0
    .wavefront_size: 64
  - .agpr_count:     0
    .args:
      - .offset:         0
        .size:           48
        .value_kind:     by_value
    .group_segment_fixed_size: 0
    .kernarg_segment_align: 8
    .kernarg_segment_size: 48
    .language:       OpenCL C
    .language_version:
      - 2
      - 0
    .max_flat_workgroup_size: 256
    .name:           _ZN7rocprim17ROCPRIM_400000_NS6detail17trampoline_kernelINS0_14default_configENS1_38merge_sort_block_merge_config_selectorIbiEEZZNS1_27merge_sort_block_merge_implIS3_N6thrust23THRUST_200600_302600_NS6detail15normal_iteratorINS8_10device_ptrIbEEEENSA_INSB_IiEEEEjNS1_19radix_merge_compareILb0ELb0EbNS0_19identity_decomposerEEEEE10hipError_tT0_T1_T2_jT3_P12ihipStream_tbPNSt15iterator_traitsISK_E10value_typeEPNSQ_ISL_E10value_typeEPSM_NS1_7vsmem_tEENKUlT_SK_SL_SM_E_clIPbSD_PiSF_EESJ_SZ_SK_SL_SM_EUlSZ_E1_NS1_11comp_targetILNS1_3genE8ELNS1_11target_archE1030ELNS1_3gpuE2ELNS1_3repE0EEENS1_36merge_oddeven_config_static_selectorELNS0_4arch9wavefront6targetE1EEEvSL_
    .private_segment_fixed_size: 0
    .sgpr_count:     6
    .sgpr_spill_count: 0
    .symbol:         _ZN7rocprim17ROCPRIM_400000_NS6detail17trampoline_kernelINS0_14default_configENS1_38merge_sort_block_merge_config_selectorIbiEEZZNS1_27merge_sort_block_merge_implIS3_N6thrust23THRUST_200600_302600_NS6detail15normal_iteratorINS8_10device_ptrIbEEEENSA_INSB_IiEEEEjNS1_19radix_merge_compareILb0ELb0EbNS0_19identity_decomposerEEEEE10hipError_tT0_T1_T2_jT3_P12ihipStream_tbPNSt15iterator_traitsISK_E10value_typeEPNSQ_ISL_E10value_typeEPSM_NS1_7vsmem_tEENKUlT_SK_SL_SM_E_clIPbSD_PiSF_EESJ_SZ_SK_SL_SM_EUlSZ_E1_NS1_11comp_targetILNS1_3genE8ELNS1_11target_archE1030ELNS1_3gpuE2ELNS1_3repE0EEENS1_36merge_oddeven_config_static_selectorELNS0_4arch9wavefront6targetE1EEEvSL_.kd
    .uniform_work_group_size: 1
    .uses_dynamic_stack: false
    .vgpr_count:     0
    .vgpr_spill_count: 0
    .wavefront_size: 64
  - .agpr_count:     0
    .args:
      - .offset:         0
        .size:           40
        .value_kind:     by_value
    .group_segment_fixed_size: 0
    .kernarg_segment_align: 8
    .kernarg_segment_size: 40
    .language:       OpenCL C
    .language_version:
      - 2
      - 0
    .max_flat_workgroup_size: 128
    .name:           _ZN7rocprim17ROCPRIM_400000_NS6detail17trampoline_kernelINS0_14default_configENS1_38merge_sort_block_merge_config_selectorIbiEEZZNS1_27merge_sort_block_merge_implIS3_N6thrust23THRUST_200600_302600_NS6detail15normal_iteratorINS8_10device_ptrIbEEEENSA_INSB_IiEEEEjNS1_19radix_merge_compareILb0ELb0EbNS0_19identity_decomposerEEEEE10hipError_tT0_T1_T2_jT3_P12ihipStream_tbPNSt15iterator_traitsISK_E10value_typeEPNSQ_ISL_E10value_typeEPSM_NS1_7vsmem_tEENKUlT_SK_SL_SM_E_clISD_PbSF_PiEESJ_SZ_SK_SL_SM_EUlSZ_E_NS1_11comp_targetILNS1_3genE0ELNS1_11target_archE4294967295ELNS1_3gpuE0ELNS1_3repE0EEENS1_48merge_mergepath_partition_config_static_selectorELNS0_4arch9wavefront6targetE1EEEvSL_
    .private_segment_fixed_size: 0
    .sgpr_count:     14
    .sgpr_spill_count: 0
    .symbol:         _ZN7rocprim17ROCPRIM_400000_NS6detail17trampoline_kernelINS0_14default_configENS1_38merge_sort_block_merge_config_selectorIbiEEZZNS1_27merge_sort_block_merge_implIS3_N6thrust23THRUST_200600_302600_NS6detail15normal_iteratorINS8_10device_ptrIbEEEENSA_INSB_IiEEEEjNS1_19radix_merge_compareILb0ELb0EbNS0_19identity_decomposerEEEEE10hipError_tT0_T1_T2_jT3_P12ihipStream_tbPNSt15iterator_traitsISK_E10value_typeEPNSQ_ISL_E10value_typeEPSM_NS1_7vsmem_tEENKUlT_SK_SL_SM_E_clISD_PbSF_PiEESJ_SZ_SK_SL_SM_EUlSZ_E_NS1_11comp_targetILNS1_3genE0ELNS1_11target_archE4294967295ELNS1_3gpuE0ELNS1_3repE0EEENS1_48merge_mergepath_partition_config_static_selectorELNS0_4arch9wavefront6targetE1EEEvSL_.kd
    .uniform_work_group_size: 1
    .uses_dynamic_stack: false
    .vgpr_count:     17
    .vgpr_spill_count: 0
    .wavefront_size: 64
  - .agpr_count:     0
    .args:
      - .offset:         0
        .size:           40
        .value_kind:     by_value
    .group_segment_fixed_size: 0
    .kernarg_segment_align: 8
    .kernarg_segment_size: 40
    .language:       OpenCL C
    .language_version:
      - 2
      - 0
    .max_flat_workgroup_size: 128
    .name:           _ZN7rocprim17ROCPRIM_400000_NS6detail17trampoline_kernelINS0_14default_configENS1_38merge_sort_block_merge_config_selectorIbiEEZZNS1_27merge_sort_block_merge_implIS3_N6thrust23THRUST_200600_302600_NS6detail15normal_iteratorINS8_10device_ptrIbEEEENSA_INSB_IiEEEEjNS1_19radix_merge_compareILb0ELb0EbNS0_19identity_decomposerEEEEE10hipError_tT0_T1_T2_jT3_P12ihipStream_tbPNSt15iterator_traitsISK_E10value_typeEPNSQ_ISL_E10value_typeEPSM_NS1_7vsmem_tEENKUlT_SK_SL_SM_E_clISD_PbSF_PiEESJ_SZ_SK_SL_SM_EUlSZ_E_NS1_11comp_targetILNS1_3genE10ELNS1_11target_archE1201ELNS1_3gpuE5ELNS1_3repE0EEENS1_48merge_mergepath_partition_config_static_selectorELNS0_4arch9wavefront6targetE1EEEvSL_
    .private_segment_fixed_size: 0
    .sgpr_count:     6
    .sgpr_spill_count: 0
    .symbol:         _ZN7rocprim17ROCPRIM_400000_NS6detail17trampoline_kernelINS0_14default_configENS1_38merge_sort_block_merge_config_selectorIbiEEZZNS1_27merge_sort_block_merge_implIS3_N6thrust23THRUST_200600_302600_NS6detail15normal_iteratorINS8_10device_ptrIbEEEENSA_INSB_IiEEEEjNS1_19radix_merge_compareILb0ELb0EbNS0_19identity_decomposerEEEEE10hipError_tT0_T1_T2_jT3_P12ihipStream_tbPNSt15iterator_traitsISK_E10value_typeEPNSQ_ISL_E10value_typeEPSM_NS1_7vsmem_tEENKUlT_SK_SL_SM_E_clISD_PbSF_PiEESJ_SZ_SK_SL_SM_EUlSZ_E_NS1_11comp_targetILNS1_3genE10ELNS1_11target_archE1201ELNS1_3gpuE5ELNS1_3repE0EEENS1_48merge_mergepath_partition_config_static_selectorELNS0_4arch9wavefront6targetE1EEEvSL_.kd
    .uniform_work_group_size: 1
    .uses_dynamic_stack: false
    .vgpr_count:     0
    .vgpr_spill_count: 0
    .wavefront_size: 64
  - .agpr_count:     0
    .args:
      - .offset:         0
        .size:           40
        .value_kind:     by_value
    .group_segment_fixed_size: 0
    .kernarg_segment_align: 8
    .kernarg_segment_size: 40
    .language:       OpenCL C
    .language_version:
      - 2
      - 0
    .max_flat_workgroup_size: 128
    .name:           _ZN7rocprim17ROCPRIM_400000_NS6detail17trampoline_kernelINS0_14default_configENS1_38merge_sort_block_merge_config_selectorIbiEEZZNS1_27merge_sort_block_merge_implIS3_N6thrust23THRUST_200600_302600_NS6detail15normal_iteratorINS8_10device_ptrIbEEEENSA_INSB_IiEEEEjNS1_19radix_merge_compareILb0ELb0EbNS0_19identity_decomposerEEEEE10hipError_tT0_T1_T2_jT3_P12ihipStream_tbPNSt15iterator_traitsISK_E10value_typeEPNSQ_ISL_E10value_typeEPSM_NS1_7vsmem_tEENKUlT_SK_SL_SM_E_clISD_PbSF_PiEESJ_SZ_SK_SL_SM_EUlSZ_E_NS1_11comp_targetILNS1_3genE5ELNS1_11target_archE942ELNS1_3gpuE9ELNS1_3repE0EEENS1_48merge_mergepath_partition_config_static_selectorELNS0_4arch9wavefront6targetE1EEEvSL_
    .private_segment_fixed_size: 0
    .sgpr_count:     6
    .sgpr_spill_count: 0
    .symbol:         _ZN7rocprim17ROCPRIM_400000_NS6detail17trampoline_kernelINS0_14default_configENS1_38merge_sort_block_merge_config_selectorIbiEEZZNS1_27merge_sort_block_merge_implIS3_N6thrust23THRUST_200600_302600_NS6detail15normal_iteratorINS8_10device_ptrIbEEEENSA_INSB_IiEEEEjNS1_19radix_merge_compareILb0ELb0EbNS0_19identity_decomposerEEEEE10hipError_tT0_T1_T2_jT3_P12ihipStream_tbPNSt15iterator_traitsISK_E10value_typeEPNSQ_ISL_E10value_typeEPSM_NS1_7vsmem_tEENKUlT_SK_SL_SM_E_clISD_PbSF_PiEESJ_SZ_SK_SL_SM_EUlSZ_E_NS1_11comp_targetILNS1_3genE5ELNS1_11target_archE942ELNS1_3gpuE9ELNS1_3repE0EEENS1_48merge_mergepath_partition_config_static_selectorELNS0_4arch9wavefront6targetE1EEEvSL_.kd
    .uniform_work_group_size: 1
    .uses_dynamic_stack: false
    .vgpr_count:     0
    .vgpr_spill_count: 0
    .wavefront_size: 64
  - .agpr_count:     0
    .args:
      - .offset:         0
        .size:           40
        .value_kind:     by_value
    .group_segment_fixed_size: 0
    .kernarg_segment_align: 8
    .kernarg_segment_size: 40
    .language:       OpenCL C
    .language_version:
      - 2
      - 0
    .max_flat_workgroup_size: 128
    .name:           _ZN7rocprim17ROCPRIM_400000_NS6detail17trampoline_kernelINS0_14default_configENS1_38merge_sort_block_merge_config_selectorIbiEEZZNS1_27merge_sort_block_merge_implIS3_N6thrust23THRUST_200600_302600_NS6detail15normal_iteratorINS8_10device_ptrIbEEEENSA_INSB_IiEEEEjNS1_19radix_merge_compareILb0ELb0EbNS0_19identity_decomposerEEEEE10hipError_tT0_T1_T2_jT3_P12ihipStream_tbPNSt15iterator_traitsISK_E10value_typeEPNSQ_ISL_E10value_typeEPSM_NS1_7vsmem_tEENKUlT_SK_SL_SM_E_clISD_PbSF_PiEESJ_SZ_SK_SL_SM_EUlSZ_E_NS1_11comp_targetILNS1_3genE4ELNS1_11target_archE910ELNS1_3gpuE8ELNS1_3repE0EEENS1_48merge_mergepath_partition_config_static_selectorELNS0_4arch9wavefront6targetE1EEEvSL_
    .private_segment_fixed_size: 0
    .sgpr_count:     6
    .sgpr_spill_count: 0
    .symbol:         _ZN7rocprim17ROCPRIM_400000_NS6detail17trampoline_kernelINS0_14default_configENS1_38merge_sort_block_merge_config_selectorIbiEEZZNS1_27merge_sort_block_merge_implIS3_N6thrust23THRUST_200600_302600_NS6detail15normal_iteratorINS8_10device_ptrIbEEEENSA_INSB_IiEEEEjNS1_19radix_merge_compareILb0ELb0EbNS0_19identity_decomposerEEEEE10hipError_tT0_T1_T2_jT3_P12ihipStream_tbPNSt15iterator_traitsISK_E10value_typeEPNSQ_ISL_E10value_typeEPSM_NS1_7vsmem_tEENKUlT_SK_SL_SM_E_clISD_PbSF_PiEESJ_SZ_SK_SL_SM_EUlSZ_E_NS1_11comp_targetILNS1_3genE4ELNS1_11target_archE910ELNS1_3gpuE8ELNS1_3repE0EEENS1_48merge_mergepath_partition_config_static_selectorELNS0_4arch9wavefront6targetE1EEEvSL_.kd
    .uniform_work_group_size: 1
    .uses_dynamic_stack: false
    .vgpr_count:     0
    .vgpr_spill_count: 0
    .wavefront_size: 64
  - .agpr_count:     0
    .args:
      - .offset:         0
        .size:           40
        .value_kind:     by_value
    .group_segment_fixed_size: 0
    .kernarg_segment_align: 8
    .kernarg_segment_size: 40
    .language:       OpenCL C
    .language_version:
      - 2
      - 0
    .max_flat_workgroup_size: 128
    .name:           _ZN7rocprim17ROCPRIM_400000_NS6detail17trampoline_kernelINS0_14default_configENS1_38merge_sort_block_merge_config_selectorIbiEEZZNS1_27merge_sort_block_merge_implIS3_N6thrust23THRUST_200600_302600_NS6detail15normal_iteratorINS8_10device_ptrIbEEEENSA_INSB_IiEEEEjNS1_19radix_merge_compareILb0ELb0EbNS0_19identity_decomposerEEEEE10hipError_tT0_T1_T2_jT3_P12ihipStream_tbPNSt15iterator_traitsISK_E10value_typeEPNSQ_ISL_E10value_typeEPSM_NS1_7vsmem_tEENKUlT_SK_SL_SM_E_clISD_PbSF_PiEESJ_SZ_SK_SL_SM_EUlSZ_E_NS1_11comp_targetILNS1_3genE3ELNS1_11target_archE908ELNS1_3gpuE7ELNS1_3repE0EEENS1_48merge_mergepath_partition_config_static_selectorELNS0_4arch9wavefront6targetE1EEEvSL_
    .private_segment_fixed_size: 0
    .sgpr_count:     6
    .sgpr_spill_count: 0
    .symbol:         _ZN7rocprim17ROCPRIM_400000_NS6detail17trampoline_kernelINS0_14default_configENS1_38merge_sort_block_merge_config_selectorIbiEEZZNS1_27merge_sort_block_merge_implIS3_N6thrust23THRUST_200600_302600_NS6detail15normal_iteratorINS8_10device_ptrIbEEEENSA_INSB_IiEEEEjNS1_19radix_merge_compareILb0ELb0EbNS0_19identity_decomposerEEEEE10hipError_tT0_T1_T2_jT3_P12ihipStream_tbPNSt15iterator_traitsISK_E10value_typeEPNSQ_ISL_E10value_typeEPSM_NS1_7vsmem_tEENKUlT_SK_SL_SM_E_clISD_PbSF_PiEESJ_SZ_SK_SL_SM_EUlSZ_E_NS1_11comp_targetILNS1_3genE3ELNS1_11target_archE908ELNS1_3gpuE7ELNS1_3repE0EEENS1_48merge_mergepath_partition_config_static_selectorELNS0_4arch9wavefront6targetE1EEEvSL_.kd
    .uniform_work_group_size: 1
    .uses_dynamic_stack: false
    .vgpr_count:     0
    .vgpr_spill_count: 0
    .wavefront_size: 64
  - .agpr_count:     0
    .args:
      - .offset:         0
        .size:           40
        .value_kind:     by_value
    .group_segment_fixed_size: 0
    .kernarg_segment_align: 8
    .kernarg_segment_size: 40
    .language:       OpenCL C
    .language_version:
      - 2
      - 0
    .max_flat_workgroup_size: 128
    .name:           _ZN7rocprim17ROCPRIM_400000_NS6detail17trampoline_kernelINS0_14default_configENS1_38merge_sort_block_merge_config_selectorIbiEEZZNS1_27merge_sort_block_merge_implIS3_N6thrust23THRUST_200600_302600_NS6detail15normal_iteratorINS8_10device_ptrIbEEEENSA_INSB_IiEEEEjNS1_19radix_merge_compareILb0ELb0EbNS0_19identity_decomposerEEEEE10hipError_tT0_T1_T2_jT3_P12ihipStream_tbPNSt15iterator_traitsISK_E10value_typeEPNSQ_ISL_E10value_typeEPSM_NS1_7vsmem_tEENKUlT_SK_SL_SM_E_clISD_PbSF_PiEESJ_SZ_SK_SL_SM_EUlSZ_E_NS1_11comp_targetILNS1_3genE2ELNS1_11target_archE906ELNS1_3gpuE6ELNS1_3repE0EEENS1_48merge_mergepath_partition_config_static_selectorELNS0_4arch9wavefront6targetE1EEEvSL_
    .private_segment_fixed_size: 0
    .sgpr_count:     6
    .sgpr_spill_count: 0
    .symbol:         _ZN7rocprim17ROCPRIM_400000_NS6detail17trampoline_kernelINS0_14default_configENS1_38merge_sort_block_merge_config_selectorIbiEEZZNS1_27merge_sort_block_merge_implIS3_N6thrust23THRUST_200600_302600_NS6detail15normal_iteratorINS8_10device_ptrIbEEEENSA_INSB_IiEEEEjNS1_19radix_merge_compareILb0ELb0EbNS0_19identity_decomposerEEEEE10hipError_tT0_T1_T2_jT3_P12ihipStream_tbPNSt15iterator_traitsISK_E10value_typeEPNSQ_ISL_E10value_typeEPSM_NS1_7vsmem_tEENKUlT_SK_SL_SM_E_clISD_PbSF_PiEESJ_SZ_SK_SL_SM_EUlSZ_E_NS1_11comp_targetILNS1_3genE2ELNS1_11target_archE906ELNS1_3gpuE6ELNS1_3repE0EEENS1_48merge_mergepath_partition_config_static_selectorELNS0_4arch9wavefront6targetE1EEEvSL_.kd
    .uniform_work_group_size: 1
    .uses_dynamic_stack: false
    .vgpr_count:     0
    .vgpr_spill_count: 0
    .wavefront_size: 64
  - .agpr_count:     0
    .args:
      - .offset:         0
        .size:           40
        .value_kind:     by_value
    .group_segment_fixed_size: 0
    .kernarg_segment_align: 8
    .kernarg_segment_size: 40
    .language:       OpenCL C
    .language_version:
      - 2
      - 0
    .max_flat_workgroup_size: 128
    .name:           _ZN7rocprim17ROCPRIM_400000_NS6detail17trampoline_kernelINS0_14default_configENS1_38merge_sort_block_merge_config_selectorIbiEEZZNS1_27merge_sort_block_merge_implIS3_N6thrust23THRUST_200600_302600_NS6detail15normal_iteratorINS8_10device_ptrIbEEEENSA_INSB_IiEEEEjNS1_19radix_merge_compareILb0ELb0EbNS0_19identity_decomposerEEEEE10hipError_tT0_T1_T2_jT3_P12ihipStream_tbPNSt15iterator_traitsISK_E10value_typeEPNSQ_ISL_E10value_typeEPSM_NS1_7vsmem_tEENKUlT_SK_SL_SM_E_clISD_PbSF_PiEESJ_SZ_SK_SL_SM_EUlSZ_E_NS1_11comp_targetILNS1_3genE9ELNS1_11target_archE1100ELNS1_3gpuE3ELNS1_3repE0EEENS1_48merge_mergepath_partition_config_static_selectorELNS0_4arch9wavefront6targetE1EEEvSL_
    .private_segment_fixed_size: 0
    .sgpr_count:     6
    .sgpr_spill_count: 0
    .symbol:         _ZN7rocprim17ROCPRIM_400000_NS6detail17trampoline_kernelINS0_14default_configENS1_38merge_sort_block_merge_config_selectorIbiEEZZNS1_27merge_sort_block_merge_implIS3_N6thrust23THRUST_200600_302600_NS6detail15normal_iteratorINS8_10device_ptrIbEEEENSA_INSB_IiEEEEjNS1_19radix_merge_compareILb0ELb0EbNS0_19identity_decomposerEEEEE10hipError_tT0_T1_T2_jT3_P12ihipStream_tbPNSt15iterator_traitsISK_E10value_typeEPNSQ_ISL_E10value_typeEPSM_NS1_7vsmem_tEENKUlT_SK_SL_SM_E_clISD_PbSF_PiEESJ_SZ_SK_SL_SM_EUlSZ_E_NS1_11comp_targetILNS1_3genE9ELNS1_11target_archE1100ELNS1_3gpuE3ELNS1_3repE0EEENS1_48merge_mergepath_partition_config_static_selectorELNS0_4arch9wavefront6targetE1EEEvSL_.kd
    .uniform_work_group_size: 1
    .uses_dynamic_stack: false
    .vgpr_count:     0
    .vgpr_spill_count: 0
    .wavefront_size: 64
  - .agpr_count:     0
    .args:
      - .offset:         0
        .size:           40
        .value_kind:     by_value
    .group_segment_fixed_size: 0
    .kernarg_segment_align: 8
    .kernarg_segment_size: 40
    .language:       OpenCL C
    .language_version:
      - 2
      - 0
    .max_flat_workgroup_size: 128
    .name:           _ZN7rocprim17ROCPRIM_400000_NS6detail17trampoline_kernelINS0_14default_configENS1_38merge_sort_block_merge_config_selectorIbiEEZZNS1_27merge_sort_block_merge_implIS3_N6thrust23THRUST_200600_302600_NS6detail15normal_iteratorINS8_10device_ptrIbEEEENSA_INSB_IiEEEEjNS1_19radix_merge_compareILb0ELb0EbNS0_19identity_decomposerEEEEE10hipError_tT0_T1_T2_jT3_P12ihipStream_tbPNSt15iterator_traitsISK_E10value_typeEPNSQ_ISL_E10value_typeEPSM_NS1_7vsmem_tEENKUlT_SK_SL_SM_E_clISD_PbSF_PiEESJ_SZ_SK_SL_SM_EUlSZ_E_NS1_11comp_targetILNS1_3genE8ELNS1_11target_archE1030ELNS1_3gpuE2ELNS1_3repE0EEENS1_48merge_mergepath_partition_config_static_selectorELNS0_4arch9wavefront6targetE1EEEvSL_
    .private_segment_fixed_size: 0
    .sgpr_count:     6
    .sgpr_spill_count: 0
    .symbol:         _ZN7rocprim17ROCPRIM_400000_NS6detail17trampoline_kernelINS0_14default_configENS1_38merge_sort_block_merge_config_selectorIbiEEZZNS1_27merge_sort_block_merge_implIS3_N6thrust23THRUST_200600_302600_NS6detail15normal_iteratorINS8_10device_ptrIbEEEENSA_INSB_IiEEEEjNS1_19radix_merge_compareILb0ELb0EbNS0_19identity_decomposerEEEEE10hipError_tT0_T1_T2_jT3_P12ihipStream_tbPNSt15iterator_traitsISK_E10value_typeEPNSQ_ISL_E10value_typeEPSM_NS1_7vsmem_tEENKUlT_SK_SL_SM_E_clISD_PbSF_PiEESJ_SZ_SK_SL_SM_EUlSZ_E_NS1_11comp_targetILNS1_3genE8ELNS1_11target_archE1030ELNS1_3gpuE2ELNS1_3repE0EEENS1_48merge_mergepath_partition_config_static_selectorELNS0_4arch9wavefront6targetE1EEEvSL_.kd
    .uniform_work_group_size: 1
    .uses_dynamic_stack: false
    .vgpr_count:     0
    .vgpr_spill_count: 0
    .wavefront_size: 64
  - .agpr_count:     0
    .args:
      - .offset:         0
        .size:           64
        .value_kind:     by_value
      - .offset:         64
        .size:           4
        .value_kind:     hidden_block_count_x
      - .offset:         68
        .size:           4
        .value_kind:     hidden_block_count_y
      - .offset:         72
        .size:           4
        .value_kind:     hidden_block_count_z
      - .offset:         76
        .size:           2
        .value_kind:     hidden_group_size_x
      - .offset:         78
        .size:           2
        .value_kind:     hidden_group_size_y
      - .offset:         80
        .size:           2
        .value_kind:     hidden_group_size_z
      - .offset:         82
        .size:           2
        .value_kind:     hidden_remainder_x
      - .offset:         84
        .size:           2
        .value_kind:     hidden_remainder_y
      - .offset:         86
        .size:           2
        .value_kind:     hidden_remainder_z
      - .offset:         104
        .size:           8
        .value_kind:     hidden_global_offset_x
      - .offset:         112
        .size:           8
        .value_kind:     hidden_global_offset_y
      - .offset:         120
        .size:           8
        .value_kind:     hidden_global_offset_z
      - .offset:         128
        .size:           2
        .value_kind:     hidden_grid_dims
    .group_segment_fixed_size: 4224
    .kernarg_segment_align: 8
    .kernarg_segment_size: 320
    .language:       OpenCL C
    .language_version:
      - 2
      - 0
    .max_flat_workgroup_size: 256
    .name:           _ZN7rocprim17ROCPRIM_400000_NS6detail17trampoline_kernelINS0_14default_configENS1_38merge_sort_block_merge_config_selectorIbiEEZZNS1_27merge_sort_block_merge_implIS3_N6thrust23THRUST_200600_302600_NS6detail15normal_iteratorINS8_10device_ptrIbEEEENSA_INSB_IiEEEEjNS1_19radix_merge_compareILb0ELb0EbNS0_19identity_decomposerEEEEE10hipError_tT0_T1_T2_jT3_P12ihipStream_tbPNSt15iterator_traitsISK_E10value_typeEPNSQ_ISL_E10value_typeEPSM_NS1_7vsmem_tEENKUlT_SK_SL_SM_E_clISD_PbSF_PiEESJ_SZ_SK_SL_SM_EUlSZ_E0_NS1_11comp_targetILNS1_3genE0ELNS1_11target_archE4294967295ELNS1_3gpuE0ELNS1_3repE0EEENS1_38merge_mergepath_config_static_selectorELNS0_4arch9wavefront6targetE1EEEvSL_
    .private_segment_fixed_size: 0
    .sgpr_count:     34
    .sgpr_spill_count: 0
    .symbol:         _ZN7rocprim17ROCPRIM_400000_NS6detail17trampoline_kernelINS0_14default_configENS1_38merge_sort_block_merge_config_selectorIbiEEZZNS1_27merge_sort_block_merge_implIS3_N6thrust23THRUST_200600_302600_NS6detail15normal_iteratorINS8_10device_ptrIbEEEENSA_INSB_IiEEEEjNS1_19radix_merge_compareILb0ELb0EbNS0_19identity_decomposerEEEEE10hipError_tT0_T1_T2_jT3_P12ihipStream_tbPNSt15iterator_traitsISK_E10value_typeEPNSQ_ISL_E10value_typeEPSM_NS1_7vsmem_tEENKUlT_SK_SL_SM_E_clISD_PbSF_PiEESJ_SZ_SK_SL_SM_EUlSZ_E0_NS1_11comp_targetILNS1_3genE0ELNS1_11target_archE4294967295ELNS1_3gpuE0ELNS1_3repE0EEENS1_38merge_mergepath_config_static_selectorELNS0_4arch9wavefront6targetE1EEEvSL_.kd
    .uniform_work_group_size: 1
    .uses_dynamic_stack: false
    .vgpr_count:     27
    .vgpr_spill_count: 0
    .wavefront_size: 64
  - .agpr_count:     0
    .args:
      - .offset:         0
        .size:           64
        .value_kind:     by_value
    .group_segment_fixed_size: 0
    .kernarg_segment_align: 8
    .kernarg_segment_size: 64
    .language:       OpenCL C
    .language_version:
      - 2
      - 0
    .max_flat_workgroup_size: 256
    .name:           _ZN7rocprim17ROCPRIM_400000_NS6detail17trampoline_kernelINS0_14default_configENS1_38merge_sort_block_merge_config_selectorIbiEEZZNS1_27merge_sort_block_merge_implIS3_N6thrust23THRUST_200600_302600_NS6detail15normal_iteratorINS8_10device_ptrIbEEEENSA_INSB_IiEEEEjNS1_19radix_merge_compareILb0ELb0EbNS0_19identity_decomposerEEEEE10hipError_tT0_T1_T2_jT3_P12ihipStream_tbPNSt15iterator_traitsISK_E10value_typeEPNSQ_ISL_E10value_typeEPSM_NS1_7vsmem_tEENKUlT_SK_SL_SM_E_clISD_PbSF_PiEESJ_SZ_SK_SL_SM_EUlSZ_E0_NS1_11comp_targetILNS1_3genE10ELNS1_11target_archE1201ELNS1_3gpuE5ELNS1_3repE0EEENS1_38merge_mergepath_config_static_selectorELNS0_4arch9wavefront6targetE1EEEvSL_
    .private_segment_fixed_size: 0
    .sgpr_count:     6
    .sgpr_spill_count: 0
    .symbol:         _ZN7rocprim17ROCPRIM_400000_NS6detail17trampoline_kernelINS0_14default_configENS1_38merge_sort_block_merge_config_selectorIbiEEZZNS1_27merge_sort_block_merge_implIS3_N6thrust23THRUST_200600_302600_NS6detail15normal_iteratorINS8_10device_ptrIbEEEENSA_INSB_IiEEEEjNS1_19radix_merge_compareILb0ELb0EbNS0_19identity_decomposerEEEEE10hipError_tT0_T1_T2_jT3_P12ihipStream_tbPNSt15iterator_traitsISK_E10value_typeEPNSQ_ISL_E10value_typeEPSM_NS1_7vsmem_tEENKUlT_SK_SL_SM_E_clISD_PbSF_PiEESJ_SZ_SK_SL_SM_EUlSZ_E0_NS1_11comp_targetILNS1_3genE10ELNS1_11target_archE1201ELNS1_3gpuE5ELNS1_3repE0EEENS1_38merge_mergepath_config_static_selectorELNS0_4arch9wavefront6targetE1EEEvSL_.kd
    .uniform_work_group_size: 1
    .uses_dynamic_stack: false
    .vgpr_count:     0
    .vgpr_spill_count: 0
    .wavefront_size: 64
  - .agpr_count:     0
    .args:
      - .offset:         0
        .size:           64
        .value_kind:     by_value
    .group_segment_fixed_size: 0
    .kernarg_segment_align: 8
    .kernarg_segment_size: 64
    .language:       OpenCL C
    .language_version:
      - 2
      - 0
    .max_flat_workgroup_size: 128
    .name:           _ZN7rocprim17ROCPRIM_400000_NS6detail17trampoline_kernelINS0_14default_configENS1_38merge_sort_block_merge_config_selectorIbiEEZZNS1_27merge_sort_block_merge_implIS3_N6thrust23THRUST_200600_302600_NS6detail15normal_iteratorINS8_10device_ptrIbEEEENSA_INSB_IiEEEEjNS1_19radix_merge_compareILb0ELb0EbNS0_19identity_decomposerEEEEE10hipError_tT0_T1_T2_jT3_P12ihipStream_tbPNSt15iterator_traitsISK_E10value_typeEPNSQ_ISL_E10value_typeEPSM_NS1_7vsmem_tEENKUlT_SK_SL_SM_E_clISD_PbSF_PiEESJ_SZ_SK_SL_SM_EUlSZ_E0_NS1_11comp_targetILNS1_3genE5ELNS1_11target_archE942ELNS1_3gpuE9ELNS1_3repE0EEENS1_38merge_mergepath_config_static_selectorELNS0_4arch9wavefront6targetE1EEEvSL_
    .private_segment_fixed_size: 0
    .sgpr_count:     6
    .sgpr_spill_count: 0
    .symbol:         _ZN7rocprim17ROCPRIM_400000_NS6detail17trampoline_kernelINS0_14default_configENS1_38merge_sort_block_merge_config_selectorIbiEEZZNS1_27merge_sort_block_merge_implIS3_N6thrust23THRUST_200600_302600_NS6detail15normal_iteratorINS8_10device_ptrIbEEEENSA_INSB_IiEEEEjNS1_19radix_merge_compareILb0ELb0EbNS0_19identity_decomposerEEEEE10hipError_tT0_T1_T2_jT3_P12ihipStream_tbPNSt15iterator_traitsISK_E10value_typeEPNSQ_ISL_E10value_typeEPSM_NS1_7vsmem_tEENKUlT_SK_SL_SM_E_clISD_PbSF_PiEESJ_SZ_SK_SL_SM_EUlSZ_E0_NS1_11comp_targetILNS1_3genE5ELNS1_11target_archE942ELNS1_3gpuE9ELNS1_3repE0EEENS1_38merge_mergepath_config_static_selectorELNS0_4arch9wavefront6targetE1EEEvSL_.kd
    .uniform_work_group_size: 1
    .uses_dynamic_stack: false
    .vgpr_count:     0
    .vgpr_spill_count: 0
    .wavefront_size: 64
  - .agpr_count:     0
    .args:
      - .offset:         0
        .size:           64
        .value_kind:     by_value
    .group_segment_fixed_size: 0
    .kernarg_segment_align: 8
    .kernarg_segment_size: 64
    .language:       OpenCL C
    .language_version:
      - 2
      - 0
    .max_flat_workgroup_size: 128
    .name:           _ZN7rocprim17ROCPRIM_400000_NS6detail17trampoline_kernelINS0_14default_configENS1_38merge_sort_block_merge_config_selectorIbiEEZZNS1_27merge_sort_block_merge_implIS3_N6thrust23THRUST_200600_302600_NS6detail15normal_iteratorINS8_10device_ptrIbEEEENSA_INSB_IiEEEEjNS1_19radix_merge_compareILb0ELb0EbNS0_19identity_decomposerEEEEE10hipError_tT0_T1_T2_jT3_P12ihipStream_tbPNSt15iterator_traitsISK_E10value_typeEPNSQ_ISL_E10value_typeEPSM_NS1_7vsmem_tEENKUlT_SK_SL_SM_E_clISD_PbSF_PiEESJ_SZ_SK_SL_SM_EUlSZ_E0_NS1_11comp_targetILNS1_3genE4ELNS1_11target_archE910ELNS1_3gpuE8ELNS1_3repE0EEENS1_38merge_mergepath_config_static_selectorELNS0_4arch9wavefront6targetE1EEEvSL_
    .private_segment_fixed_size: 0
    .sgpr_count:     6
    .sgpr_spill_count: 0
    .symbol:         _ZN7rocprim17ROCPRIM_400000_NS6detail17trampoline_kernelINS0_14default_configENS1_38merge_sort_block_merge_config_selectorIbiEEZZNS1_27merge_sort_block_merge_implIS3_N6thrust23THRUST_200600_302600_NS6detail15normal_iteratorINS8_10device_ptrIbEEEENSA_INSB_IiEEEEjNS1_19radix_merge_compareILb0ELb0EbNS0_19identity_decomposerEEEEE10hipError_tT0_T1_T2_jT3_P12ihipStream_tbPNSt15iterator_traitsISK_E10value_typeEPNSQ_ISL_E10value_typeEPSM_NS1_7vsmem_tEENKUlT_SK_SL_SM_E_clISD_PbSF_PiEESJ_SZ_SK_SL_SM_EUlSZ_E0_NS1_11comp_targetILNS1_3genE4ELNS1_11target_archE910ELNS1_3gpuE8ELNS1_3repE0EEENS1_38merge_mergepath_config_static_selectorELNS0_4arch9wavefront6targetE1EEEvSL_.kd
    .uniform_work_group_size: 1
    .uses_dynamic_stack: false
    .vgpr_count:     0
    .vgpr_spill_count: 0
    .wavefront_size: 64
  - .agpr_count:     0
    .args:
      - .offset:         0
        .size:           64
        .value_kind:     by_value
    .group_segment_fixed_size: 0
    .kernarg_segment_align: 8
    .kernarg_segment_size: 64
    .language:       OpenCL C
    .language_version:
      - 2
      - 0
    .max_flat_workgroup_size: 256
    .name:           _ZN7rocprim17ROCPRIM_400000_NS6detail17trampoline_kernelINS0_14default_configENS1_38merge_sort_block_merge_config_selectorIbiEEZZNS1_27merge_sort_block_merge_implIS3_N6thrust23THRUST_200600_302600_NS6detail15normal_iteratorINS8_10device_ptrIbEEEENSA_INSB_IiEEEEjNS1_19radix_merge_compareILb0ELb0EbNS0_19identity_decomposerEEEEE10hipError_tT0_T1_T2_jT3_P12ihipStream_tbPNSt15iterator_traitsISK_E10value_typeEPNSQ_ISL_E10value_typeEPSM_NS1_7vsmem_tEENKUlT_SK_SL_SM_E_clISD_PbSF_PiEESJ_SZ_SK_SL_SM_EUlSZ_E0_NS1_11comp_targetILNS1_3genE3ELNS1_11target_archE908ELNS1_3gpuE7ELNS1_3repE0EEENS1_38merge_mergepath_config_static_selectorELNS0_4arch9wavefront6targetE1EEEvSL_
    .private_segment_fixed_size: 0
    .sgpr_count:     6
    .sgpr_spill_count: 0
    .symbol:         _ZN7rocprim17ROCPRIM_400000_NS6detail17trampoline_kernelINS0_14default_configENS1_38merge_sort_block_merge_config_selectorIbiEEZZNS1_27merge_sort_block_merge_implIS3_N6thrust23THRUST_200600_302600_NS6detail15normal_iteratorINS8_10device_ptrIbEEEENSA_INSB_IiEEEEjNS1_19radix_merge_compareILb0ELb0EbNS0_19identity_decomposerEEEEE10hipError_tT0_T1_T2_jT3_P12ihipStream_tbPNSt15iterator_traitsISK_E10value_typeEPNSQ_ISL_E10value_typeEPSM_NS1_7vsmem_tEENKUlT_SK_SL_SM_E_clISD_PbSF_PiEESJ_SZ_SK_SL_SM_EUlSZ_E0_NS1_11comp_targetILNS1_3genE3ELNS1_11target_archE908ELNS1_3gpuE7ELNS1_3repE0EEENS1_38merge_mergepath_config_static_selectorELNS0_4arch9wavefront6targetE1EEEvSL_.kd
    .uniform_work_group_size: 1
    .uses_dynamic_stack: false
    .vgpr_count:     0
    .vgpr_spill_count: 0
    .wavefront_size: 64
  - .agpr_count:     0
    .args:
      - .offset:         0
        .size:           64
        .value_kind:     by_value
    .group_segment_fixed_size: 0
    .kernarg_segment_align: 8
    .kernarg_segment_size: 64
    .language:       OpenCL C
    .language_version:
      - 2
      - 0
    .max_flat_workgroup_size: 128
    .name:           _ZN7rocprim17ROCPRIM_400000_NS6detail17trampoline_kernelINS0_14default_configENS1_38merge_sort_block_merge_config_selectorIbiEEZZNS1_27merge_sort_block_merge_implIS3_N6thrust23THRUST_200600_302600_NS6detail15normal_iteratorINS8_10device_ptrIbEEEENSA_INSB_IiEEEEjNS1_19radix_merge_compareILb0ELb0EbNS0_19identity_decomposerEEEEE10hipError_tT0_T1_T2_jT3_P12ihipStream_tbPNSt15iterator_traitsISK_E10value_typeEPNSQ_ISL_E10value_typeEPSM_NS1_7vsmem_tEENKUlT_SK_SL_SM_E_clISD_PbSF_PiEESJ_SZ_SK_SL_SM_EUlSZ_E0_NS1_11comp_targetILNS1_3genE2ELNS1_11target_archE906ELNS1_3gpuE6ELNS1_3repE0EEENS1_38merge_mergepath_config_static_selectorELNS0_4arch9wavefront6targetE1EEEvSL_
    .private_segment_fixed_size: 0
    .sgpr_count:     6
    .sgpr_spill_count: 0
    .symbol:         _ZN7rocprim17ROCPRIM_400000_NS6detail17trampoline_kernelINS0_14default_configENS1_38merge_sort_block_merge_config_selectorIbiEEZZNS1_27merge_sort_block_merge_implIS3_N6thrust23THRUST_200600_302600_NS6detail15normal_iteratorINS8_10device_ptrIbEEEENSA_INSB_IiEEEEjNS1_19radix_merge_compareILb0ELb0EbNS0_19identity_decomposerEEEEE10hipError_tT0_T1_T2_jT3_P12ihipStream_tbPNSt15iterator_traitsISK_E10value_typeEPNSQ_ISL_E10value_typeEPSM_NS1_7vsmem_tEENKUlT_SK_SL_SM_E_clISD_PbSF_PiEESJ_SZ_SK_SL_SM_EUlSZ_E0_NS1_11comp_targetILNS1_3genE2ELNS1_11target_archE906ELNS1_3gpuE6ELNS1_3repE0EEENS1_38merge_mergepath_config_static_selectorELNS0_4arch9wavefront6targetE1EEEvSL_.kd
    .uniform_work_group_size: 1
    .uses_dynamic_stack: false
    .vgpr_count:     0
    .vgpr_spill_count: 0
    .wavefront_size: 64
  - .agpr_count:     0
    .args:
      - .offset:         0
        .size:           64
        .value_kind:     by_value
    .group_segment_fixed_size: 0
    .kernarg_segment_align: 8
    .kernarg_segment_size: 64
    .language:       OpenCL C
    .language_version:
      - 2
      - 0
    .max_flat_workgroup_size: 256
    .name:           _ZN7rocprim17ROCPRIM_400000_NS6detail17trampoline_kernelINS0_14default_configENS1_38merge_sort_block_merge_config_selectorIbiEEZZNS1_27merge_sort_block_merge_implIS3_N6thrust23THRUST_200600_302600_NS6detail15normal_iteratorINS8_10device_ptrIbEEEENSA_INSB_IiEEEEjNS1_19radix_merge_compareILb0ELb0EbNS0_19identity_decomposerEEEEE10hipError_tT0_T1_T2_jT3_P12ihipStream_tbPNSt15iterator_traitsISK_E10value_typeEPNSQ_ISL_E10value_typeEPSM_NS1_7vsmem_tEENKUlT_SK_SL_SM_E_clISD_PbSF_PiEESJ_SZ_SK_SL_SM_EUlSZ_E0_NS1_11comp_targetILNS1_3genE9ELNS1_11target_archE1100ELNS1_3gpuE3ELNS1_3repE0EEENS1_38merge_mergepath_config_static_selectorELNS0_4arch9wavefront6targetE1EEEvSL_
    .private_segment_fixed_size: 0
    .sgpr_count:     6
    .sgpr_spill_count: 0
    .symbol:         _ZN7rocprim17ROCPRIM_400000_NS6detail17trampoline_kernelINS0_14default_configENS1_38merge_sort_block_merge_config_selectorIbiEEZZNS1_27merge_sort_block_merge_implIS3_N6thrust23THRUST_200600_302600_NS6detail15normal_iteratorINS8_10device_ptrIbEEEENSA_INSB_IiEEEEjNS1_19radix_merge_compareILb0ELb0EbNS0_19identity_decomposerEEEEE10hipError_tT0_T1_T2_jT3_P12ihipStream_tbPNSt15iterator_traitsISK_E10value_typeEPNSQ_ISL_E10value_typeEPSM_NS1_7vsmem_tEENKUlT_SK_SL_SM_E_clISD_PbSF_PiEESJ_SZ_SK_SL_SM_EUlSZ_E0_NS1_11comp_targetILNS1_3genE9ELNS1_11target_archE1100ELNS1_3gpuE3ELNS1_3repE0EEENS1_38merge_mergepath_config_static_selectorELNS0_4arch9wavefront6targetE1EEEvSL_.kd
    .uniform_work_group_size: 1
    .uses_dynamic_stack: false
    .vgpr_count:     0
    .vgpr_spill_count: 0
    .wavefront_size: 64
  - .agpr_count:     0
    .args:
      - .offset:         0
        .size:           64
        .value_kind:     by_value
    .group_segment_fixed_size: 0
    .kernarg_segment_align: 8
    .kernarg_segment_size: 64
    .language:       OpenCL C
    .language_version:
      - 2
      - 0
    .max_flat_workgroup_size: 256
    .name:           _ZN7rocprim17ROCPRIM_400000_NS6detail17trampoline_kernelINS0_14default_configENS1_38merge_sort_block_merge_config_selectorIbiEEZZNS1_27merge_sort_block_merge_implIS3_N6thrust23THRUST_200600_302600_NS6detail15normal_iteratorINS8_10device_ptrIbEEEENSA_INSB_IiEEEEjNS1_19radix_merge_compareILb0ELb0EbNS0_19identity_decomposerEEEEE10hipError_tT0_T1_T2_jT3_P12ihipStream_tbPNSt15iterator_traitsISK_E10value_typeEPNSQ_ISL_E10value_typeEPSM_NS1_7vsmem_tEENKUlT_SK_SL_SM_E_clISD_PbSF_PiEESJ_SZ_SK_SL_SM_EUlSZ_E0_NS1_11comp_targetILNS1_3genE8ELNS1_11target_archE1030ELNS1_3gpuE2ELNS1_3repE0EEENS1_38merge_mergepath_config_static_selectorELNS0_4arch9wavefront6targetE1EEEvSL_
    .private_segment_fixed_size: 0
    .sgpr_count:     6
    .sgpr_spill_count: 0
    .symbol:         _ZN7rocprim17ROCPRIM_400000_NS6detail17trampoline_kernelINS0_14default_configENS1_38merge_sort_block_merge_config_selectorIbiEEZZNS1_27merge_sort_block_merge_implIS3_N6thrust23THRUST_200600_302600_NS6detail15normal_iteratorINS8_10device_ptrIbEEEENSA_INSB_IiEEEEjNS1_19radix_merge_compareILb0ELb0EbNS0_19identity_decomposerEEEEE10hipError_tT0_T1_T2_jT3_P12ihipStream_tbPNSt15iterator_traitsISK_E10value_typeEPNSQ_ISL_E10value_typeEPSM_NS1_7vsmem_tEENKUlT_SK_SL_SM_E_clISD_PbSF_PiEESJ_SZ_SK_SL_SM_EUlSZ_E0_NS1_11comp_targetILNS1_3genE8ELNS1_11target_archE1030ELNS1_3gpuE2ELNS1_3repE0EEENS1_38merge_mergepath_config_static_selectorELNS0_4arch9wavefront6targetE1EEEvSL_.kd
    .uniform_work_group_size: 1
    .uses_dynamic_stack: false
    .vgpr_count:     0
    .vgpr_spill_count: 0
    .wavefront_size: 64
  - .agpr_count:     0
    .args:
      - .offset:         0
        .size:           48
        .value_kind:     by_value
    .group_segment_fixed_size: 0
    .kernarg_segment_align: 8
    .kernarg_segment_size: 48
    .language:       OpenCL C
    .language_version:
      - 2
      - 0
    .max_flat_workgroup_size: 256
    .name:           _ZN7rocprim17ROCPRIM_400000_NS6detail17trampoline_kernelINS0_14default_configENS1_38merge_sort_block_merge_config_selectorIbiEEZZNS1_27merge_sort_block_merge_implIS3_N6thrust23THRUST_200600_302600_NS6detail15normal_iteratorINS8_10device_ptrIbEEEENSA_INSB_IiEEEEjNS1_19radix_merge_compareILb0ELb0EbNS0_19identity_decomposerEEEEE10hipError_tT0_T1_T2_jT3_P12ihipStream_tbPNSt15iterator_traitsISK_E10value_typeEPNSQ_ISL_E10value_typeEPSM_NS1_7vsmem_tEENKUlT_SK_SL_SM_E_clISD_PbSF_PiEESJ_SZ_SK_SL_SM_EUlSZ_E1_NS1_11comp_targetILNS1_3genE0ELNS1_11target_archE4294967295ELNS1_3gpuE0ELNS1_3repE0EEENS1_36merge_oddeven_config_static_selectorELNS0_4arch9wavefront6targetE1EEEvSL_
    .private_segment_fixed_size: 0
    .sgpr_count:     30
    .sgpr_spill_count: 0
    .symbol:         _ZN7rocprim17ROCPRIM_400000_NS6detail17trampoline_kernelINS0_14default_configENS1_38merge_sort_block_merge_config_selectorIbiEEZZNS1_27merge_sort_block_merge_implIS3_N6thrust23THRUST_200600_302600_NS6detail15normal_iteratorINS8_10device_ptrIbEEEENSA_INSB_IiEEEEjNS1_19radix_merge_compareILb0ELb0EbNS0_19identity_decomposerEEEEE10hipError_tT0_T1_T2_jT3_P12ihipStream_tbPNSt15iterator_traitsISK_E10value_typeEPNSQ_ISL_E10value_typeEPSM_NS1_7vsmem_tEENKUlT_SK_SL_SM_E_clISD_PbSF_PiEESJ_SZ_SK_SL_SM_EUlSZ_E1_NS1_11comp_targetILNS1_3genE0ELNS1_11target_archE4294967295ELNS1_3gpuE0ELNS1_3repE0EEENS1_36merge_oddeven_config_static_selectorELNS0_4arch9wavefront6targetE1EEEvSL_.kd
    .uniform_work_group_size: 1
    .uses_dynamic_stack: false
    .vgpr_count:     9
    .vgpr_spill_count: 0
    .wavefront_size: 64
  - .agpr_count:     0
    .args:
      - .offset:         0
        .size:           48
        .value_kind:     by_value
    .group_segment_fixed_size: 0
    .kernarg_segment_align: 8
    .kernarg_segment_size: 48
    .language:       OpenCL C
    .language_version:
      - 2
      - 0
    .max_flat_workgroup_size: 256
    .name:           _ZN7rocprim17ROCPRIM_400000_NS6detail17trampoline_kernelINS0_14default_configENS1_38merge_sort_block_merge_config_selectorIbiEEZZNS1_27merge_sort_block_merge_implIS3_N6thrust23THRUST_200600_302600_NS6detail15normal_iteratorINS8_10device_ptrIbEEEENSA_INSB_IiEEEEjNS1_19radix_merge_compareILb0ELb0EbNS0_19identity_decomposerEEEEE10hipError_tT0_T1_T2_jT3_P12ihipStream_tbPNSt15iterator_traitsISK_E10value_typeEPNSQ_ISL_E10value_typeEPSM_NS1_7vsmem_tEENKUlT_SK_SL_SM_E_clISD_PbSF_PiEESJ_SZ_SK_SL_SM_EUlSZ_E1_NS1_11comp_targetILNS1_3genE10ELNS1_11target_archE1201ELNS1_3gpuE5ELNS1_3repE0EEENS1_36merge_oddeven_config_static_selectorELNS0_4arch9wavefront6targetE1EEEvSL_
    .private_segment_fixed_size: 0
    .sgpr_count:     6
    .sgpr_spill_count: 0
    .symbol:         _ZN7rocprim17ROCPRIM_400000_NS6detail17trampoline_kernelINS0_14default_configENS1_38merge_sort_block_merge_config_selectorIbiEEZZNS1_27merge_sort_block_merge_implIS3_N6thrust23THRUST_200600_302600_NS6detail15normal_iteratorINS8_10device_ptrIbEEEENSA_INSB_IiEEEEjNS1_19radix_merge_compareILb0ELb0EbNS0_19identity_decomposerEEEEE10hipError_tT0_T1_T2_jT3_P12ihipStream_tbPNSt15iterator_traitsISK_E10value_typeEPNSQ_ISL_E10value_typeEPSM_NS1_7vsmem_tEENKUlT_SK_SL_SM_E_clISD_PbSF_PiEESJ_SZ_SK_SL_SM_EUlSZ_E1_NS1_11comp_targetILNS1_3genE10ELNS1_11target_archE1201ELNS1_3gpuE5ELNS1_3repE0EEENS1_36merge_oddeven_config_static_selectorELNS0_4arch9wavefront6targetE1EEEvSL_.kd
    .uniform_work_group_size: 1
    .uses_dynamic_stack: false
    .vgpr_count:     0
    .vgpr_spill_count: 0
    .wavefront_size: 64
  - .agpr_count:     0
    .args:
      - .offset:         0
        .size:           48
        .value_kind:     by_value
    .group_segment_fixed_size: 0
    .kernarg_segment_align: 8
    .kernarg_segment_size: 48
    .language:       OpenCL C
    .language_version:
      - 2
      - 0
    .max_flat_workgroup_size: 256
    .name:           _ZN7rocprim17ROCPRIM_400000_NS6detail17trampoline_kernelINS0_14default_configENS1_38merge_sort_block_merge_config_selectorIbiEEZZNS1_27merge_sort_block_merge_implIS3_N6thrust23THRUST_200600_302600_NS6detail15normal_iteratorINS8_10device_ptrIbEEEENSA_INSB_IiEEEEjNS1_19radix_merge_compareILb0ELb0EbNS0_19identity_decomposerEEEEE10hipError_tT0_T1_T2_jT3_P12ihipStream_tbPNSt15iterator_traitsISK_E10value_typeEPNSQ_ISL_E10value_typeEPSM_NS1_7vsmem_tEENKUlT_SK_SL_SM_E_clISD_PbSF_PiEESJ_SZ_SK_SL_SM_EUlSZ_E1_NS1_11comp_targetILNS1_3genE5ELNS1_11target_archE942ELNS1_3gpuE9ELNS1_3repE0EEENS1_36merge_oddeven_config_static_selectorELNS0_4arch9wavefront6targetE1EEEvSL_
    .private_segment_fixed_size: 0
    .sgpr_count:     6
    .sgpr_spill_count: 0
    .symbol:         _ZN7rocprim17ROCPRIM_400000_NS6detail17trampoline_kernelINS0_14default_configENS1_38merge_sort_block_merge_config_selectorIbiEEZZNS1_27merge_sort_block_merge_implIS3_N6thrust23THRUST_200600_302600_NS6detail15normal_iteratorINS8_10device_ptrIbEEEENSA_INSB_IiEEEEjNS1_19radix_merge_compareILb0ELb0EbNS0_19identity_decomposerEEEEE10hipError_tT0_T1_T2_jT3_P12ihipStream_tbPNSt15iterator_traitsISK_E10value_typeEPNSQ_ISL_E10value_typeEPSM_NS1_7vsmem_tEENKUlT_SK_SL_SM_E_clISD_PbSF_PiEESJ_SZ_SK_SL_SM_EUlSZ_E1_NS1_11comp_targetILNS1_3genE5ELNS1_11target_archE942ELNS1_3gpuE9ELNS1_3repE0EEENS1_36merge_oddeven_config_static_selectorELNS0_4arch9wavefront6targetE1EEEvSL_.kd
    .uniform_work_group_size: 1
    .uses_dynamic_stack: false
    .vgpr_count:     0
    .vgpr_spill_count: 0
    .wavefront_size: 64
  - .agpr_count:     0
    .args:
      - .offset:         0
        .size:           48
        .value_kind:     by_value
    .group_segment_fixed_size: 0
    .kernarg_segment_align: 8
    .kernarg_segment_size: 48
    .language:       OpenCL C
    .language_version:
      - 2
      - 0
    .max_flat_workgroup_size: 256
    .name:           _ZN7rocprim17ROCPRIM_400000_NS6detail17trampoline_kernelINS0_14default_configENS1_38merge_sort_block_merge_config_selectorIbiEEZZNS1_27merge_sort_block_merge_implIS3_N6thrust23THRUST_200600_302600_NS6detail15normal_iteratorINS8_10device_ptrIbEEEENSA_INSB_IiEEEEjNS1_19radix_merge_compareILb0ELb0EbNS0_19identity_decomposerEEEEE10hipError_tT0_T1_T2_jT3_P12ihipStream_tbPNSt15iterator_traitsISK_E10value_typeEPNSQ_ISL_E10value_typeEPSM_NS1_7vsmem_tEENKUlT_SK_SL_SM_E_clISD_PbSF_PiEESJ_SZ_SK_SL_SM_EUlSZ_E1_NS1_11comp_targetILNS1_3genE4ELNS1_11target_archE910ELNS1_3gpuE8ELNS1_3repE0EEENS1_36merge_oddeven_config_static_selectorELNS0_4arch9wavefront6targetE1EEEvSL_
    .private_segment_fixed_size: 0
    .sgpr_count:     6
    .sgpr_spill_count: 0
    .symbol:         _ZN7rocprim17ROCPRIM_400000_NS6detail17trampoline_kernelINS0_14default_configENS1_38merge_sort_block_merge_config_selectorIbiEEZZNS1_27merge_sort_block_merge_implIS3_N6thrust23THRUST_200600_302600_NS6detail15normal_iteratorINS8_10device_ptrIbEEEENSA_INSB_IiEEEEjNS1_19radix_merge_compareILb0ELb0EbNS0_19identity_decomposerEEEEE10hipError_tT0_T1_T2_jT3_P12ihipStream_tbPNSt15iterator_traitsISK_E10value_typeEPNSQ_ISL_E10value_typeEPSM_NS1_7vsmem_tEENKUlT_SK_SL_SM_E_clISD_PbSF_PiEESJ_SZ_SK_SL_SM_EUlSZ_E1_NS1_11comp_targetILNS1_3genE4ELNS1_11target_archE910ELNS1_3gpuE8ELNS1_3repE0EEENS1_36merge_oddeven_config_static_selectorELNS0_4arch9wavefront6targetE1EEEvSL_.kd
    .uniform_work_group_size: 1
    .uses_dynamic_stack: false
    .vgpr_count:     0
    .vgpr_spill_count: 0
    .wavefront_size: 64
  - .agpr_count:     0
    .args:
      - .offset:         0
        .size:           48
        .value_kind:     by_value
    .group_segment_fixed_size: 0
    .kernarg_segment_align: 8
    .kernarg_segment_size: 48
    .language:       OpenCL C
    .language_version:
      - 2
      - 0
    .max_flat_workgroup_size: 256
    .name:           _ZN7rocprim17ROCPRIM_400000_NS6detail17trampoline_kernelINS0_14default_configENS1_38merge_sort_block_merge_config_selectorIbiEEZZNS1_27merge_sort_block_merge_implIS3_N6thrust23THRUST_200600_302600_NS6detail15normal_iteratorINS8_10device_ptrIbEEEENSA_INSB_IiEEEEjNS1_19radix_merge_compareILb0ELb0EbNS0_19identity_decomposerEEEEE10hipError_tT0_T1_T2_jT3_P12ihipStream_tbPNSt15iterator_traitsISK_E10value_typeEPNSQ_ISL_E10value_typeEPSM_NS1_7vsmem_tEENKUlT_SK_SL_SM_E_clISD_PbSF_PiEESJ_SZ_SK_SL_SM_EUlSZ_E1_NS1_11comp_targetILNS1_3genE3ELNS1_11target_archE908ELNS1_3gpuE7ELNS1_3repE0EEENS1_36merge_oddeven_config_static_selectorELNS0_4arch9wavefront6targetE1EEEvSL_
    .private_segment_fixed_size: 0
    .sgpr_count:     6
    .sgpr_spill_count: 0
    .symbol:         _ZN7rocprim17ROCPRIM_400000_NS6detail17trampoline_kernelINS0_14default_configENS1_38merge_sort_block_merge_config_selectorIbiEEZZNS1_27merge_sort_block_merge_implIS3_N6thrust23THRUST_200600_302600_NS6detail15normal_iteratorINS8_10device_ptrIbEEEENSA_INSB_IiEEEEjNS1_19radix_merge_compareILb0ELb0EbNS0_19identity_decomposerEEEEE10hipError_tT0_T1_T2_jT3_P12ihipStream_tbPNSt15iterator_traitsISK_E10value_typeEPNSQ_ISL_E10value_typeEPSM_NS1_7vsmem_tEENKUlT_SK_SL_SM_E_clISD_PbSF_PiEESJ_SZ_SK_SL_SM_EUlSZ_E1_NS1_11comp_targetILNS1_3genE3ELNS1_11target_archE908ELNS1_3gpuE7ELNS1_3repE0EEENS1_36merge_oddeven_config_static_selectorELNS0_4arch9wavefront6targetE1EEEvSL_.kd
    .uniform_work_group_size: 1
    .uses_dynamic_stack: false
    .vgpr_count:     0
    .vgpr_spill_count: 0
    .wavefront_size: 64
  - .agpr_count:     0
    .args:
      - .offset:         0
        .size:           48
        .value_kind:     by_value
    .group_segment_fixed_size: 0
    .kernarg_segment_align: 8
    .kernarg_segment_size: 48
    .language:       OpenCL C
    .language_version:
      - 2
      - 0
    .max_flat_workgroup_size: 256
    .name:           _ZN7rocprim17ROCPRIM_400000_NS6detail17trampoline_kernelINS0_14default_configENS1_38merge_sort_block_merge_config_selectorIbiEEZZNS1_27merge_sort_block_merge_implIS3_N6thrust23THRUST_200600_302600_NS6detail15normal_iteratorINS8_10device_ptrIbEEEENSA_INSB_IiEEEEjNS1_19radix_merge_compareILb0ELb0EbNS0_19identity_decomposerEEEEE10hipError_tT0_T1_T2_jT3_P12ihipStream_tbPNSt15iterator_traitsISK_E10value_typeEPNSQ_ISL_E10value_typeEPSM_NS1_7vsmem_tEENKUlT_SK_SL_SM_E_clISD_PbSF_PiEESJ_SZ_SK_SL_SM_EUlSZ_E1_NS1_11comp_targetILNS1_3genE2ELNS1_11target_archE906ELNS1_3gpuE6ELNS1_3repE0EEENS1_36merge_oddeven_config_static_selectorELNS0_4arch9wavefront6targetE1EEEvSL_
    .private_segment_fixed_size: 0
    .sgpr_count:     6
    .sgpr_spill_count: 0
    .symbol:         _ZN7rocprim17ROCPRIM_400000_NS6detail17trampoline_kernelINS0_14default_configENS1_38merge_sort_block_merge_config_selectorIbiEEZZNS1_27merge_sort_block_merge_implIS3_N6thrust23THRUST_200600_302600_NS6detail15normal_iteratorINS8_10device_ptrIbEEEENSA_INSB_IiEEEEjNS1_19radix_merge_compareILb0ELb0EbNS0_19identity_decomposerEEEEE10hipError_tT0_T1_T2_jT3_P12ihipStream_tbPNSt15iterator_traitsISK_E10value_typeEPNSQ_ISL_E10value_typeEPSM_NS1_7vsmem_tEENKUlT_SK_SL_SM_E_clISD_PbSF_PiEESJ_SZ_SK_SL_SM_EUlSZ_E1_NS1_11comp_targetILNS1_3genE2ELNS1_11target_archE906ELNS1_3gpuE6ELNS1_3repE0EEENS1_36merge_oddeven_config_static_selectorELNS0_4arch9wavefront6targetE1EEEvSL_.kd
    .uniform_work_group_size: 1
    .uses_dynamic_stack: false
    .vgpr_count:     0
    .vgpr_spill_count: 0
    .wavefront_size: 64
  - .agpr_count:     0
    .args:
      - .offset:         0
        .size:           48
        .value_kind:     by_value
    .group_segment_fixed_size: 0
    .kernarg_segment_align: 8
    .kernarg_segment_size: 48
    .language:       OpenCL C
    .language_version:
      - 2
      - 0
    .max_flat_workgroup_size: 256
    .name:           _ZN7rocprim17ROCPRIM_400000_NS6detail17trampoline_kernelINS0_14default_configENS1_38merge_sort_block_merge_config_selectorIbiEEZZNS1_27merge_sort_block_merge_implIS3_N6thrust23THRUST_200600_302600_NS6detail15normal_iteratorINS8_10device_ptrIbEEEENSA_INSB_IiEEEEjNS1_19radix_merge_compareILb0ELb0EbNS0_19identity_decomposerEEEEE10hipError_tT0_T1_T2_jT3_P12ihipStream_tbPNSt15iterator_traitsISK_E10value_typeEPNSQ_ISL_E10value_typeEPSM_NS1_7vsmem_tEENKUlT_SK_SL_SM_E_clISD_PbSF_PiEESJ_SZ_SK_SL_SM_EUlSZ_E1_NS1_11comp_targetILNS1_3genE9ELNS1_11target_archE1100ELNS1_3gpuE3ELNS1_3repE0EEENS1_36merge_oddeven_config_static_selectorELNS0_4arch9wavefront6targetE1EEEvSL_
    .private_segment_fixed_size: 0
    .sgpr_count:     6
    .sgpr_spill_count: 0
    .symbol:         _ZN7rocprim17ROCPRIM_400000_NS6detail17trampoline_kernelINS0_14default_configENS1_38merge_sort_block_merge_config_selectorIbiEEZZNS1_27merge_sort_block_merge_implIS3_N6thrust23THRUST_200600_302600_NS6detail15normal_iteratorINS8_10device_ptrIbEEEENSA_INSB_IiEEEEjNS1_19radix_merge_compareILb0ELb0EbNS0_19identity_decomposerEEEEE10hipError_tT0_T1_T2_jT3_P12ihipStream_tbPNSt15iterator_traitsISK_E10value_typeEPNSQ_ISL_E10value_typeEPSM_NS1_7vsmem_tEENKUlT_SK_SL_SM_E_clISD_PbSF_PiEESJ_SZ_SK_SL_SM_EUlSZ_E1_NS1_11comp_targetILNS1_3genE9ELNS1_11target_archE1100ELNS1_3gpuE3ELNS1_3repE0EEENS1_36merge_oddeven_config_static_selectorELNS0_4arch9wavefront6targetE1EEEvSL_.kd
    .uniform_work_group_size: 1
    .uses_dynamic_stack: false
    .vgpr_count:     0
    .vgpr_spill_count: 0
    .wavefront_size: 64
  - .agpr_count:     0
    .args:
      - .offset:         0
        .size:           48
        .value_kind:     by_value
    .group_segment_fixed_size: 0
    .kernarg_segment_align: 8
    .kernarg_segment_size: 48
    .language:       OpenCL C
    .language_version:
      - 2
      - 0
    .max_flat_workgroup_size: 256
    .name:           _ZN7rocprim17ROCPRIM_400000_NS6detail17trampoline_kernelINS0_14default_configENS1_38merge_sort_block_merge_config_selectorIbiEEZZNS1_27merge_sort_block_merge_implIS3_N6thrust23THRUST_200600_302600_NS6detail15normal_iteratorINS8_10device_ptrIbEEEENSA_INSB_IiEEEEjNS1_19radix_merge_compareILb0ELb0EbNS0_19identity_decomposerEEEEE10hipError_tT0_T1_T2_jT3_P12ihipStream_tbPNSt15iterator_traitsISK_E10value_typeEPNSQ_ISL_E10value_typeEPSM_NS1_7vsmem_tEENKUlT_SK_SL_SM_E_clISD_PbSF_PiEESJ_SZ_SK_SL_SM_EUlSZ_E1_NS1_11comp_targetILNS1_3genE8ELNS1_11target_archE1030ELNS1_3gpuE2ELNS1_3repE0EEENS1_36merge_oddeven_config_static_selectorELNS0_4arch9wavefront6targetE1EEEvSL_
    .private_segment_fixed_size: 0
    .sgpr_count:     6
    .sgpr_spill_count: 0
    .symbol:         _ZN7rocprim17ROCPRIM_400000_NS6detail17trampoline_kernelINS0_14default_configENS1_38merge_sort_block_merge_config_selectorIbiEEZZNS1_27merge_sort_block_merge_implIS3_N6thrust23THRUST_200600_302600_NS6detail15normal_iteratorINS8_10device_ptrIbEEEENSA_INSB_IiEEEEjNS1_19radix_merge_compareILb0ELb0EbNS0_19identity_decomposerEEEEE10hipError_tT0_T1_T2_jT3_P12ihipStream_tbPNSt15iterator_traitsISK_E10value_typeEPNSQ_ISL_E10value_typeEPSM_NS1_7vsmem_tEENKUlT_SK_SL_SM_E_clISD_PbSF_PiEESJ_SZ_SK_SL_SM_EUlSZ_E1_NS1_11comp_targetILNS1_3genE8ELNS1_11target_archE1030ELNS1_3gpuE2ELNS1_3repE0EEENS1_36merge_oddeven_config_static_selectorELNS0_4arch9wavefront6targetE1EEEvSL_.kd
    .uniform_work_group_size: 1
    .uses_dynamic_stack: false
    .vgpr_count:     0
    .vgpr_spill_count: 0
    .wavefront_size: 64
  - .agpr_count:     0
    .args:
      - .offset:         0
        .size:           40
        .value_kind:     by_value
      - .offset:         40
        .size:           4
        .value_kind:     hidden_block_count_x
      - .offset:         44
        .size:           4
        .value_kind:     hidden_block_count_y
      - .offset:         48
        .size:           4
        .value_kind:     hidden_block_count_z
      - .offset:         52
        .size:           2
        .value_kind:     hidden_group_size_x
      - .offset:         54
        .size:           2
        .value_kind:     hidden_group_size_y
      - .offset:         56
        .size:           2
        .value_kind:     hidden_group_size_z
      - .offset:         58
        .size:           2
        .value_kind:     hidden_remainder_x
      - .offset:         60
        .size:           2
        .value_kind:     hidden_remainder_y
      - .offset:         62
        .size:           2
        .value_kind:     hidden_remainder_z
      - .offset:         80
        .size:           8
        .value_kind:     hidden_global_offset_x
      - .offset:         88
        .size:           8
        .value_kind:     hidden_global_offset_y
      - .offset:         96
        .size:           8
        .value_kind:     hidden_global_offset_z
      - .offset:         104
        .size:           2
        .value_kind:     hidden_grid_dims
    .group_segment_fixed_size: 0
    .kernarg_segment_align: 8
    .kernarg_segment_size: 296
    .language:       OpenCL C
    .language_version:
      - 2
      - 0
    .max_flat_workgroup_size: 128
    .name:           _ZN7rocprim17ROCPRIM_400000_NS6detail17trampoline_kernelINS0_14default_configENS1_25transform_config_selectorIbLb0EEEZNS1_14transform_implILb0ES3_S5_PbN6thrust23THRUST_200600_302600_NS6detail15normal_iteratorINS9_10device_ptrIbEEEENS0_8identityIbEEEE10hipError_tT2_T3_mT4_P12ihipStream_tbEUlT_E_NS1_11comp_targetILNS1_3genE0ELNS1_11target_archE4294967295ELNS1_3gpuE0ELNS1_3repE0EEENS1_30default_config_static_selectorELNS0_4arch9wavefront6targetE1EEEvT1_
    .private_segment_fixed_size: 0
    .sgpr_count:     32
    .sgpr_spill_count: 0
    .symbol:         _ZN7rocprim17ROCPRIM_400000_NS6detail17trampoline_kernelINS0_14default_configENS1_25transform_config_selectorIbLb0EEEZNS1_14transform_implILb0ES3_S5_PbN6thrust23THRUST_200600_302600_NS6detail15normal_iteratorINS9_10device_ptrIbEEEENS0_8identityIbEEEE10hipError_tT2_T3_mT4_P12ihipStream_tbEUlT_E_NS1_11comp_targetILNS1_3genE0ELNS1_11target_archE4294967295ELNS1_3gpuE0ELNS1_3repE0EEENS1_30default_config_static_selectorELNS0_4arch9wavefront6targetE1EEEvT1_.kd
    .uniform_work_group_size: 1
    .uses_dynamic_stack: false
    .vgpr_count:     12
    .vgpr_spill_count: 0
    .wavefront_size: 64
  - .agpr_count:     0
    .args:
      - .offset:         0
        .size:           40
        .value_kind:     by_value
    .group_segment_fixed_size: 0
    .kernarg_segment_align: 8
    .kernarg_segment_size: 40
    .language:       OpenCL C
    .language_version:
      - 2
      - 0
    .max_flat_workgroup_size: 1024
    .name:           _ZN7rocprim17ROCPRIM_400000_NS6detail17trampoline_kernelINS0_14default_configENS1_25transform_config_selectorIbLb0EEEZNS1_14transform_implILb0ES3_S5_PbN6thrust23THRUST_200600_302600_NS6detail15normal_iteratorINS9_10device_ptrIbEEEENS0_8identityIbEEEE10hipError_tT2_T3_mT4_P12ihipStream_tbEUlT_E_NS1_11comp_targetILNS1_3genE5ELNS1_11target_archE942ELNS1_3gpuE9ELNS1_3repE0EEENS1_30default_config_static_selectorELNS0_4arch9wavefront6targetE1EEEvT1_
    .private_segment_fixed_size: 0
    .sgpr_count:     6
    .sgpr_spill_count: 0
    .symbol:         _ZN7rocprim17ROCPRIM_400000_NS6detail17trampoline_kernelINS0_14default_configENS1_25transform_config_selectorIbLb0EEEZNS1_14transform_implILb0ES3_S5_PbN6thrust23THRUST_200600_302600_NS6detail15normal_iteratorINS9_10device_ptrIbEEEENS0_8identityIbEEEE10hipError_tT2_T3_mT4_P12ihipStream_tbEUlT_E_NS1_11comp_targetILNS1_3genE5ELNS1_11target_archE942ELNS1_3gpuE9ELNS1_3repE0EEENS1_30default_config_static_selectorELNS0_4arch9wavefront6targetE1EEEvT1_.kd
    .uniform_work_group_size: 1
    .uses_dynamic_stack: false
    .vgpr_count:     0
    .vgpr_spill_count: 0
    .wavefront_size: 64
  - .agpr_count:     0
    .args:
      - .offset:         0
        .size:           40
        .value_kind:     by_value
    .group_segment_fixed_size: 0
    .kernarg_segment_align: 8
    .kernarg_segment_size: 40
    .language:       OpenCL C
    .language_version:
      - 2
      - 0
    .max_flat_workgroup_size: 64
    .name:           _ZN7rocprim17ROCPRIM_400000_NS6detail17trampoline_kernelINS0_14default_configENS1_25transform_config_selectorIbLb0EEEZNS1_14transform_implILb0ES3_S5_PbN6thrust23THRUST_200600_302600_NS6detail15normal_iteratorINS9_10device_ptrIbEEEENS0_8identityIbEEEE10hipError_tT2_T3_mT4_P12ihipStream_tbEUlT_E_NS1_11comp_targetILNS1_3genE4ELNS1_11target_archE910ELNS1_3gpuE8ELNS1_3repE0EEENS1_30default_config_static_selectorELNS0_4arch9wavefront6targetE1EEEvT1_
    .private_segment_fixed_size: 0
    .sgpr_count:     6
    .sgpr_spill_count: 0
    .symbol:         _ZN7rocprim17ROCPRIM_400000_NS6detail17trampoline_kernelINS0_14default_configENS1_25transform_config_selectorIbLb0EEEZNS1_14transform_implILb0ES3_S5_PbN6thrust23THRUST_200600_302600_NS6detail15normal_iteratorINS9_10device_ptrIbEEEENS0_8identityIbEEEE10hipError_tT2_T3_mT4_P12ihipStream_tbEUlT_E_NS1_11comp_targetILNS1_3genE4ELNS1_11target_archE910ELNS1_3gpuE8ELNS1_3repE0EEENS1_30default_config_static_selectorELNS0_4arch9wavefront6targetE1EEEvT1_.kd
    .uniform_work_group_size: 1
    .uses_dynamic_stack: false
    .vgpr_count:     0
    .vgpr_spill_count: 0
    .wavefront_size: 64
  - .agpr_count:     0
    .args:
      - .offset:         0
        .size:           40
        .value_kind:     by_value
    .group_segment_fixed_size: 0
    .kernarg_segment_align: 8
    .kernarg_segment_size: 40
    .language:       OpenCL C
    .language_version:
      - 2
      - 0
    .max_flat_workgroup_size: 128
    .name:           _ZN7rocprim17ROCPRIM_400000_NS6detail17trampoline_kernelINS0_14default_configENS1_25transform_config_selectorIbLb0EEEZNS1_14transform_implILb0ES3_S5_PbN6thrust23THRUST_200600_302600_NS6detail15normal_iteratorINS9_10device_ptrIbEEEENS0_8identityIbEEEE10hipError_tT2_T3_mT4_P12ihipStream_tbEUlT_E_NS1_11comp_targetILNS1_3genE3ELNS1_11target_archE908ELNS1_3gpuE7ELNS1_3repE0EEENS1_30default_config_static_selectorELNS0_4arch9wavefront6targetE1EEEvT1_
    .private_segment_fixed_size: 0
    .sgpr_count:     6
    .sgpr_spill_count: 0
    .symbol:         _ZN7rocprim17ROCPRIM_400000_NS6detail17trampoline_kernelINS0_14default_configENS1_25transform_config_selectorIbLb0EEEZNS1_14transform_implILb0ES3_S5_PbN6thrust23THRUST_200600_302600_NS6detail15normal_iteratorINS9_10device_ptrIbEEEENS0_8identityIbEEEE10hipError_tT2_T3_mT4_P12ihipStream_tbEUlT_E_NS1_11comp_targetILNS1_3genE3ELNS1_11target_archE908ELNS1_3gpuE7ELNS1_3repE0EEENS1_30default_config_static_selectorELNS0_4arch9wavefront6targetE1EEEvT1_.kd
    .uniform_work_group_size: 1
    .uses_dynamic_stack: false
    .vgpr_count:     0
    .vgpr_spill_count: 0
    .wavefront_size: 64
  - .agpr_count:     0
    .args:
      - .offset:         0
        .size:           40
        .value_kind:     by_value
    .group_segment_fixed_size: 0
    .kernarg_segment_align: 8
    .kernarg_segment_size: 40
    .language:       OpenCL C
    .language_version:
      - 2
      - 0
    .max_flat_workgroup_size: 64
    .name:           _ZN7rocprim17ROCPRIM_400000_NS6detail17trampoline_kernelINS0_14default_configENS1_25transform_config_selectorIbLb0EEEZNS1_14transform_implILb0ES3_S5_PbN6thrust23THRUST_200600_302600_NS6detail15normal_iteratorINS9_10device_ptrIbEEEENS0_8identityIbEEEE10hipError_tT2_T3_mT4_P12ihipStream_tbEUlT_E_NS1_11comp_targetILNS1_3genE2ELNS1_11target_archE906ELNS1_3gpuE6ELNS1_3repE0EEENS1_30default_config_static_selectorELNS0_4arch9wavefront6targetE1EEEvT1_
    .private_segment_fixed_size: 0
    .sgpr_count:     6
    .sgpr_spill_count: 0
    .symbol:         _ZN7rocprim17ROCPRIM_400000_NS6detail17trampoline_kernelINS0_14default_configENS1_25transform_config_selectorIbLb0EEEZNS1_14transform_implILb0ES3_S5_PbN6thrust23THRUST_200600_302600_NS6detail15normal_iteratorINS9_10device_ptrIbEEEENS0_8identityIbEEEE10hipError_tT2_T3_mT4_P12ihipStream_tbEUlT_E_NS1_11comp_targetILNS1_3genE2ELNS1_11target_archE906ELNS1_3gpuE6ELNS1_3repE0EEENS1_30default_config_static_selectorELNS0_4arch9wavefront6targetE1EEEvT1_.kd
    .uniform_work_group_size: 1
    .uses_dynamic_stack: false
    .vgpr_count:     0
    .vgpr_spill_count: 0
    .wavefront_size: 64
  - .agpr_count:     0
    .args:
      - .offset:         0
        .size:           40
        .value_kind:     by_value
    .group_segment_fixed_size: 0
    .kernarg_segment_align: 8
    .kernarg_segment_size: 40
    .language:       OpenCL C
    .language_version:
      - 2
      - 0
    .max_flat_workgroup_size: 256
    .name:           _ZN7rocprim17ROCPRIM_400000_NS6detail17trampoline_kernelINS0_14default_configENS1_25transform_config_selectorIbLb0EEEZNS1_14transform_implILb0ES3_S5_PbN6thrust23THRUST_200600_302600_NS6detail15normal_iteratorINS9_10device_ptrIbEEEENS0_8identityIbEEEE10hipError_tT2_T3_mT4_P12ihipStream_tbEUlT_E_NS1_11comp_targetILNS1_3genE10ELNS1_11target_archE1201ELNS1_3gpuE5ELNS1_3repE0EEENS1_30default_config_static_selectorELNS0_4arch9wavefront6targetE1EEEvT1_
    .private_segment_fixed_size: 0
    .sgpr_count:     6
    .sgpr_spill_count: 0
    .symbol:         _ZN7rocprim17ROCPRIM_400000_NS6detail17trampoline_kernelINS0_14default_configENS1_25transform_config_selectorIbLb0EEEZNS1_14transform_implILb0ES3_S5_PbN6thrust23THRUST_200600_302600_NS6detail15normal_iteratorINS9_10device_ptrIbEEEENS0_8identityIbEEEE10hipError_tT2_T3_mT4_P12ihipStream_tbEUlT_E_NS1_11comp_targetILNS1_3genE10ELNS1_11target_archE1201ELNS1_3gpuE5ELNS1_3repE0EEENS1_30default_config_static_selectorELNS0_4arch9wavefront6targetE1EEEvT1_.kd
    .uniform_work_group_size: 1
    .uses_dynamic_stack: false
    .vgpr_count:     0
    .vgpr_spill_count: 0
    .wavefront_size: 64
  - .agpr_count:     0
    .args:
      - .offset:         0
        .size:           40
        .value_kind:     by_value
    .group_segment_fixed_size: 0
    .kernarg_segment_align: 8
    .kernarg_segment_size: 40
    .language:       OpenCL C
    .language_version:
      - 2
      - 0
    .max_flat_workgroup_size: 256
    .name:           _ZN7rocprim17ROCPRIM_400000_NS6detail17trampoline_kernelINS0_14default_configENS1_25transform_config_selectorIbLb0EEEZNS1_14transform_implILb0ES3_S5_PbN6thrust23THRUST_200600_302600_NS6detail15normal_iteratorINS9_10device_ptrIbEEEENS0_8identityIbEEEE10hipError_tT2_T3_mT4_P12ihipStream_tbEUlT_E_NS1_11comp_targetILNS1_3genE10ELNS1_11target_archE1200ELNS1_3gpuE4ELNS1_3repE0EEENS1_30default_config_static_selectorELNS0_4arch9wavefront6targetE1EEEvT1_
    .private_segment_fixed_size: 0
    .sgpr_count:     6
    .sgpr_spill_count: 0
    .symbol:         _ZN7rocprim17ROCPRIM_400000_NS6detail17trampoline_kernelINS0_14default_configENS1_25transform_config_selectorIbLb0EEEZNS1_14transform_implILb0ES3_S5_PbN6thrust23THRUST_200600_302600_NS6detail15normal_iteratorINS9_10device_ptrIbEEEENS0_8identityIbEEEE10hipError_tT2_T3_mT4_P12ihipStream_tbEUlT_E_NS1_11comp_targetILNS1_3genE10ELNS1_11target_archE1200ELNS1_3gpuE4ELNS1_3repE0EEENS1_30default_config_static_selectorELNS0_4arch9wavefront6targetE1EEEvT1_.kd
    .uniform_work_group_size: 1
    .uses_dynamic_stack: false
    .vgpr_count:     0
    .vgpr_spill_count: 0
    .wavefront_size: 64
  - .agpr_count:     0
    .args:
      - .offset:         0
        .size:           40
        .value_kind:     by_value
    .group_segment_fixed_size: 0
    .kernarg_segment_align: 8
    .kernarg_segment_size: 40
    .language:       OpenCL C
    .language_version:
      - 2
      - 0
    .max_flat_workgroup_size: 1024
    .name:           _ZN7rocprim17ROCPRIM_400000_NS6detail17trampoline_kernelINS0_14default_configENS1_25transform_config_selectorIbLb0EEEZNS1_14transform_implILb0ES3_S5_PbN6thrust23THRUST_200600_302600_NS6detail15normal_iteratorINS9_10device_ptrIbEEEENS0_8identityIbEEEE10hipError_tT2_T3_mT4_P12ihipStream_tbEUlT_E_NS1_11comp_targetILNS1_3genE9ELNS1_11target_archE1100ELNS1_3gpuE3ELNS1_3repE0EEENS1_30default_config_static_selectorELNS0_4arch9wavefront6targetE1EEEvT1_
    .private_segment_fixed_size: 0
    .sgpr_count:     6
    .sgpr_spill_count: 0
    .symbol:         _ZN7rocprim17ROCPRIM_400000_NS6detail17trampoline_kernelINS0_14default_configENS1_25transform_config_selectorIbLb0EEEZNS1_14transform_implILb0ES3_S5_PbN6thrust23THRUST_200600_302600_NS6detail15normal_iteratorINS9_10device_ptrIbEEEENS0_8identityIbEEEE10hipError_tT2_T3_mT4_P12ihipStream_tbEUlT_E_NS1_11comp_targetILNS1_3genE9ELNS1_11target_archE1100ELNS1_3gpuE3ELNS1_3repE0EEENS1_30default_config_static_selectorELNS0_4arch9wavefront6targetE1EEEvT1_.kd
    .uniform_work_group_size: 1
    .uses_dynamic_stack: false
    .vgpr_count:     0
    .vgpr_spill_count: 0
    .wavefront_size: 64
  - .agpr_count:     0
    .args:
      - .offset:         0
        .size:           40
        .value_kind:     by_value
    .group_segment_fixed_size: 0
    .kernarg_segment_align: 8
    .kernarg_segment_size: 40
    .language:       OpenCL C
    .language_version:
      - 2
      - 0
    .max_flat_workgroup_size: 128
    .name:           _ZN7rocprim17ROCPRIM_400000_NS6detail17trampoline_kernelINS0_14default_configENS1_25transform_config_selectorIbLb0EEEZNS1_14transform_implILb0ES3_S5_PbN6thrust23THRUST_200600_302600_NS6detail15normal_iteratorINS9_10device_ptrIbEEEENS0_8identityIbEEEE10hipError_tT2_T3_mT4_P12ihipStream_tbEUlT_E_NS1_11comp_targetILNS1_3genE8ELNS1_11target_archE1030ELNS1_3gpuE2ELNS1_3repE0EEENS1_30default_config_static_selectorELNS0_4arch9wavefront6targetE1EEEvT1_
    .private_segment_fixed_size: 0
    .sgpr_count:     6
    .sgpr_spill_count: 0
    .symbol:         _ZN7rocprim17ROCPRIM_400000_NS6detail17trampoline_kernelINS0_14default_configENS1_25transform_config_selectorIbLb0EEEZNS1_14transform_implILb0ES3_S5_PbN6thrust23THRUST_200600_302600_NS6detail15normal_iteratorINS9_10device_ptrIbEEEENS0_8identityIbEEEE10hipError_tT2_T3_mT4_P12ihipStream_tbEUlT_E_NS1_11comp_targetILNS1_3genE8ELNS1_11target_archE1030ELNS1_3gpuE2ELNS1_3repE0EEENS1_30default_config_static_selectorELNS0_4arch9wavefront6targetE1EEEvT1_.kd
    .uniform_work_group_size: 1
    .uses_dynamic_stack: false
    .vgpr_count:     0
    .vgpr_spill_count: 0
    .wavefront_size: 64
  - .agpr_count:     0
    .args:
      - .offset:         0
        .size:           40
        .value_kind:     by_value
    .group_segment_fixed_size: 128
    .kernarg_segment_align: 8
    .kernarg_segment_size: 40
    .language:       OpenCL C
    .language_version:
      - 2
      - 0
    .max_flat_workgroup_size: 128
    .name:           _ZN7rocprim17ROCPRIM_400000_NS6detail17trampoline_kernelINS0_14default_configENS1_38merge_sort_block_merge_config_selectorIbiEEZZNS1_27merge_sort_block_merge_implIS3_N6thrust23THRUST_200600_302600_NS6detail15normal_iteratorINS8_10device_ptrIbEEEENSA_INSB_IiEEEEjNS1_19radix_merge_compareILb0ELb1EbNS0_19identity_decomposerEEEEE10hipError_tT0_T1_T2_jT3_P12ihipStream_tbPNSt15iterator_traitsISK_E10value_typeEPNSQ_ISL_E10value_typeEPSM_NS1_7vsmem_tEENKUlT_SK_SL_SM_E_clIPbSD_PiSF_EESJ_SZ_SK_SL_SM_EUlSZ_E_NS1_11comp_targetILNS1_3genE0ELNS1_11target_archE4294967295ELNS1_3gpuE0ELNS1_3repE0EEENS1_48merge_mergepath_partition_config_static_selectorELNS0_4arch9wavefront6targetE1EEEvSL_
    .private_segment_fixed_size: 0
    .sgpr_count:     15
    .sgpr_spill_count: 0
    .symbol:         _ZN7rocprim17ROCPRIM_400000_NS6detail17trampoline_kernelINS0_14default_configENS1_38merge_sort_block_merge_config_selectorIbiEEZZNS1_27merge_sort_block_merge_implIS3_N6thrust23THRUST_200600_302600_NS6detail15normal_iteratorINS8_10device_ptrIbEEEENSA_INSB_IiEEEEjNS1_19radix_merge_compareILb0ELb1EbNS0_19identity_decomposerEEEEE10hipError_tT0_T1_T2_jT3_P12ihipStream_tbPNSt15iterator_traitsISK_E10value_typeEPNSQ_ISL_E10value_typeEPSM_NS1_7vsmem_tEENKUlT_SK_SL_SM_E_clIPbSD_PiSF_EESJ_SZ_SK_SL_SM_EUlSZ_E_NS1_11comp_targetILNS1_3genE0ELNS1_11target_archE4294967295ELNS1_3gpuE0ELNS1_3repE0EEENS1_48merge_mergepath_partition_config_static_selectorELNS0_4arch9wavefront6targetE1EEEvSL_.kd
    .uniform_work_group_size: 1
    .uses_dynamic_stack: false
    .vgpr_count:     18
    .vgpr_spill_count: 0
    .wavefront_size: 64
  - .agpr_count:     0
    .args:
      - .offset:         0
        .size:           40
        .value_kind:     by_value
    .group_segment_fixed_size: 0
    .kernarg_segment_align: 8
    .kernarg_segment_size: 40
    .language:       OpenCL C
    .language_version:
      - 2
      - 0
    .max_flat_workgroup_size: 128
    .name:           _ZN7rocprim17ROCPRIM_400000_NS6detail17trampoline_kernelINS0_14default_configENS1_38merge_sort_block_merge_config_selectorIbiEEZZNS1_27merge_sort_block_merge_implIS3_N6thrust23THRUST_200600_302600_NS6detail15normal_iteratorINS8_10device_ptrIbEEEENSA_INSB_IiEEEEjNS1_19radix_merge_compareILb0ELb1EbNS0_19identity_decomposerEEEEE10hipError_tT0_T1_T2_jT3_P12ihipStream_tbPNSt15iterator_traitsISK_E10value_typeEPNSQ_ISL_E10value_typeEPSM_NS1_7vsmem_tEENKUlT_SK_SL_SM_E_clIPbSD_PiSF_EESJ_SZ_SK_SL_SM_EUlSZ_E_NS1_11comp_targetILNS1_3genE10ELNS1_11target_archE1201ELNS1_3gpuE5ELNS1_3repE0EEENS1_48merge_mergepath_partition_config_static_selectorELNS0_4arch9wavefront6targetE1EEEvSL_
    .private_segment_fixed_size: 0
    .sgpr_count:     6
    .sgpr_spill_count: 0
    .symbol:         _ZN7rocprim17ROCPRIM_400000_NS6detail17trampoline_kernelINS0_14default_configENS1_38merge_sort_block_merge_config_selectorIbiEEZZNS1_27merge_sort_block_merge_implIS3_N6thrust23THRUST_200600_302600_NS6detail15normal_iteratorINS8_10device_ptrIbEEEENSA_INSB_IiEEEEjNS1_19radix_merge_compareILb0ELb1EbNS0_19identity_decomposerEEEEE10hipError_tT0_T1_T2_jT3_P12ihipStream_tbPNSt15iterator_traitsISK_E10value_typeEPNSQ_ISL_E10value_typeEPSM_NS1_7vsmem_tEENKUlT_SK_SL_SM_E_clIPbSD_PiSF_EESJ_SZ_SK_SL_SM_EUlSZ_E_NS1_11comp_targetILNS1_3genE10ELNS1_11target_archE1201ELNS1_3gpuE5ELNS1_3repE0EEENS1_48merge_mergepath_partition_config_static_selectorELNS0_4arch9wavefront6targetE1EEEvSL_.kd
    .uniform_work_group_size: 1
    .uses_dynamic_stack: false
    .vgpr_count:     0
    .vgpr_spill_count: 0
    .wavefront_size: 64
  - .agpr_count:     0
    .args:
      - .offset:         0
        .size:           40
        .value_kind:     by_value
    .group_segment_fixed_size: 0
    .kernarg_segment_align: 8
    .kernarg_segment_size: 40
    .language:       OpenCL C
    .language_version:
      - 2
      - 0
    .max_flat_workgroup_size: 128
    .name:           _ZN7rocprim17ROCPRIM_400000_NS6detail17trampoline_kernelINS0_14default_configENS1_38merge_sort_block_merge_config_selectorIbiEEZZNS1_27merge_sort_block_merge_implIS3_N6thrust23THRUST_200600_302600_NS6detail15normal_iteratorINS8_10device_ptrIbEEEENSA_INSB_IiEEEEjNS1_19radix_merge_compareILb0ELb1EbNS0_19identity_decomposerEEEEE10hipError_tT0_T1_T2_jT3_P12ihipStream_tbPNSt15iterator_traitsISK_E10value_typeEPNSQ_ISL_E10value_typeEPSM_NS1_7vsmem_tEENKUlT_SK_SL_SM_E_clIPbSD_PiSF_EESJ_SZ_SK_SL_SM_EUlSZ_E_NS1_11comp_targetILNS1_3genE5ELNS1_11target_archE942ELNS1_3gpuE9ELNS1_3repE0EEENS1_48merge_mergepath_partition_config_static_selectorELNS0_4arch9wavefront6targetE1EEEvSL_
    .private_segment_fixed_size: 0
    .sgpr_count:     6
    .sgpr_spill_count: 0
    .symbol:         _ZN7rocprim17ROCPRIM_400000_NS6detail17trampoline_kernelINS0_14default_configENS1_38merge_sort_block_merge_config_selectorIbiEEZZNS1_27merge_sort_block_merge_implIS3_N6thrust23THRUST_200600_302600_NS6detail15normal_iteratorINS8_10device_ptrIbEEEENSA_INSB_IiEEEEjNS1_19radix_merge_compareILb0ELb1EbNS0_19identity_decomposerEEEEE10hipError_tT0_T1_T2_jT3_P12ihipStream_tbPNSt15iterator_traitsISK_E10value_typeEPNSQ_ISL_E10value_typeEPSM_NS1_7vsmem_tEENKUlT_SK_SL_SM_E_clIPbSD_PiSF_EESJ_SZ_SK_SL_SM_EUlSZ_E_NS1_11comp_targetILNS1_3genE5ELNS1_11target_archE942ELNS1_3gpuE9ELNS1_3repE0EEENS1_48merge_mergepath_partition_config_static_selectorELNS0_4arch9wavefront6targetE1EEEvSL_.kd
    .uniform_work_group_size: 1
    .uses_dynamic_stack: false
    .vgpr_count:     0
    .vgpr_spill_count: 0
    .wavefront_size: 64
  - .agpr_count:     0
    .args:
      - .offset:         0
        .size:           40
        .value_kind:     by_value
    .group_segment_fixed_size: 0
    .kernarg_segment_align: 8
    .kernarg_segment_size: 40
    .language:       OpenCL C
    .language_version:
      - 2
      - 0
    .max_flat_workgroup_size: 128
    .name:           _ZN7rocprim17ROCPRIM_400000_NS6detail17trampoline_kernelINS0_14default_configENS1_38merge_sort_block_merge_config_selectorIbiEEZZNS1_27merge_sort_block_merge_implIS3_N6thrust23THRUST_200600_302600_NS6detail15normal_iteratorINS8_10device_ptrIbEEEENSA_INSB_IiEEEEjNS1_19radix_merge_compareILb0ELb1EbNS0_19identity_decomposerEEEEE10hipError_tT0_T1_T2_jT3_P12ihipStream_tbPNSt15iterator_traitsISK_E10value_typeEPNSQ_ISL_E10value_typeEPSM_NS1_7vsmem_tEENKUlT_SK_SL_SM_E_clIPbSD_PiSF_EESJ_SZ_SK_SL_SM_EUlSZ_E_NS1_11comp_targetILNS1_3genE4ELNS1_11target_archE910ELNS1_3gpuE8ELNS1_3repE0EEENS1_48merge_mergepath_partition_config_static_selectorELNS0_4arch9wavefront6targetE1EEEvSL_
    .private_segment_fixed_size: 0
    .sgpr_count:     6
    .sgpr_spill_count: 0
    .symbol:         _ZN7rocprim17ROCPRIM_400000_NS6detail17trampoline_kernelINS0_14default_configENS1_38merge_sort_block_merge_config_selectorIbiEEZZNS1_27merge_sort_block_merge_implIS3_N6thrust23THRUST_200600_302600_NS6detail15normal_iteratorINS8_10device_ptrIbEEEENSA_INSB_IiEEEEjNS1_19radix_merge_compareILb0ELb1EbNS0_19identity_decomposerEEEEE10hipError_tT0_T1_T2_jT3_P12ihipStream_tbPNSt15iterator_traitsISK_E10value_typeEPNSQ_ISL_E10value_typeEPSM_NS1_7vsmem_tEENKUlT_SK_SL_SM_E_clIPbSD_PiSF_EESJ_SZ_SK_SL_SM_EUlSZ_E_NS1_11comp_targetILNS1_3genE4ELNS1_11target_archE910ELNS1_3gpuE8ELNS1_3repE0EEENS1_48merge_mergepath_partition_config_static_selectorELNS0_4arch9wavefront6targetE1EEEvSL_.kd
    .uniform_work_group_size: 1
    .uses_dynamic_stack: false
    .vgpr_count:     0
    .vgpr_spill_count: 0
    .wavefront_size: 64
  - .agpr_count:     0
    .args:
      - .offset:         0
        .size:           40
        .value_kind:     by_value
    .group_segment_fixed_size: 0
    .kernarg_segment_align: 8
    .kernarg_segment_size: 40
    .language:       OpenCL C
    .language_version:
      - 2
      - 0
    .max_flat_workgroup_size: 128
    .name:           _ZN7rocprim17ROCPRIM_400000_NS6detail17trampoline_kernelINS0_14default_configENS1_38merge_sort_block_merge_config_selectorIbiEEZZNS1_27merge_sort_block_merge_implIS3_N6thrust23THRUST_200600_302600_NS6detail15normal_iteratorINS8_10device_ptrIbEEEENSA_INSB_IiEEEEjNS1_19radix_merge_compareILb0ELb1EbNS0_19identity_decomposerEEEEE10hipError_tT0_T1_T2_jT3_P12ihipStream_tbPNSt15iterator_traitsISK_E10value_typeEPNSQ_ISL_E10value_typeEPSM_NS1_7vsmem_tEENKUlT_SK_SL_SM_E_clIPbSD_PiSF_EESJ_SZ_SK_SL_SM_EUlSZ_E_NS1_11comp_targetILNS1_3genE3ELNS1_11target_archE908ELNS1_3gpuE7ELNS1_3repE0EEENS1_48merge_mergepath_partition_config_static_selectorELNS0_4arch9wavefront6targetE1EEEvSL_
    .private_segment_fixed_size: 0
    .sgpr_count:     6
    .sgpr_spill_count: 0
    .symbol:         _ZN7rocprim17ROCPRIM_400000_NS6detail17trampoline_kernelINS0_14default_configENS1_38merge_sort_block_merge_config_selectorIbiEEZZNS1_27merge_sort_block_merge_implIS3_N6thrust23THRUST_200600_302600_NS6detail15normal_iteratorINS8_10device_ptrIbEEEENSA_INSB_IiEEEEjNS1_19radix_merge_compareILb0ELb1EbNS0_19identity_decomposerEEEEE10hipError_tT0_T1_T2_jT3_P12ihipStream_tbPNSt15iterator_traitsISK_E10value_typeEPNSQ_ISL_E10value_typeEPSM_NS1_7vsmem_tEENKUlT_SK_SL_SM_E_clIPbSD_PiSF_EESJ_SZ_SK_SL_SM_EUlSZ_E_NS1_11comp_targetILNS1_3genE3ELNS1_11target_archE908ELNS1_3gpuE7ELNS1_3repE0EEENS1_48merge_mergepath_partition_config_static_selectorELNS0_4arch9wavefront6targetE1EEEvSL_.kd
    .uniform_work_group_size: 1
    .uses_dynamic_stack: false
    .vgpr_count:     0
    .vgpr_spill_count: 0
    .wavefront_size: 64
  - .agpr_count:     0
    .args:
      - .offset:         0
        .size:           40
        .value_kind:     by_value
    .group_segment_fixed_size: 0
    .kernarg_segment_align: 8
    .kernarg_segment_size: 40
    .language:       OpenCL C
    .language_version:
      - 2
      - 0
    .max_flat_workgroup_size: 128
    .name:           _ZN7rocprim17ROCPRIM_400000_NS6detail17trampoline_kernelINS0_14default_configENS1_38merge_sort_block_merge_config_selectorIbiEEZZNS1_27merge_sort_block_merge_implIS3_N6thrust23THRUST_200600_302600_NS6detail15normal_iteratorINS8_10device_ptrIbEEEENSA_INSB_IiEEEEjNS1_19radix_merge_compareILb0ELb1EbNS0_19identity_decomposerEEEEE10hipError_tT0_T1_T2_jT3_P12ihipStream_tbPNSt15iterator_traitsISK_E10value_typeEPNSQ_ISL_E10value_typeEPSM_NS1_7vsmem_tEENKUlT_SK_SL_SM_E_clIPbSD_PiSF_EESJ_SZ_SK_SL_SM_EUlSZ_E_NS1_11comp_targetILNS1_3genE2ELNS1_11target_archE906ELNS1_3gpuE6ELNS1_3repE0EEENS1_48merge_mergepath_partition_config_static_selectorELNS0_4arch9wavefront6targetE1EEEvSL_
    .private_segment_fixed_size: 0
    .sgpr_count:     6
    .sgpr_spill_count: 0
    .symbol:         _ZN7rocprim17ROCPRIM_400000_NS6detail17trampoline_kernelINS0_14default_configENS1_38merge_sort_block_merge_config_selectorIbiEEZZNS1_27merge_sort_block_merge_implIS3_N6thrust23THRUST_200600_302600_NS6detail15normal_iteratorINS8_10device_ptrIbEEEENSA_INSB_IiEEEEjNS1_19radix_merge_compareILb0ELb1EbNS0_19identity_decomposerEEEEE10hipError_tT0_T1_T2_jT3_P12ihipStream_tbPNSt15iterator_traitsISK_E10value_typeEPNSQ_ISL_E10value_typeEPSM_NS1_7vsmem_tEENKUlT_SK_SL_SM_E_clIPbSD_PiSF_EESJ_SZ_SK_SL_SM_EUlSZ_E_NS1_11comp_targetILNS1_3genE2ELNS1_11target_archE906ELNS1_3gpuE6ELNS1_3repE0EEENS1_48merge_mergepath_partition_config_static_selectorELNS0_4arch9wavefront6targetE1EEEvSL_.kd
    .uniform_work_group_size: 1
    .uses_dynamic_stack: false
    .vgpr_count:     0
    .vgpr_spill_count: 0
    .wavefront_size: 64
  - .agpr_count:     0
    .args:
      - .offset:         0
        .size:           40
        .value_kind:     by_value
    .group_segment_fixed_size: 0
    .kernarg_segment_align: 8
    .kernarg_segment_size: 40
    .language:       OpenCL C
    .language_version:
      - 2
      - 0
    .max_flat_workgroup_size: 128
    .name:           _ZN7rocprim17ROCPRIM_400000_NS6detail17trampoline_kernelINS0_14default_configENS1_38merge_sort_block_merge_config_selectorIbiEEZZNS1_27merge_sort_block_merge_implIS3_N6thrust23THRUST_200600_302600_NS6detail15normal_iteratorINS8_10device_ptrIbEEEENSA_INSB_IiEEEEjNS1_19radix_merge_compareILb0ELb1EbNS0_19identity_decomposerEEEEE10hipError_tT0_T1_T2_jT3_P12ihipStream_tbPNSt15iterator_traitsISK_E10value_typeEPNSQ_ISL_E10value_typeEPSM_NS1_7vsmem_tEENKUlT_SK_SL_SM_E_clIPbSD_PiSF_EESJ_SZ_SK_SL_SM_EUlSZ_E_NS1_11comp_targetILNS1_3genE9ELNS1_11target_archE1100ELNS1_3gpuE3ELNS1_3repE0EEENS1_48merge_mergepath_partition_config_static_selectorELNS0_4arch9wavefront6targetE1EEEvSL_
    .private_segment_fixed_size: 0
    .sgpr_count:     6
    .sgpr_spill_count: 0
    .symbol:         _ZN7rocprim17ROCPRIM_400000_NS6detail17trampoline_kernelINS0_14default_configENS1_38merge_sort_block_merge_config_selectorIbiEEZZNS1_27merge_sort_block_merge_implIS3_N6thrust23THRUST_200600_302600_NS6detail15normal_iteratorINS8_10device_ptrIbEEEENSA_INSB_IiEEEEjNS1_19radix_merge_compareILb0ELb1EbNS0_19identity_decomposerEEEEE10hipError_tT0_T1_T2_jT3_P12ihipStream_tbPNSt15iterator_traitsISK_E10value_typeEPNSQ_ISL_E10value_typeEPSM_NS1_7vsmem_tEENKUlT_SK_SL_SM_E_clIPbSD_PiSF_EESJ_SZ_SK_SL_SM_EUlSZ_E_NS1_11comp_targetILNS1_3genE9ELNS1_11target_archE1100ELNS1_3gpuE3ELNS1_3repE0EEENS1_48merge_mergepath_partition_config_static_selectorELNS0_4arch9wavefront6targetE1EEEvSL_.kd
    .uniform_work_group_size: 1
    .uses_dynamic_stack: false
    .vgpr_count:     0
    .vgpr_spill_count: 0
    .wavefront_size: 64
  - .agpr_count:     0
    .args:
      - .offset:         0
        .size:           40
        .value_kind:     by_value
    .group_segment_fixed_size: 0
    .kernarg_segment_align: 8
    .kernarg_segment_size: 40
    .language:       OpenCL C
    .language_version:
      - 2
      - 0
    .max_flat_workgroup_size: 128
    .name:           _ZN7rocprim17ROCPRIM_400000_NS6detail17trampoline_kernelINS0_14default_configENS1_38merge_sort_block_merge_config_selectorIbiEEZZNS1_27merge_sort_block_merge_implIS3_N6thrust23THRUST_200600_302600_NS6detail15normal_iteratorINS8_10device_ptrIbEEEENSA_INSB_IiEEEEjNS1_19radix_merge_compareILb0ELb1EbNS0_19identity_decomposerEEEEE10hipError_tT0_T1_T2_jT3_P12ihipStream_tbPNSt15iterator_traitsISK_E10value_typeEPNSQ_ISL_E10value_typeEPSM_NS1_7vsmem_tEENKUlT_SK_SL_SM_E_clIPbSD_PiSF_EESJ_SZ_SK_SL_SM_EUlSZ_E_NS1_11comp_targetILNS1_3genE8ELNS1_11target_archE1030ELNS1_3gpuE2ELNS1_3repE0EEENS1_48merge_mergepath_partition_config_static_selectorELNS0_4arch9wavefront6targetE1EEEvSL_
    .private_segment_fixed_size: 0
    .sgpr_count:     6
    .sgpr_spill_count: 0
    .symbol:         _ZN7rocprim17ROCPRIM_400000_NS6detail17trampoline_kernelINS0_14default_configENS1_38merge_sort_block_merge_config_selectorIbiEEZZNS1_27merge_sort_block_merge_implIS3_N6thrust23THRUST_200600_302600_NS6detail15normal_iteratorINS8_10device_ptrIbEEEENSA_INSB_IiEEEEjNS1_19radix_merge_compareILb0ELb1EbNS0_19identity_decomposerEEEEE10hipError_tT0_T1_T2_jT3_P12ihipStream_tbPNSt15iterator_traitsISK_E10value_typeEPNSQ_ISL_E10value_typeEPSM_NS1_7vsmem_tEENKUlT_SK_SL_SM_E_clIPbSD_PiSF_EESJ_SZ_SK_SL_SM_EUlSZ_E_NS1_11comp_targetILNS1_3genE8ELNS1_11target_archE1030ELNS1_3gpuE2ELNS1_3repE0EEENS1_48merge_mergepath_partition_config_static_selectorELNS0_4arch9wavefront6targetE1EEEvSL_.kd
    .uniform_work_group_size: 1
    .uses_dynamic_stack: false
    .vgpr_count:     0
    .vgpr_spill_count: 0
    .wavefront_size: 64
  - .agpr_count:     0
    .args:
      - .offset:         0
        .size:           64
        .value_kind:     by_value
      - .offset:         64
        .size:           4
        .value_kind:     hidden_block_count_x
      - .offset:         68
        .size:           4
        .value_kind:     hidden_block_count_y
      - .offset:         72
        .size:           4
        .value_kind:     hidden_block_count_z
      - .offset:         76
        .size:           2
        .value_kind:     hidden_group_size_x
      - .offset:         78
        .size:           2
        .value_kind:     hidden_group_size_y
      - .offset:         80
        .size:           2
        .value_kind:     hidden_group_size_z
      - .offset:         82
        .size:           2
        .value_kind:     hidden_remainder_x
      - .offset:         84
        .size:           2
        .value_kind:     hidden_remainder_y
      - .offset:         86
        .size:           2
        .value_kind:     hidden_remainder_z
      - .offset:         104
        .size:           8
        .value_kind:     hidden_global_offset_x
      - .offset:         112
        .size:           8
        .value_kind:     hidden_global_offset_y
      - .offset:         120
        .size:           8
        .value_kind:     hidden_global_offset_z
      - .offset:         128
        .size:           2
        .value_kind:     hidden_grid_dims
    .group_segment_fixed_size: 5248
    .kernarg_segment_align: 8
    .kernarg_segment_size: 320
    .language:       OpenCL C
    .language_version:
      - 2
      - 0
    .max_flat_workgroup_size: 256
    .name:           _ZN7rocprim17ROCPRIM_400000_NS6detail17trampoline_kernelINS0_14default_configENS1_38merge_sort_block_merge_config_selectorIbiEEZZNS1_27merge_sort_block_merge_implIS3_N6thrust23THRUST_200600_302600_NS6detail15normal_iteratorINS8_10device_ptrIbEEEENSA_INSB_IiEEEEjNS1_19radix_merge_compareILb0ELb1EbNS0_19identity_decomposerEEEEE10hipError_tT0_T1_T2_jT3_P12ihipStream_tbPNSt15iterator_traitsISK_E10value_typeEPNSQ_ISL_E10value_typeEPSM_NS1_7vsmem_tEENKUlT_SK_SL_SM_E_clIPbSD_PiSF_EESJ_SZ_SK_SL_SM_EUlSZ_E0_NS1_11comp_targetILNS1_3genE0ELNS1_11target_archE4294967295ELNS1_3gpuE0ELNS1_3repE0EEENS1_38merge_mergepath_config_static_selectorELNS0_4arch9wavefront6targetE1EEEvSL_
    .private_segment_fixed_size: 0
    .sgpr_count:     36
    .sgpr_spill_count: 0
    .symbol:         _ZN7rocprim17ROCPRIM_400000_NS6detail17trampoline_kernelINS0_14default_configENS1_38merge_sort_block_merge_config_selectorIbiEEZZNS1_27merge_sort_block_merge_implIS3_N6thrust23THRUST_200600_302600_NS6detail15normal_iteratorINS8_10device_ptrIbEEEENSA_INSB_IiEEEEjNS1_19radix_merge_compareILb0ELb1EbNS0_19identity_decomposerEEEEE10hipError_tT0_T1_T2_jT3_P12ihipStream_tbPNSt15iterator_traitsISK_E10value_typeEPNSQ_ISL_E10value_typeEPSM_NS1_7vsmem_tEENKUlT_SK_SL_SM_E_clIPbSD_PiSF_EESJ_SZ_SK_SL_SM_EUlSZ_E0_NS1_11comp_targetILNS1_3genE0ELNS1_11target_archE4294967295ELNS1_3gpuE0ELNS1_3repE0EEENS1_38merge_mergepath_config_static_selectorELNS0_4arch9wavefront6targetE1EEEvSL_.kd
    .uniform_work_group_size: 1
    .uses_dynamic_stack: false
    .vgpr_count:     27
    .vgpr_spill_count: 0
    .wavefront_size: 64
  - .agpr_count:     0
    .args:
      - .offset:         0
        .size:           64
        .value_kind:     by_value
    .group_segment_fixed_size: 0
    .kernarg_segment_align: 8
    .kernarg_segment_size: 64
    .language:       OpenCL C
    .language_version:
      - 2
      - 0
    .max_flat_workgroup_size: 256
    .name:           _ZN7rocprim17ROCPRIM_400000_NS6detail17trampoline_kernelINS0_14default_configENS1_38merge_sort_block_merge_config_selectorIbiEEZZNS1_27merge_sort_block_merge_implIS3_N6thrust23THRUST_200600_302600_NS6detail15normal_iteratorINS8_10device_ptrIbEEEENSA_INSB_IiEEEEjNS1_19radix_merge_compareILb0ELb1EbNS0_19identity_decomposerEEEEE10hipError_tT0_T1_T2_jT3_P12ihipStream_tbPNSt15iterator_traitsISK_E10value_typeEPNSQ_ISL_E10value_typeEPSM_NS1_7vsmem_tEENKUlT_SK_SL_SM_E_clIPbSD_PiSF_EESJ_SZ_SK_SL_SM_EUlSZ_E0_NS1_11comp_targetILNS1_3genE10ELNS1_11target_archE1201ELNS1_3gpuE5ELNS1_3repE0EEENS1_38merge_mergepath_config_static_selectorELNS0_4arch9wavefront6targetE1EEEvSL_
    .private_segment_fixed_size: 0
    .sgpr_count:     6
    .sgpr_spill_count: 0
    .symbol:         _ZN7rocprim17ROCPRIM_400000_NS6detail17trampoline_kernelINS0_14default_configENS1_38merge_sort_block_merge_config_selectorIbiEEZZNS1_27merge_sort_block_merge_implIS3_N6thrust23THRUST_200600_302600_NS6detail15normal_iteratorINS8_10device_ptrIbEEEENSA_INSB_IiEEEEjNS1_19radix_merge_compareILb0ELb1EbNS0_19identity_decomposerEEEEE10hipError_tT0_T1_T2_jT3_P12ihipStream_tbPNSt15iterator_traitsISK_E10value_typeEPNSQ_ISL_E10value_typeEPSM_NS1_7vsmem_tEENKUlT_SK_SL_SM_E_clIPbSD_PiSF_EESJ_SZ_SK_SL_SM_EUlSZ_E0_NS1_11comp_targetILNS1_3genE10ELNS1_11target_archE1201ELNS1_3gpuE5ELNS1_3repE0EEENS1_38merge_mergepath_config_static_selectorELNS0_4arch9wavefront6targetE1EEEvSL_.kd
    .uniform_work_group_size: 1
    .uses_dynamic_stack: false
    .vgpr_count:     0
    .vgpr_spill_count: 0
    .wavefront_size: 64
  - .agpr_count:     0
    .args:
      - .offset:         0
        .size:           64
        .value_kind:     by_value
    .group_segment_fixed_size: 0
    .kernarg_segment_align: 8
    .kernarg_segment_size: 64
    .language:       OpenCL C
    .language_version:
      - 2
      - 0
    .max_flat_workgroup_size: 128
    .name:           _ZN7rocprim17ROCPRIM_400000_NS6detail17trampoline_kernelINS0_14default_configENS1_38merge_sort_block_merge_config_selectorIbiEEZZNS1_27merge_sort_block_merge_implIS3_N6thrust23THRUST_200600_302600_NS6detail15normal_iteratorINS8_10device_ptrIbEEEENSA_INSB_IiEEEEjNS1_19radix_merge_compareILb0ELb1EbNS0_19identity_decomposerEEEEE10hipError_tT0_T1_T2_jT3_P12ihipStream_tbPNSt15iterator_traitsISK_E10value_typeEPNSQ_ISL_E10value_typeEPSM_NS1_7vsmem_tEENKUlT_SK_SL_SM_E_clIPbSD_PiSF_EESJ_SZ_SK_SL_SM_EUlSZ_E0_NS1_11comp_targetILNS1_3genE5ELNS1_11target_archE942ELNS1_3gpuE9ELNS1_3repE0EEENS1_38merge_mergepath_config_static_selectorELNS0_4arch9wavefront6targetE1EEEvSL_
    .private_segment_fixed_size: 0
    .sgpr_count:     6
    .sgpr_spill_count: 0
    .symbol:         _ZN7rocprim17ROCPRIM_400000_NS6detail17trampoline_kernelINS0_14default_configENS1_38merge_sort_block_merge_config_selectorIbiEEZZNS1_27merge_sort_block_merge_implIS3_N6thrust23THRUST_200600_302600_NS6detail15normal_iteratorINS8_10device_ptrIbEEEENSA_INSB_IiEEEEjNS1_19radix_merge_compareILb0ELb1EbNS0_19identity_decomposerEEEEE10hipError_tT0_T1_T2_jT3_P12ihipStream_tbPNSt15iterator_traitsISK_E10value_typeEPNSQ_ISL_E10value_typeEPSM_NS1_7vsmem_tEENKUlT_SK_SL_SM_E_clIPbSD_PiSF_EESJ_SZ_SK_SL_SM_EUlSZ_E0_NS1_11comp_targetILNS1_3genE5ELNS1_11target_archE942ELNS1_3gpuE9ELNS1_3repE0EEENS1_38merge_mergepath_config_static_selectorELNS0_4arch9wavefront6targetE1EEEvSL_.kd
    .uniform_work_group_size: 1
    .uses_dynamic_stack: false
    .vgpr_count:     0
    .vgpr_spill_count: 0
    .wavefront_size: 64
  - .agpr_count:     0
    .args:
      - .offset:         0
        .size:           64
        .value_kind:     by_value
    .group_segment_fixed_size: 0
    .kernarg_segment_align: 8
    .kernarg_segment_size: 64
    .language:       OpenCL C
    .language_version:
      - 2
      - 0
    .max_flat_workgroup_size: 128
    .name:           _ZN7rocprim17ROCPRIM_400000_NS6detail17trampoline_kernelINS0_14default_configENS1_38merge_sort_block_merge_config_selectorIbiEEZZNS1_27merge_sort_block_merge_implIS3_N6thrust23THRUST_200600_302600_NS6detail15normal_iteratorINS8_10device_ptrIbEEEENSA_INSB_IiEEEEjNS1_19radix_merge_compareILb0ELb1EbNS0_19identity_decomposerEEEEE10hipError_tT0_T1_T2_jT3_P12ihipStream_tbPNSt15iterator_traitsISK_E10value_typeEPNSQ_ISL_E10value_typeEPSM_NS1_7vsmem_tEENKUlT_SK_SL_SM_E_clIPbSD_PiSF_EESJ_SZ_SK_SL_SM_EUlSZ_E0_NS1_11comp_targetILNS1_3genE4ELNS1_11target_archE910ELNS1_3gpuE8ELNS1_3repE0EEENS1_38merge_mergepath_config_static_selectorELNS0_4arch9wavefront6targetE1EEEvSL_
    .private_segment_fixed_size: 0
    .sgpr_count:     6
    .sgpr_spill_count: 0
    .symbol:         _ZN7rocprim17ROCPRIM_400000_NS6detail17trampoline_kernelINS0_14default_configENS1_38merge_sort_block_merge_config_selectorIbiEEZZNS1_27merge_sort_block_merge_implIS3_N6thrust23THRUST_200600_302600_NS6detail15normal_iteratorINS8_10device_ptrIbEEEENSA_INSB_IiEEEEjNS1_19radix_merge_compareILb0ELb1EbNS0_19identity_decomposerEEEEE10hipError_tT0_T1_T2_jT3_P12ihipStream_tbPNSt15iterator_traitsISK_E10value_typeEPNSQ_ISL_E10value_typeEPSM_NS1_7vsmem_tEENKUlT_SK_SL_SM_E_clIPbSD_PiSF_EESJ_SZ_SK_SL_SM_EUlSZ_E0_NS1_11comp_targetILNS1_3genE4ELNS1_11target_archE910ELNS1_3gpuE8ELNS1_3repE0EEENS1_38merge_mergepath_config_static_selectorELNS0_4arch9wavefront6targetE1EEEvSL_.kd
    .uniform_work_group_size: 1
    .uses_dynamic_stack: false
    .vgpr_count:     0
    .vgpr_spill_count: 0
    .wavefront_size: 64
  - .agpr_count:     0
    .args:
      - .offset:         0
        .size:           64
        .value_kind:     by_value
    .group_segment_fixed_size: 0
    .kernarg_segment_align: 8
    .kernarg_segment_size: 64
    .language:       OpenCL C
    .language_version:
      - 2
      - 0
    .max_flat_workgroup_size: 256
    .name:           _ZN7rocprim17ROCPRIM_400000_NS6detail17trampoline_kernelINS0_14default_configENS1_38merge_sort_block_merge_config_selectorIbiEEZZNS1_27merge_sort_block_merge_implIS3_N6thrust23THRUST_200600_302600_NS6detail15normal_iteratorINS8_10device_ptrIbEEEENSA_INSB_IiEEEEjNS1_19radix_merge_compareILb0ELb1EbNS0_19identity_decomposerEEEEE10hipError_tT0_T1_T2_jT3_P12ihipStream_tbPNSt15iterator_traitsISK_E10value_typeEPNSQ_ISL_E10value_typeEPSM_NS1_7vsmem_tEENKUlT_SK_SL_SM_E_clIPbSD_PiSF_EESJ_SZ_SK_SL_SM_EUlSZ_E0_NS1_11comp_targetILNS1_3genE3ELNS1_11target_archE908ELNS1_3gpuE7ELNS1_3repE0EEENS1_38merge_mergepath_config_static_selectorELNS0_4arch9wavefront6targetE1EEEvSL_
    .private_segment_fixed_size: 0
    .sgpr_count:     6
    .sgpr_spill_count: 0
    .symbol:         _ZN7rocprim17ROCPRIM_400000_NS6detail17trampoline_kernelINS0_14default_configENS1_38merge_sort_block_merge_config_selectorIbiEEZZNS1_27merge_sort_block_merge_implIS3_N6thrust23THRUST_200600_302600_NS6detail15normal_iteratorINS8_10device_ptrIbEEEENSA_INSB_IiEEEEjNS1_19radix_merge_compareILb0ELb1EbNS0_19identity_decomposerEEEEE10hipError_tT0_T1_T2_jT3_P12ihipStream_tbPNSt15iterator_traitsISK_E10value_typeEPNSQ_ISL_E10value_typeEPSM_NS1_7vsmem_tEENKUlT_SK_SL_SM_E_clIPbSD_PiSF_EESJ_SZ_SK_SL_SM_EUlSZ_E0_NS1_11comp_targetILNS1_3genE3ELNS1_11target_archE908ELNS1_3gpuE7ELNS1_3repE0EEENS1_38merge_mergepath_config_static_selectorELNS0_4arch9wavefront6targetE1EEEvSL_.kd
    .uniform_work_group_size: 1
    .uses_dynamic_stack: false
    .vgpr_count:     0
    .vgpr_spill_count: 0
    .wavefront_size: 64
  - .agpr_count:     0
    .args:
      - .offset:         0
        .size:           64
        .value_kind:     by_value
    .group_segment_fixed_size: 0
    .kernarg_segment_align: 8
    .kernarg_segment_size: 64
    .language:       OpenCL C
    .language_version:
      - 2
      - 0
    .max_flat_workgroup_size: 128
    .name:           _ZN7rocprim17ROCPRIM_400000_NS6detail17trampoline_kernelINS0_14default_configENS1_38merge_sort_block_merge_config_selectorIbiEEZZNS1_27merge_sort_block_merge_implIS3_N6thrust23THRUST_200600_302600_NS6detail15normal_iteratorINS8_10device_ptrIbEEEENSA_INSB_IiEEEEjNS1_19radix_merge_compareILb0ELb1EbNS0_19identity_decomposerEEEEE10hipError_tT0_T1_T2_jT3_P12ihipStream_tbPNSt15iterator_traitsISK_E10value_typeEPNSQ_ISL_E10value_typeEPSM_NS1_7vsmem_tEENKUlT_SK_SL_SM_E_clIPbSD_PiSF_EESJ_SZ_SK_SL_SM_EUlSZ_E0_NS1_11comp_targetILNS1_3genE2ELNS1_11target_archE906ELNS1_3gpuE6ELNS1_3repE0EEENS1_38merge_mergepath_config_static_selectorELNS0_4arch9wavefront6targetE1EEEvSL_
    .private_segment_fixed_size: 0
    .sgpr_count:     6
    .sgpr_spill_count: 0
    .symbol:         _ZN7rocprim17ROCPRIM_400000_NS6detail17trampoline_kernelINS0_14default_configENS1_38merge_sort_block_merge_config_selectorIbiEEZZNS1_27merge_sort_block_merge_implIS3_N6thrust23THRUST_200600_302600_NS6detail15normal_iteratorINS8_10device_ptrIbEEEENSA_INSB_IiEEEEjNS1_19radix_merge_compareILb0ELb1EbNS0_19identity_decomposerEEEEE10hipError_tT0_T1_T2_jT3_P12ihipStream_tbPNSt15iterator_traitsISK_E10value_typeEPNSQ_ISL_E10value_typeEPSM_NS1_7vsmem_tEENKUlT_SK_SL_SM_E_clIPbSD_PiSF_EESJ_SZ_SK_SL_SM_EUlSZ_E0_NS1_11comp_targetILNS1_3genE2ELNS1_11target_archE906ELNS1_3gpuE6ELNS1_3repE0EEENS1_38merge_mergepath_config_static_selectorELNS0_4arch9wavefront6targetE1EEEvSL_.kd
    .uniform_work_group_size: 1
    .uses_dynamic_stack: false
    .vgpr_count:     0
    .vgpr_spill_count: 0
    .wavefront_size: 64
  - .agpr_count:     0
    .args:
      - .offset:         0
        .size:           64
        .value_kind:     by_value
    .group_segment_fixed_size: 0
    .kernarg_segment_align: 8
    .kernarg_segment_size: 64
    .language:       OpenCL C
    .language_version:
      - 2
      - 0
    .max_flat_workgroup_size: 256
    .name:           _ZN7rocprim17ROCPRIM_400000_NS6detail17trampoline_kernelINS0_14default_configENS1_38merge_sort_block_merge_config_selectorIbiEEZZNS1_27merge_sort_block_merge_implIS3_N6thrust23THRUST_200600_302600_NS6detail15normal_iteratorINS8_10device_ptrIbEEEENSA_INSB_IiEEEEjNS1_19radix_merge_compareILb0ELb1EbNS0_19identity_decomposerEEEEE10hipError_tT0_T1_T2_jT3_P12ihipStream_tbPNSt15iterator_traitsISK_E10value_typeEPNSQ_ISL_E10value_typeEPSM_NS1_7vsmem_tEENKUlT_SK_SL_SM_E_clIPbSD_PiSF_EESJ_SZ_SK_SL_SM_EUlSZ_E0_NS1_11comp_targetILNS1_3genE9ELNS1_11target_archE1100ELNS1_3gpuE3ELNS1_3repE0EEENS1_38merge_mergepath_config_static_selectorELNS0_4arch9wavefront6targetE1EEEvSL_
    .private_segment_fixed_size: 0
    .sgpr_count:     6
    .sgpr_spill_count: 0
    .symbol:         _ZN7rocprim17ROCPRIM_400000_NS6detail17trampoline_kernelINS0_14default_configENS1_38merge_sort_block_merge_config_selectorIbiEEZZNS1_27merge_sort_block_merge_implIS3_N6thrust23THRUST_200600_302600_NS6detail15normal_iteratorINS8_10device_ptrIbEEEENSA_INSB_IiEEEEjNS1_19radix_merge_compareILb0ELb1EbNS0_19identity_decomposerEEEEE10hipError_tT0_T1_T2_jT3_P12ihipStream_tbPNSt15iterator_traitsISK_E10value_typeEPNSQ_ISL_E10value_typeEPSM_NS1_7vsmem_tEENKUlT_SK_SL_SM_E_clIPbSD_PiSF_EESJ_SZ_SK_SL_SM_EUlSZ_E0_NS1_11comp_targetILNS1_3genE9ELNS1_11target_archE1100ELNS1_3gpuE3ELNS1_3repE0EEENS1_38merge_mergepath_config_static_selectorELNS0_4arch9wavefront6targetE1EEEvSL_.kd
    .uniform_work_group_size: 1
    .uses_dynamic_stack: false
    .vgpr_count:     0
    .vgpr_spill_count: 0
    .wavefront_size: 64
  - .agpr_count:     0
    .args:
      - .offset:         0
        .size:           64
        .value_kind:     by_value
    .group_segment_fixed_size: 0
    .kernarg_segment_align: 8
    .kernarg_segment_size: 64
    .language:       OpenCL C
    .language_version:
      - 2
      - 0
    .max_flat_workgroup_size: 256
    .name:           _ZN7rocprim17ROCPRIM_400000_NS6detail17trampoline_kernelINS0_14default_configENS1_38merge_sort_block_merge_config_selectorIbiEEZZNS1_27merge_sort_block_merge_implIS3_N6thrust23THRUST_200600_302600_NS6detail15normal_iteratorINS8_10device_ptrIbEEEENSA_INSB_IiEEEEjNS1_19radix_merge_compareILb0ELb1EbNS0_19identity_decomposerEEEEE10hipError_tT0_T1_T2_jT3_P12ihipStream_tbPNSt15iterator_traitsISK_E10value_typeEPNSQ_ISL_E10value_typeEPSM_NS1_7vsmem_tEENKUlT_SK_SL_SM_E_clIPbSD_PiSF_EESJ_SZ_SK_SL_SM_EUlSZ_E0_NS1_11comp_targetILNS1_3genE8ELNS1_11target_archE1030ELNS1_3gpuE2ELNS1_3repE0EEENS1_38merge_mergepath_config_static_selectorELNS0_4arch9wavefront6targetE1EEEvSL_
    .private_segment_fixed_size: 0
    .sgpr_count:     6
    .sgpr_spill_count: 0
    .symbol:         _ZN7rocprim17ROCPRIM_400000_NS6detail17trampoline_kernelINS0_14default_configENS1_38merge_sort_block_merge_config_selectorIbiEEZZNS1_27merge_sort_block_merge_implIS3_N6thrust23THRUST_200600_302600_NS6detail15normal_iteratorINS8_10device_ptrIbEEEENSA_INSB_IiEEEEjNS1_19radix_merge_compareILb0ELb1EbNS0_19identity_decomposerEEEEE10hipError_tT0_T1_T2_jT3_P12ihipStream_tbPNSt15iterator_traitsISK_E10value_typeEPNSQ_ISL_E10value_typeEPSM_NS1_7vsmem_tEENKUlT_SK_SL_SM_E_clIPbSD_PiSF_EESJ_SZ_SK_SL_SM_EUlSZ_E0_NS1_11comp_targetILNS1_3genE8ELNS1_11target_archE1030ELNS1_3gpuE2ELNS1_3repE0EEENS1_38merge_mergepath_config_static_selectorELNS0_4arch9wavefront6targetE1EEEvSL_.kd
    .uniform_work_group_size: 1
    .uses_dynamic_stack: false
    .vgpr_count:     0
    .vgpr_spill_count: 0
    .wavefront_size: 64
  - .agpr_count:     0
    .args:
      - .offset:         0
        .size:           48
        .value_kind:     by_value
    .group_segment_fixed_size: 256
    .kernarg_segment_align: 8
    .kernarg_segment_size: 48
    .language:       OpenCL C
    .language_version:
      - 2
      - 0
    .max_flat_workgroup_size: 256
    .name:           _ZN7rocprim17ROCPRIM_400000_NS6detail17trampoline_kernelINS0_14default_configENS1_38merge_sort_block_merge_config_selectorIbiEEZZNS1_27merge_sort_block_merge_implIS3_N6thrust23THRUST_200600_302600_NS6detail15normal_iteratorINS8_10device_ptrIbEEEENSA_INSB_IiEEEEjNS1_19radix_merge_compareILb0ELb1EbNS0_19identity_decomposerEEEEE10hipError_tT0_T1_T2_jT3_P12ihipStream_tbPNSt15iterator_traitsISK_E10value_typeEPNSQ_ISL_E10value_typeEPSM_NS1_7vsmem_tEENKUlT_SK_SL_SM_E_clIPbSD_PiSF_EESJ_SZ_SK_SL_SM_EUlSZ_E1_NS1_11comp_targetILNS1_3genE0ELNS1_11target_archE4294967295ELNS1_3gpuE0ELNS1_3repE0EEENS1_36merge_oddeven_config_static_selectorELNS0_4arch9wavefront6targetE1EEEvSL_
    .private_segment_fixed_size: 0
    .sgpr_count:     28
    .sgpr_spill_count: 0
    .symbol:         _ZN7rocprim17ROCPRIM_400000_NS6detail17trampoline_kernelINS0_14default_configENS1_38merge_sort_block_merge_config_selectorIbiEEZZNS1_27merge_sort_block_merge_implIS3_N6thrust23THRUST_200600_302600_NS6detail15normal_iteratorINS8_10device_ptrIbEEEENSA_INSB_IiEEEEjNS1_19radix_merge_compareILb0ELb1EbNS0_19identity_decomposerEEEEE10hipError_tT0_T1_T2_jT3_P12ihipStream_tbPNSt15iterator_traitsISK_E10value_typeEPNSQ_ISL_E10value_typeEPSM_NS1_7vsmem_tEENKUlT_SK_SL_SM_E_clIPbSD_PiSF_EESJ_SZ_SK_SL_SM_EUlSZ_E1_NS1_11comp_targetILNS1_3genE0ELNS1_11target_archE4294967295ELNS1_3gpuE0ELNS1_3repE0EEENS1_36merge_oddeven_config_static_selectorELNS0_4arch9wavefront6targetE1EEEvSL_.kd
    .uniform_work_group_size: 1
    .uses_dynamic_stack: false
    .vgpr_count:     11
    .vgpr_spill_count: 0
    .wavefront_size: 64
  - .agpr_count:     0
    .args:
      - .offset:         0
        .size:           48
        .value_kind:     by_value
    .group_segment_fixed_size: 0
    .kernarg_segment_align: 8
    .kernarg_segment_size: 48
    .language:       OpenCL C
    .language_version:
      - 2
      - 0
    .max_flat_workgroup_size: 256
    .name:           _ZN7rocprim17ROCPRIM_400000_NS6detail17trampoline_kernelINS0_14default_configENS1_38merge_sort_block_merge_config_selectorIbiEEZZNS1_27merge_sort_block_merge_implIS3_N6thrust23THRUST_200600_302600_NS6detail15normal_iteratorINS8_10device_ptrIbEEEENSA_INSB_IiEEEEjNS1_19radix_merge_compareILb0ELb1EbNS0_19identity_decomposerEEEEE10hipError_tT0_T1_T2_jT3_P12ihipStream_tbPNSt15iterator_traitsISK_E10value_typeEPNSQ_ISL_E10value_typeEPSM_NS1_7vsmem_tEENKUlT_SK_SL_SM_E_clIPbSD_PiSF_EESJ_SZ_SK_SL_SM_EUlSZ_E1_NS1_11comp_targetILNS1_3genE10ELNS1_11target_archE1201ELNS1_3gpuE5ELNS1_3repE0EEENS1_36merge_oddeven_config_static_selectorELNS0_4arch9wavefront6targetE1EEEvSL_
    .private_segment_fixed_size: 0
    .sgpr_count:     6
    .sgpr_spill_count: 0
    .symbol:         _ZN7rocprim17ROCPRIM_400000_NS6detail17trampoline_kernelINS0_14default_configENS1_38merge_sort_block_merge_config_selectorIbiEEZZNS1_27merge_sort_block_merge_implIS3_N6thrust23THRUST_200600_302600_NS6detail15normal_iteratorINS8_10device_ptrIbEEEENSA_INSB_IiEEEEjNS1_19radix_merge_compareILb0ELb1EbNS0_19identity_decomposerEEEEE10hipError_tT0_T1_T2_jT3_P12ihipStream_tbPNSt15iterator_traitsISK_E10value_typeEPNSQ_ISL_E10value_typeEPSM_NS1_7vsmem_tEENKUlT_SK_SL_SM_E_clIPbSD_PiSF_EESJ_SZ_SK_SL_SM_EUlSZ_E1_NS1_11comp_targetILNS1_3genE10ELNS1_11target_archE1201ELNS1_3gpuE5ELNS1_3repE0EEENS1_36merge_oddeven_config_static_selectorELNS0_4arch9wavefront6targetE1EEEvSL_.kd
    .uniform_work_group_size: 1
    .uses_dynamic_stack: false
    .vgpr_count:     0
    .vgpr_spill_count: 0
    .wavefront_size: 64
  - .agpr_count:     0
    .args:
      - .offset:         0
        .size:           48
        .value_kind:     by_value
    .group_segment_fixed_size: 0
    .kernarg_segment_align: 8
    .kernarg_segment_size: 48
    .language:       OpenCL C
    .language_version:
      - 2
      - 0
    .max_flat_workgroup_size: 256
    .name:           _ZN7rocprim17ROCPRIM_400000_NS6detail17trampoline_kernelINS0_14default_configENS1_38merge_sort_block_merge_config_selectorIbiEEZZNS1_27merge_sort_block_merge_implIS3_N6thrust23THRUST_200600_302600_NS6detail15normal_iteratorINS8_10device_ptrIbEEEENSA_INSB_IiEEEEjNS1_19radix_merge_compareILb0ELb1EbNS0_19identity_decomposerEEEEE10hipError_tT0_T1_T2_jT3_P12ihipStream_tbPNSt15iterator_traitsISK_E10value_typeEPNSQ_ISL_E10value_typeEPSM_NS1_7vsmem_tEENKUlT_SK_SL_SM_E_clIPbSD_PiSF_EESJ_SZ_SK_SL_SM_EUlSZ_E1_NS1_11comp_targetILNS1_3genE5ELNS1_11target_archE942ELNS1_3gpuE9ELNS1_3repE0EEENS1_36merge_oddeven_config_static_selectorELNS0_4arch9wavefront6targetE1EEEvSL_
    .private_segment_fixed_size: 0
    .sgpr_count:     6
    .sgpr_spill_count: 0
    .symbol:         _ZN7rocprim17ROCPRIM_400000_NS6detail17trampoline_kernelINS0_14default_configENS1_38merge_sort_block_merge_config_selectorIbiEEZZNS1_27merge_sort_block_merge_implIS3_N6thrust23THRUST_200600_302600_NS6detail15normal_iteratorINS8_10device_ptrIbEEEENSA_INSB_IiEEEEjNS1_19radix_merge_compareILb0ELb1EbNS0_19identity_decomposerEEEEE10hipError_tT0_T1_T2_jT3_P12ihipStream_tbPNSt15iterator_traitsISK_E10value_typeEPNSQ_ISL_E10value_typeEPSM_NS1_7vsmem_tEENKUlT_SK_SL_SM_E_clIPbSD_PiSF_EESJ_SZ_SK_SL_SM_EUlSZ_E1_NS1_11comp_targetILNS1_3genE5ELNS1_11target_archE942ELNS1_3gpuE9ELNS1_3repE0EEENS1_36merge_oddeven_config_static_selectorELNS0_4arch9wavefront6targetE1EEEvSL_.kd
    .uniform_work_group_size: 1
    .uses_dynamic_stack: false
    .vgpr_count:     0
    .vgpr_spill_count: 0
    .wavefront_size: 64
  - .agpr_count:     0
    .args:
      - .offset:         0
        .size:           48
        .value_kind:     by_value
    .group_segment_fixed_size: 0
    .kernarg_segment_align: 8
    .kernarg_segment_size: 48
    .language:       OpenCL C
    .language_version:
      - 2
      - 0
    .max_flat_workgroup_size: 256
    .name:           _ZN7rocprim17ROCPRIM_400000_NS6detail17trampoline_kernelINS0_14default_configENS1_38merge_sort_block_merge_config_selectorIbiEEZZNS1_27merge_sort_block_merge_implIS3_N6thrust23THRUST_200600_302600_NS6detail15normal_iteratorINS8_10device_ptrIbEEEENSA_INSB_IiEEEEjNS1_19radix_merge_compareILb0ELb1EbNS0_19identity_decomposerEEEEE10hipError_tT0_T1_T2_jT3_P12ihipStream_tbPNSt15iterator_traitsISK_E10value_typeEPNSQ_ISL_E10value_typeEPSM_NS1_7vsmem_tEENKUlT_SK_SL_SM_E_clIPbSD_PiSF_EESJ_SZ_SK_SL_SM_EUlSZ_E1_NS1_11comp_targetILNS1_3genE4ELNS1_11target_archE910ELNS1_3gpuE8ELNS1_3repE0EEENS1_36merge_oddeven_config_static_selectorELNS0_4arch9wavefront6targetE1EEEvSL_
    .private_segment_fixed_size: 0
    .sgpr_count:     6
    .sgpr_spill_count: 0
    .symbol:         _ZN7rocprim17ROCPRIM_400000_NS6detail17trampoline_kernelINS0_14default_configENS1_38merge_sort_block_merge_config_selectorIbiEEZZNS1_27merge_sort_block_merge_implIS3_N6thrust23THRUST_200600_302600_NS6detail15normal_iteratorINS8_10device_ptrIbEEEENSA_INSB_IiEEEEjNS1_19radix_merge_compareILb0ELb1EbNS0_19identity_decomposerEEEEE10hipError_tT0_T1_T2_jT3_P12ihipStream_tbPNSt15iterator_traitsISK_E10value_typeEPNSQ_ISL_E10value_typeEPSM_NS1_7vsmem_tEENKUlT_SK_SL_SM_E_clIPbSD_PiSF_EESJ_SZ_SK_SL_SM_EUlSZ_E1_NS1_11comp_targetILNS1_3genE4ELNS1_11target_archE910ELNS1_3gpuE8ELNS1_3repE0EEENS1_36merge_oddeven_config_static_selectorELNS0_4arch9wavefront6targetE1EEEvSL_.kd
    .uniform_work_group_size: 1
    .uses_dynamic_stack: false
    .vgpr_count:     0
    .vgpr_spill_count: 0
    .wavefront_size: 64
  - .agpr_count:     0
    .args:
      - .offset:         0
        .size:           48
        .value_kind:     by_value
    .group_segment_fixed_size: 0
    .kernarg_segment_align: 8
    .kernarg_segment_size: 48
    .language:       OpenCL C
    .language_version:
      - 2
      - 0
    .max_flat_workgroup_size: 256
    .name:           _ZN7rocprim17ROCPRIM_400000_NS6detail17trampoline_kernelINS0_14default_configENS1_38merge_sort_block_merge_config_selectorIbiEEZZNS1_27merge_sort_block_merge_implIS3_N6thrust23THRUST_200600_302600_NS6detail15normal_iteratorINS8_10device_ptrIbEEEENSA_INSB_IiEEEEjNS1_19radix_merge_compareILb0ELb1EbNS0_19identity_decomposerEEEEE10hipError_tT0_T1_T2_jT3_P12ihipStream_tbPNSt15iterator_traitsISK_E10value_typeEPNSQ_ISL_E10value_typeEPSM_NS1_7vsmem_tEENKUlT_SK_SL_SM_E_clIPbSD_PiSF_EESJ_SZ_SK_SL_SM_EUlSZ_E1_NS1_11comp_targetILNS1_3genE3ELNS1_11target_archE908ELNS1_3gpuE7ELNS1_3repE0EEENS1_36merge_oddeven_config_static_selectorELNS0_4arch9wavefront6targetE1EEEvSL_
    .private_segment_fixed_size: 0
    .sgpr_count:     6
    .sgpr_spill_count: 0
    .symbol:         _ZN7rocprim17ROCPRIM_400000_NS6detail17trampoline_kernelINS0_14default_configENS1_38merge_sort_block_merge_config_selectorIbiEEZZNS1_27merge_sort_block_merge_implIS3_N6thrust23THRUST_200600_302600_NS6detail15normal_iteratorINS8_10device_ptrIbEEEENSA_INSB_IiEEEEjNS1_19radix_merge_compareILb0ELb1EbNS0_19identity_decomposerEEEEE10hipError_tT0_T1_T2_jT3_P12ihipStream_tbPNSt15iterator_traitsISK_E10value_typeEPNSQ_ISL_E10value_typeEPSM_NS1_7vsmem_tEENKUlT_SK_SL_SM_E_clIPbSD_PiSF_EESJ_SZ_SK_SL_SM_EUlSZ_E1_NS1_11comp_targetILNS1_3genE3ELNS1_11target_archE908ELNS1_3gpuE7ELNS1_3repE0EEENS1_36merge_oddeven_config_static_selectorELNS0_4arch9wavefront6targetE1EEEvSL_.kd
    .uniform_work_group_size: 1
    .uses_dynamic_stack: false
    .vgpr_count:     0
    .vgpr_spill_count: 0
    .wavefront_size: 64
  - .agpr_count:     0
    .args:
      - .offset:         0
        .size:           48
        .value_kind:     by_value
    .group_segment_fixed_size: 0
    .kernarg_segment_align: 8
    .kernarg_segment_size: 48
    .language:       OpenCL C
    .language_version:
      - 2
      - 0
    .max_flat_workgroup_size: 256
    .name:           _ZN7rocprim17ROCPRIM_400000_NS6detail17trampoline_kernelINS0_14default_configENS1_38merge_sort_block_merge_config_selectorIbiEEZZNS1_27merge_sort_block_merge_implIS3_N6thrust23THRUST_200600_302600_NS6detail15normal_iteratorINS8_10device_ptrIbEEEENSA_INSB_IiEEEEjNS1_19radix_merge_compareILb0ELb1EbNS0_19identity_decomposerEEEEE10hipError_tT0_T1_T2_jT3_P12ihipStream_tbPNSt15iterator_traitsISK_E10value_typeEPNSQ_ISL_E10value_typeEPSM_NS1_7vsmem_tEENKUlT_SK_SL_SM_E_clIPbSD_PiSF_EESJ_SZ_SK_SL_SM_EUlSZ_E1_NS1_11comp_targetILNS1_3genE2ELNS1_11target_archE906ELNS1_3gpuE6ELNS1_3repE0EEENS1_36merge_oddeven_config_static_selectorELNS0_4arch9wavefront6targetE1EEEvSL_
    .private_segment_fixed_size: 0
    .sgpr_count:     6
    .sgpr_spill_count: 0
    .symbol:         _ZN7rocprim17ROCPRIM_400000_NS6detail17trampoline_kernelINS0_14default_configENS1_38merge_sort_block_merge_config_selectorIbiEEZZNS1_27merge_sort_block_merge_implIS3_N6thrust23THRUST_200600_302600_NS6detail15normal_iteratorINS8_10device_ptrIbEEEENSA_INSB_IiEEEEjNS1_19radix_merge_compareILb0ELb1EbNS0_19identity_decomposerEEEEE10hipError_tT0_T1_T2_jT3_P12ihipStream_tbPNSt15iterator_traitsISK_E10value_typeEPNSQ_ISL_E10value_typeEPSM_NS1_7vsmem_tEENKUlT_SK_SL_SM_E_clIPbSD_PiSF_EESJ_SZ_SK_SL_SM_EUlSZ_E1_NS1_11comp_targetILNS1_3genE2ELNS1_11target_archE906ELNS1_3gpuE6ELNS1_3repE0EEENS1_36merge_oddeven_config_static_selectorELNS0_4arch9wavefront6targetE1EEEvSL_.kd
    .uniform_work_group_size: 1
    .uses_dynamic_stack: false
    .vgpr_count:     0
    .vgpr_spill_count: 0
    .wavefront_size: 64
  - .agpr_count:     0
    .args:
      - .offset:         0
        .size:           48
        .value_kind:     by_value
    .group_segment_fixed_size: 0
    .kernarg_segment_align: 8
    .kernarg_segment_size: 48
    .language:       OpenCL C
    .language_version:
      - 2
      - 0
    .max_flat_workgroup_size: 256
    .name:           _ZN7rocprim17ROCPRIM_400000_NS6detail17trampoline_kernelINS0_14default_configENS1_38merge_sort_block_merge_config_selectorIbiEEZZNS1_27merge_sort_block_merge_implIS3_N6thrust23THRUST_200600_302600_NS6detail15normal_iteratorINS8_10device_ptrIbEEEENSA_INSB_IiEEEEjNS1_19radix_merge_compareILb0ELb1EbNS0_19identity_decomposerEEEEE10hipError_tT0_T1_T2_jT3_P12ihipStream_tbPNSt15iterator_traitsISK_E10value_typeEPNSQ_ISL_E10value_typeEPSM_NS1_7vsmem_tEENKUlT_SK_SL_SM_E_clIPbSD_PiSF_EESJ_SZ_SK_SL_SM_EUlSZ_E1_NS1_11comp_targetILNS1_3genE9ELNS1_11target_archE1100ELNS1_3gpuE3ELNS1_3repE0EEENS1_36merge_oddeven_config_static_selectorELNS0_4arch9wavefront6targetE1EEEvSL_
    .private_segment_fixed_size: 0
    .sgpr_count:     6
    .sgpr_spill_count: 0
    .symbol:         _ZN7rocprim17ROCPRIM_400000_NS6detail17trampoline_kernelINS0_14default_configENS1_38merge_sort_block_merge_config_selectorIbiEEZZNS1_27merge_sort_block_merge_implIS3_N6thrust23THRUST_200600_302600_NS6detail15normal_iteratorINS8_10device_ptrIbEEEENSA_INSB_IiEEEEjNS1_19radix_merge_compareILb0ELb1EbNS0_19identity_decomposerEEEEE10hipError_tT0_T1_T2_jT3_P12ihipStream_tbPNSt15iterator_traitsISK_E10value_typeEPNSQ_ISL_E10value_typeEPSM_NS1_7vsmem_tEENKUlT_SK_SL_SM_E_clIPbSD_PiSF_EESJ_SZ_SK_SL_SM_EUlSZ_E1_NS1_11comp_targetILNS1_3genE9ELNS1_11target_archE1100ELNS1_3gpuE3ELNS1_3repE0EEENS1_36merge_oddeven_config_static_selectorELNS0_4arch9wavefront6targetE1EEEvSL_.kd
    .uniform_work_group_size: 1
    .uses_dynamic_stack: false
    .vgpr_count:     0
    .vgpr_spill_count: 0
    .wavefront_size: 64
  - .agpr_count:     0
    .args:
      - .offset:         0
        .size:           48
        .value_kind:     by_value
    .group_segment_fixed_size: 0
    .kernarg_segment_align: 8
    .kernarg_segment_size: 48
    .language:       OpenCL C
    .language_version:
      - 2
      - 0
    .max_flat_workgroup_size: 256
    .name:           _ZN7rocprim17ROCPRIM_400000_NS6detail17trampoline_kernelINS0_14default_configENS1_38merge_sort_block_merge_config_selectorIbiEEZZNS1_27merge_sort_block_merge_implIS3_N6thrust23THRUST_200600_302600_NS6detail15normal_iteratorINS8_10device_ptrIbEEEENSA_INSB_IiEEEEjNS1_19radix_merge_compareILb0ELb1EbNS0_19identity_decomposerEEEEE10hipError_tT0_T1_T2_jT3_P12ihipStream_tbPNSt15iterator_traitsISK_E10value_typeEPNSQ_ISL_E10value_typeEPSM_NS1_7vsmem_tEENKUlT_SK_SL_SM_E_clIPbSD_PiSF_EESJ_SZ_SK_SL_SM_EUlSZ_E1_NS1_11comp_targetILNS1_3genE8ELNS1_11target_archE1030ELNS1_3gpuE2ELNS1_3repE0EEENS1_36merge_oddeven_config_static_selectorELNS0_4arch9wavefront6targetE1EEEvSL_
    .private_segment_fixed_size: 0
    .sgpr_count:     6
    .sgpr_spill_count: 0
    .symbol:         _ZN7rocprim17ROCPRIM_400000_NS6detail17trampoline_kernelINS0_14default_configENS1_38merge_sort_block_merge_config_selectorIbiEEZZNS1_27merge_sort_block_merge_implIS3_N6thrust23THRUST_200600_302600_NS6detail15normal_iteratorINS8_10device_ptrIbEEEENSA_INSB_IiEEEEjNS1_19radix_merge_compareILb0ELb1EbNS0_19identity_decomposerEEEEE10hipError_tT0_T1_T2_jT3_P12ihipStream_tbPNSt15iterator_traitsISK_E10value_typeEPNSQ_ISL_E10value_typeEPSM_NS1_7vsmem_tEENKUlT_SK_SL_SM_E_clIPbSD_PiSF_EESJ_SZ_SK_SL_SM_EUlSZ_E1_NS1_11comp_targetILNS1_3genE8ELNS1_11target_archE1030ELNS1_3gpuE2ELNS1_3repE0EEENS1_36merge_oddeven_config_static_selectorELNS0_4arch9wavefront6targetE1EEEvSL_.kd
    .uniform_work_group_size: 1
    .uses_dynamic_stack: false
    .vgpr_count:     0
    .vgpr_spill_count: 0
    .wavefront_size: 64
  - .agpr_count:     0
    .args:
      - .offset:         0
        .size:           40
        .value_kind:     by_value
    .group_segment_fixed_size: 128
    .kernarg_segment_align: 8
    .kernarg_segment_size: 40
    .language:       OpenCL C
    .language_version:
      - 2
      - 0
    .max_flat_workgroup_size: 128
    .name:           _ZN7rocprim17ROCPRIM_400000_NS6detail17trampoline_kernelINS0_14default_configENS1_38merge_sort_block_merge_config_selectorIbiEEZZNS1_27merge_sort_block_merge_implIS3_N6thrust23THRUST_200600_302600_NS6detail15normal_iteratorINS8_10device_ptrIbEEEENSA_INSB_IiEEEEjNS1_19radix_merge_compareILb0ELb1EbNS0_19identity_decomposerEEEEE10hipError_tT0_T1_T2_jT3_P12ihipStream_tbPNSt15iterator_traitsISK_E10value_typeEPNSQ_ISL_E10value_typeEPSM_NS1_7vsmem_tEENKUlT_SK_SL_SM_E_clISD_PbSF_PiEESJ_SZ_SK_SL_SM_EUlSZ_E_NS1_11comp_targetILNS1_3genE0ELNS1_11target_archE4294967295ELNS1_3gpuE0ELNS1_3repE0EEENS1_48merge_mergepath_partition_config_static_selectorELNS0_4arch9wavefront6targetE1EEEvSL_
    .private_segment_fixed_size: 0
    .sgpr_count:     15
    .sgpr_spill_count: 0
    .symbol:         _ZN7rocprim17ROCPRIM_400000_NS6detail17trampoline_kernelINS0_14default_configENS1_38merge_sort_block_merge_config_selectorIbiEEZZNS1_27merge_sort_block_merge_implIS3_N6thrust23THRUST_200600_302600_NS6detail15normal_iteratorINS8_10device_ptrIbEEEENSA_INSB_IiEEEEjNS1_19radix_merge_compareILb0ELb1EbNS0_19identity_decomposerEEEEE10hipError_tT0_T1_T2_jT3_P12ihipStream_tbPNSt15iterator_traitsISK_E10value_typeEPNSQ_ISL_E10value_typeEPSM_NS1_7vsmem_tEENKUlT_SK_SL_SM_E_clISD_PbSF_PiEESJ_SZ_SK_SL_SM_EUlSZ_E_NS1_11comp_targetILNS1_3genE0ELNS1_11target_archE4294967295ELNS1_3gpuE0ELNS1_3repE0EEENS1_48merge_mergepath_partition_config_static_selectorELNS0_4arch9wavefront6targetE1EEEvSL_.kd
    .uniform_work_group_size: 1
    .uses_dynamic_stack: false
    .vgpr_count:     18
    .vgpr_spill_count: 0
    .wavefront_size: 64
  - .agpr_count:     0
    .args:
      - .offset:         0
        .size:           40
        .value_kind:     by_value
    .group_segment_fixed_size: 0
    .kernarg_segment_align: 8
    .kernarg_segment_size: 40
    .language:       OpenCL C
    .language_version:
      - 2
      - 0
    .max_flat_workgroup_size: 128
    .name:           _ZN7rocprim17ROCPRIM_400000_NS6detail17trampoline_kernelINS0_14default_configENS1_38merge_sort_block_merge_config_selectorIbiEEZZNS1_27merge_sort_block_merge_implIS3_N6thrust23THRUST_200600_302600_NS6detail15normal_iteratorINS8_10device_ptrIbEEEENSA_INSB_IiEEEEjNS1_19radix_merge_compareILb0ELb1EbNS0_19identity_decomposerEEEEE10hipError_tT0_T1_T2_jT3_P12ihipStream_tbPNSt15iterator_traitsISK_E10value_typeEPNSQ_ISL_E10value_typeEPSM_NS1_7vsmem_tEENKUlT_SK_SL_SM_E_clISD_PbSF_PiEESJ_SZ_SK_SL_SM_EUlSZ_E_NS1_11comp_targetILNS1_3genE10ELNS1_11target_archE1201ELNS1_3gpuE5ELNS1_3repE0EEENS1_48merge_mergepath_partition_config_static_selectorELNS0_4arch9wavefront6targetE1EEEvSL_
    .private_segment_fixed_size: 0
    .sgpr_count:     6
    .sgpr_spill_count: 0
    .symbol:         _ZN7rocprim17ROCPRIM_400000_NS6detail17trampoline_kernelINS0_14default_configENS1_38merge_sort_block_merge_config_selectorIbiEEZZNS1_27merge_sort_block_merge_implIS3_N6thrust23THRUST_200600_302600_NS6detail15normal_iteratorINS8_10device_ptrIbEEEENSA_INSB_IiEEEEjNS1_19radix_merge_compareILb0ELb1EbNS0_19identity_decomposerEEEEE10hipError_tT0_T1_T2_jT3_P12ihipStream_tbPNSt15iterator_traitsISK_E10value_typeEPNSQ_ISL_E10value_typeEPSM_NS1_7vsmem_tEENKUlT_SK_SL_SM_E_clISD_PbSF_PiEESJ_SZ_SK_SL_SM_EUlSZ_E_NS1_11comp_targetILNS1_3genE10ELNS1_11target_archE1201ELNS1_3gpuE5ELNS1_3repE0EEENS1_48merge_mergepath_partition_config_static_selectorELNS0_4arch9wavefront6targetE1EEEvSL_.kd
    .uniform_work_group_size: 1
    .uses_dynamic_stack: false
    .vgpr_count:     0
    .vgpr_spill_count: 0
    .wavefront_size: 64
  - .agpr_count:     0
    .args:
      - .offset:         0
        .size:           40
        .value_kind:     by_value
    .group_segment_fixed_size: 0
    .kernarg_segment_align: 8
    .kernarg_segment_size: 40
    .language:       OpenCL C
    .language_version:
      - 2
      - 0
    .max_flat_workgroup_size: 128
    .name:           _ZN7rocprim17ROCPRIM_400000_NS6detail17trampoline_kernelINS0_14default_configENS1_38merge_sort_block_merge_config_selectorIbiEEZZNS1_27merge_sort_block_merge_implIS3_N6thrust23THRUST_200600_302600_NS6detail15normal_iteratorINS8_10device_ptrIbEEEENSA_INSB_IiEEEEjNS1_19radix_merge_compareILb0ELb1EbNS0_19identity_decomposerEEEEE10hipError_tT0_T1_T2_jT3_P12ihipStream_tbPNSt15iterator_traitsISK_E10value_typeEPNSQ_ISL_E10value_typeEPSM_NS1_7vsmem_tEENKUlT_SK_SL_SM_E_clISD_PbSF_PiEESJ_SZ_SK_SL_SM_EUlSZ_E_NS1_11comp_targetILNS1_3genE5ELNS1_11target_archE942ELNS1_3gpuE9ELNS1_3repE0EEENS1_48merge_mergepath_partition_config_static_selectorELNS0_4arch9wavefront6targetE1EEEvSL_
    .private_segment_fixed_size: 0
    .sgpr_count:     6
    .sgpr_spill_count: 0
    .symbol:         _ZN7rocprim17ROCPRIM_400000_NS6detail17trampoline_kernelINS0_14default_configENS1_38merge_sort_block_merge_config_selectorIbiEEZZNS1_27merge_sort_block_merge_implIS3_N6thrust23THRUST_200600_302600_NS6detail15normal_iteratorINS8_10device_ptrIbEEEENSA_INSB_IiEEEEjNS1_19radix_merge_compareILb0ELb1EbNS0_19identity_decomposerEEEEE10hipError_tT0_T1_T2_jT3_P12ihipStream_tbPNSt15iterator_traitsISK_E10value_typeEPNSQ_ISL_E10value_typeEPSM_NS1_7vsmem_tEENKUlT_SK_SL_SM_E_clISD_PbSF_PiEESJ_SZ_SK_SL_SM_EUlSZ_E_NS1_11comp_targetILNS1_3genE5ELNS1_11target_archE942ELNS1_3gpuE9ELNS1_3repE0EEENS1_48merge_mergepath_partition_config_static_selectorELNS0_4arch9wavefront6targetE1EEEvSL_.kd
    .uniform_work_group_size: 1
    .uses_dynamic_stack: false
    .vgpr_count:     0
    .vgpr_spill_count: 0
    .wavefront_size: 64
  - .agpr_count:     0
    .args:
      - .offset:         0
        .size:           40
        .value_kind:     by_value
    .group_segment_fixed_size: 0
    .kernarg_segment_align: 8
    .kernarg_segment_size: 40
    .language:       OpenCL C
    .language_version:
      - 2
      - 0
    .max_flat_workgroup_size: 128
    .name:           _ZN7rocprim17ROCPRIM_400000_NS6detail17trampoline_kernelINS0_14default_configENS1_38merge_sort_block_merge_config_selectorIbiEEZZNS1_27merge_sort_block_merge_implIS3_N6thrust23THRUST_200600_302600_NS6detail15normal_iteratorINS8_10device_ptrIbEEEENSA_INSB_IiEEEEjNS1_19radix_merge_compareILb0ELb1EbNS0_19identity_decomposerEEEEE10hipError_tT0_T1_T2_jT3_P12ihipStream_tbPNSt15iterator_traitsISK_E10value_typeEPNSQ_ISL_E10value_typeEPSM_NS1_7vsmem_tEENKUlT_SK_SL_SM_E_clISD_PbSF_PiEESJ_SZ_SK_SL_SM_EUlSZ_E_NS1_11comp_targetILNS1_3genE4ELNS1_11target_archE910ELNS1_3gpuE8ELNS1_3repE0EEENS1_48merge_mergepath_partition_config_static_selectorELNS0_4arch9wavefront6targetE1EEEvSL_
    .private_segment_fixed_size: 0
    .sgpr_count:     6
    .sgpr_spill_count: 0
    .symbol:         _ZN7rocprim17ROCPRIM_400000_NS6detail17trampoline_kernelINS0_14default_configENS1_38merge_sort_block_merge_config_selectorIbiEEZZNS1_27merge_sort_block_merge_implIS3_N6thrust23THRUST_200600_302600_NS6detail15normal_iteratorINS8_10device_ptrIbEEEENSA_INSB_IiEEEEjNS1_19radix_merge_compareILb0ELb1EbNS0_19identity_decomposerEEEEE10hipError_tT0_T1_T2_jT3_P12ihipStream_tbPNSt15iterator_traitsISK_E10value_typeEPNSQ_ISL_E10value_typeEPSM_NS1_7vsmem_tEENKUlT_SK_SL_SM_E_clISD_PbSF_PiEESJ_SZ_SK_SL_SM_EUlSZ_E_NS1_11comp_targetILNS1_3genE4ELNS1_11target_archE910ELNS1_3gpuE8ELNS1_3repE0EEENS1_48merge_mergepath_partition_config_static_selectorELNS0_4arch9wavefront6targetE1EEEvSL_.kd
    .uniform_work_group_size: 1
    .uses_dynamic_stack: false
    .vgpr_count:     0
    .vgpr_spill_count: 0
    .wavefront_size: 64
  - .agpr_count:     0
    .args:
      - .offset:         0
        .size:           40
        .value_kind:     by_value
    .group_segment_fixed_size: 0
    .kernarg_segment_align: 8
    .kernarg_segment_size: 40
    .language:       OpenCL C
    .language_version:
      - 2
      - 0
    .max_flat_workgroup_size: 128
    .name:           _ZN7rocprim17ROCPRIM_400000_NS6detail17trampoline_kernelINS0_14default_configENS1_38merge_sort_block_merge_config_selectorIbiEEZZNS1_27merge_sort_block_merge_implIS3_N6thrust23THRUST_200600_302600_NS6detail15normal_iteratorINS8_10device_ptrIbEEEENSA_INSB_IiEEEEjNS1_19radix_merge_compareILb0ELb1EbNS0_19identity_decomposerEEEEE10hipError_tT0_T1_T2_jT3_P12ihipStream_tbPNSt15iterator_traitsISK_E10value_typeEPNSQ_ISL_E10value_typeEPSM_NS1_7vsmem_tEENKUlT_SK_SL_SM_E_clISD_PbSF_PiEESJ_SZ_SK_SL_SM_EUlSZ_E_NS1_11comp_targetILNS1_3genE3ELNS1_11target_archE908ELNS1_3gpuE7ELNS1_3repE0EEENS1_48merge_mergepath_partition_config_static_selectorELNS0_4arch9wavefront6targetE1EEEvSL_
    .private_segment_fixed_size: 0
    .sgpr_count:     6
    .sgpr_spill_count: 0
    .symbol:         _ZN7rocprim17ROCPRIM_400000_NS6detail17trampoline_kernelINS0_14default_configENS1_38merge_sort_block_merge_config_selectorIbiEEZZNS1_27merge_sort_block_merge_implIS3_N6thrust23THRUST_200600_302600_NS6detail15normal_iteratorINS8_10device_ptrIbEEEENSA_INSB_IiEEEEjNS1_19radix_merge_compareILb0ELb1EbNS0_19identity_decomposerEEEEE10hipError_tT0_T1_T2_jT3_P12ihipStream_tbPNSt15iterator_traitsISK_E10value_typeEPNSQ_ISL_E10value_typeEPSM_NS1_7vsmem_tEENKUlT_SK_SL_SM_E_clISD_PbSF_PiEESJ_SZ_SK_SL_SM_EUlSZ_E_NS1_11comp_targetILNS1_3genE3ELNS1_11target_archE908ELNS1_3gpuE7ELNS1_3repE0EEENS1_48merge_mergepath_partition_config_static_selectorELNS0_4arch9wavefront6targetE1EEEvSL_.kd
    .uniform_work_group_size: 1
    .uses_dynamic_stack: false
    .vgpr_count:     0
    .vgpr_spill_count: 0
    .wavefront_size: 64
  - .agpr_count:     0
    .args:
      - .offset:         0
        .size:           40
        .value_kind:     by_value
    .group_segment_fixed_size: 0
    .kernarg_segment_align: 8
    .kernarg_segment_size: 40
    .language:       OpenCL C
    .language_version:
      - 2
      - 0
    .max_flat_workgroup_size: 128
    .name:           _ZN7rocprim17ROCPRIM_400000_NS6detail17trampoline_kernelINS0_14default_configENS1_38merge_sort_block_merge_config_selectorIbiEEZZNS1_27merge_sort_block_merge_implIS3_N6thrust23THRUST_200600_302600_NS6detail15normal_iteratorINS8_10device_ptrIbEEEENSA_INSB_IiEEEEjNS1_19radix_merge_compareILb0ELb1EbNS0_19identity_decomposerEEEEE10hipError_tT0_T1_T2_jT3_P12ihipStream_tbPNSt15iterator_traitsISK_E10value_typeEPNSQ_ISL_E10value_typeEPSM_NS1_7vsmem_tEENKUlT_SK_SL_SM_E_clISD_PbSF_PiEESJ_SZ_SK_SL_SM_EUlSZ_E_NS1_11comp_targetILNS1_3genE2ELNS1_11target_archE906ELNS1_3gpuE6ELNS1_3repE0EEENS1_48merge_mergepath_partition_config_static_selectorELNS0_4arch9wavefront6targetE1EEEvSL_
    .private_segment_fixed_size: 0
    .sgpr_count:     6
    .sgpr_spill_count: 0
    .symbol:         _ZN7rocprim17ROCPRIM_400000_NS6detail17trampoline_kernelINS0_14default_configENS1_38merge_sort_block_merge_config_selectorIbiEEZZNS1_27merge_sort_block_merge_implIS3_N6thrust23THRUST_200600_302600_NS6detail15normal_iteratorINS8_10device_ptrIbEEEENSA_INSB_IiEEEEjNS1_19radix_merge_compareILb0ELb1EbNS0_19identity_decomposerEEEEE10hipError_tT0_T1_T2_jT3_P12ihipStream_tbPNSt15iterator_traitsISK_E10value_typeEPNSQ_ISL_E10value_typeEPSM_NS1_7vsmem_tEENKUlT_SK_SL_SM_E_clISD_PbSF_PiEESJ_SZ_SK_SL_SM_EUlSZ_E_NS1_11comp_targetILNS1_3genE2ELNS1_11target_archE906ELNS1_3gpuE6ELNS1_3repE0EEENS1_48merge_mergepath_partition_config_static_selectorELNS0_4arch9wavefront6targetE1EEEvSL_.kd
    .uniform_work_group_size: 1
    .uses_dynamic_stack: false
    .vgpr_count:     0
    .vgpr_spill_count: 0
    .wavefront_size: 64
  - .agpr_count:     0
    .args:
      - .offset:         0
        .size:           40
        .value_kind:     by_value
    .group_segment_fixed_size: 0
    .kernarg_segment_align: 8
    .kernarg_segment_size: 40
    .language:       OpenCL C
    .language_version:
      - 2
      - 0
    .max_flat_workgroup_size: 128
    .name:           _ZN7rocprim17ROCPRIM_400000_NS6detail17trampoline_kernelINS0_14default_configENS1_38merge_sort_block_merge_config_selectorIbiEEZZNS1_27merge_sort_block_merge_implIS3_N6thrust23THRUST_200600_302600_NS6detail15normal_iteratorINS8_10device_ptrIbEEEENSA_INSB_IiEEEEjNS1_19radix_merge_compareILb0ELb1EbNS0_19identity_decomposerEEEEE10hipError_tT0_T1_T2_jT3_P12ihipStream_tbPNSt15iterator_traitsISK_E10value_typeEPNSQ_ISL_E10value_typeEPSM_NS1_7vsmem_tEENKUlT_SK_SL_SM_E_clISD_PbSF_PiEESJ_SZ_SK_SL_SM_EUlSZ_E_NS1_11comp_targetILNS1_3genE9ELNS1_11target_archE1100ELNS1_3gpuE3ELNS1_3repE0EEENS1_48merge_mergepath_partition_config_static_selectorELNS0_4arch9wavefront6targetE1EEEvSL_
    .private_segment_fixed_size: 0
    .sgpr_count:     6
    .sgpr_spill_count: 0
    .symbol:         _ZN7rocprim17ROCPRIM_400000_NS6detail17trampoline_kernelINS0_14default_configENS1_38merge_sort_block_merge_config_selectorIbiEEZZNS1_27merge_sort_block_merge_implIS3_N6thrust23THRUST_200600_302600_NS6detail15normal_iteratorINS8_10device_ptrIbEEEENSA_INSB_IiEEEEjNS1_19radix_merge_compareILb0ELb1EbNS0_19identity_decomposerEEEEE10hipError_tT0_T1_T2_jT3_P12ihipStream_tbPNSt15iterator_traitsISK_E10value_typeEPNSQ_ISL_E10value_typeEPSM_NS1_7vsmem_tEENKUlT_SK_SL_SM_E_clISD_PbSF_PiEESJ_SZ_SK_SL_SM_EUlSZ_E_NS1_11comp_targetILNS1_3genE9ELNS1_11target_archE1100ELNS1_3gpuE3ELNS1_3repE0EEENS1_48merge_mergepath_partition_config_static_selectorELNS0_4arch9wavefront6targetE1EEEvSL_.kd
    .uniform_work_group_size: 1
    .uses_dynamic_stack: false
    .vgpr_count:     0
    .vgpr_spill_count: 0
    .wavefront_size: 64
  - .agpr_count:     0
    .args:
      - .offset:         0
        .size:           40
        .value_kind:     by_value
    .group_segment_fixed_size: 0
    .kernarg_segment_align: 8
    .kernarg_segment_size: 40
    .language:       OpenCL C
    .language_version:
      - 2
      - 0
    .max_flat_workgroup_size: 128
    .name:           _ZN7rocprim17ROCPRIM_400000_NS6detail17trampoline_kernelINS0_14default_configENS1_38merge_sort_block_merge_config_selectorIbiEEZZNS1_27merge_sort_block_merge_implIS3_N6thrust23THRUST_200600_302600_NS6detail15normal_iteratorINS8_10device_ptrIbEEEENSA_INSB_IiEEEEjNS1_19radix_merge_compareILb0ELb1EbNS0_19identity_decomposerEEEEE10hipError_tT0_T1_T2_jT3_P12ihipStream_tbPNSt15iterator_traitsISK_E10value_typeEPNSQ_ISL_E10value_typeEPSM_NS1_7vsmem_tEENKUlT_SK_SL_SM_E_clISD_PbSF_PiEESJ_SZ_SK_SL_SM_EUlSZ_E_NS1_11comp_targetILNS1_3genE8ELNS1_11target_archE1030ELNS1_3gpuE2ELNS1_3repE0EEENS1_48merge_mergepath_partition_config_static_selectorELNS0_4arch9wavefront6targetE1EEEvSL_
    .private_segment_fixed_size: 0
    .sgpr_count:     6
    .sgpr_spill_count: 0
    .symbol:         _ZN7rocprim17ROCPRIM_400000_NS6detail17trampoline_kernelINS0_14default_configENS1_38merge_sort_block_merge_config_selectorIbiEEZZNS1_27merge_sort_block_merge_implIS3_N6thrust23THRUST_200600_302600_NS6detail15normal_iteratorINS8_10device_ptrIbEEEENSA_INSB_IiEEEEjNS1_19radix_merge_compareILb0ELb1EbNS0_19identity_decomposerEEEEE10hipError_tT0_T1_T2_jT3_P12ihipStream_tbPNSt15iterator_traitsISK_E10value_typeEPNSQ_ISL_E10value_typeEPSM_NS1_7vsmem_tEENKUlT_SK_SL_SM_E_clISD_PbSF_PiEESJ_SZ_SK_SL_SM_EUlSZ_E_NS1_11comp_targetILNS1_3genE8ELNS1_11target_archE1030ELNS1_3gpuE2ELNS1_3repE0EEENS1_48merge_mergepath_partition_config_static_selectorELNS0_4arch9wavefront6targetE1EEEvSL_.kd
    .uniform_work_group_size: 1
    .uses_dynamic_stack: false
    .vgpr_count:     0
    .vgpr_spill_count: 0
    .wavefront_size: 64
  - .agpr_count:     0
    .args:
      - .offset:         0
        .size:           64
        .value_kind:     by_value
      - .offset:         64
        .size:           4
        .value_kind:     hidden_block_count_x
      - .offset:         68
        .size:           4
        .value_kind:     hidden_block_count_y
      - .offset:         72
        .size:           4
        .value_kind:     hidden_block_count_z
      - .offset:         76
        .size:           2
        .value_kind:     hidden_group_size_x
      - .offset:         78
        .size:           2
        .value_kind:     hidden_group_size_y
      - .offset:         80
        .size:           2
        .value_kind:     hidden_group_size_z
      - .offset:         82
        .size:           2
        .value_kind:     hidden_remainder_x
      - .offset:         84
        .size:           2
        .value_kind:     hidden_remainder_y
      - .offset:         86
        .size:           2
        .value_kind:     hidden_remainder_z
      - .offset:         104
        .size:           8
        .value_kind:     hidden_global_offset_x
      - .offset:         112
        .size:           8
        .value_kind:     hidden_global_offset_y
      - .offset:         120
        .size:           8
        .value_kind:     hidden_global_offset_z
      - .offset:         128
        .size:           2
        .value_kind:     hidden_grid_dims
    .group_segment_fixed_size: 5248
    .kernarg_segment_align: 8
    .kernarg_segment_size: 320
    .language:       OpenCL C
    .language_version:
      - 2
      - 0
    .max_flat_workgroup_size: 256
    .name:           _ZN7rocprim17ROCPRIM_400000_NS6detail17trampoline_kernelINS0_14default_configENS1_38merge_sort_block_merge_config_selectorIbiEEZZNS1_27merge_sort_block_merge_implIS3_N6thrust23THRUST_200600_302600_NS6detail15normal_iteratorINS8_10device_ptrIbEEEENSA_INSB_IiEEEEjNS1_19radix_merge_compareILb0ELb1EbNS0_19identity_decomposerEEEEE10hipError_tT0_T1_T2_jT3_P12ihipStream_tbPNSt15iterator_traitsISK_E10value_typeEPNSQ_ISL_E10value_typeEPSM_NS1_7vsmem_tEENKUlT_SK_SL_SM_E_clISD_PbSF_PiEESJ_SZ_SK_SL_SM_EUlSZ_E0_NS1_11comp_targetILNS1_3genE0ELNS1_11target_archE4294967295ELNS1_3gpuE0ELNS1_3repE0EEENS1_38merge_mergepath_config_static_selectorELNS0_4arch9wavefront6targetE1EEEvSL_
    .private_segment_fixed_size: 0
    .sgpr_count:     34
    .sgpr_spill_count: 0
    .symbol:         _ZN7rocprim17ROCPRIM_400000_NS6detail17trampoline_kernelINS0_14default_configENS1_38merge_sort_block_merge_config_selectorIbiEEZZNS1_27merge_sort_block_merge_implIS3_N6thrust23THRUST_200600_302600_NS6detail15normal_iteratorINS8_10device_ptrIbEEEENSA_INSB_IiEEEEjNS1_19radix_merge_compareILb0ELb1EbNS0_19identity_decomposerEEEEE10hipError_tT0_T1_T2_jT3_P12ihipStream_tbPNSt15iterator_traitsISK_E10value_typeEPNSQ_ISL_E10value_typeEPSM_NS1_7vsmem_tEENKUlT_SK_SL_SM_E_clISD_PbSF_PiEESJ_SZ_SK_SL_SM_EUlSZ_E0_NS1_11comp_targetILNS1_3genE0ELNS1_11target_archE4294967295ELNS1_3gpuE0ELNS1_3repE0EEENS1_38merge_mergepath_config_static_selectorELNS0_4arch9wavefront6targetE1EEEvSL_.kd
    .uniform_work_group_size: 1
    .uses_dynamic_stack: false
    .vgpr_count:     27
    .vgpr_spill_count: 0
    .wavefront_size: 64
  - .agpr_count:     0
    .args:
      - .offset:         0
        .size:           64
        .value_kind:     by_value
    .group_segment_fixed_size: 0
    .kernarg_segment_align: 8
    .kernarg_segment_size: 64
    .language:       OpenCL C
    .language_version:
      - 2
      - 0
    .max_flat_workgroup_size: 256
    .name:           _ZN7rocprim17ROCPRIM_400000_NS6detail17trampoline_kernelINS0_14default_configENS1_38merge_sort_block_merge_config_selectorIbiEEZZNS1_27merge_sort_block_merge_implIS3_N6thrust23THRUST_200600_302600_NS6detail15normal_iteratorINS8_10device_ptrIbEEEENSA_INSB_IiEEEEjNS1_19radix_merge_compareILb0ELb1EbNS0_19identity_decomposerEEEEE10hipError_tT0_T1_T2_jT3_P12ihipStream_tbPNSt15iterator_traitsISK_E10value_typeEPNSQ_ISL_E10value_typeEPSM_NS1_7vsmem_tEENKUlT_SK_SL_SM_E_clISD_PbSF_PiEESJ_SZ_SK_SL_SM_EUlSZ_E0_NS1_11comp_targetILNS1_3genE10ELNS1_11target_archE1201ELNS1_3gpuE5ELNS1_3repE0EEENS1_38merge_mergepath_config_static_selectorELNS0_4arch9wavefront6targetE1EEEvSL_
    .private_segment_fixed_size: 0
    .sgpr_count:     6
    .sgpr_spill_count: 0
    .symbol:         _ZN7rocprim17ROCPRIM_400000_NS6detail17trampoline_kernelINS0_14default_configENS1_38merge_sort_block_merge_config_selectorIbiEEZZNS1_27merge_sort_block_merge_implIS3_N6thrust23THRUST_200600_302600_NS6detail15normal_iteratorINS8_10device_ptrIbEEEENSA_INSB_IiEEEEjNS1_19radix_merge_compareILb0ELb1EbNS0_19identity_decomposerEEEEE10hipError_tT0_T1_T2_jT3_P12ihipStream_tbPNSt15iterator_traitsISK_E10value_typeEPNSQ_ISL_E10value_typeEPSM_NS1_7vsmem_tEENKUlT_SK_SL_SM_E_clISD_PbSF_PiEESJ_SZ_SK_SL_SM_EUlSZ_E0_NS1_11comp_targetILNS1_3genE10ELNS1_11target_archE1201ELNS1_3gpuE5ELNS1_3repE0EEENS1_38merge_mergepath_config_static_selectorELNS0_4arch9wavefront6targetE1EEEvSL_.kd
    .uniform_work_group_size: 1
    .uses_dynamic_stack: false
    .vgpr_count:     0
    .vgpr_spill_count: 0
    .wavefront_size: 64
  - .agpr_count:     0
    .args:
      - .offset:         0
        .size:           64
        .value_kind:     by_value
    .group_segment_fixed_size: 0
    .kernarg_segment_align: 8
    .kernarg_segment_size: 64
    .language:       OpenCL C
    .language_version:
      - 2
      - 0
    .max_flat_workgroup_size: 128
    .name:           _ZN7rocprim17ROCPRIM_400000_NS6detail17trampoline_kernelINS0_14default_configENS1_38merge_sort_block_merge_config_selectorIbiEEZZNS1_27merge_sort_block_merge_implIS3_N6thrust23THRUST_200600_302600_NS6detail15normal_iteratorINS8_10device_ptrIbEEEENSA_INSB_IiEEEEjNS1_19radix_merge_compareILb0ELb1EbNS0_19identity_decomposerEEEEE10hipError_tT0_T1_T2_jT3_P12ihipStream_tbPNSt15iterator_traitsISK_E10value_typeEPNSQ_ISL_E10value_typeEPSM_NS1_7vsmem_tEENKUlT_SK_SL_SM_E_clISD_PbSF_PiEESJ_SZ_SK_SL_SM_EUlSZ_E0_NS1_11comp_targetILNS1_3genE5ELNS1_11target_archE942ELNS1_3gpuE9ELNS1_3repE0EEENS1_38merge_mergepath_config_static_selectorELNS0_4arch9wavefront6targetE1EEEvSL_
    .private_segment_fixed_size: 0
    .sgpr_count:     6
    .sgpr_spill_count: 0
    .symbol:         _ZN7rocprim17ROCPRIM_400000_NS6detail17trampoline_kernelINS0_14default_configENS1_38merge_sort_block_merge_config_selectorIbiEEZZNS1_27merge_sort_block_merge_implIS3_N6thrust23THRUST_200600_302600_NS6detail15normal_iteratorINS8_10device_ptrIbEEEENSA_INSB_IiEEEEjNS1_19radix_merge_compareILb0ELb1EbNS0_19identity_decomposerEEEEE10hipError_tT0_T1_T2_jT3_P12ihipStream_tbPNSt15iterator_traitsISK_E10value_typeEPNSQ_ISL_E10value_typeEPSM_NS1_7vsmem_tEENKUlT_SK_SL_SM_E_clISD_PbSF_PiEESJ_SZ_SK_SL_SM_EUlSZ_E0_NS1_11comp_targetILNS1_3genE5ELNS1_11target_archE942ELNS1_3gpuE9ELNS1_3repE0EEENS1_38merge_mergepath_config_static_selectorELNS0_4arch9wavefront6targetE1EEEvSL_.kd
    .uniform_work_group_size: 1
    .uses_dynamic_stack: false
    .vgpr_count:     0
    .vgpr_spill_count: 0
    .wavefront_size: 64
  - .agpr_count:     0
    .args:
      - .offset:         0
        .size:           64
        .value_kind:     by_value
    .group_segment_fixed_size: 0
    .kernarg_segment_align: 8
    .kernarg_segment_size: 64
    .language:       OpenCL C
    .language_version:
      - 2
      - 0
    .max_flat_workgroup_size: 128
    .name:           _ZN7rocprim17ROCPRIM_400000_NS6detail17trampoline_kernelINS0_14default_configENS1_38merge_sort_block_merge_config_selectorIbiEEZZNS1_27merge_sort_block_merge_implIS3_N6thrust23THRUST_200600_302600_NS6detail15normal_iteratorINS8_10device_ptrIbEEEENSA_INSB_IiEEEEjNS1_19radix_merge_compareILb0ELb1EbNS0_19identity_decomposerEEEEE10hipError_tT0_T1_T2_jT3_P12ihipStream_tbPNSt15iterator_traitsISK_E10value_typeEPNSQ_ISL_E10value_typeEPSM_NS1_7vsmem_tEENKUlT_SK_SL_SM_E_clISD_PbSF_PiEESJ_SZ_SK_SL_SM_EUlSZ_E0_NS1_11comp_targetILNS1_3genE4ELNS1_11target_archE910ELNS1_3gpuE8ELNS1_3repE0EEENS1_38merge_mergepath_config_static_selectorELNS0_4arch9wavefront6targetE1EEEvSL_
    .private_segment_fixed_size: 0
    .sgpr_count:     6
    .sgpr_spill_count: 0
    .symbol:         _ZN7rocprim17ROCPRIM_400000_NS6detail17trampoline_kernelINS0_14default_configENS1_38merge_sort_block_merge_config_selectorIbiEEZZNS1_27merge_sort_block_merge_implIS3_N6thrust23THRUST_200600_302600_NS6detail15normal_iteratorINS8_10device_ptrIbEEEENSA_INSB_IiEEEEjNS1_19radix_merge_compareILb0ELb1EbNS0_19identity_decomposerEEEEE10hipError_tT0_T1_T2_jT3_P12ihipStream_tbPNSt15iterator_traitsISK_E10value_typeEPNSQ_ISL_E10value_typeEPSM_NS1_7vsmem_tEENKUlT_SK_SL_SM_E_clISD_PbSF_PiEESJ_SZ_SK_SL_SM_EUlSZ_E0_NS1_11comp_targetILNS1_3genE4ELNS1_11target_archE910ELNS1_3gpuE8ELNS1_3repE0EEENS1_38merge_mergepath_config_static_selectorELNS0_4arch9wavefront6targetE1EEEvSL_.kd
    .uniform_work_group_size: 1
    .uses_dynamic_stack: false
    .vgpr_count:     0
    .vgpr_spill_count: 0
    .wavefront_size: 64
  - .agpr_count:     0
    .args:
      - .offset:         0
        .size:           64
        .value_kind:     by_value
    .group_segment_fixed_size: 0
    .kernarg_segment_align: 8
    .kernarg_segment_size: 64
    .language:       OpenCL C
    .language_version:
      - 2
      - 0
    .max_flat_workgroup_size: 256
    .name:           _ZN7rocprim17ROCPRIM_400000_NS6detail17trampoline_kernelINS0_14default_configENS1_38merge_sort_block_merge_config_selectorIbiEEZZNS1_27merge_sort_block_merge_implIS3_N6thrust23THRUST_200600_302600_NS6detail15normal_iteratorINS8_10device_ptrIbEEEENSA_INSB_IiEEEEjNS1_19radix_merge_compareILb0ELb1EbNS0_19identity_decomposerEEEEE10hipError_tT0_T1_T2_jT3_P12ihipStream_tbPNSt15iterator_traitsISK_E10value_typeEPNSQ_ISL_E10value_typeEPSM_NS1_7vsmem_tEENKUlT_SK_SL_SM_E_clISD_PbSF_PiEESJ_SZ_SK_SL_SM_EUlSZ_E0_NS1_11comp_targetILNS1_3genE3ELNS1_11target_archE908ELNS1_3gpuE7ELNS1_3repE0EEENS1_38merge_mergepath_config_static_selectorELNS0_4arch9wavefront6targetE1EEEvSL_
    .private_segment_fixed_size: 0
    .sgpr_count:     6
    .sgpr_spill_count: 0
    .symbol:         _ZN7rocprim17ROCPRIM_400000_NS6detail17trampoline_kernelINS0_14default_configENS1_38merge_sort_block_merge_config_selectorIbiEEZZNS1_27merge_sort_block_merge_implIS3_N6thrust23THRUST_200600_302600_NS6detail15normal_iteratorINS8_10device_ptrIbEEEENSA_INSB_IiEEEEjNS1_19radix_merge_compareILb0ELb1EbNS0_19identity_decomposerEEEEE10hipError_tT0_T1_T2_jT3_P12ihipStream_tbPNSt15iterator_traitsISK_E10value_typeEPNSQ_ISL_E10value_typeEPSM_NS1_7vsmem_tEENKUlT_SK_SL_SM_E_clISD_PbSF_PiEESJ_SZ_SK_SL_SM_EUlSZ_E0_NS1_11comp_targetILNS1_3genE3ELNS1_11target_archE908ELNS1_3gpuE7ELNS1_3repE0EEENS1_38merge_mergepath_config_static_selectorELNS0_4arch9wavefront6targetE1EEEvSL_.kd
    .uniform_work_group_size: 1
    .uses_dynamic_stack: false
    .vgpr_count:     0
    .vgpr_spill_count: 0
    .wavefront_size: 64
  - .agpr_count:     0
    .args:
      - .offset:         0
        .size:           64
        .value_kind:     by_value
    .group_segment_fixed_size: 0
    .kernarg_segment_align: 8
    .kernarg_segment_size: 64
    .language:       OpenCL C
    .language_version:
      - 2
      - 0
    .max_flat_workgroup_size: 128
    .name:           _ZN7rocprim17ROCPRIM_400000_NS6detail17trampoline_kernelINS0_14default_configENS1_38merge_sort_block_merge_config_selectorIbiEEZZNS1_27merge_sort_block_merge_implIS3_N6thrust23THRUST_200600_302600_NS6detail15normal_iteratorINS8_10device_ptrIbEEEENSA_INSB_IiEEEEjNS1_19radix_merge_compareILb0ELb1EbNS0_19identity_decomposerEEEEE10hipError_tT0_T1_T2_jT3_P12ihipStream_tbPNSt15iterator_traitsISK_E10value_typeEPNSQ_ISL_E10value_typeEPSM_NS1_7vsmem_tEENKUlT_SK_SL_SM_E_clISD_PbSF_PiEESJ_SZ_SK_SL_SM_EUlSZ_E0_NS1_11comp_targetILNS1_3genE2ELNS1_11target_archE906ELNS1_3gpuE6ELNS1_3repE0EEENS1_38merge_mergepath_config_static_selectorELNS0_4arch9wavefront6targetE1EEEvSL_
    .private_segment_fixed_size: 0
    .sgpr_count:     6
    .sgpr_spill_count: 0
    .symbol:         _ZN7rocprim17ROCPRIM_400000_NS6detail17trampoline_kernelINS0_14default_configENS1_38merge_sort_block_merge_config_selectorIbiEEZZNS1_27merge_sort_block_merge_implIS3_N6thrust23THRUST_200600_302600_NS6detail15normal_iteratorINS8_10device_ptrIbEEEENSA_INSB_IiEEEEjNS1_19radix_merge_compareILb0ELb1EbNS0_19identity_decomposerEEEEE10hipError_tT0_T1_T2_jT3_P12ihipStream_tbPNSt15iterator_traitsISK_E10value_typeEPNSQ_ISL_E10value_typeEPSM_NS1_7vsmem_tEENKUlT_SK_SL_SM_E_clISD_PbSF_PiEESJ_SZ_SK_SL_SM_EUlSZ_E0_NS1_11comp_targetILNS1_3genE2ELNS1_11target_archE906ELNS1_3gpuE6ELNS1_3repE0EEENS1_38merge_mergepath_config_static_selectorELNS0_4arch9wavefront6targetE1EEEvSL_.kd
    .uniform_work_group_size: 1
    .uses_dynamic_stack: false
    .vgpr_count:     0
    .vgpr_spill_count: 0
    .wavefront_size: 64
  - .agpr_count:     0
    .args:
      - .offset:         0
        .size:           64
        .value_kind:     by_value
    .group_segment_fixed_size: 0
    .kernarg_segment_align: 8
    .kernarg_segment_size: 64
    .language:       OpenCL C
    .language_version:
      - 2
      - 0
    .max_flat_workgroup_size: 256
    .name:           _ZN7rocprim17ROCPRIM_400000_NS6detail17trampoline_kernelINS0_14default_configENS1_38merge_sort_block_merge_config_selectorIbiEEZZNS1_27merge_sort_block_merge_implIS3_N6thrust23THRUST_200600_302600_NS6detail15normal_iteratorINS8_10device_ptrIbEEEENSA_INSB_IiEEEEjNS1_19radix_merge_compareILb0ELb1EbNS0_19identity_decomposerEEEEE10hipError_tT0_T1_T2_jT3_P12ihipStream_tbPNSt15iterator_traitsISK_E10value_typeEPNSQ_ISL_E10value_typeEPSM_NS1_7vsmem_tEENKUlT_SK_SL_SM_E_clISD_PbSF_PiEESJ_SZ_SK_SL_SM_EUlSZ_E0_NS1_11comp_targetILNS1_3genE9ELNS1_11target_archE1100ELNS1_3gpuE3ELNS1_3repE0EEENS1_38merge_mergepath_config_static_selectorELNS0_4arch9wavefront6targetE1EEEvSL_
    .private_segment_fixed_size: 0
    .sgpr_count:     6
    .sgpr_spill_count: 0
    .symbol:         _ZN7rocprim17ROCPRIM_400000_NS6detail17trampoline_kernelINS0_14default_configENS1_38merge_sort_block_merge_config_selectorIbiEEZZNS1_27merge_sort_block_merge_implIS3_N6thrust23THRUST_200600_302600_NS6detail15normal_iteratorINS8_10device_ptrIbEEEENSA_INSB_IiEEEEjNS1_19radix_merge_compareILb0ELb1EbNS0_19identity_decomposerEEEEE10hipError_tT0_T1_T2_jT3_P12ihipStream_tbPNSt15iterator_traitsISK_E10value_typeEPNSQ_ISL_E10value_typeEPSM_NS1_7vsmem_tEENKUlT_SK_SL_SM_E_clISD_PbSF_PiEESJ_SZ_SK_SL_SM_EUlSZ_E0_NS1_11comp_targetILNS1_3genE9ELNS1_11target_archE1100ELNS1_3gpuE3ELNS1_3repE0EEENS1_38merge_mergepath_config_static_selectorELNS0_4arch9wavefront6targetE1EEEvSL_.kd
    .uniform_work_group_size: 1
    .uses_dynamic_stack: false
    .vgpr_count:     0
    .vgpr_spill_count: 0
    .wavefront_size: 64
  - .agpr_count:     0
    .args:
      - .offset:         0
        .size:           64
        .value_kind:     by_value
    .group_segment_fixed_size: 0
    .kernarg_segment_align: 8
    .kernarg_segment_size: 64
    .language:       OpenCL C
    .language_version:
      - 2
      - 0
    .max_flat_workgroup_size: 256
    .name:           _ZN7rocprim17ROCPRIM_400000_NS6detail17trampoline_kernelINS0_14default_configENS1_38merge_sort_block_merge_config_selectorIbiEEZZNS1_27merge_sort_block_merge_implIS3_N6thrust23THRUST_200600_302600_NS6detail15normal_iteratorINS8_10device_ptrIbEEEENSA_INSB_IiEEEEjNS1_19radix_merge_compareILb0ELb1EbNS0_19identity_decomposerEEEEE10hipError_tT0_T1_T2_jT3_P12ihipStream_tbPNSt15iterator_traitsISK_E10value_typeEPNSQ_ISL_E10value_typeEPSM_NS1_7vsmem_tEENKUlT_SK_SL_SM_E_clISD_PbSF_PiEESJ_SZ_SK_SL_SM_EUlSZ_E0_NS1_11comp_targetILNS1_3genE8ELNS1_11target_archE1030ELNS1_3gpuE2ELNS1_3repE0EEENS1_38merge_mergepath_config_static_selectorELNS0_4arch9wavefront6targetE1EEEvSL_
    .private_segment_fixed_size: 0
    .sgpr_count:     6
    .sgpr_spill_count: 0
    .symbol:         _ZN7rocprim17ROCPRIM_400000_NS6detail17trampoline_kernelINS0_14default_configENS1_38merge_sort_block_merge_config_selectorIbiEEZZNS1_27merge_sort_block_merge_implIS3_N6thrust23THRUST_200600_302600_NS6detail15normal_iteratorINS8_10device_ptrIbEEEENSA_INSB_IiEEEEjNS1_19radix_merge_compareILb0ELb1EbNS0_19identity_decomposerEEEEE10hipError_tT0_T1_T2_jT3_P12ihipStream_tbPNSt15iterator_traitsISK_E10value_typeEPNSQ_ISL_E10value_typeEPSM_NS1_7vsmem_tEENKUlT_SK_SL_SM_E_clISD_PbSF_PiEESJ_SZ_SK_SL_SM_EUlSZ_E0_NS1_11comp_targetILNS1_3genE8ELNS1_11target_archE1030ELNS1_3gpuE2ELNS1_3repE0EEENS1_38merge_mergepath_config_static_selectorELNS0_4arch9wavefront6targetE1EEEvSL_.kd
    .uniform_work_group_size: 1
    .uses_dynamic_stack: false
    .vgpr_count:     0
    .vgpr_spill_count: 0
    .wavefront_size: 64
  - .agpr_count:     0
    .args:
      - .offset:         0
        .size:           48
        .value_kind:     by_value
    .group_segment_fixed_size: 256
    .kernarg_segment_align: 8
    .kernarg_segment_size: 48
    .language:       OpenCL C
    .language_version:
      - 2
      - 0
    .max_flat_workgroup_size: 256
    .name:           _ZN7rocprim17ROCPRIM_400000_NS6detail17trampoline_kernelINS0_14default_configENS1_38merge_sort_block_merge_config_selectorIbiEEZZNS1_27merge_sort_block_merge_implIS3_N6thrust23THRUST_200600_302600_NS6detail15normal_iteratorINS8_10device_ptrIbEEEENSA_INSB_IiEEEEjNS1_19radix_merge_compareILb0ELb1EbNS0_19identity_decomposerEEEEE10hipError_tT0_T1_T2_jT3_P12ihipStream_tbPNSt15iterator_traitsISK_E10value_typeEPNSQ_ISL_E10value_typeEPSM_NS1_7vsmem_tEENKUlT_SK_SL_SM_E_clISD_PbSF_PiEESJ_SZ_SK_SL_SM_EUlSZ_E1_NS1_11comp_targetILNS1_3genE0ELNS1_11target_archE4294967295ELNS1_3gpuE0ELNS1_3repE0EEENS1_36merge_oddeven_config_static_selectorELNS0_4arch9wavefront6targetE1EEEvSL_
    .private_segment_fixed_size: 0
    .sgpr_count:     28
    .sgpr_spill_count: 0
    .symbol:         _ZN7rocprim17ROCPRIM_400000_NS6detail17trampoline_kernelINS0_14default_configENS1_38merge_sort_block_merge_config_selectorIbiEEZZNS1_27merge_sort_block_merge_implIS3_N6thrust23THRUST_200600_302600_NS6detail15normal_iteratorINS8_10device_ptrIbEEEENSA_INSB_IiEEEEjNS1_19radix_merge_compareILb0ELb1EbNS0_19identity_decomposerEEEEE10hipError_tT0_T1_T2_jT3_P12ihipStream_tbPNSt15iterator_traitsISK_E10value_typeEPNSQ_ISL_E10value_typeEPSM_NS1_7vsmem_tEENKUlT_SK_SL_SM_E_clISD_PbSF_PiEESJ_SZ_SK_SL_SM_EUlSZ_E1_NS1_11comp_targetILNS1_3genE0ELNS1_11target_archE4294967295ELNS1_3gpuE0ELNS1_3repE0EEENS1_36merge_oddeven_config_static_selectorELNS0_4arch9wavefront6targetE1EEEvSL_.kd
    .uniform_work_group_size: 1
    .uses_dynamic_stack: false
    .vgpr_count:     11
    .vgpr_spill_count: 0
    .wavefront_size: 64
  - .agpr_count:     0
    .args:
      - .offset:         0
        .size:           48
        .value_kind:     by_value
    .group_segment_fixed_size: 0
    .kernarg_segment_align: 8
    .kernarg_segment_size: 48
    .language:       OpenCL C
    .language_version:
      - 2
      - 0
    .max_flat_workgroup_size: 256
    .name:           _ZN7rocprim17ROCPRIM_400000_NS6detail17trampoline_kernelINS0_14default_configENS1_38merge_sort_block_merge_config_selectorIbiEEZZNS1_27merge_sort_block_merge_implIS3_N6thrust23THRUST_200600_302600_NS6detail15normal_iteratorINS8_10device_ptrIbEEEENSA_INSB_IiEEEEjNS1_19radix_merge_compareILb0ELb1EbNS0_19identity_decomposerEEEEE10hipError_tT0_T1_T2_jT3_P12ihipStream_tbPNSt15iterator_traitsISK_E10value_typeEPNSQ_ISL_E10value_typeEPSM_NS1_7vsmem_tEENKUlT_SK_SL_SM_E_clISD_PbSF_PiEESJ_SZ_SK_SL_SM_EUlSZ_E1_NS1_11comp_targetILNS1_3genE10ELNS1_11target_archE1201ELNS1_3gpuE5ELNS1_3repE0EEENS1_36merge_oddeven_config_static_selectorELNS0_4arch9wavefront6targetE1EEEvSL_
    .private_segment_fixed_size: 0
    .sgpr_count:     6
    .sgpr_spill_count: 0
    .symbol:         _ZN7rocprim17ROCPRIM_400000_NS6detail17trampoline_kernelINS0_14default_configENS1_38merge_sort_block_merge_config_selectorIbiEEZZNS1_27merge_sort_block_merge_implIS3_N6thrust23THRUST_200600_302600_NS6detail15normal_iteratorINS8_10device_ptrIbEEEENSA_INSB_IiEEEEjNS1_19radix_merge_compareILb0ELb1EbNS0_19identity_decomposerEEEEE10hipError_tT0_T1_T2_jT3_P12ihipStream_tbPNSt15iterator_traitsISK_E10value_typeEPNSQ_ISL_E10value_typeEPSM_NS1_7vsmem_tEENKUlT_SK_SL_SM_E_clISD_PbSF_PiEESJ_SZ_SK_SL_SM_EUlSZ_E1_NS1_11comp_targetILNS1_3genE10ELNS1_11target_archE1201ELNS1_3gpuE5ELNS1_3repE0EEENS1_36merge_oddeven_config_static_selectorELNS0_4arch9wavefront6targetE1EEEvSL_.kd
    .uniform_work_group_size: 1
    .uses_dynamic_stack: false
    .vgpr_count:     0
    .vgpr_spill_count: 0
    .wavefront_size: 64
  - .agpr_count:     0
    .args:
      - .offset:         0
        .size:           48
        .value_kind:     by_value
    .group_segment_fixed_size: 0
    .kernarg_segment_align: 8
    .kernarg_segment_size: 48
    .language:       OpenCL C
    .language_version:
      - 2
      - 0
    .max_flat_workgroup_size: 256
    .name:           _ZN7rocprim17ROCPRIM_400000_NS6detail17trampoline_kernelINS0_14default_configENS1_38merge_sort_block_merge_config_selectorIbiEEZZNS1_27merge_sort_block_merge_implIS3_N6thrust23THRUST_200600_302600_NS6detail15normal_iteratorINS8_10device_ptrIbEEEENSA_INSB_IiEEEEjNS1_19radix_merge_compareILb0ELb1EbNS0_19identity_decomposerEEEEE10hipError_tT0_T1_T2_jT3_P12ihipStream_tbPNSt15iterator_traitsISK_E10value_typeEPNSQ_ISL_E10value_typeEPSM_NS1_7vsmem_tEENKUlT_SK_SL_SM_E_clISD_PbSF_PiEESJ_SZ_SK_SL_SM_EUlSZ_E1_NS1_11comp_targetILNS1_3genE5ELNS1_11target_archE942ELNS1_3gpuE9ELNS1_3repE0EEENS1_36merge_oddeven_config_static_selectorELNS0_4arch9wavefront6targetE1EEEvSL_
    .private_segment_fixed_size: 0
    .sgpr_count:     6
    .sgpr_spill_count: 0
    .symbol:         _ZN7rocprim17ROCPRIM_400000_NS6detail17trampoline_kernelINS0_14default_configENS1_38merge_sort_block_merge_config_selectorIbiEEZZNS1_27merge_sort_block_merge_implIS3_N6thrust23THRUST_200600_302600_NS6detail15normal_iteratorINS8_10device_ptrIbEEEENSA_INSB_IiEEEEjNS1_19radix_merge_compareILb0ELb1EbNS0_19identity_decomposerEEEEE10hipError_tT0_T1_T2_jT3_P12ihipStream_tbPNSt15iterator_traitsISK_E10value_typeEPNSQ_ISL_E10value_typeEPSM_NS1_7vsmem_tEENKUlT_SK_SL_SM_E_clISD_PbSF_PiEESJ_SZ_SK_SL_SM_EUlSZ_E1_NS1_11comp_targetILNS1_3genE5ELNS1_11target_archE942ELNS1_3gpuE9ELNS1_3repE0EEENS1_36merge_oddeven_config_static_selectorELNS0_4arch9wavefront6targetE1EEEvSL_.kd
    .uniform_work_group_size: 1
    .uses_dynamic_stack: false
    .vgpr_count:     0
    .vgpr_spill_count: 0
    .wavefront_size: 64
  - .agpr_count:     0
    .args:
      - .offset:         0
        .size:           48
        .value_kind:     by_value
    .group_segment_fixed_size: 0
    .kernarg_segment_align: 8
    .kernarg_segment_size: 48
    .language:       OpenCL C
    .language_version:
      - 2
      - 0
    .max_flat_workgroup_size: 256
    .name:           _ZN7rocprim17ROCPRIM_400000_NS6detail17trampoline_kernelINS0_14default_configENS1_38merge_sort_block_merge_config_selectorIbiEEZZNS1_27merge_sort_block_merge_implIS3_N6thrust23THRUST_200600_302600_NS6detail15normal_iteratorINS8_10device_ptrIbEEEENSA_INSB_IiEEEEjNS1_19radix_merge_compareILb0ELb1EbNS0_19identity_decomposerEEEEE10hipError_tT0_T1_T2_jT3_P12ihipStream_tbPNSt15iterator_traitsISK_E10value_typeEPNSQ_ISL_E10value_typeEPSM_NS1_7vsmem_tEENKUlT_SK_SL_SM_E_clISD_PbSF_PiEESJ_SZ_SK_SL_SM_EUlSZ_E1_NS1_11comp_targetILNS1_3genE4ELNS1_11target_archE910ELNS1_3gpuE8ELNS1_3repE0EEENS1_36merge_oddeven_config_static_selectorELNS0_4arch9wavefront6targetE1EEEvSL_
    .private_segment_fixed_size: 0
    .sgpr_count:     6
    .sgpr_spill_count: 0
    .symbol:         _ZN7rocprim17ROCPRIM_400000_NS6detail17trampoline_kernelINS0_14default_configENS1_38merge_sort_block_merge_config_selectorIbiEEZZNS1_27merge_sort_block_merge_implIS3_N6thrust23THRUST_200600_302600_NS6detail15normal_iteratorINS8_10device_ptrIbEEEENSA_INSB_IiEEEEjNS1_19radix_merge_compareILb0ELb1EbNS0_19identity_decomposerEEEEE10hipError_tT0_T1_T2_jT3_P12ihipStream_tbPNSt15iterator_traitsISK_E10value_typeEPNSQ_ISL_E10value_typeEPSM_NS1_7vsmem_tEENKUlT_SK_SL_SM_E_clISD_PbSF_PiEESJ_SZ_SK_SL_SM_EUlSZ_E1_NS1_11comp_targetILNS1_3genE4ELNS1_11target_archE910ELNS1_3gpuE8ELNS1_3repE0EEENS1_36merge_oddeven_config_static_selectorELNS0_4arch9wavefront6targetE1EEEvSL_.kd
    .uniform_work_group_size: 1
    .uses_dynamic_stack: false
    .vgpr_count:     0
    .vgpr_spill_count: 0
    .wavefront_size: 64
  - .agpr_count:     0
    .args:
      - .offset:         0
        .size:           48
        .value_kind:     by_value
    .group_segment_fixed_size: 0
    .kernarg_segment_align: 8
    .kernarg_segment_size: 48
    .language:       OpenCL C
    .language_version:
      - 2
      - 0
    .max_flat_workgroup_size: 256
    .name:           _ZN7rocprim17ROCPRIM_400000_NS6detail17trampoline_kernelINS0_14default_configENS1_38merge_sort_block_merge_config_selectorIbiEEZZNS1_27merge_sort_block_merge_implIS3_N6thrust23THRUST_200600_302600_NS6detail15normal_iteratorINS8_10device_ptrIbEEEENSA_INSB_IiEEEEjNS1_19radix_merge_compareILb0ELb1EbNS0_19identity_decomposerEEEEE10hipError_tT0_T1_T2_jT3_P12ihipStream_tbPNSt15iterator_traitsISK_E10value_typeEPNSQ_ISL_E10value_typeEPSM_NS1_7vsmem_tEENKUlT_SK_SL_SM_E_clISD_PbSF_PiEESJ_SZ_SK_SL_SM_EUlSZ_E1_NS1_11comp_targetILNS1_3genE3ELNS1_11target_archE908ELNS1_3gpuE7ELNS1_3repE0EEENS1_36merge_oddeven_config_static_selectorELNS0_4arch9wavefront6targetE1EEEvSL_
    .private_segment_fixed_size: 0
    .sgpr_count:     6
    .sgpr_spill_count: 0
    .symbol:         _ZN7rocprim17ROCPRIM_400000_NS6detail17trampoline_kernelINS0_14default_configENS1_38merge_sort_block_merge_config_selectorIbiEEZZNS1_27merge_sort_block_merge_implIS3_N6thrust23THRUST_200600_302600_NS6detail15normal_iteratorINS8_10device_ptrIbEEEENSA_INSB_IiEEEEjNS1_19radix_merge_compareILb0ELb1EbNS0_19identity_decomposerEEEEE10hipError_tT0_T1_T2_jT3_P12ihipStream_tbPNSt15iterator_traitsISK_E10value_typeEPNSQ_ISL_E10value_typeEPSM_NS1_7vsmem_tEENKUlT_SK_SL_SM_E_clISD_PbSF_PiEESJ_SZ_SK_SL_SM_EUlSZ_E1_NS1_11comp_targetILNS1_3genE3ELNS1_11target_archE908ELNS1_3gpuE7ELNS1_3repE0EEENS1_36merge_oddeven_config_static_selectorELNS0_4arch9wavefront6targetE1EEEvSL_.kd
    .uniform_work_group_size: 1
    .uses_dynamic_stack: false
    .vgpr_count:     0
    .vgpr_spill_count: 0
    .wavefront_size: 64
  - .agpr_count:     0
    .args:
      - .offset:         0
        .size:           48
        .value_kind:     by_value
    .group_segment_fixed_size: 0
    .kernarg_segment_align: 8
    .kernarg_segment_size: 48
    .language:       OpenCL C
    .language_version:
      - 2
      - 0
    .max_flat_workgroup_size: 256
    .name:           _ZN7rocprim17ROCPRIM_400000_NS6detail17trampoline_kernelINS0_14default_configENS1_38merge_sort_block_merge_config_selectorIbiEEZZNS1_27merge_sort_block_merge_implIS3_N6thrust23THRUST_200600_302600_NS6detail15normal_iteratorINS8_10device_ptrIbEEEENSA_INSB_IiEEEEjNS1_19radix_merge_compareILb0ELb1EbNS0_19identity_decomposerEEEEE10hipError_tT0_T1_T2_jT3_P12ihipStream_tbPNSt15iterator_traitsISK_E10value_typeEPNSQ_ISL_E10value_typeEPSM_NS1_7vsmem_tEENKUlT_SK_SL_SM_E_clISD_PbSF_PiEESJ_SZ_SK_SL_SM_EUlSZ_E1_NS1_11comp_targetILNS1_3genE2ELNS1_11target_archE906ELNS1_3gpuE6ELNS1_3repE0EEENS1_36merge_oddeven_config_static_selectorELNS0_4arch9wavefront6targetE1EEEvSL_
    .private_segment_fixed_size: 0
    .sgpr_count:     6
    .sgpr_spill_count: 0
    .symbol:         _ZN7rocprim17ROCPRIM_400000_NS6detail17trampoline_kernelINS0_14default_configENS1_38merge_sort_block_merge_config_selectorIbiEEZZNS1_27merge_sort_block_merge_implIS3_N6thrust23THRUST_200600_302600_NS6detail15normal_iteratorINS8_10device_ptrIbEEEENSA_INSB_IiEEEEjNS1_19radix_merge_compareILb0ELb1EbNS0_19identity_decomposerEEEEE10hipError_tT0_T1_T2_jT3_P12ihipStream_tbPNSt15iterator_traitsISK_E10value_typeEPNSQ_ISL_E10value_typeEPSM_NS1_7vsmem_tEENKUlT_SK_SL_SM_E_clISD_PbSF_PiEESJ_SZ_SK_SL_SM_EUlSZ_E1_NS1_11comp_targetILNS1_3genE2ELNS1_11target_archE906ELNS1_3gpuE6ELNS1_3repE0EEENS1_36merge_oddeven_config_static_selectorELNS0_4arch9wavefront6targetE1EEEvSL_.kd
    .uniform_work_group_size: 1
    .uses_dynamic_stack: false
    .vgpr_count:     0
    .vgpr_spill_count: 0
    .wavefront_size: 64
  - .agpr_count:     0
    .args:
      - .offset:         0
        .size:           48
        .value_kind:     by_value
    .group_segment_fixed_size: 0
    .kernarg_segment_align: 8
    .kernarg_segment_size: 48
    .language:       OpenCL C
    .language_version:
      - 2
      - 0
    .max_flat_workgroup_size: 256
    .name:           _ZN7rocprim17ROCPRIM_400000_NS6detail17trampoline_kernelINS0_14default_configENS1_38merge_sort_block_merge_config_selectorIbiEEZZNS1_27merge_sort_block_merge_implIS3_N6thrust23THRUST_200600_302600_NS6detail15normal_iteratorINS8_10device_ptrIbEEEENSA_INSB_IiEEEEjNS1_19radix_merge_compareILb0ELb1EbNS0_19identity_decomposerEEEEE10hipError_tT0_T1_T2_jT3_P12ihipStream_tbPNSt15iterator_traitsISK_E10value_typeEPNSQ_ISL_E10value_typeEPSM_NS1_7vsmem_tEENKUlT_SK_SL_SM_E_clISD_PbSF_PiEESJ_SZ_SK_SL_SM_EUlSZ_E1_NS1_11comp_targetILNS1_3genE9ELNS1_11target_archE1100ELNS1_3gpuE3ELNS1_3repE0EEENS1_36merge_oddeven_config_static_selectorELNS0_4arch9wavefront6targetE1EEEvSL_
    .private_segment_fixed_size: 0
    .sgpr_count:     6
    .sgpr_spill_count: 0
    .symbol:         _ZN7rocprim17ROCPRIM_400000_NS6detail17trampoline_kernelINS0_14default_configENS1_38merge_sort_block_merge_config_selectorIbiEEZZNS1_27merge_sort_block_merge_implIS3_N6thrust23THRUST_200600_302600_NS6detail15normal_iteratorINS8_10device_ptrIbEEEENSA_INSB_IiEEEEjNS1_19radix_merge_compareILb0ELb1EbNS0_19identity_decomposerEEEEE10hipError_tT0_T1_T2_jT3_P12ihipStream_tbPNSt15iterator_traitsISK_E10value_typeEPNSQ_ISL_E10value_typeEPSM_NS1_7vsmem_tEENKUlT_SK_SL_SM_E_clISD_PbSF_PiEESJ_SZ_SK_SL_SM_EUlSZ_E1_NS1_11comp_targetILNS1_3genE9ELNS1_11target_archE1100ELNS1_3gpuE3ELNS1_3repE0EEENS1_36merge_oddeven_config_static_selectorELNS0_4arch9wavefront6targetE1EEEvSL_.kd
    .uniform_work_group_size: 1
    .uses_dynamic_stack: false
    .vgpr_count:     0
    .vgpr_spill_count: 0
    .wavefront_size: 64
  - .agpr_count:     0
    .args:
      - .offset:         0
        .size:           48
        .value_kind:     by_value
    .group_segment_fixed_size: 0
    .kernarg_segment_align: 8
    .kernarg_segment_size: 48
    .language:       OpenCL C
    .language_version:
      - 2
      - 0
    .max_flat_workgroup_size: 256
    .name:           _ZN7rocprim17ROCPRIM_400000_NS6detail17trampoline_kernelINS0_14default_configENS1_38merge_sort_block_merge_config_selectorIbiEEZZNS1_27merge_sort_block_merge_implIS3_N6thrust23THRUST_200600_302600_NS6detail15normal_iteratorINS8_10device_ptrIbEEEENSA_INSB_IiEEEEjNS1_19radix_merge_compareILb0ELb1EbNS0_19identity_decomposerEEEEE10hipError_tT0_T1_T2_jT3_P12ihipStream_tbPNSt15iterator_traitsISK_E10value_typeEPNSQ_ISL_E10value_typeEPSM_NS1_7vsmem_tEENKUlT_SK_SL_SM_E_clISD_PbSF_PiEESJ_SZ_SK_SL_SM_EUlSZ_E1_NS1_11comp_targetILNS1_3genE8ELNS1_11target_archE1030ELNS1_3gpuE2ELNS1_3repE0EEENS1_36merge_oddeven_config_static_selectorELNS0_4arch9wavefront6targetE1EEEvSL_
    .private_segment_fixed_size: 0
    .sgpr_count:     6
    .sgpr_spill_count: 0
    .symbol:         _ZN7rocprim17ROCPRIM_400000_NS6detail17trampoline_kernelINS0_14default_configENS1_38merge_sort_block_merge_config_selectorIbiEEZZNS1_27merge_sort_block_merge_implIS3_N6thrust23THRUST_200600_302600_NS6detail15normal_iteratorINS8_10device_ptrIbEEEENSA_INSB_IiEEEEjNS1_19radix_merge_compareILb0ELb1EbNS0_19identity_decomposerEEEEE10hipError_tT0_T1_T2_jT3_P12ihipStream_tbPNSt15iterator_traitsISK_E10value_typeEPNSQ_ISL_E10value_typeEPSM_NS1_7vsmem_tEENKUlT_SK_SL_SM_E_clISD_PbSF_PiEESJ_SZ_SK_SL_SM_EUlSZ_E1_NS1_11comp_targetILNS1_3genE8ELNS1_11target_archE1030ELNS1_3gpuE2ELNS1_3repE0EEENS1_36merge_oddeven_config_static_selectorELNS0_4arch9wavefront6targetE1EEEvSL_.kd
    .uniform_work_group_size: 1
    .uses_dynamic_stack: false
    .vgpr_count:     0
    .vgpr_spill_count: 0
    .wavefront_size: 64
  - .agpr_count:     0
    .args:
      - .offset:         0
        .size:           40
        .value_kind:     by_value
    .group_segment_fixed_size: 0
    .kernarg_segment_align: 8
    .kernarg_segment_size: 40
    .language:       OpenCL C
    .language_version:
      - 2
      - 0
    .max_flat_workgroup_size: 1024
    .name:           _ZN7rocprim17ROCPRIM_400000_NS6detail17trampoline_kernelINS0_14default_configENS1_35radix_sort_onesweep_config_selectorIbiEEZNS1_34radix_sort_onesweep_global_offsetsIS3_Lb0EN6thrust23THRUST_200600_302600_NS6detail15normal_iteratorINS8_10device_ptrIbEEEENSA_INSB_IiEEEEjNS0_19identity_decomposerEEE10hipError_tT1_T2_PT3_SK_jT4_jjP12ihipStream_tbEUlT_E_NS1_11comp_targetILNS1_3genE0ELNS1_11target_archE4294967295ELNS1_3gpuE0ELNS1_3repE0EEENS1_52radix_sort_onesweep_histogram_config_static_selectorELNS0_4arch9wavefront6targetE1EEEvSI_
    .private_segment_fixed_size: 0
    .sgpr_count:     6
    .sgpr_spill_count: 0
    .symbol:         _ZN7rocprim17ROCPRIM_400000_NS6detail17trampoline_kernelINS0_14default_configENS1_35radix_sort_onesweep_config_selectorIbiEEZNS1_34radix_sort_onesweep_global_offsetsIS3_Lb0EN6thrust23THRUST_200600_302600_NS6detail15normal_iteratorINS8_10device_ptrIbEEEENSA_INSB_IiEEEEjNS0_19identity_decomposerEEE10hipError_tT1_T2_PT3_SK_jT4_jjP12ihipStream_tbEUlT_E_NS1_11comp_targetILNS1_3genE0ELNS1_11target_archE4294967295ELNS1_3gpuE0ELNS1_3repE0EEENS1_52radix_sort_onesweep_histogram_config_static_selectorELNS0_4arch9wavefront6targetE1EEEvSI_.kd
    .uniform_work_group_size: 1
    .uses_dynamic_stack: false
    .vgpr_count:     0
    .vgpr_spill_count: 0
    .wavefront_size: 64
  - .agpr_count:     0
    .args:
      - .offset:         0
        .size:           40
        .value_kind:     by_value
    .group_segment_fixed_size: 4096
    .kernarg_segment_align: 8
    .kernarg_segment_size: 40
    .language:       OpenCL C
    .language_version:
      - 2
      - 0
    .max_flat_workgroup_size: 1024
    .name:           _ZN7rocprim17ROCPRIM_400000_NS6detail17trampoline_kernelINS0_14default_configENS1_35radix_sort_onesweep_config_selectorIbiEEZNS1_34radix_sort_onesweep_global_offsetsIS3_Lb0EN6thrust23THRUST_200600_302600_NS6detail15normal_iteratorINS8_10device_ptrIbEEEENSA_INSB_IiEEEEjNS0_19identity_decomposerEEE10hipError_tT1_T2_PT3_SK_jT4_jjP12ihipStream_tbEUlT_E_NS1_11comp_targetILNS1_3genE6ELNS1_11target_archE950ELNS1_3gpuE13ELNS1_3repE0EEENS1_52radix_sort_onesweep_histogram_config_static_selectorELNS0_4arch9wavefront6targetE1EEEvSI_
    .private_segment_fixed_size: 0
    .sgpr_count:     22
    .sgpr_spill_count: 0
    .symbol:         _ZN7rocprim17ROCPRIM_400000_NS6detail17trampoline_kernelINS0_14default_configENS1_35radix_sort_onesweep_config_selectorIbiEEZNS1_34radix_sort_onesweep_global_offsetsIS3_Lb0EN6thrust23THRUST_200600_302600_NS6detail15normal_iteratorINS8_10device_ptrIbEEEENSA_INSB_IiEEEEjNS0_19identity_decomposerEEE10hipError_tT1_T2_PT3_SK_jT4_jjP12ihipStream_tbEUlT_E_NS1_11comp_targetILNS1_3genE6ELNS1_11target_archE950ELNS1_3gpuE13ELNS1_3repE0EEENS1_52radix_sort_onesweep_histogram_config_static_selectorELNS0_4arch9wavefront6targetE1EEEvSI_.kd
    .uniform_work_group_size: 1
    .uses_dynamic_stack: false
    .vgpr_count:     35
    .vgpr_spill_count: 0
    .wavefront_size: 64
  - .agpr_count:     0
    .args:
      - .offset:         0
        .size:           40
        .value_kind:     by_value
    .group_segment_fixed_size: 0
    .kernarg_segment_align: 8
    .kernarg_segment_size: 40
    .language:       OpenCL C
    .language_version:
      - 2
      - 0
    .max_flat_workgroup_size: 1024
    .name:           _ZN7rocprim17ROCPRIM_400000_NS6detail17trampoline_kernelINS0_14default_configENS1_35radix_sort_onesweep_config_selectorIbiEEZNS1_34radix_sort_onesweep_global_offsetsIS3_Lb0EN6thrust23THRUST_200600_302600_NS6detail15normal_iteratorINS8_10device_ptrIbEEEENSA_INSB_IiEEEEjNS0_19identity_decomposerEEE10hipError_tT1_T2_PT3_SK_jT4_jjP12ihipStream_tbEUlT_E_NS1_11comp_targetILNS1_3genE5ELNS1_11target_archE942ELNS1_3gpuE9ELNS1_3repE0EEENS1_52radix_sort_onesweep_histogram_config_static_selectorELNS0_4arch9wavefront6targetE1EEEvSI_
    .private_segment_fixed_size: 0
    .sgpr_count:     6
    .sgpr_spill_count: 0
    .symbol:         _ZN7rocprim17ROCPRIM_400000_NS6detail17trampoline_kernelINS0_14default_configENS1_35radix_sort_onesweep_config_selectorIbiEEZNS1_34radix_sort_onesweep_global_offsetsIS3_Lb0EN6thrust23THRUST_200600_302600_NS6detail15normal_iteratorINS8_10device_ptrIbEEEENSA_INSB_IiEEEEjNS0_19identity_decomposerEEE10hipError_tT1_T2_PT3_SK_jT4_jjP12ihipStream_tbEUlT_E_NS1_11comp_targetILNS1_3genE5ELNS1_11target_archE942ELNS1_3gpuE9ELNS1_3repE0EEENS1_52radix_sort_onesweep_histogram_config_static_selectorELNS0_4arch9wavefront6targetE1EEEvSI_.kd
    .uniform_work_group_size: 1
    .uses_dynamic_stack: false
    .vgpr_count:     0
    .vgpr_spill_count: 0
    .wavefront_size: 64
  - .agpr_count:     0
    .args:
      - .offset:         0
        .size:           40
        .value_kind:     by_value
    .group_segment_fixed_size: 0
    .kernarg_segment_align: 8
    .kernarg_segment_size: 40
    .language:       OpenCL C
    .language_version:
      - 2
      - 0
    .max_flat_workgroup_size: 512
    .name:           _ZN7rocprim17ROCPRIM_400000_NS6detail17trampoline_kernelINS0_14default_configENS1_35radix_sort_onesweep_config_selectorIbiEEZNS1_34radix_sort_onesweep_global_offsetsIS3_Lb0EN6thrust23THRUST_200600_302600_NS6detail15normal_iteratorINS8_10device_ptrIbEEEENSA_INSB_IiEEEEjNS0_19identity_decomposerEEE10hipError_tT1_T2_PT3_SK_jT4_jjP12ihipStream_tbEUlT_E_NS1_11comp_targetILNS1_3genE2ELNS1_11target_archE906ELNS1_3gpuE6ELNS1_3repE0EEENS1_52radix_sort_onesweep_histogram_config_static_selectorELNS0_4arch9wavefront6targetE1EEEvSI_
    .private_segment_fixed_size: 0
    .sgpr_count:     6
    .sgpr_spill_count: 0
    .symbol:         _ZN7rocprim17ROCPRIM_400000_NS6detail17trampoline_kernelINS0_14default_configENS1_35radix_sort_onesweep_config_selectorIbiEEZNS1_34radix_sort_onesweep_global_offsetsIS3_Lb0EN6thrust23THRUST_200600_302600_NS6detail15normal_iteratorINS8_10device_ptrIbEEEENSA_INSB_IiEEEEjNS0_19identity_decomposerEEE10hipError_tT1_T2_PT3_SK_jT4_jjP12ihipStream_tbEUlT_E_NS1_11comp_targetILNS1_3genE2ELNS1_11target_archE906ELNS1_3gpuE6ELNS1_3repE0EEENS1_52radix_sort_onesweep_histogram_config_static_selectorELNS0_4arch9wavefront6targetE1EEEvSI_.kd
    .uniform_work_group_size: 1
    .uses_dynamic_stack: false
    .vgpr_count:     0
    .vgpr_spill_count: 0
    .wavefront_size: 64
  - .agpr_count:     0
    .args:
      - .offset:         0
        .size:           40
        .value_kind:     by_value
    .group_segment_fixed_size: 0
    .kernarg_segment_align: 8
    .kernarg_segment_size: 40
    .language:       OpenCL C
    .language_version:
      - 2
      - 0
    .max_flat_workgroup_size: 512
    .name:           _ZN7rocprim17ROCPRIM_400000_NS6detail17trampoline_kernelINS0_14default_configENS1_35radix_sort_onesweep_config_selectorIbiEEZNS1_34radix_sort_onesweep_global_offsetsIS3_Lb0EN6thrust23THRUST_200600_302600_NS6detail15normal_iteratorINS8_10device_ptrIbEEEENSA_INSB_IiEEEEjNS0_19identity_decomposerEEE10hipError_tT1_T2_PT3_SK_jT4_jjP12ihipStream_tbEUlT_E_NS1_11comp_targetILNS1_3genE4ELNS1_11target_archE910ELNS1_3gpuE8ELNS1_3repE0EEENS1_52radix_sort_onesweep_histogram_config_static_selectorELNS0_4arch9wavefront6targetE1EEEvSI_
    .private_segment_fixed_size: 0
    .sgpr_count:     6
    .sgpr_spill_count: 0
    .symbol:         _ZN7rocprim17ROCPRIM_400000_NS6detail17trampoline_kernelINS0_14default_configENS1_35radix_sort_onesweep_config_selectorIbiEEZNS1_34radix_sort_onesweep_global_offsetsIS3_Lb0EN6thrust23THRUST_200600_302600_NS6detail15normal_iteratorINS8_10device_ptrIbEEEENSA_INSB_IiEEEEjNS0_19identity_decomposerEEE10hipError_tT1_T2_PT3_SK_jT4_jjP12ihipStream_tbEUlT_E_NS1_11comp_targetILNS1_3genE4ELNS1_11target_archE910ELNS1_3gpuE8ELNS1_3repE0EEENS1_52radix_sort_onesweep_histogram_config_static_selectorELNS0_4arch9wavefront6targetE1EEEvSI_.kd
    .uniform_work_group_size: 1
    .uses_dynamic_stack: false
    .vgpr_count:     0
    .vgpr_spill_count: 0
    .wavefront_size: 64
  - .agpr_count:     0
    .args:
      - .offset:         0
        .size:           40
        .value_kind:     by_value
    .group_segment_fixed_size: 0
    .kernarg_segment_align: 8
    .kernarg_segment_size: 40
    .language:       OpenCL C
    .language_version:
      - 2
      - 0
    .max_flat_workgroup_size: 1024
    .name:           _ZN7rocprim17ROCPRIM_400000_NS6detail17trampoline_kernelINS0_14default_configENS1_35radix_sort_onesweep_config_selectorIbiEEZNS1_34radix_sort_onesweep_global_offsetsIS3_Lb0EN6thrust23THRUST_200600_302600_NS6detail15normal_iteratorINS8_10device_ptrIbEEEENSA_INSB_IiEEEEjNS0_19identity_decomposerEEE10hipError_tT1_T2_PT3_SK_jT4_jjP12ihipStream_tbEUlT_E_NS1_11comp_targetILNS1_3genE3ELNS1_11target_archE908ELNS1_3gpuE7ELNS1_3repE0EEENS1_52radix_sort_onesweep_histogram_config_static_selectorELNS0_4arch9wavefront6targetE1EEEvSI_
    .private_segment_fixed_size: 0
    .sgpr_count:     6
    .sgpr_spill_count: 0
    .symbol:         _ZN7rocprim17ROCPRIM_400000_NS6detail17trampoline_kernelINS0_14default_configENS1_35radix_sort_onesweep_config_selectorIbiEEZNS1_34radix_sort_onesweep_global_offsetsIS3_Lb0EN6thrust23THRUST_200600_302600_NS6detail15normal_iteratorINS8_10device_ptrIbEEEENSA_INSB_IiEEEEjNS0_19identity_decomposerEEE10hipError_tT1_T2_PT3_SK_jT4_jjP12ihipStream_tbEUlT_E_NS1_11comp_targetILNS1_3genE3ELNS1_11target_archE908ELNS1_3gpuE7ELNS1_3repE0EEENS1_52radix_sort_onesweep_histogram_config_static_selectorELNS0_4arch9wavefront6targetE1EEEvSI_.kd
    .uniform_work_group_size: 1
    .uses_dynamic_stack: false
    .vgpr_count:     0
    .vgpr_spill_count: 0
    .wavefront_size: 64
  - .agpr_count:     0
    .args:
      - .offset:         0
        .size:           40
        .value_kind:     by_value
    .group_segment_fixed_size: 0
    .kernarg_segment_align: 8
    .kernarg_segment_size: 40
    .language:       OpenCL C
    .language_version:
      - 2
      - 0
    .max_flat_workgroup_size: 1024
    .name:           _ZN7rocprim17ROCPRIM_400000_NS6detail17trampoline_kernelINS0_14default_configENS1_35radix_sort_onesweep_config_selectorIbiEEZNS1_34radix_sort_onesweep_global_offsetsIS3_Lb0EN6thrust23THRUST_200600_302600_NS6detail15normal_iteratorINS8_10device_ptrIbEEEENSA_INSB_IiEEEEjNS0_19identity_decomposerEEE10hipError_tT1_T2_PT3_SK_jT4_jjP12ihipStream_tbEUlT_E_NS1_11comp_targetILNS1_3genE10ELNS1_11target_archE1201ELNS1_3gpuE5ELNS1_3repE0EEENS1_52radix_sort_onesweep_histogram_config_static_selectorELNS0_4arch9wavefront6targetE1EEEvSI_
    .private_segment_fixed_size: 0
    .sgpr_count:     6
    .sgpr_spill_count: 0
    .symbol:         _ZN7rocprim17ROCPRIM_400000_NS6detail17trampoline_kernelINS0_14default_configENS1_35radix_sort_onesweep_config_selectorIbiEEZNS1_34radix_sort_onesweep_global_offsetsIS3_Lb0EN6thrust23THRUST_200600_302600_NS6detail15normal_iteratorINS8_10device_ptrIbEEEENSA_INSB_IiEEEEjNS0_19identity_decomposerEEE10hipError_tT1_T2_PT3_SK_jT4_jjP12ihipStream_tbEUlT_E_NS1_11comp_targetILNS1_3genE10ELNS1_11target_archE1201ELNS1_3gpuE5ELNS1_3repE0EEENS1_52radix_sort_onesweep_histogram_config_static_selectorELNS0_4arch9wavefront6targetE1EEEvSI_.kd
    .uniform_work_group_size: 1
    .uses_dynamic_stack: false
    .vgpr_count:     0
    .vgpr_spill_count: 0
    .wavefront_size: 64
  - .agpr_count:     0
    .args:
      - .offset:         0
        .size:           40
        .value_kind:     by_value
    .group_segment_fixed_size: 0
    .kernarg_segment_align: 8
    .kernarg_segment_size: 40
    .language:       OpenCL C
    .language_version:
      - 2
      - 0
    .max_flat_workgroup_size: 1024
    .name:           _ZN7rocprim17ROCPRIM_400000_NS6detail17trampoline_kernelINS0_14default_configENS1_35radix_sort_onesweep_config_selectorIbiEEZNS1_34radix_sort_onesweep_global_offsetsIS3_Lb0EN6thrust23THRUST_200600_302600_NS6detail15normal_iteratorINS8_10device_ptrIbEEEENSA_INSB_IiEEEEjNS0_19identity_decomposerEEE10hipError_tT1_T2_PT3_SK_jT4_jjP12ihipStream_tbEUlT_E_NS1_11comp_targetILNS1_3genE9ELNS1_11target_archE1100ELNS1_3gpuE3ELNS1_3repE0EEENS1_52radix_sort_onesweep_histogram_config_static_selectorELNS0_4arch9wavefront6targetE1EEEvSI_
    .private_segment_fixed_size: 0
    .sgpr_count:     6
    .sgpr_spill_count: 0
    .symbol:         _ZN7rocprim17ROCPRIM_400000_NS6detail17trampoline_kernelINS0_14default_configENS1_35radix_sort_onesweep_config_selectorIbiEEZNS1_34radix_sort_onesweep_global_offsetsIS3_Lb0EN6thrust23THRUST_200600_302600_NS6detail15normal_iteratorINS8_10device_ptrIbEEEENSA_INSB_IiEEEEjNS0_19identity_decomposerEEE10hipError_tT1_T2_PT3_SK_jT4_jjP12ihipStream_tbEUlT_E_NS1_11comp_targetILNS1_3genE9ELNS1_11target_archE1100ELNS1_3gpuE3ELNS1_3repE0EEENS1_52radix_sort_onesweep_histogram_config_static_selectorELNS0_4arch9wavefront6targetE1EEEvSI_.kd
    .uniform_work_group_size: 1
    .uses_dynamic_stack: false
    .vgpr_count:     0
    .vgpr_spill_count: 0
    .wavefront_size: 64
  - .agpr_count:     0
    .args:
      - .offset:         0
        .size:           40
        .value_kind:     by_value
    .group_segment_fixed_size: 0
    .kernarg_segment_align: 8
    .kernarg_segment_size: 40
    .language:       OpenCL C
    .language_version:
      - 2
      - 0
    .max_flat_workgroup_size: 1024
    .name:           _ZN7rocprim17ROCPRIM_400000_NS6detail17trampoline_kernelINS0_14default_configENS1_35radix_sort_onesweep_config_selectorIbiEEZNS1_34radix_sort_onesweep_global_offsetsIS3_Lb0EN6thrust23THRUST_200600_302600_NS6detail15normal_iteratorINS8_10device_ptrIbEEEENSA_INSB_IiEEEEjNS0_19identity_decomposerEEE10hipError_tT1_T2_PT3_SK_jT4_jjP12ihipStream_tbEUlT_E_NS1_11comp_targetILNS1_3genE8ELNS1_11target_archE1030ELNS1_3gpuE2ELNS1_3repE0EEENS1_52radix_sort_onesweep_histogram_config_static_selectorELNS0_4arch9wavefront6targetE1EEEvSI_
    .private_segment_fixed_size: 0
    .sgpr_count:     6
    .sgpr_spill_count: 0
    .symbol:         _ZN7rocprim17ROCPRIM_400000_NS6detail17trampoline_kernelINS0_14default_configENS1_35radix_sort_onesweep_config_selectorIbiEEZNS1_34radix_sort_onesweep_global_offsetsIS3_Lb0EN6thrust23THRUST_200600_302600_NS6detail15normal_iteratorINS8_10device_ptrIbEEEENSA_INSB_IiEEEEjNS0_19identity_decomposerEEE10hipError_tT1_T2_PT3_SK_jT4_jjP12ihipStream_tbEUlT_E_NS1_11comp_targetILNS1_3genE8ELNS1_11target_archE1030ELNS1_3gpuE2ELNS1_3repE0EEENS1_52radix_sort_onesweep_histogram_config_static_selectorELNS0_4arch9wavefront6targetE1EEEvSI_.kd
    .uniform_work_group_size: 1
    .uses_dynamic_stack: false
    .vgpr_count:     0
    .vgpr_spill_count: 0
    .wavefront_size: 64
  - .agpr_count:     0
    .args:
      - .address_space:  global
        .offset:         0
        .size:           8
        .value_kind:     global_buffer
    .group_segment_fixed_size: 0
    .kernarg_segment_align: 8
    .kernarg_segment_size: 8
    .language:       OpenCL C
    .language_version:
      - 2
      - 0
    .max_flat_workgroup_size: 1024
    .name:           _ZN7rocprim17ROCPRIM_400000_NS6detail17trampoline_kernelINS0_14default_configENS1_35radix_sort_onesweep_config_selectorIbiEEZNS1_34radix_sort_onesweep_global_offsetsIS3_Lb0EN6thrust23THRUST_200600_302600_NS6detail15normal_iteratorINS8_10device_ptrIbEEEENSA_INSB_IiEEEEjNS0_19identity_decomposerEEE10hipError_tT1_T2_PT3_SK_jT4_jjP12ihipStream_tbEUlT_E0_NS1_11comp_targetILNS1_3genE0ELNS1_11target_archE4294967295ELNS1_3gpuE0ELNS1_3repE0EEENS1_52radix_sort_onesweep_histogram_config_static_selectorELNS0_4arch9wavefront6targetE1EEEvSI_
    .private_segment_fixed_size: 0
    .sgpr_count:     6
    .sgpr_spill_count: 0
    .symbol:         _ZN7rocprim17ROCPRIM_400000_NS6detail17trampoline_kernelINS0_14default_configENS1_35radix_sort_onesweep_config_selectorIbiEEZNS1_34radix_sort_onesweep_global_offsetsIS3_Lb0EN6thrust23THRUST_200600_302600_NS6detail15normal_iteratorINS8_10device_ptrIbEEEENSA_INSB_IiEEEEjNS0_19identity_decomposerEEE10hipError_tT1_T2_PT3_SK_jT4_jjP12ihipStream_tbEUlT_E0_NS1_11comp_targetILNS1_3genE0ELNS1_11target_archE4294967295ELNS1_3gpuE0ELNS1_3repE0EEENS1_52radix_sort_onesweep_histogram_config_static_selectorELNS0_4arch9wavefront6targetE1EEEvSI_.kd
    .uniform_work_group_size: 1
    .uses_dynamic_stack: false
    .vgpr_count:     0
    .vgpr_spill_count: 0
    .wavefront_size: 64
  - .agpr_count:     0
    .args:
      - .address_space:  global
        .offset:         0
        .size:           8
        .value_kind:     global_buffer
    .group_segment_fixed_size: 64
    .kernarg_segment_align: 8
    .kernarg_segment_size: 8
    .language:       OpenCL C
    .language_version:
      - 2
      - 0
    .max_flat_workgroup_size: 1024
    .name:           _ZN7rocprim17ROCPRIM_400000_NS6detail17trampoline_kernelINS0_14default_configENS1_35radix_sort_onesweep_config_selectorIbiEEZNS1_34radix_sort_onesweep_global_offsetsIS3_Lb0EN6thrust23THRUST_200600_302600_NS6detail15normal_iteratorINS8_10device_ptrIbEEEENSA_INSB_IiEEEEjNS0_19identity_decomposerEEE10hipError_tT1_T2_PT3_SK_jT4_jjP12ihipStream_tbEUlT_E0_NS1_11comp_targetILNS1_3genE6ELNS1_11target_archE950ELNS1_3gpuE13ELNS1_3repE0EEENS1_52radix_sort_onesweep_histogram_config_static_selectorELNS0_4arch9wavefront6targetE1EEEvSI_
    .private_segment_fixed_size: 0
    .sgpr_count:     20
    .sgpr_spill_count: 0
    .symbol:         _ZN7rocprim17ROCPRIM_400000_NS6detail17trampoline_kernelINS0_14default_configENS1_35radix_sort_onesweep_config_selectorIbiEEZNS1_34radix_sort_onesweep_global_offsetsIS3_Lb0EN6thrust23THRUST_200600_302600_NS6detail15normal_iteratorINS8_10device_ptrIbEEEENSA_INSB_IiEEEEjNS0_19identity_decomposerEEE10hipError_tT1_T2_PT3_SK_jT4_jjP12ihipStream_tbEUlT_E0_NS1_11comp_targetILNS1_3genE6ELNS1_11target_archE950ELNS1_3gpuE13ELNS1_3repE0EEENS1_52radix_sort_onesweep_histogram_config_static_selectorELNS0_4arch9wavefront6targetE1EEEvSI_.kd
    .uniform_work_group_size: 1
    .uses_dynamic_stack: false
    .vgpr_count:     7
    .vgpr_spill_count: 0
    .wavefront_size: 64
  - .agpr_count:     0
    .args:
      - .address_space:  global
        .offset:         0
        .size:           8
        .value_kind:     global_buffer
    .group_segment_fixed_size: 0
    .kernarg_segment_align: 8
    .kernarg_segment_size: 8
    .language:       OpenCL C
    .language_version:
      - 2
      - 0
    .max_flat_workgroup_size: 1024
    .name:           _ZN7rocprim17ROCPRIM_400000_NS6detail17trampoline_kernelINS0_14default_configENS1_35radix_sort_onesweep_config_selectorIbiEEZNS1_34radix_sort_onesweep_global_offsetsIS3_Lb0EN6thrust23THRUST_200600_302600_NS6detail15normal_iteratorINS8_10device_ptrIbEEEENSA_INSB_IiEEEEjNS0_19identity_decomposerEEE10hipError_tT1_T2_PT3_SK_jT4_jjP12ihipStream_tbEUlT_E0_NS1_11comp_targetILNS1_3genE5ELNS1_11target_archE942ELNS1_3gpuE9ELNS1_3repE0EEENS1_52radix_sort_onesweep_histogram_config_static_selectorELNS0_4arch9wavefront6targetE1EEEvSI_
    .private_segment_fixed_size: 0
    .sgpr_count:     6
    .sgpr_spill_count: 0
    .symbol:         _ZN7rocprim17ROCPRIM_400000_NS6detail17trampoline_kernelINS0_14default_configENS1_35radix_sort_onesweep_config_selectorIbiEEZNS1_34radix_sort_onesweep_global_offsetsIS3_Lb0EN6thrust23THRUST_200600_302600_NS6detail15normal_iteratorINS8_10device_ptrIbEEEENSA_INSB_IiEEEEjNS0_19identity_decomposerEEE10hipError_tT1_T2_PT3_SK_jT4_jjP12ihipStream_tbEUlT_E0_NS1_11comp_targetILNS1_3genE5ELNS1_11target_archE942ELNS1_3gpuE9ELNS1_3repE0EEENS1_52radix_sort_onesweep_histogram_config_static_selectorELNS0_4arch9wavefront6targetE1EEEvSI_.kd
    .uniform_work_group_size: 1
    .uses_dynamic_stack: false
    .vgpr_count:     0
    .vgpr_spill_count: 0
    .wavefront_size: 64
  - .agpr_count:     0
    .args:
      - .address_space:  global
        .offset:         0
        .size:           8
        .value_kind:     global_buffer
    .group_segment_fixed_size: 0
    .kernarg_segment_align: 8
    .kernarg_segment_size: 8
    .language:       OpenCL C
    .language_version:
      - 2
      - 0
    .max_flat_workgroup_size: 512
    .name:           _ZN7rocprim17ROCPRIM_400000_NS6detail17trampoline_kernelINS0_14default_configENS1_35radix_sort_onesweep_config_selectorIbiEEZNS1_34radix_sort_onesweep_global_offsetsIS3_Lb0EN6thrust23THRUST_200600_302600_NS6detail15normal_iteratorINS8_10device_ptrIbEEEENSA_INSB_IiEEEEjNS0_19identity_decomposerEEE10hipError_tT1_T2_PT3_SK_jT4_jjP12ihipStream_tbEUlT_E0_NS1_11comp_targetILNS1_3genE2ELNS1_11target_archE906ELNS1_3gpuE6ELNS1_3repE0EEENS1_52radix_sort_onesweep_histogram_config_static_selectorELNS0_4arch9wavefront6targetE1EEEvSI_
    .private_segment_fixed_size: 0
    .sgpr_count:     6
    .sgpr_spill_count: 0
    .symbol:         _ZN7rocprim17ROCPRIM_400000_NS6detail17trampoline_kernelINS0_14default_configENS1_35radix_sort_onesweep_config_selectorIbiEEZNS1_34radix_sort_onesweep_global_offsetsIS3_Lb0EN6thrust23THRUST_200600_302600_NS6detail15normal_iteratorINS8_10device_ptrIbEEEENSA_INSB_IiEEEEjNS0_19identity_decomposerEEE10hipError_tT1_T2_PT3_SK_jT4_jjP12ihipStream_tbEUlT_E0_NS1_11comp_targetILNS1_3genE2ELNS1_11target_archE906ELNS1_3gpuE6ELNS1_3repE0EEENS1_52radix_sort_onesweep_histogram_config_static_selectorELNS0_4arch9wavefront6targetE1EEEvSI_.kd
    .uniform_work_group_size: 1
    .uses_dynamic_stack: false
    .vgpr_count:     0
    .vgpr_spill_count: 0
    .wavefront_size: 64
  - .agpr_count:     0
    .args:
      - .address_space:  global
        .offset:         0
        .size:           8
        .value_kind:     global_buffer
    .group_segment_fixed_size: 0
    .kernarg_segment_align: 8
    .kernarg_segment_size: 8
    .language:       OpenCL C
    .language_version:
      - 2
      - 0
    .max_flat_workgroup_size: 512
    .name:           _ZN7rocprim17ROCPRIM_400000_NS6detail17trampoline_kernelINS0_14default_configENS1_35radix_sort_onesweep_config_selectorIbiEEZNS1_34radix_sort_onesweep_global_offsetsIS3_Lb0EN6thrust23THRUST_200600_302600_NS6detail15normal_iteratorINS8_10device_ptrIbEEEENSA_INSB_IiEEEEjNS0_19identity_decomposerEEE10hipError_tT1_T2_PT3_SK_jT4_jjP12ihipStream_tbEUlT_E0_NS1_11comp_targetILNS1_3genE4ELNS1_11target_archE910ELNS1_3gpuE8ELNS1_3repE0EEENS1_52radix_sort_onesweep_histogram_config_static_selectorELNS0_4arch9wavefront6targetE1EEEvSI_
    .private_segment_fixed_size: 0
    .sgpr_count:     6
    .sgpr_spill_count: 0
    .symbol:         _ZN7rocprim17ROCPRIM_400000_NS6detail17trampoline_kernelINS0_14default_configENS1_35radix_sort_onesweep_config_selectorIbiEEZNS1_34radix_sort_onesweep_global_offsetsIS3_Lb0EN6thrust23THRUST_200600_302600_NS6detail15normal_iteratorINS8_10device_ptrIbEEEENSA_INSB_IiEEEEjNS0_19identity_decomposerEEE10hipError_tT1_T2_PT3_SK_jT4_jjP12ihipStream_tbEUlT_E0_NS1_11comp_targetILNS1_3genE4ELNS1_11target_archE910ELNS1_3gpuE8ELNS1_3repE0EEENS1_52radix_sort_onesweep_histogram_config_static_selectorELNS0_4arch9wavefront6targetE1EEEvSI_.kd
    .uniform_work_group_size: 1
    .uses_dynamic_stack: false
    .vgpr_count:     0
    .vgpr_spill_count: 0
    .wavefront_size: 64
  - .agpr_count:     0
    .args:
      - .address_space:  global
        .offset:         0
        .size:           8
        .value_kind:     global_buffer
    .group_segment_fixed_size: 0
    .kernarg_segment_align: 8
    .kernarg_segment_size: 8
    .language:       OpenCL C
    .language_version:
      - 2
      - 0
    .max_flat_workgroup_size: 1024
    .name:           _ZN7rocprim17ROCPRIM_400000_NS6detail17trampoline_kernelINS0_14default_configENS1_35radix_sort_onesweep_config_selectorIbiEEZNS1_34radix_sort_onesweep_global_offsetsIS3_Lb0EN6thrust23THRUST_200600_302600_NS6detail15normal_iteratorINS8_10device_ptrIbEEEENSA_INSB_IiEEEEjNS0_19identity_decomposerEEE10hipError_tT1_T2_PT3_SK_jT4_jjP12ihipStream_tbEUlT_E0_NS1_11comp_targetILNS1_3genE3ELNS1_11target_archE908ELNS1_3gpuE7ELNS1_3repE0EEENS1_52radix_sort_onesweep_histogram_config_static_selectorELNS0_4arch9wavefront6targetE1EEEvSI_
    .private_segment_fixed_size: 0
    .sgpr_count:     6
    .sgpr_spill_count: 0
    .symbol:         _ZN7rocprim17ROCPRIM_400000_NS6detail17trampoline_kernelINS0_14default_configENS1_35radix_sort_onesweep_config_selectorIbiEEZNS1_34radix_sort_onesweep_global_offsetsIS3_Lb0EN6thrust23THRUST_200600_302600_NS6detail15normal_iteratorINS8_10device_ptrIbEEEENSA_INSB_IiEEEEjNS0_19identity_decomposerEEE10hipError_tT1_T2_PT3_SK_jT4_jjP12ihipStream_tbEUlT_E0_NS1_11comp_targetILNS1_3genE3ELNS1_11target_archE908ELNS1_3gpuE7ELNS1_3repE0EEENS1_52radix_sort_onesweep_histogram_config_static_selectorELNS0_4arch9wavefront6targetE1EEEvSI_.kd
    .uniform_work_group_size: 1
    .uses_dynamic_stack: false
    .vgpr_count:     0
    .vgpr_spill_count: 0
    .wavefront_size: 64
  - .agpr_count:     0
    .args:
      - .address_space:  global
        .offset:         0
        .size:           8
        .value_kind:     global_buffer
    .group_segment_fixed_size: 0
    .kernarg_segment_align: 8
    .kernarg_segment_size: 8
    .language:       OpenCL C
    .language_version:
      - 2
      - 0
    .max_flat_workgroup_size: 1024
    .name:           _ZN7rocprim17ROCPRIM_400000_NS6detail17trampoline_kernelINS0_14default_configENS1_35radix_sort_onesweep_config_selectorIbiEEZNS1_34radix_sort_onesweep_global_offsetsIS3_Lb0EN6thrust23THRUST_200600_302600_NS6detail15normal_iteratorINS8_10device_ptrIbEEEENSA_INSB_IiEEEEjNS0_19identity_decomposerEEE10hipError_tT1_T2_PT3_SK_jT4_jjP12ihipStream_tbEUlT_E0_NS1_11comp_targetILNS1_3genE10ELNS1_11target_archE1201ELNS1_3gpuE5ELNS1_3repE0EEENS1_52radix_sort_onesweep_histogram_config_static_selectorELNS0_4arch9wavefront6targetE1EEEvSI_
    .private_segment_fixed_size: 0
    .sgpr_count:     6
    .sgpr_spill_count: 0
    .symbol:         _ZN7rocprim17ROCPRIM_400000_NS6detail17trampoline_kernelINS0_14default_configENS1_35radix_sort_onesweep_config_selectorIbiEEZNS1_34radix_sort_onesweep_global_offsetsIS3_Lb0EN6thrust23THRUST_200600_302600_NS6detail15normal_iteratorINS8_10device_ptrIbEEEENSA_INSB_IiEEEEjNS0_19identity_decomposerEEE10hipError_tT1_T2_PT3_SK_jT4_jjP12ihipStream_tbEUlT_E0_NS1_11comp_targetILNS1_3genE10ELNS1_11target_archE1201ELNS1_3gpuE5ELNS1_3repE0EEENS1_52radix_sort_onesweep_histogram_config_static_selectorELNS0_4arch9wavefront6targetE1EEEvSI_.kd
    .uniform_work_group_size: 1
    .uses_dynamic_stack: false
    .vgpr_count:     0
    .vgpr_spill_count: 0
    .wavefront_size: 64
  - .agpr_count:     0
    .args:
      - .address_space:  global
        .offset:         0
        .size:           8
        .value_kind:     global_buffer
    .group_segment_fixed_size: 0
    .kernarg_segment_align: 8
    .kernarg_segment_size: 8
    .language:       OpenCL C
    .language_version:
      - 2
      - 0
    .max_flat_workgroup_size: 1024
    .name:           _ZN7rocprim17ROCPRIM_400000_NS6detail17trampoline_kernelINS0_14default_configENS1_35radix_sort_onesweep_config_selectorIbiEEZNS1_34radix_sort_onesweep_global_offsetsIS3_Lb0EN6thrust23THRUST_200600_302600_NS6detail15normal_iteratorINS8_10device_ptrIbEEEENSA_INSB_IiEEEEjNS0_19identity_decomposerEEE10hipError_tT1_T2_PT3_SK_jT4_jjP12ihipStream_tbEUlT_E0_NS1_11comp_targetILNS1_3genE9ELNS1_11target_archE1100ELNS1_3gpuE3ELNS1_3repE0EEENS1_52radix_sort_onesweep_histogram_config_static_selectorELNS0_4arch9wavefront6targetE1EEEvSI_
    .private_segment_fixed_size: 0
    .sgpr_count:     6
    .sgpr_spill_count: 0
    .symbol:         _ZN7rocprim17ROCPRIM_400000_NS6detail17trampoline_kernelINS0_14default_configENS1_35radix_sort_onesweep_config_selectorIbiEEZNS1_34radix_sort_onesweep_global_offsetsIS3_Lb0EN6thrust23THRUST_200600_302600_NS6detail15normal_iteratorINS8_10device_ptrIbEEEENSA_INSB_IiEEEEjNS0_19identity_decomposerEEE10hipError_tT1_T2_PT3_SK_jT4_jjP12ihipStream_tbEUlT_E0_NS1_11comp_targetILNS1_3genE9ELNS1_11target_archE1100ELNS1_3gpuE3ELNS1_3repE0EEENS1_52radix_sort_onesweep_histogram_config_static_selectorELNS0_4arch9wavefront6targetE1EEEvSI_.kd
    .uniform_work_group_size: 1
    .uses_dynamic_stack: false
    .vgpr_count:     0
    .vgpr_spill_count: 0
    .wavefront_size: 64
  - .agpr_count:     0
    .args:
      - .address_space:  global
        .offset:         0
        .size:           8
        .value_kind:     global_buffer
    .group_segment_fixed_size: 0
    .kernarg_segment_align: 8
    .kernarg_segment_size: 8
    .language:       OpenCL C
    .language_version:
      - 2
      - 0
    .max_flat_workgroup_size: 1024
    .name:           _ZN7rocprim17ROCPRIM_400000_NS6detail17trampoline_kernelINS0_14default_configENS1_35radix_sort_onesweep_config_selectorIbiEEZNS1_34radix_sort_onesweep_global_offsetsIS3_Lb0EN6thrust23THRUST_200600_302600_NS6detail15normal_iteratorINS8_10device_ptrIbEEEENSA_INSB_IiEEEEjNS0_19identity_decomposerEEE10hipError_tT1_T2_PT3_SK_jT4_jjP12ihipStream_tbEUlT_E0_NS1_11comp_targetILNS1_3genE8ELNS1_11target_archE1030ELNS1_3gpuE2ELNS1_3repE0EEENS1_52radix_sort_onesweep_histogram_config_static_selectorELNS0_4arch9wavefront6targetE1EEEvSI_
    .private_segment_fixed_size: 0
    .sgpr_count:     6
    .sgpr_spill_count: 0
    .symbol:         _ZN7rocprim17ROCPRIM_400000_NS6detail17trampoline_kernelINS0_14default_configENS1_35radix_sort_onesweep_config_selectorIbiEEZNS1_34radix_sort_onesweep_global_offsetsIS3_Lb0EN6thrust23THRUST_200600_302600_NS6detail15normal_iteratorINS8_10device_ptrIbEEEENSA_INSB_IiEEEEjNS0_19identity_decomposerEEE10hipError_tT1_T2_PT3_SK_jT4_jjP12ihipStream_tbEUlT_E0_NS1_11comp_targetILNS1_3genE8ELNS1_11target_archE1030ELNS1_3gpuE2ELNS1_3repE0EEENS1_52radix_sort_onesweep_histogram_config_static_selectorELNS0_4arch9wavefront6targetE1EEEvSI_.kd
    .uniform_work_group_size: 1
    .uses_dynamic_stack: false
    .vgpr_count:     0
    .vgpr_spill_count: 0
    .wavefront_size: 64
  - .agpr_count:     0
    .args:
      - .offset:         0
        .size:           40
        .value_kind:     by_value
      - .offset:         40
        .size:           4
        .value_kind:     hidden_block_count_x
      - .offset:         44
        .size:           4
        .value_kind:     hidden_block_count_y
      - .offset:         48
        .size:           4
        .value_kind:     hidden_block_count_z
      - .offset:         52
        .size:           2
        .value_kind:     hidden_group_size_x
      - .offset:         54
        .size:           2
        .value_kind:     hidden_group_size_y
      - .offset:         56
        .size:           2
        .value_kind:     hidden_group_size_z
      - .offset:         58
        .size:           2
        .value_kind:     hidden_remainder_x
      - .offset:         60
        .size:           2
        .value_kind:     hidden_remainder_y
      - .offset:         62
        .size:           2
        .value_kind:     hidden_remainder_z
      - .offset:         80
        .size:           8
        .value_kind:     hidden_global_offset_x
      - .offset:         88
        .size:           8
        .value_kind:     hidden_global_offset_y
      - .offset:         96
        .size:           8
        .value_kind:     hidden_global_offset_z
      - .offset:         104
        .size:           2
        .value_kind:     hidden_grid_dims
    .group_segment_fixed_size: 0
    .kernarg_segment_align: 8
    .kernarg_segment_size: 296
    .language:       OpenCL C
    .language_version:
      - 2
      - 0
    .max_flat_workgroup_size: 128
    .name:           _ZN7rocprim17ROCPRIM_400000_NS6detail17trampoline_kernelINS0_14default_configENS1_25transform_config_selectorIbLb0EEEZNS1_14transform_implILb0ES3_S5_N6thrust23THRUST_200600_302600_NS6detail15normal_iteratorINS8_10device_ptrIbEEEEPbNS0_8identityIbEEEE10hipError_tT2_T3_mT4_P12ihipStream_tbEUlT_E_NS1_11comp_targetILNS1_3genE0ELNS1_11target_archE4294967295ELNS1_3gpuE0ELNS1_3repE0EEENS1_30default_config_static_selectorELNS0_4arch9wavefront6targetE1EEEvT1_
    .private_segment_fixed_size: 0
    .sgpr_count:     32
    .sgpr_spill_count: 0
    .symbol:         _ZN7rocprim17ROCPRIM_400000_NS6detail17trampoline_kernelINS0_14default_configENS1_25transform_config_selectorIbLb0EEEZNS1_14transform_implILb0ES3_S5_N6thrust23THRUST_200600_302600_NS6detail15normal_iteratorINS8_10device_ptrIbEEEEPbNS0_8identityIbEEEE10hipError_tT2_T3_mT4_P12ihipStream_tbEUlT_E_NS1_11comp_targetILNS1_3genE0ELNS1_11target_archE4294967295ELNS1_3gpuE0ELNS1_3repE0EEENS1_30default_config_static_selectorELNS0_4arch9wavefront6targetE1EEEvT1_.kd
    .uniform_work_group_size: 1
    .uses_dynamic_stack: false
    .vgpr_count:     12
    .vgpr_spill_count: 0
    .wavefront_size: 64
  - .agpr_count:     0
    .args:
      - .offset:         0
        .size:           40
        .value_kind:     by_value
    .group_segment_fixed_size: 0
    .kernarg_segment_align: 8
    .kernarg_segment_size: 40
    .language:       OpenCL C
    .language_version:
      - 2
      - 0
    .max_flat_workgroup_size: 1024
    .name:           _ZN7rocprim17ROCPRIM_400000_NS6detail17trampoline_kernelINS0_14default_configENS1_25transform_config_selectorIbLb0EEEZNS1_14transform_implILb0ES3_S5_N6thrust23THRUST_200600_302600_NS6detail15normal_iteratorINS8_10device_ptrIbEEEEPbNS0_8identityIbEEEE10hipError_tT2_T3_mT4_P12ihipStream_tbEUlT_E_NS1_11comp_targetILNS1_3genE5ELNS1_11target_archE942ELNS1_3gpuE9ELNS1_3repE0EEENS1_30default_config_static_selectorELNS0_4arch9wavefront6targetE1EEEvT1_
    .private_segment_fixed_size: 0
    .sgpr_count:     6
    .sgpr_spill_count: 0
    .symbol:         _ZN7rocprim17ROCPRIM_400000_NS6detail17trampoline_kernelINS0_14default_configENS1_25transform_config_selectorIbLb0EEEZNS1_14transform_implILb0ES3_S5_N6thrust23THRUST_200600_302600_NS6detail15normal_iteratorINS8_10device_ptrIbEEEEPbNS0_8identityIbEEEE10hipError_tT2_T3_mT4_P12ihipStream_tbEUlT_E_NS1_11comp_targetILNS1_3genE5ELNS1_11target_archE942ELNS1_3gpuE9ELNS1_3repE0EEENS1_30default_config_static_selectorELNS0_4arch9wavefront6targetE1EEEvT1_.kd
    .uniform_work_group_size: 1
    .uses_dynamic_stack: false
    .vgpr_count:     0
    .vgpr_spill_count: 0
    .wavefront_size: 64
  - .agpr_count:     0
    .args:
      - .offset:         0
        .size:           40
        .value_kind:     by_value
    .group_segment_fixed_size: 0
    .kernarg_segment_align: 8
    .kernarg_segment_size: 40
    .language:       OpenCL C
    .language_version:
      - 2
      - 0
    .max_flat_workgroup_size: 64
    .name:           _ZN7rocprim17ROCPRIM_400000_NS6detail17trampoline_kernelINS0_14default_configENS1_25transform_config_selectorIbLb0EEEZNS1_14transform_implILb0ES3_S5_N6thrust23THRUST_200600_302600_NS6detail15normal_iteratorINS8_10device_ptrIbEEEEPbNS0_8identityIbEEEE10hipError_tT2_T3_mT4_P12ihipStream_tbEUlT_E_NS1_11comp_targetILNS1_3genE4ELNS1_11target_archE910ELNS1_3gpuE8ELNS1_3repE0EEENS1_30default_config_static_selectorELNS0_4arch9wavefront6targetE1EEEvT1_
    .private_segment_fixed_size: 0
    .sgpr_count:     6
    .sgpr_spill_count: 0
    .symbol:         _ZN7rocprim17ROCPRIM_400000_NS6detail17trampoline_kernelINS0_14default_configENS1_25transform_config_selectorIbLb0EEEZNS1_14transform_implILb0ES3_S5_N6thrust23THRUST_200600_302600_NS6detail15normal_iteratorINS8_10device_ptrIbEEEEPbNS0_8identityIbEEEE10hipError_tT2_T3_mT4_P12ihipStream_tbEUlT_E_NS1_11comp_targetILNS1_3genE4ELNS1_11target_archE910ELNS1_3gpuE8ELNS1_3repE0EEENS1_30default_config_static_selectorELNS0_4arch9wavefront6targetE1EEEvT1_.kd
    .uniform_work_group_size: 1
    .uses_dynamic_stack: false
    .vgpr_count:     0
    .vgpr_spill_count: 0
    .wavefront_size: 64
  - .agpr_count:     0
    .args:
      - .offset:         0
        .size:           40
        .value_kind:     by_value
    .group_segment_fixed_size: 0
    .kernarg_segment_align: 8
    .kernarg_segment_size: 40
    .language:       OpenCL C
    .language_version:
      - 2
      - 0
    .max_flat_workgroup_size: 128
    .name:           _ZN7rocprim17ROCPRIM_400000_NS6detail17trampoline_kernelINS0_14default_configENS1_25transform_config_selectorIbLb0EEEZNS1_14transform_implILb0ES3_S5_N6thrust23THRUST_200600_302600_NS6detail15normal_iteratorINS8_10device_ptrIbEEEEPbNS0_8identityIbEEEE10hipError_tT2_T3_mT4_P12ihipStream_tbEUlT_E_NS1_11comp_targetILNS1_3genE3ELNS1_11target_archE908ELNS1_3gpuE7ELNS1_3repE0EEENS1_30default_config_static_selectorELNS0_4arch9wavefront6targetE1EEEvT1_
    .private_segment_fixed_size: 0
    .sgpr_count:     6
    .sgpr_spill_count: 0
    .symbol:         _ZN7rocprim17ROCPRIM_400000_NS6detail17trampoline_kernelINS0_14default_configENS1_25transform_config_selectorIbLb0EEEZNS1_14transform_implILb0ES3_S5_N6thrust23THRUST_200600_302600_NS6detail15normal_iteratorINS8_10device_ptrIbEEEEPbNS0_8identityIbEEEE10hipError_tT2_T3_mT4_P12ihipStream_tbEUlT_E_NS1_11comp_targetILNS1_3genE3ELNS1_11target_archE908ELNS1_3gpuE7ELNS1_3repE0EEENS1_30default_config_static_selectorELNS0_4arch9wavefront6targetE1EEEvT1_.kd
    .uniform_work_group_size: 1
    .uses_dynamic_stack: false
    .vgpr_count:     0
    .vgpr_spill_count: 0
    .wavefront_size: 64
  - .agpr_count:     0
    .args:
      - .offset:         0
        .size:           40
        .value_kind:     by_value
    .group_segment_fixed_size: 0
    .kernarg_segment_align: 8
    .kernarg_segment_size: 40
    .language:       OpenCL C
    .language_version:
      - 2
      - 0
    .max_flat_workgroup_size: 64
    .name:           _ZN7rocprim17ROCPRIM_400000_NS6detail17trampoline_kernelINS0_14default_configENS1_25transform_config_selectorIbLb0EEEZNS1_14transform_implILb0ES3_S5_N6thrust23THRUST_200600_302600_NS6detail15normal_iteratorINS8_10device_ptrIbEEEEPbNS0_8identityIbEEEE10hipError_tT2_T3_mT4_P12ihipStream_tbEUlT_E_NS1_11comp_targetILNS1_3genE2ELNS1_11target_archE906ELNS1_3gpuE6ELNS1_3repE0EEENS1_30default_config_static_selectorELNS0_4arch9wavefront6targetE1EEEvT1_
    .private_segment_fixed_size: 0
    .sgpr_count:     6
    .sgpr_spill_count: 0
    .symbol:         _ZN7rocprim17ROCPRIM_400000_NS6detail17trampoline_kernelINS0_14default_configENS1_25transform_config_selectorIbLb0EEEZNS1_14transform_implILb0ES3_S5_N6thrust23THRUST_200600_302600_NS6detail15normal_iteratorINS8_10device_ptrIbEEEEPbNS0_8identityIbEEEE10hipError_tT2_T3_mT4_P12ihipStream_tbEUlT_E_NS1_11comp_targetILNS1_3genE2ELNS1_11target_archE906ELNS1_3gpuE6ELNS1_3repE0EEENS1_30default_config_static_selectorELNS0_4arch9wavefront6targetE1EEEvT1_.kd
    .uniform_work_group_size: 1
    .uses_dynamic_stack: false
    .vgpr_count:     0
    .vgpr_spill_count: 0
    .wavefront_size: 64
  - .agpr_count:     0
    .args:
      - .offset:         0
        .size:           40
        .value_kind:     by_value
    .group_segment_fixed_size: 0
    .kernarg_segment_align: 8
    .kernarg_segment_size: 40
    .language:       OpenCL C
    .language_version:
      - 2
      - 0
    .max_flat_workgroup_size: 256
    .name:           _ZN7rocprim17ROCPRIM_400000_NS6detail17trampoline_kernelINS0_14default_configENS1_25transform_config_selectorIbLb0EEEZNS1_14transform_implILb0ES3_S5_N6thrust23THRUST_200600_302600_NS6detail15normal_iteratorINS8_10device_ptrIbEEEEPbNS0_8identityIbEEEE10hipError_tT2_T3_mT4_P12ihipStream_tbEUlT_E_NS1_11comp_targetILNS1_3genE10ELNS1_11target_archE1201ELNS1_3gpuE5ELNS1_3repE0EEENS1_30default_config_static_selectorELNS0_4arch9wavefront6targetE1EEEvT1_
    .private_segment_fixed_size: 0
    .sgpr_count:     6
    .sgpr_spill_count: 0
    .symbol:         _ZN7rocprim17ROCPRIM_400000_NS6detail17trampoline_kernelINS0_14default_configENS1_25transform_config_selectorIbLb0EEEZNS1_14transform_implILb0ES3_S5_N6thrust23THRUST_200600_302600_NS6detail15normal_iteratorINS8_10device_ptrIbEEEEPbNS0_8identityIbEEEE10hipError_tT2_T3_mT4_P12ihipStream_tbEUlT_E_NS1_11comp_targetILNS1_3genE10ELNS1_11target_archE1201ELNS1_3gpuE5ELNS1_3repE0EEENS1_30default_config_static_selectorELNS0_4arch9wavefront6targetE1EEEvT1_.kd
    .uniform_work_group_size: 1
    .uses_dynamic_stack: false
    .vgpr_count:     0
    .vgpr_spill_count: 0
    .wavefront_size: 64
  - .agpr_count:     0
    .args:
      - .offset:         0
        .size:           40
        .value_kind:     by_value
    .group_segment_fixed_size: 0
    .kernarg_segment_align: 8
    .kernarg_segment_size: 40
    .language:       OpenCL C
    .language_version:
      - 2
      - 0
    .max_flat_workgroup_size: 256
    .name:           _ZN7rocprim17ROCPRIM_400000_NS6detail17trampoline_kernelINS0_14default_configENS1_25transform_config_selectorIbLb0EEEZNS1_14transform_implILb0ES3_S5_N6thrust23THRUST_200600_302600_NS6detail15normal_iteratorINS8_10device_ptrIbEEEEPbNS0_8identityIbEEEE10hipError_tT2_T3_mT4_P12ihipStream_tbEUlT_E_NS1_11comp_targetILNS1_3genE10ELNS1_11target_archE1200ELNS1_3gpuE4ELNS1_3repE0EEENS1_30default_config_static_selectorELNS0_4arch9wavefront6targetE1EEEvT1_
    .private_segment_fixed_size: 0
    .sgpr_count:     6
    .sgpr_spill_count: 0
    .symbol:         _ZN7rocprim17ROCPRIM_400000_NS6detail17trampoline_kernelINS0_14default_configENS1_25transform_config_selectorIbLb0EEEZNS1_14transform_implILb0ES3_S5_N6thrust23THRUST_200600_302600_NS6detail15normal_iteratorINS8_10device_ptrIbEEEEPbNS0_8identityIbEEEE10hipError_tT2_T3_mT4_P12ihipStream_tbEUlT_E_NS1_11comp_targetILNS1_3genE10ELNS1_11target_archE1200ELNS1_3gpuE4ELNS1_3repE0EEENS1_30default_config_static_selectorELNS0_4arch9wavefront6targetE1EEEvT1_.kd
    .uniform_work_group_size: 1
    .uses_dynamic_stack: false
    .vgpr_count:     0
    .vgpr_spill_count: 0
    .wavefront_size: 64
  - .agpr_count:     0
    .args:
      - .offset:         0
        .size:           40
        .value_kind:     by_value
    .group_segment_fixed_size: 0
    .kernarg_segment_align: 8
    .kernarg_segment_size: 40
    .language:       OpenCL C
    .language_version:
      - 2
      - 0
    .max_flat_workgroup_size: 1024
    .name:           _ZN7rocprim17ROCPRIM_400000_NS6detail17trampoline_kernelINS0_14default_configENS1_25transform_config_selectorIbLb0EEEZNS1_14transform_implILb0ES3_S5_N6thrust23THRUST_200600_302600_NS6detail15normal_iteratorINS8_10device_ptrIbEEEEPbNS0_8identityIbEEEE10hipError_tT2_T3_mT4_P12ihipStream_tbEUlT_E_NS1_11comp_targetILNS1_3genE9ELNS1_11target_archE1100ELNS1_3gpuE3ELNS1_3repE0EEENS1_30default_config_static_selectorELNS0_4arch9wavefront6targetE1EEEvT1_
    .private_segment_fixed_size: 0
    .sgpr_count:     6
    .sgpr_spill_count: 0
    .symbol:         _ZN7rocprim17ROCPRIM_400000_NS6detail17trampoline_kernelINS0_14default_configENS1_25transform_config_selectorIbLb0EEEZNS1_14transform_implILb0ES3_S5_N6thrust23THRUST_200600_302600_NS6detail15normal_iteratorINS8_10device_ptrIbEEEEPbNS0_8identityIbEEEE10hipError_tT2_T3_mT4_P12ihipStream_tbEUlT_E_NS1_11comp_targetILNS1_3genE9ELNS1_11target_archE1100ELNS1_3gpuE3ELNS1_3repE0EEENS1_30default_config_static_selectorELNS0_4arch9wavefront6targetE1EEEvT1_.kd
    .uniform_work_group_size: 1
    .uses_dynamic_stack: false
    .vgpr_count:     0
    .vgpr_spill_count: 0
    .wavefront_size: 64
  - .agpr_count:     0
    .args:
      - .offset:         0
        .size:           40
        .value_kind:     by_value
    .group_segment_fixed_size: 0
    .kernarg_segment_align: 8
    .kernarg_segment_size: 40
    .language:       OpenCL C
    .language_version:
      - 2
      - 0
    .max_flat_workgroup_size: 128
    .name:           _ZN7rocprim17ROCPRIM_400000_NS6detail17trampoline_kernelINS0_14default_configENS1_25transform_config_selectorIbLb0EEEZNS1_14transform_implILb0ES3_S5_N6thrust23THRUST_200600_302600_NS6detail15normal_iteratorINS8_10device_ptrIbEEEEPbNS0_8identityIbEEEE10hipError_tT2_T3_mT4_P12ihipStream_tbEUlT_E_NS1_11comp_targetILNS1_3genE8ELNS1_11target_archE1030ELNS1_3gpuE2ELNS1_3repE0EEENS1_30default_config_static_selectorELNS0_4arch9wavefront6targetE1EEEvT1_
    .private_segment_fixed_size: 0
    .sgpr_count:     6
    .sgpr_spill_count: 0
    .symbol:         _ZN7rocprim17ROCPRIM_400000_NS6detail17trampoline_kernelINS0_14default_configENS1_25transform_config_selectorIbLb0EEEZNS1_14transform_implILb0ES3_S5_N6thrust23THRUST_200600_302600_NS6detail15normal_iteratorINS8_10device_ptrIbEEEEPbNS0_8identityIbEEEE10hipError_tT2_T3_mT4_P12ihipStream_tbEUlT_E_NS1_11comp_targetILNS1_3genE8ELNS1_11target_archE1030ELNS1_3gpuE2ELNS1_3repE0EEENS1_30default_config_static_selectorELNS0_4arch9wavefront6targetE1EEEvT1_.kd
    .uniform_work_group_size: 1
    .uses_dynamic_stack: false
    .vgpr_count:     0
    .vgpr_spill_count: 0
    .wavefront_size: 64
  - .agpr_count:     0
    .args:
      - .offset:         0
        .size:           88
        .value_kind:     by_value
    .group_segment_fixed_size: 0
    .kernarg_segment_align: 8
    .kernarg_segment_size: 88
    .language:       OpenCL C
    .language_version:
      - 2
      - 0
    .max_flat_workgroup_size: 1024
    .name:           _ZN7rocprim17ROCPRIM_400000_NS6detail17trampoline_kernelINS0_14default_configENS1_35radix_sort_onesweep_config_selectorIbiEEZZNS1_29radix_sort_onesweep_iterationIS3_Lb0EN6thrust23THRUST_200600_302600_NS6detail15normal_iteratorINS8_10device_ptrIbEEEESD_NSA_INSB_IiEEEESF_jNS0_19identity_decomposerENS1_16block_id_wrapperIjLb1EEEEE10hipError_tT1_PNSt15iterator_traitsISK_E10value_typeET2_T3_PNSL_ISQ_E10value_typeET4_T5_PSV_SW_PNS1_23onesweep_lookback_stateEbbT6_jjT7_P12ihipStream_tbENKUlT_T0_SK_SP_E_clISD_SD_SF_SF_EEDaS13_S14_SK_SP_EUlS13_E_NS1_11comp_targetILNS1_3genE0ELNS1_11target_archE4294967295ELNS1_3gpuE0ELNS1_3repE0EEENS1_47radix_sort_onesweep_sort_config_static_selectorELNS0_4arch9wavefront6targetE1EEEvSK_
    .private_segment_fixed_size: 0
    .sgpr_count:     6
    .sgpr_spill_count: 0
    .symbol:         _ZN7rocprim17ROCPRIM_400000_NS6detail17trampoline_kernelINS0_14default_configENS1_35radix_sort_onesweep_config_selectorIbiEEZZNS1_29radix_sort_onesweep_iterationIS3_Lb0EN6thrust23THRUST_200600_302600_NS6detail15normal_iteratorINS8_10device_ptrIbEEEESD_NSA_INSB_IiEEEESF_jNS0_19identity_decomposerENS1_16block_id_wrapperIjLb1EEEEE10hipError_tT1_PNSt15iterator_traitsISK_E10value_typeET2_T3_PNSL_ISQ_E10value_typeET4_T5_PSV_SW_PNS1_23onesweep_lookback_stateEbbT6_jjT7_P12ihipStream_tbENKUlT_T0_SK_SP_E_clISD_SD_SF_SF_EEDaS13_S14_SK_SP_EUlS13_E_NS1_11comp_targetILNS1_3genE0ELNS1_11target_archE4294967295ELNS1_3gpuE0ELNS1_3repE0EEENS1_47radix_sort_onesweep_sort_config_static_selectorELNS0_4arch9wavefront6targetE1EEEvSK_.kd
    .uniform_work_group_size: 1
    .uses_dynamic_stack: false
    .vgpr_count:     0
    .vgpr_spill_count: 0
    .wavefront_size: 64
  - .agpr_count:     0
    .args:
      - .offset:         0
        .size:           88
        .value_kind:     by_value
      - .offset:         88
        .size:           4
        .value_kind:     hidden_block_count_x
      - .offset:         92
        .size:           4
        .value_kind:     hidden_block_count_y
      - .offset:         96
        .size:           4
        .value_kind:     hidden_block_count_z
      - .offset:         100
        .size:           2
        .value_kind:     hidden_group_size_x
      - .offset:         102
        .size:           2
        .value_kind:     hidden_group_size_y
      - .offset:         104
        .size:           2
        .value_kind:     hidden_group_size_z
      - .offset:         106
        .size:           2
        .value_kind:     hidden_remainder_x
      - .offset:         108
        .size:           2
        .value_kind:     hidden_remainder_y
      - .offset:         110
        .size:           2
        .value_kind:     hidden_remainder_z
      - .offset:         128
        .size:           8
        .value_kind:     hidden_global_offset_x
      - .offset:         136
        .size:           8
        .value_kind:     hidden_global_offset_y
      - .offset:         144
        .size:           8
        .value_kind:     hidden_global_offset_z
      - .offset:         152
        .size:           2
        .value_kind:     hidden_grid_dims
    .group_segment_fixed_size: 20552
    .kernarg_segment_align: 8
    .kernarg_segment_size: 344
    .language:       OpenCL C
    .language_version:
      - 2
      - 0
    .max_flat_workgroup_size: 1024
    .name:           _ZN7rocprim17ROCPRIM_400000_NS6detail17trampoline_kernelINS0_14default_configENS1_35radix_sort_onesweep_config_selectorIbiEEZZNS1_29radix_sort_onesweep_iterationIS3_Lb0EN6thrust23THRUST_200600_302600_NS6detail15normal_iteratorINS8_10device_ptrIbEEEESD_NSA_INSB_IiEEEESF_jNS0_19identity_decomposerENS1_16block_id_wrapperIjLb1EEEEE10hipError_tT1_PNSt15iterator_traitsISK_E10value_typeET2_T3_PNSL_ISQ_E10value_typeET4_T5_PSV_SW_PNS1_23onesweep_lookback_stateEbbT6_jjT7_P12ihipStream_tbENKUlT_T0_SK_SP_E_clISD_SD_SF_SF_EEDaS13_S14_SK_SP_EUlS13_E_NS1_11comp_targetILNS1_3genE6ELNS1_11target_archE950ELNS1_3gpuE13ELNS1_3repE0EEENS1_47radix_sort_onesweep_sort_config_static_selectorELNS0_4arch9wavefront6targetE1EEEvSK_
    .private_segment_fixed_size: 80
    .sgpr_count:     78
    .sgpr_spill_count: 0
    .symbol:         _ZN7rocprim17ROCPRIM_400000_NS6detail17trampoline_kernelINS0_14default_configENS1_35radix_sort_onesweep_config_selectorIbiEEZZNS1_29radix_sort_onesweep_iterationIS3_Lb0EN6thrust23THRUST_200600_302600_NS6detail15normal_iteratorINS8_10device_ptrIbEEEESD_NSA_INSB_IiEEEESF_jNS0_19identity_decomposerENS1_16block_id_wrapperIjLb1EEEEE10hipError_tT1_PNSt15iterator_traitsISK_E10value_typeET2_T3_PNSL_ISQ_E10value_typeET4_T5_PSV_SW_PNS1_23onesweep_lookback_stateEbbT6_jjT7_P12ihipStream_tbENKUlT_T0_SK_SP_E_clISD_SD_SF_SF_EEDaS13_S14_SK_SP_EUlS13_E_NS1_11comp_targetILNS1_3genE6ELNS1_11target_archE950ELNS1_3gpuE13ELNS1_3repE0EEENS1_47radix_sort_onesweep_sort_config_static_selectorELNS0_4arch9wavefront6targetE1EEEvSK_.kd
    .uniform_work_group_size: 1
    .uses_dynamic_stack: false
    .vgpr_count:     100
    .vgpr_spill_count: 0
    .wavefront_size: 64
  - .agpr_count:     0
    .args:
      - .offset:         0
        .size:           88
        .value_kind:     by_value
    .group_segment_fixed_size: 0
    .kernarg_segment_align: 8
    .kernarg_segment_size: 88
    .language:       OpenCL C
    .language_version:
      - 2
      - 0
    .max_flat_workgroup_size: 1024
    .name:           _ZN7rocprim17ROCPRIM_400000_NS6detail17trampoline_kernelINS0_14default_configENS1_35radix_sort_onesweep_config_selectorIbiEEZZNS1_29radix_sort_onesweep_iterationIS3_Lb0EN6thrust23THRUST_200600_302600_NS6detail15normal_iteratorINS8_10device_ptrIbEEEESD_NSA_INSB_IiEEEESF_jNS0_19identity_decomposerENS1_16block_id_wrapperIjLb1EEEEE10hipError_tT1_PNSt15iterator_traitsISK_E10value_typeET2_T3_PNSL_ISQ_E10value_typeET4_T5_PSV_SW_PNS1_23onesweep_lookback_stateEbbT6_jjT7_P12ihipStream_tbENKUlT_T0_SK_SP_E_clISD_SD_SF_SF_EEDaS13_S14_SK_SP_EUlS13_E_NS1_11comp_targetILNS1_3genE5ELNS1_11target_archE942ELNS1_3gpuE9ELNS1_3repE0EEENS1_47radix_sort_onesweep_sort_config_static_selectorELNS0_4arch9wavefront6targetE1EEEvSK_
    .private_segment_fixed_size: 0
    .sgpr_count:     6
    .sgpr_spill_count: 0
    .symbol:         _ZN7rocprim17ROCPRIM_400000_NS6detail17trampoline_kernelINS0_14default_configENS1_35radix_sort_onesweep_config_selectorIbiEEZZNS1_29radix_sort_onesweep_iterationIS3_Lb0EN6thrust23THRUST_200600_302600_NS6detail15normal_iteratorINS8_10device_ptrIbEEEESD_NSA_INSB_IiEEEESF_jNS0_19identity_decomposerENS1_16block_id_wrapperIjLb1EEEEE10hipError_tT1_PNSt15iterator_traitsISK_E10value_typeET2_T3_PNSL_ISQ_E10value_typeET4_T5_PSV_SW_PNS1_23onesweep_lookback_stateEbbT6_jjT7_P12ihipStream_tbENKUlT_T0_SK_SP_E_clISD_SD_SF_SF_EEDaS13_S14_SK_SP_EUlS13_E_NS1_11comp_targetILNS1_3genE5ELNS1_11target_archE942ELNS1_3gpuE9ELNS1_3repE0EEENS1_47radix_sort_onesweep_sort_config_static_selectorELNS0_4arch9wavefront6targetE1EEEvSK_.kd
    .uniform_work_group_size: 1
    .uses_dynamic_stack: false
    .vgpr_count:     0
    .vgpr_spill_count: 0
    .wavefront_size: 64
  - .agpr_count:     0
    .args:
      - .offset:         0
        .size:           88
        .value_kind:     by_value
    .group_segment_fixed_size: 0
    .kernarg_segment_align: 8
    .kernarg_segment_size: 88
    .language:       OpenCL C
    .language_version:
      - 2
      - 0
    .max_flat_workgroup_size: 512
    .name:           _ZN7rocprim17ROCPRIM_400000_NS6detail17trampoline_kernelINS0_14default_configENS1_35radix_sort_onesweep_config_selectorIbiEEZZNS1_29radix_sort_onesweep_iterationIS3_Lb0EN6thrust23THRUST_200600_302600_NS6detail15normal_iteratorINS8_10device_ptrIbEEEESD_NSA_INSB_IiEEEESF_jNS0_19identity_decomposerENS1_16block_id_wrapperIjLb1EEEEE10hipError_tT1_PNSt15iterator_traitsISK_E10value_typeET2_T3_PNSL_ISQ_E10value_typeET4_T5_PSV_SW_PNS1_23onesweep_lookback_stateEbbT6_jjT7_P12ihipStream_tbENKUlT_T0_SK_SP_E_clISD_SD_SF_SF_EEDaS13_S14_SK_SP_EUlS13_E_NS1_11comp_targetILNS1_3genE2ELNS1_11target_archE906ELNS1_3gpuE6ELNS1_3repE0EEENS1_47radix_sort_onesweep_sort_config_static_selectorELNS0_4arch9wavefront6targetE1EEEvSK_
    .private_segment_fixed_size: 0
    .sgpr_count:     6
    .sgpr_spill_count: 0
    .symbol:         _ZN7rocprim17ROCPRIM_400000_NS6detail17trampoline_kernelINS0_14default_configENS1_35radix_sort_onesweep_config_selectorIbiEEZZNS1_29radix_sort_onesweep_iterationIS3_Lb0EN6thrust23THRUST_200600_302600_NS6detail15normal_iteratorINS8_10device_ptrIbEEEESD_NSA_INSB_IiEEEESF_jNS0_19identity_decomposerENS1_16block_id_wrapperIjLb1EEEEE10hipError_tT1_PNSt15iterator_traitsISK_E10value_typeET2_T3_PNSL_ISQ_E10value_typeET4_T5_PSV_SW_PNS1_23onesweep_lookback_stateEbbT6_jjT7_P12ihipStream_tbENKUlT_T0_SK_SP_E_clISD_SD_SF_SF_EEDaS13_S14_SK_SP_EUlS13_E_NS1_11comp_targetILNS1_3genE2ELNS1_11target_archE906ELNS1_3gpuE6ELNS1_3repE0EEENS1_47radix_sort_onesweep_sort_config_static_selectorELNS0_4arch9wavefront6targetE1EEEvSK_.kd
    .uniform_work_group_size: 1
    .uses_dynamic_stack: false
    .vgpr_count:     0
    .vgpr_spill_count: 0
    .wavefront_size: 64
  - .agpr_count:     0
    .args:
      - .offset:         0
        .size:           88
        .value_kind:     by_value
    .group_segment_fixed_size: 0
    .kernarg_segment_align: 8
    .kernarg_segment_size: 88
    .language:       OpenCL C
    .language_version:
      - 2
      - 0
    .max_flat_workgroup_size: 512
    .name:           _ZN7rocprim17ROCPRIM_400000_NS6detail17trampoline_kernelINS0_14default_configENS1_35radix_sort_onesweep_config_selectorIbiEEZZNS1_29radix_sort_onesweep_iterationIS3_Lb0EN6thrust23THRUST_200600_302600_NS6detail15normal_iteratorINS8_10device_ptrIbEEEESD_NSA_INSB_IiEEEESF_jNS0_19identity_decomposerENS1_16block_id_wrapperIjLb1EEEEE10hipError_tT1_PNSt15iterator_traitsISK_E10value_typeET2_T3_PNSL_ISQ_E10value_typeET4_T5_PSV_SW_PNS1_23onesweep_lookback_stateEbbT6_jjT7_P12ihipStream_tbENKUlT_T0_SK_SP_E_clISD_SD_SF_SF_EEDaS13_S14_SK_SP_EUlS13_E_NS1_11comp_targetILNS1_3genE4ELNS1_11target_archE910ELNS1_3gpuE8ELNS1_3repE0EEENS1_47radix_sort_onesweep_sort_config_static_selectorELNS0_4arch9wavefront6targetE1EEEvSK_
    .private_segment_fixed_size: 0
    .sgpr_count:     6
    .sgpr_spill_count: 0
    .symbol:         _ZN7rocprim17ROCPRIM_400000_NS6detail17trampoline_kernelINS0_14default_configENS1_35radix_sort_onesweep_config_selectorIbiEEZZNS1_29radix_sort_onesweep_iterationIS3_Lb0EN6thrust23THRUST_200600_302600_NS6detail15normal_iteratorINS8_10device_ptrIbEEEESD_NSA_INSB_IiEEEESF_jNS0_19identity_decomposerENS1_16block_id_wrapperIjLb1EEEEE10hipError_tT1_PNSt15iterator_traitsISK_E10value_typeET2_T3_PNSL_ISQ_E10value_typeET4_T5_PSV_SW_PNS1_23onesweep_lookback_stateEbbT6_jjT7_P12ihipStream_tbENKUlT_T0_SK_SP_E_clISD_SD_SF_SF_EEDaS13_S14_SK_SP_EUlS13_E_NS1_11comp_targetILNS1_3genE4ELNS1_11target_archE910ELNS1_3gpuE8ELNS1_3repE0EEENS1_47radix_sort_onesweep_sort_config_static_selectorELNS0_4arch9wavefront6targetE1EEEvSK_.kd
    .uniform_work_group_size: 1
    .uses_dynamic_stack: false
    .vgpr_count:     0
    .vgpr_spill_count: 0
    .wavefront_size: 64
  - .agpr_count:     0
    .args:
      - .offset:         0
        .size:           88
        .value_kind:     by_value
    .group_segment_fixed_size: 0
    .kernarg_segment_align: 8
    .kernarg_segment_size: 88
    .language:       OpenCL C
    .language_version:
      - 2
      - 0
    .max_flat_workgroup_size: 1024
    .name:           _ZN7rocprim17ROCPRIM_400000_NS6detail17trampoline_kernelINS0_14default_configENS1_35radix_sort_onesweep_config_selectorIbiEEZZNS1_29radix_sort_onesweep_iterationIS3_Lb0EN6thrust23THRUST_200600_302600_NS6detail15normal_iteratorINS8_10device_ptrIbEEEESD_NSA_INSB_IiEEEESF_jNS0_19identity_decomposerENS1_16block_id_wrapperIjLb1EEEEE10hipError_tT1_PNSt15iterator_traitsISK_E10value_typeET2_T3_PNSL_ISQ_E10value_typeET4_T5_PSV_SW_PNS1_23onesweep_lookback_stateEbbT6_jjT7_P12ihipStream_tbENKUlT_T0_SK_SP_E_clISD_SD_SF_SF_EEDaS13_S14_SK_SP_EUlS13_E_NS1_11comp_targetILNS1_3genE3ELNS1_11target_archE908ELNS1_3gpuE7ELNS1_3repE0EEENS1_47radix_sort_onesweep_sort_config_static_selectorELNS0_4arch9wavefront6targetE1EEEvSK_
    .private_segment_fixed_size: 0
    .sgpr_count:     6
    .sgpr_spill_count: 0
    .symbol:         _ZN7rocprim17ROCPRIM_400000_NS6detail17trampoline_kernelINS0_14default_configENS1_35radix_sort_onesweep_config_selectorIbiEEZZNS1_29radix_sort_onesweep_iterationIS3_Lb0EN6thrust23THRUST_200600_302600_NS6detail15normal_iteratorINS8_10device_ptrIbEEEESD_NSA_INSB_IiEEEESF_jNS0_19identity_decomposerENS1_16block_id_wrapperIjLb1EEEEE10hipError_tT1_PNSt15iterator_traitsISK_E10value_typeET2_T3_PNSL_ISQ_E10value_typeET4_T5_PSV_SW_PNS1_23onesweep_lookback_stateEbbT6_jjT7_P12ihipStream_tbENKUlT_T0_SK_SP_E_clISD_SD_SF_SF_EEDaS13_S14_SK_SP_EUlS13_E_NS1_11comp_targetILNS1_3genE3ELNS1_11target_archE908ELNS1_3gpuE7ELNS1_3repE0EEENS1_47radix_sort_onesweep_sort_config_static_selectorELNS0_4arch9wavefront6targetE1EEEvSK_.kd
    .uniform_work_group_size: 1
    .uses_dynamic_stack: false
    .vgpr_count:     0
    .vgpr_spill_count: 0
    .wavefront_size: 64
  - .agpr_count:     0
    .args:
      - .offset:         0
        .size:           88
        .value_kind:     by_value
    .group_segment_fixed_size: 0
    .kernarg_segment_align: 8
    .kernarg_segment_size: 88
    .language:       OpenCL C
    .language_version:
      - 2
      - 0
    .max_flat_workgroup_size: 1024
    .name:           _ZN7rocprim17ROCPRIM_400000_NS6detail17trampoline_kernelINS0_14default_configENS1_35radix_sort_onesweep_config_selectorIbiEEZZNS1_29radix_sort_onesweep_iterationIS3_Lb0EN6thrust23THRUST_200600_302600_NS6detail15normal_iteratorINS8_10device_ptrIbEEEESD_NSA_INSB_IiEEEESF_jNS0_19identity_decomposerENS1_16block_id_wrapperIjLb1EEEEE10hipError_tT1_PNSt15iterator_traitsISK_E10value_typeET2_T3_PNSL_ISQ_E10value_typeET4_T5_PSV_SW_PNS1_23onesweep_lookback_stateEbbT6_jjT7_P12ihipStream_tbENKUlT_T0_SK_SP_E_clISD_SD_SF_SF_EEDaS13_S14_SK_SP_EUlS13_E_NS1_11comp_targetILNS1_3genE10ELNS1_11target_archE1201ELNS1_3gpuE5ELNS1_3repE0EEENS1_47radix_sort_onesweep_sort_config_static_selectorELNS0_4arch9wavefront6targetE1EEEvSK_
    .private_segment_fixed_size: 0
    .sgpr_count:     6
    .sgpr_spill_count: 0
    .symbol:         _ZN7rocprim17ROCPRIM_400000_NS6detail17trampoline_kernelINS0_14default_configENS1_35radix_sort_onesweep_config_selectorIbiEEZZNS1_29radix_sort_onesweep_iterationIS3_Lb0EN6thrust23THRUST_200600_302600_NS6detail15normal_iteratorINS8_10device_ptrIbEEEESD_NSA_INSB_IiEEEESF_jNS0_19identity_decomposerENS1_16block_id_wrapperIjLb1EEEEE10hipError_tT1_PNSt15iterator_traitsISK_E10value_typeET2_T3_PNSL_ISQ_E10value_typeET4_T5_PSV_SW_PNS1_23onesweep_lookback_stateEbbT6_jjT7_P12ihipStream_tbENKUlT_T0_SK_SP_E_clISD_SD_SF_SF_EEDaS13_S14_SK_SP_EUlS13_E_NS1_11comp_targetILNS1_3genE10ELNS1_11target_archE1201ELNS1_3gpuE5ELNS1_3repE0EEENS1_47radix_sort_onesweep_sort_config_static_selectorELNS0_4arch9wavefront6targetE1EEEvSK_.kd
    .uniform_work_group_size: 1
    .uses_dynamic_stack: false
    .vgpr_count:     0
    .vgpr_spill_count: 0
    .wavefront_size: 64
  - .agpr_count:     0
    .args:
      - .offset:         0
        .size:           88
        .value_kind:     by_value
    .group_segment_fixed_size: 0
    .kernarg_segment_align: 8
    .kernarg_segment_size: 88
    .language:       OpenCL C
    .language_version:
      - 2
      - 0
    .max_flat_workgroup_size: 1024
    .name:           _ZN7rocprim17ROCPRIM_400000_NS6detail17trampoline_kernelINS0_14default_configENS1_35radix_sort_onesweep_config_selectorIbiEEZZNS1_29radix_sort_onesweep_iterationIS3_Lb0EN6thrust23THRUST_200600_302600_NS6detail15normal_iteratorINS8_10device_ptrIbEEEESD_NSA_INSB_IiEEEESF_jNS0_19identity_decomposerENS1_16block_id_wrapperIjLb1EEEEE10hipError_tT1_PNSt15iterator_traitsISK_E10value_typeET2_T3_PNSL_ISQ_E10value_typeET4_T5_PSV_SW_PNS1_23onesweep_lookback_stateEbbT6_jjT7_P12ihipStream_tbENKUlT_T0_SK_SP_E_clISD_SD_SF_SF_EEDaS13_S14_SK_SP_EUlS13_E_NS1_11comp_targetILNS1_3genE9ELNS1_11target_archE1100ELNS1_3gpuE3ELNS1_3repE0EEENS1_47radix_sort_onesweep_sort_config_static_selectorELNS0_4arch9wavefront6targetE1EEEvSK_
    .private_segment_fixed_size: 0
    .sgpr_count:     6
    .sgpr_spill_count: 0
    .symbol:         _ZN7rocprim17ROCPRIM_400000_NS6detail17trampoline_kernelINS0_14default_configENS1_35radix_sort_onesweep_config_selectorIbiEEZZNS1_29radix_sort_onesweep_iterationIS3_Lb0EN6thrust23THRUST_200600_302600_NS6detail15normal_iteratorINS8_10device_ptrIbEEEESD_NSA_INSB_IiEEEESF_jNS0_19identity_decomposerENS1_16block_id_wrapperIjLb1EEEEE10hipError_tT1_PNSt15iterator_traitsISK_E10value_typeET2_T3_PNSL_ISQ_E10value_typeET4_T5_PSV_SW_PNS1_23onesweep_lookback_stateEbbT6_jjT7_P12ihipStream_tbENKUlT_T0_SK_SP_E_clISD_SD_SF_SF_EEDaS13_S14_SK_SP_EUlS13_E_NS1_11comp_targetILNS1_3genE9ELNS1_11target_archE1100ELNS1_3gpuE3ELNS1_3repE0EEENS1_47radix_sort_onesweep_sort_config_static_selectorELNS0_4arch9wavefront6targetE1EEEvSK_.kd
    .uniform_work_group_size: 1
    .uses_dynamic_stack: false
    .vgpr_count:     0
    .vgpr_spill_count: 0
    .wavefront_size: 64
  - .agpr_count:     0
    .args:
      - .offset:         0
        .size:           88
        .value_kind:     by_value
    .group_segment_fixed_size: 0
    .kernarg_segment_align: 8
    .kernarg_segment_size: 88
    .language:       OpenCL C
    .language_version:
      - 2
      - 0
    .max_flat_workgroup_size: 1024
    .name:           _ZN7rocprim17ROCPRIM_400000_NS6detail17trampoline_kernelINS0_14default_configENS1_35radix_sort_onesweep_config_selectorIbiEEZZNS1_29radix_sort_onesweep_iterationIS3_Lb0EN6thrust23THRUST_200600_302600_NS6detail15normal_iteratorINS8_10device_ptrIbEEEESD_NSA_INSB_IiEEEESF_jNS0_19identity_decomposerENS1_16block_id_wrapperIjLb1EEEEE10hipError_tT1_PNSt15iterator_traitsISK_E10value_typeET2_T3_PNSL_ISQ_E10value_typeET4_T5_PSV_SW_PNS1_23onesweep_lookback_stateEbbT6_jjT7_P12ihipStream_tbENKUlT_T0_SK_SP_E_clISD_SD_SF_SF_EEDaS13_S14_SK_SP_EUlS13_E_NS1_11comp_targetILNS1_3genE8ELNS1_11target_archE1030ELNS1_3gpuE2ELNS1_3repE0EEENS1_47radix_sort_onesweep_sort_config_static_selectorELNS0_4arch9wavefront6targetE1EEEvSK_
    .private_segment_fixed_size: 0
    .sgpr_count:     6
    .sgpr_spill_count: 0
    .symbol:         _ZN7rocprim17ROCPRIM_400000_NS6detail17trampoline_kernelINS0_14default_configENS1_35radix_sort_onesweep_config_selectorIbiEEZZNS1_29radix_sort_onesweep_iterationIS3_Lb0EN6thrust23THRUST_200600_302600_NS6detail15normal_iteratorINS8_10device_ptrIbEEEESD_NSA_INSB_IiEEEESF_jNS0_19identity_decomposerENS1_16block_id_wrapperIjLb1EEEEE10hipError_tT1_PNSt15iterator_traitsISK_E10value_typeET2_T3_PNSL_ISQ_E10value_typeET4_T5_PSV_SW_PNS1_23onesweep_lookback_stateEbbT6_jjT7_P12ihipStream_tbENKUlT_T0_SK_SP_E_clISD_SD_SF_SF_EEDaS13_S14_SK_SP_EUlS13_E_NS1_11comp_targetILNS1_3genE8ELNS1_11target_archE1030ELNS1_3gpuE2ELNS1_3repE0EEENS1_47radix_sort_onesweep_sort_config_static_selectorELNS0_4arch9wavefront6targetE1EEEvSK_.kd
    .uniform_work_group_size: 1
    .uses_dynamic_stack: false
    .vgpr_count:     0
    .vgpr_spill_count: 0
    .wavefront_size: 64
  - .agpr_count:     0
    .args:
      - .offset:         0
        .size:           88
        .value_kind:     by_value
    .group_segment_fixed_size: 0
    .kernarg_segment_align: 8
    .kernarg_segment_size: 88
    .language:       OpenCL C
    .language_version:
      - 2
      - 0
    .max_flat_workgroup_size: 1024
    .name:           _ZN7rocprim17ROCPRIM_400000_NS6detail17trampoline_kernelINS0_14default_configENS1_35radix_sort_onesweep_config_selectorIbiEEZZNS1_29radix_sort_onesweep_iterationIS3_Lb0EN6thrust23THRUST_200600_302600_NS6detail15normal_iteratorINS8_10device_ptrIbEEEESD_NSA_INSB_IiEEEESF_jNS0_19identity_decomposerENS1_16block_id_wrapperIjLb1EEEEE10hipError_tT1_PNSt15iterator_traitsISK_E10value_typeET2_T3_PNSL_ISQ_E10value_typeET4_T5_PSV_SW_PNS1_23onesweep_lookback_stateEbbT6_jjT7_P12ihipStream_tbENKUlT_T0_SK_SP_E_clISD_PbSF_PiEEDaS13_S14_SK_SP_EUlS13_E_NS1_11comp_targetILNS1_3genE0ELNS1_11target_archE4294967295ELNS1_3gpuE0ELNS1_3repE0EEENS1_47radix_sort_onesweep_sort_config_static_selectorELNS0_4arch9wavefront6targetE1EEEvSK_
    .private_segment_fixed_size: 0
    .sgpr_count:     6
    .sgpr_spill_count: 0
    .symbol:         _ZN7rocprim17ROCPRIM_400000_NS6detail17trampoline_kernelINS0_14default_configENS1_35radix_sort_onesweep_config_selectorIbiEEZZNS1_29radix_sort_onesweep_iterationIS3_Lb0EN6thrust23THRUST_200600_302600_NS6detail15normal_iteratorINS8_10device_ptrIbEEEESD_NSA_INSB_IiEEEESF_jNS0_19identity_decomposerENS1_16block_id_wrapperIjLb1EEEEE10hipError_tT1_PNSt15iterator_traitsISK_E10value_typeET2_T3_PNSL_ISQ_E10value_typeET4_T5_PSV_SW_PNS1_23onesweep_lookback_stateEbbT6_jjT7_P12ihipStream_tbENKUlT_T0_SK_SP_E_clISD_PbSF_PiEEDaS13_S14_SK_SP_EUlS13_E_NS1_11comp_targetILNS1_3genE0ELNS1_11target_archE4294967295ELNS1_3gpuE0ELNS1_3repE0EEENS1_47radix_sort_onesweep_sort_config_static_selectorELNS0_4arch9wavefront6targetE1EEEvSK_.kd
    .uniform_work_group_size: 1
    .uses_dynamic_stack: false
    .vgpr_count:     0
    .vgpr_spill_count: 0
    .wavefront_size: 64
  - .agpr_count:     0
    .args:
      - .offset:         0
        .size:           88
        .value_kind:     by_value
      - .offset:         88
        .size:           4
        .value_kind:     hidden_block_count_x
      - .offset:         92
        .size:           4
        .value_kind:     hidden_block_count_y
      - .offset:         96
        .size:           4
        .value_kind:     hidden_block_count_z
      - .offset:         100
        .size:           2
        .value_kind:     hidden_group_size_x
      - .offset:         102
        .size:           2
        .value_kind:     hidden_group_size_y
      - .offset:         104
        .size:           2
        .value_kind:     hidden_group_size_z
      - .offset:         106
        .size:           2
        .value_kind:     hidden_remainder_x
      - .offset:         108
        .size:           2
        .value_kind:     hidden_remainder_y
      - .offset:         110
        .size:           2
        .value_kind:     hidden_remainder_z
      - .offset:         128
        .size:           8
        .value_kind:     hidden_global_offset_x
      - .offset:         136
        .size:           8
        .value_kind:     hidden_global_offset_y
      - .offset:         144
        .size:           8
        .value_kind:     hidden_global_offset_z
      - .offset:         152
        .size:           2
        .value_kind:     hidden_grid_dims
    .group_segment_fixed_size: 20552
    .kernarg_segment_align: 8
    .kernarg_segment_size: 344
    .language:       OpenCL C
    .language_version:
      - 2
      - 0
    .max_flat_workgroup_size: 1024
    .name:           _ZN7rocprim17ROCPRIM_400000_NS6detail17trampoline_kernelINS0_14default_configENS1_35radix_sort_onesweep_config_selectorIbiEEZZNS1_29radix_sort_onesweep_iterationIS3_Lb0EN6thrust23THRUST_200600_302600_NS6detail15normal_iteratorINS8_10device_ptrIbEEEESD_NSA_INSB_IiEEEESF_jNS0_19identity_decomposerENS1_16block_id_wrapperIjLb1EEEEE10hipError_tT1_PNSt15iterator_traitsISK_E10value_typeET2_T3_PNSL_ISQ_E10value_typeET4_T5_PSV_SW_PNS1_23onesweep_lookback_stateEbbT6_jjT7_P12ihipStream_tbENKUlT_T0_SK_SP_E_clISD_PbSF_PiEEDaS13_S14_SK_SP_EUlS13_E_NS1_11comp_targetILNS1_3genE6ELNS1_11target_archE950ELNS1_3gpuE13ELNS1_3repE0EEENS1_47radix_sort_onesweep_sort_config_static_selectorELNS0_4arch9wavefront6targetE1EEEvSK_
    .private_segment_fixed_size: 80
    .sgpr_count:     78
    .sgpr_spill_count: 0
    .symbol:         _ZN7rocprim17ROCPRIM_400000_NS6detail17trampoline_kernelINS0_14default_configENS1_35radix_sort_onesweep_config_selectorIbiEEZZNS1_29radix_sort_onesweep_iterationIS3_Lb0EN6thrust23THRUST_200600_302600_NS6detail15normal_iteratorINS8_10device_ptrIbEEEESD_NSA_INSB_IiEEEESF_jNS0_19identity_decomposerENS1_16block_id_wrapperIjLb1EEEEE10hipError_tT1_PNSt15iterator_traitsISK_E10value_typeET2_T3_PNSL_ISQ_E10value_typeET4_T5_PSV_SW_PNS1_23onesweep_lookback_stateEbbT6_jjT7_P12ihipStream_tbENKUlT_T0_SK_SP_E_clISD_PbSF_PiEEDaS13_S14_SK_SP_EUlS13_E_NS1_11comp_targetILNS1_3genE6ELNS1_11target_archE950ELNS1_3gpuE13ELNS1_3repE0EEENS1_47radix_sort_onesweep_sort_config_static_selectorELNS0_4arch9wavefront6targetE1EEEvSK_.kd
    .uniform_work_group_size: 1
    .uses_dynamic_stack: false
    .vgpr_count:     100
    .vgpr_spill_count: 0
    .wavefront_size: 64
  - .agpr_count:     0
    .args:
      - .offset:         0
        .size:           88
        .value_kind:     by_value
    .group_segment_fixed_size: 0
    .kernarg_segment_align: 8
    .kernarg_segment_size: 88
    .language:       OpenCL C
    .language_version:
      - 2
      - 0
    .max_flat_workgroup_size: 1024
    .name:           _ZN7rocprim17ROCPRIM_400000_NS6detail17trampoline_kernelINS0_14default_configENS1_35radix_sort_onesweep_config_selectorIbiEEZZNS1_29radix_sort_onesweep_iterationIS3_Lb0EN6thrust23THRUST_200600_302600_NS6detail15normal_iteratorINS8_10device_ptrIbEEEESD_NSA_INSB_IiEEEESF_jNS0_19identity_decomposerENS1_16block_id_wrapperIjLb1EEEEE10hipError_tT1_PNSt15iterator_traitsISK_E10value_typeET2_T3_PNSL_ISQ_E10value_typeET4_T5_PSV_SW_PNS1_23onesweep_lookback_stateEbbT6_jjT7_P12ihipStream_tbENKUlT_T0_SK_SP_E_clISD_PbSF_PiEEDaS13_S14_SK_SP_EUlS13_E_NS1_11comp_targetILNS1_3genE5ELNS1_11target_archE942ELNS1_3gpuE9ELNS1_3repE0EEENS1_47radix_sort_onesweep_sort_config_static_selectorELNS0_4arch9wavefront6targetE1EEEvSK_
    .private_segment_fixed_size: 0
    .sgpr_count:     6
    .sgpr_spill_count: 0
    .symbol:         _ZN7rocprim17ROCPRIM_400000_NS6detail17trampoline_kernelINS0_14default_configENS1_35radix_sort_onesweep_config_selectorIbiEEZZNS1_29radix_sort_onesweep_iterationIS3_Lb0EN6thrust23THRUST_200600_302600_NS6detail15normal_iteratorINS8_10device_ptrIbEEEESD_NSA_INSB_IiEEEESF_jNS0_19identity_decomposerENS1_16block_id_wrapperIjLb1EEEEE10hipError_tT1_PNSt15iterator_traitsISK_E10value_typeET2_T3_PNSL_ISQ_E10value_typeET4_T5_PSV_SW_PNS1_23onesweep_lookback_stateEbbT6_jjT7_P12ihipStream_tbENKUlT_T0_SK_SP_E_clISD_PbSF_PiEEDaS13_S14_SK_SP_EUlS13_E_NS1_11comp_targetILNS1_3genE5ELNS1_11target_archE942ELNS1_3gpuE9ELNS1_3repE0EEENS1_47radix_sort_onesweep_sort_config_static_selectorELNS0_4arch9wavefront6targetE1EEEvSK_.kd
    .uniform_work_group_size: 1
    .uses_dynamic_stack: false
    .vgpr_count:     0
    .vgpr_spill_count: 0
    .wavefront_size: 64
  - .agpr_count:     0
    .args:
      - .offset:         0
        .size:           88
        .value_kind:     by_value
    .group_segment_fixed_size: 0
    .kernarg_segment_align: 8
    .kernarg_segment_size: 88
    .language:       OpenCL C
    .language_version:
      - 2
      - 0
    .max_flat_workgroup_size: 512
    .name:           _ZN7rocprim17ROCPRIM_400000_NS6detail17trampoline_kernelINS0_14default_configENS1_35radix_sort_onesweep_config_selectorIbiEEZZNS1_29radix_sort_onesweep_iterationIS3_Lb0EN6thrust23THRUST_200600_302600_NS6detail15normal_iteratorINS8_10device_ptrIbEEEESD_NSA_INSB_IiEEEESF_jNS0_19identity_decomposerENS1_16block_id_wrapperIjLb1EEEEE10hipError_tT1_PNSt15iterator_traitsISK_E10value_typeET2_T3_PNSL_ISQ_E10value_typeET4_T5_PSV_SW_PNS1_23onesweep_lookback_stateEbbT6_jjT7_P12ihipStream_tbENKUlT_T0_SK_SP_E_clISD_PbSF_PiEEDaS13_S14_SK_SP_EUlS13_E_NS1_11comp_targetILNS1_3genE2ELNS1_11target_archE906ELNS1_3gpuE6ELNS1_3repE0EEENS1_47radix_sort_onesweep_sort_config_static_selectorELNS0_4arch9wavefront6targetE1EEEvSK_
    .private_segment_fixed_size: 0
    .sgpr_count:     6
    .sgpr_spill_count: 0
    .symbol:         _ZN7rocprim17ROCPRIM_400000_NS6detail17trampoline_kernelINS0_14default_configENS1_35radix_sort_onesweep_config_selectorIbiEEZZNS1_29radix_sort_onesweep_iterationIS3_Lb0EN6thrust23THRUST_200600_302600_NS6detail15normal_iteratorINS8_10device_ptrIbEEEESD_NSA_INSB_IiEEEESF_jNS0_19identity_decomposerENS1_16block_id_wrapperIjLb1EEEEE10hipError_tT1_PNSt15iterator_traitsISK_E10value_typeET2_T3_PNSL_ISQ_E10value_typeET4_T5_PSV_SW_PNS1_23onesweep_lookback_stateEbbT6_jjT7_P12ihipStream_tbENKUlT_T0_SK_SP_E_clISD_PbSF_PiEEDaS13_S14_SK_SP_EUlS13_E_NS1_11comp_targetILNS1_3genE2ELNS1_11target_archE906ELNS1_3gpuE6ELNS1_3repE0EEENS1_47radix_sort_onesweep_sort_config_static_selectorELNS0_4arch9wavefront6targetE1EEEvSK_.kd
    .uniform_work_group_size: 1
    .uses_dynamic_stack: false
    .vgpr_count:     0
    .vgpr_spill_count: 0
    .wavefront_size: 64
  - .agpr_count:     0
    .args:
      - .offset:         0
        .size:           88
        .value_kind:     by_value
    .group_segment_fixed_size: 0
    .kernarg_segment_align: 8
    .kernarg_segment_size: 88
    .language:       OpenCL C
    .language_version:
      - 2
      - 0
    .max_flat_workgroup_size: 512
    .name:           _ZN7rocprim17ROCPRIM_400000_NS6detail17trampoline_kernelINS0_14default_configENS1_35radix_sort_onesweep_config_selectorIbiEEZZNS1_29radix_sort_onesweep_iterationIS3_Lb0EN6thrust23THRUST_200600_302600_NS6detail15normal_iteratorINS8_10device_ptrIbEEEESD_NSA_INSB_IiEEEESF_jNS0_19identity_decomposerENS1_16block_id_wrapperIjLb1EEEEE10hipError_tT1_PNSt15iterator_traitsISK_E10value_typeET2_T3_PNSL_ISQ_E10value_typeET4_T5_PSV_SW_PNS1_23onesweep_lookback_stateEbbT6_jjT7_P12ihipStream_tbENKUlT_T0_SK_SP_E_clISD_PbSF_PiEEDaS13_S14_SK_SP_EUlS13_E_NS1_11comp_targetILNS1_3genE4ELNS1_11target_archE910ELNS1_3gpuE8ELNS1_3repE0EEENS1_47radix_sort_onesweep_sort_config_static_selectorELNS0_4arch9wavefront6targetE1EEEvSK_
    .private_segment_fixed_size: 0
    .sgpr_count:     6
    .sgpr_spill_count: 0
    .symbol:         _ZN7rocprim17ROCPRIM_400000_NS6detail17trampoline_kernelINS0_14default_configENS1_35radix_sort_onesweep_config_selectorIbiEEZZNS1_29radix_sort_onesweep_iterationIS3_Lb0EN6thrust23THRUST_200600_302600_NS6detail15normal_iteratorINS8_10device_ptrIbEEEESD_NSA_INSB_IiEEEESF_jNS0_19identity_decomposerENS1_16block_id_wrapperIjLb1EEEEE10hipError_tT1_PNSt15iterator_traitsISK_E10value_typeET2_T3_PNSL_ISQ_E10value_typeET4_T5_PSV_SW_PNS1_23onesweep_lookback_stateEbbT6_jjT7_P12ihipStream_tbENKUlT_T0_SK_SP_E_clISD_PbSF_PiEEDaS13_S14_SK_SP_EUlS13_E_NS1_11comp_targetILNS1_3genE4ELNS1_11target_archE910ELNS1_3gpuE8ELNS1_3repE0EEENS1_47radix_sort_onesweep_sort_config_static_selectorELNS0_4arch9wavefront6targetE1EEEvSK_.kd
    .uniform_work_group_size: 1
    .uses_dynamic_stack: false
    .vgpr_count:     0
    .vgpr_spill_count: 0
    .wavefront_size: 64
  - .agpr_count:     0
    .args:
      - .offset:         0
        .size:           88
        .value_kind:     by_value
    .group_segment_fixed_size: 0
    .kernarg_segment_align: 8
    .kernarg_segment_size: 88
    .language:       OpenCL C
    .language_version:
      - 2
      - 0
    .max_flat_workgroup_size: 1024
    .name:           _ZN7rocprim17ROCPRIM_400000_NS6detail17trampoline_kernelINS0_14default_configENS1_35radix_sort_onesweep_config_selectorIbiEEZZNS1_29radix_sort_onesweep_iterationIS3_Lb0EN6thrust23THRUST_200600_302600_NS6detail15normal_iteratorINS8_10device_ptrIbEEEESD_NSA_INSB_IiEEEESF_jNS0_19identity_decomposerENS1_16block_id_wrapperIjLb1EEEEE10hipError_tT1_PNSt15iterator_traitsISK_E10value_typeET2_T3_PNSL_ISQ_E10value_typeET4_T5_PSV_SW_PNS1_23onesweep_lookback_stateEbbT6_jjT7_P12ihipStream_tbENKUlT_T0_SK_SP_E_clISD_PbSF_PiEEDaS13_S14_SK_SP_EUlS13_E_NS1_11comp_targetILNS1_3genE3ELNS1_11target_archE908ELNS1_3gpuE7ELNS1_3repE0EEENS1_47radix_sort_onesweep_sort_config_static_selectorELNS0_4arch9wavefront6targetE1EEEvSK_
    .private_segment_fixed_size: 0
    .sgpr_count:     6
    .sgpr_spill_count: 0
    .symbol:         _ZN7rocprim17ROCPRIM_400000_NS6detail17trampoline_kernelINS0_14default_configENS1_35radix_sort_onesweep_config_selectorIbiEEZZNS1_29radix_sort_onesweep_iterationIS3_Lb0EN6thrust23THRUST_200600_302600_NS6detail15normal_iteratorINS8_10device_ptrIbEEEESD_NSA_INSB_IiEEEESF_jNS0_19identity_decomposerENS1_16block_id_wrapperIjLb1EEEEE10hipError_tT1_PNSt15iterator_traitsISK_E10value_typeET2_T3_PNSL_ISQ_E10value_typeET4_T5_PSV_SW_PNS1_23onesweep_lookback_stateEbbT6_jjT7_P12ihipStream_tbENKUlT_T0_SK_SP_E_clISD_PbSF_PiEEDaS13_S14_SK_SP_EUlS13_E_NS1_11comp_targetILNS1_3genE3ELNS1_11target_archE908ELNS1_3gpuE7ELNS1_3repE0EEENS1_47radix_sort_onesweep_sort_config_static_selectorELNS0_4arch9wavefront6targetE1EEEvSK_.kd
    .uniform_work_group_size: 1
    .uses_dynamic_stack: false
    .vgpr_count:     0
    .vgpr_spill_count: 0
    .wavefront_size: 64
  - .agpr_count:     0
    .args:
      - .offset:         0
        .size:           88
        .value_kind:     by_value
    .group_segment_fixed_size: 0
    .kernarg_segment_align: 8
    .kernarg_segment_size: 88
    .language:       OpenCL C
    .language_version:
      - 2
      - 0
    .max_flat_workgroup_size: 1024
    .name:           _ZN7rocprim17ROCPRIM_400000_NS6detail17trampoline_kernelINS0_14default_configENS1_35radix_sort_onesweep_config_selectorIbiEEZZNS1_29radix_sort_onesweep_iterationIS3_Lb0EN6thrust23THRUST_200600_302600_NS6detail15normal_iteratorINS8_10device_ptrIbEEEESD_NSA_INSB_IiEEEESF_jNS0_19identity_decomposerENS1_16block_id_wrapperIjLb1EEEEE10hipError_tT1_PNSt15iterator_traitsISK_E10value_typeET2_T3_PNSL_ISQ_E10value_typeET4_T5_PSV_SW_PNS1_23onesweep_lookback_stateEbbT6_jjT7_P12ihipStream_tbENKUlT_T0_SK_SP_E_clISD_PbSF_PiEEDaS13_S14_SK_SP_EUlS13_E_NS1_11comp_targetILNS1_3genE10ELNS1_11target_archE1201ELNS1_3gpuE5ELNS1_3repE0EEENS1_47radix_sort_onesweep_sort_config_static_selectorELNS0_4arch9wavefront6targetE1EEEvSK_
    .private_segment_fixed_size: 0
    .sgpr_count:     6
    .sgpr_spill_count: 0
    .symbol:         _ZN7rocprim17ROCPRIM_400000_NS6detail17trampoline_kernelINS0_14default_configENS1_35radix_sort_onesweep_config_selectorIbiEEZZNS1_29radix_sort_onesweep_iterationIS3_Lb0EN6thrust23THRUST_200600_302600_NS6detail15normal_iteratorINS8_10device_ptrIbEEEESD_NSA_INSB_IiEEEESF_jNS0_19identity_decomposerENS1_16block_id_wrapperIjLb1EEEEE10hipError_tT1_PNSt15iterator_traitsISK_E10value_typeET2_T3_PNSL_ISQ_E10value_typeET4_T5_PSV_SW_PNS1_23onesweep_lookback_stateEbbT6_jjT7_P12ihipStream_tbENKUlT_T0_SK_SP_E_clISD_PbSF_PiEEDaS13_S14_SK_SP_EUlS13_E_NS1_11comp_targetILNS1_3genE10ELNS1_11target_archE1201ELNS1_3gpuE5ELNS1_3repE0EEENS1_47radix_sort_onesweep_sort_config_static_selectorELNS0_4arch9wavefront6targetE1EEEvSK_.kd
    .uniform_work_group_size: 1
    .uses_dynamic_stack: false
    .vgpr_count:     0
    .vgpr_spill_count: 0
    .wavefront_size: 64
  - .agpr_count:     0
    .args:
      - .offset:         0
        .size:           88
        .value_kind:     by_value
    .group_segment_fixed_size: 0
    .kernarg_segment_align: 8
    .kernarg_segment_size: 88
    .language:       OpenCL C
    .language_version:
      - 2
      - 0
    .max_flat_workgroup_size: 1024
    .name:           _ZN7rocprim17ROCPRIM_400000_NS6detail17trampoline_kernelINS0_14default_configENS1_35radix_sort_onesweep_config_selectorIbiEEZZNS1_29radix_sort_onesweep_iterationIS3_Lb0EN6thrust23THRUST_200600_302600_NS6detail15normal_iteratorINS8_10device_ptrIbEEEESD_NSA_INSB_IiEEEESF_jNS0_19identity_decomposerENS1_16block_id_wrapperIjLb1EEEEE10hipError_tT1_PNSt15iterator_traitsISK_E10value_typeET2_T3_PNSL_ISQ_E10value_typeET4_T5_PSV_SW_PNS1_23onesweep_lookback_stateEbbT6_jjT7_P12ihipStream_tbENKUlT_T0_SK_SP_E_clISD_PbSF_PiEEDaS13_S14_SK_SP_EUlS13_E_NS1_11comp_targetILNS1_3genE9ELNS1_11target_archE1100ELNS1_3gpuE3ELNS1_3repE0EEENS1_47radix_sort_onesweep_sort_config_static_selectorELNS0_4arch9wavefront6targetE1EEEvSK_
    .private_segment_fixed_size: 0
    .sgpr_count:     6
    .sgpr_spill_count: 0
    .symbol:         _ZN7rocprim17ROCPRIM_400000_NS6detail17trampoline_kernelINS0_14default_configENS1_35radix_sort_onesweep_config_selectorIbiEEZZNS1_29radix_sort_onesweep_iterationIS3_Lb0EN6thrust23THRUST_200600_302600_NS6detail15normal_iteratorINS8_10device_ptrIbEEEESD_NSA_INSB_IiEEEESF_jNS0_19identity_decomposerENS1_16block_id_wrapperIjLb1EEEEE10hipError_tT1_PNSt15iterator_traitsISK_E10value_typeET2_T3_PNSL_ISQ_E10value_typeET4_T5_PSV_SW_PNS1_23onesweep_lookback_stateEbbT6_jjT7_P12ihipStream_tbENKUlT_T0_SK_SP_E_clISD_PbSF_PiEEDaS13_S14_SK_SP_EUlS13_E_NS1_11comp_targetILNS1_3genE9ELNS1_11target_archE1100ELNS1_3gpuE3ELNS1_3repE0EEENS1_47radix_sort_onesweep_sort_config_static_selectorELNS0_4arch9wavefront6targetE1EEEvSK_.kd
    .uniform_work_group_size: 1
    .uses_dynamic_stack: false
    .vgpr_count:     0
    .vgpr_spill_count: 0
    .wavefront_size: 64
  - .agpr_count:     0
    .args:
      - .offset:         0
        .size:           88
        .value_kind:     by_value
    .group_segment_fixed_size: 0
    .kernarg_segment_align: 8
    .kernarg_segment_size: 88
    .language:       OpenCL C
    .language_version:
      - 2
      - 0
    .max_flat_workgroup_size: 1024
    .name:           _ZN7rocprim17ROCPRIM_400000_NS6detail17trampoline_kernelINS0_14default_configENS1_35radix_sort_onesweep_config_selectorIbiEEZZNS1_29radix_sort_onesweep_iterationIS3_Lb0EN6thrust23THRUST_200600_302600_NS6detail15normal_iteratorINS8_10device_ptrIbEEEESD_NSA_INSB_IiEEEESF_jNS0_19identity_decomposerENS1_16block_id_wrapperIjLb1EEEEE10hipError_tT1_PNSt15iterator_traitsISK_E10value_typeET2_T3_PNSL_ISQ_E10value_typeET4_T5_PSV_SW_PNS1_23onesweep_lookback_stateEbbT6_jjT7_P12ihipStream_tbENKUlT_T0_SK_SP_E_clISD_PbSF_PiEEDaS13_S14_SK_SP_EUlS13_E_NS1_11comp_targetILNS1_3genE8ELNS1_11target_archE1030ELNS1_3gpuE2ELNS1_3repE0EEENS1_47radix_sort_onesweep_sort_config_static_selectorELNS0_4arch9wavefront6targetE1EEEvSK_
    .private_segment_fixed_size: 0
    .sgpr_count:     6
    .sgpr_spill_count: 0
    .symbol:         _ZN7rocprim17ROCPRIM_400000_NS6detail17trampoline_kernelINS0_14default_configENS1_35radix_sort_onesweep_config_selectorIbiEEZZNS1_29radix_sort_onesweep_iterationIS3_Lb0EN6thrust23THRUST_200600_302600_NS6detail15normal_iteratorINS8_10device_ptrIbEEEESD_NSA_INSB_IiEEEESF_jNS0_19identity_decomposerENS1_16block_id_wrapperIjLb1EEEEE10hipError_tT1_PNSt15iterator_traitsISK_E10value_typeET2_T3_PNSL_ISQ_E10value_typeET4_T5_PSV_SW_PNS1_23onesweep_lookback_stateEbbT6_jjT7_P12ihipStream_tbENKUlT_T0_SK_SP_E_clISD_PbSF_PiEEDaS13_S14_SK_SP_EUlS13_E_NS1_11comp_targetILNS1_3genE8ELNS1_11target_archE1030ELNS1_3gpuE2ELNS1_3repE0EEENS1_47radix_sort_onesweep_sort_config_static_selectorELNS0_4arch9wavefront6targetE1EEEvSK_.kd
    .uniform_work_group_size: 1
    .uses_dynamic_stack: false
    .vgpr_count:     0
    .vgpr_spill_count: 0
    .wavefront_size: 64
  - .agpr_count:     0
    .args:
      - .offset:         0
        .size:           88
        .value_kind:     by_value
    .group_segment_fixed_size: 0
    .kernarg_segment_align: 8
    .kernarg_segment_size: 88
    .language:       OpenCL C
    .language_version:
      - 2
      - 0
    .max_flat_workgroup_size: 1024
    .name:           _ZN7rocprim17ROCPRIM_400000_NS6detail17trampoline_kernelINS0_14default_configENS1_35radix_sort_onesweep_config_selectorIbiEEZZNS1_29radix_sort_onesweep_iterationIS3_Lb0EN6thrust23THRUST_200600_302600_NS6detail15normal_iteratorINS8_10device_ptrIbEEEESD_NSA_INSB_IiEEEESF_jNS0_19identity_decomposerENS1_16block_id_wrapperIjLb1EEEEE10hipError_tT1_PNSt15iterator_traitsISK_E10value_typeET2_T3_PNSL_ISQ_E10value_typeET4_T5_PSV_SW_PNS1_23onesweep_lookback_stateEbbT6_jjT7_P12ihipStream_tbENKUlT_T0_SK_SP_E_clIPbSD_PiSF_EEDaS13_S14_SK_SP_EUlS13_E_NS1_11comp_targetILNS1_3genE0ELNS1_11target_archE4294967295ELNS1_3gpuE0ELNS1_3repE0EEENS1_47radix_sort_onesweep_sort_config_static_selectorELNS0_4arch9wavefront6targetE1EEEvSK_
    .private_segment_fixed_size: 0
    .sgpr_count:     6
    .sgpr_spill_count: 0
    .symbol:         _ZN7rocprim17ROCPRIM_400000_NS6detail17trampoline_kernelINS0_14default_configENS1_35radix_sort_onesweep_config_selectorIbiEEZZNS1_29radix_sort_onesweep_iterationIS3_Lb0EN6thrust23THRUST_200600_302600_NS6detail15normal_iteratorINS8_10device_ptrIbEEEESD_NSA_INSB_IiEEEESF_jNS0_19identity_decomposerENS1_16block_id_wrapperIjLb1EEEEE10hipError_tT1_PNSt15iterator_traitsISK_E10value_typeET2_T3_PNSL_ISQ_E10value_typeET4_T5_PSV_SW_PNS1_23onesweep_lookback_stateEbbT6_jjT7_P12ihipStream_tbENKUlT_T0_SK_SP_E_clIPbSD_PiSF_EEDaS13_S14_SK_SP_EUlS13_E_NS1_11comp_targetILNS1_3genE0ELNS1_11target_archE4294967295ELNS1_3gpuE0ELNS1_3repE0EEENS1_47radix_sort_onesweep_sort_config_static_selectorELNS0_4arch9wavefront6targetE1EEEvSK_.kd
    .uniform_work_group_size: 1
    .uses_dynamic_stack: false
    .vgpr_count:     0
    .vgpr_spill_count: 0
    .wavefront_size: 64
  - .agpr_count:     0
    .args:
      - .offset:         0
        .size:           88
        .value_kind:     by_value
      - .offset:         88
        .size:           4
        .value_kind:     hidden_block_count_x
      - .offset:         92
        .size:           4
        .value_kind:     hidden_block_count_y
      - .offset:         96
        .size:           4
        .value_kind:     hidden_block_count_z
      - .offset:         100
        .size:           2
        .value_kind:     hidden_group_size_x
      - .offset:         102
        .size:           2
        .value_kind:     hidden_group_size_y
      - .offset:         104
        .size:           2
        .value_kind:     hidden_group_size_z
      - .offset:         106
        .size:           2
        .value_kind:     hidden_remainder_x
      - .offset:         108
        .size:           2
        .value_kind:     hidden_remainder_y
      - .offset:         110
        .size:           2
        .value_kind:     hidden_remainder_z
      - .offset:         128
        .size:           8
        .value_kind:     hidden_global_offset_x
      - .offset:         136
        .size:           8
        .value_kind:     hidden_global_offset_y
      - .offset:         144
        .size:           8
        .value_kind:     hidden_global_offset_z
      - .offset:         152
        .size:           2
        .value_kind:     hidden_grid_dims
    .group_segment_fixed_size: 20552
    .kernarg_segment_align: 8
    .kernarg_segment_size: 344
    .language:       OpenCL C
    .language_version:
      - 2
      - 0
    .max_flat_workgroup_size: 1024
    .name:           _ZN7rocprim17ROCPRIM_400000_NS6detail17trampoline_kernelINS0_14default_configENS1_35radix_sort_onesweep_config_selectorIbiEEZZNS1_29radix_sort_onesweep_iterationIS3_Lb0EN6thrust23THRUST_200600_302600_NS6detail15normal_iteratorINS8_10device_ptrIbEEEESD_NSA_INSB_IiEEEESF_jNS0_19identity_decomposerENS1_16block_id_wrapperIjLb1EEEEE10hipError_tT1_PNSt15iterator_traitsISK_E10value_typeET2_T3_PNSL_ISQ_E10value_typeET4_T5_PSV_SW_PNS1_23onesweep_lookback_stateEbbT6_jjT7_P12ihipStream_tbENKUlT_T0_SK_SP_E_clIPbSD_PiSF_EEDaS13_S14_SK_SP_EUlS13_E_NS1_11comp_targetILNS1_3genE6ELNS1_11target_archE950ELNS1_3gpuE13ELNS1_3repE0EEENS1_47radix_sort_onesweep_sort_config_static_selectorELNS0_4arch9wavefront6targetE1EEEvSK_
    .private_segment_fixed_size: 80
    .sgpr_count:     78
    .sgpr_spill_count: 0
    .symbol:         _ZN7rocprim17ROCPRIM_400000_NS6detail17trampoline_kernelINS0_14default_configENS1_35radix_sort_onesweep_config_selectorIbiEEZZNS1_29radix_sort_onesweep_iterationIS3_Lb0EN6thrust23THRUST_200600_302600_NS6detail15normal_iteratorINS8_10device_ptrIbEEEESD_NSA_INSB_IiEEEESF_jNS0_19identity_decomposerENS1_16block_id_wrapperIjLb1EEEEE10hipError_tT1_PNSt15iterator_traitsISK_E10value_typeET2_T3_PNSL_ISQ_E10value_typeET4_T5_PSV_SW_PNS1_23onesweep_lookback_stateEbbT6_jjT7_P12ihipStream_tbENKUlT_T0_SK_SP_E_clIPbSD_PiSF_EEDaS13_S14_SK_SP_EUlS13_E_NS1_11comp_targetILNS1_3genE6ELNS1_11target_archE950ELNS1_3gpuE13ELNS1_3repE0EEENS1_47radix_sort_onesweep_sort_config_static_selectorELNS0_4arch9wavefront6targetE1EEEvSK_.kd
    .uniform_work_group_size: 1
    .uses_dynamic_stack: false
    .vgpr_count:     100
    .vgpr_spill_count: 0
    .wavefront_size: 64
  - .agpr_count:     0
    .args:
      - .offset:         0
        .size:           88
        .value_kind:     by_value
    .group_segment_fixed_size: 0
    .kernarg_segment_align: 8
    .kernarg_segment_size: 88
    .language:       OpenCL C
    .language_version:
      - 2
      - 0
    .max_flat_workgroup_size: 1024
    .name:           _ZN7rocprim17ROCPRIM_400000_NS6detail17trampoline_kernelINS0_14default_configENS1_35radix_sort_onesweep_config_selectorIbiEEZZNS1_29radix_sort_onesweep_iterationIS3_Lb0EN6thrust23THRUST_200600_302600_NS6detail15normal_iteratorINS8_10device_ptrIbEEEESD_NSA_INSB_IiEEEESF_jNS0_19identity_decomposerENS1_16block_id_wrapperIjLb1EEEEE10hipError_tT1_PNSt15iterator_traitsISK_E10value_typeET2_T3_PNSL_ISQ_E10value_typeET4_T5_PSV_SW_PNS1_23onesweep_lookback_stateEbbT6_jjT7_P12ihipStream_tbENKUlT_T0_SK_SP_E_clIPbSD_PiSF_EEDaS13_S14_SK_SP_EUlS13_E_NS1_11comp_targetILNS1_3genE5ELNS1_11target_archE942ELNS1_3gpuE9ELNS1_3repE0EEENS1_47radix_sort_onesweep_sort_config_static_selectorELNS0_4arch9wavefront6targetE1EEEvSK_
    .private_segment_fixed_size: 0
    .sgpr_count:     6
    .sgpr_spill_count: 0
    .symbol:         _ZN7rocprim17ROCPRIM_400000_NS6detail17trampoline_kernelINS0_14default_configENS1_35radix_sort_onesweep_config_selectorIbiEEZZNS1_29radix_sort_onesweep_iterationIS3_Lb0EN6thrust23THRUST_200600_302600_NS6detail15normal_iteratorINS8_10device_ptrIbEEEESD_NSA_INSB_IiEEEESF_jNS0_19identity_decomposerENS1_16block_id_wrapperIjLb1EEEEE10hipError_tT1_PNSt15iterator_traitsISK_E10value_typeET2_T3_PNSL_ISQ_E10value_typeET4_T5_PSV_SW_PNS1_23onesweep_lookback_stateEbbT6_jjT7_P12ihipStream_tbENKUlT_T0_SK_SP_E_clIPbSD_PiSF_EEDaS13_S14_SK_SP_EUlS13_E_NS1_11comp_targetILNS1_3genE5ELNS1_11target_archE942ELNS1_3gpuE9ELNS1_3repE0EEENS1_47radix_sort_onesweep_sort_config_static_selectorELNS0_4arch9wavefront6targetE1EEEvSK_.kd
    .uniform_work_group_size: 1
    .uses_dynamic_stack: false
    .vgpr_count:     0
    .vgpr_spill_count: 0
    .wavefront_size: 64
  - .agpr_count:     0
    .args:
      - .offset:         0
        .size:           88
        .value_kind:     by_value
    .group_segment_fixed_size: 0
    .kernarg_segment_align: 8
    .kernarg_segment_size: 88
    .language:       OpenCL C
    .language_version:
      - 2
      - 0
    .max_flat_workgroup_size: 512
    .name:           _ZN7rocprim17ROCPRIM_400000_NS6detail17trampoline_kernelINS0_14default_configENS1_35radix_sort_onesweep_config_selectorIbiEEZZNS1_29radix_sort_onesweep_iterationIS3_Lb0EN6thrust23THRUST_200600_302600_NS6detail15normal_iteratorINS8_10device_ptrIbEEEESD_NSA_INSB_IiEEEESF_jNS0_19identity_decomposerENS1_16block_id_wrapperIjLb1EEEEE10hipError_tT1_PNSt15iterator_traitsISK_E10value_typeET2_T3_PNSL_ISQ_E10value_typeET4_T5_PSV_SW_PNS1_23onesweep_lookback_stateEbbT6_jjT7_P12ihipStream_tbENKUlT_T0_SK_SP_E_clIPbSD_PiSF_EEDaS13_S14_SK_SP_EUlS13_E_NS1_11comp_targetILNS1_3genE2ELNS1_11target_archE906ELNS1_3gpuE6ELNS1_3repE0EEENS1_47radix_sort_onesweep_sort_config_static_selectorELNS0_4arch9wavefront6targetE1EEEvSK_
    .private_segment_fixed_size: 0
    .sgpr_count:     6
    .sgpr_spill_count: 0
    .symbol:         _ZN7rocprim17ROCPRIM_400000_NS6detail17trampoline_kernelINS0_14default_configENS1_35radix_sort_onesweep_config_selectorIbiEEZZNS1_29radix_sort_onesweep_iterationIS3_Lb0EN6thrust23THRUST_200600_302600_NS6detail15normal_iteratorINS8_10device_ptrIbEEEESD_NSA_INSB_IiEEEESF_jNS0_19identity_decomposerENS1_16block_id_wrapperIjLb1EEEEE10hipError_tT1_PNSt15iterator_traitsISK_E10value_typeET2_T3_PNSL_ISQ_E10value_typeET4_T5_PSV_SW_PNS1_23onesweep_lookback_stateEbbT6_jjT7_P12ihipStream_tbENKUlT_T0_SK_SP_E_clIPbSD_PiSF_EEDaS13_S14_SK_SP_EUlS13_E_NS1_11comp_targetILNS1_3genE2ELNS1_11target_archE906ELNS1_3gpuE6ELNS1_3repE0EEENS1_47radix_sort_onesweep_sort_config_static_selectorELNS0_4arch9wavefront6targetE1EEEvSK_.kd
    .uniform_work_group_size: 1
    .uses_dynamic_stack: false
    .vgpr_count:     0
    .vgpr_spill_count: 0
    .wavefront_size: 64
  - .agpr_count:     0
    .args:
      - .offset:         0
        .size:           88
        .value_kind:     by_value
    .group_segment_fixed_size: 0
    .kernarg_segment_align: 8
    .kernarg_segment_size: 88
    .language:       OpenCL C
    .language_version:
      - 2
      - 0
    .max_flat_workgroup_size: 512
    .name:           _ZN7rocprim17ROCPRIM_400000_NS6detail17trampoline_kernelINS0_14default_configENS1_35radix_sort_onesweep_config_selectorIbiEEZZNS1_29radix_sort_onesweep_iterationIS3_Lb0EN6thrust23THRUST_200600_302600_NS6detail15normal_iteratorINS8_10device_ptrIbEEEESD_NSA_INSB_IiEEEESF_jNS0_19identity_decomposerENS1_16block_id_wrapperIjLb1EEEEE10hipError_tT1_PNSt15iterator_traitsISK_E10value_typeET2_T3_PNSL_ISQ_E10value_typeET4_T5_PSV_SW_PNS1_23onesweep_lookback_stateEbbT6_jjT7_P12ihipStream_tbENKUlT_T0_SK_SP_E_clIPbSD_PiSF_EEDaS13_S14_SK_SP_EUlS13_E_NS1_11comp_targetILNS1_3genE4ELNS1_11target_archE910ELNS1_3gpuE8ELNS1_3repE0EEENS1_47radix_sort_onesweep_sort_config_static_selectorELNS0_4arch9wavefront6targetE1EEEvSK_
    .private_segment_fixed_size: 0
    .sgpr_count:     6
    .sgpr_spill_count: 0
    .symbol:         _ZN7rocprim17ROCPRIM_400000_NS6detail17trampoline_kernelINS0_14default_configENS1_35radix_sort_onesweep_config_selectorIbiEEZZNS1_29radix_sort_onesweep_iterationIS3_Lb0EN6thrust23THRUST_200600_302600_NS6detail15normal_iteratorINS8_10device_ptrIbEEEESD_NSA_INSB_IiEEEESF_jNS0_19identity_decomposerENS1_16block_id_wrapperIjLb1EEEEE10hipError_tT1_PNSt15iterator_traitsISK_E10value_typeET2_T3_PNSL_ISQ_E10value_typeET4_T5_PSV_SW_PNS1_23onesweep_lookback_stateEbbT6_jjT7_P12ihipStream_tbENKUlT_T0_SK_SP_E_clIPbSD_PiSF_EEDaS13_S14_SK_SP_EUlS13_E_NS1_11comp_targetILNS1_3genE4ELNS1_11target_archE910ELNS1_3gpuE8ELNS1_3repE0EEENS1_47radix_sort_onesweep_sort_config_static_selectorELNS0_4arch9wavefront6targetE1EEEvSK_.kd
    .uniform_work_group_size: 1
    .uses_dynamic_stack: false
    .vgpr_count:     0
    .vgpr_spill_count: 0
    .wavefront_size: 64
  - .agpr_count:     0
    .args:
      - .offset:         0
        .size:           88
        .value_kind:     by_value
    .group_segment_fixed_size: 0
    .kernarg_segment_align: 8
    .kernarg_segment_size: 88
    .language:       OpenCL C
    .language_version:
      - 2
      - 0
    .max_flat_workgroup_size: 1024
    .name:           _ZN7rocprim17ROCPRIM_400000_NS6detail17trampoline_kernelINS0_14default_configENS1_35radix_sort_onesweep_config_selectorIbiEEZZNS1_29radix_sort_onesweep_iterationIS3_Lb0EN6thrust23THRUST_200600_302600_NS6detail15normal_iteratorINS8_10device_ptrIbEEEESD_NSA_INSB_IiEEEESF_jNS0_19identity_decomposerENS1_16block_id_wrapperIjLb1EEEEE10hipError_tT1_PNSt15iterator_traitsISK_E10value_typeET2_T3_PNSL_ISQ_E10value_typeET4_T5_PSV_SW_PNS1_23onesweep_lookback_stateEbbT6_jjT7_P12ihipStream_tbENKUlT_T0_SK_SP_E_clIPbSD_PiSF_EEDaS13_S14_SK_SP_EUlS13_E_NS1_11comp_targetILNS1_3genE3ELNS1_11target_archE908ELNS1_3gpuE7ELNS1_3repE0EEENS1_47radix_sort_onesweep_sort_config_static_selectorELNS0_4arch9wavefront6targetE1EEEvSK_
    .private_segment_fixed_size: 0
    .sgpr_count:     6
    .sgpr_spill_count: 0
    .symbol:         _ZN7rocprim17ROCPRIM_400000_NS6detail17trampoline_kernelINS0_14default_configENS1_35radix_sort_onesweep_config_selectorIbiEEZZNS1_29radix_sort_onesweep_iterationIS3_Lb0EN6thrust23THRUST_200600_302600_NS6detail15normal_iteratorINS8_10device_ptrIbEEEESD_NSA_INSB_IiEEEESF_jNS0_19identity_decomposerENS1_16block_id_wrapperIjLb1EEEEE10hipError_tT1_PNSt15iterator_traitsISK_E10value_typeET2_T3_PNSL_ISQ_E10value_typeET4_T5_PSV_SW_PNS1_23onesweep_lookback_stateEbbT6_jjT7_P12ihipStream_tbENKUlT_T0_SK_SP_E_clIPbSD_PiSF_EEDaS13_S14_SK_SP_EUlS13_E_NS1_11comp_targetILNS1_3genE3ELNS1_11target_archE908ELNS1_3gpuE7ELNS1_3repE0EEENS1_47radix_sort_onesweep_sort_config_static_selectorELNS0_4arch9wavefront6targetE1EEEvSK_.kd
    .uniform_work_group_size: 1
    .uses_dynamic_stack: false
    .vgpr_count:     0
    .vgpr_spill_count: 0
    .wavefront_size: 64
  - .agpr_count:     0
    .args:
      - .offset:         0
        .size:           88
        .value_kind:     by_value
    .group_segment_fixed_size: 0
    .kernarg_segment_align: 8
    .kernarg_segment_size: 88
    .language:       OpenCL C
    .language_version:
      - 2
      - 0
    .max_flat_workgroup_size: 1024
    .name:           _ZN7rocprim17ROCPRIM_400000_NS6detail17trampoline_kernelINS0_14default_configENS1_35radix_sort_onesweep_config_selectorIbiEEZZNS1_29radix_sort_onesweep_iterationIS3_Lb0EN6thrust23THRUST_200600_302600_NS6detail15normal_iteratorINS8_10device_ptrIbEEEESD_NSA_INSB_IiEEEESF_jNS0_19identity_decomposerENS1_16block_id_wrapperIjLb1EEEEE10hipError_tT1_PNSt15iterator_traitsISK_E10value_typeET2_T3_PNSL_ISQ_E10value_typeET4_T5_PSV_SW_PNS1_23onesweep_lookback_stateEbbT6_jjT7_P12ihipStream_tbENKUlT_T0_SK_SP_E_clIPbSD_PiSF_EEDaS13_S14_SK_SP_EUlS13_E_NS1_11comp_targetILNS1_3genE10ELNS1_11target_archE1201ELNS1_3gpuE5ELNS1_3repE0EEENS1_47radix_sort_onesweep_sort_config_static_selectorELNS0_4arch9wavefront6targetE1EEEvSK_
    .private_segment_fixed_size: 0
    .sgpr_count:     6
    .sgpr_spill_count: 0
    .symbol:         _ZN7rocprim17ROCPRIM_400000_NS6detail17trampoline_kernelINS0_14default_configENS1_35radix_sort_onesweep_config_selectorIbiEEZZNS1_29radix_sort_onesweep_iterationIS3_Lb0EN6thrust23THRUST_200600_302600_NS6detail15normal_iteratorINS8_10device_ptrIbEEEESD_NSA_INSB_IiEEEESF_jNS0_19identity_decomposerENS1_16block_id_wrapperIjLb1EEEEE10hipError_tT1_PNSt15iterator_traitsISK_E10value_typeET2_T3_PNSL_ISQ_E10value_typeET4_T5_PSV_SW_PNS1_23onesweep_lookback_stateEbbT6_jjT7_P12ihipStream_tbENKUlT_T0_SK_SP_E_clIPbSD_PiSF_EEDaS13_S14_SK_SP_EUlS13_E_NS1_11comp_targetILNS1_3genE10ELNS1_11target_archE1201ELNS1_3gpuE5ELNS1_3repE0EEENS1_47radix_sort_onesweep_sort_config_static_selectorELNS0_4arch9wavefront6targetE1EEEvSK_.kd
    .uniform_work_group_size: 1
    .uses_dynamic_stack: false
    .vgpr_count:     0
    .vgpr_spill_count: 0
    .wavefront_size: 64
  - .agpr_count:     0
    .args:
      - .offset:         0
        .size:           88
        .value_kind:     by_value
    .group_segment_fixed_size: 0
    .kernarg_segment_align: 8
    .kernarg_segment_size: 88
    .language:       OpenCL C
    .language_version:
      - 2
      - 0
    .max_flat_workgroup_size: 1024
    .name:           _ZN7rocprim17ROCPRIM_400000_NS6detail17trampoline_kernelINS0_14default_configENS1_35radix_sort_onesweep_config_selectorIbiEEZZNS1_29radix_sort_onesweep_iterationIS3_Lb0EN6thrust23THRUST_200600_302600_NS6detail15normal_iteratorINS8_10device_ptrIbEEEESD_NSA_INSB_IiEEEESF_jNS0_19identity_decomposerENS1_16block_id_wrapperIjLb1EEEEE10hipError_tT1_PNSt15iterator_traitsISK_E10value_typeET2_T3_PNSL_ISQ_E10value_typeET4_T5_PSV_SW_PNS1_23onesweep_lookback_stateEbbT6_jjT7_P12ihipStream_tbENKUlT_T0_SK_SP_E_clIPbSD_PiSF_EEDaS13_S14_SK_SP_EUlS13_E_NS1_11comp_targetILNS1_3genE9ELNS1_11target_archE1100ELNS1_3gpuE3ELNS1_3repE0EEENS1_47radix_sort_onesweep_sort_config_static_selectorELNS0_4arch9wavefront6targetE1EEEvSK_
    .private_segment_fixed_size: 0
    .sgpr_count:     6
    .sgpr_spill_count: 0
    .symbol:         _ZN7rocprim17ROCPRIM_400000_NS6detail17trampoline_kernelINS0_14default_configENS1_35radix_sort_onesweep_config_selectorIbiEEZZNS1_29radix_sort_onesweep_iterationIS3_Lb0EN6thrust23THRUST_200600_302600_NS6detail15normal_iteratorINS8_10device_ptrIbEEEESD_NSA_INSB_IiEEEESF_jNS0_19identity_decomposerENS1_16block_id_wrapperIjLb1EEEEE10hipError_tT1_PNSt15iterator_traitsISK_E10value_typeET2_T3_PNSL_ISQ_E10value_typeET4_T5_PSV_SW_PNS1_23onesweep_lookback_stateEbbT6_jjT7_P12ihipStream_tbENKUlT_T0_SK_SP_E_clIPbSD_PiSF_EEDaS13_S14_SK_SP_EUlS13_E_NS1_11comp_targetILNS1_3genE9ELNS1_11target_archE1100ELNS1_3gpuE3ELNS1_3repE0EEENS1_47radix_sort_onesweep_sort_config_static_selectorELNS0_4arch9wavefront6targetE1EEEvSK_.kd
    .uniform_work_group_size: 1
    .uses_dynamic_stack: false
    .vgpr_count:     0
    .vgpr_spill_count: 0
    .wavefront_size: 64
  - .agpr_count:     0
    .args:
      - .offset:         0
        .size:           88
        .value_kind:     by_value
    .group_segment_fixed_size: 0
    .kernarg_segment_align: 8
    .kernarg_segment_size: 88
    .language:       OpenCL C
    .language_version:
      - 2
      - 0
    .max_flat_workgroup_size: 1024
    .name:           _ZN7rocprim17ROCPRIM_400000_NS6detail17trampoline_kernelINS0_14default_configENS1_35radix_sort_onesweep_config_selectorIbiEEZZNS1_29radix_sort_onesweep_iterationIS3_Lb0EN6thrust23THRUST_200600_302600_NS6detail15normal_iteratorINS8_10device_ptrIbEEEESD_NSA_INSB_IiEEEESF_jNS0_19identity_decomposerENS1_16block_id_wrapperIjLb1EEEEE10hipError_tT1_PNSt15iterator_traitsISK_E10value_typeET2_T3_PNSL_ISQ_E10value_typeET4_T5_PSV_SW_PNS1_23onesweep_lookback_stateEbbT6_jjT7_P12ihipStream_tbENKUlT_T0_SK_SP_E_clIPbSD_PiSF_EEDaS13_S14_SK_SP_EUlS13_E_NS1_11comp_targetILNS1_3genE8ELNS1_11target_archE1030ELNS1_3gpuE2ELNS1_3repE0EEENS1_47radix_sort_onesweep_sort_config_static_selectorELNS0_4arch9wavefront6targetE1EEEvSK_
    .private_segment_fixed_size: 0
    .sgpr_count:     6
    .sgpr_spill_count: 0
    .symbol:         _ZN7rocprim17ROCPRIM_400000_NS6detail17trampoline_kernelINS0_14default_configENS1_35radix_sort_onesweep_config_selectorIbiEEZZNS1_29radix_sort_onesweep_iterationIS3_Lb0EN6thrust23THRUST_200600_302600_NS6detail15normal_iteratorINS8_10device_ptrIbEEEESD_NSA_INSB_IiEEEESF_jNS0_19identity_decomposerENS1_16block_id_wrapperIjLb1EEEEE10hipError_tT1_PNSt15iterator_traitsISK_E10value_typeET2_T3_PNSL_ISQ_E10value_typeET4_T5_PSV_SW_PNS1_23onesweep_lookback_stateEbbT6_jjT7_P12ihipStream_tbENKUlT_T0_SK_SP_E_clIPbSD_PiSF_EEDaS13_S14_SK_SP_EUlS13_E_NS1_11comp_targetILNS1_3genE8ELNS1_11target_archE1030ELNS1_3gpuE2ELNS1_3repE0EEENS1_47radix_sort_onesweep_sort_config_static_selectorELNS0_4arch9wavefront6targetE1EEEvSK_.kd
    .uniform_work_group_size: 1
    .uses_dynamic_stack: false
    .vgpr_count:     0
    .vgpr_spill_count: 0
    .wavefront_size: 64
  - .agpr_count:     0
    .args:
      - .offset:         0
        .size:           88
        .value_kind:     by_value
    .group_segment_fixed_size: 0
    .kernarg_segment_align: 8
    .kernarg_segment_size: 88
    .language:       OpenCL C
    .language_version:
      - 2
      - 0
    .max_flat_workgroup_size: 1024
    .name:           _ZN7rocprim17ROCPRIM_400000_NS6detail17trampoline_kernelINS0_14default_configENS1_35radix_sort_onesweep_config_selectorIbiEEZZNS1_29radix_sort_onesweep_iterationIS3_Lb0EN6thrust23THRUST_200600_302600_NS6detail15normal_iteratorINS8_10device_ptrIbEEEESD_NSA_INSB_IiEEEESF_jNS0_19identity_decomposerENS1_16block_id_wrapperIjLb0EEEEE10hipError_tT1_PNSt15iterator_traitsISK_E10value_typeET2_T3_PNSL_ISQ_E10value_typeET4_T5_PSV_SW_PNS1_23onesweep_lookback_stateEbbT6_jjT7_P12ihipStream_tbENKUlT_T0_SK_SP_E_clISD_SD_SF_SF_EEDaS13_S14_SK_SP_EUlS13_E_NS1_11comp_targetILNS1_3genE0ELNS1_11target_archE4294967295ELNS1_3gpuE0ELNS1_3repE0EEENS1_47radix_sort_onesweep_sort_config_static_selectorELNS0_4arch9wavefront6targetE1EEEvSK_
    .private_segment_fixed_size: 0
    .sgpr_count:     6
    .sgpr_spill_count: 0
    .symbol:         _ZN7rocprim17ROCPRIM_400000_NS6detail17trampoline_kernelINS0_14default_configENS1_35radix_sort_onesweep_config_selectorIbiEEZZNS1_29radix_sort_onesweep_iterationIS3_Lb0EN6thrust23THRUST_200600_302600_NS6detail15normal_iteratorINS8_10device_ptrIbEEEESD_NSA_INSB_IiEEEESF_jNS0_19identity_decomposerENS1_16block_id_wrapperIjLb0EEEEE10hipError_tT1_PNSt15iterator_traitsISK_E10value_typeET2_T3_PNSL_ISQ_E10value_typeET4_T5_PSV_SW_PNS1_23onesweep_lookback_stateEbbT6_jjT7_P12ihipStream_tbENKUlT_T0_SK_SP_E_clISD_SD_SF_SF_EEDaS13_S14_SK_SP_EUlS13_E_NS1_11comp_targetILNS1_3genE0ELNS1_11target_archE4294967295ELNS1_3gpuE0ELNS1_3repE0EEENS1_47radix_sort_onesweep_sort_config_static_selectorELNS0_4arch9wavefront6targetE1EEEvSK_.kd
    .uniform_work_group_size: 1
    .uses_dynamic_stack: false
    .vgpr_count:     0
    .vgpr_spill_count: 0
    .wavefront_size: 64
  - .agpr_count:     0
    .args:
      - .offset:         0
        .size:           88
        .value_kind:     by_value
      - .offset:         88
        .size:           4
        .value_kind:     hidden_block_count_x
      - .offset:         92
        .size:           4
        .value_kind:     hidden_block_count_y
      - .offset:         96
        .size:           4
        .value_kind:     hidden_block_count_z
      - .offset:         100
        .size:           2
        .value_kind:     hidden_group_size_x
      - .offset:         102
        .size:           2
        .value_kind:     hidden_group_size_y
      - .offset:         104
        .size:           2
        .value_kind:     hidden_group_size_z
      - .offset:         106
        .size:           2
        .value_kind:     hidden_remainder_x
      - .offset:         108
        .size:           2
        .value_kind:     hidden_remainder_y
      - .offset:         110
        .size:           2
        .value_kind:     hidden_remainder_z
      - .offset:         128
        .size:           8
        .value_kind:     hidden_global_offset_x
      - .offset:         136
        .size:           8
        .value_kind:     hidden_global_offset_y
      - .offset:         144
        .size:           8
        .value_kind:     hidden_global_offset_z
      - .offset:         152
        .size:           2
        .value_kind:     hidden_grid_dims
    .group_segment_fixed_size: 20552
    .kernarg_segment_align: 8
    .kernarg_segment_size: 344
    .language:       OpenCL C
    .language_version:
      - 2
      - 0
    .max_flat_workgroup_size: 1024
    .name:           _ZN7rocprim17ROCPRIM_400000_NS6detail17trampoline_kernelINS0_14default_configENS1_35radix_sort_onesweep_config_selectorIbiEEZZNS1_29radix_sort_onesweep_iterationIS3_Lb0EN6thrust23THRUST_200600_302600_NS6detail15normal_iteratorINS8_10device_ptrIbEEEESD_NSA_INSB_IiEEEESF_jNS0_19identity_decomposerENS1_16block_id_wrapperIjLb0EEEEE10hipError_tT1_PNSt15iterator_traitsISK_E10value_typeET2_T3_PNSL_ISQ_E10value_typeET4_T5_PSV_SW_PNS1_23onesweep_lookback_stateEbbT6_jjT7_P12ihipStream_tbENKUlT_T0_SK_SP_E_clISD_SD_SF_SF_EEDaS13_S14_SK_SP_EUlS13_E_NS1_11comp_targetILNS1_3genE6ELNS1_11target_archE950ELNS1_3gpuE13ELNS1_3repE0EEENS1_47radix_sort_onesweep_sort_config_static_selectorELNS0_4arch9wavefront6targetE1EEEvSK_
    .private_segment_fixed_size: 80
    .sgpr_count:     75
    .sgpr_spill_count: 0
    .symbol:         _ZN7rocprim17ROCPRIM_400000_NS6detail17trampoline_kernelINS0_14default_configENS1_35radix_sort_onesweep_config_selectorIbiEEZZNS1_29radix_sort_onesweep_iterationIS3_Lb0EN6thrust23THRUST_200600_302600_NS6detail15normal_iteratorINS8_10device_ptrIbEEEESD_NSA_INSB_IiEEEESF_jNS0_19identity_decomposerENS1_16block_id_wrapperIjLb0EEEEE10hipError_tT1_PNSt15iterator_traitsISK_E10value_typeET2_T3_PNSL_ISQ_E10value_typeET4_T5_PSV_SW_PNS1_23onesweep_lookback_stateEbbT6_jjT7_P12ihipStream_tbENKUlT_T0_SK_SP_E_clISD_SD_SF_SF_EEDaS13_S14_SK_SP_EUlS13_E_NS1_11comp_targetILNS1_3genE6ELNS1_11target_archE950ELNS1_3gpuE13ELNS1_3repE0EEENS1_47radix_sort_onesweep_sort_config_static_selectorELNS0_4arch9wavefront6targetE1EEEvSK_.kd
    .uniform_work_group_size: 1
    .uses_dynamic_stack: false
    .vgpr_count:     100
    .vgpr_spill_count: 0
    .wavefront_size: 64
  - .agpr_count:     0
    .args:
      - .offset:         0
        .size:           88
        .value_kind:     by_value
    .group_segment_fixed_size: 0
    .kernarg_segment_align: 8
    .kernarg_segment_size: 88
    .language:       OpenCL C
    .language_version:
      - 2
      - 0
    .max_flat_workgroup_size: 1024
    .name:           _ZN7rocprim17ROCPRIM_400000_NS6detail17trampoline_kernelINS0_14default_configENS1_35radix_sort_onesweep_config_selectorIbiEEZZNS1_29radix_sort_onesweep_iterationIS3_Lb0EN6thrust23THRUST_200600_302600_NS6detail15normal_iteratorINS8_10device_ptrIbEEEESD_NSA_INSB_IiEEEESF_jNS0_19identity_decomposerENS1_16block_id_wrapperIjLb0EEEEE10hipError_tT1_PNSt15iterator_traitsISK_E10value_typeET2_T3_PNSL_ISQ_E10value_typeET4_T5_PSV_SW_PNS1_23onesweep_lookback_stateEbbT6_jjT7_P12ihipStream_tbENKUlT_T0_SK_SP_E_clISD_SD_SF_SF_EEDaS13_S14_SK_SP_EUlS13_E_NS1_11comp_targetILNS1_3genE5ELNS1_11target_archE942ELNS1_3gpuE9ELNS1_3repE0EEENS1_47radix_sort_onesweep_sort_config_static_selectorELNS0_4arch9wavefront6targetE1EEEvSK_
    .private_segment_fixed_size: 0
    .sgpr_count:     6
    .sgpr_spill_count: 0
    .symbol:         _ZN7rocprim17ROCPRIM_400000_NS6detail17trampoline_kernelINS0_14default_configENS1_35radix_sort_onesweep_config_selectorIbiEEZZNS1_29radix_sort_onesweep_iterationIS3_Lb0EN6thrust23THRUST_200600_302600_NS6detail15normal_iteratorINS8_10device_ptrIbEEEESD_NSA_INSB_IiEEEESF_jNS0_19identity_decomposerENS1_16block_id_wrapperIjLb0EEEEE10hipError_tT1_PNSt15iterator_traitsISK_E10value_typeET2_T3_PNSL_ISQ_E10value_typeET4_T5_PSV_SW_PNS1_23onesweep_lookback_stateEbbT6_jjT7_P12ihipStream_tbENKUlT_T0_SK_SP_E_clISD_SD_SF_SF_EEDaS13_S14_SK_SP_EUlS13_E_NS1_11comp_targetILNS1_3genE5ELNS1_11target_archE942ELNS1_3gpuE9ELNS1_3repE0EEENS1_47radix_sort_onesweep_sort_config_static_selectorELNS0_4arch9wavefront6targetE1EEEvSK_.kd
    .uniform_work_group_size: 1
    .uses_dynamic_stack: false
    .vgpr_count:     0
    .vgpr_spill_count: 0
    .wavefront_size: 64
  - .agpr_count:     0
    .args:
      - .offset:         0
        .size:           88
        .value_kind:     by_value
    .group_segment_fixed_size: 0
    .kernarg_segment_align: 8
    .kernarg_segment_size: 88
    .language:       OpenCL C
    .language_version:
      - 2
      - 0
    .max_flat_workgroup_size: 512
    .name:           _ZN7rocprim17ROCPRIM_400000_NS6detail17trampoline_kernelINS0_14default_configENS1_35radix_sort_onesweep_config_selectorIbiEEZZNS1_29radix_sort_onesweep_iterationIS3_Lb0EN6thrust23THRUST_200600_302600_NS6detail15normal_iteratorINS8_10device_ptrIbEEEESD_NSA_INSB_IiEEEESF_jNS0_19identity_decomposerENS1_16block_id_wrapperIjLb0EEEEE10hipError_tT1_PNSt15iterator_traitsISK_E10value_typeET2_T3_PNSL_ISQ_E10value_typeET4_T5_PSV_SW_PNS1_23onesweep_lookback_stateEbbT6_jjT7_P12ihipStream_tbENKUlT_T0_SK_SP_E_clISD_SD_SF_SF_EEDaS13_S14_SK_SP_EUlS13_E_NS1_11comp_targetILNS1_3genE2ELNS1_11target_archE906ELNS1_3gpuE6ELNS1_3repE0EEENS1_47radix_sort_onesweep_sort_config_static_selectorELNS0_4arch9wavefront6targetE1EEEvSK_
    .private_segment_fixed_size: 0
    .sgpr_count:     6
    .sgpr_spill_count: 0
    .symbol:         _ZN7rocprim17ROCPRIM_400000_NS6detail17trampoline_kernelINS0_14default_configENS1_35radix_sort_onesweep_config_selectorIbiEEZZNS1_29radix_sort_onesweep_iterationIS3_Lb0EN6thrust23THRUST_200600_302600_NS6detail15normal_iteratorINS8_10device_ptrIbEEEESD_NSA_INSB_IiEEEESF_jNS0_19identity_decomposerENS1_16block_id_wrapperIjLb0EEEEE10hipError_tT1_PNSt15iterator_traitsISK_E10value_typeET2_T3_PNSL_ISQ_E10value_typeET4_T5_PSV_SW_PNS1_23onesweep_lookback_stateEbbT6_jjT7_P12ihipStream_tbENKUlT_T0_SK_SP_E_clISD_SD_SF_SF_EEDaS13_S14_SK_SP_EUlS13_E_NS1_11comp_targetILNS1_3genE2ELNS1_11target_archE906ELNS1_3gpuE6ELNS1_3repE0EEENS1_47radix_sort_onesweep_sort_config_static_selectorELNS0_4arch9wavefront6targetE1EEEvSK_.kd
    .uniform_work_group_size: 1
    .uses_dynamic_stack: false
    .vgpr_count:     0
    .vgpr_spill_count: 0
    .wavefront_size: 64
  - .agpr_count:     0
    .args:
      - .offset:         0
        .size:           88
        .value_kind:     by_value
    .group_segment_fixed_size: 0
    .kernarg_segment_align: 8
    .kernarg_segment_size: 88
    .language:       OpenCL C
    .language_version:
      - 2
      - 0
    .max_flat_workgroup_size: 512
    .name:           _ZN7rocprim17ROCPRIM_400000_NS6detail17trampoline_kernelINS0_14default_configENS1_35radix_sort_onesweep_config_selectorIbiEEZZNS1_29radix_sort_onesweep_iterationIS3_Lb0EN6thrust23THRUST_200600_302600_NS6detail15normal_iteratorINS8_10device_ptrIbEEEESD_NSA_INSB_IiEEEESF_jNS0_19identity_decomposerENS1_16block_id_wrapperIjLb0EEEEE10hipError_tT1_PNSt15iterator_traitsISK_E10value_typeET2_T3_PNSL_ISQ_E10value_typeET4_T5_PSV_SW_PNS1_23onesweep_lookback_stateEbbT6_jjT7_P12ihipStream_tbENKUlT_T0_SK_SP_E_clISD_SD_SF_SF_EEDaS13_S14_SK_SP_EUlS13_E_NS1_11comp_targetILNS1_3genE4ELNS1_11target_archE910ELNS1_3gpuE8ELNS1_3repE0EEENS1_47radix_sort_onesweep_sort_config_static_selectorELNS0_4arch9wavefront6targetE1EEEvSK_
    .private_segment_fixed_size: 0
    .sgpr_count:     6
    .sgpr_spill_count: 0
    .symbol:         _ZN7rocprim17ROCPRIM_400000_NS6detail17trampoline_kernelINS0_14default_configENS1_35radix_sort_onesweep_config_selectorIbiEEZZNS1_29radix_sort_onesweep_iterationIS3_Lb0EN6thrust23THRUST_200600_302600_NS6detail15normal_iteratorINS8_10device_ptrIbEEEESD_NSA_INSB_IiEEEESF_jNS0_19identity_decomposerENS1_16block_id_wrapperIjLb0EEEEE10hipError_tT1_PNSt15iterator_traitsISK_E10value_typeET2_T3_PNSL_ISQ_E10value_typeET4_T5_PSV_SW_PNS1_23onesweep_lookback_stateEbbT6_jjT7_P12ihipStream_tbENKUlT_T0_SK_SP_E_clISD_SD_SF_SF_EEDaS13_S14_SK_SP_EUlS13_E_NS1_11comp_targetILNS1_3genE4ELNS1_11target_archE910ELNS1_3gpuE8ELNS1_3repE0EEENS1_47radix_sort_onesweep_sort_config_static_selectorELNS0_4arch9wavefront6targetE1EEEvSK_.kd
    .uniform_work_group_size: 1
    .uses_dynamic_stack: false
    .vgpr_count:     0
    .vgpr_spill_count: 0
    .wavefront_size: 64
  - .agpr_count:     0
    .args:
      - .offset:         0
        .size:           88
        .value_kind:     by_value
    .group_segment_fixed_size: 0
    .kernarg_segment_align: 8
    .kernarg_segment_size: 88
    .language:       OpenCL C
    .language_version:
      - 2
      - 0
    .max_flat_workgroup_size: 1024
    .name:           _ZN7rocprim17ROCPRIM_400000_NS6detail17trampoline_kernelINS0_14default_configENS1_35radix_sort_onesweep_config_selectorIbiEEZZNS1_29radix_sort_onesweep_iterationIS3_Lb0EN6thrust23THRUST_200600_302600_NS6detail15normal_iteratorINS8_10device_ptrIbEEEESD_NSA_INSB_IiEEEESF_jNS0_19identity_decomposerENS1_16block_id_wrapperIjLb0EEEEE10hipError_tT1_PNSt15iterator_traitsISK_E10value_typeET2_T3_PNSL_ISQ_E10value_typeET4_T5_PSV_SW_PNS1_23onesweep_lookback_stateEbbT6_jjT7_P12ihipStream_tbENKUlT_T0_SK_SP_E_clISD_SD_SF_SF_EEDaS13_S14_SK_SP_EUlS13_E_NS1_11comp_targetILNS1_3genE3ELNS1_11target_archE908ELNS1_3gpuE7ELNS1_3repE0EEENS1_47radix_sort_onesweep_sort_config_static_selectorELNS0_4arch9wavefront6targetE1EEEvSK_
    .private_segment_fixed_size: 0
    .sgpr_count:     6
    .sgpr_spill_count: 0
    .symbol:         _ZN7rocprim17ROCPRIM_400000_NS6detail17trampoline_kernelINS0_14default_configENS1_35radix_sort_onesweep_config_selectorIbiEEZZNS1_29radix_sort_onesweep_iterationIS3_Lb0EN6thrust23THRUST_200600_302600_NS6detail15normal_iteratorINS8_10device_ptrIbEEEESD_NSA_INSB_IiEEEESF_jNS0_19identity_decomposerENS1_16block_id_wrapperIjLb0EEEEE10hipError_tT1_PNSt15iterator_traitsISK_E10value_typeET2_T3_PNSL_ISQ_E10value_typeET4_T5_PSV_SW_PNS1_23onesweep_lookback_stateEbbT6_jjT7_P12ihipStream_tbENKUlT_T0_SK_SP_E_clISD_SD_SF_SF_EEDaS13_S14_SK_SP_EUlS13_E_NS1_11comp_targetILNS1_3genE3ELNS1_11target_archE908ELNS1_3gpuE7ELNS1_3repE0EEENS1_47radix_sort_onesweep_sort_config_static_selectorELNS0_4arch9wavefront6targetE1EEEvSK_.kd
    .uniform_work_group_size: 1
    .uses_dynamic_stack: false
    .vgpr_count:     0
    .vgpr_spill_count: 0
    .wavefront_size: 64
  - .agpr_count:     0
    .args:
      - .offset:         0
        .size:           88
        .value_kind:     by_value
    .group_segment_fixed_size: 0
    .kernarg_segment_align: 8
    .kernarg_segment_size: 88
    .language:       OpenCL C
    .language_version:
      - 2
      - 0
    .max_flat_workgroup_size: 1024
    .name:           _ZN7rocprim17ROCPRIM_400000_NS6detail17trampoline_kernelINS0_14default_configENS1_35radix_sort_onesweep_config_selectorIbiEEZZNS1_29radix_sort_onesweep_iterationIS3_Lb0EN6thrust23THRUST_200600_302600_NS6detail15normal_iteratorINS8_10device_ptrIbEEEESD_NSA_INSB_IiEEEESF_jNS0_19identity_decomposerENS1_16block_id_wrapperIjLb0EEEEE10hipError_tT1_PNSt15iterator_traitsISK_E10value_typeET2_T3_PNSL_ISQ_E10value_typeET4_T5_PSV_SW_PNS1_23onesweep_lookback_stateEbbT6_jjT7_P12ihipStream_tbENKUlT_T0_SK_SP_E_clISD_SD_SF_SF_EEDaS13_S14_SK_SP_EUlS13_E_NS1_11comp_targetILNS1_3genE10ELNS1_11target_archE1201ELNS1_3gpuE5ELNS1_3repE0EEENS1_47radix_sort_onesweep_sort_config_static_selectorELNS0_4arch9wavefront6targetE1EEEvSK_
    .private_segment_fixed_size: 0
    .sgpr_count:     6
    .sgpr_spill_count: 0
    .symbol:         _ZN7rocprim17ROCPRIM_400000_NS6detail17trampoline_kernelINS0_14default_configENS1_35radix_sort_onesweep_config_selectorIbiEEZZNS1_29radix_sort_onesweep_iterationIS3_Lb0EN6thrust23THRUST_200600_302600_NS6detail15normal_iteratorINS8_10device_ptrIbEEEESD_NSA_INSB_IiEEEESF_jNS0_19identity_decomposerENS1_16block_id_wrapperIjLb0EEEEE10hipError_tT1_PNSt15iterator_traitsISK_E10value_typeET2_T3_PNSL_ISQ_E10value_typeET4_T5_PSV_SW_PNS1_23onesweep_lookback_stateEbbT6_jjT7_P12ihipStream_tbENKUlT_T0_SK_SP_E_clISD_SD_SF_SF_EEDaS13_S14_SK_SP_EUlS13_E_NS1_11comp_targetILNS1_3genE10ELNS1_11target_archE1201ELNS1_3gpuE5ELNS1_3repE0EEENS1_47radix_sort_onesweep_sort_config_static_selectorELNS0_4arch9wavefront6targetE1EEEvSK_.kd
    .uniform_work_group_size: 1
    .uses_dynamic_stack: false
    .vgpr_count:     0
    .vgpr_spill_count: 0
    .wavefront_size: 64
  - .agpr_count:     0
    .args:
      - .offset:         0
        .size:           88
        .value_kind:     by_value
    .group_segment_fixed_size: 0
    .kernarg_segment_align: 8
    .kernarg_segment_size: 88
    .language:       OpenCL C
    .language_version:
      - 2
      - 0
    .max_flat_workgroup_size: 1024
    .name:           _ZN7rocprim17ROCPRIM_400000_NS6detail17trampoline_kernelINS0_14default_configENS1_35radix_sort_onesweep_config_selectorIbiEEZZNS1_29radix_sort_onesweep_iterationIS3_Lb0EN6thrust23THRUST_200600_302600_NS6detail15normal_iteratorINS8_10device_ptrIbEEEESD_NSA_INSB_IiEEEESF_jNS0_19identity_decomposerENS1_16block_id_wrapperIjLb0EEEEE10hipError_tT1_PNSt15iterator_traitsISK_E10value_typeET2_T3_PNSL_ISQ_E10value_typeET4_T5_PSV_SW_PNS1_23onesweep_lookback_stateEbbT6_jjT7_P12ihipStream_tbENKUlT_T0_SK_SP_E_clISD_SD_SF_SF_EEDaS13_S14_SK_SP_EUlS13_E_NS1_11comp_targetILNS1_3genE9ELNS1_11target_archE1100ELNS1_3gpuE3ELNS1_3repE0EEENS1_47radix_sort_onesweep_sort_config_static_selectorELNS0_4arch9wavefront6targetE1EEEvSK_
    .private_segment_fixed_size: 0
    .sgpr_count:     6
    .sgpr_spill_count: 0
    .symbol:         _ZN7rocprim17ROCPRIM_400000_NS6detail17trampoline_kernelINS0_14default_configENS1_35radix_sort_onesweep_config_selectorIbiEEZZNS1_29radix_sort_onesweep_iterationIS3_Lb0EN6thrust23THRUST_200600_302600_NS6detail15normal_iteratorINS8_10device_ptrIbEEEESD_NSA_INSB_IiEEEESF_jNS0_19identity_decomposerENS1_16block_id_wrapperIjLb0EEEEE10hipError_tT1_PNSt15iterator_traitsISK_E10value_typeET2_T3_PNSL_ISQ_E10value_typeET4_T5_PSV_SW_PNS1_23onesweep_lookback_stateEbbT6_jjT7_P12ihipStream_tbENKUlT_T0_SK_SP_E_clISD_SD_SF_SF_EEDaS13_S14_SK_SP_EUlS13_E_NS1_11comp_targetILNS1_3genE9ELNS1_11target_archE1100ELNS1_3gpuE3ELNS1_3repE0EEENS1_47radix_sort_onesweep_sort_config_static_selectorELNS0_4arch9wavefront6targetE1EEEvSK_.kd
    .uniform_work_group_size: 1
    .uses_dynamic_stack: false
    .vgpr_count:     0
    .vgpr_spill_count: 0
    .wavefront_size: 64
  - .agpr_count:     0
    .args:
      - .offset:         0
        .size:           88
        .value_kind:     by_value
    .group_segment_fixed_size: 0
    .kernarg_segment_align: 8
    .kernarg_segment_size: 88
    .language:       OpenCL C
    .language_version:
      - 2
      - 0
    .max_flat_workgroup_size: 1024
    .name:           _ZN7rocprim17ROCPRIM_400000_NS6detail17trampoline_kernelINS0_14default_configENS1_35radix_sort_onesweep_config_selectorIbiEEZZNS1_29radix_sort_onesweep_iterationIS3_Lb0EN6thrust23THRUST_200600_302600_NS6detail15normal_iteratorINS8_10device_ptrIbEEEESD_NSA_INSB_IiEEEESF_jNS0_19identity_decomposerENS1_16block_id_wrapperIjLb0EEEEE10hipError_tT1_PNSt15iterator_traitsISK_E10value_typeET2_T3_PNSL_ISQ_E10value_typeET4_T5_PSV_SW_PNS1_23onesweep_lookback_stateEbbT6_jjT7_P12ihipStream_tbENKUlT_T0_SK_SP_E_clISD_SD_SF_SF_EEDaS13_S14_SK_SP_EUlS13_E_NS1_11comp_targetILNS1_3genE8ELNS1_11target_archE1030ELNS1_3gpuE2ELNS1_3repE0EEENS1_47radix_sort_onesweep_sort_config_static_selectorELNS0_4arch9wavefront6targetE1EEEvSK_
    .private_segment_fixed_size: 0
    .sgpr_count:     6
    .sgpr_spill_count: 0
    .symbol:         _ZN7rocprim17ROCPRIM_400000_NS6detail17trampoline_kernelINS0_14default_configENS1_35radix_sort_onesweep_config_selectorIbiEEZZNS1_29radix_sort_onesweep_iterationIS3_Lb0EN6thrust23THRUST_200600_302600_NS6detail15normal_iteratorINS8_10device_ptrIbEEEESD_NSA_INSB_IiEEEESF_jNS0_19identity_decomposerENS1_16block_id_wrapperIjLb0EEEEE10hipError_tT1_PNSt15iterator_traitsISK_E10value_typeET2_T3_PNSL_ISQ_E10value_typeET4_T5_PSV_SW_PNS1_23onesweep_lookback_stateEbbT6_jjT7_P12ihipStream_tbENKUlT_T0_SK_SP_E_clISD_SD_SF_SF_EEDaS13_S14_SK_SP_EUlS13_E_NS1_11comp_targetILNS1_3genE8ELNS1_11target_archE1030ELNS1_3gpuE2ELNS1_3repE0EEENS1_47radix_sort_onesweep_sort_config_static_selectorELNS0_4arch9wavefront6targetE1EEEvSK_.kd
    .uniform_work_group_size: 1
    .uses_dynamic_stack: false
    .vgpr_count:     0
    .vgpr_spill_count: 0
    .wavefront_size: 64
  - .agpr_count:     0
    .args:
      - .offset:         0
        .size:           88
        .value_kind:     by_value
    .group_segment_fixed_size: 0
    .kernarg_segment_align: 8
    .kernarg_segment_size: 88
    .language:       OpenCL C
    .language_version:
      - 2
      - 0
    .max_flat_workgroup_size: 1024
    .name:           _ZN7rocprim17ROCPRIM_400000_NS6detail17trampoline_kernelINS0_14default_configENS1_35radix_sort_onesweep_config_selectorIbiEEZZNS1_29radix_sort_onesweep_iterationIS3_Lb0EN6thrust23THRUST_200600_302600_NS6detail15normal_iteratorINS8_10device_ptrIbEEEESD_NSA_INSB_IiEEEESF_jNS0_19identity_decomposerENS1_16block_id_wrapperIjLb0EEEEE10hipError_tT1_PNSt15iterator_traitsISK_E10value_typeET2_T3_PNSL_ISQ_E10value_typeET4_T5_PSV_SW_PNS1_23onesweep_lookback_stateEbbT6_jjT7_P12ihipStream_tbENKUlT_T0_SK_SP_E_clISD_PbSF_PiEEDaS13_S14_SK_SP_EUlS13_E_NS1_11comp_targetILNS1_3genE0ELNS1_11target_archE4294967295ELNS1_3gpuE0ELNS1_3repE0EEENS1_47radix_sort_onesweep_sort_config_static_selectorELNS0_4arch9wavefront6targetE1EEEvSK_
    .private_segment_fixed_size: 0
    .sgpr_count:     6
    .sgpr_spill_count: 0
    .symbol:         _ZN7rocprim17ROCPRIM_400000_NS6detail17trampoline_kernelINS0_14default_configENS1_35radix_sort_onesweep_config_selectorIbiEEZZNS1_29radix_sort_onesweep_iterationIS3_Lb0EN6thrust23THRUST_200600_302600_NS6detail15normal_iteratorINS8_10device_ptrIbEEEESD_NSA_INSB_IiEEEESF_jNS0_19identity_decomposerENS1_16block_id_wrapperIjLb0EEEEE10hipError_tT1_PNSt15iterator_traitsISK_E10value_typeET2_T3_PNSL_ISQ_E10value_typeET4_T5_PSV_SW_PNS1_23onesweep_lookback_stateEbbT6_jjT7_P12ihipStream_tbENKUlT_T0_SK_SP_E_clISD_PbSF_PiEEDaS13_S14_SK_SP_EUlS13_E_NS1_11comp_targetILNS1_3genE0ELNS1_11target_archE4294967295ELNS1_3gpuE0ELNS1_3repE0EEENS1_47radix_sort_onesweep_sort_config_static_selectorELNS0_4arch9wavefront6targetE1EEEvSK_.kd
    .uniform_work_group_size: 1
    .uses_dynamic_stack: false
    .vgpr_count:     0
    .vgpr_spill_count: 0
    .wavefront_size: 64
  - .agpr_count:     0
    .args:
      - .offset:         0
        .size:           88
        .value_kind:     by_value
      - .offset:         88
        .size:           4
        .value_kind:     hidden_block_count_x
      - .offset:         92
        .size:           4
        .value_kind:     hidden_block_count_y
      - .offset:         96
        .size:           4
        .value_kind:     hidden_block_count_z
      - .offset:         100
        .size:           2
        .value_kind:     hidden_group_size_x
      - .offset:         102
        .size:           2
        .value_kind:     hidden_group_size_y
      - .offset:         104
        .size:           2
        .value_kind:     hidden_group_size_z
      - .offset:         106
        .size:           2
        .value_kind:     hidden_remainder_x
      - .offset:         108
        .size:           2
        .value_kind:     hidden_remainder_y
      - .offset:         110
        .size:           2
        .value_kind:     hidden_remainder_z
      - .offset:         128
        .size:           8
        .value_kind:     hidden_global_offset_x
      - .offset:         136
        .size:           8
        .value_kind:     hidden_global_offset_y
      - .offset:         144
        .size:           8
        .value_kind:     hidden_global_offset_z
      - .offset:         152
        .size:           2
        .value_kind:     hidden_grid_dims
    .group_segment_fixed_size: 20552
    .kernarg_segment_align: 8
    .kernarg_segment_size: 344
    .language:       OpenCL C
    .language_version:
      - 2
      - 0
    .max_flat_workgroup_size: 1024
    .name:           _ZN7rocprim17ROCPRIM_400000_NS6detail17trampoline_kernelINS0_14default_configENS1_35radix_sort_onesweep_config_selectorIbiEEZZNS1_29radix_sort_onesweep_iterationIS3_Lb0EN6thrust23THRUST_200600_302600_NS6detail15normal_iteratorINS8_10device_ptrIbEEEESD_NSA_INSB_IiEEEESF_jNS0_19identity_decomposerENS1_16block_id_wrapperIjLb0EEEEE10hipError_tT1_PNSt15iterator_traitsISK_E10value_typeET2_T3_PNSL_ISQ_E10value_typeET4_T5_PSV_SW_PNS1_23onesweep_lookback_stateEbbT6_jjT7_P12ihipStream_tbENKUlT_T0_SK_SP_E_clISD_PbSF_PiEEDaS13_S14_SK_SP_EUlS13_E_NS1_11comp_targetILNS1_3genE6ELNS1_11target_archE950ELNS1_3gpuE13ELNS1_3repE0EEENS1_47radix_sort_onesweep_sort_config_static_selectorELNS0_4arch9wavefront6targetE1EEEvSK_
    .private_segment_fixed_size: 80
    .sgpr_count:     75
    .sgpr_spill_count: 0
    .symbol:         _ZN7rocprim17ROCPRIM_400000_NS6detail17trampoline_kernelINS0_14default_configENS1_35radix_sort_onesweep_config_selectorIbiEEZZNS1_29radix_sort_onesweep_iterationIS3_Lb0EN6thrust23THRUST_200600_302600_NS6detail15normal_iteratorINS8_10device_ptrIbEEEESD_NSA_INSB_IiEEEESF_jNS0_19identity_decomposerENS1_16block_id_wrapperIjLb0EEEEE10hipError_tT1_PNSt15iterator_traitsISK_E10value_typeET2_T3_PNSL_ISQ_E10value_typeET4_T5_PSV_SW_PNS1_23onesweep_lookback_stateEbbT6_jjT7_P12ihipStream_tbENKUlT_T0_SK_SP_E_clISD_PbSF_PiEEDaS13_S14_SK_SP_EUlS13_E_NS1_11comp_targetILNS1_3genE6ELNS1_11target_archE950ELNS1_3gpuE13ELNS1_3repE0EEENS1_47radix_sort_onesweep_sort_config_static_selectorELNS0_4arch9wavefront6targetE1EEEvSK_.kd
    .uniform_work_group_size: 1
    .uses_dynamic_stack: false
    .vgpr_count:     100
    .vgpr_spill_count: 0
    .wavefront_size: 64
  - .agpr_count:     0
    .args:
      - .offset:         0
        .size:           88
        .value_kind:     by_value
    .group_segment_fixed_size: 0
    .kernarg_segment_align: 8
    .kernarg_segment_size: 88
    .language:       OpenCL C
    .language_version:
      - 2
      - 0
    .max_flat_workgroup_size: 1024
    .name:           _ZN7rocprim17ROCPRIM_400000_NS6detail17trampoline_kernelINS0_14default_configENS1_35radix_sort_onesweep_config_selectorIbiEEZZNS1_29radix_sort_onesweep_iterationIS3_Lb0EN6thrust23THRUST_200600_302600_NS6detail15normal_iteratorINS8_10device_ptrIbEEEESD_NSA_INSB_IiEEEESF_jNS0_19identity_decomposerENS1_16block_id_wrapperIjLb0EEEEE10hipError_tT1_PNSt15iterator_traitsISK_E10value_typeET2_T3_PNSL_ISQ_E10value_typeET4_T5_PSV_SW_PNS1_23onesweep_lookback_stateEbbT6_jjT7_P12ihipStream_tbENKUlT_T0_SK_SP_E_clISD_PbSF_PiEEDaS13_S14_SK_SP_EUlS13_E_NS1_11comp_targetILNS1_3genE5ELNS1_11target_archE942ELNS1_3gpuE9ELNS1_3repE0EEENS1_47radix_sort_onesweep_sort_config_static_selectorELNS0_4arch9wavefront6targetE1EEEvSK_
    .private_segment_fixed_size: 0
    .sgpr_count:     6
    .sgpr_spill_count: 0
    .symbol:         _ZN7rocprim17ROCPRIM_400000_NS6detail17trampoline_kernelINS0_14default_configENS1_35radix_sort_onesweep_config_selectorIbiEEZZNS1_29radix_sort_onesweep_iterationIS3_Lb0EN6thrust23THRUST_200600_302600_NS6detail15normal_iteratorINS8_10device_ptrIbEEEESD_NSA_INSB_IiEEEESF_jNS0_19identity_decomposerENS1_16block_id_wrapperIjLb0EEEEE10hipError_tT1_PNSt15iterator_traitsISK_E10value_typeET2_T3_PNSL_ISQ_E10value_typeET4_T5_PSV_SW_PNS1_23onesweep_lookback_stateEbbT6_jjT7_P12ihipStream_tbENKUlT_T0_SK_SP_E_clISD_PbSF_PiEEDaS13_S14_SK_SP_EUlS13_E_NS1_11comp_targetILNS1_3genE5ELNS1_11target_archE942ELNS1_3gpuE9ELNS1_3repE0EEENS1_47radix_sort_onesweep_sort_config_static_selectorELNS0_4arch9wavefront6targetE1EEEvSK_.kd
    .uniform_work_group_size: 1
    .uses_dynamic_stack: false
    .vgpr_count:     0
    .vgpr_spill_count: 0
    .wavefront_size: 64
  - .agpr_count:     0
    .args:
      - .offset:         0
        .size:           88
        .value_kind:     by_value
    .group_segment_fixed_size: 0
    .kernarg_segment_align: 8
    .kernarg_segment_size: 88
    .language:       OpenCL C
    .language_version:
      - 2
      - 0
    .max_flat_workgroup_size: 512
    .name:           _ZN7rocprim17ROCPRIM_400000_NS6detail17trampoline_kernelINS0_14default_configENS1_35radix_sort_onesweep_config_selectorIbiEEZZNS1_29radix_sort_onesweep_iterationIS3_Lb0EN6thrust23THRUST_200600_302600_NS6detail15normal_iteratorINS8_10device_ptrIbEEEESD_NSA_INSB_IiEEEESF_jNS0_19identity_decomposerENS1_16block_id_wrapperIjLb0EEEEE10hipError_tT1_PNSt15iterator_traitsISK_E10value_typeET2_T3_PNSL_ISQ_E10value_typeET4_T5_PSV_SW_PNS1_23onesweep_lookback_stateEbbT6_jjT7_P12ihipStream_tbENKUlT_T0_SK_SP_E_clISD_PbSF_PiEEDaS13_S14_SK_SP_EUlS13_E_NS1_11comp_targetILNS1_3genE2ELNS1_11target_archE906ELNS1_3gpuE6ELNS1_3repE0EEENS1_47radix_sort_onesweep_sort_config_static_selectorELNS0_4arch9wavefront6targetE1EEEvSK_
    .private_segment_fixed_size: 0
    .sgpr_count:     6
    .sgpr_spill_count: 0
    .symbol:         _ZN7rocprim17ROCPRIM_400000_NS6detail17trampoline_kernelINS0_14default_configENS1_35radix_sort_onesweep_config_selectorIbiEEZZNS1_29radix_sort_onesweep_iterationIS3_Lb0EN6thrust23THRUST_200600_302600_NS6detail15normal_iteratorINS8_10device_ptrIbEEEESD_NSA_INSB_IiEEEESF_jNS0_19identity_decomposerENS1_16block_id_wrapperIjLb0EEEEE10hipError_tT1_PNSt15iterator_traitsISK_E10value_typeET2_T3_PNSL_ISQ_E10value_typeET4_T5_PSV_SW_PNS1_23onesweep_lookback_stateEbbT6_jjT7_P12ihipStream_tbENKUlT_T0_SK_SP_E_clISD_PbSF_PiEEDaS13_S14_SK_SP_EUlS13_E_NS1_11comp_targetILNS1_3genE2ELNS1_11target_archE906ELNS1_3gpuE6ELNS1_3repE0EEENS1_47radix_sort_onesweep_sort_config_static_selectorELNS0_4arch9wavefront6targetE1EEEvSK_.kd
    .uniform_work_group_size: 1
    .uses_dynamic_stack: false
    .vgpr_count:     0
    .vgpr_spill_count: 0
    .wavefront_size: 64
  - .agpr_count:     0
    .args:
      - .offset:         0
        .size:           88
        .value_kind:     by_value
    .group_segment_fixed_size: 0
    .kernarg_segment_align: 8
    .kernarg_segment_size: 88
    .language:       OpenCL C
    .language_version:
      - 2
      - 0
    .max_flat_workgroup_size: 512
    .name:           _ZN7rocprim17ROCPRIM_400000_NS6detail17trampoline_kernelINS0_14default_configENS1_35radix_sort_onesweep_config_selectorIbiEEZZNS1_29radix_sort_onesweep_iterationIS3_Lb0EN6thrust23THRUST_200600_302600_NS6detail15normal_iteratorINS8_10device_ptrIbEEEESD_NSA_INSB_IiEEEESF_jNS0_19identity_decomposerENS1_16block_id_wrapperIjLb0EEEEE10hipError_tT1_PNSt15iterator_traitsISK_E10value_typeET2_T3_PNSL_ISQ_E10value_typeET4_T5_PSV_SW_PNS1_23onesweep_lookback_stateEbbT6_jjT7_P12ihipStream_tbENKUlT_T0_SK_SP_E_clISD_PbSF_PiEEDaS13_S14_SK_SP_EUlS13_E_NS1_11comp_targetILNS1_3genE4ELNS1_11target_archE910ELNS1_3gpuE8ELNS1_3repE0EEENS1_47radix_sort_onesweep_sort_config_static_selectorELNS0_4arch9wavefront6targetE1EEEvSK_
    .private_segment_fixed_size: 0
    .sgpr_count:     6
    .sgpr_spill_count: 0
    .symbol:         _ZN7rocprim17ROCPRIM_400000_NS6detail17trampoline_kernelINS0_14default_configENS1_35radix_sort_onesweep_config_selectorIbiEEZZNS1_29radix_sort_onesweep_iterationIS3_Lb0EN6thrust23THRUST_200600_302600_NS6detail15normal_iteratorINS8_10device_ptrIbEEEESD_NSA_INSB_IiEEEESF_jNS0_19identity_decomposerENS1_16block_id_wrapperIjLb0EEEEE10hipError_tT1_PNSt15iterator_traitsISK_E10value_typeET2_T3_PNSL_ISQ_E10value_typeET4_T5_PSV_SW_PNS1_23onesweep_lookback_stateEbbT6_jjT7_P12ihipStream_tbENKUlT_T0_SK_SP_E_clISD_PbSF_PiEEDaS13_S14_SK_SP_EUlS13_E_NS1_11comp_targetILNS1_3genE4ELNS1_11target_archE910ELNS1_3gpuE8ELNS1_3repE0EEENS1_47radix_sort_onesweep_sort_config_static_selectorELNS0_4arch9wavefront6targetE1EEEvSK_.kd
    .uniform_work_group_size: 1
    .uses_dynamic_stack: false
    .vgpr_count:     0
    .vgpr_spill_count: 0
    .wavefront_size: 64
  - .agpr_count:     0
    .args:
      - .offset:         0
        .size:           88
        .value_kind:     by_value
    .group_segment_fixed_size: 0
    .kernarg_segment_align: 8
    .kernarg_segment_size: 88
    .language:       OpenCL C
    .language_version:
      - 2
      - 0
    .max_flat_workgroup_size: 1024
    .name:           _ZN7rocprim17ROCPRIM_400000_NS6detail17trampoline_kernelINS0_14default_configENS1_35radix_sort_onesweep_config_selectorIbiEEZZNS1_29radix_sort_onesweep_iterationIS3_Lb0EN6thrust23THRUST_200600_302600_NS6detail15normal_iteratorINS8_10device_ptrIbEEEESD_NSA_INSB_IiEEEESF_jNS0_19identity_decomposerENS1_16block_id_wrapperIjLb0EEEEE10hipError_tT1_PNSt15iterator_traitsISK_E10value_typeET2_T3_PNSL_ISQ_E10value_typeET4_T5_PSV_SW_PNS1_23onesweep_lookback_stateEbbT6_jjT7_P12ihipStream_tbENKUlT_T0_SK_SP_E_clISD_PbSF_PiEEDaS13_S14_SK_SP_EUlS13_E_NS1_11comp_targetILNS1_3genE3ELNS1_11target_archE908ELNS1_3gpuE7ELNS1_3repE0EEENS1_47radix_sort_onesweep_sort_config_static_selectorELNS0_4arch9wavefront6targetE1EEEvSK_
    .private_segment_fixed_size: 0
    .sgpr_count:     6
    .sgpr_spill_count: 0
    .symbol:         _ZN7rocprim17ROCPRIM_400000_NS6detail17trampoline_kernelINS0_14default_configENS1_35radix_sort_onesweep_config_selectorIbiEEZZNS1_29radix_sort_onesweep_iterationIS3_Lb0EN6thrust23THRUST_200600_302600_NS6detail15normal_iteratorINS8_10device_ptrIbEEEESD_NSA_INSB_IiEEEESF_jNS0_19identity_decomposerENS1_16block_id_wrapperIjLb0EEEEE10hipError_tT1_PNSt15iterator_traitsISK_E10value_typeET2_T3_PNSL_ISQ_E10value_typeET4_T5_PSV_SW_PNS1_23onesweep_lookback_stateEbbT6_jjT7_P12ihipStream_tbENKUlT_T0_SK_SP_E_clISD_PbSF_PiEEDaS13_S14_SK_SP_EUlS13_E_NS1_11comp_targetILNS1_3genE3ELNS1_11target_archE908ELNS1_3gpuE7ELNS1_3repE0EEENS1_47radix_sort_onesweep_sort_config_static_selectorELNS0_4arch9wavefront6targetE1EEEvSK_.kd
    .uniform_work_group_size: 1
    .uses_dynamic_stack: false
    .vgpr_count:     0
    .vgpr_spill_count: 0
    .wavefront_size: 64
  - .agpr_count:     0
    .args:
      - .offset:         0
        .size:           88
        .value_kind:     by_value
    .group_segment_fixed_size: 0
    .kernarg_segment_align: 8
    .kernarg_segment_size: 88
    .language:       OpenCL C
    .language_version:
      - 2
      - 0
    .max_flat_workgroup_size: 1024
    .name:           _ZN7rocprim17ROCPRIM_400000_NS6detail17trampoline_kernelINS0_14default_configENS1_35radix_sort_onesweep_config_selectorIbiEEZZNS1_29radix_sort_onesweep_iterationIS3_Lb0EN6thrust23THRUST_200600_302600_NS6detail15normal_iteratorINS8_10device_ptrIbEEEESD_NSA_INSB_IiEEEESF_jNS0_19identity_decomposerENS1_16block_id_wrapperIjLb0EEEEE10hipError_tT1_PNSt15iterator_traitsISK_E10value_typeET2_T3_PNSL_ISQ_E10value_typeET4_T5_PSV_SW_PNS1_23onesweep_lookback_stateEbbT6_jjT7_P12ihipStream_tbENKUlT_T0_SK_SP_E_clISD_PbSF_PiEEDaS13_S14_SK_SP_EUlS13_E_NS1_11comp_targetILNS1_3genE10ELNS1_11target_archE1201ELNS1_3gpuE5ELNS1_3repE0EEENS1_47radix_sort_onesweep_sort_config_static_selectorELNS0_4arch9wavefront6targetE1EEEvSK_
    .private_segment_fixed_size: 0
    .sgpr_count:     6
    .sgpr_spill_count: 0
    .symbol:         _ZN7rocprim17ROCPRIM_400000_NS6detail17trampoline_kernelINS0_14default_configENS1_35radix_sort_onesweep_config_selectorIbiEEZZNS1_29radix_sort_onesweep_iterationIS3_Lb0EN6thrust23THRUST_200600_302600_NS6detail15normal_iteratorINS8_10device_ptrIbEEEESD_NSA_INSB_IiEEEESF_jNS0_19identity_decomposerENS1_16block_id_wrapperIjLb0EEEEE10hipError_tT1_PNSt15iterator_traitsISK_E10value_typeET2_T3_PNSL_ISQ_E10value_typeET4_T5_PSV_SW_PNS1_23onesweep_lookback_stateEbbT6_jjT7_P12ihipStream_tbENKUlT_T0_SK_SP_E_clISD_PbSF_PiEEDaS13_S14_SK_SP_EUlS13_E_NS1_11comp_targetILNS1_3genE10ELNS1_11target_archE1201ELNS1_3gpuE5ELNS1_3repE0EEENS1_47radix_sort_onesweep_sort_config_static_selectorELNS0_4arch9wavefront6targetE1EEEvSK_.kd
    .uniform_work_group_size: 1
    .uses_dynamic_stack: false
    .vgpr_count:     0
    .vgpr_spill_count: 0
    .wavefront_size: 64
  - .agpr_count:     0
    .args:
      - .offset:         0
        .size:           88
        .value_kind:     by_value
    .group_segment_fixed_size: 0
    .kernarg_segment_align: 8
    .kernarg_segment_size: 88
    .language:       OpenCL C
    .language_version:
      - 2
      - 0
    .max_flat_workgroup_size: 1024
    .name:           _ZN7rocprim17ROCPRIM_400000_NS6detail17trampoline_kernelINS0_14default_configENS1_35radix_sort_onesweep_config_selectorIbiEEZZNS1_29radix_sort_onesweep_iterationIS3_Lb0EN6thrust23THRUST_200600_302600_NS6detail15normal_iteratorINS8_10device_ptrIbEEEESD_NSA_INSB_IiEEEESF_jNS0_19identity_decomposerENS1_16block_id_wrapperIjLb0EEEEE10hipError_tT1_PNSt15iterator_traitsISK_E10value_typeET2_T3_PNSL_ISQ_E10value_typeET4_T5_PSV_SW_PNS1_23onesweep_lookback_stateEbbT6_jjT7_P12ihipStream_tbENKUlT_T0_SK_SP_E_clISD_PbSF_PiEEDaS13_S14_SK_SP_EUlS13_E_NS1_11comp_targetILNS1_3genE9ELNS1_11target_archE1100ELNS1_3gpuE3ELNS1_3repE0EEENS1_47radix_sort_onesweep_sort_config_static_selectorELNS0_4arch9wavefront6targetE1EEEvSK_
    .private_segment_fixed_size: 0
    .sgpr_count:     6
    .sgpr_spill_count: 0
    .symbol:         _ZN7rocprim17ROCPRIM_400000_NS6detail17trampoline_kernelINS0_14default_configENS1_35radix_sort_onesweep_config_selectorIbiEEZZNS1_29radix_sort_onesweep_iterationIS3_Lb0EN6thrust23THRUST_200600_302600_NS6detail15normal_iteratorINS8_10device_ptrIbEEEESD_NSA_INSB_IiEEEESF_jNS0_19identity_decomposerENS1_16block_id_wrapperIjLb0EEEEE10hipError_tT1_PNSt15iterator_traitsISK_E10value_typeET2_T3_PNSL_ISQ_E10value_typeET4_T5_PSV_SW_PNS1_23onesweep_lookback_stateEbbT6_jjT7_P12ihipStream_tbENKUlT_T0_SK_SP_E_clISD_PbSF_PiEEDaS13_S14_SK_SP_EUlS13_E_NS1_11comp_targetILNS1_3genE9ELNS1_11target_archE1100ELNS1_3gpuE3ELNS1_3repE0EEENS1_47radix_sort_onesweep_sort_config_static_selectorELNS0_4arch9wavefront6targetE1EEEvSK_.kd
    .uniform_work_group_size: 1
    .uses_dynamic_stack: false
    .vgpr_count:     0
    .vgpr_spill_count: 0
    .wavefront_size: 64
  - .agpr_count:     0
    .args:
      - .offset:         0
        .size:           88
        .value_kind:     by_value
    .group_segment_fixed_size: 0
    .kernarg_segment_align: 8
    .kernarg_segment_size: 88
    .language:       OpenCL C
    .language_version:
      - 2
      - 0
    .max_flat_workgroup_size: 1024
    .name:           _ZN7rocprim17ROCPRIM_400000_NS6detail17trampoline_kernelINS0_14default_configENS1_35radix_sort_onesweep_config_selectorIbiEEZZNS1_29radix_sort_onesweep_iterationIS3_Lb0EN6thrust23THRUST_200600_302600_NS6detail15normal_iteratorINS8_10device_ptrIbEEEESD_NSA_INSB_IiEEEESF_jNS0_19identity_decomposerENS1_16block_id_wrapperIjLb0EEEEE10hipError_tT1_PNSt15iterator_traitsISK_E10value_typeET2_T3_PNSL_ISQ_E10value_typeET4_T5_PSV_SW_PNS1_23onesweep_lookback_stateEbbT6_jjT7_P12ihipStream_tbENKUlT_T0_SK_SP_E_clISD_PbSF_PiEEDaS13_S14_SK_SP_EUlS13_E_NS1_11comp_targetILNS1_3genE8ELNS1_11target_archE1030ELNS1_3gpuE2ELNS1_3repE0EEENS1_47radix_sort_onesweep_sort_config_static_selectorELNS0_4arch9wavefront6targetE1EEEvSK_
    .private_segment_fixed_size: 0
    .sgpr_count:     6
    .sgpr_spill_count: 0
    .symbol:         _ZN7rocprim17ROCPRIM_400000_NS6detail17trampoline_kernelINS0_14default_configENS1_35radix_sort_onesweep_config_selectorIbiEEZZNS1_29radix_sort_onesweep_iterationIS3_Lb0EN6thrust23THRUST_200600_302600_NS6detail15normal_iteratorINS8_10device_ptrIbEEEESD_NSA_INSB_IiEEEESF_jNS0_19identity_decomposerENS1_16block_id_wrapperIjLb0EEEEE10hipError_tT1_PNSt15iterator_traitsISK_E10value_typeET2_T3_PNSL_ISQ_E10value_typeET4_T5_PSV_SW_PNS1_23onesweep_lookback_stateEbbT6_jjT7_P12ihipStream_tbENKUlT_T0_SK_SP_E_clISD_PbSF_PiEEDaS13_S14_SK_SP_EUlS13_E_NS1_11comp_targetILNS1_3genE8ELNS1_11target_archE1030ELNS1_3gpuE2ELNS1_3repE0EEENS1_47radix_sort_onesweep_sort_config_static_selectorELNS0_4arch9wavefront6targetE1EEEvSK_.kd
    .uniform_work_group_size: 1
    .uses_dynamic_stack: false
    .vgpr_count:     0
    .vgpr_spill_count: 0
    .wavefront_size: 64
  - .agpr_count:     0
    .args:
      - .offset:         0
        .size:           88
        .value_kind:     by_value
    .group_segment_fixed_size: 0
    .kernarg_segment_align: 8
    .kernarg_segment_size: 88
    .language:       OpenCL C
    .language_version:
      - 2
      - 0
    .max_flat_workgroup_size: 1024
    .name:           _ZN7rocprim17ROCPRIM_400000_NS6detail17trampoline_kernelINS0_14default_configENS1_35radix_sort_onesweep_config_selectorIbiEEZZNS1_29radix_sort_onesweep_iterationIS3_Lb0EN6thrust23THRUST_200600_302600_NS6detail15normal_iteratorINS8_10device_ptrIbEEEESD_NSA_INSB_IiEEEESF_jNS0_19identity_decomposerENS1_16block_id_wrapperIjLb0EEEEE10hipError_tT1_PNSt15iterator_traitsISK_E10value_typeET2_T3_PNSL_ISQ_E10value_typeET4_T5_PSV_SW_PNS1_23onesweep_lookback_stateEbbT6_jjT7_P12ihipStream_tbENKUlT_T0_SK_SP_E_clIPbSD_PiSF_EEDaS13_S14_SK_SP_EUlS13_E_NS1_11comp_targetILNS1_3genE0ELNS1_11target_archE4294967295ELNS1_3gpuE0ELNS1_3repE0EEENS1_47radix_sort_onesweep_sort_config_static_selectorELNS0_4arch9wavefront6targetE1EEEvSK_
    .private_segment_fixed_size: 0
    .sgpr_count:     6
    .sgpr_spill_count: 0
    .symbol:         _ZN7rocprim17ROCPRIM_400000_NS6detail17trampoline_kernelINS0_14default_configENS1_35radix_sort_onesweep_config_selectorIbiEEZZNS1_29radix_sort_onesweep_iterationIS3_Lb0EN6thrust23THRUST_200600_302600_NS6detail15normal_iteratorINS8_10device_ptrIbEEEESD_NSA_INSB_IiEEEESF_jNS0_19identity_decomposerENS1_16block_id_wrapperIjLb0EEEEE10hipError_tT1_PNSt15iterator_traitsISK_E10value_typeET2_T3_PNSL_ISQ_E10value_typeET4_T5_PSV_SW_PNS1_23onesweep_lookback_stateEbbT6_jjT7_P12ihipStream_tbENKUlT_T0_SK_SP_E_clIPbSD_PiSF_EEDaS13_S14_SK_SP_EUlS13_E_NS1_11comp_targetILNS1_3genE0ELNS1_11target_archE4294967295ELNS1_3gpuE0ELNS1_3repE0EEENS1_47radix_sort_onesweep_sort_config_static_selectorELNS0_4arch9wavefront6targetE1EEEvSK_.kd
    .uniform_work_group_size: 1
    .uses_dynamic_stack: false
    .vgpr_count:     0
    .vgpr_spill_count: 0
    .wavefront_size: 64
  - .agpr_count:     0
    .args:
      - .offset:         0
        .size:           88
        .value_kind:     by_value
      - .offset:         88
        .size:           4
        .value_kind:     hidden_block_count_x
      - .offset:         92
        .size:           4
        .value_kind:     hidden_block_count_y
      - .offset:         96
        .size:           4
        .value_kind:     hidden_block_count_z
      - .offset:         100
        .size:           2
        .value_kind:     hidden_group_size_x
      - .offset:         102
        .size:           2
        .value_kind:     hidden_group_size_y
      - .offset:         104
        .size:           2
        .value_kind:     hidden_group_size_z
      - .offset:         106
        .size:           2
        .value_kind:     hidden_remainder_x
      - .offset:         108
        .size:           2
        .value_kind:     hidden_remainder_y
      - .offset:         110
        .size:           2
        .value_kind:     hidden_remainder_z
      - .offset:         128
        .size:           8
        .value_kind:     hidden_global_offset_x
      - .offset:         136
        .size:           8
        .value_kind:     hidden_global_offset_y
      - .offset:         144
        .size:           8
        .value_kind:     hidden_global_offset_z
      - .offset:         152
        .size:           2
        .value_kind:     hidden_grid_dims
    .group_segment_fixed_size: 20552
    .kernarg_segment_align: 8
    .kernarg_segment_size: 344
    .language:       OpenCL C
    .language_version:
      - 2
      - 0
    .max_flat_workgroup_size: 1024
    .name:           _ZN7rocprim17ROCPRIM_400000_NS6detail17trampoline_kernelINS0_14default_configENS1_35radix_sort_onesweep_config_selectorIbiEEZZNS1_29radix_sort_onesweep_iterationIS3_Lb0EN6thrust23THRUST_200600_302600_NS6detail15normal_iteratorINS8_10device_ptrIbEEEESD_NSA_INSB_IiEEEESF_jNS0_19identity_decomposerENS1_16block_id_wrapperIjLb0EEEEE10hipError_tT1_PNSt15iterator_traitsISK_E10value_typeET2_T3_PNSL_ISQ_E10value_typeET4_T5_PSV_SW_PNS1_23onesweep_lookback_stateEbbT6_jjT7_P12ihipStream_tbENKUlT_T0_SK_SP_E_clIPbSD_PiSF_EEDaS13_S14_SK_SP_EUlS13_E_NS1_11comp_targetILNS1_3genE6ELNS1_11target_archE950ELNS1_3gpuE13ELNS1_3repE0EEENS1_47radix_sort_onesweep_sort_config_static_selectorELNS0_4arch9wavefront6targetE1EEEvSK_
    .private_segment_fixed_size: 80
    .sgpr_count:     75
    .sgpr_spill_count: 0
    .symbol:         _ZN7rocprim17ROCPRIM_400000_NS6detail17trampoline_kernelINS0_14default_configENS1_35radix_sort_onesweep_config_selectorIbiEEZZNS1_29radix_sort_onesweep_iterationIS3_Lb0EN6thrust23THRUST_200600_302600_NS6detail15normal_iteratorINS8_10device_ptrIbEEEESD_NSA_INSB_IiEEEESF_jNS0_19identity_decomposerENS1_16block_id_wrapperIjLb0EEEEE10hipError_tT1_PNSt15iterator_traitsISK_E10value_typeET2_T3_PNSL_ISQ_E10value_typeET4_T5_PSV_SW_PNS1_23onesweep_lookback_stateEbbT6_jjT7_P12ihipStream_tbENKUlT_T0_SK_SP_E_clIPbSD_PiSF_EEDaS13_S14_SK_SP_EUlS13_E_NS1_11comp_targetILNS1_3genE6ELNS1_11target_archE950ELNS1_3gpuE13ELNS1_3repE0EEENS1_47radix_sort_onesweep_sort_config_static_selectorELNS0_4arch9wavefront6targetE1EEEvSK_.kd
    .uniform_work_group_size: 1
    .uses_dynamic_stack: false
    .vgpr_count:     100
    .vgpr_spill_count: 0
    .wavefront_size: 64
  - .agpr_count:     0
    .args:
      - .offset:         0
        .size:           88
        .value_kind:     by_value
    .group_segment_fixed_size: 0
    .kernarg_segment_align: 8
    .kernarg_segment_size: 88
    .language:       OpenCL C
    .language_version:
      - 2
      - 0
    .max_flat_workgroup_size: 1024
    .name:           _ZN7rocprim17ROCPRIM_400000_NS6detail17trampoline_kernelINS0_14default_configENS1_35radix_sort_onesweep_config_selectorIbiEEZZNS1_29radix_sort_onesweep_iterationIS3_Lb0EN6thrust23THRUST_200600_302600_NS6detail15normal_iteratorINS8_10device_ptrIbEEEESD_NSA_INSB_IiEEEESF_jNS0_19identity_decomposerENS1_16block_id_wrapperIjLb0EEEEE10hipError_tT1_PNSt15iterator_traitsISK_E10value_typeET2_T3_PNSL_ISQ_E10value_typeET4_T5_PSV_SW_PNS1_23onesweep_lookback_stateEbbT6_jjT7_P12ihipStream_tbENKUlT_T0_SK_SP_E_clIPbSD_PiSF_EEDaS13_S14_SK_SP_EUlS13_E_NS1_11comp_targetILNS1_3genE5ELNS1_11target_archE942ELNS1_3gpuE9ELNS1_3repE0EEENS1_47radix_sort_onesweep_sort_config_static_selectorELNS0_4arch9wavefront6targetE1EEEvSK_
    .private_segment_fixed_size: 0
    .sgpr_count:     6
    .sgpr_spill_count: 0
    .symbol:         _ZN7rocprim17ROCPRIM_400000_NS6detail17trampoline_kernelINS0_14default_configENS1_35radix_sort_onesweep_config_selectorIbiEEZZNS1_29radix_sort_onesweep_iterationIS3_Lb0EN6thrust23THRUST_200600_302600_NS6detail15normal_iteratorINS8_10device_ptrIbEEEESD_NSA_INSB_IiEEEESF_jNS0_19identity_decomposerENS1_16block_id_wrapperIjLb0EEEEE10hipError_tT1_PNSt15iterator_traitsISK_E10value_typeET2_T3_PNSL_ISQ_E10value_typeET4_T5_PSV_SW_PNS1_23onesweep_lookback_stateEbbT6_jjT7_P12ihipStream_tbENKUlT_T0_SK_SP_E_clIPbSD_PiSF_EEDaS13_S14_SK_SP_EUlS13_E_NS1_11comp_targetILNS1_3genE5ELNS1_11target_archE942ELNS1_3gpuE9ELNS1_3repE0EEENS1_47radix_sort_onesweep_sort_config_static_selectorELNS0_4arch9wavefront6targetE1EEEvSK_.kd
    .uniform_work_group_size: 1
    .uses_dynamic_stack: false
    .vgpr_count:     0
    .vgpr_spill_count: 0
    .wavefront_size: 64
  - .agpr_count:     0
    .args:
      - .offset:         0
        .size:           88
        .value_kind:     by_value
    .group_segment_fixed_size: 0
    .kernarg_segment_align: 8
    .kernarg_segment_size: 88
    .language:       OpenCL C
    .language_version:
      - 2
      - 0
    .max_flat_workgroup_size: 512
    .name:           _ZN7rocprim17ROCPRIM_400000_NS6detail17trampoline_kernelINS0_14default_configENS1_35radix_sort_onesweep_config_selectorIbiEEZZNS1_29radix_sort_onesweep_iterationIS3_Lb0EN6thrust23THRUST_200600_302600_NS6detail15normal_iteratorINS8_10device_ptrIbEEEESD_NSA_INSB_IiEEEESF_jNS0_19identity_decomposerENS1_16block_id_wrapperIjLb0EEEEE10hipError_tT1_PNSt15iterator_traitsISK_E10value_typeET2_T3_PNSL_ISQ_E10value_typeET4_T5_PSV_SW_PNS1_23onesweep_lookback_stateEbbT6_jjT7_P12ihipStream_tbENKUlT_T0_SK_SP_E_clIPbSD_PiSF_EEDaS13_S14_SK_SP_EUlS13_E_NS1_11comp_targetILNS1_3genE2ELNS1_11target_archE906ELNS1_3gpuE6ELNS1_3repE0EEENS1_47radix_sort_onesweep_sort_config_static_selectorELNS0_4arch9wavefront6targetE1EEEvSK_
    .private_segment_fixed_size: 0
    .sgpr_count:     6
    .sgpr_spill_count: 0
    .symbol:         _ZN7rocprim17ROCPRIM_400000_NS6detail17trampoline_kernelINS0_14default_configENS1_35radix_sort_onesweep_config_selectorIbiEEZZNS1_29radix_sort_onesweep_iterationIS3_Lb0EN6thrust23THRUST_200600_302600_NS6detail15normal_iteratorINS8_10device_ptrIbEEEESD_NSA_INSB_IiEEEESF_jNS0_19identity_decomposerENS1_16block_id_wrapperIjLb0EEEEE10hipError_tT1_PNSt15iterator_traitsISK_E10value_typeET2_T3_PNSL_ISQ_E10value_typeET4_T5_PSV_SW_PNS1_23onesweep_lookback_stateEbbT6_jjT7_P12ihipStream_tbENKUlT_T0_SK_SP_E_clIPbSD_PiSF_EEDaS13_S14_SK_SP_EUlS13_E_NS1_11comp_targetILNS1_3genE2ELNS1_11target_archE906ELNS1_3gpuE6ELNS1_3repE0EEENS1_47radix_sort_onesweep_sort_config_static_selectorELNS0_4arch9wavefront6targetE1EEEvSK_.kd
    .uniform_work_group_size: 1
    .uses_dynamic_stack: false
    .vgpr_count:     0
    .vgpr_spill_count: 0
    .wavefront_size: 64
  - .agpr_count:     0
    .args:
      - .offset:         0
        .size:           88
        .value_kind:     by_value
    .group_segment_fixed_size: 0
    .kernarg_segment_align: 8
    .kernarg_segment_size: 88
    .language:       OpenCL C
    .language_version:
      - 2
      - 0
    .max_flat_workgroup_size: 512
    .name:           _ZN7rocprim17ROCPRIM_400000_NS6detail17trampoline_kernelINS0_14default_configENS1_35radix_sort_onesweep_config_selectorIbiEEZZNS1_29radix_sort_onesweep_iterationIS3_Lb0EN6thrust23THRUST_200600_302600_NS6detail15normal_iteratorINS8_10device_ptrIbEEEESD_NSA_INSB_IiEEEESF_jNS0_19identity_decomposerENS1_16block_id_wrapperIjLb0EEEEE10hipError_tT1_PNSt15iterator_traitsISK_E10value_typeET2_T3_PNSL_ISQ_E10value_typeET4_T5_PSV_SW_PNS1_23onesweep_lookback_stateEbbT6_jjT7_P12ihipStream_tbENKUlT_T0_SK_SP_E_clIPbSD_PiSF_EEDaS13_S14_SK_SP_EUlS13_E_NS1_11comp_targetILNS1_3genE4ELNS1_11target_archE910ELNS1_3gpuE8ELNS1_3repE0EEENS1_47radix_sort_onesweep_sort_config_static_selectorELNS0_4arch9wavefront6targetE1EEEvSK_
    .private_segment_fixed_size: 0
    .sgpr_count:     6
    .sgpr_spill_count: 0
    .symbol:         _ZN7rocprim17ROCPRIM_400000_NS6detail17trampoline_kernelINS0_14default_configENS1_35radix_sort_onesweep_config_selectorIbiEEZZNS1_29radix_sort_onesweep_iterationIS3_Lb0EN6thrust23THRUST_200600_302600_NS6detail15normal_iteratorINS8_10device_ptrIbEEEESD_NSA_INSB_IiEEEESF_jNS0_19identity_decomposerENS1_16block_id_wrapperIjLb0EEEEE10hipError_tT1_PNSt15iterator_traitsISK_E10value_typeET2_T3_PNSL_ISQ_E10value_typeET4_T5_PSV_SW_PNS1_23onesweep_lookback_stateEbbT6_jjT7_P12ihipStream_tbENKUlT_T0_SK_SP_E_clIPbSD_PiSF_EEDaS13_S14_SK_SP_EUlS13_E_NS1_11comp_targetILNS1_3genE4ELNS1_11target_archE910ELNS1_3gpuE8ELNS1_3repE0EEENS1_47radix_sort_onesweep_sort_config_static_selectorELNS0_4arch9wavefront6targetE1EEEvSK_.kd
    .uniform_work_group_size: 1
    .uses_dynamic_stack: false
    .vgpr_count:     0
    .vgpr_spill_count: 0
    .wavefront_size: 64
  - .agpr_count:     0
    .args:
      - .offset:         0
        .size:           88
        .value_kind:     by_value
    .group_segment_fixed_size: 0
    .kernarg_segment_align: 8
    .kernarg_segment_size: 88
    .language:       OpenCL C
    .language_version:
      - 2
      - 0
    .max_flat_workgroup_size: 1024
    .name:           _ZN7rocprim17ROCPRIM_400000_NS6detail17trampoline_kernelINS0_14default_configENS1_35radix_sort_onesweep_config_selectorIbiEEZZNS1_29radix_sort_onesweep_iterationIS3_Lb0EN6thrust23THRUST_200600_302600_NS6detail15normal_iteratorINS8_10device_ptrIbEEEESD_NSA_INSB_IiEEEESF_jNS0_19identity_decomposerENS1_16block_id_wrapperIjLb0EEEEE10hipError_tT1_PNSt15iterator_traitsISK_E10value_typeET2_T3_PNSL_ISQ_E10value_typeET4_T5_PSV_SW_PNS1_23onesweep_lookback_stateEbbT6_jjT7_P12ihipStream_tbENKUlT_T0_SK_SP_E_clIPbSD_PiSF_EEDaS13_S14_SK_SP_EUlS13_E_NS1_11comp_targetILNS1_3genE3ELNS1_11target_archE908ELNS1_3gpuE7ELNS1_3repE0EEENS1_47radix_sort_onesweep_sort_config_static_selectorELNS0_4arch9wavefront6targetE1EEEvSK_
    .private_segment_fixed_size: 0
    .sgpr_count:     6
    .sgpr_spill_count: 0
    .symbol:         _ZN7rocprim17ROCPRIM_400000_NS6detail17trampoline_kernelINS0_14default_configENS1_35radix_sort_onesweep_config_selectorIbiEEZZNS1_29radix_sort_onesweep_iterationIS3_Lb0EN6thrust23THRUST_200600_302600_NS6detail15normal_iteratorINS8_10device_ptrIbEEEESD_NSA_INSB_IiEEEESF_jNS0_19identity_decomposerENS1_16block_id_wrapperIjLb0EEEEE10hipError_tT1_PNSt15iterator_traitsISK_E10value_typeET2_T3_PNSL_ISQ_E10value_typeET4_T5_PSV_SW_PNS1_23onesweep_lookback_stateEbbT6_jjT7_P12ihipStream_tbENKUlT_T0_SK_SP_E_clIPbSD_PiSF_EEDaS13_S14_SK_SP_EUlS13_E_NS1_11comp_targetILNS1_3genE3ELNS1_11target_archE908ELNS1_3gpuE7ELNS1_3repE0EEENS1_47radix_sort_onesweep_sort_config_static_selectorELNS0_4arch9wavefront6targetE1EEEvSK_.kd
    .uniform_work_group_size: 1
    .uses_dynamic_stack: false
    .vgpr_count:     0
    .vgpr_spill_count: 0
    .wavefront_size: 64
  - .agpr_count:     0
    .args:
      - .offset:         0
        .size:           88
        .value_kind:     by_value
    .group_segment_fixed_size: 0
    .kernarg_segment_align: 8
    .kernarg_segment_size: 88
    .language:       OpenCL C
    .language_version:
      - 2
      - 0
    .max_flat_workgroup_size: 1024
    .name:           _ZN7rocprim17ROCPRIM_400000_NS6detail17trampoline_kernelINS0_14default_configENS1_35radix_sort_onesweep_config_selectorIbiEEZZNS1_29radix_sort_onesweep_iterationIS3_Lb0EN6thrust23THRUST_200600_302600_NS6detail15normal_iteratorINS8_10device_ptrIbEEEESD_NSA_INSB_IiEEEESF_jNS0_19identity_decomposerENS1_16block_id_wrapperIjLb0EEEEE10hipError_tT1_PNSt15iterator_traitsISK_E10value_typeET2_T3_PNSL_ISQ_E10value_typeET4_T5_PSV_SW_PNS1_23onesweep_lookback_stateEbbT6_jjT7_P12ihipStream_tbENKUlT_T0_SK_SP_E_clIPbSD_PiSF_EEDaS13_S14_SK_SP_EUlS13_E_NS1_11comp_targetILNS1_3genE10ELNS1_11target_archE1201ELNS1_3gpuE5ELNS1_3repE0EEENS1_47radix_sort_onesweep_sort_config_static_selectorELNS0_4arch9wavefront6targetE1EEEvSK_
    .private_segment_fixed_size: 0
    .sgpr_count:     6
    .sgpr_spill_count: 0
    .symbol:         _ZN7rocprim17ROCPRIM_400000_NS6detail17trampoline_kernelINS0_14default_configENS1_35radix_sort_onesweep_config_selectorIbiEEZZNS1_29radix_sort_onesweep_iterationIS3_Lb0EN6thrust23THRUST_200600_302600_NS6detail15normal_iteratorINS8_10device_ptrIbEEEESD_NSA_INSB_IiEEEESF_jNS0_19identity_decomposerENS1_16block_id_wrapperIjLb0EEEEE10hipError_tT1_PNSt15iterator_traitsISK_E10value_typeET2_T3_PNSL_ISQ_E10value_typeET4_T5_PSV_SW_PNS1_23onesweep_lookback_stateEbbT6_jjT7_P12ihipStream_tbENKUlT_T0_SK_SP_E_clIPbSD_PiSF_EEDaS13_S14_SK_SP_EUlS13_E_NS1_11comp_targetILNS1_3genE10ELNS1_11target_archE1201ELNS1_3gpuE5ELNS1_3repE0EEENS1_47radix_sort_onesweep_sort_config_static_selectorELNS0_4arch9wavefront6targetE1EEEvSK_.kd
    .uniform_work_group_size: 1
    .uses_dynamic_stack: false
    .vgpr_count:     0
    .vgpr_spill_count: 0
    .wavefront_size: 64
  - .agpr_count:     0
    .args:
      - .offset:         0
        .size:           88
        .value_kind:     by_value
    .group_segment_fixed_size: 0
    .kernarg_segment_align: 8
    .kernarg_segment_size: 88
    .language:       OpenCL C
    .language_version:
      - 2
      - 0
    .max_flat_workgroup_size: 1024
    .name:           _ZN7rocprim17ROCPRIM_400000_NS6detail17trampoline_kernelINS0_14default_configENS1_35radix_sort_onesweep_config_selectorIbiEEZZNS1_29radix_sort_onesweep_iterationIS3_Lb0EN6thrust23THRUST_200600_302600_NS6detail15normal_iteratorINS8_10device_ptrIbEEEESD_NSA_INSB_IiEEEESF_jNS0_19identity_decomposerENS1_16block_id_wrapperIjLb0EEEEE10hipError_tT1_PNSt15iterator_traitsISK_E10value_typeET2_T3_PNSL_ISQ_E10value_typeET4_T5_PSV_SW_PNS1_23onesweep_lookback_stateEbbT6_jjT7_P12ihipStream_tbENKUlT_T0_SK_SP_E_clIPbSD_PiSF_EEDaS13_S14_SK_SP_EUlS13_E_NS1_11comp_targetILNS1_3genE9ELNS1_11target_archE1100ELNS1_3gpuE3ELNS1_3repE0EEENS1_47radix_sort_onesweep_sort_config_static_selectorELNS0_4arch9wavefront6targetE1EEEvSK_
    .private_segment_fixed_size: 0
    .sgpr_count:     6
    .sgpr_spill_count: 0
    .symbol:         _ZN7rocprim17ROCPRIM_400000_NS6detail17trampoline_kernelINS0_14default_configENS1_35radix_sort_onesweep_config_selectorIbiEEZZNS1_29radix_sort_onesweep_iterationIS3_Lb0EN6thrust23THRUST_200600_302600_NS6detail15normal_iteratorINS8_10device_ptrIbEEEESD_NSA_INSB_IiEEEESF_jNS0_19identity_decomposerENS1_16block_id_wrapperIjLb0EEEEE10hipError_tT1_PNSt15iterator_traitsISK_E10value_typeET2_T3_PNSL_ISQ_E10value_typeET4_T5_PSV_SW_PNS1_23onesweep_lookback_stateEbbT6_jjT7_P12ihipStream_tbENKUlT_T0_SK_SP_E_clIPbSD_PiSF_EEDaS13_S14_SK_SP_EUlS13_E_NS1_11comp_targetILNS1_3genE9ELNS1_11target_archE1100ELNS1_3gpuE3ELNS1_3repE0EEENS1_47radix_sort_onesweep_sort_config_static_selectorELNS0_4arch9wavefront6targetE1EEEvSK_.kd
    .uniform_work_group_size: 1
    .uses_dynamic_stack: false
    .vgpr_count:     0
    .vgpr_spill_count: 0
    .wavefront_size: 64
  - .agpr_count:     0
    .args:
      - .offset:         0
        .size:           88
        .value_kind:     by_value
    .group_segment_fixed_size: 0
    .kernarg_segment_align: 8
    .kernarg_segment_size: 88
    .language:       OpenCL C
    .language_version:
      - 2
      - 0
    .max_flat_workgroup_size: 1024
    .name:           _ZN7rocprim17ROCPRIM_400000_NS6detail17trampoline_kernelINS0_14default_configENS1_35radix_sort_onesweep_config_selectorIbiEEZZNS1_29radix_sort_onesweep_iterationIS3_Lb0EN6thrust23THRUST_200600_302600_NS6detail15normal_iteratorINS8_10device_ptrIbEEEESD_NSA_INSB_IiEEEESF_jNS0_19identity_decomposerENS1_16block_id_wrapperIjLb0EEEEE10hipError_tT1_PNSt15iterator_traitsISK_E10value_typeET2_T3_PNSL_ISQ_E10value_typeET4_T5_PSV_SW_PNS1_23onesweep_lookback_stateEbbT6_jjT7_P12ihipStream_tbENKUlT_T0_SK_SP_E_clIPbSD_PiSF_EEDaS13_S14_SK_SP_EUlS13_E_NS1_11comp_targetILNS1_3genE8ELNS1_11target_archE1030ELNS1_3gpuE2ELNS1_3repE0EEENS1_47radix_sort_onesweep_sort_config_static_selectorELNS0_4arch9wavefront6targetE1EEEvSK_
    .private_segment_fixed_size: 0
    .sgpr_count:     6
    .sgpr_spill_count: 0
    .symbol:         _ZN7rocprim17ROCPRIM_400000_NS6detail17trampoline_kernelINS0_14default_configENS1_35radix_sort_onesweep_config_selectorIbiEEZZNS1_29radix_sort_onesweep_iterationIS3_Lb0EN6thrust23THRUST_200600_302600_NS6detail15normal_iteratorINS8_10device_ptrIbEEEESD_NSA_INSB_IiEEEESF_jNS0_19identity_decomposerENS1_16block_id_wrapperIjLb0EEEEE10hipError_tT1_PNSt15iterator_traitsISK_E10value_typeET2_T3_PNSL_ISQ_E10value_typeET4_T5_PSV_SW_PNS1_23onesweep_lookback_stateEbbT6_jjT7_P12ihipStream_tbENKUlT_T0_SK_SP_E_clIPbSD_PiSF_EEDaS13_S14_SK_SP_EUlS13_E_NS1_11comp_targetILNS1_3genE8ELNS1_11target_archE1030ELNS1_3gpuE2ELNS1_3repE0EEENS1_47radix_sort_onesweep_sort_config_static_selectorELNS0_4arch9wavefront6targetE1EEEvSK_.kd
    .uniform_work_group_size: 1
    .uses_dynamic_stack: false
    .vgpr_count:     0
    .vgpr_spill_count: 0
    .wavefront_size: 64
  - .agpr_count:     0
    .args:
      - .offset:         0
        .size:           48
        .value_kind:     by_value
      - .offset:         48
        .size:           4
        .value_kind:     hidden_block_count_x
      - .offset:         52
        .size:           4
        .value_kind:     hidden_block_count_y
      - .offset:         56
        .size:           4
        .value_kind:     hidden_block_count_z
      - .offset:         60
        .size:           2
        .value_kind:     hidden_group_size_x
      - .offset:         62
        .size:           2
        .value_kind:     hidden_group_size_y
      - .offset:         64
        .size:           2
        .value_kind:     hidden_group_size_z
      - .offset:         66
        .size:           2
        .value_kind:     hidden_remainder_x
      - .offset:         68
        .size:           2
        .value_kind:     hidden_remainder_y
      - .offset:         70
        .size:           2
        .value_kind:     hidden_remainder_z
      - .offset:         88
        .size:           8
        .value_kind:     hidden_global_offset_x
      - .offset:         96
        .size:           8
        .value_kind:     hidden_global_offset_y
      - .offset:         104
        .size:           8
        .value_kind:     hidden_global_offset_z
      - .offset:         112
        .size:           2
        .value_kind:     hidden_grid_dims
    .group_segment_fixed_size: 4112
    .kernarg_segment_align: 8
    .kernarg_segment_size: 304
    .language:       OpenCL C
    .language_version:
      - 2
      - 0
    .max_flat_workgroup_size: 256
    .name:           _ZN7rocprim17ROCPRIM_400000_NS6detail17trampoline_kernelINS0_13kernel_configILj256ELj4ELj4294967295EEENS1_37radix_sort_block_sort_config_selectorIbiEEZNS1_21radix_sort_block_sortIS4_Lb1EN6thrust23THRUST_200600_302600_NS6detail15normal_iteratorINS9_10device_ptrIbEEEESE_NSB_INSC_IiEEEESG_NS0_19identity_decomposerEEE10hipError_tT1_T2_T3_T4_jRjT5_jjP12ihipStream_tbEUlT_E_NS1_11comp_targetILNS1_3genE0ELNS1_11target_archE4294967295ELNS1_3gpuE0ELNS1_3repE0EEENS1_44radix_sort_block_sort_config_static_selectorELNS0_4arch9wavefront6targetE1EEEvSJ_
    .private_segment_fixed_size: 0
    .sgpr_count:     52
    .sgpr_spill_count: 0
    .symbol:         _ZN7rocprim17ROCPRIM_400000_NS6detail17trampoline_kernelINS0_13kernel_configILj256ELj4ELj4294967295EEENS1_37radix_sort_block_sort_config_selectorIbiEEZNS1_21radix_sort_block_sortIS4_Lb1EN6thrust23THRUST_200600_302600_NS6detail15normal_iteratorINS9_10device_ptrIbEEEESE_NSB_INSC_IiEEEESG_NS0_19identity_decomposerEEE10hipError_tT1_T2_T3_T4_jRjT5_jjP12ihipStream_tbEUlT_E_NS1_11comp_targetILNS1_3genE0ELNS1_11target_archE4294967295ELNS1_3gpuE0ELNS1_3repE0EEENS1_44radix_sort_block_sort_config_static_selectorELNS0_4arch9wavefront6targetE1EEEvSJ_.kd
    .uniform_work_group_size: 1
    .uses_dynamic_stack: false
    .vgpr_count:     40
    .vgpr_spill_count: 0
    .wavefront_size: 64
  - .agpr_count:     0
    .args:
      - .offset:         0
        .size:           48
        .value_kind:     by_value
    .group_segment_fixed_size: 0
    .kernarg_segment_align: 8
    .kernarg_segment_size: 48
    .language:       OpenCL C
    .language_version:
      - 2
      - 0
    .max_flat_workgroup_size: 256
    .name:           _ZN7rocprim17ROCPRIM_400000_NS6detail17trampoline_kernelINS0_13kernel_configILj256ELj4ELj4294967295EEENS1_37radix_sort_block_sort_config_selectorIbiEEZNS1_21radix_sort_block_sortIS4_Lb1EN6thrust23THRUST_200600_302600_NS6detail15normal_iteratorINS9_10device_ptrIbEEEESE_NSB_INSC_IiEEEESG_NS0_19identity_decomposerEEE10hipError_tT1_T2_T3_T4_jRjT5_jjP12ihipStream_tbEUlT_E_NS1_11comp_targetILNS1_3genE5ELNS1_11target_archE942ELNS1_3gpuE9ELNS1_3repE0EEENS1_44radix_sort_block_sort_config_static_selectorELNS0_4arch9wavefront6targetE1EEEvSJ_
    .private_segment_fixed_size: 0
    .sgpr_count:     6
    .sgpr_spill_count: 0
    .symbol:         _ZN7rocprim17ROCPRIM_400000_NS6detail17trampoline_kernelINS0_13kernel_configILj256ELj4ELj4294967295EEENS1_37radix_sort_block_sort_config_selectorIbiEEZNS1_21radix_sort_block_sortIS4_Lb1EN6thrust23THRUST_200600_302600_NS6detail15normal_iteratorINS9_10device_ptrIbEEEESE_NSB_INSC_IiEEEESG_NS0_19identity_decomposerEEE10hipError_tT1_T2_T3_T4_jRjT5_jjP12ihipStream_tbEUlT_E_NS1_11comp_targetILNS1_3genE5ELNS1_11target_archE942ELNS1_3gpuE9ELNS1_3repE0EEENS1_44radix_sort_block_sort_config_static_selectorELNS0_4arch9wavefront6targetE1EEEvSJ_.kd
    .uniform_work_group_size: 1
    .uses_dynamic_stack: false
    .vgpr_count:     0
    .vgpr_spill_count: 0
    .wavefront_size: 64
  - .agpr_count:     0
    .args:
      - .offset:         0
        .size:           48
        .value_kind:     by_value
    .group_segment_fixed_size: 0
    .kernarg_segment_align: 8
    .kernarg_segment_size: 48
    .language:       OpenCL C
    .language_version:
      - 2
      - 0
    .max_flat_workgroup_size: 256
    .name:           _ZN7rocprim17ROCPRIM_400000_NS6detail17trampoline_kernelINS0_13kernel_configILj256ELj4ELj4294967295EEENS1_37radix_sort_block_sort_config_selectorIbiEEZNS1_21radix_sort_block_sortIS4_Lb1EN6thrust23THRUST_200600_302600_NS6detail15normal_iteratorINS9_10device_ptrIbEEEESE_NSB_INSC_IiEEEESG_NS0_19identity_decomposerEEE10hipError_tT1_T2_T3_T4_jRjT5_jjP12ihipStream_tbEUlT_E_NS1_11comp_targetILNS1_3genE4ELNS1_11target_archE910ELNS1_3gpuE8ELNS1_3repE0EEENS1_44radix_sort_block_sort_config_static_selectorELNS0_4arch9wavefront6targetE1EEEvSJ_
    .private_segment_fixed_size: 0
    .sgpr_count:     6
    .sgpr_spill_count: 0
    .symbol:         _ZN7rocprim17ROCPRIM_400000_NS6detail17trampoline_kernelINS0_13kernel_configILj256ELj4ELj4294967295EEENS1_37radix_sort_block_sort_config_selectorIbiEEZNS1_21radix_sort_block_sortIS4_Lb1EN6thrust23THRUST_200600_302600_NS6detail15normal_iteratorINS9_10device_ptrIbEEEESE_NSB_INSC_IiEEEESG_NS0_19identity_decomposerEEE10hipError_tT1_T2_T3_T4_jRjT5_jjP12ihipStream_tbEUlT_E_NS1_11comp_targetILNS1_3genE4ELNS1_11target_archE910ELNS1_3gpuE8ELNS1_3repE0EEENS1_44radix_sort_block_sort_config_static_selectorELNS0_4arch9wavefront6targetE1EEEvSJ_.kd
    .uniform_work_group_size: 1
    .uses_dynamic_stack: false
    .vgpr_count:     0
    .vgpr_spill_count: 0
    .wavefront_size: 64
  - .agpr_count:     0
    .args:
      - .offset:         0
        .size:           48
        .value_kind:     by_value
    .group_segment_fixed_size: 0
    .kernarg_segment_align: 8
    .kernarg_segment_size: 48
    .language:       OpenCL C
    .language_version:
      - 2
      - 0
    .max_flat_workgroup_size: 256
    .name:           _ZN7rocprim17ROCPRIM_400000_NS6detail17trampoline_kernelINS0_13kernel_configILj256ELj4ELj4294967295EEENS1_37radix_sort_block_sort_config_selectorIbiEEZNS1_21radix_sort_block_sortIS4_Lb1EN6thrust23THRUST_200600_302600_NS6detail15normal_iteratorINS9_10device_ptrIbEEEESE_NSB_INSC_IiEEEESG_NS0_19identity_decomposerEEE10hipError_tT1_T2_T3_T4_jRjT5_jjP12ihipStream_tbEUlT_E_NS1_11comp_targetILNS1_3genE3ELNS1_11target_archE908ELNS1_3gpuE7ELNS1_3repE0EEENS1_44radix_sort_block_sort_config_static_selectorELNS0_4arch9wavefront6targetE1EEEvSJ_
    .private_segment_fixed_size: 0
    .sgpr_count:     6
    .sgpr_spill_count: 0
    .symbol:         _ZN7rocprim17ROCPRIM_400000_NS6detail17trampoline_kernelINS0_13kernel_configILj256ELj4ELj4294967295EEENS1_37radix_sort_block_sort_config_selectorIbiEEZNS1_21radix_sort_block_sortIS4_Lb1EN6thrust23THRUST_200600_302600_NS6detail15normal_iteratorINS9_10device_ptrIbEEEESE_NSB_INSC_IiEEEESG_NS0_19identity_decomposerEEE10hipError_tT1_T2_T3_T4_jRjT5_jjP12ihipStream_tbEUlT_E_NS1_11comp_targetILNS1_3genE3ELNS1_11target_archE908ELNS1_3gpuE7ELNS1_3repE0EEENS1_44radix_sort_block_sort_config_static_selectorELNS0_4arch9wavefront6targetE1EEEvSJ_.kd
    .uniform_work_group_size: 1
    .uses_dynamic_stack: false
    .vgpr_count:     0
    .vgpr_spill_count: 0
    .wavefront_size: 64
  - .agpr_count:     0
    .args:
      - .offset:         0
        .size:           48
        .value_kind:     by_value
    .group_segment_fixed_size: 0
    .kernarg_segment_align: 8
    .kernarg_segment_size: 48
    .language:       OpenCL C
    .language_version:
      - 2
      - 0
    .max_flat_workgroup_size: 256
    .name:           _ZN7rocprim17ROCPRIM_400000_NS6detail17trampoline_kernelINS0_13kernel_configILj256ELj4ELj4294967295EEENS1_37radix_sort_block_sort_config_selectorIbiEEZNS1_21radix_sort_block_sortIS4_Lb1EN6thrust23THRUST_200600_302600_NS6detail15normal_iteratorINS9_10device_ptrIbEEEESE_NSB_INSC_IiEEEESG_NS0_19identity_decomposerEEE10hipError_tT1_T2_T3_T4_jRjT5_jjP12ihipStream_tbEUlT_E_NS1_11comp_targetILNS1_3genE2ELNS1_11target_archE906ELNS1_3gpuE6ELNS1_3repE0EEENS1_44radix_sort_block_sort_config_static_selectorELNS0_4arch9wavefront6targetE1EEEvSJ_
    .private_segment_fixed_size: 0
    .sgpr_count:     6
    .sgpr_spill_count: 0
    .symbol:         _ZN7rocprim17ROCPRIM_400000_NS6detail17trampoline_kernelINS0_13kernel_configILj256ELj4ELj4294967295EEENS1_37radix_sort_block_sort_config_selectorIbiEEZNS1_21radix_sort_block_sortIS4_Lb1EN6thrust23THRUST_200600_302600_NS6detail15normal_iteratorINS9_10device_ptrIbEEEESE_NSB_INSC_IiEEEESG_NS0_19identity_decomposerEEE10hipError_tT1_T2_T3_T4_jRjT5_jjP12ihipStream_tbEUlT_E_NS1_11comp_targetILNS1_3genE2ELNS1_11target_archE906ELNS1_3gpuE6ELNS1_3repE0EEENS1_44radix_sort_block_sort_config_static_selectorELNS0_4arch9wavefront6targetE1EEEvSJ_.kd
    .uniform_work_group_size: 1
    .uses_dynamic_stack: false
    .vgpr_count:     0
    .vgpr_spill_count: 0
    .wavefront_size: 64
  - .agpr_count:     0
    .args:
      - .offset:         0
        .size:           48
        .value_kind:     by_value
    .group_segment_fixed_size: 0
    .kernarg_segment_align: 8
    .kernarg_segment_size: 48
    .language:       OpenCL C
    .language_version:
      - 2
      - 0
    .max_flat_workgroup_size: 256
    .name:           _ZN7rocprim17ROCPRIM_400000_NS6detail17trampoline_kernelINS0_13kernel_configILj256ELj4ELj4294967295EEENS1_37radix_sort_block_sort_config_selectorIbiEEZNS1_21radix_sort_block_sortIS4_Lb1EN6thrust23THRUST_200600_302600_NS6detail15normal_iteratorINS9_10device_ptrIbEEEESE_NSB_INSC_IiEEEESG_NS0_19identity_decomposerEEE10hipError_tT1_T2_T3_T4_jRjT5_jjP12ihipStream_tbEUlT_E_NS1_11comp_targetILNS1_3genE10ELNS1_11target_archE1201ELNS1_3gpuE5ELNS1_3repE0EEENS1_44radix_sort_block_sort_config_static_selectorELNS0_4arch9wavefront6targetE1EEEvSJ_
    .private_segment_fixed_size: 0
    .sgpr_count:     6
    .sgpr_spill_count: 0
    .symbol:         _ZN7rocprim17ROCPRIM_400000_NS6detail17trampoline_kernelINS0_13kernel_configILj256ELj4ELj4294967295EEENS1_37radix_sort_block_sort_config_selectorIbiEEZNS1_21radix_sort_block_sortIS4_Lb1EN6thrust23THRUST_200600_302600_NS6detail15normal_iteratorINS9_10device_ptrIbEEEESE_NSB_INSC_IiEEEESG_NS0_19identity_decomposerEEE10hipError_tT1_T2_T3_T4_jRjT5_jjP12ihipStream_tbEUlT_E_NS1_11comp_targetILNS1_3genE10ELNS1_11target_archE1201ELNS1_3gpuE5ELNS1_3repE0EEENS1_44radix_sort_block_sort_config_static_selectorELNS0_4arch9wavefront6targetE1EEEvSJ_.kd
    .uniform_work_group_size: 1
    .uses_dynamic_stack: false
    .vgpr_count:     0
    .vgpr_spill_count: 0
    .wavefront_size: 64
  - .agpr_count:     0
    .args:
      - .offset:         0
        .size:           48
        .value_kind:     by_value
    .group_segment_fixed_size: 0
    .kernarg_segment_align: 8
    .kernarg_segment_size: 48
    .language:       OpenCL C
    .language_version:
      - 2
      - 0
    .max_flat_workgroup_size: 256
    .name:           _ZN7rocprim17ROCPRIM_400000_NS6detail17trampoline_kernelINS0_13kernel_configILj256ELj4ELj4294967295EEENS1_37radix_sort_block_sort_config_selectorIbiEEZNS1_21radix_sort_block_sortIS4_Lb1EN6thrust23THRUST_200600_302600_NS6detail15normal_iteratorINS9_10device_ptrIbEEEESE_NSB_INSC_IiEEEESG_NS0_19identity_decomposerEEE10hipError_tT1_T2_T3_T4_jRjT5_jjP12ihipStream_tbEUlT_E_NS1_11comp_targetILNS1_3genE10ELNS1_11target_archE1200ELNS1_3gpuE4ELNS1_3repE0EEENS1_44radix_sort_block_sort_config_static_selectorELNS0_4arch9wavefront6targetE1EEEvSJ_
    .private_segment_fixed_size: 0
    .sgpr_count:     6
    .sgpr_spill_count: 0
    .symbol:         _ZN7rocprim17ROCPRIM_400000_NS6detail17trampoline_kernelINS0_13kernel_configILj256ELj4ELj4294967295EEENS1_37radix_sort_block_sort_config_selectorIbiEEZNS1_21radix_sort_block_sortIS4_Lb1EN6thrust23THRUST_200600_302600_NS6detail15normal_iteratorINS9_10device_ptrIbEEEESE_NSB_INSC_IiEEEESG_NS0_19identity_decomposerEEE10hipError_tT1_T2_T3_T4_jRjT5_jjP12ihipStream_tbEUlT_E_NS1_11comp_targetILNS1_3genE10ELNS1_11target_archE1200ELNS1_3gpuE4ELNS1_3repE0EEENS1_44radix_sort_block_sort_config_static_selectorELNS0_4arch9wavefront6targetE1EEEvSJ_.kd
    .uniform_work_group_size: 1
    .uses_dynamic_stack: false
    .vgpr_count:     0
    .vgpr_spill_count: 0
    .wavefront_size: 64
  - .agpr_count:     0
    .args:
      - .offset:         0
        .size:           48
        .value_kind:     by_value
    .group_segment_fixed_size: 0
    .kernarg_segment_align: 8
    .kernarg_segment_size: 48
    .language:       OpenCL C
    .language_version:
      - 2
      - 0
    .max_flat_workgroup_size: 256
    .name:           _ZN7rocprim17ROCPRIM_400000_NS6detail17trampoline_kernelINS0_13kernel_configILj256ELj4ELj4294967295EEENS1_37radix_sort_block_sort_config_selectorIbiEEZNS1_21radix_sort_block_sortIS4_Lb1EN6thrust23THRUST_200600_302600_NS6detail15normal_iteratorINS9_10device_ptrIbEEEESE_NSB_INSC_IiEEEESG_NS0_19identity_decomposerEEE10hipError_tT1_T2_T3_T4_jRjT5_jjP12ihipStream_tbEUlT_E_NS1_11comp_targetILNS1_3genE9ELNS1_11target_archE1100ELNS1_3gpuE3ELNS1_3repE0EEENS1_44radix_sort_block_sort_config_static_selectorELNS0_4arch9wavefront6targetE1EEEvSJ_
    .private_segment_fixed_size: 0
    .sgpr_count:     6
    .sgpr_spill_count: 0
    .symbol:         _ZN7rocprim17ROCPRIM_400000_NS6detail17trampoline_kernelINS0_13kernel_configILj256ELj4ELj4294967295EEENS1_37radix_sort_block_sort_config_selectorIbiEEZNS1_21radix_sort_block_sortIS4_Lb1EN6thrust23THRUST_200600_302600_NS6detail15normal_iteratorINS9_10device_ptrIbEEEESE_NSB_INSC_IiEEEESG_NS0_19identity_decomposerEEE10hipError_tT1_T2_T3_T4_jRjT5_jjP12ihipStream_tbEUlT_E_NS1_11comp_targetILNS1_3genE9ELNS1_11target_archE1100ELNS1_3gpuE3ELNS1_3repE0EEENS1_44radix_sort_block_sort_config_static_selectorELNS0_4arch9wavefront6targetE1EEEvSJ_.kd
    .uniform_work_group_size: 1
    .uses_dynamic_stack: false
    .vgpr_count:     0
    .vgpr_spill_count: 0
    .wavefront_size: 64
  - .agpr_count:     0
    .args:
      - .offset:         0
        .size:           48
        .value_kind:     by_value
    .group_segment_fixed_size: 0
    .kernarg_segment_align: 8
    .kernarg_segment_size: 48
    .language:       OpenCL C
    .language_version:
      - 2
      - 0
    .max_flat_workgroup_size: 256
    .name:           _ZN7rocprim17ROCPRIM_400000_NS6detail17trampoline_kernelINS0_13kernel_configILj256ELj4ELj4294967295EEENS1_37radix_sort_block_sort_config_selectorIbiEEZNS1_21radix_sort_block_sortIS4_Lb1EN6thrust23THRUST_200600_302600_NS6detail15normal_iteratorINS9_10device_ptrIbEEEESE_NSB_INSC_IiEEEESG_NS0_19identity_decomposerEEE10hipError_tT1_T2_T3_T4_jRjT5_jjP12ihipStream_tbEUlT_E_NS1_11comp_targetILNS1_3genE8ELNS1_11target_archE1030ELNS1_3gpuE2ELNS1_3repE0EEENS1_44radix_sort_block_sort_config_static_selectorELNS0_4arch9wavefront6targetE1EEEvSJ_
    .private_segment_fixed_size: 0
    .sgpr_count:     6
    .sgpr_spill_count: 0
    .symbol:         _ZN7rocprim17ROCPRIM_400000_NS6detail17trampoline_kernelINS0_13kernel_configILj256ELj4ELj4294967295EEENS1_37radix_sort_block_sort_config_selectorIbiEEZNS1_21radix_sort_block_sortIS4_Lb1EN6thrust23THRUST_200600_302600_NS6detail15normal_iteratorINS9_10device_ptrIbEEEESE_NSB_INSC_IiEEEESG_NS0_19identity_decomposerEEE10hipError_tT1_T2_T3_T4_jRjT5_jjP12ihipStream_tbEUlT_E_NS1_11comp_targetILNS1_3genE8ELNS1_11target_archE1030ELNS1_3gpuE2ELNS1_3repE0EEENS1_44radix_sort_block_sort_config_static_selectorELNS0_4arch9wavefront6targetE1EEEvSJ_.kd
    .uniform_work_group_size: 1
    .uses_dynamic_stack: false
    .vgpr_count:     0
    .vgpr_spill_count: 0
    .wavefront_size: 64
  - .agpr_count:     0
    .args:
      - .offset:         0
        .size:           40
        .value_kind:     by_value
    .group_segment_fixed_size: 0
    .kernarg_segment_align: 8
    .kernarg_segment_size: 40
    .language:       OpenCL C
    .language_version:
      - 2
      - 0
    .max_flat_workgroup_size: 128
    .name:           _ZN7rocprim17ROCPRIM_400000_NS6detail17trampoline_kernelINS0_14default_configENS1_38merge_sort_block_merge_config_selectorIbiEEZZNS1_27merge_sort_block_merge_implIS3_N6thrust23THRUST_200600_302600_NS6detail15normal_iteratorINS8_10device_ptrIbEEEENSA_INSB_IiEEEEjNS1_19radix_merge_compareILb1ELb0EbNS0_19identity_decomposerEEEEE10hipError_tT0_T1_T2_jT3_P12ihipStream_tbPNSt15iterator_traitsISK_E10value_typeEPNSQ_ISL_E10value_typeEPSM_NS1_7vsmem_tEENKUlT_SK_SL_SM_E_clIPbSD_PiSF_EESJ_SZ_SK_SL_SM_EUlSZ_E_NS1_11comp_targetILNS1_3genE0ELNS1_11target_archE4294967295ELNS1_3gpuE0ELNS1_3repE0EEENS1_48merge_mergepath_partition_config_static_selectorELNS0_4arch9wavefront6targetE1EEEvSL_
    .private_segment_fixed_size: 0
    .sgpr_count:     14
    .sgpr_spill_count: 0
    .symbol:         _ZN7rocprim17ROCPRIM_400000_NS6detail17trampoline_kernelINS0_14default_configENS1_38merge_sort_block_merge_config_selectorIbiEEZZNS1_27merge_sort_block_merge_implIS3_N6thrust23THRUST_200600_302600_NS6detail15normal_iteratorINS8_10device_ptrIbEEEENSA_INSB_IiEEEEjNS1_19radix_merge_compareILb1ELb0EbNS0_19identity_decomposerEEEEE10hipError_tT0_T1_T2_jT3_P12ihipStream_tbPNSt15iterator_traitsISK_E10value_typeEPNSQ_ISL_E10value_typeEPSM_NS1_7vsmem_tEENKUlT_SK_SL_SM_E_clIPbSD_PiSF_EESJ_SZ_SK_SL_SM_EUlSZ_E_NS1_11comp_targetILNS1_3genE0ELNS1_11target_archE4294967295ELNS1_3gpuE0ELNS1_3repE0EEENS1_48merge_mergepath_partition_config_static_selectorELNS0_4arch9wavefront6targetE1EEEvSL_.kd
    .uniform_work_group_size: 1
    .uses_dynamic_stack: false
    .vgpr_count:     17
    .vgpr_spill_count: 0
    .wavefront_size: 64
  - .agpr_count:     0
    .args:
      - .offset:         0
        .size:           40
        .value_kind:     by_value
    .group_segment_fixed_size: 0
    .kernarg_segment_align: 8
    .kernarg_segment_size: 40
    .language:       OpenCL C
    .language_version:
      - 2
      - 0
    .max_flat_workgroup_size: 128
    .name:           _ZN7rocprim17ROCPRIM_400000_NS6detail17trampoline_kernelINS0_14default_configENS1_38merge_sort_block_merge_config_selectorIbiEEZZNS1_27merge_sort_block_merge_implIS3_N6thrust23THRUST_200600_302600_NS6detail15normal_iteratorINS8_10device_ptrIbEEEENSA_INSB_IiEEEEjNS1_19radix_merge_compareILb1ELb0EbNS0_19identity_decomposerEEEEE10hipError_tT0_T1_T2_jT3_P12ihipStream_tbPNSt15iterator_traitsISK_E10value_typeEPNSQ_ISL_E10value_typeEPSM_NS1_7vsmem_tEENKUlT_SK_SL_SM_E_clIPbSD_PiSF_EESJ_SZ_SK_SL_SM_EUlSZ_E_NS1_11comp_targetILNS1_3genE10ELNS1_11target_archE1201ELNS1_3gpuE5ELNS1_3repE0EEENS1_48merge_mergepath_partition_config_static_selectorELNS0_4arch9wavefront6targetE1EEEvSL_
    .private_segment_fixed_size: 0
    .sgpr_count:     6
    .sgpr_spill_count: 0
    .symbol:         _ZN7rocprim17ROCPRIM_400000_NS6detail17trampoline_kernelINS0_14default_configENS1_38merge_sort_block_merge_config_selectorIbiEEZZNS1_27merge_sort_block_merge_implIS3_N6thrust23THRUST_200600_302600_NS6detail15normal_iteratorINS8_10device_ptrIbEEEENSA_INSB_IiEEEEjNS1_19radix_merge_compareILb1ELb0EbNS0_19identity_decomposerEEEEE10hipError_tT0_T1_T2_jT3_P12ihipStream_tbPNSt15iterator_traitsISK_E10value_typeEPNSQ_ISL_E10value_typeEPSM_NS1_7vsmem_tEENKUlT_SK_SL_SM_E_clIPbSD_PiSF_EESJ_SZ_SK_SL_SM_EUlSZ_E_NS1_11comp_targetILNS1_3genE10ELNS1_11target_archE1201ELNS1_3gpuE5ELNS1_3repE0EEENS1_48merge_mergepath_partition_config_static_selectorELNS0_4arch9wavefront6targetE1EEEvSL_.kd
    .uniform_work_group_size: 1
    .uses_dynamic_stack: false
    .vgpr_count:     0
    .vgpr_spill_count: 0
    .wavefront_size: 64
  - .agpr_count:     0
    .args:
      - .offset:         0
        .size:           40
        .value_kind:     by_value
    .group_segment_fixed_size: 0
    .kernarg_segment_align: 8
    .kernarg_segment_size: 40
    .language:       OpenCL C
    .language_version:
      - 2
      - 0
    .max_flat_workgroup_size: 128
    .name:           _ZN7rocprim17ROCPRIM_400000_NS6detail17trampoline_kernelINS0_14default_configENS1_38merge_sort_block_merge_config_selectorIbiEEZZNS1_27merge_sort_block_merge_implIS3_N6thrust23THRUST_200600_302600_NS6detail15normal_iteratorINS8_10device_ptrIbEEEENSA_INSB_IiEEEEjNS1_19radix_merge_compareILb1ELb0EbNS0_19identity_decomposerEEEEE10hipError_tT0_T1_T2_jT3_P12ihipStream_tbPNSt15iterator_traitsISK_E10value_typeEPNSQ_ISL_E10value_typeEPSM_NS1_7vsmem_tEENKUlT_SK_SL_SM_E_clIPbSD_PiSF_EESJ_SZ_SK_SL_SM_EUlSZ_E_NS1_11comp_targetILNS1_3genE5ELNS1_11target_archE942ELNS1_3gpuE9ELNS1_3repE0EEENS1_48merge_mergepath_partition_config_static_selectorELNS0_4arch9wavefront6targetE1EEEvSL_
    .private_segment_fixed_size: 0
    .sgpr_count:     6
    .sgpr_spill_count: 0
    .symbol:         _ZN7rocprim17ROCPRIM_400000_NS6detail17trampoline_kernelINS0_14default_configENS1_38merge_sort_block_merge_config_selectorIbiEEZZNS1_27merge_sort_block_merge_implIS3_N6thrust23THRUST_200600_302600_NS6detail15normal_iteratorINS8_10device_ptrIbEEEENSA_INSB_IiEEEEjNS1_19radix_merge_compareILb1ELb0EbNS0_19identity_decomposerEEEEE10hipError_tT0_T1_T2_jT3_P12ihipStream_tbPNSt15iterator_traitsISK_E10value_typeEPNSQ_ISL_E10value_typeEPSM_NS1_7vsmem_tEENKUlT_SK_SL_SM_E_clIPbSD_PiSF_EESJ_SZ_SK_SL_SM_EUlSZ_E_NS1_11comp_targetILNS1_3genE5ELNS1_11target_archE942ELNS1_3gpuE9ELNS1_3repE0EEENS1_48merge_mergepath_partition_config_static_selectorELNS0_4arch9wavefront6targetE1EEEvSL_.kd
    .uniform_work_group_size: 1
    .uses_dynamic_stack: false
    .vgpr_count:     0
    .vgpr_spill_count: 0
    .wavefront_size: 64
  - .agpr_count:     0
    .args:
      - .offset:         0
        .size:           40
        .value_kind:     by_value
    .group_segment_fixed_size: 0
    .kernarg_segment_align: 8
    .kernarg_segment_size: 40
    .language:       OpenCL C
    .language_version:
      - 2
      - 0
    .max_flat_workgroup_size: 128
    .name:           _ZN7rocprim17ROCPRIM_400000_NS6detail17trampoline_kernelINS0_14default_configENS1_38merge_sort_block_merge_config_selectorIbiEEZZNS1_27merge_sort_block_merge_implIS3_N6thrust23THRUST_200600_302600_NS6detail15normal_iteratorINS8_10device_ptrIbEEEENSA_INSB_IiEEEEjNS1_19radix_merge_compareILb1ELb0EbNS0_19identity_decomposerEEEEE10hipError_tT0_T1_T2_jT3_P12ihipStream_tbPNSt15iterator_traitsISK_E10value_typeEPNSQ_ISL_E10value_typeEPSM_NS1_7vsmem_tEENKUlT_SK_SL_SM_E_clIPbSD_PiSF_EESJ_SZ_SK_SL_SM_EUlSZ_E_NS1_11comp_targetILNS1_3genE4ELNS1_11target_archE910ELNS1_3gpuE8ELNS1_3repE0EEENS1_48merge_mergepath_partition_config_static_selectorELNS0_4arch9wavefront6targetE1EEEvSL_
    .private_segment_fixed_size: 0
    .sgpr_count:     6
    .sgpr_spill_count: 0
    .symbol:         _ZN7rocprim17ROCPRIM_400000_NS6detail17trampoline_kernelINS0_14default_configENS1_38merge_sort_block_merge_config_selectorIbiEEZZNS1_27merge_sort_block_merge_implIS3_N6thrust23THRUST_200600_302600_NS6detail15normal_iteratorINS8_10device_ptrIbEEEENSA_INSB_IiEEEEjNS1_19radix_merge_compareILb1ELb0EbNS0_19identity_decomposerEEEEE10hipError_tT0_T1_T2_jT3_P12ihipStream_tbPNSt15iterator_traitsISK_E10value_typeEPNSQ_ISL_E10value_typeEPSM_NS1_7vsmem_tEENKUlT_SK_SL_SM_E_clIPbSD_PiSF_EESJ_SZ_SK_SL_SM_EUlSZ_E_NS1_11comp_targetILNS1_3genE4ELNS1_11target_archE910ELNS1_3gpuE8ELNS1_3repE0EEENS1_48merge_mergepath_partition_config_static_selectorELNS0_4arch9wavefront6targetE1EEEvSL_.kd
    .uniform_work_group_size: 1
    .uses_dynamic_stack: false
    .vgpr_count:     0
    .vgpr_spill_count: 0
    .wavefront_size: 64
  - .agpr_count:     0
    .args:
      - .offset:         0
        .size:           40
        .value_kind:     by_value
    .group_segment_fixed_size: 0
    .kernarg_segment_align: 8
    .kernarg_segment_size: 40
    .language:       OpenCL C
    .language_version:
      - 2
      - 0
    .max_flat_workgroup_size: 128
    .name:           _ZN7rocprim17ROCPRIM_400000_NS6detail17trampoline_kernelINS0_14default_configENS1_38merge_sort_block_merge_config_selectorIbiEEZZNS1_27merge_sort_block_merge_implIS3_N6thrust23THRUST_200600_302600_NS6detail15normal_iteratorINS8_10device_ptrIbEEEENSA_INSB_IiEEEEjNS1_19radix_merge_compareILb1ELb0EbNS0_19identity_decomposerEEEEE10hipError_tT0_T1_T2_jT3_P12ihipStream_tbPNSt15iterator_traitsISK_E10value_typeEPNSQ_ISL_E10value_typeEPSM_NS1_7vsmem_tEENKUlT_SK_SL_SM_E_clIPbSD_PiSF_EESJ_SZ_SK_SL_SM_EUlSZ_E_NS1_11comp_targetILNS1_3genE3ELNS1_11target_archE908ELNS1_3gpuE7ELNS1_3repE0EEENS1_48merge_mergepath_partition_config_static_selectorELNS0_4arch9wavefront6targetE1EEEvSL_
    .private_segment_fixed_size: 0
    .sgpr_count:     6
    .sgpr_spill_count: 0
    .symbol:         _ZN7rocprim17ROCPRIM_400000_NS6detail17trampoline_kernelINS0_14default_configENS1_38merge_sort_block_merge_config_selectorIbiEEZZNS1_27merge_sort_block_merge_implIS3_N6thrust23THRUST_200600_302600_NS6detail15normal_iteratorINS8_10device_ptrIbEEEENSA_INSB_IiEEEEjNS1_19radix_merge_compareILb1ELb0EbNS0_19identity_decomposerEEEEE10hipError_tT0_T1_T2_jT3_P12ihipStream_tbPNSt15iterator_traitsISK_E10value_typeEPNSQ_ISL_E10value_typeEPSM_NS1_7vsmem_tEENKUlT_SK_SL_SM_E_clIPbSD_PiSF_EESJ_SZ_SK_SL_SM_EUlSZ_E_NS1_11comp_targetILNS1_3genE3ELNS1_11target_archE908ELNS1_3gpuE7ELNS1_3repE0EEENS1_48merge_mergepath_partition_config_static_selectorELNS0_4arch9wavefront6targetE1EEEvSL_.kd
    .uniform_work_group_size: 1
    .uses_dynamic_stack: false
    .vgpr_count:     0
    .vgpr_spill_count: 0
    .wavefront_size: 64
  - .agpr_count:     0
    .args:
      - .offset:         0
        .size:           40
        .value_kind:     by_value
    .group_segment_fixed_size: 0
    .kernarg_segment_align: 8
    .kernarg_segment_size: 40
    .language:       OpenCL C
    .language_version:
      - 2
      - 0
    .max_flat_workgroup_size: 128
    .name:           _ZN7rocprim17ROCPRIM_400000_NS6detail17trampoline_kernelINS0_14default_configENS1_38merge_sort_block_merge_config_selectorIbiEEZZNS1_27merge_sort_block_merge_implIS3_N6thrust23THRUST_200600_302600_NS6detail15normal_iteratorINS8_10device_ptrIbEEEENSA_INSB_IiEEEEjNS1_19radix_merge_compareILb1ELb0EbNS0_19identity_decomposerEEEEE10hipError_tT0_T1_T2_jT3_P12ihipStream_tbPNSt15iterator_traitsISK_E10value_typeEPNSQ_ISL_E10value_typeEPSM_NS1_7vsmem_tEENKUlT_SK_SL_SM_E_clIPbSD_PiSF_EESJ_SZ_SK_SL_SM_EUlSZ_E_NS1_11comp_targetILNS1_3genE2ELNS1_11target_archE906ELNS1_3gpuE6ELNS1_3repE0EEENS1_48merge_mergepath_partition_config_static_selectorELNS0_4arch9wavefront6targetE1EEEvSL_
    .private_segment_fixed_size: 0
    .sgpr_count:     6
    .sgpr_spill_count: 0
    .symbol:         _ZN7rocprim17ROCPRIM_400000_NS6detail17trampoline_kernelINS0_14default_configENS1_38merge_sort_block_merge_config_selectorIbiEEZZNS1_27merge_sort_block_merge_implIS3_N6thrust23THRUST_200600_302600_NS6detail15normal_iteratorINS8_10device_ptrIbEEEENSA_INSB_IiEEEEjNS1_19radix_merge_compareILb1ELb0EbNS0_19identity_decomposerEEEEE10hipError_tT0_T1_T2_jT3_P12ihipStream_tbPNSt15iterator_traitsISK_E10value_typeEPNSQ_ISL_E10value_typeEPSM_NS1_7vsmem_tEENKUlT_SK_SL_SM_E_clIPbSD_PiSF_EESJ_SZ_SK_SL_SM_EUlSZ_E_NS1_11comp_targetILNS1_3genE2ELNS1_11target_archE906ELNS1_3gpuE6ELNS1_3repE0EEENS1_48merge_mergepath_partition_config_static_selectorELNS0_4arch9wavefront6targetE1EEEvSL_.kd
    .uniform_work_group_size: 1
    .uses_dynamic_stack: false
    .vgpr_count:     0
    .vgpr_spill_count: 0
    .wavefront_size: 64
  - .agpr_count:     0
    .args:
      - .offset:         0
        .size:           40
        .value_kind:     by_value
    .group_segment_fixed_size: 0
    .kernarg_segment_align: 8
    .kernarg_segment_size: 40
    .language:       OpenCL C
    .language_version:
      - 2
      - 0
    .max_flat_workgroup_size: 128
    .name:           _ZN7rocprim17ROCPRIM_400000_NS6detail17trampoline_kernelINS0_14default_configENS1_38merge_sort_block_merge_config_selectorIbiEEZZNS1_27merge_sort_block_merge_implIS3_N6thrust23THRUST_200600_302600_NS6detail15normal_iteratorINS8_10device_ptrIbEEEENSA_INSB_IiEEEEjNS1_19radix_merge_compareILb1ELb0EbNS0_19identity_decomposerEEEEE10hipError_tT0_T1_T2_jT3_P12ihipStream_tbPNSt15iterator_traitsISK_E10value_typeEPNSQ_ISL_E10value_typeEPSM_NS1_7vsmem_tEENKUlT_SK_SL_SM_E_clIPbSD_PiSF_EESJ_SZ_SK_SL_SM_EUlSZ_E_NS1_11comp_targetILNS1_3genE9ELNS1_11target_archE1100ELNS1_3gpuE3ELNS1_3repE0EEENS1_48merge_mergepath_partition_config_static_selectorELNS0_4arch9wavefront6targetE1EEEvSL_
    .private_segment_fixed_size: 0
    .sgpr_count:     6
    .sgpr_spill_count: 0
    .symbol:         _ZN7rocprim17ROCPRIM_400000_NS6detail17trampoline_kernelINS0_14default_configENS1_38merge_sort_block_merge_config_selectorIbiEEZZNS1_27merge_sort_block_merge_implIS3_N6thrust23THRUST_200600_302600_NS6detail15normal_iteratorINS8_10device_ptrIbEEEENSA_INSB_IiEEEEjNS1_19radix_merge_compareILb1ELb0EbNS0_19identity_decomposerEEEEE10hipError_tT0_T1_T2_jT3_P12ihipStream_tbPNSt15iterator_traitsISK_E10value_typeEPNSQ_ISL_E10value_typeEPSM_NS1_7vsmem_tEENKUlT_SK_SL_SM_E_clIPbSD_PiSF_EESJ_SZ_SK_SL_SM_EUlSZ_E_NS1_11comp_targetILNS1_3genE9ELNS1_11target_archE1100ELNS1_3gpuE3ELNS1_3repE0EEENS1_48merge_mergepath_partition_config_static_selectorELNS0_4arch9wavefront6targetE1EEEvSL_.kd
    .uniform_work_group_size: 1
    .uses_dynamic_stack: false
    .vgpr_count:     0
    .vgpr_spill_count: 0
    .wavefront_size: 64
  - .agpr_count:     0
    .args:
      - .offset:         0
        .size:           40
        .value_kind:     by_value
    .group_segment_fixed_size: 0
    .kernarg_segment_align: 8
    .kernarg_segment_size: 40
    .language:       OpenCL C
    .language_version:
      - 2
      - 0
    .max_flat_workgroup_size: 128
    .name:           _ZN7rocprim17ROCPRIM_400000_NS6detail17trampoline_kernelINS0_14default_configENS1_38merge_sort_block_merge_config_selectorIbiEEZZNS1_27merge_sort_block_merge_implIS3_N6thrust23THRUST_200600_302600_NS6detail15normal_iteratorINS8_10device_ptrIbEEEENSA_INSB_IiEEEEjNS1_19radix_merge_compareILb1ELb0EbNS0_19identity_decomposerEEEEE10hipError_tT0_T1_T2_jT3_P12ihipStream_tbPNSt15iterator_traitsISK_E10value_typeEPNSQ_ISL_E10value_typeEPSM_NS1_7vsmem_tEENKUlT_SK_SL_SM_E_clIPbSD_PiSF_EESJ_SZ_SK_SL_SM_EUlSZ_E_NS1_11comp_targetILNS1_3genE8ELNS1_11target_archE1030ELNS1_3gpuE2ELNS1_3repE0EEENS1_48merge_mergepath_partition_config_static_selectorELNS0_4arch9wavefront6targetE1EEEvSL_
    .private_segment_fixed_size: 0
    .sgpr_count:     6
    .sgpr_spill_count: 0
    .symbol:         _ZN7rocprim17ROCPRIM_400000_NS6detail17trampoline_kernelINS0_14default_configENS1_38merge_sort_block_merge_config_selectorIbiEEZZNS1_27merge_sort_block_merge_implIS3_N6thrust23THRUST_200600_302600_NS6detail15normal_iteratorINS8_10device_ptrIbEEEENSA_INSB_IiEEEEjNS1_19radix_merge_compareILb1ELb0EbNS0_19identity_decomposerEEEEE10hipError_tT0_T1_T2_jT3_P12ihipStream_tbPNSt15iterator_traitsISK_E10value_typeEPNSQ_ISL_E10value_typeEPSM_NS1_7vsmem_tEENKUlT_SK_SL_SM_E_clIPbSD_PiSF_EESJ_SZ_SK_SL_SM_EUlSZ_E_NS1_11comp_targetILNS1_3genE8ELNS1_11target_archE1030ELNS1_3gpuE2ELNS1_3repE0EEENS1_48merge_mergepath_partition_config_static_selectorELNS0_4arch9wavefront6targetE1EEEvSL_.kd
    .uniform_work_group_size: 1
    .uses_dynamic_stack: false
    .vgpr_count:     0
    .vgpr_spill_count: 0
    .wavefront_size: 64
  - .agpr_count:     0
    .args:
      - .offset:         0
        .size:           64
        .value_kind:     by_value
      - .offset:         64
        .size:           4
        .value_kind:     hidden_block_count_x
      - .offset:         68
        .size:           4
        .value_kind:     hidden_block_count_y
      - .offset:         72
        .size:           4
        .value_kind:     hidden_block_count_z
      - .offset:         76
        .size:           2
        .value_kind:     hidden_group_size_x
      - .offset:         78
        .size:           2
        .value_kind:     hidden_group_size_y
      - .offset:         80
        .size:           2
        .value_kind:     hidden_group_size_z
      - .offset:         82
        .size:           2
        .value_kind:     hidden_remainder_x
      - .offset:         84
        .size:           2
        .value_kind:     hidden_remainder_y
      - .offset:         86
        .size:           2
        .value_kind:     hidden_remainder_z
      - .offset:         104
        .size:           8
        .value_kind:     hidden_global_offset_x
      - .offset:         112
        .size:           8
        .value_kind:     hidden_global_offset_y
      - .offset:         120
        .size:           8
        .value_kind:     hidden_global_offset_z
      - .offset:         128
        .size:           2
        .value_kind:     hidden_grid_dims
    .group_segment_fixed_size: 4224
    .kernarg_segment_align: 8
    .kernarg_segment_size: 320
    .language:       OpenCL C
    .language_version:
      - 2
      - 0
    .max_flat_workgroup_size: 256
    .name:           _ZN7rocprim17ROCPRIM_400000_NS6detail17trampoline_kernelINS0_14default_configENS1_38merge_sort_block_merge_config_selectorIbiEEZZNS1_27merge_sort_block_merge_implIS3_N6thrust23THRUST_200600_302600_NS6detail15normal_iteratorINS8_10device_ptrIbEEEENSA_INSB_IiEEEEjNS1_19radix_merge_compareILb1ELb0EbNS0_19identity_decomposerEEEEE10hipError_tT0_T1_T2_jT3_P12ihipStream_tbPNSt15iterator_traitsISK_E10value_typeEPNSQ_ISL_E10value_typeEPSM_NS1_7vsmem_tEENKUlT_SK_SL_SM_E_clIPbSD_PiSF_EESJ_SZ_SK_SL_SM_EUlSZ_E0_NS1_11comp_targetILNS1_3genE0ELNS1_11target_archE4294967295ELNS1_3gpuE0ELNS1_3repE0EEENS1_38merge_mergepath_config_static_selectorELNS0_4arch9wavefront6targetE1EEEvSL_
    .private_segment_fixed_size: 0
    .sgpr_count:     35
    .sgpr_spill_count: 0
    .symbol:         _ZN7rocprim17ROCPRIM_400000_NS6detail17trampoline_kernelINS0_14default_configENS1_38merge_sort_block_merge_config_selectorIbiEEZZNS1_27merge_sort_block_merge_implIS3_N6thrust23THRUST_200600_302600_NS6detail15normal_iteratorINS8_10device_ptrIbEEEENSA_INSB_IiEEEEjNS1_19radix_merge_compareILb1ELb0EbNS0_19identity_decomposerEEEEE10hipError_tT0_T1_T2_jT3_P12ihipStream_tbPNSt15iterator_traitsISK_E10value_typeEPNSQ_ISL_E10value_typeEPSM_NS1_7vsmem_tEENKUlT_SK_SL_SM_E_clIPbSD_PiSF_EESJ_SZ_SK_SL_SM_EUlSZ_E0_NS1_11comp_targetILNS1_3genE0ELNS1_11target_archE4294967295ELNS1_3gpuE0ELNS1_3repE0EEENS1_38merge_mergepath_config_static_selectorELNS0_4arch9wavefront6targetE1EEEvSL_.kd
    .uniform_work_group_size: 1
    .uses_dynamic_stack: false
    .vgpr_count:     27
    .vgpr_spill_count: 0
    .wavefront_size: 64
  - .agpr_count:     0
    .args:
      - .offset:         0
        .size:           64
        .value_kind:     by_value
    .group_segment_fixed_size: 0
    .kernarg_segment_align: 8
    .kernarg_segment_size: 64
    .language:       OpenCL C
    .language_version:
      - 2
      - 0
    .max_flat_workgroup_size: 256
    .name:           _ZN7rocprim17ROCPRIM_400000_NS6detail17trampoline_kernelINS0_14default_configENS1_38merge_sort_block_merge_config_selectorIbiEEZZNS1_27merge_sort_block_merge_implIS3_N6thrust23THRUST_200600_302600_NS6detail15normal_iteratorINS8_10device_ptrIbEEEENSA_INSB_IiEEEEjNS1_19radix_merge_compareILb1ELb0EbNS0_19identity_decomposerEEEEE10hipError_tT0_T1_T2_jT3_P12ihipStream_tbPNSt15iterator_traitsISK_E10value_typeEPNSQ_ISL_E10value_typeEPSM_NS1_7vsmem_tEENKUlT_SK_SL_SM_E_clIPbSD_PiSF_EESJ_SZ_SK_SL_SM_EUlSZ_E0_NS1_11comp_targetILNS1_3genE10ELNS1_11target_archE1201ELNS1_3gpuE5ELNS1_3repE0EEENS1_38merge_mergepath_config_static_selectorELNS0_4arch9wavefront6targetE1EEEvSL_
    .private_segment_fixed_size: 0
    .sgpr_count:     6
    .sgpr_spill_count: 0
    .symbol:         _ZN7rocprim17ROCPRIM_400000_NS6detail17trampoline_kernelINS0_14default_configENS1_38merge_sort_block_merge_config_selectorIbiEEZZNS1_27merge_sort_block_merge_implIS3_N6thrust23THRUST_200600_302600_NS6detail15normal_iteratorINS8_10device_ptrIbEEEENSA_INSB_IiEEEEjNS1_19radix_merge_compareILb1ELb0EbNS0_19identity_decomposerEEEEE10hipError_tT0_T1_T2_jT3_P12ihipStream_tbPNSt15iterator_traitsISK_E10value_typeEPNSQ_ISL_E10value_typeEPSM_NS1_7vsmem_tEENKUlT_SK_SL_SM_E_clIPbSD_PiSF_EESJ_SZ_SK_SL_SM_EUlSZ_E0_NS1_11comp_targetILNS1_3genE10ELNS1_11target_archE1201ELNS1_3gpuE5ELNS1_3repE0EEENS1_38merge_mergepath_config_static_selectorELNS0_4arch9wavefront6targetE1EEEvSL_.kd
    .uniform_work_group_size: 1
    .uses_dynamic_stack: false
    .vgpr_count:     0
    .vgpr_spill_count: 0
    .wavefront_size: 64
  - .agpr_count:     0
    .args:
      - .offset:         0
        .size:           64
        .value_kind:     by_value
    .group_segment_fixed_size: 0
    .kernarg_segment_align: 8
    .kernarg_segment_size: 64
    .language:       OpenCL C
    .language_version:
      - 2
      - 0
    .max_flat_workgroup_size: 128
    .name:           _ZN7rocprim17ROCPRIM_400000_NS6detail17trampoline_kernelINS0_14default_configENS1_38merge_sort_block_merge_config_selectorIbiEEZZNS1_27merge_sort_block_merge_implIS3_N6thrust23THRUST_200600_302600_NS6detail15normal_iteratorINS8_10device_ptrIbEEEENSA_INSB_IiEEEEjNS1_19radix_merge_compareILb1ELb0EbNS0_19identity_decomposerEEEEE10hipError_tT0_T1_T2_jT3_P12ihipStream_tbPNSt15iterator_traitsISK_E10value_typeEPNSQ_ISL_E10value_typeEPSM_NS1_7vsmem_tEENKUlT_SK_SL_SM_E_clIPbSD_PiSF_EESJ_SZ_SK_SL_SM_EUlSZ_E0_NS1_11comp_targetILNS1_3genE5ELNS1_11target_archE942ELNS1_3gpuE9ELNS1_3repE0EEENS1_38merge_mergepath_config_static_selectorELNS0_4arch9wavefront6targetE1EEEvSL_
    .private_segment_fixed_size: 0
    .sgpr_count:     6
    .sgpr_spill_count: 0
    .symbol:         _ZN7rocprim17ROCPRIM_400000_NS6detail17trampoline_kernelINS0_14default_configENS1_38merge_sort_block_merge_config_selectorIbiEEZZNS1_27merge_sort_block_merge_implIS3_N6thrust23THRUST_200600_302600_NS6detail15normal_iteratorINS8_10device_ptrIbEEEENSA_INSB_IiEEEEjNS1_19radix_merge_compareILb1ELb0EbNS0_19identity_decomposerEEEEE10hipError_tT0_T1_T2_jT3_P12ihipStream_tbPNSt15iterator_traitsISK_E10value_typeEPNSQ_ISL_E10value_typeEPSM_NS1_7vsmem_tEENKUlT_SK_SL_SM_E_clIPbSD_PiSF_EESJ_SZ_SK_SL_SM_EUlSZ_E0_NS1_11comp_targetILNS1_3genE5ELNS1_11target_archE942ELNS1_3gpuE9ELNS1_3repE0EEENS1_38merge_mergepath_config_static_selectorELNS0_4arch9wavefront6targetE1EEEvSL_.kd
    .uniform_work_group_size: 1
    .uses_dynamic_stack: false
    .vgpr_count:     0
    .vgpr_spill_count: 0
    .wavefront_size: 64
  - .agpr_count:     0
    .args:
      - .offset:         0
        .size:           64
        .value_kind:     by_value
    .group_segment_fixed_size: 0
    .kernarg_segment_align: 8
    .kernarg_segment_size: 64
    .language:       OpenCL C
    .language_version:
      - 2
      - 0
    .max_flat_workgroup_size: 128
    .name:           _ZN7rocprim17ROCPRIM_400000_NS6detail17trampoline_kernelINS0_14default_configENS1_38merge_sort_block_merge_config_selectorIbiEEZZNS1_27merge_sort_block_merge_implIS3_N6thrust23THRUST_200600_302600_NS6detail15normal_iteratorINS8_10device_ptrIbEEEENSA_INSB_IiEEEEjNS1_19radix_merge_compareILb1ELb0EbNS0_19identity_decomposerEEEEE10hipError_tT0_T1_T2_jT3_P12ihipStream_tbPNSt15iterator_traitsISK_E10value_typeEPNSQ_ISL_E10value_typeEPSM_NS1_7vsmem_tEENKUlT_SK_SL_SM_E_clIPbSD_PiSF_EESJ_SZ_SK_SL_SM_EUlSZ_E0_NS1_11comp_targetILNS1_3genE4ELNS1_11target_archE910ELNS1_3gpuE8ELNS1_3repE0EEENS1_38merge_mergepath_config_static_selectorELNS0_4arch9wavefront6targetE1EEEvSL_
    .private_segment_fixed_size: 0
    .sgpr_count:     6
    .sgpr_spill_count: 0
    .symbol:         _ZN7rocprim17ROCPRIM_400000_NS6detail17trampoline_kernelINS0_14default_configENS1_38merge_sort_block_merge_config_selectorIbiEEZZNS1_27merge_sort_block_merge_implIS3_N6thrust23THRUST_200600_302600_NS6detail15normal_iteratorINS8_10device_ptrIbEEEENSA_INSB_IiEEEEjNS1_19radix_merge_compareILb1ELb0EbNS0_19identity_decomposerEEEEE10hipError_tT0_T1_T2_jT3_P12ihipStream_tbPNSt15iterator_traitsISK_E10value_typeEPNSQ_ISL_E10value_typeEPSM_NS1_7vsmem_tEENKUlT_SK_SL_SM_E_clIPbSD_PiSF_EESJ_SZ_SK_SL_SM_EUlSZ_E0_NS1_11comp_targetILNS1_3genE4ELNS1_11target_archE910ELNS1_3gpuE8ELNS1_3repE0EEENS1_38merge_mergepath_config_static_selectorELNS0_4arch9wavefront6targetE1EEEvSL_.kd
    .uniform_work_group_size: 1
    .uses_dynamic_stack: false
    .vgpr_count:     0
    .vgpr_spill_count: 0
    .wavefront_size: 64
  - .agpr_count:     0
    .args:
      - .offset:         0
        .size:           64
        .value_kind:     by_value
    .group_segment_fixed_size: 0
    .kernarg_segment_align: 8
    .kernarg_segment_size: 64
    .language:       OpenCL C
    .language_version:
      - 2
      - 0
    .max_flat_workgroup_size: 256
    .name:           _ZN7rocprim17ROCPRIM_400000_NS6detail17trampoline_kernelINS0_14default_configENS1_38merge_sort_block_merge_config_selectorIbiEEZZNS1_27merge_sort_block_merge_implIS3_N6thrust23THRUST_200600_302600_NS6detail15normal_iteratorINS8_10device_ptrIbEEEENSA_INSB_IiEEEEjNS1_19radix_merge_compareILb1ELb0EbNS0_19identity_decomposerEEEEE10hipError_tT0_T1_T2_jT3_P12ihipStream_tbPNSt15iterator_traitsISK_E10value_typeEPNSQ_ISL_E10value_typeEPSM_NS1_7vsmem_tEENKUlT_SK_SL_SM_E_clIPbSD_PiSF_EESJ_SZ_SK_SL_SM_EUlSZ_E0_NS1_11comp_targetILNS1_3genE3ELNS1_11target_archE908ELNS1_3gpuE7ELNS1_3repE0EEENS1_38merge_mergepath_config_static_selectorELNS0_4arch9wavefront6targetE1EEEvSL_
    .private_segment_fixed_size: 0
    .sgpr_count:     6
    .sgpr_spill_count: 0
    .symbol:         _ZN7rocprim17ROCPRIM_400000_NS6detail17trampoline_kernelINS0_14default_configENS1_38merge_sort_block_merge_config_selectorIbiEEZZNS1_27merge_sort_block_merge_implIS3_N6thrust23THRUST_200600_302600_NS6detail15normal_iteratorINS8_10device_ptrIbEEEENSA_INSB_IiEEEEjNS1_19radix_merge_compareILb1ELb0EbNS0_19identity_decomposerEEEEE10hipError_tT0_T1_T2_jT3_P12ihipStream_tbPNSt15iterator_traitsISK_E10value_typeEPNSQ_ISL_E10value_typeEPSM_NS1_7vsmem_tEENKUlT_SK_SL_SM_E_clIPbSD_PiSF_EESJ_SZ_SK_SL_SM_EUlSZ_E0_NS1_11comp_targetILNS1_3genE3ELNS1_11target_archE908ELNS1_3gpuE7ELNS1_3repE0EEENS1_38merge_mergepath_config_static_selectorELNS0_4arch9wavefront6targetE1EEEvSL_.kd
    .uniform_work_group_size: 1
    .uses_dynamic_stack: false
    .vgpr_count:     0
    .vgpr_spill_count: 0
    .wavefront_size: 64
  - .agpr_count:     0
    .args:
      - .offset:         0
        .size:           64
        .value_kind:     by_value
    .group_segment_fixed_size: 0
    .kernarg_segment_align: 8
    .kernarg_segment_size: 64
    .language:       OpenCL C
    .language_version:
      - 2
      - 0
    .max_flat_workgroup_size: 128
    .name:           _ZN7rocprim17ROCPRIM_400000_NS6detail17trampoline_kernelINS0_14default_configENS1_38merge_sort_block_merge_config_selectorIbiEEZZNS1_27merge_sort_block_merge_implIS3_N6thrust23THRUST_200600_302600_NS6detail15normal_iteratorINS8_10device_ptrIbEEEENSA_INSB_IiEEEEjNS1_19radix_merge_compareILb1ELb0EbNS0_19identity_decomposerEEEEE10hipError_tT0_T1_T2_jT3_P12ihipStream_tbPNSt15iterator_traitsISK_E10value_typeEPNSQ_ISL_E10value_typeEPSM_NS1_7vsmem_tEENKUlT_SK_SL_SM_E_clIPbSD_PiSF_EESJ_SZ_SK_SL_SM_EUlSZ_E0_NS1_11comp_targetILNS1_3genE2ELNS1_11target_archE906ELNS1_3gpuE6ELNS1_3repE0EEENS1_38merge_mergepath_config_static_selectorELNS0_4arch9wavefront6targetE1EEEvSL_
    .private_segment_fixed_size: 0
    .sgpr_count:     6
    .sgpr_spill_count: 0
    .symbol:         _ZN7rocprim17ROCPRIM_400000_NS6detail17trampoline_kernelINS0_14default_configENS1_38merge_sort_block_merge_config_selectorIbiEEZZNS1_27merge_sort_block_merge_implIS3_N6thrust23THRUST_200600_302600_NS6detail15normal_iteratorINS8_10device_ptrIbEEEENSA_INSB_IiEEEEjNS1_19radix_merge_compareILb1ELb0EbNS0_19identity_decomposerEEEEE10hipError_tT0_T1_T2_jT3_P12ihipStream_tbPNSt15iterator_traitsISK_E10value_typeEPNSQ_ISL_E10value_typeEPSM_NS1_7vsmem_tEENKUlT_SK_SL_SM_E_clIPbSD_PiSF_EESJ_SZ_SK_SL_SM_EUlSZ_E0_NS1_11comp_targetILNS1_3genE2ELNS1_11target_archE906ELNS1_3gpuE6ELNS1_3repE0EEENS1_38merge_mergepath_config_static_selectorELNS0_4arch9wavefront6targetE1EEEvSL_.kd
    .uniform_work_group_size: 1
    .uses_dynamic_stack: false
    .vgpr_count:     0
    .vgpr_spill_count: 0
    .wavefront_size: 64
  - .agpr_count:     0
    .args:
      - .offset:         0
        .size:           64
        .value_kind:     by_value
    .group_segment_fixed_size: 0
    .kernarg_segment_align: 8
    .kernarg_segment_size: 64
    .language:       OpenCL C
    .language_version:
      - 2
      - 0
    .max_flat_workgroup_size: 256
    .name:           _ZN7rocprim17ROCPRIM_400000_NS6detail17trampoline_kernelINS0_14default_configENS1_38merge_sort_block_merge_config_selectorIbiEEZZNS1_27merge_sort_block_merge_implIS3_N6thrust23THRUST_200600_302600_NS6detail15normal_iteratorINS8_10device_ptrIbEEEENSA_INSB_IiEEEEjNS1_19radix_merge_compareILb1ELb0EbNS0_19identity_decomposerEEEEE10hipError_tT0_T1_T2_jT3_P12ihipStream_tbPNSt15iterator_traitsISK_E10value_typeEPNSQ_ISL_E10value_typeEPSM_NS1_7vsmem_tEENKUlT_SK_SL_SM_E_clIPbSD_PiSF_EESJ_SZ_SK_SL_SM_EUlSZ_E0_NS1_11comp_targetILNS1_3genE9ELNS1_11target_archE1100ELNS1_3gpuE3ELNS1_3repE0EEENS1_38merge_mergepath_config_static_selectorELNS0_4arch9wavefront6targetE1EEEvSL_
    .private_segment_fixed_size: 0
    .sgpr_count:     6
    .sgpr_spill_count: 0
    .symbol:         _ZN7rocprim17ROCPRIM_400000_NS6detail17trampoline_kernelINS0_14default_configENS1_38merge_sort_block_merge_config_selectorIbiEEZZNS1_27merge_sort_block_merge_implIS3_N6thrust23THRUST_200600_302600_NS6detail15normal_iteratorINS8_10device_ptrIbEEEENSA_INSB_IiEEEEjNS1_19radix_merge_compareILb1ELb0EbNS0_19identity_decomposerEEEEE10hipError_tT0_T1_T2_jT3_P12ihipStream_tbPNSt15iterator_traitsISK_E10value_typeEPNSQ_ISL_E10value_typeEPSM_NS1_7vsmem_tEENKUlT_SK_SL_SM_E_clIPbSD_PiSF_EESJ_SZ_SK_SL_SM_EUlSZ_E0_NS1_11comp_targetILNS1_3genE9ELNS1_11target_archE1100ELNS1_3gpuE3ELNS1_3repE0EEENS1_38merge_mergepath_config_static_selectorELNS0_4arch9wavefront6targetE1EEEvSL_.kd
    .uniform_work_group_size: 1
    .uses_dynamic_stack: false
    .vgpr_count:     0
    .vgpr_spill_count: 0
    .wavefront_size: 64
  - .agpr_count:     0
    .args:
      - .offset:         0
        .size:           64
        .value_kind:     by_value
    .group_segment_fixed_size: 0
    .kernarg_segment_align: 8
    .kernarg_segment_size: 64
    .language:       OpenCL C
    .language_version:
      - 2
      - 0
    .max_flat_workgroup_size: 256
    .name:           _ZN7rocprim17ROCPRIM_400000_NS6detail17trampoline_kernelINS0_14default_configENS1_38merge_sort_block_merge_config_selectorIbiEEZZNS1_27merge_sort_block_merge_implIS3_N6thrust23THRUST_200600_302600_NS6detail15normal_iteratorINS8_10device_ptrIbEEEENSA_INSB_IiEEEEjNS1_19radix_merge_compareILb1ELb0EbNS0_19identity_decomposerEEEEE10hipError_tT0_T1_T2_jT3_P12ihipStream_tbPNSt15iterator_traitsISK_E10value_typeEPNSQ_ISL_E10value_typeEPSM_NS1_7vsmem_tEENKUlT_SK_SL_SM_E_clIPbSD_PiSF_EESJ_SZ_SK_SL_SM_EUlSZ_E0_NS1_11comp_targetILNS1_3genE8ELNS1_11target_archE1030ELNS1_3gpuE2ELNS1_3repE0EEENS1_38merge_mergepath_config_static_selectorELNS0_4arch9wavefront6targetE1EEEvSL_
    .private_segment_fixed_size: 0
    .sgpr_count:     6
    .sgpr_spill_count: 0
    .symbol:         _ZN7rocprim17ROCPRIM_400000_NS6detail17trampoline_kernelINS0_14default_configENS1_38merge_sort_block_merge_config_selectorIbiEEZZNS1_27merge_sort_block_merge_implIS3_N6thrust23THRUST_200600_302600_NS6detail15normal_iteratorINS8_10device_ptrIbEEEENSA_INSB_IiEEEEjNS1_19radix_merge_compareILb1ELb0EbNS0_19identity_decomposerEEEEE10hipError_tT0_T1_T2_jT3_P12ihipStream_tbPNSt15iterator_traitsISK_E10value_typeEPNSQ_ISL_E10value_typeEPSM_NS1_7vsmem_tEENKUlT_SK_SL_SM_E_clIPbSD_PiSF_EESJ_SZ_SK_SL_SM_EUlSZ_E0_NS1_11comp_targetILNS1_3genE8ELNS1_11target_archE1030ELNS1_3gpuE2ELNS1_3repE0EEENS1_38merge_mergepath_config_static_selectorELNS0_4arch9wavefront6targetE1EEEvSL_.kd
    .uniform_work_group_size: 1
    .uses_dynamic_stack: false
    .vgpr_count:     0
    .vgpr_spill_count: 0
    .wavefront_size: 64
  - .agpr_count:     0
    .args:
      - .offset:         0
        .size:           48
        .value_kind:     by_value
    .group_segment_fixed_size: 0
    .kernarg_segment_align: 8
    .kernarg_segment_size: 48
    .language:       OpenCL C
    .language_version:
      - 2
      - 0
    .max_flat_workgroup_size: 256
    .name:           _ZN7rocprim17ROCPRIM_400000_NS6detail17trampoline_kernelINS0_14default_configENS1_38merge_sort_block_merge_config_selectorIbiEEZZNS1_27merge_sort_block_merge_implIS3_N6thrust23THRUST_200600_302600_NS6detail15normal_iteratorINS8_10device_ptrIbEEEENSA_INSB_IiEEEEjNS1_19radix_merge_compareILb1ELb0EbNS0_19identity_decomposerEEEEE10hipError_tT0_T1_T2_jT3_P12ihipStream_tbPNSt15iterator_traitsISK_E10value_typeEPNSQ_ISL_E10value_typeEPSM_NS1_7vsmem_tEENKUlT_SK_SL_SM_E_clIPbSD_PiSF_EESJ_SZ_SK_SL_SM_EUlSZ_E1_NS1_11comp_targetILNS1_3genE0ELNS1_11target_archE4294967295ELNS1_3gpuE0ELNS1_3repE0EEENS1_36merge_oddeven_config_static_selectorELNS0_4arch9wavefront6targetE1EEEvSL_
    .private_segment_fixed_size: 0
    .sgpr_count:     30
    .sgpr_spill_count: 0
    .symbol:         _ZN7rocprim17ROCPRIM_400000_NS6detail17trampoline_kernelINS0_14default_configENS1_38merge_sort_block_merge_config_selectorIbiEEZZNS1_27merge_sort_block_merge_implIS3_N6thrust23THRUST_200600_302600_NS6detail15normal_iteratorINS8_10device_ptrIbEEEENSA_INSB_IiEEEEjNS1_19radix_merge_compareILb1ELb0EbNS0_19identity_decomposerEEEEE10hipError_tT0_T1_T2_jT3_P12ihipStream_tbPNSt15iterator_traitsISK_E10value_typeEPNSQ_ISL_E10value_typeEPSM_NS1_7vsmem_tEENKUlT_SK_SL_SM_E_clIPbSD_PiSF_EESJ_SZ_SK_SL_SM_EUlSZ_E1_NS1_11comp_targetILNS1_3genE0ELNS1_11target_archE4294967295ELNS1_3gpuE0ELNS1_3repE0EEENS1_36merge_oddeven_config_static_selectorELNS0_4arch9wavefront6targetE1EEEvSL_.kd
    .uniform_work_group_size: 1
    .uses_dynamic_stack: false
    .vgpr_count:     9
    .vgpr_spill_count: 0
    .wavefront_size: 64
  - .agpr_count:     0
    .args:
      - .offset:         0
        .size:           48
        .value_kind:     by_value
    .group_segment_fixed_size: 0
    .kernarg_segment_align: 8
    .kernarg_segment_size: 48
    .language:       OpenCL C
    .language_version:
      - 2
      - 0
    .max_flat_workgroup_size: 256
    .name:           _ZN7rocprim17ROCPRIM_400000_NS6detail17trampoline_kernelINS0_14default_configENS1_38merge_sort_block_merge_config_selectorIbiEEZZNS1_27merge_sort_block_merge_implIS3_N6thrust23THRUST_200600_302600_NS6detail15normal_iteratorINS8_10device_ptrIbEEEENSA_INSB_IiEEEEjNS1_19radix_merge_compareILb1ELb0EbNS0_19identity_decomposerEEEEE10hipError_tT0_T1_T2_jT3_P12ihipStream_tbPNSt15iterator_traitsISK_E10value_typeEPNSQ_ISL_E10value_typeEPSM_NS1_7vsmem_tEENKUlT_SK_SL_SM_E_clIPbSD_PiSF_EESJ_SZ_SK_SL_SM_EUlSZ_E1_NS1_11comp_targetILNS1_3genE10ELNS1_11target_archE1201ELNS1_3gpuE5ELNS1_3repE0EEENS1_36merge_oddeven_config_static_selectorELNS0_4arch9wavefront6targetE1EEEvSL_
    .private_segment_fixed_size: 0
    .sgpr_count:     6
    .sgpr_spill_count: 0
    .symbol:         _ZN7rocprim17ROCPRIM_400000_NS6detail17trampoline_kernelINS0_14default_configENS1_38merge_sort_block_merge_config_selectorIbiEEZZNS1_27merge_sort_block_merge_implIS3_N6thrust23THRUST_200600_302600_NS6detail15normal_iteratorINS8_10device_ptrIbEEEENSA_INSB_IiEEEEjNS1_19radix_merge_compareILb1ELb0EbNS0_19identity_decomposerEEEEE10hipError_tT0_T1_T2_jT3_P12ihipStream_tbPNSt15iterator_traitsISK_E10value_typeEPNSQ_ISL_E10value_typeEPSM_NS1_7vsmem_tEENKUlT_SK_SL_SM_E_clIPbSD_PiSF_EESJ_SZ_SK_SL_SM_EUlSZ_E1_NS1_11comp_targetILNS1_3genE10ELNS1_11target_archE1201ELNS1_3gpuE5ELNS1_3repE0EEENS1_36merge_oddeven_config_static_selectorELNS0_4arch9wavefront6targetE1EEEvSL_.kd
    .uniform_work_group_size: 1
    .uses_dynamic_stack: false
    .vgpr_count:     0
    .vgpr_spill_count: 0
    .wavefront_size: 64
  - .agpr_count:     0
    .args:
      - .offset:         0
        .size:           48
        .value_kind:     by_value
    .group_segment_fixed_size: 0
    .kernarg_segment_align: 8
    .kernarg_segment_size: 48
    .language:       OpenCL C
    .language_version:
      - 2
      - 0
    .max_flat_workgroup_size: 256
    .name:           _ZN7rocprim17ROCPRIM_400000_NS6detail17trampoline_kernelINS0_14default_configENS1_38merge_sort_block_merge_config_selectorIbiEEZZNS1_27merge_sort_block_merge_implIS3_N6thrust23THRUST_200600_302600_NS6detail15normal_iteratorINS8_10device_ptrIbEEEENSA_INSB_IiEEEEjNS1_19radix_merge_compareILb1ELb0EbNS0_19identity_decomposerEEEEE10hipError_tT0_T1_T2_jT3_P12ihipStream_tbPNSt15iterator_traitsISK_E10value_typeEPNSQ_ISL_E10value_typeEPSM_NS1_7vsmem_tEENKUlT_SK_SL_SM_E_clIPbSD_PiSF_EESJ_SZ_SK_SL_SM_EUlSZ_E1_NS1_11comp_targetILNS1_3genE5ELNS1_11target_archE942ELNS1_3gpuE9ELNS1_3repE0EEENS1_36merge_oddeven_config_static_selectorELNS0_4arch9wavefront6targetE1EEEvSL_
    .private_segment_fixed_size: 0
    .sgpr_count:     6
    .sgpr_spill_count: 0
    .symbol:         _ZN7rocprim17ROCPRIM_400000_NS6detail17trampoline_kernelINS0_14default_configENS1_38merge_sort_block_merge_config_selectorIbiEEZZNS1_27merge_sort_block_merge_implIS3_N6thrust23THRUST_200600_302600_NS6detail15normal_iteratorINS8_10device_ptrIbEEEENSA_INSB_IiEEEEjNS1_19radix_merge_compareILb1ELb0EbNS0_19identity_decomposerEEEEE10hipError_tT0_T1_T2_jT3_P12ihipStream_tbPNSt15iterator_traitsISK_E10value_typeEPNSQ_ISL_E10value_typeEPSM_NS1_7vsmem_tEENKUlT_SK_SL_SM_E_clIPbSD_PiSF_EESJ_SZ_SK_SL_SM_EUlSZ_E1_NS1_11comp_targetILNS1_3genE5ELNS1_11target_archE942ELNS1_3gpuE9ELNS1_3repE0EEENS1_36merge_oddeven_config_static_selectorELNS0_4arch9wavefront6targetE1EEEvSL_.kd
    .uniform_work_group_size: 1
    .uses_dynamic_stack: false
    .vgpr_count:     0
    .vgpr_spill_count: 0
    .wavefront_size: 64
  - .agpr_count:     0
    .args:
      - .offset:         0
        .size:           48
        .value_kind:     by_value
    .group_segment_fixed_size: 0
    .kernarg_segment_align: 8
    .kernarg_segment_size: 48
    .language:       OpenCL C
    .language_version:
      - 2
      - 0
    .max_flat_workgroup_size: 256
    .name:           _ZN7rocprim17ROCPRIM_400000_NS6detail17trampoline_kernelINS0_14default_configENS1_38merge_sort_block_merge_config_selectorIbiEEZZNS1_27merge_sort_block_merge_implIS3_N6thrust23THRUST_200600_302600_NS6detail15normal_iteratorINS8_10device_ptrIbEEEENSA_INSB_IiEEEEjNS1_19radix_merge_compareILb1ELb0EbNS0_19identity_decomposerEEEEE10hipError_tT0_T1_T2_jT3_P12ihipStream_tbPNSt15iterator_traitsISK_E10value_typeEPNSQ_ISL_E10value_typeEPSM_NS1_7vsmem_tEENKUlT_SK_SL_SM_E_clIPbSD_PiSF_EESJ_SZ_SK_SL_SM_EUlSZ_E1_NS1_11comp_targetILNS1_3genE4ELNS1_11target_archE910ELNS1_3gpuE8ELNS1_3repE0EEENS1_36merge_oddeven_config_static_selectorELNS0_4arch9wavefront6targetE1EEEvSL_
    .private_segment_fixed_size: 0
    .sgpr_count:     6
    .sgpr_spill_count: 0
    .symbol:         _ZN7rocprim17ROCPRIM_400000_NS6detail17trampoline_kernelINS0_14default_configENS1_38merge_sort_block_merge_config_selectorIbiEEZZNS1_27merge_sort_block_merge_implIS3_N6thrust23THRUST_200600_302600_NS6detail15normal_iteratorINS8_10device_ptrIbEEEENSA_INSB_IiEEEEjNS1_19radix_merge_compareILb1ELb0EbNS0_19identity_decomposerEEEEE10hipError_tT0_T1_T2_jT3_P12ihipStream_tbPNSt15iterator_traitsISK_E10value_typeEPNSQ_ISL_E10value_typeEPSM_NS1_7vsmem_tEENKUlT_SK_SL_SM_E_clIPbSD_PiSF_EESJ_SZ_SK_SL_SM_EUlSZ_E1_NS1_11comp_targetILNS1_3genE4ELNS1_11target_archE910ELNS1_3gpuE8ELNS1_3repE0EEENS1_36merge_oddeven_config_static_selectorELNS0_4arch9wavefront6targetE1EEEvSL_.kd
    .uniform_work_group_size: 1
    .uses_dynamic_stack: false
    .vgpr_count:     0
    .vgpr_spill_count: 0
    .wavefront_size: 64
  - .agpr_count:     0
    .args:
      - .offset:         0
        .size:           48
        .value_kind:     by_value
    .group_segment_fixed_size: 0
    .kernarg_segment_align: 8
    .kernarg_segment_size: 48
    .language:       OpenCL C
    .language_version:
      - 2
      - 0
    .max_flat_workgroup_size: 256
    .name:           _ZN7rocprim17ROCPRIM_400000_NS6detail17trampoline_kernelINS0_14default_configENS1_38merge_sort_block_merge_config_selectorIbiEEZZNS1_27merge_sort_block_merge_implIS3_N6thrust23THRUST_200600_302600_NS6detail15normal_iteratorINS8_10device_ptrIbEEEENSA_INSB_IiEEEEjNS1_19radix_merge_compareILb1ELb0EbNS0_19identity_decomposerEEEEE10hipError_tT0_T1_T2_jT3_P12ihipStream_tbPNSt15iterator_traitsISK_E10value_typeEPNSQ_ISL_E10value_typeEPSM_NS1_7vsmem_tEENKUlT_SK_SL_SM_E_clIPbSD_PiSF_EESJ_SZ_SK_SL_SM_EUlSZ_E1_NS1_11comp_targetILNS1_3genE3ELNS1_11target_archE908ELNS1_3gpuE7ELNS1_3repE0EEENS1_36merge_oddeven_config_static_selectorELNS0_4arch9wavefront6targetE1EEEvSL_
    .private_segment_fixed_size: 0
    .sgpr_count:     6
    .sgpr_spill_count: 0
    .symbol:         _ZN7rocprim17ROCPRIM_400000_NS6detail17trampoline_kernelINS0_14default_configENS1_38merge_sort_block_merge_config_selectorIbiEEZZNS1_27merge_sort_block_merge_implIS3_N6thrust23THRUST_200600_302600_NS6detail15normal_iteratorINS8_10device_ptrIbEEEENSA_INSB_IiEEEEjNS1_19radix_merge_compareILb1ELb0EbNS0_19identity_decomposerEEEEE10hipError_tT0_T1_T2_jT3_P12ihipStream_tbPNSt15iterator_traitsISK_E10value_typeEPNSQ_ISL_E10value_typeEPSM_NS1_7vsmem_tEENKUlT_SK_SL_SM_E_clIPbSD_PiSF_EESJ_SZ_SK_SL_SM_EUlSZ_E1_NS1_11comp_targetILNS1_3genE3ELNS1_11target_archE908ELNS1_3gpuE7ELNS1_3repE0EEENS1_36merge_oddeven_config_static_selectorELNS0_4arch9wavefront6targetE1EEEvSL_.kd
    .uniform_work_group_size: 1
    .uses_dynamic_stack: false
    .vgpr_count:     0
    .vgpr_spill_count: 0
    .wavefront_size: 64
  - .agpr_count:     0
    .args:
      - .offset:         0
        .size:           48
        .value_kind:     by_value
    .group_segment_fixed_size: 0
    .kernarg_segment_align: 8
    .kernarg_segment_size: 48
    .language:       OpenCL C
    .language_version:
      - 2
      - 0
    .max_flat_workgroup_size: 256
    .name:           _ZN7rocprim17ROCPRIM_400000_NS6detail17trampoline_kernelINS0_14default_configENS1_38merge_sort_block_merge_config_selectorIbiEEZZNS1_27merge_sort_block_merge_implIS3_N6thrust23THRUST_200600_302600_NS6detail15normal_iteratorINS8_10device_ptrIbEEEENSA_INSB_IiEEEEjNS1_19radix_merge_compareILb1ELb0EbNS0_19identity_decomposerEEEEE10hipError_tT0_T1_T2_jT3_P12ihipStream_tbPNSt15iterator_traitsISK_E10value_typeEPNSQ_ISL_E10value_typeEPSM_NS1_7vsmem_tEENKUlT_SK_SL_SM_E_clIPbSD_PiSF_EESJ_SZ_SK_SL_SM_EUlSZ_E1_NS1_11comp_targetILNS1_3genE2ELNS1_11target_archE906ELNS1_3gpuE6ELNS1_3repE0EEENS1_36merge_oddeven_config_static_selectorELNS0_4arch9wavefront6targetE1EEEvSL_
    .private_segment_fixed_size: 0
    .sgpr_count:     6
    .sgpr_spill_count: 0
    .symbol:         _ZN7rocprim17ROCPRIM_400000_NS6detail17trampoline_kernelINS0_14default_configENS1_38merge_sort_block_merge_config_selectorIbiEEZZNS1_27merge_sort_block_merge_implIS3_N6thrust23THRUST_200600_302600_NS6detail15normal_iteratorINS8_10device_ptrIbEEEENSA_INSB_IiEEEEjNS1_19radix_merge_compareILb1ELb0EbNS0_19identity_decomposerEEEEE10hipError_tT0_T1_T2_jT3_P12ihipStream_tbPNSt15iterator_traitsISK_E10value_typeEPNSQ_ISL_E10value_typeEPSM_NS1_7vsmem_tEENKUlT_SK_SL_SM_E_clIPbSD_PiSF_EESJ_SZ_SK_SL_SM_EUlSZ_E1_NS1_11comp_targetILNS1_3genE2ELNS1_11target_archE906ELNS1_3gpuE6ELNS1_3repE0EEENS1_36merge_oddeven_config_static_selectorELNS0_4arch9wavefront6targetE1EEEvSL_.kd
    .uniform_work_group_size: 1
    .uses_dynamic_stack: false
    .vgpr_count:     0
    .vgpr_spill_count: 0
    .wavefront_size: 64
  - .agpr_count:     0
    .args:
      - .offset:         0
        .size:           48
        .value_kind:     by_value
    .group_segment_fixed_size: 0
    .kernarg_segment_align: 8
    .kernarg_segment_size: 48
    .language:       OpenCL C
    .language_version:
      - 2
      - 0
    .max_flat_workgroup_size: 256
    .name:           _ZN7rocprim17ROCPRIM_400000_NS6detail17trampoline_kernelINS0_14default_configENS1_38merge_sort_block_merge_config_selectorIbiEEZZNS1_27merge_sort_block_merge_implIS3_N6thrust23THRUST_200600_302600_NS6detail15normal_iteratorINS8_10device_ptrIbEEEENSA_INSB_IiEEEEjNS1_19radix_merge_compareILb1ELb0EbNS0_19identity_decomposerEEEEE10hipError_tT0_T1_T2_jT3_P12ihipStream_tbPNSt15iterator_traitsISK_E10value_typeEPNSQ_ISL_E10value_typeEPSM_NS1_7vsmem_tEENKUlT_SK_SL_SM_E_clIPbSD_PiSF_EESJ_SZ_SK_SL_SM_EUlSZ_E1_NS1_11comp_targetILNS1_3genE9ELNS1_11target_archE1100ELNS1_3gpuE3ELNS1_3repE0EEENS1_36merge_oddeven_config_static_selectorELNS0_4arch9wavefront6targetE1EEEvSL_
    .private_segment_fixed_size: 0
    .sgpr_count:     6
    .sgpr_spill_count: 0
    .symbol:         _ZN7rocprim17ROCPRIM_400000_NS6detail17trampoline_kernelINS0_14default_configENS1_38merge_sort_block_merge_config_selectorIbiEEZZNS1_27merge_sort_block_merge_implIS3_N6thrust23THRUST_200600_302600_NS6detail15normal_iteratorINS8_10device_ptrIbEEEENSA_INSB_IiEEEEjNS1_19radix_merge_compareILb1ELb0EbNS0_19identity_decomposerEEEEE10hipError_tT0_T1_T2_jT3_P12ihipStream_tbPNSt15iterator_traitsISK_E10value_typeEPNSQ_ISL_E10value_typeEPSM_NS1_7vsmem_tEENKUlT_SK_SL_SM_E_clIPbSD_PiSF_EESJ_SZ_SK_SL_SM_EUlSZ_E1_NS1_11comp_targetILNS1_3genE9ELNS1_11target_archE1100ELNS1_3gpuE3ELNS1_3repE0EEENS1_36merge_oddeven_config_static_selectorELNS0_4arch9wavefront6targetE1EEEvSL_.kd
    .uniform_work_group_size: 1
    .uses_dynamic_stack: false
    .vgpr_count:     0
    .vgpr_spill_count: 0
    .wavefront_size: 64
  - .agpr_count:     0
    .args:
      - .offset:         0
        .size:           48
        .value_kind:     by_value
    .group_segment_fixed_size: 0
    .kernarg_segment_align: 8
    .kernarg_segment_size: 48
    .language:       OpenCL C
    .language_version:
      - 2
      - 0
    .max_flat_workgroup_size: 256
    .name:           _ZN7rocprim17ROCPRIM_400000_NS6detail17trampoline_kernelINS0_14default_configENS1_38merge_sort_block_merge_config_selectorIbiEEZZNS1_27merge_sort_block_merge_implIS3_N6thrust23THRUST_200600_302600_NS6detail15normal_iteratorINS8_10device_ptrIbEEEENSA_INSB_IiEEEEjNS1_19radix_merge_compareILb1ELb0EbNS0_19identity_decomposerEEEEE10hipError_tT0_T1_T2_jT3_P12ihipStream_tbPNSt15iterator_traitsISK_E10value_typeEPNSQ_ISL_E10value_typeEPSM_NS1_7vsmem_tEENKUlT_SK_SL_SM_E_clIPbSD_PiSF_EESJ_SZ_SK_SL_SM_EUlSZ_E1_NS1_11comp_targetILNS1_3genE8ELNS1_11target_archE1030ELNS1_3gpuE2ELNS1_3repE0EEENS1_36merge_oddeven_config_static_selectorELNS0_4arch9wavefront6targetE1EEEvSL_
    .private_segment_fixed_size: 0
    .sgpr_count:     6
    .sgpr_spill_count: 0
    .symbol:         _ZN7rocprim17ROCPRIM_400000_NS6detail17trampoline_kernelINS0_14default_configENS1_38merge_sort_block_merge_config_selectorIbiEEZZNS1_27merge_sort_block_merge_implIS3_N6thrust23THRUST_200600_302600_NS6detail15normal_iteratorINS8_10device_ptrIbEEEENSA_INSB_IiEEEEjNS1_19radix_merge_compareILb1ELb0EbNS0_19identity_decomposerEEEEE10hipError_tT0_T1_T2_jT3_P12ihipStream_tbPNSt15iterator_traitsISK_E10value_typeEPNSQ_ISL_E10value_typeEPSM_NS1_7vsmem_tEENKUlT_SK_SL_SM_E_clIPbSD_PiSF_EESJ_SZ_SK_SL_SM_EUlSZ_E1_NS1_11comp_targetILNS1_3genE8ELNS1_11target_archE1030ELNS1_3gpuE2ELNS1_3repE0EEENS1_36merge_oddeven_config_static_selectorELNS0_4arch9wavefront6targetE1EEEvSL_.kd
    .uniform_work_group_size: 1
    .uses_dynamic_stack: false
    .vgpr_count:     0
    .vgpr_spill_count: 0
    .wavefront_size: 64
  - .agpr_count:     0
    .args:
      - .offset:         0
        .size:           40
        .value_kind:     by_value
    .group_segment_fixed_size: 0
    .kernarg_segment_align: 8
    .kernarg_segment_size: 40
    .language:       OpenCL C
    .language_version:
      - 2
      - 0
    .max_flat_workgroup_size: 128
    .name:           _ZN7rocprim17ROCPRIM_400000_NS6detail17trampoline_kernelINS0_14default_configENS1_38merge_sort_block_merge_config_selectorIbiEEZZNS1_27merge_sort_block_merge_implIS3_N6thrust23THRUST_200600_302600_NS6detail15normal_iteratorINS8_10device_ptrIbEEEENSA_INSB_IiEEEEjNS1_19radix_merge_compareILb1ELb0EbNS0_19identity_decomposerEEEEE10hipError_tT0_T1_T2_jT3_P12ihipStream_tbPNSt15iterator_traitsISK_E10value_typeEPNSQ_ISL_E10value_typeEPSM_NS1_7vsmem_tEENKUlT_SK_SL_SM_E_clISD_PbSF_PiEESJ_SZ_SK_SL_SM_EUlSZ_E_NS1_11comp_targetILNS1_3genE0ELNS1_11target_archE4294967295ELNS1_3gpuE0ELNS1_3repE0EEENS1_48merge_mergepath_partition_config_static_selectorELNS0_4arch9wavefront6targetE1EEEvSL_
    .private_segment_fixed_size: 0
    .sgpr_count:     14
    .sgpr_spill_count: 0
    .symbol:         _ZN7rocprim17ROCPRIM_400000_NS6detail17trampoline_kernelINS0_14default_configENS1_38merge_sort_block_merge_config_selectorIbiEEZZNS1_27merge_sort_block_merge_implIS3_N6thrust23THRUST_200600_302600_NS6detail15normal_iteratorINS8_10device_ptrIbEEEENSA_INSB_IiEEEEjNS1_19radix_merge_compareILb1ELb0EbNS0_19identity_decomposerEEEEE10hipError_tT0_T1_T2_jT3_P12ihipStream_tbPNSt15iterator_traitsISK_E10value_typeEPNSQ_ISL_E10value_typeEPSM_NS1_7vsmem_tEENKUlT_SK_SL_SM_E_clISD_PbSF_PiEESJ_SZ_SK_SL_SM_EUlSZ_E_NS1_11comp_targetILNS1_3genE0ELNS1_11target_archE4294967295ELNS1_3gpuE0ELNS1_3repE0EEENS1_48merge_mergepath_partition_config_static_selectorELNS0_4arch9wavefront6targetE1EEEvSL_.kd
    .uniform_work_group_size: 1
    .uses_dynamic_stack: false
    .vgpr_count:     17
    .vgpr_spill_count: 0
    .wavefront_size: 64
  - .agpr_count:     0
    .args:
      - .offset:         0
        .size:           40
        .value_kind:     by_value
    .group_segment_fixed_size: 0
    .kernarg_segment_align: 8
    .kernarg_segment_size: 40
    .language:       OpenCL C
    .language_version:
      - 2
      - 0
    .max_flat_workgroup_size: 128
    .name:           _ZN7rocprim17ROCPRIM_400000_NS6detail17trampoline_kernelINS0_14default_configENS1_38merge_sort_block_merge_config_selectorIbiEEZZNS1_27merge_sort_block_merge_implIS3_N6thrust23THRUST_200600_302600_NS6detail15normal_iteratorINS8_10device_ptrIbEEEENSA_INSB_IiEEEEjNS1_19radix_merge_compareILb1ELb0EbNS0_19identity_decomposerEEEEE10hipError_tT0_T1_T2_jT3_P12ihipStream_tbPNSt15iterator_traitsISK_E10value_typeEPNSQ_ISL_E10value_typeEPSM_NS1_7vsmem_tEENKUlT_SK_SL_SM_E_clISD_PbSF_PiEESJ_SZ_SK_SL_SM_EUlSZ_E_NS1_11comp_targetILNS1_3genE10ELNS1_11target_archE1201ELNS1_3gpuE5ELNS1_3repE0EEENS1_48merge_mergepath_partition_config_static_selectorELNS0_4arch9wavefront6targetE1EEEvSL_
    .private_segment_fixed_size: 0
    .sgpr_count:     6
    .sgpr_spill_count: 0
    .symbol:         _ZN7rocprim17ROCPRIM_400000_NS6detail17trampoline_kernelINS0_14default_configENS1_38merge_sort_block_merge_config_selectorIbiEEZZNS1_27merge_sort_block_merge_implIS3_N6thrust23THRUST_200600_302600_NS6detail15normal_iteratorINS8_10device_ptrIbEEEENSA_INSB_IiEEEEjNS1_19radix_merge_compareILb1ELb0EbNS0_19identity_decomposerEEEEE10hipError_tT0_T1_T2_jT3_P12ihipStream_tbPNSt15iterator_traitsISK_E10value_typeEPNSQ_ISL_E10value_typeEPSM_NS1_7vsmem_tEENKUlT_SK_SL_SM_E_clISD_PbSF_PiEESJ_SZ_SK_SL_SM_EUlSZ_E_NS1_11comp_targetILNS1_3genE10ELNS1_11target_archE1201ELNS1_3gpuE5ELNS1_3repE0EEENS1_48merge_mergepath_partition_config_static_selectorELNS0_4arch9wavefront6targetE1EEEvSL_.kd
    .uniform_work_group_size: 1
    .uses_dynamic_stack: false
    .vgpr_count:     0
    .vgpr_spill_count: 0
    .wavefront_size: 64
  - .agpr_count:     0
    .args:
      - .offset:         0
        .size:           40
        .value_kind:     by_value
    .group_segment_fixed_size: 0
    .kernarg_segment_align: 8
    .kernarg_segment_size: 40
    .language:       OpenCL C
    .language_version:
      - 2
      - 0
    .max_flat_workgroup_size: 128
    .name:           _ZN7rocprim17ROCPRIM_400000_NS6detail17trampoline_kernelINS0_14default_configENS1_38merge_sort_block_merge_config_selectorIbiEEZZNS1_27merge_sort_block_merge_implIS3_N6thrust23THRUST_200600_302600_NS6detail15normal_iteratorINS8_10device_ptrIbEEEENSA_INSB_IiEEEEjNS1_19radix_merge_compareILb1ELb0EbNS0_19identity_decomposerEEEEE10hipError_tT0_T1_T2_jT3_P12ihipStream_tbPNSt15iterator_traitsISK_E10value_typeEPNSQ_ISL_E10value_typeEPSM_NS1_7vsmem_tEENKUlT_SK_SL_SM_E_clISD_PbSF_PiEESJ_SZ_SK_SL_SM_EUlSZ_E_NS1_11comp_targetILNS1_3genE5ELNS1_11target_archE942ELNS1_3gpuE9ELNS1_3repE0EEENS1_48merge_mergepath_partition_config_static_selectorELNS0_4arch9wavefront6targetE1EEEvSL_
    .private_segment_fixed_size: 0
    .sgpr_count:     6
    .sgpr_spill_count: 0
    .symbol:         _ZN7rocprim17ROCPRIM_400000_NS6detail17trampoline_kernelINS0_14default_configENS1_38merge_sort_block_merge_config_selectorIbiEEZZNS1_27merge_sort_block_merge_implIS3_N6thrust23THRUST_200600_302600_NS6detail15normal_iteratorINS8_10device_ptrIbEEEENSA_INSB_IiEEEEjNS1_19radix_merge_compareILb1ELb0EbNS0_19identity_decomposerEEEEE10hipError_tT0_T1_T2_jT3_P12ihipStream_tbPNSt15iterator_traitsISK_E10value_typeEPNSQ_ISL_E10value_typeEPSM_NS1_7vsmem_tEENKUlT_SK_SL_SM_E_clISD_PbSF_PiEESJ_SZ_SK_SL_SM_EUlSZ_E_NS1_11comp_targetILNS1_3genE5ELNS1_11target_archE942ELNS1_3gpuE9ELNS1_3repE0EEENS1_48merge_mergepath_partition_config_static_selectorELNS0_4arch9wavefront6targetE1EEEvSL_.kd
    .uniform_work_group_size: 1
    .uses_dynamic_stack: false
    .vgpr_count:     0
    .vgpr_spill_count: 0
    .wavefront_size: 64
  - .agpr_count:     0
    .args:
      - .offset:         0
        .size:           40
        .value_kind:     by_value
    .group_segment_fixed_size: 0
    .kernarg_segment_align: 8
    .kernarg_segment_size: 40
    .language:       OpenCL C
    .language_version:
      - 2
      - 0
    .max_flat_workgroup_size: 128
    .name:           _ZN7rocprim17ROCPRIM_400000_NS6detail17trampoline_kernelINS0_14default_configENS1_38merge_sort_block_merge_config_selectorIbiEEZZNS1_27merge_sort_block_merge_implIS3_N6thrust23THRUST_200600_302600_NS6detail15normal_iteratorINS8_10device_ptrIbEEEENSA_INSB_IiEEEEjNS1_19radix_merge_compareILb1ELb0EbNS0_19identity_decomposerEEEEE10hipError_tT0_T1_T2_jT3_P12ihipStream_tbPNSt15iterator_traitsISK_E10value_typeEPNSQ_ISL_E10value_typeEPSM_NS1_7vsmem_tEENKUlT_SK_SL_SM_E_clISD_PbSF_PiEESJ_SZ_SK_SL_SM_EUlSZ_E_NS1_11comp_targetILNS1_3genE4ELNS1_11target_archE910ELNS1_3gpuE8ELNS1_3repE0EEENS1_48merge_mergepath_partition_config_static_selectorELNS0_4arch9wavefront6targetE1EEEvSL_
    .private_segment_fixed_size: 0
    .sgpr_count:     6
    .sgpr_spill_count: 0
    .symbol:         _ZN7rocprim17ROCPRIM_400000_NS6detail17trampoline_kernelINS0_14default_configENS1_38merge_sort_block_merge_config_selectorIbiEEZZNS1_27merge_sort_block_merge_implIS3_N6thrust23THRUST_200600_302600_NS6detail15normal_iteratorINS8_10device_ptrIbEEEENSA_INSB_IiEEEEjNS1_19radix_merge_compareILb1ELb0EbNS0_19identity_decomposerEEEEE10hipError_tT0_T1_T2_jT3_P12ihipStream_tbPNSt15iterator_traitsISK_E10value_typeEPNSQ_ISL_E10value_typeEPSM_NS1_7vsmem_tEENKUlT_SK_SL_SM_E_clISD_PbSF_PiEESJ_SZ_SK_SL_SM_EUlSZ_E_NS1_11comp_targetILNS1_3genE4ELNS1_11target_archE910ELNS1_3gpuE8ELNS1_3repE0EEENS1_48merge_mergepath_partition_config_static_selectorELNS0_4arch9wavefront6targetE1EEEvSL_.kd
    .uniform_work_group_size: 1
    .uses_dynamic_stack: false
    .vgpr_count:     0
    .vgpr_spill_count: 0
    .wavefront_size: 64
  - .agpr_count:     0
    .args:
      - .offset:         0
        .size:           40
        .value_kind:     by_value
    .group_segment_fixed_size: 0
    .kernarg_segment_align: 8
    .kernarg_segment_size: 40
    .language:       OpenCL C
    .language_version:
      - 2
      - 0
    .max_flat_workgroup_size: 128
    .name:           _ZN7rocprim17ROCPRIM_400000_NS6detail17trampoline_kernelINS0_14default_configENS1_38merge_sort_block_merge_config_selectorIbiEEZZNS1_27merge_sort_block_merge_implIS3_N6thrust23THRUST_200600_302600_NS6detail15normal_iteratorINS8_10device_ptrIbEEEENSA_INSB_IiEEEEjNS1_19radix_merge_compareILb1ELb0EbNS0_19identity_decomposerEEEEE10hipError_tT0_T1_T2_jT3_P12ihipStream_tbPNSt15iterator_traitsISK_E10value_typeEPNSQ_ISL_E10value_typeEPSM_NS1_7vsmem_tEENKUlT_SK_SL_SM_E_clISD_PbSF_PiEESJ_SZ_SK_SL_SM_EUlSZ_E_NS1_11comp_targetILNS1_3genE3ELNS1_11target_archE908ELNS1_3gpuE7ELNS1_3repE0EEENS1_48merge_mergepath_partition_config_static_selectorELNS0_4arch9wavefront6targetE1EEEvSL_
    .private_segment_fixed_size: 0
    .sgpr_count:     6
    .sgpr_spill_count: 0
    .symbol:         _ZN7rocprim17ROCPRIM_400000_NS6detail17trampoline_kernelINS0_14default_configENS1_38merge_sort_block_merge_config_selectorIbiEEZZNS1_27merge_sort_block_merge_implIS3_N6thrust23THRUST_200600_302600_NS6detail15normal_iteratorINS8_10device_ptrIbEEEENSA_INSB_IiEEEEjNS1_19radix_merge_compareILb1ELb0EbNS0_19identity_decomposerEEEEE10hipError_tT0_T1_T2_jT3_P12ihipStream_tbPNSt15iterator_traitsISK_E10value_typeEPNSQ_ISL_E10value_typeEPSM_NS1_7vsmem_tEENKUlT_SK_SL_SM_E_clISD_PbSF_PiEESJ_SZ_SK_SL_SM_EUlSZ_E_NS1_11comp_targetILNS1_3genE3ELNS1_11target_archE908ELNS1_3gpuE7ELNS1_3repE0EEENS1_48merge_mergepath_partition_config_static_selectorELNS0_4arch9wavefront6targetE1EEEvSL_.kd
    .uniform_work_group_size: 1
    .uses_dynamic_stack: false
    .vgpr_count:     0
    .vgpr_spill_count: 0
    .wavefront_size: 64
  - .agpr_count:     0
    .args:
      - .offset:         0
        .size:           40
        .value_kind:     by_value
    .group_segment_fixed_size: 0
    .kernarg_segment_align: 8
    .kernarg_segment_size: 40
    .language:       OpenCL C
    .language_version:
      - 2
      - 0
    .max_flat_workgroup_size: 128
    .name:           _ZN7rocprim17ROCPRIM_400000_NS6detail17trampoline_kernelINS0_14default_configENS1_38merge_sort_block_merge_config_selectorIbiEEZZNS1_27merge_sort_block_merge_implIS3_N6thrust23THRUST_200600_302600_NS6detail15normal_iteratorINS8_10device_ptrIbEEEENSA_INSB_IiEEEEjNS1_19radix_merge_compareILb1ELb0EbNS0_19identity_decomposerEEEEE10hipError_tT0_T1_T2_jT3_P12ihipStream_tbPNSt15iterator_traitsISK_E10value_typeEPNSQ_ISL_E10value_typeEPSM_NS1_7vsmem_tEENKUlT_SK_SL_SM_E_clISD_PbSF_PiEESJ_SZ_SK_SL_SM_EUlSZ_E_NS1_11comp_targetILNS1_3genE2ELNS1_11target_archE906ELNS1_3gpuE6ELNS1_3repE0EEENS1_48merge_mergepath_partition_config_static_selectorELNS0_4arch9wavefront6targetE1EEEvSL_
    .private_segment_fixed_size: 0
    .sgpr_count:     6
    .sgpr_spill_count: 0
    .symbol:         _ZN7rocprim17ROCPRIM_400000_NS6detail17trampoline_kernelINS0_14default_configENS1_38merge_sort_block_merge_config_selectorIbiEEZZNS1_27merge_sort_block_merge_implIS3_N6thrust23THRUST_200600_302600_NS6detail15normal_iteratorINS8_10device_ptrIbEEEENSA_INSB_IiEEEEjNS1_19radix_merge_compareILb1ELb0EbNS0_19identity_decomposerEEEEE10hipError_tT0_T1_T2_jT3_P12ihipStream_tbPNSt15iterator_traitsISK_E10value_typeEPNSQ_ISL_E10value_typeEPSM_NS1_7vsmem_tEENKUlT_SK_SL_SM_E_clISD_PbSF_PiEESJ_SZ_SK_SL_SM_EUlSZ_E_NS1_11comp_targetILNS1_3genE2ELNS1_11target_archE906ELNS1_3gpuE6ELNS1_3repE0EEENS1_48merge_mergepath_partition_config_static_selectorELNS0_4arch9wavefront6targetE1EEEvSL_.kd
    .uniform_work_group_size: 1
    .uses_dynamic_stack: false
    .vgpr_count:     0
    .vgpr_spill_count: 0
    .wavefront_size: 64
  - .agpr_count:     0
    .args:
      - .offset:         0
        .size:           40
        .value_kind:     by_value
    .group_segment_fixed_size: 0
    .kernarg_segment_align: 8
    .kernarg_segment_size: 40
    .language:       OpenCL C
    .language_version:
      - 2
      - 0
    .max_flat_workgroup_size: 128
    .name:           _ZN7rocprim17ROCPRIM_400000_NS6detail17trampoline_kernelINS0_14default_configENS1_38merge_sort_block_merge_config_selectorIbiEEZZNS1_27merge_sort_block_merge_implIS3_N6thrust23THRUST_200600_302600_NS6detail15normal_iteratorINS8_10device_ptrIbEEEENSA_INSB_IiEEEEjNS1_19radix_merge_compareILb1ELb0EbNS0_19identity_decomposerEEEEE10hipError_tT0_T1_T2_jT3_P12ihipStream_tbPNSt15iterator_traitsISK_E10value_typeEPNSQ_ISL_E10value_typeEPSM_NS1_7vsmem_tEENKUlT_SK_SL_SM_E_clISD_PbSF_PiEESJ_SZ_SK_SL_SM_EUlSZ_E_NS1_11comp_targetILNS1_3genE9ELNS1_11target_archE1100ELNS1_3gpuE3ELNS1_3repE0EEENS1_48merge_mergepath_partition_config_static_selectorELNS0_4arch9wavefront6targetE1EEEvSL_
    .private_segment_fixed_size: 0
    .sgpr_count:     6
    .sgpr_spill_count: 0
    .symbol:         _ZN7rocprim17ROCPRIM_400000_NS6detail17trampoline_kernelINS0_14default_configENS1_38merge_sort_block_merge_config_selectorIbiEEZZNS1_27merge_sort_block_merge_implIS3_N6thrust23THRUST_200600_302600_NS6detail15normal_iteratorINS8_10device_ptrIbEEEENSA_INSB_IiEEEEjNS1_19radix_merge_compareILb1ELb0EbNS0_19identity_decomposerEEEEE10hipError_tT0_T1_T2_jT3_P12ihipStream_tbPNSt15iterator_traitsISK_E10value_typeEPNSQ_ISL_E10value_typeEPSM_NS1_7vsmem_tEENKUlT_SK_SL_SM_E_clISD_PbSF_PiEESJ_SZ_SK_SL_SM_EUlSZ_E_NS1_11comp_targetILNS1_3genE9ELNS1_11target_archE1100ELNS1_3gpuE3ELNS1_3repE0EEENS1_48merge_mergepath_partition_config_static_selectorELNS0_4arch9wavefront6targetE1EEEvSL_.kd
    .uniform_work_group_size: 1
    .uses_dynamic_stack: false
    .vgpr_count:     0
    .vgpr_spill_count: 0
    .wavefront_size: 64
  - .agpr_count:     0
    .args:
      - .offset:         0
        .size:           40
        .value_kind:     by_value
    .group_segment_fixed_size: 0
    .kernarg_segment_align: 8
    .kernarg_segment_size: 40
    .language:       OpenCL C
    .language_version:
      - 2
      - 0
    .max_flat_workgroup_size: 128
    .name:           _ZN7rocprim17ROCPRIM_400000_NS6detail17trampoline_kernelINS0_14default_configENS1_38merge_sort_block_merge_config_selectorIbiEEZZNS1_27merge_sort_block_merge_implIS3_N6thrust23THRUST_200600_302600_NS6detail15normal_iteratorINS8_10device_ptrIbEEEENSA_INSB_IiEEEEjNS1_19radix_merge_compareILb1ELb0EbNS0_19identity_decomposerEEEEE10hipError_tT0_T1_T2_jT3_P12ihipStream_tbPNSt15iterator_traitsISK_E10value_typeEPNSQ_ISL_E10value_typeEPSM_NS1_7vsmem_tEENKUlT_SK_SL_SM_E_clISD_PbSF_PiEESJ_SZ_SK_SL_SM_EUlSZ_E_NS1_11comp_targetILNS1_3genE8ELNS1_11target_archE1030ELNS1_3gpuE2ELNS1_3repE0EEENS1_48merge_mergepath_partition_config_static_selectorELNS0_4arch9wavefront6targetE1EEEvSL_
    .private_segment_fixed_size: 0
    .sgpr_count:     6
    .sgpr_spill_count: 0
    .symbol:         _ZN7rocprim17ROCPRIM_400000_NS6detail17trampoline_kernelINS0_14default_configENS1_38merge_sort_block_merge_config_selectorIbiEEZZNS1_27merge_sort_block_merge_implIS3_N6thrust23THRUST_200600_302600_NS6detail15normal_iteratorINS8_10device_ptrIbEEEENSA_INSB_IiEEEEjNS1_19radix_merge_compareILb1ELb0EbNS0_19identity_decomposerEEEEE10hipError_tT0_T1_T2_jT3_P12ihipStream_tbPNSt15iterator_traitsISK_E10value_typeEPNSQ_ISL_E10value_typeEPSM_NS1_7vsmem_tEENKUlT_SK_SL_SM_E_clISD_PbSF_PiEESJ_SZ_SK_SL_SM_EUlSZ_E_NS1_11comp_targetILNS1_3genE8ELNS1_11target_archE1030ELNS1_3gpuE2ELNS1_3repE0EEENS1_48merge_mergepath_partition_config_static_selectorELNS0_4arch9wavefront6targetE1EEEvSL_.kd
    .uniform_work_group_size: 1
    .uses_dynamic_stack: false
    .vgpr_count:     0
    .vgpr_spill_count: 0
    .wavefront_size: 64
  - .agpr_count:     0
    .args:
      - .offset:         0
        .size:           64
        .value_kind:     by_value
      - .offset:         64
        .size:           4
        .value_kind:     hidden_block_count_x
      - .offset:         68
        .size:           4
        .value_kind:     hidden_block_count_y
      - .offset:         72
        .size:           4
        .value_kind:     hidden_block_count_z
      - .offset:         76
        .size:           2
        .value_kind:     hidden_group_size_x
      - .offset:         78
        .size:           2
        .value_kind:     hidden_group_size_y
      - .offset:         80
        .size:           2
        .value_kind:     hidden_group_size_z
      - .offset:         82
        .size:           2
        .value_kind:     hidden_remainder_x
      - .offset:         84
        .size:           2
        .value_kind:     hidden_remainder_y
      - .offset:         86
        .size:           2
        .value_kind:     hidden_remainder_z
      - .offset:         104
        .size:           8
        .value_kind:     hidden_global_offset_x
      - .offset:         112
        .size:           8
        .value_kind:     hidden_global_offset_y
      - .offset:         120
        .size:           8
        .value_kind:     hidden_global_offset_z
      - .offset:         128
        .size:           2
        .value_kind:     hidden_grid_dims
    .group_segment_fixed_size: 4224
    .kernarg_segment_align: 8
    .kernarg_segment_size: 320
    .language:       OpenCL C
    .language_version:
      - 2
      - 0
    .max_flat_workgroup_size: 256
    .name:           _ZN7rocprim17ROCPRIM_400000_NS6detail17trampoline_kernelINS0_14default_configENS1_38merge_sort_block_merge_config_selectorIbiEEZZNS1_27merge_sort_block_merge_implIS3_N6thrust23THRUST_200600_302600_NS6detail15normal_iteratorINS8_10device_ptrIbEEEENSA_INSB_IiEEEEjNS1_19radix_merge_compareILb1ELb0EbNS0_19identity_decomposerEEEEE10hipError_tT0_T1_T2_jT3_P12ihipStream_tbPNSt15iterator_traitsISK_E10value_typeEPNSQ_ISL_E10value_typeEPSM_NS1_7vsmem_tEENKUlT_SK_SL_SM_E_clISD_PbSF_PiEESJ_SZ_SK_SL_SM_EUlSZ_E0_NS1_11comp_targetILNS1_3genE0ELNS1_11target_archE4294967295ELNS1_3gpuE0ELNS1_3repE0EEENS1_38merge_mergepath_config_static_selectorELNS0_4arch9wavefront6targetE1EEEvSL_
    .private_segment_fixed_size: 0
    .sgpr_count:     34
    .sgpr_spill_count: 0
    .symbol:         _ZN7rocprim17ROCPRIM_400000_NS6detail17trampoline_kernelINS0_14default_configENS1_38merge_sort_block_merge_config_selectorIbiEEZZNS1_27merge_sort_block_merge_implIS3_N6thrust23THRUST_200600_302600_NS6detail15normal_iteratorINS8_10device_ptrIbEEEENSA_INSB_IiEEEEjNS1_19radix_merge_compareILb1ELb0EbNS0_19identity_decomposerEEEEE10hipError_tT0_T1_T2_jT3_P12ihipStream_tbPNSt15iterator_traitsISK_E10value_typeEPNSQ_ISL_E10value_typeEPSM_NS1_7vsmem_tEENKUlT_SK_SL_SM_E_clISD_PbSF_PiEESJ_SZ_SK_SL_SM_EUlSZ_E0_NS1_11comp_targetILNS1_3genE0ELNS1_11target_archE4294967295ELNS1_3gpuE0ELNS1_3repE0EEENS1_38merge_mergepath_config_static_selectorELNS0_4arch9wavefront6targetE1EEEvSL_.kd
    .uniform_work_group_size: 1
    .uses_dynamic_stack: false
    .vgpr_count:     27
    .vgpr_spill_count: 0
    .wavefront_size: 64
  - .agpr_count:     0
    .args:
      - .offset:         0
        .size:           64
        .value_kind:     by_value
    .group_segment_fixed_size: 0
    .kernarg_segment_align: 8
    .kernarg_segment_size: 64
    .language:       OpenCL C
    .language_version:
      - 2
      - 0
    .max_flat_workgroup_size: 256
    .name:           _ZN7rocprim17ROCPRIM_400000_NS6detail17trampoline_kernelINS0_14default_configENS1_38merge_sort_block_merge_config_selectorIbiEEZZNS1_27merge_sort_block_merge_implIS3_N6thrust23THRUST_200600_302600_NS6detail15normal_iteratorINS8_10device_ptrIbEEEENSA_INSB_IiEEEEjNS1_19radix_merge_compareILb1ELb0EbNS0_19identity_decomposerEEEEE10hipError_tT0_T1_T2_jT3_P12ihipStream_tbPNSt15iterator_traitsISK_E10value_typeEPNSQ_ISL_E10value_typeEPSM_NS1_7vsmem_tEENKUlT_SK_SL_SM_E_clISD_PbSF_PiEESJ_SZ_SK_SL_SM_EUlSZ_E0_NS1_11comp_targetILNS1_3genE10ELNS1_11target_archE1201ELNS1_3gpuE5ELNS1_3repE0EEENS1_38merge_mergepath_config_static_selectorELNS0_4arch9wavefront6targetE1EEEvSL_
    .private_segment_fixed_size: 0
    .sgpr_count:     6
    .sgpr_spill_count: 0
    .symbol:         _ZN7rocprim17ROCPRIM_400000_NS6detail17trampoline_kernelINS0_14default_configENS1_38merge_sort_block_merge_config_selectorIbiEEZZNS1_27merge_sort_block_merge_implIS3_N6thrust23THRUST_200600_302600_NS6detail15normal_iteratorINS8_10device_ptrIbEEEENSA_INSB_IiEEEEjNS1_19radix_merge_compareILb1ELb0EbNS0_19identity_decomposerEEEEE10hipError_tT0_T1_T2_jT3_P12ihipStream_tbPNSt15iterator_traitsISK_E10value_typeEPNSQ_ISL_E10value_typeEPSM_NS1_7vsmem_tEENKUlT_SK_SL_SM_E_clISD_PbSF_PiEESJ_SZ_SK_SL_SM_EUlSZ_E0_NS1_11comp_targetILNS1_3genE10ELNS1_11target_archE1201ELNS1_3gpuE5ELNS1_3repE0EEENS1_38merge_mergepath_config_static_selectorELNS0_4arch9wavefront6targetE1EEEvSL_.kd
    .uniform_work_group_size: 1
    .uses_dynamic_stack: false
    .vgpr_count:     0
    .vgpr_spill_count: 0
    .wavefront_size: 64
  - .agpr_count:     0
    .args:
      - .offset:         0
        .size:           64
        .value_kind:     by_value
    .group_segment_fixed_size: 0
    .kernarg_segment_align: 8
    .kernarg_segment_size: 64
    .language:       OpenCL C
    .language_version:
      - 2
      - 0
    .max_flat_workgroup_size: 128
    .name:           _ZN7rocprim17ROCPRIM_400000_NS6detail17trampoline_kernelINS0_14default_configENS1_38merge_sort_block_merge_config_selectorIbiEEZZNS1_27merge_sort_block_merge_implIS3_N6thrust23THRUST_200600_302600_NS6detail15normal_iteratorINS8_10device_ptrIbEEEENSA_INSB_IiEEEEjNS1_19radix_merge_compareILb1ELb0EbNS0_19identity_decomposerEEEEE10hipError_tT0_T1_T2_jT3_P12ihipStream_tbPNSt15iterator_traitsISK_E10value_typeEPNSQ_ISL_E10value_typeEPSM_NS1_7vsmem_tEENKUlT_SK_SL_SM_E_clISD_PbSF_PiEESJ_SZ_SK_SL_SM_EUlSZ_E0_NS1_11comp_targetILNS1_3genE5ELNS1_11target_archE942ELNS1_3gpuE9ELNS1_3repE0EEENS1_38merge_mergepath_config_static_selectorELNS0_4arch9wavefront6targetE1EEEvSL_
    .private_segment_fixed_size: 0
    .sgpr_count:     6
    .sgpr_spill_count: 0
    .symbol:         _ZN7rocprim17ROCPRIM_400000_NS6detail17trampoline_kernelINS0_14default_configENS1_38merge_sort_block_merge_config_selectorIbiEEZZNS1_27merge_sort_block_merge_implIS3_N6thrust23THRUST_200600_302600_NS6detail15normal_iteratorINS8_10device_ptrIbEEEENSA_INSB_IiEEEEjNS1_19radix_merge_compareILb1ELb0EbNS0_19identity_decomposerEEEEE10hipError_tT0_T1_T2_jT3_P12ihipStream_tbPNSt15iterator_traitsISK_E10value_typeEPNSQ_ISL_E10value_typeEPSM_NS1_7vsmem_tEENKUlT_SK_SL_SM_E_clISD_PbSF_PiEESJ_SZ_SK_SL_SM_EUlSZ_E0_NS1_11comp_targetILNS1_3genE5ELNS1_11target_archE942ELNS1_3gpuE9ELNS1_3repE0EEENS1_38merge_mergepath_config_static_selectorELNS0_4arch9wavefront6targetE1EEEvSL_.kd
    .uniform_work_group_size: 1
    .uses_dynamic_stack: false
    .vgpr_count:     0
    .vgpr_spill_count: 0
    .wavefront_size: 64
  - .agpr_count:     0
    .args:
      - .offset:         0
        .size:           64
        .value_kind:     by_value
    .group_segment_fixed_size: 0
    .kernarg_segment_align: 8
    .kernarg_segment_size: 64
    .language:       OpenCL C
    .language_version:
      - 2
      - 0
    .max_flat_workgroup_size: 128
    .name:           _ZN7rocprim17ROCPRIM_400000_NS6detail17trampoline_kernelINS0_14default_configENS1_38merge_sort_block_merge_config_selectorIbiEEZZNS1_27merge_sort_block_merge_implIS3_N6thrust23THRUST_200600_302600_NS6detail15normal_iteratorINS8_10device_ptrIbEEEENSA_INSB_IiEEEEjNS1_19radix_merge_compareILb1ELb0EbNS0_19identity_decomposerEEEEE10hipError_tT0_T1_T2_jT3_P12ihipStream_tbPNSt15iterator_traitsISK_E10value_typeEPNSQ_ISL_E10value_typeEPSM_NS1_7vsmem_tEENKUlT_SK_SL_SM_E_clISD_PbSF_PiEESJ_SZ_SK_SL_SM_EUlSZ_E0_NS1_11comp_targetILNS1_3genE4ELNS1_11target_archE910ELNS1_3gpuE8ELNS1_3repE0EEENS1_38merge_mergepath_config_static_selectorELNS0_4arch9wavefront6targetE1EEEvSL_
    .private_segment_fixed_size: 0
    .sgpr_count:     6
    .sgpr_spill_count: 0
    .symbol:         _ZN7rocprim17ROCPRIM_400000_NS6detail17trampoline_kernelINS0_14default_configENS1_38merge_sort_block_merge_config_selectorIbiEEZZNS1_27merge_sort_block_merge_implIS3_N6thrust23THRUST_200600_302600_NS6detail15normal_iteratorINS8_10device_ptrIbEEEENSA_INSB_IiEEEEjNS1_19radix_merge_compareILb1ELb0EbNS0_19identity_decomposerEEEEE10hipError_tT0_T1_T2_jT3_P12ihipStream_tbPNSt15iterator_traitsISK_E10value_typeEPNSQ_ISL_E10value_typeEPSM_NS1_7vsmem_tEENKUlT_SK_SL_SM_E_clISD_PbSF_PiEESJ_SZ_SK_SL_SM_EUlSZ_E0_NS1_11comp_targetILNS1_3genE4ELNS1_11target_archE910ELNS1_3gpuE8ELNS1_3repE0EEENS1_38merge_mergepath_config_static_selectorELNS0_4arch9wavefront6targetE1EEEvSL_.kd
    .uniform_work_group_size: 1
    .uses_dynamic_stack: false
    .vgpr_count:     0
    .vgpr_spill_count: 0
    .wavefront_size: 64
  - .agpr_count:     0
    .args:
      - .offset:         0
        .size:           64
        .value_kind:     by_value
    .group_segment_fixed_size: 0
    .kernarg_segment_align: 8
    .kernarg_segment_size: 64
    .language:       OpenCL C
    .language_version:
      - 2
      - 0
    .max_flat_workgroup_size: 256
    .name:           _ZN7rocprim17ROCPRIM_400000_NS6detail17trampoline_kernelINS0_14default_configENS1_38merge_sort_block_merge_config_selectorIbiEEZZNS1_27merge_sort_block_merge_implIS3_N6thrust23THRUST_200600_302600_NS6detail15normal_iteratorINS8_10device_ptrIbEEEENSA_INSB_IiEEEEjNS1_19radix_merge_compareILb1ELb0EbNS0_19identity_decomposerEEEEE10hipError_tT0_T1_T2_jT3_P12ihipStream_tbPNSt15iterator_traitsISK_E10value_typeEPNSQ_ISL_E10value_typeEPSM_NS1_7vsmem_tEENKUlT_SK_SL_SM_E_clISD_PbSF_PiEESJ_SZ_SK_SL_SM_EUlSZ_E0_NS1_11comp_targetILNS1_3genE3ELNS1_11target_archE908ELNS1_3gpuE7ELNS1_3repE0EEENS1_38merge_mergepath_config_static_selectorELNS0_4arch9wavefront6targetE1EEEvSL_
    .private_segment_fixed_size: 0
    .sgpr_count:     6
    .sgpr_spill_count: 0
    .symbol:         _ZN7rocprim17ROCPRIM_400000_NS6detail17trampoline_kernelINS0_14default_configENS1_38merge_sort_block_merge_config_selectorIbiEEZZNS1_27merge_sort_block_merge_implIS3_N6thrust23THRUST_200600_302600_NS6detail15normal_iteratorINS8_10device_ptrIbEEEENSA_INSB_IiEEEEjNS1_19radix_merge_compareILb1ELb0EbNS0_19identity_decomposerEEEEE10hipError_tT0_T1_T2_jT3_P12ihipStream_tbPNSt15iterator_traitsISK_E10value_typeEPNSQ_ISL_E10value_typeEPSM_NS1_7vsmem_tEENKUlT_SK_SL_SM_E_clISD_PbSF_PiEESJ_SZ_SK_SL_SM_EUlSZ_E0_NS1_11comp_targetILNS1_3genE3ELNS1_11target_archE908ELNS1_3gpuE7ELNS1_3repE0EEENS1_38merge_mergepath_config_static_selectorELNS0_4arch9wavefront6targetE1EEEvSL_.kd
    .uniform_work_group_size: 1
    .uses_dynamic_stack: false
    .vgpr_count:     0
    .vgpr_spill_count: 0
    .wavefront_size: 64
  - .agpr_count:     0
    .args:
      - .offset:         0
        .size:           64
        .value_kind:     by_value
    .group_segment_fixed_size: 0
    .kernarg_segment_align: 8
    .kernarg_segment_size: 64
    .language:       OpenCL C
    .language_version:
      - 2
      - 0
    .max_flat_workgroup_size: 128
    .name:           _ZN7rocprim17ROCPRIM_400000_NS6detail17trampoline_kernelINS0_14default_configENS1_38merge_sort_block_merge_config_selectorIbiEEZZNS1_27merge_sort_block_merge_implIS3_N6thrust23THRUST_200600_302600_NS6detail15normal_iteratorINS8_10device_ptrIbEEEENSA_INSB_IiEEEEjNS1_19radix_merge_compareILb1ELb0EbNS0_19identity_decomposerEEEEE10hipError_tT0_T1_T2_jT3_P12ihipStream_tbPNSt15iterator_traitsISK_E10value_typeEPNSQ_ISL_E10value_typeEPSM_NS1_7vsmem_tEENKUlT_SK_SL_SM_E_clISD_PbSF_PiEESJ_SZ_SK_SL_SM_EUlSZ_E0_NS1_11comp_targetILNS1_3genE2ELNS1_11target_archE906ELNS1_3gpuE6ELNS1_3repE0EEENS1_38merge_mergepath_config_static_selectorELNS0_4arch9wavefront6targetE1EEEvSL_
    .private_segment_fixed_size: 0
    .sgpr_count:     6
    .sgpr_spill_count: 0
    .symbol:         _ZN7rocprim17ROCPRIM_400000_NS6detail17trampoline_kernelINS0_14default_configENS1_38merge_sort_block_merge_config_selectorIbiEEZZNS1_27merge_sort_block_merge_implIS3_N6thrust23THRUST_200600_302600_NS6detail15normal_iteratorINS8_10device_ptrIbEEEENSA_INSB_IiEEEEjNS1_19radix_merge_compareILb1ELb0EbNS0_19identity_decomposerEEEEE10hipError_tT0_T1_T2_jT3_P12ihipStream_tbPNSt15iterator_traitsISK_E10value_typeEPNSQ_ISL_E10value_typeEPSM_NS1_7vsmem_tEENKUlT_SK_SL_SM_E_clISD_PbSF_PiEESJ_SZ_SK_SL_SM_EUlSZ_E0_NS1_11comp_targetILNS1_3genE2ELNS1_11target_archE906ELNS1_3gpuE6ELNS1_3repE0EEENS1_38merge_mergepath_config_static_selectorELNS0_4arch9wavefront6targetE1EEEvSL_.kd
    .uniform_work_group_size: 1
    .uses_dynamic_stack: false
    .vgpr_count:     0
    .vgpr_spill_count: 0
    .wavefront_size: 64
  - .agpr_count:     0
    .args:
      - .offset:         0
        .size:           64
        .value_kind:     by_value
    .group_segment_fixed_size: 0
    .kernarg_segment_align: 8
    .kernarg_segment_size: 64
    .language:       OpenCL C
    .language_version:
      - 2
      - 0
    .max_flat_workgroup_size: 256
    .name:           _ZN7rocprim17ROCPRIM_400000_NS6detail17trampoline_kernelINS0_14default_configENS1_38merge_sort_block_merge_config_selectorIbiEEZZNS1_27merge_sort_block_merge_implIS3_N6thrust23THRUST_200600_302600_NS6detail15normal_iteratorINS8_10device_ptrIbEEEENSA_INSB_IiEEEEjNS1_19radix_merge_compareILb1ELb0EbNS0_19identity_decomposerEEEEE10hipError_tT0_T1_T2_jT3_P12ihipStream_tbPNSt15iterator_traitsISK_E10value_typeEPNSQ_ISL_E10value_typeEPSM_NS1_7vsmem_tEENKUlT_SK_SL_SM_E_clISD_PbSF_PiEESJ_SZ_SK_SL_SM_EUlSZ_E0_NS1_11comp_targetILNS1_3genE9ELNS1_11target_archE1100ELNS1_3gpuE3ELNS1_3repE0EEENS1_38merge_mergepath_config_static_selectorELNS0_4arch9wavefront6targetE1EEEvSL_
    .private_segment_fixed_size: 0
    .sgpr_count:     6
    .sgpr_spill_count: 0
    .symbol:         _ZN7rocprim17ROCPRIM_400000_NS6detail17trampoline_kernelINS0_14default_configENS1_38merge_sort_block_merge_config_selectorIbiEEZZNS1_27merge_sort_block_merge_implIS3_N6thrust23THRUST_200600_302600_NS6detail15normal_iteratorINS8_10device_ptrIbEEEENSA_INSB_IiEEEEjNS1_19radix_merge_compareILb1ELb0EbNS0_19identity_decomposerEEEEE10hipError_tT0_T1_T2_jT3_P12ihipStream_tbPNSt15iterator_traitsISK_E10value_typeEPNSQ_ISL_E10value_typeEPSM_NS1_7vsmem_tEENKUlT_SK_SL_SM_E_clISD_PbSF_PiEESJ_SZ_SK_SL_SM_EUlSZ_E0_NS1_11comp_targetILNS1_3genE9ELNS1_11target_archE1100ELNS1_3gpuE3ELNS1_3repE0EEENS1_38merge_mergepath_config_static_selectorELNS0_4arch9wavefront6targetE1EEEvSL_.kd
    .uniform_work_group_size: 1
    .uses_dynamic_stack: false
    .vgpr_count:     0
    .vgpr_spill_count: 0
    .wavefront_size: 64
  - .agpr_count:     0
    .args:
      - .offset:         0
        .size:           64
        .value_kind:     by_value
    .group_segment_fixed_size: 0
    .kernarg_segment_align: 8
    .kernarg_segment_size: 64
    .language:       OpenCL C
    .language_version:
      - 2
      - 0
    .max_flat_workgroup_size: 256
    .name:           _ZN7rocprim17ROCPRIM_400000_NS6detail17trampoline_kernelINS0_14default_configENS1_38merge_sort_block_merge_config_selectorIbiEEZZNS1_27merge_sort_block_merge_implIS3_N6thrust23THRUST_200600_302600_NS6detail15normal_iteratorINS8_10device_ptrIbEEEENSA_INSB_IiEEEEjNS1_19radix_merge_compareILb1ELb0EbNS0_19identity_decomposerEEEEE10hipError_tT0_T1_T2_jT3_P12ihipStream_tbPNSt15iterator_traitsISK_E10value_typeEPNSQ_ISL_E10value_typeEPSM_NS1_7vsmem_tEENKUlT_SK_SL_SM_E_clISD_PbSF_PiEESJ_SZ_SK_SL_SM_EUlSZ_E0_NS1_11comp_targetILNS1_3genE8ELNS1_11target_archE1030ELNS1_3gpuE2ELNS1_3repE0EEENS1_38merge_mergepath_config_static_selectorELNS0_4arch9wavefront6targetE1EEEvSL_
    .private_segment_fixed_size: 0
    .sgpr_count:     6
    .sgpr_spill_count: 0
    .symbol:         _ZN7rocprim17ROCPRIM_400000_NS6detail17trampoline_kernelINS0_14default_configENS1_38merge_sort_block_merge_config_selectorIbiEEZZNS1_27merge_sort_block_merge_implIS3_N6thrust23THRUST_200600_302600_NS6detail15normal_iteratorINS8_10device_ptrIbEEEENSA_INSB_IiEEEEjNS1_19radix_merge_compareILb1ELb0EbNS0_19identity_decomposerEEEEE10hipError_tT0_T1_T2_jT3_P12ihipStream_tbPNSt15iterator_traitsISK_E10value_typeEPNSQ_ISL_E10value_typeEPSM_NS1_7vsmem_tEENKUlT_SK_SL_SM_E_clISD_PbSF_PiEESJ_SZ_SK_SL_SM_EUlSZ_E0_NS1_11comp_targetILNS1_3genE8ELNS1_11target_archE1030ELNS1_3gpuE2ELNS1_3repE0EEENS1_38merge_mergepath_config_static_selectorELNS0_4arch9wavefront6targetE1EEEvSL_.kd
    .uniform_work_group_size: 1
    .uses_dynamic_stack: false
    .vgpr_count:     0
    .vgpr_spill_count: 0
    .wavefront_size: 64
  - .agpr_count:     0
    .args:
      - .offset:         0
        .size:           48
        .value_kind:     by_value
    .group_segment_fixed_size: 0
    .kernarg_segment_align: 8
    .kernarg_segment_size: 48
    .language:       OpenCL C
    .language_version:
      - 2
      - 0
    .max_flat_workgroup_size: 256
    .name:           _ZN7rocprim17ROCPRIM_400000_NS6detail17trampoline_kernelINS0_14default_configENS1_38merge_sort_block_merge_config_selectorIbiEEZZNS1_27merge_sort_block_merge_implIS3_N6thrust23THRUST_200600_302600_NS6detail15normal_iteratorINS8_10device_ptrIbEEEENSA_INSB_IiEEEEjNS1_19radix_merge_compareILb1ELb0EbNS0_19identity_decomposerEEEEE10hipError_tT0_T1_T2_jT3_P12ihipStream_tbPNSt15iterator_traitsISK_E10value_typeEPNSQ_ISL_E10value_typeEPSM_NS1_7vsmem_tEENKUlT_SK_SL_SM_E_clISD_PbSF_PiEESJ_SZ_SK_SL_SM_EUlSZ_E1_NS1_11comp_targetILNS1_3genE0ELNS1_11target_archE4294967295ELNS1_3gpuE0ELNS1_3repE0EEENS1_36merge_oddeven_config_static_selectorELNS0_4arch9wavefront6targetE1EEEvSL_
    .private_segment_fixed_size: 0
    .sgpr_count:     30
    .sgpr_spill_count: 0
    .symbol:         _ZN7rocprim17ROCPRIM_400000_NS6detail17trampoline_kernelINS0_14default_configENS1_38merge_sort_block_merge_config_selectorIbiEEZZNS1_27merge_sort_block_merge_implIS3_N6thrust23THRUST_200600_302600_NS6detail15normal_iteratorINS8_10device_ptrIbEEEENSA_INSB_IiEEEEjNS1_19radix_merge_compareILb1ELb0EbNS0_19identity_decomposerEEEEE10hipError_tT0_T1_T2_jT3_P12ihipStream_tbPNSt15iterator_traitsISK_E10value_typeEPNSQ_ISL_E10value_typeEPSM_NS1_7vsmem_tEENKUlT_SK_SL_SM_E_clISD_PbSF_PiEESJ_SZ_SK_SL_SM_EUlSZ_E1_NS1_11comp_targetILNS1_3genE0ELNS1_11target_archE4294967295ELNS1_3gpuE0ELNS1_3repE0EEENS1_36merge_oddeven_config_static_selectorELNS0_4arch9wavefront6targetE1EEEvSL_.kd
    .uniform_work_group_size: 1
    .uses_dynamic_stack: false
    .vgpr_count:     9
    .vgpr_spill_count: 0
    .wavefront_size: 64
  - .agpr_count:     0
    .args:
      - .offset:         0
        .size:           48
        .value_kind:     by_value
    .group_segment_fixed_size: 0
    .kernarg_segment_align: 8
    .kernarg_segment_size: 48
    .language:       OpenCL C
    .language_version:
      - 2
      - 0
    .max_flat_workgroup_size: 256
    .name:           _ZN7rocprim17ROCPRIM_400000_NS6detail17trampoline_kernelINS0_14default_configENS1_38merge_sort_block_merge_config_selectorIbiEEZZNS1_27merge_sort_block_merge_implIS3_N6thrust23THRUST_200600_302600_NS6detail15normal_iteratorINS8_10device_ptrIbEEEENSA_INSB_IiEEEEjNS1_19radix_merge_compareILb1ELb0EbNS0_19identity_decomposerEEEEE10hipError_tT0_T1_T2_jT3_P12ihipStream_tbPNSt15iterator_traitsISK_E10value_typeEPNSQ_ISL_E10value_typeEPSM_NS1_7vsmem_tEENKUlT_SK_SL_SM_E_clISD_PbSF_PiEESJ_SZ_SK_SL_SM_EUlSZ_E1_NS1_11comp_targetILNS1_3genE10ELNS1_11target_archE1201ELNS1_3gpuE5ELNS1_3repE0EEENS1_36merge_oddeven_config_static_selectorELNS0_4arch9wavefront6targetE1EEEvSL_
    .private_segment_fixed_size: 0
    .sgpr_count:     6
    .sgpr_spill_count: 0
    .symbol:         _ZN7rocprim17ROCPRIM_400000_NS6detail17trampoline_kernelINS0_14default_configENS1_38merge_sort_block_merge_config_selectorIbiEEZZNS1_27merge_sort_block_merge_implIS3_N6thrust23THRUST_200600_302600_NS6detail15normal_iteratorINS8_10device_ptrIbEEEENSA_INSB_IiEEEEjNS1_19radix_merge_compareILb1ELb0EbNS0_19identity_decomposerEEEEE10hipError_tT0_T1_T2_jT3_P12ihipStream_tbPNSt15iterator_traitsISK_E10value_typeEPNSQ_ISL_E10value_typeEPSM_NS1_7vsmem_tEENKUlT_SK_SL_SM_E_clISD_PbSF_PiEESJ_SZ_SK_SL_SM_EUlSZ_E1_NS1_11comp_targetILNS1_3genE10ELNS1_11target_archE1201ELNS1_3gpuE5ELNS1_3repE0EEENS1_36merge_oddeven_config_static_selectorELNS0_4arch9wavefront6targetE1EEEvSL_.kd
    .uniform_work_group_size: 1
    .uses_dynamic_stack: false
    .vgpr_count:     0
    .vgpr_spill_count: 0
    .wavefront_size: 64
  - .agpr_count:     0
    .args:
      - .offset:         0
        .size:           48
        .value_kind:     by_value
    .group_segment_fixed_size: 0
    .kernarg_segment_align: 8
    .kernarg_segment_size: 48
    .language:       OpenCL C
    .language_version:
      - 2
      - 0
    .max_flat_workgroup_size: 256
    .name:           _ZN7rocprim17ROCPRIM_400000_NS6detail17trampoline_kernelINS0_14default_configENS1_38merge_sort_block_merge_config_selectorIbiEEZZNS1_27merge_sort_block_merge_implIS3_N6thrust23THRUST_200600_302600_NS6detail15normal_iteratorINS8_10device_ptrIbEEEENSA_INSB_IiEEEEjNS1_19radix_merge_compareILb1ELb0EbNS0_19identity_decomposerEEEEE10hipError_tT0_T1_T2_jT3_P12ihipStream_tbPNSt15iterator_traitsISK_E10value_typeEPNSQ_ISL_E10value_typeEPSM_NS1_7vsmem_tEENKUlT_SK_SL_SM_E_clISD_PbSF_PiEESJ_SZ_SK_SL_SM_EUlSZ_E1_NS1_11comp_targetILNS1_3genE5ELNS1_11target_archE942ELNS1_3gpuE9ELNS1_3repE0EEENS1_36merge_oddeven_config_static_selectorELNS0_4arch9wavefront6targetE1EEEvSL_
    .private_segment_fixed_size: 0
    .sgpr_count:     6
    .sgpr_spill_count: 0
    .symbol:         _ZN7rocprim17ROCPRIM_400000_NS6detail17trampoline_kernelINS0_14default_configENS1_38merge_sort_block_merge_config_selectorIbiEEZZNS1_27merge_sort_block_merge_implIS3_N6thrust23THRUST_200600_302600_NS6detail15normal_iteratorINS8_10device_ptrIbEEEENSA_INSB_IiEEEEjNS1_19radix_merge_compareILb1ELb0EbNS0_19identity_decomposerEEEEE10hipError_tT0_T1_T2_jT3_P12ihipStream_tbPNSt15iterator_traitsISK_E10value_typeEPNSQ_ISL_E10value_typeEPSM_NS1_7vsmem_tEENKUlT_SK_SL_SM_E_clISD_PbSF_PiEESJ_SZ_SK_SL_SM_EUlSZ_E1_NS1_11comp_targetILNS1_3genE5ELNS1_11target_archE942ELNS1_3gpuE9ELNS1_3repE0EEENS1_36merge_oddeven_config_static_selectorELNS0_4arch9wavefront6targetE1EEEvSL_.kd
    .uniform_work_group_size: 1
    .uses_dynamic_stack: false
    .vgpr_count:     0
    .vgpr_spill_count: 0
    .wavefront_size: 64
  - .agpr_count:     0
    .args:
      - .offset:         0
        .size:           48
        .value_kind:     by_value
    .group_segment_fixed_size: 0
    .kernarg_segment_align: 8
    .kernarg_segment_size: 48
    .language:       OpenCL C
    .language_version:
      - 2
      - 0
    .max_flat_workgroup_size: 256
    .name:           _ZN7rocprim17ROCPRIM_400000_NS6detail17trampoline_kernelINS0_14default_configENS1_38merge_sort_block_merge_config_selectorIbiEEZZNS1_27merge_sort_block_merge_implIS3_N6thrust23THRUST_200600_302600_NS6detail15normal_iteratorINS8_10device_ptrIbEEEENSA_INSB_IiEEEEjNS1_19radix_merge_compareILb1ELb0EbNS0_19identity_decomposerEEEEE10hipError_tT0_T1_T2_jT3_P12ihipStream_tbPNSt15iterator_traitsISK_E10value_typeEPNSQ_ISL_E10value_typeEPSM_NS1_7vsmem_tEENKUlT_SK_SL_SM_E_clISD_PbSF_PiEESJ_SZ_SK_SL_SM_EUlSZ_E1_NS1_11comp_targetILNS1_3genE4ELNS1_11target_archE910ELNS1_3gpuE8ELNS1_3repE0EEENS1_36merge_oddeven_config_static_selectorELNS0_4arch9wavefront6targetE1EEEvSL_
    .private_segment_fixed_size: 0
    .sgpr_count:     6
    .sgpr_spill_count: 0
    .symbol:         _ZN7rocprim17ROCPRIM_400000_NS6detail17trampoline_kernelINS0_14default_configENS1_38merge_sort_block_merge_config_selectorIbiEEZZNS1_27merge_sort_block_merge_implIS3_N6thrust23THRUST_200600_302600_NS6detail15normal_iteratorINS8_10device_ptrIbEEEENSA_INSB_IiEEEEjNS1_19radix_merge_compareILb1ELb0EbNS0_19identity_decomposerEEEEE10hipError_tT0_T1_T2_jT3_P12ihipStream_tbPNSt15iterator_traitsISK_E10value_typeEPNSQ_ISL_E10value_typeEPSM_NS1_7vsmem_tEENKUlT_SK_SL_SM_E_clISD_PbSF_PiEESJ_SZ_SK_SL_SM_EUlSZ_E1_NS1_11comp_targetILNS1_3genE4ELNS1_11target_archE910ELNS1_3gpuE8ELNS1_3repE0EEENS1_36merge_oddeven_config_static_selectorELNS0_4arch9wavefront6targetE1EEEvSL_.kd
    .uniform_work_group_size: 1
    .uses_dynamic_stack: false
    .vgpr_count:     0
    .vgpr_spill_count: 0
    .wavefront_size: 64
  - .agpr_count:     0
    .args:
      - .offset:         0
        .size:           48
        .value_kind:     by_value
    .group_segment_fixed_size: 0
    .kernarg_segment_align: 8
    .kernarg_segment_size: 48
    .language:       OpenCL C
    .language_version:
      - 2
      - 0
    .max_flat_workgroup_size: 256
    .name:           _ZN7rocprim17ROCPRIM_400000_NS6detail17trampoline_kernelINS0_14default_configENS1_38merge_sort_block_merge_config_selectorIbiEEZZNS1_27merge_sort_block_merge_implIS3_N6thrust23THRUST_200600_302600_NS6detail15normal_iteratorINS8_10device_ptrIbEEEENSA_INSB_IiEEEEjNS1_19radix_merge_compareILb1ELb0EbNS0_19identity_decomposerEEEEE10hipError_tT0_T1_T2_jT3_P12ihipStream_tbPNSt15iterator_traitsISK_E10value_typeEPNSQ_ISL_E10value_typeEPSM_NS1_7vsmem_tEENKUlT_SK_SL_SM_E_clISD_PbSF_PiEESJ_SZ_SK_SL_SM_EUlSZ_E1_NS1_11comp_targetILNS1_3genE3ELNS1_11target_archE908ELNS1_3gpuE7ELNS1_3repE0EEENS1_36merge_oddeven_config_static_selectorELNS0_4arch9wavefront6targetE1EEEvSL_
    .private_segment_fixed_size: 0
    .sgpr_count:     6
    .sgpr_spill_count: 0
    .symbol:         _ZN7rocprim17ROCPRIM_400000_NS6detail17trampoline_kernelINS0_14default_configENS1_38merge_sort_block_merge_config_selectorIbiEEZZNS1_27merge_sort_block_merge_implIS3_N6thrust23THRUST_200600_302600_NS6detail15normal_iteratorINS8_10device_ptrIbEEEENSA_INSB_IiEEEEjNS1_19radix_merge_compareILb1ELb0EbNS0_19identity_decomposerEEEEE10hipError_tT0_T1_T2_jT3_P12ihipStream_tbPNSt15iterator_traitsISK_E10value_typeEPNSQ_ISL_E10value_typeEPSM_NS1_7vsmem_tEENKUlT_SK_SL_SM_E_clISD_PbSF_PiEESJ_SZ_SK_SL_SM_EUlSZ_E1_NS1_11comp_targetILNS1_3genE3ELNS1_11target_archE908ELNS1_3gpuE7ELNS1_3repE0EEENS1_36merge_oddeven_config_static_selectorELNS0_4arch9wavefront6targetE1EEEvSL_.kd
    .uniform_work_group_size: 1
    .uses_dynamic_stack: false
    .vgpr_count:     0
    .vgpr_spill_count: 0
    .wavefront_size: 64
  - .agpr_count:     0
    .args:
      - .offset:         0
        .size:           48
        .value_kind:     by_value
    .group_segment_fixed_size: 0
    .kernarg_segment_align: 8
    .kernarg_segment_size: 48
    .language:       OpenCL C
    .language_version:
      - 2
      - 0
    .max_flat_workgroup_size: 256
    .name:           _ZN7rocprim17ROCPRIM_400000_NS6detail17trampoline_kernelINS0_14default_configENS1_38merge_sort_block_merge_config_selectorIbiEEZZNS1_27merge_sort_block_merge_implIS3_N6thrust23THRUST_200600_302600_NS6detail15normal_iteratorINS8_10device_ptrIbEEEENSA_INSB_IiEEEEjNS1_19radix_merge_compareILb1ELb0EbNS0_19identity_decomposerEEEEE10hipError_tT0_T1_T2_jT3_P12ihipStream_tbPNSt15iterator_traitsISK_E10value_typeEPNSQ_ISL_E10value_typeEPSM_NS1_7vsmem_tEENKUlT_SK_SL_SM_E_clISD_PbSF_PiEESJ_SZ_SK_SL_SM_EUlSZ_E1_NS1_11comp_targetILNS1_3genE2ELNS1_11target_archE906ELNS1_3gpuE6ELNS1_3repE0EEENS1_36merge_oddeven_config_static_selectorELNS0_4arch9wavefront6targetE1EEEvSL_
    .private_segment_fixed_size: 0
    .sgpr_count:     6
    .sgpr_spill_count: 0
    .symbol:         _ZN7rocprim17ROCPRIM_400000_NS6detail17trampoline_kernelINS0_14default_configENS1_38merge_sort_block_merge_config_selectorIbiEEZZNS1_27merge_sort_block_merge_implIS3_N6thrust23THRUST_200600_302600_NS6detail15normal_iteratorINS8_10device_ptrIbEEEENSA_INSB_IiEEEEjNS1_19radix_merge_compareILb1ELb0EbNS0_19identity_decomposerEEEEE10hipError_tT0_T1_T2_jT3_P12ihipStream_tbPNSt15iterator_traitsISK_E10value_typeEPNSQ_ISL_E10value_typeEPSM_NS1_7vsmem_tEENKUlT_SK_SL_SM_E_clISD_PbSF_PiEESJ_SZ_SK_SL_SM_EUlSZ_E1_NS1_11comp_targetILNS1_3genE2ELNS1_11target_archE906ELNS1_3gpuE6ELNS1_3repE0EEENS1_36merge_oddeven_config_static_selectorELNS0_4arch9wavefront6targetE1EEEvSL_.kd
    .uniform_work_group_size: 1
    .uses_dynamic_stack: false
    .vgpr_count:     0
    .vgpr_spill_count: 0
    .wavefront_size: 64
  - .agpr_count:     0
    .args:
      - .offset:         0
        .size:           48
        .value_kind:     by_value
    .group_segment_fixed_size: 0
    .kernarg_segment_align: 8
    .kernarg_segment_size: 48
    .language:       OpenCL C
    .language_version:
      - 2
      - 0
    .max_flat_workgroup_size: 256
    .name:           _ZN7rocprim17ROCPRIM_400000_NS6detail17trampoline_kernelINS0_14default_configENS1_38merge_sort_block_merge_config_selectorIbiEEZZNS1_27merge_sort_block_merge_implIS3_N6thrust23THRUST_200600_302600_NS6detail15normal_iteratorINS8_10device_ptrIbEEEENSA_INSB_IiEEEEjNS1_19radix_merge_compareILb1ELb0EbNS0_19identity_decomposerEEEEE10hipError_tT0_T1_T2_jT3_P12ihipStream_tbPNSt15iterator_traitsISK_E10value_typeEPNSQ_ISL_E10value_typeEPSM_NS1_7vsmem_tEENKUlT_SK_SL_SM_E_clISD_PbSF_PiEESJ_SZ_SK_SL_SM_EUlSZ_E1_NS1_11comp_targetILNS1_3genE9ELNS1_11target_archE1100ELNS1_3gpuE3ELNS1_3repE0EEENS1_36merge_oddeven_config_static_selectorELNS0_4arch9wavefront6targetE1EEEvSL_
    .private_segment_fixed_size: 0
    .sgpr_count:     6
    .sgpr_spill_count: 0
    .symbol:         _ZN7rocprim17ROCPRIM_400000_NS6detail17trampoline_kernelINS0_14default_configENS1_38merge_sort_block_merge_config_selectorIbiEEZZNS1_27merge_sort_block_merge_implIS3_N6thrust23THRUST_200600_302600_NS6detail15normal_iteratorINS8_10device_ptrIbEEEENSA_INSB_IiEEEEjNS1_19radix_merge_compareILb1ELb0EbNS0_19identity_decomposerEEEEE10hipError_tT0_T1_T2_jT3_P12ihipStream_tbPNSt15iterator_traitsISK_E10value_typeEPNSQ_ISL_E10value_typeEPSM_NS1_7vsmem_tEENKUlT_SK_SL_SM_E_clISD_PbSF_PiEESJ_SZ_SK_SL_SM_EUlSZ_E1_NS1_11comp_targetILNS1_3genE9ELNS1_11target_archE1100ELNS1_3gpuE3ELNS1_3repE0EEENS1_36merge_oddeven_config_static_selectorELNS0_4arch9wavefront6targetE1EEEvSL_.kd
    .uniform_work_group_size: 1
    .uses_dynamic_stack: false
    .vgpr_count:     0
    .vgpr_spill_count: 0
    .wavefront_size: 64
  - .agpr_count:     0
    .args:
      - .offset:         0
        .size:           48
        .value_kind:     by_value
    .group_segment_fixed_size: 0
    .kernarg_segment_align: 8
    .kernarg_segment_size: 48
    .language:       OpenCL C
    .language_version:
      - 2
      - 0
    .max_flat_workgroup_size: 256
    .name:           _ZN7rocprim17ROCPRIM_400000_NS6detail17trampoline_kernelINS0_14default_configENS1_38merge_sort_block_merge_config_selectorIbiEEZZNS1_27merge_sort_block_merge_implIS3_N6thrust23THRUST_200600_302600_NS6detail15normal_iteratorINS8_10device_ptrIbEEEENSA_INSB_IiEEEEjNS1_19radix_merge_compareILb1ELb0EbNS0_19identity_decomposerEEEEE10hipError_tT0_T1_T2_jT3_P12ihipStream_tbPNSt15iterator_traitsISK_E10value_typeEPNSQ_ISL_E10value_typeEPSM_NS1_7vsmem_tEENKUlT_SK_SL_SM_E_clISD_PbSF_PiEESJ_SZ_SK_SL_SM_EUlSZ_E1_NS1_11comp_targetILNS1_3genE8ELNS1_11target_archE1030ELNS1_3gpuE2ELNS1_3repE0EEENS1_36merge_oddeven_config_static_selectorELNS0_4arch9wavefront6targetE1EEEvSL_
    .private_segment_fixed_size: 0
    .sgpr_count:     6
    .sgpr_spill_count: 0
    .symbol:         _ZN7rocprim17ROCPRIM_400000_NS6detail17trampoline_kernelINS0_14default_configENS1_38merge_sort_block_merge_config_selectorIbiEEZZNS1_27merge_sort_block_merge_implIS3_N6thrust23THRUST_200600_302600_NS6detail15normal_iteratorINS8_10device_ptrIbEEEENSA_INSB_IiEEEEjNS1_19radix_merge_compareILb1ELb0EbNS0_19identity_decomposerEEEEE10hipError_tT0_T1_T2_jT3_P12ihipStream_tbPNSt15iterator_traitsISK_E10value_typeEPNSQ_ISL_E10value_typeEPSM_NS1_7vsmem_tEENKUlT_SK_SL_SM_E_clISD_PbSF_PiEESJ_SZ_SK_SL_SM_EUlSZ_E1_NS1_11comp_targetILNS1_3genE8ELNS1_11target_archE1030ELNS1_3gpuE2ELNS1_3repE0EEENS1_36merge_oddeven_config_static_selectorELNS0_4arch9wavefront6targetE1EEEvSL_.kd
    .uniform_work_group_size: 1
    .uses_dynamic_stack: false
    .vgpr_count:     0
    .vgpr_spill_count: 0
    .wavefront_size: 64
  - .agpr_count:     0
    .args:
      - .offset:         0
        .size:           40
        .value_kind:     by_value
    .group_segment_fixed_size: 128
    .kernarg_segment_align: 8
    .kernarg_segment_size: 40
    .language:       OpenCL C
    .language_version:
      - 2
      - 0
    .max_flat_workgroup_size: 128
    .name:           _ZN7rocprim17ROCPRIM_400000_NS6detail17trampoline_kernelINS0_14default_configENS1_38merge_sort_block_merge_config_selectorIbiEEZZNS1_27merge_sort_block_merge_implIS3_N6thrust23THRUST_200600_302600_NS6detail15normal_iteratorINS8_10device_ptrIbEEEENSA_INSB_IiEEEEjNS1_19radix_merge_compareILb1ELb1EbNS0_19identity_decomposerEEEEE10hipError_tT0_T1_T2_jT3_P12ihipStream_tbPNSt15iterator_traitsISK_E10value_typeEPNSQ_ISL_E10value_typeEPSM_NS1_7vsmem_tEENKUlT_SK_SL_SM_E_clIPbSD_PiSF_EESJ_SZ_SK_SL_SM_EUlSZ_E_NS1_11comp_targetILNS1_3genE0ELNS1_11target_archE4294967295ELNS1_3gpuE0ELNS1_3repE0EEENS1_48merge_mergepath_partition_config_static_selectorELNS0_4arch9wavefront6targetE1EEEvSL_
    .private_segment_fixed_size: 0
    .sgpr_count:     15
    .sgpr_spill_count: 0
    .symbol:         _ZN7rocprim17ROCPRIM_400000_NS6detail17trampoline_kernelINS0_14default_configENS1_38merge_sort_block_merge_config_selectorIbiEEZZNS1_27merge_sort_block_merge_implIS3_N6thrust23THRUST_200600_302600_NS6detail15normal_iteratorINS8_10device_ptrIbEEEENSA_INSB_IiEEEEjNS1_19radix_merge_compareILb1ELb1EbNS0_19identity_decomposerEEEEE10hipError_tT0_T1_T2_jT3_P12ihipStream_tbPNSt15iterator_traitsISK_E10value_typeEPNSQ_ISL_E10value_typeEPSM_NS1_7vsmem_tEENKUlT_SK_SL_SM_E_clIPbSD_PiSF_EESJ_SZ_SK_SL_SM_EUlSZ_E_NS1_11comp_targetILNS1_3genE0ELNS1_11target_archE4294967295ELNS1_3gpuE0ELNS1_3repE0EEENS1_48merge_mergepath_partition_config_static_selectorELNS0_4arch9wavefront6targetE1EEEvSL_.kd
    .uniform_work_group_size: 1
    .uses_dynamic_stack: false
    .vgpr_count:     18
    .vgpr_spill_count: 0
    .wavefront_size: 64
  - .agpr_count:     0
    .args:
      - .offset:         0
        .size:           40
        .value_kind:     by_value
    .group_segment_fixed_size: 0
    .kernarg_segment_align: 8
    .kernarg_segment_size: 40
    .language:       OpenCL C
    .language_version:
      - 2
      - 0
    .max_flat_workgroup_size: 128
    .name:           _ZN7rocprim17ROCPRIM_400000_NS6detail17trampoline_kernelINS0_14default_configENS1_38merge_sort_block_merge_config_selectorIbiEEZZNS1_27merge_sort_block_merge_implIS3_N6thrust23THRUST_200600_302600_NS6detail15normal_iteratorINS8_10device_ptrIbEEEENSA_INSB_IiEEEEjNS1_19radix_merge_compareILb1ELb1EbNS0_19identity_decomposerEEEEE10hipError_tT0_T1_T2_jT3_P12ihipStream_tbPNSt15iterator_traitsISK_E10value_typeEPNSQ_ISL_E10value_typeEPSM_NS1_7vsmem_tEENKUlT_SK_SL_SM_E_clIPbSD_PiSF_EESJ_SZ_SK_SL_SM_EUlSZ_E_NS1_11comp_targetILNS1_3genE10ELNS1_11target_archE1201ELNS1_3gpuE5ELNS1_3repE0EEENS1_48merge_mergepath_partition_config_static_selectorELNS0_4arch9wavefront6targetE1EEEvSL_
    .private_segment_fixed_size: 0
    .sgpr_count:     6
    .sgpr_spill_count: 0
    .symbol:         _ZN7rocprim17ROCPRIM_400000_NS6detail17trampoline_kernelINS0_14default_configENS1_38merge_sort_block_merge_config_selectorIbiEEZZNS1_27merge_sort_block_merge_implIS3_N6thrust23THRUST_200600_302600_NS6detail15normal_iteratorINS8_10device_ptrIbEEEENSA_INSB_IiEEEEjNS1_19radix_merge_compareILb1ELb1EbNS0_19identity_decomposerEEEEE10hipError_tT0_T1_T2_jT3_P12ihipStream_tbPNSt15iterator_traitsISK_E10value_typeEPNSQ_ISL_E10value_typeEPSM_NS1_7vsmem_tEENKUlT_SK_SL_SM_E_clIPbSD_PiSF_EESJ_SZ_SK_SL_SM_EUlSZ_E_NS1_11comp_targetILNS1_3genE10ELNS1_11target_archE1201ELNS1_3gpuE5ELNS1_3repE0EEENS1_48merge_mergepath_partition_config_static_selectorELNS0_4arch9wavefront6targetE1EEEvSL_.kd
    .uniform_work_group_size: 1
    .uses_dynamic_stack: false
    .vgpr_count:     0
    .vgpr_spill_count: 0
    .wavefront_size: 64
  - .agpr_count:     0
    .args:
      - .offset:         0
        .size:           40
        .value_kind:     by_value
    .group_segment_fixed_size: 0
    .kernarg_segment_align: 8
    .kernarg_segment_size: 40
    .language:       OpenCL C
    .language_version:
      - 2
      - 0
    .max_flat_workgroup_size: 128
    .name:           _ZN7rocprim17ROCPRIM_400000_NS6detail17trampoline_kernelINS0_14default_configENS1_38merge_sort_block_merge_config_selectorIbiEEZZNS1_27merge_sort_block_merge_implIS3_N6thrust23THRUST_200600_302600_NS6detail15normal_iteratorINS8_10device_ptrIbEEEENSA_INSB_IiEEEEjNS1_19radix_merge_compareILb1ELb1EbNS0_19identity_decomposerEEEEE10hipError_tT0_T1_T2_jT3_P12ihipStream_tbPNSt15iterator_traitsISK_E10value_typeEPNSQ_ISL_E10value_typeEPSM_NS1_7vsmem_tEENKUlT_SK_SL_SM_E_clIPbSD_PiSF_EESJ_SZ_SK_SL_SM_EUlSZ_E_NS1_11comp_targetILNS1_3genE5ELNS1_11target_archE942ELNS1_3gpuE9ELNS1_3repE0EEENS1_48merge_mergepath_partition_config_static_selectorELNS0_4arch9wavefront6targetE1EEEvSL_
    .private_segment_fixed_size: 0
    .sgpr_count:     6
    .sgpr_spill_count: 0
    .symbol:         _ZN7rocprim17ROCPRIM_400000_NS6detail17trampoline_kernelINS0_14default_configENS1_38merge_sort_block_merge_config_selectorIbiEEZZNS1_27merge_sort_block_merge_implIS3_N6thrust23THRUST_200600_302600_NS6detail15normal_iteratorINS8_10device_ptrIbEEEENSA_INSB_IiEEEEjNS1_19radix_merge_compareILb1ELb1EbNS0_19identity_decomposerEEEEE10hipError_tT0_T1_T2_jT3_P12ihipStream_tbPNSt15iterator_traitsISK_E10value_typeEPNSQ_ISL_E10value_typeEPSM_NS1_7vsmem_tEENKUlT_SK_SL_SM_E_clIPbSD_PiSF_EESJ_SZ_SK_SL_SM_EUlSZ_E_NS1_11comp_targetILNS1_3genE5ELNS1_11target_archE942ELNS1_3gpuE9ELNS1_3repE0EEENS1_48merge_mergepath_partition_config_static_selectorELNS0_4arch9wavefront6targetE1EEEvSL_.kd
    .uniform_work_group_size: 1
    .uses_dynamic_stack: false
    .vgpr_count:     0
    .vgpr_spill_count: 0
    .wavefront_size: 64
  - .agpr_count:     0
    .args:
      - .offset:         0
        .size:           40
        .value_kind:     by_value
    .group_segment_fixed_size: 0
    .kernarg_segment_align: 8
    .kernarg_segment_size: 40
    .language:       OpenCL C
    .language_version:
      - 2
      - 0
    .max_flat_workgroup_size: 128
    .name:           _ZN7rocprim17ROCPRIM_400000_NS6detail17trampoline_kernelINS0_14default_configENS1_38merge_sort_block_merge_config_selectorIbiEEZZNS1_27merge_sort_block_merge_implIS3_N6thrust23THRUST_200600_302600_NS6detail15normal_iteratorINS8_10device_ptrIbEEEENSA_INSB_IiEEEEjNS1_19radix_merge_compareILb1ELb1EbNS0_19identity_decomposerEEEEE10hipError_tT0_T1_T2_jT3_P12ihipStream_tbPNSt15iterator_traitsISK_E10value_typeEPNSQ_ISL_E10value_typeEPSM_NS1_7vsmem_tEENKUlT_SK_SL_SM_E_clIPbSD_PiSF_EESJ_SZ_SK_SL_SM_EUlSZ_E_NS1_11comp_targetILNS1_3genE4ELNS1_11target_archE910ELNS1_3gpuE8ELNS1_3repE0EEENS1_48merge_mergepath_partition_config_static_selectorELNS0_4arch9wavefront6targetE1EEEvSL_
    .private_segment_fixed_size: 0
    .sgpr_count:     6
    .sgpr_spill_count: 0
    .symbol:         _ZN7rocprim17ROCPRIM_400000_NS6detail17trampoline_kernelINS0_14default_configENS1_38merge_sort_block_merge_config_selectorIbiEEZZNS1_27merge_sort_block_merge_implIS3_N6thrust23THRUST_200600_302600_NS6detail15normal_iteratorINS8_10device_ptrIbEEEENSA_INSB_IiEEEEjNS1_19radix_merge_compareILb1ELb1EbNS0_19identity_decomposerEEEEE10hipError_tT0_T1_T2_jT3_P12ihipStream_tbPNSt15iterator_traitsISK_E10value_typeEPNSQ_ISL_E10value_typeEPSM_NS1_7vsmem_tEENKUlT_SK_SL_SM_E_clIPbSD_PiSF_EESJ_SZ_SK_SL_SM_EUlSZ_E_NS1_11comp_targetILNS1_3genE4ELNS1_11target_archE910ELNS1_3gpuE8ELNS1_3repE0EEENS1_48merge_mergepath_partition_config_static_selectorELNS0_4arch9wavefront6targetE1EEEvSL_.kd
    .uniform_work_group_size: 1
    .uses_dynamic_stack: false
    .vgpr_count:     0
    .vgpr_spill_count: 0
    .wavefront_size: 64
  - .agpr_count:     0
    .args:
      - .offset:         0
        .size:           40
        .value_kind:     by_value
    .group_segment_fixed_size: 0
    .kernarg_segment_align: 8
    .kernarg_segment_size: 40
    .language:       OpenCL C
    .language_version:
      - 2
      - 0
    .max_flat_workgroup_size: 128
    .name:           _ZN7rocprim17ROCPRIM_400000_NS6detail17trampoline_kernelINS0_14default_configENS1_38merge_sort_block_merge_config_selectorIbiEEZZNS1_27merge_sort_block_merge_implIS3_N6thrust23THRUST_200600_302600_NS6detail15normal_iteratorINS8_10device_ptrIbEEEENSA_INSB_IiEEEEjNS1_19radix_merge_compareILb1ELb1EbNS0_19identity_decomposerEEEEE10hipError_tT0_T1_T2_jT3_P12ihipStream_tbPNSt15iterator_traitsISK_E10value_typeEPNSQ_ISL_E10value_typeEPSM_NS1_7vsmem_tEENKUlT_SK_SL_SM_E_clIPbSD_PiSF_EESJ_SZ_SK_SL_SM_EUlSZ_E_NS1_11comp_targetILNS1_3genE3ELNS1_11target_archE908ELNS1_3gpuE7ELNS1_3repE0EEENS1_48merge_mergepath_partition_config_static_selectorELNS0_4arch9wavefront6targetE1EEEvSL_
    .private_segment_fixed_size: 0
    .sgpr_count:     6
    .sgpr_spill_count: 0
    .symbol:         _ZN7rocprim17ROCPRIM_400000_NS6detail17trampoline_kernelINS0_14default_configENS1_38merge_sort_block_merge_config_selectorIbiEEZZNS1_27merge_sort_block_merge_implIS3_N6thrust23THRUST_200600_302600_NS6detail15normal_iteratorINS8_10device_ptrIbEEEENSA_INSB_IiEEEEjNS1_19radix_merge_compareILb1ELb1EbNS0_19identity_decomposerEEEEE10hipError_tT0_T1_T2_jT3_P12ihipStream_tbPNSt15iterator_traitsISK_E10value_typeEPNSQ_ISL_E10value_typeEPSM_NS1_7vsmem_tEENKUlT_SK_SL_SM_E_clIPbSD_PiSF_EESJ_SZ_SK_SL_SM_EUlSZ_E_NS1_11comp_targetILNS1_3genE3ELNS1_11target_archE908ELNS1_3gpuE7ELNS1_3repE0EEENS1_48merge_mergepath_partition_config_static_selectorELNS0_4arch9wavefront6targetE1EEEvSL_.kd
    .uniform_work_group_size: 1
    .uses_dynamic_stack: false
    .vgpr_count:     0
    .vgpr_spill_count: 0
    .wavefront_size: 64
  - .agpr_count:     0
    .args:
      - .offset:         0
        .size:           40
        .value_kind:     by_value
    .group_segment_fixed_size: 0
    .kernarg_segment_align: 8
    .kernarg_segment_size: 40
    .language:       OpenCL C
    .language_version:
      - 2
      - 0
    .max_flat_workgroup_size: 128
    .name:           _ZN7rocprim17ROCPRIM_400000_NS6detail17trampoline_kernelINS0_14default_configENS1_38merge_sort_block_merge_config_selectorIbiEEZZNS1_27merge_sort_block_merge_implIS3_N6thrust23THRUST_200600_302600_NS6detail15normal_iteratorINS8_10device_ptrIbEEEENSA_INSB_IiEEEEjNS1_19radix_merge_compareILb1ELb1EbNS0_19identity_decomposerEEEEE10hipError_tT0_T1_T2_jT3_P12ihipStream_tbPNSt15iterator_traitsISK_E10value_typeEPNSQ_ISL_E10value_typeEPSM_NS1_7vsmem_tEENKUlT_SK_SL_SM_E_clIPbSD_PiSF_EESJ_SZ_SK_SL_SM_EUlSZ_E_NS1_11comp_targetILNS1_3genE2ELNS1_11target_archE906ELNS1_3gpuE6ELNS1_3repE0EEENS1_48merge_mergepath_partition_config_static_selectorELNS0_4arch9wavefront6targetE1EEEvSL_
    .private_segment_fixed_size: 0
    .sgpr_count:     6
    .sgpr_spill_count: 0
    .symbol:         _ZN7rocprim17ROCPRIM_400000_NS6detail17trampoline_kernelINS0_14default_configENS1_38merge_sort_block_merge_config_selectorIbiEEZZNS1_27merge_sort_block_merge_implIS3_N6thrust23THRUST_200600_302600_NS6detail15normal_iteratorINS8_10device_ptrIbEEEENSA_INSB_IiEEEEjNS1_19radix_merge_compareILb1ELb1EbNS0_19identity_decomposerEEEEE10hipError_tT0_T1_T2_jT3_P12ihipStream_tbPNSt15iterator_traitsISK_E10value_typeEPNSQ_ISL_E10value_typeEPSM_NS1_7vsmem_tEENKUlT_SK_SL_SM_E_clIPbSD_PiSF_EESJ_SZ_SK_SL_SM_EUlSZ_E_NS1_11comp_targetILNS1_3genE2ELNS1_11target_archE906ELNS1_3gpuE6ELNS1_3repE0EEENS1_48merge_mergepath_partition_config_static_selectorELNS0_4arch9wavefront6targetE1EEEvSL_.kd
    .uniform_work_group_size: 1
    .uses_dynamic_stack: false
    .vgpr_count:     0
    .vgpr_spill_count: 0
    .wavefront_size: 64
  - .agpr_count:     0
    .args:
      - .offset:         0
        .size:           40
        .value_kind:     by_value
    .group_segment_fixed_size: 0
    .kernarg_segment_align: 8
    .kernarg_segment_size: 40
    .language:       OpenCL C
    .language_version:
      - 2
      - 0
    .max_flat_workgroup_size: 128
    .name:           _ZN7rocprim17ROCPRIM_400000_NS6detail17trampoline_kernelINS0_14default_configENS1_38merge_sort_block_merge_config_selectorIbiEEZZNS1_27merge_sort_block_merge_implIS3_N6thrust23THRUST_200600_302600_NS6detail15normal_iteratorINS8_10device_ptrIbEEEENSA_INSB_IiEEEEjNS1_19radix_merge_compareILb1ELb1EbNS0_19identity_decomposerEEEEE10hipError_tT0_T1_T2_jT3_P12ihipStream_tbPNSt15iterator_traitsISK_E10value_typeEPNSQ_ISL_E10value_typeEPSM_NS1_7vsmem_tEENKUlT_SK_SL_SM_E_clIPbSD_PiSF_EESJ_SZ_SK_SL_SM_EUlSZ_E_NS1_11comp_targetILNS1_3genE9ELNS1_11target_archE1100ELNS1_3gpuE3ELNS1_3repE0EEENS1_48merge_mergepath_partition_config_static_selectorELNS0_4arch9wavefront6targetE1EEEvSL_
    .private_segment_fixed_size: 0
    .sgpr_count:     6
    .sgpr_spill_count: 0
    .symbol:         _ZN7rocprim17ROCPRIM_400000_NS6detail17trampoline_kernelINS0_14default_configENS1_38merge_sort_block_merge_config_selectorIbiEEZZNS1_27merge_sort_block_merge_implIS3_N6thrust23THRUST_200600_302600_NS6detail15normal_iteratorINS8_10device_ptrIbEEEENSA_INSB_IiEEEEjNS1_19radix_merge_compareILb1ELb1EbNS0_19identity_decomposerEEEEE10hipError_tT0_T1_T2_jT3_P12ihipStream_tbPNSt15iterator_traitsISK_E10value_typeEPNSQ_ISL_E10value_typeEPSM_NS1_7vsmem_tEENKUlT_SK_SL_SM_E_clIPbSD_PiSF_EESJ_SZ_SK_SL_SM_EUlSZ_E_NS1_11comp_targetILNS1_3genE9ELNS1_11target_archE1100ELNS1_3gpuE3ELNS1_3repE0EEENS1_48merge_mergepath_partition_config_static_selectorELNS0_4arch9wavefront6targetE1EEEvSL_.kd
    .uniform_work_group_size: 1
    .uses_dynamic_stack: false
    .vgpr_count:     0
    .vgpr_spill_count: 0
    .wavefront_size: 64
  - .agpr_count:     0
    .args:
      - .offset:         0
        .size:           40
        .value_kind:     by_value
    .group_segment_fixed_size: 0
    .kernarg_segment_align: 8
    .kernarg_segment_size: 40
    .language:       OpenCL C
    .language_version:
      - 2
      - 0
    .max_flat_workgroup_size: 128
    .name:           _ZN7rocprim17ROCPRIM_400000_NS6detail17trampoline_kernelINS0_14default_configENS1_38merge_sort_block_merge_config_selectorIbiEEZZNS1_27merge_sort_block_merge_implIS3_N6thrust23THRUST_200600_302600_NS6detail15normal_iteratorINS8_10device_ptrIbEEEENSA_INSB_IiEEEEjNS1_19radix_merge_compareILb1ELb1EbNS0_19identity_decomposerEEEEE10hipError_tT0_T1_T2_jT3_P12ihipStream_tbPNSt15iterator_traitsISK_E10value_typeEPNSQ_ISL_E10value_typeEPSM_NS1_7vsmem_tEENKUlT_SK_SL_SM_E_clIPbSD_PiSF_EESJ_SZ_SK_SL_SM_EUlSZ_E_NS1_11comp_targetILNS1_3genE8ELNS1_11target_archE1030ELNS1_3gpuE2ELNS1_3repE0EEENS1_48merge_mergepath_partition_config_static_selectorELNS0_4arch9wavefront6targetE1EEEvSL_
    .private_segment_fixed_size: 0
    .sgpr_count:     6
    .sgpr_spill_count: 0
    .symbol:         _ZN7rocprim17ROCPRIM_400000_NS6detail17trampoline_kernelINS0_14default_configENS1_38merge_sort_block_merge_config_selectorIbiEEZZNS1_27merge_sort_block_merge_implIS3_N6thrust23THRUST_200600_302600_NS6detail15normal_iteratorINS8_10device_ptrIbEEEENSA_INSB_IiEEEEjNS1_19radix_merge_compareILb1ELb1EbNS0_19identity_decomposerEEEEE10hipError_tT0_T1_T2_jT3_P12ihipStream_tbPNSt15iterator_traitsISK_E10value_typeEPNSQ_ISL_E10value_typeEPSM_NS1_7vsmem_tEENKUlT_SK_SL_SM_E_clIPbSD_PiSF_EESJ_SZ_SK_SL_SM_EUlSZ_E_NS1_11comp_targetILNS1_3genE8ELNS1_11target_archE1030ELNS1_3gpuE2ELNS1_3repE0EEENS1_48merge_mergepath_partition_config_static_selectorELNS0_4arch9wavefront6targetE1EEEvSL_.kd
    .uniform_work_group_size: 1
    .uses_dynamic_stack: false
    .vgpr_count:     0
    .vgpr_spill_count: 0
    .wavefront_size: 64
  - .agpr_count:     0
    .args:
      - .offset:         0
        .size:           64
        .value_kind:     by_value
      - .offset:         64
        .size:           4
        .value_kind:     hidden_block_count_x
      - .offset:         68
        .size:           4
        .value_kind:     hidden_block_count_y
      - .offset:         72
        .size:           4
        .value_kind:     hidden_block_count_z
      - .offset:         76
        .size:           2
        .value_kind:     hidden_group_size_x
      - .offset:         78
        .size:           2
        .value_kind:     hidden_group_size_y
      - .offset:         80
        .size:           2
        .value_kind:     hidden_group_size_z
      - .offset:         82
        .size:           2
        .value_kind:     hidden_remainder_x
      - .offset:         84
        .size:           2
        .value_kind:     hidden_remainder_y
      - .offset:         86
        .size:           2
        .value_kind:     hidden_remainder_z
      - .offset:         104
        .size:           8
        .value_kind:     hidden_global_offset_x
      - .offset:         112
        .size:           8
        .value_kind:     hidden_global_offset_y
      - .offset:         120
        .size:           8
        .value_kind:     hidden_global_offset_z
      - .offset:         128
        .size:           2
        .value_kind:     hidden_grid_dims
    .group_segment_fixed_size: 5248
    .kernarg_segment_align: 8
    .kernarg_segment_size: 320
    .language:       OpenCL C
    .language_version:
      - 2
      - 0
    .max_flat_workgroup_size: 256
    .name:           _ZN7rocprim17ROCPRIM_400000_NS6detail17trampoline_kernelINS0_14default_configENS1_38merge_sort_block_merge_config_selectorIbiEEZZNS1_27merge_sort_block_merge_implIS3_N6thrust23THRUST_200600_302600_NS6detail15normal_iteratorINS8_10device_ptrIbEEEENSA_INSB_IiEEEEjNS1_19radix_merge_compareILb1ELb1EbNS0_19identity_decomposerEEEEE10hipError_tT0_T1_T2_jT3_P12ihipStream_tbPNSt15iterator_traitsISK_E10value_typeEPNSQ_ISL_E10value_typeEPSM_NS1_7vsmem_tEENKUlT_SK_SL_SM_E_clIPbSD_PiSF_EESJ_SZ_SK_SL_SM_EUlSZ_E0_NS1_11comp_targetILNS1_3genE0ELNS1_11target_archE4294967295ELNS1_3gpuE0ELNS1_3repE0EEENS1_38merge_mergepath_config_static_selectorELNS0_4arch9wavefront6targetE1EEEvSL_
    .private_segment_fixed_size: 0
    .sgpr_count:     36
    .sgpr_spill_count: 0
    .symbol:         _ZN7rocprim17ROCPRIM_400000_NS6detail17trampoline_kernelINS0_14default_configENS1_38merge_sort_block_merge_config_selectorIbiEEZZNS1_27merge_sort_block_merge_implIS3_N6thrust23THRUST_200600_302600_NS6detail15normal_iteratorINS8_10device_ptrIbEEEENSA_INSB_IiEEEEjNS1_19radix_merge_compareILb1ELb1EbNS0_19identity_decomposerEEEEE10hipError_tT0_T1_T2_jT3_P12ihipStream_tbPNSt15iterator_traitsISK_E10value_typeEPNSQ_ISL_E10value_typeEPSM_NS1_7vsmem_tEENKUlT_SK_SL_SM_E_clIPbSD_PiSF_EESJ_SZ_SK_SL_SM_EUlSZ_E0_NS1_11comp_targetILNS1_3genE0ELNS1_11target_archE4294967295ELNS1_3gpuE0ELNS1_3repE0EEENS1_38merge_mergepath_config_static_selectorELNS0_4arch9wavefront6targetE1EEEvSL_.kd
    .uniform_work_group_size: 1
    .uses_dynamic_stack: false
    .vgpr_count:     27
    .vgpr_spill_count: 0
    .wavefront_size: 64
  - .agpr_count:     0
    .args:
      - .offset:         0
        .size:           64
        .value_kind:     by_value
    .group_segment_fixed_size: 0
    .kernarg_segment_align: 8
    .kernarg_segment_size: 64
    .language:       OpenCL C
    .language_version:
      - 2
      - 0
    .max_flat_workgroup_size: 256
    .name:           _ZN7rocprim17ROCPRIM_400000_NS6detail17trampoline_kernelINS0_14default_configENS1_38merge_sort_block_merge_config_selectorIbiEEZZNS1_27merge_sort_block_merge_implIS3_N6thrust23THRUST_200600_302600_NS6detail15normal_iteratorINS8_10device_ptrIbEEEENSA_INSB_IiEEEEjNS1_19radix_merge_compareILb1ELb1EbNS0_19identity_decomposerEEEEE10hipError_tT0_T1_T2_jT3_P12ihipStream_tbPNSt15iterator_traitsISK_E10value_typeEPNSQ_ISL_E10value_typeEPSM_NS1_7vsmem_tEENKUlT_SK_SL_SM_E_clIPbSD_PiSF_EESJ_SZ_SK_SL_SM_EUlSZ_E0_NS1_11comp_targetILNS1_3genE10ELNS1_11target_archE1201ELNS1_3gpuE5ELNS1_3repE0EEENS1_38merge_mergepath_config_static_selectorELNS0_4arch9wavefront6targetE1EEEvSL_
    .private_segment_fixed_size: 0
    .sgpr_count:     6
    .sgpr_spill_count: 0
    .symbol:         _ZN7rocprim17ROCPRIM_400000_NS6detail17trampoline_kernelINS0_14default_configENS1_38merge_sort_block_merge_config_selectorIbiEEZZNS1_27merge_sort_block_merge_implIS3_N6thrust23THRUST_200600_302600_NS6detail15normal_iteratorINS8_10device_ptrIbEEEENSA_INSB_IiEEEEjNS1_19radix_merge_compareILb1ELb1EbNS0_19identity_decomposerEEEEE10hipError_tT0_T1_T2_jT3_P12ihipStream_tbPNSt15iterator_traitsISK_E10value_typeEPNSQ_ISL_E10value_typeEPSM_NS1_7vsmem_tEENKUlT_SK_SL_SM_E_clIPbSD_PiSF_EESJ_SZ_SK_SL_SM_EUlSZ_E0_NS1_11comp_targetILNS1_3genE10ELNS1_11target_archE1201ELNS1_3gpuE5ELNS1_3repE0EEENS1_38merge_mergepath_config_static_selectorELNS0_4arch9wavefront6targetE1EEEvSL_.kd
    .uniform_work_group_size: 1
    .uses_dynamic_stack: false
    .vgpr_count:     0
    .vgpr_spill_count: 0
    .wavefront_size: 64
  - .agpr_count:     0
    .args:
      - .offset:         0
        .size:           64
        .value_kind:     by_value
    .group_segment_fixed_size: 0
    .kernarg_segment_align: 8
    .kernarg_segment_size: 64
    .language:       OpenCL C
    .language_version:
      - 2
      - 0
    .max_flat_workgroup_size: 128
    .name:           _ZN7rocprim17ROCPRIM_400000_NS6detail17trampoline_kernelINS0_14default_configENS1_38merge_sort_block_merge_config_selectorIbiEEZZNS1_27merge_sort_block_merge_implIS3_N6thrust23THRUST_200600_302600_NS6detail15normal_iteratorINS8_10device_ptrIbEEEENSA_INSB_IiEEEEjNS1_19radix_merge_compareILb1ELb1EbNS0_19identity_decomposerEEEEE10hipError_tT0_T1_T2_jT3_P12ihipStream_tbPNSt15iterator_traitsISK_E10value_typeEPNSQ_ISL_E10value_typeEPSM_NS1_7vsmem_tEENKUlT_SK_SL_SM_E_clIPbSD_PiSF_EESJ_SZ_SK_SL_SM_EUlSZ_E0_NS1_11comp_targetILNS1_3genE5ELNS1_11target_archE942ELNS1_3gpuE9ELNS1_3repE0EEENS1_38merge_mergepath_config_static_selectorELNS0_4arch9wavefront6targetE1EEEvSL_
    .private_segment_fixed_size: 0
    .sgpr_count:     6
    .sgpr_spill_count: 0
    .symbol:         _ZN7rocprim17ROCPRIM_400000_NS6detail17trampoline_kernelINS0_14default_configENS1_38merge_sort_block_merge_config_selectorIbiEEZZNS1_27merge_sort_block_merge_implIS3_N6thrust23THRUST_200600_302600_NS6detail15normal_iteratorINS8_10device_ptrIbEEEENSA_INSB_IiEEEEjNS1_19radix_merge_compareILb1ELb1EbNS0_19identity_decomposerEEEEE10hipError_tT0_T1_T2_jT3_P12ihipStream_tbPNSt15iterator_traitsISK_E10value_typeEPNSQ_ISL_E10value_typeEPSM_NS1_7vsmem_tEENKUlT_SK_SL_SM_E_clIPbSD_PiSF_EESJ_SZ_SK_SL_SM_EUlSZ_E0_NS1_11comp_targetILNS1_3genE5ELNS1_11target_archE942ELNS1_3gpuE9ELNS1_3repE0EEENS1_38merge_mergepath_config_static_selectorELNS0_4arch9wavefront6targetE1EEEvSL_.kd
    .uniform_work_group_size: 1
    .uses_dynamic_stack: false
    .vgpr_count:     0
    .vgpr_spill_count: 0
    .wavefront_size: 64
  - .agpr_count:     0
    .args:
      - .offset:         0
        .size:           64
        .value_kind:     by_value
    .group_segment_fixed_size: 0
    .kernarg_segment_align: 8
    .kernarg_segment_size: 64
    .language:       OpenCL C
    .language_version:
      - 2
      - 0
    .max_flat_workgroup_size: 128
    .name:           _ZN7rocprim17ROCPRIM_400000_NS6detail17trampoline_kernelINS0_14default_configENS1_38merge_sort_block_merge_config_selectorIbiEEZZNS1_27merge_sort_block_merge_implIS3_N6thrust23THRUST_200600_302600_NS6detail15normal_iteratorINS8_10device_ptrIbEEEENSA_INSB_IiEEEEjNS1_19radix_merge_compareILb1ELb1EbNS0_19identity_decomposerEEEEE10hipError_tT0_T1_T2_jT3_P12ihipStream_tbPNSt15iterator_traitsISK_E10value_typeEPNSQ_ISL_E10value_typeEPSM_NS1_7vsmem_tEENKUlT_SK_SL_SM_E_clIPbSD_PiSF_EESJ_SZ_SK_SL_SM_EUlSZ_E0_NS1_11comp_targetILNS1_3genE4ELNS1_11target_archE910ELNS1_3gpuE8ELNS1_3repE0EEENS1_38merge_mergepath_config_static_selectorELNS0_4arch9wavefront6targetE1EEEvSL_
    .private_segment_fixed_size: 0
    .sgpr_count:     6
    .sgpr_spill_count: 0
    .symbol:         _ZN7rocprim17ROCPRIM_400000_NS6detail17trampoline_kernelINS0_14default_configENS1_38merge_sort_block_merge_config_selectorIbiEEZZNS1_27merge_sort_block_merge_implIS3_N6thrust23THRUST_200600_302600_NS6detail15normal_iteratorINS8_10device_ptrIbEEEENSA_INSB_IiEEEEjNS1_19radix_merge_compareILb1ELb1EbNS0_19identity_decomposerEEEEE10hipError_tT0_T1_T2_jT3_P12ihipStream_tbPNSt15iterator_traitsISK_E10value_typeEPNSQ_ISL_E10value_typeEPSM_NS1_7vsmem_tEENKUlT_SK_SL_SM_E_clIPbSD_PiSF_EESJ_SZ_SK_SL_SM_EUlSZ_E0_NS1_11comp_targetILNS1_3genE4ELNS1_11target_archE910ELNS1_3gpuE8ELNS1_3repE0EEENS1_38merge_mergepath_config_static_selectorELNS0_4arch9wavefront6targetE1EEEvSL_.kd
    .uniform_work_group_size: 1
    .uses_dynamic_stack: false
    .vgpr_count:     0
    .vgpr_spill_count: 0
    .wavefront_size: 64
  - .agpr_count:     0
    .args:
      - .offset:         0
        .size:           64
        .value_kind:     by_value
    .group_segment_fixed_size: 0
    .kernarg_segment_align: 8
    .kernarg_segment_size: 64
    .language:       OpenCL C
    .language_version:
      - 2
      - 0
    .max_flat_workgroup_size: 256
    .name:           _ZN7rocprim17ROCPRIM_400000_NS6detail17trampoline_kernelINS0_14default_configENS1_38merge_sort_block_merge_config_selectorIbiEEZZNS1_27merge_sort_block_merge_implIS3_N6thrust23THRUST_200600_302600_NS6detail15normal_iteratorINS8_10device_ptrIbEEEENSA_INSB_IiEEEEjNS1_19radix_merge_compareILb1ELb1EbNS0_19identity_decomposerEEEEE10hipError_tT0_T1_T2_jT3_P12ihipStream_tbPNSt15iterator_traitsISK_E10value_typeEPNSQ_ISL_E10value_typeEPSM_NS1_7vsmem_tEENKUlT_SK_SL_SM_E_clIPbSD_PiSF_EESJ_SZ_SK_SL_SM_EUlSZ_E0_NS1_11comp_targetILNS1_3genE3ELNS1_11target_archE908ELNS1_3gpuE7ELNS1_3repE0EEENS1_38merge_mergepath_config_static_selectorELNS0_4arch9wavefront6targetE1EEEvSL_
    .private_segment_fixed_size: 0
    .sgpr_count:     6
    .sgpr_spill_count: 0
    .symbol:         _ZN7rocprim17ROCPRIM_400000_NS6detail17trampoline_kernelINS0_14default_configENS1_38merge_sort_block_merge_config_selectorIbiEEZZNS1_27merge_sort_block_merge_implIS3_N6thrust23THRUST_200600_302600_NS6detail15normal_iteratorINS8_10device_ptrIbEEEENSA_INSB_IiEEEEjNS1_19radix_merge_compareILb1ELb1EbNS0_19identity_decomposerEEEEE10hipError_tT0_T1_T2_jT3_P12ihipStream_tbPNSt15iterator_traitsISK_E10value_typeEPNSQ_ISL_E10value_typeEPSM_NS1_7vsmem_tEENKUlT_SK_SL_SM_E_clIPbSD_PiSF_EESJ_SZ_SK_SL_SM_EUlSZ_E0_NS1_11comp_targetILNS1_3genE3ELNS1_11target_archE908ELNS1_3gpuE7ELNS1_3repE0EEENS1_38merge_mergepath_config_static_selectorELNS0_4arch9wavefront6targetE1EEEvSL_.kd
    .uniform_work_group_size: 1
    .uses_dynamic_stack: false
    .vgpr_count:     0
    .vgpr_spill_count: 0
    .wavefront_size: 64
  - .agpr_count:     0
    .args:
      - .offset:         0
        .size:           64
        .value_kind:     by_value
    .group_segment_fixed_size: 0
    .kernarg_segment_align: 8
    .kernarg_segment_size: 64
    .language:       OpenCL C
    .language_version:
      - 2
      - 0
    .max_flat_workgroup_size: 128
    .name:           _ZN7rocprim17ROCPRIM_400000_NS6detail17trampoline_kernelINS0_14default_configENS1_38merge_sort_block_merge_config_selectorIbiEEZZNS1_27merge_sort_block_merge_implIS3_N6thrust23THRUST_200600_302600_NS6detail15normal_iteratorINS8_10device_ptrIbEEEENSA_INSB_IiEEEEjNS1_19radix_merge_compareILb1ELb1EbNS0_19identity_decomposerEEEEE10hipError_tT0_T1_T2_jT3_P12ihipStream_tbPNSt15iterator_traitsISK_E10value_typeEPNSQ_ISL_E10value_typeEPSM_NS1_7vsmem_tEENKUlT_SK_SL_SM_E_clIPbSD_PiSF_EESJ_SZ_SK_SL_SM_EUlSZ_E0_NS1_11comp_targetILNS1_3genE2ELNS1_11target_archE906ELNS1_3gpuE6ELNS1_3repE0EEENS1_38merge_mergepath_config_static_selectorELNS0_4arch9wavefront6targetE1EEEvSL_
    .private_segment_fixed_size: 0
    .sgpr_count:     6
    .sgpr_spill_count: 0
    .symbol:         _ZN7rocprim17ROCPRIM_400000_NS6detail17trampoline_kernelINS0_14default_configENS1_38merge_sort_block_merge_config_selectorIbiEEZZNS1_27merge_sort_block_merge_implIS3_N6thrust23THRUST_200600_302600_NS6detail15normal_iteratorINS8_10device_ptrIbEEEENSA_INSB_IiEEEEjNS1_19radix_merge_compareILb1ELb1EbNS0_19identity_decomposerEEEEE10hipError_tT0_T1_T2_jT3_P12ihipStream_tbPNSt15iterator_traitsISK_E10value_typeEPNSQ_ISL_E10value_typeEPSM_NS1_7vsmem_tEENKUlT_SK_SL_SM_E_clIPbSD_PiSF_EESJ_SZ_SK_SL_SM_EUlSZ_E0_NS1_11comp_targetILNS1_3genE2ELNS1_11target_archE906ELNS1_3gpuE6ELNS1_3repE0EEENS1_38merge_mergepath_config_static_selectorELNS0_4arch9wavefront6targetE1EEEvSL_.kd
    .uniform_work_group_size: 1
    .uses_dynamic_stack: false
    .vgpr_count:     0
    .vgpr_spill_count: 0
    .wavefront_size: 64
  - .agpr_count:     0
    .args:
      - .offset:         0
        .size:           64
        .value_kind:     by_value
    .group_segment_fixed_size: 0
    .kernarg_segment_align: 8
    .kernarg_segment_size: 64
    .language:       OpenCL C
    .language_version:
      - 2
      - 0
    .max_flat_workgroup_size: 256
    .name:           _ZN7rocprim17ROCPRIM_400000_NS6detail17trampoline_kernelINS0_14default_configENS1_38merge_sort_block_merge_config_selectorIbiEEZZNS1_27merge_sort_block_merge_implIS3_N6thrust23THRUST_200600_302600_NS6detail15normal_iteratorINS8_10device_ptrIbEEEENSA_INSB_IiEEEEjNS1_19radix_merge_compareILb1ELb1EbNS0_19identity_decomposerEEEEE10hipError_tT0_T1_T2_jT3_P12ihipStream_tbPNSt15iterator_traitsISK_E10value_typeEPNSQ_ISL_E10value_typeEPSM_NS1_7vsmem_tEENKUlT_SK_SL_SM_E_clIPbSD_PiSF_EESJ_SZ_SK_SL_SM_EUlSZ_E0_NS1_11comp_targetILNS1_3genE9ELNS1_11target_archE1100ELNS1_3gpuE3ELNS1_3repE0EEENS1_38merge_mergepath_config_static_selectorELNS0_4arch9wavefront6targetE1EEEvSL_
    .private_segment_fixed_size: 0
    .sgpr_count:     6
    .sgpr_spill_count: 0
    .symbol:         _ZN7rocprim17ROCPRIM_400000_NS6detail17trampoline_kernelINS0_14default_configENS1_38merge_sort_block_merge_config_selectorIbiEEZZNS1_27merge_sort_block_merge_implIS3_N6thrust23THRUST_200600_302600_NS6detail15normal_iteratorINS8_10device_ptrIbEEEENSA_INSB_IiEEEEjNS1_19radix_merge_compareILb1ELb1EbNS0_19identity_decomposerEEEEE10hipError_tT0_T1_T2_jT3_P12ihipStream_tbPNSt15iterator_traitsISK_E10value_typeEPNSQ_ISL_E10value_typeEPSM_NS1_7vsmem_tEENKUlT_SK_SL_SM_E_clIPbSD_PiSF_EESJ_SZ_SK_SL_SM_EUlSZ_E0_NS1_11comp_targetILNS1_3genE9ELNS1_11target_archE1100ELNS1_3gpuE3ELNS1_3repE0EEENS1_38merge_mergepath_config_static_selectorELNS0_4arch9wavefront6targetE1EEEvSL_.kd
    .uniform_work_group_size: 1
    .uses_dynamic_stack: false
    .vgpr_count:     0
    .vgpr_spill_count: 0
    .wavefront_size: 64
  - .agpr_count:     0
    .args:
      - .offset:         0
        .size:           64
        .value_kind:     by_value
    .group_segment_fixed_size: 0
    .kernarg_segment_align: 8
    .kernarg_segment_size: 64
    .language:       OpenCL C
    .language_version:
      - 2
      - 0
    .max_flat_workgroup_size: 256
    .name:           _ZN7rocprim17ROCPRIM_400000_NS6detail17trampoline_kernelINS0_14default_configENS1_38merge_sort_block_merge_config_selectorIbiEEZZNS1_27merge_sort_block_merge_implIS3_N6thrust23THRUST_200600_302600_NS6detail15normal_iteratorINS8_10device_ptrIbEEEENSA_INSB_IiEEEEjNS1_19radix_merge_compareILb1ELb1EbNS0_19identity_decomposerEEEEE10hipError_tT0_T1_T2_jT3_P12ihipStream_tbPNSt15iterator_traitsISK_E10value_typeEPNSQ_ISL_E10value_typeEPSM_NS1_7vsmem_tEENKUlT_SK_SL_SM_E_clIPbSD_PiSF_EESJ_SZ_SK_SL_SM_EUlSZ_E0_NS1_11comp_targetILNS1_3genE8ELNS1_11target_archE1030ELNS1_3gpuE2ELNS1_3repE0EEENS1_38merge_mergepath_config_static_selectorELNS0_4arch9wavefront6targetE1EEEvSL_
    .private_segment_fixed_size: 0
    .sgpr_count:     6
    .sgpr_spill_count: 0
    .symbol:         _ZN7rocprim17ROCPRIM_400000_NS6detail17trampoline_kernelINS0_14default_configENS1_38merge_sort_block_merge_config_selectorIbiEEZZNS1_27merge_sort_block_merge_implIS3_N6thrust23THRUST_200600_302600_NS6detail15normal_iteratorINS8_10device_ptrIbEEEENSA_INSB_IiEEEEjNS1_19radix_merge_compareILb1ELb1EbNS0_19identity_decomposerEEEEE10hipError_tT0_T1_T2_jT3_P12ihipStream_tbPNSt15iterator_traitsISK_E10value_typeEPNSQ_ISL_E10value_typeEPSM_NS1_7vsmem_tEENKUlT_SK_SL_SM_E_clIPbSD_PiSF_EESJ_SZ_SK_SL_SM_EUlSZ_E0_NS1_11comp_targetILNS1_3genE8ELNS1_11target_archE1030ELNS1_3gpuE2ELNS1_3repE0EEENS1_38merge_mergepath_config_static_selectorELNS0_4arch9wavefront6targetE1EEEvSL_.kd
    .uniform_work_group_size: 1
    .uses_dynamic_stack: false
    .vgpr_count:     0
    .vgpr_spill_count: 0
    .wavefront_size: 64
  - .agpr_count:     0
    .args:
      - .offset:         0
        .size:           48
        .value_kind:     by_value
    .group_segment_fixed_size: 256
    .kernarg_segment_align: 8
    .kernarg_segment_size: 48
    .language:       OpenCL C
    .language_version:
      - 2
      - 0
    .max_flat_workgroup_size: 256
    .name:           _ZN7rocprim17ROCPRIM_400000_NS6detail17trampoline_kernelINS0_14default_configENS1_38merge_sort_block_merge_config_selectorIbiEEZZNS1_27merge_sort_block_merge_implIS3_N6thrust23THRUST_200600_302600_NS6detail15normal_iteratorINS8_10device_ptrIbEEEENSA_INSB_IiEEEEjNS1_19radix_merge_compareILb1ELb1EbNS0_19identity_decomposerEEEEE10hipError_tT0_T1_T2_jT3_P12ihipStream_tbPNSt15iterator_traitsISK_E10value_typeEPNSQ_ISL_E10value_typeEPSM_NS1_7vsmem_tEENKUlT_SK_SL_SM_E_clIPbSD_PiSF_EESJ_SZ_SK_SL_SM_EUlSZ_E1_NS1_11comp_targetILNS1_3genE0ELNS1_11target_archE4294967295ELNS1_3gpuE0ELNS1_3repE0EEENS1_36merge_oddeven_config_static_selectorELNS0_4arch9wavefront6targetE1EEEvSL_
    .private_segment_fixed_size: 0
    .sgpr_count:     28
    .sgpr_spill_count: 0
    .symbol:         _ZN7rocprim17ROCPRIM_400000_NS6detail17trampoline_kernelINS0_14default_configENS1_38merge_sort_block_merge_config_selectorIbiEEZZNS1_27merge_sort_block_merge_implIS3_N6thrust23THRUST_200600_302600_NS6detail15normal_iteratorINS8_10device_ptrIbEEEENSA_INSB_IiEEEEjNS1_19radix_merge_compareILb1ELb1EbNS0_19identity_decomposerEEEEE10hipError_tT0_T1_T2_jT3_P12ihipStream_tbPNSt15iterator_traitsISK_E10value_typeEPNSQ_ISL_E10value_typeEPSM_NS1_7vsmem_tEENKUlT_SK_SL_SM_E_clIPbSD_PiSF_EESJ_SZ_SK_SL_SM_EUlSZ_E1_NS1_11comp_targetILNS1_3genE0ELNS1_11target_archE4294967295ELNS1_3gpuE0ELNS1_3repE0EEENS1_36merge_oddeven_config_static_selectorELNS0_4arch9wavefront6targetE1EEEvSL_.kd
    .uniform_work_group_size: 1
    .uses_dynamic_stack: false
    .vgpr_count:     11
    .vgpr_spill_count: 0
    .wavefront_size: 64
  - .agpr_count:     0
    .args:
      - .offset:         0
        .size:           48
        .value_kind:     by_value
    .group_segment_fixed_size: 0
    .kernarg_segment_align: 8
    .kernarg_segment_size: 48
    .language:       OpenCL C
    .language_version:
      - 2
      - 0
    .max_flat_workgroup_size: 256
    .name:           _ZN7rocprim17ROCPRIM_400000_NS6detail17trampoline_kernelINS0_14default_configENS1_38merge_sort_block_merge_config_selectorIbiEEZZNS1_27merge_sort_block_merge_implIS3_N6thrust23THRUST_200600_302600_NS6detail15normal_iteratorINS8_10device_ptrIbEEEENSA_INSB_IiEEEEjNS1_19radix_merge_compareILb1ELb1EbNS0_19identity_decomposerEEEEE10hipError_tT0_T1_T2_jT3_P12ihipStream_tbPNSt15iterator_traitsISK_E10value_typeEPNSQ_ISL_E10value_typeEPSM_NS1_7vsmem_tEENKUlT_SK_SL_SM_E_clIPbSD_PiSF_EESJ_SZ_SK_SL_SM_EUlSZ_E1_NS1_11comp_targetILNS1_3genE10ELNS1_11target_archE1201ELNS1_3gpuE5ELNS1_3repE0EEENS1_36merge_oddeven_config_static_selectorELNS0_4arch9wavefront6targetE1EEEvSL_
    .private_segment_fixed_size: 0
    .sgpr_count:     6
    .sgpr_spill_count: 0
    .symbol:         _ZN7rocprim17ROCPRIM_400000_NS6detail17trampoline_kernelINS0_14default_configENS1_38merge_sort_block_merge_config_selectorIbiEEZZNS1_27merge_sort_block_merge_implIS3_N6thrust23THRUST_200600_302600_NS6detail15normal_iteratorINS8_10device_ptrIbEEEENSA_INSB_IiEEEEjNS1_19radix_merge_compareILb1ELb1EbNS0_19identity_decomposerEEEEE10hipError_tT0_T1_T2_jT3_P12ihipStream_tbPNSt15iterator_traitsISK_E10value_typeEPNSQ_ISL_E10value_typeEPSM_NS1_7vsmem_tEENKUlT_SK_SL_SM_E_clIPbSD_PiSF_EESJ_SZ_SK_SL_SM_EUlSZ_E1_NS1_11comp_targetILNS1_3genE10ELNS1_11target_archE1201ELNS1_3gpuE5ELNS1_3repE0EEENS1_36merge_oddeven_config_static_selectorELNS0_4arch9wavefront6targetE1EEEvSL_.kd
    .uniform_work_group_size: 1
    .uses_dynamic_stack: false
    .vgpr_count:     0
    .vgpr_spill_count: 0
    .wavefront_size: 64
  - .agpr_count:     0
    .args:
      - .offset:         0
        .size:           48
        .value_kind:     by_value
    .group_segment_fixed_size: 0
    .kernarg_segment_align: 8
    .kernarg_segment_size: 48
    .language:       OpenCL C
    .language_version:
      - 2
      - 0
    .max_flat_workgroup_size: 256
    .name:           _ZN7rocprim17ROCPRIM_400000_NS6detail17trampoline_kernelINS0_14default_configENS1_38merge_sort_block_merge_config_selectorIbiEEZZNS1_27merge_sort_block_merge_implIS3_N6thrust23THRUST_200600_302600_NS6detail15normal_iteratorINS8_10device_ptrIbEEEENSA_INSB_IiEEEEjNS1_19radix_merge_compareILb1ELb1EbNS0_19identity_decomposerEEEEE10hipError_tT0_T1_T2_jT3_P12ihipStream_tbPNSt15iterator_traitsISK_E10value_typeEPNSQ_ISL_E10value_typeEPSM_NS1_7vsmem_tEENKUlT_SK_SL_SM_E_clIPbSD_PiSF_EESJ_SZ_SK_SL_SM_EUlSZ_E1_NS1_11comp_targetILNS1_3genE5ELNS1_11target_archE942ELNS1_3gpuE9ELNS1_3repE0EEENS1_36merge_oddeven_config_static_selectorELNS0_4arch9wavefront6targetE1EEEvSL_
    .private_segment_fixed_size: 0
    .sgpr_count:     6
    .sgpr_spill_count: 0
    .symbol:         _ZN7rocprim17ROCPRIM_400000_NS6detail17trampoline_kernelINS0_14default_configENS1_38merge_sort_block_merge_config_selectorIbiEEZZNS1_27merge_sort_block_merge_implIS3_N6thrust23THRUST_200600_302600_NS6detail15normal_iteratorINS8_10device_ptrIbEEEENSA_INSB_IiEEEEjNS1_19radix_merge_compareILb1ELb1EbNS0_19identity_decomposerEEEEE10hipError_tT0_T1_T2_jT3_P12ihipStream_tbPNSt15iterator_traitsISK_E10value_typeEPNSQ_ISL_E10value_typeEPSM_NS1_7vsmem_tEENKUlT_SK_SL_SM_E_clIPbSD_PiSF_EESJ_SZ_SK_SL_SM_EUlSZ_E1_NS1_11comp_targetILNS1_3genE5ELNS1_11target_archE942ELNS1_3gpuE9ELNS1_3repE0EEENS1_36merge_oddeven_config_static_selectorELNS0_4arch9wavefront6targetE1EEEvSL_.kd
    .uniform_work_group_size: 1
    .uses_dynamic_stack: false
    .vgpr_count:     0
    .vgpr_spill_count: 0
    .wavefront_size: 64
  - .agpr_count:     0
    .args:
      - .offset:         0
        .size:           48
        .value_kind:     by_value
    .group_segment_fixed_size: 0
    .kernarg_segment_align: 8
    .kernarg_segment_size: 48
    .language:       OpenCL C
    .language_version:
      - 2
      - 0
    .max_flat_workgroup_size: 256
    .name:           _ZN7rocprim17ROCPRIM_400000_NS6detail17trampoline_kernelINS0_14default_configENS1_38merge_sort_block_merge_config_selectorIbiEEZZNS1_27merge_sort_block_merge_implIS3_N6thrust23THRUST_200600_302600_NS6detail15normal_iteratorINS8_10device_ptrIbEEEENSA_INSB_IiEEEEjNS1_19radix_merge_compareILb1ELb1EbNS0_19identity_decomposerEEEEE10hipError_tT0_T1_T2_jT3_P12ihipStream_tbPNSt15iterator_traitsISK_E10value_typeEPNSQ_ISL_E10value_typeEPSM_NS1_7vsmem_tEENKUlT_SK_SL_SM_E_clIPbSD_PiSF_EESJ_SZ_SK_SL_SM_EUlSZ_E1_NS1_11comp_targetILNS1_3genE4ELNS1_11target_archE910ELNS1_3gpuE8ELNS1_3repE0EEENS1_36merge_oddeven_config_static_selectorELNS0_4arch9wavefront6targetE1EEEvSL_
    .private_segment_fixed_size: 0
    .sgpr_count:     6
    .sgpr_spill_count: 0
    .symbol:         _ZN7rocprim17ROCPRIM_400000_NS6detail17trampoline_kernelINS0_14default_configENS1_38merge_sort_block_merge_config_selectorIbiEEZZNS1_27merge_sort_block_merge_implIS3_N6thrust23THRUST_200600_302600_NS6detail15normal_iteratorINS8_10device_ptrIbEEEENSA_INSB_IiEEEEjNS1_19radix_merge_compareILb1ELb1EbNS0_19identity_decomposerEEEEE10hipError_tT0_T1_T2_jT3_P12ihipStream_tbPNSt15iterator_traitsISK_E10value_typeEPNSQ_ISL_E10value_typeEPSM_NS1_7vsmem_tEENKUlT_SK_SL_SM_E_clIPbSD_PiSF_EESJ_SZ_SK_SL_SM_EUlSZ_E1_NS1_11comp_targetILNS1_3genE4ELNS1_11target_archE910ELNS1_3gpuE8ELNS1_3repE0EEENS1_36merge_oddeven_config_static_selectorELNS0_4arch9wavefront6targetE1EEEvSL_.kd
    .uniform_work_group_size: 1
    .uses_dynamic_stack: false
    .vgpr_count:     0
    .vgpr_spill_count: 0
    .wavefront_size: 64
  - .agpr_count:     0
    .args:
      - .offset:         0
        .size:           48
        .value_kind:     by_value
    .group_segment_fixed_size: 0
    .kernarg_segment_align: 8
    .kernarg_segment_size: 48
    .language:       OpenCL C
    .language_version:
      - 2
      - 0
    .max_flat_workgroup_size: 256
    .name:           _ZN7rocprim17ROCPRIM_400000_NS6detail17trampoline_kernelINS0_14default_configENS1_38merge_sort_block_merge_config_selectorIbiEEZZNS1_27merge_sort_block_merge_implIS3_N6thrust23THRUST_200600_302600_NS6detail15normal_iteratorINS8_10device_ptrIbEEEENSA_INSB_IiEEEEjNS1_19radix_merge_compareILb1ELb1EbNS0_19identity_decomposerEEEEE10hipError_tT0_T1_T2_jT3_P12ihipStream_tbPNSt15iterator_traitsISK_E10value_typeEPNSQ_ISL_E10value_typeEPSM_NS1_7vsmem_tEENKUlT_SK_SL_SM_E_clIPbSD_PiSF_EESJ_SZ_SK_SL_SM_EUlSZ_E1_NS1_11comp_targetILNS1_3genE3ELNS1_11target_archE908ELNS1_3gpuE7ELNS1_3repE0EEENS1_36merge_oddeven_config_static_selectorELNS0_4arch9wavefront6targetE1EEEvSL_
    .private_segment_fixed_size: 0
    .sgpr_count:     6
    .sgpr_spill_count: 0
    .symbol:         _ZN7rocprim17ROCPRIM_400000_NS6detail17trampoline_kernelINS0_14default_configENS1_38merge_sort_block_merge_config_selectorIbiEEZZNS1_27merge_sort_block_merge_implIS3_N6thrust23THRUST_200600_302600_NS6detail15normal_iteratorINS8_10device_ptrIbEEEENSA_INSB_IiEEEEjNS1_19radix_merge_compareILb1ELb1EbNS0_19identity_decomposerEEEEE10hipError_tT0_T1_T2_jT3_P12ihipStream_tbPNSt15iterator_traitsISK_E10value_typeEPNSQ_ISL_E10value_typeEPSM_NS1_7vsmem_tEENKUlT_SK_SL_SM_E_clIPbSD_PiSF_EESJ_SZ_SK_SL_SM_EUlSZ_E1_NS1_11comp_targetILNS1_3genE3ELNS1_11target_archE908ELNS1_3gpuE7ELNS1_3repE0EEENS1_36merge_oddeven_config_static_selectorELNS0_4arch9wavefront6targetE1EEEvSL_.kd
    .uniform_work_group_size: 1
    .uses_dynamic_stack: false
    .vgpr_count:     0
    .vgpr_spill_count: 0
    .wavefront_size: 64
  - .agpr_count:     0
    .args:
      - .offset:         0
        .size:           48
        .value_kind:     by_value
    .group_segment_fixed_size: 0
    .kernarg_segment_align: 8
    .kernarg_segment_size: 48
    .language:       OpenCL C
    .language_version:
      - 2
      - 0
    .max_flat_workgroup_size: 256
    .name:           _ZN7rocprim17ROCPRIM_400000_NS6detail17trampoline_kernelINS0_14default_configENS1_38merge_sort_block_merge_config_selectorIbiEEZZNS1_27merge_sort_block_merge_implIS3_N6thrust23THRUST_200600_302600_NS6detail15normal_iteratorINS8_10device_ptrIbEEEENSA_INSB_IiEEEEjNS1_19radix_merge_compareILb1ELb1EbNS0_19identity_decomposerEEEEE10hipError_tT0_T1_T2_jT3_P12ihipStream_tbPNSt15iterator_traitsISK_E10value_typeEPNSQ_ISL_E10value_typeEPSM_NS1_7vsmem_tEENKUlT_SK_SL_SM_E_clIPbSD_PiSF_EESJ_SZ_SK_SL_SM_EUlSZ_E1_NS1_11comp_targetILNS1_3genE2ELNS1_11target_archE906ELNS1_3gpuE6ELNS1_3repE0EEENS1_36merge_oddeven_config_static_selectorELNS0_4arch9wavefront6targetE1EEEvSL_
    .private_segment_fixed_size: 0
    .sgpr_count:     6
    .sgpr_spill_count: 0
    .symbol:         _ZN7rocprim17ROCPRIM_400000_NS6detail17trampoline_kernelINS0_14default_configENS1_38merge_sort_block_merge_config_selectorIbiEEZZNS1_27merge_sort_block_merge_implIS3_N6thrust23THRUST_200600_302600_NS6detail15normal_iteratorINS8_10device_ptrIbEEEENSA_INSB_IiEEEEjNS1_19radix_merge_compareILb1ELb1EbNS0_19identity_decomposerEEEEE10hipError_tT0_T1_T2_jT3_P12ihipStream_tbPNSt15iterator_traitsISK_E10value_typeEPNSQ_ISL_E10value_typeEPSM_NS1_7vsmem_tEENKUlT_SK_SL_SM_E_clIPbSD_PiSF_EESJ_SZ_SK_SL_SM_EUlSZ_E1_NS1_11comp_targetILNS1_3genE2ELNS1_11target_archE906ELNS1_3gpuE6ELNS1_3repE0EEENS1_36merge_oddeven_config_static_selectorELNS0_4arch9wavefront6targetE1EEEvSL_.kd
    .uniform_work_group_size: 1
    .uses_dynamic_stack: false
    .vgpr_count:     0
    .vgpr_spill_count: 0
    .wavefront_size: 64
  - .agpr_count:     0
    .args:
      - .offset:         0
        .size:           48
        .value_kind:     by_value
    .group_segment_fixed_size: 0
    .kernarg_segment_align: 8
    .kernarg_segment_size: 48
    .language:       OpenCL C
    .language_version:
      - 2
      - 0
    .max_flat_workgroup_size: 256
    .name:           _ZN7rocprim17ROCPRIM_400000_NS6detail17trampoline_kernelINS0_14default_configENS1_38merge_sort_block_merge_config_selectorIbiEEZZNS1_27merge_sort_block_merge_implIS3_N6thrust23THRUST_200600_302600_NS6detail15normal_iteratorINS8_10device_ptrIbEEEENSA_INSB_IiEEEEjNS1_19radix_merge_compareILb1ELb1EbNS0_19identity_decomposerEEEEE10hipError_tT0_T1_T2_jT3_P12ihipStream_tbPNSt15iterator_traitsISK_E10value_typeEPNSQ_ISL_E10value_typeEPSM_NS1_7vsmem_tEENKUlT_SK_SL_SM_E_clIPbSD_PiSF_EESJ_SZ_SK_SL_SM_EUlSZ_E1_NS1_11comp_targetILNS1_3genE9ELNS1_11target_archE1100ELNS1_3gpuE3ELNS1_3repE0EEENS1_36merge_oddeven_config_static_selectorELNS0_4arch9wavefront6targetE1EEEvSL_
    .private_segment_fixed_size: 0
    .sgpr_count:     6
    .sgpr_spill_count: 0
    .symbol:         _ZN7rocprim17ROCPRIM_400000_NS6detail17trampoline_kernelINS0_14default_configENS1_38merge_sort_block_merge_config_selectorIbiEEZZNS1_27merge_sort_block_merge_implIS3_N6thrust23THRUST_200600_302600_NS6detail15normal_iteratorINS8_10device_ptrIbEEEENSA_INSB_IiEEEEjNS1_19radix_merge_compareILb1ELb1EbNS0_19identity_decomposerEEEEE10hipError_tT0_T1_T2_jT3_P12ihipStream_tbPNSt15iterator_traitsISK_E10value_typeEPNSQ_ISL_E10value_typeEPSM_NS1_7vsmem_tEENKUlT_SK_SL_SM_E_clIPbSD_PiSF_EESJ_SZ_SK_SL_SM_EUlSZ_E1_NS1_11comp_targetILNS1_3genE9ELNS1_11target_archE1100ELNS1_3gpuE3ELNS1_3repE0EEENS1_36merge_oddeven_config_static_selectorELNS0_4arch9wavefront6targetE1EEEvSL_.kd
    .uniform_work_group_size: 1
    .uses_dynamic_stack: false
    .vgpr_count:     0
    .vgpr_spill_count: 0
    .wavefront_size: 64
  - .agpr_count:     0
    .args:
      - .offset:         0
        .size:           48
        .value_kind:     by_value
    .group_segment_fixed_size: 0
    .kernarg_segment_align: 8
    .kernarg_segment_size: 48
    .language:       OpenCL C
    .language_version:
      - 2
      - 0
    .max_flat_workgroup_size: 256
    .name:           _ZN7rocprim17ROCPRIM_400000_NS6detail17trampoline_kernelINS0_14default_configENS1_38merge_sort_block_merge_config_selectorIbiEEZZNS1_27merge_sort_block_merge_implIS3_N6thrust23THRUST_200600_302600_NS6detail15normal_iteratorINS8_10device_ptrIbEEEENSA_INSB_IiEEEEjNS1_19radix_merge_compareILb1ELb1EbNS0_19identity_decomposerEEEEE10hipError_tT0_T1_T2_jT3_P12ihipStream_tbPNSt15iterator_traitsISK_E10value_typeEPNSQ_ISL_E10value_typeEPSM_NS1_7vsmem_tEENKUlT_SK_SL_SM_E_clIPbSD_PiSF_EESJ_SZ_SK_SL_SM_EUlSZ_E1_NS1_11comp_targetILNS1_3genE8ELNS1_11target_archE1030ELNS1_3gpuE2ELNS1_3repE0EEENS1_36merge_oddeven_config_static_selectorELNS0_4arch9wavefront6targetE1EEEvSL_
    .private_segment_fixed_size: 0
    .sgpr_count:     6
    .sgpr_spill_count: 0
    .symbol:         _ZN7rocprim17ROCPRIM_400000_NS6detail17trampoline_kernelINS0_14default_configENS1_38merge_sort_block_merge_config_selectorIbiEEZZNS1_27merge_sort_block_merge_implIS3_N6thrust23THRUST_200600_302600_NS6detail15normal_iteratorINS8_10device_ptrIbEEEENSA_INSB_IiEEEEjNS1_19radix_merge_compareILb1ELb1EbNS0_19identity_decomposerEEEEE10hipError_tT0_T1_T2_jT3_P12ihipStream_tbPNSt15iterator_traitsISK_E10value_typeEPNSQ_ISL_E10value_typeEPSM_NS1_7vsmem_tEENKUlT_SK_SL_SM_E_clIPbSD_PiSF_EESJ_SZ_SK_SL_SM_EUlSZ_E1_NS1_11comp_targetILNS1_3genE8ELNS1_11target_archE1030ELNS1_3gpuE2ELNS1_3repE0EEENS1_36merge_oddeven_config_static_selectorELNS0_4arch9wavefront6targetE1EEEvSL_.kd
    .uniform_work_group_size: 1
    .uses_dynamic_stack: false
    .vgpr_count:     0
    .vgpr_spill_count: 0
    .wavefront_size: 64
  - .agpr_count:     0
    .args:
      - .offset:         0
        .size:           40
        .value_kind:     by_value
    .group_segment_fixed_size: 128
    .kernarg_segment_align: 8
    .kernarg_segment_size: 40
    .language:       OpenCL C
    .language_version:
      - 2
      - 0
    .max_flat_workgroup_size: 128
    .name:           _ZN7rocprim17ROCPRIM_400000_NS6detail17trampoline_kernelINS0_14default_configENS1_38merge_sort_block_merge_config_selectorIbiEEZZNS1_27merge_sort_block_merge_implIS3_N6thrust23THRUST_200600_302600_NS6detail15normal_iteratorINS8_10device_ptrIbEEEENSA_INSB_IiEEEEjNS1_19radix_merge_compareILb1ELb1EbNS0_19identity_decomposerEEEEE10hipError_tT0_T1_T2_jT3_P12ihipStream_tbPNSt15iterator_traitsISK_E10value_typeEPNSQ_ISL_E10value_typeEPSM_NS1_7vsmem_tEENKUlT_SK_SL_SM_E_clISD_PbSF_PiEESJ_SZ_SK_SL_SM_EUlSZ_E_NS1_11comp_targetILNS1_3genE0ELNS1_11target_archE4294967295ELNS1_3gpuE0ELNS1_3repE0EEENS1_48merge_mergepath_partition_config_static_selectorELNS0_4arch9wavefront6targetE1EEEvSL_
    .private_segment_fixed_size: 0
    .sgpr_count:     15
    .sgpr_spill_count: 0
    .symbol:         _ZN7rocprim17ROCPRIM_400000_NS6detail17trampoline_kernelINS0_14default_configENS1_38merge_sort_block_merge_config_selectorIbiEEZZNS1_27merge_sort_block_merge_implIS3_N6thrust23THRUST_200600_302600_NS6detail15normal_iteratorINS8_10device_ptrIbEEEENSA_INSB_IiEEEEjNS1_19radix_merge_compareILb1ELb1EbNS0_19identity_decomposerEEEEE10hipError_tT0_T1_T2_jT3_P12ihipStream_tbPNSt15iterator_traitsISK_E10value_typeEPNSQ_ISL_E10value_typeEPSM_NS1_7vsmem_tEENKUlT_SK_SL_SM_E_clISD_PbSF_PiEESJ_SZ_SK_SL_SM_EUlSZ_E_NS1_11comp_targetILNS1_3genE0ELNS1_11target_archE4294967295ELNS1_3gpuE0ELNS1_3repE0EEENS1_48merge_mergepath_partition_config_static_selectorELNS0_4arch9wavefront6targetE1EEEvSL_.kd
    .uniform_work_group_size: 1
    .uses_dynamic_stack: false
    .vgpr_count:     18
    .vgpr_spill_count: 0
    .wavefront_size: 64
  - .agpr_count:     0
    .args:
      - .offset:         0
        .size:           40
        .value_kind:     by_value
    .group_segment_fixed_size: 0
    .kernarg_segment_align: 8
    .kernarg_segment_size: 40
    .language:       OpenCL C
    .language_version:
      - 2
      - 0
    .max_flat_workgroup_size: 128
    .name:           _ZN7rocprim17ROCPRIM_400000_NS6detail17trampoline_kernelINS0_14default_configENS1_38merge_sort_block_merge_config_selectorIbiEEZZNS1_27merge_sort_block_merge_implIS3_N6thrust23THRUST_200600_302600_NS6detail15normal_iteratorINS8_10device_ptrIbEEEENSA_INSB_IiEEEEjNS1_19radix_merge_compareILb1ELb1EbNS0_19identity_decomposerEEEEE10hipError_tT0_T1_T2_jT3_P12ihipStream_tbPNSt15iterator_traitsISK_E10value_typeEPNSQ_ISL_E10value_typeEPSM_NS1_7vsmem_tEENKUlT_SK_SL_SM_E_clISD_PbSF_PiEESJ_SZ_SK_SL_SM_EUlSZ_E_NS1_11comp_targetILNS1_3genE10ELNS1_11target_archE1201ELNS1_3gpuE5ELNS1_3repE0EEENS1_48merge_mergepath_partition_config_static_selectorELNS0_4arch9wavefront6targetE1EEEvSL_
    .private_segment_fixed_size: 0
    .sgpr_count:     6
    .sgpr_spill_count: 0
    .symbol:         _ZN7rocprim17ROCPRIM_400000_NS6detail17trampoline_kernelINS0_14default_configENS1_38merge_sort_block_merge_config_selectorIbiEEZZNS1_27merge_sort_block_merge_implIS3_N6thrust23THRUST_200600_302600_NS6detail15normal_iteratorINS8_10device_ptrIbEEEENSA_INSB_IiEEEEjNS1_19radix_merge_compareILb1ELb1EbNS0_19identity_decomposerEEEEE10hipError_tT0_T1_T2_jT3_P12ihipStream_tbPNSt15iterator_traitsISK_E10value_typeEPNSQ_ISL_E10value_typeEPSM_NS1_7vsmem_tEENKUlT_SK_SL_SM_E_clISD_PbSF_PiEESJ_SZ_SK_SL_SM_EUlSZ_E_NS1_11comp_targetILNS1_3genE10ELNS1_11target_archE1201ELNS1_3gpuE5ELNS1_3repE0EEENS1_48merge_mergepath_partition_config_static_selectorELNS0_4arch9wavefront6targetE1EEEvSL_.kd
    .uniform_work_group_size: 1
    .uses_dynamic_stack: false
    .vgpr_count:     0
    .vgpr_spill_count: 0
    .wavefront_size: 64
  - .agpr_count:     0
    .args:
      - .offset:         0
        .size:           40
        .value_kind:     by_value
    .group_segment_fixed_size: 0
    .kernarg_segment_align: 8
    .kernarg_segment_size: 40
    .language:       OpenCL C
    .language_version:
      - 2
      - 0
    .max_flat_workgroup_size: 128
    .name:           _ZN7rocprim17ROCPRIM_400000_NS6detail17trampoline_kernelINS0_14default_configENS1_38merge_sort_block_merge_config_selectorIbiEEZZNS1_27merge_sort_block_merge_implIS3_N6thrust23THRUST_200600_302600_NS6detail15normal_iteratorINS8_10device_ptrIbEEEENSA_INSB_IiEEEEjNS1_19radix_merge_compareILb1ELb1EbNS0_19identity_decomposerEEEEE10hipError_tT0_T1_T2_jT3_P12ihipStream_tbPNSt15iterator_traitsISK_E10value_typeEPNSQ_ISL_E10value_typeEPSM_NS1_7vsmem_tEENKUlT_SK_SL_SM_E_clISD_PbSF_PiEESJ_SZ_SK_SL_SM_EUlSZ_E_NS1_11comp_targetILNS1_3genE5ELNS1_11target_archE942ELNS1_3gpuE9ELNS1_3repE0EEENS1_48merge_mergepath_partition_config_static_selectorELNS0_4arch9wavefront6targetE1EEEvSL_
    .private_segment_fixed_size: 0
    .sgpr_count:     6
    .sgpr_spill_count: 0
    .symbol:         _ZN7rocprim17ROCPRIM_400000_NS6detail17trampoline_kernelINS0_14default_configENS1_38merge_sort_block_merge_config_selectorIbiEEZZNS1_27merge_sort_block_merge_implIS3_N6thrust23THRUST_200600_302600_NS6detail15normal_iteratorINS8_10device_ptrIbEEEENSA_INSB_IiEEEEjNS1_19radix_merge_compareILb1ELb1EbNS0_19identity_decomposerEEEEE10hipError_tT0_T1_T2_jT3_P12ihipStream_tbPNSt15iterator_traitsISK_E10value_typeEPNSQ_ISL_E10value_typeEPSM_NS1_7vsmem_tEENKUlT_SK_SL_SM_E_clISD_PbSF_PiEESJ_SZ_SK_SL_SM_EUlSZ_E_NS1_11comp_targetILNS1_3genE5ELNS1_11target_archE942ELNS1_3gpuE9ELNS1_3repE0EEENS1_48merge_mergepath_partition_config_static_selectorELNS0_4arch9wavefront6targetE1EEEvSL_.kd
    .uniform_work_group_size: 1
    .uses_dynamic_stack: false
    .vgpr_count:     0
    .vgpr_spill_count: 0
    .wavefront_size: 64
  - .agpr_count:     0
    .args:
      - .offset:         0
        .size:           40
        .value_kind:     by_value
    .group_segment_fixed_size: 0
    .kernarg_segment_align: 8
    .kernarg_segment_size: 40
    .language:       OpenCL C
    .language_version:
      - 2
      - 0
    .max_flat_workgroup_size: 128
    .name:           _ZN7rocprim17ROCPRIM_400000_NS6detail17trampoline_kernelINS0_14default_configENS1_38merge_sort_block_merge_config_selectorIbiEEZZNS1_27merge_sort_block_merge_implIS3_N6thrust23THRUST_200600_302600_NS6detail15normal_iteratorINS8_10device_ptrIbEEEENSA_INSB_IiEEEEjNS1_19radix_merge_compareILb1ELb1EbNS0_19identity_decomposerEEEEE10hipError_tT0_T1_T2_jT3_P12ihipStream_tbPNSt15iterator_traitsISK_E10value_typeEPNSQ_ISL_E10value_typeEPSM_NS1_7vsmem_tEENKUlT_SK_SL_SM_E_clISD_PbSF_PiEESJ_SZ_SK_SL_SM_EUlSZ_E_NS1_11comp_targetILNS1_3genE4ELNS1_11target_archE910ELNS1_3gpuE8ELNS1_3repE0EEENS1_48merge_mergepath_partition_config_static_selectorELNS0_4arch9wavefront6targetE1EEEvSL_
    .private_segment_fixed_size: 0
    .sgpr_count:     6
    .sgpr_spill_count: 0
    .symbol:         _ZN7rocprim17ROCPRIM_400000_NS6detail17trampoline_kernelINS0_14default_configENS1_38merge_sort_block_merge_config_selectorIbiEEZZNS1_27merge_sort_block_merge_implIS3_N6thrust23THRUST_200600_302600_NS6detail15normal_iteratorINS8_10device_ptrIbEEEENSA_INSB_IiEEEEjNS1_19radix_merge_compareILb1ELb1EbNS0_19identity_decomposerEEEEE10hipError_tT0_T1_T2_jT3_P12ihipStream_tbPNSt15iterator_traitsISK_E10value_typeEPNSQ_ISL_E10value_typeEPSM_NS1_7vsmem_tEENKUlT_SK_SL_SM_E_clISD_PbSF_PiEESJ_SZ_SK_SL_SM_EUlSZ_E_NS1_11comp_targetILNS1_3genE4ELNS1_11target_archE910ELNS1_3gpuE8ELNS1_3repE0EEENS1_48merge_mergepath_partition_config_static_selectorELNS0_4arch9wavefront6targetE1EEEvSL_.kd
    .uniform_work_group_size: 1
    .uses_dynamic_stack: false
    .vgpr_count:     0
    .vgpr_spill_count: 0
    .wavefront_size: 64
  - .agpr_count:     0
    .args:
      - .offset:         0
        .size:           40
        .value_kind:     by_value
    .group_segment_fixed_size: 0
    .kernarg_segment_align: 8
    .kernarg_segment_size: 40
    .language:       OpenCL C
    .language_version:
      - 2
      - 0
    .max_flat_workgroup_size: 128
    .name:           _ZN7rocprim17ROCPRIM_400000_NS6detail17trampoline_kernelINS0_14default_configENS1_38merge_sort_block_merge_config_selectorIbiEEZZNS1_27merge_sort_block_merge_implIS3_N6thrust23THRUST_200600_302600_NS6detail15normal_iteratorINS8_10device_ptrIbEEEENSA_INSB_IiEEEEjNS1_19radix_merge_compareILb1ELb1EbNS0_19identity_decomposerEEEEE10hipError_tT0_T1_T2_jT3_P12ihipStream_tbPNSt15iterator_traitsISK_E10value_typeEPNSQ_ISL_E10value_typeEPSM_NS1_7vsmem_tEENKUlT_SK_SL_SM_E_clISD_PbSF_PiEESJ_SZ_SK_SL_SM_EUlSZ_E_NS1_11comp_targetILNS1_3genE3ELNS1_11target_archE908ELNS1_3gpuE7ELNS1_3repE0EEENS1_48merge_mergepath_partition_config_static_selectorELNS0_4arch9wavefront6targetE1EEEvSL_
    .private_segment_fixed_size: 0
    .sgpr_count:     6
    .sgpr_spill_count: 0
    .symbol:         _ZN7rocprim17ROCPRIM_400000_NS6detail17trampoline_kernelINS0_14default_configENS1_38merge_sort_block_merge_config_selectorIbiEEZZNS1_27merge_sort_block_merge_implIS3_N6thrust23THRUST_200600_302600_NS6detail15normal_iteratorINS8_10device_ptrIbEEEENSA_INSB_IiEEEEjNS1_19radix_merge_compareILb1ELb1EbNS0_19identity_decomposerEEEEE10hipError_tT0_T1_T2_jT3_P12ihipStream_tbPNSt15iterator_traitsISK_E10value_typeEPNSQ_ISL_E10value_typeEPSM_NS1_7vsmem_tEENKUlT_SK_SL_SM_E_clISD_PbSF_PiEESJ_SZ_SK_SL_SM_EUlSZ_E_NS1_11comp_targetILNS1_3genE3ELNS1_11target_archE908ELNS1_3gpuE7ELNS1_3repE0EEENS1_48merge_mergepath_partition_config_static_selectorELNS0_4arch9wavefront6targetE1EEEvSL_.kd
    .uniform_work_group_size: 1
    .uses_dynamic_stack: false
    .vgpr_count:     0
    .vgpr_spill_count: 0
    .wavefront_size: 64
  - .agpr_count:     0
    .args:
      - .offset:         0
        .size:           40
        .value_kind:     by_value
    .group_segment_fixed_size: 0
    .kernarg_segment_align: 8
    .kernarg_segment_size: 40
    .language:       OpenCL C
    .language_version:
      - 2
      - 0
    .max_flat_workgroup_size: 128
    .name:           _ZN7rocprim17ROCPRIM_400000_NS6detail17trampoline_kernelINS0_14default_configENS1_38merge_sort_block_merge_config_selectorIbiEEZZNS1_27merge_sort_block_merge_implIS3_N6thrust23THRUST_200600_302600_NS6detail15normal_iteratorINS8_10device_ptrIbEEEENSA_INSB_IiEEEEjNS1_19radix_merge_compareILb1ELb1EbNS0_19identity_decomposerEEEEE10hipError_tT0_T1_T2_jT3_P12ihipStream_tbPNSt15iterator_traitsISK_E10value_typeEPNSQ_ISL_E10value_typeEPSM_NS1_7vsmem_tEENKUlT_SK_SL_SM_E_clISD_PbSF_PiEESJ_SZ_SK_SL_SM_EUlSZ_E_NS1_11comp_targetILNS1_3genE2ELNS1_11target_archE906ELNS1_3gpuE6ELNS1_3repE0EEENS1_48merge_mergepath_partition_config_static_selectorELNS0_4arch9wavefront6targetE1EEEvSL_
    .private_segment_fixed_size: 0
    .sgpr_count:     6
    .sgpr_spill_count: 0
    .symbol:         _ZN7rocprim17ROCPRIM_400000_NS6detail17trampoline_kernelINS0_14default_configENS1_38merge_sort_block_merge_config_selectorIbiEEZZNS1_27merge_sort_block_merge_implIS3_N6thrust23THRUST_200600_302600_NS6detail15normal_iteratorINS8_10device_ptrIbEEEENSA_INSB_IiEEEEjNS1_19radix_merge_compareILb1ELb1EbNS0_19identity_decomposerEEEEE10hipError_tT0_T1_T2_jT3_P12ihipStream_tbPNSt15iterator_traitsISK_E10value_typeEPNSQ_ISL_E10value_typeEPSM_NS1_7vsmem_tEENKUlT_SK_SL_SM_E_clISD_PbSF_PiEESJ_SZ_SK_SL_SM_EUlSZ_E_NS1_11comp_targetILNS1_3genE2ELNS1_11target_archE906ELNS1_3gpuE6ELNS1_3repE0EEENS1_48merge_mergepath_partition_config_static_selectorELNS0_4arch9wavefront6targetE1EEEvSL_.kd
    .uniform_work_group_size: 1
    .uses_dynamic_stack: false
    .vgpr_count:     0
    .vgpr_spill_count: 0
    .wavefront_size: 64
  - .agpr_count:     0
    .args:
      - .offset:         0
        .size:           40
        .value_kind:     by_value
    .group_segment_fixed_size: 0
    .kernarg_segment_align: 8
    .kernarg_segment_size: 40
    .language:       OpenCL C
    .language_version:
      - 2
      - 0
    .max_flat_workgroup_size: 128
    .name:           _ZN7rocprim17ROCPRIM_400000_NS6detail17trampoline_kernelINS0_14default_configENS1_38merge_sort_block_merge_config_selectorIbiEEZZNS1_27merge_sort_block_merge_implIS3_N6thrust23THRUST_200600_302600_NS6detail15normal_iteratorINS8_10device_ptrIbEEEENSA_INSB_IiEEEEjNS1_19radix_merge_compareILb1ELb1EbNS0_19identity_decomposerEEEEE10hipError_tT0_T1_T2_jT3_P12ihipStream_tbPNSt15iterator_traitsISK_E10value_typeEPNSQ_ISL_E10value_typeEPSM_NS1_7vsmem_tEENKUlT_SK_SL_SM_E_clISD_PbSF_PiEESJ_SZ_SK_SL_SM_EUlSZ_E_NS1_11comp_targetILNS1_3genE9ELNS1_11target_archE1100ELNS1_3gpuE3ELNS1_3repE0EEENS1_48merge_mergepath_partition_config_static_selectorELNS0_4arch9wavefront6targetE1EEEvSL_
    .private_segment_fixed_size: 0
    .sgpr_count:     6
    .sgpr_spill_count: 0
    .symbol:         _ZN7rocprim17ROCPRIM_400000_NS6detail17trampoline_kernelINS0_14default_configENS1_38merge_sort_block_merge_config_selectorIbiEEZZNS1_27merge_sort_block_merge_implIS3_N6thrust23THRUST_200600_302600_NS6detail15normal_iteratorINS8_10device_ptrIbEEEENSA_INSB_IiEEEEjNS1_19radix_merge_compareILb1ELb1EbNS0_19identity_decomposerEEEEE10hipError_tT0_T1_T2_jT3_P12ihipStream_tbPNSt15iterator_traitsISK_E10value_typeEPNSQ_ISL_E10value_typeEPSM_NS1_7vsmem_tEENKUlT_SK_SL_SM_E_clISD_PbSF_PiEESJ_SZ_SK_SL_SM_EUlSZ_E_NS1_11comp_targetILNS1_3genE9ELNS1_11target_archE1100ELNS1_3gpuE3ELNS1_3repE0EEENS1_48merge_mergepath_partition_config_static_selectorELNS0_4arch9wavefront6targetE1EEEvSL_.kd
    .uniform_work_group_size: 1
    .uses_dynamic_stack: false
    .vgpr_count:     0
    .vgpr_spill_count: 0
    .wavefront_size: 64
  - .agpr_count:     0
    .args:
      - .offset:         0
        .size:           40
        .value_kind:     by_value
    .group_segment_fixed_size: 0
    .kernarg_segment_align: 8
    .kernarg_segment_size: 40
    .language:       OpenCL C
    .language_version:
      - 2
      - 0
    .max_flat_workgroup_size: 128
    .name:           _ZN7rocprim17ROCPRIM_400000_NS6detail17trampoline_kernelINS0_14default_configENS1_38merge_sort_block_merge_config_selectorIbiEEZZNS1_27merge_sort_block_merge_implIS3_N6thrust23THRUST_200600_302600_NS6detail15normal_iteratorINS8_10device_ptrIbEEEENSA_INSB_IiEEEEjNS1_19radix_merge_compareILb1ELb1EbNS0_19identity_decomposerEEEEE10hipError_tT0_T1_T2_jT3_P12ihipStream_tbPNSt15iterator_traitsISK_E10value_typeEPNSQ_ISL_E10value_typeEPSM_NS1_7vsmem_tEENKUlT_SK_SL_SM_E_clISD_PbSF_PiEESJ_SZ_SK_SL_SM_EUlSZ_E_NS1_11comp_targetILNS1_3genE8ELNS1_11target_archE1030ELNS1_3gpuE2ELNS1_3repE0EEENS1_48merge_mergepath_partition_config_static_selectorELNS0_4arch9wavefront6targetE1EEEvSL_
    .private_segment_fixed_size: 0
    .sgpr_count:     6
    .sgpr_spill_count: 0
    .symbol:         _ZN7rocprim17ROCPRIM_400000_NS6detail17trampoline_kernelINS0_14default_configENS1_38merge_sort_block_merge_config_selectorIbiEEZZNS1_27merge_sort_block_merge_implIS3_N6thrust23THRUST_200600_302600_NS6detail15normal_iteratorINS8_10device_ptrIbEEEENSA_INSB_IiEEEEjNS1_19radix_merge_compareILb1ELb1EbNS0_19identity_decomposerEEEEE10hipError_tT0_T1_T2_jT3_P12ihipStream_tbPNSt15iterator_traitsISK_E10value_typeEPNSQ_ISL_E10value_typeEPSM_NS1_7vsmem_tEENKUlT_SK_SL_SM_E_clISD_PbSF_PiEESJ_SZ_SK_SL_SM_EUlSZ_E_NS1_11comp_targetILNS1_3genE8ELNS1_11target_archE1030ELNS1_3gpuE2ELNS1_3repE0EEENS1_48merge_mergepath_partition_config_static_selectorELNS0_4arch9wavefront6targetE1EEEvSL_.kd
    .uniform_work_group_size: 1
    .uses_dynamic_stack: false
    .vgpr_count:     0
    .vgpr_spill_count: 0
    .wavefront_size: 64
  - .agpr_count:     0
    .args:
      - .offset:         0
        .size:           64
        .value_kind:     by_value
      - .offset:         64
        .size:           4
        .value_kind:     hidden_block_count_x
      - .offset:         68
        .size:           4
        .value_kind:     hidden_block_count_y
      - .offset:         72
        .size:           4
        .value_kind:     hidden_block_count_z
      - .offset:         76
        .size:           2
        .value_kind:     hidden_group_size_x
      - .offset:         78
        .size:           2
        .value_kind:     hidden_group_size_y
      - .offset:         80
        .size:           2
        .value_kind:     hidden_group_size_z
      - .offset:         82
        .size:           2
        .value_kind:     hidden_remainder_x
      - .offset:         84
        .size:           2
        .value_kind:     hidden_remainder_y
      - .offset:         86
        .size:           2
        .value_kind:     hidden_remainder_z
      - .offset:         104
        .size:           8
        .value_kind:     hidden_global_offset_x
      - .offset:         112
        .size:           8
        .value_kind:     hidden_global_offset_y
      - .offset:         120
        .size:           8
        .value_kind:     hidden_global_offset_z
      - .offset:         128
        .size:           2
        .value_kind:     hidden_grid_dims
    .group_segment_fixed_size: 5248
    .kernarg_segment_align: 8
    .kernarg_segment_size: 320
    .language:       OpenCL C
    .language_version:
      - 2
      - 0
    .max_flat_workgroup_size: 256
    .name:           _ZN7rocprim17ROCPRIM_400000_NS6detail17trampoline_kernelINS0_14default_configENS1_38merge_sort_block_merge_config_selectorIbiEEZZNS1_27merge_sort_block_merge_implIS3_N6thrust23THRUST_200600_302600_NS6detail15normal_iteratorINS8_10device_ptrIbEEEENSA_INSB_IiEEEEjNS1_19radix_merge_compareILb1ELb1EbNS0_19identity_decomposerEEEEE10hipError_tT0_T1_T2_jT3_P12ihipStream_tbPNSt15iterator_traitsISK_E10value_typeEPNSQ_ISL_E10value_typeEPSM_NS1_7vsmem_tEENKUlT_SK_SL_SM_E_clISD_PbSF_PiEESJ_SZ_SK_SL_SM_EUlSZ_E0_NS1_11comp_targetILNS1_3genE0ELNS1_11target_archE4294967295ELNS1_3gpuE0ELNS1_3repE0EEENS1_38merge_mergepath_config_static_selectorELNS0_4arch9wavefront6targetE1EEEvSL_
    .private_segment_fixed_size: 0
    .sgpr_count:     34
    .sgpr_spill_count: 0
    .symbol:         _ZN7rocprim17ROCPRIM_400000_NS6detail17trampoline_kernelINS0_14default_configENS1_38merge_sort_block_merge_config_selectorIbiEEZZNS1_27merge_sort_block_merge_implIS3_N6thrust23THRUST_200600_302600_NS6detail15normal_iteratorINS8_10device_ptrIbEEEENSA_INSB_IiEEEEjNS1_19radix_merge_compareILb1ELb1EbNS0_19identity_decomposerEEEEE10hipError_tT0_T1_T2_jT3_P12ihipStream_tbPNSt15iterator_traitsISK_E10value_typeEPNSQ_ISL_E10value_typeEPSM_NS1_7vsmem_tEENKUlT_SK_SL_SM_E_clISD_PbSF_PiEESJ_SZ_SK_SL_SM_EUlSZ_E0_NS1_11comp_targetILNS1_3genE0ELNS1_11target_archE4294967295ELNS1_3gpuE0ELNS1_3repE0EEENS1_38merge_mergepath_config_static_selectorELNS0_4arch9wavefront6targetE1EEEvSL_.kd
    .uniform_work_group_size: 1
    .uses_dynamic_stack: false
    .vgpr_count:     27
    .vgpr_spill_count: 0
    .wavefront_size: 64
  - .agpr_count:     0
    .args:
      - .offset:         0
        .size:           64
        .value_kind:     by_value
    .group_segment_fixed_size: 0
    .kernarg_segment_align: 8
    .kernarg_segment_size: 64
    .language:       OpenCL C
    .language_version:
      - 2
      - 0
    .max_flat_workgroup_size: 256
    .name:           _ZN7rocprim17ROCPRIM_400000_NS6detail17trampoline_kernelINS0_14default_configENS1_38merge_sort_block_merge_config_selectorIbiEEZZNS1_27merge_sort_block_merge_implIS3_N6thrust23THRUST_200600_302600_NS6detail15normal_iteratorINS8_10device_ptrIbEEEENSA_INSB_IiEEEEjNS1_19radix_merge_compareILb1ELb1EbNS0_19identity_decomposerEEEEE10hipError_tT0_T1_T2_jT3_P12ihipStream_tbPNSt15iterator_traitsISK_E10value_typeEPNSQ_ISL_E10value_typeEPSM_NS1_7vsmem_tEENKUlT_SK_SL_SM_E_clISD_PbSF_PiEESJ_SZ_SK_SL_SM_EUlSZ_E0_NS1_11comp_targetILNS1_3genE10ELNS1_11target_archE1201ELNS1_3gpuE5ELNS1_3repE0EEENS1_38merge_mergepath_config_static_selectorELNS0_4arch9wavefront6targetE1EEEvSL_
    .private_segment_fixed_size: 0
    .sgpr_count:     6
    .sgpr_spill_count: 0
    .symbol:         _ZN7rocprim17ROCPRIM_400000_NS6detail17trampoline_kernelINS0_14default_configENS1_38merge_sort_block_merge_config_selectorIbiEEZZNS1_27merge_sort_block_merge_implIS3_N6thrust23THRUST_200600_302600_NS6detail15normal_iteratorINS8_10device_ptrIbEEEENSA_INSB_IiEEEEjNS1_19radix_merge_compareILb1ELb1EbNS0_19identity_decomposerEEEEE10hipError_tT0_T1_T2_jT3_P12ihipStream_tbPNSt15iterator_traitsISK_E10value_typeEPNSQ_ISL_E10value_typeEPSM_NS1_7vsmem_tEENKUlT_SK_SL_SM_E_clISD_PbSF_PiEESJ_SZ_SK_SL_SM_EUlSZ_E0_NS1_11comp_targetILNS1_3genE10ELNS1_11target_archE1201ELNS1_3gpuE5ELNS1_3repE0EEENS1_38merge_mergepath_config_static_selectorELNS0_4arch9wavefront6targetE1EEEvSL_.kd
    .uniform_work_group_size: 1
    .uses_dynamic_stack: false
    .vgpr_count:     0
    .vgpr_spill_count: 0
    .wavefront_size: 64
  - .agpr_count:     0
    .args:
      - .offset:         0
        .size:           64
        .value_kind:     by_value
    .group_segment_fixed_size: 0
    .kernarg_segment_align: 8
    .kernarg_segment_size: 64
    .language:       OpenCL C
    .language_version:
      - 2
      - 0
    .max_flat_workgroup_size: 128
    .name:           _ZN7rocprim17ROCPRIM_400000_NS6detail17trampoline_kernelINS0_14default_configENS1_38merge_sort_block_merge_config_selectorIbiEEZZNS1_27merge_sort_block_merge_implIS3_N6thrust23THRUST_200600_302600_NS6detail15normal_iteratorINS8_10device_ptrIbEEEENSA_INSB_IiEEEEjNS1_19radix_merge_compareILb1ELb1EbNS0_19identity_decomposerEEEEE10hipError_tT0_T1_T2_jT3_P12ihipStream_tbPNSt15iterator_traitsISK_E10value_typeEPNSQ_ISL_E10value_typeEPSM_NS1_7vsmem_tEENKUlT_SK_SL_SM_E_clISD_PbSF_PiEESJ_SZ_SK_SL_SM_EUlSZ_E0_NS1_11comp_targetILNS1_3genE5ELNS1_11target_archE942ELNS1_3gpuE9ELNS1_3repE0EEENS1_38merge_mergepath_config_static_selectorELNS0_4arch9wavefront6targetE1EEEvSL_
    .private_segment_fixed_size: 0
    .sgpr_count:     6
    .sgpr_spill_count: 0
    .symbol:         _ZN7rocprim17ROCPRIM_400000_NS6detail17trampoline_kernelINS0_14default_configENS1_38merge_sort_block_merge_config_selectorIbiEEZZNS1_27merge_sort_block_merge_implIS3_N6thrust23THRUST_200600_302600_NS6detail15normal_iteratorINS8_10device_ptrIbEEEENSA_INSB_IiEEEEjNS1_19radix_merge_compareILb1ELb1EbNS0_19identity_decomposerEEEEE10hipError_tT0_T1_T2_jT3_P12ihipStream_tbPNSt15iterator_traitsISK_E10value_typeEPNSQ_ISL_E10value_typeEPSM_NS1_7vsmem_tEENKUlT_SK_SL_SM_E_clISD_PbSF_PiEESJ_SZ_SK_SL_SM_EUlSZ_E0_NS1_11comp_targetILNS1_3genE5ELNS1_11target_archE942ELNS1_3gpuE9ELNS1_3repE0EEENS1_38merge_mergepath_config_static_selectorELNS0_4arch9wavefront6targetE1EEEvSL_.kd
    .uniform_work_group_size: 1
    .uses_dynamic_stack: false
    .vgpr_count:     0
    .vgpr_spill_count: 0
    .wavefront_size: 64
  - .agpr_count:     0
    .args:
      - .offset:         0
        .size:           64
        .value_kind:     by_value
    .group_segment_fixed_size: 0
    .kernarg_segment_align: 8
    .kernarg_segment_size: 64
    .language:       OpenCL C
    .language_version:
      - 2
      - 0
    .max_flat_workgroup_size: 128
    .name:           _ZN7rocprim17ROCPRIM_400000_NS6detail17trampoline_kernelINS0_14default_configENS1_38merge_sort_block_merge_config_selectorIbiEEZZNS1_27merge_sort_block_merge_implIS3_N6thrust23THRUST_200600_302600_NS6detail15normal_iteratorINS8_10device_ptrIbEEEENSA_INSB_IiEEEEjNS1_19radix_merge_compareILb1ELb1EbNS0_19identity_decomposerEEEEE10hipError_tT0_T1_T2_jT3_P12ihipStream_tbPNSt15iterator_traitsISK_E10value_typeEPNSQ_ISL_E10value_typeEPSM_NS1_7vsmem_tEENKUlT_SK_SL_SM_E_clISD_PbSF_PiEESJ_SZ_SK_SL_SM_EUlSZ_E0_NS1_11comp_targetILNS1_3genE4ELNS1_11target_archE910ELNS1_3gpuE8ELNS1_3repE0EEENS1_38merge_mergepath_config_static_selectorELNS0_4arch9wavefront6targetE1EEEvSL_
    .private_segment_fixed_size: 0
    .sgpr_count:     6
    .sgpr_spill_count: 0
    .symbol:         _ZN7rocprim17ROCPRIM_400000_NS6detail17trampoline_kernelINS0_14default_configENS1_38merge_sort_block_merge_config_selectorIbiEEZZNS1_27merge_sort_block_merge_implIS3_N6thrust23THRUST_200600_302600_NS6detail15normal_iteratorINS8_10device_ptrIbEEEENSA_INSB_IiEEEEjNS1_19radix_merge_compareILb1ELb1EbNS0_19identity_decomposerEEEEE10hipError_tT0_T1_T2_jT3_P12ihipStream_tbPNSt15iterator_traitsISK_E10value_typeEPNSQ_ISL_E10value_typeEPSM_NS1_7vsmem_tEENKUlT_SK_SL_SM_E_clISD_PbSF_PiEESJ_SZ_SK_SL_SM_EUlSZ_E0_NS1_11comp_targetILNS1_3genE4ELNS1_11target_archE910ELNS1_3gpuE8ELNS1_3repE0EEENS1_38merge_mergepath_config_static_selectorELNS0_4arch9wavefront6targetE1EEEvSL_.kd
    .uniform_work_group_size: 1
    .uses_dynamic_stack: false
    .vgpr_count:     0
    .vgpr_spill_count: 0
    .wavefront_size: 64
  - .agpr_count:     0
    .args:
      - .offset:         0
        .size:           64
        .value_kind:     by_value
    .group_segment_fixed_size: 0
    .kernarg_segment_align: 8
    .kernarg_segment_size: 64
    .language:       OpenCL C
    .language_version:
      - 2
      - 0
    .max_flat_workgroup_size: 256
    .name:           _ZN7rocprim17ROCPRIM_400000_NS6detail17trampoline_kernelINS0_14default_configENS1_38merge_sort_block_merge_config_selectorIbiEEZZNS1_27merge_sort_block_merge_implIS3_N6thrust23THRUST_200600_302600_NS6detail15normal_iteratorINS8_10device_ptrIbEEEENSA_INSB_IiEEEEjNS1_19radix_merge_compareILb1ELb1EbNS0_19identity_decomposerEEEEE10hipError_tT0_T1_T2_jT3_P12ihipStream_tbPNSt15iterator_traitsISK_E10value_typeEPNSQ_ISL_E10value_typeEPSM_NS1_7vsmem_tEENKUlT_SK_SL_SM_E_clISD_PbSF_PiEESJ_SZ_SK_SL_SM_EUlSZ_E0_NS1_11comp_targetILNS1_3genE3ELNS1_11target_archE908ELNS1_3gpuE7ELNS1_3repE0EEENS1_38merge_mergepath_config_static_selectorELNS0_4arch9wavefront6targetE1EEEvSL_
    .private_segment_fixed_size: 0
    .sgpr_count:     6
    .sgpr_spill_count: 0
    .symbol:         _ZN7rocprim17ROCPRIM_400000_NS6detail17trampoline_kernelINS0_14default_configENS1_38merge_sort_block_merge_config_selectorIbiEEZZNS1_27merge_sort_block_merge_implIS3_N6thrust23THRUST_200600_302600_NS6detail15normal_iteratorINS8_10device_ptrIbEEEENSA_INSB_IiEEEEjNS1_19radix_merge_compareILb1ELb1EbNS0_19identity_decomposerEEEEE10hipError_tT0_T1_T2_jT3_P12ihipStream_tbPNSt15iterator_traitsISK_E10value_typeEPNSQ_ISL_E10value_typeEPSM_NS1_7vsmem_tEENKUlT_SK_SL_SM_E_clISD_PbSF_PiEESJ_SZ_SK_SL_SM_EUlSZ_E0_NS1_11comp_targetILNS1_3genE3ELNS1_11target_archE908ELNS1_3gpuE7ELNS1_3repE0EEENS1_38merge_mergepath_config_static_selectorELNS0_4arch9wavefront6targetE1EEEvSL_.kd
    .uniform_work_group_size: 1
    .uses_dynamic_stack: false
    .vgpr_count:     0
    .vgpr_spill_count: 0
    .wavefront_size: 64
  - .agpr_count:     0
    .args:
      - .offset:         0
        .size:           64
        .value_kind:     by_value
    .group_segment_fixed_size: 0
    .kernarg_segment_align: 8
    .kernarg_segment_size: 64
    .language:       OpenCL C
    .language_version:
      - 2
      - 0
    .max_flat_workgroup_size: 128
    .name:           _ZN7rocprim17ROCPRIM_400000_NS6detail17trampoline_kernelINS0_14default_configENS1_38merge_sort_block_merge_config_selectorIbiEEZZNS1_27merge_sort_block_merge_implIS3_N6thrust23THRUST_200600_302600_NS6detail15normal_iteratorINS8_10device_ptrIbEEEENSA_INSB_IiEEEEjNS1_19radix_merge_compareILb1ELb1EbNS0_19identity_decomposerEEEEE10hipError_tT0_T1_T2_jT3_P12ihipStream_tbPNSt15iterator_traitsISK_E10value_typeEPNSQ_ISL_E10value_typeEPSM_NS1_7vsmem_tEENKUlT_SK_SL_SM_E_clISD_PbSF_PiEESJ_SZ_SK_SL_SM_EUlSZ_E0_NS1_11comp_targetILNS1_3genE2ELNS1_11target_archE906ELNS1_3gpuE6ELNS1_3repE0EEENS1_38merge_mergepath_config_static_selectorELNS0_4arch9wavefront6targetE1EEEvSL_
    .private_segment_fixed_size: 0
    .sgpr_count:     6
    .sgpr_spill_count: 0
    .symbol:         _ZN7rocprim17ROCPRIM_400000_NS6detail17trampoline_kernelINS0_14default_configENS1_38merge_sort_block_merge_config_selectorIbiEEZZNS1_27merge_sort_block_merge_implIS3_N6thrust23THRUST_200600_302600_NS6detail15normal_iteratorINS8_10device_ptrIbEEEENSA_INSB_IiEEEEjNS1_19radix_merge_compareILb1ELb1EbNS0_19identity_decomposerEEEEE10hipError_tT0_T1_T2_jT3_P12ihipStream_tbPNSt15iterator_traitsISK_E10value_typeEPNSQ_ISL_E10value_typeEPSM_NS1_7vsmem_tEENKUlT_SK_SL_SM_E_clISD_PbSF_PiEESJ_SZ_SK_SL_SM_EUlSZ_E0_NS1_11comp_targetILNS1_3genE2ELNS1_11target_archE906ELNS1_3gpuE6ELNS1_3repE0EEENS1_38merge_mergepath_config_static_selectorELNS0_4arch9wavefront6targetE1EEEvSL_.kd
    .uniform_work_group_size: 1
    .uses_dynamic_stack: false
    .vgpr_count:     0
    .vgpr_spill_count: 0
    .wavefront_size: 64
  - .agpr_count:     0
    .args:
      - .offset:         0
        .size:           64
        .value_kind:     by_value
    .group_segment_fixed_size: 0
    .kernarg_segment_align: 8
    .kernarg_segment_size: 64
    .language:       OpenCL C
    .language_version:
      - 2
      - 0
    .max_flat_workgroup_size: 256
    .name:           _ZN7rocprim17ROCPRIM_400000_NS6detail17trampoline_kernelINS0_14default_configENS1_38merge_sort_block_merge_config_selectorIbiEEZZNS1_27merge_sort_block_merge_implIS3_N6thrust23THRUST_200600_302600_NS6detail15normal_iteratorINS8_10device_ptrIbEEEENSA_INSB_IiEEEEjNS1_19radix_merge_compareILb1ELb1EbNS0_19identity_decomposerEEEEE10hipError_tT0_T1_T2_jT3_P12ihipStream_tbPNSt15iterator_traitsISK_E10value_typeEPNSQ_ISL_E10value_typeEPSM_NS1_7vsmem_tEENKUlT_SK_SL_SM_E_clISD_PbSF_PiEESJ_SZ_SK_SL_SM_EUlSZ_E0_NS1_11comp_targetILNS1_3genE9ELNS1_11target_archE1100ELNS1_3gpuE3ELNS1_3repE0EEENS1_38merge_mergepath_config_static_selectorELNS0_4arch9wavefront6targetE1EEEvSL_
    .private_segment_fixed_size: 0
    .sgpr_count:     6
    .sgpr_spill_count: 0
    .symbol:         _ZN7rocprim17ROCPRIM_400000_NS6detail17trampoline_kernelINS0_14default_configENS1_38merge_sort_block_merge_config_selectorIbiEEZZNS1_27merge_sort_block_merge_implIS3_N6thrust23THRUST_200600_302600_NS6detail15normal_iteratorINS8_10device_ptrIbEEEENSA_INSB_IiEEEEjNS1_19radix_merge_compareILb1ELb1EbNS0_19identity_decomposerEEEEE10hipError_tT0_T1_T2_jT3_P12ihipStream_tbPNSt15iterator_traitsISK_E10value_typeEPNSQ_ISL_E10value_typeEPSM_NS1_7vsmem_tEENKUlT_SK_SL_SM_E_clISD_PbSF_PiEESJ_SZ_SK_SL_SM_EUlSZ_E0_NS1_11comp_targetILNS1_3genE9ELNS1_11target_archE1100ELNS1_3gpuE3ELNS1_3repE0EEENS1_38merge_mergepath_config_static_selectorELNS0_4arch9wavefront6targetE1EEEvSL_.kd
    .uniform_work_group_size: 1
    .uses_dynamic_stack: false
    .vgpr_count:     0
    .vgpr_spill_count: 0
    .wavefront_size: 64
  - .agpr_count:     0
    .args:
      - .offset:         0
        .size:           64
        .value_kind:     by_value
    .group_segment_fixed_size: 0
    .kernarg_segment_align: 8
    .kernarg_segment_size: 64
    .language:       OpenCL C
    .language_version:
      - 2
      - 0
    .max_flat_workgroup_size: 256
    .name:           _ZN7rocprim17ROCPRIM_400000_NS6detail17trampoline_kernelINS0_14default_configENS1_38merge_sort_block_merge_config_selectorIbiEEZZNS1_27merge_sort_block_merge_implIS3_N6thrust23THRUST_200600_302600_NS6detail15normal_iteratorINS8_10device_ptrIbEEEENSA_INSB_IiEEEEjNS1_19radix_merge_compareILb1ELb1EbNS0_19identity_decomposerEEEEE10hipError_tT0_T1_T2_jT3_P12ihipStream_tbPNSt15iterator_traitsISK_E10value_typeEPNSQ_ISL_E10value_typeEPSM_NS1_7vsmem_tEENKUlT_SK_SL_SM_E_clISD_PbSF_PiEESJ_SZ_SK_SL_SM_EUlSZ_E0_NS1_11comp_targetILNS1_3genE8ELNS1_11target_archE1030ELNS1_3gpuE2ELNS1_3repE0EEENS1_38merge_mergepath_config_static_selectorELNS0_4arch9wavefront6targetE1EEEvSL_
    .private_segment_fixed_size: 0
    .sgpr_count:     6
    .sgpr_spill_count: 0
    .symbol:         _ZN7rocprim17ROCPRIM_400000_NS6detail17trampoline_kernelINS0_14default_configENS1_38merge_sort_block_merge_config_selectorIbiEEZZNS1_27merge_sort_block_merge_implIS3_N6thrust23THRUST_200600_302600_NS6detail15normal_iteratorINS8_10device_ptrIbEEEENSA_INSB_IiEEEEjNS1_19radix_merge_compareILb1ELb1EbNS0_19identity_decomposerEEEEE10hipError_tT0_T1_T2_jT3_P12ihipStream_tbPNSt15iterator_traitsISK_E10value_typeEPNSQ_ISL_E10value_typeEPSM_NS1_7vsmem_tEENKUlT_SK_SL_SM_E_clISD_PbSF_PiEESJ_SZ_SK_SL_SM_EUlSZ_E0_NS1_11comp_targetILNS1_3genE8ELNS1_11target_archE1030ELNS1_3gpuE2ELNS1_3repE0EEENS1_38merge_mergepath_config_static_selectorELNS0_4arch9wavefront6targetE1EEEvSL_.kd
    .uniform_work_group_size: 1
    .uses_dynamic_stack: false
    .vgpr_count:     0
    .vgpr_spill_count: 0
    .wavefront_size: 64
  - .agpr_count:     0
    .args:
      - .offset:         0
        .size:           48
        .value_kind:     by_value
    .group_segment_fixed_size: 256
    .kernarg_segment_align: 8
    .kernarg_segment_size: 48
    .language:       OpenCL C
    .language_version:
      - 2
      - 0
    .max_flat_workgroup_size: 256
    .name:           _ZN7rocprim17ROCPRIM_400000_NS6detail17trampoline_kernelINS0_14default_configENS1_38merge_sort_block_merge_config_selectorIbiEEZZNS1_27merge_sort_block_merge_implIS3_N6thrust23THRUST_200600_302600_NS6detail15normal_iteratorINS8_10device_ptrIbEEEENSA_INSB_IiEEEEjNS1_19radix_merge_compareILb1ELb1EbNS0_19identity_decomposerEEEEE10hipError_tT0_T1_T2_jT3_P12ihipStream_tbPNSt15iterator_traitsISK_E10value_typeEPNSQ_ISL_E10value_typeEPSM_NS1_7vsmem_tEENKUlT_SK_SL_SM_E_clISD_PbSF_PiEESJ_SZ_SK_SL_SM_EUlSZ_E1_NS1_11comp_targetILNS1_3genE0ELNS1_11target_archE4294967295ELNS1_3gpuE0ELNS1_3repE0EEENS1_36merge_oddeven_config_static_selectorELNS0_4arch9wavefront6targetE1EEEvSL_
    .private_segment_fixed_size: 0
    .sgpr_count:     28
    .sgpr_spill_count: 0
    .symbol:         _ZN7rocprim17ROCPRIM_400000_NS6detail17trampoline_kernelINS0_14default_configENS1_38merge_sort_block_merge_config_selectorIbiEEZZNS1_27merge_sort_block_merge_implIS3_N6thrust23THRUST_200600_302600_NS6detail15normal_iteratorINS8_10device_ptrIbEEEENSA_INSB_IiEEEEjNS1_19radix_merge_compareILb1ELb1EbNS0_19identity_decomposerEEEEE10hipError_tT0_T1_T2_jT3_P12ihipStream_tbPNSt15iterator_traitsISK_E10value_typeEPNSQ_ISL_E10value_typeEPSM_NS1_7vsmem_tEENKUlT_SK_SL_SM_E_clISD_PbSF_PiEESJ_SZ_SK_SL_SM_EUlSZ_E1_NS1_11comp_targetILNS1_3genE0ELNS1_11target_archE4294967295ELNS1_3gpuE0ELNS1_3repE0EEENS1_36merge_oddeven_config_static_selectorELNS0_4arch9wavefront6targetE1EEEvSL_.kd
    .uniform_work_group_size: 1
    .uses_dynamic_stack: false
    .vgpr_count:     11
    .vgpr_spill_count: 0
    .wavefront_size: 64
  - .agpr_count:     0
    .args:
      - .offset:         0
        .size:           48
        .value_kind:     by_value
    .group_segment_fixed_size: 0
    .kernarg_segment_align: 8
    .kernarg_segment_size: 48
    .language:       OpenCL C
    .language_version:
      - 2
      - 0
    .max_flat_workgroup_size: 256
    .name:           _ZN7rocprim17ROCPRIM_400000_NS6detail17trampoline_kernelINS0_14default_configENS1_38merge_sort_block_merge_config_selectorIbiEEZZNS1_27merge_sort_block_merge_implIS3_N6thrust23THRUST_200600_302600_NS6detail15normal_iteratorINS8_10device_ptrIbEEEENSA_INSB_IiEEEEjNS1_19radix_merge_compareILb1ELb1EbNS0_19identity_decomposerEEEEE10hipError_tT0_T1_T2_jT3_P12ihipStream_tbPNSt15iterator_traitsISK_E10value_typeEPNSQ_ISL_E10value_typeEPSM_NS1_7vsmem_tEENKUlT_SK_SL_SM_E_clISD_PbSF_PiEESJ_SZ_SK_SL_SM_EUlSZ_E1_NS1_11comp_targetILNS1_3genE10ELNS1_11target_archE1201ELNS1_3gpuE5ELNS1_3repE0EEENS1_36merge_oddeven_config_static_selectorELNS0_4arch9wavefront6targetE1EEEvSL_
    .private_segment_fixed_size: 0
    .sgpr_count:     6
    .sgpr_spill_count: 0
    .symbol:         _ZN7rocprim17ROCPRIM_400000_NS6detail17trampoline_kernelINS0_14default_configENS1_38merge_sort_block_merge_config_selectorIbiEEZZNS1_27merge_sort_block_merge_implIS3_N6thrust23THRUST_200600_302600_NS6detail15normal_iteratorINS8_10device_ptrIbEEEENSA_INSB_IiEEEEjNS1_19radix_merge_compareILb1ELb1EbNS0_19identity_decomposerEEEEE10hipError_tT0_T1_T2_jT3_P12ihipStream_tbPNSt15iterator_traitsISK_E10value_typeEPNSQ_ISL_E10value_typeEPSM_NS1_7vsmem_tEENKUlT_SK_SL_SM_E_clISD_PbSF_PiEESJ_SZ_SK_SL_SM_EUlSZ_E1_NS1_11comp_targetILNS1_3genE10ELNS1_11target_archE1201ELNS1_3gpuE5ELNS1_3repE0EEENS1_36merge_oddeven_config_static_selectorELNS0_4arch9wavefront6targetE1EEEvSL_.kd
    .uniform_work_group_size: 1
    .uses_dynamic_stack: false
    .vgpr_count:     0
    .vgpr_spill_count: 0
    .wavefront_size: 64
  - .agpr_count:     0
    .args:
      - .offset:         0
        .size:           48
        .value_kind:     by_value
    .group_segment_fixed_size: 0
    .kernarg_segment_align: 8
    .kernarg_segment_size: 48
    .language:       OpenCL C
    .language_version:
      - 2
      - 0
    .max_flat_workgroup_size: 256
    .name:           _ZN7rocprim17ROCPRIM_400000_NS6detail17trampoline_kernelINS0_14default_configENS1_38merge_sort_block_merge_config_selectorIbiEEZZNS1_27merge_sort_block_merge_implIS3_N6thrust23THRUST_200600_302600_NS6detail15normal_iteratorINS8_10device_ptrIbEEEENSA_INSB_IiEEEEjNS1_19radix_merge_compareILb1ELb1EbNS0_19identity_decomposerEEEEE10hipError_tT0_T1_T2_jT3_P12ihipStream_tbPNSt15iterator_traitsISK_E10value_typeEPNSQ_ISL_E10value_typeEPSM_NS1_7vsmem_tEENKUlT_SK_SL_SM_E_clISD_PbSF_PiEESJ_SZ_SK_SL_SM_EUlSZ_E1_NS1_11comp_targetILNS1_3genE5ELNS1_11target_archE942ELNS1_3gpuE9ELNS1_3repE0EEENS1_36merge_oddeven_config_static_selectorELNS0_4arch9wavefront6targetE1EEEvSL_
    .private_segment_fixed_size: 0
    .sgpr_count:     6
    .sgpr_spill_count: 0
    .symbol:         _ZN7rocprim17ROCPRIM_400000_NS6detail17trampoline_kernelINS0_14default_configENS1_38merge_sort_block_merge_config_selectorIbiEEZZNS1_27merge_sort_block_merge_implIS3_N6thrust23THRUST_200600_302600_NS6detail15normal_iteratorINS8_10device_ptrIbEEEENSA_INSB_IiEEEEjNS1_19radix_merge_compareILb1ELb1EbNS0_19identity_decomposerEEEEE10hipError_tT0_T1_T2_jT3_P12ihipStream_tbPNSt15iterator_traitsISK_E10value_typeEPNSQ_ISL_E10value_typeEPSM_NS1_7vsmem_tEENKUlT_SK_SL_SM_E_clISD_PbSF_PiEESJ_SZ_SK_SL_SM_EUlSZ_E1_NS1_11comp_targetILNS1_3genE5ELNS1_11target_archE942ELNS1_3gpuE9ELNS1_3repE0EEENS1_36merge_oddeven_config_static_selectorELNS0_4arch9wavefront6targetE1EEEvSL_.kd
    .uniform_work_group_size: 1
    .uses_dynamic_stack: false
    .vgpr_count:     0
    .vgpr_spill_count: 0
    .wavefront_size: 64
  - .agpr_count:     0
    .args:
      - .offset:         0
        .size:           48
        .value_kind:     by_value
    .group_segment_fixed_size: 0
    .kernarg_segment_align: 8
    .kernarg_segment_size: 48
    .language:       OpenCL C
    .language_version:
      - 2
      - 0
    .max_flat_workgroup_size: 256
    .name:           _ZN7rocprim17ROCPRIM_400000_NS6detail17trampoline_kernelINS0_14default_configENS1_38merge_sort_block_merge_config_selectorIbiEEZZNS1_27merge_sort_block_merge_implIS3_N6thrust23THRUST_200600_302600_NS6detail15normal_iteratorINS8_10device_ptrIbEEEENSA_INSB_IiEEEEjNS1_19radix_merge_compareILb1ELb1EbNS0_19identity_decomposerEEEEE10hipError_tT0_T1_T2_jT3_P12ihipStream_tbPNSt15iterator_traitsISK_E10value_typeEPNSQ_ISL_E10value_typeEPSM_NS1_7vsmem_tEENKUlT_SK_SL_SM_E_clISD_PbSF_PiEESJ_SZ_SK_SL_SM_EUlSZ_E1_NS1_11comp_targetILNS1_3genE4ELNS1_11target_archE910ELNS1_3gpuE8ELNS1_3repE0EEENS1_36merge_oddeven_config_static_selectorELNS0_4arch9wavefront6targetE1EEEvSL_
    .private_segment_fixed_size: 0
    .sgpr_count:     6
    .sgpr_spill_count: 0
    .symbol:         _ZN7rocprim17ROCPRIM_400000_NS6detail17trampoline_kernelINS0_14default_configENS1_38merge_sort_block_merge_config_selectorIbiEEZZNS1_27merge_sort_block_merge_implIS3_N6thrust23THRUST_200600_302600_NS6detail15normal_iteratorINS8_10device_ptrIbEEEENSA_INSB_IiEEEEjNS1_19radix_merge_compareILb1ELb1EbNS0_19identity_decomposerEEEEE10hipError_tT0_T1_T2_jT3_P12ihipStream_tbPNSt15iterator_traitsISK_E10value_typeEPNSQ_ISL_E10value_typeEPSM_NS1_7vsmem_tEENKUlT_SK_SL_SM_E_clISD_PbSF_PiEESJ_SZ_SK_SL_SM_EUlSZ_E1_NS1_11comp_targetILNS1_3genE4ELNS1_11target_archE910ELNS1_3gpuE8ELNS1_3repE0EEENS1_36merge_oddeven_config_static_selectorELNS0_4arch9wavefront6targetE1EEEvSL_.kd
    .uniform_work_group_size: 1
    .uses_dynamic_stack: false
    .vgpr_count:     0
    .vgpr_spill_count: 0
    .wavefront_size: 64
  - .agpr_count:     0
    .args:
      - .offset:         0
        .size:           48
        .value_kind:     by_value
    .group_segment_fixed_size: 0
    .kernarg_segment_align: 8
    .kernarg_segment_size: 48
    .language:       OpenCL C
    .language_version:
      - 2
      - 0
    .max_flat_workgroup_size: 256
    .name:           _ZN7rocprim17ROCPRIM_400000_NS6detail17trampoline_kernelINS0_14default_configENS1_38merge_sort_block_merge_config_selectorIbiEEZZNS1_27merge_sort_block_merge_implIS3_N6thrust23THRUST_200600_302600_NS6detail15normal_iteratorINS8_10device_ptrIbEEEENSA_INSB_IiEEEEjNS1_19radix_merge_compareILb1ELb1EbNS0_19identity_decomposerEEEEE10hipError_tT0_T1_T2_jT3_P12ihipStream_tbPNSt15iterator_traitsISK_E10value_typeEPNSQ_ISL_E10value_typeEPSM_NS1_7vsmem_tEENKUlT_SK_SL_SM_E_clISD_PbSF_PiEESJ_SZ_SK_SL_SM_EUlSZ_E1_NS1_11comp_targetILNS1_3genE3ELNS1_11target_archE908ELNS1_3gpuE7ELNS1_3repE0EEENS1_36merge_oddeven_config_static_selectorELNS0_4arch9wavefront6targetE1EEEvSL_
    .private_segment_fixed_size: 0
    .sgpr_count:     6
    .sgpr_spill_count: 0
    .symbol:         _ZN7rocprim17ROCPRIM_400000_NS6detail17trampoline_kernelINS0_14default_configENS1_38merge_sort_block_merge_config_selectorIbiEEZZNS1_27merge_sort_block_merge_implIS3_N6thrust23THRUST_200600_302600_NS6detail15normal_iteratorINS8_10device_ptrIbEEEENSA_INSB_IiEEEEjNS1_19radix_merge_compareILb1ELb1EbNS0_19identity_decomposerEEEEE10hipError_tT0_T1_T2_jT3_P12ihipStream_tbPNSt15iterator_traitsISK_E10value_typeEPNSQ_ISL_E10value_typeEPSM_NS1_7vsmem_tEENKUlT_SK_SL_SM_E_clISD_PbSF_PiEESJ_SZ_SK_SL_SM_EUlSZ_E1_NS1_11comp_targetILNS1_3genE3ELNS1_11target_archE908ELNS1_3gpuE7ELNS1_3repE0EEENS1_36merge_oddeven_config_static_selectorELNS0_4arch9wavefront6targetE1EEEvSL_.kd
    .uniform_work_group_size: 1
    .uses_dynamic_stack: false
    .vgpr_count:     0
    .vgpr_spill_count: 0
    .wavefront_size: 64
  - .agpr_count:     0
    .args:
      - .offset:         0
        .size:           48
        .value_kind:     by_value
    .group_segment_fixed_size: 0
    .kernarg_segment_align: 8
    .kernarg_segment_size: 48
    .language:       OpenCL C
    .language_version:
      - 2
      - 0
    .max_flat_workgroup_size: 256
    .name:           _ZN7rocprim17ROCPRIM_400000_NS6detail17trampoline_kernelINS0_14default_configENS1_38merge_sort_block_merge_config_selectorIbiEEZZNS1_27merge_sort_block_merge_implIS3_N6thrust23THRUST_200600_302600_NS6detail15normal_iteratorINS8_10device_ptrIbEEEENSA_INSB_IiEEEEjNS1_19radix_merge_compareILb1ELb1EbNS0_19identity_decomposerEEEEE10hipError_tT0_T1_T2_jT3_P12ihipStream_tbPNSt15iterator_traitsISK_E10value_typeEPNSQ_ISL_E10value_typeEPSM_NS1_7vsmem_tEENKUlT_SK_SL_SM_E_clISD_PbSF_PiEESJ_SZ_SK_SL_SM_EUlSZ_E1_NS1_11comp_targetILNS1_3genE2ELNS1_11target_archE906ELNS1_3gpuE6ELNS1_3repE0EEENS1_36merge_oddeven_config_static_selectorELNS0_4arch9wavefront6targetE1EEEvSL_
    .private_segment_fixed_size: 0
    .sgpr_count:     6
    .sgpr_spill_count: 0
    .symbol:         _ZN7rocprim17ROCPRIM_400000_NS6detail17trampoline_kernelINS0_14default_configENS1_38merge_sort_block_merge_config_selectorIbiEEZZNS1_27merge_sort_block_merge_implIS3_N6thrust23THRUST_200600_302600_NS6detail15normal_iteratorINS8_10device_ptrIbEEEENSA_INSB_IiEEEEjNS1_19radix_merge_compareILb1ELb1EbNS0_19identity_decomposerEEEEE10hipError_tT0_T1_T2_jT3_P12ihipStream_tbPNSt15iterator_traitsISK_E10value_typeEPNSQ_ISL_E10value_typeEPSM_NS1_7vsmem_tEENKUlT_SK_SL_SM_E_clISD_PbSF_PiEESJ_SZ_SK_SL_SM_EUlSZ_E1_NS1_11comp_targetILNS1_3genE2ELNS1_11target_archE906ELNS1_3gpuE6ELNS1_3repE0EEENS1_36merge_oddeven_config_static_selectorELNS0_4arch9wavefront6targetE1EEEvSL_.kd
    .uniform_work_group_size: 1
    .uses_dynamic_stack: false
    .vgpr_count:     0
    .vgpr_spill_count: 0
    .wavefront_size: 64
  - .agpr_count:     0
    .args:
      - .offset:         0
        .size:           48
        .value_kind:     by_value
    .group_segment_fixed_size: 0
    .kernarg_segment_align: 8
    .kernarg_segment_size: 48
    .language:       OpenCL C
    .language_version:
      - 2
      - 0
    .max_flat_workgroup_size: 256
    .name:           _ZN7rocprim17ROCPRIM_400000_NS6detail17trampoline_kernelINS0_14default_configENS1_38merge_sort_block_merge_config_selectorIbiEEZZNS1_27merge_sort_block_merge_implIS3_N6thrust23THRUST_200600_302600_NS6detail15normal_iteratorINS8_10device_ptrIbEEEENSA_INSB_IiEEEEjNS1_19radix_merge_compareILb1ELb1EbNS0_19identity_decomposerEEEEE10hipError_tT0_T1_T2_jT3_P12ihipStream_tbPNSt15iterator_traitsISK_E10value_typeEPNSQ_ISL_E10value_typeEPSM_NS1_7vsmem_tEENKUlT_SK_SL_SM_E_clISD_PbSF_PiEESJ_SZ_SK_SL_SM_EUlSZ_E1_NS1_11comp_targetILNS1_3genE9ELNS1_11target_archE1100ELNS1_3gpuE3ELNS1_3repE0EEENS1_36merge_oddeven_config_static_selectorELNS0_4arch9wavefront6targetE1EEEvSL_
    .private_segment_fixed_size: 0
    .sgpr_count:     6
    .sgpr_spill_count: 0
    .symbol:         _ZN7rocprim17ROCPRIM_400000_NS6detail17trampoline_kernelINS0_14default_configENS1_38merge_sort_block_merge_config_selectorIbiEEZZNS1_27merge_sort_block_merge_implIS3_N6thrust23THRUST_200600_302600_NS6detail15normal_iteratorINS8_10device_ptrIbEEEENSA_INSB_IiEEEEjNS1_19radix_merge_compareILb1ELb1EbNS0_19identity_decomposerEEEEE10hipError_tT0_T1_T2_jT3_P12ihipStream_tbPNSt15iterator_traitsISK_E10value_typeEPNSQ_ISL_E10value_typeEPSM_NS1_7vsmem_tEENKUlT_SK_SL_SM_E_clISD_PbSF_PiEESJ_SZ_SK_SL_SM_EUlSZ_E1_NS1_11comp_targetILNS1_3genE9ELNS1_11target_archE1100ELNS1_3gpuE3ELNS1_3repE0EEENS1_36merge_oddeven_config_static_selectorELNS0_4arch9wavefront6targetE1EEEvSL_.kd
    .uniform_work_group_size: 1
    .uses_dynamic_stack: false
    .vgpr_count:     0
    .vgpr_spill_count: 0
    .wavefront_size: 64
  - .agpr_count:     0
    .args:
      - .offset:         0
        .size:           48
        .value_kind:     by_value
    .group_segment_fixed_size: 0
    .kernarg_segment_align: 8
    .kernarg_segment_size: 48
    .language:       OpenCL C
    .language_version:
      - 2
      - 0
    .max_flat_workgroup_size: 256
    .name:           _ZN7rocprim17ROCPRIM_400000_NS6detail17trampoline_kernelINS0_14default_configENS1_38merge_sort_block_merge_config_selectorIbiEEZZNS1_27merge_sort_block_merge_implIS3_N6thrust23THRUST_200600_302600_NS6detail15normal_iteratorINS8_10device_ptrIbEEEENSA_INSB_IiEEEEjNS1_19radix_merge_compareILb1ELb1EbNS0_19identity_decomposerEEEEE10hipError_tT0_T1_T2_jT3_P12ihipStream_tbPNSt15iterator_traitsISK_E10value_typeEPNSQ_ISL_E10value_typeEPSM_NS1_7vsmem_tEENKUlT_SK_SL_SM_E_clISD_PbSF_PiEESJ_SZ_SK_SL_SM_EUlSZ_E1_NS1_11comp_targetILNS1_3genE8ELNS1_11target_archE1030ELNS1_3gpuE2ELNS1_3repE0EEENS1_36merge_oddeven_config_static_selectorELNS0_4arch9wavefront6targetE1EEEvSL_
    .private_segment_fixed_size: 0
    .sgpr_count:     6
    .sgpr_spill_count: 0
    .symbol:         _ZN7rocprim17ROCPRIM_400000_NS6detail17trampoline_kernelINS0_14default_configENS1_38merge_sort_block_merge_config_selectorIbiEEZZNS1_27merge_sort_block_merge_implIS3_N6thrust23THRUST_200600_302600_NS6detail15normal_iteratorINS8_10device_ptrIbEEEENSA_INSB_IiEEEEjNS1_19radix_merge_compareILb1ELb1EbNS0_19identity_decomposerEEEEE10hipError_tT0_T1_T2_jT3_P12ihipStream_tbPNSt15iterator_traitsISK_E10value_typeEPNSQ_ISL_E10value_typeEPSM_NS1_7vsmem_tEENKUlT_SK_SL_SM_E_clISD_PbSF_PiEESJ_SZ_SK_SL_SM_EUlSZ_E1_NS1_11comp_targetILNS1_3genE8ELNS1_11target_archE1030ELNS1_3gpuE2ELNS1_3repE0EEENS1_36merge_oddeven_config_static_selectorELNS0_4arch9wavefront6targetE1EEEvSL_.kd
    .uniform_work_group_size: 1
    .uses_dynamic_stack: false
    .vgpr_count:     0
    .vgpr_spill_count: 0
    .wavefront_size: 64
  - .agpr_count:     0
    .args:
      - .offset:         0
        .size:           40
        .value_kind:     by_value
    .group_segment_fixed_size: 0
    .kernarg_segment_align: 8
    .kernarg_segment_size: 40
    .language:       OpenCL C
    .language_version:
      - 2
      - 0
    .max_flat_workgroup_size: 1024
    .name:           _ZN7rocprim17ROCPRIM_400000_NS6detail17trampoline_kernelINS0_14default_configENS1_35radix_sort_onesweep_config_selectorIbiEEZNS1_34radix_sort_onesweep_global_offsetsIS3_Lb1EN6thrust23THRUST_200600_302600_NS6detail15normal_iteratorINS8_10device_ptrIbEEEENSA_INSB_IiEEEEjNS0_19identity_decomposerEEE10hipError_tT1_T2_PT3_SK_jT4_jjP12ihipStream_tbEUlT_E_NS1_11comp_targetILNS1_3genE0ELNS1_11target_archE4294967295ELNS1_3gpuE0ELNS1_3repE0EEENS1_52radix_sort_onesweep_histogram_config_static_selectorELNS0_4arch9wavefront6targetE1EEEvSI_
    .private_segment_fixed_size: 0
    .sgpr_count:     6
    .sgpr_spill_count: 0
    .symbol:         _ZN7rocprim17ROCPRIM_400000_NS6detail17trampoline_kernelINS0_14default_configENS1_35radix_sort_onesweep_config_selectorIbiEEZNS1_34radix_sort_onesweep_global_offsetsIS3_Lb1EN6thrust23THRUST_200600_302600_NS6detail15normal_iteratorINS8_10device_ptrIbEEEENSA_INSB_IiEEEEjNS0_19identity_decomposerEEE10hipError_tT1_T2_PT3_SK_jT4_jjP12ihipStream_tbEUlT_E_NS1_11comp_targetILNS1_3genE0ELNS1_11target_archE4294967295ELNS1_3gpuE0ELNS1_3repE0EEENS1_52radix_sort_onesweep_histogram_config_static_selectorELNS0_4arch9wavefront6targetE1EEEvSI_.kd
    .uniform_work_group_size: 1
    .uses_dynamic_stack: false
    .vgpr_count:     0
    .vgpr_spill_count: 0
    .wavefront_size: 64
  - .agpr_count:     0
    .args:
      - .offset:         0
        .size:           40
        .value_kind:     by_value
    .group_segment_fixed_size: 4096
    .kernarg_segment_align: 8
    .kernarg_segment_size: 40
    .language:       OpenCL C
    .language_version:
      - 2
      - 0
    .max_flat_workgroup_size: 1024
    .name:           _ZN7rocprim17ROCPRIM_400000_NS6detail17trampoline_kernelINS0_14default_configENS1_35radix_sort_onesweep_config_selectorIbiEEZNS1_34radix_sort_onesweep_global_offsetsIS3_Lb1EN6thrust23THRUST_200600_302600_NS6detail15normal_iteratorINS8_10device_ptrIbEEEENSA_INSB_IiEEEEjNS0_19identity_decomposerEEE10hipError_tT1_T2_PT3_SK_jT4_jjP12ihipStream_tbEUlT_E_NS1_11comp_targetILNS1_3genE6ELNS1_11target_archE950ELNS1_3gpuE13ELNS1_3repE0EEENS1_52radix_sort_onesweep_histogram_config_static_selectorELNS0_4arch9wavefront6targetE1EEEvSI_
    .private_segment_fixed_size: 0
    .sgpr_count:     52
    .sgpr_spill_count: 0
    .symbol:         _ZN7rocprim17ROCPRIM_400000_NS6detail17trampoline_kernelINS0_14default_configENS1_35radix_sort_onesweep_config_selectorIbiEEZNS1_34radix_sort_onesweep_global_offsetsIS3_Lb1EN6thrust23THRUST_200600_302600_NS6detail15normal_iteratorINS8_10device_ptrIbEEEENSA_INSB_IiEEEEjNS0_19identity_decomposerEEE10hipError_tT1_T2_PT3_SK_jT4_jjP12ihipStream_tbEUlT_E_NS1_11comp_targetILNS1_3genE6ELNS1_11target_archE950ELNS1_3gpuE13ELNS1_3repE0EEENS1_52radix_sort_onesweep_histogram_config_static_selectorELNS0_4arch9wavefront6targetE1EEEvSI_.kd
    .uniform_work_group_size: 1
    .uses_dynamic_stack: false
    .vgpr_count:     36
    .vgpr_spill_count: 0
    .wavefront_size: 64
  - .agpr_count:     0
    .args:
      - .offset:         0
        .size:           40
        .value_kind:     by_value
    .group_segment_fixed_size: 0
    .kernarg_segment_align: 8
    .kernarg_segment_size: 40
    .language:       OpenCL C
    .language_version:
      - 2
      - 0
    .max_flat_workgroup_size: 1024
    .name:           _ZN7rocprim17ROCPRIM_400000_NS6detail17trampoline_kernelINS0_14default_configENS1_35radix_sort_onesweep_config_selectorIbiEEZNS1_34radix_sort_onesweep_global_offsetsIS3_Lb1EN6thrust23THRUST_200600_302600_NS6detail15normal_iteratorINS8_10device_ptrIbEEEENSA_INSB_IiEEEEjNS0_19identity_decomposerEEE10hipError_tT1_T2_PT3_SK_jT4_jjP12ihipStream_tbEUlT_E_NS1_11comp_targetILNS1_3genE5ELNS1_11target_archE942ELNS1_3gpuE9ELNS1_3repE0EEENS1_52radix_sort_onesweep_histogram_config_static_selectorELNS0_4arch9wavefront6targetE1EEEvSI_
    .private_segment_fixed_size: 0
    .sgpr_count:     6
    .sgpr_spill_count: 0
    .symbol:         _ZN7rocprim17ROCPRIM_400000_NS6detail17trampoline_kernelINS0_14default_configENS1_35radix_sort_onesweep_config_selectorIbiEEZNS1_34radix_sort_onesweep_global_offsetsIS3_Lb1EN6thrust23THRUST_200600_302600_NS6detail15normal_iteratorINS8_10device_ptrIbEEEENSA_INSB_IiEEEEjNS0_19identity_decomposerEEE10hipError_tT1_T2_PT3_SK_jT4_jjP12ihipStream_tbEUlT_E_NS1_11comp_targetILNS1_3genE5ELNS1_11target_archE942ELNS1_3gpuE9ELNS1_3repE0EEENS1_52radix_sort_onesweep_histogram_config_static_selectorELNS0_4arch9wavefront6targetE1EEEvSI_.kd
    .uniform_work_group_size: 1
    .uses_dynamic_stack: false
    .vgpr_count:     0
    .vgpr_spill_count: 0
    .wavefront_size: 64
  - .agpr_count:     0
    .args:
      - .offset:         0
        .size:           40
        .value_kind:     by_value
    .group_segment_fixed_size: 0
    .kernarg_segment_align: 8
    .kernarg_segment_size: 40
    .language:       OpenCL C
    .language_version:
      - 2
      - 0
    .max_flat_workgroup_size: 512
    .name:           _ZN7rocprim17ROCPRIM_400000_NS6detail17trampoline_kernelINS0_14default_configENS1_35radix_sort_onesweep_config_selectorIbiEEZNS1_34radix_sort_onesweep_global_offsetsIS3_Lb1EN6thrust23THRUST_200600_302600_NS6detail15normal_iteratorINS8_10device_ptrIbEEEENSA_INSB_IiEEEEjNS0_19identity_decomposerEEE10hipError_tT1_T2_PT3_SK_jT4_jjP12ihipStream_tbEUlT_E_NS1_11comp_targetILNS1_3genE2ELNS1_11target_archE906ELNS1_3gpuE6ELNS1_3repE0EEENS1_52radix_sort_onesweep_histogram_config_static_selectorELNS0_4arch9wavefront6targetE1EEEvSI_
    .private_segment_fixed_size: 0
    .sgpr_count:     6
    .sgpr_spill_count: 0
    .symbol:         _ZN7rocprim17ROCPRIM_400000_NS6detail17trampoline_kernelINS0_14default_configENS1_35radix_sort_onesweep_config_selectorIbiEEZNS1_34radix_sort_onesweep_global_offsetsIS3_Lb1EN6thrust23THRUST_200600_302600_NS6detail15normal_iteratorINS8_10device_ptrIbEEEENSA_INSB_IiEEEEjNS0_19identity_decomposerEEE10hipError_tT1_T2_PT3_SK_jT4_jjP12ihipStream_tbEUlT_E_NS1_11comp_targetILNS1_3genE2ELNS1_11target_archE906ELNS1_3gpuE6ELNS1_3repE0EEENS1_52radix_sort_onesweep_histogram_config_static_selectorELNS0_4arch9wavefront6targetE1EEEvSI_.kd
    .uniform_work_group_size: 1
    .uses_dynamic_stack: false
    .vgpr_count:     0
    .vgpr_spill_count: 0
    .wavefront_size: 64
  - .agpr_count:     0
    .args:
      - .offset:         0
        .size:           40
        .value_kind:     by_value
    .group_segment_fixed_size: 0
    .kernarg_segment_align: 8
    .kernarg_segment_size: 40
    .language:       OpenCL C
    .language_version:
      - 2
      - 0
    .max_flat_workgroup_size: 512
    .name:           _ZN7rocprim17ROCPRIM_400000_NS6detail17trampoline_kernelINS0_14default_configENS1_35radix_sort_onesweep_config_selectorIbiEEZNS1_34radix_sort_onesweep_global_offsetsIS3_Lb1EN6thrust23THRUST_200600_302600_NS6detail15normal_iteratorINS8_10device_ptrIbEEEENSA_INSB_IiEEEEjNS0_19identity_decomposerEEE10hipError_tT1_T2_PT3_SK_jT4_jjP12ihipStream_tbEUlT_E_NS1_11comp_targetILNS1_3genE4ELNS1_11target_archE910ELNS1_3gpuE8ELNS1_3repE0EEENS1_52radix_sort_onesweep_histogram_config_static_selectorELNS0_4arch9wavefront6targetE1EEEvSI_
    .private_segment_fixed_size: 0
    .sgpr_count:     6
    .sgpr_spill_count: 0
    .symbol:         _ZN7rocprim17ROCPRIM_400000_NS6detail17trampoline_kernelINS0_14default_configENS1_35radix_sort_onesweep_config_selectorIbiEEZNS1_34radix_sort_onesweep_global_offsetsIS3_Lb1EN6thrust23THRUST_200600_302600_NS6detail15normal_iteratorINS8_10device_ptrIbEEEENSA_INSB_IiEEEEjNS0_19identity_decomposerEEE10hipError_tT1_T2_PT3_SK_jT4_jjP12ihipStream_tbEUlT_E_NS1_11comp_targetILNS1_3genE4ELNS1_11target_archE910ELNS1_3gpuE8ELNS1_3repE0EEENS1_52radix_sort_onesweep_histogram_config_static_selectorELNS0_4arch9wavefront6targetE1EEEvSI_.kd
    .uniform_work_group_size: 1
    .uses_dynamic_stack: false
    .vgpr_count:     0
    .vgpr_spill_count: 0
    .wavefront_size: 64
  - .agpr_count:     0
    .args:
      - .offset:         0
        .size:           40
        .value_kind:     by_value
    .group_segment_fixed_size: 0
    .kernarg_segment_align: 8
    .kernarg_segment_size: 40
    .language:       OpenCL C
    .language_version:
      - 2
      - 0
    .max_flat_workgroup_size: 1024
    .name:           _ZN7rocprim17ROCPRIM_400000_NS6detail17trampoline_kernelINS0_14default_configENS1_35radix_sort_onesweep_config_selectorIbiEEZNS1_34radix_sort_onesweep_global_offsetsIS3_Lb1EN6thrust23THRUST_200600_302600_NS6detail15normal_iteratorINS8_10device_ptrIbEEEENSA_INSB_IiEEEEjNS0_19identity_decomposerEEE10hipError_tT1_T2_PT3_SK_jT4_jjP12ihipStream_tbEUlT_E_NS1_11comp_targetILNS1_3genE3ELNS1_11target_archE908ELNS1_3gpuE7ELNS1_3repE0EEENS1_52radix_sort_onesweep_histogram_config_static_selectorELNS0_4arch9wavefront6targetE1EEEvSI_
    .private_segment_fixed_size: 0
    .sgpr_count:     6
    .sgpr_spill_count: 0
    .symbol:         _ZN7rocprim17ROCPRIM_400000_NS6detail17trampoline_kernelINS0_14default_configENS1_35radix_sort_onesweep_config_selectorIbiEEZNS1_34radix_sort_onesweep_global_offsetsIS3_Lb1EN6thrust23THRUST_200600_302600_NS6detail15normal_iteratorINS8_10device_ptrIbEEEENSA_INSB_IiEEEEjNS0_19identity_decomposerEEE10hipError_tT1_T2_PT3_SK_jT4_jjP12ihipStream_tbEUlT_E_NS1_11comp_targetILNS1_3genE3ELNS1_11target_archE908ELNS1_3gpuE7ELNS1_3repE0EEENS1_52radix_sort_onesweep_histogram_config_static_selectorELNS0_4arch9wavefront6targetE1EEEvSI_.kd
    .uniform_work_group_size: 1
    .uses_dynamic_stack: false
    .vgpr_count:     0
    .vgpr_spill_count: 0
    .wavefront_size: 64
  - .agpr_count:     0
    .args:
      - .offset:         0
        .size:           40
        .value_kind:     by_value
    .group_segment_fixed_size: 0
    .kernarg_segment_align: 8
    .kernarg_segment_size: 40
    .language:       OpenCL C
    .language_version:
      - 2
      - 0
    .max_flat_workgroup_size: 1024
    .name:           _ZN7rocprim17ROCPRIM_400000_NS6detail17trampoline_kernelINS0_14default_configENS1_35radix_sort_onesweep_config_selectorIbiEEZNS1_34radix_sort_onesweep_global_offsetsIS3_Lb1EN6thrust23THRUST_200600_302600_NS6detail15normal_iteratorINS8_10device_ptrIbEEEENSA_INSB_IiEEEEjNS0_19identity_decomposerEEE10hipError_tT1_T2_PT3_SK_jT4_jjP12ihipStream_tbEUlT_E_NS1_11comp_targetILNS1_3genE10ELNS1_11target_archE1201ELNS1_3gpuE5ELNS1_3repE0EEENS1_52radix_sort_onesweep_histogram_config_static_selectorELNS0_4arch9wavefront6targetE1EEEvSI_
    .private_segment_fixed_size: 0
    .sgpr_count:     6
    .sgpr_spill_count: 0
    .symbol:         _ZN7rocprim17ROCPRIM_400000_NS6detail17trampoline_kernelINS0_14default_configENS1_35radix_sort_onesweep_config_selectorIbiEEZNS1_34radix_sort_onesweep_global_offsetsIS3_Lb1EN6thrust23THRUST_200600_302600_NS6detail15normal_iteratorINS8_10device_ptrIbEEEENSA_INSB_IiEEEEjNS0_19identity_decomposerEEE10hipError_tT1_T2_PT3_SK_jT4_jjP12ihipStream_tbEUlT_E_NS1_11comp_targetILNS1_3genE10ELNS1_11target_archE1201ELNS1_3gpuE5ELNS1_3repE0EEENS1_52radix_sort_onesweep_histogram_config_static_selectorELNS0_4arch9wavefront6targetE1EEEvSI_.kd
    .uniform_work_group_size: 1
    .uses_dynamic_stack: false
    .vgpr_count:     0
    .vgpr_spill_count: 0
    .wavefront_size: 64
  - .agpr_count:     0
    .args:
      - .offset:         0
        .size:           40
        .value_kind:     by_value
    .group_segment_fixed_size: 0
    .kernarg_segment_align: 8
    .kernarg_segment_size: 40
    .language:       OpenCL C
    .language_version:
      - 2
      - 0
    .max_flat_workgroup_size: 1024
    .name:           _ZN7rocprim17ROCPRIM_400000_NS6detail17trampoline_kernelINS0_14default_configENS1_35radix_sort_onesweep_config_selectorIbiEEZNS1_34radix_sort_onesweep_global_offsetsIS3_Lb1EN6thrust23THRUST_200600_302600_NS6detail15normal_iteratorINS8_10device_ptrIbEEEENSA_INSB_IiEEEEjNS0_19identity_decomposerEEE10hipError_tT1_T2_PT3_SK_jT4_jjP12ihipStream_tbEUlT_E_NS1_11comp_targetILNS1_3genE9ELNS1_11target_archE1100ELNS1_3gpuE3ELNS1_3repE0EEENS1_52radix_sort_onesweep_histogram_config_static_selectorELNS0_4arch9wavefront6targetE1EEEvSI_
    .private_segment_fixed_size: 0
    .sgpr_count:     6
    .sgpr_spill_count: 0
    .symbol:         _ZN7rocprim17ROCPRIM_400000_NS6detail17trampoline_kernelINS0_14default_configENS1_35radix_sort_onesweep_config_selectorIbiEEZNS1_34radix_sort_onesweep_global_offsetsIS3_Lb1EN6thrust23THRUST_200600_302600_NS6detail15normal_iteratorINS8_10device_ptrIbEEEENSA_INSB_IiEEEEjNS0_19identity_decomposerEEE10hipError_tT1_T2_PT3_SK_jT4_jjP12ihipStream_tbEUlT_E_NS1_11comp_targetILNS1_3genE9ELNS1_11target_archE1100ELNS1_3gpuE3ELNS1_3repE0EEENS1_52radix_sort_onesweep_histogram_config_static_selectorELNS0_4arch9wavefront6targetE1EEEvSI_.kd
    .uniform_work_group_size: 1
    .uses_dynamic_stack: false
    .vgpr_count:     0
    .vgpr_spill_count: 0
    .wavefront_size: 64
  - .agpr_count:     0
    .args:
      - .offset:         0
        .size:           40
        .value_kind:     by_value
    .group_segment_fixed_size: 0
    .kernarg_segment_align: 8
    .kernarg_segment_size: 40
    .language:       OpenCL C
    .language_version:
      - 2
      - 0
    .max_flat_workgroup_size: 1024
    .name:           _ZN7rocprim17ROCPRIM_400000_NS6detail17trampoline_kernelINS0_14default_configENS1_35radix_sort_onesweep_config_selectorIbiEEZNS1_34radix_sort_onesweep_global_offsetsIS3_Lb1EN6thrust23THRUST_200600_302600_NS6detail15normal_iteratorINS8_10device_ptrIbEEEENSA_INSB_IiEEEEjNS0_19identity_decomposerEEE10hipError_tT1_T2_PT3_SK_jT4_jjP12ihipStream_tbEUlT_E_NS1_11comp_targetILNS1_3genE8ELNS1_11target_archE1030ELNS1_3gpuE2ELNS1_3repE0EEENS1_52radix_sort_onesweep_histogram_config_static_selectorELNS0_4arch9wavefront6targetE1EEEvSI_
    .private_segment_fixed_size: 0
    .sgpr_count:     6
    .sgpr_spill_count: 0
    .symbol:         _ZN7rocprim17ROCPRIM_400000_NS6detail17trampoline_kernelINS0_14default_configENS1_35radix_sort_onesweep_config_selectorIbiEEZNS1_34radix_sort_onesweep_global_offsetsIS3_Lb1EN6thrust23THRUST_200600_302600_NS6detail15normal_iteratorINS8_10device_ptrIbEEEENSA_INSB_IiEEEEjNS0_19identity_decomposerEEE10hipError_tT1_T2_PT3_SK_jT4_jjP12ihipStream_tbEUlT_E_NS1_11comp_targetILNS1_3genE8ELNS1_11target_archE1030ELNS1_3gpuE2ELNS1_3repE0EEENS1_52radix_sort_onesweep_histogram_config_static_selectorELNS0_4arch9wavefront6targetE1EEEvSI_.kd
    .uniform_work_group_size: 1
    .uses_dynamic_stack: false
    .vgpr_count:     0
    .vgpr_spill_count: 0
    .wavefront_size: 64
  - .agpr_count:     0
    .args:
      - .address_space:  global
        .offset:         0
        .size:           8
        .value_kind:     global_buffer
    .group_segment_fixed_size: 0
    .kernarg_segment_align: 8
    .kernarg_segment_size: 8
    .language:       OpenCL C
    .language_version:
      - 2
      - 0
    .max_flat_workgroup_size: 1024
    .name:           _ZN7rocprim17ROCPRIM_400000_NS6detail17trampoline_kernelINS0_14default_configENS1_35radix_sort_onesweep_config_selectorIbiEEZNS1_34radix_sort_onesweep_global_offsetsIS3_Lb1EN6thrust23THRUST_200600_302600_NS6detail15normal_iteratorINS8_10device_ptrIbEEEENSA_INSB_IiEEEEjNS0_19identity_decomposerEEE10hipError_tT1_T2_PT3_SK_jT4_jjP12ihipStream_tbEUlT_E0_NS1_11comp_targetILNS1_3genE0ELNS1_11target_archE4294967295ELNS1_3gpuE0ELNS1_3repE0EEENS1_52radix_sort_onesweep_histogram_config_static_selectorELNS0_4arch9wavefront6targetE1EEEvSI_
    .private_segment_fixed_size: 0
    .sgpr_count:     6
    .sgpr_spill_count: 0
    .symbol:         _ZN7rocprim17ROCPRIM_400000_NS6detail17trampoline_kernelINS0_14default_configENS1_35radix_sort_onesweep_config_selectorIbiEEZNS1_34radix_sort_onesweep_global_offsetsIS3_Lb1EN6thrust23THRUST_200600_302600_NS6detail15normal_iteratorINS8_10device_ptrIbEEEENSA_INSB_IiEEEEjNS0_19identity_decomposerEEE10hipError_tT1_T2_PT3_SK_jT4_jjP12ihipStream_tbEUlT_E0_NS1_11comp_targetILNS1_3genE0ELNS1_11target_archE4294967295ELNS1_3gpuE0ELNS1_3repE0EEENS1_52radix_sort_onesweep_histogram_config_static_selectorELNS0_4arch9wavefront6targetE1EEEvSI_.kd
    .uniform_work_group_size: 1
    .uses_dynamic_stack: false
    .vgpr_count:     0
    .vgpr_spill_count: 0
    .wavefront_size: 64
  - .agpr_count:     0
    .args:
      - .address_space:  global
        .offset:         0
        .size:           8
        .value_kind:     global_buffer
    .group_segment_fixed_size: 64
    .kernarg_segment_align: 8
    .kernarg_segment_size: 8
    .language:       OpenCL C
    .language_version:
      - 2
      - 0
    .max_flat_workgroup_size: 1024
    .name:           _ZN7rocprim17ROCPRIM_400000_NS6detail17trampoline_kernelINS0_14default_configENS1_35radix_sort_onesweep_config_selectorIbiEEZNS1_34radix_sort_onesweep_global_offsetsIS3_Lb1EN6thrust23THRUST_200600_302600_NS6detail15normal_iteratorINS8_10device_ptrIbEEEENSA_INSB_IiEEEEjNS0_19identity_decomposerEEE10hipError_tT1_T2_PT3_SK_jT4_jjP12ihipStream_tbEUlT_E0_NS1_11comp_targetILNS1_3genE6ELNS1_11target_archE950ELNS1_3gpuE13ELNS1_3repE0EEENS1_52radix_sort_onesweep_histogram_config_static_selectorELNS0_4arch9wavefront6targetE1EEEvSI_
    .private_segment_fixed_size: 0
    .sgpr_count:     20
    .sgpr_spill_count: 0
    .symbol:         _ZN7rocprim17ROCPRIM_400000_NS6detail17trampoline_kernelINS0_14default_configENS1_35radix_sort_onesweep_config_selectorIbiEEZNS1_34radix_sort_onesweep_global_offsetsIS3_Lb1EN6thrust23THRUST_200600_302600_NS6detail15normal_iteratorINS8_10device_ptrIbEEEENSA_INSB_IiEEEEjNS0_19identity_decomposerEEE10hipError_tT1_T2_PT3_SK_jT4_jjP12ihipStream_tbEUlT_E0_NS1_11comp_targetILNS1_3genE6ELNS1_11target_archE950ELNS1_3gpuE13ELNS1_3repE0EEENS1_52radix_sort_onesweep_histogram_config_static_selectorELNS0_4arch9wavefront6targetE1EEEvSI_.kd
    .uniform_work_group_size: 1
    .uses_dynamic_stack: false
    .vgpr_count:     7
    .vgpr_spill_count: 0
    .wavefront_size: 64
  - .agpr_count:     0
    .args:
      - .address_space:  global
        .offset:         0
        .size:           8
        .value_kind:     global_buffer
    .group_segment_fixed_size: 0
    .kernarg_segment_align: 8
    .kernarg_segment_size: 8
    .language:       OpenCL C
    .language_version:
      - 2
      - 0
    .max_flat_workgroup_size: 1024
    .name:           _ZN7rocprim17ROCPRIM_400000_NS6detail17trampoline_kernelINS0_14default_configENS1_35radix_sort_onesweep_config_selectorIbiEEZNS1_34radix_sort_onesweep_global_offsetsIS3_Lb1EN6thrust23THRUST_200600_302600_NS6detail15normal_iteratorINS8_10device_ptrIbEEEENSA_INSB_IiEEEEjNS0_19identity_decomposerEEE10hipError_tT1_T2_PT3_SK_jT4_jjP12ihipStream_tbEUlT_E0_NS1_11comp_targetILNS1_3genE5ELNS1_11target_archE942ELNS1_3gpuE9ELNS1_3repE0EEENS1_52radix_sort_onesweep_histogram_config_static_selectorELNS0_4arch9wavefront6targetE1EEEvSI_
    .private_segment_fixed_size: 0
    .sgpr_count:     6
    .sgpr_spill_count: 0
    .symbol:         _ZN7rocprim17ROCPRIM_400000_NS6detail17trampoline_kernelINS0_14default_configENS1_35radix_sort_onesweep_config_selectorIbiEEZNS1_34radix_sort_onesweep_global_offsetsIS3_Lb1EN6thrust23THRUST_200600_302600_NS6detail15normal_iteratorINS8_10device_ptrIbEEEENSA_INSB_IiEEEEjNS0_19identity_decomposerEEE10hipError_tT1_T2_PT3_SK_jT4_jjP12ihipStream_tbEUlT_E0_NS1_11comp_targetILNS1_3genE5ELNS1_11target_archE942ELNS1_3gpuE9ELNS1_3repE0EEENS1_52radix_sort_onesweep_histogram_config_static_selectorELNS0_4arch9wavefront6targetE1EEEvSI_.kd
    .uniform_work_group_size: 1
    .uses_dynamic_stack: false
    .vgpr_count:     0
    .vgpr_spill_count: 0
    .wavefront_size: 64
  - .agpr_count:     0
    .args:
      - .address_space:  global
        .offset:         0
        .size:           8
        .value_kind:     global_buffer
    .group_segment_fixed_size: 0
    .kernarg_segment_align: 8
    .kernarg_segment_size: 8
    .language:       OpenCL C
    .language_version:
      - 2
      - 0
    .max_flat_workgroup_size: 512
    .name:           _ZN7rocprim17ROCPRIM_400000_NS6detail17trampoline_kernelINS0_14default_configENS1_35radix_sort_onesweep_config_selectorIbiEEZNS1_34radix_sort_onesweep_global_offsetsIS3_Lb1EN6thrust23THRUST_200600_302600_NS6detail15normal_iteratorINS8_10device_ptrIbEEEENSA_INSB_IiEEEEjNS0_19identity_decomposerEEE10hipError_tT1_T2_PT3_SK_jT4_jjP12ihipStream_tbEUlT_E0_NS1_11comp_targetILNS1_3genE2ELNS1_11target_archE906ELNS1_3gpuE6ELNS1_3repE0EEENS1_52radix_sort_onesweep_histogram_config_static_selectorELNS0_4arch9wavefront6targetE1EEEvSI_
    .private_segment_fixed_size: 0
    .sgpr_count:     6
    .sgpr_spill_count: 0
    .symbol:         _ZN7rocprim17ROCPRIM_400000_NS6detail17trampoline_kernelINS0_14default_configENS1_35radix_sort_onesweep_config_selectorIbiEEZNS1_34radix_sort_onesweep_global_offsetsIS3_Lb1EN6thrust23THRUST_200600_302600_NS6detail15normal_iteratorINS8_10device_ptrIbEEEENSA_INSB_IiEEEEjNS0_19identity_decomposerEEE10hipError_tT1_T2_PT3_SK_jT4_jjP12ihipStream_tbEUlT_E0_NS1_11comp_targetILNS1_3genE2ELNS1_11target_archE906ELNS1_3gpuE6ELNS1_3repE0EEENS1_52radix_sort_onesweep_histogram_config_static_selectorELNS0_4arch9wavefront6targetE1EEEvSI_.kd
    .uniform_work_group_size: 1
    .uses_dynamic_stack: false
    .vgpr_count:     0
    .vgpr_spill_count: 0
    .wavefront_size: 64
  - .agpr_count:     0
    .args:
      - .address_space:  global
        .offset:         0
        .size:           8
        .value_kind:     global_buffer
    .group_segment_fixed_size: 0
    .kernarg_segment_align: 8
    .kernarg_segment_size: 8
    .language:       OpenCL C
    .language_version:
      - 2
      - 0
    .max_flat_workgroup_size: 512
    .name:           _ZN7rocprim17ROCPRIM_400000_NS6detail17trampoline_kernelINS0_14default_configENS1_35radix_sort_onesweep_config_selectorIbiEEZNS1_34radix_sort_onesweep_global_offsetsIS3_Lb1EN6thrust23THRUST_200600_302600_NS6detail15normal_iteratorINS8_10device_ptrIbEEEENSA_INSB_IiEEEEjNS0_19identity_decomposerEEE10hipError_tT1_T2_PT3_SK_jT4_jjP12ihipStream_tbEUlT_E0_NS1_11comp_targetILNS1_3genE4ELNS1_11target_archE910ELNS1_3gpuE8ELNS1_3repE0EEENS1_52radix_sort_onesweep_histogram_config_static_selectorELNS0_4arch9wavefront6targetE1EEEvSI_
    .private_segment_fixed_size: 0
    .sgpr_count:     6
    .sgpr_spill_count: 0
    .symbol:         _ZN7rocprim17ROCPRIM_400000_NS6detail17trampoline_kernelINS0_14default_configENS1_35radix_sort_onesweep_config_selectorIbiEEZNS1_34radix_sort_onesweep_global_offsetsIS3_Lb1EN6thrust23THRUST_200600_302600_NS6detail15normal_iteratorINS8_10device_ptrIbEEEENSA_INSB_IiEEEEjNS0_19identity_decomposerEEE10hipError_tT1_T2_PT3_SK_jT4_jjP12ihipStream_tbEUlT_E0_NS1_11comp_targetILNS1_3genE4ELNS1_11target_archE910ELNS1_3gpuE8ELNS1_3repE0EEENS1_52radix_sort_onesweep_histogram_config_static_selectorELNS0_4arch9wavefront6targetE1EEEvSI_.kd
    .uniform_work_group_size: 1
    .uses_dynamic_stack: false
    .vgpr_count:     0
    .vgpr_spill_count: 0
    .wavefront_size: 64
  - .agpr_count:     0
    .args:
      - .address_space:  global
        .offset:         0
        .size:           8
        .value_kind:     global_buffer
    .group_segment_fixed_size: 0
    .kernarg_segment_align: 8
    .kernarg_segment_size: 8
    .language:       OpenCL C
    .language_version:
      - 2
      - 0
    .max_flat_workgroup_size: 1024
    .name:           _ZN7rocprim17ROCPRIM_400000_NS6detail17trampoline_kernelINS0_14default_configENS1_35radix_sort_onesweep_config_selectorIbiEEZNS1_34radix_sort_onesweep_global_offsetsIS3_Lb1EN6thrust23THRUST_200600_302600_NS6detail15normal_iteratorINS8_10device_ptrIbEEEENSA_INSB_IiEEEEjNS0_19identity_decomposerEEE10hipError_tT1_T2_PT3_SK_jT4_jjP12ihipStream_tbEUlT_E0_NS1_11comp_targetILNS1_3genE3ELNS1_11target_archE908ELNS1_3gpuE7ELNS1_3repE0EEENS1_52radix_sort_onesweep_histogram_config_static_selectorELNS0_4arch9wavefront6targetE1EEEvSI_
    .private_segment_fixed_size: 0
    .sgpr_count:     6
    .sgpr_spill_count: 0
    .symbol:         _ZN7rocprim17ROCPRIM_400000_NS6detail17trampoline_kernelINS0_14default_configENS1_35radix_sort_onesweep_config_selectorIbiEEZNS1_34radix_sort_onesweep_global_offsetsIS3_Lb1EN6thrust23THRUST_200600_302600_NS6detail15normal_iteratorINS8_10device_ptrIbEEEENSA_INSB_IiEEEEjNS0_19identity_decomposerEEE10hipError_tT1_T2_PT3_SK_jT4_jjP12ihipStream_tbEUlT_E0_NS1_11comp_targetILNS1_3genE3ELNS1_11target_archE908ELNS1_3gpuE7ELNS1_3repE0EEENS1_52radix_sort_onesweep_histogram_config_static_selectorELNS0_4arch9wavefront6targetE1EEEvSI_.kd
    .uniform_work_group_size: 1
    .uses_dynamic_stack: false
    .vgpr_count:     0
    .vgpr_spill_count: 0
    .wavefront_size: 64
  - .agpr_count:     0
    .args:
      - .address_space:  global
        .offset:         0
        .size:           8
        .value_kind:     global_buffer
    .group_segment_fixed_size: 0
    .kernarg_segment_align: 8
    .kernarg_segment_size: 8
    .language:       OpenCL C
    .language_version:
      - 2
      - 0
    .max_flat_workgroup_size: 1024
    .name:           _ZN7rocprim17ROCPRIM_400000_NS6detail17trampoline_kernelINS0_14default_configENS1_35radix_sort_onesweep_config_selectorIbiEEZNS1_34radix_sort_onesweep_global_offsetsIS3_Lb1EN6thrust23THRUST_200600_302600_NS6detail15normal_iteratorINS8_10device_ptrIbEEEENSA_INSB_IiEEEEjNS0_19identity_decomposerEEE10hipError_tT1_T2_PT3_SK_jT4_jjP12ihipStream_tbEUlT_E0_NS1_11comp_targetILNS1_3genE10ELNS1_11target_archE1201ELNS1_3gpuE5ELNS1_3repE0EEENS1_52radix_sort_onesweep_histogram_config_static_selectorELNS0_4arch9wavefront6targetE1EEEvSI_
    .private_segment_fixed_size: 0
    .sgpr_count:     6
    .sgpr_spill_count: 0
    .symbol:         _ZN7rocprim17ROCPRIM_400000_NS6detail17trampoline_kernelINS0_14default_configENS1_35radix_sort_onesweep_config_selectorIbiEEZNS1_34radix_sort_onesweep_global_offsetsIS3_Lb1EN6thrust23THRUST_200600_302600_NS6detail15normal_iteratorINS8_10device_ptrIbEEEENSA_INSB_IiEEEEjNS0_19identity_decomposerEEE10hipError_tT1_T2_PT3_SK_jT4_jjP12ihipStream_tbEUlT_E0_NS1_11comp_targetILNS1_3genE10ELNS1_11target_archE1201ELNS1_3gpuE5ELNS1_3repE0EEENS1_52radix_sort_onesweep_histogram_config_static_selectorELNS0_4arch9wavefront6targetE1EEEvSI_.kd
    .uniform_work_group_size: 1
    .uses_dynamic_stack: false
    .vgpr_count:     0
    .vgpr_spill_count: 0
    .wavefront_size: 64
  - .agpr_count:     0
    .args:
      - .address_space:  global
        .offset:         0
        .size:           8
        .value_kind:     global_buffer
    .group_segment_fixed_size: 0
    .kernarg_segment_align: 8
    .kernarg_segment_size: 8
    .language:       OpenCL C
    .language_version:
      - 2
      - 0
    .max_flat_workgroup_size: 1024
    .name:           _ZN7rocprim17ROCPRIM_400000_NS6detail17trampoline_kernelINS0_14default_configENS1_35radix_sort_onesweep_config_selectorIbiEEZNS1_34radix_sort_onesweep_global_offsetsIS3_Lb1EN6thrust23THRUST_200600_302600_NS6detail15normal_iteratorINS8_10device_ptrIbEEEENSA_INSB_IiEEEEjNS0_19identity_decomposerEEE10hipError_tT1_T2_PT3_SK_jT4_jjP12ihipStream_tbEUlT_E0_NS1_11comp_targetILNS1_3genE9ELNS1_11target_archE1100ELNS1_3gpuE3ELNS1_3repE0EEENS1_52radix_sort_onesweep_histogram_config_static_selectorELNS0_4arch9wavefront6targetE1EEEvSI_
    .private_segment_fixed_size: 0
    .sgpr_count:     6
    .sgpr_spill_count: 0
    .symbol:         _ZN7rocprim17ROCPRIM_400000_NS6detail17trampoline_kernelINS0_14default_configENS1_35radix_sort_onesweep_config_selectorIbiEEZNS1_34radix_sort_onesweep_global_offsetsIS3_Lb1EN6thrust23THRUST_200600_302600_NS6detail15normal_iteratorINS8_10device_ptrIbEEEENSA_INSB_IiEEEEjNS0_19identity_decomposerEEE10hipError_tT1_T2_PT3_SK_jT4_jjP12ihipStream_tbEUlT_E0_NS1_11comp_targetILNS1_3genE9ELNS1_11target_archE1100ELNS1_3gpuE3ELNS1_3repE0EEENS1_52radix_sort_onesweep_histogram_config_static_selectorELNS0_4arch9wavefront6targetE1EEEvSI_.kd
    .uniform_work_group_size: 1
    .uses_dynamic_stack: false
    .vgpr_count:     0
    .vgpr_spill_count: 0
    .wavefront_size: 64
  - .agpr_count:     0
    .args:
      - .address_space:  global
        .offset:         0
        .size:           8
        .value_kind:     global_buffer
    .group_segment_fixed_size: 0
    .kernarg_segment_align: 8
    .kernarg_segment_size: 8
    .language:       OpenCL C
    .language_version:
      - 2
      - 0
    .max_flat_workgroup_size: 1024
    .name:           _ZN7rocprim17ROCPRIM_400000_NS6detail17trampoline_kernelINS0_14default_configENS1_35radix_sort_onesweep_config_selectorIbiEEZNS1_34radix_sort_onesweep_global_offsetsIS3_Lb1EN6thrust23THRUST_200600_302600_NS6detail15normal_iteratorINS8_10device_ptrIbEEEENSA_INSB_IiEEEEjNS0_19identity_decomposerEEE10hipError_tT1_T2_PT3_SK_jT4_jjP12ihipStream_tbEUlT_E0_NS1_11comp_targetILNS1_3genE8ELNS1_11target_archE1030ELNS1_3gpuE2ELNS1_3repE0EEENS1_52radix_sort_onesweep_histogram_config_static_selectorELNS0_4arch9wavefront6targetE1EEEvSI_
    .private_segment_fixed_size: 0
    .sgpr_count:     6
    .sgpr_spill_count: 0
    .symbol:         _ZN7rocprim17ROCPRIM_400000_NS6detail17trampoline_kernelINS0_14default_configENS1_35radix_sort_onesweep_config_selectorIbiEEZNS1_34radix_sort_onesweep_global_offsetsIS3_Lb1EN6thrust23THRUST_200600_302600_NS6detail15normal_iteratorINS8_10device_ptrIbEEEENSA_INSB_IiEEEEjNS0_19identity_decomposerEEE10hipError_tT1_T2_PT3_SK_jT4_jjP12ihipStream_tbEUlT_E0_NS1_11comp_targetILNS1_3genE8ELNS1_11target_archE1030ELNS1_3gpuE2ELNS1_3repE0EEENS1_52radix_sort_onesweep_histogram_config_static_selectorELNS0_4arch9wavefront6targetE1EEEvSI_.kd
    .uniform_work_group_size: 1
    .uses_dynamic_stack: false
    .vgpr_count:     0
    .vgpr_spill_count: 0
    .wavefront_size: 64
  - .agpr_count:     0
    .args:
      - .offset:         0
        .size:           88
        .value_kind:     by_value
    .group_segment_fixed_size: 0
    .kernarg_segment_align: 8
    .kernarg_segment_size: 88
    .language:       OpenCL C
    .language_version:
      - 2
      - 0
    .max_flat_workgroup_size: 1024
    .name:           _ZN7rocprim17ROCPRIM_400000_NS6detail17trampoline_kernelINS0_14default_configENS1_35radix_sort_onesweep_config_selectorIbiEEZZNS1_29radix_sort_onesweep_iterationIS3_Lb1EN6thrust23THRUST_200600_302600_NS6detail15normal_iteratorINS8_10device_ptrIbEEEESD_NSA_INSB_IiEEEESF_jNS0_19identity_decomposerENS1_16block_id_wrapperIjLb1EEEEE10hipError_tT1_PNSt15iterator_traitsISK_E10value_typeET2_T3_PNSL_ISQ_E10value_typeET4_T5_PSV_SW_PNS1_23onesweep_lookback_stateEbbT6_jjT7_P12ihipStream_tbENKUlT_T0_SK_SP_E_clISD_SD_SF_SF_EEDaS13_S14_SK_SP_EUlS13_E_NS1_11comp_targetILNS1_3genE0ELNS1_11target_archE4294967295ELNS1_3gpuE0ELNS1_3repE0EEENS1_47radix_sort_onesweep_sort_config_static_selectorELNS0_4arch9wavefront6targetE1EEEvSK_
    .private_segment_fixed_size: 0
    .sgpr_count:     6
    .sgpr_spill_count: 0
    .symbol:         _ZN7rocprim17ROCPRIM_400000_NS6detail17trampoline_kernelINS0_14default_configENS1_35radix_sort_onesweep_config_selectorIbiEEZZNS1_29radix_sort_onesweep_iterationIS3_Lb1EN6thrust23THRUST_200600_302600_NS6detail15normal_iteratorINS8_10device_ptrIbEEEESD_NSA_INSB_IiEEEESF_jNS0_19identity_decomposerENS1_16block_id_wrapperIjLb1EEEEE10hipError_tT1_PNSt15iterator_traitsISK_E10value_typeET2_T3_PNSL_ISQ_E10value_typeET4_T5_PSV_SW_PNS1_23onesweep_lookback_stateEbbT6_jjT7_P12ihipStream_tbENKUlT_T0_SK_SP_E_clISD_SD_SF_SF_EEDaS13_S14_SK_SP_EUlS13_E_NS1_11comp_targetILNS1_3genE0ELNS1_11target_archE4294967295ELNS1_3gpuE0ELNS1_3repE0EEENS1_47radix_sort_onesweep_sort_config_static_selectorELNS0_4arch9wavefront6targetE1EEEvSK_.kd
    .uniform_work_group_size: 1
    .uses_dynamic_stack: false
    .vgpr_count:     0
    .vgpr_spill_count: 0
    .wavefront_size: 64
  - .agpr_count:     0
    .args:
      - .offset:         0
        .size:           88
        .value_kind:     by_value
      - .offset:         88
        .size:           4
        .value_kind:     hidden_block_count_x
      - .offset:         92
        .size:           4
        .value_kind:     hidden_block_count_y
      - .offset:         96
        .size:           4
        .value_kind:     hidden_block_count_z
      - .offset:         100
        .size:           2
        .value_kind:     hidden_group_size_x
      - .offset:         102
        .size:           2
        .value_kind:     hidden_group_size_y
      - .offset:         104
        .size:           2
        .value_kind:     hidden_group_size_z
      - .offset:         106
        .size:           2
        .value_kind:     hidden_remainder_x
      - .offset:         108
        .size:           2
        .value_kind:     hidden_remainder_y
      - .offset:         110
        .size:           2
        .value_kind:     hidden_remainder_z
      - .offset:         128
        .size:           8
        .value_kind:     hidden_global_offset_x
      - .offset:         136
        .size:           8
        .value_kind:     hidden_global_offset_y
      - .offset:         144
        .size:           8
        .value_kind:     hidden_global_offset_z
      - .offset:         152
        .size:           2
        .value_kind:     hidden_grid_dims
    .group_segment_fixed_size: 20552
    .kernarg_segment_align: 8
    .kernarg_segment_size: 344
    .language:       OpenCL C
    .language_version:
      - 2
      - 0
    .max_flat_workgroup_size: 1024
    .name:           _ZN7rocprim17ROCPRIM_400000_NS6detail17trampoline_kernelINS0_14default_configENS1_35radix_sort_onesweep_config_selectorIbiEEZZNS1_29radix_sort_onesweep_iterationIS3_Lb1EN6thrust23THRUST_200600_302600_NS6detail15normal_iteratorINS8_10device_ptrIbEEEESD_NSA_INSB_IiEEEESF_jNS0_19identity_decomposerENS1_16block_id_wrapperIjLb1EEEEE10hipError_tT1_PNSt15iterator_traitsISK_E10value_typeET2_T3_PNSL_ISQ_E10value_typeET4_T5_PSV_SW_PNS1_23onesweep_lookback_stateEbbT6_jjT7_P12ihipStream_tbENKUlT_T0_SK_SP_E_clISD_SD_SF_SF_EEDaS13_S14_SK_SP_EUlS13_E_NS1_11comp_targetILNS1_3genE6ELNS1_11target_archE950ELNS1_3gpuE13ELNS1_3repE0EEENS1_47radix_sort_onesweep_sort_config_static_selectorELNS0_4arch9wavefront6targetE1EEEvSK_
    .private_segment_fixed_size: 80
    .sgpr_count:     102
    .sgpr_spill_count: 0
    .symbol:         _ZN7rocprim17ROCPRIM_400000_NS6detail17trampoline_kernelINS0_14default_configENS1_35radix_sort_onesweep_config_selectorIbiEEZZNS1_29radix_sort_onesweep_iterationIS3_Lb1EN6thrust23THRUST_200600_302600_NS6detail15normal_iteratorINS8_10device_ptrIbEEEESD_NSA_INSB_IiEEEESF_jNS0_19identity_decomposerENS1_16block_id_wrapperIjLb1EEEEE10hipError_tT1_PNSt15iterator_traitsISK_E10value_typeET2_T3_PNSL_ISQ_E10value_typeET4_T5_PSV_SW_PNS1_23onesweep_lookback_stateEbbT6_jjT7_P12ihipStream_tbENKUlT_T0_SK_SP_E_clISD_SD_SF_SF_EEDaS13_S14_SK_SP_EUlS13_E_NS1_11comp_targetILNS1_3genE6ELNS1_11target_archE950ELNS1_3gpuE13ELNS1_3repE0EEENS1_47radix_sort_onesweep_sort_config_static_selectorELNS0_4arch9wavefront6targetE1EEEvSK_.kd
    .uniform_work_group_size: 1
    .uses_dynamic_stack: false
    .vgpr_count:     100
    .vgpr_spill_count: 0
    .wavefront_size: 64
  - .agpr_count:     0
    .args:
      - .offset:         0
        .size:           88
        .value_kind:     by_value
    .group_segment_fixed_size: 0
    .kernarg_segment_align: 8
    .kernarg_segment_size: 88
    .language:       OpenCL C
    .language_version:
      - 2
      - 0
    .max_flat_workgroup_size: 1024
    .name:           _ZN7rocprim17ROCPRIM_400000_NS6detail17trampoline_kernelINS0_14default_configENS1_35radix_sort_onesweep_config_selectorIbiEEZZNS1_29radix_sort_onesweep_iterationIS3_Lb1EN6thrust23THRUST_200600_302600_NS6detail15normal_iteratorINS8_10device_ptrIbEEEESD_NSA_INSB_IiEEEESF_jNS0_19identity_decomposerENS1_16block_id_wrapperIjLb1EEEEE10hipError_tT1_PNSt15iterator_traitsISK_E10value_typeET2_T3_PNSL_ISQ_E10value_typeET4_T5_PSV_SW_PNS1_23onesweep_lookback_stateEbbT6_jjT7_P12ihipStream_tbENKUlT_T0_SK_SP_E_clISD_SD_SF_SF_EEDaS13_S14_SK_SP_EUlS13_E_NS1_11comp_targetILNS1_3genE5ELNS1_11target_archE942ELNS1_3gpuE9ELNS1_3repE0EEENS1_47radix_sort_onesweep_sort_config_static_selectorELNS0_4arch9wavefront6targetE1EEEvSK_
    .private_segment_fixed_size: 0
    .sgpr_count:     6
    .sgpr_spill_count: 0
    .symbol:         _ZN7rocprim17ROCPRIM_400000_NS6detail17trampoline_kernelINS0_14default_configENS1_35radix_sort_onesweep_config_selectorIbiEEZZNS1_29radix_sort_onesweep_iterationIS3_Lb1EN6thrust23THRUST_200600_302600_NS6detail15normal_iteratorINS8_10device_ptrIbEEEESD_NSA_INSB_IiEEEESF_jNS0_19identity_decomposerENS1_16block_id_wrapperIjLb1EEEEE10hipError_tT1_PNSt15iterator_traitsISK_E10value_typeET2_T3_PNSL_ISQ_E10value_typeET4_T5_PSV_SW_PNS1_23onesweep_lookback_stateEbbT6_jjT7_P12ihipStream_tbENKUlT_T0_SK_SP_E_clISD_SD_SF_SF_EEDaS13_S14_SK_SP_EUlS13_E_NS1_11comp_targetILNS1_3genE5ELNS1_11target_archE942ELNS1_3gpuE9ELNS1_3repE0EEENS1_47radix_sort_onesweep_sort_config_static_selectorELNS0_4arch9wavefront6targetE1EEEvSK_.kd
    .uniform_work_group_size: 1
    .uses_dynamic_stack: false
    .vgpr_count:     0
    .vgpr_spill_count: 0
    .wavefront_size: 64
  - .agpr_count:     0
    .args:
      - .offset:         0
        .size:           88
        .value_kind:     by_value
    .group_segment_fixed_size: 0
    .kernarg_segment_align: 8
    .kernarg_segment_size: 88
    .language:       OpenCL C
    .language_version:
      - 2
      - 0
    .max_flat_workgroup_size: 512
    .name:           _ZN7rocprim17ROCPRIM_400000_NS6detail17trampoline_kernelINS0_14default_configENS1_35radix_sort_onesweep_config_selectorIbiEEZZNS1_29radix_sort_onesweep_iterationIS3_Lb1EN6thrust23THRUST_200600_302600_NS6detail15normal_iteratorINS8_10device_ptrIbEEEESD_NSA_INSB_IiEEEESF_jNS0_19identity_decomposerENS1_16block_id_wrapperIjLb1EEEEE10hipError_tT1_PNSt15iterator_traitsISK_E10value_typeET2_T3_PNSL_ISQ_E10value_typeET4_T5_PSV_SW_PNS1_23onesweep_lookback_stateEbbT6_jjT7_P12ihipStream_tbENKUlT_T0_SK_SP_E_clISD_SD_SF_SF_EEDaS13_S14_SK_SP_EUlS13_E_NS1_11comp_targetILNS1_3genE2ELNS1_11target_archE906ELNS1_3gpuE6ELNS1_3repE0EEENS1_47radix_sort_onesweep_sort_config_static_selectorELNS0_4arch9wavefront6targetE1EEEvSK_
    .private_segment_fixed_size: 0
    .sgpr_count:     6
    .sgpr_spill_count: 0
    .symbol:         _ZN7rocprim17ROCPRIM_400000_NS6detail17trampoline_kernelINS0_14default_configENS1_35radix_sort_onesweep_config_selectorIbiEEZZNS1_29radix_sort_onesweep_iterationIS3_Lb1EN6thrust23THRUST_200600_302600_NS6detail15normal_iteratorINS8_10device_ptrIbEEEESD_NSA_INSB_IiEEEESF_jNS0_19identity_decomposerENS1_16block_id_wrapperIjLb1EEEEE10hipError_tT1_PNSt15iterator_traitsISK_E10value_typeET2_T3_PNSL_ISQ_E10value_typeET4_T5_PSV_SW_PNS1_23onesweep_lookback_stateEbbT6_jjT7_P12ihipStream_tbENKUlT_T0_SK_SP_E_clISD_SD_SF_SF_EEDaS13_S14_SK_SP_EUlS13_E_NS1_11comp_targetILNS1_3genE2ELNS1_11target_archE906ELNS1_3gpuE6ELNS1_3repE0EEENS1_47radix_sort_onesweep_sort_config_static_selectorELNS0_4arch9wavefront6targetE1EEEvSK_.kd
    .uniform_work_group_size: 1
    .uses_dynamic_stack: false
    .vgpr_count:     0
    .vgpr_spill_count: 0
    .wavefront_size: 64
  - .agpr_count:     0
    .args:
      - .offset:         0
        .size:           88
        .value_kind:     by_value
    .group_segment_fixed_size: 0
    .kernarg_segment_align: 8
    .kernarg_segment_size: 88
    .language:       OpenCL C
    .language_version:
      - 2
      - 0
    .max_flat_workgroup_size: 512
    .name:           _ZN7rocprim17ROCPRIM_400000_NS6detail17trampoline_kernelINS0_14default_configENS1_35radix_sort_onesweep_config_selectorIbiEEZZNS1_29radix_sort_onesweep_iterationIS3_Lb1EN6thrust23THRUST_200600_302600_NS6detail15normal_iteratorINS8_10device_ptrIbEEEESD_NSA_INSB_IiEEEESF_jNS0_19identity_decomposerENS1_16block_id_wrapperIjLb1EEEEE10hipError_tT1_PNSt15iterator_traitsISK_E10value_typeET2_T3_PNSL_ISQ_E10value_typeET4_T5_PSV_SW_PNS1_23onesweep_lookback_stateEbbT6_jjT7_P12ihipStream_tbENKUlT_T0_SK_SP_E_clISD_SD_SF_SF_EEDaS13_S14_SK_SP_EUlS13_E_NS1_11comp_targetILNS1_3genE4ELNS1_11target_archE910ELNS1_3gpuE8ELNS1_3repE0EEENS1_47radix_sort_onesweep_sort_config_static_selectorELNS0_4arch9wavefront6targetE1EEEvSK_
    .private_segment_fixed_size: 0
    .sgpr_count:     6
    .sgpr_spill_count: 0
    .symbol:         _ZN7rocprim17ROCPRIM_400000_NS6detail17trampoline_kernelINS0_14default_configENS1_35radix_sort_onesweep_config_selectorIbiEEZZNS1_29radix_sort_onesweep_iterationIS3_Lb1EN6thrust23THRUST_200600_302600_NS6detail15normal_iteratorINS8_10device_ptrIbEEEESD_NSA_INSB_IiEEEESF_jNS0_19identity_decomposerENS1_16block_id_wrapperIjLb1EEEEE10hipError_tT1_PNSt15iterator_traitsISK_E10value_typeET2_T3_PNSL_ISQ_E10value_typeET4_T5_PSV_SW_PNS1_23onesweep_lookback_stateEbbT6_jjT7_P12ihipStream_tbENKUlT_T0_SK_SP_E_clISD_SD_SF_SF_EEDaS13_S14_SK_SP_EUlS13_E_NS1_11comp_targetILNS1_3genE4ELNS1_11target_archE910ELNS1_3gpuE8ELNS1_3repE0EEENS1_47radix_sort_onesweep_sort_config_static_selectorELNS0_4arch9wavefront6targetE1EEEvSK_.kd
    .uniform_work_group_size: 1
    .uses_dynamic_stack: false
    .vgpr_count:     0
    .vgpr_spill_count: 0
    .wavefront_size: 64
  - .agpr_count:     0
    .args:
      - .offset:         0
        .size:           88
        .value_kind:     by_value
    .group_segment_fixed_size: 0
    .kernarg_segment_align: 8
    .kernarg_segment_size: 88
    .language:       OpenCL C
    .language_version:
      - 2
      - 0
    .max_flat_workgroup_size: 1024
    .name:           _ZN7rocprim17ROCPRIM_400000_NS6detail17trampoline_kernelINS0_14default_configENS1_35radix_sort_onesweep_config_selectorIbiEEZZNS1_29radix_sort_onesweep_iterationIS3_Lb1EN6thrust23THRUST_200600_302600_NS6detail15normal_iteratorINS8_10device_ptrIbEEEESD_NSA_INSB_IiEEEESF_jNS0_19identity_decomposerENS1_16block_id_wrapperIjLb1EEEEE10hipError_tT1_PNSt15iterator_traitsISK_E10value_typeET2_T3_PNSL_ISQ_E10value_typeET4_T5_PSV_SW_PNS1_23onesweep_lookback_stateEbbT6_jjT7_P12ihipStream_tbENKUlT_T0_SK_SP_E_clISD_SD_SF_SF_EEDaS13_S14_SK_SP_EUlS13_E_NS1_11comp_targetILNS1_3genE3ELNS1_11target_archE908ELNS1_3gpuE7ELNS1_3repE0EEENS1_47radix_sort_onesweep_sort_config_static_selectorELNS0_4arch9wavefront6targetE1EEEvSK_
    .private_segment_fixed_size: 0
    .sgpr_count:     6
    .sgpr_spill_count: 0
    .symbol:         _ZN7rocprim17ROCPRIM_400000_NS6detail17trampoline_kernelINS0_14default_configENS1_35radix_sort_onesweep_config_selectorIbiEEZZNS1_29radix_sort_onesweep_iterationIS3_Lb1EN6thrust23THRUST_200600_302600_NS6detail15normal_iteratorINS8_10device_ptrIbEEEESD_NSA_INSB_IiEEEESF_jNS0_19identity_decomposerENS1_16block_id_wrapperIjLb1EEEEE10hipError_tT1_PNSt15iterator_traitsISK_E10value_typeET2_T3_PNSL_ISQ_E10value_typeET4_T5_PSV_SW_PNS1_23onesweep_lookback_stateEbbT6_jjT7_P12ihipStream_tbENKUlT_T0_SK_SP_E_clISD_SD_SF_SF_EEDaS13_S14_SK_SP_EUlS13_E_NS1_11comp_targetILNS1_3genE3ELNS1_11target_archE908ELNS1_3gpuE7ELNS1_3repE0EEENS1_47radix_sort_onesweep_sort_config_static_selectorELNS0_4arch9wavefront6targetE1EEEvSK_.kd
    .uniform_work_group_size: 1
    .uses_dynamic_stack: false
    .vgpr_count:     0
    .vgpr_spill_count: 0
    .wavefront_size: 64
  - .agpr_count:     0
    .args:
      - .offset:         0
        .size:           88
        .value_kind:     by_value
    .group_segment_fixed_size: 0
    .kernarg_segment_align: 8
    .kernarg_segment_size: 88
    .language:       OpenCL C
    .language_version:
      - 2
      - 0
    .max_flat_workgroup_size: 1024
    .name:           _ZN7rocprim17ROCPRIM_400000_NS6detail17trampoline_kernelINS0_14default_configENS1_35radix_sort_onesweep_config_selectorIbiEEZZNS1_29radix_sort_onesweep_iterationIS3_Lb1EN6thrust23THRUST_200600_302600_NS6detail15normal_iteratorINS8_10device_ptrIbEEEESD_NSA_INSB_IiEEEESF_jNS0_19identity_decomposerENS1_16block_id_wrapperIjLb1EEEEE10hipError_tT1_PNSt15iterator_traitsISK_E10value_typeET2_T3_PNSL_ISQ_E10value_typeET4_T5_PSV_SW_PNS1_23onesweep_lookback_stateEbbT6_jjT7_P12ihipStream_tbENKUlT_T0_SK_SP_E_clISD_SD_SF_SF_EEDaS13_S14_SK_SP_EUlS13_E_NS1_11comp_targetILNS1_3genE10ELNS1_11target_archE1201ELNS1_3gpuE5ELNS1_3repE0EEENS1_47radix_sort_onesweep_sort_config_static_selectorELNS0_4arch9wavefront6targetE1EEEvSK_
    .private_segment_fixed_size: 0
    .sgpr_count:     6
    .sgpr_spill_count: 0
    .symbol:         _ZN7rocprim17ROCPRIM_400000_NS6detail17trampoline_kernelINS0_14default_configENS1_35radix_sort_onesweep_config_selectorIbiEEZZNS1_29radix_sort_onesweep_iterationIS3_Lb1EN6thrust23THRUST_200600_302600_NS6detail15normal_iteratorINS8_10device_ptrIbEEEESD_NSA_INSB_IiEEEESF_jNS0_19identity_decomposerENS1_16block_id_wrapperIjLb1EEEEE10hipError_tT1_PNSt15iterator_traitsISK_E10value_typeET2_T3_PNSL_ISQ_E10value_typeET4_T5_PSV_SW_PNS1_23onesweep_lookback_stateEbbT6_jjT7_P12ihipStream_tbENKUlT_T0_SK_SP_E_clISD_SD_SF_SF_EEDaS13_S14_SK_SP_EUlS13_E_NS1_11comp_targetILNS1_3genE10ELNS1_11target_archE1201ELNS1_3gpuE5ELNS1_3repE0EEENS1_47radix_sort_onesweep_sort_config_static_selectorELNS0_4arch9wavefront6targetE1EEEvSK_.kd
    .uniform_work_group_size: 1
    .uses_dynamic_stack: false
    .vgpr_count:     0
    .vgpr_spill_count: 0
    .wavefront_size: 64
  - .agpr_count:     0
    .args:
      - .offset:         0
        .size:           88
        .value_kind:     by_value
    .group_segment_fixed_size: 0
    .kernarg_segment_align: 8
    .kernarg_segment_size: 88
    .language:       OpenCL C
    .language_version:
      - 2
      - 0
    .max_flat_workgroup_size: 1024
    .name:           _ZN7rocprim17ROCPRIM_400000_NS6detail17trampoline_kernelINS0_14default_configENS1_35radix_sort_onesweep_config_selectorIbiEEZZNS1_29radix_sort_onesweep_iterationIS3_Lb1EN6thrust23THRUST_200600_302600_NS6detail15normal_iteratorINS8_10device_ptrIbEEEESD_NSA_INSB_IiEEEESF_jNS0_19identity_decomposerENS1_16block_id_wrapperIjLb1EEEEE10hipError_tT1_PNSt15iterator_traitsISK_E10value_typeET2_T3_PNSL_ISQ_E10value_typeET4_T5_PSV_SW_PNS1_23onesweep_lookback_stateEbbT6_jjT7_P12ihipStream_tbENKUlT_T0_SK_SP_E_clISD_SD_SF_SF_EEDaS13_S14_SK_SP_EUlS13_E_NS1_11comp_targetILNS1_3genE9ELNS1_11target_archE1100ELNS1_3gpuE3ELNS1_3repE0EEENS1_47radix_sort_onesweep_sort_config_static_selectorELNS0_4arch9wavefront6targetE1EEEvSK_
    .private_segment_fixed_size: 0
    .sgpr_count:     6
    .sgpr_spill_count: 0
    .symbol:         _ZN7rocprim17ROCPRIM_400000_NS6detail17trampoline_kernelINS0_14default_configENS1_35radix_sort_onesweep_config_selectorIbiEEZZNS1_29radix_sort_onesweep_iterationIS3_Lb1EN6thrust23THRUST_200600_302600_NS6detail15normal_iteratorINS8_10device_ptrIbEEEESD_NSA_INSB_IiEEEESF_jNS0_19identity_decomposerENS1_16block_id_wrapperIjLb1EEEEE10hipError_tT1_PNSt15iterator_traitsISK_E10value_typeET2_T3_PNSL_ISQ_E10value_typeET4_T5_PSV_SW_PNS1_23onesweep_lookback_stateEbbT6_jjT7_P12ihipStream_tbENKUlT_T0_SK_SP_E_clISD_SD_SF_SF_EEDaS13_S14_SK_SP_EUlS13_E_NS1_11comp_targetILNS1_3genE9ELNS1_11target_archE1100ELNS1_3gpuE3ELNS1_3repE0EEENS1_47radix_sort_onesweep_sort_config_static_selectorELNS0_4arch9wavefront6targetE1EEEvSK_.kd
    .uniform_work_group_size: 1
    .uses_dynamic_stack: false
    .vgpr_count:     0
    .vgpr_spill_count: 0
    .wavefront_size: 64
  - .agpr_count:     0
    .args:
      - .offset:         0
        .size:           88
        .value_kind:     by_value
    .group_segment_fixed_size: 0
    .kernarg_segment_align: 8
    .kernarg_segment_size: 88
    .language:       OpenCL C
    .language_version:
      - 2
      - 0
    .max_flat_workgroup_size: 1024
    .name:           _ZN7rocprim17ROCPRIM_400000_NS6detail17trampoline_kernelINS0_14default_configENS1_35radix_sort_onesweep_config_selectorIbiEEZZNS1_29radix_sort_onesweep_iterationIS3_Lb1EN6thrust23THRUST_200600_302600_NS6detail15normal_iteratorINS8_10device_ptrIbEEEESD_NSA_INSB_IiEEEESF_jNS0_19identity_decomposerENS1_16block_id_wrapperIjLb1EEEEE10hipError_tT1_PNSt15iterator_traitsISK_E10value_typeET2_T3_PNSL_ISQ_E10value_typeET4_T5_PSV_SW_PNS1_23onesweep_lookback_stateEbbT6_jjT7_P12ihipStream_tbENKUlT_T0_SK_SP_E_clISD_SD_SF_SF_EEDaS13_S14_SK_SP_EUlS13_E_NS1_11comp_targetILNS1_3genE8ELNS1_11target_archE1030ELNS1_3gpuE2ELNS1_3repE0EEENS1_47radix_sort_onesweep_sort_config_static_selectorELNS0_4arch9wavefront6targetE1EEEvSK_
    .private_segment_fixed_size: 0
    .sgpr_count:     6
    .sgpr_spill_count: 0
    .symbol:         _ZN7rocprim17ROCPRIM_400000_NS6detail17trampoline_kernelINS0_14default_configENS1_35radix_sort_onesweep_config_selectorIbiEEZZNS1_29radix_sort_onesweep_iterationIS3_Lb1EN6thrust23THRUST_200600_302600_NS6detail15normal_iteratorINS8_10device_ptrIbEEEESD_NSA_INSB_IiEEEESF_jNS0_19identity_decomposerENS1_16block_id_wrapperIjLb1EEEEE10hipError_tT1_PNSt15iterator_traitsISK_E10value_typeET2_T3_PNSL_ISQ_E10value_typeET4_T5_PSV_SW_PNS1_23onesweep_lookback_stateEbbT6_jjT7_P12ihipStream_tbENKUlT_T0_SK_SP_E_clISD_SD_SF_SF_EEDaS13_S14_SK_SP_EUlS13_E_NS1_11comp_targetILNS1_3genE8ELNS1_11target_archE1030ELNS1_3gpuE2ELNS1_3repE0EEENS1_47radix_sort_onesweep_sort_config_static_selectorELNS0_4arch9wavefront6targetE1EEEvSK_.kd
    .uniform_work_group_size: 1
    .uses_dynamic_stack: false
    .vgpr_count:     0
    .vgpr_spill_count: 0
    .wavefront_size: 64
  - .agpr_count:     0
    .args:
      - .offset:         0
        .size:           88
        .value_kind:     by_value
    .group_segment_fixed_size: 0
    .kernarg_segment_align: 8
    .kernarg_segment_size: 88
    .language:       OpenCL C
    .language_version:
      - 2
      - 0
    .max_flat_workgroup_size: 1024
    .name:           _ZN7rocprim17ROCPRIM_400000_NS6detail17trampoline_kernelINS0_14default_configENS1_35radix_sort_onesweep_config_selectorIbiEEZZNS1_29radix_sort_onesweep_iterationIS3_Lb1EN6thrust23THRUST_200600_302600_NS6detail15normal_iteratorINS8_10device_ptrIbEEEESD_NSA_INSB_IiEEEESF_jNS0_19identity_decomposerENS1_16block_id_wrapperIjLb1EEEEE10hipError_tT1_PNSt15iterator_traitsISK_E10value_typeET2_T3_PNSL_ISQ_E10value_typeET4_T5_PSV_SW_PNS1_23onesweep_lookback_stateEbbT6_jjT7_P12ihipStream_tbENKUlT_T0_SK_SP_E_clISD_PbSF_PiEEDaS13_S14_SK_SP_EUlS13_E_NS1_11comp_targetILNS1_3genE0ELNS1_11target_archE4294967295ELNS1_3gpuE0ELNS1_3repE0EEENS1_47radix_sort_onesweep_sort_config_static_selectorELNS0_4arch9wavefront6targetE1EEEvSK_
    .private_segment_fixed_size: 0
    .sgpr_count:     6
    .sgpr_spill_count: 0
    .symbol:         _ZN7rocprim17ROCPRIM_400000_NS6detail17trampoline_kernelINS0_14default_configENS1_35radix_sort_onesweep_config_selectorIbiEEZZNS1_29radix_sort_onesweep_iterationIS3_Lb1EN6thrust23THRUST_200600_302600_NS6detail15normal_iteratorINS8_10device_ptrIbEEEESD_NSA_INSB_IiEEEESF_jNS0_19identity_decomposerENS1_16block_id_wrapperIjLb1EEEEE10hipError_tT1_PNSt15iterator_traitsISK_E10value_typeET2_T3_PNSL_ISQ_E10value_typeET4_T5_PSV_SW_PNS1_23onesweep_lookback_stateEbbT6_jjT7_P12ihipStream_tbENKUlT_T0_SK_SP_E_clISD_PbSF_PiEEDaS13_S14_SK_SP_EUlS13_E_NS1_11comp_targetILNS1_3genE0ELNS1_11target_archE4294967295ELNS1_3gpuE0ELNS1_3repE0EEENS1_47radix_sort_onesweep_sort_config_static_selectorELNS0_4arch9wavefront6targetE1EEEvSK_.kd
    .uniform_work_group_size: 1
    .uses_dynamic_stack: false
    .vgpr_count:     0
    .vgpr_spill_count: 0
    .wavefront_size: 64
  - .agpr_count:     0
    .args:
      - .offset:         0
        .size:           88
        .value_kind:     by_value
      - .offset:         88
        .size:           4
        .value_kind:     hidden_block_count_x
      - .offset:         92
        .size:           4
        .value_kind:     hidden_block_count_y
      - .offset:         96
        .size:           4
        .value_kind:     hidden_block_count_z
      - .offset:         100
        .size:           2
        .value_kind:     hidden_group_size_x
      - .offset:         102
        .size:           2
        .value_kind:     hidden_group_size_y
      - .offset:         104
        .size:           2
        .value_kind:     hidden_group_size_z
      - .offset:         106
        .size:           2
        .value_kind:     hidden_remainder_x
      - .offset:         108
        .size:           2
        .value_kind:     hidden_remainder_y
      - .offset:         110
        .size:           2
        .value_kind:     hidden_remainder_z
      - .offset:         128
        .size:           8
        .value_kind:     hidden_global_offset_x
      - .offset:         136
        .size:           8
        .value_kind:     hidden_global_offset_y
      - .offset:         144
        .size:           8
        .value_kind:     hidden_global_offset_z
      - .offset:         152
        .size:           2
        .value_kind:     hidden_grid_dims
    .group_segment_fixed_size: 20552
    .kernarg_segment_align: 8
    .kernarg_segment_size: 344
    .language:       OpenCL C
    .language_version:
      - 2
      - 0
    .max_flat_workgroup_size: 1024
    .name:           _ZN7rocprim17ROCPRIM_400000_NS6detail17trampoline_kernelINS0_14default_configENS1_35radix_sort_onesweep_config_selectorIbiEEZZNS1_29radix_sort_onesweep_iterationIS3_Lb1EN6thrust23THRUST_200600_302600_NS6detail15normal_iteratorINS8_10device_ptrIbEEEESD_NSA_INSB_IiEEEESF_jNS0_19identity_decomposerENS1_16block_id_wrapperIjLb1EEEEE10hipError_tT1_PNSt15iterator_traitsISK_E10value_typeET2_T3_PNSL_ISQ_E10value_typeET4_T5_PSV_SW_PNS1_23onesweep_lookback_stateEbbT6_jjT7_P12ihipStream_tbENKUlT_T0_SK_SP_E_clISD_PbSF_PiEEDaS13_S14_SK_SP_EUlS13_E_NS1_11comp_targetILNS1_3genE6ELNS1_11target_archE950ELNS1_3gpuE13ELNS1_3repE0EEENS1_47radix_sort_onesweep_sort_config_static_selectorELNS0_4arch9wavefront6targetE1EEEvSK_
    .private_segment_fixed_size: 80
    .sgpr_count:     102
    .sgpr_spill_count: 0
    .symbol:         _ZN7rocprim17ROCPRIM_400000_NS6detail17trampoline_kernelINS0_14default_configENS1_35radix_sort_onesweep_config_selectorIbiEEZZNS1_29radix_sort_onesweep_iterationIS3_Lb1EN6thrust23THRUST_200600_302600_NS6detail15normal_iteratorINS8_10device_ptrIbEEEESD_NSA_INSB_IiEEEESF_jNS0_19identity_decomposerENS1_16block_id_wrapperIjLb1EEEEE10hipError_tT1_PNSt15iterator_traitsISK_E10value_typeET2_T3_PNSL_ISQ_E10value_typeET4_T5_PSV_SW_PNS1_23onesweep_lookback_stateEbbT6_jjT7_P12ihipStream_tbENKUlT_T0_SK_SP_E_clISD_PbSF_PiEEDaS13_S14_SK_SP_EUlS13_E_NS1_11comp_targetILNS1_3genE6ELNS1_11target_archE950ELNS1_3gpuE13ELNS1_3repE0EEENS1_47radix_sort_onesweep_sort_config_static_selectorELNS0_4arch9wavefront6targetE1EEEvSK_.kd
    .uniform_work_group_size: 1
    .uses_dynamic_stack: false
    .vgpr_count:     100
    .vgpr_spill_count: 0
    .wavefront_size: 64
  - .agpr_count:     0
    .args:
      - .offset:         0
        .size:           88
        .value_kind:     by_value
    .group_segment_fixed_size: 0
    .kernarg_segment_align: 8
    .kernarg_segment_size: 88
    .language:       OpenCL C
    .language_version:
      - 2
      - 0
    .max_flat_workgroup_size: 1024
    .name:           _ZN7rocprim17ROCPRIM_400000_NS6detail17trampoline_kernelINS0_14default_configENS1_35radix_sort_onesweep_config_selectorIbiEEZZNS1_29radix_sort_onesweep_iterationIS3_Lb1EN6thrust23THRUST_200600_302600_NS6detail15normal_iteratorINS8_10device_ptrIbEEEESD_NSA_INSB_IiEEEESF_jNS0_19identity_decomposerENS1_16block_id_wrapperIjLb1EEEEE10hipError_tT1_PNSt15iterator_traitsISK_E10value_typeET2_T3_PNSL_ISQ_E10value_typeET4_T5_PSV_SW_PNS1_23onesweep_lookback_stateEbbT6_jjT7_P12ihipStream_tbENKUlT_T0_SK_SP_E_clISD_PbSF_PiEEDaS13_S14_SK_SP_EUlS13_E_NS1_11comp_targetILNS1_3genE5ELNS1_11target_archE942ELNS1_3gpuE9ELNS1_3repE0EEENS1_47radix_sort_onesweep_sort_config_static_selectorELNS0_4arch9wavefront6targetE1EEEvSK_
    .private_segment_fixed_size: 0
    .sgpr_count:     6
    .sgpr_spill_count: 0
    .symbol:         _ZN7rocprim17ROCPRIM_400000_NS6detail17trampoline_kernelINS0_14default_configENS1_35radix_sort_onesweep_config_selectorIbiEEZZNS1_29radix_sort_onesweep_iterationIS3_Lb1EN6thrust23THRUST_200600_302600_NS6detail15normal_iteratorINS8_10device_ptrIbEEEESD_NSA_INSB_IiEEEESF_jNS0_19identity_decomposerENS1_16block_id_wrapperIjLb1EEEEE10hipError_tT1_PNSt15iterator_traitsISK_E10value_typeET2_T3_PNSL_ISQ_E10value_typeET4_T5_PSV_SW_PNS1_23onesweep_lookback_stateEbbT6_jjT7_P12ihipStream_tbENKUlT_T0_SK_SP_E_clISD_PbSF_PiEEDaS13_S14_SK_SP_EUlS13_E_NS1_11comp_targetILNS1_3genE5ELNS1_11target_archE942ELNS1_3gpuE9ELNS1_3repE0EEENS1_47radix_sort_onesweep_sort_config_static_selectorELNS0_4arch9wavefront6targetE1EEEvSK_.kd
    .uniform_work_group_size: 1
    .uses_dynamic_stack: false
    .vgpr_count:     0
    .vgpr_spill_count: 0
    .wavefront_size: 64
  - .agpr_count:     0
    .args:
      - .offset:         0
        .size:           88
        .value_kind:     by_value
    .group_segment_fixed_size: 0
    .kernarg_segment_align: 8
    .kernarg_segment_size: 88
    .language:       OpenCL C
    .language_version:
      - 2
      - 0
    .max_flat_workgroup_size: 512
    .name:           _ZN7rocprim17ROCPRIM_400000_NS6detail17trampoline_kernelINS0_14default_configENS1_35radix_sort_onesweep_config_selectorIbiEEZZNS1_29radix_sort_onesweep_iterationIS3_Lb1EN6thrust23THRUST_200600_302600_NS6detail15normal_iteratorINS8_10device_ptrIbEEEESD_NSA_INSB_IiEEEESF_jNS0_19identity_decomposerENS1_16block_id_wrapperIjLb1EEEEE10hipError_tT1_PNSt15iterator_traitsISK_E10value_typeET2_T3_PNSL_ISQ_E10value_typeET4_T5_PSV_SW_PNS1_23onesweep_lookback_stateEbbT6_jjT7_P12ihipStream_tbENKUlT_T0_SK_SP_E_clISD_PbSF_PiEEDaS13_S14_SK_SP_EUlS13_E_NS1_11comp_targetILNS1_3genE2ELNS1_11target_archE906ELNS1_3gpuE6ELNS1_3repE0EEENS1_47radix_sort_onesweep_sort_config_static_selectorELNS0_4arch9wavefront6targetE1EEEvSK_
    .private_segment_fixed_size: 0
    .sgpr_count:     6
    .sgpr_spill_count: 0
    .symbol:         _ZN7rocprim17ROCPRIM_400000_NS6detail17trampoline_kernelINS0_14default_configENS1_35radix_sort_onesweep_config_selectorIbiEEZZNS1_29radix_sort_onesweep_iterationIS3_Lb1EN6thrust23THRUST_200600_302600_NS6detail15normal_iteratorINS8_10device_ptrIbEEEESD_NSA_INSB_IiEEEESF_jNS0_19identity_decomposerENS1_16block_id_wrapperIjLb1EEEEE10hipError_tT1_PNSt15iterator_traitsISK_E10value_typeET2_T3_PNSL_ISQ_E10value_typeET4_T5_PSV_SW_PNS1_23onesweep_lookback_stateEbbT6_jjT7_P12ihipStream_tbENKUlT_T0_SK_SP_E_clISD_PbSF_PiEEDaS13_S14_SK_SP_EUlS13_E_NS1_11comp_targetILNS1_3genE2ELNS1_11target_archE906ELNS1_3gpuE6ELNS1_3repE0EEENS1_47radix_sort_onesweep_sort_config_static_selectorELNS0_4arch9wavefront6targetE1EEEvSK_.kd
    .uniform_work_group_size: 1
    .uses_dynamic_stack: false
    .vgpr_count:     0
    .vgpr_spill_count: 0
    .wavefront_size: 64
  - .agpr_count:     0
    .args:
      - .offset:         0
        .size:           88
        .value_kind:     by_value
    .group_segment_fixed_size: 0
    .kernarg_segment_align: 8
    .kernarg_segment_size: 88
    .language:       OpenCL C
    .language_version:
      - 2
      - 0
    .max_flat_workgroup_size: 512
    .name:           _ZN7rocprim17ROCPRIM_400000_NS6detail17trampoline_kernelINS0_14default_configENS1_35radix_sort_onesweep_config_selectorIbiEEZZNS1_29radix_sort_onesweep_iterationIS3_Lb1EN6thrust23THRUST_200600_302600_NS6detail15normal_iteratorINS8_10device_ptrIbEEEESD_NSA_INSB_IiEEEESF_jNS0_19identity_decomposerENS1_16block_id_wrapperIjLb1EEEEE10hipError_tT1_PNSt15iterator_traitsISK_E10value_typeET2_T3_PNSL_ISQ_E10value_typeET4_T5_PSV_SW_PNS1_23onesweep_lookback_stateEbbT6_jjT7_P12ihipStream_tbENKUlT_T0_SK_SP_E_clISD_PbSF_PiEEDaS13_S14_SK_SP_EUlS13_E_NS1_11comp_targetILNS1_3genE4ELNS1_11target_archE910ELNS1_3gpuE8ELNS1_3repE0EEENS1_47radix_sort_onesweep_sort_config_static_selectorELNS0_4arch9wavefront6targetE1EEEvSK_
    .private_segment_fixed_size: 0
    .sgpr_count:     6
    .sgpr_spill_count: 0
    .symbol:         _ZN7rocprim17ROCPRIM_400000_NS6detail17trampoline_kernelINS0_14default_configENS1_35radix_sort_onesweep_config_selectorIbiEEZZNS1_29radix_sort_onesweep_iterationIS3_Lb1EN6thrust23THRUST_200600_302600_NS6detail15normal_iteratorINS8_10device_ptrIbEEEESD_NSA_INSB_IiEEEESF_jNS0_19identity_decomposerENS1_16block_id_wrapperIjLb1EEEEE10hipError_tT1_PNSt15iterator_traitsISK_E10value_typeET2_T3_PNSL_ISQ_E10value_typeET4_T5_PSV_SW_PNS1_23onesweep_lookback_stateEbbT6_jjT7_P12ihipStream_tbENKUlT_T0_SK_SP_E_clISD_PbSF_PiEEDaS13_S14_SK_SP_EUlS13_E_NS1_11comp_targetILNS1_3genE4ELNS1_11target_archE910ELNS1_3gpuE8ELNS1_3repE0EEENS1_47radix_sort_onesweep_sort_config_static_selectorELNS0_4arch9wavefront6targetE1EEEvSK_.kd
    .uniform_work_group_size: 1
    .uses_dynamic_stack: false
    .vgpr_count:     0
    .vgpr_spill_count: 0
    .wavefront_size: 64
  - .agpr_count:     0
    .args:
      - .offset:         0
        .size:           88
        .value_kind:     by_value
    .group_segment_fixed_size: 0
    .kernarg_segment_align: 8
    .kernarg_segment_size: 88
    .language:       OpenCL C
    .language_version:
      - 2
      - 0
    .max_flat_workgroup_size: 1024
    .name:           _ZN7rocprim17ROCPRIM_400000_NS6detail17trampoline_kernelINS0_14default_configENS1_35radix_sort_onesweep_config_selectorIbiEEZZNS1_29radix_sort_onesweep_iterationIS3_Lb1EN6thrust23THRUST_200600_302600_NS6detail15normal_iteratorINS8_10device_ptrIbEEEESD_NSA_INSB_IiEEEESF_jNS0_19identity_decomposerENS1_16block_id_wrapperIjLb1EEEEE10hipError_tT1_PNSt15iterator_traitsISK_E10value_typeET2_T3_PNSL_ISQ_E10value_typeET4_T5_PSV_SW_PNS1_23onesweep_lookback_stateEbbT6_jjT7_P12ihipStream_tbENKUlT_T0_SK_SP_E_clISD_PbSF_PiEEDaS13_S14_SK_SP_EUlS13_E_NS1_11comp_targetILNS1_3genE3ELNS1_11target_archE908ELNS1_3gpuE7ELNS1_3repE0EEENS1_47radix_sort_onesweep_sort_config_static_selectorELNS0_4arch9wavefront6targetE1EEEvSK_
    .private_segment_fixed_size: 0
    .sgpr_count:     6
    .sgpr_spill_count: 0
    .symbol:         _ZN7rocprim17ROCPRIM_400000_NS6detail17trampoline_kernelINS0_14default_configENS1_35radix_sort_onesweep_config_selectorIbiEEZZNS1_29radix_sort_onesweep_iterationIS3_Lb1EN6thrust23THRUST_200600_302600_NS6detail15normal_iteratorINS8_10device_ptrIbEEEESD_NSA_INSB_IiEEEESF_jNS0_19identity_decomposerENS1_16block_id_wrapperIjLb1EEEEE10hipError_tT1_PNSt15iterator_traitsISK_E10value_typeET2_T3_PNSL_ISQ_E10value_typeET4_T5_PSV_SW_PNS1_23onesweep_lookback_stateEbbT6_jjT7_P12ihipStream_tbENKUlT_T0_SK_SP_E_clISD_PbSF_PiEEDaS13_S14_SK_SP_EUlS13_E_NS1_11comp_targetILNS1_3genE3ELNS1_11target_archE908ELNS1_3gpuE7ELNS1_3repE0EEENS1_47radix_sort_onesweep_sort_config_static_selectorELNS0_4arch9wavefront6targetE1EEEvSK_.kd
    .uniform_work_group_size: 1
    .uses_dynamic_stack: false
    .vgpr_count:     0
    .vgpr_spill_count: 0
    .wavefront_size: 64
  - .agpr_count:     0
    .args:
      - .offset:         0
        .size:           88
        .value_kind:     by_value
    .group_segment_fixed_size: 0
    .kernarg_segment_align: 8
    .kernarg_segment_size: 88
    .language:       OpenCL C
    .language_version:
      - 2
      - 0
    .max_flat_workgroup_size: 1024
    .name:           _ZN7rocprim17ROCPRIM_400000_NS6detail17trampoline_kernelINS0_14default_configENS1_35radix_sort_onesweep_config_selectorIbiEEZZNS1_29radix_sort_onesweep_iterationIS3_Lb1EN6thrust23THRUST_200600_302600_NS6detail15normal_iteratorINS8_10device_ptrIbEEEESD_NSA_INSB_IiEEEESF_jNS0_19identity_decomposerENS1_16block_id_wrapperIjLb1EEEEE10hipError_tT1_PNSt15iterator_traitsISK_E10value_typeET2_T3_PNSL_ISQ_E10value_typeET4_T5_PSV_SW_PNS1_23onesweep_lookback_stateEbbT6_jjT7_P12ihipStream_tbENKUlT_T0_SK_SP_E_clISD_PbSF_PiEEDaS13_S14_SK_SP_EUlS13_E_NS1_11comp_targetILNS1_3genE10ELNS1_11target_archE1201ELNS1_3gpuE5ELNS1_3repE0EEENS1_47radix_sort_onesweep_sort_config_static_selectorELNS0_4arch9wavefront6targetE1EEEvSK_
    .private_segment_fixed_size: 0
    .sgpr_count:     6
    .sgpr_spill_count: 0
    .symbol:         _ZN7rocprim17ROCPRIM_400000_NS6detail17trampoline_kernelINS0_14default_configENS1_35radix_sort_onesweep_config_selectorIbiEEZZNS1_29radix_sort_onesweep_iterationIS3_Lb1EN6thrust23THRUST_200600_302600_NS6detail15normal_iteratorINS8_10device_ptrIbEEEESD_NSA_INSB_IiEEEESF_jNS0_19identity_decomposerENS1_16block_id_wrapperIjLb1EEEEE10hipError_tT1_PNSt15iterator_traitsISK_E10value_typeET2_T3_PNSL_ISQ_E10value_typeET4_T5_PSV_SW_PNS1_23onesweep_lookback_stateEbbT6_jjT7_P12ihipStream_tbENKUlT_T0_SK_SP_E_clISD_PbSF_PiEEDaS13_S14_SK_SP_EUlS13_E_NS1_11comp_targetILNS1_3genE10ELNS1_11target_archE1201ELNS1_3gpuE5ELNS1_3repE0EEENS1_47radix_sort_onesweep_sort_config_static_selectorELNS0_4arch9wavefront6targetE1EEEvSK_.kd
    .uniform_work_group_size: 1
    .uses_dynamic_stack: false
    .vgpr_count:     0
    .vgpr_spill_count: 0
    .wavefront_size: 64
  - .agpr_count:     0
    .args:
      - .offset:         0
        .size:           88
        .value_kind:     by_value
    .group_segment_fixed_size: 0
    .kernarg_segment_align: 8
    .kernarg_segment_size: 88
    .language:       OpenCL C
    .language_version:
      - 2
      - 0
    .max_flat_workgroup_size: 1024
    .name:           _ZN7rocprim17ROCPRIM_400000_NS6detail17trampoline_kernelINS0_14default_configENS1_35radix_sort_onesweep_config_selectorIbiEEZZNS1_29radix_sort_onesweep_iterationIS3_Lb1EN6thrust23THRUST_200600_302600_NS6detail15normal_iteratorINS8_10device_ptrIbEEEESD_NSA_INSB_IiEEEESF_jNS0_19identity_decomposerENS1_16block_id_wrapperIjLb1EEEEE10hipError_tT1_PNSt15iterator_traitsISK_E10value_typeET2_T3_PNSL_ISQ_E10value_typeET4_T5_PSV_SW_PNS1_23onesweep_lookback_stateEbbT6_jjT7_P12ihipStream_tbENKUlT_T0_SK_SP_E_clISD_PbSF_PiEEDaS13_S14_SK_SP_EUlS13_E_NS1_11comp_targetILNS1_3genE9ELNS1_11target_archE1100ELNS1_3gpuE3ELNS1_3repE0EEENS1_47radix_sort_onesweep_sort_config_static_selectorELNS0_4arch9wavefront6targetE1EEEvSK_
    .private_segment_fixed_size: 0
    .sgpr_count:     6
    .sgpr_spill_count: 0
    .symbol:         _ZN7rocprim17ROCPRIM_400000_NS6detail17trampoline_kernelINS0_14default_configENS1_35radix_sort_onesweep_config_selectorIbiEEZZNS1_29radix_sort_onesweep_iterationIS3_Lb1EN6thrust23THRUST_200600_302600_NS6detail15normal_iteratorINS8_10device_ptrIbEEEESD_NSA_INSB_IiEEEESF_jNS0_19identity_decomposerENS1_16block_id_wrapperIjLb1EEEEE10hipError_tT1_PNSt15iterator_traitsISK_E10value_typeET2_T3_PNSL_ISQ_E10value_typeET4_T5_PSV_SW_PNS1_23onesweep_lookback_stateEbbT6_jjT7_P12ihipStream_tbENKUlT_T0_SK_SP_E_clISD_PbSF_PiEEDaS13_S14_SK_SP_EUlS13_E_NS1_11comp_targetILNS1_3genE9ELNS1_11target_archE1100ELNS1_3gpuE3ELNS1_3repE0EEENS1_47radix_sort_onesweep_sort_config_static_selectorELNS0_4arch9wavefront6targetE1EEEvSK_.kd
    .uniform_work_group_size: 1
    .uses_dynamic_stack: false
    .vgpr_count:     0
    .vgpr_spill_count: 0
    .wavefront_size: 64
  - .agpr_count:     0
    .args:
      - .offset:         0
        .size:           88
        .value_kind:     by_value
    .group_segment_fixed_size: 0
    .kernarg_segment_align: 8
    .kernarg_segment_size: 88
    .language:       OpenCL C
    .language_version:
      - 2
      - 0
    .max_flat_workgroup_size: 1024
    .name:           _ZN7rocprim17ROCPRIM_400000_NS6detail17trampoline_kernelINS0_14default_configENS1_35radix_sort_onesweep_config_selectorIbiEEZZNS1_29radix_sort_onesweep_iterationIS3_Lb1EN6thrust23THRUST_200600_302600_NS6detail15normal_iteratorINS8_10device_ptrIbEEEESD_NSA_INSB_IiEEEESF_jNS0_19identity_decomposerENS1_16block_id_wrapperIjLb1EEEEE10hipError_tT1_PNSt15iterator_traitsISK_E10value_typeET2_T3_PNSL_ISQ_E10value_typeET4_T5_PSV_SW_PNS1_23onesweep_lookback_stateEbbT6_jjT7_P12ihipStream_tbENKUlT_T0_SK_SP_E_clISD_PbSF_PiEEDaS13_S14_SK_SP_EUlS13_E_NS1_11comp_targetILNS1_3genE8ELNS1_11target_archE1030ELNS1_3gpuE2ELNS1_3repE0EEENS1_47radix_sort_onesweep_sort_config_static_selectorELNS0_4arch9wavefront6targetE1EEEvSK_
    .private_segment_fixed_size: 0
    .sgpr_count:     6
    .sgpr_spill_count: 0
    .symbol:         _ZN7rocprim17ROCPRIM_400000_NS6detail17trampoline_kernelINS0_14default_configENS1_35radix_sort_onesweep_config_selectorIbiEEZZNS1_29radix_sort_onesweep_iterationIS3_Lb1EN6thrust23THRUST_200600_302600_NS6detail15normal_iteratorINS8_10device_ptrIbEEEESD_NSA_INSB_IiEEEESF_jNS0_19identity_decomposerENS1_16block_id_wrapperIjLb1EEEEE10hipError_tT1_PNSt15iterator_traitsISK_E10value_typeET2_T3_PNSL_ISQ_E10value_typeET4_T5_PSV_SW_PNS1_23onesweep_lookback_stateEbbT6_jjT7_P12ihipStream_tbENKUlT_T0_SK_SP_E_clISD_PbSF_PiEEDaS13_S14_SK_SP_EUlS13_E_NS1_11comp_targetILNS1_3genE8ELNS1_11target_archE1030ELNS1_3gpuE2ELNS1_3repE0EEENS1_47radix_sort_onesweep_sort_config_static_selectorELNS0_4arch9wavefront6targetE1EEEvSK_.kd
    .uniform_work_group_size: 1
    .uses_dynamic_stack: false
    .vgpr_count:     0
    .vgpr_spill_count: 0
    .wavefront_size: 64
  - .agpr_count:     0
    .args:
      - .offset:         0
        .size:           88
        .value_kind:     by_value
    .group_segment_fixed_size: 0
    .kernarg_segment_align: 8
    .kernarg_segment_size: 88
    .language:       OpenCL C
    .language_version:
      - 2
      - 0
    .max_flat_workgroup_size: 1024
    .name:           _ZN7rocprim17ROCPRIM_400000_NS6detail17trampoline_kernelINS0_14default_configENS1_35radix_sort_onesweep_config_selectorIbiEEZZNS1_29radix_sort_onesweep_iterationIS3_Lb1EN6thrust23THRUST_200600_302600_NS6detail15normal_iteratorINS8_10device_ptrIbEEEESD_NSA_INSB_IiEEEESF_jNS0_19identity_decomposerENS1_16block_id_wrapperIjLb1EEEEE10hipError_tT1_PNSt15iterator_traitsISK_E10value_typeET2_T3_PNSL_ISQ_E10value_typeET4_T5_PSV_SW_PNS1_23onesweep_lookback_stateEbbT6_jjT7_P12ihipStream_tbENKUlT_T0_SK_SP_E_clIPbSD_PiSF_EEDaS13_S14_SK_SP_EUlS13_E_NS1_11comp_targetILNS1_3genE0ELNS1_11target_archE4294967295ELNS1_3gpuE0ELNS1_3repE0EEENS1_47radix_sort_onesweep_sort_config_static_selectorELNS0_4arch9wavefront6targetE1EEEvSK_
    .private_segment_fixed_size: 0
    .sgpr_count:     6
    .sgpr_spill_count: 0
    .symbol:         _ZN7rocprim17ROCPRIM_400000_NS6detail17trampoline_kernelINS0_14default_configENS1_35radix_sort_onesweep_config_selectorIbiEEZZNS1_29radix_sort_onesweep_iterationIS3_Lb1EN6thrust23THRUST_200600_302600_NS6detail15normal_iteratorINS8_10device_ptrIbEEEESD_NSA_INSB_IiEEEESF_jNS0_19identity_decomposerENS1_16block_id_wrapperIjLb1EEEEE10hipError_tT1_PNSt15iterator_traitsISK_E10value_typeET2_T3_PNSL_ISQ_E10value_typeET4_T5_PSV_SW_PNS1_23onesweep_lookback_stateEbbT6_jjT7_P12ihipStream_tbENKUlT_T0_SK_SP_E_clIPbSD_PiSF_EEDaS13_S14_SK_SP_EUlS13_E_NS1_11comp_targetILNS1_3genE0ELNS1_11target_archE4294967295ELNS1_3gpuE0ELNS1_3repE0EEENS1_47radix_sort_onesweep_sort_config_static_selectorELNS0_4arch9wavefront6targetE1EEEvSK_.kd
    .uniform_work_group_size: 1
    .uses_dynamic_stack: false
    .vgpr_count:     0
    .vgpr_spill_count: 0
    .wavefront_size: 64
  - .agpr_count:     0
    .args:
      - .offset:         0
        .size:           88
        .value_kind:     by_value
      - .offset:         88
        .size:           4
        .value_kind:     hidden_block_count_x
      - .offset:         92
        .size:           4
        .value_kind:     hidden_block_count_y
      - .offset:         96
        .size:           4
        .value_kind:     hidden_block_count_z
      - .offset:         100
        .size:           2
        .value_kind:     hidden_group_size_x
      - .offset:         102
        .size:           2
        .value_kind:     hidden_group_size_y
      - .offset:         104
        .size:           2
        .value_kind:     hidden_group_size_z
      - .offset:         106
        .size:           2
        .value_kind:     hidden_remainder_x
      - .offset:         108
        .size:           2
        .value_kind:     hidden_remainder_y
      - .offset:         110
        .size:           2
        .value_kind:     hidden_remainder_z
      - .offset:         128
        .size:           8
        .value_kind:     hidden_global_offset_x
      - .offset:         136
        .size:           8
        .value_kind:     hidden_global_offset_y
      - .offset:         144
        .size:           8
        .value_kind:     hidden_global_offset_z
      - .offset:         152
        .size:           2
        .value_kind:     hidden_grid_dims
    .group_segment_fixed_size: 20552
    .kernarg_segment_align: 8
    .kernarg_segment_size: 344
    .language:       OpenCL C
    .language_version:
      - 2
      - 0
    .max_flat_workgroup_size: 1024
    .name:           _ZN7rocprim17ROCPRIM_400000_NS6detail17trampoline_kernelINS0_14default_configENS1_35radix_sort_onesweep_config_selectorIbiEEZZNS1_29radix_sort_onesweep_iterationIS3_Lb1EN6thrust23THRUST_200600_302600_NS6detail15normal_iteratorINS8_10device_ptrIbEEEESD_NSA_INSB_IiEEEESF_jNS0_19identity_decomposerENS1_16block_id_wrapperIjLb1EEEEE10hipError_tT1_PNSt15iterator_traitsISK_E10value_typeET2_T3_PNSL_ISQ_E10value_typeET4_T5_PSV_SW_PNS1_23onesweep_lookback_stateEbbT6_jjT7_P12ihipStream_tbENKUlT_T0_SK_SP_E_clIPbSD_PiSF_EEDaS13_S14_SK_SP_EUlS13_E_NS1_11comp_targetILNS1_3genE6ELNS1_11target_archE950ELNS1_3gpuE13ELNS1_3repE0EEENS1_47radix_sort_onesweep_sort_config_static_selectorELNS0_4arch9wavefront6targetE1EEEvSK_
    .private_segment_fixed_size: 80
    .sgpr_count:     102
    .sgpr_spill_count: 0
    .symbol:         _ZN7rocprim17ROCPRIM_400000_NS6detail17trampoline_kernelINS0_14default_configENS1_35radix_sort_onesweep_config_selectorIbiEEZZNS1_29radix_sort_onesweep_iterationIS3_Lb1EN6thrust23THRUST_200600_302600_NS6detail15normal_iteratorINS8_10device_ptrIbEEEESD_NSA_INSB_IiEEEESF_jNS0_19identity_decomposerENS1_16block_id_wrapperIjLb1EEEEE10hipError_tT1_PNSt15iterator_traitsISK_E10value_typeET2_T3_PNSL_ISQ_E10value_typeET4_T5_PSV_SW_PNS1_23onesweep_lookback_stateEbbT6_jjT7_P12ihipStream_tbENKUlT_T0_SK_SP_E_clIPbSD_PiSF_EEDaS13_S14_SK_SP_EUlS13_E_NS1_11comp_targetILNS1_3genE6ELNS1_11target_archE950ELNS1_3gpuE13ELNS1_3repE0EEENS1_47radix_sort_onesweep_sort_config_static_selectorELNS0_4arch9wavefront6targetE1EEEvSK_.kd
    .uniform_work_group_size: 1
    .uses_dynamic_stack: false
    .vgpr_count:     100
    .vgpr_spill_count: 0
    .wavefront_size: 64
  - .agpr_count:     0
    .args:
      - .offset:         0
        .size:           88
        .value_kind:     by_value
    .group_segment_fixed_size: 0
    .kernarg_segment_align: 8
    .kernarg_segment_size: 88
    .language:       OpenCL C
    .language_version:
      - 2
      - 0
    .max_flat_workgroup_size: 1024
    .name:           _ZN7rocprim17ROCPRIM_400000_NS6detail17trampoline_kernelINS0_14default_configENS1_35radix_sort_onesweep_config_selectorIbiEEZZNS1_29radix_sort_onesweep_iterationIS3_Lb1EN6thrust23THRUST_200600_302600_NS6detail15normal_iteratorINS8_10device_ptrIbEEEESD_NSA_INSB_IiEEEESF_jNS0_19identity_decomposerENS1_16block_id_wrapperIjLb1EEEEE10hipError_tT1_PNSt15iterator_traitsISK_E10value_typeET2_T3_PNSL_ISQ_E10value_typeET4_T5_PSV_SW_PNS1_23onesweep_lookback_stateEbbT6_jjT7_P12ihipStream_tbENKUlT_T0_SK_SP_E_clIPbSD_PiSF_EEDaS13_S14_SK_SP_EUlS13_E_NS1_11comp_targetILNS1_3genE5ELNS1_11target_archE942ELNS1_3gpuE9ELNS1_3repE0EEENS1_47radix_sort_onesweep_sort_config_static_selectorELNS0_4arch9wavefront6targetE1EEEvSK_
    .private_segment_fixed_size: 0
    .sgpr_count:     6
    .sgpr_spill_count: 0
    .symbol:         _ZN7rocprim17ROCPRIM_400000_NS6detail17trampoline_kernelINS0_14default_configENS1_35radix_sort_onesweep_config_selectorIbiEEZZNS1_29radix_sort_onesweep_iterationIS3_Lb1EN6thrust23THRUST_200600_302600_NS6detail15normal_iteratorINS8_10device_ptrIbEEEESD_NSA_INSB_IiEEEESF_jNS0_19identity_decomposerENS1_16block_id_wrapperIjLb1EEEEE10hipError_tT1_PNSt15iterator_traitsISK_E10value_typeET2_T3_PNSL_ISQ_E10value_typeET4_T5_PSV_SW_PNS1_23onesweep_lookback_stateEbbT6_jjT7_P12ihipStream_tbENKUlT_T0_SK_SP_E_clIPbSD_PiSF_EEDaS13_S14_SK_SP_EUlS13_E_NS1_11comp_targetILNS1_3genE5ELNS1_11target_archE942ELNS1_3gpuE9ELNS1_3repE0EEENS1_47radix_sort_onesweep_sort_config_static_selectorELNS0_4arch9wavefront6targetE1EEEvSK_.kd
    .uniform_work_group_size: 1
    .uses_dynamic_stack: false
    .vgpr_count:     0
    .vgpr_spill_count: 0
    .wavefront_size: 64
  - .agpr_count:     0
    .args:
      - .offset:         0
        .size:           88
        .value_kind:     by_value
    .group_segment_fixed_size: 0
    .kernarg_segment_align: 8
    .kernarg_segment_size: 88
    .language:       OpenCL C
    .language_version:
      - 2
      - 0
    .max_flat_workgroup_size: 512
    .name:           _ZN7rocprim17ROCPRIM_400000_NS6detail17trampoline_kernelINS0_14default_configENS1_35radix_sort_onesweep_config_selectorIbiEEZZNS1_29radix_sort_onesweep_iterationIS3_Lb1EN6thrust23THRUST_200600_302600_NS6detail15normal_iteratorINS8_10device_ptrIbEEEESD_NSA_INSB_IiEEEESF_jNS0_19identity_decomposerENS1_16block_id_wrapperIjLb1EEEEE10hipError_tT1_PNSt15iterator_traitsISK_E10value_typeET2_T3_PNSL_ISQ_E10value_typeET4_T5_PSV_SW_PNS1_23onesweep_lookback_stateEbbT6_jjT7_P12ihipStream_tbENKUlT_T0_SK_SP_E_clIPbSD_PiSF_EEDaS13_S14_SK_SP_EUlS13_E_NS1_11comp_targetILNS1_3genE2ELNS1_11target_archE906ELNS1_3gpuE6ELNS1_3repE0EEENS1_47radix_sort_onesweep_sort_config_static_selectorELNS0_4arch9wavefront6targetE1EEEvSK_
    .private_segment_fixed_size: 0
    .sgpr_count:     6
    .sgpr_spill_count: 0
    .symbol:         _ZN7rocprim17ROCPRIM_400000_NS6detail17trampoline_kernelINS0_14default_configENS1_35radix_sort_onesweep_config_selectorIbiEEZZNS1_29radix_sort_onesweep_iterationIS3_Lb1EN6thrust23THRUST_200600_302600_NS6detail15normal_iteratorINS8_10device_ptrIbEEEESD_NSA_INSB_IiEEEESF_jNS0_19identity_decomposerENS1_16block_id_wrapperIjLb1EEEEE10hipError_tT1_PNSt15iterator_traitsISK_E10value_typeET2_T3_PNSL_ISQ_E10value_typeET4_T5_PSV_SW_PNS1_23onesweep_lookback_stateEbbT6_jjT7_P12ihipStream_tbENKUlT_T0_SK_SP_E_clIPbSD_PiSF_EEDaS13_S14_SK_SP_EUlS13_E_NS1_11comp_targetILNS1_3genE2ELNS1_11target_archE906ELNS1_3gpuE6ELNS1_3repE0EEENS1_47radix_sort_onesweep_sort_config_static_selectorELNS0_4arch9wavefront6targetE1EEEvSK_.kd
    .uniform_work_group_size: 1
    .uses_dynamic_stack: false
    .vgpr_count:     0
    .vgpr_spill_count: 0
    .wavefront_size: 64
  - .agpr_count:     0
    .args:
      - .offset:         0
        .size:           88
        .value_kind:     by_value
    .group_segment_fixed_size: 0
    .kernarg_segment_align: 8
    .kernarg_segment_size: 88
    .language:       OpenCL C
    .language_version:
      - 2
      - 0
    .max_flat_workgroup_size: 512
    .name:           _ZN7rocprim17ROCPRIM_400000_NS6detail17trampoline_kernelINS0_14default_configENS1_35radix_sort_onesweep_config_selectorIbiEEZZNS1_29radix_sort_onesweep_iterationIS3_Lb1EN6thrust23THRUST_200600_302600_NS6detail15normal_iteratorINS8_10device_ptrIbEEEESD_NSA_INSB_IiEEEESF_jNS0_19identity_decomposerENS1_16block_id_wrapperIjLb1EEEEE10hipError_tT1_PNSt15iterator_traitsISK_E10value_typeET2_T3_PNSL_ISQ_E10value_typeET4_T5_PSV_SW_PNS1_23onesweep_lookback_stateEbbT6_jjT7_P12ihipStream_tbENKUlT_T0_SK_SP_E_clIPbSD_PiSF_EEDaS13_S14_SK_SP_EUlS13_E_NS1_11comp_targetILNS1_3genE4ELNS1_11target_archE910ELNS1_3gpuE8ELNS1_3repE0EEENS1_47radix_sort_onesweep_sort_config_static_selectorELNS0_4arch9wavefront6targetE1EEEvSK_
    .private_segment_fixed_size: 0
    .sgpr_count:     6
    .sgpr_spill_count: 0
    .symbol:         _ZN7rocprim17ROCPRIM_400000_NS6detail17trampoline_kernelINS0_14default_configENS1_35radix_sort_onesweep_config_selectorIbiEEZZNS1_29radix_sort_onesweep_iterationIS3_Lb1EN6thrust23THRUST_200600_302600_NS6detail15normal_iteratorINS8_10device_ptrIbEEEESD_NSA_INSB_IiEEEESF_jNS0_19identity_decomposerENS1_16block_id_wrapperIjLb1EEEEE10hipError_tT1_PNSt15iterator_traitsISK_E10value_typeET2_T3_PNSL_ISQ_E10value_typeET4_T5_PSV_SW_PNS1_23onesweep_lookback_stateEbbT6_jjT7_P12ihipStream_tbENKUlT_T0_SK_SP_E_clIPbSD_PiSF_EEDaS13_S14_SK_SP_EUlS13_E_NS1_11comp_targetILNS1_3genE4ELNS1_11target_archE910ELNS1_3gpuE8ELNS1_3repE0EEENS1_47radix_sort_onesweep_sort_config_static_selectorELNS0_4arch9wavefront6targetE1EEEvSK_.kd
    .uniform_work_group_size: 1
    .uses_dynamic_stack: false
    .vgpr_count:     0
    .vgpr_spill_count: 0
    .wavefront_size: 64
  - .agpr_count:     0
    .args:
      - .offset:         0
        .size:           88
        .value_kind:     by_value
    .group_segment_fixed_size: 0
    .kernarg_segment_align: 8
    .kernarg_segment_size: 88
    .language:       OpenCL C
    .language_version:
      - 2
      - 0
    .max_flat_workgroup_size: 1024
    .name:           _ZN7rocprim17ROCPRIM_400000_NS6detail17trampoline_kernelINS0_14default_configENS1_35radix_sort_onesweep_config_selectorIbiEEZZNS1_29radix_sort_onesweep_iterationIS3_Lb1EN6thrust23THRUST_200600_302600_NS6detail15normal_iteratorINS8_10device_ptrIbEEEESD_NSA_INSB_IiEEEESF_jNS0_19identity_decomposerENS1_16block_id_wrapperIjLb1EEEEE10hipError_tT1_PNSt15iterator_traitsISK_E10value_typeET2_T3_PNSL_ISQ_E10value_typeET4_T5_PSV_SW_PNS1_23onesweep_lookback_stateEbbT6_jjT7_P12ihipStream_tbENKUlT_T0_SK_SP_E_clIPbSD_PiSF_EEDaS13_S14_SK_SP_EUlS13_E_NS1_11comp_targetILNS1_3genE3ELNS1_11target_archE908ELNS1_3gpuE7ELNS1_3repE0EEENS1_47radix_sort_onesweep_sort_config_static_selectorELNS0_4arch9wavefront6targetE1EEEvSK_
    .private_segment_fixed_size: 0
    .sgpr_count:     6
    .sgpr_spill_count: 0
    .symbol:         _ZN7rocprim17ROCPRIM_400000_NS6detail17trampoline_kernelINS0_14default_configENS1_35radix_sort_onesweep_config_selectorIbiEEZZNS1_29radix_sort_onesweep_iterationIS3_Lb1EN6thrust23THRUST_200600_302600_NS6detail15normal_iteratorINS8_10device_ptrIbEEEESD_NSA_INSB_IiEEEESF_jNS0_19identity_decomposerENS1_16block_id_wrapperIjLb1EEEEE10hipError_tT1_PNSt15iterator_traitsISK_E10value_typeET2_T3_PNSL_ISQ_E10value_typeET4_T5_PSV_SW_PNS1_23onesweep_lookback_stateEbbT6_jjT7_P12ihipStream_tbENKUlT_T0_SK_SP_E_clIPbSD_PiSF_EEDaS13_S14_SK_SP_EUlS13_E_NS1_11comp_targetILNS1_3genE3ELNS1_11target_archE908ELNS1_3gpuE7ELNS1_3repE0EEENS1_47radix_sort_onesweep_sort_config_static_selectorELNS0_4arch9wavefront6targetE1EEEvSK_.kd
    .uniform_work_group_size: 1
    .uses_dynamic_stack: false
    .vgpr_count:     0
    .vgpr_spill_count: 0
    .wavefront_size: 64
  - .agpr_count:     0
    .args:
      - .offset:         0
        .size:           88
        .value_kind:     by_value
    .group_segment_fixed_size: 0
    .kernarg_segment_align: 8
    .kernarg_segment_size: 88
    .language:       OpenCL C
    .language_version:
      - 2
      - 0
    .max_flat_workgroup_size: 1024
    .name:           _ZN7rocprim17ROCPRIM_400000_NS6detail17trampoline_kernelINS0_14default_configENS1_35radix_sort_onesweep_config_selectorIbiEEZZNS1_29radix_sort_onesweep_iterationIS3_Lb1EN6thrust23THRUST_200600_302600_NS6detail15normal_iteratorINS8_10device_ptrIbEEEESD_NSA_INSB_IiEEEESF_jNS0_19identity_decomposerENS1_16block_id_wrapperIjLb1EEEEE10hipError_tT1_PNSt15iterator_traitsISK_E10value_typeET2_T3_PNSL_ISQ_E10value_typeET4_T5_PSV_SW_PNS1_23onesweep_lookback_stateEbbT6_jjT7_P12ihipStream_tbENKUlT_T0_SK_SP_E_clIPbSD_PiSF_EEDaS13_S14_SK_SP_EUlS13_E_NS1_11comp_targetILNS1_3genE10ELNS1_11target_archE1201ELNS1_3gpuE5ELNS1_3repE0EEENS1_47radix_sort_onesweep_sort_config_static_selectorELNS0_4arch9wavefront6targetE1EEEvSK_
    .private_segment_fixed_size: 0
    .sgpr_count:     6
    .sgpr_spill_count: 0
    .symbol:         _ZN7rocprim17ROCPRIM_400000_NS6detail17trampoline_kernelINS0_14default_configENS1_35radix_sort_onesweep_config_selectorIbiEEZZNS1_29radix_sort_onesweep_iterationIS3_Lb1EN6thrust23THRUST_200600_302600_NS6detail15normal_iteratorINS8_10device_ptrIbEEEESD_NSA_INSB_IiEEEESF_jNS0_19identity_decomposerENS1_16block_id_wrapperIjLb1EEEEE10hipError_tT1_PNSt15iterator_traitsISK_E10value_typeET2_T3_PNSL_ISQ_E10value_typeET4_T5_PSV_SW_PNS1_23onesweep_lookback_stateEbbT6_jjT7_P12ihipStream_tbENKUlT_T0_SK_SP_E_clIPbSD_PiSF_EEDaS13_S14_SK_SP_EUlS13_E_NS1_11comp_targetILNS1_3genE10ELNS1_11target_archE1201ELNS1_3gpuE5ELNS1_3repE0EEENS1_47radix_sort_onesweep_sort_config_static_selectorELNS0_4arch9wavefront6targetE1EEEvSK_.kd
    .uniform_work_group_size: 1
    .uses_dynamic_stack: false
    .vgpr_count:     0
    .vgpr_spill_count: 0
    .wavefront_size: 64
  - .agpr_count:     0
    .args:
      - .offset:         0
        .size:           88
        .value_kind:     by_value
    .group_segment_fixed_size: 0
    .kernarg_segment_align: 8
    .kernarg_segment_size: 88
    .language:       OpenCL C
    .language_version:
      - 2
      - 0
    .max_flat_workgroup_size: 1024
    .name:           _ZN7rocprim17ROCPRIM_400000_NS6detail17trampoline_kernelINS0_14default_configENS1_35radix_sort_onesweep_config_selectorIbiEEZZNS1_29radix_sort_onesweep_iterationIS3_Lb1EN6thrust23THRUST_200600_302600_NS6detail15normal_iteratorINS8_10device_ptrIbEEEESD_NSA_INSB_IiEEEESF_jNS0_19identity_decomposerENS1_16block_id_wrapperIjLb1EEEEE10hipError_tT1_PNSt15iterator_traitsISK_E10value_typeET2_T3_PNSL_ISQ_E10value_typeET4_T5_PSV_SW_PNS1_23onesweep_lookback_stateEbbT6_jjT7_P12ihipStream_tbENKUlT_T0_SK_SP_E_clIPbSD_PiSF_EEDaS13_S14_SK_SP_EUlS13_E_NS1_11comp_targetILNS1_3genE9ELNS1_11target_archE1100ELNS1_3gpuE3ELNS1_3repE0EEENS1_47radix_sort_onesweep_sort_config_static_selectorELNS0_4arch9wavefront6targetE1EEEvSK_
    .private_segment_fixed_size: 0
    .sgpr_count:     6
    .sgpr_spill_count: 0
    .symbol:         _ZN7rocprim17ROCPRIM_400000_NS6detail17trampoline_kernelINS0_14default_configENS1_35radix_sort_onesweep_config_selectorIbiEEZZNS1_29radix_sort_onesweep_iterationIS3_Lb1EN6thrust23THRUST_200600_302600_NS6detail15normal_iteratorINS8_10device_ptrIbEEEESD_NSA_INSB_IiEEEESF_jNS0_19identity_decomposerENS1_16block_id_wrapperIjLb1EEEEE10hipError_tT1_PNSt15iterator_traitsISK_E10value_typeET2_T3_PNSL_ISQ_E10value_typeET4_T5_PSV_SW_PNS1_23onesweep_lookback_stateEbbT6_jjT7_P12ihipStream_tbENKUlT_T0_SK_SP_E_clIPbSD_PiSF_EEDaS13_S14_SK_SP_EUlS13_E_NS1_11comp_targetILNS1_3genE9ELNS1_11target_archE1100ELNS1_3gpuE3ELNS1_3repE0EEENS1_47radix_sort_onesweep_sort_config_static_selectorELNS0_4arch9wavefront6targetE1EEEvSK_.kd
    .uniform_work_group_size: 1
    .uses_dynamic_stack: false
    .vgpr_count:     0
    .vgpr_spill_count: 0
    .wavefront_size: 64
  - .agpr_count:     0
    .args:
      - .offset:         0
        .size:           88
        .value_kind:     by_value
    .group_segment_fixed_size: 0
    .kernarg_segment_align: 8
    .kernarg_segment_size: 88
    .language:       OpenCL C
    .language_version:
      - 2
      - 0
    .max_flat_workgroup_size: 1024
    .name:           _ZN7rocprim17ROCPRIM_400000_NS6detail17trampoline_kernelINS0_14default_configENS1_35radix_sort_onesweep_config_selectorIbiEEZZNS1_29radix_sort_onesweep_iterationIS3_Lb1EN6thrust23THRUST_200600_302600_NS6detail15normal_iteratorINS8_10device_ptrIbEEEESD_NSA_INSB_IiEEEESF_jNS0_19identity_decomposerENS1_16block_id_wrapperIjLb1EEEEE10hipError_tT1_PNSt15iterator_traitsISK_E10value_typeET2_T3_PNSL_ISQ_E10value_typeET4_T5_PSV_SW_PNS1_23onesweep_lookback_stateEbbT6_jjT7_P12ihipStream_tbENKUlT_T0_SK_SP_E_clIPbSD_PiSF_EEDaS13_S14_SK_SP_EUlS13_E_NS1_11comp_targetILNS1_3genE8ELNS1_11target_archE1030ELNS1_3gpuE2ELNS1_3repE0EEENS1_47radix_sort_onesweep_sort_config_static_selectorELNS0_4arch9wavefront6targetE1EEEvSK_
    .private_segment_fixed_size: 0
    .sgpr_count:     6
    .sgpr_spill_count: 0
    .symbol:         _ZN7rocprim17ROCPRIM_400000_NS6detail17trampoline_kernelINS0_14default_configENS1_35radix_sort_onesweep_config_selectorIbiEEZZNS1_29radix_sort_onesweep_iterationIS3_Lb1EN6thrust23THRUST_200600_302600_NS6detail15normal_iteratorINS8_10device_ptrIbEEEESD_NSA_INSB_IiEEEESF_jNS0_19identity_decomposerENS1_16block_id_wrapperIjLb1EEEEE10hipError_tT1_PNSt15iterator_traitsISK_E10value_typeET2_T3_PNSL_ISQ_E10value_typeET4_T5_PSV_SW_PNS1_23onesweep_lookback_stateEbbT6_jjT7_P12ihipStream_tbENKUlT_T0_SK_SP_E_clIPbSD_PiSF_EEDaS13_S14_SK_SP_EUlS13_E_NS1_11comp_targetILNS1_3genE8ELNS1_11target_archE1030ELNS1_3gpuE2ELNS1_3repE0EEENS1_47radix_sort_onesweep_sort_config_static_selectorELNS0_4arch9wavefront6targetE1EEEvSK_.kd
    .uniform_work_group_size: 1
    .uses_dynamic_stack: false
    .vgpr_count:     0
    .vgpr_spill_count: 0
    .wavefront_size: 64
  - .agpr_count:     0
    .args:
      - .offset:         0
        .size:           88
        .value_kind:     by_value
    .group_segment_fixed_size: 0
    .kernarg_segment_align: 8
    .kernarg_segment_size: 88
    .language:       OpenCL C
    .language_version:
      - 2
      - 0
    .max_flat_workgroup_size: 1024
    .name:           _ZN7rocprim17ROCPRIM_400000_NS6detail17trampoline_kernelINS0_14default_configENS1_35radix_sort_onesweep_config_selectorIbiEEZZNS1_29radix_sort_onesweep_iterationIS3_Lb1EN6thrust23THRUST_200600_302600_NS6detail15normal_iteratorINS8_10device_ptrIbEEEESD_NSA_INSB_IiEEEESF_jNS0_19identity_decomposerENS1_16block_id_wrapperIjLb0EEEEE10hipError_tT1_PNSt15iterator_traitsISK_E10value_typeET2_T3_PNSL_ISQ_E10value_typeET4_T5_PSV_SW_PNS1_23onesweep_lookback_stateEbbT6_jjT7_P12ihipStream_tbENKUlT_T0_SK_SP_E_clISD_SD_SF_SF_EEDaS13_S14_SK_SP_EUlS13_E_NS1_11comp_targetILNS1_3genE0ELNS1_11target_archE4294967295ELNS1_3gpuE0ELNS1_3repE0EEENS1_47radix_sort_onesweep_sort_config_static_selectorELNS0_4arch9wavefront6targetE1EEEvSK_
    .private_segment_fixed_size: 0
    .sgpr_count:     6
    .sgpr_spill_count: 0
    .symbol:         _ZN7rocprim17ROCPRIM_400000_NS6detail17trampoline_kernelINS0_14default_configENS1_35radix_sort_onesweep_config_selectorIbiEEZZNS1_29radix_sort_onesweep_iterationIS3_Lb1EN6thrust23THRUST_200600_302600_NS6detail15normal_iteratorINS8_10device_ptrIbEEEESD_NSA_INSB_IiEEEESF_jNS0_19identity_decomposerENS1_16block_id_wrapperIjLb0EEEEE10hipError_tT1_PNSt15iterator_traitsISK_E10value_typeET2_T3_PNSL_ISQ_E10value_typeET4_T5_PSV_SW_PNS1_23onesweep_lookback_stateEbbT6_jjT7_P12ihipStream_tbENKUlT_T0_SK_SP_E_clISD_SD_SF_SF_EEDaS13_S14_SK_SP_EUlS13_E_NS1_11comp_targetILNS1_3genE0ELNS1_11target_archE4294967295ELNS1_3gpuE0ELNS1_3repE0EEENS1_47radix_sort_onesweep_sort_config_static_selectorELNS0_4arch9wavefront6targetE1EEEvSK_.kd
    .uniform_work_group_size: 1
    .uses_dynamic_stack: false
    .vgpr_count:     0
    .vgpr_spill_count: 0
    .wavefront_size: 64
  - .agpr_count:     0
    .args:
      - .offset:         0
        .size:           88
        .value_kind:     by_value
      - .offset:         88
        .size:           4
        .value_kind:     hidden_block_count_x
      - .offset:         92
        .size:           4
        .value_kind:     hidden_block_count_y
      - .offset:         96
        .size:           4
        .value_kind:     hidden_block_count_z
      - .offset:         100
        .size:           2
        .value_kind:     hidden_group_size_x
      - .offset:         102
        .size:           2
        .value_kind:     hidden_group_size_y
      - .offset:         104
        .size:           2
        .value_kind:     hidden_group_size_z
      - .offset:         106
        .size:           2
        .value_kind:     hidden_remainder_x
      - .offset:         108
        .size:           2
        .value_kind:     hidden_remainder_y
      - .offset:         110
        .size:           2
        .value_kind:     hidden_remainder_z
      - .offset:         128
        .size:           8
        .value_kind:     hidden_global_offset_x
      - .offset:         136
        .size:           8
        .value_kind:     hidden_global_offset_y
      - .offset:         144
        .size:           8
        .value_kind:     hidden_global_offset_z
      - .offset:         152
        .size:           2
        .value_kind:     hidden_grid_dims
    .group_segment_fixed_size: 20552
    .kernarg_segment_align: 8
    .kernarg_segment_size: 344
    .language:       OpenCL C
    .language_version:
      - 2
      - 0
    .max_flat_workgroup_size: 1024
    .name:           _ZN7rocprim17ROCPRIM_400000_NS6detail17trampoline_kernelINS0_14default_configENS1_35radix_sort_onesweep_config_selectorIbiEEZZNS1_29radix_sort_onesweep_iterationIS3_Lb1EN6thrust23THRUST_200600_302600_NS6detail15normal_iteratorINS8_10device_ptrIbEEEESD_NSA_INSB_IiEEEESF_jNS0_19identity_decomposerENS1_16block_id_wrapperIjLb0EEEEE10hipError_tT1_PNSt15iterator_traitsISK_E10value_typeET2_T3_PNSL_ISQ_E10value_typeET4_T5_PSV_SW_PNS1_23onesweep_lookback_stateEbbT6_jjT7_P12ihipStream_tbENKUlT_T0_SK_SP_E_clISD_SD_SF_SF_EEDaS13_S14_SK_SP_EUlS13_E_NS1_11comp_targetILNS1_3genE6ELNS1_11target_archE950ELNS1_3gpuE13ELNS1_3repE0EEENS1_47radix_sort_onesweep_sort_config_static_selectorELNS0_4arch9wavefront6targetE1EEEvSK_
    .private_segment_fixed_size: 80
    .sgpr_count:     98
    .sgpr_spill_count: 0
    .symbol:         _ZN7rocprim17ROCPRIM_400000_NS6detail17trampoline_kernelINS0_14default_configENS1_35radix_sort_onesweep_config_selectorIbiEEZZNS1_29radix_sort_onesweep_iterationIS3_Lb1EN6thrust23THRUST_200600_302600_NS6detail15normal_iteratorINS8_10device_ptrIbEEEESD_NSA_INSB_IiEEEESF_jNS0_19identity_decomposerENS1_16block_id_wrapperIjLb0EEEEE10hipError_tT1_PNSt15iterator_traitsISK_E10value_typeET2_T3_PNSL_ISQ_E10value_typeET4_T5_PSV_SW_PNS1_23onesweep_lookback_stateEbbT6_jjT7_P12ihipStream_tbENKUlT_T0_SK_SP_E_clISD_SD_SF_SF_EEDaS13_S14_SK_SP_EUlS13_E_NS1_11comp_targetILNS1_3genE6ELNS1_11target_archE950ELNS1_3gpuE13ELNS1_3repE0EEENS1_47radix_sort_onesweep_sort_config_static_selectorELNS0_4arch9wavefront6targetE1EEEvSK_.kd
    .uniform_work_group_size: 1
    .uses_dynamic_stack: false
    .vgpr_count:     100
    .vgpr_spill_count: 0
    .wavefront_size: 64
  - .agpr_count:     0
    .args:
      - .offset:         0
        .size:           88
        .value_kind:     by_value
    .group_segment_fixed_size: 0
    .kernarg_segment_align: 8
    .kernarg_segment_size: 88
    .language:       OpenCL C
    .language_version:
      - 2
      - 0
    .max_flat_workgroup_size: 1024
    .name:           _ZN7rocprim17ROCPRIM_400000_NS6detail17trampoline_kernelINS0_14default_configENS1_35radix_sort_onesweep_config_selectorIbiEEZZNS1_29radix_sort_onesweep_iterationIS3_Lb1EN6thrust23THRUST_200600_302600_NS6detail15normal_iteratorINS8_10device_ptrIbEEEESD_NSA_INSB_IiEEEESF_jNS0_19identity_decomposerENS1_16block_id_wrapperIjLb0EEEEE10hipError_tT1_PNSt15iterator_traitsISK_E10value_typeET2_T3_PNSL_ISQ_E10value_typeET4_T5_PSV_SW_PNS1_23onesweep_lookback_stateEbbT6_jjT7_P12ihipStream_tbENKUlT_T0_SK_SP_E_clISD_SD_SF_SF_EEDaS13_S14_SK_SP_EUlS13_E_NS1_11comp_targetILNS1_3genE5ELNS1_11target_archE942ELNS1_3gpuE9ELNS1_3repE0EEENS1_47radix_sort_onesweep_sort_config_static_selectorELNS0_4arch9wavefront6targetE1EEEvSK_
    .private_segment_fixed_size: 0
    .sgpr_count:     6
    .sgpr_spill_count: 0
    .symbol:         _ZN7rocprim17ROCPRIM_400000_NS6detail17trampoline_kernelINS0_14default_configENS1_35radix_sort_onesweep_config_selectorIbiEEZZNS1_29radix_sort_onesweep_iterationIS3_Lb1EN6thrust23THRUST_200600_302600_NS6detail15normal_iteratorINS8_10device_ptrIbEEEESD_NSA_INSB_IiEEEESF_jNS0_19identity_decomposerENS1_16block_id_wrapperIjLb0EEEEE10hipError_tT1_PNSt15iterator_traitsISK_E10value_typeET2_T3_PNSL_ISQ_E10value_typeET4_T5_PSV_SW_PNS1_23onesweep_lookback_stateEbbT6_jjT7_P12ihipStream_tbENKUlT_T0_SK_SP_E_clISD_SD_SF_SF_EEDaS13_S14_SK_SP_EUlS13_E_NS1_11comp_targetILNS1_3genE5ELNS1_11target_archE942ELNS1_3gpuE9ELNS1_3repE0EEENS1_47radix_sort_onesweep_sort_config_static_selectorELNS0_4arch9wavefront6targetE1EEEvSK_.kd
    .uniform_work_group_size: 1
    .uses_dynamic_stack: false
    .vgpr_count:     0
    .vgpr_spill_count: 0
    .wavefront_size: 64
  - .agpr_count:     0
    .args:
      - .offset:         0
        .size:           88
        .value_kind:     by_value
    .group_segment_fixed_size: 0
    .kernarg_segment_align: 8
    .kernarg_segment_size: 88
    .language:       OpenCL C
    .language_version:
      - 2
      - 0
    .max_flat_workgroup_size: 512
    .name:           _ZN7rocprim17ROCPRIM_400000_NS6detail17trampoline_kernelINS0_14default_configENS1_35radix_sort_onesweep_config_selectorIbiEEZZNS1_29radix_sort_onesweep_iterationIS3_Lb1EN6thrust23THRUST_200600_302600_NS6detail15normal_iteratorINS8_10device_ptrIbEEEESD_NSA_INSB_IiEEEESF_jNS0_19identity_decomposerENS1_16block_id_wrapperIjLb0EEEEE10hipError_tT1_PNSt15iterator_traitsISK_E10value_typeET2_T3_PNSL_ISQ_E10value_typeET4_T5_PSV_SW_PNS1_23onesweep_lookback_stateEbbT6_jjT7_P12ihipStream_tbENKUlT_T0_SK_SP_E_clISD_SD_SF_SF_EEDaS13_S14_SK_SP_EUlS13_E_NS1_11comp_targetILNS1_3genE2ELNS1_11target_archE906ELNS1_3gpuE6ELNS1_3repE0EEENS1_47radix_sort_onesweep_sort_config_static_selectorELNS0_4arch9wavefront6targetE1EEEvSK_
    .private_segment_fixed_size: 0
    .sgpr_count:     6
    .sgpr_spill_count: 0
    .symbol:         _ZN7rocprim17ROCPRIM_400000_NS6detail17trampoline_kernelINS0_14default_configENS1_35radix_sort_onesweep_config_selectorIbiEEZZNS1_29radix_sort_onesweep_iterationIS3_Lb1EN6thrust23THRUST_200600_302600_NS6detail15normal_iteratorINS8_10device_ptrIbEEEESD_NSA_INSB_IiEEEESF_jNS0_19identity_decomposerENS1_16block_id_wrapperIjLb0EEEEE10hipError_tT1_PNSt15iterator_traitsISK_E10value_typeET2_T3_PNSL_ISQ_E10value_typeET4_T5_PSV_SW_PNS1_23onesweep_lookback_stateEbbT6_jjT7_P12ihipStream_tbENKUlT_T0_SK_SP_E_clISD_SD_SF_SF_EEDaS13_S14_SK_SP_EUlS13_E_NS1_11comp_targetILNS1_3genE2ELNS1_11target_archE906ELNS1_3gpuE6ELNS1_3repE0EEENS1_47radix_sort_onesweep_sort_config_static_selectorELNS0_4arch9wavefront6targetE1EEEvSK_.kd
    .uniform_work_group_size: 1
    .uses_dynamic_stack: false
    .vgpr_count:     0
    .vgpr_spill_count: 0
    .wavefront_size: 64
  - .agpr_count:     0
    .args:
      - .offset:         0
        .size:           88
        .value_kind:     by_value
    .group_segment_fixed_size: 0
    .kernarg_segment_align: 8
    .kernarg_segment_size: 88
    .language:       OpenCL C
    .language_version:
      - 2
      - 0
    .max_flat_workgroup_size: 512
    .name:           _ZN7rocprim17ROCPRIM_400000_NS6detail17trampoline_kernelINS0_14default_configENS1_35radix_sort_onesweep_config_selectorIbiEEZZNS1_29radix_sort_onesweep_iterationIS3_Lb1EN6thrust23THRUST_200600_302600_NS6detail15normal_iteratorINS8_10device_ptrIbEEEESD_NSA_INSB_IiEEEESF_jNS0_19identity_decomposerENS1_16block_id_wrapperIjLb0EEEEE10hipError_tT1_PNSt15iterator_traitsISK_E10value_typeET2_T3_PNSL_ISQ_E10value_typeET4_T5_PSV_SW_PNS1_23onesweep_lookback_stateEbbT6_jjT7_P12ihipStream_tbENKUlT_T0_SK_SP_E_clISD_SD_SF_SF_EEDaS13_S14_SK_SP_EUlS13_E_NS1_11comp_targetILNS1_3genE4ELNS1_11target_archE910ELNS1_3gpuE8ELNS1_3repE0EEENS1_47radix_sort_onesweep_sort_config_static_selectorELNS0_4arch9wavefront6targetE1EEEvSK_
    .private_segment_fixed_size: 0
    .sgpr_count:     6
    .sgpr_spill_count: 0
    .symbol:         _ZN7rocprim17ROCPRIM_400000_NS6detail17trampoline_kernelINS0_14default_configENS1_35radix_sort_onesweep_config_selectorIbiEEZZNS1_29radix_sort_onesweep_iterationIS3_Lb1EN6thrust23THRUST_200600_302600_NS6detail15normal_iteratorINS8_10device_ptrIbEEEESD_NSA_INSB_IiEEEESF_jNS0_19identity_decomposerENS1_16block_id_wrapperIjLb0EEEEE10hipError_tT1_PNSt15iterator_traitsISK_E10value_typeET2_T3_PNSL_ISQ_E10value_typeET4_T5_PSV_SW_PNS1_23onesweep_lookback_stateEbbT6_jjT7_P12ihipStream_tbENKUlT_T0_SK_SP_E_clISD_SD_SF_SF_EEDaS13_S14_SK_SP_EUlS13_E_NS1_11comp_targetILNS1_3genE4ELNS1_11target_archE910ELNS1_3gpuE8ELNS1_3repE0EEENS1_47radix_sort_onesweep_sort_config_static_selectorELNS0_4arch9wavefront6targetE1EEEvSK_.kd
    .uniform_work_group_size: 1
    .uses_dynamic_stack: false
    .vgpr_count:     0
    .vgpr_spill_count: 0
    .wavefront_size: 64
  - .agpr_count:     0
    .args:
      - .offset:         0
        .size:           88
        .value_kind:     by_value
    .group_segment_fixed_size: 0
    .kernarg_segment_align: 8
    .kernarg_segment_size: 88
    .language:       OpenCL C
    .language_version:
      - 2
      - 0
    .max_flat_workgroup_size: 1024
    .name:           _ZN7rocprim17ROCPRIM_400000_NS6detail17trampoline_kernelINS0_14default_configENS1_35radix_sort_onesweep_config_selectorIbiEEZZNS1_29radix_sort_onesweep_iterationIS3_Lb1EN6thrust23THRUST_200600_302600_NS6detail15normal_iteratorINS8_10device_ptrIbEEEESD_NSA_INSB_IiEEEESF_jNS0_19identity_decomposerENS1_16block_id_wrapperIjLb0EEEEE10hipError_tT1_PNSt15iterator_traitsISK_E10value_typeET2_T3_PNSL_ISQ_E10value_typeET4_T5_PSV_SW_PNS1_23onesweep_lookback_stateEbbT6_jjT7_P12ihipStream_tbENKUlT_T0_SK_SP_E_clISD_SD_SF_SF_EEDaS13_S14_SK_SP_EUlS13_E_NS1_11comp_targetILNS1_3genE3ELNS1_11target_archE908ELNS1_3gpuE7ELNS1_3repE0EEENS1_47radix_sort_onesweep_sort_config_static_selectorELNS0_4arch9wavefront6targetE1EEEvSK_
    .private_segment_fixed_size: 0
    .sgpr_count:     6
    .sgpr_spill_count: 0
    .symbol:         _ZN7rocprim17ROCPRIM_400000_NS6detail17trampoline_kernelINS0_14default_configENS1_35radix_sort_onesweep_config_selectorIbiEEZZNS1_29radix_sort_onesweep_iterationIS3_Lb1EN6thrust23THRUST_200600_302600_NS6detail15normal_iteratorINS8_10device_ptrIbEEEESD_NSA_INSB_IiEEEESF_jNS0_19identity_decomposerENS1_16block_id_wrapperIjLb0EEEEE10hipError_tT1_PNSt15iterator_traitsISK_E10value_typeET2_T3_PNSL_ISQ_E10value_typeET4_T5_PSV_SW_PNS1_23onesweep_lookback_stateEbbT6_jjT7_P12ihipStream_tbENKUlT_T0_SK_SP_E_clISD_SD_SF_SF_EEDaS13_S14_SK_SP_EUlS13_E_NS1_11comp_targetILNS1_3genE3ELNS1_11target_archE908ELNS1_3gpuE7ELNS1_3repE0EEENS1_47radix_sort_onesweep_sort_config_static_selectorELNS0_4arch9wavefront6targetE1EEEvSK_.kd
    .uniform_work_group_size: 1
    .uses_dynamic_stack: false
    .vgpr_count:     0
    .vgpr_spill_count: 0
    .wavefront_size: 64
  - .agpr_count:     0
    .args:
      - .offset:         0
        .size:           88
        .value_kind:     by_value
    .group_segment_fixed_size: 0
    .kernarg_segment_align: 8
    .kernarg_segment_size: 88
    .language:       OpenCL C
    .language_version:
      - 2
      - 0
    .max_flat_workgroup_size: 1024
    .name:           _ZN7rocprim17ROCPRIM_400000_NS6detail17trampoline_kernelINS0_14default_configENS1_35radix_sort_onesweep_config_selectorIbiEEZZNS1_29radix_sort_onesweep_iterationIS3_Lb1EN6thrust23THRUST_200600_302600_NS6detail15normal_iteratorINS8_10device_ptrIbEEEESD_NSA_INSB_IiEEEESF_jNS0_19identity_decomposerENS1_16block_id_wrapperIjLb0EEEEE10hipError_tT1_PNSt15iterator_traitsISK_E10value_typeET2_T3_PNSL_ISQ_E10value_typeET4_T5_PSV_SW_PNS1_23onesweep_lookback_stateEbbT6_jjT7_P12ihipStream_tbENKUlT_T0_SK_SP_E_clISD_SD_SF_SF_EEDaS13_S14_SK_SP_EUlS13_E_NS1_11comp_targetILNS1_3genE10ELNS1_11target_archE1201ELNS1_3gpuE5ELNS1_3repE0EEENS1_47radix_sort_onesweep_sort_config_static_selectorELNS0_4arch9wavefront6targetE1EEEvSK_
    .private_segment_fixed_size: 0
    .sgpr_count:     6
    .sgpr_spill_count: 0
    .symbol:         _ZN7rocprim17ROCPRIM_400000_NS6detail17trampoline_kernelINS0_14default_configENS1_35radix_sort_onesweep_config_selectorIbiEEZZNS1_29radix_sort_onesweep_iterationIS3_Lb1EN6thrust23THRUST_200600_302600_NS6detail15normal_iteratorINS8_10device_ptrIbEEEESD_NSA_INSB_IiEEEESF_jNS0_19identity_decomposerENS1_16block_id_wrapperIjLb0EEEEE10hipError_tT1_PNSt15iterator_traitsISK_E10value_typeET2_T3_PNSL_ISQ_E10value_typeET4_T5_PSV_SW_PNS1_23onesweep_lookback_stateEbbT6_jjT7_P12ihipStream_tbENKUlT_T0_SK_SP_E_clISD_SD_SF_SF_EEDaS13_S14_SK_SP_EUlS13_E_NS1_11comp_targetILNS1_3genE10ELNS1_11target_archE1201ELNS1_3gpuE5ELNS1_3repE0EEENS1_47radix_sort_onesweep_sort_config_static_selectorELNS0_4arch9wavefront6targetE1EEEvSK_.kd
    .uniform_work_group_size: 1
    .uses_dynamic_stack: false
    .vgpr_count:     0
    .vgpr_spill_count: 0
    .wavefront_size: 64
  - .agpr_count:     0
    .args:
      - .offset:         0
        .size:           88
        .value_kind:     by_value
    .group_segment_fixed_size: 0
    .kernarg_segment_align: 8
    .kernarg_segment_size: 88
    .language:       OpenCL C
    .language_version:
      - 2
      - 0
    .max_flat_workgroup_size: 1024
    .name:           _ZN7rocprim17ROCPRIM_400000_NS6detail17trampoline_kernelINS0_14default_configENS1_35radix_sort_onesweep_config_selectorIbiEEZZNS1_29radix_sort_onesweep_iterationIS3_Lb1EN6thrust23THRUST_200600_302600_NS6detail15normal_iteratorINS8_10device_ptrIbEEEESD_NSA_INSB_IiEEEESF_jNS0_19identity_decomposerENS1_16block_id_wrapperIjLb0EEEEE10hipError_tT1_PNSt15iterator_traitsISK_E10value_typeET2_T3_PNSL_ISQ_E10value_typeET4_T5_PSV_SW_PNS1_23onesweep_lookback_stateEbbT6_jjT7_P12ihipStream_tbENKUlT_T0_SK_SP_E_clISD_SD_SF_SF_EEDaS13_S14_SK_SP_EUlS13_E_NS1_11comp_targetILNS1_3genE9ELNS1_11target_archE1100ELNS1_3gpuE3ELNS1_3repE0EEENS1_47radix_sort_onesweep_sort_config_static_selectorELNS0_4arch9wavefront6targetE1EEEvSK_
    .private_segment_fixed_size: 0
    .sgpr_count:     6
    .sgpr_spill_count: 0
    .symbol:         _ZN7rocprim17ROCPRIM_400000_NS6detail17trampoline_kernelINS0_14default_configENS1_35radix_sort_onesweep_config_selectorIbiEEZZNS1_29radix_sort_onesweep_iterationIS3_Lb1EN6thrust23THRUST_200600_302600_NS6detail15normal_iteratorINS8_10device_ptrIbEEEESD_NSA_INSB_IiEEEESF_jNS0_19identity_decomposerENS1_16block_id_wrapperIjLb0EEEEE10hipError_tT1_PNSt15iterator_traitsISK_E10value_typeET2_T3_PNSL_ISQ_E10value_typeET4_T5_PSV_SW_PNS1_23onesweep_lookback_stateEbbT6_jjT7_P12ihipStream_tbENKUlT_T0_SK_SP_E_clISD_SD_SF_SF_EEDaS13_S14_SK_SP_EUlS13_E_NS1_11comp_targetILNS1_3genE9ELNS1_11target_archE1100ELNS1_3gpuE3ELNS1_3repE0EEENS1_47radix_sort_onesweep_sort_config_static_selectorELNS0_4arch9wavefront6targetE1EEEvSK_.kd
    .uniform_work_group_size: 1
    .uses_dynamic_stack: false
    .vgpr_count:     0
    .vgpr_spill_count: 0
    .wavefront_size: 64
  - .agpr_count:     0
    .args:
      - .offset:         0
        .size:           88
        .value_kind:     by_value
    .group_segment_fixed_size: 0
    .kernarg_segment_align: 8
    .kernarg_segment_size: 88
    .language:       OpenCL C
    .language_version:
      - 2
      - 0
    .max_flat_workgroup_size: 1024
    .name:           _ZN7rocprim17ROCPRIM_400000_NS6detail17trampoline_kernelINS0_14default_configENS1_35radix_sort_onesweep_config_selectorIbiEEZZNS1_29radix_sort_onesweep_iterationIS3_Lb1EN6thrust23THRUST_200600_302600_NS6detail15normal_iteratorINS8_10device_ptrIbEEEESD_NSA_INSB_IiEEEESF_jNS0_19identity_decomposerENS1_16block_id_wrapperIjLb0EEEEE10hipError_tT1_PNSt15iterator_traitsISK_E10value_typeET2_T3_PNSL_ISQ_E10value_typeET4_T5_PSV_SW_PNS1_23onesweep_lookback_stateEbbT6_jjT7_P12ihipStream_tbENKUlT_T0_SK_SP_E_clISD_SD_SF_SF_EEDaS13_S14_SK_SP_EUlS13_E_NS1_11comp_targetILNS1_3genE8ELNS1_11target_archE1030ELNS1_3gpuE2ELNS1_3repE0EEENS1_47radix_sort_onesweep_sort_config_static_selectorELNS0_4arch9wavefront6targetE1EEEvSK_
    .private_segment_fixed_size: 0
    .sgpr_count:     6
    .sgpr_spill_count: 0
    .symbol:         _ZN7rocprim17ROCPRIM_400000_NS6detail17trampoline_kernelINS0_14default_configENS1_35radix_sort_onesweep_config_selectorIbiEEZZNS1_29radix_sort_onesweep_iterationIS3_Lb1EN6thrust23THRUST_200600_302600_NS6detail15normal_iteratorINS8_10device_ptrIbEEEESD_NSA_INSB_IiEEEESF_jNS0_19identity_decomposerENS1_16block_id_wrapperIjLb0EEEEE10hipError_tT1_PNSt15iterator_traitsISK_E10value_typeET2_T3_PNSL_ISQ_E10value_typeET4_T5_PSV_SW_PNS1_23onesweep_lookback_stateEbbT6_jjT7_P12ihipStream_tbENKUlT_T0_SK_SP_E_clISD_SD_SF_SF_EEDaS13_S14_SK_SP_EUlS13_E_NS1_11comp_targetILNS1_3genE8ELNS1_11target_archE1030ELNS1_3gpuE2ELNS1_3repE0EEENS1_47radix_sort_onesweep_sort_config_static_selectorELNS0_4arch9wavefront6targetE1EEEvSK_.kd
    .uniform_work_group_size: 1
    .uses_dynamic_stack: false
    .vgpr_count:     0
    .vgpr_spill_count: 0
    .wavefront_size: 64
  - .agpr_count:     0
    .args:
      - .offset:         0
        .size:           88
        .value_kind:     by_value
    .group_segment_fixed_size: 0
    .kernarg_segment_align: 8
    .kernarg_segment_size: 88
    .language:       OpenCL C
    .language_version:
      - 2
      - 0
    .max_flat_workgroup_size: 1024
    .name:           _ZN7rocprim17ROCPRIM_400000_NS6detail17trampoline_kernelINS0_14default_configENS1_35radix_sort_onesweep_config_selectorIbiEEZZNS1_29radix_sort_onesweep_iterationIS3_Lb1EN6thrust23THRUST_200600_302600_NS6detail15normal_iteratorINS8_10device_ptrIbEEEESD_NSA_INSB_IiEEEESF_jNS0_19identity_decomposerENS1_16block_id_wrapperIjLb0EEEEE10hipError_tT1_PNSt15iterator_traitsISK_E10value_typeET2_T3_PNSL_ISQ_E10value_typeET4_T5_PSV_SW_PNS1_23onesweep_lookback_stateEbbT6_jjT7_P12ihipStream_tbENKUlT_T0_SK_SP_E_clISD_PbSF_PiEEDaS13_S14_SK_SP_EUlS13_E_NS1_11comp_targetILNS1_3genE0ELNS1_11target_archE4294967295ELNS1_3gpuE0ELNS1_3repE0EEENS1_47radix_sort_onesweep_sort_config_static_selectorELNS0_4arch9wavefront6targetE1EEEvSK_
    .private_segment_fixed_size: 0
    .sgpr_count:     6
    .sgpr_spill_count: 0
    .symbol:         _ZN7rocprim17ROCPRIM_400000_NS6detail17trampoline_kernelINS0_14default_configENS1_35radix_sort_onesweep_config_selectorIbiEEZZNS1_29radix_sort_onesweep_iterationIS3_Lb1EN6thrust23THRUST_200600_302600_NS6detail15normal_iteratorINS8_10device_ptrIbEEEESD_NSA_INSB_IiEEEESF_jNS0_19identity_decomposerENS1_16block_id_wrapperIjLb0EEEEE10hipError_tT1_PNSt15iterator_traitsISK_E10value_typeET2_T3_PNSL_ISQ_E10value_typeET4_T5_PSV_SW_PNS1_23onesweep_lookback_stateEbbT6_jjT7_P12ihipStream_tbENKUlT_T0_SK_SP_E_clISD_PbSF_PiEEDaS13_S14_SK_SP_EUlS13_E_NS1_11comp_targetILNS1_3genE0ELNS1_11target_archE4294967295ELNS1_3gpuE0ELNS1_3repE0EEENS1_47radix_sort_onesweep_sort_config_static_selectorELNS0_4arch9wavefront6targetE1EEEvSK_.kd
    .uniform_work_group_size: 1
    .uses_dynamic_stack: false
    .vgpr_count:     0
    .vgpr_spill_count: 0
    .wavefront_size: 64
  - .agpr_count:     0
    .args:
      - .offset:         0
        .size:           88
        .value_kind:     by_value
      - .offset:         88
        .size:           4
        .value_kind:     hidden_block_count_x
      - .offset:         92
        .size:           4
        .value_kind:     hidden_block_count_y
      - .offset:         96
        .size:           4
        .value_kind:     hidden_block_count_z
      - .offset:         100
        .size:           2
        .value_kind:     hidden_group_size_x
      - .offset:         102
        .size:           2
        .value_kind:     hidden_group_size_y
      - .offset:         104
        .size:           2
        .value_kind:     hidden_group_size_z
      - .offset:         106
        .size:           2
        .value_kind:     hidden_remainder_x
      - .offset:         108
        .size:           2
        .value_kind:     hidden_remainder_y
      - .offset:         110
        .size:           2
        .value_kind:     hidden_remainder_z
      - .offset:         128
        .size:           8
        .value_kind:     hidden_global_offset_x
      - .offset:         136
        .size:           8
        .value_kind:     hidden_global_offset_y
      - .offset:         144
        .size:           8
        .value_kind:     hidden_global_offset_z
      - .offset:         152
        .size:           2
        .value_kind:     hidden_grid_dims
    .group_segment_fixed_size: 20552
    .kernarg_segment_align: 8
    .kernarg_segment_size: 344
    .language:       OpenCL C
    .language_version:
      - 2
      - 0
    .max_flat_workgroup_size: 1024
    .name:           _ZN7rocprim17ROCPRIM_400000_NS6detail17trampoline_kernelINS0_14default_configENS1_35radix_sort_onesweep_config_selectorIbiEEZZNS1_29radix_sort_onesweep_iterationIS3_Lb1EN6thrust23THRUST_200600_302600_NS6detail15normal_iteratorINS8_10device_ptrIbEEEESD_NSA_INSB_IiEEEESF_jNS0_19identity_decomposerENS1_16block_id_wrapperIjLb0EEEEE10hipError_tT1_PNSt15iterator_traitsISK_E10value_typeET2_T3_PNSL_ISQ_E10value_typeET4_T5_PSV_SW_PNS1_23onesweep_lookback_stateEbbT6_jjT7_P12ihipStream_tbENKUlT_T0_SK_SP_E_clISD_PbSF_PiEEDaS13_S14_SK_SP_EUlS13_E_NS1_11comp_targetILNS1_3genE6ELNS1_11target_archE950ELNS1_3gpuE13ELNS1_3repE0EEENS1_47radix_sort_onesweep_sort_config_static_selectorELNS0_4arch9wavefront6targetE1EEEvSK_
    .private_segment_fixed_size: 80
    .sgpr_count:     98
    .sgpr_spill_count: 0
    .symbol:         _ZN7rocprim17ROCPRIM_400000_NS6detail17trampoline_kernelINS0_14default_configENS1_35radix_sort_onesweep_config_selectorIbiEEZZNS1_29radix_sort_onesweep_iterationIS3_Lb1EN6thrust23THRUST_200600_302600_NS6detail15normal_iteratorINS8_10device_ptrIbEEEESD_NSA_INSB_IiEEEESF_jNS0_19identity_decomposerENS1_16block_id_wrapperIjLb0EEEEE10hipError_tT1_PNSt15iterator_traitsISK_E10value_typeET2_T3_PNSL_ISQ_E10value_typeET4_T5_PSV_SW_PNS1_23onesweep_lookback_stateEbbT6_jjT7_P12ihipStream_tbENKUlT_T0_SK_SP_E_clISD_PbSF_PiEEDaS13_S14_SK_SP_EUlS13_E_NS1_11comp_targetILNS1_3genE6ELNS1_11target_archE950ELNS1_3gpuE13ELNS1_3repE0EEENS1_47radix_sort_onesweep_sort_config_static_selectorELNS0_4arch9wavefront6targetE1EEEvSK_.kd
    .uniform_work_group_size: 1
    .uses_dynamic_stack: false
    .vgpr_count:     100
    .vgpr_spill_count: 0
    .wavefront_size: 64
  - .agpr_count:     0
    .args:
      - .offset:         0
        .size:           88
        .value_kind:     by_value
    .group_segment_fixed_size: 0
    .kernarg_segment_align: 8
    .kernarg_segment_size: 88
    .language:       OpenCL C
    .language_version:
      - 2
      - 0
    .max_flat_workgroup_size: 1024
    .name:           _ZN7rocprim17ROCPRIM_400000_NS6detail17trampoline_kernelINS0_14default_configENS1_35radix_sort_onesweep_config_selectorIbiEEZZNS1_29radix_sort_onesweep_iterationIS3_Lb1EN6thrust23THRUST_200600_302600_NS6detail15normal_iteratorINS8_10device_ptrIbEEEESD_NSA_INSB_IiEEEESF_jNS0_19identity_decomposerENS1_16block_id_wrapperIjLb0EEEEE10hipError_tT1_PNSt15iterator_traitsISK_E10value_typeET2_T3_PNSL_ISQ_E10value_typeET4_T5_PSV_SW_PNS1_23onesweep_lookback_stateEbbT6_jjT7_P12ihipStream_tbENKUlT_T0_SK_SP_E_clISD_PbSF_PiEEDaS13_S14_SK_SP_EUlS13_E_NS1_11comp_targetILNS1_3genE5ELNS1_11target_archE942ELNS1_3gpuE9ELNS1_3repE0EEENS1_47radix_sort_onesweep_sort_config_static_selectorELNS0_4arch9wavefront6targetE1EEEvSK_
    .private_segment_fixed_size: 0
    .sgpr_count:     6
    .sgpr_spill_count: 0
    .symbol:         _ZN7rocprim17ROCPRIM_400000_NS6detail17trampoline_kernelINS0_14default_configENS1_35radix_sort_onesweep_config_selectorIbiEEZZNS1_29radix_sort_onesweep_iterationIS3_Lb1EN6thrust23THRUST_200600_302600_NS6detail15normal_iteratorINS8_10device_ptrIbEEEESD_NSA_INSB_IiEEEESF_jNS0_19identity_decomposerENS1_16block_id_wrapperIjLb0EEEEE10hipError_tT1_PNSt15iterator_traitsISK_E10value_typeET2_T3_PNSL_ISQ_E10value_typeET4_T5_PSV_SW_PNS1_23onesweep_lookback_stateEbbT6_jjT7_P12ihipStream_tbENKUlT_T0_SK_SP_E_clISD_PbSF_PiEEDaS13_S14_SK_SP_EUlS13_E_NS1_11comp_targetILNS1_3genE5ELNS1_11target_archE942ELNS1_3gpuE9ELNS1_3repE0EEENS1_47radix_sort_onesweep_sort_config_static_selectorELNS0_4arch9wavefront6targetE1EEEvSK_.kd
    .uniform_work_group_size: 1
    .uses_dynamic_stack: false
    .vgpr_count:     0
    .vgpr_spill_count: 0
    .wavefront_size: 64
  - .agpr_count:     0
    .args:
      - .offset:         0
        .size:           88
        .value_kind:     by_value
    .group_segment_fixed_size: 0
    .kernarg_segment_align: 8
    .kernarg_segment_size: 88
    .language:       OpenCL C
    .language_version:
      - 2
      - 0
    .max_flat_workgroup_size: 512
    .name:           _ZN7rocprim17ROCPRIM_400000_NS6detail17trampoline_kernelINS0_14default_configENS1_35radix_sort_onesweep_config_selectorIbiEEZZNS1_29radix_sort_onesweep_iterationIS3_Lb1EN6thrust23THRUST_200600_302600_NS6detail15normal_iteratorINS8_10device_ptrIbEEEESD_NSA_INSB_IiEEEESF_jNS0_19identity_decomposerENS1_16block_id_wrapperIjLb0EEEEE10hipError_tT1_PNSt15iterator_traitsISK_E10value_typeET2_T3_PNSL_ISQ_E10value_typeET4_T5_PSV_SW_PNS1_23onesweep_lookback_stateEbbT6_jjT7_P12ihipStream_tbENKUlT_T0_SK_SP_E_clISD_PbSF_PiEEDaS13_S14_SK_SP_EUlS13_E_NS1_11comp_targetILNS1_3genE2ELNS1_11target_archE906ELNS1_3gpuE6ELNS1_3repE0EEENS1_47radix_sort_onesweep_sort_config_static_selectorELNS0_4arch9wavefront6targetE1EEEvSK_
    .private_segment_fixed_size: 0
    .sgpr_count:     6
    .sgpr_spill_count: 0
    .symbol:         _ZN7rocprim17ROCPRIM_400000_NS6detail17trampoline_kernelINS0_14default_configENS1_35radix_sort_onesweep_config_selectorIbiEEZZNS1_29radix_sort_onesweep_iterationIS3_Lb1EN6thrust23THRUST_200600_302600_NS6detail15normal_iteratorINS8_10device_ptrIbEEEESD_NSA_INSB_IiEEEESF_jNS0_19identity_decomposerENS1_16block_id_wrapperIjLb0EEEEE10hipError_tT1_PNSt15iterator_traitsISK_E10value_typeET2_T3_PNSL_ISQ_E10value_typeET4_T5_PSV_SW_PNS1_23onesweep_lookback_stateEbbT6_jjT7_P12ihipStream_tbENKUlT_T0_SK_SP_E_clISD_PbSF_PiEEDaS13_S14_SK_SP_EUlS13_E_NS1_11comp_targetILNS1_3genE2ELNS1_11target_archE906ELNS1_3gpuE6ELNS1_3repE0EEENS1_47radix_sort_onesweep_sort_config_static_selectorELNS0_4arch9wavefront6targetE1EEEvSK_.kd
    .uniform_work_group_size: 1
    .uses_dynamic_stack: false
    .vgpr_count:     0
    .vgpr_spill_count: 0
    .wavefront_size: 64
  - .agpr_count:     0
    .args:
      - .offset:         0
        .size:           88
        .value_kind:     by_value
    .group_segment_fixed_size: 0
    .kernarg_segment_align: 8
    .kernarg_segment_size: 88
    .language:       OpenCL C
    .language_version:
      - 2
      - 0
    .max_flat_workgroup_size: 512
    .name:           _ZN7rocprim17ROCPRIM_400000_NS6detail17trampoline_kernelINS0_14default_configENS1_35radix_sort_onesweep_config_selectorIbiEEZZNS1_29radix_sort_onesweep_iterationIS3_Lb1EN6thrust23THRUST_200600_302600_NS6detail15normal_iteratorINS8_10device_ptrIbEEEESD_NSA_INSB_IiEEEESF_jNS0_19identity_decomposerENS1_16block_id_wrapperIjLb0EEEEE10hipError_tT1_PNSt15iterator_traitsISK_E10value_typeET2_T3_PNSL_ISQ_E10value_typeET4_T5_PSV_SW_PNS1_23onesweep_lookback_stateEbbT6_jjT7_P12ihipStream_tbENKUlT_T0_SK_SP_E_clISD_PbSF_PiEEDaS13_S14_SK_SP_EUlS13_E_NS1_11comp_targetILNS1_3genE4ELNS1_11target_archE910ELNS1_3gpuE8ELNS1_3repE0EEENS1_47radix_sort_onesweep_sort_config_static_selectorELNS0_4arch9wavefront6targetE1EEEvSK_
    .private_segment_fixed_size: 0
    .sgpr_count:     6
    .sgpr_spill_count: 0
    .symbol:         _ZN7rocprim17ROCPRIM_400000_NS6detail17trampoline_kernelINS0_14default_configENS1_35radix_sort_onesweep_config_selectorIbiEEZZNS1_29radix_sort_onesweep_iterationIS3_Lb1EN6thrust23THRUST_200600_302600_NS6detail15normal_iteratorINS8_10device_ptrIbEEEESD_NSA_INSB_IiEEEESF_jNS0_19identity_decomposerENS1_16block_id_wrapperIjLb0EEEEE10hipError_tT1_PNSt15iterator_traitsISK_E10value_typeET2_T3_PNSL_ISQ_E10value_typeET4_T5_PSV_SW_PNS1_23onesweep_lookback_stateEbbT6_jjT7_P12ihipStream_tbENKUlT_T0_SK_SP_E_clISD_PbSF_PiEEDaS13_S14_SK_SP_EUlS13_E_NS1_11comp_targetILNS1_3genE4ELNS1_11target_archE910ELNS1_3gpuE8ELNS1_3repE0EEENS1_47radix_sort_onesweep_sort_config_static_selectorELNS0_4arch9wavefront6targetE1EEEvSK_.kd
    .uniform_work_group_size: 1
    .uses_dynamic_stack: false
    .vgpr_count:     0
    .vgpr_spill_count: 0
    .wavefront_size: 64
  - .agpr_count:     0
    .args:
      - .offset:         0
        .size:           88
        .value_kind:     by_value
    .group_segment_fixed_size: 0
    .kernarg_segment_align: 8
    .kernarg_segment_size: 88
    .language:       OpenCL C
    .language_version:
      - 2
      - 0
    .max_flat_workgroup_size: 1024
    .name:           _ZN7rocprim17ROCPRIM_400000_NS6detail17trampoline_kernelINS0_14default_configENS1_35radix_sort_onesweep_config_selectorIbiEEZZNS1_29radix_sort_onesweep_iterationIS3_Lb1EN6thrust23THRUST_200600_302600_NS6detail15normal_iteratorINS8_10device_ptrIbEEEESD_NSA_INSB_IiEEEESF_jNS0_19identity_decomposerENS1_16block_id_wrapperIjLb0EEEEE10hipError_tT1_PNSt15iterator_traitsISK_E10value_typeET2_T3_PNSL_ISQ_E10value_typeET4_T5_PSV_SW_PNS1_23onesweep_lookback_stateEbbT6_jjT7_P12ihipStream_tbENKUlT_T0_SK_SP_E_clISD_PbSF_PiEEDaS13_S14_SK_SP_EUlS13_E_NS1_11comp_targetILNS1_3genE3ELNS1_11target_archE908ELNS1_3gpuE7ELNS1_3repE0EEENS1_47radix_sort_onesweep_sort_config_static_selectorELNS0_4arch9wavefront6targetE1EEEvSK_
    .private_segment_fixed_size: 0
    .sgpr_count:     6
    .sgpr_spill_count: 0
    .symbol:         _ZN7rocprim17ROCPRIM_400000_NS6detail17trampoline_kernelINS0_14default_configENS1_35radix_sort_onesweep_config_selectorIbiEEZZNS1_29radix_sort_onesweep_iterationIS3_Lb1EN6thrust23THRUST_200600_302600_NS6detail15normal_iteratorINS8_10device_ptrIbEEEESD_NSA_INSB_IiEEEESF_jNS0_19identity_decomposerENS1_16block_id_wrapperIjLb0EEEEE10hipError_tT1_PNSt15iterator_traitsISK_E10value_typeET2_T3_PNSL_ISQ_E10value_typeET4_T5_PSV_SW_PNS1_23onesweep_lookback_stateEbbT6_jjT7_P12ihipStream_tbENKUlT_T0_SK_SP_E_clISD_PbSF_PiEEDaS13_S14_SK_SP_EUlS13_E_NS1_11comp_targetILNS1_3genE3ELNS1_11target_archE908ELNS1_3gpuE7ELNS1_3repE0EEENS1_47radix_sort_onesweep_sort_config_static_selectorELNS0_4arch9wavefront6targetE1EEEvSK_.kd
    .uniform_work_group_size: 1
    .uses_dynamic_stack: false
    .vgpr_count:     0
    .vgpr_spill_count: 0
    .wavefront_size: 64
  - .agpr_count:     0
    .args:
      - .offset:         0
        .size:           88
        .value_kind:     by_value
    .group_segment_fixed_size: 0
    .kernarg_segment_align: 8
    .kernarg_segment_size: 88
    .language:       OpenCL C
    .language_version:
      - 2
      - 0
    .max_flat_workgroup_size: 1024
    .name:           _ZN7rocprim17ROCPRIM_400000_NS6detail17trampoline_kernelINS0_14default_configENS1_35radix_sort_onesweep_config_selectorIbiEEZZNS1_29radix_sort_onesweep_iterationIS3_Lb1EN6thrust23THRUST_200600_302600_NS6detail15normal_iteratorINS8_10device_ptrIbEEEESD_NSA_INSB_IiEEEESF_jNS0_19identity_decomposerENS1_16block_id_wrapperIjLb0EEEEE10hipError_tT1_PNSt15iterator_traitsISK_E10value_typeET2_T3_PNSL_ISQ_E10value_typeET4_T5_PSV_SW_PNS1_23onesweep_lookback_stateEbbT6_jjT7_P12ihipStream_tbENKUlT_T0_SK_SP_E_clISD_PbSF_PiEEDaS13_S14_SK_SP_EUlS13_E_NS1_11comp_targetILNS1_3genE10ELNS1_11target_archE1201ELNS1_3gpuE5ELNS1_3repE0EEENS1_47radix_sort_onesweep_sort_config_static_selectorELNS0_4arch9wavefront6targetE1EEEvSK_
    .private_segment_fixed_size: 0
    .sgpr_count:     6
    .sgpr_spill_count: 0
    .symbol:         _ZN7rocprim17ROCPRIM_400000_NS6detail17trampoline_kernelINS0_14default_configENS1_35radix_sort_onesweep_config_selectorIbiEEZZNS1_29radix_sort_onesweep_iterationIS3_Lb1EN6thrust23THRUST_200600_302600_NS6detail15normal_iteratorINS8_10device_ptrIbEEEESD_NSA_INSB_IiEEEESF_jNS0_19identity_decomposerENS1_16block_id_wrapperIjLb0EEEEE10hipError_tT1_PNSt15iterator_traitsISK_E10value_typeET2_T3_PNSL_ISQ_E10value_typeET4_T5_PSV_SW_PNS1_23onesweep_lookback_stateEbbT6_jjT7_P12ihipStream_tbENKUlT_T0_SK_SP_E_clISD_PbSF_PiEEDaS13_S14_SK_SP_EUlS13_E_NS1_11comp_targetILNS1_3genE10ELNS1_11target_archE1201ELNS1_3gpuE5ELNS1_3repE0EEENS1_47radix_sort_onesweep_sort_config_static_selectorELNS0_4arch9wavefront6targetE1EEEvSK_.kd
    .uniform_work_group_size: 1
    .uses_dynamic_stack: false
    .vgpr_count:     0
    .vgpr_spill_count: 0
    .wavefront_size: 64
  - .agpr_count:     0
    .args:
      - .offset:         0
        .size:           88
        .value_kind:     by_value
    .group_segment_fixed_size: 0
    .kernarg_segment_align: 8
    .kernarg_segment_size: 88
    .language:       OpenCL C
    .language_version:
      - 2
      - 0
    .max_flat_workgroup_size: 1024
    .name:           _ZN7rocprim17ROCPRIM_400000_NS6detail17trampoline_kernelINS0_14default_configENS1_35radix_sort_onesweep_config_selectorIbiEEZZNS1_29radix_sort_onesweep_iterationIS3_Lb1EN6thrust23THRUST_200600_302600_NS6detail15normal_iteratorINS8_10device_ptrIbEEEESD_NSA_INSB_IiEEEESF_jNS0_19identity_decomposerENS1_16block_id_wrapperIjLb0EEEEE10hipError_tT1_PNSt15iterator_traitsISK_E10value_typeET2_T3_PNSL_ISQ_E10value_typeET4_T5_PSV_SW_PNS1_23onesweep_lookback_stateEbbT6_jjT7_P12ihipStream_tbENKUlT_T0_SK_SP_E_clISD_PbSF_PiEEDaS13_S14_SK_SP_EUlS13_E_NS1_11comp_targetILNS1_3genE9ELNS1_11target_archE1100ELNS1_3gpuE3ELNS1_3repE0EEENS1_47radix_sort_onesweep_sort_config_static_selectorELNS0_4arch9wavefront6targetE1EEEvSK_
    .private_segment_fixed_size: 0
    .sgpr_count:     6
    .sgpr_spill_count: 0
    .symbol:         _ZN7rocprim17ROCPRIM_400000_NS6detail17trampoline_kernelINS0_14default_configENS1_35radix_sort_onesweep_config_selectorIbiEEZZNS1_29radix_sort_onesweep_iterationIS3_Lb1EN6thrust23THRUST_200600_302600_NS6detail15normal_iteratorINS8_10device_ptrIbEEEESD_NSA_INSB_IiEEEESF_jNS0_19identity_decomposerENS1_16block_id_wrapperIjLb0EEEEE10hipError_tT1_PNSt15iterator_traitsISK_E10value_typeET2_T3_PNSL_ISQ_E10value_typeET4_T5_PSV_SW_PNS1_23onesweep_lookback_stateEbbT6_jjT7_P12ihipStream_tbENKUlT_T0_SK_SP_E_clISD_PbSF_PiEEDaS13_S14_SK_SP_EUlS13_E_NS1_11comp_targetILNS1_3genE9ELNS1_11target_archE1100ELNS1_3gpuE3ELNS1_3repE0EEENS1_47radix_sort_onesweep_sort_config_static_selectorELNS0_4arch9wavefront6targetE1EEEvSK_.kd
    .uniform_work_group_size: 1
    .uses_dynamic_stack: false
    .vgpr_count:     0
    .vgpr_spill_count: 0
    .wavefront_size: 64
  - .agpr_count:     0
    .args:
      - .offset:         0
        .size:           88
        .value_kind:     by_value
    .group_segment_fixed_size: 0
    .kernarg_segment_align: 8
    .kernarg_segment_size: 88
    .language:       OpenCL C
    .language_version:
      - 2
      - 0
    .max_flat_workgroup_size: 1024
    .name:           _ZN7rocprim17ROCPRIM_400000_NS6detail17trampoline_kernelINS0_14default_configENS1_35radix_sort_onesweep_config_selectorIbiEEZZNS1_29radix_sort_onesweep_iterationIS3_Lb1EN6thrust23THRUST_200600_302600_NS6detail15normal_iteratorINS8_10device_ptrIbEEEESD_NSA_INSB_IiEEEESF_jNS0_19identity_decomposerENS1_16block_id_wrapperIjLb0EEEEE10hipError_tT1_PNSt15iterator_traitsISK_E10value_typeET2_T3_PNSL_ISQ_E10value_typeET4_T5_PSV_SW_PNS1_23onesweep_lookback_stateEbbT6_jjT7_P12ihipStream_tbENKUlT_T0_SK_SP_E_clISD_PbSF_PiEEDaS13_S14_SK_SP_EUlS13_E_NS1_11comp_targetILNS1_3genE8ELNS1_11target_archE1030ELNS1_3gpuE2ELNS1_3repE0EEENS1_47radix_sort_onesweep_sort_config_static_selectorELNS0_4arch9wavefront6targetE1EEEvSK_
    .private_segment_fixed_size: 0
    .sgpr_count:     6
    .sgpr_spill_count: 0
    .symbol:         _ZN7rocprim17ROCPRIM_400000_NS6detail17trampoline_kernelINS0_14default_configENS1_35radix_sort_onesweep_config_selectorIbiEEZZNS1_29radix_sort_onesweep_iterationIS3_Lb1EN6thrust23THRUST_200600_302600_NS6detail15normal_iteratorINS8_10device_ptrIbEEEESD_NSA_INSB_IiEEEESF_jNS0_19identity_decomposerENS1_16block_id_wrapperIjLb0EEEEE10hipError_tT1_PNSt15iterator_traitsISK_E10value_typeET2_T3_PNSL_ISQ_E10value_typeET4_T5_PSV_SW_PNS1_23onesweep_lookback_stateEbbT6_jjT7_P12ihipStream_tbENKUlT_T0_SK_SP_E_clISD_PbSF_PiEEDaS13_S14_SK_SP_EUlS13_E_NS1_11comp_targetILNS1_3genE8ELNS1_11target_archE1030ELNS1_3gpuE2ELNS1_3repE0EEENS1_47radix_sort_onesweep_sort_config_static_selectorELNS0_4arch9wavefront6targetE1EEEvSK_.kd
    .uniform_work_group_size: 1
    .uses_dynamic_stack: false
    .vgpr_count:     0
    .vgpr_spill_count: 0
    .wavefront_size: 64
  - .agpr_count:     0
    .args:
      - .offset:         0
        .size:           88
        .value_kind:     by_value
    .group_segment_fixed_size: 0
    .kernarg_segment_align: 8
    .kernarg_segment_size: 88
    .language:       OpenCL C
    .language_version:
      - 2
      - 0
    .max_flat_workgroup_size: 1024
    .name:           _ZN7rocprim17ROCPRIM_400000_NS6detail17trampoline_kernelINS0_14default_configENS1_35radix_sort_onesweep_config_selectorIbiEEZZNS1_29radix_sort_onesweep_iterationIS3_Lb1EN6thrust23THRUST_200600_302600_NS6detail15normal_iteratorINS8_10device_ptrIbEEEESD_NSA_INSB_IiEEEESF_jNS0_19identity_decomposerENS1_16block_id_wrapperIjLb0EEEEE10hipError_tT1_PNSt15iterator_traitsISK_E10value_typeET2_T3_PNSL_ISQ_E10value_typeET4_T5_PSV_SW_PNS1_23onesweep_lookback_stateEbbT6_jjT7_P12ihipStream_tbENKUlT_T0_SK_SP_E_clIPbSD_PiSF_EEDaS13_S14_SK_SP_EUlS13_E_NS1_11comp_targetILNS1_3genE0ELNS1_11target_archE4294967295ELNS1_3gpuE0ELNS1_3repE0EEENS1_47radix_sort_onesweep_sort_config_static_selectorELNS0_4arch9wavefront6targetE1EEEvSK_
    .private_segment_fixed_size: 0
    .sgpr_count:     6
    .sgpr_spill_count: 0
    .symbol:         _ZN7rocprim17ROCPRIM_400000_NS6detail17trampoline_kernelINS0_14default_configENS1_35radix_sort_onesweep_config_selectorIbiEEZZNS1_29radix_sort_onesweep_iterationIS3_Lb1EN6thrust23THRUST_200600_302600_NS6detail15normal_iteratorINS8_10device_ptrIbEEEESD_NSA_INSB_IiEEEESF_jNS0_19identity_decomposerENS1_16block_id_wrapperIjLb0EEEEE10hipError_tT1_PNSt15iterator_traitsISK_E10value_typeET2_T3_PNSL_ISQ_E10value_typeET4_T5_PSV_SW_PNS1_23onesweep_lookback_stateEbbT6_jjT7_P12ihipStream_tbENKUlT_T0_SK_SP_E_clIPbSD_PiSF_EEDaS13_S14_SK_SP_EUlS13_E_NS1_11comp_targetILNS1_3genE0ELNS1_11target_archE4294967295ELNS1_3gpuE0ELNS1_3repE0EEENS1_47radix_sort_onesweep_sort_config_static_selectorELNS0_4arch9wavefront6targetE1EEEvSK_.kd
    .uniform_work_group_size: 1
    .uses_dynamic_stack: false
    .vgpr_count:     0
    .vgpr_spill_count: 0
    .wavefront_size: 64
  - .agpr_count:     0
    .args:
      - .offset:         0
        .size:           88
        .value_kind:     by_value
      - .offset:         88
        .size:           4
        .value_kind:     hidden_block_count_x
      - .offset:         92
        .size:           4
        .value_kind:     hidden_block_count_y
      - .offset:         96
        .size:           4
        .value_kind:     hidden_block_count_z
      - .offset:         100
        .size:           2
        .value_kind:     hidden_group_size_x
      - .offset:         102
        .size:           2
        .value_kind:     hidden_group_size_y
      - .offset:         104
        .size:           2
        .value_kind:     hidden_group_size_z
      - .offset:         106
        .size:           2
        .value_kind:     hidden_remainder_x
      - .offset:         108
        .size:           2
        .value_kind:     hidden_remainder_y
      - .offset:         110
        .size:           2
        .value_kind:     hidden_remainder_z
      - .offset:         128
        .size:           8
        .value_kind:     hidden_global_offset_x
      - .offset:         136
        .size:           8
        .value_kind:     hidden_global_offset_y
      - .offset:         144
        .size:           8
        .value_kind:     hidden_global_offset_z
      - .offset:         152
        .size:           2
        .value_kind:     hidden_grid_dims
    .group_segment_fixed_size: 20552
    .kernarg_segment_align: 8
    .kernarg_segment_size: 344
    .language:       OpenCL C
    .language_version:
      - 2
      - 0
    .max_flat_workgroup_size: 1024
    .name:           _ZN7rocprim17ROCPRIM_400000_NS6detail17trampoline_kernelINS0_14default_configENS1_35radix_sort_onesweep_config_selectorIbiEEZZNS1_29radix_sort_onesweep_iterationIS3_Lb1EN6thrust23THRUST_200600_302600_NS6detail15normal_iteratorINS8_10device_ptrIbEEEESD_NSA_INSB_IiEEEESF_jNS0_19identity_decomposerENS1_16block_id_wrapperIjLb0EEEEE10hipError_tT1_PNSt15iterator_traitsISK_E10value_typeET2_T3_PNSL_ISQ_E10value_typeET4_T5_PSV_SW_PNS1_23onesweep_lookback_stateEbbT6_jjT7_P12ihipStream_tbENKUlT_T0_SK_SP_E_clIPbSD_PiSF_EEDaS13_S14_SK_SP_EUlS13_E_NS1_11comp_targetILNS1_3genE6ELNS1_11target_archE950ELNS1_3gpuE13ELNS1_3repE0EEENS1_47radix_sort_onesweep_sort_config_static_selectorELNS0_4arch9wavefront6targetE1EEEvSK_
    .private_segment_fixed_size: 80
    .sgpr_count:     98
    .sgpr_spill_count: 0
    .symbol:         _ZN7rocprim17ROCPRIM_400000_NS6detail17trampoline_kernelINS0_14default_configENS1_35radix_sort_onesweep_config_selectorIbiEEZZNS1_29radix_sort_onesweep_iterationIS3_Lb1EN6thrust23THRUST_200600_302600_NS6detail15normal_iteratorINS8_10device_ptrIbEEEESD_NSA_INSB_IiEEEESF_jNS0_19identity_decomposerENS1_16block_id_wrapperIjLb0EEEEE10hipError_tT1_PNSt15iterator_traitsISK_E10value_typeET2_T3_PNSL_ISQ_E10value_typeET4_T5_PSV_SW_PNS1_23onesweep_lookback_stateEbbT6_jjT7_P12ihipStream_tbENKUlT_T0_SK_SP_E_clIPbSD_PiSF_EEDaS13_S14_SK_SP_EUlS13_E_NS1_11comp_targetILNS1_3genE6ELNS1_11target_archE950ELNS1_3gpuE13ELNS1_3repE0EEENS1_47radix_sort_onesweep_sort_config_static_selectorELNS0_4arch9wavefront6targetE1EEEvSK_.kd
    .uniform_work_group_size: 1
    .uses_dynamic_stack: false
    .vgpr_count:     100
    .vgpr_spill_count: 0
    .wavefront_size: 64
  - .agpr_count:     0
    .args:
      - .offset:         0
        .size:           88
        .value_kind:     by_value
    .group_segment_fixed_size: 0
    .kernarg_segment_align: 8
    .kernarg_segment_size: 88
    .language:       OpenCL C
    .language_version:
      - 2
      - 0
    .max_flat_workgroup_size: 1024
    .name:           _ZN7rocprim17ROCPRIM_400000_NS6detail17trampoline_kernelINS0_14default_configENS1_35radix_sort_onesweep_config_selectorIbiEEZZNS1_29radix_sort_onesweep_iterationIS3_Lb1EN6thrust23THRUST_200600_302600_NS6detail15normal_iteratorINS8_10device_ptrIbEEEESD_NSA_INSB_IiEEEESF_jNS0_19identity_decomposerENS1_16block_id_wrapperIjLb0EEEEE10hipError_tT1_PNSt15iterator_traitsISK_E10value_typeET2_T3_PNSL_ISQ_E10value_typeET4_T5_PSV_SW_PNS1_23onesweep_lookback_stateEbbT6_jjT7_P12ihipStream_tbENKUlT_T0_SK_SP_E_clIPbSD_PiSF_EEDaS13_S14_SK_SP_EUlS13_E_NS1_11comp_targetILNS1_3genE5ELNS1_11target_archE942ELNS1_3gpuE9ELNS1_3repE0EEENS1_47radix_sort_onesweep_sort_config_static_selectorELNS0_4arch9wavefront6targetE1EEEvSK_
    .private_segment_fixed_size: 0
    .sgpr_count:     6
    .sgpr_spill_count: 0
    .symbol:         _ZN7rocprim17ROCPRIM_400000_NS6detail17trampoline_kernelINS0_14default_configENS1_35radix_sort_onesweep_config_selectorIbiEEZZNS1_29radix_sort_onesweep_iterationIS3_Lb1EN6thrust23THRUST_200600_302600_NS6detail15normal_iteratorINS8_10device_ptrIbEEEESD_NSA_INSB_IiEEEESF_jNS0_19identity_decomposerENS1_16block_id_wrapperIjLb0EEEEE10hipError_tT1_PNSt15iterator_traitsISK_E10value_typeET2_T3_PNSL_ISQ_E10value_typeET4_T5_PSV_SW_PNS1_23onesweep_lookback_stateEbbT6_jjT7_P12ihipStream_tbENKUlT_T0_SK_SP_E_clIPbSD_PiSF_EEDaS13_S14_SK_SP_EUlS13_E_NS1_11comp_targetILNS1_3genE5ELNS1_11target_archE942ELNS1_3gpuE9ELNS1_3repE0EEENS1_47radix_sort_onesweep_sort_config_static_selectorELNS0_4arch9wavefront6targetE1EEEvSK_.kd
    .uniform_work_group_size: 1
    .uses_dynamic_stack: false
    .vgpr_count:     0
    .vgpr_spill_count: 0
    .wavefront_size: 64
  - .agpr_count:     0
    .args:
      - .offset:         0
        .size:           88
        .value_kind:     by_value
    .group_segment_fixed_size: 0
    .kernarg_segment_align: 8
    .kernarg_segment_size: 88
    .language:       OpenCL C
    .language_version:
      - 2
      - 0
    .max_flat_workgroup_size: 512
    .name:           _ZN7rocprim17ROCPRIM_400000_NS6detail17trampoline_kernelINS0_14default_configENS1_35radix_sort_onesweep_config_selectorIbiEEZZNS1_29radix_sort_onesweep_iterationIS3_Lb1EN6thrust23THRUST_200600_302600_NS6detail15normal_iteratorINS8_10device_ptrIbEEEESD_NSA_INSB_IiEEEESF_jNS0_19identity_decomposerENS1_16block_id_wrapperIjLb0EEEEE10hipError_tT1_PNSt15iterator_traitsISK_E10value_typeET2_T3_PNSL_ISQ_E10value_typeET4_T5_PSV_SW_PNS1_23onesweep_lookback_stateEbbT6_jjT7_P12ihipStream_tbENKUlT_T0_SK_SP_E_clIPbSD_PiSF_EEDaS13_S14_SK_SP_EUlS13_E_NS1_11comp_targetILNS1_3genE2ELNS1_11target_archE906ELNS1_3gpuE6ELNS1_3repE0EEENS1_47radix_sort_onesweep_sort_config_static_selectorELNS0_4arch9wavefront6targetE1EEEvSK_
    .private_segment_fixed_size: 0
    .sgpr_count:     6
    .sgpr_spill_count: 0
    .symbol:         _ZN7rocprim17ROCPRIM_400000_NS6detail17trampoline_kernelINS0_14default_configENS1_35radix_sort_onesweep_config_selectorIbiEEZZNS1_29radix_sort_onesweep_iterationIS3_Lb1EN6thrust23THRUST_200600_302600_NS6detail15normal_iteratorINS8_10device_ptrIbEEEESD_NSA_INSB_IiEEEESF_jNS0_19identity_decomposerENS1_16block_id_wrapperIjLb0EEEEE10hipError_tT1_PNSt15iterator_traitsISK_E10value_typeET2_T3_PNSL_ISQ_E10value_typeET4_T5_PSV_SW_PNS1_23onesweep_lookback_stateEbbT6_jjT7_P12ihipStream_tbENKUlT_T0_SK_SP_E_clIPbSD_PiSF_EEDaS13_S14_SK_SP_EUlS13_E_NS1_11comp_targetILNS1_3genE2ELNS1_11target_archE906ELNS1_3gpuE6ELNS1_3repE0EEENS1_47radix_sort_onesweep_sort_config_static_selectorELNS0_4arch9wavefront6targetE1EEEvSK_.kd
    .uniform_work_group_size: 1
    .uses_dynamic_stack: false
    .vgpr_count:     0
    .vgpr_spill_count: 0
    .wavefront_size: 64
  - .agpr_count:     0
    .args:
      - .offset:         0
        .size:           88
        .value_kind:     by_value
    .group_segment_fixed_size: 0
    .kernarg_segment_align: 8
    .kernarg_segment_size: 88
    .language:       OpenCL C
    .language_version:
      - 2
      - 0
    .max_flat_workgroup_size: 512
    .name:           _ZN7rocprim17ROCPRIM_400000_NS6detail17trampoline_kernelINS0_14default_configENS1_35radix_sort_onesweep_config_selectorIbiEEZZNS1_29radix_sort_onesweep_iterationIS3_Lb1EN6thrust23THRUST_200600_302600_NS6detail15normal_iteratorINS8_10device_ptrIbEEEESD_NSA_INSB_IiEEEESF_jNS0_19identity_decomposerENS1_16block_id_wrapperIjLb0EEEEE10hipError_tT1_PNSt15iterator_traitsISK_E10value_typeET2_T3_PNSL_ISQ_E10value_typeET4_T5_PSV_SW_PNS1_23onesweep_lookback_stateEbbT6_jjT7_P12ihipStream_tbENKUlT_T0_SK_SP_E_clIPbSD_PiSF_EEDaS13_S14_SK_SP_EUlS13_E_NS1_11comp_targetILNS1_3genE4ELNS1_11target_archE910ELNS1_3gpuE8ELNS1_3repE0EEENS1_47radix_sort_onesweep_sort_config_static_selectorELNS0_4arch9wavefront6targetE1EEEvSK_
    .private_segment_fixed_size: 0
    .sgpr_count:     6
    .sgpr_spill_count: 0
    .symbol:         _ZN7rocprim17ROCPRIM_400000_NS6detail17trampoline_kernelINS0_14default_configENS1_35radix_sort_onesweep_config_selectorIbiEEZZNS1_29radix_sort_onesweep_iterationIS3_Lb1EN6thrust23THRUST_200600_302600_NS6detail15normal_iteratorINS8_10device_ptrIbEEEESD_NSA_INSB_IiEEEESF_jNS0_19identity_decomposerENS1_16block_id_wrapperIjLb0EEEEE10hipError_tT1_PNSt15iterator_traitsISK_E10value_typeET2_T3_PNSL_ISQ_E10value_typeET4_T5_PSV_SW_PNS1_23onesweep_lookback_stateEbbT6_jjT7_P12ihipStream_tbENKUlT_T0_SK_SP_E_clIPbSD_PiSF_EEDaS13_S14_SK_SP_EUlS13_E_NS1_11comp_targetILNS1_3genE4ELNS1_11target_archE910ELNS1_3gpuE8ELNS1_3repE0EEENS1_47radix_sort_onesweep_sort_config_static_selectorELNS0_4arch9wavefront6targetE1EEEvSK_.kd
    .uniform_work_group_size: 1
    .uses_dynamic_stack: false
    .vgpr_count:     0
    .vgpr_spill_count: 0
    .wavefront_size: 64
  - .agpr_count:     0
    .args:
      - .offset:         0
        .size:           88
        .value_kind:     by_value
    .group_segment_fixed_size: 0
    .kernarg_segment_align: 8
    .kernarg_segment_size: 88
    .language:       OpenCL C
    .language_version:
      - 2
      - 0
    .max_flat_workgroup_size: 1024
    .name:           _ZN7rocprim17ROCPRIM_400000_NS6detail17trampoline_kernelINS0_14default_configENS1_35radix_sort_onesweep_config_selectorIbiEEZZNS1_29radix_sort_onesweep_iterationIS3_Lb1EN6thrust23THRUST_200600_302600_NS6detail15normal_iteratorINS8_10device_ptrIbEEEESD_NSA_INSB_IiEEEESF_jNS0_19identity_decomposerENS1_16block_id_wrapperIjLb0EEEEE10hipError_tT1_PNSt15iterator_traitsISK_E10value_typeET2_T3_PNSL_ISQ_E10value_typeET4_T5_PSV_SW_PNS1_23onesweep_lookback_stateEbbT6_jjT7_P12ihipStream_tbENKUlT_T0_SK_SP_E_clIPbSD_PiSF_EEDaS13_S14_SK_SP_EUlS13_E_NS1_11comp_targetILNS1_3genE3ELNS1_11target_archE908ELNS1_3gpuE7ELNS1_3repE0EEENS1_47radix_sort_onesweep_sort_config_static_selectorELNS0_4arch9wavefront6targetE1EEEvSK_
    .private_segment_fixed_size: 0
    .sgpr_count:     6
    .sgpr_spill_count: 0
    .symbol:         _ZN7rocprim17ROCPRIM_400000_NS6detail17trampoline_kernelINS0_14default_configENS1_35radix_sort_onesweep_config_selectorIbiEEZZNS1_29radix_sort_onesweep_iterationIS3_Lb1EN6thrust23THRUST_200600_302600_NS6detail15normal_iteratorINS8_10device_ptrIbEEEESD_NSA_INSB_IiEEEESF_jNS0_19identity_decomposerENS1_16block_id_wrapperIjLb0EEEEE10hipError_tT1_PNSt15iterator_traitsISK_E10value_typeET2_T3_PNSL_ISQ_E10value_typeET4_T5_PSV_SW_PNS1_23onesweep_lookback_stateEbbT6_jjT7_P12ihipStream_tbENKUlT_T0_SK_SP_E_clIPbSD_PiSF_EEDaS13_S14_SK_SP_EUlS13_E_NS1_11comp_targetILNS1_3genE3ELNS1_11target_archE908ELNS1_3gpuE7ELNS1_3repE0EEENS1_47radix_sort_onesweep_sort_config_static_selectorELNS0_4arch9wavefront6targetE1EEEvSK_.kd
    .uniform_work_group_size: 1
    .uses_dynamic_stack: false
    .vgpr_count:     0
    .vgpr_spill_count: 0
    .wavefront_size: 64
  - .agpr_count:     0
    .args:
      - .offset:         0
        .size:           88
        .value_kind:     by_value
    .group_segment_fixed_size: 0
    .kernarg_segment_align: 8
    .kernarg_segment_size: 88
    .language:       OpenCL C
    .language_version:
      - 2
      - 0
    .max_flat_workgroup_size: 1024
    .name:           _ZN7rocprim17ROCPRIM_400000_NS6detail17trampoline_kernelINS0_14default_configENS1_35radix_sort_onesweep_config_selectorIbiEEZZNS1_29radix_sort_onesweep_iterationIS3_Lb1EN6thrust23THRUST_200600_302600_NS6detail15normal_iteratorINS8_10device_ptrIbEEEESD_NSA_INSB_IiEEEESF_jNS0_19identity_decomposerENS1_16block_id_wrapperIjLb0EEEEE10hipError_tT1_PNSt15iterator_traitsISK_E10value_typeET2_T3_PNSL_ISQ_E10value_typeET4_T5_PSV_SW_PNS1_23onesweep_lookback_stateEbbT6_jjT7_P12ihipStream_tbENKUlT_T0_SK_SP_E_clIPbSD_PiSF_EEDaS13_S14_SK_SP_EUlS13_E_NS1_11comp_targetILNS1_3genE10ELNS1_11target_archE1201ELNS1_3gpuE5ELNS1_3repE0EEENS1_47radix_sort_onesweep_sort_config_static_selectorELNS0_4arch9wavefront6targetE1EEEvSK_
    .private_segment_fixed_size: 0
    .sgpr_count:     6
    .sgpr_spill_count: 0
    .symbol:         _ZN7rocprim17ROCPRIM_400000_NS6detail17trampoline_kernelINS0_14default_configENS1_35radix_sort_onesweep_config_selectorIbiEEZZNS1_29radix_sort_onesweep_iterationIS3_Lb1EN6thrust23THRUST_200600_302600_NS6detail15normal_iteratorINS8_10device_ptrIbEEEESD_NSA_INSB_IiEEEESF_jNS0_19identity_decomposerENS1_16block_id_wrapperIjLb0EEEEE10hipError_tT1_PNSt15iterator_traitsISK_E10value_typeET2_T3_PNSL_ISQ_E10value_typeET4_T5_PSV_SW_PNS1_23onesweep_lookback_stateEbbT6_jjT7_P12ihipStream_tbENKUlT_T0_SK_SP_E_clIPbSD_PiSF_EEDaS13_S14_SK_SP_EUlS13_E_NS1_11comp_targetILNS1_3genE10ELNS1_11target_archE1201ELNS1_3gpuE5ELNS1_3repE0EEENS1_47radix_sort_onesweep_sort_config_static_selectorELNS0_4arch9wavefront6targetE1EEEvSK_.kd
    .uniform_work_group_size: 1
    .uses_dynamic_stack: false
    .vgpr_count:     0
    .vgpr_spill_count: 0
    .wavefront_size: 64
  - .agpr_count:     0
    .args:
      - .offset:         0
        .size:           88
        .value_kind:     by_value
    .group_segment_fixed_size: 0
    .kernarg_segment_align: 8
    .kernarg_segment_size: 88
    .language:       OpenCL C
    .language_version:
      - 2
      - 0
    .max_flat_workgroup_size: 1024
    .name:           _ZN7rocprim17ROCPRIM_400000_NS6detail17trampoline_kernelINS0_14default_configENS1_35radix_sort_onesweep_config_selectorIbiEEZZNS1_29radix_sort_onesweep_iterationIS3_Lb1EN6thrust23THRUST_200600_302600_NS6detail15normal_iteratorINS8_10device_ptrIbEEEESD_NSA_INSB_IiEEEESF_jNS0_19identity_decomposerENS1_16block_id_wrapperIjLb0EEEEE10hipError_tT1_PNSt15iterator_traitsISK_E10value_typeET2_T3_PNSL_ISQ_E10value_typeET4_T5_PSV_SW_PNS1_23onesweep_lookback_stateEbbT6_jjT7_P12ihipStream_tbENKUlT_T0_SK_SP_E_clIPbSD_PiSF_EEDaS13_S14_SK_SP_EUlS13_E_NS1_11comp_targetILNS1_3genE9ELNS1_11target_archE1100ELNS1_3gpuE3ELNS1_3repE0EEENS1_47radix_sort_onesweep_sort_config_static_selectorELNS0_4arch9wavefront6targetE1EEEvSK_
    .private_segment_fixed_size: 0
    .sgpr_count:     6
    .sgpr_spill_count: 0
    .symbol:         _ZN7rocprim17ROCPRIM_400000_NS6detail17trampoline_kernelINS0_14default_configENS1_35radix_sort_onesweep_config_selectorIbiEEZZNS1_29radix_sort_onesweep_iterationIS3_Lb1EN6thrust23THRUST_200600_302600_NS6detail15normal_iteratorINS8_10device_ptrIbEEEESD_NSA_INSB_IiEEEESF_jNS0_19identity_decomposerENS1_16block_id_wrapperIjLb0EEEEE10hipError_tT1_PNSt15iterator_traitsISK_E10value_typeET2_T3_PNSL_ISQ_E10value_typeET4_T5_PSV_SW_PNS1_23onesweep_lookback_stateEbbT6_jjT7_P12ihipStream_tbENKUlT_T0_SK_SP_E_clIPbSD_PiSF_EEDaS13_S14_SK_SP_EUlS13_E_NS1_11comp_targetILNS1_3genE9ELNS1_11target_archE1100ELNS1_3gpuE3ELNS1_3repE0EEENS1_47radix_sort_onesweep_sort_config_static_selectorELNS0_4arch9wavefront6targetE1EEEvSK_.kd
    .uniform_work_group_size: 1
    .uses_dynamic_stack: false
    .vgpr_count:     0
    .vgpr_spill_count: 0
    .wavefront_size: 64
  - .agpr_count:     0
    .args:
      - .offset:         0
        .size:           88
        .value_kind:     by_value
    .group_segment_fixed_size: 0
    .kernarg_segment_align: 8
    .kernarg_segment_size: 88
    .language:       OpenCL C
    .language_version:
      - 2
      - 0
    .max_flat_workgroup_size: 1024
    .name:           _ZN7rocprim17ROCPRIM_400000_NS6detail17trampoline_kernelINS0_14default_configENS1_35radix_sort_onesweep_config_selectorIbiEEZZNS1_29radix_sort_onesweep_iterationIS3_Lb1EN6thrust23THRUST_200600_302600_NS6detail15normal_iteratorINS8_10device_ptrIbEEEESD_NSA_INSB_IiEEEESF_jNS0_19identity_decomposerENS1_16block_id_wrapperIjLb0EEEEE10hipError_tT1_PNSt15iterator_traitsISK_E10value_typeET2_T3_PNSL_ISQ_E10value_typeET4_T5_PSV_SW_PNS1_23onesweep_lookback_stateEbbT6_jjT7_P12ihipStream_tbENKUlT_T0_SK_SP_E_clIPbSD_PiSF_EEDaS13_S14_SK_SP_EUlS13_E_NS1_11comp_targetILNS1_3genE8ELNS1_11target_archE1030ELNS1_3gpuE2ELNS1_3repE0EEENS1_47radix_sort_onesweep_sort_config_static_selectorELNS0_4arch9wavefront6targetE1EEEvSK_
    .private_segment_fixed_size: 0
    .sgpr_count:     6
    .sgpr_spill_count: 0
    .symbol:         _ZN7rocprim17ROCPRIM_400000_NS6detail17trampoline_kernelINS0_14default_configENS1_35radix_sort_onesweep_config_selectorIbiEEZZNS1_29radix_sort_onesweep_iterationIS3_Lb1EN6thrust23THRUST_200600_302600_NS6detail15normal_iteratorINS8_10device_ptrIbEEEESD_NSA_INSB_IiEEEESF_jNS0_19identity_decomposerENS1_16block_id_wrapperIjLb0EEEEE10hipError_tT1_PNSt15iterator_traitsISK_E10value_typeET2_T3_PNSL_ISQ_E10value_typeET4_T5_PSV_SW_PNS1_23onesweep_lookback_stateEbbT6_jjT7_P12ihipStream_tbENKUlT_T0_SK_SP_E_clIPbSD_PiSF_EEDaS13_S14_SK_SP_EUlS13_E_NS1_11comp_targetILNS1_3genE8ELNS1_11target_archE1030ELNS1_3gpuE2ELNS1_3repE0EEENS1_47radix_sort_onesweep_sort_config_static_selectorELNS0_4arch9wavefront6targetE1EEEvSK_.kd
    .uniform_work_group_size: 1
    .uses_dynamic_stack: false
    .vgpr_count:     0
    .vgpr_spill_count: 0
    .wavefront_size: 64
  - .agpr_count:     0
    .args:
      - .offset:         0
        .size:           48
        .value_kind:     by_value
      - .offset:         48
        .size:           4
        .value_kind:     hidden_block_count_x
      - .offset:         52
        .size:           4
        .value_kind:     hidden_block_count_y
      - .offset:         56
        .size:           4
        .value_kind:     hidden_block_count_z
      - .offset:         60
        .size:           2
        .value_kind:     hidden_group_size_x
      - .offset:         62
        .size:           2
        .value_kind:     hidden_group_size_y
      - .offset:         64
        .size:           2
        .value_kind:     hidden_group_size_z
      - .offset:         66
        .size:           2
        .value_kind:     hidden_remainder_x
      - .offset:         68
        .size:           2
        .value_kind:     hidden_remainder_y
      - .offset:         70
        .size:           2
        .value_kind:     hidden_remainder_z
      - .offset:         88
        .size:           8
        .value_kind:     hidden_global_offset_x
      - .offset:         96
        .size:           8
        .value_kind:     hidden_global_offset_y
      - .offset:         104
        .size:           8
        .value_kind:     hidden_global_offset_z
      - .offset:         112
        .size:           2
        .value_kind:     hidden_grid_dims
    .group_segment_fixed_size: 4112
    .kernarg_segment_align: 8
    .kernarg_segment_size: 304
    .language:       OpenCL C
    .language_version:
      - 2
      - 0
    .max_flat_workgroup_size: 256
    .name:           _ZN7rocprim17ROCPRIM_400000_NS6detail17trampoline_kernelINS0_13kernel_configILj256ELj4ELj4294967295EEENS1_37radix_sort_block_sort_config_selectorIisEEZNS1_21radix_sort_block_sortIS4_Lb0EN6thrust23THRUST_200600_302600_NS10device_ptrIiEESB_NSA_IsEESC_NS0_19identity_decomposerEEE10hipError_tT1_T2_T3_T4_jRjT5_jjP12ihipStream_tbEUlT_E_NS1_11comp_targetILNS1_3genE0ELNS1_11target_archE4294967295ELNS1_3gpuE0ELNS1_3repE0EEENS1_44radix_sort_block_sort_config_static_selectorELNS0_4arch9wavefront6targetE1EEEvSF_
    .private_segment_fixed_size: 0
    .sgpr_count:     54
    .sgpr_spill_count: 0
    .symbol:         _ZN7rocprim17ROCPRIM_400000_NS6detail17trampoline_kernelINS0_13kernel_configILj256ELj4ELj4294967295EEENS1_37radix_sort_block_sort_config_selectorIisEEZNS1_21radix_sort_block_sortIS4_Lb0EN6thrust23THRUST_200600_302600_NS10device_ptrIiEESB_NSA_IsEESC_NS0_19identity_decomposerEEE10hipError_tT1_T2_T3_T4_jRjT5_jjP12ihipStream_tbEUlT_E_NS1_11comp_targetILNS1_3genE0ELNS1_11target_archE4294967295ELNS1_3gpuE0ELNS1_3repE0EEENS1_44radix_sort_block_sort_config_static_selectorELNS0_4arch9wavefront6targetE1EEEvSF_.kd
    .uniform_work_group_size: 1
    .uses_dynamic_stack: false
    .vgpr_count:     40
    .vgpr_spill_count: 0
    .wavefront_size: 64
  - .agpr_count:     0
    .args:
      - .offset:         0
        .size:           48
        .value_kind:     by_value
    .group_segment_fixed_size: 0
    .kernarg_segment_align: 8
    .kernarg_segment_size: 48
    .language:       OpenCL C
    .language_version:
      - 2
      - 0
    .max_flat_workgroup_size: 256
    .name:           _ZN7rocprim17ROCPRIM_400000_NS6detail17trampoline_kernelINS0_13kernel_configILj256ELj4ELj4294967295EEENS1_37radix_sort_block_sort_config_selectorIisEEZNS1_21radix_sort_block_sortIS4_Lb0EN6thrust23THRUST_200600_302600_NS10device_ptrIiEESB_NSA_IsEESC_NS0_19identity_decomposerEEE10hipError_tT1_T2_T3_T4_jRjT5_jjP12ihipStream_tbEUlT_E_NS1_11comp_targetILNS1_3genE5ELNS1_11target_archE942ELNS1_3gpuE9ELNS1_3repE0EEENS1_44radix_sort_block_sort_config_static_selectorELNS0_4arch9wavefront6targetE1EEEvSF_
    .private_segment_fixed_size: 0
    .sgpr_count:     6
    .sgpr_spill_count: 0
    .symbol:         _ZN7rocprim17ROCPRIM_400000_NS6detail17trampoline_kernelINS0_13kernel_configILj256ELj4ELj4294967295EEENS1_37radix_sort_block_sort_config_selectorIisEEZNS1_21radix_sort_block_sortIS4_Lb0EN6thrust23THRUST_200600_302600_NS10device_ptrIiEESB_NSA_IsEESC_NS0_19identity_decomposerEEE10hipError_tT1_T2_T3_T4_jRjT5_jjP12ihipStream_tbEUlT_E_NS1_11comp_targetILNS1_3genE5ELNS1_11target_archE942ELNS1_3gpuE9ELNS1_3repE0EEENS1_44radix_sort_block_sort_config_static_selectorELNS0_4arch9wavefront6targetE1EEEvSF_.kd
    .uniform_work_group_size: 1
    .uses_dynamic_stack: false
    .vgpr_count:     0
    .vgpr_spill_count: 0
    .wavefront_size: 64
  - .agpr_count:     0
    .args:
      - .offset:         0
        .size:           48
        .value_kind:     by_value
    .group_segment_fixed_size: 0
    .kernarg_segment_align: 8
    .kernarg_segment_size: 48
    .language:       OpenCL C
    .language_version:
      - 2
      - 0
    .max_flat_workgroup_size: 256
    .name:           _ZN7rocprim17ROCPRIM_400000_NS6detail17trampoline_kernelINS0_13kernel_configILj256ELj4ELj4294967295EEENS1_37radix_sort_block_sort_config_selectorIisEEZNS1_21radix_sort_block_sortIS4_Lb0EN6thrust23THRUST_200600_302600_NS10device_ptrIiEESB_NSA_IsEESC_NS0_19identity_decomposerEEE10hipError_tT1_T2_T3_T4_jRjT5_jjP12ihipStream_tbEUlT_E_NS1_11comp_targetILNS1_3genE4ELNS1_11target_archE910ELNS1_3gpuE8ELNS1_3repE0EEENS1_44radix_sort_block_sort_config_static_selectorELNS0_4arch9wavefront6targetE1EEEvSF_
    .private_segment_fixed_size: 0
    .sgpr_count:     6
    .sgpr_spill_count: 0
    .symbol:         _ZN7rocprim17ROCPRIM_400000_NS6detail17trampoline_kernelINS0_13kernel_configILj256ELj4ELj4294967295EEENS1_37radix_sort_block_sort_config_selectorIisEEZNS1_21radix_sort_block_sortIS4_Lb0EN6thrust23THRUST_200600_302600_NS10device_ptrIiEESB_NSA_IsEESC_NS0_19identity_decomposerEEE10hipError_tT1_T2_T3_T4_jRjT5_jjP12ihipStream_tbEUlT_E_NS1_11comp_targetILNS1_3genE4ELNS1_11target_archE910ELNS1_3gpuE8ELNS1_3repE0EEENS1_44radix_sort_block_sort_config_static_selectorELNS0_4arch9wavefront6targetE1EEEvSF_.kd
    .uniform_work_group_size: 1
    .uses_dynamic_stack: false
    .vgpr_count:     0
    .vgpr_spill_count: 0
    .wavefront_size: 64
  - .agpr_count:     0
    .args:
      - .offset:         0
        .size:           48
        .value_kind:     by_value
    .group_segment_fixed_size: 0
    .kernarg_segment_align: 8
    .kernarg_segment_size: 48
    .language:       OpenCL C
    .language_version:
      - 2
      - 0
    .max_flat_workgroup_size: 256
    .name:           _ZN7rocprim17ROCPRIM_400000_NS6detail17trampoline_kernelINS0_13kernel_configILj256ELj4ELj4294967295EEENS1_37radix_sort_block_sort_config_selectorIisEEZNS1_21radix_sort_block_sortIS4_Lb0EN6thrust23THRUST_200600_302600_NS10device_ptrIiEESB_NSA_IsEESC_NS0_19identity_decomposerEEE10hipError_tT1_T2_T3_T4_jRjT5_jjP12ihipStream_tbEUlT_E_NS1_11comp_targetILNS1_3genE3ELNS1_11target_archE908ELNS1_3gpuE7ELNS1_3repE0EEENS1_44radix_sort_block_sort_config_static_selectorELNS0_4arch9wavefront6targetE1EEEvSF_
    .private_segment_fixed_size: 0
    .sgpr_count:     6
    .sgpr_spill_count: 0
    .symbol:         _ZN7rocprim17ROCPRIM_400000_NS6detail17trampoline_kernelINS0_13kernel_configILj256ELj4ELj4294967295EEENS1_37radix_sort_block_sort_config_selectorIisEEZNS1_21radix_sort_block_sortIS4_Lb0EN6thrust23THRUST_200600_302600_NS10device_ptrIiEESB_NSA_IsEESC_NS0_19identity_decomposerEEE10hipError_tT1_T2_T3_T4_jRjT5_jjP12ihipStream_tbEUlT_E_NS1_11comp_targetILNS1_3genE3ELNS1_11target_archE908ELNS1_3gpuE7ELNS1_3repE0EEENS1_44radix_sort_block_sort_config_static_selectorELNS0_4arch9wavefront6targetE1EEEvSF_.kd
    .uniform_work_group_size: 1
    .uses_dynamic_stack: false
    .vgpr_count:     0
    .vgpr_spill_count: 0
    .wavefront_size: 64
  - .agpr_count:     0
    .args:
      - .offset:         0
        .size:           48
        .value_kind:     by_value
    .group_segment_fixed_size: 0
    .kernarg_segment_align: 8
    .kernarg_segment_size: 48
    .language:       OpenCL C
    .language_version:
      - 2
      - 0
    .max_flat_workgroup_size: 256
    .name:           _ZN7rocprim17ROCPRIM_400000_NS6detail17trampoline_kernelINS0_13kernel_configILj256ELj4ELj4294967295EEENS1_37radix_sort_block_sort_config_selectorIisEEZNS1_21radix_sort_block_sortIS4_Lb0EN6thrust23THRUST_200600_302600_NS10device_ptrIiEESB_NSA_IsEESC_NS0_19identity_decomposerEEE10hipError_tT1_T2_T3_T4_jRjT5_jjP12ihipStream_tbEUlT_E_NS1_11comp_targetILNS1_3genE2ELNS1_11target_archE906ELNS1_3gpuE6ELNS1_3repE0EEENS1_44radix_sort_block_sort_config_static_selectorELNS0_4arch9wavefront6targetE1EEEvSF_
    .private_segment_fixed_size: 0
    .sgpr_count:     6
    .sgpr_spill_count: 0
    .symbol:         _ZN7rocprim17ROCPRIM_400000_NS6detail17trampoline_kernelINS0_13kernel_configILj256ELj4ELj4294967295EEENS1_37radix_sort_block_sort_config_selectorIisEEZNS1_21radix_sort_block_sortIS4_Lb0EN6thrust23THRUST_200600_302600_NS10device_ptrIiEESB_NSA_IsEESC_NS0_19identity_decomposerEEE10hipError_tT1_T2_T3_T4_jRjT5_jjP12ihipStream_tbEUlT_E_NS1_11comp_targetILNS1_3genE2ELNS1_11target_archE906ELNS1_3gpuE6ELNS1_3repE0EEENS1_44radix_sort_block_sort_config_static_selectorELNS0_4arch9wavefront6targetE1EEEvSF_.kd
    .uniform_work_group_size: 1
    .uses_dynamic_stack: false
    .vgpr_count:     0
    .vgpr_spill_count: 0
    .wavefront_size: 64
  - .agpr_count:     0
    .args:
      - .offset:         0
        .size:           48
        .value_kind:     by_value
    .group_segment_fixed_size: 0
    .kernarg_segment_align: 8
    .kernarg_segment_size: 48
    .language:       OpenCL C
    .language_version:
      - 2
      - 0
    .max_flat_workgroup_size: 256
    .name:           _ZN7rocprim17ROCPRIM_400000_NS6detail17trampoline_kernelINS0_13kernel_configILj256ELj4ELj4294967295EEENS1_37radix_sort_block_sort_config_selectorIisEEZNS1_21radix_sort_block_sortIS4_Lb0EN6thrust23THRUST_200600_302600_NS10device_ptrIiEESB_NSA_IsEESC_NS0_19identity_decomposerEEE10hipError_tT1_T2_T3_T4_jRjT5_jjP12ihipStream_tbEUlT_E_NS1_11comp_targetILNS1_3genE10ELNS1_11target_archE1201ELNS1_3gpuE5ELNS1_3repE0EEENS1_44radix_sort_block_sort_config_static_selectorELNS0_4arch9wavefront6targetE1EEEvSF_
    .private_segment_fixed_size: 0
    .sgpr_count:     6
    .sgpr_spill_count: 0
    .symbol:         _ZN7rocprim17ROCPRIM_400000_NS6detail17trampoline_kernelINS0_13kernel_configILj256ELj4ELj4294967295EEENS1_37radix_sort_block_sort_config_selectorIisEEZNS1_21radix_sort_block_sortIS4_Lb0EN6thrust23THRUST_200600_302600_NS10device_ptrIiEESB_NSA_IsEESC_NS0_19identity_decomposerEEE10hipError_tT1_T2_T3_T4_jRjT5_jjP12ihipStream_tbEUlT_E_NS1_11comp_targetILNS1_3genE10ELNS1_11target_archE1201ELNS1_3gpuE5ELNS1_3repE0EEENS1_44radix_sort_block_sort_config_static_selectorELNS0_4arch9wavefront6targetE1EEEvSF_.kd
    .uniform_work_group_size: 1
    .uses_dynamic_stack: false
    .vgpr_count:     0
    .vgpr_spill_count: 0
    .wavefront_size: 64
  - .agpr_count:     0
    .args:
      - .offset:         0
        .size:           48
        .value_kind:     by_value
    .group_segment_fixed_size: 0
    .kernarg_segment_align: 8
    .kernarg_segment_size: 48
    .language:       OpenCL C
    .language_version:
      - 2
      - 0
    .max_flat_workgroup_size: 256
    .name:           _ZN7rocprim17ROCPRIM_400000_NS6detail17trampoline_kernelINS0_13kernel_configILj256ELj4ELj4294967295EEENS1_37radix_sort_block_sort_config_selectorIisEEZNS1_21radix_sort_block_sortIS4_Lb0EN6thrust23THRUST_200600_302600_NS10device_ptrIiEESB_NSA_IsEESC_NS0_19identity_decomposerEEE10hipError_tT1_T2_T3_T4_jRjT5_jjP12ihipStream_tbEUlT_E_NS1_11comp_targetILNS1_3genE10ELNS1_11target_archE1200ELNS1_3gpuE4ELNS1_3repE0EEENS1_44radix_sort_block_sort_config_static_selectorELNS0_4arch9wavefront6targetE1EEEvSF_
    .private_segment_fixed_size: 0
    .sgpr_count:     6
    .sgpr_spill_count: 0
    .symbol:         _ZN7rocprim17ROCPRIM_400000_NS6detail17trampoline_kernelINS0_13kernel_configILj256ELj4ELj4294967295EEENS1_37radix_sort_block_sort_config_selectorIisEEZNS1_21radix_sort_block_sortIS4_Lb0EN6thrust23THRUST_200600_302600_NS10device_ptrIiEESB_NSA_IsEESC_NS0_19identity_decomposerEEE10hipError_tT1_T2_T3_T4_jRjT5_jjP12ihipStream_tbEUlT_E_NS1_11comp_targetILNS1_3genE10ELNS1_11target_archE1200ELNS1_3gpuE4ELNS1_3repE0EEENS1_44radix_sort_block_sort_config_static_selectorELNS0_4arch9wavefront6targetE1EEEvSF_.kd
    .uniform_work_group_size: 1
    .uses_dynamic_stack: false
    .vgpr_count:     0
    .vgpr_spill_count: 0
    .wavefront_size: 64
  - .agpr_count:     0
    .args:
      - .offset:         0
        .size:           48
        .value_kind:     by_value
    .group_segment_fixed_size: 0
    .kernarg_segment_align: 8
    .kernarg_segment_size: 48
    .language:       OpenCL C
    .language_version:
      - 2
      - 0
    .max_flat_workgroup_size: 256
    .name:           _ZN7rocprim17ROCPRIM_400000_NS6detail17trampoline_kernelINS0_13kernel_configILj256ELj4ELj4294967295EEENS1_37radix_sort_block_sort_config_selectorIisEEZNS1_21radix_sort_block_sortIS4_Lb0EN6thrust23THRUST_200600_302600_NS10device_ptrIiEESB_NSA_IsEESC_NS0_19identity_decomposerEEE10hipError_tT1_T2_T3_T4_jRjT5_jjP12ihipStream_tbEUlT_E_NS1_11comp_targetILNS1_3genE9ELNS1_11target_archE1100ELNS1_3gpuE3ELNS1_3repE0EEENS1_44radix_sort_block_sort_config_static_selectorELNS0_4arch9wavefront6targetE1EEEvSF_
    .private_segment_fixed_size: 0
    .sgpr_count:     6
    .sgpr_spill_count: 0
    .symbol:         _ZN7rocprim17ROCPRIM_400000_NS6detail17trampoline_kernelINS0_13kernel_configILj256ELj4ELj4294967295EEENS1_37radix_sort_block_sort_config_selectorIisEEZNS1_21radix_sort_block_sortIS4_Lb0EN6thrust23THRUST_200600_302600_NS10device_ptrIiEESB_NSA_IsEESC_NS0_19identity_decomposerEEE10hipError_tT1_T2_T3_T4_jRjT5_jjP12ihipStream_tbEUlT_E_NS1_11comp_targetILNS1_3genE9ELNS1_11target_archE1100ELNS1_3gpuE3ELNS1_3repE0EEENS1_44radix_sort_block_sort_config_static_selectorELNS0_4arch9wavefront6targetE1EEEvSF_.kd
    .uniform_work_group_size: 1
    .uses_dynamic_stack: false
    .vgpr_count:     0
    .vgpr_spill_count: 0
    .wavefront_size: 64
  - .agpr_count:     0
    .args:
      - .offset:         0
        .size:           48
        .value_kind:     by_value
    .group_segment_fixed_size: 0
    .kernarg_segment_align: 8
    .kernarg_segment_size: 48
    .language:       OpenCL C
    .language_version:
      - 2
      - 0
    .max_flat_workgroup_size: 256
    .name:           _ZN7rocprim17ROCPRIM_400000_NS6detail17trampoline_kernelINS0_13kernel_configILj256ELj4ELj4294967295EEENS1_37radix_sort_block_sort_config_selectorIisEEZNS1_21radix_sort_block_sortIS4_Lb0EN6thrust23THRUST_200600_302600_NS10device_ptrIiEESB_NSA_IsEESC_NS0_19identity_decomposerEEE10hipError_tT1_T2_T3_T4_jRjT5_jjP12ihipStream_tbEUlT_E_NS1_11comp_targetILNS1_3genE8ELNS1_11target_archE1030ELNS1_3gpuE2ELNS1_3repE0EEENS1_44radix_sort_block_sort_config_static_selectorELNS0_4arch9wavefront6targetE1EEEvSF_
    .private_segment_fixed_size: 0
    .sgpr_count:     6
    .sgpr_spill_count: 0
    .symbol:         _ZN7rocprim17ROCPRIM_400000_NS6detail17trampoline_kernelINS0_13kernel_configILj256ELj4ELj4294967295EEENS1_37radix_sort_block_sort_config_selectorIisEEZNS1_21radix_sort_block_sortIS4_Lb0EN6thrust23THRUST_200600_302600_NS10device_ptrIiEESB_NSA_IsEESC_NS0_19identity_decomposerEEE10hipError_tT1_T2_T3_T4_jRjT5_jjP12ihipStream_tbEUlT_E_NS1_11comp_targetILNS1_3genE8ELNS1_11target_archE1030ELNS1_3gpuE2ELNS1_3repE0EEENS1_44radix_sort_block_sort_config_static_selectorELNS0_4arch9wavefront6targetE1EEEvSF_.kd
    .uniform_work_group_size: 1
    .uses_dynamic_stack: false
    .vgpr_count:     0
    .vgpr_spill_count: 0
    .wavefront_size: 64
  - .agpr_count:     0
    .args:           []
    .group_segment_fixed_size: 0
    .kernarg_segment_align: 4
    .kernarg_segment_size: 0
    .language:       OpenCL C
    .language_version:
      - 2
      - 0
    .max_flat_workgroup_size: 1024
    .name:           _ZN7rocprim17ROCPRIM_400000_NS6detail44device_merge_sort_compile_time_verifier_archINS1_11comp_targetILNS1_3genE0ELNS1_11target_archE4294967295ELNS1_3gpuE0ELNS1_3repE0EEES8_NS1_28merge_sort_block_sort_configILj256ELj4ELNS0_20block_sort_algorithmE0EEENS0_14default_configENS1_37merge_sort_block_sort_config_selectorIisEENS1_38merge_sort_block_merge_config_selectorIisEEEEvv
    .private_segment_fixed_size: 0
    .sgpr_count:     6
    .sgpr_spill_count: 0
    .symbol:         _ZN7rocprim17ROCPRIM_400000_NS6detail44device_merge_sort_compile_time_verifier_archINS1_11comp_targetILNS1_3genE0ELNS1_11target_archE4294967295ELNS1_3gpuE0ELNS1_3repE0EEES8_NS1_28merge_sort_block_sort_configILj256ELj4ELNS0_20block_sort_algorithmE0EEENS0_14default_configENS1_37merge_sort_block_sort_config_selectorIisEENS1_38merge_sort_block_merge_config_selectorIisEEEEvv.kd
    .uniform_work_group_size: 1
    .uses_dynamic_stack: false
    .vgpr_count:     0
    .vgpr_spill_count: 0
    .wavefront_size: 64
  - .agpr_count:     0
    .args:           []
    .group_segment_fixed_size: 0
    .kernarg_segment_align: 4
    .kernarg_segment_size: 0
    .language:       OpenCL C
    .language_version:
      - 2
      - 0
    .max_flat_workgroup_size: 1024
    .name:           _ZN7rocprim17ROCPRIM_400000_NS6detail44device_merge_sort_compile_time_verifier_archINS1_11comp_targetILNS1_3genE5ELNS1_11target_archE942ELNS1_3gpuE9ELNS1_3repE0EEES8_NS1_28merge_sort_block_sort_configILj256ELj4ELNS0_20block_sort_algorithmE0EEENS0_14default_configENS1_37merge_sort_block_sort_config_selectorIisEENS1_38merge_sort_block_merge_config_selectorIisEEEEvv
    .private_segment_fixed_size: 0
    .sgpr_count:     6
    .sgpr_spill_count: 0
    .symbol:         _ZN7rocprim17ROCPRIM_400000_NS6detail44device_merge_sort_compile_time_verifier_archINS1_11comp_targetILNS1_3genE5ELNS1_11target_archE942ELNS1_3gpuE9ELNS1_3repE0EEES8_NS1_28merge_sort_block_sort_configILj256ELj4ELNS0_20block_sort_algorithmE0EEENS0_14default_configENS1_37merge_sort_block_sort_config_selectorIisEENS1_38merge_sort_block_merge_config_selectorIisEEEEvv.kd
    .uniform_work_group_size: 1
    .uses_dynamic_stack: false
    .vgpr_count:     0
    .vgpr_spill_count: 0
    .wavefront_size: 64
  - .agpr_count:     0
    .args:           []
    .group_segment_fixed_size: 0
    .kernarg_segment_align: 4
    .kernarg_segment_size: 0
    .language:       OpenCL C
    .language_version:
      - 2
      - 0
    .max_flat_workgroup_size: 1024
    .name:           _ZN7rocprim17ROCPRIM_400000_NS6detail44device_merge_sort_compile_time_verifier_archINS1_11comp_targetILNS1_3genE4ELNS1_11target_archE910ELNS1_3gpuE8ELNS1_3repE0EEES8_NS1_28merge_sort_block_sort_configILj256ELj4ELNS0_20block_sort_algorithmE0EEENS0_14default_configENS1_37merge_sort_block_sort_config_selectorIisEENS1_38merge_sort_block_merge_config_selectorIisEEEEvv
    .private_segment_fixed_size: 0
    .sgpr_count:     6
    .sgpr_spill_count: 0
    .symbol:         _ZN7rocprim17ROCPRIM_400000_NS6detail44device_merge_sort_compile_time_verifier_archINS1_11comp_targetILNS1_3genE4ELNS1_11target_archE910ELNS1_3gpuE8ELNS1_3repE0EEES8_NS1_28merge_sort_block_sort_configILj256ELj4ELNS0_20block_sort_algorithmE0EEENS0_14default_configENS1_37merge_sort_block_sort_config_selectorIisEENS1_38merge_sort_block_merge_config_selectorIisEEEEvv.kd
    .uniform_work_group_size: 1
    .uses_dynamic_stack: false
    .vgpr_count:     0
    .vgpr_spill_count: 0
    .wavefront_size: 64
  - .agpr_count:     0
    .args:           []
    .group_segment_fixed_size: 0
    .kernarg_segment_align: 4
    .kernarg_segment_size: 0
    .language:       OpenCL C
    .language_version:
      - 2
      - 0
    .max_flat_workgroup_size: 1024
    .name:           _ZN7rocprim17ROCPRIM_400000_NS6detail44device_merge_sort_compile_time_verifier_archINS1_11comp_targetILNS1_3genE3ELNS1_11target_archE908ELNS1_3gpuE7ELNS1_3repE0EEES8_NS1_28merge_sort_block_sort_configILj256ELj4ELNS0_20block_sort_algorithmE0EEENS0_14default_configENS1_37merge_sort_block_sort_config_selectorIisEENS1_38merge_sort_block_merge_config_selectorIisEEEEvv
    .private_segment_fixed_size: 0
    .sgpr_count:     6
    .sgpr_spill_count: 0
    .symbol:         _ZN7rocprim17ROCPRIM_400000_NS6detail44device_merge_sort_compile_time_verifier_archINS1_11comp_targetILNS1_3genE3ELNS1_11target_archE908ELNS1_3gpuE7ELNS1_3repE0EEES8_NS1_28merge_sort_block_sort_configILj256ELj4ELNS0_20block_sort_algorithmE0EEENS0_14default_configENS1_37merge_sort_block_sort_config_selectorIisEENS1_38merge_sort_block_merge_config_selectorIisEEEEvv.kd
    .uniform_work_group_size: 1
    .uses_dynamic_stack: false
    .vgpr_count:     0
    .vgpr_spill_count: 0
    .wavefront_size: 64
  - .agpr_count:     0
    .args:           []
    .group_segment_fixed_size: 0
    .kernarg_segment_align: 4
    .kernarg_segment_size: 0
    .language:       OpenCL C
    .language_version:
      - 2
      - 0
    .max_flat_workgroup_size: 1024
    .name:           _ZN7rocprim17ROCPRIM_400000_NS6detail44device_merge_sort_compile_time_verifier_archINS1_11comp_targetILNS1_3genE2ELNS1_11target_archE906ELNS1_3gpuE6ELNS1_3repE0EEES8_NS1_28merge_sort_block_sort_configILj256ELj4ELNS0_20block_sort_algorithmE0EEENS0_14default_configENS1_37merge_sort_block_sort_config_selectorIisEENS1_38merge_sort_block_merge_config_selectorIisEEEEvv
    .private_segment_fixed_size: 0
    .sgpr_count:     6
    .sgpr_spill_count: 0
    .symbol:         _ZN7rocprim17ROCPRIM_400000_NS6detail44device_merge_sort_compile_time_verifier_archINS1_11comp_targetILNS1_3genE2ELNS1_11target_archE906ELNS1_3gpuE6ELNS1_3repE0EEES8_NS1_28merge_sort_block_sort_configILj256ELj4ELNS0_20block_sort_algorithmE0EEENS0_14default_configENS1_37merge_sort_block_sort_config_selectorIisEENS1_38merge_sort_block_merge_config_selectorIisEEEEvv.kd
    .uniform_work_group_size: 1
    .uses_dynamic_stack: false
    .vgpr_count:     0
    .vgpr_spill_count: 0
    .wavefront_size: 64
  - .agpr_count:     0
    .args:           []
    .group_segment_fixed_size: 0
    .kernarg_segment_align: 4
    .kernarg_segment_size: 0
    .language:       OpenCL C
    .language_version:
      - 2
      - 0
    .max_flat_workgroup_size: 1024
    .name:           _ZN7rocprim17ROCPRIM_400000_NS6detail44device_merge_sort_compile_time_verifier_archINS1_11comp_targetILNS1_3genE10ELNS1_11target_archE1201ELNS1_3gpuE5ELNS1_3repE0EEES8_NS1_28merge_sort_block_sort_configILj256ELj4ELNS0_20block_sort_algorithmE0EEENS0_14default_configENS1_37merge_sort_block_sort_config_selectorIisEENS1_38merge_sort_block_merge_config_selectorIisEEEEvv
    .private_segment_fixed_size: 0
    .sgpr_count:     6
    .sgpr_spill_count: 0
    .symbol:         _ZN7rocprim17ROCPRIM_400000_NS6detail44device_merge_sort_compile_time_verifier_archINS1_11comp_targetILNS1_3genE10ELNS1_11target_archE1201ELNS1_3gpuE5ELNS1_3repE0EEES8_NS1_28merge_sort_block_sort_configILj256ELj4ELNS0_20block_sort_algorithmE0EEENS0_14default_configENS1_37merge_sort_block_sort_config_selectorIisEENS1_38merge_sort_block_merge_config_selectorIisEEEEvv.kd
    .uniform_work_group_size: 1
    .uses_dynamic_stack: false
    .vgpr_count:     0
    .vgpr_spill_count: 0
    .wavefront_size: 64
  - .agpr_count:     0
    .args:           []
    .group_segment_fixed_size: 0
    .kernarg_segment_align: 4
    .kernarg_segment_size: 0
    .language:       OpenCL C
    .language_version:
      - 2
      - 0
    .max_flat_workgroup_size: 1024
    .name:           _ZN7rocprim17ROCPRIM_400000_NS6detail44device_merge_sort_compile_time_verifier_archINS1_11comp_targetILNS1_3genE10ELNS1_11target_archE1200ELNS1_3gpuE4ELNS1_3repE0EEENS3_ILS4_10ELS5_1201ELS6_5ELS7_0EEENS1_28merge_sort_block_sort_configILj256ELj4ELNS0_20block_sort_algorithmE0EEENS0_14default_configENS1_37merge_sort_block_sort_config_selectorIisEENS1_38merge_sort_block_merge_config_selectorIisEEEEvv
    .private_segment_fixed_size: 0
    .sgpr_count:     6
    .sgpr_spill_count: 0
    .symbol:         _ZN7rocprim17ROCPRIM_400000_NS6detail44device_merge_sort_compile_time_verifier_archINS1_11comp_targetILNS1_3genE10ELNS1_11target_archE1200ELNS1_3gpuE4ELNS1_3repE0EEENS3_ILS4_10ELS5_1201ELS6_5ELS7_0EEENS1_28merge_sort_block_sort_configILj256ELj4ELNS0_20block_sort_algorithmE0EEENS0_14default_configENS1_37merge_sort_block_sort_config_selectorIisEENS1_38merge_sort_block_merge_config_selectorIisEEEEvv.kd
    .uniform_work_group_size: 1
    .uses_dynamic_stack: false
    .vgpr_count:     0
    .vgpr_spill_count: 0
    .wavefront_size: 64
  - .agpr_count:     0
    .args:           []
    .group_segment_fixed_size: 0
    .kernarg_segment_align: 4
    .kernarg_segment_size: 0
    .language:       OpenCL C
    .language_version:
      - 2
      - 0
    .max_flat_workgroup_size: 1024
    .name:           _ZN7rocprim17ROCPRIM_400000_NS6detail44device_merge_sort_compile_time_verifier_archINS1_11comp_targetILNS1_3genE9ELNS1_11target_archE1100ELNS1_3gpuE3ELNS1_3repE0EEES8_NS1_28merge_sort_block_sort_configILj256ELj4ELNS0_20block_sort_algorithmE0EEENS0_14default_configENS1_37merge_sort_block_sort_config_selectorIisEENS1_38merge_sort_block_merge_config_selectorIisEEEEvv
    .private_segment_fixed_size: 0
    .sgpr_count:     6
    .sgpr_spill_count: 0
    .symbol:         _ZN7rocprim17ROCPRIM_400000_NS6detail44device_merge_sort_compile_time_verifier_archINS1_11comp_targetILNS1_3genE9ELNS1_11target_archE1100ELNS1_3gpuE3ELNS1_3repE0EEES8_NS1_28merge_sort_block_sort_configILj256ELj4ELNS0_20block_sort_algorithmE0EEENS0_14default_configENS1_37merge_sort_block_sort_config_selectorIisEENS1_38merge_sort_block_merge_config_selectorIisEEEEvv.kd
    .uniform_work_group_size: 1
    .uses_dynamic_stack: false
    .vgpr_count:     0
    .vgpr_spill_count: 0
    .wavefront_size: 64
  - .agpr_count:     0
    .args:           []
    .group_segment_fixed_size: 0
    .kernarg_segment_align: 4
    .kernarg_segment_size: 0
    .language:       OpenCL C
    .language_version:
      - 2
      - 0
    .max_flat_workgroup_size: 1024
    .name:           _ZN7rocprim17ROCPRIM_400000_NS6detail44device_merge_sort_compile_time_verifier_archINS1_11comp_targetILNS1_3genE8ELNS1_11target_archE1030ELNS1_3gpuE2ELNS1_3repE0EEES8_NS1_28merge_sort_block_sort_configILj256ELj4ELNS0_20block_sort_algorithmE0EEENS0_14default_configENS1_37merge_sort_block_sort_config_selectorIisEENS1_38merge_sort_block_merge_config_selectorIisEEEEvv
    .private_segment_fixed_size: 0
    .sgpr_count:     6
    .sgpr_spill_count: 0
    .symbol:         _ZN7rocprim17ROCPRIM_400000_NS6detail44device_merge_sort_compile_time_verifier_archINS1_11comp_targetILNS1_3genE8ELNS1_11target_archE1030ELNS1_3gpuE2ELNS1_3repE0EEES8_NS1_28merge_sort_block_sort_configILj256ELj4ELNS0_20block_sort_algorithmE0EEENS0_14default_configENS1_37merge_sort_block_sort_config_selectorIisEENS1_38merge_sort_block_merge_config_selectorIisEEEEvv.kd
    .uniform_work_group_size: 1
    .uses_dynamic_stack: false
    .vgpr_count:     0
    .vgpr_spill_count: 0
    .wavefront_size: 64
  - .agpr_count:     0
    .args:
      - .offset:         0
        .size:           40
        .value_kind:     by_value
    .group_segment_fixed_size: 0
    .kernarg_segment_align: 8
    .kernarg_segment_size: 40
    .language:       OpenCL C
    .language_version:
      - 2
      - 0
    .max_flat_workgroup_size: 128
    .name:           _ZN7rocprim17ROCPRIM_400000_NS6detail17trampoline_kernelINS0_14default_configENS1_38merge_sort_block_merge_config_selectorIisEEZZNS1_27merge_sort_block_merge_implIS3_N6thrust23THRUST_200600_302600_NS10device_ptrIiEENS9_IsEEjNS1_19radix_merge_compareILb0ELb0EiNS0_19identity_decomposerEEEEE10hipError_tT0_T1_T2_jT3_P12ihipStream_tbPNSt15iterator_traitsISG_E10value_typeEPNSM_ISH_E10value_typeEPSI_NS1_7vsmem_tEENKUlT_SG_SH_SI_E_clIPiSA_PsSB_EESF_SV_SG_SH_SI_EUlSV_E_NS1_11comp_targetILNS1_3genE0ELNS1_11target_archE4294967295ELNS1_3gpuE0ELNS1_3repE0EEENS1_48merge_mergepath_partition_config_static_selectorELNS0_4arch9wavefront6targetE1EEEvSH_
    .private_segment_fixed_size: 0
    .sgpr_count:     14
    .sgpr_spill_count: 0
    .symbol:         _ZN7rocprim17ROCPRIM_400000_NS6detail17trampoline_kernelINS0_14default_configENS1_38merge_sort_block_merge_config_selectorIisEEZZNS1_27merge_sort_block_merge_implIS3_N6thrust23THRUST_200600_302600_NS10device_ptrIiEENS9_IsEEjNS1_19radix_merge_compareILb0ELb0EiNS0_19identity_decomposerEEEEE10hipError_tT0_T1_T2_jT3_P12ihipStream_tbPNSt15iterator_traitsISG_E10value_typeEPNSM_ISH_E10value_typeEPSI_NS1_7vsmem_tEENKUlT_SG_SH_SI_E_clIPiSA_PsSB_EESF_SV_SG_SH_SI_EUlSV_E_NS1_11comp_targetILNS1_3genE0ELNS1_11target_archE4294967295ELNS1_3gpuE0ELNS1_3repE0EEENS1_48merge_mergepath_partition_config_static_selectorELNS0_4arch9wavefront6targetE1EEEvSH_.kd
    .uniform_work_group_size: 1
    .uses_dynamic_stack: false
    .vgpr_count:     17
    .vgpr_spill_count: 0
    .wavefront_size: 64
  - .agpr_count:     0
    .args:
      - .offset:         0
        .size:           40
        .value_kind:     by_value
    .group_segment_fixed_size: 0
    .kernarg_segment_align: 8
    .kernarg_segment_size: 40
    .language:       OpenCL C
    .language_version:
      - 2
      - 0
    .max_flat_workgroup_size: 128
    .name:           _ZN7rocprim17ROCPRIM_400000_NS6detail17trampoline_kernelINS0_14default_configENS1_38merge_sort_block_merge_config_selectorIisEEZZNS1_27merge_sort_block_merge_implIS3_N6thrust23THRUST_200600_302600_NS10device_ptrIiEENS9_IsEEjNS1_19radix_merge_compareILb0ELb0EiNS0_19identity_decomposerEEEEE10hipError_tT0_T1_T2_jT3_P12ihipStream_tbPNSt15iterator_traitsISG_E10value_typeEPNSM_ISH_E10value_typeEPSI_NS1_7vsmem_tEENKUlT_SG_SH_SI_E_clIPiSA_PsSB_EESF_SV_SG_SH_SI_EUlSV_E_NS1_11comp_targetILNS1_3genE10ELNS1_11target_archE1201ELNS1_3gpuE5ELNS1_3repE0EEENS1_48merge_mergepath_partition_config_static_selectorELNS0_4arch9wavefront6targetE1EEEvSH_
    .private_segment_fixed_size: 0
    .sgpr_count:     6
    .sgpr_spill_count: 0
    .symbol:         _ZN7rocprim17ROCPRIM_400000_NS6detail17trampoline_kernelINS0_14default_configENS1_38merge_sort_block_merge_config_selectorIisEEZZNS1_27merge_sort_block_merge_implIS3_N6thrust23THRUST_200600_302600_NS10device_ptrIiEENS9_IsEEjNS1_19radix_merge_compareILb0ELb0EiNS0_19identity_decomposerEEEEE10hipError_tT0_T1_T2_jT3_P12ihipStream_tbPNSt15iterator_traitsISG_E10value_typeEPNSM_ISH_E10value_typeEPSI_NS1_7vsmem_tEENKUlT_SG_SH_SI_E_clIPiSA_PsSB_EESF_SV_SG_SH_SI_EUlSV_E_NS1_11comp_targetILNS1_3genE10ELNS1_11target_archE1201ELNS1_3gpuE5ELNS1_3repE0EEENS1_48merge_mergepath_partition_config_static_selectorELNS0_4arch9wavefront6targetE1EEEvSH_.kd
    .uniform_work_group_size: 1
    .uses_dynamic_stack: false
    .vgpr_count:     0
    .vgpr_spill_count: 0
    .wavefront_size: 64
  - .agpr_count:     0
    .args:
      - .offset:         0
        .size:           40
        .value_kind:     by_value
    .group_segment_fixed_size: 0
    .kernarg_segment_align: 8
    .kernarg_segment_size: 40
    .language:       OpenCL C
    .language_version:
      - 2
      - 0
    .max_flat_workgroup_size: 128
    .name:           _ZN7rocprim17ROCPRIM_400000_NS6detail17trampoline_kernelINS0_14default_configENS1_38merge_sort_block_merge_config_selectorIisEEZZNS1_27merge_sort_block_merge_implIS3_N6thrust23THRUST_200600_302600_NS10device_ptrIiEENS9_IsEEjNS1_19radix_merge_compareILb0ELb0EiNS0_19identity_decomposerEEEEE10hipError_tT0_T1_T2_jT3_P12ihipStream_tbPNSt15iterator_traitsISG_E10value_typeEPNSM_ISH_E10value_typeEPSI_NS1_7vsmem_tEENKUlT_SG_SH_SI_E_clIPiSA_PsSB_EESF_SV_SG_SH_SI_EUlSV_E_NS1_11comp_targetILNS1_3genE5ELNS1_11target_archE942ELNS1_3gpuE9ELNS1_3repE0EEENS1_48merge_mergepath_partition_config_static_selectorELNS0_4arch9wavefront6targetE1EEEvSH_
    .private_segment_fixed_size: 0
    .sgpr_count:     6
    .sgpr_spill_count: 0
    .symbol:         _ZN7rocprim17ROCPRIM_400000_NS6detail17trampoline_kernelINS0_14default_configENS1_38merge_sort_block_merge_config_selectorIisEEZZNS1_27merge_sort_block_merge_implIS3_N6thrust23THRUST_200600_302600_NS10device_ptrIiEENS9_IsEEjNS1_19radix_merge_compareILb0ELb0EiNS0_19identity_decomposerEEEEE10hipError_tT0_T1_T2_jT3_P12ihipStream_tbPNSt15iterator_traitsISG_E10value_typeEPNSM_ISH_E10value_typeEPSI_NS1_7vsmem_tEENKUlT_SG_SH_SI_E_clIPiSA_PsSB_EESF_SV_SG_SH_SI_EUlSV_E_NS1_11comp_targetILNS1_3genE5ELNS1_11target_archE942ELNS1_3gpuE9ELNS1_3repE0EEENS1_48merge_mergepath_partition_config_static_selectorELNS0_4arch9wavefront6targetE1EEEvSH_.kd
    .uniform_work_group_size: 1
    .uses_dynamic_stack: false
    .vgpr_count:     0
    .vgpr_spill_count: 0
    .wavefront_size: 64
  - .agpr_count:     0
    .args:
      - .offset:         0
        .size:           40
        .value_kind:     by_value
    .group_segment_fixed_size: 0
    .kernarg_segment_align: 8
    .kernarg_segment_size: 40
    .language:       OpenCL C
    .language_version:
      - 2
      - 0
    .max_flat_workgroup_size: 128
    .name:           _ZN7rocprim17ROCPRIM_400000_NS6detail17trampoline_kernelINS0_14default_configENS1_38merge_sort_block_merge_config_selectorIisEEZZNS1_27merge_sort_block_merge_implIS3_N6thrust23THRUST_200600_302600_NS10device_ptrIiEENS9_IsEEjNS1_19radix_merge_compareILb0ELb0EiNS0_19identity_decomposerEEEEE10hipError_tT0_T1_T2_jT3_P12ihipStream_tbPNSt15iterator_traitsISG_E10value_typeEPNSM_ISH_E10value_typeEPSI_NS1_7vsmem_tEENKUlT_SG_SH_SI_E_clIPiSA_PsSB_EESF_SV_SG_SH_SI_EUlSV_E_NS1_11comp_targetILNS1_3genE4ELNS1_11target_archE910ELNS1_3gpuE8ELNS1_3repE0EEENS1_48merge_mergepath_partition_config_static_selectorELNS0_4arch9wavefront6targetE1EEEvSH_
    .private_segment_fixed_size: 0
    .sgpr_count:     6
    .sgpr_spill_count: 0
    .symbol:         _ZN7rocprim17ROCPRIM_400000_NS6detail17trampoline_kernelINS0_14default_configENS1_38merge_sort_block_merge_config_selectorIisEEZZNS1_27merge_sort_block_merge_implIS3_N6thrust23THRUST_200600_302600_NS10device_ptrIiEENS9_IsEEjNS1_19radix_merge_compareILb0ELb0EiNS0_19identity_decomposerEEEEE10hipError_tT0_T1_T2_jT3_P12ihipStream_tbPNSt15iterator_traitsISG_E10value_typeEPNSM_ISH_E10value_typeEPSI_NS1_7vsmem_tEENKUlT_SG_SH_SI_E_clIPiSA_PsSB_EESF_SV_SG_SH_SI_EUlSV_E_NS1_11comp_targetILNS1_3genE4ELNS1_11target_archE910ELNS1_3gpuE8ELNS1_3repE0EEENS1_48merge_mergepath_partition_config_static_selectorELNS0_4arch9wavefront6targetE1EEEvSH_.kd
    .uniform_work_group_size: 1
    .uses_dynamic_stack: false
    .vgpr_count:     0
    .vgpr_spill_count: 0
    .wavefront_size: 64
  - .agpr_count:     0
    .args:
      - .offset:         0
        .size:           40
        .value_kind:     by_value
    .group_segment_fixed_size: 0
    .kernarg_segment_align: 8
    .kernarg_segment_size: 40
    .language:       OpenCL C
    .language_version:
      - 2
      - 0
    .max_flat_workgroup_size: 128
    .name:           _ZN7rocprim17ROCPRIM_400000_NS6detail17trampoline_kernelINS0_14default_configENS1_38merge_sort_block_merge_config_selectorIisEEZZNS1_27merge_sort_block_merge_implIS3_N6thrust23THRUST_200600_302600_NS10device_ptrIiEENS9_IsEEjNS1_19radix_merge_compareILb0ELb0EiNS0_19identity_decomposerEEEEE10hipError_tT0_T1_T2_jT3_P12ihipStream_tbPNSt15iterator_traitsISG_E10value_typeEPNSM_ISH_E10value_typeEPSI_NS1_7vsmem_tEENKUlT_SG_SH_SI_E_clIPiSA_PsSB_EESF_SV_SG_SH_SI_EUlSV_E_NS1_11comp_targetILNS1_3genE3ELNS1_11target_archE908ELNS1_3gpuE7ELNS1_3repE0EEENS1_48merge_mergepath_partition_config_static_selectorELNS0_4arch9wavefront6targetE1EEEvSH_
    .private_segment_fixed_size: 0
    .sgpr_count:     6
    .sgpr_spill_count: 0
    .symbol:         _ZN7rocprim17ROCPRIM_400000_NS6detail17trampoline_kernelINS0_14default_configENS1_38merge_sort_block_merge_config_selectorIisEEZZNS1_27merge_sort_block_merge_implIS3_N6thrust23THRUST_200600_302600_NS10device_ptrIiEENS9_IsEEjNS1_19radix_merge_compareILb0ELb0EiNS0_19identity_decomposerEEEEE10hipError_tT0_T1_T2_jT3_P12ihipStream_tbPNSt15iterator_traitsISG_E10value_typeEPNSM_ISH_E10value_typeEPSI_NS1_7vsmem_tEENKUlT_SG_SH_SI_E_clIPiSA_PsSB_EESF_SV_SG_SH_SI_EUlSV_E_NS1_11comp_targetILNS1_3genE3ELNS1_11target_archE908ELNS1_3gpuE7ELNS1_3repE0EEENS1_48merge_mergepath_partition_config_static_selectorELNS0_4arch9wavefront6targetE1EEEvSH_.kd
    .uniform_work_group_size: 1
    .uses_dynamic_stack: false
    .vgpr_count:     0
    .vgpr_spill_count: 0
    .wavefront_size: 64
  - .agpr_count:     0
    .args:
      - .offset:         0
        .size:           40
        .value_kind:     by_value
    .group_segment_fixed_size: 0
    .kernarg_segment_align: 8
    .kernarg_segment_size: 40
    .language:       OpenCL C
    .language_version:
      - 2
      - 0
    .max_flat_workgroup_size: 128
    .name:           _ZN7rocprim17ROCPRIM_400000_NS6detail17trampoline_kernelINS0_14default_configENS1_38merge_sort_block_merge_config_selectorIisEEZZNS1_27merge_sort_block_merge_implIS3_N6thrust23THRUST_200600_302600_NS10device_ptrIiEENS9_IsEEjNS1_19radix_merge_compareILb0ELb0EiNS0_19identity_decomposerEEEEE10hipError_tT0_T1_T2_jT3_P12ihipStream_tbPNSt15iterator_traitsISG_E10value_typeEPNSM_ISH_E10value_typeEPSI_NS1_7vsmem_tEENKUlT_SG_SH_SI_E_clIPiSA_PsSB_EESF_SV_SG_SH_SI_EUlSV_E_NS1_11comp_targetILNS1_3genE2ELNS1_11target_archE906ELNS1_3gpuE6ELNS1_3repE0EEENS1_48merge_mergepath_partition_config_static_selectorELNS0_4arch9wavefront6targetE1EEEvSH_
    .private_segment_fixed_size: 0
    .sgpr_count:     6
    .sgpr_spill_count: 0
    .symbol:         _ZN7rocprim17ROCPRIM_400000_NS6detail17trampoline_kernelINS0_14default_configENS1_38merge_sort_block_merge_config_selectorIisEEZZNS1_27merge_sort_block_merge_implIS3_N6thrust23THRUST_200600_302600_NS10device_ptrIiEENS9_IsEEjNS1_19radix_merge_compareILb0ELb0EiNS0_19identity_decomposerEEEEE10hipError_tT0_T1_T2_jT3_P12ihipStream_tbPNSt15iterator_traitsISG_E10value_typeEPNSM_ISH_E10value_typeEPSI_NS1_7vsmem_tEENKUlT_SG_SH_SI_E_clIPiSA_PsSB_EESF_SV_SG_SH_SI_EUlSV_E_NS1_11comp_targetILNS1_3genE2ELNS1_11target_archE906ELNS1_3gpuE6ELNS1_3repE0EEENS1_48merge_mergepath_partition_config_static_selectorELNS0_4arch9wavefront6targetE1EEEvSH_.kd
    .uniform_work_group_size: 1
    .uses_dynamic_stack: false
    .vgpr_count:     0
    .vgpr_spill_count: 0
    .wavefront_size: 64
  - .agpr_count:     0
    .args:
      - .offset:         0
        .size:           40
        .value_kind:     by_value
    .group_segment_fixed_size: 0
    .kernarg_segment_align: 8
    .kernarg_segment_size: 40
    .language:       OpenCL C
    .language_version:
      - 2
      - 0
    .max_flat_workgroup_size: 128
    .name:           _ZN7rocprim17ROCPRIM_400000_NS6detail17trampoline_kernelINS0_14default_configENS1_38merge_sort_block_merge_config_selectorIisEEZZNS1_27merge_sort_block_merge_implIS3_N6thrust23THRUST_200600_302600_NS10device_ptrIiEENS9_IsEEjNS1_19radix_merge_compareILb0ELb0EiNS0_19identity_decomposerEEEEE10hipError_tT0_T1_T2_jT3_P12ihipStream_tbPNSt15iterator_traitsISG_E10value_typeEPNSM_ISH_E10value_typeEPSI_NS1_7vsmem_tEENKUlT_SG_SH_SI_E_clIPiSA_PsSB_EESF_SV_SG_SH_SI_EUlSV_E_NS1_11comp_targetILNS1_3genE9ELNS1_11target_archE1100ELNS1_3gpuE3ELNS1_3repE0EEENS1_48merge_mergepath_partition_config_static_selectorELNS0_4arch9wavefront6targetE1EEEvSH_
    .private_segment_fixed_size: 0
    .sgpr_count:     6
    .sgpr_spill_count: 0
    .symbol:         _ZN7rocprim17ROCPRIM_400000_NS6detail17trampoline_kernelINS0_14default_configENS1_38merge_sort_block_merge_config_selectorIisEEZZNS1_27merge_sort_block_merge_implIS3_N6thrust23THRUST_200600_302600_NS10device_ptrIiEENS9_IsEEjNS1_19radix_merge_compareILb0ELb0EiNS0_19identity_decomposerEEEEE10hipError_tT0_T1_T2_jT3_P12ihipStream_tbPNSt15iterator_traitsISG_E10value_typeEPNSM_ISH_E10value_typeEPSI_NS1_7vsmem_tEENKUlT_SG_SH_SI_E_clIPiSA_PsSB_EESF_SV_SG_SH_SI_EUlSV_E_NS1_11comp_targetILNS1_3genE9ELNS1_11target_archE1100ELNS1_3gpuE3ELNS1_3repE0EEENS1_48merge_mergepath_partition_config_static_selectorELNS0_4arch9wavefront6targetE1EEEvSH_.kd
    .uniform_work_group_size: 1
    .uses_dynamic_stack: false
    .vgpr_count:     0
    .vgpr_spill_count: 0
    .wavefront_size: 64
  - .agpr_count:     0
    .args:
      - .offset:         0
        .size:           40
        .value_kind:     by_value
    .group_segment_fixed_size: 0
    .kernarg_segment_align: 8
    .kernarg_segment_size: 40
    .language:       OpenCL C
    .language_version:
      - 2
      - 0
    .max_flat_workgroup_size: 128
    .name:           _ZN7rocprim17ROCPRIM_400000_NS6detail17trampoline_kernelINS0_14default_configENS1_38merge_sort_block_merge_config_selectorIisEEZZNS1_27merge_sort_block_merge_implIS3_N6thrust23THRUST_200600_302600_NS10device_ptrIiEENS9_IsEEjNS1_19radix_merge_compareILb0ELb0EiNS0_19identity_decomposerEEEEE10hipError_tT0_T1_T2_jT3_P12ihipStream_tbPNSt15iterator_traitsISG_E10value_typeEPNSM_ISH_E10value_typeEPSI_NS1_7vsmem_tEENKUlT_SG_SH_SI_E_clIPiSA_PsSB_EESF_SV_SG_SH_SI_EUlSV_E_NS1_11comp_targetILNS1_3genE8ELNS1_11target_archE1030ELNS1_3gpuE2ELNS1_3repE0EEENS1_48merge_mergepath_partition_config_static_selectorELNS0_4arch9wavefront6targetE1EEEvSH_
    .private_segment_fixed_size: 0
    .sgpr_count:     6
    .sgpr_spill_count: 0
    .symbol:         _ZN7rocprim17ROCPRIM_400000_NS6detail17trampoline_kernelINS0_14default_configENS1_38merge_sort_block_merge_config_selectorIisEEZZNS1_27merge_sort_block_merge_implIS3_N6thrust23THRUST_200600_302600_NS10device_ptrIiEENS9_IsEEjNS1_19radix_merge_compareILb0ELb0EiNS0_19identity_decomposerEEEEE10hipError_tT0_T1_T2_jT3_P12ihipStream_tbPNSt15iterator_traitsISG_E10value_typeEPNSM_ISH_E10value_typeEPSI_NS1_7vsmem_tEENKUlT_SG_SH_SI_E_clIPiSA_PsSB_EESF_SV_SG_SH_SI_EUlSV_E_NS1_11comp_targetILNS1_3genE8ELNS1_11target_archE1030ELNS1_3gpuE2ELNS1_3repE0EEENS1_48merge_mergepath_partition_config_static_selectorELNS0_4arch9wavefront6targetE1EEEvSH_.kd
    .uniform_work_group_size: 1
    .uses_dynamic_stack: false
    .vgpr_count:     0
    .vgpr_spill_count: 0
    .wavefront_size: 64
  - .agpr_count:     0
    .args:
      - .offset:         0
        .size:           64
        .value_kind:     by_value
      - .offset:         64
        .size:           4
        .value_kind:     hidden_block_count_x
      - .offset:         68
        .size:           4
        .value_kind:     hidden_block_count_y
      - .offset:         72
        .size:           4
        .value_kind:     hidden_block_count_z
      - .offset:         76
        .size:           2
        .value_kind:     hidden_group_size_x
      - .offset:         78
        .size:           2
        .value_kind:     hidden_group_size_y
      - .offset:         80
        .size:           2
        .value_kind:     hidden_group_size_z
      - .offset:         82
        .size:           2
        .value_kind:     hidden_remainder_x
      - .offset:         84
        .size:           2
        .value_kind:     hidden_remainder_y
      - .offset:         86
        .size:           2
        .value_kind:     hidden_remainder_z
      - .offset:         104
        .size:           8
        .value_kind:     hidden_global_offset_x
      - .offset:         112
        .size:           8
        .value_kind:     hidden_global_offset_y
      - .offset:         120
        .size:           8
        .value_kind:     hidden_global_offset_z
      - .offset:         128
        .size:           2
        .value_kind:     hidden_grid_dims
    .group_segment_fixed_size: 4224
    .kernarg_segment_align: 8
    .kernarg_segment_size: 320
    .language:       OpenCL C
    .language_version:
      - 2
      - 0
    .max_flat_workgroup_size: 256
    .name:           _ZN7rocprim17ROCPRIM_400000_NS6detail17trampoline_kernelINS0_14default_configENS1_38merge_sort_block_merge_config_selectorIisEEZZNS1_27merge_sort_block_merge_implIS3_N6thrust23THRUST_200600_302600_NS10device_ptrIiEENS9_IsEEjNS1_19radix_merge_compareILb0ELb0EiNS0_19identity_decomposerEEEEE10hipError_tT0_T1_T2_jT3_P12ihipStream_tbPNSt15iterator_traitsISG_E10value_typeEPNSM_ISH_E10value_typeEPSI_NS1_7vsmem_tEENKUlT_SG_SH_SI_E_clIPiSA_PsSB_EESF_SV_SG_SH_SI_EUlSV_E0_NS1_11comp_targetILNS1_3genE0ELNS1_11target_archE4294967295ELNS1_3gpuE0ELNS1_3repE0EEENS1_38merge_mergepath_config_static_selectorELNS0_4arch9wavefront6targetE1EEEvSH_
    .private_segment_fixed_size: 0
    .sgpr_count:     36
    .sgpr_spill_count: 0
    .symbol:         _ZN7rocprim17ROCPRIM_400000_NS6detail17trampoline_kernelINS0_14default_configENS1_38merge_sort_block_merge_config_selectorIisEEZZNS1_27merge_sort_block_merge_implIS3_N6thrust23THRUST_200600_302600_NS10device_ptrIiEENS9_IsEEjNS1_19radix_merge_compareILb0ELb0EiNS0_19identity_decomposerEEEEE10hipError_tT0_T1_T2_jT3_P12ihipStream_tbPNSt15iterator_traitsISG_E10value_typeEPNSM_ISH_E10value_typeEPSI_NS1_7vsmem_tEENKUlT_SG_SH_SI_E_clIPiSA_PsSB_EESF_SV_SG_SH_SI_EUlSV_E0_NS1_11comp_targetILNS1_3genE0ELNS1_11target_archE4294967295ELNS1_3gpuE0ELNS1_3repE0EEENS1_38merge_mergepath_config_static_selectorELNS0_4arch9wavefront6targetE1EEEvSH_.kd
    .uniform_work_group_size: 1
    .uses_dynamic_stack: false
    .vgpr_count:     25
    .vgpr_spill_count: 0
    .wavefront_size: 64
  - .agpr_count:     0
    .args:
      - .offset:         0
        .size:           64
        .value_kind:     by_value
    .group_segment_fixed_size: 0
    .kernarg_segment_align: 8
    .kernarg_segment_size: 64
    .language:       OpenCL C
    .language_version:
      - 2
      - 0
    .max_flat_workgroup_size: 256
    .name:           _ZN7rocprim17ROCPRIM_400000_NS6detail17trampoline_kernelINS0_14default_configENS1_38merge_sort_block_merge_config_selectorIisEEZZNS1_27merge_sort_block_merge_implIS3_N6thrust23THRUST_200600_302600_NS10device_ptrIiEENS9_IsEEjNS1_19radix_merge_compareILb0ELb0EiNS0_19identity_decomposerEEEEE10hipError_tT0_T1_T2_jT3_P12ihipStream_tbPNSt15iterator_traitsISG_E10value_typeEPNSM_ISH_E10value_typeEPSI_NS1_7vsmem_tEENKUlT_SG_SH_SI_E_clIPiSA_PsSB_EESF_SV_SG_SH_SI_EUlSV_E0_NS1_11comp_targetILNS1_3genE10ELNS1_11target_archE1201ELNS1_3gpuE5ELNS1_3repE0EEENS1_38merge_mergepath_config_static_selectorELNS0_4arch9wavefront6targetE1EEEvSH_
    .private_segment_fixed_size: 0
    .sgpr_count:     6
    .sgpr_spill_count: 0
    .symbol:         _ZN7rocprim17ROCPRIM_400000_NS6detail17trampoline_kernelINS0_14default_configENS1_38merge_sort_block_merge_config_selectorIisEEZZNS1_27merge_sort_block_merge_implIS3_N6thrust23THRUST_200600_302600_NS10device_ptrIiEENS9_IsEEjNS1_19radix_merge_compareILb0ELb0EiNS0_19identity_decomposerEEEEE10hipError_tT0_T1_T2_jT3_P12ihipStream_tbPNSt15iterator_traitsISG_E10value_typeEPNSM_ISH_E10value_typeEPSI_NS1_7vsmem_tEENKUlT_SG_SH_SI_E_clIPiSA_PsSB_EESF_SV_SG_SH_SI_EUlSV_E0_NS1_11comp_targetILNS1_3genE10ELNS1_11target_archE1201ELNS1_3gpuE5ELNS1_3repE0EEENS1_38merge_mergepath_config_static_selectorELNS0_4arch9wavefront6targetE1EEEvSH_.kd
    .uniform_work_group_size: 1
    .uses_dynamic_stack: false
    .vgpr_count:     0
    .vgpr_spill_count: 0
    .wavefront_size: 64
  - .agpr_count:     0
    .args:
      - .offset:         0
        .size:           64
        .value_kind:     by_value
    .group_segment_fixed_size: 0
    .kernarg_segment_align: 8
    .kernarg_segment_size: 64
    .language:       OpenCL C
    .language_version:
      - 2
      - 0
    .max_flat_workgroup_size: 128
    .name:           _ZN7rocprim17ROCPRIM_400000_NS6detail17trampoline_kernelINS0_14default_configENS1_38merge_sort_block_merge_config_selectorIisEEZZNS1_27merge_sort_block_merge_implIS3_N6thrust23THRUST_200600_302600_NS10device_ptrIiEENS9_IsEEjNS1_19radix_merge_compareILb0ELb0EiNS0_19identity_decomposerEEEEE10hipError_tT0_T1_T2_jT3_P12ihipStream_tbPNSt15iterator_traitsISG_E10value_typeEPNSM_ISH_E10value_typeEPSI_NS1_7vsmem_tEENKUlT_SG_SH_SI_E_clIPiSA_PsSB_EESF_SV_SG_SH_SI_EUlSV_E0_NS1_11comp_targetILNS1_3genE5ELNS1_11target_archE942ELNS1_3gpuE9ELNS1_3repE0EEENS1_38merge_mergepath_config_static_selectorELNS0_4arch9wavefront6targetE1EEEvSH_
    .private_segment_fixed_size: 0
    .sgpr_count:     6
    .sgpr_spill_count: 0
    .symbol:         _ZN7rocprim17ROCPRIM_400000_NS6detail17trampoline_kernelINS0_14default_configENS1_38merge_sort_block_merge_config_selectorIisEEZZNS1_27merge_sort_block_merge_implIS3_N6thrust23THRUST_200600_302600_NS10device_ptrIiEENS9_IsEEjNS1_19radix_merge_compareILb0ELb0EiNS0_19identity_decomposerEEEEE10hipError_tT0_T1_T2_jT3_P12ihipStream_tbPNSt15iterator_traitsISG_E10value_typeEPNSM_ISH_E10value_typeEPSI_NS1_7vsmem_tEENKUlT_SG_SH_SI_E_clIPiSA_PsSB_EESF_SV_SG_SH_SI_EUlSV_E0_NS1_11comp_targetILNS1_3genE5ELNS1_11target_archE942ELNS1_3gpuE9ELNS1_3repE0EEENS1_38merge_mergepath_config_static_selectorELNS0_4arch9wavefront6targetE1EEEvSH_.kd
    .uniform_work_group_size: 1
    .uses_dynamic_stack: false
    .vgpr_count:     0
    .vgpr_spill_count: 0
    .wavefront_size: 64
  - .agpr_count:     0
    .args:
      - .offset:         0
        .size:           64
        .value_kind:     by_value
    .group_segment_fixed_size: 0
    .kernarg_segment_align: 8
    .kernarg_segment_size: 64
    .language:       OpenCL C
    .language_version:
      - 2
      - 0
    .max_flat_workgroup_size: 128
    .name:           _ZN7rocprim17ROCPRIM_400000_NS6detail17trampoline_kernelINS0_14default_configENS1_38merge_sort_block_merge_config_selectorIisEEZZNS1_27merge_sort_block_merge_implIS3_N6thrust23THRUST_200600_302600_NS10device_ptrIiEENS9_IsEEjNS1_19radix_merge_compareILb0ELb0EiNS0_19identity_decomposerEEEEE10hipError_tT0_T1_T2_jT3_P12ihipStream_tbPNSt15iterator_traitsISG_E10value_typeEPNSM_ISH_E10value_typeEPSI_NS1_7vsmem_tEENKUlT_SG_SH_SI_E_clIPiSA_PsSB_EESF_SV_SG_SH_SI_EUlSV_E0_NS1_11comp_targetILNS1_3genE4ELNS1_11target_archE910ELNS1_3gpuE8ELNS1_3repE0EEENS1_38merge_mergepath_config_static_selectorELNS0_4arch9wavefront6targetE1EEEvSH_
    .private_segment_fixed_size: 0
    .sgpr_count:     6
    .sgpr_spill_count: 0
    .symbol:         _ZN7rocprim17ROCPRIM_400000_NS6detail17trampoline_kernelINS0_14default_configENS1_38merge_sort_block_merge_config_selectorIisEEZZNS1_27merge_sort_block_merge_implIS3_N6thrust23THRUST_200600_302600_NS10device_ptrIiEENS9_IsEEjNS1_19radix_merge_compareILb0ELb0EiNS0_19identity_decomposerEEEEE10hipError_tT0_T1_T2_jT3_P12ihipStream_tbPNSt15iterator_traitsISG_E10value_typeEPNSM_ISH_E10value_typeEPSI_NS1_7vsmem_tEENKUlT_SG_SH_SI_E_clIPiSA_PsSB_EESF_SV_SG_SH_SI_EUlSV_E0_NS1_11comp_targetILNS1_3genE4ELNS1_11target_archE910ELNS1_3gpuE8ELNS1_3repE0EEENS1_38merge_mergepath_config_static_selectorELNS0_4arch9wavefront6targetE1EEEvSH_.kd
    .uniform_work_group_size: 1
    .uses_dynamic_stack: false
    .vgpr_count:     0
    .vgpr_spill_count: 0
    .wavefront_size: 64
  - .agpr_count:     0
    .args:
      - .offset:         0
        .size:           64
        .value_kind:     by_value
    .group_segment_fixed_size: 0
    .kernarg_segment_align: 8
    .kernarg_segment_size: 64
    .language:       OpenCL C
    .language_version:
      - 2
      - 0
    .max_flat_workgroup_size: 256
    .name:           _ZN7rocprim17ROCPRIM_400000_NS6detail17trampoline_kernelINS0_14default_configENS1_38merge_sort_block_merge_config_selectorIisEEZZNS1_27merge_sort_block_merge_implIS3_N6thrust23THRUST_200600_302600_NS10device_ptrIiEENS9_IsEEjNS1_19radix_merge_compareILb0ELb0EiNS0_19identity_decomposerEEEEE10hipError_tT0_T1_T2_jT3_P12ihipStream_tbPNSt15iterator_traitsISG_E10value_typeEPNSM_ISH_E10value_typeEPSI_NS1_7vsmem_tEENKUlT_SG_SH_SI_E_clIPiSA_PsSB_EESF_SV_SG_SH_SI_EUlSV_E0_NS1_11comp_targetILNS1_3genE3ELNS1_11target_archE908ELNS1_3gpuE7ELNS1_3repE0EEENS1_38merge_mergepath_config_static_selectorELNS0_4arch9wavefront6targetE1EEEvSH_
    .private_segment_fixed_size: 0
    .sgpr_count:     6
    .sgpr_spill_count: 0
    .symbol:         _ZN7rocprim17ROCPRIM_400000_NS6detail17trampoline_kernelINS0_14default_configENS1_38merge_sort_block_merge_config_selectorIisEEZZNS1_27merge_sort_block_merge_implIS3_N6thrust23THRUST_200600_302600_NS10device_ptrIiEENS9_IsEEjNS1_19radix_merge_compareILb0ELb0EiNS0_19identity_decomposerEEEEE10hipError_tT0_T1_T2_jT3_P12ihipStream_tbPNSt15iterator_traitsISG_E10value_typeEPNSM_ISH_E10value_typeEPSI_NS1_7vsmem_tEENKUlT_SG_SH_SI_E_clIPiSA_PsSB_EESF_SV_SG_SH_SI_EUlSV_E0_NS1_11comp_targetILNS1_3genE3ELNS1_11target_archE908ELNS1_3gpuE7ELNS1_3repE0EEENS1_38merge_mergepath_config_static_selectorELNS0_4arch9wavefront6targetE1EEEvSH_.kd
    .uniform_work_group_size: 1
    .uses_dynamic_stack: false
    .vgpr_count:     0
    .vgpr_spill_count: 0
    .wavefront_size: 64
  - .agpr_count:     0
    .args:
      - .offset:         0
        .size:           64
        .value_kind:     by_value
    .group_segment_fixed_size: 0
    .kernarg_segment_align: 8
    .kernarg_segment_size: 64
    .language:       OpenCL C
    .language_version:
      - 2
      - 0
    .max_flat_workgroup_size: 128
    .name:           _ZN7rocprim17ROCPRIM_400000_NS6detail17trampoline_kernelINS0_14default_configENS1_38merge_sort_block_merge_config_selectorIisEEZZNS1_27merge_sort_block_merge_implIS3_N6thrust23THRUST_200600_302600_NS10device_ptrIiEENS9_IsEEjNS1_19radix_merge_compareILb0ELb0EiNS0_19identity_decomposerEEEEE10hipError_tT0_T1_T2_jT3_P12ihipStream_tbPNSt15iterator_traitsISG_E10value_typeEPNSM_ISH_E10value_typeEPSI_NS1_7vsmem_tEENKUlT_SG_SH_SI_E_clIPiSA_PsSB_EESF_SV_SG_SH_SI_EUlSV_E0_NS1_11comp_targetILNS1_3genE2ELNS1_11target_archE906ELNS1_3gpuE6ELNS1_3repE0EEENS1_38merge_mergepath_config_static_selectorELNS0_4arch9wavefront6targetE1EEEvSH_
    .private_segment_fixed_size: 0
    .sgpr_count:     6
    .sgpr_spill_count: 0
    .symbol:         _ZN7rocprim17ROCPRIM_400000_NS6detail17trampoline_kernelINS0_14default_configENS1_38merge_sort_block_merge_config_selectorIisEEZZNS1_27merge_sort_block_merge_implIS3_N6thrust23THRUST_200600_302600_NS10device_ptrIiEENS9_IsEEjNS1_19radix_merge_compareILb0ELb0EiNS0_19identity_decomposerEEEEE10hipError_tT0_T1_T2_jT3_P12ihipStream_tbPNSt15iterator_traitsISG_E10value_typeEPNSM_ISH_E10value_typeEPSI_NS1_7vsmem_tEENKUlT_SG_SH_SI_E_clIPiSA_PsSB_EESF_SV_SG_SH_SI_EUlSV_E0_NS1_11comp_targetILNS1_3genE2ELNS1_11target_archE906ELNS1_3gpuE6ELNS1_3repE0EEENS1_38merge_mergepath_config_static_selectorELNS0_4arch9wavefront6targetE1EEEvSH_.kd
    .uniform_work_group_size: 1
    .uses_dynamic_stack: false
    .vgpr_count:     0
    .vgpr_spill_count: 0
    .wavefront_size: 64
  - .agpr_count:     0
    .args:
      - .offset:         0
        .size:           64
        .value_kind:     by_value
    .group_segment_fixed_size: 0
    .kernarg_segment_align: 8
    .kernarg_segment_size: 64
    .language:       OpenCL C
    .language_version:
      - 2
      - 0
    .max_flat_workgroup_size: 256
    .name:           _ZN7rocprim17ROCPRIM_400000_NS6detail17trampoline_kernelINS0_14default_configENS1_38merge_sort_block_merge_config_selectorIisEEZZNS1_27merge_sort_block_merge_implIS3_N6thrust23THRUST_200600_302600_NS10device_ptrIiEENS9_IsEEjNS1_19radix_merge_compareILb0ELb0EiNS0_19identity_decomposerEEEEE10hipError_tT0_T1_T2_jT3_P12ihipStream_tbPNSt15iterator_traitsISG_E10value_typeEPNSM_ISH_E10value_typeEPSI_NS1_7vsmem_tEENKUlT_SG_SH_SI_E_clIPiSA_PsSB_EESF_SV_SG_SH_SI_EUlSV_E0_NS1_11comp_targetILNS1_3genE9ELNS1_11target_archE1100ELNS1_3gpuE3ELNS1_3repE0EEENS1_38merge_mergepath_config_static_selectorELNS0_4arch9wavefront6targetE1EEEvSH_
    .private_segment_fixed_size: 0
    .sgpr_count:     6
    .sgpr_spill_count: 0
    .symbol:         _ZN7rocprim17ROCPRIM_400000_NS6detail17trampoline_kernelINS0_14default_configENS1_38merge_sort_block_merge_config_selectorIisEEZZNS1_27merge_sort_block_merge_implIS3_N6thrust23THRUST_200600_302600_NS10device_ptrIiEENS9_IsEEjNS1_19radix_merge_compareILb0ELb0EiNS0_19identity_decomposerEEEEE10hipError_tT0_T1_T2_jT3_P12ihipStream_tbPNSt15iterator_traitsISG_E10value_typeEPNSM_ISH_E10value_typeEPSI_NS1_7vsmem_tEENKUlT_SG_SH_SI_E_clIPiSA_PsSB_EESF_SV_SG_SH_SI_EUlSV_E0_NS1_11comp_targetILNS1_3genE9ELNS1_11target_archE1100ELNS1_3gpuE3ELNS1_3repE0EEENS1_38merge_mergepath_config_static_selectorELNS0_4arch9wavefront6targetE1EEEvSH_.kd
    .uniform_work_group_size: 1
    .uses_dynamic_stack: false
    .vgpr_count:     0
    .vgpr_spill_count: 0
    .wavefront_size: 64
  - .agpr_count:     0
    .args:
      - .offset:         0
        .size:           64
        .value_kind:     by_value
    .group_segment_fixed_size: 0
    .kernarg_segment_align: 8
    .kernarg_segment_size: 64
    .language:       OpenCL C
    .language_version:
      - 2
      - 0
    .max_flat_workgroup_size: 512
    .name:           _ZN7rocprim17ROCPRIM_400000_NS6detail17trampoline_kernelINS0_14default_configENS1_38merge_sort_block_merge_config_selectorIisEEZZNS1_27merge_sort_block_merge_implIS3_N6thrust23THRUST_200600_302600_NS10device_ptrIiEENS9_IsEEjNS1_19radix_merge_compareILb0ELb0EiNS0_19identity_decomposerEEEEE10hipError_tT0_T1_T2_jT3_P12ihipStream_tbPNSt15iterator_traitsISG_E10value_typeEPNSM_ISH_E10value_typeEPSI_NS1_7vsmem_tEENKUlT_SG_SH_SI_E_clIPiSA_PsSB_EESF_SV_SG_SH_SI_EUlSV_E0_NS1_11comp_targetILNS1_3genE8ELNS1_11target_archE1030ELNS1_3gpuE2ELNS1_3repE0EEENS1_38merge_mergepath_config_static_selectorELNS0_4arch9wavefront6targetE1EEEvSH_
    .private_segment_fixed_size: 0
    .sgpr_count:     6
    .sgpr_spill_count: 0
    .symbol:         _ZN7rocprim17ROCPRIM_400000_NS6detail17trampoline_kernelINS0_14default_configENS1_38merge_sort_block_merge_config_selectorIisEEZZNS1_27merge_sort_block_merge_implIS3_N6thrust23THRUST_200600_302600_NS10device_ptrIiEENS9_IsEEjNS1_19radix_merge_compareILb0ELb0EiNS0_19identity_decomposerEEEEE10hipError_tT0_T1_T2_jT3_P12ihipStream_tbPNSt15iterator_traitsISG_E10value_typeEPNSM_ISH_E10value_typeEPSI_NS1_7vsmem_tEENKUlT_SG_SH_SI_E_clIPiSA_PsSB_EESF_SV_SG_SH_SI_EUlSV_E0_NS1_11comp_targetILNS1_3genE8ELNS1_11target_archE1030ELNS1_3gpuE2ELNS1_3repE0EEENS1_38merge_mergepath_config_static_selectorELNS0_4arch9wavefront6targetE1EEEvSH_.kd
    .uniform_work_group_size: 1
    .uses_dynamic_stack: false
    .vgpr_count:     0
    .vgpr_spill_count: 0
    .wavefront_size: 64
  - .agpr_count:     0
    .args:
      - .offset:         0
        .size:           48
        .value_kind:     by_value
    .group_segment_fixed_size: 0
    .kernarg_segment_align: 8
    .kernarg_segment_size: 48
    .language:       OpenCL C
    .language_version:
      - 2
      - 0
    .max_flat_workgroup_size: 256
    .name:           _ZN7rocprim17ROCPRIM_400000_NS6detail17trampoline_kernelINS0_14default_configENS1_38merge_sort_block_merge_config_selectorIisEEZZNS1_27merge_sort_block_merge_implIS3_N6thrust23THRUST_200600_302600_NS10device_ptrIiEENS9_IsEEjNS1_19radix_merge_compareILb0ELb0EiNS0_19identity_decomposerEEEEE10hipError_tT0_T1_T2_jT3_P12ihipStream_tbPNSt15iterator_traitsISG_E10value_typeEPNSM_ISH_E10value_typeEPSI_NS1_7vsmem_tEENKUlT_SG_SH_SI_E_clIPiSA_PsSB_EESF_SV_SG_SH_SI_EUlSV_E1_NS1_11comp_targetILNS1_3genE0ELNS1_11target_archE4294967295ELNS1_3gpuE0ELNS1_3repE0EEENS1_36merge_oddeven_config_static_selectorELNS0_4arch9wavefront6targetE1EEEvSH_
    .private_segment_fixed_size: 0
    .sgpr_count:     30
    .sgpr_spill_count: 0
    .symbol:         _ZN7rocprim17ROCPRIM_400000_NS6detail17trampoline_kernelINS0_14default_configENS1_38merge_sort_block_merge_config_selectorIisEEZZNS1_27merge_sort_block_merge_implIS3_N6thrust23THRUST_200600_302600_NS10device_ptrIiEENS9_IsEEjNS1_19radix_merge_compareILb0ELb0EiNS0_19identity_decomposerEEEEE10hipError_tT0_T1_T2_jT3_P12ihipStream_tbPNSt15iterator_traitsISG_E10value_typeEPNSM_ISH_E10value_typeEPSI_NS1_7vsmem_tEENKUlT_SG_SH_SI_E_clIPiSA_PsSB_EESF_SV_SG_SH_SI_EUlSV_E1_NS1_11comp_targetILNS1_3genE0ELNS1_11target_archE4294967295ELNS1_3gpuE0ELNS1_3repE0EEENS1_36merge_oddeven_config_static_selectorELNS0_4arch9wavefront6targetE1EEEvSH_.kd
    .uniform_work_group_size: 1
    .uses_dynamic_stack: false
    .vgpr_count:     10
    .vgpr_spill_count: 0
    .wavefront_size: 64
  - .agpr_count:     0
    .args:
      - .offset:         0
        .size:           48
        .value_kind:     by_value
    .group_segment_fixed_size: 0
    .kernarg_segment_align: 8
    .kernarg_segment_size: 48
    .language:       OpenCL C
    .language_version:
      - 2
      - 0
    .max_flat_workgroup_size: 256
    .name:           _ZN7rocprim17ROCPRIM_400000_NS6detail17trampoline_kernelINS0_14default_configENS1_38merge_sort_block_merge_config_selectorIisEEZZNS1_27merge_sort_block_merge_implIS3_N6thrust23THRUST_200600_302600_NS10device_ptrIiEENS9_IsEEjNS1_19radix_merge_compareILb0ELb0EiNS0_19identity_decomposerEEEEE10hipError_tT0_T1_T2_jT3_P12ihipStream_tbPNSt15iterator_traitsISG_E10value_typeEPNSM_ISH_E10value_typeEPSI_NS1_7vsmem_tEENKUlT_SG_SH_SI_E_clIPiSA_PsSB_EESF_SV_SG_SH_SI_EUlSV_E1_NS1_11comp_targetILNS1_3genE10ELNS1_11target_archE1201ELNS1_3gpuE5ELNS1_3repE0EEENS1_36merge_oddeven_config_static_selectorELNS0_4arch9wavefront6targetE1EEEvSH_
    .private_segment_fixed_size: 0
    .sgpr_count:     6
    .sgpr_spill_count: 0
    .symbol:         _ZN7rocprim17ROCPRIM_400000_NS6detail17trampoline_kernelINS0_14default_configENS1_38merge_sort_block_merge_config_selectorIisEEZZNS1_27merge_sort_block_merge_implIS3_N6thrust23THRUST_200600_302600_NS10device_ptrIiEENS9_IsEEjNS1_19radix_merge_compareILb0ELb0EiNS0_19identity_decomposerEEEEE10hipError_tT0_T1_T2_jT3_P12ihipStream_tbPNSt15iterator_traitsISG_E10value_typeEPNSM_ISH_E10value_typeEPSI_NS1_7vsmem_tEENKUlT_SG_SH_SI_E_clIPiSA_PsSB_EESF_SV_SG_SH_SI_EUlSV_E1_NS1_11comp_targetILNS1_3genE10ELNS1_11target_archE1201ELNS1_3gpuE5ELNS1_3repE0EEENS1_36merge_oddeven_config_static_selectorELNS0_4arch9wavefront6targetE1EEEvSH_.kd
    .uniform_work_group_size: 1
    .uses_dynamic_stack: false
    .vgpr_count:     0
    .vgpr_spill_count: 0
    .wavefront_size: 64
  - .agpr_count:     0
    .args:
      - .offset:         0
        .size:           48
        .value_kind:     by_value
    .group_segment_fixed_size: 0
    .kernarg_segment_align: 8
    .kernarg_segment_size: 48
    .language:       OpenCL C
    .language_version:
      - 2
      - 0
    .max_flat_workgroup_size: 256
    .name:           _ZN7rocprim17ROCPRIM_400000_NS6detail17trampoline_kernelINS0_14default_configENS1_38merge_sort_block_merge_config_selectorIisEEZZNS1_27merge_sort_block_merge_implIS3_N6thrust23THRUST_200600_302600_NS10device_ptrIiEENS9_IsEEjNS1_19radix_merge_compareILb0ELb0EiNS0_19identity_decomposerEEEEE10hipError_tT0_T1_T2_jT3_P12ihipStream_tbPNSt15iterator_traitsISG_E10value_typeEPNSM_ISH_E10value_typeEPSI_NS1_7vsmem_tEENKUlT_SG_SH_SI_E_clIPiSA_PsSB_EESF_SV_SG_SH_SI_EUlSV_E1_NS1_11comp_targetILNS1_3genE5ELNS1_11target_archE942ELNS1_3gpuE9ELNS1_3repE0EEENS1_36merge_oddeven_config_static_selectorELNS0_4arch9wavefront6targetE1EEEvSH_
    .private_segment_fixed_size: 0
    .sgpr_count:     6
    .sgpr_spill_count: 0
    .symbol:         _ZN7rocprim17ROCPRIM_400000_NS6detail17trampoline_kernelINS0_14default_configENS1_38merge_sort_block_merge_config_selectorIisEEZZNS1_27merge_sort_block_merge_implIS3_N6thrust23THRUST_200600_302600_NS10device_ptrIiEENS9_IsEEjNS1_19radix_merge_compareILb0ELb0EiNS0_19identity_decomposerEEEEE10hipError_tT0_T1_T2_jT3_P12ihipStream_tbPNSt15iterator_traitsISG_E10value_typeEPNSM_ISH_E10value_typeEPSI_NS1_7vsmem_tEENKUlT_SG_SH_SI_E_clIPiSA_PsSB_EESF_SV_SG_SH_SI_EUlSV_E1_NS1_11comp_targetILNS1_3genE5ELNS1_11target_archE942ELNS1_3gpuE9ELNS1_3repE0EEENS1_36merge_oddeven_config_static_selectorELNS0_4arch9wavefront6targetE1EEEvSH_.kd
    .uniform_work_group_size: 1
    .uses_dynamic_stack: false
    .vgpr_count:     0
    .vgpr_spill_count: 0
    .wavefront_size: 64
  - .agpr_count:     0
    .args:
      - .offset:         0
        .size:           48
        .value_kind:     by_value
    .group_segment_fixed_size: 0
    .kernarg_segment_align: 8
    .kernarg_segment_size: 48
    .language:       OpenCL C
    .language_version:
      - 2
      - 0
    .max_flat_workgroup_size: 256
    .name:           _ZN7rocprim17ROCPRIM_400000_NS6detail17trampoline_kernelINS0_14default_configENS1_38merge_sort_block_merge_config_selectorIisEEZZNS1_27merge_sort_block_merge_implIS3_N6thrust23THRUST_200600_302600_NS10device_ptrIiEENS9_IsEEjNS1_19radix_merge_compareILb0ELb0EiNS0_19identity_decomposerEEEEE10hipError_tT0_T1_T2_jT3_P12ihipStream_tbPNSt15iterator_traitsISG_E10value_typeEPNSM_ISH_E10value_typeEPSI_NS1_7vsmem_tEENKUlT_SG_SH_SI_E_clIPiSA_PsSB_EESF_SV_SG_SH_SI_EUlSV_E1_NS1_11comp_targetILNS1_3genE4ELNS1_11target_archE910ELNS1_3gpuE8ELNS1_3repE0EEENS1_36merge_oddeven_config_static_selectorELNS0_4arch9wavefront6targetE1EEEvSH_
    .private_segment_fixed_size: 0
    .sgpr_count:     6
    .sgpr_spill_count: 0
    .symbol:         _ZN7rocprim17ROCPRIM_400000_NS6detail17trampoline_kernelINS0_14default_configENS1_38merge_sort_block_merge_config_selectorIisEEZZNS1_27merge_sort_block_merge_implIS3_N6thrust23THRUST_200600_302600_NS10device_ptrIiEENS9_IsEEjNS1_19radix_merge_compareILb0ELb0EiNS0_19identity_decomposerEEEEE10hipError_tT0_T1_T2_jT3_P12ihipStream_tbPNSt15iterator_traitsISG_E10value_typeEPNSM_ISH_E10value_typeEPSI_NS1_7vsmem_tEENKUlT_SG_SH_SI_E_clIPiSA_PsSB_EESF_SV_SG_SH_SI_EUlSV_E1_NS1_11comp_targetILNS1_3genE4ELNS1_11target_archE910ELNS1_3gpuE8ELNS1_3repE0EEENS1_36merge_oddeven_config_static_selectorELNS0_4arch9wavefront6targetE1EEEvSH_.kd
    .uniform_work_group_size: 1
    .uses_dynamic_stack: false
    .vgpr_count:     0
    .vgpr_spill_count: 0
    .wavefront_size: 64
  - .agpr_count:     0
    .args:
      - .offset:         0
        .size:           48
        .value_kind:     by_value
    .group_segment_fixed_size: 0
    .kernarg_segment_align: 8
    .kernarg_segment_size: 48
    .language:       OpenCL C
    .language_version:
      - 2
      - 0
    .max_flat_workgroup_size: 256
    .name:           _ZN7rocprim17ROCPRIM_400000_NS6detail17trampoline_kernelINS0_14default_configENS1_38merge_sort_block_merge_config_selectorIisEEZZNS1_27merge_sort_block_merge_implIS3_N6thrust23THRUST_200600_302600_NS10device_ptrIiEENS9_IsEEjNS1_19radix_merge_compareILb0ELb0EiNS0_19identity_decomposerEEEEE10hipError_tT0_T1_T2_jT3_P12ihipStream_tbPNSt15iterator_traitsISG_E10value_typeEPNSM_ISH_E10value_typeEPSI_NS1_7vsmem_tEENKUlT_SG_SH_SI_E_clIPiSA_PsSB_EESF_SV_SG_SH_SI_EUlSV_E1_NS1_11comp_targetILNS1_3genE3ELNS1_11target_archE908ELNS1_3gpuE7ELNS1_3repE0EEENS1_36merge_oddeven_config_static_selectorELNS0_4arch9wavefront6targetE1EEEvSH_
    .private_segment_fixed_size: 0
    .sgpr_count:     6
    .sgpr_spill_count: 0
    .symbol:         _ZN7rocprim17ROCPRIM_400000_NS6detail17trampoline_kernelINS0_14default_configENS1_38merge_sort_block_merge_config_selectorIisEEZZNS1_27merge_sort_block_merge_implIS3_N6thrust23THRUST_200600_302600_NS10device_ptrIiEENS9_IsEEjNS1_19radix_merge_compareILb0ELb0EiNS0_19identity_decomposerEEEEE10hipError_tT0_T1_T2_jT3_P12ihipStream_tbPNSt15iterator_traitsISG_E10value_typeEPNSM_ISH_E10value_typeEPSI_NS1_7vsmem_tEENKUlT_SG_SH_SI_E_clIPiSA_PsSB_EESF_SV_SG_SH_SI_EUlSV_E1_NS1_11comp_targetILNS1_3genE3ELNS1_11target_archE908ELNS1_3gpuE7ELNS1_3repE0EEENS1_36merge_oddeven_config_static_selectorELNS0_4arch9wavefront6targetE1EEEvSH_.kd
    .uniform_work_group_size: 1
    .uses_dynamic_stack: false
    .vgpr_count:     0
    .vgpr_spill_count: 0
    .wavefront_size: 64
  - .agpr_count:     0
    .args:
      - .offset:         0
        .size:           48
        .value_kind:     by_value
    .group_segment_fixed_size: 0
    .kernarg_segment_align: 8
    .kernarg_segment_size: 48
    .language:       OpenCL C
    .language_version:
      - 2
      - 0
    .max_flat_workgroup_size: 256
    .name:           _ZN7rocprim17ROCPRIM_400000_NS6detail17trampoline_kernelINS0_14default_configENS1_38merge_sort_block_merge_config_selectorIisEEZZNS1_27merge_sort_block_merge_implIS3_N6thrust23THRUST_200600_302600_NS10device_ptrIiEENS9_IsEEjNS1_19radix_merge_compareILb0ELb0EiNS0_19identity_decomposerEEEEE10hipError_tT0_T1_T2_jT3_P12ihipStream_tbPNSt15iterator_traitsISG_E10value_typeEPNSM_ISH_E10value_typeEPSI_NS1_7vsmem_tEENKUlT_SG_SH_SI_E_clIPiSA_PsSB_EESF_SV_SG_SH_SI_EUlSV_E1_NS1_11comp_targetILNS1_3genE2ELNS1_11target_archE906ELNS1_3gpuE6ELNS1_3repE0EEENS1_36merge_oddeven_config_static_selectorELNS0_4arch9wavefront6targetE1EEEvSH_
    .private_segment_fixed_size: 0
    .sgpr_count:     6
    .sgpr_spill_count: 0
    .symbol:         _ZN7rocprim17ROCPRIM_400000_NS6detail17trampoline_kernelINS0_14default_configENS1_38merge_sort_block_merge_config_selectorIisEEZZNS1_27merge_sort_block_merge_implIS3_N6thrust23THRUST_200600_302600_NS10device_ptrIiEENS9_IsEEjNS1_19radix_merge_compareILb0ELb0EiNS0_19identity_decomposerEEEEE10hipError_tT0_T1_T2_jT3_P12ihipStream_tbPNSt15iterator_traitsISG_E10value_typeEPNSM_ISH_E10value_typeEPSI_NS1_7vsmem_tEENKUlT_SG_SH_SI_E_clIPiSA_PsSB_EESF_SV_SG_SH_SI_EUlSV_E1_NS1_11comp_targetILNS1_3genE2ELNS1_11target_archE906ELNS1_3gpuE6ELNS1_3repE0EEENS1_36merge_oddeven_config_static_selectorELNS0_4arch9wavefront6targetE1EEEvSH_.kd
    .uniform_work_group_size: 1
    .uses_dynamic_stack: false
    .vgpr_count:     0
    .vgpr_spill_count: 0
    .wavefront_size: 64
  - .agpr_count:     0
    .args:
      - .offset:         0
        .size:           48
        .value_kind:     by_value
    .group_segment_fixed_size: 0
    .kernarg_segment_align: 8
    .kernarg_segment_size: 48
    .language:       OpenCL C
    .language_version:
      - 2
      - 0
    .max_flat_workgroup_size: 256
    .name:           _ZN7rocprim17ROCPRIM_400000_NS6detail17trampoline_kernelINS0_14default_configENS1_38merge_sort_block_merge_config_selectorIisEEZZNS1_27merge_sort_block_merge_implIS3_N6thrust23THRUST_200600_302600_NS10device_ptrIiEENS9_IsEEjNS1_19radix_merge_compareILb0ELb0EiNS0_19identity_decomposerEEEEE10hipError_tT0_T1_T2_jT3_P12ihipStream_tbPNSt15iterator_traitsISG_E10value_typeEPNSM_ISH_E10value_typeEPSI_NS1_7vsmem_tEENKUlT_SG_SH_SI_E_clIPiSA_PsSB_EESF_SV_SG_SH_SI_EUlSV_E1_NS1_11comp_targetILNS1_3genE9ELNS1_11target_archE1100ELNS1_3gpuE3ELNS1_3repE0EEENS1_36merge_oddeven_config_static_selectorELNS0_4arch9wavefront6targetE1EEEvSH_
    .private_segment_fixed_size: 0
    .sgpr_count:     6
    .sgpr_spill_count: 0
    .symbol:         _ZN7rocprim17ROCPRIM_400000_NS6detail17trampoline_kernelINS0_14default_configENS1_38merge_sort_block_merge_config_selectorIisEEZZNS1_27merge_sort_block_merge_implIS3_N6thrust23THRUST_200600_302600_NS10device_ptrIiEENS9_IsEEjNS1_19radix_merge_compareILb0ELb0EiNS0_19identity_decomposerEEEEE10hipError_tT0_T1_T2_jT3_P12ihipStream_tbPNSt15iterator_traitsISG_E10value_typeEPNSM_ISH_E10value_typeEPSI_NS1_7vsmem_tEENKUlT_SG_SH_SI_E_clIPiSA_PsSB_EESF_SV_SG_SH_SI_EUlSV_E1_NS1_11comp_targetILNS1_3genE9ELNS1_11target_archE1100ELNS1_3gpuE3ELNS1_3repE0EEENS1_36merge_oddeven_config_static_selectorELNS0_4arch9wavefront6targetE1EEEvSH_.kd
    .uniform_work_group_size: 1
    .uses_dynamic_stack: false
    .vgpr_count:     0
    .vgpr_spill_count: 0
    .wavefront_size: 64
  - .agpr_count:     0
    .args:
      - .offset:         0
        .size:           48
        .value_kind:     by_value
    .group_segment_fixed_size: 0
    .kernarg_segment_align: 8
    .kernarg_segment_size: 48
    .language:       OpenCL C
    .language_version:
      - 2
      - 0
    .max_flat_workgroup_size: 256
    .name:           _ZN7rocprim17ROCPRIM_400000_NS6detail17trampoline_kernelINS0_14default_configENS1_38merge_sort_block_merge_config_selectorIisEEZZNS1_27merge_sort_block_merge_implIS3_N6thrust23THRUST_200600_302600_NS10device_ptrIiEENS9_IsEEjNS1_19radix_merge_compareILb0ELb0EiNS0_19identity_decomposerEEEEE10hipError_tT0_T1_T2_jT3_P12ihipStream_tbPNSt15iterator_traitsISG_E10value_typeEPNSM_ISH_E10value_typeEPSI_NS1_7vsmem_tEENKUlT_SG_SH_SI_E_clIPiSA_PsSB_EESF_SV_SG_SH_SI_EUlSV_E1_NS1_11comp_targetILNS1_3genE8ELNS1_11target_archE1030ELNS1_3gpuE2ELNS1_3repE0EEENS1_36merge_oddeven_config_static_selectorELNS0_4arch9wavefront6targetE1EEEvSH_
    .private_segment_fixed_size: 0
    .sgpr_count:     6
    .sgpr_spill_count: 0
    .symbol:         _ZN7rocprim17ROCPRIM_400000_NS6detail17trampoline_kernelINS0_14default_configENS1_38merge_sort_block_merge_config_selectorIisEEZZNS1_27merge_sort_block_merge_implIS3_N6thrust23THRUST_200600_302600_NS10device_ptrIiEENS9_IsEEjNS1_19radix_merge_compareILb0ELb0EiNS0_19identity_decomposerEEEEE10hipError_tT0_T1_T2_jT3_P12ihipStream_tbPNSt15iterator_traitsISG_E10value_typeEPNSM_ISH_E10value_typeEPSI_NS1_7vsmem_tEENKUlT_SG_SH_SI_E_clIPiSA_PsSB_EESF_SV_SG_SH_SI_EUlSV_E1_NS1_11comp_targetILNS1_3genE8ELNS1_11target_archE1030ELNS1_3gpuE2ELNS1_3repE0EEENS1_36merge_oddeven_config_static_selectorELNS0_4arch9wavefront6targetE1EEEvSH_.kd
    .uniform_work_group_size: 1
    .uses_dynamic_stack: false
    .vgpr_count:     0
    .vgpr_spill_count: 0
    .wavefront_size: 64
  - .agpr_count:     0
    .args:
      - .offset:         0
        .size:           40
        .value_kind:     by_value
    .group_segment_fixed_size: 0
    .kernarg_segment_align: 8
    .kernarg_segment_size: 40
    .language:       OpenCL C
    .language_version:
      - 2
      - 0
    .max_flat_workgroup_size: 128
    .name:           _ZN7rocprim17ROCPRIM_400000_NS6detail17trampoline_kernelINS0_14default_configENS1_38merge_sort_block_merge_config_selectorIisEEZZNS1_27merge_sort_block_merge_implIS3_N6thrust23THRUST_200600_302600_NS10device_ptrIiEENS9_IsEEjNS1_19radix_merge_compareILb0ELb0EiNS0_19identity_decomposerEEEEE10hipError_tT0_T1_T2_jT3_P12ihipStream_tbPNSt15iterator_traitsISG_E10value_typeEPNSM_ISH_E10value_typeEPSI_NS1_7vsmem_tEENKUlT_SG_SH_SI_E_clISA_PiSB_PsEESF_SV_SG_SH_SI_EUlSV_E_NS1_11comp_targetILNS1_3genE0ELNS1_11target_archE4294967295ELNS1_3gpuE0ELNS1_3repE0EEENS1_48merge_mergepath_partition_config_static_selectorELNS0_4arch9wavefront6targetE1EEEvSH_
    .private_segment_fixed_size: 0
    .sgpr_count:     14
    .sgpr_spill_count: 0
    .symbol:         _ZN7rocprim17ROCPRIM_400000_NS6detail17trampoline_kernelINS0_14default_configENS1_38merge_sort_block_merge_config_selectorIisEEZZNS1_27merge_sort_block_merge_implIS3_N6thrust23THRUST_200600_302600_NS10device_ptrIiEENS9_IsEEjNS1_19radix_merge_compareILb0ELb0EiNS0_19identity_decomposerEEEEE10hipError_tT0_T1_T2_jT3_P12ihipStream_tbPNSt15iterator_traitsISG_E10value_typeEPNSM_ISH_E10value_typeEPSI_NS1_7vsmem_tEENKUlT_SG_SH_SI_E_clISA_PiSB_PsEESF_SV_SG_SH_SI_EUlSV_E_NS1_11comp_targetILNS1_3genE0ELNS1_11target_archE4294967295ELNS1_3gpuE0ELNS1_3repE0EEENS1_48merge_mergepath_partition_config_static_selectorELNS0_4arch9wavefront6targetE1EEEvSH_.kd
    .uniform_work_group_size: 1
    .uses_dynamic_stack: false
    .vgpr_count:     17
    .vgpr_spill_count: 0
    .wavefront_size: 64
  - .agpr_count:     0
    .args:
      - .offset:         0
        .size:           40
        .value_kind:     by_value
    .group_segment_fixed_size: 0
    .kernarg_segment_align: 8
    .kernarg_segment_size: 40
    .language:       OpenCL C
    .language_version:
      - 2
      - 0
    .max_flat_workgroup_size: 128
    .name:           _ZN7rocprim17ROCPRIM_400000_NS6detail17trampoline_kernelINS0_14default_configENS1_38merge_sort_block_merge_config_selectorIisEEZZNS1_27merge_sort_block_merge_implIS3_N6thrust23THRUST_200600_302600_NS10device_ptrIiEENS9_IsEEjNS1_19radix_merge_compareILb0ELb0EiNS0_19identity_decomposerEEEEE10hipError_tT0_T1_T2_jT3_P12ihipStream_tbPNSt15iterator_traitsISG_E10value_typeEPNSM_ISH_E10value_typeEPSI_NS1_7vsmem_tEENKUlT_SG_SH_SI_E_clISA_PiSB_PsEESF_SV_SG_SH_SI_EUlSV_E_NS1_11comp_targetILNS1_3genE10ELNS1_11target_archE1201ELNS1_3gpuE5ELNS1_3repE0EEENS1_48merge_mergepath_partition_config_static_selectorELNS0_4arch9wavefront6targetE1EEEvSH_
    .private_segment_fixed_size: 0
    .sgpr_count:     6
    .sgpr_spill_count: 0
    .symbol:         _ZN7rocprim17ROCPRIM_400000_NS6detail17trampoline_kernelINS0_14default_configENS1_38merge_sort_block_merge_config_selectorIisEEZZNS1_27merge_sort_block_merge_implIS3_N6thrust23THRUST_200600_302600_NS10device_ptrIiEENS9_IsEEjNS1_19radix_merge_compareILb0ELb0EiNS0_19identity_decomposerEEEEE10hipError_tT0_T1_T2_jT3_P12ihipStream_tbPNSt15iterator_traitsISG_E10value_typeEPNSM_ISH_E10value_typeEPSI_NS1_7vsmem_tEENKUlT_SG_SH_SI_E_clISA_PiSB_PsEESF_SV_SG_SH_SI_EUlSV_E_NS1_11comp_targetILNS1_3genE10ELNS1_11target_archE1201ELNS1_3gpuE5ELNS1_3repE0EEENS1_48merge_mergepath_partition_config_static_selectorELNS0_4arch9wavefront6targetE1EEEvSH_.kd
    .uniform_work_group_size: 1
    .uses_dynamic_stack: false
    .vgpr_count:     0
    .vgpr_spill_count: 0
    .wavefront_size: 64
  - .agpr_count:     0
    .args:
      - .offset:         0
        .size:           40
        .value_kind:     by_value
    .group_segment_fixed_size: 0
    .kernarg_segment_align: 8
    .kernarg_segment_size: 40
    .language:       OpenCL C
    .language_version:
      - 2
      - 0
    .max_flat_workgroup_size: 128
    .name:           _ZN7rocprim17ROCPRIM_400000_NS6detail17trampoline_kernelINS0_14default_configENS1_38merge_sort_block_merge_config_selectorIisEEZZNS1_27merge_sort_block_merge_implIS3_N6thrust23THRUST_200600_302600_NS10device_ptrIiEENS9_IsEEjNS1_19radix_merge_compareILb0ELb0EiNS0_19identity_decomposerEEEEE10hipError_tT0_T1_T2_jT3_P12ihipStream_tbPNSt15iterator_traitsISG_E10value_typeEPNSM_ISH_E10value_typeEPSI_NS1_7vsmem_tEENKUlT_SG_SH_SI_E_clISA_PiSB_PsEESF_SV_SG_SH_SI_EUlSV_E_NS1_11comp_targetILNS1_3genE5ELNS1_11target_archE942ELNS1_3gpuE9ELNS1_3repE0EEENS1_48merge_mergepath_partition_config_static_selectorELNS0_4arch9wavefront6targetE1EEEvSH_
    .private_segment_fixed_size: 0
    .sgpr_count:     6
    .sgpr_spill_count: 0
    .symbol:         _ZN7rocprim17ROCPRIM_400000_NS6detail17trampoline_kernelINS0_14default_configENS1_38merge_sort_block_merge_config_selectorIisEEZZNS1_27merge_sort_block_merge_implIS3_N6thrust23THRUST_200600_302600_NS10device_ptrIiEENS9_IsEEjNS1_19radix_merge_compareILb0ELb0EiNS0_19identity_decomposerEEEEE10hipError_tT0_T1_T2_jT3_P12ihipStream_tbPNSt15iterator_traitsISG_E10value_typeEPNSM_ISH_E10value_typeEPSI_NS1_7vsmem_tEENKUlT_SG_SH_SI_E_clISA_PiSB_PsEESF_SV_SG_SH_SI_EUlSV_E_NS1_11comp_targetILNS1_3genE5ELNS1_11target_archE942ELNS1_3gpuE9ELNS1_3repE0EEENS1_48merge_mergepath_partition_config_static_selectorELNS0_4arch9wavefront6targetE1EEEvSH_.kd
    .uniform_work_group_size: 1
    .uses_dynamic_stack: false
    .vgpr_count:     0
    .vgpr_spill_count: 0
    .wavefront_size: 64
  - .agpr_count:     0
    .args:
      - .offset:         0
        .size:           40
        .value_kind:     by_value
    .group_segment_fixed_size: 0
    .kernarg_segment_align: 8
    .kernarg_segment_size: 40
    .language:       OpenCL C
    .language_version:
      - 2
      - 0
    .max_flat_workgroup_size: 128
    .name:           _ZN7rocprim17ROCPRIM_400000_NS6detail17trampoline_kernelINS0_14default_configENS1_38merge_sort_block_merge_config_selectorIisEEZZNS1_27merge_sort_block_merge_implIS3_N6thrust23THRUST_200600_302600_NS10device_ptrIiEENS9_IsEEjNS1_19radix_merge_compareILb0ELb0EiNS0_19identity_decomposerEEEEE10hipError_tT0_T1_T2_jT3_P12ihipStream_tbPNSt15iterator_traitsISG_E10value_typeEPNSM_ISH_E10value_typeEPSI_NS1_7vsmem_tEENKUlT_SG_SH_SI_E_clISA_PiSB_PsEESF_SV_SG_SH_SI_EUlSV_E_NS1_11comp_targetILNS1_3genE4ELNS1_11target_archE910ELNS1_3gpuE8ELNS1_3repE0EEENS1_48merge_mergepath_partition_config_static_selectorELNS0_4arch9wavefront6targetE1EEEvSH_
    .private_segment_fixed_size: 0
    .sgpr_count:     6
    .sgpr_spill_count: 0
    .symbol:         _ZN7rocprim17ROCPRIM_400000_NS6detail17trampoline_kernelINS0_14default_configENS1_38merge_sort_block_merge_config_selectorIisEEZZNS1_27merge_sort_block_merge_implIS3_N6thrust23THRUST_200600_302600_NS10device_ptrIiEENS9_IsEEjNS1_19radix_merge_compareILb0ELb0EiNS0_19identity_decomposerEEEEE10hipError_tT0_T1_T2_jT3_P12ihipStream_tbPNSt15iterator_traitsISG_E10value_typeEPNSM_ISH_E10value_typeEPSI_NS1_7vsmem_tEENKUlT_SG_SH_SI_E_clISA_PiSB_PsEESF_SV_SG_SH_SI_EUlSV_E_NS1_11comp_targetILNS1_3genE4ELNS1_11target_archE910ELNS1_3gpuE8ELNS1_3repE0EEENS1_48merge_mergepath_partition_config_static_selectorELNS0_4arch9wavefront6targetE1EEEvSH_.kd
    .uniform_work_group_size: 1
    .uses_dynamic_stack: false
    .vgpr_count:     0
    .vgpr_spill_count: 0
    .wavefront_size: 64
  - .agpr_count:     0
    .args:
      - .offset:         0
        .size:           40
        .value_kind:     by_value
    .group_segment_fixed_size: 0
    .kernarg_segment_align: 8
    .kernarg_segment_size: 40
    .language:       OpenCL C
    .language_version:
      - 2
      - 0
    .max_flat_workgroup_size: 128
    .name:           _ZN7rocprim17ROCPRIM_400000_NS6detail17trampoline_kernelINS0_14default_configENS1_38merge_sort_block_merge_config_selectorIisEEZZNS1_27merge_sort_block_merge_implIS3_N6thrust23THRUST_200600_302600_NS10device_ptrIiEENS9_IsEEjNS1_19radix_merge_compareILb0ELb0EiNS0_19identity_decomposerEEEEE10hipError_tT0_T1_T2_jT3_P12ihipStream_tbPNSt15iterator_traitsISG_E10value_typeEPNSM_ISH_E10value_typeEPSI_NS1_7vsmem_tEENKUlT_SG_SH_SI_E_clISA_PiSB_PsEESF_SV_SG_SH_SI_EUlSV_E_NS1_11comp_targetILNS1_3genE3ELNS1_11target_archE908ELNS1_3gpuE7ELNS1_3repE0EEENS1_48merge_mergepath_partition_config_static_selectorELNS0_4arch9wavefront6targetE1EEEvSH_
    .private_segment_fixed_size: 0
    .sgpr_count:     6
    .sgpr_spill_count: 0
    .symbol:         _ZN7rocprim17ROCPRIM_400000_NS6detail17trampoline_kernelINS0_14default_configENS1_38merge_sort_block_merge_config_selectorIisEEZZNS1_27merge_sort_block_merge_implIS3_N6thrust23THRUST_200600_302600_NS10device_ptrIiEENS9_IsEEjNS1_19radix_merge_compareILb0ELb0EiNS0_19identity_decomposerEEEEE10hipError_tT0_T1_T2_jT3_P12ihipStream_tbPNSt15iterator_traitsISG_E10value_typeEPNSM_ISH_E10value_typeEPSI_NS1_7vsmem_tEENKUlT_SG_SH_SI_E_clISA_PiSB_PsEESF_SV_SG_SH_SI_EUlSV_E_NS1_11comp_targetILNS1_3genE3ELNS1_11target_archE908ELNS1_3gpuE7ELNS1_3repE0EEENS1_48merge_mergepath_partition_config_static_selectorELNS0_4arch9wavefront6targetE1EEEvSH_.kd
    .uniform_work_group_size: 1
    .uses_dynamic_stack: false
    .vgpr_count:     0
    .vgpr_spill_count: 0
    .wavefront_size: 64
  - .agpr_count:     0
    .args:
      - .offset:         0
        .size:           40
        .value_kind:     by_value
    .group_segment_fixed_size: 0
    .kernarg_segment_align: 8
    .kernarg_segment_size: 40
    .language:       OpenCL C
    .language_version:
      - 2
      - 0
    .max_flat_workgroup_size: 128
    .name:           _ZN7rocprim17ROCPRIM_400000_NS6detail17trampoline_kernelINS0_14default_configENS1_38merge_sort_block_merge_config_selectorIisEEZZNS1_27merge_sort_block_merge_implIS3_N6thrust23THRUST_200600_302600_NS10device_ptrIiEENS9_IsEEjNS1_19radix_merge_compareILb0ELb0EiNS0_19identity_decomposerEEEEE10hipError_tT0_T1_T2_jT3_P12ihipStream_tbPNSt15iterator_traitsISG_E10value_typeEPNSM_ISH_E10value_typeEPSI_NS1_7vsmem_tEENKUlT_SG_SH_SI_E_clISA_PiSB_PsEESF_SV_SG_SH_SI_EUlSV_E_NS1_11comp_targetILNS1_3genE2ELNS1_11target_archE906ELNS1_3gpuE6ELNS1_3repE0EEENS1_48merge_mergepath_partition_config_static_selectorELNS0_4arch9wavefront6targetE1EEEvSH_
    .private_segment_fixed_size: 0
    .sgpr_count:     6
    .sgpr_spill_count: 0
    .symbol:         _ZN7rocprim17ROCPRIM_400000_NS6detail17trampoline_kernelINS0_14default_configENS1_38merge_sort_block_merge_config_selectorIisEEZZNS1_27merge_sort_block_merge_implIS3_N6thrust23THRUST_200600_302600_NS10device_ptrIiEENS9_IsEEjNS1_19radix_merge_compareILb0ELb0EiNS0_19identity_decomposerEEEEE10hipError_tT0_T1_T2_jT3_P12ihipStream_tbPNSt15iterator_traitsISG_E10value_typeEPNSM_ISH_E10value_typeEPSI_NS1_7vsmem_tEENKUlT_SG_SH_SI_E_clISA_PiSB_PsEESF_SV_SG_SH_SI_EUlSV_E_NS1_11comp_targetILNS1_3genE2ELNS1_11target_archE906ELNS1_3gpuE6ELNS1_3repE0EEENS1_48merge_mergepath_partition_config_static_selectorELNS0_4arch9wavefront6targetE1EEEvSH_.kd
    .uniform_work_group_size: 1
    .uses_dynamic_stack: false
    .vgpr_count:     0
    .vgpr_spill_count: 0
    .wavefront_size: 64
  - .agpr_count:     0
    .args:
      - .offset:         0
        .size:           40
        .value_kind:     by_value
    .group_segment_fixed_size: 0
    .kernarg_segment_align: 8
    .kernarg_segment_size: 40
    .language:       OpenCL C
    .language_version:
      - 2
      - 0
    .max_flat_workgroup_size: 128
    .name:           _ZN7rocprim17ROCPRIM_400000_NS6detail17trampoline_kernelINS0_14default_configENS1_38merge_sort_block_merge_config_selectorIisEEZZNS1_27merge_sort_block_merge_implIS3_N6thrust23THRUST_200600_302600_NS10device_ptrIiEENS9_IsEEjNS1_19radix_merge_compareILb0ELb0EiNS0_19identity_decomposerEEEEE10hipError_tT0_T1_T2_jT3_P12ihipStream_tbPNSt15iterator_traitsISG_E10value_typeEPNSM_ISH_E10value_typeEPSI_NS1_7vsmem_tEENKUlT_SG_SH_SI_E_clISA_PiSB_PsEESF_SV_SG_SH_SI_EUlSV_E_NS1_11comp_targetILNS1_3genE9ELNS1_11target_archE1100ELNS1_3gpuE3ELNS1_3repE0EEENS1_48merge_mergepath_partition_config_static_selectorELNS0_4arch9wavefront6targetE1EEEvSH_
    .private_segment_fixed_size: 0
    .sgpr_count:     6
    .sgpr_spill_count: 0
    .symbol:         _ZN7rocprim17ROCPRIM_400000_NS6detail17trampoline_kernelINS0_14default_configENS1_38merge_sort_block_merge_config_selectorIisEEZZNS1_27merge_sort_block_merge_implIS3_N6thrust23THRUST_200600_302600_NS10device_ptrIiEENS9_IsEEjNS1_19radix_merge_compareILb0ELb0EiNS0_19identity_decomposerEEEEE10hipError_tT0_T1_T2_jT3_P12ihipStream_tbPNSt15iterator_traitsISG_E10value_typeEPNSM_ISH_E10value_typeEPSI_NS1_7vsmem_tEENKUlT_SG_SH_SI_E_clISA_PiSB_PsEESF_SV_SG_SH_SI_EUlSV_E_NS1_11comp_targetILNS1_3genE9ELNS1_11target_archE1100ELNS1_3gpuE3ELNS1_3repE0EEENS1_48merge_mergepath_partition_config_static_selectorELNS0_4arch9wavefront6targetE1EEEvSH_.kd
    .uniform_work_group_size: 1
    .uses_dynamic_stack: false
    .vgpr_count:     0
    .vgpr_spill_count: 0
    .wavefront_size: 64
  - .agpr_count:     0
    .args:
      - .offset:         0
        .size:           40
        .value_kind:     by_value
    .group_segment_fixed_size: 0
    .kernarg_segment_align: 8
    .kernarg_segment_size: 40
    .language:       OpenCL C
    .language_version:
      - 2
      - 0
    .max_flat_workgroup_size: 128
    .name:           _ZN7rocprim17ROCPRIM_400000_NS6detail17trampoline_kernelINS0_14default_configENS1_38merge_sort_block_merge_config_selectorIisEEZZNS1_27merge_sort_block_merge_implIS3_N6thrust23THRUST_200600_302600_NS10device_ptrIiEENS9_IsEEjNS1_19radix_merge_compareILb0ELb0EiNS0_19identity_decomposerEEEEE10hipError_tT0_T1_T2_jT3_P12ihipStream_tbPNSt15iterator_traitsISG_E10value_typeEPNSM_ISH_E10value_typeEPSI_NS1_7vsmem_tEENKUlT_SG_SH_SI_E_clISA_PiSB_PsEESF_SV_SG_SH_SI_EUlSV_E_NS1_11comp_targetILNS1_3genE8ELNS1_11target_archE1030ELNS1_3gpuE2ELNS1_3repE0EEENS1_48merge_mergepath_partition_config_static_selectorELNS0_4arch9wavefront6targetE1EEEvSH_
    .private_segment_fixed_size: 0
    .sgpr_count:     6
    .sgpr_spill_count: 0
    .symbol:         _ZN7rocprim17ROCPRIM_400000_NS6detail17trampoline_kernelINS0_14default_configENS1_38merge_sort_block_merge_config_selectorIisEEZZNS1_27merge_sort_block_merge_implIS3_N6thrust23THRUST_200600_302600_NS10device_ptrIiEENS9_IsEEjNS1_19radix_merge_compareILb0ELb0EiNS0_19identity_decomposerEEEEE10hipError_tT0_T1_T2_jT3_P12ihipStream_tbPNSt15iterator_traitsISG_E10value_typeEPNSM_ISH_E10value_typeEPSI_NS1_7vsmem_tEENKUlT_SG_SH_SI_E_clISA_PiSB_PsEESF_SV_SG_SH_SI_EUlSV_E_NS1_11comp_targetILNS1_3genE8ELNS1_11target_archE1030ELNS1_3gpuE2ELNS1_3repE0EEENS1_48merge_mergepath_partition_config_static_selectorELNS0_4arch9wavefront6targetE1EEEvSH_.kd
    .uniform_work_group_size: 1
    .uses_dynamic_stack: false
    .vgpr_count:     0
    .vgpr_spill_count: 0
    .wavefront_size: 64
  - .agpr_count:     0
    .args:
      - .offset:         0
        .size:           64
        .value_kind:     by_value
      - .offset:         64
        .size:           4
        .value_kind:     hidden_block_count_x
      - .offset:         68
        .size:           4
        .value_kind:     hidden_block_count_y
      - .offset:         72
        .size:           4
        .value_kind:     hidden_block_count_z
      - .offset:         76
        .size:           2
        .value_kind:     hidden_group_size_x
      - .offset:         78
        .size:           2
        .value_kind:     hidden_group_size_y
      - .offset:         80
        .size:           2
        .value_kind:     hidden_group_size_z
      - .offset:         82
        .size:           2
        .value_kind:     hidden_remainder_x
      - .offset:         84
        .size:           2
        .value_kind:     hidden_remainder_y
      - .offset:         86
        .size:           2
        .value_kind:     hidden_remainder_z
      - .offset:         104
        .size:           8
        .value_kind:     hidden_global_offset_x
      - .offset:         112
        .size:           8
        .value_kind:     hidden_global_offset_y
      - .offset:         120
        .size:           8
        .value_kind:     hidden_global_offset_z
      - .offset:         128
        .size:           2
        .value_kind:     hidden_grid_dims
    .group_segment_fixed_size: 4224
    .kernarg_segment_align: 8
    .kernarg_segment_size: 320
    .language:       OpenCL C
    .language_version:
      - 2
      - 0
    .max_flat_workgroup_size: 256
    .name:           _ZN7rocprim17ROCPRIM_400000_NS6detail17trampoline_kernelINS0_14default_configENS1_38merge_sort_block_merge_config_selectorIisEEZZNS1_27merge_sort_block_merge_implIS3_N6thrust23THRUST_200600_302600_NS10device_ptrIiEENS9_IsEEjNS1_19radix_merge_compareILb0ELb0EiNS0_19identity_decomposerEEEEE10hipError_tT0_T1_T2_jT3_P12ihipStream_tbPNSt15iterator_traitsISG_E10value_typeEPNSM_ISH_E10value_typeEPSI_NS1_7vsmem_tEENKUlT_SG_SH_SI_E_clISA_PiSB_PsEESF_SV_SG_SH_SI_EUlSV_E0_NS1_11comp_targetILNS1_3genE0ELNS1_11target_archE4294967295ELNS1_3gpuE0ELNS1_3repE0EEENS1_38merge_mergepath_config_static_selectorELNS0_4arch9wavefront6targetE1EEEvSH_
    .private_segment_fixed_size: 0
    .sgpr_count:     36
    .sgpr_spill_count: 0
    .symbol:         _ZN7rocprim17ROCPRIM_400000_NS6detail17trampoline_kernelINS0_14default_configENS1_38merge_sort_block_merge_config_selectorIisEEZZNS1_27merge_sort_block_merge_implIS3_N6thrust23THRUST_200600_302600_NS10device_ptrIiEENS9_IsEEjNS1_19radix_merge_compareILb0ELb0EiNS0_19identity_decomposerEEEEE10hipError_tT0_T1_T2_jT3_P12ihipStream_tbPNSt15iterator_traitsISG_E10value_typeEPNSM_ISH_E10value_typeEPSI_NS1_7vsmem_tEENKUlT_SG_SH_SI_E_clISA_PiSB_PsEESF_SV_SG_SH_SI_EUlSV_E0_NS1_11comp_targetILNS1_3genE0ELNS1_11target_archE4294967295ELNS1_3gpuE0ELNS1_3repE0EEENS1_38merge_mergepath_config_static_selectorELNS0_4arch9wavefront6targetE1EEEvSH_.kd
    .uniform_work_group_size: 1
    .uses_dynamic_stack: false
    .vgpr_count:     25
    .vgpr_spill_count: 0
    .wavefront_size: 64
  - .agpr_count:     0
    .args:
      - .offset:         0
        .size:           64
        .value_kind:     by_value
    .group_segment_fixed_size: 0
    .kernarg_segment_align: 8
    .kernarg_segment_size: 64
    .language:       OpenCL C
    .language_version:
      - 2
      - 0
    .max_flat_workgroup_size: 256
    .name:           _ZN7rocprim17ROCPRIM_400000_NS6detail17trampoline_kernelINS0_14default_configENS1_38merge_sort_block_merge_config_selectorIisEEZZNS1_27merge_sort_block_merge_implIS3_N6thrust23THRUST_200600_302600_NS10device_ptrIiEENS9_IsEEjNS1_19radix_merge_compareILb0ELb0EiNS0_19identity_decomposerEEEEE10hipError_tT0_T1_T2_jT3_P12ihipStream_tbPNSt15iterator_traitsISG_E10value_typeEPNSM_ISH_E10value_typeEPSI_NS1_7vsmem_tEENKUlT_SG_SH_SI_E_clISA_PiSB_PsEESF_SV_SG_SH_SI_EUlSV_E0_NS1_11comp_targetILNS1_3genE10ELNS1_11target_archE1201ELNS1_3gpuE5ELNS1_3repE0EEENS1_38merge_mergepath_config_static_selectorELNS0_4arch9wavefront6targetE1EEEvSH_
    .private_segment_fixed_size: 0
    .sgpr_count:     6
    .sgpr_spill_count: 0
    .symbol:         _ZN7rocprim17ROCPRIM_400000_NS6detail17trampoline_kernelINS0_14default_configENS1_38merge_sort_block_merge_config_selectorIisEEZZNS1_27merge_sort_block_merge_implIS3_N6thrust23THRUST_200600_302600_NS10device_ptrIiEENS9_IsEEjNS1_19radix_merge_compareILb0ELb0EiNS0_19identity_decomposerEEEEE10hipError_tT0_T1_T2_jT3_P12ihipStream_tbPNSt15iterator_traitsISG_E10value_typeEPNSM_ISH_E10value_typeEPSI_NS1_7vsmem_tEENKUlT_SG_SH_SI_E_clISA_PiSB_PsEESF_SV_SG_SH_SI_EUlSV_E0_NS1_11comp_targetILNS1_3genE10ELNS1_11target_archE1201ELNS1_3gpuE5ELNS1_3repE0EEENS1_38merge_mergepath_config_static_selectorELNS0_4arch9wavefront6targetE1EEEvSH_.kd
    .uniform_work_group_size: 1
    .uses_dynamic_stack: false
    .vgpr_count:     0
    .vgpr_spill_count: 0
    .wavefront_size: 64
  - .agpr_count:     0
    .args:
      - .offset:         0
        .size:           64
        .value_kind:     by_value
    .group_segment_fixed_size: 0
    .kernarg_segment_align: 8
    .kernarg_segment_size: 64
    .language:       OpenCL C
    .language_version:
      - 2
      - 0
    .max_flat_workgroup_size: 128
    .name:           _ZN7rocprim17ROCPRIM_400000_NS6detail17trampoline_kernelINS0_14default_configENS1_38merge_sort_block_merge_config_selectorIisEEZZNS1_27merge_sort_block_merge_implIS3_N6thrust23THRUST_200600_302600_NS10device_ptrIiEENS9_IsEEjNS1_19radix_merge_compareILb0ELb0EiNS0_19identity_decomposerEEEEE10hipError_tT0_T1_T2_jT3_P12ihipStream_tbPNSt15iterator_traitsISG_E10value_typeEPNSM_ISH_E10value_typeEPSI_NS1_7vsmem_tEENKUlT_SG_SH_SI_E_clISA_PiSB_PsEESF_SV_SG_SH_SI_EUlSV_E0_NS1_11comp_targetILNS1_3genE5ELNS1_11target_archE942ELNS1_3gpuE9ELNS1_3repE0EEENS1_38merge_mergepath_config_static_selectorELNS0_4arch9wavefront6targetE1EEEvSH_
    .private_segment_fixed_size: 0
    .sgpr_count:     6
    .sgpr_spill_count: 0
    .symbol:         _ZN7rocprim17ROCPRIM_400000_NS6detail17trampoline_kernelINS0_14default_configENS1_38merge_sort_block_merge_config_selectorIisEEZZNS1_27merge_sort_block_merge_implIS3_N6thrust23THRUST_200600_302600_NS10device_ptrIiEENS9_IsEEjNS1_19radix_merge_compareILb0ELb0EiNS0_19identity_decomposerEEEEE10hipError_tT0_T1_T2_jT3_P12ihipStream_tbPNSt15iterator_traitsISG_E10value_typeEPNSM_ISH_E10value_typeEPSI_NS1_7vsmem_tEENKUlT_SG_SH_SI_E_clISA_PiSB_PsEESF_SV_SG_SH_SI_EUlSV_E0_NS1_11comp_targetILNS1_3genE5ELNS1_11target_archE942ELNS1_3gpuE9ELNS1_3repE0EEENS1_38merge_mergepath_config_static_selectorELNS0_4arch9wavefront6targetE1EEEvSH_.kd
    .uniform_work_group_size: 1
    .uses_dynamic_stack: false
    .vgpr_count:     0
    .vgpr_spill_count: 0
    .wavefront_size: 64
  - .agpr_count:     0
    .args:
      - .offset:         0
        .size:           64
        .value_kind:     by_value
    .group_segment_fixed_size: 0
    .kernarg_segment_align: 8
    .kernarg_segment_size: 64
    .language:       OpenCL C
    .language_version:
      - 2
      - 0
    .max_flat_workgroup_size: 128
    .name:           _ZN7rocprim17ROCPRIM_400000_NS6detail17trampoline_kernelINS0_14default_configENS1_38merge_sort_block_merge_config_selectorIisEEZZNS1_27merge_sort_block_merge_implIS3_N6thrust23THRUST_200600_302600_NS10device_ptrIiEENS9_IsEEjNS1_19radix_merge_compareILb0ELb0EiNS0_19identity_decomposerEEEEE10hipError_tT0_T1_T2_jT3_P12ihipStream_tbPNSt15iterator_traitsISG_E10value_typeEPNSM_ISH_E10value_typeEPSI_NS1_7vsmem_tEENKUlT_SG_SH_SI_E_clISA_PiSB_PsEESF_SV_SG_SH_SI_EUlSV_E0_NS1_11comp_targetILNS1_3genE4ELNS1_11target_archE910ELNS1_3gpuE8ELNS1_3repE0EEENS1_38merge_mergepath_config_static_selectorELNS0_4arch9wavefront6targetE1EEEvSH_
    .private_segment_fixed_size: 0
    .sgpr_count:     6
    .sgpr_spill_count: 0
    .symbol:         _ZN7rocprim17ROCPRIM_400000_NS6detail17trampoline_kernelINS0_14default_configENS1_38merge_sort_block_merge_config_selectorIisEEZZNS1_27merge_sort_block_merge_implIS3_N6thrust23THRUST_200600_302600_NS10device_ptrIiEENS9_IsEEjNS1_19radix_merge_compareILb0ELb0EiNS0_19identity_decomposerEEEEE10hipError_tT0_T1_T2_jT3_P12ihipStream_tbPNSt15iterator_traitsISG_E10value_typeEPNSM_ISH_E10value_typeEPSI_NS1_7vsmem_tEENKUlT_SG_SH_SI_E_clISA_PiSB_PsEESF_SV_SG_SH_SI_EUlSV_E0_NS1_11comp_targetILNS1_3genE4ELNS1_11target_archE910ELNS1_3gpuE8ELNS1_3repE0EEENS1_38merge_mergepath_config_static_selectorELNS0_4arch9wavefront6targetE1EEEvSH_.kd
    .uniform_work_group_size: 1
    .uses_dynamic_stack: false
    .vgpr_count:     0
    .vgpr_spill_count: 0
    .wavefront_size: 64
  - .agpr_count:     0
    .args:
      - .offset:         0
        .size:           64
        .value_kind:     by_value
    .group_segment_fixed_size: 0
    .kernarg_segment_align: 8
    .kernarg_segment_size: 64
    .language:       OpenCL C
    .language_version:
      - 2
      - 0
    .max_flat_workgroup_size: 256
    .name:           _ZN7rocprim17ROCPRIM_400000_NS6detail17trampoline_kernelINS0_14default_configENS1_38merge_sort_block_merge_config_selectorIisEEZZNS1_27merge_sort_block_merge_implIS3_N6thrust23THRUST_200600_302600_NS10device_ptrIiEENS9_IsEEjNS1_19radix_merge_compareILb0ELb0EiNS0_19identity_decomposerEEEEE10hipError_tT0_T1_T2_jT3_P12ihipStream_tbPNSt15iterator_traitsISG_E10value_typeEPNSM_ISH_E10value_typeEPSI_NS1_7vsmem_tEENKUlT_SG_SH_SI_E_clISA_PiSB_PsEESF_SV_SG_SH_SI_EUlSV_E0_NS1_11comp_targetILNS1_3genE3ELNS1_11target_archE908ELNS1_3gpuE7ELNS1_3repE0EEENS1_38merge_mergepath_config_static_selectorELNS0_4arch9wavefront6targetE1EEEvSH_
    .private_segment_fixed_size: 0
    .sgpr_count:     6
    .sgpr_spill_count: 0
    .symbol:         _ZN7rocprim17ROCPRIM_400000_NS6detail17trampoline_kernelINS0_14default_configENS1_38merge_sort_block_merge_config_selectorIisEEZZNS1_27merge_sort_block_merge_implIS3_N6thrust23THRUST_200600_302600_NS10device_ptrIiEENS9_IsEEjNS1_19radix_merge_compareILb0ELb0EiNS0_19identity_decomposerEEEEE10hipError_tT0_T1_T2_jT3_P12ihipStream_tbPNSt15iterator_traitsISG_E10value_typeEPNSM_ISH_E10value_typeEPSI_NS1_7vsmem_tEENKUlT_SG_SH_SI_E_clISA_PiSB_PsEESF_SV_SG_SH_SI_EUlSV_E0_NS1_11comp_targetILNS1_3genE3ELNS1_11target_archE908ELNS1_3gpuE7ELNS1_3repE0EEENS1_38merge_mergepath_config_static_selectorELNS0_4arch9wavefront6targetE1EEEvSH_.kd
    .uniform_work_group_size: 1
    .uses_dynamic_stack: false
    .vgpr_count:     0
    .vgpr_spill_count: 0
    .wavefront_size: 64
  - .agpr_count:     0
    .args:
      - .offset:         0
        .size:           64
        .value_kind:     by_value
    .group_segment_fixed_size: 0
    .kernarg_segment_align: 8
    .kernarg_segment_size: 64
    .language:       OpenCL C
    .language_version:
      - 2
      - 0
    .max_flat_workgroup_size: 128
    .name:           _ZN7rocprim17ROCPRIM_400000_NS6detail17trampoline_kernelINS0_14default_configENS1_38merge_sort_block_merge_config_selectorIisEEZZNS1_27merge_sort_block_merge_implIS3_N6thrust23THRUST_200600_302600_NS10device_ptrIiEENS9_IsEEjNS1_19radix_merge_compareILb0ELb0EiNS0_19identity_decomposerEEEEE10hipError_tT0_T1_T2_jT3_P12ihipStream_tbPNSt15iterator_traitsISG_E10value_typeEPNSM_ISH_E10value_typeEPSI_NS1_7vsmem_tEENKUlT_SG_SH_SI_E_clISA_PiSB_PsEESF_SV_SG_SH_SI_EUlSV_E0_NS1_11comp_targetILNS1_3genE2ELNS1_11target_archE906ELNS1_3gpuE6ELNS1_3repE0EEENS1_38merge_mergepath_config_static_selectorELNS0_4arch9wavefront6targetE1EEEvSH_
    .private_segment_fixed_size: 0
    .sgpr_count:     6
    .sgpr_spill_count: 0
    .symbol:         _ZN7rocprim17ROCPRIM_400000_NS6detail17trampoline_kernelINS0_14default_configENS1_38merge_sort_block_merge_config_selectorIisEEZZNS1_27merge_sort_block_merge_implIS3_N6thrust23THRUST_200600_302600_NS10device_ptrIiEENS9_IsEEjNS1_19radix_merge_compareILb0ELb0EiNS0_19identity_decomposerEEEEE10hipError_tT0_T1_T2_jT3_P12ihipStream_tbPNSt15iterator_traitsISG_E10value_typeEPNSM_ISH_E10value_typeEPSI_NS1_7vsmem_tEENKUlT_SG_SH_SI_E_clISA_PiSB_PsEESF_SV_SG_SH_SI_EUlSV_E0_NS1_11comp_targetILNS1_3genE2ELNS1_11target_archE906ELNS1_3gpuE6ELNS1_3repE0EEENS1_38merge_mergepath_config_static_selectorELNS0_4arch9wavefront6targetE1EEEvSH_.kd
    .uniform_work_group_size: 1
    .uses_dynamic_stack: false
    .vgpr_count:     0
    .vgpr_spill_count: 0
    .wavefront_size: 64
  - .agpr_count:     0
    .args:
      - .offset:         0
        .size:           64
        .value_kind:     by_value
    .group_segment_fixed_size: 0
    .kernarg_segment_align: 8
    .kernarg_segment_size: 64
    .language:       OpenCL C
    .language_version:
      - 2
      - 0
    .max_flat_workgroup_size: 256
    .name:           _ZN7rocprim17ROCPRIM_400000_NS6detail17trampoline_kernelINS0_14default_configENS1_38merge_sort_block_merge_config_selectorIisEEZZNS1_27merge_sort_block_merge_implIS3_N6thrust23THRUST_200600_302600_NS10device_ptrIiEENS9_IsEEjNS1_19radix_merge_compareILb0ELb0EiNS0_19identity_decomposerEEEEE10hipError_tT0_T1_T2_jT3_P12ihipStream_tbPNSt15iterator_traitsISG_E10value_typeEPNSM_ISH_E10value_typeEPSI_NS1_7vsmem_tEENKUlT_SG_SH_SI_E_clISA_PiSB_PsEESF_SV_SG_SH_SI_EUlSV_E0_NS1_11comp_targetILNS1_3genE9ELNS1_11target_archE1100ELNS1_3gpuE3ELNS1_3repE0EEENS1_38merge_mergepath_config_static_selectorELNS0_4arch9wavefront6targetE1EEEvSH_
    .private_segment_fixed_size: 0
    .sgpr_count:     6
    .sgpr_spill_count: 0
    .symbol:         _ZN7rocprim17ROCPRIM_400000_NS6detail17trampoline_kernelINS0_14default_configENS1_38merge_sort_block_merge_config_selectorIisEEZZNS1_27merge_sort_block_merge_implIS3_N6thrust23THRUST_200600_302600_NS10device_ptrIiEENS9_IsEEjNS1_19radix_merge_compareILb0ELb0EiNS0_19identity_decomposerEEEEE10hipError_tT0_T1_T2_jT3_P12ihipStream_tbPNSt15iterator_traitsISG_E10value_typeEPNSM_ISH_E10value_typeEPSI_NS1_7vsmem_tEENKUlT_SG_SH_SI_E_clISA_PiSB_PsEESF_SV_SG_SH_SI_EUlSV_E0_NS1_11comp_targetILNS1_3genE9ELNS1_11target_archE1100ELNS1_3gpuE3ELNS1_3repE0EEENS1_38merge_mergepath_config_static_selectorELNS0_4arch9wavefront6targetE1EEEvSH_.kd
    .uniform_work_group_size: 1
    .uses_dynamic_stack: false
    .vgpr_count:     0
    .vgpr_spill_count: 0
    .wavefront_size: 64
  - .agpr_count:     0
    .args:
      - .offset:         0
        .size:           64
        .value_kind:     by_value
    .group_segment_fixed_size: 0
    .kernarg_segment_align: 8
    .kernarg_segment_size: 64
    .language:       OpenCL C
    .language_version:
      - 2
      - 0
    .max_flat_workgroup_size: 512
    .name:           _ZN7rocprim17ROCPRIM_400000_NS6detail17trampoline_kernelINS0_14default_configENS1_38merge_sort_block_merge_config_selectorIisEEZZNS1_27merge_sort_block_merge_implIS3_N6thrust23THRUST_200600_302600_NS10device_ptrIiEENS9_IsEEjNS1_19radix_merge_compareILb0ELb0EiNS0_19identity_decomposerEEEEE10hipError_tT0_T1_T2_jT3_P12ihipStream_tbPNSt15iterator_traitsISG_E10value_typeEPNSM_ISH_E10value_typeEPSI_NS1_7vsmem_tEENKUlT_SG_SH_SI_E_clISA_PiSB_PsEESF_SV_SG_SH_SI_EUlSV_E0_NS1_11comp_targetILNS1_3genE8ELNS1_11target_archE1030ELNS1_3gpuE2ELNS1_3repE0EEENS1_38merge_mergepath_config_static_selectorELNS0_4arch9wavefront6targetE1EEEvSH_
    .private_segment_fixed_size: 0
    .sgpr_count:     6
    .sgpr_spill_count: 0
    .symbol:         _ZN7rocprim17ROCPRIM_400000_NS6detail17trampoline_kernelINS0_14default_configENS1_38merge_sort_block_merge_config_selectorIisEEZZNS1_27merge_sort_block_merge_implIS3_N6thrust23THRUST_200600_302600_NS10device_ptrIiEENS9_IsEEjNS1_19radix_merge_compareILb0ELb0EiNS0_19identity_decomposerEEEEE10hipError_tT0_T1_T2_jT3_P12ihipStream_tbPNSt15iterator_traitsISG_E10value_typeEPNSM_ISH_E10value_typeEPSI_NS1_7vsmem_tEENKUlT_SG_SH_SI_E_clISA_PiSB_PsEESF_SV_SG_SH_SI_EUlSV_E0_NS1_11comp_targetILNS1_3genE8ELNS1_11target_archE1030ELNS1_3gpuE2ELNS1_3repE0EEENS1_38merge_mergepath_config_static_selectorELNS0_4arch9wavefront6targetE1EEEvSH_.kd
    .uniform_work_group_size: 1
    .uses_dynamic_stack: false
    .vgpr_count:     0
    .vgpr_spill_count: 0
    .wavefront_size: 64
  - .agpr_count:     0
    .args:
      - .offset:         0
        .size:           48
        .value_kind:     by_value
    .group_segment_fixed_size: 0
    .kernarg_segment_align: 8
    .kernarg_segment_size: 48
    .language:       OpenCL C
    .language_version:
      - 2
      - 0
    .max_flat_workgroup_size: 256
    .name:           _ZN7rocprim17ROCPRIM_400000_NS6detail17trampoline_kernelINS0_14default_configENS1_38merge_sort_block_merge_config_selectorIisEEZZNS1_27merge_sort_block_merge_implIS3_N6thrust23THRUST_200600_302600_NS10device_ptrIiEENS9_IsEEjNS1_19radix_merge_compareILb0ELb0EiNS0_19identity_decomposerEEEEE10hipError_tT0_T1_T2_jT3_P12ihipStream_tbPNSt15iterator_traitsISG_E10value_typeEPNSM_ISH_E10value_typeEPSI_NS1_7vsmem_tEENKUlT_SG_SH_SI_E_clISA_PiSB_PsEESF_SV_SG_SH_SI_EUlSV_E1_NS1_11comp_targetILNS1_3genE0ELNS1_11target_archE4294967295ELNS1_3gpuE0ELNS1_3repE0EEENS1_36merge_oddeven_config_static_selectorELNS0_4arch9wavefront6targetE1EEEvSH_
    .private_segment_fixed_size: 0
    .sgpr_count:     30
    .sgpr_spill_count: 0
    .symbol:         _ZN7rocprim17ROCPRIM_400000_NS6detail17trampoline_kernelINS0_14default_configENS1_38merge_sort_block_merge_config_selectorIisEEZZNS1_27merge_sort_block_merge_implIS3_N6thrust23THRUST_200600_302600_NS10device_ptrIiEENS9_IsEEjNS1_19radix_merge_compareILb0ELb0EiNS0_19identity_decomposerEEEEE10hipError_tT0_T1_T2_jT3_P12ihipStream_tbPNSt15iterator_traitsISG_E10value_typeEPNSM_ISH_E10value_typeEPSI_NS1_7vsmem_tEENKUlT_SG_SH_SI_E_clISA_PiSB_PsEESF_SV_SG_SH_SI_EUlSV_E1_NS1_11comp_targetILNS1_3genE0ELNS1_11target_archE4294967295ELNS1_3gpuE0ELNS1_3repE0EEENS1_36merge_oddeven_config_static_selectorELNS0_4arch9wavefront6targetE1EEEvSH_.kd
    .uniform_work_group_size: 1
    .uses_dynamic_stack: false
    .vgpr_count:     10
    .vgpr_spill_count: 0
    .wavefront_size: 64
  - .agpr_count:     0
    .args:
      - .offset:         0
        .size:           48
        .value_kind:     by_value
    .group_segment_fixed_size: 0
    .kernarg_segment_align: 8
    .kernarg_segment_size: 48
    .language:       OpenCL C
    .language_version:
      - 2
      - 0
    .max_flat_workgroup_size: 256
    .name:           _ZN7rocprim17ROCPRIM_400000_NS6detail17trampoline_kernelINS0_14default_configENS1_38merge_sort_block_merge_config_selectorIisEEZZNS1_27merge_sort_block_merge_implIS3_N6thrust23THRUST_200600_302600_NS10device_ptrIiEENS9_IsEEjNS1_19radix_merge_compareILb0ELb0EiNS0_19identity_decomposerEEEEE10hipError_tT0_T1_T2_jT3_P12ihipStream_tbPNSt15iterator_traitsISG_E10value_typeEPNSM_ISH_E10value_typeEPSI_NS1_7vsmem_tEENKUlT_SG_SH_SI_E_clISA_PiSB_PsEESF_SV_SG_SH_SI_EUlSV_E1_NS1_11comp_targetILNS1_3genE10ELNS1_11target_archE1201ELNS1_3gpuE5ELNS1_3repE0EEENS1_36merge_oddeven_config_static_selectorELNS0_4arch9wavefront6targetE1EEEvSH_
    .private_segment_fixed_size: 0
    .sgpr_count:     6
    .sgpr_spill_count: 0
    .symbol:         _ZN7rocprim17ROCPRIM_400000_NS6detail17trampoline_kernelINS0_14default_configENS1_38merge_sort_block_merge_config_selectorIisEEZZNS1_27merge_sort_block_merge_implIS3_N6thrust23THRUST_200600_302600_NS10device_ptrIiEENS9_IsEEjNS1_19radix_merge_compareILb0ELb0EiNS0_19identity_decomposerEEEEE10hipError_tT0_T1_T2_jT3_P12ihipStream_tbPNSt15iterator_traitsISG_E10value_typeEPNSM_ISH_E10value_typeEPSI_NS1_7vsmem_tEENKUlT_SG_SH_SI_E_clISA_PiSB_PsEESF_SV_SG_SH_SI_EUlSV_E1_NS1_11comp_targetILNS1_3genE10ELNS1_11target_archE1201ELNS1_3gpuE5ELNS1_3repE0EEENS1_36merge_oddeven_config_static_selectorELNS0_4arch9wavefront6targetE1EEEvSH_.kd
    .uniform_work_group_size: 1
    .uses_dynamic_stack: false
    .vgpr_count:     0
    .vgpr_spill_count: 0
    .wavefront_size: 64
  - .agpr_count:     0
    .args:
      - .offset:         0
        .size:           48
        .value_kind:     by_value
    .group_segment_fixed_size: 0
    .kernarg_segment_align: 8
    .kernarg_segment_size: 48
    .language:       OpenCL C
    .language_version:
      - 2
      - 0
    .max_flat_workgroup_size: 256
    .name:           _ZN7rocprim17ROCPRIM_400000_NS6detail17trampoline_kernelINS0_14default_configENS1_38merge_sort_block_merge_config_selectorIisEEZZNS1_27merge_sort_block_merge_implIS3_N6thrust23THRUST_200600_302600_NS10device_ptrIiEENS9_IsEEjNS1_19radix_merge_compareILb0ELb0EiNS0_19identity_decomposerEEEEE10hipError_tT0_T1_T2_jT3_P12ihipStream_tbPNSt15iterator_traitsISG_E10value_typeEPNSM_ISH_E10value_typeEPSI_NS1_7vsmem_tEENKUlT_SG_SH_SI_E_clISA_PiSB_PsEESF_SV_SG_SH_SI_EUlSV_E1_NS1_11comp_targetILNS1_3genE5ELNS1_11target_archE942ELNS1_3gpuE9ELNS1_3repE0EEENS1_36merge_oddeven_config_static_selectorELNS0_4arch9wavefront6targetE1EEEvSH_
    .private_segment_fixed_size: 0
    .sgpr_count:     6
    .sgpr_spill_count: 0
    .symbol:         _ZN7rocprim17ROCPRIM_400000_NS6detail17trampoline_kernelINS0_14default_configENS1_38merge_sort_block_merge_config_selectorIisEEZZNS1_27merge_sort_block_merge_implIS3_N6thrust23THRUST_200600_302600_NS10device_ptrIiEENS9_IsEEjNS1_19radix_merge_compareILb0ELb0EiNS0_19identity_decomposerEEEEE10hipError_tT0_T1_T2_jT3_P12ihipStream_tbPNSt15iterator_traitsISG_E10value_typeEPNSM_ISH_E10value_typeEPSI_NS1_7vsmem_tEENKUlT_SG_SH_SI_E_clISA_PiSB_PsEESF_SV_SG_SH_SI_EUlSV_E1_NS1_11comp_targetILNS1_3genE5ELNS1_11target_archE942ELNS1_3gpuE9ELNS1_3repE0EEENS1_36merge_oddeven_config_static_selectorELNS0_4arch9wavefront6targetE1EEEvSH_.kd
    .uniform_work_group_size: 1
    .uses_dynamic_stack: false
    .vgpr_count:     0
    .vgpr_spill_count: 0
    .wavefront_size: 64
  - .agpr_count:     0
    .args:
      - .offset:         0
        .size:           48
        .value_kind:     by_value
    .group_segment_fixed_size: 0
    .kernarg_segment_align: 8
    .kernarg_segment_size: 48
    .language:       OpenCL C
    .language_version:
      - 2
      - 0
    .max_flat_workgroup_size: 256
    .name:           _ZN7rocprim17ROCPRIM_400000_NS6detail17trampoline_kernelINS0_14default_configENS1_38merge_sort_block_merge_config_selectorIisEEZZNS1_27merge_sort_block_merge_implIS3_N6thrust23THRUST_200600_302600_NS10device_ptrIiEENS9_IsEEjNS1_19radix_merge_compareILb0ELb0EiNS0_19identity_decomposerEEEEE10hipError_tT0_T1_T2_jT3_P12ihipStream_tbPNSt15iterator_traitsISG_E10value_typeEPNSM_ISH_E10value_typeEPSI_NS1_7vsmem_tEENKUlT_SG_SH_SI_E_clISA_PiSB_PsEESF_SV_SG_SH_SI_EUlSV_E1_NS1_11comp_targetILNS1_3genE4ELNS1_11target_archE910ELNS1_3gpuE8ELNS1_3repE0EEENS1_36merge_oddeven_config_static_selectorELNS0_4arch9wavefront6targetE1EEEvSH_
    .private_segment_fixed_size: 0
    .sgpr_count:     6
    .sgpr_spill_count: 0
    .symbol:         _ZN7rocprim17ROCPRIM_400000_NS6detail17trampoline_kernelINS0_14default_configENS1_38merge_sort_block_merge_config_selectorIisEEZZNS1_27merge_sort_block_merge_implIS3_N6thrust23THRUST_200600_302600_NS10device_ptrIiEENS9_IsEEjNS1_19radix_merge_compareILb0ELb0EiNS0_19identity_decomposerEEEEE10hipError_tT0_T1_T2_jT3_P12ihipStream_tbPNSt15iterator_traitsISG_E10value_typeEPNSM_ISH_E10value_typeEPSI_NS1_7vsmem_tEENKUlT_SG_SH_SI_E_clISA_PiSB_PsEESF_SV_SG_SH_SI_EUlSV_E1_NS1_11comp_targetILNS1_3genE4ELNS1_11target_archE910ELNS1_3gpuE8ELNS1_3repE0EEENS1_36merge_oddeven_config_static_selectorELNS0_4arch9wavefront6targetE1EEEvSH_.kd
    .uniform_work_group_size: 1
    .uses_dynamic_stack: false
    .vgpr_count:     0
    .vgpr_spill_count: 0
    .wavefront_size: 64
  - .agpr_count:     0
    .args:
      - .offset:         0
        .size:           48
        .value_kind:     by_value
    .group_segment_fixed_size: 0
    .kernarg_segment_align: 8
    .kernarg_segment_size: 48
    .language:       OpenCL C
    .language_version:
      - 2
      - 0
    .max_flat_workgroup_size: 256
    .name:           _ZN7rocprim17ROCPRIM_400000_NS6detail17trampoline_kernelINS0_14default_configENS1_38merge_sort_block_merge_config_selectorIisEEZZNS1_27merge_sort_block_merge_implIS3_N6thrust23THRUST_200600_302600_NS10device_ptrIiEENS9_IsEEjNS1_19radix_merge_compareILb0ELb0EiNS0_19identity_decomposerEEEEE10hipError_tT0_T1_T2_jT3_P12ihipStream_tbPNSt15iterator_traitsISG_E10value_typeEPNSM_ISH_E10value_typeEPSI_NS1_7vsmem_tEENKUlT_SG_SH_SI_E_clISA_PiSB_PsEESF_SV_SG_SH_SI_EUlSV_E1_NS1_11comp_targetILNS1_3genE3ELNS1_11target_archE908ELNS1_3gpuE7ELNS1_3repE0EEENS1_36merge_oddeven_config_static_selectorELNS0_4arch9wavefront6targetE1EEEvSH_
    .private_segment_fixed_size: 0
    .sgpr_count:     6
    .sgpr_spill_count: 0
    .symbol:         _ZN7rocprim17ROCPRIM_400000_NS6detail17trampoline_kernelINS0_14default_configENS1_38merge_sort_block_merge_config_selectorIisEEZZNS1_27merge_sort_block_merge_implIS3_N6thrust23THRUST_200600_302600_NS10device_ptrIiEENS9_IsEEjNS1_19radix_merge_compareILb0ELb0EiNS0_19identity_decomposerEEEEE10hipError_tT0_T1_T2_jT3_P12ihipStream_tbPNSt15iterator_traitsISG_E10value_typeEPNSM_ISH_E10value_typeEPSI_NS1_7vsmem_tEENKUlT_SG_SH_SI_E_clISA_PiSB_PsEESF_SV_SG_SH_SI_EUlSV_E1_NS1_11comp_targetILNS1_3genE3ELNS1_11target_archE908ELNS1_3gpuE7ELNS1_3repE0EEENS1_36merge_oddeven_config_static_selectorELNS0_4arch9wavefront6targetE1EEEvSH_.kd
    .uniform_work_group_size: 1
    .uses_dynamic_stack: false
    .vgpr_count:     0
    .vgpr_spill_count: 0
    .wavefront_size: 64
  - .agpr_count:     0
    .args:
      - .offset:         0
        .size:           48
        .value_kind:     by_value
    .group_segment_fixed_size: 0
    .kernarg_segment_align: 8
    .kernarg_segment_size: 48
    .language:       OpenCL C
    .language_version:
      - 2
      - 0
    .max_flat_workgroup_size: 256
    .name:           _ZN7rocprim17ROCPRIM_400000_NS6detail17trampoline_kernelINS0_14default_configENS1_38merge_sort_block_merge_config_selectorIisEEZZNS1_27merge_sort_block_merge_implIS3_N6thrust23THRUST_200600_302600_NS10device_ptrIiEENS9_IsEEjNS1_19radix_merge_compareILb0ELb0EiNS0_19identity_decomposerEEEEE10hipError_tT0_T1_T2_jT3_P12ihipStream_tbPNSt15iterator_traitsISG_E10value_typeEPNSM_ISH_E10value_typeEPSI_NS1_7vsmem_tEENKUlT_SG_SH_SI_E_clISA_PiSB_PsEESF_SV_SG_SH_SI_EUlSV_E1_NS1_11comp_targetILNS1_3genE2ELNS1_11target_archE906ELNS1_3gpuE6ELNS1_3repE0EEENS1_36merge_oddeven_config_static_selectorELNS0_4arch9wavefront6targetE1EEEvSH_
    .private_segment_fixed_size: 0
    .sgpr_count:     6
    .sgpr_spill_count: 0
    .symbol:         _ZN7rocprim17ROCPRIM_400000_NS6detail17trampoline_kernelINS0_14default_configENS1_38merge_sort_block_merge_config_selectorIisEEZZNS1_27merge_sort_block_merge_implIS3_N6thrust23THRUST_200600_302600_NS10device_ptrIiEENS9_IsEEjNS1_19radix_merge_compareILb0ELb0EiNS0_19identity_decomposerEEEEE10hipError_tT0_T1_T2_jT3_P12ihipStream_tbPNSt15iterator_traitsISG_E10value_typeEPNSM_ISH_E10value_typeEPSI_NS1_7vsmem_tEENKUlT_SG_SH_SI_E_clISA_PiSB_PsEESF_SV_SG_SH_SI_EUlSV_E1_NS1_11comp_targetILNS1_3genE2ELNS1_11target_archE906ELNS1_3gpuE6ELNS1_3repE0EEENS1_36merge_oddeven_config_static_selectorELNS0_4arch9wavefront6targetE1EEEvSH_.kd
    .uniform_work_group_size: 1
    .uses_dynamic_stack: false
    .vgpr_count:     0
    .vgpr_spill_count: 0
    .wavefront_size: 64
  - .agpr_count:     0
    .args:
      - .offset:         0
        .size:           48
        .value_kind:     by_value
    .group_segment_fixed_size: 0
    .kernarg_segment_align: 8
    .kernarg_segment_size: 48
    .language:       OpenCL C
    .language_version:
      - 2
      - 0
    .max_flat_workgroup_size: 256
    .name:           _ZN7rocprim17ROCPRIM_400000_NS6detail17trampoline_kernelINS0_14default_configENS1_38merge_sort_block_merge_config_selectorIisEEZZNS1_27merge_sort_block_merge_implIS3_N6thrust23THRUST_200600_302600_NS10device_ptrIiEENS9_IsEEjNS1_19radix_merge_compareILb0ELb0EiNS0_19identity_decomposerEEEEE10hipError_tT0_T1_T2_jT3_P12ihipStream_tbPNSt15iterator_traitsISG_E10value_typeEPNSM_ISH_E10value_typeEPSI_NS1_7vsmem_tEENKUlT_SG_SH_SI_E_clISA_PiSB_PsEESF_SV_SG_SH_SI_EUlSV_E1_NS1_11comp_targetILNS1_3genE9ELNS1_11target_archE1100ELNS1_3gpuE3ELNS1_3repE0EEENS1_36merge_oddeven_config_static_selectorELNS0_4arch9wavefront6targetE1EEEvSH_
    .private_segment_fixed_size: 0
    .sgpr_count:     6
    .sgpr_spill_count: 0
    .symbol:         _ZN7rocprim17ROCPRIM_400000_NS6detail17trampoline_kernelINS0_14default_configENS1_38merge_sort_block_merge_config_selectorIisEEZZNS1_27merge_sort_block_merge_implIS3_N6thrust23THRUST_200600_302600_NS10device_ptrIiEENS9_IsEEjNS1_19radix_merge_compareILb0ELb0EiNS0_19identity_decomposerEEEEE10hipError_tT0_T1_T2_jT3_P12ihipStream_tbPNSt15iterator_traitsISG_E10value_typeEPNSM_ISH_E10value_typeEPSI_NS1_7vsmem_tEENKUlT_SG_SH_SI_E_clISA_PiSB_PsEESF_SV_SG_SH_SI_EUlSV_E1_NS1_11comp_targetILNS1_3genE9ELNS1_11target_archE1100ELNS1_3gpuE3ELNS1_3repE0EEENS1_36merge_oddeven_config_static_selectorELNS0_4arch9wavefront6targetE1EEEvSH_.kd
    .uniform_work_group_size: 1
    .uses_dynamic_stack: false
    .vgpr_count:     0
    .vgpr_spill_count: 0
    .wavefront_size: 64
  - .agpr_count:     0
    .args:
      - .offset:         0
        .size:           48
        .value_kind:     by_value
    .group_segment_fixed_size: 0
    .kernarg_segment_align: 8
    .kernarg_segment_size: 48
    .language:       OpenCL C
    .language_version:
      - 2
      - 0
    .max_flat_workgroup_size: 256
    .name:           _ZN7rocprim17ROCPRIM_400000_NS6detail17trampoline_kernelINS0_14default_configENS1_38merge_sort_block_merge_config_selectorIisEEZZNS1_27merge_sort_block_merge_implIS3_N6thrust23THRUST_200600_302600_NS10device_ptrIiEENS9_IsEEjNS1_19radix_merge_compareILb0ELb0EiNS0_19identity_decomposerEEEEE10hipError_tT0_T1_T2_jT3_P12ihipStream_tbPNSt15iterator_traitsISG_E10value_typeEPNSM_ISH_E10value_typeEPSI_NS1_7vsmem_tEENKUlT_SG_SH_SI_E_clISA_PiSB_PsEESF_SV_SG_SH_SI_EUlSV_E1_NS1_11comp_targetILNS1_3genE8ELNS1_11target_archE1030ELNS1_3gpuE2ELNS1_3repE0EEENS1_36merge_oddeven_config_static_selectorELNS0_4arch9wavefront6targetE1EEEvSH_
    .private_segment_fixed_size: 0
    .sgpr_count:     6
    .sgpr_spill_count: 0
    .symbol:         _ZN7rocprim17ROCPRIM_400000_NS6detail17trampoline_kernelINS0_14default_configENS1_38merge_sort_block_merge_config_selectorIisEEZZNS1_27merge_sort_block_merge_implIS3_N6thrust23THRUST_200600_302600_NS10device_ptrIiEENS9_IsEEjNS1_19radix_merge_compareILb0ELb0EiNS0_19identity_decomposerEEEEE10hipError_tT0_T1_T2_jT3_P12ihipStream_tbPNSt15iterator_traitsISG_E10value_typeEPNSM_ISH_E10value_typeEPSI_NS1_7vsmem_tEENKUlT_SG_SH_SI_E_clISA_PiSB_PsEESF_SV_SG_SH_SI_EUlSV_E1_NS1_11comp_targetILNS1_3genE8ELNS1_11target_archE1030ELNS1_3gpuE2ELNS1_3repE0EEENS1_36merge_oddeven_config_static_selectorELNS0_4arch9wavefront6targetE1EEEvSH_.kd
    .uniform_work_group_size: 1
    .uses_dynamic_stack: false
    .vgpr_count:     0
    .vgpr_spill_count: 0
    .wavefront_size: 64
  - .agpr_count:     0
    .args:
      - .offset:         0
        .size:           40
        .value_kind:     by_value
      - .offset:         40
        .size:           4
        .value_kind:     hidden_block_count_x
      - .offset:         44
        .size:           4
        .value_kind:     hidden_block_count_y
      - .offset:         48
        .size:           4
        .value_kind:     hidden_block_count_z
      - .offset:         52
        .size:           2
        .value_kind:     hidden_group_size_x
      - .offset:         54
        .size:           2
        .value_kind:     hidden_group_size_y
      - .offset:         56
        .size:           2
        .value_kind:     hidden_group_size_z
      - .offset:         58
        .size:           2
        .value_kind:     hidden_remainder_x
      - .offset:         60
        .size:           2
        .value_kind:     hidden_remainder_y
      - .offset:         62
        .size:           2
        .value_kind:     hidden_remainder_z
      - .offset:         80
        .size:           8
        .value_kind:     hidden_global_offset_x
      - .offset:         88
        .size:           8
        .value_kind:     hidden_global_offset_y
      - .offset:         96
        .size:           8
        .value_kind:     hidden_global_offset_z
      - .offset:         104
        .size:           2
        .value_kind:     hidden_grid_dims
    .group_segment_fixed_size: 0
    .kernarg_segment_align: 8
    .kernarg_segment_size: 296
    .language:       OpenCL C
    .language_version:
      - 2
      - 0
    .max_flat_workgroup_size: 128
    .name:           _ZN7rocprim17ROCPRIM_400000_NS6detail17trampoline_kernelINS0_14default_configENS1_25transform_config_selectorIiLb0EEEZNS1_14transform_implILb0ES3_S5_PiN6thrust23THRUST_200600_302600_NS10device_ptrIiEENS0_8identityIiEEEE10hipError_tT2_T3_mT4_P12ihipStream_tbEUlT_E_NS1_11comp_targetILNS1_3genE0ELNS1_11target_archE4294967295ELNS1_3gpuE0ELNS1_3repE0EEENS1_30default_config_static_selectorELNS0_4arch9wavefront6targetE1EEEvT1_
    .private_segment_fixed_size: 0
    .sgpr_count:     22
    .sgpr_spill_count: 0
    .symbol:         _ZN7rocprim17ROCPRIM_400000_NS6detail17trampoline_kernelINS0_14default_configENS1_25transform_config_selectorIiLb0EEEZNS1_14transform_implILb0ES3_S5_PiN6thrust23THRUST_200600_302600_NS10device_ptrIiEENS0_8identityIiEEEE10hipError_tT2_T3_mT4_P12ihipStream_tbEUlT_E_NS1_11comp_targetILNS1_3genE0ELNS1_11target_archE4294967295ELNS1_3gpuE0ELNS1_3repE0EEENS1_30default_config_static_selectorELNS0_4arch9wavefront6targetE1EEEvT1_.kd
    .uniform_work_group_size: 1
    .uses_dynamic_stack: false
    .vgpr_count:     7
    .vgpr_spill_count: 0
    .wavefront_size: 64
  - .agpr_count:     0
    .args:
      - .offset:         0
        .size:           40
        .value_kind:     by_value
    .group_segment_fixed_size: 0
    .kernarg_segment_align: 8
    .kernarg_segment_size: 40
    .language:       OpenCL C
    .language_version:
      - 2
      - 0
    .max_flat_workgroup_size: 512
    .name:           _ZN7rocprim17ROCPRIM_400000_NS6detail17trampoline_kernelINS0_14default_configENS1_25transform_config_selectorIiLb0EEEZNS1_14transform_implILb0ES3_S5_PiN6thrust23THRUST_200600_302600_NS10device_ptrIiEENS0_8identityIiEEEE10hipError_tT2_T3_mT4_P12ihipStream_tbEUlT_E_NS1_11comp_targetILNS1_3genE5ELNS1_11target_archE942ELNS1_3gpuE9ELNS1_3repE0EEENS1_30default_config_static_selectorELNS0_4arch9wavefront6targetE1EEEvT1_
    .private_segment_fixed_size: 0
    .sgpr_count:     6
    .sgpr_spill_count: 0
    .symbol:         _ZN7rocprim17ROCPRIM_400000_NS6detail17trampoline_kernelINS0_14default_configENS1_25transform_config_selectorIiLb0EEEZNS1_14transform_implILb0ES3_S5_PiN6thrust23THRUST_200600_302600_NS10device_ptrIiEENS0_8identityIiEEEE10hipError_tT2_T3_mT4_P12ihipStream_tbEUlT_E_NS1_11comp_targetILNS1_3genE5ELNS1_11target_archE942ELNS1_3gpuE9ELNS1_3repE0EEENS1_30default_config_static_selectorELNS0_4arch9wavefront6targetE1EEEvT1_.kd
    .uniform_work_group_size: 1
    .uses_dynamic_stack: false
    .vgpr_count:     0
    .vgpr_spill_count: 0
    .wavefront_size: 64
  - .agpr_count:     0
    .args:
      - .offset:         0
        .size:           40
        .value_kind:     by_value
    .group_segment_fixed_size: 0
    .kernarg_segment_align: 8
    .kernarg_segment_size: 40
    .language:       OpenCL C
    .language_version:
      - 2
      - 0
    .max_flat_workgroup_size: 1024
    .name:           _ZN7rocprim17ROCPRIM_400000_NS6detail17trampoline_kernelINS0_14default_configENS1_25transform_config_selectorIiLb0EEEZNS1_14transform_implILb0ES3_S5_PiN6thrust23THRUST_200600_302600_NS10device_ptrIiEENS0_8identityIiEEEE10hipError_tT2_T3_mT4_P12ihipStream_tbEUlT_E_NS1_11comp_targetILNS1_3genE4ELNS1_11target_archE910ELNS1_3gpuE8ELNS1_3repE0EEENS1_30default_config_static_selectorELNS0_4arch9wavefront6targetE1EEEvT1_
    .private_segment_fixed_size: 0
    .sgpr_count:     6
    .sgpr_spill_count: 0
    .symbol:         _ZN7rocprim17ROCPRIM_400000_NS6detail17trampoline_kernelINS0_14default_configENS1_25transform_config_selectorIiLb0EEEZNS1_14transform_implILb0ES3_S5_PiN6thrust23THRUST_200600_302600_NS10device_ptrIiEENS0_8identityIiEEEE10hipError_tT2_T3_mT4_P12ihipStream_tbEUlT_E_NS1_11comp_targetILNS1_3genE4ELNS1_11target_archE910ELNS1_3gpuE8ELNS1_3repE0EEENS1_30default_config_static_selectorELNS0_4arch9wavefront6targetE1EEEvT1_.kd
    .uniform_work_group_size: 1
    .uses_dynamic_stack: false
    .vgpr_count:     0
    .vgpr_spill_count: 0
    .wavefront_size: 64
  - .agpr_count:     0
    .args:
      - .offset:         0
        .size:           40
        .value_kind:     by_value
    .group_segment_fixed_size: 0
    .kernarg_segment_align: 8
    .kernarg_segment_size: 40
    .language:       OpenCL C
    .language_version:
      - 2
      - 0
    .max_flat_workgroup_size: 128
    .name:           _ZN7rocprim17ROCPRIM_400000_NS6detail17trampoline_kernelINS0_14default_configENS1_25transform_config_selectorIiLb0EEEZNS1_14transform_implILb0ES3_S5_PiN6thrust23THRUST_200600_302600_NS10device_ptrIiEENS0_8identityIiEEEE10hipError_tT2_T3_mT4_P12ihipStream_tbEUlT_E_NS1_11comp_targetILNS1_3genE3ELNS1_11target_archE908ELNS1_3gpuE7ELNS1_3repE0EEENS1_30default_config_static_selectorELNS0_4arch9wavefront6targetE1EEEvT1_
    .private_segment_fixed_size: 0
    .sgpr_count:     6
    .sgpr_spill_count: 0
    .symbol:         _ZN7rocprim17ROCPRIM_400000_NS6detail17trampoline_kernelINS0_14default_configENS1_25transform_config_selectorIiLb0EEEZNS1_14transform_implILb0ES3_S5_PiN6thrust23THRUST_200600_302600_NS10device_ptrIiEENS0_8identityIiEEEE10hipError_tT2_T3_mT4_P12ihipStream_tbEUlT_E_NS1_11comp_targetILNS1_3genE3ELNS1_11target_archE908ELNS1_3gpuE7ELNS1_3repE0EEENS1_30default_config_static_selectorELNS0_4arch9wavefront6targetE1EEEvT1_.kd
    .uniform_work_group_size: 1
    .uses_dynamic_stack: false
    .vgpr_count:     0
    .vgpr_spill_count: 0
    .wavefront_size: 64
  - .agpr_count:     0
    .args:
      - .offset:         0
        .size:           40
        .value_kind:     by_value
    .group_segment_fixed_size: 0
    .kernarg_segment_align: 8
    .kernarg_segment_size: 40
    .language:       OpenCL C
    .language_version:
      - 2
      - 0
    .max_flat_workgroup_size: 1024
    .name:           _ZN7rocprim17ROCPRIM_400000_NS6detail17trampoline_kernelINS0_14default_configENS1_25transform_config_selectorIiLb0EEEZNS1_14transform_implILb0ES3_S5_PiN6thrust23THRUST_200600_302600_NS10device_ptrIiEENS0_8identityIiEEEE10hipError_tT2_T3_mT4_P12ihipStream_tbEUlT_E_NS1_11comp_targetILNS1_3genE2ELNS1_11target_archE906ELNS1_3gpuE6ELNS1_3repE0EEENS1_30default_config_static_selectorELNS0_4arch9wavefront6targetE1EEEvT1_
    .private_segment_fixed_size: 0
    .sgpr_count:     6
    .sgpr_spill_count: 0
    .symbol:         _ZN7rocprim17ROCPRIM_400000_NS6detail17trampoline_kernelINS0_14default_configENS1_25transform_config_selectorIiLb0EEEZNS1_14transform_implILb0ES3_S5_PiN6thrust23THRUST_200600_302600_NS10device_ptrIiEENS0_8identityIiEEEE10hipError_tT2_T3_mT4_P12ihipStream_tbEUlT_E_NS1_11comp_targetILNS1_3genE2ELNS1_11target_archE906ELNS1_3gpuE6ELNS1_3repE0EEENS1_30default_config_static_selectorELNS0_4arch9wavefront6targetE1EEEvT1_.kd
    .uniform_work_group_size: 1
    .uses_dynamic_stack: false
    .vgpr_count:     0
    .vgpr_spill_count: 0
    .wavefront_size: 64
  - .agpr_count:     0
    .args:
      - .offset:         0
        .size:           40
        .value_kind:     by_value
    .group_segment_fixed_size: 0
    .kernarg_segment_align: 8
    .kernarg_segment_size: 40
    .language:       OpenCL C
    .language_version:
      - 2
      - 0
    .max_flat_workgroup_size: 1024
    .name:           _ZN7rocprim17ROCPRIM_400000_NS6detail17trampoline_kernelINS0_14default_configENS1_25transform_config_selectorIiLb0EEEZNS1_14transform_implILb0ES3_S5_PiN6thrust23THRUST_200600_302600_NS10device_ptrIiEENS0_8identityIiEEEE10hipError_tT2_T3_mT4_P12ihipStream_tbEUlT_E_NS1_11comp_targetILNS1_3genE10ELNS1_11target_archE1201ELNS1_3gpuE5ELNS1_3repE0EEENS1_30default_config_static_selectorELNS0_4arch9wavefront6targetE1EEEvT1_
    .private_segment_fixed_size: 0
    .sgpr_count:     6
    .sgpr_spill_count: 0
    .symbol:         _ZN7rocprim17ROCPRIM_400000_NS6detail17trampoline_kernelINS0_14default_configENS1_25transform_config_selectorIiLb0EEEZNS1_14transform_implILb0ES3_S5_PiN6thrust23THRUST_200600_302600_NS10device_ptrIiEENS0_8identityIiEEEE10hipError_tT2_T3_mT4_P12ihipStream_tbEUlT_E_NS1_11comp_targetILNS1_3genE10ELNS1_11target_archE1201ELNS1_3gpuE5ELNS1_3repE0EEENS1_30default_config_static_selectorELNS0_4arch9wavefront6targetE1EEEvT1_.kd
    .uniform_work_group_size: 1
    .uses_dynamic_stack: false
    .vgpr_count:     0
    .vgpr_spill_count: 0
    .wavefront_size: 64
  - .agpr_count:     0
    .args:
      - .offset:         0
        .size:           40
        .value_kind:     by_value
    .group_segment_fixed_size: 0
    .kernarg_segment_align: 8
    .kernarg_segment_size: 40
    .language:       OpenCL C
    .language_version:
      - 2
      - 0
    .max_flat_workgroup_size: 512
    .name:           _ZN7rocprim17ROCPRIM_400000_NS6detail17trampoline_kernelINS0_14default_configENS1_25transform_config_selectorIiLb0EEEZNS1_14transform_implILb0ES3_S5_PiN6thrust23THRUST_200600_302600_NS10device_ptrIiEENS0_8identityIiEEEE10hipError_tT2_T3_mT4_P12ihipStream_tbEUlT_E_NS1_11comp_targetILNS1_3genE10ELNS1_11target_archE1200ELNS1_3gpuE4ELNS1_3repE0EEENS1_30default_config_static_selectorELNS0_4arch9wavefront6targetE1EEEvT1_
    .private_segment_fixed_size: 0
    .sgpr_count:     6
    .sgpr_spill_count: 0
    .symbol:         _ZN7rocprim17ROCPRIM_400000_NS6detail17trampoline_kernelINS0_14default_configENS1_25transform_config_selectorIiLb0EEEZNS1_14transform_implILb0ES3_S5_PiN6thrust23THRUST_200600_302600_NS10device_ptrIiEENS0_8identityIiEEEE10hipError_tT2_T3_mT4_P12ihipStream_tbEUlT_E_NS1_11comp_targetILNS1_3genE10ELNS1_11target_archE1200ELNS1_3gpuE4ELNS1_3repE0EEENS1_30default_config_static_selectorELNS0_4arch9wavefront6targetE1EEEvT1_.kd
    .uniform_work_group_size: 1
    .uses_dynamic_stack: false
    .vgpr_count:     0
    .vgpr_spill_count: 0
    .wavefront_size: 64
  - .agpr_count:     0
    .args:
      - .offset:         0
        .size:           40
        .value_kind:     by_value
    .group_segment_fixed_size: 0
    .kernarg_segment_align: 8
    .kernarg_segment_size: 40
    .language:       OpenCL C
    .language_version:
      - 2
      - 0
    .max_flat_workgroup_size: 64
    .name:           _ZN7rocprim17ROCPRIM_400000_NS6detail17trampoline_kernelINS0_14default_configENS1_25transform_config_selectorIiLb0EEEZNS1_14transform_implILb0ES3_S5_PiN6thrust23THRUST_200600_302600_NS10device_ptrIiEENS0_8identityIiEEEE10hipError_tT2_T3_mT4_P12ihipStream_tbEUlT_E_NS1_11comp_targetILNS1_3genE9ELNS1_11target_archE1100ELNS1_3gpuE3ELNS1_3repE0EEENS1_30default_config_static_selectorELNS0_4arch9wavefront6targetE1EEEvT1_
    .private_segment_fixed_size: 0
    .sgpr_count:     6
    .sgpr_spill_count: 0
    .symbol:         _ZN7rocprim17ROCPRIM_400000_NS6detail17trampoline_kernelINS0_14default_configENS1_25transform_config_selectorIiLb0EEEZNS1_14transform_implILb0ES3_S5_PiN6thrust23THRUST_200600_302600_NS10device_ptrIiEENS0_8identityIiEEEE10hipError_tT2_T3_mT4_P12ihipStream_tbEUlT_E_NS1_11comp_targetILNS1_3genE9ELNS1_11target_archE1100ELNS1_3gpuE3ELNS1_3repE0EEENS1_30default_config_static_selectorELNS0_4arch9wavefront6targetE1EEEvT1_.kd
    .uniform_work_group_size: 1
    .uses_dynamic_stack: false
    .vgpr_count:     0
    .vgpr_spill_count: 0
    .wavefront_size: 64
  - .agpr_count:     0
    .args:
      - .offset:         0
        .size:           40
        .value_kind:     by_value
    .group_segment_fixed_size: 0
    .kernarg_segment_align: 8
    .kernarg_segment_size: 40
    .language:       OpenCL C
    .language_version:
      - 2
      - 0
    .max_flat_workgroup_size: 256
    .name:           _ZN7rocprim17ROCPRIM_400000_NS6detail17trampoline_kernelINS0_14default_configENS1_25transform_config_selectorIiLb0EEEZNS1_14transform_implILb0ES3_S5_PiN6thrust23THRUST_200600_302600_NS10device_ptrIiEENS0_8identityIiEEEE10hipError_tT2_T3_mT4_P12ihipStream_tbEUlT_E_NS1_11comp_targetILNS1_3genE8ELNS1_11target_archE1030ELNS1_3gpuE2ELNS1_3repE0EEENS1_30default_config_static_selectorELNS0_4arch9wavefront6targetE1EEEvT1_
    .private_segment_fixed_size: 0
    .sgpr_count:     6
    .sgpr_spill_count: 0
    .symbol:         _ZN7rocprim17ROCPRIM_400000_NS6detail17trampoline_kernelINS0_14default_configENS1_25transform_config_selectorIiLb0EEEZNS1_14transform_implILb0ES3_S5_PiN6thrust23THRUST_200600_302600_NS10device_ptrIiEENS0_8identityIiEEEE10hipError_tT2_T3_mT4_P12ihipStream_tbEUlT_E_NS1_11comp_targetILNS1_3genE8ELNS1_11target_archE1030ELNS1_3gpuE2ELNS1_3repE0EEENS1_30default_config_static_selectorELNS0_4arch9wavefront6targetE1EEEvT1_.kd
    .uniform_work_group_size: 1
    .uses_dynamic_stack: false
    .vgpr_count:     0
    .vgpr_spill_count: 0
    .wavefront_size: 64
  - .agpr_count:     0
    .args:
      - .offset:         0
        .size:           40
        .value_kind:     by_value
      - .offset:         40
        .size:           4
        .value_kind:     hidden_block_count_x
      - .offset:         44
        .size:           4
        .value_kind:     hidden_block_count_y
      - .offset:         48
        .size:           4
        .value_kind:     hidden_block_count_z
      - .offset:         52
        .size:           2
        .value_kind:     hidden_group_size_x
      - .offset:         54
        .size:           2
        .value_kind:     hidden_group_size_y
      - .offset:         56
        .size:           2
        .value_kind:     hidden_group_size_z
      - .offset:         58
        .size:           2
        .value_kind:     hidden_remainder_x
      - .offset:         60
        .size:           2
        .value_kind:     hidden_remainder_y
      - .offset:         62
        .size:           2
        .value_kind:     hidden_remainder_z
      - .offset:         80
        .size:           8
        .value_kind:     hidden_global_offset_x
      - .offset:         88
        .size:           8
        .value_kind:     hidden_global_offset_y
      - .offset:         96
        .size:           8
        .value_kind:     hidden_global_offset_z
      - .offset:         104
        .size:           2
        .value_kind:     hidden_grid_dims
    .group_segment_fixed_size: 0
    .kernarg_segment_align: 8
    .kernarg_segment_size: 296
    .language:       OpenCL C
    .language_version:
      - 2
      - 0
    .max_flat_workgroup_size: 128
    .name:           _ZN7rocprim17ROCPRIM_400000_NS6detail17trampoline_kernelINS0_14default_configENS1_25transform_config_selectorIsLb0EEEZNS1_14transform_implILb0ES3_S5_PsN6thrust23THRUST_200600_302600_NS10device_ptrIsEENS0_8identityIsEEEE10hipError_tT2_T3_mT4_P12ihipStream_tbEUlT_E_NS1_11comp_targetILNS1_3genE0ELNS1_11target_archE4294967295ELNS1_3gpuE0ELNS1_3repE0EEENS1_30default_config_static_selectorELNS0_4arch9wavefront6targetE1EEEvT1_
    .private_segment_fixed_size: 0
    .sgpr_count:     26
    .sgpr_spill_count: 0
    .symbol:         _ZN7rocprim17ROCPRIM_400000_NS6detail17trampoline_kernelINS0_14default_configENS1_25transform_config_selectorIsLb0EEEZNS1_14transform_implILb0ES3_S5_PsN6thrust23THRUST_200600_302600_NS10device_ptrIsEENS0_8identityIsEEEE10hipError_tT2_T3_mT4_P12ihipStream_tbEUlT_E_NS1_11comp_targetILNS1_3genE0ELNS1_11target_archE4294967295ELNS1_3gpuE0ELNS1_3repE0EEENS1_30default_config_static_selectorELNS0_4arch9wavefront6targetE1EEEvT1_.kd
    .uniform_work_group_size: 1
    .uses_dynamic_stack: false
    .vgpr_count:     9
    .vgpr_spill_count: 0
    .wavefront_size: 64
  - .agpr_count:     0
    .args:
      - .offset:         0
        .size:           40
        .value_kind:     by_value
    .group_segment_fixed_size: 0
    .kernarg_segment_align: 8
    .kernarg_segment_size: 40
    .language:       OpenCL C
    .language_version:
      - 2
      - 0
    .max_flat_workgroup_size: 256
    .name:           _ZN7rocprim17ROCPRIM_400000_NS6detail17trampoline_kernelINS0_14default_configENS1_25transform_config_selectorIsLb0EEEZNS1_14transform_implILb0ES3_S5_PsN6thrust23THRUST_200600_302600_NS10device_ptrIsEENS0_8identityIsEEEE10hipError_tT2_T3_mT4_P12ihipStream_tbEUlT_E_NS1_11comp_targetILNS1_3genE5ELNS1_11target_archE942ELNS1_3gpuE9ELNS1_3repE0EEENS1_30default_config_static_selectorELNS0_4arch9wavefront6targetE1EEEvT1_
    .private_segment_fixed_size: 0
    .sgpr_count:     6
    .sgpr_spill_count: 0
    .symbol:         _ZN7rocprim17ROCPRIM_400000_NS6detail17trampoline_kernelINS0_14default_configENS1_25transform_config_selectorIsLb0EEEZNS1_14transform_implILb0ES3_S5_PsN6thrust23THRUST_200600_302600_NS10device_ptrIsEENS0_8identityIsEEEE10hipError_tT2_T3_mT4_P12ihipStream_tbEUlT_E_NS1_11comp_targetILNS1_3genE5ELNS1_11target_archE942ELNS1_3gpuE9ELNS1_3repE0EEENS1_30default_config_static_selectorELNS0_4arch9wavefront6targetE1EEEvT1_.kd
    .uniform_work_group_size: 1
    .uses_dynamic_stack: false
    .vgpr_count:     0
    .vgpr_spill_count: 0
    .wavefront_size: 64
  - .agpr_count:     0
    .args:
      - .offset:         0
        .size:           40
        .value_kind:     by_value
    .group_segment_fixed_size: 0
    .kernarg_segment_align: 8
    .kernarg_segment_size: 40
    .language:       OpenCL C
    .language_version:
      - 2
      - 0
    .max_flat_workgroup_size: 64
    .name:           _ZN7rocprim17ROCPRIM_400000_NS6detail17trampoline_kernelINS0_14default_configENS1_25transform_config_selectorIsLb0EEEZNS1_14transform_implILb0ES3_S5_PsN6thrust23THRUST_200600_302600_NS10device_ptrIsEENS0_8identityIsEEEE10hipError_tT2_T3_mT4_P12ihipStream_tbEUlT_E_NS1_11comp_targetILNS1_3genE4ELNS1_11target_archE910ELNS1_3gpuE8ELNS1_3repE0EEENS1_30default_config_static_selectorELNS0_4arch9wavefront6targetE1EEEvT1_
    .private_segment_fixed_size: 0
    .sgpr_count:     6
    .sgpr_spill_count: 0
    .symbol:         _ZN7rocprim17ROCPRIM_400000_NS6detail17trampoline_kernelINS0_14default_configENS1_25transform_config_selectorIsLb0EEEZNS1_14transform_implILb0ES3_S5_PsN6thrust23THRUST_200600_302600_NS10device_ptrIsEENS0_8identityIsEEEE10hipError_tT2_T3_mT4_P12ihipStream_tbEUlT_E_NS1_11comp_targetILNS1_3genE4ELNS1_11target_archE910ELNS1_3gpuE8ELNS1_3repE0EEENS1_30default_config_static_selectorELNS0_4arch9wavefront6targetE1EEEvT1_.kd
    .uniform_work_group_size: 1
    .uses_dynamic_stack: false
    .vgpr_count:     0
    .vgpr_spill_count: 0
    .wavefront_size: 64
  - .agpr_count:     0
    .args:
      - .offset:         0
        .size:           40
        .value_kind:     by_value
    .group_segment_fixed_size: 0
    .kernarg_segment_align: 8
    .kernarg_segment_size: 40
    .language:       OpenCL C
    .language_version:
      - 2
      - 0
    .max_flat_workgroup_size: 128
    .name:           _ZN7rocprim17ROCPRIM_400000_NS6detail17trampoline_kernelINS0_14default_configENS1_25transform_config_selectorIsLb0EEEZNS1_14transform_implILb0ES3_S5_PsN6thrust23THRUST_200600_302600_NS10device_ptrIsEENS0_8identityIsEEEE10hipError_tT2_T3_mT4_P12ihipStream_tbEUlT_E_NS1_11comp_targetILNS1_3genE3ELNS1_11target_archE908ELNS1_3gpuE7ELNS1_3repE0EEENS1_30default_config_static_selectorELNS0_4arch9wavefront6targetE1EEEvT1_
    .private_segment_fixed_size: 0
    .sgpr_count:     6
    .sgpr_spill_count: 0
    .symbol:         _ZN7rocprim17ROCPRIM_400000_NS6detail17trampoline_kernelINS0_14default_configENS1_25transform_config_selectorIsLb0EEEZNS1_14transform_implILb0ES3_S5_PsN6thrust23THRUST_200600_302600_NS10device_ptrIsEENS0_8identityIsEEEE10hipError_tT2_T3_mT4_P12ihipStream_tbEUlT_E_NS1_11comp_targetILNS1_3genE3ELNS1_11target_archE908ELNS1_3gpuE7ELNS1_3repE0EEENS1_30default_config_static_selectorELNS0_4arch9wavefront6targetE1EEEvT1_.kd
    .uniform_work_group_size: 1
    .uses_dynamic_stack: false
    .vgpr_count:     0
    .vgpr_spill_count: 0
    .wavefront_size: 64
  - .agpr_count:     0
    .args:
      - .offset:         0
        .size:           40
        .value_kind:     by_value
    .group_segment_fixed_size: 0
    .kernarg_segment_align: 8
    .kernarg_segment_size: 40
    .language:       OpenCL C
    .language_version:
      - 2
      - 0
    .max_flat_workgroup_size: 512
    .name:           _ZN7rocprim17ROCPRIM_400000_NS6detail17trampoline_kernelINS0_14default_configENS1_25transform_config_selectorIsLb0EEEZNS1_14transform_implILb0ES3_S5_PsN6thrust23THRUST_200600_302600_NS10device_ptrIsEENS0_8identityIsEEEE10hipError_tT2_T3_mT4_P12ihipStream_tbEUlT_E_NS1_11comp_targetILNS1_3genE2ELNS1_11target_archE906ELNS1_3gpuE6ELNS1_3repE0EEENS1_30default_config_static_selectorELNS0_4arch9wavefront6targetE1EEEvT1_
    .private_segment_fixed_size: 0
    .sgpr_count:     6
    .sgpr_spill_count: 0
    .symbol:         _ZN7rocprim17ROCPRIM_400000_NS6detail17trampoline_kernelINS0_14default_configENS1_25transform_config_selectorIsLb0EEEZNS1_14transform_implILb0ES3_S5_PsN6thrust23THRUST_200600_302600_NS10device_ptrIsEENS0_8identityIsEEEE10hipError_tT2_T3_mT4_P12ihipStream_tbEUlT_E_NS1_11comp_targetILNS1_3genE2ELNS1_11target_archE906ELNS1_3gpuE6ELNS1_3repE0EEENS1_30default_config_static_selectorELNS0_4arch9wavefront6targetE1EEEvT1_.kd
    .uniform_work_group_size: 1
    .uses_dynamic_stack: false
    .vgpr_count:     0
    .vgpr_spill_count: 0
    .wavefront_size: 64
  - .agpr_count:     0
    .args:
      - .offset:         0
        .size:           40
        .value_kind:     by_value
    .group_segment_fixed_size: 0
    .kernarg_segment_align: 8
    .kernarg_segment_size: 40
    .language:       OpenCL C
    .language_version:
      - 2
      - 0
    .max_flat_workgroup_size: 1024
    .name:           _ZN7rocprim17ROCPRIM_400000_NS6detail17trampoline_kernelINS0_14default_configENS1_25transform_config_selectorIsLb0EEEZNS1_14transform_implILb0ES3_S5_PsN6thrust23THRUST_200600_302600_NS10device_ptrIsEENS0_8identityIsEEEE10hipError_tT2_T3_mT4_P12ihipStream_tbEUlT_E_NS1_11comp_targetILNS1_3genE10ELNS1_11target_archE1201ELNS1_3gpuE5ELNS1_3repE0EEENS1_30default_config_static_selectorELNS0_4arch9wavefront6targetE1EEEvT1_
    .private_segment_fixed_size: 0
    .sgpr_count:     6
    .sgpr_spill_count: 0
    .symbol:         _ZN7rocprim17ROCPRIM_400000_NS6detail17trampoline_kernelINS0_14default_configENS1_25transform_config_selectorIsLb0EEEZNS1_14transform_implILb0ES3_S5_PsN6thrust23THRUST_200600_302600_NS10device_ptrIsEENS0_8identityIsEEEE10hipError_tT2_T3_mT4_P12ihipStream_tbEUlT_E_NS1_11comp_targetILNS1_3genE10ELNS1_11target_archE1201ELNS1_3gpuE5ELNS1_3repE0EEENS1_30default_config_static_selectorELNS0_4arch9wavefront6targetE1EEEvT1_.kd
    .uniform_work_group_size: 1
    .uses_dynamic_stack: false
    .vgpr_count:     0
    .vgpr_spill_count: 0
    .wavefront_size: 64
  - .agpr_count:     0
    .args:
      - .offset:         0
        .size:           40
        .value_kind:     by_value
    .group_segment_fixed_size: 0
    .kernarg_segment_align: 8
    .kernarg_segment_size: 40
    .language:       OpenCL C
    .language_version:
      - 2
      - 0
    .max_flat_workgroup_size: 512
    .name:           _ZN7rocprim17ROCPRIM_400000_NS6detail17trampoline_kernelINS0_14default_configENS1_25transform_config_selectorIsLb0EEEZNS1_14transform_implILb0ES3_S5_PsN6thrust23THRUST_200600_302600_NS10device_ptrIsEENS0_8identityIsEEEE10hipError_tT2_T3_mT4_P12ihipStream_tbEUlT_E_NS1_11comp_targetILNS1_3genE10ELNS1_11target_archE1200ELNS1_3gpuE4ELNS1_3repE0EEENS1_30default_config_static_selectorELNS0_4arch9wavefront6targetE1EEEvT1_
    .private_segment_fixed_size: 0
    .sgpr_count:     6
    .sgpr_spill_count: 0
    .symbol:         _ZN7rocprim17ROCPRIM_400000_NS6detail17trampoline_kernelINS0_14default_configENS1_25transform_config_selectorIsLb0EEEZNS1_14transform_implILb0ES3_S5_PsN6thrust23THRUST_200600_302600_NS10device_ptrIsEENS0_8identityIsEEEE10hipError_tT2_T3_mT4_P12ihipStream_tbEUlT_E_NS1_11comp_targetILNS1_3genE10ELNS1_11target_archE1200ELNS1_3gpuE4ELNS1_3repE0EEENS1_30default_config_static_selectorELNS0_4arch9wavefront6targetE1EEEvT1_.kd
    .uniform_work_group_size: 1
    .uses_dynamic_stack: false
    .vgpr_count:     0
    .vgpr_spill_count: 0
    .wavefront_size: 64
  - .agpr_count:     0
    .args:
      - .offset:         0
        .size:           40
        .value_kind:     by_value
    .group_segment_fixed_size: 0
    .kernarg_segment_align: 8
    .kernarg_segment_size: 40
    .language:       OpenCL C
    .language_version:
      - 2
      - 0
    .max_flat_workgroup_size: 1024
    .name:           _ZN7rocprim17ROCPRIM_400000_NS6detail17trampoline_kernelINS0_14default_configENS1_25transform_config_selectorIsLb0EEEZNS1_14transform_implILb0ES3_S5_PsN6thrust23THRUST_200600_302600_NS10device_ptrIsEENS0_8identityIsEEEE10hipError_tT2_T3_mT4_P12ihipStream_tbEUlT_E_NS1_11comp_targetILNS1_3genE9ELNS1_11target_archE1100ELNS1_3gpuE3ELNS1_3repE0EEENS1_30default_config_static_selectorELNS0_4arch9wavefront6targetE1EEEvT1_
    .private_segment_fixed_size: 0
    .sgpr_count:     6
    .sgpr_spill_count: 0
    .symbol:         _ZN7rocprim17ROCPRIM_400000_NS6detail17trampoline_kernelINS0_14default_configENS1_25transform_config_selectorIsLb0EEEZNS1_14transform_implILb0ES3_S5_PsN6thrust23THRUST_200600_302600_NS10device_ptrIsEENS0_8identityIsEEEE10hipError_tT2_T3_mT4_P12ihipStream_tbEUlT_E_NS1_11comp_targetILNS1_3genE9ELNS1_11target_archE1100ELNS1_3gpuE3ELNS1_3repE0EEENS1_30default_config_static_selectorELNS0_4arch9wavefront6targetE1EEEvT1_.kd
    .uniform_work_group_size: 1
    .uses_dynamic_stack: false
    .vgpr_count:     0
    .vgpr_spill_count: 0
    .wavefront_size: 64
  - .agpr_count:     0
    .args:
      - .offset:         0
        .size:           40
        .value_kind:     by_value
    .group_segment_fixed_size: 0
    .kernarg_segment_align: 8
    .kernarg_segment_size: 40
    .language:       OpenCL C
    .language_version:
      - 2
      - 0
    .max_flat_workgroup_size: 1024
    .name:           _ZN7rocprim17ROCPRIM_400000_NS6detail17trampoline_kernelINS0_14default_configENS1_25transform_config_selectorIsLb0EEEZNS1_14transform_implILb0ES3_S5_PsN6thrust23THRUST_200600_302600_NS10device_ptrIsEENS0_8identityIsEEEE10hipError_tT2_T3_mT4_P12ihipStream_tbEUlT_E_NS1_11comp_targetILNS1_3genE8ELNS1_11target_archE1030ELNS1_3gpuE2ELNS1_3repE0EEENS1_30default_config_static_selectorELNS0_4arch9wavefront6targetE1EEEvT1_
    .private_segment_fixed_size: 0
    .sgpr_count:     6
    .sgpr_spill_count: 0
    .symbol:         _ZN7rocprim17ROCPRIM_400000_NS6detail17trampoline_kernelINS0_14default_configENS1_25transform_config_selectorIsLb0EEEZNS1_14transform_implILb0ES3_S5_PsN6thrust23THRUST_200600_302600_NS10device_ptrIsEENS0_8identityIsEEEE10hipError_tT2_T3_mT4_P12ihipStream_tbEUlT_E_NS1_11comp_targetILNS1_3genE8ELNS1_11target_archE1030ELNS1_3gpuE2ELNS1_3repE0EEENS1_30default_config_static_selectorELNS0_4arch9wavefront6targetE1EEEvT1_.kd
    .uniform_work_group_size: 1
    .uses_dynamic_stack: false
    .vgpr_count:     0
    .vgpr_spill_count: 0
    .wavefront_size: 64
  - .agpr_count:     0
    .args:
      - .offset:         0
        .size:           40
        .value_kind:     by_value
    .group_segment_fixed_size: 0
    .kernarg_segment_align: 8
    .kernarg_segment_size: 40
    .language:       OpenCL C
    .language_version:
      - 2
      - 0
    .max_flat_workgroup_size: 128
    .name:           _ZN7rocprim17ROCPRIM_400000_NS6detail17trampoline_kernelINS0_14default_configENS1_38merge_sort_block_merge_config_selectorIisEEZZNS1_27merge_sort_block_merge_implIS3_N6thrust23THRUST_200600_302600_NS10device_ptrIiEENS9_IsEEjNS1_19radix_merge_compareILb0ELb1EiNS0_19identity_decomposerEEEEE10hipError_tT0_T1_T2_jT3_P12ihipStream_tbPNSt15iterator_traitsISG_E10value_typeEPNSM_ISH_E10value_typeEPSI_NS1_7vsmem_tEENKUlT_SG_SH_SI_E_clIPiSA_PsSB_EESF_SV_SG_SH_SI_EUlSV_E_NS1_11comp_targetILNS1_3genE0ELNS1_11target_archE4294967295ELNS1_3gpuE0ELNS1_3repE0EEENS1_48merge_mergepath_partition_config_static_selectorELNS0_4arch9wavefront6targetE1EEEvSH_
    .private_segment_fixed_size: 0
    .sgpr_count:     16
    .sgpr_spill_count: 0
    .symbol:         _ZN7rocprim17ROCPRIM_400000_NS6detail17trampoline_kernelINS0_14default_configENS1_38merge_sort_block_merge_config_selectorIisEEZZNS1_27merge_sort_block_merge_implIS3_N6thrust23THRUST_200600_302600_NS10device_ptrIiEENS9_IsEEjNS1_19radix_merge_compareILb0ELb1EiNS0_19identity_decomposerEEEEE10hipError_tT0_T1_T2_jT3_P12ihipStream_tbPNSt15iterator_traitsISG_E10value_typeEPNSM_ISH_E10value_typeEPSI_NS1_7vsmem_tEENKUlT_SG_SH_SI_E_clIPiSA_PsSB_EESF_SV_SG_SH_SI_EUlSV_E_NS1_11comp_targetILNS1_3genE0ELNS1_11target_archE4294967295ELNS1_3gpuE0ELNS1_3repE0EEENS1_48merge_mergepath_partition_config_static_selectorELNS0_4arch9wavefront6targetE1EEEvSH_.kd
    .uniform_work_group_size: 1
    .uses_dynamic_stack: false
    .vgpr_count:     17
    .vgpr_spill_count: 0
    .wavefront_size: 64
  - .agpr_count:     0
    .args:
      - .offset:         0
        .size:           40
        .value_kind:     by_value
    .group_segment_fixed_size: 0
    .kernarg_segment_align: 8
    .kernarg_segment_size: 40
    .language:       OpenCL C
    .language_version:
      - 2
      - 0
    .max_flat_workgroup_size: 128
    .name:           _ZN7rocprim17ROCPRIM_400000_NS6detail17trampoline_kernelINS0_14default_configENS1_38merge_sort_block_merge_config_selectorIisEEZZNS1_27merge_sort_block_merge_implIS3_N6thrust23THRUST_200600_302600_NS10device_ptrIiEENS9_IsEEjNS1_19radix_merge_compareILb0ELb1EiNS0_19identity_decomposerEEEEE10hipError_tT0_T1_T2_jT3_P12ihipStream_tbPNSt15iterator_traitsISG_E10value_typeEPNSM_ISH_E10value_typeEPSI_NS1_7vsmem_tEENKUlT_SG_SH_SI_E_clIPiSA_PsSB_EESF_SV_SG_SH_SI_EUlSV_E_NS1_11comp_targetILNS1_3genE10ELNS1_11target_archE1201ELNS1_3gpuE5ELNS1_3repE0EEENS1_48merge_mergepath_partition_config_static_selectorELNS0_4arch9wavefront6targetE1EEEvSH_
    .private_segment_fixed_size: 0
    .sgpr_count:     6
    .sgpr_spill_count: 0
    .symbol:         _ZN7rocprim17ROCPRIM_400000_NS6detail17trampoline_kernelINS0_14default_configENS1_38merge_sort_block_merge_config_selectorIisEEZZNS1_27merge_sort_block_merge_implIS3_N6thrust23THRUST_200600_302600_NS10device_ptrIiEENS9_IsEEjNS1_19radix_merge_compareILb0ELb1EiNS0_19identity_decomposerEEEEE10hipError_tT0_T1_T2_jT3_P12ihipStream_tbPNSt15iterator_traitsISG_E10value_typeEPNSM_ISH_E10value_typeEPSI_NS1_7vsmem_tEENKUlT_SG_SH_SI_E_clIPiSA_PsSB_EESF_SV_SG_SH_SI_EUlSV_E_NS1_11comp_targetILNS1_3genE10ELNS1_11target_archE1201ELNS1_3gpuE5ELNS1_3repE0EEENS1_48merge_mergepath_partition_config_static_selectorELNS0_4arch9wavefront6targetE1EEEvSH_.kd
    .uniform_work_group_size: 1
    .uses_dynamic_stack: false
    .vgpr_count:     0
    .vgpr_spill_count: 0
    .wavefront_size: 64
  - .agpr_count:     0
    .args:
      - .offset:         0
        .size:           40
        .value_kind:     by_value
    .group_segment_fixed_size: 0
    .kernarg_segment_align: 8
    .kernarg_segment_size: 40
    .language:       OpenCL C
    .language_version:
      - 2
      - 0
    .max_flat_workgroup_size: 128
    .name:           _ZN7rocprim17ROCPRIM_400000_NS6detail17trampoline_kernelINS0_14default_configENS1_38merge_sort_block_merge_config_selectorIisEEZZNS1_27merge_sort_block_merge_implIS3_N6thrust23THRUST_200600_302600_NS10device_ptrIiEENS9_IsEEjNS1_19radix_merge_compareILb0ELb1EiNS0_19identity_decomposerEEEEE10hipError_tT0_T1_T2_jT3_P12ihipStream_tbPNSt15iterator_traitsISG_E10value_typeEPNSM_ISH_E10value_typeEPSI_NS1_7vsmem_tEENKUlT_SG_SH_SI_E_clIPiSA_PsSB_EESF_SV_SG_SH_SI_EUlSV_E_NS1_11comp_targetILNS1_3genE5ELNS1_11target_archE942ELNS1_3gpuE9ELNS1_3repE0EEENS1_48merge_mergepath_partition_config_static_selectorELNS0_4arch9wavefront6targetE1EEEvSH_
    .private_segment_fixed_size: 0
    .sgpr_count:     6
    .sgpr_spill_count: 0
    .symbol:         _ZN7rocprim17ROCPRIM_400000_NS6detail17trampoline_kernelINS0_14default_configENS1_38merge_sort_block_merge_config_selectorIisEEZZNS1_27merge_sort_block_merge_implIS3_N6thrust23THRUST_200600_302600_NS10device_ptrIiEENS9_IsEEjNS1_19radix_merge_compareILb0ELb1EiNS0_19identity_decomposerEEEEE10hipError_tT0_T1_T2_jT3_P12ihipStream_tbPNSt15iterator_traitsISG_E10value_typeEPNSM_ISH_E10value_typeEPSI_NS1_7vsmem_tEENKUlT_SG_SH_SI_E_clIPiSA_PsSB_EESF_SV_SG_SH_SI_EUlSV_E_NS1_11comp_targetILNS1_3genE5ELNS1_11target_archE942ELNS1_3gpuE9ELNS1_3repE0EEENS1_48merge_mergepath_partition_config_static_selectorELNS0_4arch9wavefront6targetE1EEEvSH_.kd
    .uniform_work_group_size: 1
    .uses_dynamic_stack: false
    .vgpr_count:     0
    .vgpr_spill_count: 0
    .wavefront_size: 64
  - .agpr_count:     0
    .args:
      - .offset:         0
        .size:           40
        .value_kind:     by_value
    .group_segment_fixed_size: 0
    .kernarg_segment_align: 8
    .kernarg_segment_size: 40
    .language:       OpenCL C
    .language_version:
      - 2
      - 0
    .max_flat_workgroup_size: 128
    .name:           _ZN7rocprim17ROCPRIM_400000_NS6detail17trampoline_kernelINS0_14default_configENS1_38merge_sort_block_merge_config_selectorIisEEZZNS1_27merge_sort_block_merge_implIS3_N6thrust23THRUST_200600_302600_NS10device_ptrIiEENS9_IsEEjNS1_19radix_merge_compareILb0ELb1EiNS0_19identity_decomposerEEEEE10hipError_tT0_T1_T2_jT3_P12ihipStream_tbPNSt15iterator_traitsISG_E10value_typeEPNSM_ISH_E10value_typeEPSI_NS1_7vsmem_tEENKUlT_SG_SH_SI_E_clIPiSA_PsSB_EESF_SV_SG_SH_SI_EUlSV_E_NS1_11comp_targetILNS1_3genE4ELNS1_11target_archE910ELNS1_3gpuE8ELNS1_3repE0EEENS1_48merge_mergepath_partition_config_static_selectorELNS0_4arch9wavefront6targetE1EEEvSH_
    .private_segment_fixed_size: 0
    .sgpr_count:     6
    .sgpr_spill_count: 0
    .symbol:         _ZN7rocprim17ROCPRIM_400000_NS6detail17trampoline_kernelINS0_14default_configENS1_38merge_sort_block_merge_config_selectorIisEEZZNS1_27merge_sort_block_merge_implIS3_N6thrust23THRUST_200600_302600_NS10device_ptrIiEENS9_IsEEjNS1_19radix_merge_compareILb0ELb1EiNS0_19identity_decomposerEEEEE10hipError_tT0_T1_T2_jT3_P12ihipStream_tbPNSt15iterator_traitsISG_E10value_typeEPNSM_ISH_E10value_typeEPSI_NS1_7vsmem_tEENKUlT_SG_SH_SI_E_clIPiSA_PsSB_EESF_SV_SG_SH_SI_EUlSV_E_NS1_11comp_targetILNS1_3genE4ELNS1_11target_archE910ELNS1_3gpuE8ELNS1_3repE0EEENS1_48merge_mergepath_partition_config_static_selectorELNS0_4arch9wavefront6targetE1EEEvSH_.kd
    .uniform_work_group_size: 1
    .uses_dynamic_stack: false
    .vgpr_count:     0
    .vgpr_spill_count: 0
    .wavefront_size: 64
  - .agpr_count:     0
    .args:
      - .offset:         0
        .size:           40
        .value_kind:     by_value
    .group_segment_fixed_size: 0
    .kernarg_segment_align: 8
    .kernarg_segment_size: 40
    .language:       OpenCL C
    .language_version:
      - 2
      - 0
    .max_flat_workgroup_size: 128
    .name:           _ZN7rocprim17ROCPRIM_400000_NS6detail17trampoline_kernelINS0_14default_configENS1_38merge_sort_block_merge_config_selectorIisEEZZNS1_27merge_sort_block_merge_implIS3_N6thrust23THRUST_200600_302600_NS10device_ptrIiEENS9_IsEEjNS1_19radix_merge_compareILb0ELb1EiNS0_19identity_decomposerEEEEE10hipError_tT0_T1_T2_jT3_P12ihipStream_tbPNSt15iterator_traitsISG_E10value_typeEPNSM_ISH_E10value_typeEPSI_NS1_7vsmem_tEENKUlT_SG_SH_SI_E_clIPiSA_PsSB_EESF_SV_SG_SH_SI_EUlSV_E_NS1_11comp_targetILNS1_3genE3ELNS1_11target_archE908ELNS1_3gpuE7ELNS1_3repE0EEENS1_48merge_mergepath_partition_config_static_selectorELNS0_4arch9wavefront6targetE1EEEvSH_
    .private_segment_fixed_size: 0
    .sgpr_count:     6
    .sgpr_spill_count: 0
    .symbol:         _ZN7rocprim17ROCPRIM_400000_NS6detail17trampoline_kernelINS0_14default_configENS1_38merge_sort_block_merge_config_selectorIisEEZZNS1_27merge_sort_block_merge_implIS3_N6thrust23THRUST_200600_302600_NS10device_ptrIiEENS9_IsEEjNS1_19radix_merge_compareILb0ELb1EiNS0_19identity_decomposerEEEEE10hipError_tT0_T1_T2_jT3_P12ihipStream_tbPNSt15iterator_traitsISG_E10value_typeEPNSM_ISH_E10value_typeEPSI_NS1_7vsmem_tEENKUlT_SG_SH_SI_E_clIPiSA_PsSB_EESF_SV_SG_SH_SI_EUlSV_E_NS1_11comp_targetILNS1_3genE3ELNS1_11target_archE908ELNS1_3gpuE7ELNS1_3repE0EEENS1_48merge_mergepath_partition_config_static_selectorELNS0_4arch9wavefront6targetE1EEEvSH_.kd
    .uniform_work_group_size: 1
    .uses_dynamic_stack: false
    .vgpr_count:     0
    .vgpr_spill_count: 0
    .wavefront_size: 64
  - .agpr_count:     0
    .args:
      - .offset:         0
        .size:           40
        .value_kind:     by_value
    .group_segment_fixed_size: 0
    .kernarg_segment_align: 8
    .kernarg_segment_size: 40
    .language:       OpenCL C
    .language_version:
      - 2
      - 0
    .max_flat_workgroup_size: 128
    .name:           _ZN7rocprim17ROCPRIM_400000_NS6detail17trampoline_kernelINS0_14default_configENS1_38merge_sort_block_merge_config_selectorIisEEZZNS1_27merge_sort_block_merge_implIS3_N6thrust23THRUST_200600_302600_NS10device_ptrIiEENS9_IsEEjNS1_19radix_merge_compareILb0ELb1EiNS0_19identity_decomposerEEEEE10hipError_tT0_T1_T2_jT3_P12ihipStream_tbPNSt15iterator_traitsISG_E10value_typeEPNSM_ISH_E10value_typeEPSI_NS1_7vsmem_tEENKUlT_SG_SH_SI_E_clIPiSA_PsSB_EESF_SV_SG_SH_SI_EUlSV_E_NS1_11comp_targetILNS1_3genE2ELNS1_11target_archE906ELNS1_3gpuE6ELNS1_3repE0EEENS1_48merge_mergepath_partition_config_static_selectorELNS0_4arch9wavefront6targetE1EEEvSH_
    .private_segment_fixed_size: 0
    .sgpr_count:     6
    .sgpr_spill_count: 0
    .symbol:         _ZN7rocprim17ROCPRIM_400000_NS6detail17trampoline_kernelINS0_14default_configENS1_38merge_sort_block_merge_config_selectorIisEEZZNS1_27merge_sort_block_merge_implIS3_N6thrust23THRUST_200600_302600_NS10device_ptrIiEENS9_IsEEjNS1_19radix_merge_compareILb0ELb1EiNS0_19identity_decomposerEEEEE10hipError_tT0_T1_T2_jT3_P12ihipStream_tbPNSt15iterator_traitsISG_E10value_typeEPNSM_ISH_E10value_typeEPSI_NS1_7vsmem_tEENKUlT_SG_SH_SI_E_clIPiSA_PsSB_EESF_SV_SG_SH_SI_EUlSV_E_NS1_11comp_targetILNS1_3genE2ELNS1_11target_archE906ELNS1_3gpuE6ELNS1_3repE0EEENS1_48merge_mergepath_partition_config_static_selectorELNS0_4arch9wavefront6targetE1EEEvSH_.kd
    .uniform_work_group_size: 1
    .uses_dynamic_stack: false
    .vgpr_count:     0
    .vgpr_spill_count: 0
    .wavefront_size: 64
  - .agpr_count:     0
    .args:
      - .offset:         0
        .size:           40
        .value_kind:     by_value
    .group_segment_fixed_size: 0
    .kernarg_segment_align: 8
    .kernarg_segment_size: 40
    .language:       OpenCL C
    .language_version:
      - 2
      - 0
    .max_flat_workgroup_size: 128
    .name:           _ZN7rocprim17ROCPRIM_400000_NS6detail17trampoline_kernelINS0_14default_configENS1_38merge_sort_block_merge_config_selectorIisEEZZNS1_27merge_sort_block_merge_implIS3_N6thrust23THRUST_200600_302600_NS10device_ptrIiEENS9_IsEEjNS1_19radix_merge_compareILb0ELb1EiNS0_19identity_decomposerEEEEE10hipError_tT0_T1_T2_jT3_P12ihipStream_tbPNSt15iterator_traitsISG_E10value_typeEPNSM_ISH_E10value_typeEPSI_NS1_7vsmem_tEENKUlT_SG_SH_SI_E_clIPiSA_PsSB_EESF_SV_SG_SH_SI_EUlSV_E_NS1_11comp_targetILNS1_3genE9ELNS1_11target_archE1100ELNS1_3gpuE3ELNS1_3repE0EEENS1_48merge_mergepath_partition_config_static_selectorELNS0_4arch9wavefront6targetE1EEEvSH_
    .private_segment_fixed_size: 0
    .sgpr_count:     6
    .sgpr_spill_count: 0
    .symbol:         _ZN7rocprim17ROCPRIM_400000_NS6detail17trampoline_kernelINS0_14default_configENS1_38merge_sort_block_merge_config_selectorIisEEZZNS1_27merge_sort_block_merge_implIS3_N6thrust23THRUST_200600_302600_NS10device_ptrIiEENS9_IsEEjNS1_19radix_merge_compareILb0ELb1EiNS0_19identity_decomposerEEEEE10hipError_tT0_T1_T2_jT3_P12ihipStream_tbPNSt15iterator_traitsISG_E10value_typeEPNSM_ISH_E10value_typeEPSI_NS1_7vsmem_tEENKUlT_SG_SH_SI_E_clIPiSA_PsSB_EESF_SV_SG_SH_SI_EUlSV_E_NS1_11comp_targetILNS1_3genE9ELNS1_11target_archE1100ELNS1_3gpuE3ELNS1_3repE0EEENS1_48merge_mergepath_partition_config_static_selectorELNS0_4arch9wavefront6targetE1EEEvSH_.kd
    .uniform_work_group_size: 1
    .uses_dynamic_stack: false
    .vgpr_count:     0
    .vgpr_spill_count: 0
    .wavefront_size: 64
  - .agpr_count:     0
    .args:
      - .offset:         0
        .size:           40
        .value_kind:     by_value
    .group_segment_fixed_size: 0
    .kernarg_segment_align: 8
    .kernarg_segment_size: 40
    .language:       OpenCL C
    .language_version:
      - 2
      - 0
    .max_flat_workgroup_size: 128
    .name:           _ZN7rocprim17ROCPRIM_400000_NS6detail17trampoline_kernelINS0_14default_configENS1_38merge_sort_block_merge_config_selectorIisEEZZNS1_27merge_sort_block_merge_implIS3_N6thrust23THRUST_200600_302600_NS10device_ptrIiEENS9_IsEEjNS1_19radix_merge_compareILb0ELb1EiNS0_19identity_decomposerEEEEE10hipError_tT0_T1_T2_jT3_P12ihipStream_tbPNSt15iterator_traitsISG_E10value_typeEPNSM_ISH_E10value_typeEPSI_NS1_7vsmem_tEENKUlT_SG_SH_SI_E_clIPiSA_PsSB_EESF_SV_SG_SH_SI_EUlSV_E_NS1_11comp_targetILNS1_3genE8ELNS1_11target_archE1030ELNS1_3gpuE2ELNS1_3repE0EEENS1_48merge_mergepath_partition_config_static_selectorELNS0_4arch9wavefront6targetE1EEEvSH_
    .private_segment_fixed_size: 0
    .sgpr_count:     6
    .sgpr_spill_count: 0
    .symbol:         _ZN7rocprim17ROCPRIM_400000_NS6detail17trampoline_kernelINS0_14default_configENS1_38merge_sort_block_merge_config_selectorIisEEZZNS1_27merge_sort_block_merge_implIS3_N6thrust23THRUST_200600_302600_NS10device_ptrIiEENS9_IsEEjNS1_19radix_merge_compareILb0ELb1EiNS0_19identity_decomposerEEEEE10hipError_tT0_T1_T2_jT3_P12ihipStream_tbPNSt15iterator_traitsISG_E10value_typeEPNSM_ISH_E10value_typeEPSI_NS1_7vsmem_tEENKUlT_SG_SH_SI_E_clIPiSA_PsSB_EESF_SV_SG_SH_SI_EUlSV_E_NS1_11comp_targetILNS1_3genE8ELNS1_11target_archE1030ELNS1_3gpuE2ELNS1_3repE0EEENS1_48merge_mergepath_partition_config_static_selectorELNS0_4arch9wavefront6targetE1EEEvSH_.kd
    .uniform_work_group_size: 1
    .uses_dynamic_stack: false
    .vgpr_count:     0
    .vgpr_spill_count: 0
    .wavefront_size: 64
  - .agpr_count:     0
    .args:
      - .offset:         0
        .size:           64
        .value_kind:     by_value
      - .offset:         64
        .size:           4
        .value_kind:     hidden_block_count_x
      - .offset:         68
        .size:           4
        .value_kind:     hidden_block_count_y
      - .offset:         72
        .size:           4
        .value_kind:     hidden_block_count_z
      - .offset:         76
        .size:           2
        .value_kind:     hidden_group_size_x
      - .offset:         78
        .size:           2
        .value_kind:     hidden_group_size_y
      - .offset:         80
        .size:           2
        .value_kind:     hidden_group_size_z
      - .offset:         82
        .size:           2
        .value_kind:     hidden_remainder_x
      - .offset:         84
        .size:           2
        .value_kind:     hidden_remainder_y
      - .offset:         86
        .size:           2
        .value_kind:     hidden_remainder_z
      - .offset:         104
        .size:           8
        .value_kind:     hidden_global_offset_x
      - .offset:         112
        .size:           8
        .value_kind:     hidden_global_offset_y
      - .offset:         120
        .size:           8
        .value_kind:     hidden_global_offset_z
      - .offset:         128
        .size:           2
        .value_kind:     hidden_grid_dims
    .group_segment_fixed_size: 4224
    .kernarg_segment_align: 8
    .kernarg_segment_size: 320
    .language:       OpenCL C
    .language_version:
      - 2
      - 0
    .max_flat_workgroup_size: 256
    .name:           _ZN7rocprim17ROCPRIM_400000_NS6detail17trampoline_kernelINS0_14default_configENS1_38merge_sort_block_merge_config_selectorIisEEZZNS1_27merge_sort_block_merge_implIS3_N6thrust23THRUST_200600_302600_NS10device_ptrIiEENS9_IsEEjNS1_19radix_merge_compareILb0ELb1EiNS0_19identity_decomposerEEEEE10hipError_tT0_T1_T2_jT3_P12ihipStream_tbPNSt15iterator_traitsISG_E10value_typeEPNSM_ISH_E10value_typeEPSI_NS1_7vsmem_tEENKUlT_SG_SH_SI_E_clIPiSA_PsSB_EESF_SV_SG_SH_SI_EUlSV_E0_NS1_11comp_targetILNS1_3genE0ELNS1_11target_archE4294967295ELNS1_3gpuE0ELNS1_3repE0EEENS1_38merge_mergepath_config_static_selectorELNS0_4arch9wavefront6targetE1EEEvSH_
    .private_segment_fixed_size: 0
    .sgpr_count:     37
    .sgpr_spill_count: 0
    .symbol:         _ZN7rocprim17ROCPRIM_400000_NS6detail17trampoline_kernelINS0_14default_configENS1_38merge_sort_block_merge_config_selectorIisEEZZNS1_27merge_sort_block_merge_implIS3_N6thrust23THRUST_200600_302600_NS10device_ptrIiEENS9_IsEEjNS1_19radix_merge_compareILb0ELb1EiNS0_19identity_decomposerEEEEE10hipError_tT0_T1_T2_jT3_P12ihipStream_tbPNSt15iterator_traitsISG_E10value_typeEPNSM_ISH_E10value_typeEPSI_NS1_7vsmem_tEENKUlT_SG_SH_SI_E_clIPiSA_PsSB_EESF_SV_SG_SH_SI_EUlSV_E0_NS1_11comp_targetILNS1_3genE0ELNS1_11target_archE4294967295ELNS1_3gpuE0ELNS1_3repE0EEENS1_38merge_mergepath_config_static_selectorELNS0_4arch9wavefront6targetE1EEEvSH_.kd
    .uniform_work_group_size: 1
    .uses_dynamic_stack: false
    .vgpr_count:     25
    .vgpr_spill_count: 0
    .wavefront_size: 64
  - .agpr_count:     0
    .args:
      - .offset:         0
        .size:           64
        .value_kind:     by_value
    .group_segment_fixed_size: 0
    .kernarg_segment_align: 8
    .kernarg_segment_size: 64
    .language:       OpenCL C
    .language_version:
      - 2
      - 0
    .max_flat_workgroup_size: 256
    .name:           _ZN7rocprim17ROCPRIM_400000_NS6detail17trampoline_kernelINS0_14default_configENS1_38merge_sort_block_merge_config_selectorIisEEZZNS1_27merge_sort_block_merge_implIS3_N6thrust23THRUST_200600_302600_NS10device_ptrIiEENS9_IsEEjNS1_19radix_merge_compareILb0ELb1EiNS0_19identity_decomposerEEEEE10hipError_tT0_T1_T2_jT3_P12ihipStream_tbPNSt15iterator_traitsISG_E10value_typeEPNSM_ISH_E10value_typeEPSI_NS1_7vsmem_tEENKUlT_SG_SH_SI_E_clIPiSA_PsSB_EESF_SV_SG_SH_SI_EUlSV_E0_NS1_11comp_targetILNS1_3genE10ELNS1_11target_archE1201ELNS1_3gpuE5ELNS1_3repE0EEENS1_38merge_mergepath_config_static_selectorELNS0_4arch9wavefront6targetE1EEEvSH_
    .private_segment_fixed_size: 0
    .sgpr_count:     6
    .sgpr_spill_count: 0
    .symbol:         _ZN7rocprim17ROCPRIM_400000_NS6detail17trampoline_kernelINS0_14default_configENS1_38merge_sort_block_merge_config_selectorIisEEZZNS1_27merge_sort_block_merge_implIS3_N6thrust23THRUST_200600_302600_NS10device_ptrIiEENS9_IsEEjNS1_19radix_merge_compareILb0ELb1EiNS0_19identity_decomposerEEEEE10hipError_tT0_T1_T2_jT3_P12ihipStream_tbPNSt15iterator_traitsISG_E10value_typeEPNSM_ISH_E10value_typeEPSI_NS1_7vsmem_tEENKUlT_SG_SH_SI_E_clIPiSA_PsSB_EESF_SV_SG_SH_SI_EUlSV_E0_NS1_11comp_targetILNS1_3genE10ELNS1_11target_archE1201ELNS1_3gpuE5ELNS1_3repE0EEENS1_38merge_mergepath_config_static_selectorELNS0_4arch9wavefront6targetE1EEEvSH_.kd
    .uniform_work_group_size: 1
    .uses_dynamic_stack: false
    .vgpr_count:     0
    .vgpr_spill_count: 0
    .wavefront_size: 64
  - .agpr_count:     0
    .args:
      - .offset:         0
        .size:           64
        .value_kind:     by_value
    .group_segment_fixed_size: 0
    .kernarg_segment_align: 8
    .kernarg_segment_size: 64
    .language:       OpenCL C
    .language_version:
      - 2
      - 0
    .max_flat_workgroup_size: 128
    .name:           _ZN7rocprim17ROCPRIM_400000_NS6detail17trampoline_kernelINS0_14default_configENS1_38merge_sort_block_merge_config_selectorIisEEZZNS1_27merge_sort_block_merge_implIS3_N6thrust23THRUST_200600_302600_NS10device_ptrIiEENS9_IsEEjNS1_19radix_merge_compareILb0ELb1EiNS0_19identity_decomposerEEEEE10hipError_tT0_T1_T2_jT3_P12ihipStream_tbPNSt15iterator_traitsISG_E10value_typeEPNSM_ISH_E10value_typeEPSI_NS1_7vsmem_tEENKUlT_SG_SH_SI_E_clIPiSA_PsSB_EESF_SV_SG_SH_SI_EUlSV_E0_NS1_11comp_targetILNS1_3genE5ELNS1_11target_archE942ELNS1_3gpuE9ELNS1_3repE0EEENS1_38merge_mergepath_config_static_selectorELNS0_4arch9wavefront6targetE1EEEvSH_
    .private_segment_fixed_size: 0
    .sgpr_count:     6
    .sgpr_spill_count: 0
    .symbol:         _ZN7rocprim17ROCPRIM_400000_NS6detail17trampoline_kernelINS0_14default_configENS1_38merge_sort_block_merge_config_selectorIisEEZZNS1_27merge_sort_block_merge_implIS3_N6thrust23THRUST_200600_302600_NS10device_ptrIiEENS9_IsEEjNS1_19radix_merge_compareILb0ELb1EiNS0_19identity_decomposerEEEEE10hipError_tT0_T1_T2_jT3_P12ihipStream_tbPNSt15iterator_traitsISG_E10value_typeEPNSM_ISH_E10value_typeEPSI_NS1_7vsmem_tEENKUlT_SG_SH_SI_E_clIPiSA_PsSB_EESF_SV_SG_SH_SI_EUlSV_E0_NS1_11comp_targetILNS1_3genE5ELNS1_11target_archE942ELNS1_3gpuE9ELNS1_3repE0EEENS1_38merge_mergepath_config_static_selectorELNS0_4arch9wavefront6targetE1EEEvSH_.kd
    .uniform_work_group_size: 1
    .uses_dynamic_stack: false
    .vgpr_count:     0
    .vgpr_spill_count: 0
    .wavefront_size: 64
  - .agpr_count:     0
    .args:
      - .offset:         0
        .size:           64
        .value_kind:     by_value
    .group_segment_fixed_size: 0
    .kernarg_segment_align: 8
    .kernarg_segment_size: 64
    .language:       OpenCL C
    .language_version:
      - 2
      - 0
    .max_flat_workgroup_size: 128
    .name:           _ZN7rocprim17ROCPRIM_400000_NS6detail17trampoline_kernelINS0_14default_configENS1_38merge_sort_block_merge_config_selectorIisEEZZNS1_27merge_sort_block_merge_implIS3_N6thrust23THRUST_200600_302600_NS10device_ptrIiEENS9_IsEEjNS1_19radix_merge_compareILb0ELb1EiNS0_19identity_decomposerEEEEE10hipError_tT0_T1_T2_jT3_P12ihipStream_tbPNSt15iterator_traitsISG_E10value_typeEPNSM_ISH_E10value_typeEPSI_NS1_7vsmem_tEENKUlT_SG_SH_SI_E_clIPiSA_PsSB_EESF_SV_SG_SH_SI_EUlSV_E0_NS1_11comp_targetILNS1_3genE4ELNS1_11target_archE910ELNS1_3gpuE8ELNS1_3repE0EEENS1_38merge_mergepath_config_static_selectorELNS0_4arch9wavefront6targetE1EEEvSH_
    .private_segment_fixed_size: 0
    .sgpr_count:     6
    .sgpr_spill_count: 0
    .symbol:         _ZN7rocprim17ROCPRIM_400000_NS6detail17trampoline_kernelINS0_14default_configENS1_38merge_sort_block_merge_config_selectorIisEEZZNS1_27merge_sort_block_merge_implIS3_N6thrust23THRUST_200600_302600_NS10device_ptrIiEENS9_IsEEjNS1_19radix_merge_compareILb0ELb1EiNS0_19identity_decomposerEEEEE10hipError_tT0_T1_T2_jT3_P12ihipStream_tbPNSt15iterator_traitsISG_E10value_typeEPNSM_ISH_E10value_typeEPSI_NS1_7vsmem_tEENKUlT_SG_SH_SI_E_clIPiSA_PsSB_EESF_SV_SG_SH_SI_EUlSV_E0_NS1_11comp_targetILNS1_3genE4ELNS1_11target_archE910ELNS1_3gpuE8ELNS1_3repE0EEENS1_38merge_mergepath_config_static_selectorELNS0_4arch9wavefront6targetE1EEEvSH_.kd
    .uniform_work_group_size: 1
    .uses_dynamic_stack: false
    .vgpr_count:     0
    .vgpr_spill_count: 0
    .wavefront_size: 64
  - .agpr_count:     0
    .args:
      - .offset:         0
        .size:           64
        .value_kind:     by_value
    .group_segment_fixed_size: 0
    .kernarg_segment_align: 8
    .kernarg_segment_size: 64
    .language:       OpenCL C
    .language_version:
      - 2
      - 0
    .max_flat_workgroup_size: 256
    .name:           _ZN7rocprim17ROCPRIM_400000_NS6detail17trampoline_kernelINS0_14default_configENS1_38merge_sort_block_merge_config_selectorIisEEZZNS1_27merge_sort_block_merge_implIS3_N6thrust23THRUST_200600_302600_NS10device_ptrIiEENS9_IsEEjNS1_19radix_merge_compareILb0ELb1EiNS0_19identity_decomposerEEEEE10hipError_tT0_T1_T2_jT3_P12ihipStream_tbPNSt15iterator_traitsISG_E10value_typeEPNSM_ISH_E10value_typeEPSI_NS1_7vsmem_tEENKUlT_SG_SH_SI_E_clIPiSA_PsSB_EESF_SV_SG_SH_SI_EUlSV_E0_NS1_11comp_targetILNS1_3genE3ELNS1_11target_archE908ELNS1_3gpuE7ELNS1_3repE0EEENS1_38merge_mergepath_config_static_selectorELNS0_4arch9wavefront6targetE1EEEvSH_
    .private_segment_fixed_size: 0
    .sgpr_count:     6
    .sgpr_spill_count: 0
    .symbol:         _ZN7rocprim17ROCPRIM_400000_NS6detail17trampoline_kernelINS0_14default_configENS1_38merge_sort_block_merge_config_selectorIisEEZZNS1_27merge_sort_block_merge_implIS3_N6thrust23THRUST_200600_302600_NS10device_ptrIiEENS9_IsEEjNS1_19radix_merge_compareILb0ELb1EiNS0_19identity_decomposerEEEEE10hipError_tT0_T1_T2_jT3_P12ihipStream_tbPNSt15iterator_traitsISG_E10value_typeEPNSM_ISH_E10value_typeEPSI_NS1_7vsmem_tEENKUlT_SG_SH_SI_E_clIPiSA_PsSB_EESF_SV_SG_SH_SI_EUlSV_E0_NS1_11comp_targetILNS1_3genE3ELNS1_11target_archE908ELNS1_3gpuE7ELNS1_3repE0EEENS1_38merge_mergepath_config_static_selectorELNS0_4arch9wavefront6targetE1EEEvSH_.kd
    .uniform_work_group_size: 1
    .uses_dynamic_stack: false
    .vgpr_count:     0
    .vgpr_spill_count: 0
    .wavefront_size: 64
  - .agpr_count:     0
    .args:
      - .offset:         0
        .size:           64
        .value_kind:     by_value
    .group_segment_fixed_size: 0
    .kernarg_segment_align: 8
    .kernarg_segment_size: 64
    .language:       OpenCL C
    .language_version:
      - 2
      - 0
    .max_flat_workgroup_size: 128
    .name:           _ZN7rocprim17ROCPRIM_400000_NS6detail17trampoline_kernelINS0_14default_configENS1_38merge_sort_block_merge_config_selectorIisEEZZNS1_27merge_sort_block_merge_implIS3_N6thrust23THRUST_200600_302600_NS10device_ptrIiEENS9_IsEEjNS1_19radix_merge_compareILb0ELb1EiNS0_19identity_decomposerEEEEE10hipError_tT0_T1_T2_jT3_P12ihipStream_tbPNSt15iterator_traitsISG_E10value_typeEPNSM_ISH_E10value_typeEPSI_NS1_7vsmem_tEENKUlT_SG_SH_SI_E_clIPiSA_PsSB_EESF_SV_SG_SH_SI_EUlSV_E0_NS1_11comp_targetILNS1_3genE2ELNS1_11target_archE906ELNS1_3gpuE6ELNS1_3repE0EEENS1_38merge_mergepath_config_static_selectorELNS0_4arch9wavefront6targetE1EEEvSH_
    .private_segment_fixed_size: 0
    .sgpr_count:     6
    .sgpr_spill_count: 0
    .symbol:         _ZN7rocprim17ROCPRIM_400000_NS6detail17trampoline_kernelINS0_14default_configENS1_38merge_sort_block_merge_config_selectorIisEEZZNS1_27merge_sort_block_merge_implIS3_N6thrust23THRUST_200600_302600_NS10device_ptrIiEENS9_IsEEjNS1_19radix_merge_compareILb0ELb1EiNS0_19identity_decomposerEEEEE10hipError_tT0_T1_T2_jT3_P12ihipStream_tbPNSt15iterator_traitsISG_E10value_typeEPNSM_ISH_E10value_typeEPSI_NS1_7vsmem_tEENKUlT_SG_SH_SI_E_clIPiSA_PsSB_EESF_SV_SG_SH_SI_EUlSV_E0_NS1_11comp_targetILNS1_3genE2ELNS1_11target_archE906ELNS1_3gpuE6ELNS1_3repE0EEENS1_38merge_mergepath_config_static_selectorELNS0_4arch9wavefront6targetE1EEEvSH_.kd
    .uniform_work_group_size: 1
    .uses_dynamic_stack: false
    .vgpr_count:     0
    .vgpr_spill_count: 0
    .wavefront_size: 64
  - .agpr_count:     0
    .args:
      - .offset:         0
        .size:           64
        .value_kind:     by_value
    .group_segment_fixed_size: 0
    .kernarg_segment_align: 8
    .kernarg_segment_size: 64
    .language:       OpenCL C
    .language_version:
      - 2
      - 0
    .max_flat_workgroup_size: 256
    .name:           _ZN7rocprim17ROCPRIM_400000_NS6detail17trampoline_kernelINS0_14default_configENS1_38merge_sort_block_merge_config_selectorIisEEZZNS1_27merge_sort_block_merge_implIS3_N6thrust23THRUST_200600_302600_NS10device_ptrIiEENS9_IsEEjNS1_19radix_merge_compareILb0ELb1EiNS0_19identity_decomposerEEEEE10hipError_tT0_T1_T2_jT3_P12ihipStream_tbPNSt15iterator_traitsISG_E10value_typeEPNSM_ISH_E10value_typeEPSI_NS1_7vsmem_tEENKUlT_SG_SH_SI_E_clIPiSA_PsSB_EESF_SV_SG_SH_SI_EUlSV_E0_NS1_11comp_targetILNS1_3genE9ELNS1_11target_archE1100ELNS1_3gpuE3ELNS1_3repE0EEENS1_38merge_mergepath_config_static_selectorELNS0_4arch9wavefront6targetE1EEEvSH_
    .private_segment_fixed_size: 0
    .sgpr_count:     6
    .sgpr_spill_count: 0
    .symbol:         _ZN7rocprim17ROCPRIM_400000_NS6detail17trampoline_kernelINS0_14default_configENS1_38merge_sort_block_merge_config_selectorIisEEZZNS1_27merge_sort_block_merge_implIS3_N6thrust23THRUST_200600_302600_NS10device_ptrIiEENS9_IsEEjNS1_19radix_merge_compareILb0ELb1EiNS0_19identity_decomposerEEEEE10hipError_tT0_T1_T2_jT3_P12ihipStream_tbPNSt15iterator_traitsISG_E10value_typeEPNSM_ISH_E10value_typeEPSI_NS1_7vsmem_tEENKUlT_SG_SH_SI_E_clIPiSA_PsSB_EESF_SV_SG_SH_SI_EUlSV_E0_NS1_11comp_targetILNS1_3genE9ELNS1_11target_archE1100ELNS1_3gpuE3ELNS1_3repE0EEENS1_38merge_mergepath_config_static_selectorELNS0_4arch9wavefront6targetE1EEEvSH_.kd
    .uniform_work_group_size: 1
    .uses_dynamic_stack: false
    .vgpr_count:     0
    .vgpr_spill_count: 0
    .wavefront_size: 64
  - .agpr_count:     0
    .args:
      - .offset:         0
        .size:           64
        .value_kind:     by_value
    .group_segment_fixed_size: 0
    .kernarg_segment_align: 8
    .kernarg_segment_size: 64
    .language:       OpenCL C
    .language_version:
      - 2
      - 0
    .max_flat_workgroup_size: 512
    .name:           _ZN7rocprim17ROCPRIM_400000_NS6detail17trampoline_kernelINS0_14default_configENS1_38merge_sort_block_merge_config_selectorIisEEZZNS1_27merge_sort_block_merge_implIS3_N6thrust23THRUST_200600_302600_NS10device_ptrIiEENS9_IsEEjNS1_19radix_merge_compareILb0ELb1EiNS0_19identity_decomposerEEEEE10hipError_tT0_T1_T2_jT3_P12ihipStream_tbPNSt15iterator_traitsISG_E10value_typeEPNSM_ISH_E10value_typeEPSI_NS1_7vsmem_tEENKUlT_SG_SH_SI_E_clIPiSA_PsSB_EESF_SV_SG_SH_SI_EUlSV_E0_NS1_11comp_targetILNS1_3genE8ELNS1_11target_archE1030ELNS1_3gpuE2ELNS1_3repE0EEENS1_38merge_mergepath_config_static_selectorELNS0_4arch9wavefront6targetE1EEEvSH_
    .private_segment_fixed_size: 0
    .sgpr_count:     6
    .sgpr_spill_count: 0
    .symbol:         _ZN7rocprim17ROCPRIM_400000_NS6detail17trampoline_kernelINS0_14default_configENS1_38merge_sort_block_merge_config_selectorIisEEZZNS1_27merge_sort_block_merge_implIS3_N6thrust23THRUST_200600_302600_NS10device_ptrIiEENS9_IsEEjNS1_19radix_merge_compareILb0ELb1EiNS0_19identity_decomposerEEEEE10hipError_tT0_T1_T2_jT3_P12ihipStream_tbPNSt15iterator_traitsISG_E10value_typeEPNSM_ISH_E10value_typeEPSI_NS1_7vsmem_tEENKUlT_SG_SH_SI_E_clIPiSA_PsSB_EESF_SV_SG_SH_SI_EUlSV_E0_NS1_11comp_targetILNS1_3genE8ELNS1_11target_archE1030ELNS1_3gpuE2ELNS1_3repE0EEENS1_38merge_mergepath_config_static_selectorELNS0_4arch9wavefront6targetE1EEEvSH_.kd
    .uniform_work_group_size: 1
    .uses_dynamic_stack: false
    .vgpr_count:     0
    .vgpr_spill_count: 0
    .wavefront_size: 64
  - .agpr_count:     0
    .args:
      - .offset:         0
        .size:           48
        .value_kind:     by_value
    .group_segment_fixed_size: 0
    .kernarg_segment_align: 8
    .kernarg_segment_size: 48
    .language:       OpenCL C
    .language_version:
      - 2
      - 0
    .max_flat_workgroup_size: 256
    .name:           _ZN7rocprim17ROCPRIM_400000_NS6detail17trampoline_kernelINS0_14default_configENS1_38merge_sort_block_merge_config_selectorIisEEZZNS1_27merge_sort_block_merge_implIS3_N6thrust23THRUST_200600_302600_NS10device_ptrIiEENS9_IsEEjNS1_19radix_merge_compareILb0ELb1EiNS0_19identity_decomposerEEEEE10hipError_tT0_T1_T2_jT3_P12ihipStream_tbPNSt15iterator_traitsISG_E10value_typeEPNSM_ISH_E10value_typeEPSI_NS1_7vsmem_tEENKUlT_SG_SH_SI_E_clIPiSA_PsSB_EESF_SV_SG_SH_SI_EUlSV_E1_NS1_11comp_targetILNS1_3genE0ELNS1_11target_archE4294967295ELNS1_3gpuE0ELNS1_3repE0EEENS1_36merge_oddeven_config_static_selectorELNS0_4arch9wavefront6targetE1EEEvSH_
    .private_segment_fixed_size: 0
    .sgpr_count:     30
    .sgpr_spill_count: 0
    .symbol:         _ZN7rocprim17ROCPRIM_400000_NS6detail17trampoline_kernelINS0_14default_configENS1_38merge_sort_block_merge_config_selectorIisEEZZNS1_27merge_sort_block_merge_implIS3_N6thrust23THRUST_200600_302600_NS10device_ptrIiEENS9_IsEEjNS1_19radix_merge_compareILb0ELb1EiNS0_19identity_decomposerEEEEE10hipError_tT0_T1_T2_jT3_P12ihipStream_tbPNSt15iterator_traitsISG_E10value_typeEPNSM_ISH_E10value_typeEPSI_NS1_7vsmem_tEENKUlT_SG_SH_SI_E_clIPiSA_PsSB_EESF_SV_SG_SH_SI_EUlSV_E1_NS1_11comp_targetILNS1_3genE0ELNS1_11target_archE4294967295ELNS1_3gpuE0ELNS1_3repE0EEENS1_36merge_oddeven_config_static_selectorELNS0_4arch9wavefront6targetE1EEEvSH_.kd
    .uniform_work_group_size: 1
    .uses_dynamic_stack: false
    .vgpr_count:     11
    .vgpr_spill_count: 0
    .wavefront_size: 64
  - .agpr_count:     0
    .args:
      - .offset:         0
        .size:           48
        .value_kind:     by_value
    .group_segment_fixed_size: 0
    .kernarg_segment_align: 8
    .kernarg_segment_size: 48
    .language:       OpenCL C
    .language_version:
      - 2
      - 0
    .max_flat_workgroup_size: 256
    .name:           _ZN7rocprim17ROCPRIM_400000_NS6detail17trampoline_kernelINS0_14default_configENS1_38merge_sort_block_merge_config_selectorIisEEZZNS1_27merge_sort_block_merge_implIS3_N6thrust23THRUST_200600_302600_NS10device_ptrIiEENS9_IsEEjNS1_19radix_merge_compareILb0ELb1EiNS0_19identity_decomposerEEEEE10hipError_tT0_T1_T2_jT3_P12ihipStream_tbPNSt15iterator_traitsISG_E10value_typeEPNSM_ISH_E10value_typeEPSI_NS1_7vsmem_tEENKUlT_SG_SH_SI_E_clIPiSA_PsSB_EESF_SV_SG_SH_SI_EUlSV_E1_NS1_11comp_targetILNS1_3genE10ELNS1_11target_archE1201ELNS1_3gpuE5ELNS1_3repE0EEENS1_36merge_oddeven_config_static_selectorELNS0_4arch9wavefront6targetE1EEEvSH_
    .private_segment_fixed_size: 0
    .sgpr_count:     6
    .sgpr_spill_count: 0
    .symbol:         _ZN7rocprim17ROCPRIM_400000_NS6detail17trampoline_kernelINS0_14default_configENS1_38merge_sort_block_merge_config_selectorIisEEZZNS1_27merge_sort_block_merge_implIS3_N6thrust23THRUST_200600_302600_NS10device_ptrIiEENS9_IsEEjNS1_19radix_merge_compareILb0ELb1EiNS0_19identity_decomposerEEEEE10hipError_tT0_T1_T2_jT3_P12ihipStream_tbPNSt15iterator_traitsISG_E10value_typeEPNSM_ISH_E10value_typeEPSI_NS1_7vsmem_tEENKUlT_SG_SH_SI_E_clIPiSA_PsSB_EESF_SV_SG_SH_SI_EUlSV_E1_NS1_11comp_targetILNS1_3genE10ELNS1_11target_archE1201ELNS1_3gpuE5ELNS1_3repE0EEENS1_36merge_oddeven_config_static_selectorELNS0_4arch9wavefront6targetE1EEEvSH_.kd
    .uniform_work_group_size: 1
    .uses_dynamic_stack: false
    .vgpr_count:     0
    .vgpr_spill_count: 0
    .wavefront_size: 64
  - .agpr_count:     0
    .args:
      - .offset:         0
        .size:           48
        .value_kind:     by_value
    .group_segment_fixed_size: 0
    .kernarg_segment_align: 8
    .kernarg_segment_size: 48
    .language:       OpenCL C
    .language_version:
      - 2
      - 0
    .max_flat_workgroup_size: 256
    .name:           _ZN7rocprim17ROCPRIM_400000_NS6detail17trampoline_kernelINS0_14default_configENS1_38merge_sort_block_merge_config_selectorIisEEZZNS1_27merge_sort_block_merge_implIS3_N6thrust23THRUST_200600_302600_NS10device_ptrIiEENS9_IsEEjNS1_19radix_merge_compareILb0ELb1EiNS0_19identity_decomposerEEEEE10hipError_tT0_T1_T2_jT3_P12ihipStream_tbPNSt15iterator_traitsISG_E10value_typeEPNSM_ISH_E10value_typeEPSI_NS1_7vsmem_tEENKUlT_SG_SH_SI_E_clIPiSA_PsSB_EESF_SV_SG_SH_SI_EUlSV_E1_NS1_11comp_targetILNS1_3genE5ELNS1_11target_archE942ELNS1_3gpuE9ELNS1_3repE0EEENS1_36merge_oddeven_config_static_selectorELNS0_4arch9wavefront6targetE1EEEvSH_
    .private_segment_fixed_size: 0
    .sgpr_count:     6
    .sgpr_spill_count: 0
    .symbol:         _ZN7rocprim17ROCPRIM_400000_NS6detail17trampoline_kernelINS0_14default_configENS1_38merge_sort_block_merge_config_selectorIisEEZZNS1_27merge_sort_block_merge_implIS3_N6thrust23THRUST_200600_302600_NS10device_ptrIiEENS9_IsEEjNS1_19radix_merge_compareILb0ELb1EiNS0_19identity_decomposerEEEEE10hipError_tT0_T1_T2_jT3_P12ihipStream_tbPNSt15iterator_traitsISG_E10value_typeEPNSM_ISH_E10value_typeEPSI_NS1_7vsmem_tEENKUlT_SG_SH_SI_E_clIPiSA_PsSB_EESF_SV_SG_SH_SI_EUlSV_E1_NS1_11comp_targetILNS1_3genE5ELNS1_11target_archE942ELNS1_3gpuE9ELNS1_3repE0EEENS1_36merge_oddeven_config_static_selectorELNS0_4arch9wavefront6targetE1EEEvSH_.kd
    .uniform_work_group_size: 1
    .uses_dynamic_stack: false
    .vgpr_count:     0
    .vgpr_spill_count: 0
    .wavefront_size: 64
  - .agpr_count:     0
    .args:
      - .offset:         0
        .size:           48
        .value_kind:     by_value
    .group_segment_fixed_size: 0
    .kernarg_segment_align: 8
    .kernarg_segment_size: 48
    .language:       OpenCL C
    .language_version:
      - 2
      - 0
    .max_flat_workgroup_size: 256
    .name:           _ZN7rocprim17ROCPRIM_400000_NS6detail17trampoline_kernelINS0_14default_configENS1_38merge_sort_block_merge_config_selectorIisEEZZNS1_27merge_sort_block_merge_implIS3_N6thrust23THRUST_200600_302600_NS10device_ptrIiEENS9_IsEEjNS1_19radix_merge_compareILb0ELb1EiNS0_19identity_decomposerEEEEE10hipError_tT0_T1_T2_jT3_P12ihipStream_tbPNSt15iterator_traitsISG_E10value_typeEPNSM_ISH_E10value_typeEPSI_NS1_7vsmem_tEENKUlT_SG_SH_SI_E_clIPiSA_PsSB_EESF_SV_SG_SH_SI_EUlSV_E1_NS1_11comp_targetILNS1_3genE4ELNS1_11target_archE910ELNS1_3gpuE8ELNS1_3repE0EEENS1_36merge_oddeven_config_static_selectorELNS0_4arch9wavefront6targetE1EEEvSH_
    .private_segment_fixed_size: 0
    .sgpr_count:     6
    .sgpr_spill_count: 0
    .symbol:         _ZN7rocprim17ROCPRIM_400000_NS6detail17trampoline_kernelINS0_14default_configENS1_38merge_sort_block_merge_config_selectorIisEEZZNS1_27merge_sort_block_merge_implIS3_N6thrust23THRUST_200600_302600_NS10device_ptrIiEENS9_IsEEjNS1_19radix_merge_compareILb0ELb1EiNS0_19identity_decomposerEEEEE10hipError_tT0_T1_T2_jT3_P12ihipStream_tbPNSt15iterator_traitsISG_E10value_typeEPNSM_ISH_E10value_typeEPSI_NS1_7vsmem_tEENKUlT_SG_SH_SI_E_clIPiSA_PsSB_EESF_SV_SG_SH_SI_EUlSV_E1_NS1_11comp_targetILNS1_3genE4ELNS1_11target_archE910ELNS1_3gpuE8ELNS1_3repE0EEENS1_36merge_oddeven_config_static_selectorELNS0_4arch9wavefront6targetE1EEEvSH_.kd
    .uniform_work_group_size: 1
    .uses_dynamic_stack: false
    .vgpr_count:     0
    .vgpr_spill_count: 0
    .wavefront_size: 64
  - .agpr_count:     0
    .args:
      - .offset:         0
        .size:           48
        .value_kind:     by_value
    .group_segment_fixed_size: 0
    .kernarg_segment_align: 8
    .kernarg_segment_size: 48
    .language:       OpenCL C
    .language_version:
      - 2
      - 0
    .max_flat_workgroup_size: 256
    .name:           _ZN7rocprim17ROCPRIM_400000_NS6detail17trampoline_kernelINS0_14default_configENS1_38merge_sort_block_merge_config_selectorIisEEZZNS1_27merge_sort_block_merge_implIS3_N6thrust23THRUST_200600_302600_NS10device_ptrIiEENS9_IsEEjNS1_19radix_merge_compareILb0ELb1EiNS0_19identity_decomposerEEEEE10hipError_tT0_T1_T2_jT3_P12ihipStream_tbPNSt15iterator_traitsISG_E10value_typeEPNSM_ISH_E10value_typeEPSI_NS1_7vsmem_tEENKUlT_SG_SH_SI_E_clIPiSA_PsSB_EESF_SV_SG_SH_SI_EUlSV_E1_NS1_11comp_targetILNS1_3genE3ELNS1_11target_archE908ELNS1_3gpuE7ELNS1_3repE0EEENS1_36merge_oddeven_config_static_selectorELNS0_4arch9wavefront6targetE1EEEvSH_
    .private_segment_fixed_size: 0
    .sgpr_count:     6
    .sgpr_spill_count: 0
    .symbol:         _ZN7rocprim17ROCPRIM_400000_NS6detail17trampoline_kernelINS0_14default_configENS1_38merge_sort_block_merge_config_selectorIisEEZZNS1_27merge_sort_block_merge_implIS3_N6thrust23THRUST_200600_302600_NS10device_ptrIiEENS9_IsEEjNS1_19radix_merge_compareILb0ELb1EiNS0_19identity_decomposerEEEEE10hipError_tT0_T1_T2_jT3_P12ihipStream_tbPNSt15iterator_traitsISG_E10value_typeEPNSM_ISH_E10value_typeEPSI_NS1_7vsmem_tEENKUlT_SG_SH_SI_E_clIPiSA_PsSB_EESF_SV_SG_SH_SI_EUlSV_E1_NS1_11comp_targetILNS1_3genE3ELNS1_11target_archE908ELNS1_3gpuE7ELNS1_3repE0EEENS1_36merge_oddeven_config_static_selectorELNS0_4arch9wavefront6targetE1EEEvSH_.kd
    .uniform_work_group_size: 1
    .uses_dynamic_stack: false
    .vgpr_count:     0
    .vgpr_spill_count: 0
    .wavefront_size: 64
  - .agpr_count:     0
    .args:
      - .offset:         0
        .size:           48
        .value_kind:     by_value
    .group_segment_fixed_size: 0
    .kernarg_segment_align: 8
    .kernarg_segment_size: 48
    .language:       OpenCL C
    .language_version:
      - 2
      - 0
    .max_flat_workgroup_size: 256
    .name:           _ZN7rocprim17ROCPRIM_400000_NS6detail17trampoline_kernelINS0_14default_configENS1_38merge_sort_block_merge_config_selectorIisEEZZNS1_27merge_sort_block_merge_implIS3_N6thrust23THRUST_200600_302600_NS10device_ptrIiEENS9_IsEEjNS1_19radix_merge_compareILb0ELb1EiNS0_19identity_decomposerEEEEE10hipError_tT0_T1_T2_jT3_P12ihipStream_tbPNSt15iterator_traitsISG_E10value_typeEPNSM_ISH_E10value_typeEPSI_NS1_7vsmem_tEENKUlT_SG_SH_SI_E_clIPiSA_PsSB_EESF_SV_SG_SH_SI_EUlSV_E1_NS1_11comp_targetILNS1_3genE2ELNS1_11target_archE906ELNS1_3gpuE6ELNS1_3repE0EEENS1_36merge_oddeven_config_static_selectorELNS0_4arch9wavefront6targetE1EEEvSH_
    .private_segment_fixed_size: 0
    .sgpr_count:     6
    .sgpr_spill_count: 0
    .symbol:         _ZN7rocprim17ROCPRIM_400000_NS6detail17trampoline_kernelINS0_14default_configENS1_38merge_sort_block_merge_config_selectorIisEEZZNS1_27merge_sort_block_merge_implIS3_N6thrust23THRUST_200600_302600_NS10device_ptrIiEENS9_IsEEjNS1_19radix_merge_compareILb0ELb1EiNS0_19identity_decomposerEEEEE10hipError_tT0_T1_T2_jT3_P12ihipStream_tbPNSt15iterator_traitsISG_E10value_typeEPNSM_ISH_E10value_typeEPSI_NS1_7vsmem_tEENKUlT_SG_SH_SI_E_clIPiSA_PsSB_EESF_SV_SG_SH_SI_EUlSV_E1_NS1_11comp_targetILNS1_3genE2ELNS1_11target_archE906ELNS1_3gpuE6ELNS1_3repE0EEENS1_36merge_oddeven_config_static_selectorELNS0_4arch9wavefront6targetE1EEEvSH_.kd
    .uniform_work_group_size: 1
    .uses_dynamic_stack: false
    .vgpr_count:     0
    .vgpr_spill_count: 0
    .wavefront_size: 64
  - .agpr_count:     0
    .args:
      - .offset:         0
        .size:           48
        .value_kind:     by_value
    .group_segment_fixed_size: 0
    .kernarg_segment_align: 8
    .kernarg_segment_size: 48
    .language:       OpenCL C
    .language_version:
      - 2
      - 0
    .max_flat_workgroup_size: 256
    .name:           _ZN7rocprim17ROCPRIM_400000_NS6detail17trampoline_kernelINS0_14default_configENS1_38merge_sort_block_merge_config_selectorIisEEZZNS1_27merge_sort_block_merge_implIS3_N6thrust23THRUST_200600_302600_NS10device_ptrIiEENS9_IsEEjNS1_19radix_merge_compareILb0ELb1EiNS0_19identity_decomposerEEEEE10hipError_tT0_T1_T2_jT3_P12ihipStream_tbPNSt15iterator_traitsISG_E10value_typeEPNSM_ISH_E10value_typeEPSI_NS1_7vsmem_tEENKUlT_SG_SH_SI_E_clIPiSA_PsSB_EESF_SV_SG_SH_SI_EUlSV_E1_NS1_11comp_targetILNS1_3genE9ELNS1_11target_archE1100ELNS1_3gpuE3ELNS1_3repE0EEENS1_36merge_oddeven_config_static_selectorELNS0_4arch9wavefront6targetE1EEEvSH_
    .private_segment_fixed_size: 0
    .sgpr_count:     6
    .sgpr_spill_count: 0
    .symbol:         _ZN7rocprim17ROCPRIM_400000_NS6detail17trampoline_kernelINS0_14default_configENS1_38merge_sort_block_merge_config_selectorIisEEZZNS1_27merge_sort_block_merge_implIS3_N6thrust23THRUST_200600_302600_NS10device_ptrIiEENS9_IsEEjNS1_19radix_merge_compareILb0ELb1EiNS0_19identity_decomposerEEEEE10hipError_tT0_T1_T2_jT3_P12ihipStream_tbPNSt15iterator_traitsISG_E10value_typeEPNSM_ISH_E10value_typeEPSI_NS1_7vsmem_tEENKUlT_SG_SH_SI_E_clIPiSA_PsSB_EESF_SV_SG_SH_SI_EUlSV_E1_NS1_11comp_targetILNS1_3genE9ELNS1_11target_archE1100ELNS1_3gpuE3ELNS1_3repE0EEENS1_36merge_oddeven_config_static_selectorELNS0_4arch9wavefront6targetE1EEEvSH_.kd
    .uniform_work_group_size: 1
    .uses_dynamic_stack: false
    .vgpr_count:     0
    .vgpr_spill_count: 0
    .wavefront_size: 64
  - .agpr_count:     0
    .args:
      - .offset:         0
        .size:           48
        .value_kind:     by_value
    .group_segment_fixed_size: 0
    .kernarg_segment_align: 8
    .kernarg_segment_size: 48
    .language:       OpenCL C
    .language_version:
      - 2
      - 0
    .max_flat_workgroup_size: 256
    .name:           _ZN7rocprim17ROCPRIM_400000_NS6detail17trampoline_kernelINS0_14default_configENS1_38merge_sort_block_merge_config_selectorIisEEZZNS1_27merge_sort_block_merge_implIS3_N6thrust23THRUST_200600_302600_NS10device_ptrIiEENS9_IsEEjNS1_19radix_merge_compareILb0ELb1EiNS0_19identity_decomposerEEEEE10hipError_tT0_T1_T2_jT3_P12ihipStream_tbPNSt15iterator_traitsISG_E10value_typeEPNSM_ISH_E10value_typeEPSI_NS1_7vsmem_tEENKUlT_SG_SH_SI_E_clIPiSA_PsSB_EESF_SV_SG_SH_SI_EUlSV_E1_NS1_11comp_targetILNS1_3genE8ELNS1_11target_archE1030ELNS1_3gpuE2ELNS1_3repE0EEENS1_36merge_oddeven_config_static_selectorELNS0_4arch9wavefront6targetE1EEEvSH_
    .private_segment_fixed_size: 0
    .sgpr_count:     6
    .sgpr_spill_count: 0
    .symbol:         _ZN7rocprim17ROCPRIM_400000_NS6detail17trampoline_kernelINS0_14default_configENS1_38merge_sort_block_merge_config_selectorIisEEZZNS1_27merge_sort_block_merge_implIS3_N6thrust23THRUST_200600_302600_NS10device_ptrIiEENS9_IsEEjNS1_19radix_merge_compareILb0ELb1EiNS0_19identity_decomposerEEEEE10hipError_tT0_T1_T2_jT3_P12ihipStream_tbPNSt15iterator_traitsISG_E10value_typeEPNSM_ISH_E10value_typeEPSI_NS1_7vsmem_tEENKUlT_SG_SH_SI_E_clIPiSA_PsSB_EESF_SV_SG_SH_SI_EUlSV_E1_NS1_11comp_targetILNS1_3genE8ELNS1_11target_archE1030ELNS1_3gpuE2ELNS1_3repE0EEENS1_36merge_oddeven_config_static_selectorELNS0_4arch9wavefront6targetE1EEEvSH_.kd
    .uniform_work_group_size: 1
    .uses_dynamic_stack: false
    .vgpr_count:     0
    .vgpr_spill_count: 0
    .wavefront_size: 64
  - .agpr_count:     0
    .args:
      - .offset:         0
        .size:           40
        .value_kind:     by_value
    .group_segment_fixed_size: 0
    .kernarg_segment_align: 8
    .kernarg_segment_size: 40
    .language:       OpenCL C
    .language_version:
      - 2
      - 0
    .max_flat_workgroup_size: 128
    .name:           _ZN7rocprim17ROCPRIM_400000_NS6detail17trampoline_kernelINS0_14default_configENS1_38merge_sort_block_merge_config_selectorIisEEZZNS1_27merge_sort_block_merge_implIS3_N6thrust23THRUST_200600_302600_NS10device_ptrIiEENS9_IsEEjNS1_19radix_merge_compareILb0ELb1EiNS0_19identity_decomposerEEEEE10hipError_tT0_T1_T2_jT3_P12ihipStream_tbPNSt15iterator_traitsISG_E10value_typeEPNSM_ISH_E10value_typeEPSI_NS1_7vsmem_tEENKUlT_SG_SH_SI_E_clISA_PiSB_PsEESF_SV_SG_SH_SI_EUlSV_E_NS1_11comp_targetILNS1_3genE0ELNS1_11target_archE4294967295ELNS1_3gpuE0ELNS1_3repE0EEENS1_48merge_mergepath_partition_config_static_selectorELNS0_4arch9wavefront6targetE1EEEvSH_
    .private_segment_fixed_size: 0
    .sgpr_count:     16
    .sgpr_spill_count: 0
    .symbol:         _ZN7rocprim17ROCPRIM_400000_NS6detail17trampoline_kernelINS0_14default_configENS1_38merge_sort_block_merge_config_selectorIisEEZZNS1_27merge_sort_block_merge_implIS3_N6thrust23THRUST_200600_302600_NS10device_ptrIiEENS9_IsEEjNS1_19radix_merge_compareILb0ELb1EiNS0_19identity_decomposerEEEEE10hipError_tT0_T1_T2_jT3_P12ihipStream_tbPNSt15iterator_traitsISG_E10value_typeEPNSM_ISH_E10value_typeEPSI_NS1_7vsmem_tEENKUlT_SG_SH_SI_E_clISA_PiSB_PsEESF_SV_SG_SH_SI_EUlSV_E_NS1_11comp_targetILNS1_3genE0ELNS1_11target_archE4294967295ELNS1_3gpuE0ELNS1_3repE0EEENS1_48merge_mergepath_partition_config_static_selectorELNS0_4arch9wavefront6targetE1EEEvSH_.kd
    .uniform_work_group_size: 1
    .uses_dynamic_stack: false
    .vgpr_count:     17
    .vgpr_spill_count: 0
    .wavefront_size: 64
  - .agpr_count:     0
    .args:
      - .offset:         0
        .size:           40
        .value_kind:     by_value
    .group_segment_fixed_size: 0
    .kernarg_segment_align: 8
    .kernarg_segment_size: 40
    .language:       OpenCL C
    .language_version:
      - 2
      - 0
    .max_flat_workgroup_size: 128
    .name:           _ZN7rocprim17ROCPRIM_400000_NS6detail17trampoline_kernelINS0_14default_configENS1_38merge_sort_block_merge_config_selectorIisEEZZNS1_27merge_sort_block_merge_implIS3_N6thrust23THRUST_200600_302600_NS10device_ptrIiEENS9_IsEEjNS1_19radix_merge_compareILb0ELb1EiNS0_19identity_decomposerEEEEE10hipError_tT0_T1_T2_jT3_P12ihipStream_tbPNSt15iterator_traitsISG_E10value_typeEPNSM_ISH_E10value_typeEPSI_NS1_7vsmem_tEENKUlT_SG_SH_SI_E_clISA_PiSB_PsEESF_SV_SG_SH_SI_EUlSV_E_NS1_11comp_targetILNS1_3genE10ELNS1_11target_archE1201ELNS1_3gpuE5ELNS1_3repE0EEENS1_48merge_mergepath_partition_config_static_selectorELNS0_4arch9wavefront6targetE1EEEvSH_
    .private_segment_fixed_size: 0
    .sgpr_count:     6
    .sgpr_spill_count: 0
    .symbol:         _ZN7rocprim17ROCPRIM_400000_NS6detail17trampoline_kernelINS0_14default_configENS1_38merge_sort_block_merge_config_selectorIisEEZZNS1_27merge_sort_block_merge_implIS3_N6thrust23THRUST_200600_302600_NS10device_ptrIiEENS9_IsEEjNS1_19radix_merge_compareILb0ELb1EiNS0_19identity_decomposerEEEEE10hipError_tT0_T1_T2_jT3_P12ihipStream_tbPNSt15iterator_traitsISG_E10value_typeEPNSM_ISH_E10value_typeEPSI_NS1_7vsmem_tEENKUlT_SG_SH_SI_E_clISA_PiSB_PsEESF_SV_SG_SH_SI_EUlSV_E_NS1_11comp_targetILNS1_3genE10ELNS1_11target_archE1201ELNS1_3gpuE5ELNS1_3repE0EEENS1_48merge_mergepath_partition_config_static_selectorELNS0_4arch9wavefront6targetE1EEEvSH_.kd
    .uniform_work_group_size: 1
    .uses_dynamic_stack: false
    .vgpr_count:     0
    .vgpr_spill_count: 0
    .wavefront_size: 64
  - .agpr_count:     0
    .args:
      - .offset:         0
        .size:           40
        .value_kind:     by_value
    .group_segment_fixed_size: 0
    .kernarg_segment_align: 8
    .kernarg_segment_size: 40
    .language:       OpenCL C
    .language_version:
      - 2
      - 0
    .max_flat_workgroup_size: 128
    .name:           _ZN7rocprim17ROCPRIM_400000_NS6detail17trampoline_kernelINS0_14default_configENS1_38merge_sort_block_merge_config_selectorIisEEZZNS1_27merge_sort_block_merge_implIS3_N6thrust23THRUST_200600_302600_NS10device_ptrIiEENS9_IsEEjNS1_19radix_merge_compareILb0ELb1EiNS0_19identity_decomposerEEEEE10hipError_tT0_T1_T2_jT3_P12ihipStream_tbPNSt15iterator_traitsISG_E10value_typeEPNSM_ISH_E10value_typeEPSI_NS1_7vsmem_tEENKUlT_SG_SH_SI_E_clISA_PiSB_PsEESF_SV_SG_SH_SI_EUlSV_E_NS1_11comp_targetILNS1_3genE5ELNS1_11target_archE942ELNS1_3gpuE9ELNS1_3repE0EEENS1_48merge_mergepath_partition_config_static_selectorELNS0_4arch9wavefront6targetE1EEEvSH_
    .private_segment_fixed_size: 0
    .sgpr_count:     6
    .sgpr_spill_count: 0
    .symbol:         _ZN7rocprim17ROCPRIM_400000_NS6detail17trampoline_kernelINS0_14default_configENS1_38merge_sort_block_merge_config_selectorIisEEZZNS1_27merge_sort_block_merge_implIS3_N6thrust23THRUST_200600_302600_NS10device_ptrIiEENS9_IsEEjNS1_19radix_merge_compareILb0ELb1EiNS0_19identity_decomposerEEEEE10hipError_tT0_T1_T2_jT3_P12ihipStream_tbPNSt15iterator_traitsISG_E10value_typeEPNSM_ISH_E10value_typeEPSI_NS1_7vsmem_tEENKUlT_SG_SH_SI_E_clISA_PiSB_PsEESF_SV_SG_SH_SI_EUlSV_E_NS1_11comp_targetILNS1_3genE5ELNS1_11target_archE942ELNS1_3gpuE9ELNS1_3repE0EEENS1_48merge_mergepath_partition_config_static_selectorELNS0_4arch9wavefront6targetE1EEEvSH_.kd
    .uniform_work_group_size: 1
    .uses_dynamic_stack: false
    .vgpr_count:     0
    .vgpr_spill_count: 0
    .wavefront_size: 64
  - .agpr_count:     0
    .args:
      - .offset:         0
        .size:           40
        .value_kind:     by_value
    .group_segment_fixed_size: 0
    .kernarg_segment_align: 8
    .kernarg_segment_size: 40
    .language:       OpenCL C
    .language_version:
      - 2
      - 0
    .max_flat_workgroup_size: 128
    .name:           _ZN7rocprim17ROCPRIM_400000_NS6detail17trampoline_kernelINS0_14default_configENS1_38merge_sort_block_merge_config_selectorIisEEZZNS1_27merge_sort_block_merge_implIS3_N6thrust23THRUST_200600_302600_NS10device_ptrIiEENS9_IsEEjNS1_19radix_merge_compareILb0ELb1EiNS0_19identity_decomposerEEEEE10hipError_tT0_T1_T2_jT3_P12ihipStream_tbPNSt15iterator_traitsISG_E10value_typeEPNSM_ISH_E10value_typeEPSI_NS1_7vsmem_tEENKUlT_SG_SH_SI_E_clISA_PiSB_PsEESF_SV_SG_SH_SI_EUlSV_E_NS1_11comp_targetILNS1_3genE4ELNS1_11target_archE910ELNS1_3gpuE8ELNS1_3repE0EEENS1_48merge_mergepath_partition_config_static_selectorELNS0_4arch9wavefront6targetE1EEEvSH_
    .private_segment_fixed_size: 0
    .sgpr_count:     6
    .sgpr_spill_count: 0
    .symbol:         _ZN7rocprim17ROCPRIM_400000_NS6detail17trampoline_kernelINS0_14default_configENS1_38merge_sort_block_merge_config_selectorIisEEZZNS1_27merge_sort_block_merge_implIS3_N6thrust23THRUST_200600_302600_NS10device_ptrIiEENS9_IsEEjNS1_19radix_merge_compareILb0ELb1EiNS0_19identity_decomposerEEEEE10hipError_tT0_T1_T2_jT3_P12ihipStream_tbPNSt15iterator_traitsISG_E10value_typeEPNSM_ISH_E10value_typeEPSI_NS1_7vsmem_tEENKUlT_SG_SH_SI_E_clISA_PiSB_PsEESF_SV_SG_SH_SI_EUlSV_E_NS1_11comp_targetILNS1_3genE4ELNS1_11target_archE910ELNS1_3gpuE8ELNS1_3repE0EEENS1_48merge_mergepath_partition_config_static_selectorELNS0_4arch9wavefront6targetE1EEEvSH_.kd
    .uniform_work_group_size: 1
    .uses_dynamic_stack: false
    .vgpr_count:     0
    .vgpr_spill_count: 0
    .wavefront_size: 64
  - .agpr_count:     0
    .args:
      - .offset:         0
        .size:           40
        .value_kind:     by_value
    .group_segment_fixed_size: 0
    .kernarg_segment_align: 8
    .kernarg_segment_size: 40
    .language:       OpenCL C
    .language_version:
      - 2
      - 0
    .max_flat_workgroup_size: 128
    .name:           _ZN7rocprim17ROCPRIM_400000_NS6detail17trampoline_kernelINS0_14default_configENS1_38merge_sort_block_merge_config_selectorIisEEZZNS1_27merge_sort_block_merge_implIS3_N6thrust23THRUST_200600_302600_NS10device_ptrIiEENS9_IsEEjNS1_19radix_merge_compareILb0ELb1EiNS0_19identity_decomposerEEEEE10hipError_tT0_T1_T2_jT3_P12ihipStream_tbPNSt15iterator_traitsISG_E10value_typeEPNSM_ISH_E10value_typeEPSI_NS1_7vsmem_tEENKUlT_SG_SH_SI_E_clISA_PiSB_PsEESF_SV_SG_SH_SI_EUlSV_E_NS1_11comp_targetILNS1_3genE3ELNS1_11target_archE908ELNS1_3gpuE7ELNS1_3repE0EEENS1_48merge_mergepath_partition_config_static_selectorELNS0_4arch9wavefront6targetE1EEEvSH_
    .private_segment_fixed_size: 0
    .sgpr_count:     6
    .sgpr_spill_count: 0
    .symbol:         _ZN7rocprim17ROCPRIM_400000_NS6detail17trampoline_kernelINS0_14default_configENS1_38merge_sort_block_merge_config_selectorIisEEZZNS1_27merge_sort_block_merge_implIS3_N6thrust23THRUST_200600_302600_NS10device_ptrIiEENS9_IsEEjNS1_19radix_merge_compareILb0ELb1EiNS0_19identity_decomposerEEEEE10hipError_tT0_T1_T2_jT3_P12ihipStream_tbPNSt15iterator_traitsISG_E10value_typeEPNSM_ISH_E10value_typeEPSI_NS1_7vsmem_tEENKUlT_SG_SH_SI_E_clISA_PiSB_PsEESF_SV_SG_SH_SI_EUlSV_E_NS1_11comp_targetILNS1_3genE3ELNS1_11target_archE908ELNS1_3gpuE7ELNS1_3repE0EEENS1_48merge_mergepath_partition_config_static_selectorELNS0_4arch9wavefront6targetE1EEEvSH_.kd
    .uniform_work_group_size: 1
    .uses_dynamic_stack: false
    .vgpr_count:     0
    .vgpr_spill_count: 0
    .wavefront_size: 64
  - .agpr_count:     0
    .args:
      - .offset:         0
        .size:           40
        .value_kind:     by_value
    .group_segment_fixed_size: 0
    .kernarg_segment_align: 8
    .kernarg_segment_size: 40
    .language:       OpenCL C
    .language_version:
      - 2
      - 0
    .max_flat_workgroup_size: 128
    .name:           _ZN7rocprim17ROCPRIM_400000_NS6detail17trampoline_kernelINS0_14default_configENS1_38merge_sort_block_merge_config_selectorIisEEZZNS1_27merge_sort_block_merge_implIS3_N6thrust23THRUST_200600_302600_NS10device_ptrIiEENS9_IsEEjNS1_19radix_merge_compareILb0ELb1EiNS0_19identity_decomposerEEEEE10hipError_tT0_T1_T2_jT3_P12ihipStream_tbPNSt15iterator_traitsISG_E10value_typeEPNSM_ISH_E10value_typeEPSI_NS1_7vsmem_tEENKUlT_SG_SH_SI_E_clISA_PiSB_PsEESF_SV_SG_SH_SI_EUlSV_E_NS1_11comp_targetILNS1_3genE2ELNS1_11target_archE906ELNS1_3gpuE6ELNS1_3repE0EEENS1_48merge_mergepath_partition_config_static_selectorELNS0_4arch9wavefront6targetE1EEEvSH_
    .private_segment_fixed_size: 0
    .sgpr_count:     6
    .sgpr_spill_count: 0
    .symbol:         _ZN7rocprim17ROCPRIM_400000_NS6detail17trampoline_kernelINS0_14default_configENS1_38merge_sort_block_merge_config_selectorIisEEZZNS1_27merge_sort_block_merge_implIS3_N6thrust23THRUST_200600_302600_NS10device_ptrIiEENS9_IsEEjNS1_19radix_merge_compareILb0ELb1EiNS0_19identity_decomposerEEEEE10hipError_tT0_T1_T2_jT3_P12ihipStream_tbPNSt15iterator_traitsISG_E10value_typeEPNSM_ISH_E10value_typeEPSI_NS1_7vsmem_tEENKUlT_SG_SH_SI_E_clISA_PiSB_PsEESF_SV_SG_SH_SI_EUlSV_E_NS1_11comp_targetILNS1_3genE2ELNS1_11target_archE906ELNS1_3gpuE6ELNS1_3repE0EEENS1_48merge_mergepath_partition_config_static_selectorELNS0_4arch9wavefront6targetE1EEEvSH_.kd
    .uniform_work_group_size: 1
    .uses_dynamic_stack: false
    .vgpr_count:     0
    .vgpr_spill_count: 0
    .wavefront_size: 64
  - .agpr_count:     0
    .args:
      - .offset:         0
        .size:           40
        .value_kind:     by_value
    .group_segment_fixed_size: 0
    .kernarg_segment_align: 8
    .kernarg_segment_size: 40
    .language:       OpenCL C
    .language_version:
      - 2
      - 0
    .max_flat_workgroup_size: 128
    .name:           _ZN7rocprim17ROCPRIM_400000_NS6detail17trampoline_kernelINS0_14default_configENS1_38merge_sort_block_merge_config_selectorIisEEZZNS1_27merge_sort_block_merge_implIS3_N6thrust23THRUST_200600_302600_NS10device_ptrIiEENS9_IsEEjNS1_19radix_merge_compareILb0ELb1EiNS0_19identity_decomposerEEEEE10hipError_tT0_T1_T2_jT3_P12ihipStream_tbPNSt15iterator_traitsISG_E10value_typeEPNSM_ISH_E10value_typeEPSI_NS1_7vsmem_tEENKUlT_SG_SH_SI_E_clISA_PiSB_PsEESF_SV_SG_SH_SI_EUlSV_E_NS1_11comp_targetILNS1_3genE9ELNS1_11target_archE1100ELNS1_3gpuE3ELNS1_3repE0EEENS1_48merge_mergepath_partition_config_static_selectorELNS0_4arch9wavefront6targetE1EEEvSH_
    .private_segment_fixed_size: 0
    .sgpr_count:     6
    .sgpr_spill_count: 0
    .symbol:         _ZN7rocprim17ROCPRIM_400000_NS6detail17trampoline_kernelINS0_14default_configENS1_38merge_sort_block_merge_config_selectorIisEEZZNS1_27merge_sort_block_merge_implIS3_N6thrust23THRUST_200600_302600_NS10device_ptrIiEENS9_IsEEjNS1_19radix_merge_compareILb0ELb1EiNS0_19identity_decomposerEEEEE10hipError_tT0_T1_T2_jT3_P12ihipStream_tbPNSt15iterator_traitsISG_E10value_typeEPNSM_ISH_E10value_typeEPSI_NS1_7vsmem_tEENKUlT_SG_SH_SI_E_clISA_PiSB_PsEESF_SV_SG_SH_SI_EUlSV_E_NS1_11comp_targetILNS1_3genE9ELNS1_11target_archE1100ELNS1_3gpuE3ELNS1_3repE0EEENS1_48merge_mergepath_partition_config_static_selectorELNS0_4arch9wavefront6targetE1EEEvSH_.kd
    .uniform_work_group_size: 1
    .uses_dynamic_stack: false
    .vgpr_count:     0
    .vgpr_spill_count: 0
    .wavefront_size: 64
  - .agpr_count:     0
    .args:
      - .offset:         0
        .size:           40
        .value_kind:     by_value
    .group_segment_fixed_size: 0
    .kernarg_segment_align: 8
    .kernarg_segment_size: 40
    .language:       OpenCL C
    .language_version:
      - 2
      - 0
    .max_flat_workgroup_size: 128
    .name:           _ZN7rocprim17ROCPRIM_400000_NS6detail17trampoline_kernelINS0_14default_configENS1_38merge_sort_block_merge_config_selectorIisEEZZNS1_27merge_sort_block_merge_implIS3_N6thrust23THRUST_200600_302600_NS10device_ptrIiEENS9_IsEEjNS1_19radix_merge_compareILb0ELb1EiNS0_19identity_decomposerEEEEE10hipError_tT0_T1_T2_jT3_P12ihipStream_tbPNSt15iterator_traitsISG_E10value_typeEPNSM_ISH_E10value_typeEPSI_NS1_7vsmem_tEENKUlT_SG_SH_SI_E_clISA_PiSB_PsEESF_SV_SG_SH_SI_EUlSV_E_NS1_11comp_targetILNS1_3genE8ELNS1_11target_archE1030ELNS1_3gpuE2ELNS1_3repE0EEENS1_48merge_mergepath_partition_config_static_selectorELNS0_4arch9wavefront6targetE1EEEvSH_
    .private_segment_fixed_size: 0
    .sgpr_count:     6
    .sgpr_spill_count: 0
    .symbol:         _ZN7rocprim17ROCPRIM_400000_NS6detail17trampoline_kernelINS0_14default_configENS1_38merge_sort_block_merge_config_selectorIisEEZZNS1_27merge_sort_block_merge_implIS3_N6thrust23THRUST_200600_302600_NS10device_ptrIiEENS9_IsEEjNS1_19radix_merge_compareILb0ELb1EiNS0_19identity_decomposerEEEEE10hipError_tT0_T1_T2_jT3_P12ihipStream_tbPNSt15iterator_traitsISG_E10value_typeEPNSM_ISH_E10value_typeEPSI_NS1_7vsmem_tEENKUlT_SG_SH_SI_E_clISA_PiSB_PsEESF_SV_SG_SH_SI_EUlSV_E_NS1_11comp_targetILNS1_3genE8ELNS1_11target_archE1030ELNS1_3gpuE2ELNS1_3repE0EEENS1_48merge_mergepath_partition_config_static_selectorELNS0_4arch9wavefront6targetE1EEEvSH_.kd
    .uniform_work_group_size: 1
    .uses_dynamic_stack: false
    .vgpr_count:     0
    .vgpr_spill_count: 0
    .wavefront_size: 64
  - .agpr_count:     0
    .args:
      - .offset:         0
        .size:           64
        .value_kind:     by_value
      - .offset:         64
        .size:           4
        .value_kind:     hidden_block_count_x
      - .offset:         68
        .size:           4
        .value_kind:     hidden_block_count_y
      - .offset:         72
        .size:           4
        .value_kind:     hidden_block_count_z
      - .offset:         76
        .size:           2
        .value_kind:     hidden_group_size_x
      - .offset:         78
        .size:           2
        .value_kind:     hidden_group_size_y
      - .offset:         80
        .size:           2
        .value_kind:     hidden_group_size_z
      - .offset:         82
        .size:           2
        .value_kind:     hidden_remainder_x
      - .offset:         84
        .size:           2
        .value_kind:     hidden_remainder_y
      - .offset:         86
        .size:           2
        .value_kind:     hidden_remainder_z
      - .offset:         104
        .size:           8
        .value_kind:     hidden_global_offset_x
      - .offset:         112
        .size:           8
        .value_kind:     hidden_global_offset_y
      - .offset:         120
        .size:           8
        .value_kind:     hidden_global_offset_z
      - .offset:         128
        .size:           2
        .value_kind:     hidden_grid_dims
    .group_segment_fixed_size: 4224
    .kernarg_segment_align: 8
    .kernarg_segment_size: 320
    .language:       OpenCL C
    .language_version:
      - 2
      - 0
    .max_flat_workgroup_size: 256
    .name:           _ZN7rocprim17ROCPRIM_400000_NS6detail17trampoline_kernelINS0_14default_configENS1_38merge_sort_block_merge_config_selectorIisEEZZNS1_27merge_sort_block_merge_implIS3_N6thrust23THRUST_200600_302600_NS10device_ptrIiEENS9_IsEEjNS1_19radix_merge_compareILb0ELb1EiNS0_19identity_decomposerEEEEE10hipError_tT0_T1_T2_jT3_P12ihipStream_tbPNSt15iterator_traitsISG_E10value_typeEPNSM_ISH_E10value_typeEPSI_NS1_7vsmem_tEENKUlT_SG_SH_SI_E_clISA_PiSB_PsEESF_SV_SG_SH_SI_EUlSV_E0_NS1_11comp_targetILNS1_3genE0ELNS1_11target_archE4294967295ELNS1_3gpuE0ELNS1_3repE0EEENS1_38merge_mergepath_config_static_selectorELNS0_4arch9wavefront6targetE1EEEvSH_
    .private_segment_fixed_size: 0
    .sgpr_count:     37
    .sgpr_spill_count: 0
    .symbol:         _ZN7rocprim17ROCPRIM_400000_NS6detail17trampoline_kernelINS0_14default_configENS1_38merge_sort_block_merge_config_selectorIisEEZZNS1_27merge_sort_block_merge_implIS3_N6thrust23THRUST_200600_302600_NS10device_ptrIiEENS9_IsEEjNS1_19radix_merge_compareILb0ELb1EiNS0_19identity_decomposerEEEEE10hipError_tT0_T1_T2_jT3_P12ihipStream_tbPNSt15iterator_traitsISG_E10value_typeEPNSM_ISH_E10value_typeEPSI_NS1_7vsmem_tEENKUlT_SG_SH_SI_E_clISA_PiSB_PsEESF_SV_SG_SH_SI_EUlSV_E0_NS1_11comp_targetILNS1_3genE0ELNS1_11target_archE4294967295ELNS1_3gpuE0ELNS1_3repE0EEENS1_38merge_mergepath_config_static_selectorELNS0_4arch9wavefront6targetE1EEEvSH_.kd
    .uniform_work_group_size: 1
    .uses_dynamic_stack: false
    .vgpr_count:     25
    .vgpr_spill_count: 0
    .wavefront_size: 64
  - .agpr_count:     0
    .args:
      - .offset:         0
        .size:           64
        .value_kind:     by_value
    .group_segment_fixed_size: 0
    .kernarg_segment_align: 8
    .kernarg_segment_size: 64
    .language:       OpenCL C
    .language_version:
      - 2
      - 0
    .max_flat_workgroup_size: 256
    .name:           _ZN7rocprim17ROCPRIM_400000_NS6detail17trampoline_kernelINS0_14default_configENS1_38merge_sort_block_merge_config_selectorIisEEZZNS1_27merge_sort_block_merge_implIS3_N6thrust23THRUST_200600_302600_NS10device_ptrIiEENS9_IsEEjNS1_19radix_merge_compareILb0ELb1EiNS0_19identity_decomposerEEEEE10hipError_tT0_T1_T2_jT3_P12ihipStream_tbPNSt15iterator_traitsISG_E10value_typeEPNSM_ISH_E10value_typeEPSI_NS1_7vsmem_tEENKUlT_SG_SH_SI_E_clISA_PiSB_PsEESF_SV_SG_SH_SI_EUlSV_E0_NS1_11comp_targetILNS1_3genE10ELNS1_11target_archE1201ELNS1_3gpuE5ELNS1_3repE0EEENS1_38merge_mergepath_config_static_selectorELNS0_4arch9wavefront6targetE1EEEvSH_
    .private_segment_fixed_size: 0
    .sgpr_count:     6
    .sgpr_spill_count: 0
    .symbol:         _ZN7rocprim17ROCPRIM_400000_NS6detail17trampoline_kernelINS0_14default_configENS1_38merge_sort_block_merge_config_selectorIisEEZZNS1_27merge_sort_block_merge_implIS3_N6thrust23THRUST_200600_302600_NS10device_ptrIiEENS9_IsEEjNS1_19radix_merge_compareILb0ELb1EiNS0_19identity_decomposerEEEEE10hipError_tT0_T1_T2_jT3_P12ihipStream_tbPNSt15iterator_traitsISG_E10value_typeEPNSM_ISH_E10value_typeEPSI_NS1_7vsmem_tEENKUlT_SG_SH_SI_E_clISA_PiSB_PsEESF_SV_SG_SH_SI_EUlSV_E0_NS1_11comp_targetILNS1_3genE10ELNS1_11target_archE1201ELNS1_3gpuE5ELNS1_3repE0EEENS1_38merge_mergepath_config_static_selectorELNS0_4arch9wavefront6targetE1EEEvSH_.kd
    .uniform_work_group_size: 1
    .uses_dynamic_stack: false
    .vgpr_count:     0
    .vgpr_spill_count: 0
    .wavefront_size: 64
  - .agpr_count:     0
    .args:
      - .offset:         0
        .size:           64
        .value_kind:     by_value
    .group_segment_fixed_size: 0
    .kernarg_segment_align: 8
    .kernarg_segment_size: 64
    .language:       OpenCL C
    .language_version:
      - 2
      - 0
    .max_flat_workgroup_size: 128
    .name:           _ZN7rocprim17ROCPRIM_400000_NS6detail17trampoline_kernelINS0_14default_configENS1_38merge_sort_block_merge_config_selectorIisEEZZNS1_27merge_sort_block_merge_implIS3_N6thrust23THRUST_200600_302600_NS10device_ptrIiEENS9_IsEEjNS1_19radix_merge_compareILb0ELb1EiNS0_19identity_decomposerEEEEE10hipError_tT0_T1_T2_jT3_P12ihipStream_tbPNSt15iterator_traitsISG_E10value_typeEPNSM_ISH_E10value_typeEPSI_NS1_7vsmem_tEENKUlT_SG_SH_SI_E_clISA_PiSB_PsEESF_SV_SG_SH_SI_EUlSV_E0_NS1_11comp_targetILNS1_3genE5ELNS1_11target_archE942ELNS1_3gpuE9ELNS1_3repE0EEENS1_38merge_mergepath_config_static_selectorELNS0_4arch9wavefront6targetE1EEEvSH_
    .private_segment_fixed_size: 0
    .sgpr_count:     6
    .sgpr_spill_count: 0
    .symbol:         _ZN7rocprim17ROCPRIM_400000_NS6detail17trampoline_kernelINS0_14default_configENS1_38merge_sort_block_merge_config_selectorIisEEZZNS1_27merge_sort_block_merge_implIS3_N6thrust23THRUST_200600_302600_NS10device_ptrIiEENS9_IsEEjNS1_19radix_merge_compareILb0ELb1EiNS0_19identity_decomposerEEEEE10hipError_tT0_T1_T2_jT3_P12ihipStream_tbPNSt15iterator_traitsISG_E10value_typeEPNSM_ISH_E10value_typeEPSI_NS1_7vsmem_tEENKUlT_SG_SH_SI_E_clISA_PiSB_PsEESF_SV_SG_SH_SI_EUlSV_E0_NS1_11comp_targetILNS1_3genE5ELNS1_11target_archE942ELNS1_3gpuE9ELNS1_3repE0EEENS1_38merge_mergepath_config_static_selectorELNS0_4arch9wavefront6targetE1EEEvSH_.kd
    .uniform_work_group_size: 1
    .uses_dynamic_stack: false
    .vgpr_count:     0
    .vgpr_spill_count: 0
    .wavefront_size: 64
  - .agpr_count:     0
    .args:
      - .offset:         0
        .size:           64
        .value_kind:     by_value
    .group_segment_fixed_size: 0
    .kernarg_segment_align: 8
    .kernarg_segment_size: 64
    .language:       OpenCL C
    .language_version:
      - 2
      - 0
    .max_flat_workgroup_size: 128
    .name:           _ZN7rocprim17ROCPRIM_400000_NS6detail17trampoline_kernelINS0_14default_configENS1_38merge_sort_block_merge_config_selectorIisEEZZNS1_27merge_sort_block_merge_implIS3_N6thrust23THRUST_200600_302600_NS10device_ptrIiEENS9_IsEEjNS1_19radix_merge_compareILb0ELb1EiNS0_19identity_decomposerEEEEE10hipError_tT0_T1_T2_jT3_P12ihipStream_tbPNSt15iterator_traitsISG_E10value_typeEPNSM_ISH_E10value_typeEPSI_NS1_7vsmem_tEENKUlT_SG_SH_SI_E_clISA_PiSB_PsEESF_SV_SG_SH_SI_EUlSV_E0_NS1_11comp_targetILNS1_3genE4ELNS1_11target_archE910ELNS1_3gpuE8ELNS1_3repE0EEENS1_38merge_mergepath_config_static_selectorELNS0_4arch9wavefront6targetE1EEEvSH_
    .private_segment_fixed_size: 0
    .sgpr_count:     6
    .sgpr_spill_count: 0
    .symbol:         _ZN7rocprim17ROCPRIM_400000_NS6detail17trampoline_kernelINS0_14default_configENS1_38merge_sort_block_merge_config_selectorIisEEZZNS1_27merge_sort_block_merge_implIS3_N6thrust23THRUST_200600_302600_NS10device_ptrIiEENS9_IsEEjNS1_19radix_merge_compareILb0ELb1EiNS0_19identity_decomposerEEEEE10hipError_tT0_T1_T2_jT3_P12ihipStream_tbPNSt15iterator_traitsISG_E10value_typeEPNSM_ISH_E10value_typeEPSI_NS1_7vsmem_tEENKUlT_SG_SH_SI_E_clISA_PiSB_PsEESF_SV_SG_SH_SI_EUlSV_E0_NS1_11comp_targetILNS1_3genE4ELNS1_11target_archE910ELNS1_3gpuE8ELNS1_3repE0EEENS1_38merge_mergepath_config_static_selectorELNS0_4arch9wavefront6targetE1EEEvSH_.kd
    .uniform_work_group_size: 1
    .uses_dynamic_stack: false
    .vgpr_count:     0
    .vgpr_spill_count: 0
    .wavefront_size: 64
  - .agpr_count:     0
    .args:
      - .offset:         0
        .size:           64
        .value_kind:     by_value
    .group_segment_fixed_size: 0
    .kernarg_segment_align: 8
    .kernarg_segment_size: 64
    .language:       OpenCL C
    .language_version:
      - 2
      - 0
    .max_flat_workgroup_size: 256
    .name:           _ZN7rocprim17ROCPRIM_400000_NS6detail17trampoline_kernelINS0_14default_configENS1_38merge_sort_block_merge_config_selectorIisEEZZNS1_27merge_sort_block_merge_implIS3_N6thrust23THRUST_200600_302600_NS10device_ptrIiEENS9_IsEEjNS1_19radix_merge_compareILb0ELb1EiNS0_19identity_decomposerEEEEE10hipError_tT0_T1_T2_jT3_P12ihipStream_tbPNSt15iterator_traitsISG_E10value_typeEPNSM_ISH_E10value_typeEPSI_NS1_7vsmem_tEENKUlT_SG_SH_SI_E_clISA_PiSB_PsEESF_SV_SG_SH_SI_EUlSV_E0_NS1_11comp_targetILNS1_3genE3ELNS1_11target_archE908ELNS1_3gpuE7ELNS1_3repE0EEENS1_38merge_mergepath_config_static_selectorELNS0_4arch9wavefront6targetE1EEEvSH_
    .private_segment_fixed_size: 0
    .sgpr_count:     6
    .sgpr_spill_count: 0
    .symbol:         _ZN7rocprim17ROCPRIM_400000_NS6detail17trampoline_kernelINS0_14default_configENS1_38merge_sort_block_merge_config_selectorIisEEZZNS1_27merge_sort_block_merge_implIS3_N6thrust23THRUST_200600_302600_NS10device_ptrIiEENS9_IsEEjNS1_19radix_merge_compareILb0ELb1EiNS0_19identity_decomposerEEEEE10hipError_tT0_T1_T2_jT3_P12ihipStream_tbPNSt15iterator_traitsISG_E10value_typeEPNSM_ISH_E10value_typeEPSI_NS1_7vsmem_tEENKUlT_SG_SH_SI_E_clISA_PiSB_PsEESF_SV_SG_SH_SI_EUlSV_E0_NS1_11comp_targetILNS1_3genE3ELNS1_11target_archE908ELNS1_3gpuE7ELNS1_3repE0EEENS1_38merge_mergepath_config_static_selectorELNS0_4arch9wavefront6targetE1EEEvSH_.kd
    .uniform_work_group_size: 1
    .uses_dynamic_stack: false
    .vgpr_count:     0
    .vgpr_spill_count: 0
    .wavefront_size: 64
  - .agpr_count:     0
    .args:
      - .offset:         0
        .size:           64
        .value_kind:     by_value
    .group_segment_fixed_size: 0
    .kernarg_segment_align: 8
    .kernarg_segment_size: 64
    .language:       OpenCL C
    .language_version:
      - 2
      - 0
    .max_flat_workgroup_size: 128
    .name:           _ZN7rocprim17ROCPRIM_400000_NS6detail17trampoline_kernelINS0_14default_configENS1_38merge_sort_block_merge_config_selectorIisEEZZNS1_27merge_sort_block_merge_implIS3_N6thrust23THRUST_200600_302600_NS10device_ptrIiEENS9_IsEEjNS1_19radix_merge_compareILb0ELb1EiNS0_19identity_decomposerEEEEE10hipError_tT0_T1_T2_jT3_P12ihipStream_tbPNSt15iterator_traitsISG_E10value_typeEPNSM_ISH_E10value_typeEPSI_NS1_7vsmem_tEENKUlT_SG_SH_SI_E_clISA_PiSB_PsEESF_SV_SG_SH_SI_EUlSV_E0_NS1_11comp_targetILNS1_3genE2ELNS1_11target_archE906ELNS1_3gpuE6ELNS1_3repE0EEENS1_38merge_mergepath_config_static_selectorELNS0_4arch9wavefront6targetE1EEEvSH_
    .private_segment_fixed_size: 0
    .sgpr_count:     6
    .sgpr_spill_count: 0
    .symbol:         _ZN7rocprim17ROCPRIM_400000_NS6detail17trampoline_kernelINS0_14default_configENS1_38merge_sort_block_merge_config_selectorIisEEZZNS1_27merge_sort_block_merge_implIS3_N6thrust23THRUST_200600_302600_NS10device_ptrIiEENS9_IsEEjNS1_19radix_merge_compareILb0ELb1EiNS0_19identity_decomposerEEEEE10hipError_tT0_T1_T2_jT3_P12ihipStream_tbPNSt15iterator_traitsISG_E10value_typeEPNSM_ISH_E10value_typeEPSI_NS1_7vsmem_tEENKUlT_SG_SH_SI_E_clISA_PiSB_PsEESF_SV_SG_SH_SI_EUlSV_E0_NS1_11comp_targetILNS1_3genE2ELNS1_11target_archE906ELNS1_3gpuE6ELNS1_3repE0EEENS1_38merge_mergepath_config_static_selectorELNS0_4arch9wavefront6targetE1EEEvSH_.kd
    .uniform_work_group_size: 1
    .uses_dynamic_stack: false
    .vgpr_count:     0
    .vgpr_spill_count: 0
    .wavefront_size: 64
  - .agpr_count:     0
    .args:
      - .offset:         0
        .size:           64
        .value_kind:     by_value
    .group_segment_fixed_size: 0
    .kernarg_segment_align: 8
    .kernarg_segment_size: 64
    .language:       OpenCL C
    .language_version:
      - 2
      - 0
    .max_flat_workgroup_size: 256
    .name:           _ZN7rocprim17ROCPRIM_400000_NS6detail17trampoline_kernelINS0_14default_configENS1_38merge_sort_block_merge_config_selectorIisEEZZNS1_27merge_sort_block_merge_implIS3_N6thrust23THRUST_200600_302600_NS10device_ptrIiEENS9_IsEEjNS1_19radix_merge_compareILb0ELb1EiNS0_19identity_decomposerEEEEE10hipError_tT0_T1_T2_jT3_P12ihipStream_tbPNSt15iterator_traitsISG_E10value_typeEPNSM_ISH_E10value_typeEPSI_NS1_7vsmem_tEENKUlT_SG_SH_SI_E_clISA_PiSB_PsEESF_SV_SG_SH_SI_EUlSV_E0_NS1_11comp_targetILNS1_3genE9ELNS1_11target_archE1100ELNS1_3gpuE3ELNS1_3repE0EEENS1_38merge_mergepath_config_static_selectorELNS0_4arch9wavefront6targetE1EEEvSH_
    .private_segment_fixed_size: 0
    .sgpr_count:     6
    .sgpr_spill_count: 0
    .symbol:         _ZN7rocprim17ROCPRIM_400000_NS6detail17trampoline_kernelINS0_14default_configENS1_38merge_sort_block_merge_config_selectorIisEEZZNS1_27merge_sort_block_merge_implIS3_N6thrust23THRUST_200600_302600_NS10device_ptrIiEENS9_IsEEjNS1_19radix_merge_compareILb0ELb1EiNS0_19identity_decomposerEEEEE10hipError_tT0_T1_T2_jT3_P12ihipStream_tbPNSt15iterator_traitsISG_E10value_typeEPNSM_ISH_E10value_typeEPSI_NS1_7vsmem_tEENKUlT_SG_SH_SI_E_clISA_PiSB_PsEESF_SV_SG_SH_SI_EUlSV_E0_NS1_11comp_targetILNS1_3genE9ELNS1_11target_archE1100ELNS1_3gpuE3ELNS1_3repE0EEENS1_38merge_mergepath_config_static_selectorELNS0_4arch9wavefront6targetE1EEEvSH_.kd
    .uniform_work_group_size: 1
    .uses_dynamic_stack: false
    .vgpr_count:     0
    .vgpr_spill_count: 0
    .wavefront_size: 64
  - .agpr_count:     0
    .args:
      - .offset:         0
        .size:           64
        .value_kind:     by_value
    .group_segment_fixed_size: 0
    .kernarg_segment_align: 8
    .kernarg_segment_size: 64
    .language:       OpenCL C
    .language_version:
      - 2
      - 0
    .max_flat_workgroup_size: 512
    .name:           _ZN7rocprim17ROCPRIM_400000_NS6detail17trampoline_kernelINS0_14default_configENS1_38merge_sort_block_merge_config_selectorIisEEZZNS1_27merge_sort_block_merge_implIS3_N6thrust23THRUST_200600_302600_NS10device_ptrIiEENS9_IsEEjNS1_19radix_merge_compareILb0ELb1EiNS0_19identity_decomposerEEEEE10hipError_tT0_T1_T2_jT3_P12ihipStream_tbPNSt15iterator_traitsISG_E10value_typeEPNSM_ISH_E10value_typeEPSI_NS1_7vsmem_tEENKUlT_SG_SH_SI_E_clISA_PiSB_PsEESF_SV_SG_SH_SI_EUlSV_E0_NS1_11comp_targetILNS1_3genE8ELNS1_11target_archE1030ELNS1_3gpuE2ELNS1_3repE0EEENS1_38merge_mergepath_config_static_selectorELNS0_4arch9wavefront6targetE1EEEvSH_
    .private_segment_fixed_size: 0
    .sgpr_count:     6
    .sgpr_spill_count: 0
    .symbol:         _ZN7rocprim17ROCPRIM_400000_NS6detail17trampoline_kernelINS0_14default_configENS1_38merge_sort_block_merge_config_selectorIisEEZZNS1_27merge_sort_block_merge_implIS3_N6thrust23THRUST_200600_302600_NS10device_ptrIiEENS9_IsEEjNS1_19radix_merge_compareILb0ELb1EiNS0_19identity_decomposerEEEEE10hipError_tT0_T1_T2_jT3_P12ihipStream_tbPNSt15iterator_traitsISG_E10value_typeEPNSM_ISH_E10value_typeEPSI_NS1_7vsmem_tEENKUlT_SG_SH_SI_E_clISA_PiSB_PsEESF_SV_SG_SH_SI_EUlSV_E0_NS1_11comp_targetILNS1_3genE8ELNS1_11target_archE1030ELNS1_3gpuE2ELNS1_3repE0EEENS1_38merge_mergepath_config_static_selectorELNS0_4arch9wavefront6targetE1EEEvSH_.kd
    .uniform_work_group_size: 1
    .uses_dynamic_stack: false
    .vgpr_count:     0
    .vgpr_spill_count: 0
    .wavefront_size: 64
  - .agpr_count:     0
    .args:
      - .offset:         0
        .size:           48
        .value_kind:     by_value
    .group_segment_fixed_size: 0
    .kernarg_segment_align: 8
    .kernarg_segment_size: 48
    .language:       OpenCL C
    .language_version:
      - 2
      - 0
    .max_flat_workgroup_size: 256
    .name:           _ZN7rocprim17ROCPRIM_400000_NS6detail17trampoline_kernelINS0_14default_configENS1_38merge_sort_block_merge_config_selectorIisEEZZNS1_27merge_sort_block_merge_implIS3_N6thrust23THRUST_200600_302600_NS10device_ptrIiEENS9_IsEEjNS1_19radix_merge_compareILb0ELb1EiNS0_19identity_decomposerEEEEE10hipError_tT0_T1_T2_jT3_P12ihipStream_tbPNSt15iterator_traitsISG_E10value_typeEPNSM_ISH_E10value_typeEPSI_NS1_7vsmem_tEENKUlT_SG_SH_SI_E_clISA_PiSB_PsEESF_SV_SG_SH_SI_EUlSV_E1_NS1_11comp_targetILNS1_3genE0ELNS1_11target_archE4294967295ELNS1_3gpuE0ELNS1_3repE0EEENS1_36merge_oddeven_config_static_selectorELNS0_4arch9wavefront6targetE1EEEvSH_
    .private_segment_fixed_size: 0
    .sgpr_count:     30
    .sgpr_spill_count: 0
    .symbol:         _ZN7rocprim17ROCPRIM_400000_NS6detail17trampoline_kernelINS0_14default_configENS1_38merge_sort_block_merge_config_selectorIisEEZZNS1_27merge_sort_block_merge_implIS3_N6thrust23THRUST_200600_302600_NS10device_ptrIiEENS9_IsEEjNS1_19radix_merge_compareILb0ELb1EiNS0_19identity_decomposerEEEEE10hipError_tT0_T1_T2_jT3_P12ihipStream_tbPNSt15iterator_traitsISG_E10value_typeEPNSM_ISH_E10value_typeEPSI_NS1_7vsmem_tEENKUlT_SG_SH_SI_E_clISA_PiSB_PsEESF_SV_SG_SH_SI_EUlSV_E1_NS1_11comp_targetILNS1_3genE0ELNS1_11target_archE4294967295ELNS1_3gpuE0ELNS1_3repE0EEENS1_36merge_oddeven_config_static_selectorELNS0_4arch9wavefront6targetE1EEEvSH_.kd
    .uniform_work_group_size: 1
    .uses_dynamic_stack: false
    .vgpr_count:     11
    .vgpr_spill_count: 0
    .wavefront_size: 64
  - .agpr_count:     0
    .args:
      - .offset:         0
        .size:           48
        .value_kind:     by_value
    .group_segment_fixed_size: 0
    .kernarg_segment_align: 8
    .kernarg_segment_size: 48
    .language:       OpenCL C
    .language_version:
      - 2
      - 0
    .max_flat_workgroup_size: 256
    .name:           _ZN7rocprim17ROCPRIM_400000_NS6detail17trampoline_kernelINS0_14default_configENS1_38merge_sort_block_merge_config_selectorIisEEZZNS1_27merge_sort_block_merge_implIS3_N6thrust23THRUST_200600_302600_NS10device_ptrIiEENS9_IsEEjNS1_19radix_merge_compareILb0ELb1EiNS0_19identity_decomposerEEEEE10hipError_tT0_T1_T2_jT3_P12ihipStream_tbPNSt15iterator_traitsISG_E10value_typeEPNSM_ISH_E10value_typeEPSI_NS1_7vsmem_tEENKUlT_SG_SH_SI_E_clISA_PiSB_PsEESF_SV_SG_SH_SI_EUlSV_E1_NS1_11comp_targetILNS1_3genE10ELNS1_11target_archE1201ELNS1_3gpuE5ELNS1_3repE0EEENS1_36merge_oddeven_config_static_selectorELNS0_4arch9wavefront6targetE1EEEvSH_
    .private_segment_fixed_size: 0
    .sgpr_count:     6
    .sgpr_spill_count: 0
    .symbol:         _ZN7rocprim17ROCPRIM_400000_NS6detail17trampoline_kernelINS0_14default_configENS1_38merge_sort_block_merge_config_selectorIisEEZZNS1_27merge_sort_block_merge_implIS3_N6thrust23THRUST_200600_302600_NS10device_ptrIiEENS9_IsEEjNS1_19radix_merge_compareILb0ELb1EiNS0_19identity_decomposerEEEEE10hipError_tT0_T1_T2_jT3_P12ihipStream_tbPNSt15iterator_traitsISG_E10value_typeEPNSM_ISH_E10value_typeEPSI_NS1_7vsmem_tEENKUlT_SG_SH_SI_E_clISA_PiSB_PsEESF_SV_SG_SH_SI_EUlSV_E1_NS1_11comp_targetILNS1_3genE10ELNS1_11target_archE1201ELNS1_3gpuE5ELNS1_3repE0EEENS1_36merge_oddeven_config_static_selectorELNS0_4arch9wavefront6targetE1EEEvSH_.kd
    .uniform_work_group_size: 1
    .uses_dynamic_stack: false
    .vgpr_count:     0
    .vgpr_spill_count: 0
    .wavefront_size: 64
  - .agpr_count:     0
    .args:
      - .offset:         0
        .size:           48
        .value_kind:     by_value
    .group_segment_fixed_size: 0
    .kernarg_segment_align: 8
    .kernarg_segment_size: 48
    .language:       OpenCL C
    .language_version:
      - 2
      - 0
    .max_flat_workgroup_size: 256
    .name:           _ZN7rocprim17ROCPRIM_400000_NS6detail17trampoline_kernelINS0_14default_configENS1_38merge_sort_block_merge_config_selectorIisEEZZNS1_27merge_sort_block_merge_implIS3_N6thrust23THRUST_200600_302600_NS10device_ptrIiEENS9_IsEEjNS1_19radix_merge_compareILb0ELb1EiNS0_19identity_decomposerEEEEE10hipError_tT0_T1_T2_jT3_P12ihipStream_tbPNSt15iterator_traitsISG_E10value_typeEPNSM_ISH_E10value_typeEPSI_NS1_7vsmem_tEENKUlT_SG_SH_SI_E_clISA_PiSB_PsEESF_SV_SG_SH_SI_EUlSV_E1_NS1_11comp_targetILNS1_3genE5ELNS1_11target_archE942ELNS1_3gpuE9ELNS1_3repE0EEENS1_36merge_oddeven_config_static_selectorELNS0_4arch9wavefront6targetE1EEEvSH_
    .private_segment_fixed_size: 0
    .sgpr_count:     6
    .sgpr_spill_count: 0
    .symbol:         _ZN7rocprim17ROCPRIM_400000_NS6detail17trampoline_kernelINS0_14default_configENS1_38merge_sort_block_merge_config_selectorIisEEZZNS1_27merge_sort_block_merge_implIS3_N6thrust23THRUST_200600_302600_NS10device_ptrIiEENS9_IsEEjNS1_19radix_merge_compareILb0ELb1EiNS0_19identity_decomposerEEEEE10hipError_tT0_T1_T2_jT3_P12ihipStream_tbPNSt15iterator_traitsISG_E10value_typeEPNSM_ISH_E10value_typeEPSI_NS1_7vsmem_tEENKUlT_SG_SH_SI_E_clISA_PiSB_PsEESF_SV_SG_SH_SI_EUlSV_E1_NS1_11comp_targetILNS1_3genE5ELNS1_11target_archE942ELNS1_3gpuE9ELNS1_3repE0EEENS1_36merge_oddeven_config_static_selectorELNS0_4arch9wavefront6targetE1EEEvSH_.kd
    .uniform_work_group_size: 1
    .uses_dynamic_stack: false
    .vgpr_count:     0
    .vgpr_spill_count: 0
    .wavefront_size: 64
  - .agpr_count:     0
    .args:
      - .offset:         0
        .size:           48
        .value_kind:     by_value
    .group_segment_fixed_size: 0
    .kernarg_segment_align: 8
    .kernarg_segment_size: 48
    .language:       OpenCL C
    .language_version:
      - 2
      - 0
    .max_flat_workgroup_size: 256
    .name:           _ZN7rocprim17ROCPRIM_400000_NS6detail17trampoline_kernelINS0_14default_configENS1_38merge_sort_block_merge_config_selectorIisEEZZNS1_27merge_sort_block_merge_implIS3_N6thrust23THRUST_200600_302600_NS10device_ptrIiEENS9_IsEEjNS1_19radix_merge_compareILb0ELb1EiNS0_19identity_decomposerEEEEE10hipError_tT0_T1_T2_jT3_P12ihipStream_tbPNSt15iterator_traitsISG_E10value_typeEPNSM_ISH_E10value_typeEPSI_NS1_7vsmem_tEENKUlT_SG_SH_SI_E_clISA_PiSB_PsEESF_SV_SG_SH_SI_EUlSV_E1_NS1_11comp_targetILNS1_3genE4ELNS1_11target_archE910ELNS1_3gpuE8ELNS1_3repE0EEENS1_36merge_oddeven_config_static_selectorELNS0_4arch9wavefront6targetE1EEEvSH_
    .private_segment_fixed_size: 0
    .sgpr_count:     6
    .sgpr_spill_count: 0
    .symbol:         _ZN7rocprim17ROCPRIM_400000_NS6detail17trampoline_kernelINS0_14default_configENS1_38merge_sort_block_merge_config_selectorIisEEZZNS1_27merge_sort_block_merge_implIS3_N6thrust23THRUST_200600_302600_NS10device_ptrIiEENS9_IsEEjNS1_19radix_merge_compareILb0ELb1EiNS0_19identity_decomposerEEEEE10hipError_tT0_T1_T2_jT3_P12ihipStream_tbPNSt15iterator_traitsISG_E10value_typeEPNSM_ISH_E10value_typeEPSI_NS1_7vsmem_tEENKUlT_SG_SH_SI_E_clISA_PiSB_PsEESF_SV_SG_SH_SI_EUlSV_E1_NS1_11comp_targetILNS1_3genE4ELNS1_11target_archE910ELNS1_3gpuE8ELNS1_3repE0EEENS1_36merge_oddeven_config_static_selectorELNS0_4arch9wavefront6targetE1EEEvSH_.kd
    .uniform_work_group_size: 1
    .uses_dynamic_stack: false
    .vgpr_count:     0
    .vgpr_spill_count: 0
    .wavefront_size: 64
  - .agpr_count:     0
    .args:
      - .offset:         0
        .size:           48
        .value_kind:     by_value
    .group_segment_fixed_size: 0
    .kernarg_segment_align: 8
    .kernarg_segment_size: 48
    .language:       OpenCL C
    .language_version:
      - 2
      - 0
    .max_flat_workgroup_size: 256
    .name:           _ZN7rocprim17ROCPRIM_400000_NS6detail17trampoline_kernelINS0_14default_configENS1_38merge_sort_block_merge_config_selectorIisEEZZNS1_27merge_sort_block_merge_implIS3_N6thrust23THRUST_200600_302600_NS10device_ptrIiEENS9_IsEEjNS1_19radix_merge_compareILb0ELb1EiNS0_19identity_decomposerEEEEE10hipError_tT0_T1_T2_jT3_P12ihipStream_tbPNSt15iterator_traitsISG_E10value_typeEPNSM_ISH_E10value_typeEPSI_NS1_7vsmem_tEENKUlT_SG_SH_SI_E_clISA_PiSB_PsEESF_SV_SG_SH_SI_EUlSV_E1_NS1_11comp_targetILNS1_3genE3ELNS1_11target_archE908ELNS1_3gpuE7ELNS1_3repE0EEENS1_36merge_oddeven_config_static_selectorELNS0_4arch9wavefront6targetE1EEEvSH_
    .private_segment_fixed_size: 0
    .sgpr_count:     6
    .sgpr_spill_count: 0
    .symbol:         _ZN7rocprim17ROCPRIM_400000_NS6detail17trampoline_kernelINS0_14default_configENS1_38merge_sort_block_merge_config_selectorIisEEZZNS1_27merge_sort_block_merge_implIS3_N6thrust23THRUST_200600_302600_NS10device_ptrIiEENS9_IsEEjNS1_19radix_merge_compareILb0ELb1EiNS0_19identity_decomposerEEEEE10hipError_tT0_T1_T2_jT3_P12ihipStream_tbPNSt15iterator_traitsISG_E10value_typeEPNSM_ISH_E10value_typeEPSI_NS1_7vsmem_tEENKUlT_SG_SH_SI_E_clISA_PiSB_PsEESF_SV_SG_SH_SI_EUlSV_E1_NS1_11comp_targetILNS1_3genE3ELNS1_11target_archE908ELNS1_3gpuE7ELNS1_3repE0EEENS1_36merge_oddeven_config_static_selectorELNS0_4arch9wavefront6targetE1EEEvSH_.kd
    .uniform_work_group_size: 1
    .uses_dynamic_stack: false
    .vgpr_count:     0
    .vgpr_spill_count: 0
    .wavefront_size: 64
  - .agpr_count:     0
    .args:
      - .offset:         0
        .size:           48
        .value_kind:     by_value
    .group_segment_fixed_size: 0
    .kernarg_segment_align: 8
    .kernarg_segment_size: 48
    .language:       OpenCL C
    .language_version:
      - 2
      - 0
    .max_flat_workgroup_size: 256
    .name:           _ZN7rocprim17ROCPRIM_400000_NS6detail17trampoline_kernelINS0_14default_configENS1_38merge_sort_block_merge_config_selectorIisEEZZNS1_27merge_sort_block_merge_implIS3_N6thrust23THRUST_200600_302600_NS10device_ptrIiEENS9_IsEEjNS1_19radix_merge_compareILb0ELb1EiNS0_19identity_decomposerEEEEE10hipError_tT0_T1_T2_jT3_P12ihipStream_tbPNSt15iterator_traitsISG_E10value_typeEPNSM_ISH_E10value_typeEPSI_NS1_7vsmem_tEENKUlT_SG_SH_SI_E_clISA_PiSB_PsEESF_SV_SG_SH_SI_EUlSV_E1_NS1_11comp_targetILNS1_3genE2ELNS1_11target_archE906ELNS1_3gpuE6ELNS1_3repE0EEENS1_36merge_oddeven_config_static_selectorELNS0_4arch9wavefront6targetE1EEEvSH_
    .private_segment_fixed_size: 0
    .sgpr_count:     6
    .sgpr_spill_count: 0
    .symbol:         _ZN7rocprim17ROCPRIM_400000_NS6detail17trampoline_kernelINS0_14default_configENS1_38merge_sort_block_merge_config_selectorIisEEZZNS1_27merge_sort_block_merge_implIS3_N6thrust23THRUST_200600_302600_NS10device_ptrIiEENS9_IsEEjNS1_19radix_merge_compareILb0ELb1EiNS0_19identity_decomposerEEEEE10hipError_tT0_T1_T2_jT3_P12ihipStream_tbPNSt15iterator_traitsISG_E10value_typeEPNSM_ISH_E10value_typeEPSI_NS1_7vsmem_tEENKUlT_SG_SH_SI_E_clISA_PiSB_PsEESF_SV_SG_SH_SI_EUlSV_E1_NS1_11comp_targetILNS1_3genE2ELNS1_11target_archE906ELNS1_3gpuE6ELNS1_3repE0EEENS1_36merge_oddeven_config_static_selectorELNS0_4arch9wavefront6targetE1EEEvSH_.kd
    .uniform_work_group_size: 1
    .uses_dynamic_stack: false
    .vgpr_count:     0
    .vgpr_spill_count: 0
    .wavefront_size: 64
  - .agpr_count:     0
    .args:
      - .offset:         0
        .size:           48
        .value_kind:     by_value
    .group_segment_fixed_size: 0
    .kernarg_segment_align: 8
    .kernarg_segment_size: 48
    .language:       OpenCL C
    .language_version:
      - 2
      - 0
    .max_flat_workgroup_size: 256
    .name:           _ZN7rocprim17ROCPRIM_400000_NS6detail17trampoline_kernelINS0_14default_configENS1_38merge_sort_block_merge_config_selectorIisEEZZNS1_27merge_sort_block_merge_implIS3_N6thrust23THRUST_200600_302600_NS10device_ptrIiEENS9_IsEEjNS1_19radix_merge_compareILb0ELb1EiNS0_19identity_decomposerEEEEE10hipError_tT0_T1_T2_jT3_P12ihipStream_tbPNSt15iterator_traitsISG_E10value_typeEPNSM_ISH_E10value_typeEPSI_NS1_7vsmem_tEENKUlT_SG_SH_SI_E_clISA_PiSB_PsEESF_SV_SG_SH_SI_EUlSV_E1_NS1_11comp_targetILNS1_3genE9ELNS1_11target_archE1100ELNS1_3gpuE3ELNS1_3repE0EEENS1_36merge_oddeven_config_static_selectorELNS0_4arch9wavefront6targetE1EEEvSH_
    .private_segment_fixed_size: 0
    .sgpr_count:     6
    .sgpr_spill_count: 0
    .symbol:         _ZN7rocprim17ROCPRIM_400000_NS6detail17trampoline_kernelINS0_14default_configENS1_38merge_sort_block_merge_config_selectorIisEEZZNS1_27merge_sort_block_merge_implIS3_N6thrust23THRUST_200600_302600_NS10device_ptrIiEENS9_IsEEjNS1_19radix_merge_compareILb0ELb1EiNS0_19identity_decomposerEEEEE10hipError_tT0_T1_T2_jT3_P12ihipStream_tbPNSt15iterator_traitsISG_E10value_typeEPNSM_ISH_E10value_typeEPSI_NS1_7vsmem_tEENKUlT_SG_SH_SI_E_clISA_PiSB_PsEESF_SV_SG_SH_SI_EUlSV_E1_NS1_11comp_targetILNS1_3genE9ELNS1_11target_archE1100ELNS1_3gpuE3ELNS1_3repE0EEENS1_36merge_oddeven_config_static_selectorELNS0_4arch9wavefront6targetE1EEEvSH_.kd
    .uniform_work_group_size: 1
    .uses_dynamic_stack: false
    .vgpr_count:     0
    .vgpr_spill_count: 0
    .wavefront_size: 64
  - .agpr_count:     0
    .args:
      - .offset:         0
        .size:           48
        .value_kind:     by_value
    .group_segment_fixed_size: 0
    .kernarg_segment_align: 8
    .kernarg_segment_size: 48
    .language:       OpenCL C
    .language_version:
      - 2
      - 0
    .max_flat_workgroup_size: 256
    .name:           _ZN7rocprim17ROCPRIM_400000_NS6detail17trampoline_kernelINS0_14default_configENS1_38merge_sort_block_merge_config_selectorIisEEZZNS1_27merge_sort_block_merge_implIS3_N6thrust23THRUST_200600_302600_NS10device_ptrIiEENS9_IsEEjNS1_19radix_merge_compareILb0ELb1EiNS0_19identity_decomposerEEEEE10hipError_tT0_T1_T2_jT3_P12ihipStream_tbPNSt15iterator_traitsISG_E10value_typeEPNSM_ISH_E10value_typeEPSI_NS1_7vsmem_tEENKUlT_SG_SH_SI_E_clISA_PiSB_PsEESF_SV_SG_SH_SI_EUlSV_E1_NS1_11comp_targetILNS1_3genE8ELNS1_11target_archE1030ELNS1_3gpuE2ELNS1_3repE0EEENS1_36merge_oddeven_config_static_selectorELNS0_4arch9wavefront6targetE1EEEvSH_
    .private_segment_fixed_size: 0
    .sgpr_count:     6
    .sgpr_spill_count: 0
    .symbol:         _ZN7rocprim17ROCPRIM_400000_NS6detail17trampoline_kernelINS0_14default_configENS1_38merge_sort_block_merge_config_selectorIisEEZZNS1_27merge_sort_block_merge_implIS3_N6thrust23THRUST_200600_302600_NS10device_ptrIiEENS9_IsEEjNS1_19radix_merge_compareILb0ELb1EiNS0_19identity_decomposerEEEEE10hipError_tT0_T1_T2_jT3_P12ihipStream_tbPNSt15iterator_traitsISG_E10value_typeEPNSM_ISH_E10value_typeEPSI_NS1_7vsmem_tEENKUlT_SG_SH_SI_E_clISA_PiSB_PsEESF_SV_SG_SH_SI_EUlSV_E1_NS1_11comp_targetILNS1_3genE8ELNS1_11target_archE1030ELNS1_3gpuE2ELNS1_3repE0EEENS1_36merge_oddeven_config_static_selectorELNS0_4arch9wavefront6targetE1EEEvSH_.kd
    .uniform_work_group_size: 1
    .uses_dynamic_stack: false
    .vgpr_count:     0
    .vgpr_spill_count: 0
    .wavefront_size: 64
  - .agpr_count:     0
    .args:
      - .offset:         0
        .size:           40
        .value_kind:     by_value
    .group_segment_fixed_size: 0
    .kernarg_segment_align: 8
    .kernarg_segment_size: 40
    .language:       OpenCL C
    .language_version:
      - 2
      - 0
    .max_flat_workgroup_size: 1024
    .name:           _ZN7rocprim17ROCPRIM_400000_NS6detail17trampoline_kernelINS0_14default_configENS1_35radix_sort_onesweep_config_selectorIisEEZNS1_34radix_sort_onesweep_global_offsetsIS3_Lb0EN6thrust23THRUST_200600_302600_NS10device_ptrIiEENS9_IsEEjNS0_19identity_decomposerEEE10hipError_tT1_T2_PT3_SG_jT4_jjP12ihipStream_tbEUlT_E_NS1_11comp_targetILNS1_3genE0ELNS1_11target_archE4294967295ELNS1_3gpuE0ELNS1_3repE0EEENS1_52radix_sort_onesweep_histogram_config_static_selectorELNS0_4arch9wavefront6targetE1EEEvSE_
    .private_segment_fixed_size: 0
    .sgpr_count:     6
    .sgpr_spill_count: 0
    .symbol:         _ZN7rocprim17ROCPRIM_400000_NS6detail17trampoline_kernelINS0_14default_configENS1_35radix_sort_onesweep_config_selectorIisEEZNS1_34radix_sort_onesweep_global_offsetsIS3_Lb0EN6thrust23THRUST_200600_302600_NS10device_ptrIiEENS9_IsEEjNS0_19identity_decomposerEEE10hipError_tT1_T2_PT3_SG_jT4_jjP12ihipStream_tbEUlT_E_NS1_11comp_targetILNS1_3genE0ELNS1_11target_archE4294967295ELNS1_3gpuE0ELNS1_3repE0EEENS1_52radix_sort_onesweep_histogram_config_static_selectorELNS0_4arch9wavefront6targetE1EEEvSE_.kd
    .uniform_work_group_size: 1
    .uses_dynamic_stack: false
    .vgpr_count:     0
    .vgpr_spill_count: 0
    .wavefront_size: 64
  - .agpr_count:     0
    .args:
      - .offset:         0
        .size:           40
        .value_kind:     by_value
    .group_segment_fixed_size: 16384
    .kernarg_segment_align: 8
    .kernarg_segment_size: 40
    .language:       OpenCL C
    .language_version:
      - 2
      - 0
    .max_flat_workgroup_size: 1024
    .name:           _ZN7rocprim17ROCPRIM_400000_NS6detail17trampoline_kernelINS0_14default_configENS1_35radix_sort_onesweep_config_selectorIisEEZNS1_34radix_sort_onesweep_global_offsetsIS3_Lb0EN6thrust23THRUST_200600_302600_NS10device_ptrIiEENS9_IsEEjNS0_19identity_decomposerEEE10hipError_tT1_T2_PT3_SG_jT4_jjP12ihipStream_tbEUlT_E_NS1_11comp_targetILNS1_3genE6ELNS1_11target_archE950ELNS1_3gpuE13ELNS1_3repE0EEENS1_52radix_sort_onesweep_histogram_config_static_selectorELNS0_4arch9wavefront6targetE1EEEvSE_
    .private_segment_fixed_size: 0
    .sgpr_count:     25
    .sgpr_spill_count: 0
    .symbol:         _ZN7rocprim17ROCPRIM_400000_NS6detail17trampoline_kernelINS0_14default_configENS1_35radix_sort_onesweep_config_selectorIisEEZNS1_34radix_sort_onesweep_global_offsetsIS3_Lb0EN6thrust23THRUST_200600_302600_NS10device_ptrIiEENS9_IsEEjNS0_19identity_decomposerEEE10hipError_tT1_T2_PT3_SG_jT4_jjP12ihipStream_tbEUlT_E_NS1_11comp_targetILNS1_3genE6ELNS1_11target_archE950ELNS1_3gpuE13ELNS1_3repE0EEENS1_52radix_sort_onesweep_histogram_config_static_selectorELNS0_4arch9wavefront6targetE1EEEvSE_.kd
    .uniform_work_group_size: 1
    .uses_dynamic_stack: false
    .vgpr_count:     22
    .vgpr_spill_count: 0
    .wavefront_size: 64
  - .agpr_count:     0
    .args:
      - .offset:         0
        .size:           40
        .value_kind:     by_value
    .group_segment_fixed_size: 0
    .kernarg_segment_align: 8
    .kernarg_segment_size: 40
    .language:       OpenCL C
    .language_version:
      - 2
      - 0
    .max_flat_workgroup_size: 1024
    .name:           _ZN7rocprim17ROCPRIM_400000_NS6detail17trampoline_kernelINS0_14default_configENS1_35radix_sort_onesweep_config_selectorIisEEZNS1_34radix_sort_onesweep_global_offsetsIS3_Lb0EN6thrust23THRUST_200600_302600_NS10device_ptrIiEENS9_IsEEjNS0_19identity_decomposerEEE10hipError_tT1_T2_PT3_SG_jT4_jjP12ihipStream_tbEUlT_E_NS1_11comp_targetILNS1_3genE5ELNS1_11target_archE942ELNS1_3gpuE9ELNS1_3repE0EEENS1_52radix_sort_onesweep_histogram_config_static_selectorELNS0_4arch9wavefront6targetE1EEEvSE_
    .private_segment_fixed_size: 0
    .sgpr_count:     6
    .sgpr_spill_count: 0
    .symbol:         _ZN7rocprim17ROCPRIM_400000_NS6detail17trampoline_kernelINS0_14default_configENS1_35radix_sort_onesweep_config_selectorIisEEZNS1_34radix_sort_onesweep_global_offsetsIS3_Lb0EN6thrust23THRUST_200600_302600_NS10device_ptrIiEENS9_IsEEjNS0_19identity_decomposerEEE10hipError_tT1_T2_PT3_SG_jT4_jjP12ihipStream_tbEUlT_E_NS1_11comp_targetILNS1_3genE5ELNS1_11target_archE942ELNS1_3gpuE9ELNS1_3repE0EEENS1_52radix_sort_onesweep_histogram_config_static_selectorELNS0_4arch9wavefront6targetE1EEEvSE_.kd
    .uniform_work_group_size: 1
    .uses_dynamic_stack: false
    .vgpr_count:     0
    .vgpr_spill_count: 0
    .wavefront_size: 64
  - .agpr_count:     0
    .args:
      - .offset:         0
        .size:           40
        .value_kind:     by_value
    .group_segment_fixed_size: 0
    .kernarg_segment_align: 8
    .kernarg_segment_size: 40
    .language:       OpenCL C
    .language_version:
      - 2
      - 0
    .max_flat_workgroup_size: 512
    .name:           _ZN7rocprim17ROCPRIM_400000_NS6detail17trampoline_kernelINS0_14default_configENS1_35radix_sort_onesweep_config_selectorIisEEZNS1_34radix_sort_onesweep_global_offsetsIS3_Lb0EN6thrust23THRUST_200600_302600_NS10device_ptrIiEENS9_IsEEjNS0_19identity_decomposerEEE10hipError_tT1_T2_PT3_SG_jT4_jjP12ihipStream_tbEUlT_E_NS1_11comp_targetILNS1_3genE2ELNS1_11target_archE906ELNS1_3gpuE6ELNS1_3repE0EEENS1_52radix_sort_onesweep_histogram_config_static_selectorELNS0_4arch9wavefront6targetE1EEEvSE_
    .private_segment_fixed_size: 0
    .sgpr_count:     6
    .sgpr_spill_count: 0
    .symbol:         _ZN7rocprim17ROCPRIM_400000_NS6detail17trampoline_kernelINS0_14default_configENS1_35radix_sort_onesweep_config_selectorIisEEZNS1_34radix_sort_onesweep_global_offsetsIS3_Lb0EN6thrust23THRUST_200600_302600_NS10device_ptrIiEENS9_IsEEjNS0_19identity_decomposerEEE10hipError_tT1_T2_PT3_SG_jT4_jjP12ihipStream_tbEUlT_E_NS1_11comp_targetILNS1_3genE2ELNS1_11target_archE906ELNS1_3gpuE6ELNS1_3repE0EEENS1_52radix_sort_onesweep_histogram_config_static_selectorELNS0_4arch9wavefront6targetE1EEEvSE_.kd
    .uniform_work_group_size: 1
    .uses_dynamic_stack: false
    .vgpr_count:     0
    .vgpr_spill_count: 0
    .wavefront_size: 64
  - .agpr_count:     0
    .args:
      - .offset:         0
        .size:           40
        .value_kind:     by_value
    .group_segment_fixed_size: 0
    .kernarg_segment_align: 8
    .kernarg_segment_size: 40
    .language:       OpenCL C
    .language_version:
      - 2
      - 0
    .max_flat_workgroup_size: 512
    .name:           _ZN7rocprim17ROCPRIM_400000_NS6detail17trampoline_kernelINS0_14default_configENS1_35radix_sort_onesweep_config_selectorIisEEZNS1_34radix_sort_onesweep_global_offsetsIS3_Lb0EN6thrust23THRUST_200600_302600_NS10device_ptrIiEENS9_IsEEjNS0_19identity_decomposerEEE10hipError_tT1_T2_PT3_SG_jT4_jjP12ihipStream_tbEUlT_E_NS1_11comp_targetILNS1_3genE4ELNS1_11target_archE910ELNS1_3gpuE8ELNS1_3repE0EEENS1_52radix_sort_onesweep_histogram_config_static_selectorELNS0_4arch9wavefront6targetE1EEEvSE_
    .private_segment_fixed_size: 0
    .sgpr_count:     6
    .sgpr_spill_count: 0
    .symbol:         _ZN7rocprim17ROCPRIM_400000_NS6detail17trampoline_kernelINS0_14default_configENS1_35radix_sort_onesweep_config_selectorIisEEZNS1_34radix_sort_onesweep_global_offsetsIS3_Lb0EN6thrust23THRUST_200600_302600_NS10device_ptrIiEENS9_IsEEjNS0_19identity_decomposerEEE10hipError_tT1_T2_PT3_SG_jT4_jjP12ihipStream_tbEUlT_E_NS1_11comp_targetILNS1_3genE4ELNS1_11target_archE910ELNS1_3gpuE8ELNS1_3repE0EEENS1_52radix_sort_onesweep_histogram_config_static_selectorELNS0_4arch9wavefront6targetE1EEEvSE_.kd
    .uniform_work_group_size: 1
    .uses_dynamic_stack: false
    .vgpr_count:     0
    .vgpr_spill_count: 0
    .wavefront_size: 64
  - .agpr_count:     0
    .args:
      - .offset:         0
        .size:           40
        .value_kind:     by_value
    .group_segment_fixed_size: 0
    .kernarg_segment_align: 8
    .kernarg_segment_size: 40
    .language:       OpenCL C
    .language_version:
      - 2
      - 0
    .max_flat_workgroup_size: 1024
    .name:           _ZN7rocprim17ROCPRIM_400000_NS6detail17trampoline_kernelINS0_14default_configENS1_35radix_sort_onesweep_config_selectorIisEEZNS1_34radix_sort_onesweep_global_offsetsIS3_Lb0EN6thrust23THRUST_200600_302600_NS10device_ptrIiEENS9_IsEEjNS0_19identity_decomposerEEE10hipError_tT1_T2_PT3_SG_jT4_jjP12ihipStream_tbEUlT_E_NS1_11comp_targetILNS1_3genE3ELNS1_11target_archE908ELNS1_3gpuE7ELNS1_3repE0EEENS1_52radix_sort_onesweep_histogram_config_static_selectorELNS0_4arch9wavefront6targetE1EEEvSE_
    .private_segment_fixed_size: 0
    .sgpr_count:     6
    .sgpr_spill_count: 0
    .symbol:         _ZN7rocprim17ROCPRIM_400000_NS6detail17trampoline_kernelINS0_14default_configENS1_35radix_sort_onesweep_config_selectorIisEEZNS1_34radix_sort_onesweep_global_offsetsIS3_Lb0EN6thrust23THRUST_200600_302600_NS10device_ptrIiEENS9_IsEEjNS0_19identity_decomposerEEE10hipError_tT1_T2_PT3_SG_jT4_jjP12ihipStream_tbEUlT_E_NS1_11comp_targetILNS1_3genE3ELNS1_11target_archE908ELNS1_3gpuE7ELNS1_3repE0EEENS1_52radix_sort_onesweep_histogram_config_static_selectorELNS0_4arch9wavefront6targetE1EEEvSE_.kd
    .uniform_work_group_size: 1
    .uses_dynamic_stack: false
    .vgpr_count:     0
    .vgpr_spill_count: 0
    .wavefront_size: 64
  - .agpr_count:     0
    .args:
      - .offset:         0
        .size:           40
        .value_kind:     by_value
    .group_segment_fixed_size: 0
    .kernarg_segment_align: 8
    .kernarg_segment_size: 40
    .language:       OpenCL C
    .language_version:
      - 2
      - 0
    .max_flat_workgroup_size: 1024
    .name:           _ZN7rocprim17ROCPRIM_400000_NS6detail17trampoline_kernelINS0_14default_configENS1_35radix_sort_onesweep_config_selectorIisEEZNS1_34radix_sort_onesweep_global_offsetsIS3_Lb0EN6thrust23THRUST_200600_302600_NS10device_ptrIiEENS9_IsEEjNS0_19identity_decomposerEEE10hipError_tT1_T2_PT3_SG_jT4_jjP12ihipStream_tbEUlT_E_NS1_11comp_targetILNS1_3genE10ELNS1_11target_archE1201ELNS1_3gpuE5ELNS1_3repE0EEENS1_52radix_sort_onesweep_histogram_config_static_selectorELNS0_4arch9wavefront6targetE1EEEvSE_
    .private_segment_fixed_size: 0
    .sgpr_count:     6
    .sgpr_spill_count: 0
    .symbol:         _ZN7rocprim17ROCPRIM_400000_NS6detail17trampoline_kernelINS0_14default_configENS1_35radix_sort_onesweep_config_selectorIisEEZNS1_34radix_sort_onesweep_global_offsetsIS3_Lb0EN6thrust23THRUST_200600_302600_NS10device_ptrIiEENS9_IsEEjNS0_19identity_decomposerEEE10hipError_tT1_T2_PT3_SG_jT4_jjP12ihipStream_tbEUlT_E_NS1_11comp_targetILNS1_3genE10ELNS1_11target_archE1201ELNS1_3gpuE5ELNS1_3repE0EEENS1_52radix_sort_onesweep_histogram_config_static_selectorELNS0_4arch9wavefront6targetE1EEEvSE_.kd
    .uniform_work_group_size: 1
    .uses_dynamic_stack: false
    .vgpr_count:     0
    .vgpr_spill_count: 0
    .wavefront_size: 64
  - .agpr_count:     0
    .args:
      - .offset:         0
        .size:           40
        .value_kind:     by_value
    .group_segment_fixed_size: 0
    .kernarg_segment_align: 8
    .kernarg_segment_size: 40
    .language:       OpenCL C
    .language_version:
      - 2
      - 0
    .max_flat_workgroup_size: 1024
    .name:           _ZN7rocprim17ROCPRIM_400000_NS6detail17trampoline_kernelINS0_14default_configENS1_35radix_sort_onesweep_config_selectorIisEEZNS1_34radix_sort_onesweep_global_offsetsIS3_Lb0EN6thrust23THRUST_200600_302600_NS10device_ptrIiEENS9_IsEEjNS0_19identity_decomposerEEE10hipError_tT1_T2_PT3_SG_jT4_jjP12ihipStream_tbEUlT_E_NS1_11comp_targetILNS1_3genE9ELNS1_11target_archE1100ELNS1_3gpuE3ELNS1_3repE0EEENS1_52radix_sort_onesweep_histogram_config_static_selectorELNS0_4arch9wavefront6targetE1EEEvSE_
    .private_segment_fixed_size: 0
    .sgpr_count:     6
    .sgpr_spill_count: 0
    .symbol:         _ZN7rocprim17ROCPRIM_400000_NS6detail17trampoline_kernelINS0_14default_configENS1_35radix_sort_onesweep_config_selectorIisEEZNS1_34radix_sort_onesweep_global_offsetsIS3_Lb0EN6thrust23THRUST_200600_302600_NS10device_ptrIiEENS9_IsEEjNS0_19identity_decomposerEEE10hipError_tT1_T2_PT3_SG_jT4_jjP12ihipStream_tbEUlT_E_NS1_11comp_targetILNS1_3genE9ELNS1_11target_archE1100ELNS1_3gpuE3ELNS1_3repE0EEENS1_52radix_sort_onesweep_histogram_config_static_selectorELNS0_4arch9wavefront6targetE1EEEvSE_.kd
    .uniform_work_group_size: 1
    .uses_dynamic_stack: false
    .vgpr_count:     0
    .vgpr_spill_count: 0
    .wavefront_size: 64
  - .agpr_count:     0
    .args:
      - .offset:         0
        .size:           40
        .value_kind:     by_value
    .group_segment_fixed_size: 0
    .kernarg_segment_align: 8
    .kernarg_segment_size: 40
    .language:       OpenCL C
    .language_version:
      - 2
      - 0
    .max_flat_workgroup_size: 1024
    .name:           _ZN7rocprim17ROCPRIM_400000_NS6detail17trampoline_kernelINS0_14default_configENS1_35radix_sort_onesweep_config_selectorIisEEZNS1_34radix_sort_onesweep_global_offsetsIS3_Lb0EN6thrust23THRUST_200600_302600_NS10device_ptrIiEENS9_IsEEjNS0_19identity_decomposerEEE10hipError_tT1_T2_PT3_SG_jT4_jjP12ihipStream_tbEUlT_E_NS1_11comp_targetILNS1_3genE8ELNS1_11target_archE1030ELNS1_3gpuE2ELNS1_3repE0EEENS1_52radix_sort_onesweep_histogram_config_static_selectorELNS0_4arch9wavefront6targetE1EEEvSE_
    .private_segment_fixed_size: 0
    .sgpr_count:     6
    .sgpr_spill_count: 0
    .symbol:         _ZN7rocprim17ROCPRIM_400000_NS6detail17trampoline_kernelINS0_14default_configENS1_35radix_sort_onesweep_config_selectorIisEEZNS1_34radix_sort_onesweep_global_offsetsIS3_Lb0EN6thrust23THRUST_200600_302600_NS10device_ptrIiEENS9_IsEEjNS0_19identity_decomposerEEE10hipError_tT1_T2_PT3_SG_jT4_jjP12ihipStream_tbEUlT_E_NS1_11comp_targetILNS1_3genE8ELNS1_11target_archE1030ELNS1_3gpuE2ELNS1_3repE0EEENS1_52radix_sort_onesweep_histogram_config_static_selectorELNS0_4arch9wavefront6targetE1EEEvSE_.kd
    .uniform_work_group_size: 1
    .uses_dynamic_stack: false
    .vgpr_count:     0
    .vgpr_spill_count: 0
    .wavefront_size: 64
  - .agpr_count:     0
    .args:
      - .address_space:  global
        .offset:         0
        .size:           8
        .value_kind:     global_buffer
    .group_segment_fixed_size: 0
    .kernarg_segment_align: 8
    .kernarg_segment_size: 8
    .language:       OpenCL C
    .language_version:
      - 2
      - 0
    .max_flat_workgroup_size: 1024
    .name:           _ZN7rocprim17ROCPRIM_400000_NS6detail17trampoline_kernelINS0_14default_configENS1_35radix_sort_onesweep_config_selectorIisEEZNS1_34radix_sort_onesweep_global_offsetsIS3_Lb0EN6thrust23THRUST_200600_302600_NS10device_ptrIiEENS9_IsEEjNS0_19identity_decomposerEEE10hipError_tT1_T2_PT3_SG_jT4_jjP12ihipStream_tbEUlT_E0_NS1_11comp_targetILNS1_3genE0ELNS1_11target_archE4294967295ELNS1_3gpuE0ELNS1_3repE0EEENS1_52radix_sort_onesweep_histogram_config_static_selectorELNS0_4arch9wavefront6targetE1EEEvSE_
    .private_segment_fixed_size: 0
    .sgpr_count:     6
    .sgpr_spill_count: 0
    .symbol:         _ZN7rocprim17ROCPRIM_400000_NS6detail17trampoline_kernelINS0_14default_configENS1_35radix_sort_onesweep_config_selectorIisEEZNS1_34radix_sort_onesweep_global_offsetsIS3_Lb0EN6thrust23THRUST_200600_302600_NS10device_ptrIiEENS9_IsEEjNS0_19identity_decomposerEEE10hipError_tT1_T2_PT3_SG_jT4_jjP12ihipStream_tbEUlT_E0_NS1_11comp_targetILNS1_3genE0ELNS1_11target_archE4294967295ELNS1_3gpuE0ELNS1_3repE0EEENS1_52radix_sort_onesweep_histogram_config_static_selectorELNS0_4arch9wavefront6targetE1EEEvSE_.kd
    .uniform_work_group_size: 1
    .uses_dynamic_stack: false
    .vgpr_count:     0
    .vgpr_spill_count: 0
    .wavefront_size: 64
  - .agpr_count:     0
    .args:
      - .address_space:  global
        .offset:         0
        .size:           8
        .value_kind:     global_buffer
    .group_segment_fixed_size: 64
    .kernarg_segment_align: 8
    .kernarg_segment_size: 8
    .language:       OpenCL C
    .language_version:
      - 2
      - 0
    .max_flat_workgroup_size: 1024
    .name:           _ZN7rocprim17ROCPRIM_400000_NS6detail17trampoline_kernelINS0_14default_configENS1_35radix_sort_onesweep_config_selectorIisEEZNS1_34radix_sort_onesweep_global_offsetsIS3_Lb0EN6thrust23THRUST_200600_302600_NS10device_ptrIiEENS9_IsEEjNS0_19identity_decomposerEEE10hipError_tT1_T2_PT3_SG_jT4_jjP12ihipStream_tbEUlT_E0_NS1_11comp_targetILNS1_3genE6ELNS1_11target_archE950ELNS1_3gpuE13ELNS1_3repE0EEENS1_52radix_sort_onesweep_histogram_config_static_selectorELNS0_4arch9wavefront6targetE1EEEvSE_
    .private_segment_fixed_size: 0
    .sgpr_count:     20
    .sgpr_spill_count: 0
    .symbol:         _ZN7rocprim17ROCPRIM_400000_NS6detail17trampoline_kernelINS0_14default_configENS1_35radix_sort_onesweep_config_selectorIisEEZNS1_34radix_sort_onesweep_global_offsetsIS3_Lb0EN6thrust23THRUST_200600_302600_NS10device_ptrIiEENS9_IsEEjNS0_19identity_decomposerEEE10hipError_tT1_T2_PT3_SG_jT4_jjP12ihipStream_tbEUlT_E0_NS1_11comp_targetILNS1_3genE6ELNS1_11target_archE950ELNS1_3gpuE13ELNS1_3repE0EEENS1_52radix_sort_onesweep_histogram_config_static_selectorELNS0_4arch9wavefront6targetE1EEEvSE_.kd
    .uniform_work_group_size: 1
    .uses_dynamic_stack: false
    .vgpr_count:     7
    .vgpr_spill_count: 0
    .wavefront_size: 64
  - .agpr_count:     0
    .args:
      - .address_space:  global
        .offset:         0
        .size:           8
        .value_kind:     global_buffer
    .group_segment_fixed_size: 0
    .kernarg_segment_align: 8
    .kernarg_segment_size: 8
    .language:       OpenCL C
    .language_version:
      - 2
      - 0
    .max_flat_workgroup_size: 1024
    .name:           _ZN7rocprim17ROCPRIM_400000_NS6detail17trampoline_kernelINS0_14default_configENS1_35radix_sort_onesweep_config_selectorIisEEZNS1_34radix_sort_onesweep_global_offsetsIS3_Lb0EN6thrust23THRUST_200600_302600_NS10device_ptrIiEENS9_IsEEjNS0_19identity_decomposerEEE10hipError_tT1_T2_PT3_SG_jT4_jjP12ihipStream_tbEUlT_E0_NS1_11comp_targetILNS1_3genE5ELNS1_11target_archE942ELNS1_3gpuE9ELNS1_3repE0EEENS1_52radix_sort_onesweep_histogram_config_static_selectorELNS0_4arch9wavefront6targetE1EEEvSE_
    .private_segment_fixed_size: 0
    .sgpr_count:     6
    .sgpr_spill_count: 0
    .symbol:         _ZN7rocprim17ROCPRIM_400000_NS6detail17trampoline_kernelINS0_14default_configENS1_35radix_sort_onesweep_config_selectorIisEEZNS1_34radix_sort_onesweep_global_offsetsIS3_Lb0EN6thrust23THRUST_200600_302600_NS10device_ptrIiEENS9_IsEEjNS0_19identity_decomposerEEE10hipError_tT1_T2_PT3_SG_jT4_jjP12ihipStream_tbEUlT_E0_NS1_11comp_targetILNS1_3genE5ELNS1_11target_archE942ELNS1_3gpuE9ELNS1_3repE0EEENS1_52radix_sort_onesweep_histogram_config_static_selectorELNS0_4arch9wavefront6targetE1EEEvSE_.kd
    .uniform_work_group_size: 1
    .uses_dynamic_stack: false
    .vgpr_count:     0
    .vgpr_spill_count: 0
    .wavefront_size: 64
  - .agpr_count:     0
    .args:
      - .address_space:  global
        .offset:         0
        .size:           8
        .value_kind:     global_buffer
    .group_segment_fixed_size: 0
    .kernarg_segment_align: 8
    .kernarg_segment_size: 8
    .language:       OpenCL C
    .language_version:
      - 2
      - 0
    .max_flat_workgroup_size: 512
    .name:           _ZN7rocprim17ROCPRIM_400000_NS6detail17trampoline_kernelINS0_14default_configENS1_35radix_sort_onesweep_config_selectorIisEEZNS1_34radix_sort_onesweep_global_offsetsIS3_Lb0EN6thrust23THRUST_200600_302600_NS10device_ptrIiEENS9_IsEEjNS0_19identity_decomposerEEE10hipError_tT1_T2_PT3_SG_jT4_jjP12ihipStream_tbEUlT_E0_NS1_11comp_targetILNS1_3genE2ELNS1_11target_archE906ELNS1_3gpuE6ELNS1_3repE0EEENS1_52radix_sort_onesweep_histogram_config_static_selectorELNS0_4arch9wavefront6targetE1EEEvSE_
    .private_segment_fixed_size: 0
    .sgpr_count:     6
    .sgpr_spill_count: 0
    .symbol:         _ZN7rocprim17ROCPRIM_400000_NS6detail17trampoline_kernelINS0_14default_configENS1_35radix_sort_onesweep_config_selectorIisEEZNS1_34radix_sort_onesweep_global_offsetsIS3_Lb0EN6thrust23THRUST_200600_302600_NS10device_ptrIiEENS9_IsEEjNS0_19identity_decomposerEEE10hipError_tT1_T2_PT3_SG_jT4_jjP12ihipStream_tbEUlT_E0_NS1_11comp_targetILNS1_3genE2ELNS1_11target_archE906ELNS1_3gpuE6ELNS1_3repE0EEENS1_52radix_sort_onesweep_histogram_config_static_selectorELNS0_4arch9wavefront6targetE1EEEvSE_.kd
    .uniform_work_group_size: 1
    .uses_dynamic_stack: false
    .vgpr_count:     0
    .vgpr_spill_count: 0
    .wavefront_size: 64
  - .agpr_count:     0
    .args:
      - .address_space:  global
        .offset:         0
        .size:           8
        .value_kind:     global_buffer
    .group_segment_fixed_size: 0
    .kernarg_segment_align: 8
    .kernarg_segment_size: 8
    .language:       OpenCL C
    .language_version:
      - 2
      - 0
    .max_flat_workgroup_size: 512
    .name:           _ZN7rocprim17ROCPRIM_400000_NS6detail17trampoline_kernelINS0_14default_configENS1_35radix_sort_onesweep_config_selectorIisEEZNS1_34radix_sort_onesweep_global_offsetsIS3_Lb0EN6thrust23THRUST_200600_302600_NS10device_ptrIiEENS9_IsEEjNS0_19identity_decomposerEEE10hipError_tT1_T2_PT3_SG_jT4_jjP12ihipStream_tbEUlT_E0_NS1_11comp_targetILNS1_3genE4ELNS1_11target_archE910ELNS1_3gpuE8ELNS1_3repE0EEENS1_52radix_sort_onesweep_histogram_config_static_selectorELNS0_4arch9wavefront6targetE1EEEvSE_
    .private_segment_fixed_size: 0
    .sgpr_count:     6
    .sgpr_spill_count: 0
    .symbol:         _ZN7rocprim17ROCPRIM_400000_NS6detail17trampoline_kernelINS0_14default_configENS1_35radix_sort_onesweep_config_selectorIisEEZNS1_34radix_sort_onesweep_global_offsetsIS3_Lb0EN6thrust23THRUST_200600_302600_NS10device_ptrIiEENS9_IsEEjNS0_19identity_decomposerEEE10hipError_tT1_T2_PT3_SG_jT4_jjP12ihipStream_tbEUlT_E0_NS1_11comp_targetILNS1_3genE4ELNS1_11target_archE910ELNS1_3gpuE8ELNS1_3repE0EEENS1_52radix_sort_onesweep_histogram_config_static_selectorELNS0_4arch9wavefront6targetE1EEEvSE_.kd
    .uniform_work_group_size: 1
    .uses_dynamic_stack: false
    .vgpr_count:     0
    .vgpr_spill_count: 0
    .wavefront_size: 64
  - .agpr_count:     0
    .args:
      - .address_space:  global
        .offset:         0
        .size:           8
        .value_kind:     global_buffer
    .group_segment_fixed_size: 0
    .kernarg_segment_align: 8
    .kernarg_segment_size: 8
    .language:       OpenCL C
    .language_version:
      - 2
      - 0
    .max_flat_workgroup_size: 1024
    .name:           _ZN7rocprim17ROCPRIM_400000_NS6detail17trampoline_kernelINS0_14default_configENS1_35radix_sort_onesweep_config_selectorIisEEZNS1_34radix_sort_onesweep_global_offsetsIS3_Lb0EN6thrust23THRUST_200600_302600_NS10device_ptrIiEENS9_IsEEjNS0_19identity_decomposerEEE10hipError_tT1_T2_PT3_SG_jT4_jjP12ihipStream_tbEUlT_E0_NS1_11comp_targetILNS1_3genE3ELNS1_11target_archE908ELNS1_3gpuE7ELNS1_3repE0EEENS1_52radix_sort_onesweep_histogram_config_static_selectorELNS0_4arch9wavefront6targetE1EEEvSE_
    .private_segment_fixed_size: 0
    .sgpr_count:     6
    .sgpr_spill_count: 0
    .symbol:         _ZN7rocprim17ROCPRIM_400000_NS6detail17trampoline_kernelINS0_14default_configENS1_35radix_sort_onesweep_config_selectorIisEEZNS1_34radix_sort_onesweep_global_offsetsIS3_Lb0EN6thrust23THRUST_200600_302600_NS10device_ptrIiEENS9_IsEEjNS0_19identity_decomposerEEE10hipError_tT1_T2_PT3_SG_jT4_jjP12ihipStream_tbEUlT_E0_NS1_11comp_targetILNS1_3genE3ELNS1_11target_archE908ELNS1_3gpuE7ELNS1_3repE0EEENS1_52radix_sort_onesweep_histogram_config_static_selectorELNS0_4arch9wavefront6targetE1EEEvSE_.kd
    .uniform_work_group_size: 1
    .uses_dynamic_stack: false
    .vgpr_count:     0
    .vgpr_spill_count: 0
    .wavefront_size: 64
  - .agpr_count:     0
    .args:
      - .address_space:  global
        .offset:         0
        .size:           8
        .value_kind:     global_buffer
    .group_segment_fixed_size: 0
    .kernarg_segment_align: 8
    .kernarg_segment_size: 8
    .language:       OpenCL C
    .language_version:
      - 2
      - 0
    .max_flat_workgroup_size: 1024
    .name:           _ZN7rocprim17ROCPRIM_400000_NS6detail17trampoline_kernelINS0_14default_configENS1_35radix_sort_onesweep_config_selectorIisEEZNS1_34radix_sort_onesweep_global_offsetsIS3_Lb0EN6thrust23THRUST_200600_302600_NS10device_ptrIiEENS9_IsEEjNS0_19identity_decomposerEEE10hipError_tT1_T2_PT3_SG_jT4_jjP12ihipStream_tbEUlT_E0_NS1_11comp_targetILNS1_3genE10ELNS1_11target_archE1201ELNS1_3gpuE5ELNS1_3repE0EEENS1_52radix_sort_onesweep_histogram_config_static_selectorELNS0_4arch9wavefront6targetE1EEEvSE_
    .private_segment_fixed_size: 0
    .sgpr_count:     6
    .sgpr_spill_count: 0
    .symbol:         _ZN7rocprim17ROCPRIM_400000_NS6detail17trampoline_kernelINS0_14default_configENS1_35radix_sort_onesweep_config_selectorIisEEZNS1_34radix_sort_onesweep_global_offsetsIS3_Lb0EN6thrust23THRUST_200600_302600_NS10device_ptrIiEENS9_IsEEjNS0_19identity_decomposerEEE10hipError_tT1_T2_PT3_SG_jT4_jjP12ihipStream_tbEUlT_E0_NS1_11comp_targetILNS1_3genE10ELNS1_11target_archE1201ELNS1_3gpuE5ELNS1_3repE0EEENS1_52radix_sort_onesweep_histogram_config_static_selectorELNS0_4arch9wavefront6targetE1EEEvSE_.kd
    .uniform_work_group_size: 1
    .uses_dynamic_stack: false
    .vgpr_count:     0
    .vgpr_spill_count: 0
    .wavefront_size: 64
  - .agpr_count:     0
    .args:
      - .address_space:  global
        .offset:         0
        .size:           8
        .value_kind:     global_buffer
    .group_segment_fixed_size: 0
    .kernarg_segment_align: 8
    .kernarg_segment_size: 8
    .language:       OpenCL C
    .language_version:
      - 2
      - 0
    .max_flat_workgroup_size: 1024
    .name:           _ZN7rocprim17ROCPRIM_400000_NS6detail17trampoline_kernelINS0_14default_configENS1_35radix_sort_onesweep_config_selectorIisEEZNS1_34radix_sort_onesweep_global_offsetsIS3_Lb0EN6thrust23THRUST_200600_302600_NS10device_ptrIiEENS9_IsEEjNS0_19identity_decomposerEEE10hipError_tT1_T2_PT3_SG_jT4_jjP12ihipStream_tbEUlT_E0_NS1_11comp_targetILNS1_3genE9ELNS1_11target_archE1100ELNS1_3gpuE3ELNS1_3repE0EEENS1_52radix_sort_onesweep_histogram_config_static_selectorELNS0_4arch9wavefront6targetE1EEEvSE_
    .private_segment_fixed_size: 0
    .sgpr_count:     6
    .sgpr_spill_count: 0
    .symbol:         _ZN7rocprim17ROCPRIM_400000_NS6detail17trampoline_kernelINS0_14default_configENS1_35radix_sort_onesweep_config_selectorIisEEZNS1_34radix_sort_onesweep_global_offsetsIS3_Lb0EN6thrust23THRUST_200600_302600_NS10device_ptrIiEENS9_IsEEjNS0_19identity_decomposerEEE10hipError_tT1_T2_PT3_SG_jT4_jjP12ihipStream_tbEUlT_E0_NS1_11comp_targetILNS1_3genE9ELNS1_11target_archE1100ELNS1_3gpuE3ELNS1_3repE0EEENS1_52radix_sort_onesweep_histogram_config_static_selectorELNS0_4arch9wavefront6targetE1EEEvSE_.kd
    .uniform_work_group_size: 1
    .uses_dynamic_stack: false
    .vgpr_count:     0
    .vgpr_spill_count: 0
    .wavefront_size: 64
  - .agpr_count:     0
    .args:
      - .address_space:  global
        .offset:         0
        .size:           8
        .value_kind:     global_buffer
    .group_segment_fixed_size: 0
    .kernarg_segment_align: 8
    .kernarg_segment_size: 8
    .language:       OpenCL C
    .language_version:
      - 2
      - 0
    .max_flat_workgroup_size: 1024
    .name:           _ZN7rocprim17ROCPRIM_400000_NS6detail17trampoline_kernelINS0_14default_configENS1_35radix_sort_onesweep_config_selectorIisEEZNS1_34radix_sort_onesweep_global_offsetsIS3_Lb0EN6thrust23THRUST_200600_302600_NS10device_ptrIiEENS9_IsEEjNS0_19identity_decomposerEEE10hipError_tT1_T2_PT3_SG_jT4_jjP12ihipStream_tbEUlT_E0_NS1_11comp_targetILNS1_3genE8ELNS1_11target_archE1030ELNS1_3gpuE2ELNS1_3repE0EEENS1_52radix_sort_onesweep_histogram_config_static_selectorELNS0_4arch9wavefront6targetE1EEEvSE_
    .private_segment_fixed_size: 0
    .sgpr_count:     6
    .sgpr_spill_count: 0
    .symbol:         _ZN7rocprim17ROCPRIM_400000_NS6detail17trampoline_kernelINS0_14default_configENS1_35radix_sort_onesweep_config_selectorIisEEZNS1_34radix_sort_onesweep_global_offsetsIS3_Lb0EN6thrust23THRUST_200600_302600_NS10device_ptrIiEENS9_IsEEjNS0_19identity_decomposerEEE10hipError_tT1_T2_PT3_SG_jT4_jjP12ihipStream_tbEUlT_E0_NS1_11comp_targetILNS1_3genE8ELNS1_11target_archE1030ELNS1_3gpuE2ELNS1_3repE0EEENS1_52radix_sort_onesweep_histogram_config_static_selectorELNS0_4arch9wavefront6targetE1EEEvSE_.kd
    .uniform_work_group_size: 1
    .uses_dynamic_stack: false
    .vgpr_count:     0
    .vgpr_spill_count: 0
    .wavefront_size: 64
  - .agpr_count:     0
    .args:
      - .offset:         0
        .size:           40
        .value_kind:     by_value
      - .offset:         40
        .size:           4
        .value_kind:     hidden_block_count_x
      - .offset:         44
        .size:           4
        .value_kind:     hidden_block_count_y
      - .offset:         48
        .size:           4
        .value_kind:     hidden_block_count_z
      - .offset:         52
        .size:           2
        .value_kind:     hidden_group_size_x
      - .offset:         54
        .size:           2
        .value_kind:     hidden_group_size_y
      - .offset:         56
        .size:           2
        .value_kind:     hidden_group_size_z
      - .offset:         58
        .size:           2
        .value_kind:     hidden_remainder_x
      - .offset:         60
        .size:           2
        .value_kind:     hidden_remainder_y
      - .offset:         62
        .size:           2
        .value_kind:     hidden_remainder_z
      - .offset:         80
        .size:           8
        .value_kind:     hidden_global_offset_x
      - .offset:         88
        .size:           8
        .value_kind:     hidden_global_offset_y
      - .offset:         96
        .size:           8
        .value_kind:     hidden_global_offset_z
      - .offset:         104
        .size:           2
        .value_kind:     hidden_grid_dims
    .group_segment_fixed_size: 0
    .kernarg_segment_align: 8
    .kernarg_segment_size: 296
    .language:       OpenCL C
    .language_version:
      - 2
      - 0
    .max_flat_workgroup_size: 128
    .name:           _ZN7rocprim17ROCPRIM_400000_NS6detail17trampoline_kernelINS0_14default_configENS1_25transform_config_selectorIiLb0EEEZNS1_14transform_implILb0ES3_S5_N6thrust23THRUST_200600_302600_NS10device_ptrIiEEPiNS0_8identityIiEEEE10hipError_tT2_T3_mT4_P12ihipStream_tbEUlT_E_NS1_11comp_targetILNS1_3genE0ELNS1_11target_archE4294967295ELNS1_3gpuE0ELNS1_3repE0EEENS1_30default_config_static_selectorELNS0_4arch9wavefront6targetE1EEEvT1_
    .private_segment_fixed_size: 0
    .sgpr_count:     22
    .sgpr_spill_count: 0
    .symbol:         _ZN7rocprim17ROCPRIM_400000_NS6detail17trampoline_kernelINS0_14default_configENS1_25transform_config_selectorIiLb0EEEZNS1_14transform_implILb0ES3_S5_N6thrust23THRUST_200600_302600_NS10device_ptrIiEEPiNS0_8identityIiEEEE10hipError_tT2_T3_mT4_P12ihipStream_tbEUlT_E_NS1_11comp_targetILNS1_3genE0ELNS1_11target_archE4294967295ELNS1_3gpuE0ELNS1_3repE0EEENS1_30default_config_static_selectorELNS0_4arch9wavefront6targetE1EEEvT1_.kd
    .uniform_work_group_size: 1
    .uses_dynamic_stack: false
    .vgpr_count:     7
    .vgpr_spill_count: 0
    .wavefront_size: 64
  - .agpr_count:     0
    .args:
      - .offset:         0
        .size:           40
        .value_kind:     by_value
    .group_segment_fixed_size: 0
    .kernarg_segment_align: 8
    .kernarg_segment_size: 40
    .language:       OpenCL C
    .language_version:
      - 2
      - 0
    .max_flat_workgroup_size: 512
    .name:           _ZN7rocprim17ROCPRIM_400000_NS6detail17trampoline_kernelINS0_14default_configENS1_25transform_config_selectorIiLb0EEEZNS1_14transform_implILb0ES3_S5_N6thrust23THRUST_200600_302600_NS10device_ptrIiEEPiNS0_8identityIiEEEE10hipError_tT2_T3_mT4_P12ihipStream_tbEUlT_E_NS1_11comp_targetILNS1_3genE5ELNS1_11target_archE942ELNS1_3gpuE9ELNS1_3repE0EEENS1_30default_config_static_selectorELNS0_4arch9wavefront6targetE1EEEvT1_
    .private_segment_fixed_size: 0
    .sgpr_count:     6
    .sgpr_spill_count: 0
    .symbol:         _ZN7rocprim17ROCPRIM_400000_NS6detail17trampoline_kernelINS0_14default_configENS1_25transform_config_selectorIiLb0EEEZNS1_14transform_implILb0ES3_S5_N6thrust23THRUST_200600_302600_NS10device_ptrIiEEPiNS0_8identityIiEEEE10hipError_tT2_T3_mT4_P12ihipStream_tbEUlT_E_NS1_11comp_targetILNS1_3genE5ELNS1_11target_archE942ELNS1_3gpuE9ELNS1_3repE0EEENS1_30default_config_static_selectorELNS0_4arch9wavefront6targetE1EEEvT1_.kd
    .uniform_work_group_size: 1
    .uses_dynamic_stack: false
    .vgpr_count:     0
    .vgpr_spill_count: 0
    .wavefront_size: 64
  - .agpr_count:     0
    .args:
      - .offset:         0
        .size:           40
        .value_kind:     by_value
    .group_segment_fixed_size: 0
    .kernarg_segment_align: 8
    .kernarg_segment_size: 40
    .language:       OpenCL C
    .language_version:
      - 2
      - 0
    .max_flat_workgroup_size: 1024
    .name:           _ZN7rocprim17ROCPRIM_400000_NS6detail17trampoline_kernelINS0_14default_configENS1_25transform_config_selectorIiLb0EEEZNS1_14transform_implILb0ES3_S5_N6thrust23THRUST_200600_302600_NS10device_ptrIiEEPiNS0_8identityIiEEEE10hipError_tT2_T3_mT4_P12ihipStream_tbEUlT_E_NS1_11comp_targetILNS1_3genE4ELNS1_11target_archE910ELNS1_3gpuE8ELNS1_3repE0EEENS1_30default_config_static_selectorELNS0_4arch9wavefront6targetE1EEEvT1_
    .private_segment_fixed_size: 0
    .sgpr_count:     6
    .sgpr_spill_count: 0
    .symbol:         _ZN7rocprim17ROCPRIM_400000_NS6detail17trampoline_kernelINS0_14default_configENS1_25transform_config_selectorIiLb0EEEZNS1_14transform_implILb0ES3_S5_N6thrust23THRUST_200600_302600_NS10device_ptrIiEEPiNS0_8identityIiEEEE10hipError_tT2_T3_mT4_P12ihipStream_tbEUlT_E_NS1_11comp_targetILNS1_3genE4ELNS1_11target_archE910ELNS1_3gpuE8ELNS1_3repE0EEENS1_30default_config_static_selectorELNS0_4arch9wavefront6targetE1EEEvT1_.kd
    .uniform_work_group_size: 1
    .uses_dynamic_stack: false
    .vgpr_count:     0
    .vgpr_spill_count: 0
    .wavefront_size: 64
  - .agpr_count:     0
    .args:
      - .offset:         0
        .size:           40
        .value_kind:     by_value
    .group_segment_fixed_size: 0
    .kernarg_segment_align: 8
    .kernarg_segment_size: 40
    .language:       OpenCL C
    .language_version:
      - 2
      - 0
    .max_flat_workgroup_size: 128
    .name:           _ZN7rocprim17ROCPRIM_400000_NS6detail17trampoline_kernelINS0_14default_configENS1_25transform_config_selectorIiLb0EEEZNS1_14transform_implILb0ES3_S5_N6thrust23THRUST_200600_302600_NS10device_ptrIiEEPiNS0_8identityIiEEEE10hipError_tT2_T3_mT4_P12ihipStream_tbEUlT_E_NS1_11comp_targetILNS1_3genE3ELNS1_11target_archE908ELNS1_3gpuE7ELNS1_3repE0EEENS1_30default_config_static_selectorELNS0_4arch9wavefront6targetE1EEEvT1_
    .private_segment_fixed_size: 0
    .sgpr_count:     6
    .sgpr_spill_count: 0
    .symbol:         _ZN7rocprim17ROCPRIM_400000_NS6detail17trampoline_kernelINS0_14default_configENS1_25transform_config_selectorIiLb0EEEZNS1_14transform_implILb0ES3_S5_N6thrust23THRUST_200600_302600_NS10device_ptrIiEEPiNS0_8identityIiEEEE10hipError_tT2_T3_mT4_P12ihipStream_tbEUlT_E_NS1_11comp_targetILNS1_3genE3ELNS1_11target_archE908ELNS1_3gpuE7ELNS1_3repE0EEENS1_30default_config_static_selectorELNS0_4arch9wavefront6targetE1EEEvT1_.kd
    .uniform_work_group_size: 1
    .uses_dynamic_stack: false
    .vgpr_count:     0
    .vgpr_spill_count: 0
    .wavefront_size: 64
  - .agpr_count:     0
    .args:
      - .offset:         0
        .size:           40
        .value_kind:     by_value
    .group_segment_fixed_size: 0
    .kernarg_segment_align: 8
    .kernarg_segment_size: 40
    .language:       OpenCL C
    .language_version:
      - 2
      - 0
    .max_flat_workgroup_size: 1024
    .name:           _ZN7rocprim17ROCPRIM_400000_NS6detail17trampoline_kernelINS0_14default_configENS1_25transform_config_selectorIiLb0EEEZNS1_14transform_implILb0ES3_S5_N6thrust23THRUST_200600_302600_NS10device_ptrIiEEPiNS0_8identityIiEEEE10hipError_tT2_T3_mT4_P12ihipStream_tbEUlT_E_NS1_11comp_targetILNS1_3genE2ELNS1_11target_archE906ELNS1_3gpuE6ELNS1_3repE0EEENS1_30default_config_static_selectorELNS0_4arch9wavefront6targetE1EEEvT1_
    .private_segment_fixed_size: 0
    .sgpr_count:     6
    .sgpr_spill_count: 0
    .symbol:         _ZN7rocprim17ROCPRIM_400000_NS6detail17trampoline_kernelINS0_14default_configENS1_25transform_config_selectorIiLb0EEEZNS1_14transform_implILb0ES3_S5_N6thrust23THRUST_200600_302600_NS10device_ptrIiEEPiNS0_8identityIiEEEE10hipError_tT2_T3_mT4_P12ihipStream_tbEUlT_E_NS1_11comp_targetILNS1_3genE2ELNS1_11target_archE906ELNS1_3gpuE6ELNS1_3repE0EEENS1_30default_config_static_selectorELNS0_4arch9wavefront6targetE1EEEvT1_.kd
    .uniform_work_group_size: 1
    .uses_dynamic_stack: false
    .vgpr_count:     0
    .vgpr_spill_count: 0
    .wavefront_size: 64
  - .agpr_count:     0
    .args:
      - .offset:         0
        .size:           40
        .value_kind:     by_value
    .group_segment_fixed_size: 0
    .kernarg_segment_align: 8
    .kernarg_segment_size: 40
    .language:       OpenCL C
    .language_version:
      - 2
      - 0
    .max_flat_workgroup_size: 1024
    .name:           _ZN7rocprim17ROCPRIM_400000_NS6detail17trampoline_kernelINS0_14default_configENS1_25transform_config_selectorIiLb0EEEZNS1_14transform_implILb0ES3_S5_N6thrust23THRUST_200600_302600_NS10device_ptrIiEEPiNS0_8identityIiEEEE10hipError_tT2_T3_mT4_P12ihipStream_tbEUlT_E_NS1_11comp_targetILNS1_3genE10ELNS1_11target_archE1201ELNS1_3gpuE5ELNS1_3repE0EEENS1_30default_config_static_selectorELNS0_4arch9wavefront6targetE1EEEvT1_
    .private_segment_fixed_size: 0
    .sgpr_count:     6
    .sgpr_spill_count: 0
    .symbol:         _ZN7rocprim17ROCPRIM_400000_NS6detail17trampoline_kernelINS0_14default_configENS1_25transform_config_selectorIiLb0EEEZNS1_14transform_implILb0ES3_S5_N6thrust23THRUST_200600_302600_NS10device_ptrIiEEPiNS0_8identityIiEEEE10hipError_tT2_T3_mT4_P12ihipStream_tbEUlT_E_NS1_11comp_targetILNS1_3genE10ELNS1_11target_archE1201ELNS1_3gpuE5ELNS1_3repE0EEENS1_30default_config_static_selectorELNS0_4arch9wavefront6targetE1EEEvT1_.kd
    .uniform_work_group_size: 1
    .uses_dynamic_stack: false
    .vgpr_count:     0
    .vgpr_spill_count: 0
    .wavefront_size: 64
  - .agpr_count:     0
    .args:
      - .offset:         0
        .size:           40
        .value_kind:     by_value
    .group_segment_fixed_size: 0
    .kernarg_segment_align: 8
    .kernarg_segment_size: 40
    .language:       OpenCL C
    .language_version:
      - 2
      - 0
    .max_flat_workgroup_size: 512
    .name:           _ZN7rocprim17ROCPRIM_400000_NS6detail17trampoline_kernelINS0_14default_configENS1_25transform_config_selectorIiLb0EEEZNS1_14transform_implILb0ES3_S5_N6thrust23THRUST_200600_302600_NS10device_ptrIiEEPiNS0_8identityIiEEEE10hipError_tT2_T3_mT4_P12ihipStream_tbEUlT_E_NS1_11comp_targetILNS1_3genE10ELNS1_11target_archE1200ELNS1_3gpuE4ELNS1_3repE0EEENS1_30default_config_static_selectorELNS0_4arch9wavefront6targetE1EEEvT1_
    .private_segment_fixed_size: 0
    .sgpr_count:     6
    .sgpr_spill_count: 0
    .symbol:         _ZN7rocprim17ROCPRIM_400000_NS6detail17trampoline_kernelINS0_14default_configENS1_25transform_config_selectorIiLb0EEEZNS1_14transform_implILb0ES3_S5_N6thrust23THRUST_200600_302600_NS10device_ptrIiEEPiNS0_8identityIiEEEE10hipError_tT2_T3_mT4_P12ihipStream_tbEUlT_E_NS1_11comp_targetILNS1_3genE10ELNS1_11target_archE1200ELNS1_3gpuE4ELNS1_3repE0EEENS1_30default_config_static_selectorELNS0_4arch9wavefront6targetE1EEEvT1_.kd
    .uniform_work_group_size: 1
    .uses_dynamic_stack: false
    .vgpr_count:     0
    .vgpr_spill_count: 0
    .wavefront_size: 64
  - .agpr_count:     0
    .args:
      - .offset:         0
        .size:           40
        .value_kind:     by_value
    .group_segment_fixed_size: 0
    .kernarg_segment_align: 8
    .kernarg_segment_size: 40
    .language:       OpenCL C
    .language_version:
      - 2
      - 0
    .max_flat_workgroup_size: 64
    .name:           _ZN7rocprim17ROCPRIM_400000_NS6detail17trampoline_kernelINS0_14default_configENS1_25transform_config_selectorIiLb0EEEZNS1_14transform_implILb0ES3_S5_N6thrust23THRUST_200600_302600_NS10device_ptrIiEEPiNS0_8identityIiEEEE10hipError_tT2_T3_mT4_P12ihipStream_tbEUlT_E_NS1_11comp_targetILNS1_3genE9ELNS1_11target_archE1100ELNS1_3gpuE3ELNS1_3repE0EEENS1_30default_config_static_selectorELNS0_4arch9wavefront6targetE1EEEvT1_
    .private_segment_fixed_size: 0
    .sgpr_count:     6
    .sgpr_spill_count: 0
    .symbol:         _ZN7rocprim17ROCPRIM_400000_NS6detail17trampoline_kernelINS0_14default_configENS1_25transform_config_selectorIiLb0EEEZNS1_14transform_implILb0ES3_S5_N6thrust23THRUST_200600_302600_NS10device_ptrIiEEPiNS0_8identityIiEEEE10hipError_tT2_T3_mT4_P12ihipStream_tbEUlT_E_NS1_11comp_targetILNS1_3genE9ELNS1_11target_archE1100ELNS1_3gpuE3ELNS1_3repE0EEENS1_30default_config_static_selectorELNS0_4arch9wavefront6targetE1EEEvT1_.kd
    .uniform_work_group_size: 1
    .uses_dynamic_stack: false
    .vgpr_count:     0
    .vgpr_spill_count: 0
    .wavefront_size: 64
  - .agpr_count:     0
    .args:
      - .offset:         0
        .size:           40
        .value_kind:     by_value
    .group_segment_fixed_size: 0
    .kernarg_segment_align: 8
    .kernarg_segment_size: 40
    .language:       OpenCL C
    .language_version:
      - 2
      - 0
    .max_flat_workgroup_size: 256
    .name:           _ZN7rocprim17ROCPRIM_400000_NS6detail17trampoline_kernelINS0_14default_configENS1_25transform_config_selectorIiLb0EEEZNS1_14transform_implILb0ES3_S5_N6thrust23THRUST_200600_302600_NS10device_ptrIiEEPiNS0_8identityIiEEEE10hipError_tT2_T3_mT4_P12ihipStream_tbEUlT_E_NS1_11comp_targetILNS1_3genE8ELNS1_11target_archE1030ELNS1_3gpuE2ELNS1_3repE0EEENS1_30default_config_static_selectorELNS0_4arch9wavefront6targetE1EEEvT1_
    .private_segment_fixed_size: 0
    .sgpr_count:     6
    .sgpr_spill_count: 0
    .symbol:         _ZN7rocprim17ROCPRIM_400000_NS6detail17trampoline_kernelINS0_14default_configENS1_25transform_config_selectorIiLb0EEEZNS1_14transform_implILb0ES3_S5_N6thrust23THRUST_200600_302600_NS10device_ptrIiEEPiNS0_8identityIiEEEE10hipError_tT2_T3_mT4_P12ihipStream_tbEUlT_E_NS1_11comp_targetILNS1_3genE8ELNS1_11target_archE1030ELNS1_3gpuE2ELNS1_3repE0EEENS1_30default_config_static_selectorELNS0_4arch9wavefront6targetE1EEEvT1_.kd
    .uniform_work_group_size: 1
    .uses_dynamic_stack: false
    .vgpr_count:     0
    .vgpr_spill_count: 0
    .wavefront_size: 64
  - .agpr_count:     0
    .args:
      - .offset:         0
        .size:           40
        .value_kind:     by_value
      - .offset:         40
        .size:           4
        .value_kind:     hidden_block_count_x
      - .offset:         44
        .size:           4
        .value_kind:     hidden_block_count_y
      - .offset:         48
        .size:           4
        .value_kind:     hidden_block_count_z
      - .offset:         52
        .size:           2
        .value_kind:     hidden_group_size_x
      - .offset:         54
        .size:           2
        .value_kind:     hidden_group_size_y
      - .offset:         56
        .size:           2
        .value_kind:     hidden_group_size_z
      - .offset:         58
        .size:           2
        .value_kind:     hidden_remainder_x
      - .offset:         60
        .size:           2
        .value_kind:     hidden_remainder_y
      - .offset:         62
        .size:           2
        .value_kind:     hidden_remainder_z
      - .offset:         80
        .size:           8
        .value_kind:     hidden_global_offset_x
      - .offset:         88
        .size:           8
        .value_kind:     hidden_global_offset_y
      - .offset:         96
        .size:           8
        .value_kind:     hidden_global_offset_z
      - .offset:         104
        .size:           2
        .value_kind:     hidden_grid_dims
    .group_segment_fixed_size: 0
    .kernarg_segment_align: 8
    .kernarg_segment_size: 296
    .language:       OpenCL C
    .language_version:
      - 2
      - 0
    .max_flat_workgroup_size: 128
    .name:           _ZN7rocprim17ROCPRIM_400000_NS6detail17trampoline_kernelINS0_14default_configENS1_25transform_config_selectorIsLb0EEEZNS1_14transform_implILb0ES3_S5_N6thrust23THRUST_200600_302600_NS10device_ptrIsEEPsNS0_8identityIsEEEE10hipError_tT2_T3_mT4_P12ihipStream_tbEUlT_E_NS1_11comp_targetILNS1_3genE0ELNS1_11target_archE4294967295ELNS1_3gpuE0ELNS1_3repE0EEENS1_30default_config_static_selectorELNS0_4arch9wavefront6targetE1EEEvT1_
    .private_segment_fixed_size: 0
    .sgpr_count:     26
    .sgpr_spill_count: 0
    .symbol:         _ZN7rocprim17ROCPRIM_400000_NS6detail17trampoline_kernelINS0_14default_configENS1_25transform_config_selectorIsLb0EEEZNS1_14transform_implILb0ES3_S5_N6thrust23THRUST_200600_302600_NS10device_ptrIsEEPsNS0_8identityIsEEEE10hipError_tT2_T3_mT4_P12ihipStream_tbEUlT_E_NS1_11comp_targetILNS1_3genE0ELNS1_11target_archE4294967295ELNS1_3gpuE0ELNS1_3repE0EEENS1_30default_config_static_selectorELNS0_4arch9wavefront6targetE1EEEvT1_.kd
    .uniform_work_group_size: 1
    .uses_dynamic_stack: false
    .vgpr_count:     11
    .vgpr_spill_count: 0
    .wavefront_size: 64
  - .agpr_count:     0
    .args:
      - .offset:         0
        .size:           40
        .value_kind:     by_value
    .group_segment_fixed_size: 0
    .kernarg_segment_align: 8
    .kernarg_segment_size: 40
    .language:       OpenCL C
    .language_version:
      - 2
      - 0
    .max_flat_workgroup_size: 256
    .name:           _ZN7rocprim17ROCPRIM_400000_NS6detail17trampoline_kernelINS0_14default_configENS1_25transform_config_selectorIsLb0EEEZNS1_14transform_implILb0ES3_S5_N6thrust23THRUST_200600_302600_NS10device_ptrIsEEPsNS0_8identityIsEEEE10hipError_tT2_T3_mT4_P12ihipStream_tbEUlT_E_NS1_11comp_targetILNS1_3genE5ELNS1_11target_archE942ELNS1_3gpuE9ELNS1_3repE0EEENS1_30default_config_static_selectorELNS0_4arch9wavefront6targetE1EEEvT1_
    .private_segment_fixed_size: 0
    .sgpr_count:     6
    .sgpr_spill_count: 0
    .symbol:         _ZN7rocprim17ROCPRIM_400000_NS6detail17trampoline_kernelINS0_14default_configENS1_25transform_config_selectorIsLb0EEEZNS1_14transform_implILb0ES3_S5_N6thrust23THRUST_200600_302600_NS10device_ptrIsEEPsNS0_8identityIsEEEE10hipError_tT2_T3_mT4_P12ihipStream_tbEUlT_E_NS1_11comp_targetILNS1_3genE5ELNS1_11target_archE942ELNS1_3gpuE9ELNS1_3repE0EEENS1_30default_config_static_selectorELNS0_4arch9wavefront6targetE1EEEvT1_.kd
    .uniform_work_group_size: 1
    .uses_dynamic_stack: false
    .vgpr_count:     0
    .vgpr_spill_count: 0
    .wavefront_size: 64
  - .agpr_count:     0
    .args:
      - .offset:         0
        .size:           40
        .value_kind:     by_value
    .group_segment_fixed_size: 0
    .kernarg_segment_align: 8
    .kernarg_segment_size: 40
    .language:       OpenCL C
    .language_version:
      - 2
      - 0
    .max_flat_workgroup_size: 64
    .name:           _ZN7rocprim17ROCPRIM_400000_NS6detail17trampoline_kernelINS0_14default_configENS1_25transform_config_selectorIsLb0EEEZNS1_14transform_implILb0ES3_S5_N6thrust23THRUST_200600_302600_NS10device_ptrIsEEPsNS0_8identityIsEEEE10hipError_tT2_T3_mT4_P12ihipStream_tbEUlT_E_NS1_11comp_targetILNS1_3genE4ELNS1_11target_archE910ELNS1_3gpuE8ELNS1_3repE0EEENS1_30default_config_static_selectorELNS0_4arch9wavefront6targetE1EEEvT1_
    .private_segment_fixed_size: 0
    .sgpr_count:     6
    .sgpr_spill_count: 0
    .symbol:         _ZN7rocprim17ROCPRIM_400000_NS6detail17trampoline_kernelINS0_14default_configENS1_25transform_config_selectorIsLb0EEEZNS1_14transform_implILb0ES3_S5_N6thrust23THRUST_200600_302600_NS10device_ptrIsEEPsNS0_8identityIsEEEE10hipError_tT2_T3_mT4_P12ihipStream_tbEUlT_E_NS1_11comp_targetILNS1_3genE4ELNS1_11target_archE910ELNS1_3gpuE8ELNS1_3repE0EEENS1_30default_config_static_selectorELNS0_4arch9wavefront6targetE1EEEvT1_.kd
    .uniform_work_group_size: 1
    .uses_dynamic_stack: false
    .vgpr_count:     0
    .vgpr_spill_count: 0
    .wavefront_size: 64
  - .agpr_count:     0
    .args:
      - .offset:         0
        .size:           40
        .value_kind:     by_value
    .group_segment_fixed_size: 0
    .kernarg_segment_align: 8
    .kernarg_segment_size: 40
    .language:       OpenCL C
    .language_version:
      - 2
      - 0
    .max_flat_workgroup_size: 128
    .name:           _ZN7rocprim17ROCPRIM_400000_NS6detail17trampoline_kernelINS0_14default_configENS1_25transform_config_selectorIsLb0EEEZNS1_14transform_implILb0ES3_S5_N6thrust23THRUST_200600_302600_NS10device_ptrIsEEPsNS0_8identityIsEEEE10hipError_tT2_T3_mT4_P12ihipStream_tbEUlT_E_NS1_11comp_targetILNS1_3genE3ELNS1_11target_archE908ELNS1_3gpuE7ELNS1_3repE0EEENS1_30default_config_static_selectorELNS0_4arch9wavefront6targetE1EEEvT1_
    .private_segment_fixed_size: 0
    .sgpr_count:     6
    .sgpr_spill_count: 0
    .symbol:         _ZN7rocprim17ROCPRIM_400000_NS6detail17trampoline_kernelINS0_14default_configENS1_25transform_config_selectorIsLb0EEEZNS1_14transform_implILb0ES3_S5_N6thrust23THRUST_200600_302600_NS10device_ptrIsEEPsNS0_8identityIsEEEE10hipError_tT2_T3_mT4_P12ihipStream_tbEUlT_E_NS1_11comp_targetILNS1_3genE3ELNS1_11target_archE908ELNS1_3gpuE7ELNS1_3repE0EEENS1_30default_config_static_selectorELNS0_4arch9wavefront6targetE1EEEvT1_.kd
    .uniform_work_group_size: 1
    .uses_dynamic_stack: false
    .vgpr_count:     0
    .vgpr_spill_count: 0
    .wavefront_size: 64
  - .agpr_count:     0
    .args:
      - .offset:         0
        .size:           40
        .value_kind:     by_value
    .group_segment_fixed_size: 0
    .kernarg_segment_align: 8
    .kernarg_segment_size: 40
    .language:       OpenCL C
    .language_version:
      - 2
      - 0
    .max_flat_workgroup_size: 512
    .name:           _ZN7rocprim17ROCPRIM_400000_NS6detail17trampoline_kernelINS0_14default_configENS1_25transform_config_selectorIsLb0EEEZNS1_14transform_implILb0ES3_S5_N6thrust23THRUST_200600_302600_NS10device_ptrIsEEPsNS0_8identityIsEEEE10hipError_tT2_T3_mT4_P12ihipStream_tbEUlT_E_NS1_11comp_targetILNS1_3genE2ELNS1_11target_archE906ELNS1_3gpuE6ELNS1_3repE0EEENS1_30default_config_static_selectorELNS0_4arch9wavefront6targetE1EEEvT1_
    .private_segment_fixed_size: 0
    .sgpr_count:     6
    .sgpr_spill_count: 0
    .symbol:         _ZN7rocprim17ROCPRIM_400000_NS6detail17trampoline_kernelINS0_14default_configENS1_25transform_config_selectorIsLb0EEEZNS1_14transform_implILb0ES3_S5_N6thrust23THRUST_200600_302600_NS10device_ptrIsEEPsNS0_8identityIsEEEE10hipError_tT2_T3_mT4_P12ihipStream_tbEUlT_E_NS1_11comp_targetILNS1_3genE2ELNS1_11target_archE906ELNS1_3gpuE6ELNS1_3repE0EEENS1_30default_config_static_selectorELNS0_4arch9wavefront6targetE1EEEvT1_.kd
    .uniform_work_group_size: 1
    .uses_dynamic_stack: false
    .vgpr_count:     0
    .vgpr_spill_count: 0
    .wavefront_size: 64
  - .agpr_count:     0
    .args:
      - .offset:         0
        .size:           40
        .value_kind:     by_value
    .group_segment_fixed_size: 0
    .kernarg_segment_align: 8
    .kernarg_segment_size: 40
    .language:       OpenCL C
    .language_version:
      - 2
      - 0
    .max_flat_workgroup_size: 1024
    .name:           _ZN7rocprim17ROCPRIM_400000_NS6detail17trampoline_kernelINS0_14default_configENS1_25transform_config_selectorIsLb0EEEZNS1_14transform_implILb0ES3_S5_N6thrust23THRUST_200600_302600_NS10device_ptrIsEEPsNS0_8identityIsEEEE10hipError_tT2_T3_mT4_P12ihipStream_tbEUlT_E_NS1_11comp_targetILNS1_3genE10ELNS1_11target_archE1201ELNS1_3gpuE5ELNS1_3repE0EEENS1_30default_config_static_selectorELNS0_4arch9wavefront6targetE1EEEvT1_
    .private_segment_fixed_size: 0
    .sgpr_count:     6
    .sgpr_spill_count: 0
    .symbol:         _ZN7rocprim17ROCPRIM_400000_NS6detail17trampoline_kernelINS0_14default_configENS1_25transform_config_selectorIsLb0EEEZNS1_14transform_implILb0ES3_S5_N6thrust23THRUST_200600_302600_NS10device_ptrIsEEPsNS0_8identityIsEEEE10hipError_tT2_T3_mT4_P12ihipStream_tbEUlT_E_NS1_11comp_targetILNS1_3genE10ELNS1_11target_archE1201ELNS1_3gpuE5ELNS1_3repE0EEENS1_30default_config_static_selectorELNS0_4arch9wavefront6targetE1EEEvT1_.kd
    .uniform_work_group_size: 1
    .uses_dynamic_stack: false
    .vgpr_count:     0
    .vgpr_spill_count: 0
    .wavefront_size: 64
  - .agpr_count:     0
    .args:
      - .offset:         0
        .size:           40
        .value_kind:     by_value
    .group_segment_fixed_size: 0
    .kernarg_segment_align: 8
    .kernarg_segment_size: 40
    .language:       OpenCL C
    .language_version:
      - 2
      - 0
    .max_flat_workgroup_size: 512
    .name:           _ZN7rocprim17ROCPRIM_400000_NS6detail17trampoline_kernelINS0_14default_configENS1_25transform_config_selectorIsLb0EEEZNS1_14transform_implILb0ES3_S5_N6thrust23THRUST_200600_302600_NS10device_ptrIsEEPsNS0_8identityIsEEEE10hipError_tT2_T3_mT4_P12ihipStream_tbEUlT_E_NS1_11comp_targetILNS1_3genE10ELNS1_11target_archE1200ELNS1_3gpuE4ELNS1_3repE0EEENS1_30default_config_static_selectorELNS0_4arch9wavefront6targetE1EEEvT1_
    .private_segment_fixed_size: 0
    .sgpr_count:     6
    .sgpr_spill_count: 0
    .symbol:         _ZN7rocprim17ROCPRIM_400000_NS6detail17trampoline_kernelINS0_14default_configENS1_25transform_config_selectorIsLb0EEEZNS1_14transform_implILb0ES3_S5_N6thrust23THRUST_200600_302600_NS10device_ptrIsEEPsNS0_8identityIsEEEE10hipError_tT2_T3_mT4_P12ihipStream_tbEUlT_E_NS1_11comp_targetILNS1_3genE10ELNS1_11target_archE1200ELNS1_3gpuE4ELNS1_3repE0EEENS1_30default_config_static_selectorELNS0_4arch9wavefront6targetE1EEEvT1_.kd
    .uniform_work_group_size: 1
    .uses_dynamic_stack: false
    .vgpr_count:     0
    .vgpr_spill_count: 0
    .wavefront_size: 64
  - .agpr_count:     0
    .args:
      - .offset:         0
        .size:           40
        .value_kind:     by_value
    .group_segment_fixed_size: 0
    .kernarg_segment_align: 8
    .kernarg_segment_size: 40
    .language:       OpenCL C
    .language_version:
      - 2
      - 0
    .max_flat_workgroup_size: 1024
    .name:           _ZN7rocprim17ROCPRIM_400000_NS6detail17trampoline_kernelINS0_14default_configENS1_25transform_config_selectorIsLb0EEEZNS1_14transform_implILb0ES3_S5_N6thrust23THRUST_200600_302600_NS10device_ptrIsEEPsNS0_8identityIsEEEE10hipError_tT2_T3_mT4_P12ihipStream_tbEUlT_E_NS1_11comp_targetILNS1_3genE9ELNS1_11target_archE1100ELNS1_3gpuE3ELNS1_3repE0EEENS1_30default_config_static_selectorELNS0_4arch9wavefront6targetE1EEEvT1_
    .private_segment_fixed_size: 0
    .sgpr_count:     6
    .sgpr_spill_count: 0
    .symbol:         _ZN7rocprim17ROCPRIM_400000_NS6detail17trampoline_kernelINS0_14default_configENS1_25transform_config_selectorIsLb0EEEZNS1_14transform_implILb0ES3_S5_N6thrust23THRUST_200600_302600_NS10device_ptrIsEEPsNS0_8identityIsEEEE10hipError_tT2_T3_mT4_P12ihipStream_tbEUlT_E_NS1_11comp_targetILNS1_3genE9ELNS1_11target_archE1100ELNS1_3gpuE3ELNS1_3repE0EEENS1_30default_config_static_selectorELNS0_4arch9wavefront6targetE1EEEvT1_.kd
    .uniform_work_group_size: 1
    .uses_dynamic_stack: false
    .vgpr_count:     0
    .vgpr_spill_count: 0
    .wavefront_size: 64
  - .agpr_count:     0
    .args:
      - .offset:         0
        .size:           40
        .value_kind:     by_value
    .group_segment_fixed_size: 0
    .kernarg_segment_align: 8
    .kernarg_segment_size: 40
    .language:       OpenCL C
    .language_version:
      - 2
      - 0
    .max_flat_workgroup_size: 1024
    .name:           _ZN7rocprim17ROCPRIM_400000_NS6detail17trampoline_kernelINS0_14default_configENS1_25transform_config_selectorIsLb0EEEZNS1_14transform_implILb0ES3_S5_N6thrust23THRUST_200600_302600_NS10device_ptrIsEEPsNS0_8identityIsEEEE10hipError_tT2_T3_mT4_P12ihipStream_tbEUlT_E_NS1_11comp_targetILNS1_3genE8ELNS1_11target_archE1030ELNS1_3gpuE2ELNS1_3repE0EEENS1_30default_config_static_selectorELNS0_4arch9wavefront6targetE1EEEvT1_
    .private_segment_fixed_size: 0
    .sgpr_count:     6
    .sgpr_spill_count: 0
    .symbol:         _ZN7rocprim17ROCPRIM_400000_NS6detail17trampoline_kernelINS0_14default_configENS1_25transform_config_selectorIsLb0EEEZNS1_14transform_implILb0ES3_S5_N6thrust23THRUST_200600_302600_NS10device_ptrIsEEPsNS0_8identityIsEEEE10hipError_tT2_T3_mT4_P12ihipStream_tbEUlT_E_NS1_11comp_targetILNS1_3genE8ELNS1_11target_archE1030ELNS1_3gpuE2ELNS1_3repE0EEENS1_30default_config_static_selectorELNS0_4arch9wavefront6targetE1EEEvT1_.kd
    .uniform_work_group_size: 1
    .uses_dynamic_stack: false
    .vgpr_count:     0
    .vgpr_spill_count: 0
    .wavefront_size: 64
  - .agpr_count:     0
    .args:
      - .offset:         0
        .size:           88
        .value_kind:     by_value
    .group_segment_fixed_size: 0
    .kernarg_segment_align: 8
    .kernarg_segment_size: 88
    .language:       OpenCL C
    .language_version:
      - 2
      - 0
    .max_flat_workgroup_size: 1024
    .name:           _ZN7rocprim17ROCPRIM_400000_NS6detail17trampoline_kernelINS0_14default_configENS1_35radix_sort_onesweep_config_selectorIisEEZZNS1_29radix_sort_onesweep_iterationIS3_Lb0EN6thrust23THRUST_200600_302600_NS10device_ptrIiEESA_NS9_IsEESB_jNS0_19identity_decomposerENS1_16block_id_wrapperIjLb1EEEEE10hipError_tT1_PNSt15iterator_traitsISG_E10value_typeET2_T3_PNSH_ISM_E10value_typeET4_T5_PSR_SS_PNS1_23onesweep_lookback_stateEbbT6_jjT7_P12ihipStream_tbENKUlT_T0_SG_SL_E_clISA_SA_SB_SB_EEDaSZ_S10_SG_SL_EUlSZ_E_NS1_11comp_targetILNS1_3genE0ELNS1_11target_archE4294967295ELNS1_3gpuE0ELNS1_3repE0EEENS1_47radix_sort_onesweep_sort_config_static_selectorELNS0_4arch9wavefront6targetE1EEEvSG_
    .private_segment_fixed_size: 0
    .sgpr_count:     6
    .sgpr_spill_count: 0
    .symbol:         _ZN7rocprim17ROCPRIM_400000_NS6detail17trampoline_kernelINS0_14default_configENS1_35radix_sort_onesweep_config_selectorIisEEZZNS1_29radix_sort_onesweep_iterationIS3_Lb0EN6thrust23THRUST_200600_302600_NS10device_ptrIiEESA_NS9_IsEESB_jNS0_19identity_decomposerENS1_16block_id_wrapperIjLb1EEEEE10hipError_tT1_PNSt15iterator_traitsISG_E10value_typeET2_T3_PNSH_ISM_E10value_typeET4_T5_PSR_SS_PNS1_23onesweep_lookback_stateEbbT6_jjT7_P12ihipStream_tbENKUlT_T0_SG_SL_E_clISA_SA_SB_SB_EEDaSZ_S10_SG_SL_EUlSZ_E_NS1_11comp_targetILNS1_3genE0ELNS1_11target_archE4294967295ELNS1_3gpuE0ELNS1_3repE0EEENS1_47radix_sort_onesweep_sort_config_static_selectorELNS0_4arch9wavefront6targetE1EEEvSG_.kd
    .uniform_work_group_size: 1
    .uses_dynamic_stack: false
    .vgpr_count:     0
    .vgpr_spill_count: 0
    .wavefront_size: 64
  - .agpr_count:     0
    .args:
      - .offset:         0
        .size:           88
        .value_kind:     by_value
      - .offset:         88
        .size:           4
        .value_kind:     hidden_block_count_x
      - .offset:         92
        .size:           4
        .value_kind:     hidden_block_count_y
      - .offset:         96
        .size:           4
        .value_kind:     hidden_block_count_z
      - .offset:         100
        .size:           2
        .value_kind:     hidden_group_size_x
      - .offset:         102
        .size:           2
        .value_kind:     hidden_group_size_y
      - .offset:         104
        .size:           2
        .value_kind:     hidden_group_size_z
      - .offset:         106
        .size:           2
        .value_kind:     hidden_remainder_x
      - .offset:         108
        .size:           2
        .value_kind:     hidden_remainder_y
      - .offset:         110
        .size:           2
        .value_kind:     hidden_remainder_z
      - .offset:         128
        .size:           8
        .value_kind:     hidden_global_offset_x
      - .offset:         136
        .size:           8
        .value_kind:     hidden_global_offset_y
      - .offset:         144
        .size:           8
        .value_kind:     hidden_global_offset_z
      - .offset:         152
        .size:           2
        .value_kind:     hidden_grid_dims
    .group_segment_fixed_size: 53328
    .kernarg_segment_align: 8
    .kernarg_segment_size: 344
    .language:       OpenCL C
    .language_version:
      - 2
      - 0
    .max_flat_workgroup_size: 1024
    .name:           _ZN7rocprim17ROCPRIM_400000_NS6detail17trampoline_kernelINS0_14default_configENS1_35radix_sort_onesweep_config_selectorIisEEZZNS1_29radix_sort_onesweep_iterationIS3_Lb0EN6thrust23THRUST_200600_302600_NS10device_ptrIiEESA_NS9_IsEESB_jNS0_19identity_decomposerENS1_16block_id_wrapperIjLb1EEEEE10hipError_tT1_PNSt15iterator_traitsISG_E10value_typeET2_T3_PNSH_ISM_E10value_typeET4_T5_PSR_SS_PNS1_23onesweep_lookback_stateEbbT6_jjT7_P12ihipStream_tbENKUlT_T0_SG_SL_E_clISA_SA_SB_SB_EEDaSZ_S10_SG_SL_EUlSZ_E_NS1_11comp_targetILNS1_3genE6ELNS1_11target_archE950ELNS1_3gpuE13ELNS1_3repE0EEENS1_47radix_sort_onesweep_sort_config_static_selectorELNS0_4arch9wavefront6targetE1EEEvSG_
    .private_segment_fixed_size: 48
    .sgpr_count:     65
    .sgpr_spill_count: 0
    .symbol:         _ZN7rocprim17ROCPRIM_400000_NS6detail17trampoline_kernelINS0_14default_configENS1_35radix_sort_onesweep_config_selectorIisEEZZNS1_29radix_sort_onesweep_iterationIS3_Lb0EN6thrust23THRUST_200600_302600_NS10device_ptrIiEESA_NS9_IsEESB_jNS0_19identity_decomposerENS1_16block_id_wrapperIjLb1EEEEE10hipError_tT1_PNSt15iterator_traitsISG_E10value_typeET2_T3_PNSH_ISM_E10value_typeET4_T5_PSR_SS_PNS1_23onesweep_lookback_stateEbbT6_jjT7_P12ihipStream_tbENKUlT_T0_SG_SL_E_clISA_SA_SB_SB_EEDaSZ_S10_SG_SL_EUlSZ_E_NS1_11comp_targetILNS1_3genE6ELNS1_11target_archE950ELNS1_3gpuE13ELNS1_3repE0EEENS1_47radix_sort_onesweep_sort_config_static_selectorELNS0_4arch9wavefront6targetE1EEEvSG_.kd
    .uniform_work_group_size: 1
    .uses_dynamic_stack: false
    .vgpr_count:     53
    .vgpr_spill_count: 0
    .wavefront_size: 64
  - .agpr_count:     0
    .args:
      - .offset:         0
        .size:           88
        .value_kind:     by_value
    .group_segment_fixed_size: 0
    .kernarg_segment_align: 8
    .kernarg_segment_size: 88
    .language:       OpenCL C
    .language_version:
      - 2
      - 0
    .max_flat_workgroup_size: 1024
    .name:           _ZN7rocprim17ROCPRIM_400000_NS6detail17trampoline_kernelINS0_14default_configENS1_35radix_sort_onesweep_config_selectorIisEEZZNS1_29radix_sort_onesweep_iterationIS3_Lb0EN6thrust23THRUST_200600_302600_NS10device_ptrIiEESA_NS9_IsEESB_jNS0_19identity_decomposerENS1_16block_id_wrapperIjLb1EEEEE10hipError_tT1_PNSt15iterator_traitsISG_E10value_typeET2_T3_PNSH_ISM_E10value_typeET4_T5_PSR_SS_PNS1_23onesweep_lookback_stateEbbT6_jjT7_P12ihipStream_tbENKUlT_T0_SG_SL_E_clISA_SA_SB_SB_EEDaSZ_S10_SG_SL_EUlSZ_E_NS1_11comp_targetILNS1_3genE5ELNS1_11target_archE942ELNS1_3gpuE9ELNS1_3repE0EEENS1_47radix_sort_onesweep_sort_config_static_selectorELNS0_4arch9wavefront6targetE1EEEvSG_
    .private_segment_fixed_size: 0
    .sgpr_count:     6
    .sgpr_spill_count: 0
    .symbol:         _ZN7rocprim17ROCPRIM_400000_NS6detail17trampoline_kernelINS0_14default_configENS1_35radix_sort_onesweep_config_selectorIisEEZZNS1_29radix_sort_onesweep_iterationIS3_Lb0EN6thrust23THRUST_200600_302600_NS10device_ptrIiEESA_NS9_IsEESB_jNS0_19identity_decomposerENS1_16block_id_wrapperIjLb1EEEEE10hipError_tT1_PNSt15iterator_traitsISG_E10value_typeET2_T3_PNSH_ISM_E10value_typeET4_T5_PSR_SS_PNS1_23onesweep_lookback_stateEbbT6_jjT7_P12ihipStream_tbENKUlT_T0_SG_SL_E_clISA_SA_SB_SB_EEDaSZ_S10_SG_SL_EUlSZ_E_NS1_11comp_targetILNS1_3genE5ELNS1_11target_archE942ELNS1_3gpuE9ELNS1_3repE0EEENS1_47radix_sort_onesweep_sort_config_static_selectorELNS0_4arch9wavefront6targetE1EEEvSG_.kd
    .uniform_work_group_size: 1
    .uses_dynamic_stack: false
    .vgpr_count:     0
    .vgpr_spill_count: 0
    .wavefront_size: 64
  - .agpr_count:     0
    .args:
      - .offset:         0
        .size:           88
        .value_kind:     by_value
    .group_segment_fixed_size: 0
    .kernarg_segment_align: 8
    .kernarg_segment_size: 88
    .language:       OpenCL C
    .language_version:
      - 2
      - 0
    .max_flat_workgroup_size: 512
    .name:           _ZN7rocprim17ROCPRIM_400000_NS6detail17trampoline_kernelINS0_14default_configENS1_35radix_sort_onesweep_config_selectorIisEEZZNS1_29radix_sort_onesweep_iterationIS3_Lb0EN6thrust23THRUST_200600_302600_NS10device_ptrIiEESA_NS9_IsEESB_jNS0_19identity_decomposerENS1_16block_id_wrapperIjLb1EEEEE10hipError_tT1_PNSt15iterator_traitsISG_E10value_typeET2_T3_PNSH_ISM_E10value_typeET4_T5_PSR_SS_PNS1_23onesweep_lookback_stateEbbT6_jjT7_P12ihipStream_tbENKUlT_T0_SG_SL_E_clISA_SA_SB_SB_EEDaSZ_S10_SG_SL_EUlSZ_E_NS1_11comp_targetILNS1_3genE2ELNS1_11target_archE906ELNS1_3gpuE6ELNS1_3repE0EEENS1_47radix_sort_onesweep_sort_config_static_selectorELNS0_4arch9wavefront6targetE1EEEvSG_
    .private_segment_fixed_size: 0
    .sgpr_count:     6
    .sgpr_spill_count: 0
    .symbol:         _ZN7rocprim17ROCPRIM_400000_NS6detail17trampoline_kernelINS0_14default_configENS1_35radix_sort_onesweep_config_selectorIisEEZZNS1_29radix_sort_onesweep_iterationIS3_Lb0EN6thrust23THRUST_200600_302600_NS10device_ptrIiEESA_NS9_IsEESB_jNS0_19identity_decomposerENS1_16block_id_wrapperIjLb1EEEEE10hipError_tT1_PNSt15iterator_traitsISG_E10value_typeET2_T3_PNSH_ISM_E10value_typeET4_T5_PSR_SS_PNS1_23onesweep_lookback_stateEbbT6_jjT7_P12ihipStream_tbENKUlT_T0_SG_SL_E_clISA_SA_SB_SB_EEDaSZ_S10_SG_SL_EUlSZ_E_NS1_11comp_targetILNS1_3genE2ELNS1_11target_archE906ELNS1_3gpuE6ELNS1_3repE0EEENS1_47radix_sort_onesweep_sort_config_static_selectorELNS0_4arch9wavefront6targetE1EEEvSG_.kd
    .uniform_work_group_size: 1
    .uses_dynamic_stack: false
    .vgpr_count:     0
    .vgpr_spill_count: 0
    .wavefront_size: 64
  - .agpr_count:     0
    .args:
      - .offset:         0
        .size:           88
        .value_kind:     by_value
    .group_segment_fixed_size: 0
    .kernarg_segment_align: 8
    .kernarg_segment_size: 88
    .language:       OpenCL C
    .language_version:
      - 2
      - 0
    .max_flat_workgroup_size: 512
    .name:           _ZN7rocprim17ROCPRIM_400000_NS6detail17trampoline_kernelINS0_14default_configENS1_35radix_sort_onesweep_config_selectorIisEEZZNS1_29radix_sort_onesweep_iterationIS3_Lb0EN6thrust23THRUST_200600_302600_NS10device_ptrIiEESA_NS9_IsEESB_jNS0_19identity_decomposerENS1_16block_id_wrapperIjLb1EEEEE10hipError_tT1_PNSt15iterator_traitsISG_E10value_typeET2_T3_PNSH_ISM_E10value_typeET4_T5_PSR_SS_PNS1_23onesweep_lookback_stateEbbT6_jjT7_P12ihipStream_tbENKUlT_T0_SG_SL_E_clISA_SA_SB_SB_EEDaSZ_S10_SG_SL_EUlSZ_E_NS1_11comp_targetILNS1_3genE4ELNS1_11target_archE910ELNS1_3gpuE8ELNS1_3repE0EEENS1_47radix_sort_onesweep_sort_config_static_selectorELNS0_4arch9wavefront6targetE1EEEvSG_
    .private_segment_fixed_size: 0
    .sgpr_count:     6
    .sgpr_spill_count: 0
    .symbol:         _ZN7rocprim17ROCPRIM_400000_NS6detail17trampoline_kernelINS0_14default_configENS1_35radix_sort_onesweep_config_selectorIisEEZZNS1_29radix_sort_onesweep_iterationIS3_Lb0EN6thrust23THRUST_200600_302600_NS10device_ptrIiEESA_NS9_IsEESB_jNS0_19identity_decomposerENS1_16block_id_wrapperIjLb1EEEEE10hipError_tT1_PNSt15iterator_traitsISG_E10value_typeET2_T3_PNSH_ISM_E10value_typeET4_T5_PSR_SS_PNS1_23onesweep_lookback_stateEbbT6_jjT7_P12ihipStream_tbENKUlT_T0_SG_SL_E_clISA_SA_SB_SB_EEDaSZ_S10_SG_SL_EUlSZ_E_NS1_11comp_targetILNS1_3genE4ELNS1_11target_archE910ELNS1_3gpuE8ELNS1_3repE0EEENS1_47radix_sort_onesweep_sort_config_static_selectorELNS0_4arch9wavefront6targetE1EEEvSG_.kd
    .uniform_work_group_size: 1
    .uses_dynamic_stack: false
    .vgpr_count:     0
    .vgpr_spill_count: 0
    .wavefront_size: 64
  - .agpr_count:     0
    .args:
      - .offset:         0
        .size:           88
        .value_kind:     by_value
    .group_segment_fixed_size: 0
    .kernarg_segment_align: 8
    .kernarg_segment_size: 88
    .language:       OpenCL C
    .language_version:
      - 2
      - 0
    .max_flat_workgroup_size: 1024
    .name:           _ZN7rocprim17ROCPRIM_400000_NS6detail17trampoline_kernelINS0_14default_configENS1_35radix_sort_onesweep_config_selectorIisEEZZNS1_29radix_sort_onesweep_iterationIS3_Lb0EN6thrust23THRUST_200600_302600_NS10device_ptrIiEESA_NS9_IsEESB_jNS0_19identity_decomposerENS1_16block_id_wrapperIjLb1EEEEE10hipError_tT1_PNSt15iterator_traitsISG_E10value_typeET2_T3_PNSH_ISM_E10value_typeET4_T5_PSR_SS_PNS1_23onesweep_lookback_stateEbbT6_jjT7_P12ihipStream_tbENKUlT_T0_SG_SL_E_clISA_SA_SB_SB_EEDaSZ_S10_SG_SL_EUlSZ_E_NS1_11comp_targetILNS1_3genE3ELNS1_11target_archE908ELNS1_3gpuE7ELNS1_3repE0EEENS1_47radix_sort_onesweep_sort_config_static_selectorELNS0_4arch9wavefront6targetE1EEEvSG_
    .private_segment_fixed_size: 0
    .sgpr_count:     6
    .sgpr_spill_count: 0
    .symbol:         _ZN7rocprim17ROCPRIM_400000_NS6detail17trampoline_kernelINS0_14default_configENS1_35radix_sort_onesweep_config_selectorIisEEZZNS1_29radix_sort_onesweep_iterationIS3_Lb0EN6thrust23THRUST_200600_302600_NS10device_ptrIiEESA_NS9_IsEESB_jNS0_19identity_decomposerENS1_16block_id_wrapperIjLb1EEEEE10hipError_tT1_PNSt15iterator_traitsISG_E10value_typeET2_T3_PNSH_ISM_E10value_typeET4_T5_PSR_SS_PNS1_23onesweep_lookback_stateEbbT6_jjT7_P12ihipStream_tbENKUlT_T0_SG_SL_E_clISA_SA_SB_SB_EEDaSZ_S10_SG_SL_EUlSZ_E_NS1_11comp_targetILNS1_3genE3ELNS1_11target_archE908ELNS1_3gpuE7ELNS1_3repE0EEENS1_47radix_sort_onesweep_sort_config_static_selectorELNS0_4arch9wavefront6targetE1EEEvSG_.kd
    .uniform_work_group_size: 1
    .uses_dynamic_stack: false
    .vgpr_count:     0
    .vgpr_spill_count: 0
    .wavefront_size: 64
  - .agpr_count:     0
    .args:
      - .offset:         0
        .size:           88
        .value_kind:     by_value
    .group_segment_fixed_size: 0
    .kernarg_segment_align: 8
    .kernarg_segment_size: 88
    .language:       OpenCL C
    .language_version:
      - 2
      - 0
    .max_flat_workgroup_size: 1024
    .name:           _ZN7rocprim17ROCPRIM_400000_NS6detail17trampoline_kernelINS0_14default_configENS1_35radix_sort_onesweep_config_selectorIisEEZZNS1_29radix_sort_onesweep_iterationIS3_Lb0EN6thrust23THRUST_200600_302600_NS10device_ptrIiEESA_NS9_IsEESB_jNS0_19identity_decomposerENS1_16block_id_wrapperIjLb1EEEEE10hipError_tT1_PNSt15iterator_traitsISG_E10value_typeET2_T3_PNSH_ISM_E10value_typeET4_T5_PSR_SS_PNS1_23onesweep_lookback_stateEbbT6_jjT7_P12ihipStream_tbENKUlT_T0_SG_SL_E_clISA_SA_SB_SB_EEDaSZ_S10_SG_SL_EUlSZ_E_NS1_11comp_targetILNS1_3genE10ELNS1_11target_archE1201ELNS1_3gpuE5ELNS1_3repE0EEENS1_47radix_sort_onesweep_sort_config_static_selectorELNS0_4arch9wavefront6targetE1EEEvSG_
    .private_segment_fixed_size: 0
    .sgpr_count:     6
    .sgpr_spill_count: 0
    .symbol:         _ZN7rocprim17ROCPRIM_400000_NS6detail17trampoline_kernelINS0_14default_configENS1_35radix_sort_onesweep_config_selectorIisEEZZNS1_29radix_sort_onesweep_iterationIS3_Lb0EN6thrust23THRUST_200600_302600_NS10device_ptrIiEESA_NS9_IsEESB_jNS0_19identity_decomposerENS1_16block_id_wrapperIjLb1EEEEE10hipError_tT1_PNSt15iterator_traitsISG_E10value_typeET2_T3_PNSH_ISM_E10value_typeET4_T5_PSR_SS_PNS1_23onesweep_lookback_stateEbbT6_jjT7_P12ihipStream_tbENKUlT_T0_SG_SL_E_clISA_SA_SB_SB_EEDaSZ_S10_SG_SL_EUlSZ_E_NS1_11comp_targetILNS1_3genE10ELNS1_11target_archE1201ELNS1_3gpuE5ELNS1_3repE0EEENS1_47radix_sort_onesweep_sort_config_static_selectorELNS0_4arch9wavefront6targetE1EEEvSG_.kd
    .uniform_work_group_size: 1
    .uses_dynamic_stack: false
    .vgpr_count:     0
    .vgpr_spill_count: 0
    .wavefront_size: 64
  - .agpr_count:     0
    .args:
      - .offset:         0
        .size:           88
        .value_kind:     by_value
    .group_segment_fixed_size: 0
    .kernarg_segment_align: 8
    .kernarg_segment_size: 88
    .language:       OpenCL C
    .language_version:
      - 2
      - 0
    .max_flat_workgroup_size: 1024
    .name:           _ZN7rocprim17ROCPRIM_400000_NS6detail17trampoline_kernelINS0_14default_configENS1_35radix_sort_onesweep_config_selectorIisEEZZNS1_29radix_sort_onesweep_iterationIS3_Lb0EN6thrust23THRUST_200600_302600_NS10device_ptrIiEESA_NS9_IsEESB_jNS0_19identity_decomposerENS1_16block_id_wrapperIjLb1EEEEE10hipError_tT1_PNSt15iterator_traitsISG_E10value_typeET2_T3_PNSH_ISM_E10value_typeET4_T5_PSR_SS_PNS1_23onesweep_lookback_stateEbbT6_jjT7_P12ihipStream_tbENKUlT_T0_SG_SL_E_clISA_SA_SB_SB_EEDaSZ_S10_SG_SL_EUlSZ_E_NS1_11comp_targetILNS1_3genE9ELNS1_11target_archE1100ELNS1_3gpuE3ELNS1_3repE0EEENS1_47radix_sort_onesweep_sort_config_static_selectorELNS0_4arch9wavefront6targetE1EEEvSG_
    .private_segment_fixed_size: 0
    .sgpr_count:     6
    .sgpr_spill_count: 0
    .symbol:         _ZN7rocprim17ROCPRIM_400000_NS6detail17trampoline_kernelINS0_14default_configENS1_35radix_sort_onesweep_config_selectorIisEEZZNS1_29radix_sort_onesweep_iterationIS3_Lb0EN6thrust23THRUST_200600_302600_NS10device_ptrIiEESA_NS9_IsEESB_jNS0_19identity_decomposerENS1_16block_id_wrapperIjLb1EEEEE10hipError_tT1_PNSt15iterator_traitsISG_E10value_typeET2_T3_PNSH_ISM_E10value_typeET4_T5_PSR_SS_PNS1_23onesweep_lookback_stateEbbT6_jjT7_P12ihipStream_tbENKUlT_T0_SG_SL_E_clISA_SA_SB_SB_EEDaSZ_S10_SG_SL_EUlSZ_E_NS1_11comp_targetILNS1_3genE9ELNS1_11target_archE1100ELNS1_3gpuE3ELNS1_3repE0EEENS1_47radix_sort_onesweep_sort_config_static_selectorELNS0_4arch9wavefront6targetE1EEEvSG_.kd
    .uniform_work_group_size: 1
    .uses_dynamic_stack: false
    .vgpr_count:     0
    .vgpr_spill_count: 0
    .wavefront_size: 64
  - .agpr_count:     0
    .args:
      - .offset:         0
        .size:           88
        .value_kind:     by_value
    .group_segment_fixed_size: 0
    .kernarg_segment_align: 8
    .kernarg_segment_size: 88
    .language:       OpenCL C
    .language_version:
      - 2
      - 0
    .max_flat_workgroup_size: 1024
    .name:           _ZN7rocprim17ROCPRIM_400000_NS6detail17trampoline_kernelINS0_14default_configENS1_35radix_sort_onesweep_config_selectorIisEEZZNS1_29radix_sort_onesweep_iterationIS3_Lb0EN6thrust23THRUST_200600_302600_NS10device_ptrIiEESA_NS9_IsEESB_jNS0_19identity_decomposerENS1_16block_id_wrapperIjLb1EEEEE10hipError_tT1_PNSt15iterator_traitsISG_E10value_typeET2_T3_PNSH_ISM_E10value_typeET4_T5_PSR_SS_PNS1_23onesweep_lookback_stateEbbT6_jjT7_P12ihipStream_tbENKUlT_T0_SG_SL_E_clISA_SA_SB_SB_EEDaSZ_S10_SG_SL_EUlSZ_E_NS1_11comp_targetILNS1_3genE8ELNS1_11target_archE1030ELNS1_3gpuE2ELNS1_3repE0EEENS1_47radix_sort_onesweep_sort_config_static_selectorELNS0_4arch9wavefront6targetE1EEEvSG_
    .private_segment_fixed_size: 0
    .sgpr_count:     6
    .sgpr_spill_count: 0
    .symbol:         _ZN7rocprim17ROCPRIM_400000_NS6detail17trampoline_kernelINS0_14default_configENS1_35radix_sort_onesweep_config_selectorIisEEZZNS1_29radix_sort_onesweep_iterationIS3_Lb0EN6thrust23THRUST_200600_302600_NS10device_ptrIiEESA_NS9_IsEESB_jNS0_19identity_decomposerENS1_16block_id_wrapperIjLb1EEEEE10hipError_tT1_PNSt15iterator_traitsISG_E10value_typeET2_T3_PNSH_ISM_E10value_typeET4_T5_PSR_SS_PNS1_23onesweep_lookback_stateEbbT6_jjT7_P12ihipStream_tbENKUlT_T0_SG_SL_E_clISA_SA_SB_SB_EEDaSZ_S10_SG_SL_EUlSZ_E_NS1_11comp_targetILNS1_3genE8ELNS1_11target_archE1030ELNS1_3gpuE2ELNS1_3repE0EEENS1_47radix_sort_onesweep_sort_config_static_selectorELNS0_4arch9wavefront6targetE1EEEvSG_.kd
    .uniform_work_group_size: 1
    .uses_dynamic_stack: false
    .vgpr_count:     0
    .vgpr_spill_count: 0
    .wavefront_size: 64
  - .agpr_count:     0
    .args:
      - .offset:         0
        .size:           88
        .value_kind:     by_value
    .group_segment_fixed_size: 0
    .kernarg_segment_align: 8
    .kernarg_segment_size: 88
    .language:       OpenCL C
    .language_version:
      - 2
      - 0
    .max_flat_workgroup_size: 1024
    .name:           _ZN7rocprim17ROCPRIM_400000_NS6detail17trampoline_kernelINS0_14default_configENS1_35radix_sort_onesweep_config_selectorIisEEZZNS1_29radix_sort_onesweep_iterationIS3_Lb0EN6thrust23THRUST_200600_302600_NS10device_ptrIiEESA_NS9_IsEESB_jNS0_19identity_decomposerENS1_16block_id_wrapperIjLb1EEEEE10hipError_tT1_PNSt15iterator_traitsISG_E10value_typeET2_T3_PNSH_ISM_E10value_typeET4_T5_PSR_SS_PNS1_23onesweep_lookback_stateEbbT6_jjT7_P12ihipStream_tbENKUlT_T0_SG_SL_E_clISA_PiSB_PsEEDaSZ_S10_SG_SL_EUlSZ_E_NS1_11comp_targetILNS1_3genE0ELNS1_11target_archE4294967295ELNS1_3gpuE0ELNS1_3repE0EEENS1_47radix_sort_onesweep_sort_config_static_selectorELNS0_4arch9wavefront6targetE1EEEvSG_
    .private_segment_fixed_size: 0
    .sgpr_count:     6
    .sgpr_spill_count: 0
    .symbol:         _ZN7rocprim17ROCPRIM_400000_NS6detail17trampoline_kernelINS0_14default_configENS1_35radix_sort_onesweep_config_selectorIisEEZZNS1_29radix_sort_onesweep_iterationIS3_Lb0EN6thrust23THRUST_200600_302600_NS10device_ptrIiEESA_NS9_IsEESB_jNS0_19identity_decomposerENS1_16block_id_wrapperIjLb1EEEEE10hipError_tT1_PNSt15iterator_traitsISG_E10value_typeET2_T3_PNSH_ISM_E10value_typeET4_T5_PSR_SS_PNS1_23onesweep_lookback_stateEbbT6_jjT7_P12ihipStream_tbENKUlT_T0_SG_SL_E_clISA_PiSB_PsEEDaSZ_S10_SG_SL_EUlSZ_E_NS1_11comp_targetILNS1_3genE0ELNS1_11target_archE4294967295ELNS1_3gpuE0ELNS1_3repE0EEENS1_47radix_sort_onesweep_sort_config_static_selectorELNS0_4arch9wavefront6targetE1EEEvSG_.kd
    .uniform_work_group_size: 1
    .uses_dynamic_stack: false
    .vgpr_count:     0
    .vgpr_spill_count: 0
    .wavefront_size: 64
  - .agpr_count:     0
    .args:
      - .offset:         0
        .size:           88
        .value_kind:     by_value
      - .offset:         88
        .size:           4
        .value_kind:     hidden_block_count_x
      - .offset:         92
        .size:           4
        .value_kind:     hidden_block_count_y
      - .offset:         96
        .size:           4
        .value_kind:     hidden_block_count_z
      - .offset:         100
        .size:           2
        .value_kind:     hidden_group_size_x
      - .offset:         102
        .size:           2
        .value_kind:     hidden_group_size_y
      - .offset:         104
        .size:           2
        .value_kind:     hidden_group_size_z
      - .offset:         106
        .size:           2
        .value_kind:     hidden_remainder_x
      - .offset:         108
        .size:           2
        .value_kind:     hidden_remainder_y
      - .offset:         110
        .size:           2
        .value_kind:     hidden_remainder_z
      - .offset:         128
        .size:           8
        .value_kind:     hidden_global_offset_x
      - .offset:         136
        .size:           8
        .value_kind:     hidden_global_offset_y
      - .offset:         144
        .size:           8
        .value_kind:     hidden_global_offset_z
      - .offset:         152
        .size:           2
        .value_kind:     hidden_grid_dims
    .group_segment_fixed_size: 53328
    .kernarg_segment_align: 8
    .kernarg_segment_size: 344
    .language:       OpenCL C
    .language_version:
      - 2
      - 0
    .max_flat_workgroup_size: 1024
    .name:           _ZN7rocprim17ROCPRIM_400000_NS6detail17trampoline_kernelINS0_14default_configENS1_35radix_sort_onesweep_config_selectorIisEEZZNS1_29radix_sort_onesweep_iterationIS3_Lb0EN6thrust23THRUST_200600_302600_NS10device_ptrIiEESA_NS9_IsEESB_jNS0_19identity_decomposerENS1_16block_id_wrapperIjLb1EEEEE10hipError_tT1_PNSt15iterator_traitsISG_E10value_typeET2_T3_PNSH_ISM_E10value_typeET4_T5_PSR_SS_PNS1_23onesweep_lookback_stateEbbT6_jjT7_P12ihipStream_tbENKUlT_T0_SG_SL_E_clISA_PiSB_PsEEDaSZ_S10_SG_SL_EUlSZ_E_NS1_11comp_targetILNS1_3genE6ELNS1_11target_archE950ELNS1_3gpuE13ELNS1_3repE0EEENS1_47radix_sort_onesweep_sort_config_static_selectorELNS0_4arch9wavefront6targetE1EEEvSG_
    .private_segment_fixed_size: 48
    .sgpr_count:     65
    .sgpr_spill_count: 0
    .symbol:         _ZN7rocprim17ROCPRIM_400000_NS6detail17trampoline_kernelINS0_14default_configENS1_35radix_sort_onesweep_config_selectorIisEEZZNS1_29radix_sort_onesweep_iterationIS3_Lb0EN6thrust23THRUST_200600_302600_NS10device_ptrIiEESA_NS9_IsEESB_jNS0_19identity_decomposerENS1_16block_id_wrapperIjLb1EEEEE10hipError_tT1_PNSt15iterator_traitsISG_E10value_typeET2_T3_PNSH_ISM_E10value_typeET4_T5_PSR_SS_PNS1_23onesweep_lookback_stateEbbT6_jjT7_P12ihipStream_tbENKUlT_T0_SG_SL_E_clISA_PiSB_PsEEDaSZ_S10_SG_SL_EUlSZ_E_NS1_11comp_targetILNS1_3genE6ELNS1_11target_archE950ELNS1_3gpuE13ELNS1_3repE0EEENS1_47radix_sort_onesweep_sort_config_static_selectorELNS0_4arch9wavefront6targetE1EEEvSG_.kd
    .uniform_work_group_size: 1
    .uses_dynamic_stack: false
    .vgpr_count:     53
    .vgpr_spill_count: 0
    .wavefront_size: 64
  - .agpr_count:     0
    .args:
      - .offset:         0
        .size:           88
        .value_kind:     by_value
    .group_segment_fixed_size: 0
    .kernarg_segment_align: 8
    .kernarg_segment_size: 88
    .language:       OpenCL C
    .language_version:
      - 2
      - 0
    .max_flat_workgroup_size: 1024
    .name:           _ZN7rocprim17ROCPRIM_400000_NS6detail17trampoline_kernelINS0_14default_configENS1_35radix_sort_onesweep_config_selectorIisEEZZNS1_29radix_sort_onesweep_iterationIS3_Lb0EN6thrust23THRUST_200600_302600_NS10device_ptrIiEESA_NS9_IsEESB_jNS0_19identity_decomposerENS1_16block_id_wrapperIjLb1EEEEE10hipError_tT1_PNSt15iterator_traitsISG_E10value_typeET2_T3_PNSH_ISM_E10value_typeET4_T5_PSR_SS_PNS1_23onesweep_lookback_stateEbbT6_jjT7_P12ihipStream_tbENKUlT_T0_SG_SL_E_clISA_PiSB_PsEEDaSZ_S10_SG_SL_EUlSZ_E_NS1_11comp_targetILNS1_3genE5ELNS1_11target_archE942ELNS1_3gpuE9ELNS1_3repE0EEENS1_47radix_sort_onesweep_sort_config_static_selectorELNS0_4arch9wavefront6targetE1EEEvSG_
    .private_segment_fixed_size: 0
    .sgpr_count:     6
    .sgpr_spill_count: 0
    .symbol:         _ZN7rocprim17ROCPRIM_400000_NS6detail17trampoline_kernelINS0_14default_configENS1_35radix_sort_onesweep_config_selectorIisEEZZNS1_29radix_sort_onesweep_iterationIS3_Lb0EN6thrust23THRUST_200600_302600_NS10device_ptrIiEESA_NS9_IsEESB_jNS0_19identity_decomposerENS1_16block_id_wrapperIjLb1EEEEE10hipError_tT1_PNSt15iterator_traitsISG_E10value_typeET2_T3_PNSH_ISM_E10value_typeET4_T5_PSR_SS_PNS1_23onesweep_lookback_stateEbbT6_jjT7_P12ihipStream_tbENKUlT_T0_SG_SL_E_clISA_PiSB_PsEEDaSZ_S10_SG_SL_EUlSZ_E_NS1_11comp_targetILNS1_3genE5ELNS1_11target_archE942ELNS1_3gpuE9ELNS1_3repE0EEENS1_47radix_sort_onesweep_sort_config_static_selectorELNS0_4arch9wavefront6targetE1EEEvSG_.kd
    .uniform_work_group_size: 1
    .uses_dynamic_stack: false
    .vgpr_count:     0
    .vgpr_spill_count: 0
    .wavefront_size: 64
  - .agpr_count:     0
    .args:
      - .offset:         0
        .size:           88
        .value_kind:     by_value
    .group_segment_fixed_size: 0
    .kernarg_segment_align: 8
    .kernarg_segment_size: 88
    .language:       OpenCL C
    .language_version:
      - 2
      - 0
    .max_flat_workgroup_size: 512
    .name:           _ZN7rocprim17ROCPRIM_400000_NS6detail17trampoline_kernelINS0_14default_configENS1_35radix_sort_onesweep_config_selectorIisEEZZNS1_29radix_sort_onesweep_iterationIS3_Lb0EN6thrust23THRUST_200600_302600_NS10device_ptrIiEESA_NS9_IsEESB_jNS0_19identity_decomposerENS1_16block_id_wrapperIjLb1EEEEE10hipError_tT1_PNSt15iterator_traitsISG_E10value_typeET2_T3_PNSH_ISM_E10value_typeET4_T5_PSR_SS_PNS1_23onesweep_lookback_stateEbbT6_jjT7_P12ihipStream_tbENKUlT_T0_SG_SL_E_clISA_PiSB_PsEEDaSZ_S10_SG_SL_EUlSZ_E_NS1_11comp_targetILNS1_3genE2ELNS1_11target_archE906ELNS1_3gpuE6ELNS1_3repE0EEENS1_47radix_sort_onesweep_sort_config_static_selectorELNS0_4arch9wavefront6targetE1EEEvSG_
    .private_segment_fixed_size: 0
    .sgpr_count:     6
    .sgpr_spill_count: 0
    .symbol:         _ZN7rocprim17ROCPRIM_400000_NS6detail17trampoline_kernelINS0_14default_configENS1_35radix_sort_onesweep_config_selectorIisEEZZNS1_29radix_sort_onesweep_iterationIS3_Lb0EN6thrust23THRUST_200600_302600_NS10device_ptrIiEESA_NS9_IsEESB_jNS0_19identity_decomposerENS1_16block_id_wrapperIjLb1EEEEE10hipError_tT1_PNSt15iterator_traitsISG_E10value_typeET2_T3_PNSH_ISM_E10value_typeET4_T5_PSR_SS_PNS1_23onesweep_lookback_stateEbbT6_jjT7_P12ihipStream_tbENKUlT_T0_SG_SL_E_clISA_PiSB_PsEEDaSZ_S10_SG_SL_EUlSZ_E_NS1_11comp_targetILNS1_3genE2ELNS1_11target_archE906ELNS1_3gpuE6ELNS1_3repE0EEENS1_47radix_sort_onesweep_sort_config_static_selectorELNS0_4arch9wavefront6targetE1EEEvSG_.kd
    .uniform_work_group_size: 1
    .uses_dynamic_stack: false
    .vgpr_count:     0
    .vgpr_spill_count: 0
    .wavefront_size: 64
  - .agpr_count:     0
    .args:
      - .offset:         0
        .size:           88
        .value_kind:     by_value
    .group_segment_fixed_size: 0
    .kernarg_segment_align: 8
    .kernarg_segment_size: 88
    .language:       OpenCL C
    .language_version:
      - 2
      - 0
    .max_flat_workgroup_size: 512
    .name:           _ZN7rocprim17ROCPRIM_400000_NS6detail17trampoline_kernelINS0_14default_configENS1_35radix_sort_onesweep_config_selectorIisEEZZNS1_29radix_sort_onesweep_iterationIS3_Lb0EN6thrust23THRUST_200600_302600_NS10device_ptrIiEESA_NS9_IsEESB_jNS0_19identity_decomposerENS1_16block_id_wrapperIjLb1EEEEE10hipError_tT1_PNSt15iterator_traitsISG_E10value_typeET2_T3_PNSH_ISM_E10value_typeET4_T5_PSR_SS_PNS1_23onesweep_lookback_stateEbbT6_jjT7_P12ihipStream_tbENKUlT_T0_SG_SL_E_clISA_PiSB_PsEEDaSZ_S10_SG_SL_EUlSZ_E_NS1_11comp_targetILNS1_3genE4ELNS1_11target_archE910ELNS1_3gpuE8ELNS1_3repE0EEENS1_47radix_sort_onesweep_sort_config_static_selectorELNS0_4arch9wavefront6targetE1EEEvSG_
    .private_segment_fixed_size: 0
    .sgpr_count:     6
    .sgpr_spill_count: 0
    .symbol:         _ZN7rocprim17ROCPRIM_400000_NS6detail17trampoline_kernelINS0_14default_configENS1_35radix_sort_onesweep_config_selectorIisEEZZNS1_29radix_sort_onesweep_iterationIS3_Lb0EN6thrust23THRUST_200600_302600_NS10device_ptrIiEESA_NS9_IsEESB_jNS0_19identity_decomposerENS1_16block_id_wrapperIjLb1EEEEE10hipError_tT1_PNSt15iterator_traitsISG_E10value_typeET2_T3_PNSH_ISM_E10value_typeET4_T5_PSR_SS_PNS1_23onesweep_lookback_stateEbbT6_jjT7_P12ihipStream_tbENKUlT_T0_SG_SL_E_clISA_PiSB_PsEEDaSZ_S10_SG_SL_EUlSZ_E_NS1_11comp_targetILNS1_3genE4ELNS1_11target_archE910ELNS1_3gpuE8ELNS1_3repE0EEENS1_47radix_sort_onesweep_sort_config_static_selectorELNS0_4arch9wavefront6targetE1EEEvSG_.kd
    .uniform_work_group_size: 1
    .uses_dynamic_stack: false
    .vgpr_count:     0
    .vgpr_spill_count: 0
    .wavefront_size: 64
  - .agpr_count:     0
    .args:
      - .offset:         0
        .size:           88
        .value_kind:     by_value
    .group_segment_fixed_size: 0
    .kernarg_segment_align: 8
    .kernarg_segment_size: 88
    .language:       OpenCL C
    .language_version:
      - 2
      - 0
    .max_flat_workgroup_size: 1024
    .name:           _ZN7rocprim17ROCPRIM_400000_NS6detail17trampoline_kernelINS0_14default_configENS1_35radix_sort_onesweep_config_selectorIisEEZZNS1_29radix_sort_onesweep_iterationIS3_Lb0EN6thrust23THRUST_200600_302600_NS10device_ptrIiEESA_NS9_IsEESB_jNS0_19identity_decomposerENS1_16block_id_wrapperIjLb1EEEEE10hipError_tT1_PNSt15iterator_traitsISG_E10value_typeET2_T3_PNSH_ISM_E10value_typeET4_T5_PSR_SS_PNS1_23onesweep_lookback_stateEbbT6_jjT7_P12ihipStream_tbENKUlT_T0_SG_SL_E_clISA_PiSB_PsEEDaSZ_S10_SG_SL_EUlSZ_E_NS1_11comp_targetILNS1_3genE3ELNS1_11target_archE908ELNS1_3gpuE7ELNS1_3repE0EEENS1_47radix_sort_onesweep_sort_config_static_selectorELNS0_4arch9wavefront6targetE1EEEvSG_
    .private_segment_fixed_size: 0
    .sgpr_count:     6
    .sgpr_spill_count: 0
    .symbol:         _ZN7rocprim17ROCPRIM_400000_NS6detail17trampoline_kernelINS0_14default_configENS1_35radix_sort_onesweep_config_selectorIisEEZZNS1_29radix_sort_onesweep_iterationIS3_Lb0EN6thrust23THRUST_200600_302600_NS10device_ptrIiEESA_NS9_IsEESB_jNS0_19identity_decomposerENS1_16block_id_wrapperIjLb1EEEEE10hipError_tT1_PNSt15iterator_traitsISG_E10value_typeET2_T3_PNSH_ISM_E10value_typeET4_T5_PSR_SS_PNS1_23onesweep_lookback_stateEbbT6_jjT7_P12ihipStream_tbENKUlT_T0_SG_SL_E_clISA_PiSB_PsEEDaSZ_S10_SG_SL_EUlSZ_E_NS1_11comp_targetILNS1_3genE3ELNS1_11target_archE908ELNS1_3gpuE7ELNS1_3repE0EEENS1_47radix_sort_onesweep_sort_config_static_selectorELNS0_4arch9wavefront6targetE1EEEvSG_.kd
    .uniform_work_group_size: 1
    .uses_dynamic_stack: false
    .vgpr_count:     0
    .vgpr_spill_count: 0
    .wavefront_size: 64
  - .agpr_count:     0
    .args:
      - .offset:         0
        .size:           88
        .value_kind:     by_value
    .group_segment_fixed_size: 0
    .kernarg_segment_align: 8
    .kernarg_segment_size: 88
    .language:       OpenCL C
    .language_version:
      - 2
      - 0
    .max_flat_workgroup_size: 1024
    .name:           _ZN7rocprim17ROCPRIM_400000_NS6detail17trampoline_kernelINS0_14default_configENS1_35radix_sort_onesweep_config_selectorIisEEZZNS1_29radix_sort_onesweep_iterationIS3_Lb0EN6thrust23THRUST_200600_302600_NS10device_ptrIiEESA_NS9_IsEESB_jNS0_19identity_decomposerENS1_16block_id_wrapperIjLb1EEEEE10hipError_tT1_PNSt15iterator_traitsISG_E10value_typeET2_T3_PNSH_ISM_E10value_typeET4_T5_PSR_SS_PNS1_23onesweep_lookback_stateEbbT6_jjT7_P12ihipStream_tbENKUlT_T0_SG_SL_E_clISA_PiSB_PsEEDaSZ_S10_SG_SL_EUlSZ_E_NS1_11comp_targetILNS1_3genE10ELNS1_11target_archE1201ELNS1_3gpuE5ELNS1_3repE0EEENS1_47radix_sort_onesweep_sort_config_static_selectorELNS0_4arch9wavefront6targetE1EEEvSG_
    .private_segment_fixed_size: 0
    .sgpr_count:     6
    .sgpr_spill_count: 0
    .symbol:         _ZN7rocprim17ROCPRIM_400000_NS6detail17trampoline_kernelINS0_14default_configENS1_35radix_sort_onesweep_config_selectorIisEEZZNS1_29radix_sort_onesweep_iterationIS3_Lb0EN6thrust23THRUST_200600_302600_NS10device_ptrIiEESA_NS9_IsEESB_jNS0_19identity_decomposerENS1_16block_id_wrapperIjLb1EEEEE10hipError_tT1_PNSt15iterator_traitsISG_E10value_typeET2_T3_PNSH_ISM_E10value_typeET4_T5_PSR_SS_PNS1_23onesweep_lookback_stateEbbT6_jjT7_P12ihipStream_tbENKUlT_T0_SG_SL_E_clISA_PiSB_PsEEDaSZ_S10_SG_SL_EUlSZ_E_NS1_11comp_targetILNS1_3genE10ELNS1_11target_archE1201ELNS1_3gpuE5ELNS1_3repE0EEENS1_47radix_sort_onesweep_sort_config_static_selectorELNS0_4arch9wavefront6targetE1EEEvSG_.kd
    .uniform_work_group_size: 1
    .uses_dynamic_stack: false
    .vgpr_count:     0
    .vgpr_spill_count: 0
    .wavefront_size: 64
  - .agpr_count:     0
    .args:
      - .offset:         0
        .size:           88
        .value_kind:     by_value
    .group_segment_fixed_size: 0
    .kernarg_segment_align: 8
    .kernarg_segment_size: 88
    .language:       OpenCL C
    .language_version:
      - 2
      - 0
    .max_flat_workgroup_size: 1024
    .name:           _ZN7rocprim17ROCPRIM_400000_NS6detail17trampoline_kernelINS0_14default_configENS1_35radix_sort_onesweep_config_selectorIisEEZZNS1_29radix_sort_onesweep_iterationIS3_Lb0EN6thrust23THRUST_200600_302600_NS10device_ptrIiEESA_NS9_IsEESB_jNS0_19identity_decomposerENS1_16block_id_wrapperIjLb1EEEEE10hipError_tT1_PNSt15iterator_traitsISG_E10value_typeET2_T3_PNSH_ISM_E10value_typeET4_T5_PSR_SS_PNS1_23onesweep_lookback_stateEbbT6_jjT7_P12ihipStream_tbENKUlT_T0_SG_SL_E_clISA_PiSB_PsEEDaSZ_S10_SG_SL_EUlSZ_E_NS1_11comp_targetILNS1_3genE9ELNS1_11target_archE1100ELNS1_3gpuE3ELNS1_3repE0EEENS1_47radix_sort_onesweep_sort_config_static_selectorELNS0_4arch9wavefront6targetE1EEEvSG_
    .private_segment_fixed_size: 0
    .sgpr_count:     6
    .sgpr_spill_count: 0
    .symbol:         _ZN7rocprim17ROCPRIM_400000_NS6detail17trampoline_kernelINS0_14default_configENS1_35radix_sort_onesweep_config_selectorIisEEZZNS1_29radix_sort_onesweep_iterationIS3_Lb0EN6thrust23THRUST_200600_302600_NS10device_ptrIiEESA_NS9_IsEESB_jNS0_19identity_decomposerENS1_16block_id_wrapperIjLb1EEEEE10hipError_tT1_PNSt15iterator_traitsISG_E10value_typeET2_T3_PNSH_ISM_E10value_typeET4_T5_PSR_SS_PNS1_23onesweep_lookback_stateEbbT6_jjT7_P12ihipStream_tbENKUlT_T0_SG_SL_E_clISA_PiSB_PsEEDaSZ_S10_SG_SL_EUlSZ_E_NS1_11comp_targetILNS1_3genE9ELNS1_11target_archE1100ELNS1_3gpuE3ELNS1_3repE0EEENS1_47radix_sort_onesweep_sort_config_static_selectorELNS0_4arch9wavefront6targetE1EEEvSG_.kd
    .uniform_work_group_size: 1
    .uses_dynamic_stack: false
    .vgpr_count:     0
    .vgpr_spill_count: 0
    .wavefront_size: 64
  - .agpr_count:     0
    .args:
      - .offset:         0
        .size:           88
        .value_kind:     by_value
    .group_segment_fixed_size: 0
    .kernarg_segment_align: 8
    .kernarg_segment_size: 88
    .language:       OpenCL C
    .language_version:
      - 2
      - 0
    .max_flat_workgroup_size: 1024
    .name:           _ZN7rocprim17ROCPRIM_400000_NS6detail17trampoline_kernelINS0_14default_configENS1_35radix_sort_onesweep_config_selectorIisEEZZNS1_29radix_sort_onesweep_iterationIS3_Lb0EN6thrust23THRUST_200600_302600_NS10device_ptrIiEESA_NS9_IsEESB_jNS0_19identity_decomposerENS1_16block_id_wrapperIjLb1EEEEE10hipError_tT1_PNSt15iterator_traitsISG_E10value_typeET2_T3_PNSH_ISM_E10value_typeET4_T5_PSR_SS_PNS1_23onesweep_lookback_stateEbbT6_jjT7_P12ihipStream_tbENKUlT_T0_SG_SL_E_clISA_PiSB_PsEEDaSZ_S10_SG_SL_EUlSZ_E_NS1_11comp_targetILNS1_3genE8ELNS1_11target_archE1030ELNS1_3gpuE2ELNS1_3repE0EEENS1_47radix_sort_onesweep_sort_config_static_selectorELNS0_4arch9wavefront6targetE1EEEvSG_
    .private_segment_fixed_size: 0
    .sgpr_count:     6
    .sgpr_spill_count: 0
    .symbol:         _ZN7rocprim17ROCPRIM_400000_NS6detail17trampoline_kernelINS0_14default_configENS1_35radix_sort_onesweep_config_selectorIisEEZZNS1_29radix_sort_onesweep_iterationIS3_Lb0EN6thrust23THRUST_200600_302600_NS10device_ptrIiEESA_NS9_IsEESB_jNS0_19identity_decomposerENS1_16block_id_wrapperIjLb1EEEEE10hipError_tT1_PNSt15iterator_traitsISG_E10value_typeET2_T3_PNSH_ISM_E10value_typeET4_T5_PSR_SS_PNS1_23onesweep_lookback_stateEbbT6_jjT7_P12ihipStream_tbENKUlT_T0_SG_SL_E_clISA_PiSB_PsEEDaSZ_S10_SG_SL_EUlSZ_E_NS1_11comp_targetILNS1_3genE8ELNS1_11target_archE1030ELNS1_3gpuE2ELNS1_3repE0EEENS1_47radix_sort_onesweep_sort_config_static_selectorELNS0_4arch9wavefront6targetE1EEEvSG_.kd
    .uniform_work_group_size: 1
    .uses_dynamic_stack: false
    .vgpr_count:     0
    .vgpr_spill_count: 0
    .wavefront_size: 64
  - .agpr_count:     0
    .args:
      - .offset:         0
        .size:           88
        .value_kind:     by_value
    .group_segment_fixed_size: 0
    .kernarg_segment_align: 8
    .kernarg_segment_size: 88
    .language:       OpenCL C
    .language_version:
      - 2
      - 0
    .max_flat_workgroup_size: 1024
    .name:           _ZN7rocprim17ROCPRIM_400000_NS6detail17trampoline_kernelINS0_14default_configENS1_35radix_sort_onesweep_config_selectorIisEEZZNS1_29radix_sort_onesweep_iterationIS3_Lb0EN6thrust23THRUST_200600_302600_NS10device_ptrIiEESA_NS9_IsEESB_jNS0_19identity_decomposerENS1_16block_id_wrapperIjLb1EEEEE10hipError_tT1_PNSt15iterator_traitsISG_E10value_typeET2_T3_PNSH_ISM_E10value_typeET4_T5_PSR_SS_PNS1_23onesweep_lookback_stateEbbT6_jjT7_P12ihipStream_tbENKUlT_T0_SG_SL_E_clIPiSA_PsSB_EEDaSZ_S10_SG_SL_EUlSZ_E_NS1_11comp_targetILNS1_3genE0ELNS1_11target_archE4294967295ELNS1_3gpuE0ELNS1_3repE0EEENS1_47radix_sort_onesweep_sort_config_static_selectorELNS0_4arch9wavefront6targetE1EEEvSG_
    .private_segment_fixed_size: 0
    .sgpr_count:     6
    .sgpr_spill_count: 0
    .symbol:         _ZN7rocprim17ROCPRIM_400000_NS6detail17trampoline_kernelINS0_14default_configENS1_35radix_sort_onesweep_config_selectorIisEEZZNS1_29radix_sort_onesweep_iterationIS3_Lb0EN6thrust23THRUST_200600_302600_NS10device_ptrIiEESA_NS9_IsEESB_jNS0_19identity_decomposerENS1_16block_id_wrapperIjLb1EEEEE10hipError_tT1_PNSt15iterator_traitsISG_E10value_typeET2_T3_PNSH_ISM_E10value_typeET4_T5_PSR_SS_PNS1_23onesweep_lookback_stateEbbT6_jjT7_P12ihipStream_tbENKUlT_T0_SG_SL_E_clIPiSA_PsSB_EEDaSZ_S10_SG_SL_EUlSZ_E_NS1_11comp_targetILNS1_3genE0ELNS1_11target_archE4294967295ELNS1_3gpuE0ELNS1_3repE0EEENS1_47radix_sort_onesweep_sort_config_static_selectorELNS0_4arch9wavefront6targetE1EEEvSG_.kd
    .uniform_work_group_size: 1
    .uses_dynamic_stack: false
    .vgpr_count:     0
    .vgpr_spill_count: 0
    .wavefront_size: 64
  - .agpr_count:     0
    .args:
      - .offset:         0
        .size:           88
        .value_kind:     by_value
      - .offset:         88
        .size:           4
        .value_kind:     hidden_block_count_x
      - .offset:         92
        .size:           4
        .value_kind:     hidden_block_count_y
      - .offset:         96
        .size:           4
        .value_kind:     hidden_block_count_z
      - .offset:         100
        .size:           2
        .value_kind:     hidden_group_size_x
      - .offset:         102
        .size:           2
        .value_kind:     hidden_group_size_y
      - .offset:         104
        .size:           2
        .value_kind:     hidden_group_size_z
      - .offset:         106
        .size:           2
        .value_kind:     hidden_remainder_x
      - .offset:         108
        .size:           2
        .value_kind:     hidden_remainder_y
      - .offset:         110
        .size:           2
        .value_kind:     hidden_remainder_z
      - .offset:         128
        .size:           8
        .value_kind:     hidden_global_offset_x
      - .offset:         136
        .size:           8
        .value_kind:     hidden_global_offset_y
      - .offset:         144
        .size:           8
        .value_kind:     hidden_global_offset_z
      - .offset:         152
        .size:           2
        .value_kind:     hidden_grid_dims
    .group_segment_fixed_size: 53328
    .kernarg_segment_align: 8
    .kernarg_segment_size: 344
    .language:       OpenCL C
    .language_version:
      - 2
      - 0
    .max_flat_workgroup_size: 1024
    .name:           _ZN7rocprim17ROCPRIM_400000_NS6detail17trampoline_kernelINS0_14default_configENS1_35radix_sort_onesweep_config_selectorIisEEZZNS1_29radix_sort_onesweep_iterationIS3_Lb0EN6thrust23THRUST_200600_302600_NS10device_ptrIiEESA_NS9_IsEESB_jNS0_19identity_decomposerENS1_16block_id_wrapperIjLb1EEEEE10hipError_tT1_PNSt15iterator_traitsISG_E10value_typeET2_T3_PNSH_ISM_E10value_typeET4_T5_PSR_SS_PNS1_23onesweep_lookback_stateEbbT6_jjT7_P12ihipStream_tbENKUlT_T0_SG_SL_E_clIPiSA_PsSB_EEDaSZ_S10_SG_SL_EUlSZ_E_NS1_11comp_targetILNS1_3genE6ELNS1_11target_archE950ELNS1_3gpuE13ELNS1_3repE0EEENS1_47radix_sort_onesweep_sort_config_static_selectorELNS0_4arch9wavefront6targetE1EEEvSG_
    .private_segment_fixed_size: 48
    .sgpr_count:     65
    .sgpr_spill_count: 0
    .symbol:         _ZN7rocprim17ROCPRIM_400000_NS6detail17trampoline_kernelINS0_14default_configENS1_35radix_sort_onesweep_config_selectorIisEEZZNS1_29radix_sort_onesweep_iterationIS3_Lb0EN6thrust23THRUST_200600_302600_NS10device_ptrIiEESA_NS9_IsEESB_jNS0_19identity_decomposerENS1_16block_id_wrapperIjLb1EEEEE10hipError_tT1_PNSt15iterator_traitsISG_E10value_typeET2_T3_PNSH_ISM_E10value_typeET4_T5_PSR_SS_PNS1_23onesweep_lookback_stateEbbT6_jjT7_P12ihipStream_tbENKUlT_T0_SG_SL_E_clIPiSA_PsSB_EEDaSZ_S10_SG_SL_EUlSZ_E_NS1_11comp_targetILNS1_3genE6ELNS1_11target_archE950ELNS1_3gpuE13ELNS1_3repE0EEENS1_47radix_sort_onesweep_sort_config_static_selectorELNS0_4arch9wavefront6targetE1EEEvSG_.kd
    .uniform_work_group_size: 1
    .uses_dynamic_stack: false
    .vgpr_count:     53
    .vgpr_spill_count: 0
    .wavefront_size: 64
  - .agpr_count:     0
    .args:
      - .offset:         0
        .size:           88
        .value_kind:     by_value
    .group_segment_fixed_size: 0
    .kernarg_segment_align: 8
    .kernarg_segment_size: 88
    .language:       OpenCL C
    .language_version:
      - 2
      - 0
    .max_flat_workgroup_size: 1024
    .name:           _ZN7rocprim17ROCPRIM_400000_NS6detail17trampoline_kernelINS0_14default_configENS1_35radix_sort_onesweep_config_selectorIisEEZZNS1_29radix_sort_onesweep_iterationIS3_Lb0EN6thrust23THRUST_200600_302600_NS10device_ptrIiEESA_NS9_IsEESB_jNS0_19identity_decomposerENS1_16block_id_wrapperIjLb1EEEEE10hipError_tT1_PNSt15iterator_traitsISG_E10value_typeET2_T3_PNSH_ISM_E10value_typeET4_T5_PSR_SS_PNS1_23onesweep_lookback_stateEbbT6_jjT7_P12ihipStream_tbENKUlT_T0_SG_SL_E_clIPiSA_PsSB_EEDaSZ_S10_SG_SL_EUlSZ_E_NS1_11comp_targetILNS1_3genE5ELNS1_11target_archE942ELNS1_3gpuE9ELNS1_3repE0EEENS1_47radix_sort_onesweep_sort_config_static_selectorELNS0_4arch9wavefront6targetE1EEEvSG_
    .private_segment_fixed_size: 0
    .sgpr_count:     6
    .sgpr_spill_count: 0
    .symbol:         _ZN7rocprim17ROCPRIM_400000_NS6detail17trampoline_kernelINS0_14default_configENS1_35radix_sort_onesweep_config_selectorIisEEZZNS1_29radix_sort_onesweep_iterationIS3_Lb0EN6thrust23THRUST_200600_302600_NS10device_ptrIiEESA_NS9_IsEESB_jNS0_19identity_decomposerENS1_16block_id_wrapperIjLb1EEEEE10hipError_tT1_PNSt15iterator_traitsISG_E10value_typeET2_T3_PNSH_ISM_E10value_typeET4_T5_PSR_SS_PNS1_23onesweep_lookback_stateEbbT6_jjT7_P12ihipStream_tbENKUlT_T0_SG_SL_E_clIPiSA_PsSB_EEDaSZ_S10_SG_SL_EUlSZ_E_NS1_11comp_targetILNS1_3genE5ELNS1_11target_archE942ELNS1_3gpuE9ELNS1_3repE0EEENS1_47radix_sort_onesweep_sort_config_static_selectorELNS0_4arch9wavefront6targetE1EEEvSG_.kd
    .uniform_work_group_size: 1
    .uses_dynamic_stack: false
    .vgpr_count:     0
    .vgpr_spill_count: 0
    .wavefront_size: 64
  - .agpr_count:     0
    .args:
      - .offset:         0
        .size:           88
        .value_kind:     by_value
    .group_segment_fixed_size: 0
    .kernarg_segment_align: 8
    .kernarg_segment_size: 88
    .language:       OpenCL C
    .language_version:
      - 2
      - 0
    .max_flat_workgroup_size: 512
    .name:           _ZN7rocprim17ROCPRIM_400000_NS6detail17trampoline_kernelINS0_14default_configENS1_35radix_sort_onesweep_config_selectorIisEEZZNS1_29radix_sort_onesweep_iterationIS3_Lb0EN6thrust23THRUST_200600_302600_NS10device_ptrIiEESA_NS9_IsEESB_jNS0_19identity_decomposerENS1_16block_id_wrapperIjLb1EEEEE10hipError_tT1_PNSt15iterator_traitsISG_E10value_typeET2_T3_PNSH_ISM_E10value_typeET4_T5_PSR_SS_PNS1_23onesweep_lookback_stateEbbT6_jjT7_P12ihipStream_tbENKUlT_T0_SG_SL_E_clIPiSA_PsSB_EEDaSZ_S10_SG_SL_EUlSZ_E_NS1_11comp_targetILNS1_3genE2ELNS1_11target_archE906ELNS1_3gpuE6ELNS1_3repE0EEENS1_47radix_sort_onesweep_sort_config_static_selectorELNS0_4arch9wavefront6targetE1EEEvSG_
    .private_segment_fixed_size: 0
    .sgpr_count:     6
    .sgpr_spill_count: 0
    .symbol:         _ZN7rocprim17ROCPRIM_400000_NS6detail17trampoline_kernelINS0_14default_configENS1_35radix_sort_onesweep_config_selectorIisEEZZNS1_29radix_sort_onesweep_iterationIS3_Lb0EN6thrust23THRUST_200600_302600_NS10device_ptrIiEESA_NS9_IsEESB_jNS0_19identity_decomposerENS1_16block_id_wrapperIjLb1EEEEE10hipError_tT1_PNSt15iterator_traitsISG_E10value_typeET2_T3_PNSH_ISM_E10value_typeET4_T5_PSR_SS_PNS1_23onesweep_lookback_stateEbbT6_jjT7_P12ihipStream_tbENKUlT_T0_SG_SL_E_clIPiSA_PsSB_EEDaSZ_S10_SG_SL_EUlSZ_E_NS1_11comp_targetILNS1_3genE2ELNS1_11target_archE906ELNS1_3gpuE6ELNS1_3repE0EEENS1_47radix_sort_onesweep_sort_config_static_selectorELNS0_4arch9wavefront6targetE1EEEvSG_.kd
    .uniform_work_group_size: 1
    .uses_dynamic_stack: false
    .vgpr_count:     0
    .vgpr_spill_count: 0
    .wavefront_size: 64
  - .agpr_count:     0
    .args:
      - .offset:         0
        .size:           88
        .value_kind:     by_value
    .group_segment_fixed_size: 0
    .kernarg_segment_align: 8
    .kernarg_segment_size: 88
    .language:       OpenCL C
    .language_version:
      - 2
      - 0
    .max_flat_workgroup_size: 512
    .name:           _ZN7rocprim17ROCPRIM_400000_NS6detail17trampoline_kernelINS0_14default_configENS1_35radix_sort_onesweep_config_selectorIisEEZZNS1_29radix_sort_onesweep_iterationIS3_Lb0EN6thrust23THRUST_200600_302600_NS10device_ptrIiEESA_NS9_IsEESB_jNS0_19identity_decomposerENS1_16block_id_wrapperIjLb1EEEEE10hipError_tT1_PNSt15iterator_traitsISG_E10value_typeET2_T3_PNSH_ISM_E10value_typeET4_T5_PSR_SS_PNS1_23onesweep_lookback_stateEbbT6_jjT7_P12ihipStream_tbENKUlT_T0_SG_SL_E_clIPiSA_PsSB_EEDaSZ_S10_SG_SL_EUlSZ_E_NS1_11comp_targetILNS1_3genE4ELNS1_11target_archE910ELNS1_3gpuE8ELNS1_3repE0EEENS1_47radix_sort_onesweep_sort_config_static_selectorELNS0_4arch9wavefront6targetE1EEEvSG_
    .private_segment_fixed_size: 0
    .sgpr_count:     6
    .sgpr_spill_count: 0
    .symbol:         _ZN7rocprim17ROCPRIM_400000_NS6detail17trampoline_kernelINS0_14default_configENS1_35radix_sort_onesweep_config_selectorIisEEZZNS1_29radix_sort_onesweep_iterationIS3_Lb0EN6thrust23THRUST_200600_302600_NS10device_ptrIiEESA_NS9_IsEESB_jNS0_19identity_decomposerENS1_16block_id_wrapperIjLb1EEEEE10hipError_tT1_PNSt15iterator_traitsISG_E10value_typeET2_T3_PNSH_ISM_E10value_typeET4_T5_PSR_SS_PNS1_23onesweep_lookback_stateEbbT6_jjT7_P12ihipStream_tbENKUlT_T0_SG_SL_E_clIPiSA_PsSB_EEDaSZ_S10_SG_SL_EUlSZ_E_NS1_11comp_targetILNS1_3genE4ELNS1_11target_archE910ELNS1_3gpuE8ELNS1_3repE0EEENS1_47radix_sort_onesweep_sort_config_static_selectorELNS0_4arch9wavefront6targetE1EEEvSG_.kd
    .uniform_work_group_size: 1
    .uses_dynamic_stack: false
    .vgpr_count:     0
    .vgpr_spill_count: 0
    .wavefront_size: 64
  - .agpr_count:     0
    .args:
      - .offset:         0
        .size:           88
        .value_kind:     by_value
    .group_segment_fixed_size: 0
    .kernarg_segment_align: 8
    .kernarg_segment_size: 88
    .language:       OpenCL C
    .language_version:
      - 2
      - 0
    .max_flat_workgroup_size: 1024
    .name:           _ZN7rocprim17ROCPRIM_400000_NS6detail17trampoline_kernelINS0_14default_configENS1_35radix_sort_onesweep_config_selectorIisEEZZNS1_29radix_sort_onesweep_iterationIS3_Lb0EN6thrust23THRUST_200600_302600_NS10device_ptrIiEESA_NS9_IsEESB_jNS0_19identity_decomposerENS1_16block_id_wrapperIjLb1EEEEE10hipError_tT1_PNSt15iterator_traitsISG_E10value_typeET2_T3_PNSH_ISM_E10value_typeET4_T5_PSR_SS_PNS1_23onesweep_lookback_stateEbbT6_jjT7_P12ihipStream_tbENKUlT_T0_SG_SL_E_clIPiSA_PsSB_EEDaSZ_S10_SG_SL_EUlSZ_E_NS1_11comp_targetILNS1_3genE3ELNS1_11target_archE908ELNS1_3gpuE7ELNS1_3repE0EEENS1_47radix_sort_onesweep_sort_config_static_selectorELNS0_4arch9wavefront6targetE1EEEvSG_
    .private_segment_fixed_size: 0
    .sgpr_count:     6
    .sgpr_spill_count: 0
    .symbol:         _ZN7rocprim17ROCPRIM_400000_NS6detail17trampoline_kernelINS0_14default_configENS1_35radix_sort_onesweep_config_selectorIisEEZZNS1_29radix_sort_onesweep_iterationIS3_Lb0EN6thrust23THRUST_200600_302600_NS10device_ptrIiEESA_NS9_IsEESB_jNS0_19identity_decomposerENS1_16block_id_wrapperIjLb1EEEEE10hipError_tT1_PNSt15iterator_traitsISG_E10value_typeET2_T3_PNSH_ISM_E10value_typeET4_T5_PSR_SS_PNS1_23onesweep_lookback_stateEbbT6_jjT7_P12ihipStream_tbENKUlT_T0_SG_SL_E_clIPiSA_PsSB_EEDaSZ_S10_SG_SL_EUlSZ_E_NS1_11comp_targetILNS1_3genE3ELNS1_11target_archE908ELNS1_3gpuE7ELNS1_3repE0EEENS1_47radix_sort_onesweep_sort_config_static_selectorELNS0_4arch9wavefront6targetE1EEEvSG_.kd
    .uniform_work_group_size: 1
    .uses_dynamic_stack: false
    .vgpr_count:     0
    .vgpr_spill_count: 0
    .wavefront_size: 64
  - .agpr_count:     0
    .args:
      - .offset:         0
        .size:           88
        .value_kind:     by_value
    .group_segment_fixed_size: 0
    .kernarg_segment_align: 8
    .kernarg_segment_size: 88
    .language:       OpenCL C
    .language_version:
      - 2
      - 0
    .max_flat_workgroup_size: 1024
    .name:           _ZN7rocprim17ROCPRIM_400000_NS6detail17trampoline_kernelINS0_14default_configENS1_35radix_sort_onesweep_config_selectorIisEEZZNS1_29radix_sort_onesweep_iterationIS3_Lb0EN6thrust23THRUST_200600_302600_NS10device_ptrIiEESA_NS9_IsEESB_jNS0_19identity_decomposerENS1_16block_id_wrapperIjLb1EEEEE10hipError_tT1_PNSt15iterator_traitsISG_E10value_typeET2_T3_PNSH_ISM_E10value_typeET4_T5_PSR_SS_PNS1_23onesweep_lookback_stateEbbT6_jjT7_P12ihipStream_tbENKUlT_T0_SG_SL_E_clIPiSA_PsSB_EEDaSZ_S10_SG_SL_EUlSZ_E_NS1_11comp_targetILNS1_3genE10ELNS1_11target_archE1201ELNS1_3gpuE5ELNS1_3repE0EEENS1_47radix_sort_onesweep_sort_config_static_selectorELNS0_4arch9wavefront6targetE1EEEvSG_
    .private_segment_fixed_size: 0
    .sgpr_count:     6
    .sgpr_spill_count: 0
    .symbol:         _ZN7rocprim17ROCPRIM_400000_NS6detail17trampoline_kernelINS0_14default_configENS1_35radix_sort_onesweep_config_selectorIisEEZZNS1_29radix_sort_onesweep_iterationIS3_Lb0EN6thrust23THRUST_200600_302600_NS10device_ptrIiEESA_NS9_IsEESB_jNS0_19identity_decomposerENS1_16block_id_wrapperIjLb1EEEEE10hipError_tT1_PNSt15iterator_traitsISG_E10value_typeET2_T3_PNSH_ISM_E10value_typeET4_T5_PSR_SS_PNS1_23onesweep_lookback_stateEbbT6_jjT7_P12ihipStream_tbENKUlT_T0_SG_SL_E_clIPiSA_PsSB_EEDaSZ_S10_SG_SL_EUlSZ_E_NS1_11comp_targetILNS1_3genE10ELNS1_11target_archE1201ELNS1_3gpuE5ELNS1_3repE0EEENS1_47radix_sort_onesweep_sort_config_static_selectorELNS0_4arch9wavefront6targetE1EEEvSG_.kd
    .uniform_work_group_size: 1
    .uses_dynamic_stack: false
    .vgpr_count:     0
    .vgpr_spill_count: 0
    .wavefront_size: 64
  - .agpr_count:     0
    .args:
      - .offset:         0
        .size:           88
        .value_kind:     by_value
    .group_segment_fixed_size: 0
    .kernarg_segment_align: 8
    .kernarg_segment_size: 88
    .language:       OpenCL C
    .language_version:
      - 2
      - 0
    .max_flat_workgroup_size: 1024
    .name:           _ZN7rocprim17ROCPRIM_400000_NS6detail17trampoline_kernelINS0_14default_configENS1_35radix_sort_onesweep_config_selectorIisEEZZNS1_29radix_sort_onesweep_iterationIS3_Lb0EN6thrust23THRUST_200600_302600_NS10device_ptrIiEESA_NS9_IsEESB_jNS0_19identity_decomposerENS1_16block_id_wrapperIjLb1EEEEE10hipError_tT1_PNSt15iterator_traitsISG_E10value_typeET2_T3_PNSH_ISM_E10value_typeET4_T5_PSR_SS_PNS1_23onesweep_lookback_stateEbbT6_jjT7_P12ihipStream_tbENKUlT_T0_SG_SL_E_clIPiSA_PsSB_EEDaSZ_S10_SG_SL_EUlSZ_E_NS1_11comp_targetILNS1_3genE9ELNS1_11target_archE1100ELNS1_3gpuE3ELNS1_3repE0EEENS1_47radix_sort_onesweep_sort_config_static_selectorELNS0_4arch9wavefront6targetE1EEEvSG_
    .private_segment_fixed_size: 0
    .sgpr_count:     6
    .sgpr_spill_count: 0
    .symbol:         _ZN7rocprim17ROCPRIM_400000_NS6detail17trampoline_kernelINS0_14default_configENS1_35radix_sort_onesweep_config_selectorIisEEZZNS1_29radix_sort_onesweep_iterationIS3_Lb0EN6thrust23THRUST_200600_302600_NS10device_ptrIiEESA_NS9_IsEESB_jNS0_19identity_decomposerENS1_16block_id_wrapperIjLb1EEEEE10hipError_tT1_PNSt15iterator_traitsISG_E10value_typeET2_T3_PNSH_ISM_E10value_typeET4_T5_PSR_SS_PNS1_23onesweep_lookback_stateEbbT6_jjT7_P12ihipStream_tbENKUlT_T0_SG_SL_E_clIPiSA_PsSB_EEDaSZ_S10_SG_SL_EUlSZ_E_NS1_11comp_targetILNS1_3genE9ELNS1_11target_archE1100ELNS1_3gpuE3ELNS1_3repE0EEENS1_47radix_sort_onesweep_sort_config_static_selectorELNS0_4arch9wavefront6targetE1EEEvSG_.kd
    .uniform_work_group_size: 1
    .uses_dynamic_stack: false
    .vgpr_count:     0
    .vgpr_spill_count: 0
    .wavefront_size: 64
  - .agpr_count:     0
    .args:
      - .offset:         0
        .size:           88
        .value_kind:     by_value
    .group_segment_fixed_size: 0
    .kernarg_segment_align: 8
    .kernarg_segment_size: 88
    .language:       OpenCL C
    .language_version:
      - 2
      - 0
    .max_flat_workgroup_size: 1024
    .name:           _ZN7rocprim17ROCPRIM_400000_NS6detail17trampoline_kernelINS0_14default_configENS1_35radix_sort_onesweep_config_selectorIisEEZZNS1_29radix_sort_onesweep_iterationIS3_Lb0EN6thrust23THRUST_200600_302600_NS10device_ptrIiEESA_NS9_IsEESB_jNS0_19identity_decomposerENS1_16block_id_wrapperIjLb1EEEEE10hipError_tT1_PNSt15iterator_traitsISG_E10value_typeET2_T3_PNSH_ISM_E10value_typeET4_T5_PSR_SS_PNS1_23onesweep_lookback_stateEbbT6_jjT7_P12ihipStream_tbENKUlT_T0_SG_SL_E_clIPiSA_PsSB_EEDaSZ_S10_SG_SL_EUlSZ_E_NS1_11comp_targetILNS1_3genE8ELNS1_11target_archE1030ELNS1_3gpuE2ELNS1_3repE0EEENS1_47radix_sort_onesweep_sort_config_static_selectorELNS0_4arch9wavefront6targetE1EEEvSG_
    .private_segment_fixed_size: 0
    .sgpr_count:     6
    .sgpr_spill_count: 0
    .symbol:         _ZN7rocprim17ROCPRIM_400000_NS6detail17trampoline_kernelINS0_14default_configENS1_35radix_sort_onesweep_config_selectorIisEEZZNS1_29radix_sort_onesweep_iterationIS3_Lb0EN6thrust23THRUST_200600_302600_NS10device_ptrIiEESA_NS9_IsEESB_jNS0_19identity_decomposerENS1_16block_id_wrapperIjLb1EEEEE10hipError_tT1_PNSt15iterator_traitsISG_E10value_typeET2_T3_PNSH_ISM_E10value_typeET4_T5_PSR_SS_PNS1_23onesweep_lookback_stateEbbT6_jjT7_P12ihipStream_tbENKUlT_T0_SG_SL_E_clIPiSA_PsSB_EEDaSZ_S10_SG_SL_EUlSZ_E_NS1_11comp_targetILNS1_3genE8ELNS1_11target_archE1030ELNS1_3gpuE2ELNS1_3repE0EEENS1_47radix_sort_onesweep_sort_config_static_selectorELNS0_4arch9wavefront6targetE1EEEvSG_.kd
    .uniform_work_group_size: 1
    .uses_dynamic_stack: false
    .vgpr_count:     0
    .vgpr_spill_count: 0
    .wavefront_size: 64
  - .agpr_count:     0
    .args:
      - .offset:         0
        .size:           88
        .value_kind:     by_value
    .group_segment_fixed_size: 0
    .kernarg_segment_align: 8
    .kernarg_segment_size: 88
    .language:       OpenCL C
    .language_version:
      - 2
      - 0
    .max_flat_workgroup_size: 1024
    .name:           _ZN7rocprim17ROCPRIM_400000_NS6detail17trampoline_kernelINS0_14default_configENS1_35radix_sort_onesweep_config_selectorIisEEZZNS1_29radix_sort_onesweep_iterationIS3_Lb0EN6thrust23THRUST_200600_302600_NS10device_ptrIiEESA_NS9_IsEESB_jNS0_19identity_decomposerENS1_16block_id_wrapperIjLb0EEEEE10hipError_tT1_PNSt15iterator_traitsISG_E10value_typeET2_T3_PNSH_ISM_E10value_typeET4_T5_PSR_SS_PNS1_23onesweep_lookback_stateEbbT6_jjT7_P12ihipStream_tbENKUlT_T0_SG_SL_E_clISA_SA_SB_SB_EEDaSZ_S10_SG_SL_EUlSZ_E_NS1_11comp_targetILNS1_3genE0ELNS1_11target_archE4294967295ELNS1_3gpuE0ELNS1_3repE0EEENS1_47radix_sort_onesweep_sort_config_static_selectorELNS0_4arch9wavefront6targetE1EEEvSG_
    .private_segment_fixed_size: 0
    .sgpr_count:     6
    .sgpr_spill_count: 0
    .symbol:         _ZN7rocprim17ROCPRIM_400000_NS6detail17trampoline_kernelINS0_14default_configENS1_35radix_sort_onesweep_config_selectorIisEEZZNS1_29radix_sort_onesweep_iterationIS3_Lb0EN6thrust23THRUST_200600_302600_NS10device_ptrIiEESA_NS9_IsEESB_jNS0_19identity_decomposerENS1_16block_id_wrapperIjLb0EEEEE10hipError_tT1_PNSt15iterator_traitsISG_E10value_typeET2_T3_PNSH_ISM_E10value_typeET4_T5_PSR_SS_PNS1_23onesweep_lookback_stateEbbT6_jjT7_P12ihipStream_tbENKUlT_T0_SG_SL_E_clISA_SA_SB_SB_EEDaSZ_S10_SG_SL_EUlSZ_E_NS1_11comp_targetILNS1_3genE0ELNS1_11target_archE4294967295ELNS1_3gpuE0ELNS1_3repE0EEENS1_47radix_sort_onesweep_sort_config_static_selectorELNS0_4arch9wavefront6targetE1EEEvSG_.kd
    .uniform_work_group_size: 1
    .uses_dynamic_stack: false
    .vgpr_count:     0
    .vgpr_spill_count: 0
    .wavefront_size: 64
  - .agpr_count:     0
    .args:
      - .offset:         0
        .size:           88
        .value_kind:     by_value
      - .offset:         88
        .size:           4
        .value_kind:     hidden_block_count_x
      - .offset:         92
        .size:           4
        .value_kind:     hidden_block_count_y
      - .offset:         96
        .size:           4
        .value_kind:     hidden_block_count_z
      - .offset:         100
        .size:           2
        .value_kind:     hidden_group_size_x
      - .offset:         102
        .size:           2
        .value_kind:     hidden_group_size_y
      - .offset:         104
        .size:           2
        .value_kind:     hidden_group_size_z
      - .offset:         106
        .size:           2
        .value_kind:     hidden_remainder_x
      - .offset:         108
        .size:           2
        .value_kind:     hidden_remainder_y
      - .offset:         110
        .size:           2
        .value_kind:     hidden_remainder_z
      - .offset:         128
        .size:           8
        .value_kind:     hidden_global_offset_x
      - .offset:         136
        .size:           8
        .value_kind:     hidden_global_offset_y
      - .offset:         144
        .size:           8
        .value_kind:     hidden_global_offset_z
      - .offset:         152
        .size:           2
        .value_kind:     hidden_grid_dims
    .group_segment_fixed_size: 53328
    .kernarg_segment_align: 8
    .kernarg_segment_size: 344
    .language:       OpenCL C
    .language_version:
      - 2
      - 0
    .max_flat_workgroup_size: 1024
    .name:           _ZN7rocprim17ROCPRIM_400000_NS6detail17trampoline_kernelINS0_14default_configENS1_35radix_sort_onesweep_config_selectorIisEEZZNS1_29radix_sort_onesweep_iterationIS3_Lb0EN6thrust23THRUST_200600_302600_NS10device_ptrIiEESA_NS9_IsEESB_jNS0_19identity_decomposerENS1_16block_id_wrapperIjLb0EEEEE10hipError_tT1_PNSt15iterator_traitsISG_E10value_typeET2_T3_PNSH_ISM_E10value_typeET4_T5_PSR_SS_PNS1_23onesweep_lookback_stateEbbT6_jjT7_P12ihipStream_tbENKUlT_T0_SG_SL_E_clISA_SA_SB_SB_EEDaSZ_S10_SG_SL_EUlSZ_E_NS1_11comp_targetILNS1_3genE6ELNS1_11target_archE950ELNS1_3gpuE13ELNS1_3repE0EEENS1_47radix_sort_onesweep_sort_config_static_selectorELNS0_4arch9wavefront6targetE1EEEvSG_
    .private_segment_fixed_size: 48
    .sgpr_count:     62
    .sgpr_spill_count: 0
    .symbol:         _ZN7rocprim17ROCPRIM_400000_NS6detail17trampoline_kernelINS0_14default_configENS1_35radix_sort_onesweep_config_selectorIisEEZZNS1_29radix_sort_onesweep_iterationIS3_Lb0EN6thrust23THRUST_200600_302600_NS10device_ptrIiEESA_NS9_IsEESB_jNS0_19identity_decomposerENS1_16block_id_wrapperIjLb0EEEEE10hipError_tT1_PNSt15iterator_traitsISG_E10value_typeET2_T3_PNSH_ISM_E10value_typeET4_T5_PSR_SS_PNS1_23onesweep_lookback_stateEbbT6_jjT7_P12ihipStream_tbENKUlT_T0_SG_SL_E_clISA_SA_SB_SB_EEDaSZ_S10_SG_SL_EUlSZ_E_NS1_11comp_targetILNS1_3genE6ELNS1_11target_archE950ELNS1_3gpuE13ELNS1_3repE0EEENS1_47radix_sort_onesweep_sort_config_static_selectorELNS0_4arch9wavefront6targetE1EEEvSG_.kd
    .uniform_work_group_size: 1
    .uses_dynamic_stack: false
    .vgpr_count:     53
    .vgpr_spill_count: 0
    .wavefront_size: 64
  - .agpr_count:     0
    .args:
      - .offset:         0
        .size:           88
        .value_kind:     by_value
    .group_segment_fixed_size: 0
    .kernarg_segment_align: 8
    .kernarg_segment_size: 88
    .language:       OpenCL C
    .language_version:
      - 2
      - 0
    .max_flat_workgroup_size: 1024
    .name:           _ZN7rocprim17ROCPRIM_400000_NS6detail17trampoline_kernelINS0_14default_configENS1_35radix_sort_onesweep_config_selectorIisEEZZNS1_29radix_sort_onesweep_iterationIS3_Lb0EN6thrust23THRUST_200600_302600_NS10device_ptrIiEESA_NS9_IsEESB_jNS0_19identity_decomposerENS1_16block_id_wrapperIjLb0EEEEE10hipError_tT1_PNSt15iterator_traitsISG_E10value_typeET2_T3_PNSH_ISM_E10value_typeET4_T5_PSR_SS_PNS1_23onesweep_lookback_stateEbbT6_jjT7_P12ihipStream_tbENKUlT_T0_SG_SL_E_clISA_SA_SB_SB_EEDaSZ_S10_SG_SL_EUlSZ_E_NS1_11comp_targetILNS1_3genE5ELNS1_11target_archE942ELNS1_3gpuE9ELNS1_3repE0EEENS1_47radix_sort_onesweep_sort_config_static_selectorELNS0_4arch9wavefront6targetE1EEEvSG_
    .private_segment_fixed_size: 0
    .sgpr_count:     6
    .sgpr_spill_count: 0
    .symbol:         _ZN7rocprim17ROCPRIM_400000_NS6detail17trampoline_kernelINS0_14default_configENS1_35radix_sort_onesweep_config_selectorIisEEZZNS1_29radix_sort_onesweep_iterationIS3_Lb0EN6thrust23THRUST_200600_302600_NS10device_ptrIiEESA_NS9_IsEESB_jNS0_19identity_decomposerENS1_16block_id_wrapperIjLb0EEEEE10hipError_tT1_PNSt15iterator_traitsISG_E10value_typeET2_T3_PNSH_ISM_E10value_typeET4_T5_PSR_SS_PNS1_23onesweep_lookback_stateEbbT6_jjT7_P12ihipStream_tbENKUlT_T0_SG_SL_E_clISA_SA_SB_SB_EEDaSZ_S10_SG_SL_EUlSZ_E_NS1_11comp_targetILNS1_3genE5ELNS1_11target_archE942ELNS1_3gpuE9ELNS1_3repE0EEENS1_47radix_sort_onesweep_sort_config_static_selectorELNS0_4arch9wavefront6targetE1EEEvSG_.kd
    .uniform_work_group_size: 1
    .uses_dynamic_stack: false
    .vgpr_count:     0
    .vgpr_spill_count: 0
    .wavefront_size: 64
  - .agpr_count:     0
    .args:
      - .offset:         0
        .size:           88
        .value_kind:     by_value
    .group_segment_fixed_size: 0
    .kernarg_segment_align: 8
    .kernarg_segment_size: 88
    .language:       OpenCL C
    .language_version:
      - 2
      - 0
    .max_flat_workgroup_size: 512
    .name:           _ZN7rocprim17ROCPRIM_400000_NS6detail17trampoline_kernelINS0_14default_configENS1_35radix_sort_onesweep_config_selectorIisEEZZNS1_29radix_sort_onesweep_iterationIS3_Lb0EN6thrust23THRUST_200600_302600_NS10device_ptrIiEESA_NS9_IsEESB_jNS0_19identity_decomposerENS1_16block_id_wrapperIjLb0EEEEE10hipError_tT1_PNSt15iterator_traitsISG_E10value_typeET2_T3_PNSH_ISM_E10value_typeET4_T5_PSR_SS_PNS1_23onesweep_lookback_stateEbbT6_jjT7_P12ihipStream_tbENKUlT_T0_SG_SL_E_clISA_SA_SB_SB_EEDaSZ_S10_SG_SL_EUlSZ_E_NS1_11comp_targetILNS1_3genE2ELNS1_11target_archE906ELNS1_3gpuE6ELNS1_3repE0EEENS1_47radix_sort_onesweep_sort_config_static_selectorELNS0_4arch9wavefront6targetE1EEEvSG_
    .private_segment_fixed_size: 0
    .sgpr_count:     6
    .sgpr_spill_count: 0
    .symbol:         _ZN7rocprim17ROCPRIM_400000_NS6detail17trampoline_kernelINS0_14default_configENS1_35radix_sort_onesweep_config_selectorIisEEZZNS1_29radix_sort_onesweep_iterationIS3_Lb0EN6thrust23THRUST_200600_302600_NS10device_ptrIiEESA_NS9_IsEESB_jNS0_19identity_decomposerENS1_16block_id_wrapperIjLb0EEEEE10hipError_tT1_PNSt15iterator_traitsISG_E10value_typeET2_T3_PNSH_ISM_E10value_typeET4_T5_PSR_SS_PNS1_23onesweep_lookback_stateEbbT6_jjT7_P12ihipStream_tbENKUlT_T0_SG_SL_E_clISA_SA_SB_SB_EEDaSZ_S10_SG_SL_EUlSZ_E_NS1_11comp_targetILNS1_3genE2ELNS1_11target_archE906ELNS1_3gpuE6ELNS1_3repE0EEENS1_47radix_sort_onesweep_sort_config_static_selectorELNS0_4arch9wavefront6targetE1EEEvSG_.kd
    .uniform_work_group_size: 1
    .uses_dynamic_stack: false
    .vgpr_count:     0
    .vgpr_spill_count: 0
    .wavefront_size: 64
  - .agpr_count:     0
    .args:
      - .offset:         0
        .size:           88
        .value_kind:     by_value
    .group_segment_fixed_size: 0
    .kernarg_segment_align: 8
    .kernarg_segment_size: 88
    .language:       OpenCL C
    .language_version:
      - 2
      - 0
    .max_flat_workgroup_size: 512
    .name:           _ZN7rocprim17ROCPRIM_400000_NS6detail17trampoline_kernelINS0_14default_configENS1_35radix_sort_onesweep_config_selectorIisEEZZNS1_29radix_sort_onesweep_iterationIS3_Lb0EN6thrust23THRUST_200600_302600_NS10device_ptrIiEESA_NS9_IsEESB_jNS0_19identity_decomposerENS1_16block_id_wrapperIjLb0EEEEE10hipError_tT1_PNSt15iterator_traitsISG_E10value_typeET2_T3_PNSH_ISM_E10value_typeET4_T5_PSR_SS_PNS1_23onesweep_lookback_stateEbbT6_jjT7_P12ihipStream_tbENKUlT_T0_SG_SL_E_clISA_SA_SB_SB_EEDaSZ_S10_SG_SL_EUlSZ_E_NS1_11comp_targetILNS1_3genE4ELNS1_11target_archE910ELNS1_3gpuE8ELNS1_3repE0EEENS1_47radix_sort_onesweep_sort_config_static_selectorELNS0_4arch9wavefront6targetE1EEEvSG_
    .private_segment_fixed_size: 0
    .sgpr_count:     6
    .sgpr_spill_count: 0
    .symbol:         _ZN7rocprim17ROCPRIM_400000_NS6detail17trampoline_kernelINS0_14default_configENS1_35radix_sort_onesweep_config_selectorIisEEZZNS1_29radix_sort_onesweep_iterationIS3_Lb0EN6thrust23THRUST_200600_302600_NS10device_ptrIiEESA_NS9_IsEESB_jNS0_19identity_decomposerENS1_16block_id_wrapperIjLb0EEEEE10hipError_tT1_PNSt15iterator_traitsISG_E10value_typeET2_T3_PNSH_ISM_E10value_typeET4_T5_PSR_SS_PNS1_23onesweep_lookback_stateEbbT6_jjT7_P12ihipStream_tbENKUlT_T0_SG_SL_E_clISA_SA_SB_SB_EEDaSZ_S10_SG_SL_EUlSZ_E_NS1_11comp_targetILNS1_3genE4ELNS1_11target_archE910ELNS1_3gpuE8ELNS1_3repE0EEENS1_47radix_sort_onesweep_sort_config_static_selectorELNS0_4arch9wavefront6targetE1EEEvSG_.kd
    .uniform_work_group_size: 1
    .uses_dynamic_stack: false
    .vgpr_count:     0
    .vgpr_spill_count: 0
    .wavefront_size: 64
  - .agpr_count:     0
    .args:
      - .offset:         0
        .size:           88
        .value_kind:     by_value
    .group_segment_fixed_size: 0
    .kernarg_segment_align: 8
    .kernarg_segment_size: 88
    .language:       OpenCL C
    .language_version:
      - 2
      - 0
    .max_flat_workgroup_size: 1024
    .name:           _ZN7rocprim17ROCPRIM_400000_NS6detail17trampoline_kernelINS0_14default_configENS1_35radix_sort_onesweep_config_selectorIisEEZZNS1_29radix_sort_onesweep_iterationIS3_Lb0EN6thrust23THRUST_200600_302600_NS10device_ptrIiEESA_NS9_IsEESB_jNS0_19identity_decomposerENS1_16block_id_wrapperIjLb0EEEEE10hipError_tT1_PNSt15iterator_traitsISG_E10value_typeET2_T3_PNSH_ISM_E10value_typeET4_T5_PSR_SS_PNS1_23onesweep_lookback_stateEbbT6_jjT7_P12ihipStream_tbENKUlT_T0_SG_SL_E_clISA_SA_SB_SB_EEDaSZ_S10_SG_SL_EUlSZ_E_NS1_11comp_targetILNS1_3genE3ELNS1_11target_archE908ELNS1_3gpuE7ELNS1_3repE0EEENS1_47radix_sort_onesweep_sort_config_static_selectorELNS0_4arch9wavefront6targetE1EEEvSG_
    .private_segment_fixed_size: 0
    .sgpr_count:     6
    .sgpr_spill_count: 0
    .symbol:         _ZN7rocprim17ROCPRIM_400000_NS6detail17trampoline_kernelINS0_14default_configENS1_35radix_sort_onesweep_config_selectorIisEEZZNS1_29radix_sort_onesweep_iterationIS3_Lb0EN6thrust23THRUST_200600_302600_NS10device_ptrIiEESA_NS9_IsEESB_jNS0_19identity_decomposerENS1_16block_id_wrapperIjLb0EEEEE10hipError_tT1_PNSt15iterator_traitsISG_E10value_typeET2_T3_PNSH_ISM_E10value_typeET4_T5_PSR_SS_PNS1_23onesweep_lookback_stateEbbT6_jjT7_P12ihipStream_tbENKUlT_T0_SG_SL_E_clISA_SA_SB_SB_EEDaSZ_S10_SG_SL_EUlSZ_E_NS1_11comp_targetILNS1_3genE3ELNS1_11target_archE908ELNS1_3gpuE7ELNS1_3repE0EEENS1_47radix_sort_onesweep_sort_config_static_selectorELNS0_4arch9wavefront6targetE1EEEvSG_.kd
    .uniform_work_group_size: 1
    .uses_dynamic_stack: false
    .vgpr_count:     0
    .vgpr_spill_count: 0
    .wavefront_size: 64
  - .agpr_count:     0
    .args:
      - .offset:         0
        .size:           88
        .value_kind:     by_value
    .group_segment_fixed_size: 0
    .kernarg_segment_align: 8
    .kernarg_segment_size: 88
    .language:       OpenCL C
    .language_version:
      - 2
      - 0
    .max_flat_workgroup_size: 1024
    .name:           _ZN7rocprim17ROCPRIM_400000_NS6detail17trampoline_kernelINS0_14default_configENS1_35radix_sort_onesweep_config_selectorIisEEZZNS1_29radix_sort_onesweep_iterationIS3_Lb0EN6thrust23THRUST_200600_302600_NS10device_ptrIiEESA_NS9_IsEESB_jNS0_19identity_decomposerENS1_16block_id_wrapperIjLb0EEEEE10hipError_tT1_PNSt15iterator_traitsISG_E10value_typeET2_T3_PNSH_ISM_E10value_typeET4_T5_PSR_SS_PNS1_23onesweep_lookback_stateEbbT6_jjT7_P12ihipStream_tbENKUlT_T0_SG_SL_E_clISA_SA_SB_SB_EEDaSZ_S10_SG_SL_EUlSZ_E_NS1_11comp_targetILNS1_3genE10ELNS1_11target_archE1201ELNS1_3gpuE5ELNS1_3repE0EEENS1_47radix_sort_onesweep_sort_config_static_selectorELNS0_4arch9wavefront6targetE1EEEvSG_
    .private_segment_fixed_size: 0
    .sgpr_count:     6
    .sgpr_spill_count: 0
    .symbol:         _ZN7rocprim17ROCPRIM_400000_NS6detail17trampoline_kernelINS0_14default_configENS1_35radix_sort_onesweep_config_selectorIisEEZZNS1_29radix_sort_onesweep_iterationIS3_Lb0EN6thrust23THRUST_200600_302600_NS10device_ptrIiEESA_NS9_IsEESB_jNS0_19identity_decomposerENS1_16block_id_wrapperIjLb0EEEEE10hipError_tT1_PNSt15iterator_traitsISG_E10value_typeET2_T3_PNSH_ISM_E10value_typeET4_T5_PSR_SS_PNS1_23onesweep_lookback_stateEbbT6_jjT7_P12ihipStream_tbENKUlT_T0_SG_SL_E_clISA_SA_SB_SB_EEDaSZ_S10_SG_SL_EUlSZ_E_NS1_11comp_targetILNS1_3genE10ELNS1_11target_archE1201ELNS1_3gpuE5ELNS1_3repE0EEENS1_47radix_sort_onesweep_sort_config_static_selectorELNS0_4arch9wavefront6targetE1EEEvSG_.kd
    .uniform_work_group_size: 1
    .uses_dynamic_stack: false
    .vgpr_count:     0
    .vgpr_spill_count: 0
    .wavefront_size: 64
  - .agpr_count:     0
    .args:
      - .offset:         0
        .size:           88
        .value_kind:     by_value
    .group_segment_fixed_size: 0
    .kernarg_segment_align: 8
    .kernarg_segment_size: 88
    .language:       OpenCL C
    .language_version:
      - 2
      - 0
    .max_flat_workgroup_size: 1024
    .name:           _ZN7rocprim17ROCPRIM_400000_NS6detail17trampoline_kernelINS0_14default_configENS1_35radix_sort_onesweep_config_selectorIisEEZZNS1_29radix_sort_onesweep_iterationIS3_Lb0EN6thrust23THRUST_200600_302600_NS10device_ptrIiEESA_NS9_IsEESB_jNS0_19identity_decomposerENS1_16block_id_wrapperIjLb0EEEEE10hipError_tT1_PNSt15iterator_traitsISG_E10value_typeET2_T3_PNSH_ISM_E10value_typeET4_T5_PSR_SS_PNS1_23onesweep_lookback_stateEbbT6_jjT7_P12ihipStream_tbENKUlT_T0_SG_SL_E_clISA_SA_SB_SB_EEDaSZ_S10_SG_SL_EUlSZ_E_NS1_11comp_targetILNS1_3genE9ELNS1_11target_archE1100ELNS1_3gpuE3ELNS1_3repE0EEENS1_47radix_sort_onesweep_sort_config_static_selectorELNS0_4arch9wavefront6targetE1EEEvSG_
    .private_segment_fixed_size: 0
    .sgpr_count:     6
    .sgpr_spill_count: 0
    .symbol:         _ZN7rocprim17ROCPRIM_400000_NS6detail17trampoline_kernelINS0_14default_configENS1_35radix_sort_onesweep_config_selectorIisEEZZNS1_29radix_sort_onesweep_iterationIS3_Lb0EN6thrust23THRUST_200600_302600_NS10device_ptrIiEESA_NS9_IsEESB_jNS0_19identity_decomposerENS1_16block_id_wrapperIjLb0EEEEE10hipError_tT1_PNSt15iterator_traitsISG_E10value_typeET2_T3_PNSH_ISM_E10value_typeET4_T5_PSR_SS_PNS1_23onesweep_lookback_stateEbbT6_jjT7_P12ihipStream_tbENKUlT_T0_SG_SL_E_clISA_SA_SB_SB_EEDaSZ_S10_SG_SL_EUlSZ_E_NS1_11comp_targetILNS1_3genE9ELNS1_11target_archE1100ELNS1_3gpuE3ELNS1_3repE0EEENS1_47radix_sort_onesweep_sort_config_static_selectorELNS0_4arch9wavefront6targetE1EEEvSG_.kd
    .uniform_work_group_size: 1
    .uses_dynamic_stack: false
    .vgpr_count:     0
    .vgpr_spill_count: 0
    .wavefront_size: 64
  - .agpr_count:     0
    .args:
      - .offset:         0
        .size:           88
        .value_kind:     by_value
    .group_segment_fixed_size: 0
    .kernarg_segment_align: 8
    .kernarg_segment_size: 88
    .language:       OpenCL C
    .language_version:
      - 2
      - 0
    .max_flat_workgroup_size: 1024
    .name:           _ZN7rocprim17ROCPRIM_400000_NS6detail17trampoline_kernelINS0_14default_configENS1_35radix_sort_onesweep_config_selectorIisEEZZNS1_29radix_sort_onesweep_iterationIS3_Lb0EN6thrust23THRUST_200600_302600_NS10device_ptrIiEESA_NS9_IsEESB_jNS0_19identity_decomposerENS1_16block_id_wrapperIjLb0EEEEE10hipError_tT1_PNSt15iterator_traitsISG_E10value_typeET2_T3_PNSH_ISM_E10value_typeET4_T5_PSR_SS_PNS1_23onesweep_lookback_stateEbbT6_jjT7_P12ihipStream_tbENKUlT_T0_SG_SL_E_clISA_SA_SB_SB_EEDaSZ_S10_SG_SL_EUlSZ_E_NS1_11comp_targetILNS1_3genE8ELNS1_11target_archE1030ELNS1_3gpuE2ELNS1_3repE0EEENS1_47radix_sort_onesweep_sort_config_static_selectorELNS0_4arch9wavefront6targetE1EEEvSG_
    .private_segment_fixed_size: 0
    .sgpr_count:     6
    .sgpr_spill_count: 0
    .symbol:         _ZN7rocprim17ROCPRIM_400000_NS6detail17trampoline_kernelINS0_14default_configENS1_35radix_sort_onesweep_config_selectorIisEEZZNS1_29radix_sort_onesweep_iterationIS3_Lb0EN6thrust23THRUST_200600_302600_NS10device_ptrIiEESA_NS9_IsEESB_jNS0_19identity_decomposerENS1_16block_id_wrapperIjLb0EEEEE10hipError_tT1_PNSt15iterator_traitsISG_E10value_typeET2_T3_PNSH_ISM_E10value_typeET4_T5_PSR_SS_PNS1_23onesweep_lookback_stateEbbT6_jjT7_P12ihipStream_tbENKUlT_T0_SG_SL_E_clISA_SA_SB_SB_EEDaSZ_S10_SG_SL_EUlSZ_E_NS1_11comp_targetILNS1_3genE8ELNS1_11target_archE1030ELNS1_3gpuE2ELNS1_3repE0EEENS1_47radix_sort_onesweep_sort_config_static_selectorELNS0_4arch9wavefront6targetE1EEEvSG_.kd
    .uniform_work_group_size: 1
    .uses_dynamic_stack: false
    .vgpr_count:     0
    .vgpr_spill_count: 0
    .wavefront_size: 64
  - .agpr_count:     0
    .args:
      - .offset:         0
        .size:           88
        .value_kind:     by_value
    .group_segment_fixed_size: 0
    .kernarg_segment_align: 8
    .kernarg_segment_size: 88
    .language:       OpenCL C
    .language_version:
      - 2
      - 0
    .max_flat_workgroup_size: 1024
    .name:           _ZN7rocprim17ROCPRIM_400000_NS6detail17trampoline_kernelINS0_14default_configENS1_35radix_sort_onesweep_config_selectorIisEEZZNS1_29radix_sort_onesweep_iterationIS3_Lb0EN6thrust23THRUST_200600_302600_NS10device_ptrIiEESA_NS9_IsEESB_jNS0_19identity_decomposerENS1_16block_id_wrapperIjLb0EEEEE10hipError_tT1_PNSt15iterator_traitsISG_E10value_typeET2_T3_PNSH_ISM_E10value_typeET4_T5_PSR_SS_PNS1_23onesweep_lookback_stateEbbT6_jjT7_P12ihipStream_tbENKUlT_T0_SG_SL_E_clISA_PiSB_PsEEDaSZ_S10_SG_SL_EUlSZ_E_NS1_11comp_targetILNS1_3genE0ELNS1_11target_archE4294967295ELNS1_3gpuE0ELNS1_3repE0EEENS1_47radix_sort_onesweep_sort_config_static_selectorELNS0_4arch9wavefront6targetE1EEEvSG_
    .private_segment_fixed_size: 0
    .sgpr_count:     6
    .sgpr_spill_count: 0
    .symbol:         _ZN7rocprim17ROCPRIM_400000_NS6detail17trampoline_kernelINS0_14default_configENS1_35radix_sort_onesweep_config_selectorIisEEZZNS1_29radix_sort_onesweep_iterationIS3_Lb0EN6thrust23THRUST_200600_302600_NS10device_ptrIiEESA_NS9_IsEESB_jNS0_19identity_decomposerENS1_16block_id_wrapperIjLb0EEEEE10hipError_tT1_PNSt15iterator_traitsISG_E10value_typeET2_T3_PNSH_ISM_E10value_typeET4_T5_PSR_SS_PNS1_23onesweep_lookback_stateEbbT6_jjT7_P12ihipStream_tbENKUlT_T0_SG_SL_E_clISA_PiSB_PsEEDaSZ_S10_SG_SL_EUlSZ_E_NS1_11comp_targetILNS1_3genE0ELNS1_11target_archE4294967295ELNS1_3gpuE0ELNS1_3repE0EEENS1_47radix_sort_onesweep_sort_config_static_selectorELNS0_4arch9wavefront6targetE1EEEvSG_.kd
    .uniform_work_group_size: 1
    .uses_dynamic_stack: false
    .vgpr_count:     0
    .vgpr_spill_count: 0
    .wavefront_size: 64
  - .agpr_count:     0
    .args:
      - .offset:         0
        .size:           88
        .value_kind:     by_value
      - .offset:         88
        .size:           4
        .value_kind:     hidden_block_count_x
      - .offset:         92
        .size:           4
        .value_kind:     hidden_block_count_y
      - .offset:         96
        .size:           4
        .value_kind:     hidden_block_count_z
      - .offset:         100
        .size:           2
        .value_kind:     hidden_group_size_x
      - .offset:         102
        .size:           2
        .value_kind:     hidden_group_size_y
      - .offset:         104
        .size:           2
        .value_kind:     hidden_group_size_z
      - .offset:         106
        .size:           2
        .value_kind:     hidden_remainder_x
      - .offset:         108
        .size:           2
        .value_kind:     hidden_remainder_y
      - .offset:         110
        .size:           2
        .value_kind:     hidden_remainder_z
      - .offset:         128
        .size:           8
        .value_kind:     hidden_global_offset_x
      - .offset:         136
        .size:           8
        .value_kind:     hidden_global_offset_y
      - .offset:         144
        .size:           8
        .value_kind:     hidden_global_offset_z
      - .offset:         152
        .size:           2
        .value_kind:     hidden_grid_dims
    .group_segment_fixed_size: 53328
    .kernarg_segment_align: 8
    .kernarg_segment_size: 344
    .language:       OpenCL C
    .language_version:
      - 2
      - 0
    .max_flat_workgroup_size: 1024
    .name:           _ZN7rocprim17ROCPRIM_400000_NS6detail17trampoline_kernelINS0_14default_configENS1_35radix_sort_onesweep_config_selectorIisEEZZNS1_29radix_sort_onesweep_iterationIS3_Lb0EN6thrust23THRUST_200600_302600_NS10device_ptrIiEESA_NS9_IsEESB_jNS0_19identity_decomposerENS1_16block_id_wrapperIjLb0EEEEE10hipError_tT1_PNSt15iterator_traitsISG_E10value_typeET2_T3_PNSH_ISM_E10value_typeET4_T5_PSR_SS_PNS1_23onesweep_lookback_stateEbbT6_jjT7_P12ihipStream_tbENKUlT_T0_SG_SL_E_clISA_PiSB_PsEEDaSZ_S10_SG_SL_EUlSZ_E_NS1_11comp_targetILNS1_3genE6ELNS1_11target_archE950ELNS1_3gpuE13ELNS1_3repE0EEENS1_47radix_sort_onesweep_sort_config_static_selectorELNS0_4arch9wavefront6targetE1EEEvSG_
    .private_segment_fixed_size: 48
    .sgpr_count:     62
    .sgpr_spill_count: 0
    .symbol:         _ZN7rocprim17ROCPRIM_400000_NS6detail17trampoline_kernelINS0_14default_configENS1_35radix_sort_onesweep_config_selectorIisEEZZNS1_29radix_sort_onesweep_iterationIS3_Lb0EN6thrust23THRUST_200600_302600_NS10device_ptrIiEESA_NS9_IsEESB_jNS0_19identity_decomposerENS1_16block_id_wrapperIjLb0EEEEE10hipError_tT1_PNSt15iterator_traitsISG_E10value_typeET2_T3_PNSH_ISM_E10value_typeET4_T5_PSR_SS_PNS1_23onesweep_lookback_stateEbbT6_jjT7_P12ihipStream_tbENKUlT_T0_SG_SL_E_clISA_PiSB_PsEEDaSZ_S10_SG_SL_EUlSZ_E_NS1_11comp_targetILNS1_3genE6ELNS1_11target_archE950ELNS1_3gpuE13ELNS1_3repE0EEENS1_47radix_sort_onesweep_sort_config_static_selectorELNS0_4arch9wavefront6targetE1EEEvSG_.kd
    .uniform_work_group_size: 1
    .uses_dynamic_stack: false
    .vgpr_count:     53
    .vgpr_spill_count: 0
    .wavefront_size: 64
  - .agpr_count:     0
    .args:
      - .offset:         0
        .size:           88
        .value_kind:     by_value
    .group_segment_fixed_size: 0
    .kernarg_segment_align: 8
    .kernarg_segment_size: 88
    .language:       OpenCL C
    .language_version:
      - 2
      - 0
    .max_flat_workgroup_size: 1024
    .name:           _ZN7rocprim17ROCPRIM_400000_NS6detail17trampoline_kernelINS0_14default_configENS1_35radix_sort_onesweep_config_selectorIisEEZZNS1_29radix_sort_onesweep_iterationIS3_Lb0EN6thrust23THRUST_200600_302600_NS10device_ptrIiEESA_NS9_IsEESB_jNS0_19identity_decomposerENS1_16block_id_wrapperIjLb0EEEEE10hipError_tT1_PNSt15iterator_traitsISG_E10value_typeET2_T3_PNSH_ISM_E10value_typeET4_T5_PSR_SS_PNS1_23onesweep_lookback_stateEbbT6_jjT7_P12ihipStream_tbENKUlT_T0_SG_SL_E_clISA_PiSB_PsEEDaSZ_S10_SG_SL_EUlSZ_E_NS1_11comp_targetILNS1_3genE5ELNS1_11target_archE942ELNS1_3gpuE9ELNS1_3repE0EEENS1_47radix_sort_onesweep_sort_config_static_selectorELNS0_4arch9wavefront6targetE1EEEvSG_
    .private_segment_fixed_size: 0
    .sgpr_count:     6
    .sgpr_spill_count: 0
    .symbol:         _ZN7rocprim17ROCPRIM_400000_NS6detail17trampoline_kernelINS0_14default_configENS1_35radix_sort_onesweep_config_selectorIisEEZZNS1_29radix_sort_onesweep_iterationIS3_Lb0EN6thrust23THRUST_200600_302600_NS10device_ptrIiEESA_NS9_IsEESB_jNS0_19identity_decomposerENS1_16block_id_wrapperIjLb0EEEEE10hipError_tT1_PNSt15iterator_traitsISG_E10value_typeET2_T3_PNSH_ISM_E10value_typeET4_T5_PSR_SS_PNS1_23onesweep_lookback_stateEbbT6_jjT7_P12ihipStream_tbENKUlT_T0_SG_SL_E_clISA_PiSB_PsEEDaSZ_S10_SG_SL_EUlSZ_E_NS1_11comp_targetILNS1_3genE5ELNS1_11target_archE942ELNS1_3gpuE9ELNS1_3repE0EEENS1_47radix_sort_onesweep_sort_config_static_selectorELNS0_4arch9wavefront6targetE1EEEvSG_.kd
    .uniform_work_group_size: 1
    .uses_dynamic_stack: false
    .vgpr_count:     0
    .vgpr_spill_count: 0
    .wavefront_size: 64
  - .agpr_count:     0
    .args:
      - .offset:         0
        .size:           88
        .value_kind:     by_value
    .group_segment_fixed_size: 0
    .kernarg_segment_align: 8
    .kernarg_segment_size: 88
    .language:       OpenCL C
    .language_version:
      - 2
      - 0
    .max_flat_workgroup_size: 512
    .name:           _ZN7rocprim17ROCPRIM_400000_NS6detail17trampoline_kernelINS0_14default_configENS1_35radix_sort_onesweep_config_selectorIisEEZZNS1_29radix_sort_onesweep_iterationIS3_Lb0EN6thrust23THRUST_200600_302600_NS10device_ptrIiEESA_NS9_IsEESB_jNS0_19identity_decomposerENS1_16block_id_wrapperIjLb0EEEEE10hipError_tT1_PNSt15iterator_traitsISG_E10value_typeET2_T3_PNSH_ISM_E10value_typeET4_T5_PSR_SS_PNS1_23onesweep_lookback_stateEbbT6_jjT7_P12ihipStream_tbENKUlT_T0_SG_SL_E_clISA_PiSB_PsEEDaSZ_S10_SG_SL_EUlSZ_E_NS1_11comp_targetILNS1_3genE2ELNS1_11target_archE906ELNS1_3gpuE6ELNS1_3repE0EEENS1_47radix_sort_onesweep_sort_config_static_selectorELNS0_4arch9wavefront6targetE1EEEvSG_
    .private_segment_fixed_size: 0
    .sgpr_count:     6
    .sgpr_spill_count: 0
    .symbol:         _ZN7rocprim17ROCPRIM_400000_NS6detail17trampoline_kernelINS0_14default_configENS1_35radix_sort_onesweep_config_selectorIisEEZZNS1_29radix_sort_onesweep_iterationIS3_Lb0EN6thrust23THRUST_200600_302600_NS10device_ptrIiEESA_NS9_IsEESB_jNS0_19identity_decomposerENS1_16block_id_wrapperIjLb0EEEEE10hipError_tT1_PNSt15iterator_traitsISG_E10value_typeET2_T3_PNSH_ISM_E10value_typeET4_T5_PSR_SS_PNS1_23onesweep_lookback_stateEbbT6_jjT7_P12ihipStream_tbENKUlT_T0_SG_SL_E_clISA_PiSB_PsEEDaSZ_S10_SG_SL_EUlSZ_E_NS1_11comp_targetILNS1_3genE2ELNS1_11target_archE906ELNS1_3gpuE6ELNS1_3repE0EEENS1_47radix_sort_onesweep_sort_config_static_selectorELNS0_4arch9wavefront6targetE1EEEvSG_.kd
    .uniform_work_group_size: 1
    .uses_dynamic_stack: false
    .vgpr_count:     0
    .vgpr_spill_count: 0
    .wavefront_size: 64
  - .agpr_count:     0
    .args:
      - .offset:         0
        .size:           88
        .value_kind:     by_value
    .group_segment_fixed_size: 0
    .kernarg_segment_align: 8
    .kernarg_segment_size: 88
    .language:       OpenCL C
    .language_version:
      - 2
      - 0
    .max_flat_workgroup_size: 512
    .name:           _ZN7rocprim17ROCPRIM_400000_NS6detail17trampoline_kernelINS0_14default_configENS1_35radix_sort_onesweep_config_selectorIisEEZZNS1_29radix_sort_onesweep_iterationIS3_Lb0EN6thrust23THRUST_200600_302600_NS10device_ptrIiEESA_NS9_IsEESB_jNS0_19identity_decomposerENS1_16block_id_wrapperIjLb0EEEEE10hipError_tT1_PNSt15iterator_traitsISG_E10value_typeET2_T3_PNSH_ISM_E10value_typeET4_T5_PSR_SS_PNS1_23onesweep_lookback_stateEbbT6_jjT7_P12ihipStream_tbENKUlT_T0_SG_SL_E_clISA_PiSB_PsEEDaSZ_S10_SG_SL_EUlSZ_E_NS1_11comp_targetILNS1_3genE4ELNS1_11target_archE910ELNS1_3gpuE8ELNS1_3repE0EEENS1_47radix_sort_onesweep_sort_config_static_selectorELNS0_4arch9wavefront6targetE1EEEvSG_
    .private_segment_fixed_size: 0
    .sgpr_count:     6
    .sgpr_spill_count: 0
    .symbol:         _ZN7rocprim17ROCPRIM_400000_NS6detail17trampoline_kernelINS0_14default_configENS1_35radix_sort_onesweep_config_selectorIisEEZZNS1_29radix_sort_onesweep_iterationIS3_Lb0EN6thrust23THRUST_200600_302600_NS10device_ptrIiEESA_NS9_IsEESB_jNS0_19identity_decomposerENS1_16block_id_wrapperIjLb0EEEEE10hipError_tT1_PNSt15iterator_traitsISG_E10value_typeET2_T3_PNSH_ISM_E10value_typeET4_T5_PSR_SS_PNS1_23onesweep_lookback_stateEbbT6_jjT7_P12ihipStream_tbENKUlT_T0_SG_SL_E_clISA_PiSB_PsEEDaSZ_S10_SG_SL_EUlSZ_E_NS1_11comp_targetILNS1_3genE4ELNS1_11target_archE910ELNS1_3gpuE8ELNS1_3repE0EEENS1_47radix_sort_onesweep_sort_config_static_selectorELNS0_4arch9wavefront6targetE1EEEvSG_.kd
    .uniform_work_group_size: 1
    .uses_dynamic_stack: false
    .vgpr_count:     0
    .vgpr_spill_count: 0
    .wavefront_size: 64
  - .agpr_count:     0
    .args:
      - .offset:         0
        .size:           88
        .value_kind:     by_value
    .group_segment_fixed_size: 0
    .kernarg_segment_align: 8
    .kernarg_segment_size: 88
    .language:       OpenCL C
    .language_version:
      - 2
      - 0
    .max_flat_workgroup_size: 1024
    .name:           _ZN7rocprim17ROCPRIM_400000_NS6detail17trampoline_kernelINS0_14default_configENS1_35radix_sort_onesweep_config_selectorIisEEZZNS1_29radix_sort_onesweep_iterationIS3_Lb0EN6thrust23THRUST_200600_302600_NS10device_ptrIiEESA_NS9_IsEESB_jNS0_19identity_decomposerENS1_16block_id_wrapperIjLb0EEEEE10hipError_tT1_PNSt15iterator_traitsISG_E10value_typeET2_T3_PNSH_ISM_E10value_typeET4_T5_PSR_SS_PNS1_23onesweep_lookback_stateEbbT6_jjT7_P12ihipStream_tbENKUlT_T0_SG_SL_E_clISA_PiSB_PsEEDaSZ_S10_SG_SL_EUlSZ_E_NS1_11comp_targetILNS1_3genE3ELNS1_11target_archE908ELNS1_3gpuE7ELNS1_3repE0EEENS1_47radix_sort_onesweep_sort_config_static_selectorELNS0_4arch9wavefront6targetE1EEEvSG_
    .private_segment_fixed_size: 0
    .sgpr_count:     6
    .sgpr_spill_count: 0
    .symbol:         _ZN7rocprim17ROCPRIM_400000_NS6detail17trampoline_kernelINS0_14default_configENS1_35radix_sort_onesweep_config_selectorIisEEZZNS1_29radix_sort_onesweep_iterationIS3_Lb0EN6thrust23THRUST_200600_302600_NS10device_ptrIiEESA_NS9_IsEESB_jNS0_19identity_decomposerENS1_16block_id_wrapperIjLb0EEEEE10hipError_tT1_PNSt15iterator_traitsISG_E10value_typeET2_T3_PNSH_ISM_E10value_typeET4_T5_PSR_SS_PNS1_23onesweep_lookback_stateEbbT6_jjT7_P12ihipStream_tbENKUlT_T0_SG_SL_E_clISA_PiSB_PsEEDaSZ_S10_SG_SL_EUlSZ_E_NS1_11comp_targetILNS1_3genE3ELNS1_11target_archE908ELNS1_3gpuE7ELNS1_3repE0EEENS1_47radix_sort_onesweep_sort_config_static_selectorELNS0_4arch9wavefront6targetE1EEEvSG_.kd
    .uniform_work_group_size: 1
    .uses_dynamic_stack: false
    .vgpr_count:     0
    .vgpr_spill_count: 0
    .wavefront_size: 64
  - .agpr_count:     0
    .args:
      - .offset:         0
        .size:           88
        .value_kind:     by_value
    .group_segment_fixed_size: 0
    .kernarg_segment_align: 8
    .kernarg_segment_size: 88
    .language:       OpenCL C
    .language_version:
      - 2
      - 0
    .max_flat_workgroup_size: 1024
    .name:           _ZN7rocprim17ROCPRIM_400000_NS6detail17trampoline_kernelINS0_14default_configENS1_35radix_sort_onesweep_config_selectorIisEEZZNS1_29radix_sort_onesweep_iterationIS3_Lb0EN6thrust23THRUST_200600_302600_NS10device_ptrIiEESA_NS9_IsEESB_jNS0_19identity_decomposerENS1_16block_id_wrapperIjLb0EEEEE10hipError_tT1_PNSt15iterator_traitsISG_E10value_typeET2_T3_PNSH_ISM_E10value_typeET4_T5_PSR_SS_PNS1_23onesweep_lookback_stateEbbT6_jjT7_P12ihipStream_tbENKUlT_T0_SG_SL_E_clISA_PiSB_PsEEDaSZ_S10_SG_SL_EUlSZ_E_NS1_11comp_targetILNS1_3genE10ELNS1_11target_archE1201ELNS1_3gpuE5ELNS1_3repE0EEENS1_47radix_sort_onesweep_sort_config_static_selectorELNS0_4arch9wavefront6targetE1EEEvSG_
    .private_segment_fixed_size: 0
    .sgpr_count:     6
    .sgpr_spill_count: 0
    .symbol:         _ZN7rocprim17ROCPRIM_400000_NS6detail17trampoline_kernelINS0_14default_configENS1_35radix_sort_onesweep_config_selectorIisEEZZNS1_29radix_sort_onesweep_iterationIS3_Lb0EN6thrust23THRUST_200600_302600_NS10device_ptrIiEESA_NS9_IsEESB_jNS0_19identity_decomposerENS1_16block_id_wrapperIjLb0EEEEE10hipError_tT1_PNSt15iterator_traitsISG_E10value_typeET2_T3_PNSH_ISM_E10value_typeET4_T5_PSR_SS_PNS1_23onesweep_lookback_stateEbbT6_jjT7_P12ihipStream_tbENKUlT_T0_SG_SL_E_clISA_PiSB_PsEEDaSZ_S10_SG_SL_EUlSZ_E_NS1_11comp_targetILNS1_3genE10ELNS1_11target_archE1201ELNS1_3gpuE5ELNS1_3repE0EEENS1_47radix_sort_onesweep_sort_config_static_selectorELNS0_4arch9wavefront6targetE1EEEvSG_.kd
    .uniform_work_group_size: 1
    .uses_dynamic_stack: false
    .vgpr_count:     0
    .vgpr_spill_count: 0
    .wavefront_size: 64
  - .agpr_count:     0
    .args:
      - .offset:         0
        .size:           88
        .value_kind:     by_value
    .group_segment_fixed_size: 0
    .kernarg_segment_align: 8
    .kernarg_segment_size: 88
    .language:       OpenCL C
    .language_version:
      - 2
      - 0
    .max_flat_workgroup_size: 1024
    .name:           _ZN7rocprim17ROCPRIM_400000_NS6detail17trampoline_kernelINS0_14default_configENS1_35radix_sort_onesweep_config_selectorIisEEZZNS1_29radix_sort_onesweep_iterationIS3_Lb0EN6thrust23THRUST_200600_302600_NS10device_ptrIiEESA_NS9_IsEESB_jNS0_19identity_decomposerENS1_16block_id_wrapperIjLb0EEEEE10hipError_tT1_PNSt15iterator_traitsISG_E10value_typeET2_T3_PNSH_ISM_E10value_typeET4_T5_PSR_SS_PNS1_23onesweep_lookback_stateEbbT6_jjT7_P12ihipStream_tbENKUlT_T0_SG_SL_E_clISA_PiSB_PsEEDaSZ_S10_SG_SL_EUlSZ_E_NS1_11comp_targetILNS1_3genE9ELNS1_11target_archE1100ELNS1_3gpuE3ELNS1_3repE0EEENS1_47radix_sort_onesweep_sort_config_static_selectorELNS0_4arch9wavefront6targetE1EEEvSG_
    .private_segment_fixed_size: 0
    .sgpr_count:     6
    .sgpr_spill_count: 0
    .symbol:         _ZN7rocprim17ROCPRIM_400000_NS6detail17trampoline_kernelINS0_14default_configENS1_35radix_sort_onesweep_config_selectorIisEEZZNS1_29radix_sort_onesweep_iterationIS3_Lb0EN6thrust23THRUST_200600_302600_NS10device_ptrIiEESA_NS9_IsEESB_jNS0_19identity_decomposerENS1_16block_id_wrapperIjLb0EEEEE10hipError_tT1_PNSt15iterator_traitsISG_E10value_typeET2_T3_PNSH_ISM_E10value_typeET4_T5_PSR_SS_PNS1_23onesweep_lookback_stateEbbT6_jjT7_P12ihipStream_tbENKUlT_T0_SG_SL_E_clISA_PiSB_PsEEDaSZ_S10_SG_SL_EUlSZ_E_NS1_11comp_targetILNS1_3genE9ELNS1_11target_archE1100ELNS1_3gpuE3ELNS1_3repE0EEENS1_47radix_sort_onesweep_sort_config_static_selectorELNS0_4arch9wavefront6targetE1EEEvSG_.kd
    .uniform_work_group_size: 1
    .uses_dynamic_stack: false
    .vgpr_count:     0
    .vgpr_spill_count: 0
    .wavefront_size: 64
  - .agpr_count:     0
    .args:
      - .offset:         0
        .size:           88
        .value_kind:     by_value
    .group_segment_fixed_size: 0
    .kernarg_segment_align: 8
    .kernarg_segment_size: 88
    .language:       OpenCL C
    .language_version:
      - 2
      - 0
    .max_flat_workgroup_size: 1024
    .name:           _ZN7rocprim17ROCPRIM_400000_NS6detail17trampoline_kernelINS0_14default_configENS1_35radix_sort_onesweep_config_selectorIisEEZZNS1_29radix_sort_onesweep_iterationIS3_Lb0EN6thrust23THRUST_200600_302600_NS10device_ptrIiEESA_NS9_IsEESB_jNS0_19identity_decomposerENS1_16block_id_wrapperIjLb0EEEEE10hipError_tT1_PNSt15iterator_traitsISG_E10value_typeET2_T3_PNSH_ISM_E10value_typeET4_T5_PSR_SS_PNS1_23onesweep_lookback_stateEbbT6_jjT7_P12ihipStream_tbENKUlT_T0_SG_SL_E_clISA_PiSB_PsEEDaSZ_S10_SG_SL_EUlSZ_E_NS1_11comp_targetILNS1_3genE8ELNS1_11target_archE1030ELNS1_3gpuE2ELNS1_3repE0EEENS1_47radix_sort_onesweep_sort_config_static_selectorELNS0_4arch9wavefront6targetE1EEEvSG_
    .private_segment_fixed_size: 0
    .sgpr_count:     6
    .sgpr_spill_count: 0
    .symbol:         _ZN7rocprim17ROCPRIM_400000_NS6detail17trampoline_kernelINS0_14default_configENS1_35radix_sort_onesweep_config_selectorIisEEZZNS1_29radix_sort_onesweep_iterationIS3_Lb0EN6thrust23THRUST_200600_302600_NS10device_ptrIiEESA_NS9_IsEESB_jNS0_19identity_decomposerENS1_16block_id_wrapperIjLb0EEEEE10hipError_tT1_PNSt15iterator_traitsISG_E10value_typeET2_T3_PNSH_ISM_E10value_typeET4_T5_PSR_SS_PNS1_23onesweep_lookback_stateEbbT6_jjT7_P12ihipStream_tbENKUlT_T0_SG_SL_E_clISA_PiSB_PsEEDaSZ_S10_SG_SL_EUlSZ_E_NS1_11comp_targetILNS1_3genE8ELNS1_11target_archE1030ELNS1_3gpuE2ELNS1_3repE0EEENS1_47radix_sort_onesweep_sort_config_static_selectorELNS0_4arch9wavefront6targetE1EEEvSG_.kd
    .uniform_work_group_size: 1
    .uses_dynamic_stack: false
    .vgpr_count:     0
    .vgpr_spill_count: 0
    .wavefront_size: 64
  - .agpr_count:     0
    .args:
      - .offset:         0
        .size:           88
        .value_kind:     by_value
    .group_segment_fixed_size: 0
    .kernarg_segment_align: 8
    .kernarg_segment_size: 88
    .language:       OpenCL C
    .language_version:
      - 2
      - 0
    .max_flat_workgroup_size: 1024
    .name:           _ZN7rocprim17ROCPRIM_400000_NS6detail17trampoline_kernelINS0_14default_configENS1_35radix_sort_onesweep_config_selectorIisEEZZNS1_29radix_sort_onesweep_iterationIS3_Lb0EN6thrust23THRUST_200600_302600_NS10device_ptrIiEESA_NS9_IsEESB_jNS0_19identity_decomposerENS1_16block_id_wrapperIjLb0EEEEE10hipError_tT1_PNSt15iterator_traitsISG_E10value_typeET2_T3_PNSH_ISM_E10value_typeET4_T5_PSR_SS_PNS1_23onesweep_lookback_stateEbbT6_jjT7_P12ihipStream_tbENKUlT_T0_SG_SL_E_clIPiSA_PsSB_EEDaSZ_S10_SG_SL_EUlSZ_E_NS1_11comp_targetILNS1_3genE0ELNS1_11target_archE4294967295ELNS1_3gpuE0ELNS1_3repE0EEENS1_47radix_sort_onesweep_sort_config_static_selectorELNS0_4arch9wavefront6targetE1EEEvSG_
    .private_segment_fixed_size: 0
    .sgpr_count:     6
    .sgpr_spill_count: 0
    .symbol:         _ZN7rocprim17ROCPRIM_400000_NS6detail17trampoline_kernelINS0_14default_configENS1_35radix_sort_onesweep_config_selectorIisEEZZNS1_29radix_sort_onesweep_iterationIS3_Lb0EN6thrust23THRUST_200600_302600_NS10device_ptrIiEESA_NS9_IsEESB_jNS0_19identity_decomposerENS1_16block_id_wrapperIjLb0EEEEE10hipError_tT1_PNSt15iterator_traitsISG_E10value_typeET2_T3_PNSH_ISM_E10value_typeET4_T5_PSR_SS_PNS1_23onesweep_lookback_stateEbbT6_jjT7_P12ihipStream_tbENKUlT_T0_SG_SL_E_clIPiSA_PsSB_EEDaSZ_S10_SG_SL_EUlSZ_E_NS1_11comp_targetILNS1_3genE0ELNS1_11target_archE4294967295ELNS1_3gpuE0ELNS1_3repE0EEENS1_47radix_sort_onesweep_sort_config_static_selectorELNS0_4arch9wavefront6targetE1EEEvSG_.kd
    .uniform_work_group_size: 1
    .uses_dynamic_stack: false
    .vgpr_count:     0
    .vgpr_spill_count: 0
    .wavefront_size: 64
  - .agpr_count:     0
    .args:
      - .offset:         0
        .size:           88
        .value_kind:     by_value
      - .offset:         88
        .size:           4
        .value_kind:     hidden_block_count_x
      - .offset:         92
        .size:           4
        .value_kind:     hidden_block_count_y
      - .offset:         96
        .size:           4
        .value_kind:     hidden_block_count_z
      - .offset:         100
        .size:           2
        .value_kind:     hidden_group_size_x
      - .offset:         102
        .size:           2
        .value_kind:     hidden_group_size_y
      - .offset:         104
        .size:           2
        .value_kind:     hidden_group_size_z
      - .offset:         106
        .size:           2
        .value_kind:     hidden_remainder_x
      - .offset:         108
        .size:           2
        .value_kind:     hidden_remainder_y
      - .offset:         110
        .size:           2
        .value_kind:     hidden_remainder_z
      - .offset:         128
        .size:           8
        .value_kind:     hidden_global_offset_x
      - .offset:         136
        .size:           8
        .value_kind:     hidden_global_offset_y
      - .offset:         144
        .size:           8
        .value_kind:     hidden_global_offset_z
      - .offset:         152
        .size:           2
        .value_kind:     hidden_grid_dims
    .group_segment_fixed_size: 53328
    .kernarg_segment_align: 8
    .kernarg_segment_size: 344
    .language:       OpenCL C
    .language_version:
      - 2
      - 0
    .max_flat_workgroup_size: 1024
    .name:           _ZN7rocprim17ROCPRIM_400000_NS6detail17trampoline_kernelINS0_14default_configENS1_35radix_sort_onesweep_config_selectorIisEEZZNS1_29radix_sort_onesweep_iterationIS3_Lb0EN6thrust23THRUST_200600_302600_NS10device_ptrIiEESA_NS9_IsEESB_jNS0_19identity_decomposerENS1_16block_id_wrapperIjLb0EEEEE10hipError_tT1_PNSt15iterator_traitsISG_E10value_typeET2_T3_PNSH_ISM_E10value_typeET4_T5_PSR_SS_PNS1_23onesweep_lookback_stateEbbT6_jjT7_P12ihipStream_tbENKUlT_T0_SG_SL_E_clIPiSA_PsSB_EEDaSZ_S10_SG_SL_EUlSZ_E_NS1_11comp_targetILNS1_3genE6ELNS1_11target_archE950ELNS1_3gpuE13ELNS1_3repE0EEENS1_47radix_sort_onesweep_sort_config_static_selectorELNS0_4arch9wavefront6targetE1EEEvSG_
    .private_segment_fixed_size: 48
    .sgpr_count:     62
    .sgpr_spill_count: 0
    .symbol:         _ZN7rocprim17ROCPRIM_400000_NS6detail17trampoline_kernelINS0_14default_configENS1_35radix_sort_onesweep_config_selectorIisEEZZNS1_29radix_sort_onesweep_iterationIS3_Lb0EN6thrust23THRUST_200600_302600_NS10device_ptrIiEESA_NS9_IsEESB_jNS0_19identity_decomposerENS1_16block_id_wrapperIjLb0EEEEE10hipError_tT1_PNSt15iterator_traitsISG_E10value_typeET2_T3_PNSH_ISM_E10value_typeET4_T5_PSR_SS_PNS1_23onesweep_lookback_stateEbbT6_jjT7_P12ihipStream_tbENKUlT_T0_SG_SL_E_clIPiSA_PsSB_EEDaSZ_S10_SG_SL_EUlSZ_E_NS1_11comp_targetILNS1_3genE6ELNS1_11target_archE950ELNS1_3gpuE13ELNS1_3repE0EEENS1_47radix_sort_onesweep_sort_config_static_selectorELNS0_4arch9wavefront6targetE1EEEvSG_.kd
    .uniform_work_group_size: 1
    .uses_dynamic_stack: false
    .vgpr_count:     53
    .vgpr_spill_count: 0
    .wavefront_size: 64
  - .agpr_count:     0
    .args:
      - .offset:         0
        .size:           88
        .value_kind:     by_value
    .group_segment_fixed_size: 0
    .kernarg_segment_align: 8
    .kernarg_segment_size: 88
    .language:       OpenCL C
    .language_version:
      - 2
      - 0
    .max_flat_workgroup_size: 1024
    .name:           _ZN7rocprim17ROCPRIM_400000_NS6detail17trampoline_kernelINS0_14default_configENS1_35radix_sort_onesweep_config_selectorIisEEZZNS1_29radix_sort_onesweep_iterationIS3_Lb0EN6thrust23THRUST_200600_302600_NS10device_ptrIiEESA_NS9_IsEESB_jNS0_19identity_decomposerENS1_16block_id_wrapperIjLb0EEEEE10hipError_tT1_PNSt15iterator_traitsISG_E10value_typeET2_T3_PNSH_ISM_E10value_typeET4_T5_PSR_SS_PNS1_23onesweep_lookback_stateEbbT6_jjT7_P12ihipStream_tbENKUlT_T0_SG_SL_E_clIPiSA_PsSB_EEDaSZ_S10_SG_SL_EUlSZ_E_NS1_11comp_targetILNS1_3genE5ELNS1_11target_archE942ELNS1_3gpuE9ELNS1_3repE0EEENS1_47radix_sort_onesweep_sort_config_static_selectorELNS0_4arch9wavefront6targetE1EEEvSG_
    .private_segment_fixed_size: 0
    .sgpr_count:     6
    .sgpr_spill_count: 0
    .symbol:         _ZN7rocprim17ROCPRIM_400000_NS6detail17trampoline_kernelINS0_14default_configENS1_35radix_sort_onesweep_config_selectorIisEEZZNS1_29radix_sort_onesweep_iterationIS3_Lb0EN6thrust23THRUST_200600_302600_NS10device_ptrIiEESA_NS9_IsEESB_jNS0_19identity_decomposerENS1_16block_id_wrapperIjLb0EEEEE10hipError_tT1_PNSt15iterator_traitsISG_E10value_typeET2_T3_PNSH_ISM_E10value_typeET4_T5_PSR_SS_PNS1_23onesweep_lookback_stateEbbT6_jjT7_P12ihipStream_tbENKUlT_T0_SG_SL_E_clIPiSA_PsSB_EEDaSZ_S10_SG_SL_EUlSZ_E_NS1_11comp_targetILNS1_3genE5ELNS1_11target_archE942ELNS1_3gpuE9ELNS1_3repE0EEENS1_47radix_sort_onesweep_sort_config_static_selectorELNS0_4arch9wavefront6targetE1EEEvSG_.kd
    .uniform_work_group_size: 1
    .uses_dynamic_stack: false
    .vgpr_count:     0
    .vgpr_spill_count: 0
    .wavefront_size: 64
  - .agpr_count:     0
    .args:
      - .offset:         0
        .size:           88
        .value_kind:     by_value
    .group_segment_fixed_size: 0
    .kernarg_segment_align: 8
    .kernarg_segment_size: 88
    .language:       OpenCL C
    .language_version:
      - 2
      - 0
    .max_flat_workgroup_size: 512
    .name:           _ZN7rocprim17ROCPRIM_400000_NS6detail17trampoline_kernelINS0_14default_configENS1_35radix_sort_onesweep_config_selectorIisEEZZNS1_29radix_sort_onesweep_iterationIS3_Lb0EN6thrust23THRUST_200600_302600_NS10device_ptrIiEESA_NS9_IsEESB_jNS0_19identity_decomposerENS1_16block_id_wrapperIjLb0EEEEE10hipError_tT1_PNSt15iterator_traitsISG_E10value_typeET2_T3_PNSH_ISM_E10value_typeET4_T5_PSR_SS_PNS1_23onesweep_lookback_stateEbbT6_jjT7_P12ihipStream_tbENKUlT_T0_SG_SL_E_clIPiSA_PsSB_EEDaSZ_S10_SG_SL_EUlSZ_E_NS1_11comp_targetILNS1_3genE2ELNS1_11target_archE906ELNS1_3gpuE6ELNS1_3repE0EEENS1_47radix_sort_onesweep_sort_config_static_selectorELNS0_4arch9wavefront6targetE1EEEvSG_
    .private_segment_fixed_size: 0
    .sgpr_count:     6
    .sgpr_spill_count: 0
    .symbol:         _ZN7rocprim17ROCPRIM_400000_NS6detail17trampoline_kernelINS0_14default_configENS1_35radix_sort_onesweep_config_selectorIisEEZZNS1_29radix_sort_onesweep_iterationIS3_Lb0EN6thrust23THRUST_200600_302600_NS10device_ptrIiEESA_NS9_IsEESB_jNS0_19identity_decomposerENS1_16block_id_wrapperIjLb0EEEEE10hipError_tT1_PNSt15iterator_traitsISG_E10value_typeET2_T3_PNSH_ISM_E10value_typeET4_T5_PSR_SS_PNS1_23onesweep_lookback_stateEbbT6_jjT7_P12ihipStream_tbENKUlT_T0_SG_SL_E_clIPiSA_PsSB_EEDaSZ_S10_SG_SL_EUlSZ_E_NS1_11comp_targetILNS1_3genE2ELNS1_11target_archE906ELNS1_3gpuE6ELNS1_3repE0EEENS1_47radix_sort_onesweep_sort_config_static_selectorELNS0_4arch9wavefront6targetE1EEEvSG_.kd
    .uniform_work_group_size: 1
    .uses_dynamic_stack: false
    .vgpr_count:     0
    .vgpr_spill_count: 0
    .wavefront_size: 64
  - .agpr_count:     0
    .args:
      - .offset:         0
        .size:           88
        .value_kind:     by_value
    .group_segment_fixed_size: 0
    .kernarg_segment_align: 8
    .kernarg_segment_size: 88
    .language:       OpenCL C
    .language_version:
      - 2
      - 0
    .max_flat_workgroup_size: 512
    .name:           _ZN7rocprim17ROCPRIM_400000_NS6detail17trampoline_kernelINS0_14default_configENS1_35radix_sort_onesweep_config_selectorIisEEZZNS1_29radix_sort_onesweep_iterationIS3_Lb0EN6thrust23THRUST_200600_302600_NS10device_ptrIiEESA_NS9_IsEESB_jNS0_19identity_decomposerENS1_16block_id_wrapperIjLb0EEEEE10hipError_tT1_PNSt15iterator_traitsISG_E10value_typeET2_T3_PNSH_ISM_E10value_typeET4_T5_PSR_SS_PNS1_23onesweep_lookback_stateEbbT6_jjT7_P12ihipStream_tbENKUlT_T0_SG_SL_E_clIPiSA_PsSB_EEDaSZ_S10_SG_SL_EUlSZ_E_NS1_11comp_targetILNS1_3genE4ELNS1_11target_archE910ELNS1_3gpuE8ELNS1_3repE0EEENS1_47radix_sort_onesweep_sort_config_static_selectorELNS0_4arch9wavefront6targetE1EEEvSG_
    .private_segment_fixed_size: 0
    .sgpr_count:     6
    .sgpr_spill_count: 0
    .symbol:         _ZN7rocprim17ROCPRIM_400000_NS6detail17trampoline_kernelINS0_14default_configENS1_35radix_sort_onesweep_config_selectorIisEEZZNS1_29radix_sort_onesweep_iterationIS3_Lb0EN6thrust23THRUST_200600_302600_NS10device_ptrIiEESA_NS9_IsEESB_jNS0_19identity_decomposerENS1_16block_id_wrapperIjLb0EEEEE10hipError_tT1_PNSt15iterator_traitsISG_E10value_typeET2_T3_PNSH_ISM_E10value_typeET4_T5_PSR_SS_PNS1_23onesweep_lookback_stateEbbT6_jjT7_P12ihipStream_tbENKUlT_T0_SG_SL_E_clIPiSA_PsSB_EEDaSZ_S10_SG_SL_EUlSZ_E_NS1_11comp_targetILNS1_3genE4ELNS1_11target_archE910ELNS1_3gpuE8ELNS1_3repE0EEENS1_47radix_sort_onesweep_sort_config_static_selectorELNS0_4arch9wavefront6targetE1EEEvSG_.kd
    .uniform_work_group_size: 1
    .uses_dynamic_stack: false
    .vgpr_count:     0
    .vgpr_spill_count: 0
    .wavefront_size: 64
  - .agpr_count:     0
    .args:
      - .offset:         0
        .size:           88
        .value_kind:     by_value
    .group_segment_fixed_size: 0
    .kernarg_segment_align: 8
    .kernarg_segment_size: 88
    .language:       OpenCL C
    .language_version:
      - 2
      - 0
    .max_flat_workgroup_size: 1024
    .name:           _ZN7rocprim17ROCPRIM_400000_NS6detail17trampoline_kernelINS0_14default_configENS1_35radix_sort_onesweep_config_selectorIisEEZZNS1_29radix_sort_onesweep_iterationIS3_Lb0EN6thrust23THRUST_200600_302600_NS10device_ptrIiEESA_NS9_IsEESB_jNS0_19identity_decomposerENS1_16block_id_wrapperIjLb0EEEEE10hipError_tT1_PNSt15iterator_traitsISG_E10value_typeET2_T3_PNSH_ISM_E10value_typeET4_T5_PSR_SS_PNS1_23onesweep_lookback_stateEbbT6_jjT7_P12ihipStream_tbENKUlT_T0_SG_SL_E_clIPiSA_PsSB_EEDaSZ_S10_SG_SL_EUlSZ_E_NS1_11comp_targetILNS1_3genE3ELNS1_11target_archE908ELNS1_3gpuE7ELNS1_3repE0EEENS1_47radix_sort_onesweep_sort_config_static_selectorELNS0_4arch9wavefront6targetE1EEEvSG_
    .private_segment_fixed_size: 0
    .sgpr_count:     6
    .sgpr_spill_count: 0
    .symbol:         _ZN7rocprim17ROCPRIM_400000_NS6detail17trampoline_kernelINS0_14default_configENS1_35radix_sort_onesweep_config_selectorIisEEZZNS1_29radix_sort_onesweep_iterationIS3_Lb0EN6thrust23THRUST_200600_302600_NS10device_ptrIiEESA_NS9_IsEESB_jNS0_19identity_decomposerENS1_16block_id_wrapperIjLb0EEEEE10hipError_tT1_PNSt15iterator_traitsISG_E10value_typeET2_T3_PNSH_ISM_E10value_typeET4_T5_PSR_SS_PNS1_23onesweep_lookback_stateEbbT6_jjT7_P12ihipStream_tbENKUlT_T0_SG_SL_E_clIPiSA_PsSB_EEDaSZ_S10_SG_SL_EUlSZ_E_NS1_11comp_targetILNS1_3genE3ELNS1_11target_archE908ELNS1_3gpuE7ELNS1_3repE0EEENS1_47radix_sort_onesweep_sort_config_static_selectorELNS0_4arch9wavefront6targetE1EEEvSG_.kd
    .uniform_work_group_size: 1
    .uses_dynamic_stack: false
    .vgpr_count:     0
    .vgpr_spill_count: 0
    .wavefront_size: 64
  - .agpr_count:     0
    .args:
      - .offset:         0
        .size:           88
        .value_kind:     by_value
    .group_segment_fixed_size: 0
    .kernarg_segment_align: 8
    .kernarg_segment_size: 88
    .language:       OpenCL C
    .language_version:
      - 2
      - 0
    .max_flat_workgroup_size: 1024
    .name:           _ZN7rocprim17ROCPRIM_400000_NS6detail17trampoline_kernelINS0_14default_configENS1_35radix_sort_onesweep_config_selectorIisEEZZNS1_29radix_sort_onesweep_iterationIS3_Lb0EN6thrust23THRUST_200600_302600_NS10device_ptrIiEESA_NS9_IsEESB_jNS0_19identity_decomposerENS1_16block_id_wrapperIjLb0EEEEE10hipError_tT1_PNSt15iterator_traitsISG_E10value_typeET2_T3_PNSH_ISM_E10value_typeET4_T5_PSR_SS_PNS1_23onesweep_lookback_stateEbbT6_jjT7_P12ihipStream_tbENKUlT_T0_SG_SL_E_clIPiSA_PsSB_EEDaSZ_S10_SG_SL_EUlSZ_E_NS1_11comp_targetILNS1_3genE10ELNS1_11target_archE1201ELNS1_3gpuE5ELNS1_3repE0EEENS1_47radix_sort_onesweep_sort_config_static_selectorELNS0_4arch9wavefront6targetE1EEEvSG_
    .private_segment_fixed_size: 0
    .sgpr_count:     6
    .sgpr_spill_count: 0
    .symbol:         _ZN7rocprim17ROCPRIM_400000_NS6detail17trampoline_kernelINS0_14default_configENS1_35radix_sort_onesweep_config_selectorIisEEZZNS1_29radix_sort_onesweep_iterationIS3_Lb0EN6thrust23THRUST_200600_302600_NS10device_ptrIiEESA_NS9_IsEESB_jNS0_19identity_decomposerENS1_16block_id_wrapperIjLb0EEEEE10hipError_tT1_PNSt15iterator_traitsISG_E10value_typeET2_T3_PNSH_ISM_E10value_typeET4_T5_PSR_SS_PNS1_23onesweep_lookback_stateEbbT6_jjT7_P12ihipStream_tbENKUlT_T0_SG_SL_E_clIPiSA_PsSB_EEDaSZ_S10_SG_SL_EUlSZ_E_NS1_11comp_targetILNS1_3genE10ELNS1_11target_archE1201ELNS1_3gpuE5ELNS1_3repE0EEENS1_47radix_sort_onesweep_sort_config_static_selectorELNS0_4arch9wavefront6targetE1EEEvSG_.kd
    .uniform_work_group_size: 1
    .uses_dynamic_stack: false
    .vgpr_count:     0
    .vgpr_spill_count: 0
    .wavefront_size: 64
  - .agpr_count:     0
    .args:
      - .offset:         0
        .size:           88
        .value_kind:     by_value
    .group_segment_fixed_size: 0
    .kernarg_segment_align: 8
    .kernarg_segment_size: 88
    .language:       OpenCL C
    .language_version:
      - 2
      - 0
    .max_flat_workgroup_size: 1024
    .name:           _ZN7rocprim17ROCPRIM_400000_NS6detail17trampoline_kernelINS0_14default_configENS1_35radix_sort_onesweep_config_selectorIisEEZZNS1_29radix_sort_onesweep_iterationIS3_Lb0EN6thrust23THRUST_200600_302600_NS10device_ptrIiEESA_NS9_IsEESB_jNS0_19identity_decomposerENS1_16block_id_wrapperIjLb0EEEEE10hipError_tT1_PNSt15iterator_traitsISG_E10value_typeET2_T3_PNSH_ISM_E10value_typeET4_T5_PSR_SS_PNS1_23onesweep_lookback_stateEbbT6_jjT7_P12ihipStream_tbENKUlT_T0_SG_SL_E_clIPiSA_PsSB_EEDaSZ_S10_SG_SL_EUlSZ_E_NS1_11comp_targetILNS1_3genE9ELNS1_11target_archE1100ELNS1_3gpuE3ELNS1_3repE0EEENS1_47radix_sort_onesweep_sort_config_static_selectorELNS0_4arch9wavefront6targetE1EEEvSG_
    .private_segment_fixed_size: 0
    .sgpr_count:     6
    .sgpr_spill_count: 0
    .symbol:         _ZN7rocprim17ROCPRIM_400000_NS6detail17trampoline_kernelINS0_14default_configENS1_35radix_sort_onesweep_config_selectorIisEEZZNS1_29radix_sort_onesweep_iterationIS3_Lb0EN6thrust23THRUST_200600_302600_NS10device_ptrIiEESA_NS9_IsEESB_jNS0_19identity_decomposerENS1_16block_id_wrapperIjLb0EEEEE10hipError_tT1_PNSt15iterator_traitsISG_E10value_typeET2_T3_PNSH_ISM_E10value_typeET4_T5_PSR_SS_PNS1_23onesweep_lookback_stateEbbT6_jjT7_P12ihipStream_tbENKUlT_T0_SG_SL_E_clIPiSA_PsSB_EEDaSZ_S10_SG_SL_EUlSZ_E_NS1_11comp_targetILNS1_3genE9ELNS1_11target_archE1100ELNS1_3gpuE3ELNS1_3repE0EEENS1_47radix_sort_onesweep_sort_config_static_selectorELNS0_4arch9wavefront6targetE1EEEvSG_.kd
    .uniform_work_group_size: 1
    .uses_dynamic_stack: false
    .vgpr_count:     0
    .vgpr_spill_count: 0
    .wavefront_size: 64
  - .agpr_count:     0
    .args:
      - .offset:         0
        .size:           88
        .value_kind:     by_value
    .group_segment_fixed_size: 0
    .kernarg_segment_align: 8
    .kernarg_segment_size: 88
    .language:       OpenCL C
    .language_version:
      - 2
      - 0
    .max_flat_workgroup_size: 1024
    .name:           _ZN7rocprim17ROCPRIM_400000_NS6detail17trampoline_kernelINS0_14default_configENS1_35radix_sort_onesweep_config_selectorIisEEZZNS1_29radix_sort_onesweep_iterationIS3_Lb0EN6thrust23THRUST_200600_302600_NS10device_ptrIiEESA_NS9_IsEESB_jNS0_19identity_decomposerENS1_16block_id_wrapperIjLb0EEEEE10hipError_tT1_PNSt15iterator_traitsISG_E10value_typeET2_T3_PNSH_ISM_E10value_typeET4_T5_PSR_SS_PNS1_23onesweep_lookback_stateEbbT6_jjT7_P12ihipStream_tbENKUlT_T0_SG_SL_E_clIPiSA_PsSB_EEDaSZ_S10_SG_SL_EUlSZ_E_NS1_11comp_targetILNS1_3genE8ELNS1_11target_archE1030ELNS1_3gpuE2ELNS1_3repE0EEENS1_47radix_sort_onesweep_sort_config_static_selectorELNS0_4arch9wavefront6targetE1EEEvSG_
    .private_segment_fixed_size: 0
    .sgpr_count:     6
    .sgpr_spill_count: 0
    .symbol:         _ZN7rocprim17ROCPRIM_400000_NS6detail17trampoline_kernelINS0_14default_configENS1_35radix_sort_onesweep_config_selectorIisEEZZNS1_29radix_sort_onesweep_iterationIS3_Lb0EN6thrust23THRUST_200600_302600_NS10device_ptrIiEESA_NS9_IsEESB_jNS0_19identity_decomposerENS1_16block_id_wrapperIjLb0EEEEE10hipError_tT1_PNSt15iterator_traitsISG_E10value_typeET2_T3_PNSH_ISM_E10value_typeET4_T5_PSR_SS_PNS1_23onesweep_lookback_stateEbbT6_jjT7_P12ihipStream_tbENKUlT_T0_SG_SL_E_clIPiSA_PsSB_EEDaSZ_S10_SG_SL_EUlSZ_E_NS1_11comp_targetILNS1_3genE8ELNS1_11target_archE1030ELNS1_3gpuE2ELNS1_3repE0EEENS1_47radix_sort_onesweep_sort_config_static_selectorELNS0_4arch9wavefront6targetE1EEEvSG_.kd
    .uniform_work_group_size: 1
    .uses_dynamic_stack: false
    .vgpr_count:     0
    .vgpr_spill_count: 0
    .wavefront_size: 64
amdhsa.target:   amdgcn-amd-amdhsa--gfx950
amdhsa.version:
  - 1
  - 2
...

	.end_amdgpu_metadata
